;; amdgpu-corpus repo=pytorch/pytorch kind=compiled arch=gfx1250 opt=O3
	.amdgcn_target "amdgcn-amd-amdhsa--gfx1250"
	.amdhsa_code_object_version 6
	.section	.text._ZN2at6native29vectorized_elementwise_kernelILi16ENS0_13BinaryFunctorIhhbNS0_12_GLOBAL__N_116CompareEqFunctorIhEEEESt5arrayIPcLm3EEEEviT0_T1_,"axG",@progbits,_ZN2at6native29vectorized_elementwise_kernelILi16ENS0_13BinaryFunctorIhhbNS0_12_GLOBAL__N_116CompareEqFunctorIhEEEESt5arrayIPcLm3EEEEviT0_T1_,comdat
	.globl	_ZN2at6native29vectorized_elementwise_kernelILi16ENS0_13BinaryFunctorIhhbNS0_12_GLOBAL__N_116CompareEqFunctorIhEEEESt5arrayIPcLm3EEEEviT0_T1_ ; -- Begin function _ZN2at6native29vectorized_elementwise_kernelILi16ENS0_13BinaryFunctorIhhbNS0_12_GLOBAL__N_116CompareEqFunctorIhEEEESt5arrayIPcLm3EEEEviT0_T1_
	.p2align	8
	.type	_ZN2at6native29vectorized_elementwise_kernelILi16ENS0_13BinaryFunctorIhhbNS0_12_GLOBAL__N_116CompareEqFunctorIhEEEESt5arrayIPcLm3EEEEviT0_T1_,@function
_ZN2at6native29vectorized_elementwise_kernelILi16ENS0_13BinaryFunctorIhhbNS0_12_GLOBAL__N_116CompareEqFunctorIhEEEESt5arrayIPcLm3EEEEviT0_T1_: ; @_ZN2at6native29vectorized_elementwise_kernelILi16ENS0_13BinaryFunctorIhhbNS0_12_GLOBAL__N_116CompareEqFunctorIhEEEESt5arrayIPcLm3EEEEviT0_T1_
; %bb.0:
	s_clause 0x2
	s_load_b64 s[12:13], s[0:1], 0x0
	s_load_b128 s[16:19], s[0:1], 0x8
	s_load_b64 s[20:21], s[0:1], 0x18
	s_wait_xcnt 0x0
	s_bfe_u32 s0, ttmp6, 0x4000c
	s_and_b32 s1, ttmp6, 15
	s_add_co_i32 s0, s0, 1
	s_getreg_b32 s2, hwreg(HW_REG_IB_STS2, 6, 4)
	s_mul_i32 s0, ttmp9, s0
	s_delay_alu instid0(SALU_CYCLE_1) | instskip(SKIP_2) | instid1(SALU_CYCLE_1)
	s_add_co_i32 s1, s1, s0
	s_cmp_eq_u32 s2, 0
	s_cselect_b32 s0, ttmp9, s1
	s_lshl_b32 s14, s0, 12
	s_mov_b32 s0, -1
	s_wait_kmcnt 0x0
	s_sub_co_i32 s22, s12, s14
	s_delay_alu instid0(SALU_CYCLE_1)
	s_cmp_gt_i32 s22, 0xfff
	s_cbranch_scc0 .LBB0_2
; %bb.1:
	s_ashr_i32 s15, s14, 31
	s_cmp_eq_u32 s13, 0
	s_add_nc_u64 s[0:1], s[18:19], s[14:15]
	s_cselect_b32 s23, -1, 0
	global_load_b128 v[2:5], v0, s[0:1] scale_offset
	s_wait_xcnt 0x0
	s_add_nc_u64 s[0:1], s[20:21], s[14:15]
	global_load_b128 v[6:9], v0, s[0:1] scale_offset
	s_wait_loadcnt 0x1
	v_and_b32_e32 v14, 0xff, v3
	v_dual_lshrrev_b32 v12, 16, v3 :: v_dual_lshrrev_b32 v13, 24, v3
	s_wait_loadcnt 0x0
	v_and_b32_e32 v26, 0xff, v7
	v_dual_lshrrev_b32 v18, 16, v5 :: v_dual_lshrrev_b32 v19, 24, v5
	v_and_b32_e32 v20, 0xff, v5
	v_lshrrev_b16 v5, 8, v5
	v_dual_lshrrev_b32 v24, 16, v7 :: v_dual_lshrrev_b32 v25, 24, v7
	v_dual_lshrrev_b32 v30, 16, v9 :: v_dual_lshrrev_b32 v31, 24, v9
	v_and_b32_e32 v32, 0xff, v9
	v_lshrrev_b16 v9, 8, v9
	v_cmp_ne_u16_e64 s0, v14, v26
	v_dual_lshrrev_b32 v1, 16, v2 :: v_dual_lshrrev_b32 v10, 24, v2
	v_and_b32_e32 v11, 0xff, v2
	v_lshrrev_b16 v2, 8, v2
	v_dual_lshrrev_b32 v21, 16, v6 :: v_dual_lshrrev_b32 v22, 24, v6
	v_and_b32_e32 v23, 0xff, v6
	v_lshrrev_b16 v6, 8, v6
	v_cmp_ne_u16_e64 s1, v13, v25
	v_cmp_ne_u16_e64 s5, v5, v9
	v_dual_lshrrev_b32 v15, 16, v4 :: v_dual_lshrrev_b32 v16, 24, v4
	v_and_b32_e32 v17, 0xff, v4
	v_lshrrev_b16 v4, 8, v4
	v_dual_lshrrev_b32 v27, 16, v8 :: v_dual_lshrrev_b32 v28, 24, v8
	v_and_b32_e32 v29, 0xff, v8
	v_lshrrev_b16 v8, 8, v8
	v_lshrrev_b16 v3, 8, v3
	;; [unrolled: 1-line block ×3, first 2 shown]
	v_cmp_ne_u16_e64 s6, v20, v32
	s_xor_b32 s0, s23, s0
	v_cmp_ne_u16_e64 s7, v19, v31
	v_cmp_ne_u16_e64 s2, v2, v6
	v_cndmask_b32_e64 v2, 0, 1, s0
	s_xor_b32 s0, s23, s1
	s_xor_b32 s1, s23, s5
	v_cmp_ne_u16_e64 s8, v4, v8
	v_and_b32_e32 v12, 0xff, v12
	v_and_b32_e32 v24, 0xff, v24
	v_cmp_ne_u16_e32 vcc_lo, v3, v7
	v_cmp_ne_u16_e64 s3, v11, v23
	v_cndmask_b32_e64 v7, 0, 1, s1
	s_xor_b32 s1, s23, s6
	v_cmp_ne_u16_e64 s9, v17, v29
	v_and_b32_e32 v1, 0xff, v1
	v_and_b32_e32 v21, 0xff, v21
	v_cmp_ne_u16_e64 s4, v10, v22
	v_cndmask_b32_e64 v8, 0, 1, s1
	s_xor_b32 s1, s23, s7
	v_cmp_ne_u16_e64 s10, v16, v28
	v_cndmask_b32_e64 v3, 0, 1, s0
	s_xor_b32 s0, s23, s2
	v_and_b32_e32 v15, 0xff, v15
	v_and_b32_e32 v18, 0xff, v18
	;; [unrolled: 1-line block ×4, first 2 shown]
	v_cndmask_b32_e64 v9, 0, 1, s1
	s_xor_b32 s1, s23, s8
	v_cmp_ne_u16_e64 s11, v12, v24
	v_cndmask_b32_e64 v4, 0, 1, s0
	s_xor_b32 s0, s23, s3
	v_cndmask_b32_e64 v10, 0, 1, s1
	s_xor_b32 s1, s23, s9
	v_cmp_ne_u16_e64 s12, v1, v21
	v_cndmask_b32_e64 v5, 0, 1, s0
	s_xor_b32 s0, s23, s4
	v_cndmask_b32_e64 v11, 0, 1, s1
	s_xor_b32 s1, s23, s10
	s_xor_b32 s24, s23, vcc_lo
	v_cndmask_b32_e64 v6, 0, 1, s0
	v_cmp_ne_u16_e32 vcc_lo, v18, v30
	v_cmp_ne_u16_e64 s0, v15, v27
	v_cndmask_b32_e64 v12, 0, 1, s1
	s_xor_b32 s1, s23, s11
	v_cndmask_b32_e64 v1, 0, 1, s24
	v_cndmask_b32_e64 v13, 0, 1, s1
	s_xor_b32 s1, s23, s12
	s_xor_b32 s0, s23, s0
	v_cndmask_b32_e64 v14, 0, 1, s1
	s_xor_b32 s1, s23, vcc_lo
	v_lshlrev_b16 v1, 8, v1
	v_lshlrev_b16 v3, 8, v3
	v_lshlrev_b16 v4, 8, v4
	v_lshlrev_b16 v6, 8, v6
	v_lshlrev_b16 v7, 8, v7
	v_lshlrev_b16 v9, 8, v9
	v_cndmask_b32_e64 v15, 0, 1, s1
	v_lshlrev_b16 v10, 8, v10
	v_lshlrev_b16 v12, 8, v12
	v_cndmask_b32_e64 v16, 0, 1, s0
	v_or_b32_e32 v1, v2, v1
	v_or_b32_e32 v2, v13, v3
	;; [unrolled: 1-line block ×8, first 2 shown]
	v_and_b32_e32 v5, 0xffff, v5
	v_and_b32_e32 v7, 0xffff, v7
	v_lshlrev_b32_e32 v8, 16, v8
	v_dual_lshlrev_b32 v4, 16, v4 :: v_dual_lshlrev_b32 v2, 16, v2
	v_and_b32_e32 v1, 0xffff, v1
	v_lshlrev_b32_e32 v6, 16, v6
	v_and_b32_e32 v9, 0xffff, v3
	s_add_nc_u64 s[2:3], s[16:17], s[14:15]
	s_mov_b32 s0, 0
	v_or_b32_e32 v3, v1, v2
	v_or_b32_e32 v5, v5, v6
	;; [unrolled: 1-line block ×4, first 2 shown]
	global_store_b128 v0, v[2:5], s[2:3] scale_offset
.LBB0_2:
	s_and_not1_b32 vcc_lo, exec_lo, s0
	s_cbranch_vccnz .LBB0_54
; %bb.3:
	v_cmp_le_i32_e64 s0, s22, v0
	v_or_b32_e32 v1, 0x100, v0
	v_cmp_gt_i32_e32 vcc_lo, s22, v0
	s_wait_xcnt 0x0
	s_and_saveexec_b32 s1, s0
	s_delay_alu instid0(SALU_CYCLE_1)
	s_xor_b32 s0, exec_lo, s1
; %bb.4:
	v_or_b32_e32 v1, 0x100, v0
; %bb.5:
	s_or_saveexec_b32 s1, s0
	v_dual_mov_b32 v35, 0 :: v_dual_bitop2_b32 v8, s14, v0 bitop3:0x54
	v_dual_mov_b32 v34, 0 :: v_dual_mov_b32 v36, 0
	v_dual_mov_b32 v33, 0 :: v_dual_mov_b32 v32, 0
	;; [unrolled: 1-line block ×14, first 2 shown]
	v_mov_b32_e32 v28, 0
	s_mov_b32 s5, 0
	s_xor_b32 exec_lo, exec_lo, s1
	s_cbranch_execz .LBB0_37
; %bb.6:
	s_clause 0x1
	global_load_u8 v26, v8, s[18:19]
	global_load_u8 v28, v8, s[20:21]
	v_cmp_gt_u32_e64 s0, s22, v1
	v_dual_mov_b32 v17, 0 :: v_dual_mov_b32 v16, 0
	v_dual_mov_b32 v3, 0 :: v_dual_mov_b32 v10, 0
	;; [unrolled: 1-line block ×14, first 2 shown]
	s_mov_b32 s3, 0
	s_wait_xcnt 0x0
	s_and_saveexec_b32 s2, s0
	s_cbranch_execz .LBB0_36
; %bb.7:
	v_dual_mov_b32 v3, 0 :: v_dual_add_nc_u32 v2, s14, v0
	v_or_b32_e32 v4, 0x200, v0
	v_dual_mov_b32 v10, 0 :: v_dual_mov_b32 v9, 0
	v_mov_b32_e32 v29, 0
	s_clause 0x1
	global_load_u8 v16, v2, s[18:19] offset:256
	global_load_u8 v17, v2, s[20:21] offset:256
	v_cmp_gt_u32_e64 s0, s22, v4
	v_dual_mov_b32 v4, 0 :: v_dual_mov_b32 v30, 0
	v_dual_mov_b32 v25, 0 :: v_dual_mov_b32 v27, 0
	;; [unrolled: 1-line block ×11, first 2 shown]
	s_mov_b32 s4, 0
	s_wait_xcnt 0x0
	s_and_saveexec_b32 s3, s0
	s_cbranch_execz .LBB0_35
; %bb.8:
	v_add_nc_u64_e32 v[4:5], s[18:19], v[2:3]
	v_add_nc_u64_e32 v[6:7], s[20:21], v[2:3]
	v_or_b32_e32 v9, 0x300, v0
	v_dual_mov_b32 v30, 0 :: v_dual_mov_b32 v25, 0
	v_dual_mov_b32 v29, 0 :: v_dual_mov_b32 v27, 0
	v_mov_b32_e32 v22, 0
	global_load_u8 v10, v[4:5], off offset:512
	global_load_u8 v2, v[6:7], off offset:512
	v_cmp_gt_u32_e64 s0, s22, v9
	v_dual_mov_b32 v9, 0 :: v_dual_mov_b32 v24, 0
	v_dual_mov_b32 v18, 0 :: v_dual_mov_b32 v19, 0
	;; [unrolled: 1-line block ×9, first 2 shown]
	s_wait_xcnt 0x0
	s_and_saveexec_b32 s4, s0
	s_cbranch_execz .LBB0_34
; %bb.9:
	global_load_u8 v9, v[4:5], off offset:768
	global_load_u8 v3, v[6:7], off offset:768
	v_or_b32_e32 v11, 0x400, v0
	v_dual_mov_b32 v29, 0 :: v_dual_mov_b32 v30, 0
	v_dual_mov_b32 v25, 0 :: v_dual_mov_b32 v27, 0
	s_delay_alu instid0(VALU_DEP_3)
	v_cmp_gt_u32_e64 s0, s22, v11
	v_dual_mov_b32 v22, 0 :: v_dual_mov_b32 v24, 0
	v_dual_mov_b32 v18, 0 :: v_dual_mov_b32 v19, 0
	;; [unrolled: 1-line block ×9, first 2 shown]
	s_mov_b32 s6, 0
	s_wait_xcnt 0x0
	s_and_saveexec_b32 s5, s0
	s_cbranch_execz .LBB0_33
; %bb.10:
	global_load_u8 v30, v[4:5], off offset:1024
	global_load_u8 v29, v[6:7], off offset:1024
	v_or_b32_e32 v11, 0x500, v0
	v_dual_mov_b32 v25, 0 :: v_dual_mov_b32 v27, 0
	v_dual_mov_b32 v22, 0 :: v_dual_mov_b32 v24, 0
	s_delay_alu instid0(VALU_DEP_3)
	v_cmp_gt_u32_e64 s0, s22, v11
	v_dual_mov_b32 v18, 0 :: v_dual_mov_b32 v19, 0
	v_dual_mov_b32 v20, 0 :: v_dual_mov_b32 v21, 0
	v_dual_mov_b32 v23, 0 :: v_dual_mov_b32 v13, 0
	v_dual_mov_b32 v11, 0 :: v_dual_mov_b32 v14, 0
	v_dual_mov_b32 v12, 0 :: v_dual_mov_b32 v15, 0
	v_dual_mov_b32 v31, 0 :: v_dual_mov_b32 v32, 0
	v_dual_mov_b32 v33, 0 :: v_dual_mov_b32 v36, 0
	v_dual_mov_b32 v34, 0 :: v_dual_mov_b32 v35, 0
	s_mov_b32 s7, 0
	s_wait_xcnt 0x0
	s_and_saveexec_b32 s6, s0
	s_cbranch_execz .LBB0_32
; %bb.11:
	global_load_u8 v27, v[4:5], off offset:1280
	global_load_u8 v25, v[6:7], off offset:1280
	v_or_b32_e32 v11, 0x600, v0
	v_dual_mov_b32 v22, 0 :: v_dual_mov_b32 v24, 0
	v_dual_mov_b32 v18, 0 :: v_dual_mov_b32 v19, 0
	s_delay_alu instid0(VALU_DEP_3)
	v_cmp_gt_u32_e64 s0, s22, v11
	v_dual_mov_b32 v20, 0 :: v_dual_mov_b32 v21, 0
	v_dual_mov_b32 v23, 0 :: v_dual_mov_b32 v13, 0
	v_dual_mov_b32 v11, 0 :: v_dual_mov_b32 v14, 0
	v_dual_mov_b32 v12, 0 :: v_dual_mov_b32 v15, 0
	v_dual_mov_b32 v31, 0 :: v_dual_mov_b32 v32, 0
	v_dual_mov_b32 v33, 0 :: v_dual_mov_b32 v36, 0
	v_dual_mov_b32 v34, 0 :: v_dual_mov_b32 v35, 0
	s_mov_b32 s8, 0
	s_wait_xcnt 0x0
	s_and_saveexec_b32 s7, s0
	s_cbranch_execz .LBB0_31
; %bb.12:
	global_load_u8 v24, v[4:5], off offset:1536
	global_load_u8 v22, v[6:7], off offset:1536
	v_or_b32_e32 v11, 0x700, v0
	v_dual_mov_b32 v18, 0 :: v_dual_mov_b32 v19, 0
	v_dual_mov_b32 v20, 0 :: v_dual_mov_b32 v21, 0
	s_delay_alu instid0(VALU_DEP_3)
	v_cmp_gt_u32_e64 s0, s22, v11
	v_dual_mov_b32 v23, 0 :: v_dual_mov_b32 v13, 0
	v_dual_mov_b32 v11, 0 :: v_dual_mov_b32 v14, 0
	;; [unrolled: 1-line block ×6, first 2 shown]
	s_mov_b32 s9, 0
	s_wait_xcnt 0x0
	s_and_saveexec_b32 s8, s0
	s_cbranch_execz .LBB0_30
; %bb.13:
	global_load_u8 v19, v[4:5], off offset:1792
	global_load_u8 v18, v[6:7], off offset:1792
	v_or_b32_e32 v11, 0x800, v0
	v_dual_mov_b32 v20, 0 :: v_dual_mov_b32 v21, 0
	v_dual_mov_b32 v23, 0 :: v_dual_mov_b32 v13, 0
	s_delay_alu instid0(VALU_DEP_3)
	v_cmp_gt_u32_e64 s0, s22, v11
	v_dual_mov_b32 v11, 0 :: v_dual_mov_b32 v14, 0
	v_dual_mov_b32 v12, 0 :: v_dual_mov_b32 v15, 0
	;; [unrolled: 1-line block ×5, first 2 shown]
	s_mov_b32 s10, 0
	s_wait_xcnt 0x0
	s_and_saveexec_b32 s9, s0
	s_cbranch_execz .LBB0_29
; %bb.14:
	global_load_u8 v21, v[4:5], off offset:2048
	global_load_u8 v20, v[6:7], off offset:2048
	v_or_b32_e32 v11, 0x900, v0
	v_dual_mov_b32 v23, 0 :: v_dual_mov_b32 v13, 0
	v_dual_mov_b32 v12, 0 :: v_dual_mov_b32 v15, 0
	s_delay_alu instid0(VALU_DEP_3)
	v_cmp_gt_u32_e64 s0, s22, v11
	v_dual_mov_b32 v11, 0 :: v_dual_mov_b32 v14, 0
	v_dual_mov_b32 v31, 0 :: v_dual_mov_b32 v32, 0
	;; [unrolled: 1-line block ×4, first 2 shown]
	s_mov_b32 s11, 0
	s_wait_xcnt 0x0
	s_and_saveexec_b32 s10, s0
	s_cbranch_execz .LBB0_28
; %bb.15:
	global_load_u8 v13, v[4:5], off offset:2304
	global_load_u8 v23, v[6:7], off offset:2304
	v_or_b32_e32 v11, 0xa00, v0
	v_dual_mov_b32 v12, 0 :: v_dual_mov_b32 v15, 0
	v_dual_mov_b32 v31, 0 :: v_dual_mov_b32 v32, 0
	s_delay_alu instid0(VALU_DEP_3)
	v_cmp_gt_u32_e64 s0, s22, v11
	v_dual_mov_b32 v11, 0 :: v_dual_mov_b32 v14, 0
	v_dual_mov_b32 v33, 0 :: v_dual_mov_b32 v36, 0
	v_dual_mov_b32 v34, 0 :: v_dual_mov_b32 v35, 0
	s_mov_b32 s12, 0
	s_wait_xcnt 0x0
	s_and_saveexec_b32 s11, s0
	s_cbranch_execz .LBB0_27
; %bb.16:
	global_load_u8 v14, v[4:5], off offset:2560
	global_load_u8 v11, v[6:7], off offset:2560
	v_or_b32_e32 v12, 0xb00, v0
	v_dual_mov_b32 v31, 0 :: v_dual_mov_b32 v32, 0
	v_dual_mov_b32 v33, 0 :: v_dual_mov_b32 v36, 0
	s_delay_alu instid0(VALU_DEP_3)
	v_cmp_gt_u32_e64 s0, s22, v12
	v_dual_mov_b32 v12, 0 :: v_dual_mov_b32 v15, 0
	v_dual_mov_b32 v34, 0 :: v_dual_mov_b32 v35, 0
	s_mov_b32 s15, 0
	s_wait_xcnt 0x0
	s_and_saveexec_b32 s12, s0
	s_cbranch_execz .LBB0_26
; %bb.17:
	global_load_u8 v15, v[4:5], off offset:2816
	global_load_u8 v12, v[6:7], off offset:2816
	v_or_b32_e32 v31, 0xc00, v0
	v_dual_mov_b32 v33, 0 :: v_dual_mov_b32 v36, 0
	v_dual_mov_b32 v34, 0 :: v_dual_mov_b32 v35, 0
	s_delay_alu instid0(VALU_DEP_3)
	v_cmp_gt_u32_e64 s0, s22, v31
	v_dual_mov_b32 v31, 0 :: v_dual_mov_b32 v32, 0
	s_mov_b32 s18, 0
	s_wait_xcnt 0x0
	s_and_saveexec_b32 s15, s0
	s_cbranch_execz .LBB0_25
; %bb.18:
	global_load_u8 v32, v[4:5], off offset:3072
	global_load_u8 v31, v[6:7], off offset:3072
	v_or_b32_e32 v33, 0xd00, v0
	v_dual_mov_b32 v34, 0 :: v_dual_mov_b32 v35, 0
	s_mov_b32 s19, 0
	v_mov_b32_e32 v36, 0
	s_delay_alu instid0(VALU_DEP_3)
	v_cmp_gt_u32_e64 s0, s22, v33
	v_mov_b32_e32 v33, 0
	s_wait_xcnt 0x0
	s_and_saveexec_b32 s18, s0
	s_cbranch_execz .LBB0_24
; %bb.19:
	global_load_u8 v36, v[4:5], off offset:3328
	global_load_u8 v33, v[6:7], off offset:3328
	v_or_b32_e32 v34, 0xe00, v0
	s_mov_b32 s20, 0
	v_mov_b32_e32 v35, 0
	s_delay_alu instid0(VALU_DEP_2)
	v_cmp_gt_u32_e64 s0, s22, v34
	v_mov_b32_e32 v34, 0
	s_wait_xcnt 0x0
	s_and_saveexec_b32 s19, s0
	s_cbranch_execz .LBB0_23
; %bb.20:
	global_load_u8 v35, v[4:5], off offset:3584
	global_load_u8 v34, v[6:7], off offset:3584
	v_or_b32_e32 v37, 0xf00, v0
	s_mov_b32 s21, 0
	s_mov_b32 s20, exec_lo
	s_wait_xcnt 0x0
	s_delay_alu instid0(VALU_DEP_1)
	v_cmpx_gt_u32_e64 s22, v37
	s_cbranch_execz .LBB0_22
; %bb.21:
	global_load_u8 v37, v[4:5], off offset:3840
	global_load_u8 v38, v[6:7], off offset:3840
	s_wait_loadcnt 0x0
	v_cmp_ne_u16_e64 s0, v37, v38
	s_and_b32 s21, s0, exec_lo
.LBB0_22:
	s_wait_xcnt 0x0
	s_or_b32 exec_lo, exec_lo, s20
	s_delay_alu instid0(SALU_CYCLE_1)
	s_and_b32 s20, s21, exec_lo
.LBB0_23:
	s_or_b32 exec_lo, exec_lo, s19
	s_delay_alu instid0(SALU_CYCLE_1)
	s_and_b32 s19, s20, exec_lo
.LBB0_24:
	s_or_b32 exec_lo, exec_lo, s18
	s_delay_alu instid0(SALU_CYCLE_1)
	s_and_b32 s18, s19, exec_lo
.LBB0_25:
	s_or_b32 exec_lo, exec_lo, s15
	s_delay_alu instid0(SALU_CYCLE_1)
	s_and_b32 s15, s18, exec_lo
.LBB0_26:
	s_or_b32 exec_lo, exec_lo, s12
	s_delay_alu instid0(SALU_CYCLE_1)
	s_and_b32 s12, s15, exec_lo
.LBB0_27:
	s_or_b32 exec_lo, exec_lo, s11
	s_delay_alu instid0(SALU_CYCLE_1)
	s_and_b32 s11, s12, exec_lo
.LBB0_28:
	s_or_b32 exec_lo, exec_lo, s10
	s_delay_alu instid0(SALU_CYCLE_1)
	s_and_b32 s10, s11, exec_lo
.LBB0_29:
	s_or_b32 exec_lo, exec_lo, s9
	s_delay_alu instid0(SALU_CYCLE_1)
	s_and_b32 s9, s10, exec_lo
.LBB0_30:
	s_or_b32 exec_lo, exec_lo, s8
	s_delay_alu instid0(SALU_CYCLE_1)
	s_and_b32 s8, s9, exec_lo
.LBB0_31:
	s_or_b32 exec_lo, exec_lo, s7
	s_delay_alu instid0(SALU_CYCLE_1)
	s_and_b32 s7, s8, exec_lo
.LBB0_32:
	s_or_b32 exec_lo, exec_lo, s6
	s_delay_alu instid0(SALU_CYCLE_1)
	s_and_b32 s6, s7, exec_lo
.LBB0_33:
	s_or_b32 exec_lo, exec_lo, s5
	s_delay_alu instid0(SALU_CYCLE_1)
	s_and_b32 s5, s6, exec_lo
.LBB0_34:
	s_or_b32 exec_lo, exec_lo, s4
	s_wait_loadcnt 0x0
	v_dual_mov_b32 v4, v3 :: v_dual_mov_b32 v3, v2
	s_and_b32 s4, s5, exec_lo
.LBB0_35:
	s_or_b32 exec_lo, exec_lo, s3
	s_delay_alu instid0(SALU_CYCLE_1)
	s_and_b32 s3, s4, exec_lo
.LBB0_36:
	s_or_b32 exec_lo, exec_lo, s2
	s_delay_alu instid0(SALU_CYCLE_1)
	s_and_b32 s5, s3, exec_lo
.LBB0_37:
	s_or_b32 exec_lo, exec_lo, s1
	s_wait_loadcnt 0x0
	v_and_b32_e32 v2, 0xff, v28
	v_and_b32_e32 v5, 0xff, v26
	;; [unrolled: 1-line block ×4, first 2 shown]
	s_cmp_eq_u32 s13, 0
	v_and_b32_e32 v3, 0xff, v3
	v_cmp_ne_u16_e64 s0, v5, v2
	s_cselect_b32 s6, -1, 0
	v_cmp_ne_u16_e64 s1, v7, v6
	v_and_b32_e32 v2, 0xff, v17
	v_and_b32_e32 v6, 0xff, v16
	s_xor_b32 s0, s6, s0
	v_and_b32_e32 v16, 0xff, v25
	v_cndmask_b32_e64 v5, 0, 1, s0
	s_xor_b32 s0, s6, s1
	v_and_b32_e32 v17, 0xff, v27
	v_cndmask_b32_e64 v7, 0, 1, s0
	v_cmp_ne_u16_e64 s0, v6, v2
	v_cndmask_b32_e32 v2, 0, v5, vcc_lo
	v_and_b32_e32 v10, 0xff, v10
	v_cmp_ne_u16_e64 s1, v17, v16
	v_bitop3_b16 v5, v7, 0, 0xff00 bitop3:0xf8
	v_or_b32_e32 v7, 0x400, v0
	s_xor_b32 s0, s6, s0
	v_and_b32_e32 v4, 0xff, v4
	v_cndmask_b32_e64 v6, 0, 1, s0
	s_xor_b32 s0, s6, s1
	v_and_b32_e32 v5, 0xffff, v5
	v_cndmask_b32_e64 v16, 0, 1, s0
	v_cmp_gt_i32_e64 s0, s22, v7
	v_lshlrev_b16 v6, 8, v6
	v_cmp_gt_i32_e64 s1, s22, v1
	v_and_b32_e32 v17, 0xff, v33
	v_lshlrev_b16 v7, 8, v16
	v_cndmask_b32_e64 v5, 0, v5, s0
	v_cmp_ne_u16_e64 s0, v10, v3
	v_or_b32_e32 v3, 0x500, v0
	v_and_b32_e32 v10, 0xff, v22
	v_and_b32_e32 v16, 0xff, v24
	v_bitop3_b16 v7, v5, v7, 0xff bitop3:0xec
	s_xor_b32 s0, s6, s0
	v_and_b32_e32 v13, 0xff, v13
	v_and_b32_e32 v11, 0xff, v11
	;; [unrolled: 1-line block ×4, first 2 shown]
	v_or_b32_e32 v6, v2, v6
	s_delay_alu instid0(VALU_DEP_1) | instskip(NEXT) | instid1(VALU_DEP_1)
	v_and_b32_e32 v6, 0xffff, v6
	v_cndmask_b32_e64 v2, v2, v6, s1
	v_cmp_gt_i32_e64 s1, s22, v3
	v_and_b32_e32 v6, 0xff, v9
	s_delay_alu instid0(VALU_DEP_2)
	v_cndmask_b32_e64 v3, v5, v7, s1
	v_cmp_ne_u16_e64 s1, v16, v10
	v_cndmask_b32_e64 v5, 0, 1, s0
	v_or_b32_e32 v10, 0x200, v0
	v_and_b32_e32 v16, 0xff, v32
	v_lshrrev_b32_e32 v7, 16, v3
	s_xor_b32 s0, s6, s1
	v_lshl_or_b32 v5, v5, 16, v2
	v_cndmask_b32_e64 v9, 0, 1, s0
	v_cmp_ne_u16_e64 s0, v6, v4
	v_cmp_gt_i32_e64 s1, s22, v10
	v_and_b32_e32 v10, 0xff, v31
	s_delay_alu instid0(VALU_DEP_4)
	v_bitop3_b16 v4, v9, v7, 0xff00 bitop3:0xf8
	s_xor_b32 s0, s6, s0
	v_cndmask_b32_e64 v2, v2, v5, s1
	v_cndmask_b32_e64 v5, 0, 1, s0
	v_or_b32_e32 v7, 0x600, v0
	v_lshlrev_b32_e32 v4, 16, v4
	v_cmp_ne_u16_e64 s1, v16, v10
	v_and_b32_e32 v9, 0xff, v23
	v_lshlrev_b16 v5, 8, v5
	v_cmp_gt_i32_e64 s0, s22, v7
	v_and_or_b32 v4, 0xffff, v3, v4
	v_lshrrev_b32_e32 v6, 16, v2
	s_xor_b32 s1, s6, s1
	v_cmp_ne_u16_e64 s4, v13, v9
	v_or_b32_e32 v16, 0xd00, v0
	v_cndmask_b32_e64 v3, v3, v4, s0
	v_bitop3_b16 v5, v6, v5, 0xff bitop3:0xec
	v_and_b32_e32 v4, 0xff, v18
	v_and_b32_e32 v6, 0xff, v19
	;; [unrolled: 1-line block ×3, first 2 shown]
	v_or_b32_e32 v19, 0x800, v0
	v_or_b32_e32 v13, 0x900, v0
	v_dual_lshlrev_b32 v5, 16, v5 :: v_dual_lshrrev_b32 v7, 16, v3
	v_cmp_ne_u16_e64 s0, v6, v4
	v_and_b32_e32 v4, 0xff, v20
	v_and_b32_e32 v6, 0xff, v21
	v_cmp_ne_u16_e64 s3, v18, v17
	v_and_b32_e32 v17, 0xff, v34
	v_and_b32_e32 v18, 0xff, v35
	s_xor_b32 s0, s6, s0
	v_cmp_ne_u16_e64 s2, v6, v4
	v_or_b32_e32 v4, 0xc00, v0
	v_cndmask_b32_e64 v6, 0, 1, s1
	s_xor_b32 s1, s6, s3
	v_and_or_b32 v5, 0xffff, v2, v5
	v_cndmask_b32_e64 v9, 0, 1, s1
	s_xor_b32 s1, s6, s2
	v_cmp_gt_i32_e64 s2, s22, v16
	v_cndmask_b32_e64 v10, 0, 1, s1
	v_cmp_gt_i32_e64 s1, s22, v4
	v_cndmask_b32_e64 v16, 0, 1, s0
	v_cmp_gt_i32_e64 s0, s22, v13
	s_delay_alu instid0(VALU_DEP_3)
	v_cndmask_b32_e64 v4, 0, v6, s1
	s_xor_b32 s1, s6, s4
	v_lshlrev_b16 v6, 8, v9
	v_cndmask_b32_e64 v9, 0, 1, s1
	v_cmp_gt_i32_e64 s1, s22, v19
	v_lshlrev_b16 v13, 8, v16
	s_delay_alu instid0(VALU_DEP_3) | instskip(NEXT) | instid1(VALU_DEP_3)
	v_lshlrev_b16 v9, 8, v9
	v_cndmask_b32_e64 v10, 0, v10, s1
	v_cmp_ne_u16_e64 s1, v14, v11
	s_delay_alu instid0(VALU_DEP_4) | instskip(SKIP_1) | instid1(VALU_DEP_4)
	v_bitop3_b16 v7, v7, v13, 0xff bitop3:0xec
	v_or_b32_e32 v13, 0x300, v0
	v_or_b32_e32 v9, v10, v9
	v_bitop3_b16 v6, v4, v6, 0xff bitop3:0xec
	s_xor_b32 s1, s6, s1
	v_lshlrev_b32_e32 v7, 16, v7
	s_delay_alu instid0(VALU_DEP_2) | instskip(NEXT) | instid1(VALU_DEP_2)
	v_and_b32_e32 v6, 0xffff, v6
	v_and_or_b32 v7, 0xffff, v3, v7
	s_delay_alu instid0(VALU_DEP_2) | instskip(SKIP_3) | instid1(VALU_DEP_4)
	v_cndmask_b32_e64 v4, v4, v6, s2
	v_cmp_ne_u16_e64 s2, v18, v17
	v_and_b32_e32 v6, 0xffff, v9
	v_cndmask_b32_e64 v9, 0, 1, s1
	v_lshrrev_b32_e32 v11, 16, v4
	s_xor_b32 s1, s6, s2
	s_delay_alu instid0(VALU_DEP_3) | instskip(SKIP_1) | instid1(VALU_DEP_1)
	v_cndmask_b32_e64 v6, v10, v6, s0
	v_cndmask_b32_e64 v14, 0, 1, s1
	v_bitop3_b16 v10, v14, v11, 0xff00 bitop3:0xf8
	v_and_b32_e32 v11, 0xff, v12
	v_and_b32_e32 v12, 0xff, v15
	v_lshlrev_b32_e32 v9, 16, v9
	v_or_b32_e32 v14, 0xa00, v0
	v_lshlrev_b32_e32 v10, 16, v10
	s_delay_alu instid0(VALU_DEP_4) | instskip(NEXT) | instid1(VALU_DEP_4)
	v_cmp_ne_u16_e64 s0, v12, v11
	v_and_or_b32 v9, 0x1ff, v6, v9
	v_or_b32_e32 v11, 0xe00, v0
	v_cmp_gt_i32_e64 s1, s22, v14
	v_and_or_b32 v10, 0xffff, v4, v10
	s_xor_b32 s0, s6, s0
	v_cndmask_b32_e64 v6, v6, v9, s1
	v_cndmask_b32_e64 v9, 0, 1, s0
	v_cmp_gt_i32_e64 s0, s22, v11
	s_delay_alu instid0(VALU_DEP_2) | instskip(NEXT) | instid1(VALU_DEP_2)
	v_lshlrev_b16 v9, 8, v9
	v_cndmask_b32_e64 v10, v4, v10, s0
	s_xor_b32 s0, s6, s5
	v_lshrrev_b32_e32 v11, 16, v6
	v_cndmask_b32_e64 v4, 0, 1, s0
	v_cmp_gt_i32_e64 s0, s22, v13
	v_lshrrev_b32_e32 v12, 16, v10
	s_delay_alu instid0(VALU_DEP_4) | instskip(NEXT) | instid1(VALU_DEP_4)
	v_bitop3_b16 v9, v11, v9, 0xff bitop3:0xec
	v_lshlrev_b16 v4, 8, v4
	s_delay_alu instid0(VALU_DEP_4) | instskip(SKIP_1) | instid1(VALU_DEP_3)
	v_cndmask_b32_e64 v5, v2, v5, s0
	v_or_b32_e32 v11, 0xb00, v0
	v_bitop3_b16 v4, v12, v4, 0xff bitop3:0xec
	v_lshlrev_b32_e32 v2, 16, v9
	v_or_b32_e32 v9, 0x700, v0
	v_or_b32_e32 v12, 0xf00, v0
	s_delay_alu instid0(VALU_DEP_4) | instskip(NEXT) | instid1(VALU_DEP_4)
	v_lshlrev_b32_e32 v4, 16, v4
	v_and_or_b32 v2, 0xffff, v6, v2
	s_delay_alu instid0(VALU_DEP_4) | instskip(NEXT) | instid1(VALU_DEP_3)
	v_cmp_gt_i32_e64 s0, s22, v9
	v_and_or_b32 v13, 0xffff, v10, v4
	s_delay_alu instid0(VALU_DEP_2) | instskip(SKIP_1) | instid1(VALU_DEP_1)
	v_cndmask_b32_e64 v4, v3, v7, s0
	v_cmp_gt_i32_e64 s0, s22, v11
	v_cndmask_b32_e64 v3, v6, v2, s0
	v_cmp_gt_i32_e64 s0, s22, v12
	s_delay_alu instid0(VALU_DEP_1)
	v_cndmask_b32_e64 v2, v10, v13, s0
	s_and_saveexec_b32 s0, vcc_lo
	s_cbranch_execnz .LBB0_55
; %bb.38:
	s_or_b32 exec_lo, exec_lo, s0
	s_delay_alu instid0(SALU_CYCLE_1)
	s_mov_b32 s0, exec_lo
	v_cmpx_gt_i32_e64 s22, v0
	s_cbranch_execnz .LBB0_56
.LBB0_39:
	s_or_b32 exec_lo, exec_lo, s0
	s_delay_alu instid0(SALU_CYCLE_1)
	s_mov_b32 s0, exec_lo
	v_cmpx_gt_i32_e64 s22, v0
	s_cbranch_execnz .LBB0_57
.LBB0_40:
	s_or_b32 exec_lo, exec_lo, s0
	s_delay_alu instid0(SALU_CYCLE_1)
	s_mov_b32 s0, exec_lo
	v_cmpx_gt_i32_e64 s22, v0
	s_cbranch_execnz .LBB0_58
.LBB0_41:
	s_or_b32 exec_lo, exec_lo, s0
	s_delay_alu instid0(SALU_CYCLE_1)
	s_mov_b32 s0, exec_lo
	v_cmpx_gt_i32_e64 s22, v0
	s_cbranch_execnz .LBB0_59
.LBB0_42:
	s_or_b32 exec_lo, exec_lo, s0
	s_delay_alu instid0(SALU_CYCLE_1)
	s_mov_b32 s0, exec_lo
	v_cmpx_gt_i32_e64 s22, v0
	s_cbranch_execnz .LBB0_60
.LBB0_43:
	s_or_b32 exec_lo, exec_lo, s0
	s_delay_alu instid0(SALU_CYCLE_1)
	s_mov_b32 s0, exec_lo
	v_cmpx_gt_i32_e64 s22, v0
	s_cbranch_execnz .LBB0_61
.LBB0_44:
	s_or_b32 exec_lo, exec_lo, s0
	s_delay_alu instid0(SALU_CYCLE_1)
	s_mov_b32 s0, exec_lo
	v_cmpx_gt_i32_e64 s22, v0
	s_cbranch_execnz .LBB0_62
.LBB0_45:
	s_or_b32 exec_lo, exec_lo, s0
	s_delay_alu instid0(SALU_CYCLE_1)
	s_mov_b32 s0, exec_lo
	v_cmpx_gt_i32_e64 s22, v0
	s_cbranch_execnz .LBB0_63
.LBB0_46:
	s_or_b32 exec_lo, exec_lo, s0
	s_delay_alu instid0(SALU_CYCLE_1)
	s_mov_b32 s0, exec_lo
	v_cmpx_gt_i32_e64 s22, v0
	s_cbranch_execnz .LBB0_64
.LBB0_47:
	s_or_b32 exec_lo, exec_lo, s0
	s_delay_alu instid0(SALU_CYCLE_1)
	s_mov_b32 s0, exec_lo
	v_cmpx_gt_i32_e64 s22, v0
	s_cbranch_execnz .LBB0_65
.LBB0_48:
	s_or_b32 exec_lo, exec_lo, s0
	s_delay_alu instid0(SALU_CYCLE_1)
	s_mov_b32 s0, exec_lo
	v_cmpx_gt_i32_e64 s22, v0
	s_cbranch_execnz .LBB0_66
.LBB0_49:
	s_or_b32 exec_lo, exec_lo, s0
	s_delay_alu instid0(SALU_CYCLE_1)
	s_mov_b32 s0, exec_lo
	v_cmpx_gt_i32_e64 s22, v0
	s_cbranch_execnz .LBB0_67
.LBB0_50:
	s_or_b32 exec_lo, exec_lo, s0
	s_delay_alu instid0(SALU_CYCLE_1)
	s_mov_b32 s0, exec_lo
	v_cmpx_gt_i32_e64 s22, v0
	s_cbranch_execnz .LBB0_68
.LBB0_51:
	s_or_b32 exec_lo, exec_lo, s0
	s_delay_alu instid0(SALU_CYCLE_1)
	s_mov_b32 s0, exec_lo
	v_cmpx_gt_i32_e64 s22, v0
	s_cbranch_execnz .LBB0_69
.LBB0_52:
	s_or_b32 exec_lo, exec_lo, s0
	s_delay_alu instid0(SALU_CYCLE_1)
	s_mov_b32 s0, exec_lo
	v_cmpx_gt_i32_e64 s22, v0
	s_cbranch_execz .LBB0_54
.LBB0_53:
	v_dual_lshrrev_b32 v1, 24, v2 :: v_dual_add_nc_u32 v0, s14, v0
	global_store_b8 v0, v1, s[16:17]
.LBB0_54:
	s_endpgm
.LBB0_55:
	v_mov_b32_e32 v0, v1
	global_store_b8 v8, v5, s[16:17]
	s_wait_xcnt 0x0
	s_or_b32 exec_lo, exec_lo, s0
	s_delay_alu instid0(SALU_CYCLE_1)
	s_mov_b32 s0, exec_lo
	v_cmpx_gt_i32_e64 s22, v0
	s_cbranch_execz .LBB0_39
.LBB0_56:
	v_dual_lshrrev_b32 v1, 8, v5 :: v_dual_add_nc_u32 v6, s14, v0
	v_add_nc_u32_e32 v0, 0x100, v0
	global_store_b8 v6, v1, s[16:17]
	s_wait_xcnt 0x0
	s_or_b32 exec_lo, exec_lo, s0
	s_delay_alu instid0(SALU_CYCLE_1)
	s_mov_b32 s0, exec_lo
	v_cmpx_gt_i32_e64 s22, v0
	s_cbranch_execz .LBB0_40
.LBB0_57:
	v_add_nc_u32_e32 v1, s14, v0
	v_add_nc_u32_e32 v0, 0x100, v0
	global_store_d16_hi_b8 v1, v5, s[16:17]
	s_wait_xcnt 0x0
	s_or_b32 exec_lo, exec_lo, s0
	s_delay_alu instid0(SALU_CYCLE_1)
	s_mov_b32 s0, exec_lo
	v_cmpx_gt_i32_e64 s22, v0
	s_cbranch_execz .LBB0_41
.LBB0_58:
	v_dual_lshrrev_b32 v1, 24, v5 :: v_dual_add_nc_u32 v5, s14, v0
	v_add_nc_u32_e32 v0, 0x100, v0
	global_store_b8 v5, v1, s[16:17]
	s_wait_xcnt 0x0
	s_or_b32 exec_lo, exec_lo, s0
	s_delay_alu instid0(SALU_CYCLE_1)
	s_mov_b32 s0, exec_lo
	v_cmpx_gt_i32_e64 s22, v0
	s_cbranch_execz .LBB0_42
.LBB0_59:
	v_add_nc_u32_e32 v1, s14, v0
	v_add_nc_u32_e32 v0, 0x100, v0
	global_store_b8 v1, v4, s[16:17]
	s_wait_xcnt 0x0
	s_or_b32 exec_lo, exec_lo, s0
	s_delay_alu instid0(SALU_CYCLE_1)
	s_mov_b32 s0, exec_lo
	v_cmpx_gt_i32_e64 s22, v0
	s_cbranch_execz .LBB0_43
.LBB0_60:
	v_lshrrev_b32_e32 v1, 8, v4
	v_add_nc_u32_e32 v5, s14, v0
	v_add_nc_u32_e32 v0, 0x100, v0
	global_store_b8 v5, v1, s[16:17]
	s_wait_xcnt 0x0
	s_or_b32 exec_lo, exec_lo, s0
	s_delay_alu instid0(SALU_CYCLE_1)
	s_mov_b32 s0, exec_lo
	v_cmpx_gt_i32_e64 s22, v0
	s_cbranch_execz .LBB0_44
.LBB0_61:
	v_add_nc_u32_e32 v1, s14, v0
	v_add_nc_u32_e32 v0, 0x100, v0
	global_store_d16_hi_b8 v1, v4, s[16:17]
	s_wait_xcnt 0x0
	s_or_b32 exec_lo, exec_lo, s0
	s_delay_alu instid0(SALU_CYCLE_1)
	s_mov_b32 s0, exec_lo
	v_cmpx_gt_i32_e64 s22, v0
	s_cbranch_execz .LBB0_45
.LBB0_62:
	v_lshrrev_b32_e32 v1, 24, v4
	v_add_nc_u32_e32 v4, s14, v0
	v_add_nc_u32_e32 v0, 0x100, v0
	global_store_b8 v4, v1, s[16:17]
	s_wait_xcnt 0x0
	s_or_b32 exec_lo, exec_lo, s0
	s_delay_alu instid0(SALU_CYCLE_1)
	s_mov_b32 s0, exec_lo
	v_cmpx_gt_i32_e64 s22, v0
	s_cbranch_execz .LBB0_46
.LBB0_63:
	v_add_nc_u32_e32 v1, s14, v0
	v_add_nc_u32_e32 v0, 0x100, v0
	global_store_b8 v1, v3, s[16:17]
	s_wait_xcnt 0x0
	s_or_b32 exec_lo, exec_lo, s0
	s_delay_alu instid0(SALU_CYCLE_1)
	s_mov_b32 s0, exec_lo
	v_cmpx_gt_i32_e64 s22, v0
	s_cbranch_execz .LBB0_47
.LBB0_64:
	v_dual_lshrrev_b32 v1, 8, v3 :: v_dual_add_nc_u32 v4, s14, v0
	v_add_nc_u32_e32 v0, 0x100, v0
	global_store_b8 v4, v1, s[16:17]
	s_wait_xcnt 0x0
	s_or_b32 exec_lo, exec_lo, s0
	s_delay_alu instid0(SALU_CYCLE_1)
	s_mov_b32 s0, exec_lo
	v_cmpx_gt_i32_e64 s22, v0
	s_cbranch_execz .LBB0_48
.LBB0_65:
	v_add_nc_u32_e32 v1, s14, v0
	v_add_nc_u32_e32 v0, 0x100, v0
	global_store_d16_hi_b8 v1, v3, s[16:17]
	s_wait_xcnt 0x0
	s_or_b32 exec_lo, exec_lo, s0
	s_delay_alu instid0(SALU_CYCLE_1)
	s_mov_b32 s0, exec_lo
	v_cmpx_gt_i32_e64 s22, v0
	s_cbranch_execz .LBB0_49
.LBB0_66:
	v_dual_lshrrev_b32 v1, 24, v3 :: v_dual_add_nc_u32 v3, s14, v0
	v_add_nc_u32_e32 v0, 0x100, v0
	global_store_b8 v3, v1, s[16:17]
	s_wait_xcnt 0x0
	s_or_b32 exec_lo, exec_lo, s0
	s_delay_alu instid0(SALU_CYCLE_1)
	s_mov_b32 s0, exec_lo
	v_cmpx_gt_i32_e64 s22, v0
	s_cbranch_execz .LBB0_50
.LBB0_67:
	v_add_nc_u32_e32 v1, s14, v0
	v_add_nc_u32_e32 v0, 0x100, v0
	global_store_b8 v1, v2, s[16:17]
	s_wait_xcnt 0x0
	s_or_b32 exec_lo, exec_lo, s0
	s_delay_alu instid0(SALU_CYCLE_1)
	s_mov_b32 s0, exec_lo
	v_cmpx_gt_i32_e64 s22, v0
	s_cbranch_execz .LBB0_51
.LBB0_68:
	v_dual_lshrrev_b32 v1, 8, v2 :: v_dual_add_nc_u32 v3, s14, v0
	v_add_nc_u32_e32 v0, 0x100, v0
	global_store_b8 v3, v1, s[16:17]
	s_wait_xcnt 0x0
	s_or_b32 exec_lo, exec_lo, s0
	s_delay_alu instid0(SALU_CYCLE_1)
	s_mov_b32 s0, exec_lo
	v_cmpx_gt_i32_e64 s22, v0
	s_cbranch_execz .LBB0_52
.LBB0_69:
	v_add_nc_u32_e32 v1, s14, v0
	v_add_nc_u32_e32 v0, 0x100, v0
	global_store_d16_hi_b8 v1, v2, s[16:17]
	s_wait_xcnt 0x0
	s_or_b32 exec_lo, exec_lo, s0
	s_delay_alu instid0(SALU_CYCLE_1)
	s_mov_b32 s0, exec_lo
	v_cmpx_gt_i32_e64 s22, v0
	s_cbranch_execnz .LBB0_53
	s_branch .LBB0_54
	.section	.rodata,"a",@progbits
	.p2align	6, 0x0
	.amdhsa_kernel _ZN2at6native29vectorized_elementwise_kernelILi16ENS0_13BinaryFunctorIhhbNS0_12_GLOBAL__N_116CompareEqFunctorIhEEEESt5arrayIPcLm3EEEEviT0_T1_
		.amdhsa_group_segment_fixed_size 0
		.amdhsa_private_segment_fixed_size 0
		.amdhsa_kernarg_size 32
		.amdhsa_user_sgpr_count 2
		.amdhsa_user_sgpr_dispatch_ptr 0
		.amdhsa_user_sgpr_queue_ptr 0
		.amdhsa_user_sgpr_kernarg_segment_ptr 1
		.amdhsa_user_sgpr_dispatch_id 0
		.amdhsa_user_sgpr_kernarg_preload_length 0
		.amdhsa_user_sgpr_kernarg_preload_offset 0
		.amdhsa_user_sgpr_private_segment_size 0
		.amdhsa_wavefront_size32 1
		.amdhsa_uses_dynamic_stack 0
		.amdhsa_enable_private_segment 0
		.amdhsa_system_sgpr_workgroup_id_x 1
		.amdhsa_system_sgpr_workgroup_id_y 0
		.amdhsa_system_sgpr_workgroup_id_z 0
		.amdhsa_system_sgpr_workgroup_info 0
		.amdhsa_system_vgpr_workitem_id 0
		.amdhsa_next_free_vgpr 39
		.amdhsa_next_free_sgpr 25
		.amdhsa_named_barrier_count 0
		.amdhsa_reserve_vcc 1
		.amdhsa_float_round_mode_32 0
		.amdhsa_float_round_mode_16_64 0
		.amdhsa_float_denorm_mode_32 3
		.amdhsa_float_denorm_mode_16_64 3
		.amdhsa_fp16_overflow 0
		.amdhsa_memory_ordered 1
		.amdhsa_forward_progress 1
		.amdhsa_inst_pref_size 46
		.amdhsa_round_robin_scheduling 0
		.amdhsa_exception_fp_ieee_invalid_op 0
		.amdhsa_exception_fp_denorm_src 0
		.amdhsa_exception_fp_ieee_div_zero 0
		.amdhsa_exception_fp_ieee_overflow 0
		.amdhsa_exception_fp_ieee_underflow 0
		.amdhsa_exception_fp_ieee_inexact 0
		.amdhsa_exception_int_div_zero 0
	.end_amdhsa_kernel
	.section	.text._ZN2at6native29vectorized_elementwise_kernelILi16ENS0_13BinaryFunctorIhhbNS0_12_GLOBAL__N_116CompareEqFunctorIhEEEESt5arrayIPcLm3EEEEviT0_T1_,"axG",@progbits,_ZN2at6native29vectorized_elementwise_kernelILi16ENS0_13BinaryFunctorIhhbNS0_12_GLOBAL__N_116CompareEqFunctorIhEEEESt5arrayIPcLm3EEEEviT0_T1_,comdat
.Lfunc_end0:
	.size	_ZN2at6native29vectorized_elementwise_kernelILi16ENS0_13BinaryFunctorIhhbNS0_12_GLOBAL__N_116CompareEqFunctorIhEEEESt5arrayIPcLm3EEEEviT0_T1_, .Lfunc_end0-_ZN2at6native29vectorized_elementwise_kernelILi16ENS0_13BinaryFunctorIhhbNS0_12_GLOBAL__N_116CompareEqFunctorIhEEEESt5arrayIPcLm3EEEEviT0_T1_
                                        ; -- End function
	.set _ZN2at6native29vectorized_elementwise_kernelILi16ENS0_13BinaryFunctorIhhbNS0_12_GLOBAL__N_116CompareEqFunctorIhEEEESt5arrayIPcLm3EEEEviT0_T1_.num_vgpr, 39
	.set _ZN2at6native29vectorized_elementwise_kernelILi16ENS0_13BinaryFunctorIhhbNS0_12_GLOBAL__N_116CompareEqFunctorIhEEEESt5arrayIPcLm3EEEEviT0_T1_.num_agpr, 0
	.set _ZN2at6native29vectorized_elementwise_kernelILi16ENS0_13BinaryFunctorIhhbNS0_12_GLOBAL__N_116CompareEqFunctorIhEEEESt5arrayIPcLm3EEEEviT0_T1_.numbered_sgpr, 25
	.set _ZN2at6native29vectorized_elementwise_kernelILi16ENS0_13BinaryFunctorIhhbNS0_12_GLOBAL__N_116CompareEqFunctorIhEEEESt5arrayIPcLm3EEEEviT0_T1_.num_named_barrier, 0
	.set _ZN2at6native29vectorized_elementwise_kernelILi16ENS0_13BinaryFunctorIhhbNS0_12_GLOBAL__N_116CompareEqFunctorIhEEEESt5arrayIPcLm3EEEEviT0_T1_.private_seg_size, 0
	.set _ZN2at6native29vectorized_elementwise_kernelILi16ENS0_13BinaryFunctorIhhbNS0_12_GLOBAL__N_116CompareEqFunctorIhEEEESt5arrayIPcLm3EEEEviT0_T1_.uses_vcc, 1
	.set _ZN2at6native29vectorized_elementwise_kernelILi16ENS0_13BinaryFunctorIhhbNS0_12_GLOBAL__N_116CompareEqFunctorIhEEEESt5arrayIPcLm3EEEEviT0_T1_.uses_flat_scratch, 0
	.set _ZN2at6native29vectorized_elementwise_kernelILi16ENS0_13BinaryFunctorIhhbNS0_12_GLOBAL__N_116CompareEqFunctorIhEEEESt5arrayIPcLm3EEEEviT0_T1_.has_dyn_sized_stack, 0
	.set _ZN2at6native29vectorized_elementwise_kernelILi16ENS0_13BinaryFunctorIhhbNS0_12_GLOBAL__N_116CompareEqFunctorIhEEEESt5arrayIPcLm3EEEEviT0_T1_.has_recursion, 0
	.set _ZN2at6native29vectorized_elementwise_kernelILi16ENS0_13BinaryFunctorIhhbNS0_12_GLOBAL__N_116CompareEqFunctorIhEEEESt5arrayIPcLm3EEEEviT0_T1_.has_indirect_call, 0
	.section	.AMDGPU.csdata,"",@progbits
; Kernel info:
; codeLenInByte = 5796
; TotalNumSgprs: 27
; NumVgprs: 39
; ScratchSize: 0
; MemoryBound: 0
; FloatMode: 240
; IeeeMode: 1
; LDSByteSize: 0 bytes/workgroup (compile time only)
; SGPRBlocks: 0
; VGPRBlocks: 2
; NumSGPRsForWavesPerEU: 27
; NumVGPRsForWavesPerEU: 39
; NamedBarCnt: 0
; Occupancy: 16
; WaveLimiterHint : 0
; COMPUTE_PGM_RSRC2:SCRATCH_EN: 0
; COMPUTE_PGM_RSRC2:USER_SGPR: 2
; COMPUTE_PGM_RSRC2:TRAP_HANDLER: 0
; COMPUTE_PGM_RSRC2:TGID_X_EN: 1
; COMPUTE_PGM_RSRC2:TGID_Y_EN: 0
; COMPUTE_PGM_RSRC2:TGID_Z_EN: 0
; COMPUTE_PGM_RSRC2:TIDIG_COMP_CNT: 0
	.section	.text._ZN2at6native29vectorized_elementwise_kernelILi8ENS0_13BinaryFunctorIhhbNS0_12_GLOBAL__N_116CompareEqFunctorIhEEEESt5arrayIPcLm3EEEEviT0_T1_,"axG",@progbits,_ZN2at6native29vectorized_elementwise_kernelILi8ENS0_13BinaryFunctorIhhbNS0_12_GLOBAL__N_116CompareEqFunctorIhEEEESt5arrayIPcLm3EEEEviT0_T1_,comdat
	.globl	_ZN2at6native29vectorized_elementwise_kernelILi8ENS0_13BinaryFunctorIhhbNS0_12_GLOBAL__N_116CompareEqFunctorIhEEEESt5arrayIPcLm3EEEEviT0_T1_ ; -- Begin function _ZN2at6native29vectorized_elementwise_kernelILi8ENS0_13BinaryFunctorIhhbNS0_12_GLOBAL__N_116CompareEqFunctorIhEEEESt5arrayIPcLm3EEEEviT0_T1_
	.p2align	8
	.type	_ZN2at6native29vectorized_elementwise_kernelILi8ENS0_13BinaryFunctorIhhbNS0_12_GLOBAL__N_116CompareEqFunctorIhEEEESt5arrayIPcLm3EEEEviT0_T1_,@function
_ZN2at6native29vectorized_elementwise_kernelILi8ENS0_13BinaryFunctorIhhbNS0_12_GLOBAL__N_116CompareEqFunctorIhEEEESt5arrayIPcLm3EEEEviT0_T1_: ; @_ZN2at6native29vectorized_elementwise_kernelILi8ENS0_13BinaryFunctorIhhbNS0_12_GLOBAL__N_116CompareEqFunctorIhEEEESt5arrayIPcLm3EEEEviT0_T1_
; %bb.0:
	s_clause 0x2
	s_load_b64 s[14:15], s[0:1], 0x0
	s_load_b128 s[8:11], s[0:1], 0x8
	s_load_b64 s[16:17], s[0:1], 0x18
	s_wait_xcnt 0x0
	s_bfe_u32 s0, ttmp6, 0x4000c
	s_and_b32 s1, ttmp6, 15
	s_add_co_i32 s0, s0, 1
	s_getreg_b32 s2, hwreg(HW_REG_IB_STS2, 6, 4)
	s_mul_i32 s0, ttmp9, s0
	s_delay_alu instid0(SALU_CYCLE_1) | instskip(SKIP_2) | instid1(SALU_CYCLE_1)
	s_add_co_i32 s1, s1, s0
	s_cmp_eq_u32 s2, 0
	s_cselect_b32 s0, ttmp9, s1
	s_lshl_b32 s12, s0, 12
	s_mov_b32 s0, -1
	s_wait_kmcnt 0x0
	s_sub_co_i32 s14, s14, s12
	s_delay_alu instid0(SALU_CYCLE_1)
	s_cmp_gt_i32 s14, 0xfff
	s_cbranch_scc0 .LBB1_2
; %bb.1:
	s_ashr_i32 s13, s12, 31
	s_cmp_eq_u32 s15, 0
	s_add_nc_u64 s[0:1], s[10:11], s[12:13]
	s_cselect_b32 s18, -1, 0
	s_clause 0x1
	global_load_b64 v[2:3], v0, s[0:1] scale_offset
	global_load_b64 v[4:5], v0, s[0:1] offset:2048 scale_offset
	s_wait_xcnt 0x0
	s_add_nc_u64 s[0:1], s[16:17], s[12:13]
	s_clause 0x1
	global_load_b64 v[6:7], v0, s[0:1] scale_offset
	global_load_b64 v[8:9], v0, s[0:1] offset:2048 scale_offset
	s_wait_loadcnt 0x3
	v_and_b32_e32 v1, 0xff, v2
	v_dual_lshrrev_b32 v10, 8, v2 :: v_dual_lshrrev_b32 v11, 16, v2
	s_wait_loadcnt 0x1
	v_xor_b32_e32 v2, v6, v2
	v_and_b32_e32 v12, 0xff, v3
	v_and_b32_e32 v24, 0xff, v7
	v_dual_lshrrev_b32 v13, 8, v3 :: v_dual_lshrrev_b32 v14, 16, v3
	v_dual_lshrrev_b32 v19, 8, v5 :: v_dual_lshrrev_b32 v20, 16, v5
	;; [unrolled: 1-line block ×3, first 2 shown]
	s_wait_xcnt 0x0
	v_cmp_lt_u32_e64 s0, 0xffffff, v2
	v_xor_b32_e32 v3, v7, v3
	v_cmp_ne_u16_e64 s1, v12, v24
	v_and_b32_e32 v15, 0xff, v4
	v_dual_lshrrev_b32 v16, 8, v4 :: v_dual_lshrrev_b32 v17, 16, v4
	s_wait_loadcnt 0x0
	v_and_b32_e32 v27, 0xff, v8
	v_dual_lshrrev_b32 v28, 8, v8 :: v_dual_lshrrev_b32 v29, 16, v8
	v_xor_b32_e32 v4, v8, v4
	v_and_b32_e32 v8, 0xff, v13
	v_and_b32_e32 v13, 0xff, v19
	;; [unrolled: 1-line block ×3, first 2 shown]
	s_xor_b32 s0, s18, s0
	v_and_b32_e32 v18, 0xff, v5
	v_dual_lshrrev_b32 v22, 8, v6 :: v_dual_lshrrev_b32 v23, 16, v6
	v_and_b32_e32 v30, 0xff, v9
	v_dual_lshrrev_b32 v31, 8, v9 :: v_dual_lshrrev_b32 v32, 16, v9
	v_xor_b32_e32 v5, v9, v5
	v_and_b32_e32 v9, 0xff, v14
	v_and_b32_e32 v14, 0xff, v20
	;; [unrolled: 1-line block ×3, first 2 shown]
	v_cmp_lt_u32_e64 s2, 0xffffff, v3
	v_cndmask_b32_e64 v2, 0, 1, s0
	s_xor_b32 s0, s18, s1
	v_and_b32_e32 v7, 0xff, v11
	v_cndmask_b32_e64 v3, 0, 1, s0
	v_cmp_ne_u16_e64 s0, v8, v19
	v_and_b32_e32 v11, 0xff, v17
	v_and_b32_e32 v17, 0xff, v23
	;; [unrolled: 1-line block ×3, first 2 shown]
	v_cmp_ne_u16_e64 s3, v15, v27
	v_cmp_ne_u16_e64 s1, v9, v20
	s_xor_b32 s2, s18, s2
	v_cmp_lt_u32_e64 s4, 0xffffff, v4
	v_cndmask_b32_e64 v4, 0, 1, s2
	s_xor_b32 s0, s18, s0
	s_xor_b32 s2, s18, s3
	v_cmp_ne_u16_e64 s3, v11, v23
	v_cndmask_b32_e64 v11, 0, 1, s0
	s_xor_b32 s0, s18, s1
	v_lshlrev_b16 v4, 8, v4
	v_cndmask_b32_e64 v12, 0, 1, s0
	v_and_b32_e32 v21, 0xff, v6
	v_and_b32_e32 v6, 0xff, v10
	;; [unrolled: 1-line block ×5, first 2 shown]
	v_or_b32_e32 v4, v12, v4
	v_cmp_ne_u16_e32 vcc_lo, v1, v21
	v_cmp_ne_u16_e64 s5, v18, v30
	v_and_b32_e32 v25, 0xff, v31
	s_xor_b32 s4, s18, s4
	v_lshlrev_b32_e32 v4, 16, v4
	v_cmp_lt_u32_e64 s6, 0xffffff, v5
	v_cndmask_b32_e64 v5, 0, 1, s2
	v_cmp_ne_u16_e64 s2, v10, v22
	s_xor_b32 s7, s18, vcc_lo
	v_cmp_ne_u16_e32 vcc_lo, v6, v16
	v_cndmask_b32_e64 v6, 0, 1, s4
	s_xor_b32 s4, s18, s5
	v_and_b32_e32 v26, 0xff, v32
	v_cndmask_b32_e64 v1, 0, 1, s7
	v_cmp_ne_u16_e64 s7, v7, v17
	v_cndmask_b32_e64 v7, 0, 1, s4
	v_cmp_ne_u16_e64 s4, v13, v25
	s_xor_b32 s0, s18, s2
	s_xor_b32 s6, s18, s6
	v_cndmask_b32_e64 v13, 0, 1, s0
	s_xor_b32 s0, s18, s3
	v_cndmask_b32_e64 v8, 0, 1, s6
	s_xor_b32 s6, s18, vcc_lo
	v_cmp_ne_u16_e64 s5, v14, v26
	v_cndmask_b32_e64 v14, 0, 1, s0
	s_xor_b32 s0, s18, s4
	v_cndmask_b32_e64 v9, 0, 1, s6
	v_cndmask_b32_e64 v15, 0, 1, s0
	s_xor_b32 s6, s18, s7
	s_xor_b32 s0, s18, s5
	v_cndmask_b32_e64 v10, 0, 1, s6
	v_lshlrev_b16 v2, 8, v2
	v_lshlrev_b16 v11, 8, v11
	;; [unrolled: 1-line block ×3, first 2 shown]
	v_cndmask_b32_e64 v16, 0, 1, s0
	v_lshlrev_b16 v8, 8, v8
	v_lshlrev_b16 v6, 8, v6
	;; [unrolled: 1-line block ×4, first 2 shown]
	v_or_b32_e32 v2, v10, v2
	v_or_b32_e32 v3, v3, v11
	;; [unrolled: 1-line block ×6, first 2 shown]
	v_dual_lshlrev_b32 v2, 16, v2 :: v_dual_bitop2_b32 v5, v5, v13 bitop3:0x54
	v_and_b32_e32 v9, 0xffff, v3
	v_and_b32_e32 v1, 0xffff, v1
	v_dual_lshlrev_b32 v8, 16, v8 :: v_dual_lshlrev_b32 v6, 16, v6
	v_and_b32_e32 v7, 0xffff, v7
	v_and_b32_e32 v10, 0xffff, v5
	v_or_b32_e32 v5, v9, v4
	v_or_b32_e32 v4, v1, v2
	s_add_nc_u64 s[2:3], s[8:9], s[12:13]
	v_or_b32_e32 v3, v7, v8
	v_or_b32_e32 v2, v10, v6
	s_mov_b32 s0, 0
	s_clause 0x1
	global_store_b64 v0, v[4:5], s[2:3] scale_offset
	global_store_b64 v0, v[2:3], s[2:3] offset:2048 scale_offset
.LBB1_2:
	s_and_not1_b32 vcc_lo, exec_lo, s0
	s_cbranch_vccnz .LBB1_54
; %bb.3:
	v_cmp_le_i32_e64 s0, s14, v0
	v_or_b32_e32 v1, 0x100, v0
	v_cmp_gt_i32_e32 vcc_lo, s14, v0
	s_wait_xcnt 0x0
	s_and_saveexec_b32 s1, s0
	s_delay_alu instid0(SALU_CYCLE_1)
	s_xor_b32 s0, exec_lo, s1
; %bb.4:
	v_or_b32_e32 v1, 0x100, v0
; %bb.5:
	s_or_saveexec_b32 s1, s0
	v_dual_mov_b32 v35, 0 :: v_dual_bitop2_b32 v8, s12, v0 bitop3:0x54
	v_dual_mov_b32 v34, 0 :: v_dual_mov_b32 v36, 0
	v_dual_mov_b32 v33, 0 :: v_dual_mov_b32 v32, 0
	v_dual_mov_b32 v31, 0 :: v_dual_mov_b32 v15, 0
	v_dual_mov_b32 v12, 0 :: v_dual_mov_b32 v14, 0
	v_dual_mov_b32 v11, 0 :: v_dual_mov_b32 v13, 0
	v_dual_mov_b32 v23, 0 :: v_dual_mov_b32 v21, 0
	v_dual_mov_b32 v20, 0 :: v_dual_mov_b32 v19, 0
	v_dual_mov_b32 v18, 0 :: v_dual_mov_b32 v24, 0
	v_dual_mov_b32 v22, 0 :: v_dual_mov_b32 v27, 0
	v_dual_mov_b32 v25, 0 :: v_dual_mov_b32 v30, 0
	v_dual_mov_b32 v29, 0 :: v_dual_mov_b32 v9, 0
	v_dual_mov_b32 v4, 0 :: v_dual_mov_b32 v10, 0
	v_dual_mov_b32 v3, 0 :: v_dual_mov_b32 v16, 0
	v_dual_mov_b32 v17, 0 :: v_dual_mov_b32 v26, 0
	v_mov_b32_e32 v28, 0
	s_mov_b32 s5, 0
	s_xor_b32 exec_lo, exec_lo, s1
	s_cbranch_execz .LBB1_37
; %bb.6:
	s_clause 0x1
	global_load_u8 v26, v8, s[10:11]
	global_load_u8 v28, v8, s[16:17]
	v_cmp_gt_u32_e64 s0, s14, v1
	v_dual_mov_b32 v17, 0 :: v_dual_mov_b32 v16, 0
	v_dual_mov_b32 v3, 0 :: v_dual_mov_b32 v10, 0
	;; [unrolled: 1-line block ×14, first 2 shown]
	s_mov_b32 s3, 0
	s_wait_xcnt 0x0
	s_and_saveexec_b32 s2, s0
	s_cbranch_execz .LBB1_36
; %bb.7:
	v_dual_mov_b32 v3, 0 :: v_dual_add_nc_u32 v2, s12, v0
	v_or_b32_e32 v4, 0x200, v0
	v_dual_mov_b32 v10, 0 :: v_dual_mov_b32 v9, 0
	v_mov_b32_e32 v29, 0
	s_clause 0x1
	global_load_u8 v16, v2, s[10:11] offset:256
	global_load_u8 v17, v2, s[16:17] offset:256
	v_cmp_gt_u32_e64 s0, s14, v4
	v_dual_mov_b32 v4, 0 :: v_dual_mov_b32 v30, 0
	v_dual_mov_b32 v25, 0 :: v_dual_mov_b32 v27, 0
	v_dual_mov_b32 v22, 0 :: v_dual_mov_b32 v24, 0
	v_dual_mov_b32 v18, 0 :: v_dual_mov_b32 v19, 0
	v_dual_mov_b32 v20, 0 :: v_dual_mov_b32 v21, 0
	v_dual_mov_b32 v23, 0 :: v_dual_mov_b32 v13, 0
	v_dual_mov_b32 v11, 0 :: v_dual_mov_b32 v14, 0
	v_dual_mov_b32 v12, 0 :: v_dual_mov_b32 v15, 0
	v_dual_mov_b32 v31, 0 :: v_dual_mov_b32 v32, 0
	v_dual_mov_b32 v33, 0 :: v_dual_mov_b32 v36, 0
	v_dual_mov_b32 v34, 0 :: v_dual_mov_b32 v35, 0
	s_mov_b32 s4, 0
	s_wait_xcnt 0x0
	s_and_saveexec_b32 s3, s0
	s_cbranch_execz .LBB1_35
; %bb.8:
	v_add_nc_u64_e32 v[4:5], s[10:11], v[2:3]
	v_add_nc_u64_e32 v[6:7], s[16:17], v[2:3]
	v_or_b32_e32 v9, 0x300, v0
	v_dual_mov_b32 v30, 0 :: v_dual_mov_b32 v25, 0
	v_dual_mov_b32 v29, 0 :: v_dual_mov_b32 v27, 0
	v_mov_b32_e32 v22, 0
	global_load_u8 v10, v[4:5], off offset:512
	global_load_u8 v2, v[6:7], off offset:512
	v_cmp_gt_u32_e64 s0, s14, v9
	v_dual_mov_b32 v9, 0 :: v_dual_mov_b32 v24, 0
	v_dual_mov_b32 v18, 0 :: v_dual_mov_b32 v19, 0
	;; [unrolled: 1-line block ×9, first 2 shown]
	s_wait_xcnt 0x0
	s_and_saveexec_b32 s4, s0
	s_cbranch_execz .LBB1_34
; %bb.9:
	global_load_u8 v9, v[4:5], off offset:768
	global_load_u8 v3, v[6:7], off offset:768
	v_or_b32_e32 v11, 0x400, v0
	v_dual_mov_b32 v29, 0 :: v_dual_mov_b32 v30, 0
	v_dual_mov_b32 v25, 0 :: v_dual_mov_b32 v27, 0
	s_delay_alu instid0(VALU_DEP_3)
	v_cmp_gt_u32_e64 s0, s14, v11
	v_dual_mov_b32 v22, 0 :: v_dual_mov_b32 v24, 0
	v_dual_mov_b32 v18, 0 :: v_dual_mov_b32 v19, 0
	;; [unrolled: 1-line block ×9, first 2 shown]
	s_mov_b32 s6, 0
	s_wait_xcnt 0x0
	s_and_saveexec_b32 s5, s0
	s_cbranch_execz .LBB1_33
; %bb.10:
	global_load_u8 v30, v[4:5], off offset:1024
	global_load_u8 v29, v[6:7], off offset:1024
	v_or_b32_e32 v11, 0x500, v0
	v_dual_mov_b32 v25, 0 :: v_dual_mov_b32 v27, 0
	v_dual_mov_b32 v22, 0 :: v_dual_mov_b32 v24, 0
	s_delay_alu instid0(VALU_DEP_3)
	v_cmp_gt_u32_e64 s0, s14, v11
	v_dual_mov_b32 v18, 0 :: v_dual_mov_b32 v19, 0
	v_dual_mov_b32 v20, 0 :: v_dual_mov_b32 v21, 0
	;; [unrolled: 1-line block ×8, first 2 shown]
	s_mov_b32 s7, 0
	s_wait_xcnt 0x0
	s_and_saveexec_b32 s6, s0
	s_cbranch_execz .LBB1_32
; %bb.11:
	global_load_u8 v27, v[4:5], off offset:1280
	global_load_u8 v25, v[6:7], off offset:1280
	v_or_b32_e32 v11, 0x600, v0
	v_dual_mov_b32 v22, 0 :: v_dual_mov_b32 v24, 0
	v_dual_mov_b32 v18, 0 :: v_dual_mov_b32 v19, 0
	s_delay_alu instid0(VALU_DEP_3)
	v_cmp_gt_u32_e64 s0, s14, v11
	v_dual_mov_b32 v20, 0 :: v_dual_mov_b32 v21, 0
	v_dual_mov_b32 v23, 0 :: v_dual_mov_b32 v13, 0
	;; [unrolled: 1-line block ×7, first 2 shown]
	s_mov_b32 s10, 0
	s_wait_xcnt 0x0
	s_and_saveexec_b32 s7, s0
	s_cbranch_execz .LBB1_31
; %bb.12:
	global_load_u8 v24, v[4:5], off offset:1536
	global_load_u8 v22, v[6:7], off offset:1536
	v_or_b32_e32 v11, 0x700, v0
	v_dual_mov_b32 v18, 0 :: v_dual_mov_b32 v19, 0
	v_dual_mov_b32 v20, 0 :: v_dual_mov_b32 v21, 0
	s_delay_alu instid0(VALU_DEP_3)
	v_cmp_gt_u32_e64 s0, s14, v11
	v_dual_mov_b32 v23, 0 :: v_dual_mov_b32 v13, 0
	v_dual_mov_b32 v11, 0 :: v_dual_mov_b32 v14, 0
	;; [unrolled: 1-line block ×6, first 2 shown]
	s_mov_b32 s11, 0
	s_wait_xcnt 0x0
	s_and_saveexec_b32 s10, s0
	s_cbranch_execz .LBB1_30
; %bb.13:
	global_load_u8 v19, v[4:5], off offset:1792
	global_load_u8 v18, v[6:7], off offset:1792
	v_or_b32_e32 v11, 0x800, v0
	v_dual_mov_b32 v20, 0 :: v_dual_mov_b32 v21, 0
	v_dual_mov_b32 v23, 0 :: v_dual_mov_b32 v13, 0
	s_delay_alu instid0(VALU_DEP_3)
	v_cmp_gt_u32_e64 s0, s14, v11
	v_dual_mov_b32 v11, 0 :: v_dual_mov_b32 v14, 0
	v_dual_mov_b32 v12, 0 :: v_dual_mov_b32 v15, 0
	;; [unrolled: 1-line block ×5, first 2 shown]
	s_mov_b32 s13, 0
	s_wait_xcnt 0x0
	s_and_saveexec_b32 s11, s0
	s_cbranch_execz .LBB1_29
; %bb.14:
	global_load_u8 v21, v[4:5], off offset:2048
	global_load_u8 v20, v[6:7], off offset:2048
	v_or_b32_e32 v11, 0x900, v0
	v_dual_mov_b32 v23, 0 :: v_dual_mov_b32 v13, 0
	v_dual_mov_b32 v12, 0 :: v_dual_mov_b32 v15, 0
	s_delay_alu instid0(VALU_DEP_3)
	v_cmp_gt_u32_e64 s0, s14, v11
	v_dual_mov_b32 v11, 0 :: v_dual_mov_b32 v14, 0
	v_dual_mov_b32 v31, 0 :: v_dual_mov_b32 v32, 0
	;; [unrolled: 1-line block ×4, first 2 shown]
	s_mov_b32 s16, 0
	s_wait_xcnt 0x0
	s_and_saveexec_b32 s13, s0
	s_cbranch_execz .LBB1_28
; %bb.15:
	global_load_u8 v13, v[4:5], off offset:2304
	global_load_u8 v23, v[6:7], off offset:2304
	v_or_b32_e32 v11, 0xa00, v0
	v_dual_mov_b32 v12, 0 :: v_dual_mov_b32 v15, 0
	v_dual_mov_b32 v31, 0 :: v_dual_mov_b32 v32, 0
	s_delay_alu instid0(VALU_DEP_3)
	v_cmp_gt_u32_e64 s0, s14, v11
	v_dual_mov_b32 v11, 0 :: v_dual_mov_b32 v14, 0
	v_dual_mov_b32 v33, 0 :: v_dual_mov_b32 v36, 0
	;; [unrolled: 1-line block ×3, first 2 shown]
	s_mov_b32 s17, 0
	s_wait_xcnt 0x0
	s_and_saveexec_b32 s16, s0
	s_cbranch_execz .LBB1_27
; %bb.16:
	global_load_u8 v14, v[4:5], off offset:2560
	global_load_u8 v11, v[6:7], off offset:2560
	v_or_b32_e32 v12, 0xb00, v0
	v_dual_mov_b32 v31, 0 :: v_dual_mov_b32 v32, 0
	v_dual_mov_b32 v33, 0 :: v_dual_mov_b32 v36, 0
	s_delay_alu instid0(VALU_DEP_3)
	v_cmp_gt_u32_e64 s0, s14, v12
	v_dual_mov_b32 v12, 0 :: v_dual_mov_b32 v15, 0
	v_dual_mov_b32 v34, 0 :: v_dual_mov_b32 v35, 0
	s_mov_b32 s18, 0
	s_wait_xcnt 0x0
	s_and_saveexec_b32 s17, s0
	s_cbranch_execz .LBB1_26
; %bb.17:
	global_load_u8 v15, v[4:5], off offset:2816
	global_load_u8 v12, v[6:7], off offset:2816
	v_or_b32_e32 v31, 0xc00, v0
	v_dual_mov_b32 v33, 0 :: v_dual_mov_b32 v36, 0
	v_dual_mov_b32 v34, 0 :: v_dual_mov_b32 v35, 0
	s_delay_alu instid0(VALU_DEP_3)
	v_cmp_gt_u32_e64 s0, s14, v31
	v_dual_mov_b32 v31, 0 :: v_dual_mov_b32 v32, 0
	s_mov_b32 s19, 0
	s_wait_xcnt 0x0
	s_and_saveexec_b32 s18, s0
	s_cbranch_execz .LBB1_25
; %bb.18:
	global_load_u8 v32, v[4:5], off offset:3072
	global_load_u8 v31, v[6:7], off offset:3072
	v_or_b32_e32 v33, 0xd00, v0
	v_dual_mov_b32 v34, 0 :: v_dual_mov_b32 v35, 0
	s_mov_b32 s20, 0
	v_mov_b32_e32 v36, 0
	s_delay_alu instid0(VALU_DEP_3)
	v_cmp_gt_u32_e64 s0, s14, v33
	v_mov_b32_e32 v33, 0
	s_wait_xcnt 0x0
	s_and_saveexec_b32 s19, s0
	s_cbranch_execz .LBB1_24
; %bb.19:
	global_load_u8 v36, v[4:5], off offset:3328
	global_load_u8 v33, v[6:7], off offset:3328
	v_or_b32_e32 v34, 0xe00, v0
	s_mov_b32 s21, 0
	v_mov_b32_e32 v35, 0
	s_delay_alu instid0(VALU_DEP_2)
	v_cmp_gt_u32_e64 s0, s14, v34
	v_mov_b32_e32 v34, 0
	s_wait_xcnt 0x0
	s_and_saveexec_b32 s20, s0
	s_cbranch_execz .LBB1_23
; %bb.20:
	global_load_u8 v35, v[4:5], off offset:3584
	global_load_u8 v34, v[6:7], off offset:3584
	v_or_b32_e32 v37, 0xf00, v0
	s_mov_b32 s22, 0
	s_mov_b32 s21, exec_lo
	s_wait_xcnt 0x0
	s_delay_alu instid0(VALU_DEP_1)
	v_cmpx_gt_u32_e64 s14, v37
	s_cbranch_execz .LBB1_22
; %bb.21:
	global_load_u8 v37, v[4:5], off offset:3840
	global_load_u8 v38, v[6:7], off offset:3840
	s_wait_loadcnt 0x0
	v_cmp_ne_u16_e64 s0, v37, v38
	s_and_b32 s22, s0, exec_lo
.LBB1_22:
	s_wait_xcnt 0x0
	s_or_b32 exec_lo, exec_lo, s21
	s_delay_alu instid0(SALU_CYCLE_1)
	s_and_b32 s21, s22, exec_lo
.LBB1_23:
	s_or_b32 exec_lo, exec_lo, s20
	s_delay_alu instid0(SALU_CYCLE_1)
	s_and_b32 s20, s21, exec_lo
.LBB1_24:
	s_or_b32 exec_lo, exec_lo, s19
	s_delay_alu instid0(SALU_CYCLE_1)
	s_and_b32 s19, s20, exec_lo
.LBB1_25:
	s_or_b32 exec_lo, exec_lo, s18
	s_delay_alu instid0(SALU_CYCLE_1)
	s_and_b32 s18, s19, exec_lo
.LBB1_26:
	s_or_b32 exec_lo, exec_lo, s17
	s_delay_alu instid0(SALU_CYCLE_1)
	s_and_b32 s17, s18, exec_lo
.LBB1_27:
	s_or_b32 exec_lo, exec_lo, s16
	s_delay_alu instid0(SALU_CYCLE_1)
	s_and_b32 s16, s17, exec_lo
.LBB1_28:
	s_or_b32 exec_lo, exec_lo, s13
	s_delay_alu instid0(SALU_CYCLE_1)
	s_and_b32 s13, s16, exec_lo
.LBB1_29:
	s_or_b32 exec_lo, exec_lo, s11
	s_delay_alu instid0(SALU_CYCLE_1)
	s_and_b32 s11, s13, exec_lo
.LBB1_30:
	s_or_b32 exec_lo, exec_lo, s10
	s_delay_alu instid0(SALU_CYCLE_1)
	s_and_b32 s10, s11, exec_lo
.LBB1_31:
	s_or_b32 exec_lo, exec_lo, s7
	s_delay_alu instid0(SALU_CYCLE_1)
	s_and_b32 s7, s10, exec_lo
.LBB1_32:
	s_or_b32 exec_lo, exec_lo, s6
	s_delay_alu instid0(SALU_CYCLE_1)
	s_and_b32 s6, s7, exec_lo
.LBB1_33:
	s_or_b32 exec_lo, exec_lo, s5
	s_delay_alu instid0(SALU_CYCLE_1)
	s_and_b32 s5, s6, exec_lo
.LBB1_34:
	s_or_b32 exec_lo, exec_lo, s4
	s_wait_loadcnt 0x0
	v_dual_mov_b32 v4, v3 :: v_dual_mov_b32 v3, v2
	s_and_b32 s4, s5, exec_lo
.LBB1_35:
	s_or_b32 exec_lo, exec_lo, s3
	s_delay_alu instid0(SALU_CYCLE_1)
	s_and_b32 s3, s4, exec_lo
.LBB1_36:
	s_or_b32 exec_lo, exec_lo, s2
	s_delay_alu instid0(SALU_CYCLE_1)
	s_and_b32 s5, s3, exec_lo
.LBB1_37:
	s_or_b32 exec_lo, exec_lo, s1
	s_wait_loadcnt 0x0
	v_and_b32_e32 v2, 0xff, v28
	v_and_b32_e32 v5, 0xff, v26
	;; [unrolled: 1-line block ×4, first 2 shown]
	s_cmp_eq_u32 s15, 0
	v_and_b32_e32 v3, 0xff, v3
	v_cmp_ne_u16_e64 s0, v5, v2
	s_cselect_b32 s6, -1, 0
	v_cmp_ne_u16_e64 s1, v7, v6
	v_and_b32_e32 v2, 0xff, v17
	v_and_b32_e32 v6, 0xff, v16
	s_xor_b32 s0, s6, s0
	v_and_b32_e32 v16, 0xff, v25
	v_cndmask_b32_e64 v5, 0, 1, s0
	s_xor_b32 s0, s6, s1
	v_and_b32_e32 v17, 0xff, v27
	v_cndmask_b32_e64 v7, 0, 1, s0
	v_cmp_ne_u16_e64 s0, v6, v2
	v_cndmask_b32_e32 v2, 0, v5, vcc_lo
	v_and_b32_e32 v10, 0xff, v10
	v_cmp_ne_u16_e64 s1, v17, v16
	v_bitop3_b16 v5, v7, 0, 0xff00 bitop3:0xf8
	v_or_b32_e32 v7, 0x400, v0
	s_xor_b32 s0, s6, s0
	v_and_b32_e32 v4, 0xff, v4
	v_cndmask_b32_e64 v6, 0, 1, s0
	s_xor_b32 s0, s6, s1
	v_and_b32_e32 v5, 0xffff, v5
	v_cndmask_b32_e64 v16, 0, 1, s0
	v_cmp_gt_i32_e64 s0, s14, v7
	v_lshlrev_b16 v6, 8, v6
	v_cmp_gt_i32_e64 s1, s14, v1
	v_and_b32_e32 v17, 0xff, v33
	v_lshlrev_b16 v7, 8, v16
	v_cndmask_b32_e64 v5, 0, v5, s0
	v_cmp_ne_u16_e64 s0, v10, v3
	v_or_b32_e32 v3, 0x500, v0
	v_and_b32_e32 v10, 0xff, v22
	v_and_b32_e32 v16, 0xff, v24
	v_bitop3_b16 v7, v5, v7, 0xff bitop3:0xec
	s_xor_b32 s0, s6, s0
	v_and_b32_e32 v13, 0xff, v13
	v_and_b32_e32 v11, 0xff, v11
	;; [unrolled: 1-line block ×4, first 2 shown]
	v_or_b32_e32 v6, v2, v6
	s_delay_alu instid0(VALU_DEP_1) | instskip(NEXT) | instid1(VALU_DEP_1)
	v_and_b32_e32 v6, 0xffff, v6
	v_cndmask_b32_e64 v2, v2, v6, s1
	v_cmp_gt_i32_e64 s1, s14, v3
	v_and_b32_e32 v6, 0xff, v9
	s_delay_alu instid0(VALU_DEP_2)
	v_cndmask_b32_e64 v3, v5, v7, s1
	v_cmp_ne_u16_e64 s1, v16, v10
	v_cndmask_b32_e64 v5, 0, 1, s0
	v_or_b32_e32 v10, 0x200, v0
	v_and_b32_e32 v16, 0xff, v32
	v_lshrrev_b32_e32 v7, 16, v3
	s_xor_b32 s0, s6, s1
	v_lshl_or_b32 v5, v5, 16, v2
	v_cndmask_b32_e64 v9, 0, 1, s0
	v_cmp_ne_u16_e64 s0, v6, v4
	v_cmp_gt_i32_e64 s1, s14, v10
	v_and_b32_e32 v10, 0xff, v31
	s_delay_alu instid0(VALU_DEP_4)
	v_bitop3_b16 v4, v9, v7, 0xff00 bitop3:0xf8
	s_xor_b32 s0, s6, s0
	v_cndmask_b32_e64 v2, v2, v5, s1
	v_cndmask_b32_e64 v5, 0, 1, s0
	v_or_b32_e32 v7, 0x600, v0
	v_lshlrev_b32_e32 v4, 16, v4
	v_cmp_ne_u16_e64 s1, v16, v10
	v_and_b32_e32 v9, 0xff, v23
	v_lshlrev_b16 v5, 8, v5
	v_cmp_gt_i32_e64 s0, s14, v7
	v_and_or_b32 v4, 0xffff, v3, v4
	v_lshrrev_b32_e32 v6, 16, v2
	s_xor_b32 s1, s6, s1
	v_cmp_ne_u16_e64 s4, v13, v9
	v_or_b32_e32 v16, 0xd00, v0
	v_cndmask_b32_e64 v3, v3, v4, s0
	v_bitop3_b16 v5, v6, v5, 0xff bitop3:0xec
	v_and_b32_e32 v4, 0xff, v18
	v_and_b32_e32 v6, 0xff, v19
	;; [unrolled: 1-line block ×3, first 2 shown]
	v_or_b32_e32 v19, 0x800, v0
	v_or_b32_e32 v13, 0x900, v0
	v_dual_lshlrev_b32 v5, 16, v5 :: v_dual_lshrrev_b32 v7, 16, v3
	v_cmp_ne_u16_e64 s0, v6, v4
	v_and_b32_e32 v4, 0xff, v20
	v_and_b32_e32 v6, 0xff, v21
	v_cmp_ne_u16_e64 s3, v18, v17
	v_and_b32_e32 v17, 0xff, v34
	v_and_b32_e32 v18, 0xff, v35
	s_xor_b32 s0, s6, s0
	v_cmp_ne_u16_e64 s2, v6, v4
	v_or_b32_e32 v4, 0xc00, v0
	v_cndmask_b32_e64 v6, 0, 1, s1
	s_xor_b32 s1, s6, s3
	v_and_or_b32 v5, 0xffff, v2, v5
	v_cndmask_b32_e64 v9, 0, 1, s1
	s_xor_b32 s1, s6, s2
	v_cmp_gt_i32_e64 s2, s14, v16
	v_cndmask_b32_e64 v10, 0, 1, s1
	v_cmp_gt_i32_e64 s1, s14, v4
	v_cndmask_b32_e64 v16, 0, 1, s0
	v_cmp_gt_i32_e64 s0, s14, v13
	s_delay_alu instid0(VALU_DEP_3)
	v_cndmask_b32_e64 v4, 0, v6, s1
	s_xor_b32 s1, s6, s4
	v_lshlrev_b16 v6, 8, v9
	v_cndmask_b32_e64 v9, 0, 1, s1
	v_cmp_gt_i32_e64 s1, s14, v19
	v_lshlrev_b16 v13, 8, v16
	s_delay_alu instid0(VALU_DEP_3) | instskip(NEXT) | instid1(VALU_DEP_3)
	v_lshlrev_b16 v9, 8, v9
	v_cndmask_b32_e64 v10, 0, v10, s1
	v_cmp_ne_u16_e64 s1, v14, v11
	s_delay_alu instid0(VALU_DEP_4) | instskip(SKIP_1) | instid1(VALU_DEP_4)
	v_bitop3_b16 v7, v7, v13, 0xff bitop3:0xec
	v_or_b32_e32 v13, 0x300, v0
	v_or_b32_e32 v9, v10, v9
	v_bitop3_b16 v6, v4, v6, 0xff bitop3:0xec
	s_xor_b32 s1, s6, s1
	v_lshlrev_b32_e32 v7, 16, v7
	s_delay_alu instid0(VALU_DEP_2) | instskip(NEXT) | instid1(VALU_DEP_2)
	v_and_b32_e32 v6, 0xffff, v6
	v_and_or_b32 v7, 0xffff, v3, v7
	s_delay_alu instid0(VALU_DEP_2) | instskip(SKIP_3) | instid1(VALU_DEP_4)
	v_cndmask_b32_e64 v4, v4, v6, s2
	v_cmp_ne_u16_e64 s2, v18, v17
	v_and_b32_e32 v6, 0xffff, v9
	v_cndmask_b32_e64 v9, 0, 1, s1
	v_lshrrev_b32_e32 v11, 16, v4
	s_xor_b32 s1, s6, s2
	s_delay_alu instid0(VALU_DEP_3) | instskip(SKIP_1) | instid1(VALU_DEP_1)
	v_cndmask_b32_e64 v6, v10, v6, s0
	v_cndmask_b32_e64 v14, 0, 1, s1
	v_bitop3_b16 v10, v14, v11, 0xff00 bitop3:0xf8
	v_and_b32_e32 v11, 0xff, v12
	v_and_b32_e32 v12, 0xff, v15
	v_lshlrev_b32_e32 v9, 16, v9
	v_or_b32_e32 v14, 0xa00, v0
	v_lshlrev_b32_e32 v10, 16, v10
	s_delay_alu instid0(VALU_DEP_4) | instskip(NEXT) | instid1(VALU_DEP_4)
	v_cmp_ne_u16_e64 s0, v12, v11
	v_and_or_b32 v9, 0x1ff, v6, v9
	v_or_b32_e32 v11, 0xe00, v0
	v_cmp_gt_i32_e64 s1, s14, v14
	v_and_or_b32 v10, 0xffff, v4, v10
	s_xor_b32 s0, s6, s0
	v_cndmask_b32_e64 v6, v6, v9, s1
	v_cndmask_b32_e64 v9, 0, 1, s0
	v_cmp_gt_i32_e64 s0, s14, v11
	s_delay_alu instid0(VALU_DEP_2) | instskip(NEXT) | instid1(VALU_DEP_2)
	v_lshlrev_b16 v9, 8, v9
	v_cndmask_b32_e64 v10, v4, v10, s0
	s_xor_b32 s0, s6, s5
	v_lshrrev_b32_e32 v11, 16, v6
	v_cndmask_b32_e64 v4, 0, 1, s0
	v_cmp_gt_i32_e64 s0, s14, v13
	v_lshrrev_b32_e32 v12, 16, v10
	s_delay_alu instid0(VALU_DEP_4) | instskip(NEXT) | instid1(VALU_DEP_4)
	v_bitop3_b16 v9, v11, v9, 0xff bitop3:0xec
	v_lshlrev_b16 v4, 8, v4
	s_delay_alu instid0(VALU_DEP_4) | instskip(SKIP_1) | instid1(VALU_DEP_3)
	v_cndmask_b32_e64 v5, v2, v5, s0
	v_or_b32_e32 v11, 0xb00, v0
	v_bitop3_b16 v4, v12, v4, 0xff bitop3:0xec
	v_lshlrev_b32_e32 v2, 16, v9
	v_or_b32_e32 v9, 0x700, v0
	v_or_b32_e32 v12, 0xf00, v0
	s_delay_alu instid0(VALU_DEP_4) | instskip(NEXT) | instid1(VALU_DEP_4)
	v_lshlrev_b32_e32 v4, 16, v4
	v_and_or_b32 v2, 0xffff, v6, v2
	s_delay_alu instid0(VALU_DEP_4) | instskip(NEXT) | instid1(VALU_DEP_3)
	v_cmp_gt_i32_e64 s0, s14, v9
	v_and_or_b32 v13, 0xffff, v10, v4
	s_delay_alu instid0(VALU_DEP_2) | instskip(SKIP_1) | instid1(VALU_DEP_1)
	v_cndmask_b32_e64 v4, v3, v7, s0
	v_cmp_gt_i32_e64 s0, s14, v11
	v_cndmask_b32_e64 v3, v6, v2, s0
	v_cmp_gt_i32_e64 s0, s14, v12
	s_delay_alu instid0(VALU_DEP_1)
	v_cndmask_b32_e64 v2, v10, v13, s0
	s_and_saveexec_b32 s0, vcc_lo
	s_cbranch_execnz .LBB1_55
; %bb.38:
	s_or_b32 exec_lo, exec_lo, s0
	s_delay_alu instid0(SALU_CYCLE_1)
	s_mov_b32 s0, exec_lo
	v_cmpx_gt_i32_e64 s14, v0
	s_cbranch_execnz .LBB1_56
.LBB1_39:
	s_or_b32 exec_lo, exec_lo, s0
	s_delay_alu instid0(SALU_CYCLE_1)
	s_mov_b32 s0, exec_lo
	v_cmpx_gt_i32_e64 s14, v0
	s_cbranch_execnz .LBB1_57
.LBB1_40:
	s_or_b32 exec_lo, exec_lo, s0
	s_delay_alu instid0(SALU_CYCLE_1)
	s_mov_b32 s0, exec_lo
	v_cmpx_gt_i32_e64 s14, v0
	s_cbranch_execnz .LBB1_58
.LBB1_41:
	s_or_b32 exec_lo, exec_lo, s0
	s_delay_alu instid0(SALU_CYCLE_1)
	s_mov_b32 s0, exec_lo
	v_cmpx_gt_i32_e64 s14, v0
	s_cbranch_execnz .LBB1_59
.LBB1_42:
	s_or_b32 exec_lo, exec_lo, s0
	s_delay_alu instid0(SALU_CYCLE_1)
	s_mov_b32 s0, exec_lo
	v_cmpx_gt_i32_e64 s14, v0
	s_cbranch_execnz .LBB1_60
.LBB1_43:
	s_or_b32 exec_lo, exec_lo, s0
	s_delay_alu instid0(SALU_CYCLE_1)
	s_mov_b32 s0, exec_lo
	v_cmpx_gt_i32_e64 s14, v0
	s_cbranch_execnz .LBB1_61
.LBB1_44:
	s_or_b32 exec_lo, exec_lo, s0
	s_delay_alu instid0(SALU_CYCLE_1)
	s_mov_b32 s0, exec_lo
	v_cmpx_gt_i32_e64 s14, v0
	s_cbranch_execnz .LBB1_62
.LBB1_45:
	s_or_b32 exec_lo, exec_lo, s0
	s_delay_alu instid0(SALU_CYCLE_1)
	s_mov_b32 s0, exec_lo
	v_cmpx_gt_i32_e64 s14, v0
	s_cbranch_execnz .LBB1_63
.LBB1_46:
	s_or_b32 exec_lo, exec_lo, s0
	s_delay_alu instid0(SALU_CYCLE_1)
	s_mov_b32 s0, exec_lo
	v_cmpx_gt_i32_e64 s14, v0
	s_cbranch_execnz .LBB1_64
.LBB1_47:
	s_or_b32 exec_lo, exec_lo, s0
	s_delay_alu instid0(SALU_CYCLE_1)
	s_mov_b32 s0, exec_lo
	v_cmpx_gt_i32_e64 s14, v0
	s_cbranch_execnz .LBB1_65
.LBB1_48:
	s_or_b32 exec_lo, exec_lo, s0
	s_delay_alu instid0(SALU_CYCLE_1)
	s_mov_b32 s0, exec_lo
	v_cmpx_gt_i32_e64 s14, v0
	s_cbranch_execnz .LBB1_66
.LBB1_49:
	s_or_b32 exec_lo, exec_lo, s0
	s_delay_alu instid0(SALU_CYCLE_1)
	s_mov_b32 s0, exec_lo
	v_cmpx_gt_i32_e64 s14, v0
	s_cbranch_execnz .LBB1_67
.LBB1_50:
	s_or_b32 exec_lo, exec_lo, s0
	s_delay_alu instid0(SALU_CYCLE_1)
	s_mov_b32 s0, exec_lo
	v_cmpx_gt_i32_e64 s14, v0
	s_cbranch_execnz .LBB1_68
.LBB1_51:
	s_or_b32 exec_lo, exec_lo, s0
	s_delay_alu instid0(SALU_CYCLE_1)
	s_mov_b32 s0, exec_lo
	v_cmpx_gt_i32_e64 s14, v0
	s_cbranch_execnz .LBB1_69
.LBB1_52:
	s_or_b32 exec_lo, exec_lo, s0
	s_delay_alu instid0(SALU_CYCLE_1)
	s_mov_b32 s0, exec_lo
	v_cmpx_gt_i32_e64 s14, v0
	s_cbranch_execz .LBB1_54
.LBB1_53:
	v_dual_lshrrev_b32 v1, 24, v2 :: v_dual_add_nc_u32 v0, s12, v0
	global_store_b8 v0, v1, s[8:9]
.LBB1_54:
	s_endpgm
.LBB1_55:
	v_mov_b32_e32 v0, v1
	global_store_b8 v8, v5, s[8:9]
	s_wait_xcnt 0x0
	s_or_b32 exec_lo, exec_lo, s0
	s_delay_alu instid0(SALU_CYCLE_1)
	s_mov_b32 s0, exec_lo
	v_cmpx_gt_i32_e64 s14, v0
	s_cbranch_execz .LBB1_39
.LBB1_56:
	v_dual_lshrrev_b32 v1, 8, v5 :: v_dual_add_nc_u32 v6, s12, v0
	v_add_nc_u32_e32 v0, 0x100, v0
	global_store_b8 v6, v1, s[8:9]
	s_wait_xcnt 0x0
	s_or_b32 exec_lo, exec_lo, s0
	s_delay_alu instid0(SALU_CYCLE_1)
	s_mov_b32 s0, exec_lo
	v_cmpx_gt_i32_e64 s14, v0
	s_cbranch_execz .LBB1_40
.LBB1_57:
	v_add_nc_u32_e32 v1, s12, v0
	v_add_nc_u32_e32 v0, 0x100, v0
	global_store_d16_hi_b8 v1, v5, s[8:9]
	s_wait_xcnt 0x0
	s_or_b32 exec_lo, exec_lo, s0
	s_delay_alu instid0(SALU_CYCLE_1)
	s_mov_b32 s0, exec_lo
	v_cmpx_gt_i32_e64 s14, v0
	s_cbranch_execz .LBB1_41
.LBB1_58:
	v_dual_lshrrev_b32 v1, 24, v5 :: v_dual_add_nc_u32 v5, s12, v0
	v_add_nc_u32_e32 v0, 0x100, v0
	global_store_b8 v5, v1, s[8:9]
	s_wait_xcnt 0x0
	s_or_b32 exec_lo, exec_lo, s0
	s_delay_alu instid0(SALU_CYCLE_1)
	s_mov_b32 s0, exec_lo
	v_cmpx_gt_i32_e64 s14, v0
	s_cbranch_execz .LBB1_42
.LBB1_59:
	v_add_nc_u32_e32 v1, s12, v0
	v_add_nc_u32_e32 v0, 0x100, v0
	global_store_b8 v1, v4, s[8:9]
	s_wait_xcnt 0x0
	s_or_b32 exec_lo, exec_lo, s0
	s_delay_alu instid0(SALU_CYCLE_1)
	s_mov_b32 s0, exec_lo
	v_cmpx_gt_i32_e64 s14, v0
	s_cbranch_execz .LBB1_43
.LBB1_60:
	v_lshrrev_b32_e32 v1, 8, v4
	v_add_nc_u32_e32 v5, s12, v0
	v_add_nc_u32_e32 v0, 0x100, v0
	global_store_b8 v5, v1, s[8:9]
	s_wait_xcnt 0x0
	s_or_b32 exec_lo, exec_lo, s0
	s_delay_alu instid0(SALU_CYCLE_1)
	s_mov_b32 s0, exec_lo
	v_cmpx_gt_i32_e64 s14, v0
	s_cbranch_execz .LBB1_44
.LBB1_61:
	v_add_nc_u32_e32 v1, s12, v0
	v_add_nc_u32_e32 v0, 0x100, v0
	global_store_d16_hi_b8 v1, v4, s[8:9]
	s_wait_xcnt 0x0
	s_or_b32 exec_lo, exec_lo, s0
	s_delay_alu instid0(SALU_CYCLE_1)
	s_mov_b32 s0, exec_lo
	v_cmpx_gt_i32_e64 s14, v0
	s_cbranch_execz .LBB1_45
.LBB1_62:
	v_lshrrev_b32_e32 v1, 24, v4
	v_add_nc_u32_e32 v4, s12, v0
	v_add_nc_u32_e32 v0, 0x100, v0
	global_store_b8 v4, v1, s[8:9]
	s_wait_xcnt 0x0
	s_or_b32 exec_lo, exec_lo, s0
	s_delay_alu instid0(SALU_CYCLE_1)
	s_mov_b32 s0, exec_lo
	v_cmpx_gt_i32_e64 s14, v0
	s_cbranch_execz .LBB1_46
.LBB1_63:
	v_add_nc_u32_e32 v1, s12, v0
	v_add_nc_u32_e32 v0, 0x100, v0
	global_store_b8 v1, v3, s[8:9]
	s_wait_xcnt 0x0
	s_or_b32 exec_lo, exec_lo, s0
	s_delay_alu instid0(SALU_CYCLE_1)
	s_mov_b32 s0, exec_lo
	v_cmpx_gt_i32_e64 s14, v0
	s_cbranch_execz .LBB1_47
.LBB1_64:
	v_dual_lshrrev_b32 v1, 8, v3 :: v_dual_add_nc_u32 v4, s12, v0
	v_add_nc_u32_e32 v0, 0x100, v0
	global_store_b8 v4, v1, s[8:9]
	s_wait_xcnt 0x0
	s_or_b32 exec_lo, exec_lo, s0
	s_delay_alu instid0(SALU_CYCLE_1)
	s_mov_b32 s0, exec_lo
	v_cmpx_gt_i32_e64 s14, v0
	s_cbranch_execz .LBB1_48
.LBB1_65:
	v_add_nc_u32_e32 v1, s12, v0
	v_add_nc_u32_e32 v0, 0x100, v0
	global_store_d16_hi_b8 v1, v3, s[8:9]
	s_wait_xcnt 0x0
	s_or_b32 exec_lo, exec_lo, s0
	s_delay_alu instid0(SALU_CYCLE_1)
	s_mov_b32 s0, exec_lo
	v_cmpx_gt_i32_e64 s14, v0
	s_cbranch_execz .LBB1_49
.LBB1_66:
	v_dual_lshrrev_b32 v1, 24, v3 :: v_dual_add_nc_u32 v3, s12, v0
	v_add_nc_u32_e32 v0, 0x100, v0
	global_store_b8 v3, v1, s[8:9]
	s_wait_xcnt 0x0
	s_or_b32 exec_lo, exec_lo, s0
	s_delay_alu instid0(SALU_CYCLE_1)
	s_mov_b32 s0, exec_lo
	v_cmpx_gt_i32_e64 s14, v0
	s_cbranch_execz .LBB1_50
.LBB1_67:
	v_add_nc_u32_e32 v1, s12, v0
	v_add_nc_u32_e32 v0, 0x100, v0
	global_store_b8 v1, v2, s[8:9]
	s_wait_xcnt 0x0
	s_or_b32 exec_lo, exec_lo, s0
	s_delay_alu instid0(SALU_CYCLE_1)
	s_mov_b32 s0, exec_lo
	v_cmpx_gt_i32_e64 s14, v0
	s_cbranch_execz .LBB1_51
.LBB1_68:
	v_dual_lshrrev_b32 v1, 8, v2 :: v_dual_add_nc_u32 v3, s12, v0
	v_add_nc_u32_e32 v0, 0x100, v0
	global_store_b8 v3, v1, s[8:9]
	s_wait_xcnt 0x0
	s_or_b32 exec_lo, exec_lo, s0
	s_delay_alu instid0(SALU_CYCLE_1)
	s_mov_b32 s0, exec_lo
	v_cmpx_gt_i32_e64 s14, v0
	s_cbranch_execz .LBB1_52
.LBB1_69:
	v_add_nc_u32_e32 v1, s12, v0
	v_add_nc_u32_e32 v0, 0x100, v0
	global_store_d16_hi_b8 v1, v2, s[8:9]
	s_wait_xcnt 0x0
	s_or_b32 exec_lo, exec_lo, s0
	s_delay_alu instid0(SALU_CYCLE_1)
	s_mov_b32 s0, exec_lo
	v_cmpx_gt_i32_e64 s14, v0
	s_cbranch_execnz .LBB1_53
	s_branch .LBB1_54
	.section	.rodata,"a",@progbits
	.p2align	6, 0x0
	.amdhsa_kernel _ZN2at6native29vectorized_elementwise_kernelILi8ENS0_13BinaryFunctorIhhbNS0_12_GLOBAL__N_116CompareEqFunctorIhEEEESt5arrayIPcLm3EEEEviT0_T1_
		.amdhsa_group_segment_fixed_size 0
		.amdhsa_private_segment_fixed_size 0
		.amdhsa_kernarg_size 32
		.amdhsa_user_sgpr_count 2
		.amdhsa_user_sgpr_dispatch_ptr 0
		.amdhsa_user_sgpr_queue_ptr 0
		.amdhsa_user_sgpr_kernarg_segment_ptr 1
		.amdhsa_user_sgpr_dispatch_id 0
		.amdhsa_user_sgpr_kernarg_preload_length 0
		.amdhsa_user_sgpr_kernarg_preload_offset 0
		.amdhsa_user_sgpr_private_segment_size 0
		.amdhsa_wavefront_size32 1
		.amdhsa_uses_dynamic_stack 0
		.amdhsa_enable_private_segment 0
		.amdhsa_system_sgpr_workgroup_id_x 1
		.amdhsa_system_sgpr_workgroup_id_y 0
		.amdhsa_system_sgpr_workgroup_id_z 0
		.amdhsa_system_sgpr_workgroup_info 0
		.amdhsa_system_vgpr_workitem_id 0
		.amdhsa_next_free_vgpr 39
		.amdhsa_next_free_sgpr 23
		.amdhsa_named_barrier_count 0
		.amdhsa_reserve_vcc 1
		.amdhsa_float_round_mode_32 0
		.amdhsa_float_round_mode_16_64 0
		.amdhsa_float_denorm_mode_32 3
		.amdhsa_float_denorm_mode_16_64 3
		.amdhsa_fp16_overflow 0
		.amdhsa_memory_ordered 1
		.amdhsa_forward_progress 1
		.amdhsa_inst_pref_size 46
		.amdhsa_round_robin_scheduling 0
		.amdhsa_exception_fp_ieee_invalid_op 0
		.amdhsa_exception_fp_denorm_src 0
		.amdhsa_exception_fp_ieee_div_zero 0
		.amdhsa_exception_fp_ieee_overflow 0
		.amdhsa_exception_fp_ieee_underflow 0
		.amdhsa_exception_fp_ieee_inexact 0
		.amdhsa_exception_int_div_zero 0
	.end_amdhsa_kernel
	.section	.text._ZN2at6native29vectorized_elementwise_kernelILi8ENS0_13BinaryFunctorIhhbNS0_12_GLOBAL__N_116CompareEqFunctorIhEEEESt5arrayIPcLm3EEEEviT0_T1_,"axG",@progbits,_ZN2at6native29vectorized_elementwise_kernelILi8ENS0_13BinaryFunctorIhhbNS0_12_GLOBAL__N_116CompareEqFunctorIhEEEESt5arrayIPcLm3EEEEviT0_T1_,comdat
.Lfunc_end1:
	.size	_ZN2at6native29vectorized_elementwise_kernelILi8ENS0_13BinaryFunctorIhhbNS0_12_GLOBAL__N_116CompareEqFunctorIhEEEESt5arrayIPcLm3EEEEviT0_T1_, .Lfunc_end1-_ZN2at6native29vectorized_elementwise_kernelILi8ENS0_13BinaryFunctorIhhbNS0_12_GLOBAL__N_116CompareEqFunctorIhEEEESt5arrayIPcLm3EEEEviT0_T1_
                                        ; -- End function
	.set _ZN2at6native29vectorized_elementwise_kernelILi8ENS0_13BinaryFunctorIhhbNS0_12_GLOBAL__N_116CompareEqFunctorIhEEEESt5arrayIPcLm3EEEEviT0_T1_.num_vgpr, 39
	.set _ZN2at6native29vectorized_elementwise_kernelILi8ENS0_13BinaryFunctorIhhbNS0_12_GLOBAL__N_116CompareEqFunctorIhEEEESt5arrayIPcLm3EEEEviT0_T1_.num_agpr, 0
	.set _ZN2at6native29vectorized_elementwise_kernelILi8ENS0_13BinaryFunctorIhhbNS0_12_GLOBAL__N_116CompareEqFunctorIhEEEESt5arrayIPcLm3EEEEviT0_T1_.numbered_sgpr, 23
	.set _ZN2at6native29vectorized_elementwise_kernelILi8ENS0_13BinaryFunctorIhhbNS0_12_GLOBAL__N_116CompareEqFunctorIhEEEESt5arrayIPcLm3EEEEviT0_T1_.num_named_barrier, 0
	.set _ZN2at6native29vectorized_elementwise_kernelILi8ENS0_13BinaryFunctorIhhbNS0_12_GLOBAL__N_116CompareEqFunctorIhEEEESt5arrayIPcLm3EEEEviT0_T1_.private_seg_size, 0
	.set _ZN2at6native29vectorized_elementwise_kernelILi8ENS0_13BinaryFunctorIhhbNS0_12_GLOBAL__N_116CompareEqFunctorIhEEEESt5arrayIPcLm3EEEEviT0_T1_.uses_vcc, 1
	.set _ZN2at6native29vectorized_elementwise_kernelILi8ENS0_13BinaryFunctorIhhbNS0_12_GLOBAL__N_116CompareEqFunctorIhEEEESt5arrayIPcLm3EEEEviT0_T1_.uses_flat_scratch, 0
	.set _ZN2at6native29vectorized_elementwise_kernelILi8ENS0_13BinaryFunctorIhhbNS0_12_GLOBAL__N_116CompareEqFunctorIhEEEESt5arrayIPcLm3EEEEviT0_T1_.has_dyn_sized_stack, 0
	.set _ZN2at6native29vectorized_elementwise_kernelILi8ENS0_13BinaryFunctorIhhbNS0_12_GLOBAL__N_116CompareEqFunctorIhEEEESt5arrayIPcLm3EEEEviT0_T1_.has_recursion, 0
	.set _ZN2at6native29vectorized_elementwise_kernelILi8ENS0_13BinaryFunctorIhhbNS0_12_GLOBAL__N_116CompareEqFunctorIhEEEESt5arrayIPcLm3EEEEviT0_T1_.has_indirect_call, 0
	.section	.AMDGPU.csdata,"",@progbits
; Kernel info:
; codeLenInByte = 5888
; TotalNumSgprs: 25
; NumVgprs: 39
; ScratchSize: 0
; MemoryBound: 0
; FloatMode: 240
; IeeeMode: 1
; LDSByteSize: 0 bytes/workgroup (compile time only)
; SGPRBlocks: 0
; VGPRBlocks: 2
; NumSGPRsForWavesPerEU: 25
; NumVGPRsForWavesPerEU: 39
; NamedBarCnt: 0
; Occupancy: 16
; WaveLimiterHint : 1
; COMPUTE_PGM_RSRC2:SCRATCH_EN: 0
; COMPUTE_PGM_RSRC2:USER_SGPR: 2
; COMPUTE_PGM_RSRC2:TRAP_HANDLER: 0
; COMPUTE_PGM_RSRC2:TGID_X_EN: 1
; COMPUTE_PGM_RSRC2:TGID_Y_EN: 0
; COMPUTE_PGM_RSRC2:TGID_Z_EN: 0
; COMPUTE_PGM_RSRC2:TIDIG_COMP_CNT: 0
	.section	.text._ZN2at6native29vectorized_elementwise_kernelILi4ENS0_13BinaryFunctorIhhbNS0_12_GLOBAL__N_116CompareEqFunctorIhEEEESt5arrayIPcLm3EEEEviT0_T1_,"axG",@progbits,_ZN2at6native29vectorized_elementwise_kernelILi4ENS0_13BinaryFunctorIhhbNS0_12_GLOBAL__N_116CompareEqFunctorIhEEEESt5arrayIPcLm3EEEEviT0_T1_,comdat
	.globl	_ZN2at6native29vectorized_elementwise_kernelILi4ENS0_13BinaryFunctorIhhbNS0_12_GLOBAL__N_116CompareEqFunctorIhEEEESt5arrayIPcLm3EEEEviT0_T1_ ; -- Begin function _ZN2at6native29vectorized_elementwise_kernelILi4ENS0_13BinaryFunctorIhhbNS0_12_GLOBAL__N_116CompareEqFunctorIhEEEESt5arrayIPcLm3EEEEviT0_T1_
	.p2align	8
	.type	_ZN2at6native29vectorized_elementwise_kernelILi4ENS0_13BinaryFunctorIhhbNS0_12_GLOBAL__N_116CompareEqFunctorIhEEEESt5arrayIPcLm3EEEEviT0_T1_,@function
_ZN2at6native29vectorized_elementwise_kernelILi4ENS0_13BinaryFunctorIhhbNS0_12_GLOBAL__N_116CompareEqFunctorIhEEEESt5arrayIPcLm3EEEEviT0_T1_: ; @_ZN2at6native29vectorized_elementwise_kernelILi4ENS0_13BinaryFunctorIhhbNS0_12_GLOBAL__N_116CompareEqFunctorIhEEEESt5arrayIPcLm3EEEEviT0_T1_
; %bb.0:
	s_clause 0x2
	s_load_b64 s[14:15], s[0:1], 0x0
	s_load_b128 s[8:11], s[0:1], 0x8
	s_load_b64 s[16:17], s[0:1], 0x18
	s_wait_xcnt 0x0
	s_bfe_u32 s0, ttmp6, 0x4000c
	s_and_b32 s1, ttmp6, 15
	s_add_co_i32 s0, s0, 1
	s_getreg_b32 s2, hwreg(HW_REG_IB_STS2, 6, 4)
	s_mul_i32 s0, ttmp9, s0
	s_delay_alu instid0(SALU_CYCLE_1) | instskip(SKIP_2) | instid1(SALU_CYCLE_1)
	s_add_co_i32 s1, s1, s0
	s_cmp_eq_u32 s2, 0
	s_cselect_b32 s0, ttmp9, s1
	s_lshl_b32 s12, s0, 12
	s_mov_b32 s0, -1
	s_wait_kmcnt 0x0
	s_sub_co_i32 s14, s14, s12
	s_delay_alu instid0(SALU_CYCLE_1)
	s_cmp_gt_i32 s14, 0xfff
	s_cbranch_scc0 .LBB2_2
; %bb.1:
	s_ashr_i32 s13, s12, 31
	s_cmp_eq_u32 s15, 0
	s_add_nc_u64 s[0:1], s[10:11], s[12:13]
	s_cselect_b32 s18, -1, 0
	s_clause 0x3
	global_load_b32 v1, v0, s[0:1] scale_offset
	global_load_b32 v2, v0, s[0:1] offset:1024 scale_offset
	global_load_b32 v3, v0, s[0:1] offset:2048 scale_offset
	;; [unrolled: 1-line block ×3, first 2 shown]
	s_wait_xcnt 0x0
	s_add_nc_u64 s[0:1], s[16:17], s[12:13]
	s_clause 0x3
	global_load_b32 v5, v0, s[0:1] scale_offset
	global_load_b32 v6, v0, s[0:1] offset:1024 scale_offset
	global_load_b32 v7, v0, s[0:1] offset:2048 scale_offset
	;; [unrolled: 1-line block ×3, first 2 shown]
	s_wait_loadcnt 0x7
	v_and_b32_e32 v9, 0xff, v1
	v_dual_lshrrev_b32 v10, 8, v1 :: v_dual_lshrrev_b32 v11, 16, v1
	s_wait_loadcnt 0x3
	v_xor_b32_e32 v1, v5, v1
	v_and_b32_e32 v12, 0xff, v2
	s_wait_loadcnt 0x2
	v_and_b32_e32 v24, 0xff, v6
	v_dual_lshrrev_b32 v13, 8, v2 :: v_dual_lshrrev_b32 v14, 16, v2
	v_dual_lshrrev_b32 v19, 8, v4 :: v_dual_lshrrev_b32 v20, 16, v4
	v_dual_lshrrev_b32 v25, 8, v6 :: v_dual_lshrrev_b32 v26, 16, v6
	v_xor_b32_e32 v2, v6, v2
	s_wait_xcnt 0x0
	v_cmp_lt_u32_e64 s0, 0xffffff, v1
	v_and_b32_e32 v15, 0xff, v3
	s_wait_loadcnt 0x1
	v_and_b32_e32 v27, 0xff, v7
	v_cmp_ne_u16_e64 s1, v12, v24
	v_dual_lshrrev_b32 v16, 8, v3 :: v_dual_lshrrev_b32 v17, 16, v3
	v_and_b32_e32 v21, 0xff, v5
	v_dual_lshrrev_b32 v22, 8, v5 :: v_dual_lshrrev_b32 v23, 16, v5
	v_dual_lshrrev_b32 v28, 8, v7 :: v_dual_lshrrev_b32 v29, 16, v7
	v_xor_b32_e32 v3, v7, v3
	v_and_b32_e32 v7, 0xff, v13
	v_and_b32_e32 v13, 0xff, v19
	;; [unrolled: 1-line block ×3, first 2 shown]
	v_cmp_lt_u32_e64 s2, 0xffffff, v2
	v_and_b32_e32 v18, 0xff, v4
	s_wait_loadcnt 0x0
	v_and_b32_e32 v30, 0xff, v8
	s_xor_b32 s0, s18, s0
	v_dual_lshrrev_b32 v31, 8, v8 :: v_dual_lshrrev_b32 v32, 16, v8
	v_xor_b32_e32 v4, v8, v4
	v_and_b32_e32 v8, 0xff, v14
	v_and_b32_e32 v14, 0xff, v20
	;; [unrolled: 1-line block ×3, first 2 shown]
	v_cmp_ne_u16_e64 s3, v15, v27
	v_cndmask_b32_e64 v2, 0, 1, s0
	s_xor_b32 s0, s18, s1
	v_and_b32_e32 v5, 0xff, v10
	v_and_b32_e32 v10, 0xff, v16
	;; [unrolled: 1-line block ×4, first 2 shown]
	v_cmp_ne_u16_e32 vcc_lo, v9, v21
	v_cmp_lt_u32_e64 s4, 0xffffff, v3
	v_cndmask_b32_e64 v3, 0, 1, s0
	v_cmp_ne_u16_e64 s0, v7, v19
	s_xor_b32 s2, s18, s2
	v_and_b32_e32 v6, 0xff, v11
	v_and_b32_e32 v11, 0xff, v17
	;; [unrolled: 1-line block ×4, first 2 shown]
	v_cmp_ne_u16_e64 s5, v18, v30
	v_cmp_lt_u32_e64 s6, 0xffffff, v4
	v_cmp_ne_u16_e64 s1, v8, v20
	v_cndmask_b32_e64 v4, 0, 1, s2
	s_xor_b32 s2, s18, s3
	v_and_b32_e32 v25, 0xff, v31
	s_xor_b32 s7, s18, vcc_lo
	v_cmp_ne_u16_e32 vcc_lo, v5, v16
	v_cndmask_b32_e64 v5, 0, 1, s2
	v_cmp_ne_u16_e64 s2, v10, v22
	s_xor_b32 s4, s18, s4
	s_xor_b32 s0, s18, s0
	v_cndmask_b32_e64 v1, 0, 1, s7
	v_cmp_ne_u16_e64 s7, v6, v17
	v_cmp_ne_u16_e64 s3, v11, v23
	v_cndmask_b32_e64 v6, 0, 1, s4
	s_xor_b32 s4, s18, s5
	v_cndmask_b32_e64 v11, 0, 1, s0
	s_xor_b32 s0, s18, s1
	v_and_b32_e32 v26, 0xff, v32
	v_cndmask_b32_e64 v7, 0, 1, s4
	v_cmp_ne_u16_e64 s4, v13, v25
	s_xor_b32 s6, s18, s6
	v_cndmask_b32_e64 v12, 0, 1, s0
	s_xor_b32 s0, s18, s2
	v_cndmask_b32_e64 v8, 0, 1, s6
	s_xor_b32 s6, s18, vcc_lo
	v_cndmask_b32_e64 v13, 0, 1, s0
	s_xor_b32 s0, s18, s3
	v_cndmask_b32_e64 v9, 0, 1, s6
	v_cmp_ne_u16_e64 s5, v14, v26
	v_cndmask_b32_e64 v14, 0, 1, s0
	s_xor_b32 s0, s18, s4
	s_xor_b32 s6, s18, s7
	v_cndmask_b32_e64 v15, 0, 1, s0
	v_cndmask_b32_e64 v10, 0, 1, s6
	v_lshlrev_b16 v2, 8, v2
	v_lshlrev_b16 v9, 8, v9
	s_xor_b32 s0, s18, s5
	v_lshlrev_b16 v4, 8, v4
	v_lshlrev_b16 v11, 8, v11
	;; [unrolled: 1-line block ×4, first 2 shown]
	v_cndmask_b32_e64 v16, 0, 1, s0
	v_lshlrev_b16 v8, 8, v8
	v_lshlrev_b16 v15, 8, v15
	v_or_b32_e32 v2, v10, v2
	v_or_b32_e32 v1, v1, v9
	;; [unrolled: 1-line block ×7, first 2 shown]
	v_dual_lshlrev_b32 v2, 16, v2 :: v_dual_bitop2_b32 v7, v7, v15 bitop3:0x54
	v_and_b32_e32 v1, 0xffff, v1
	v_lshlrev_b32_e32 v4, 16, v4
	v_and_b32_e32 v3, 0xffff, v3
	v_lshlrev_b32_e32 v6, 16, v6
	;; [unrolled: 2-line block ×3, first 2 shown]
	v_and_b32_e32 v7, 0xffff, v7
	v_or_b32_e32 v1, v1, v2
	v_or_b32_e32 v2, v3, v4
	;; [unrolled: 1-line block ×3, first 2 shown]
	s_add_nc_u64 s[2:3], s[8:9], s[12:13]
	v_or_b32_e32 v4, v7, v8
	s_mov_b32 s0, 0
	s_clause 0x3
	global_store_b32 v0, v1, s[2:3] scale_offset
	global_store_b32 v0, v2, s[2:3] offset:1024 scale_offset
	global_store_b32 v0, v3, s[2:3] offset:2048 scale_offset
	;; [unrolled: 1-line block ×3, first 2 shown]
.LBB2_2:
	s_and_not1_b32 vcc_lo, exec_lo, s0
	s_cbranch_vccnz .LBB2_54
; %bb.3:
	v_cmp_le_i32_e64 s0, s14, v0
	s_wait_xcnt 0x3
	v_or_b32_e32 v1, 0x100, v0
	v_cmp_gt_i32_e32 vcc_lo, s14, v0
	s_wait_xcnt 0x0
	s_and_saveexec_b32 s1, s0
	s_delay_alu instid0(SALU_CYCLE_1)
	s_xor_b32 s0, exec_lo, s1
; %bb.4:
	v_or_b32_e32 v1, 0x100, v0
; %bb.5:
	s_or_saveexec_b32 s1, s0
	v_dual_mov_b32 v35, 0 :: v_dual_bitop2_b32 v8, s12, v0 bitop3:0x54
	v_dual_mov_b32 v34, 0 :: v_dual_mov_b32 v36, 0
	v_dual_mov_b32 v33, 0 :: v_dual_mov_b32 v32, 0
	;; [unrolled: 1-line block ×14, first 2 shown]
	v_mov_b32_e32 v28, 0
	s_mov_b32 s5, 0
	s_xor_b32 exec_lo, exec_lo, s1
	s_cbranch_execz .LBB2_37
; %bb.6:
	s_clause 0x1
	global_load_u8 v26, v8, s[10:11]
	global_load_u8 v28, v8, s[16:17]
	v_cmp_gt_u32_e64 s0, s14, v1
	v_dual_mov_b32 v17, 0 :: v_dual_mov_b32 v16, 0
	v_dual_mov_b32 v3, 0 :: v_dual_mov_b32 v10, 0
	;; [unrolled: 1-line block ×14, first 2 shown]
	s_mov_b32 s3, 0
	s_wait_xcnt 0x0
	s_and_saveexec_b32 s2, s0
	s_cbranch_execz .LBB2_36
; %bb.7:
	v_dual_mov_b32 v3, 0 :: v_dual_add_nc_u32 v2, s12, v0
	v_or_b32_e32 v4, 0x200, v0
	v_dual_mov_b32 v10, 0 :: v_dual_mov_b32 v9, 0
	v_mov_b32_e32 v29, 0
	s_clause 0x1
	global_load_u8 v16, v2, s[10:11] offset:256
	global_load_u8 v17, v2, s[16:17] offset:256
	v_cmp_gt_u32_e64 s0, s14, v4
	v_dual_mov_b32 v4, 0 :: v_dual_mov_b32 v30, 0
	v_dual_mov_b32 v25, 0 :: v_dual_mov_b32 v27, 0
	;; [unrolled: 1-line block ×11, first 2 shown]
	s_mov_b32 s4, 0
	s_wait_xcnt 0x0
	s_and_saveexec_b32 s3, s0
	s_cbranch_execz .LBB2_35
; %bb.8:
	v_add_nc_u64_e32 v[4:5], s[10:11], v[2:3]
	v_add_nc_u64_e32 v[6:7], s[16:17], v[2:3]
	v_or_b32_e32 v9, 0x300, v0
	v_dual_mov_b32 v30, 0 :: v_dual_mov_b32 v25, 0
	v_dual_mov_b32 v29, 0 :: v_dual_mov_b32 v27, 0
	v_mov_b32_e32 v22, 0
	global_load_u8 v10, v[4:5], off offset:512
	global_load_u8 v2, v[6:7], off offset:512
	v_cmp_gt_u32_e64 s0, s14, v9
	v_dual_mov_b32 v9, 0 :: v_dual_mov_b32 v24, 0
	v_dual_mov_b32 v18, 0 :: v_dual_mov_b32 v19, 0
	;; [unrolled: 1-line block ×9, first 2 shown]
	s_wait_xcnt 0x0
	s_and_saveexec_b32 s4, s0
	s_cbranch_execz .LBB2_34
; %bb.9:
	global_load_u8 v9, v[4:5], off offset:768
	global_load_u8 v3, v[6:7], off offset:768
	v_or_b32_e32 v11, 0x400, v0
	v_dual_mov_b32 v29, 0 :: v_dual_mov_b32 v30, 0
	v_dual_mov_b32 v25, 0 :: v_dual_mov_b32 v27, 0
	s_delay_alu instid0(VALU_DEP_3)
	v_cmp_gt_u32_e64 s0, s14, v11
	v_dual_mov_b32 v22, 0 :: v_dual_mov_b32 v24, 0
	v_dual_mov_b32 v18, 0 :: v_dual_mov_b32 v19, 0
	;; [unrolled: 1-line block ×9, first 2 shown]
	s_mov_b32 s6, 0
	s_wait_xcnt 0x0
	s_and_saveexec_b32 s5, s0
	s_cbranch_execz .LBB2_33
; %bb.10:
	global_load_u8 v30, v[4:5], off offset:1024
	global_load_u8 v29, v[6:7], off offset:1024
	v_or_b32_e32 v11, 0x500, v0
	v_dual_mov_b32 v25, 0 :: v_dual_mov_b32 v27, 0
	v_dual_mov_b32 v22, 0 :: v_dual_mov_b32 v24, 0
	s_delay_alu instid0(VALU_DEP_3)
	v_cmp_gt_u32_e64 s0, s14, v11
	v_dual_mov_b32 v18, 0 :: v_dual_mov_b32 v19, 0
	v_dual_mov_b32 v20, 0 :: v_dual_mov_b32 v21, 0
	v_dual_mov_b32 v23, 0 :: v_dual_mov_b32 v13, 0
	v_dual_mov_b32 v11, 0 :: v_dual_mov_b32 v14, 0
	v_dual_mov_b32 v12, 0 :: v_dual_mov_b32 v15, 0
	v_dual_mov_b32 v31, 0 :: v_dual_mov_b32 v32, 0
	v_dual_mov_b32 v33, 0 :: v_dual_mov_b32 v36, 0
	v_dual_mov_b32 v34, 0 :: v_dual_mov_b32 v35, 0
	s_mov_b32 s7, 0
	s_wait_xcnt 0x0
	s_and_saveexec_b32 s6, s0
	s_cbranch_execz .LBB2_32
; %bb.11:
	global_load_u8 v27, v[4:5], off offset:1280
	global_load_u8 v25, v[6:7], off offset:1280
	v_or_b32_e32 v11, 0x600, v0
	v_dual_mov_b32 v22, 0 :: v_dual_mov_b32 v24, 0
	v_dual_mov_b32 v18, 0 :: v_dual_mov_b32 v19, 0
	s_delay_alu instid0(VALU_DEP_3)
	v_cmp_gt_u32_e64 s0, s14, v11
	v_dual_mov_b32 v20, 0 :: v_dual_mov_b32 v21, 0
	v_dual_mov_b32 v23, 0 :: v_dual_mov_b32 v13, 0
	;; [unrolled: 1-line block ×7, first 2 shown]
	s_mov_b32 s10, 0
	s_wait_xcnt 0x0
	s_and_saveexec_b32 s7, s0
	s_cbranch_execz .LBB2_31
; %bb.12:
	global_load_u8 v24, v[4:5], off offset:1536
	global_load_u8 v22, v[6:7], off offset:1536
	v_or_b32_e32 v11, 0x700, v0
	v_dual_mov_b32 v18, 0 :: v_dual_mov_b32 v19, 0
	v_dual_mov_b32 v20, 0 :: v_dual_mov_b32 v21, 0
	s_delay_alu instid0(VALU_DEP_3)
	v_cmp_gt_u32_e64 s0, s14, v11
	v_dual_mov_b32 v23, 0 :: v_dual_mov_b32 v13, 0
	v_dual_mov_b32 v11, 0 :: v_dual_mov_b32 v14, 0
	;; [unrolled: 1-line block ×6, first 2 shown]
	s_mov_b32 s11, 0
	s_wait_xcnt 0x0
	s_and_saveexec_b32 s10, s0
	s_cbranch_execz .LBB2_30
; %bb.13:
	global_load_u8 v19, v[4:5], off offset:1792
	global_load_u8 v18, v[6:7], off offset:1792
	v_or_b32_e32 v11, 0x800, v0
	v_dual_mov_b32 v20, 0 :: v_dual_mov_b32 v21, 0
	v_dual_mov_b32 v23, 0 :: v_dual_mov_b32 v13, 0
	s_delay_alu instid0(VALU_DEP_3)
	v_cmp_gt_u32_e64 s0, s14, v11
	v_dual_mov_b32 v11, 0 :: v_dual_mov_b32 v14, 0
	v_dual_mov_b32 v12, 0 :: v_dual_mov_b32 v15, 0
	;; [unrolled: 1-line block ×5, first 2 shown]
	s_mov_b32 s13, 0
	s_wait_xcnt 0x0
	s_and_saveexec_b32 s11, s0
	s_cbranch_execz .LBB2_29
; %bb.14:
	global_load_u8 v21, v[4:5], off offset:2048
	global_load_u8 v20, v[6:7], off offset:2048
	v_or_b32_e32 v11, 0x900, v0
	v_dual_mov_b32 v23, 0 :: v_dual_mov_b32 v13, 0
	v_dual_mov_b32 v12, 0 :: v_dual_mov_b32 v15, 0
	s_delay_alu instid0(VALU_DEP_3)
	v_cmp_gt_u32_e64 s0, s14, v11
	v_dual_mov_b32 v11, 0 :: v_dual_mov_b32 v14, 0
	v_dual_mov_b32 v31, 0 :: v_dual_mov_b32 v32, 0
	;; [unrolled: 1-line block ×4, first 2 shown]
	s_mov_b32 s16, 0
	s_wait_xcnt 0x0
	s_and_saveexec_b32 s13, s0
	s_cbranch_execz .LBB2_28
; %bb.15:
	global_load_u8 v13, v[4:5], off offset:2304
	global_load_u8 v23, v[6:7], off offset:2304
	v_or_b32_e32 v11, 0xa00, v0
	v_dual_mov_b32 v12, 0 :: v_dual_mov_b32 v15, 0
	v_dual_mov_b32 v31, 0 :: v_dual_mov_b32 v32, 0
	s_delay_alu instid0(VALU_DEP_3)
	v_cmp_gt_u32_e64 s0, s14, v11
	v_dual_mov_b32 v11, 0 :: v_dual_mov_b32 v14, 0
	v_dual_mov_b32 v33, 0 :: v_dual_mov_b32 v36, 0
	;; [unrolled: 1-line block ×3, first 2 shown]
	s_mov_b32 s17, 0
	s_wait_xcnt 0x0
	s_and_saveexec_b32 s16, s0
	s_cbranch_execz .LBB2_27
; %bb.16:
	global_load_u8 v14, v[4:5], off offset:2560
	global_load_u8 v11, v[6:7], off offset:2560
	v_or_b32_e32 v12, 0xb00, v0
	v_dual_mov_b32 v31, 0 :: v_dual_mov_b32 v32, 0
	v_dual_mov_b32 v33, 0 :: v_dual_mov_b32 v36, 0
	s_delay_alu instid0(VALU_DEP_3)
	v_cmp_gt_u32_e64 s0, s14, v12
	v_dual_mov_b32 v12, 0 :: v_dual_mov_b32 v15, 0
	v_dual_mov_b32 v34, 0 :: v_dual_mov_b32 v35, 0
	s_mov_b32 s18, 0
	s_wait_xcnt 0x0
	s_and_saveexec_b32 s17, s0
	s_cbranch_execz .LBB2_26
; %bb.17:
	global_load_u8 v15, v[4:5], off offset:2816
	global_load_u8 v12, v[6:7], off offset:2816
	v_or_b32_e32 v31, 0xc00, v0
	v_dual_mov_b32 v33, 0 :: v_dual_mov_b32 v36, 0
	v_dual_mov_b32 v34, 0 :: v_dual_mov_b32 v35, 0
	s_delay_alu instid0(VALU_DEP_3)
	v_cmp_gt_u32_e64 s0, s14, v31
	v_dual_mov_b32 v31, 0 :: v_dual_mov_b32 v32, 0
	s_mov_b32 s19, 0
	s_wait_xcnt 0x0
	s_and_saveexec_b32 s18, s0
	s_cbranch_execz .LBB2_25
; %bb.18:
	global_load_u8 v32, v[4:5], off offset:3072
	global_load_u8 v31, v[6:7], off offset:3072
	v_or_b32_e32 v33, 0xd00, v0
	v_dual_mov_b32 v34, 0 :: v_dual_mov_b32 v35, 0
	s_mov_b32 s20, 0
	v_mov_b32_e32 v36, 0
	s_delay_alu instid0(VALU_DEP_3)
	v_cmp_gt_u32_e64 s0, s14, v33
	v_mov_b32_e32 v33, 0
	s_wait_xcnt 0x0
	s_and_saveexec_b32 s19, s0
	s_cbranch_execz .LBB2_24
; %bb.19:
	global_load_u8 v36, v[4:5], off offset:3328
	global_load_u8 v33, v[6:7], off offset:3328
	v_or_b32_e32 v34, 0xe00, v0
	s_mov_b32 s21, 0
	v_mov_b32_e32 v35, 0
	s_delay_alu instid0(VALU_DEP_2)
	v_cmp_gt_u32_e64 s0, s14, v34
	v_mov_b32_e32 v34, 0
	s_wait_xcnt 0x0
	s_and_saveexec_b32 s20, s0
	s_cbranch_execz .LBB2_23
; %bb.20:
	global_load_u8 v35, v[4:5], off offset:3584
	global_load_u8 v34, v[6:7], off offset:3584
	v_or_b32_e32 v37, 0xf00, v0
	s_mov_b32 s22, 0
	s_mov_b32 s21, exec_lo
	s_wait_xcnt 0x0
	s_delay_alu instid0(VALU_DEP_1)
	v_cmpx_gt_u32_e64 s14, v37
	s_cbranch_execz .LBB2_22
; %bb.21:
	global_load_u8 v37, v[4:5], off offset:3840
	global_load_u8 v38, v[6:7], off offset:3840
	s_wait_loadcnt 0x0
	v_cmp_ne_u16_e64 s0, v37, v38
	s_and_b32 s22, s0, exec_lo
.LBB2_22:
	s_wait_xcnt 0x0
	s_or_b32 exec_lo, exec_lo, s21
	s_delay_alu instid0(SALU_CYCLE_1)
	s_and_b32 s21, s22, exec_lo
.LBB2_23:
	s_or_b32 exec_lo, exec_lo, s20
	s_delay_alu instid0(SALU_CYCLE_1)
	s_and_b32 s20, s21, exec_lo
.LBB2_24:
	s_or_b32 exec_lo, exec_lo, s19
	s_delay_alu instid0(SALU_CYCLE_1)
	s_and_b32 s19, s20, exec_lo
.LBB2_25:
	s_or_b32 exec_lo, exec_lo, s18
	s_delay_alu instid0(SALU_CYCLE_1)
	s_and_b32 s18, s19, exec_lo
.LBB2_26:
	s_or_b32 exec_lo, exec_lo, s17
	s_delay_alu instid0(SALU_CYCLE_1)
	s_and_b32 s17, s18, exec_lo
.LBB2_27:
	s_or_b32 exec_lo, exec_lo, s16
	s_delay_alu instid0(SALU_CYCLE_1)
	s_and_b32 s16, s17, exec_lo
.LBB2_28:
	s_or_b32 exec_lo, exec_lo, s13
	s_delay_alu instid0(SALU_CYCLE_1)
	s_and_b32 s13, s16, exec_lo
.LBB2_29:
	s_or_b32 exec_lo, exec_lo, s11
	s_delay_alu instid0(SALU_CYCLE_1)
	s_and_b32 s11, s13, exec_lo
.LBB2_30:
	s_or_b32 exec_lo, exec_lo, s10
	s_delay_alu instid0(SALU_CYCLE_1)
	s_and_b32 s10, s11, exec_lo
.LBB2_31:
	s_or_b32 exec_lo, exec_lo, s7
	s_delay_alu instid0(SALU_CYCLE_1)
	s_and_b32 s7, s10, exec_lo
.LBB2_32:
	s_or_b32 exec_lo, exec_lo, s6
	s_delay_alu instid0(SALU_CYCLE_1)
	s_and_b32 s6, s7, exec_lo
.LBB2_33:
	s_or_b32 exec_lo, exec_lo, s5
	s_delay_alu instid0(SALU_CYCLE_1)
	s_and_b32 s5, s6, exec_lo
.LBB2_34:
	s_or_b32 exec_lo, exec_lo, s4
	s_wait_loadcnt 0x0
	v_dual_mov_b32 v4, v3 :: v_dual_mov_b32 v3, v2
	s_and_b32 s4, s5, exec_lo
.LBB2_35:
	s_or_b32 exec_lo, exec_lo, s3
	s_delay_alu instid0(SALU_CYCLE_1)
	s_and_b32 s3, s4, exec_lo
.LBB2_36:
	s_or_b32 exec_lo, exec_lo, s2
	s_delay_alu instid0(SALU_CYCLE_1)
	s_and_b32 s5, s3, exec_lo
.LBB2_37:
	s_or_b32 exec_lo, exec_lo, s1
	s_wait_loadcnt 0x0
	v_and_b32_e32 v2, 0xff, v28
	v_and_b32_e32 v5, 0xff, v26
	;; [unrolled: 1-line block ×4, first 2 shown]
	s_cmp_eq_u32 s15, 0
	v_and_b32_e32 v3, 0xff, v3
	v_cmp_ne_u16_e64 s0, v5, v2
	s_cselect_b32 s6, -1, 0
	v_cmp_ne_u16_e64 s1, v7, v6
	v_and_b32_e32 v2, 0xff, v17
	v_and_b32_e32 v6, 0xff, v16
	s_xor_b32 s0, s6, s0
	v_and_b32_e32 v16, 0xff, v25
	v_cndmask_b32_e64 v5, 0, 1, s0
	s_xor_b32 s0, s6, s1
	v_and_b32_e32 v17, 0xff, v27
	v_cndmask_b32_e64 v7, 0, 1, s0
	v_cmp_ne_u16_e64 s0, v6, v2
	v_cndmask_b32_e32 v2, 0, v5, vcc_lo
	v_and_b32_e32 v10, 0xff, v10
	v_cmp_ne_u16_e64 s1, v17, v16
	v_bitop3_b16 v5, v7, 0, 0xff00 bitop3:0xf8
	v_or_b32_e32 v7, 0x400, v0
	s_xor_b32 s0, s6, s0
	v_and_b32_e32 v4, 0xff, v4
	v_cndmask_b32_e64 v6, 0, 1, s0
	s_xor_b32 s0, s6, s1
	v_and_b32_e32 v5, 0xffff, v5
	v_cndmask_b32_e64 v16, 0, 1, s0
	v_cmp_gt_i32_e64 s0, s14, v7
	v_lshlrev_b16 v6, 8, v6
	v_cmp_gt_i32_e64 s1, s14, v1
	v_and_b32_e32 v17, 0xff, v33
	v_lshlrev_b16 v7, 8, v16
	v_cndmask_b32_e64 v5, 0, v5, s0
	v_cmp_ne_u16_e64 s0, v10, v3
	v_or_b32_e32 v3, 0x500, v0
	v_and_b32_e32 v10, 0xff, v22
	v_and_b32_e32 v16, 0xff, v24
	v_bitop3_b16 v7, v5, v7, 0xff bitop3:0xec
	s_xor_b32 s0, s6, s0
	v_and_b32_e32 v13, 0xff, v13
	v_and_b32_e32 v11, 0xff, v11
	;; [unrolled: 1-line block ×4, first 2 shown]
	v_or_b32_e32 v6, v2, v6
	s_delay_alu instid0(VALU_DEP_1) | instskip(NEXT) | instid1(VALU_DEP_1)
	v_and_b32_e32 v6, 0xffff, v6
	v_cndmask_b32_e64 v2, v2, v6, s1
	v_cmp_gt_i32_e64 s1, s14, v3
	v_and_b32_e32 v6, 0xff, v9
	s_delay_alu instid0(VALU_DEP_2)
	v_cndmask_b32_e64 v3, v5, v7, s1
	v_cmp_ne_u16_e64 s1, v16, v10
	v_cndmask_b32_e64 v5, 0, 1, s0
	v_or_b32_e32 v10, 0x200, v0
	v_and_b32_e32 v16, 0xff, v32
	v_lshrrev_b32_e32 v7, 16, v3
	s_xor_b32 s0, s6, s1
	v_lshl_or_b32 v5, v5, 16, v2
	v_cndmask_b32_e64 v9, 0, 1, s0
	v_cmp_ne_u16_e64 s0, v6, v4
	v_cmp_gt_i32_e64 s1, s14, v10
	v_and_b32_e32 v10, 0xff, v31
	s_delay_alu instid0(VALU_DEP_4)
	v_bitop3_b16 v4, v9, v7, 0xff00 bitop3:0xf8
	s_xor_b32 s0, s6, s0
	v_cndmask_b32_e64 v2, v2, v5, s1
	v_cndmask_b32_e64 v5, 0, 1, s0
	v_or_b32_e32 v7, 0x600, v0
	v_lshlrev_b32_e32 v4, 16, v4
	v_cmp_ne_u16_e64 s1, v16, v10
	v_and_b32_e32 v9, 0xff, v23
	v_lshlrev_b16 v5, 8, v5
	v_cmp_gt_i32_e64 s0, s14, v7
	v_and_or_b32 v4, 0xffff, v3, v4
	v_lshrrev_b32_e32 v6, 16, v2
	s_xor_b32 s1, s6, s1
	v_cmp_ne_u16_e64 s4, v13, v9
	v_or_b32_e32 v16, 0xd00, v0
	v_cndmask_b32_e64 v3, v3, v4, s0
	v_bitop3_b16 v5, v6, v5, 0xff bitop3:0xec
	v_and_b32_e32 v4, 0xff, v18
	v_and_b32_e32 v6, 0xff, v19
	;; [unrolled: 1-line block ×3, first 2 shown]
	v_or_b32_e32 v19, 0x800, v0
	v_or_b32_e32 v13, 0x900, v0
	v_dual_lshlrev_b32 v5, 16, v5 :: v_dual_lshrrev_b32 v7, 16, v3
	v_cmp_ne_u16_e64 s0, v6, v4
	v_and_b32_e32 v4, 0xff, v20
	v_and_b32_e32 v6, 0xff, v21
	v_cmp_ne_u16_e64 s3, v18, v17
	v_and_b32_e32 v17, 0xff, v34
	v_and_b32_e32 v18, 0xff, v35
	s_xor_b32 s0, s6, s0
	v_cmp_ne_u16_e64 s2, v6, v4
	v_or_b32_e32 v4, 0xc00, v0
	v_cndmask_b32_e64 v6, 0, 1, s1
	s_xor_b32 s1, s6, s3
	v_and_or_b32 v5, 0xffff, v2, v5
	v_cndmask_b32_e64 v9, 0, 1, s1
	s_xor_b32 s1, s6, s2
	v_cmp_gt_i32_e64 s2, s14, v16
	v_cndmask_b32_e64 v10, 0, 1, s1
	v_cmp_gt_i32_e64 s1, s14, v4
	v_cndmask_b32_e64 v16, 0, 1, s0
	v_cmp_gt_i32_e64 s0, s14, v13
	s_delay_alu instid0(VALU_DEP_3)
	v_cndmask_b32_e64 v4, 0, v6, s1
	s_xor_b32 s1, s6, s4
	v_lshlrev_b16 v6, 8, v9
	v_cndmask_b32_e64 v9, 0, 1, s1
	v_cmp_gt_i32_e64 s1, s14, v19
	v_lshlrev_b16 v13, 8, v16
	s_delay_alu instid0(VALU_DEP_3) | instskip(NEXT) | instid1(VALU_DEP_3)
	v_lshlrev_b16 v9, 8, v9
	v_cndmask_b32_e64 v10, 0, v10, s1
	v_cmp_ne_u16_e64 s1, v14, v11
	s_delay_alu instid0(VALU_DEP_4) | instskip(SKIP_1) | instid1(VALU_DEP_4)
	v_bitop3_b16 v7, v7, v13, 0xff bitop3:0xec
	v_or_b32_e32 v13, 0x300, v0
	v_or_b32_e32 v9, v10, v9
	v_bitop3_b16 v6, v4, v6, 0xff bitop3:0xec
	s_xor_b32 s1, s6, s1
	v_lshlrev_b32_e32 v7, 16, v7
	s_delay_alu instid0(VALU_DEP_2) | instskip(NEXT) | instid1(VALU_DEP_2)
	v_and_b32_e32 v6, 0xffff, v6
	v_and_or_b32 v7, 0xffff, v3, v7
	s_delay_alu instid0(VALU_DEP_2) | instskip(SKIP_3) | instid1(VALU_DEP_4)
	v_cndmask_b32_e64 v4, v4, v6, s2
	v_cmp_ne_u16_e64 s2, v18, v17
	v_and_b32_e32 v6, 0xffff, v9
	v_cndmask_b32_e64 v9, 0, 1, s1
	v_lshrrev_b32_e32 v11, 16, v4
	s_xor_b32 s1, s6, s2
	s_delay_alu instid0(VALU_DEP_3) | instskip(SKIP_1) | instid1(VALU_DEP_1)
	v_cndmask_b32_e64 v6, v10, v6, s0
	v_cndmask_b32_e64 v14, 0, 1, s1
	v_bitop3_b16 v10, v14, v11, 0xff00 bitop3:0xf8
	v_and_b32_e32 v11, 0xff, v12
	v_and_b32_e32 v12, 0xff, v15
	v_lshlrev_b32_e32 v9, 16, v9
	v_or_b32_e32 v14, 0xa00, v0
	v_lshlrev_b32_e32 v10, 16, v10
	s_delay_alu instid0(VALU_DEP_4) | instskip(NEXT) | instid1(VALU_DEP_4)
	v_cmp_ne_u16_e64 s0, v12, v11
	v_and_or_b32 v9, 0x1ff, v6, v9
	v_or_b32_e32 v11, 0xe00, v0
	v_cmp_gt_i32_e64 s1, s14, v14
	v_and_or_b32 v10, 0xffff, v4, v10
	s_xor_b32 s0, s6, s0
	v_cndmask_b32_e64 v6, v6, v9, s1
	v_cndmask_b32_e64 v9, 0, 1, s0
	v_cmp_gt_i32_e64 s0, s14, v11
	s_delay_alu instid0(VALU_DEP_2) | instskip(NEXT) | instid1(VALU_DEP_2)
	v_lshlrev_b16 v9, 8, v9
	v_cndmask_b32_e64 v10, v4, v10, s0
	s_xor_b32 s0, s6, s5
	v_lshrrev_b32_e32 v11, 16, v6
	v_cndmask_b32_e64 v4, 0, 1, s0
	v_cmp_gt_i32_e64 s0, s14, v13
	v_lshrrev_b32_e32 v12, 16, v10
	s_delay_alu instid0(VALU_DEP_4) | instskip(NEXT) | instid1(VALU_DEP_4)
	v_bitop3_b16 v9, v11, v9, 0xff bitop3:0xec
	v_lshlrev_b16 v4, 8, v4
	s_delay_alu instid0(VALU_DEP_4) | instskip(SKIP_1) | instid1(VALU_DEP_3)
	v_cndmask_b32_e64 v5, v2, v5, s0
	v_or_b32_e32 v11, 0xb00, v0
	v_bitop3_b16 v4, v12, v4, 0xff bitop3:0xec
	v_lshlrev_b32_e32 v2, 16, v9
	v_or_b32_e32 v9, 0x700, v0
	v_or_b32_e32 v12, 0xf00, v0
	s_delay_alu instid0(VALU_DEP_4) | instskip(NEXT) | instid1(VALU_DEP_4)
	v_lshlrev_b32_e32 v4, 16, v4
	v_and_or_b32 v2, 0xffff, v6, v2
	s_delay_alu instid0(VALU_DEP_4) | instskip(NEXT) | instid1(VALU_DEP_3)
	v_cmp_gt_i32_e64 s0, s14, v9
	v_and_or_b32 v13, 0xffff, v10, v4
	s_delay_alu instid0(VALU_DEP_2) | instskip(SKIP_1) | instid1(VALU_DEP_1)
	v_cndmask_b32_e64 v4, v3, v7, s0
	v_cmp_gt_i32_e64 s0, s14, v11
	v_cndmask_b32_e64 v3, v6, v2, s0
	v_cmp_gt_i32_e64 s0, s14, v12
	s_delay_alu instid0(VALU_DEP_1)
	v_cndmask_b32_e64 v2, v10, v13, s0
	s_and_saveexec_b32 s0, vcc_lo
	s_cbranch_execnz .LBB2_55
; %bb.38:
	s_or_b32 exec_lo, exec_lo, s0
	s_delay_alu instid0(SALU_CYCLE_1)
	s_mov_b32 s0, exec_lo
	v_cmpx_gt_i32_e64 s14, v0
	s_cbranch_execnz .LBB2_56
.LBB2_39:
	s_or_b32 exec_lo, exec_lo, s0
	s_delay_alu instid0(SALU_CYCLE_1)
	s_mov_b32 s0, exec_lo
	v_cmpx_gt_i32_e64 s14, v0
	s_cbranch_execnz .LBB2_57
.LBB2_40:
	s_or_b32 exec_lo, exec_lo, s0
	s_delay_alu instid0(SALU_CYCLE_1)
	s_mov_b32 s0, exec_lo
	v_cmpx_gt_i32_e64 s14, v0
	s_cbranch_execnz .LBB2_58
.LBB2_41:
	s_or_b32 exec_lo, exec_lo, s0
	s_delay_alu instid0(SALU_CYCLE_1)
	s_mov_b32 s0, exec_lo
	v_cmpx_gt_i32_e64 s14, v0
	s_cbranch_execnz .LBB2_59
.LBB2_42:
	s_or_b32 exec_lo, exec_lo, s0
	s_delay_alu instid0(SALU_CYCLE_1)
	s_mov_b32 s0, exec_lo
	v_cmpx_gt_i32_e64 s14, v0
	s_cbranch_execnz .LBB2_60
.LBB2_43:
	s_or_b32 exec_lo, exec_lo, s0
	s_delay_alu instid0(SALU_CYCLE_1)
	s_mov_b32 s0, exec_lo
	v_cmpx_gt_i32_e64 s14, v0
	s_cbranch_execnz .LBB2_61
.LBB2_44:
	s_or_b32 exec_lo, exec_lo, s0
	s_delay_alu instid0(SALU_CYCLE_1)
	s_mov_b32 s0, exec_lo
	v_cmpx_gt_i32_e64 s14, v0
	s_cbranch_execnz .LBB2_62
.LBB2_45:
	s_or_b32 exec_lo, exec_lo, s0
	s_delay_alu instid0(SALU_CYCLE_1)
	s_mov_b32 s0, exec_lo
	v_cmpx_gt_i32_e64 s14, v0
	s_cbranch_execnz .LBB2_63
.LBB2_46:
	s_or_b32 exec_lo, exec_lo, s0
	s_delay_alu instid0(SALU_CYCLE_1)
	s_mov_b32 s0, exec_lo
	v_cmpx_gt_i32_e64 s14, v0
	s_cbranch_execnz .LBB2_64
.LBB2_47:
	s_or_b32 exec_lo, exec_lo, s0
	s_delay_alu instid0(SALU_CYCLE_1)
	s_mov_b32 s0, exec_lo
	v_cmpx_gt_i32_e64 s14, v0
	s_cbranch_execnz .LBB2_65
.LBB2_48:
	s_or_b32 exec_lo, exec_lo, s0
	s_delay_alu instid0(SALU_CYCLE_1)
	s_mov_b32 s0, exec_lo
	v_cmpx_gt_i32_e64 s14, v0
	s_cbranch_execnz .LBB2_66
.LBB2_49:
	s_or_b32 exec_lo, exec_lo, s0
	s_delay_alu instid0(SALU_CYCLE_1)
	s_mov_b32 s0, exec_lo
	v_cmpx_gt_i32_e64 s14, v0
	s_cbranch_execnz .LBB2_67
.LBB2_50:
	s_or_b32 exec_lo, exec_lo, s0
	s_delay_alu instid0(SALU_CYCLE_1)
	s_mov_b32 s0, exec_lo
	v_cmpx_gt_i32_e64 s14, v0
	s_cbranch_execnz .LBB2_68
.LBB2_51:
	s_or_b32 exec_lo, exec_lo, s0
	s_delay_alu instid0(SALU_CYCLE_1)
	s_mov_b32 s0, exec_lo
	v_cmpx_gt_i32_e64 s14, v0
	s_cbranch_execnz .LBB2_69
.LBB2_52:
	s_or_b32 exec_lo, exec_lo, s0
	s_delay_alu instid0(SALU_CYCLE_1)
	s_mov_b32 s0, exec_lo
	v_cmpx_gt_i32_e64 s14, v0
	s_cbranch_execz .LBB2_54
.LBB2_53:
	v_dual_lshrrev_b32 v1, 24, v2 :: v_dual_add_nc_u32 v0, s12, v0
	global_store_b8 v0, v1, s[8:9]
.LBB2_54:
	s_endpgm
.LBB2_55:
	v_mov_b32_e32 v0, v1
	global_store_b8 v8, v5, s[8:9]
	s_wait_xcnt 0x0
	s_or_b32 exec_lo, exec_lo, s0
	s_delay_alu instid0(SALU_CYCLE_1)
	s_mov_b32 s0, exec_lo
	v_cmpx_gt_i32_e64 s14, v0
	s_cbranch_execz .LBB2_39
.LBB2_56:
	v_dual_lshrrev_b32 v1, 8, v5 :: v_dual_add_nc_u32 v6, s12, v0
	v_add_nc_u32_e32 v0, 0x100, v0
	global_store_b8 v6, v1, s[8:9]
	s_wait_xcnt 0x0
	s_or_b32 exec_lo, exec_lo, s0
	s_delay_alu instid0(SALU_CYCLE_1)
	s_mov_b32 s0, exec_lo
	v_cmpx_gt_i32_e64 s14, v0
	s_cbranch_execz .LBB2_40
.LBB2_57:
	v_add_nc_u32_e32 v1, s12, v0
	v_add_nc_u32_e32 v0, 0x100, v0
	global_store_d16_hi_b8 v1, v5, s[8:9]
	s_wait_xcnt 0x0
	s_or_b32 exec_lo, exec_lo, s0
	s_delay_alu instid0(SALU_CYCLE_1)
	s_mov_b32 s0, exec_lo
	v_cmpx_gt_i32_e64 s14, v0
	s_cbranch_execz .LBB2_41
.LBB2_58:
	v_dual_lshrrev_b32 v1, 24, v5 :: v_dual_add_nc_u32 v5, s12, v0
	v_add_nc_u32_e32 v0, 0x100, v0
	global_store_b8 v5, v1, s[8:9]
	s_wait_xcnt 0x0
	s_or_b32 exec_lo, exec_lo, s0
	s_delay_alu instid0(SALU_CYCLE_1)
	s_mov_b32 s0, exec_lo
	v_cmpx_gt_i32_e64 s14, v0
	s_cbranch_execz .LBB2_42
.LBB2_59:
	v_add_nc_u32_e32 v1, s12, v0
	v_add_nc_u32_e32 v0, 0x100, v0
	global_store_b8 v1, v4, s[8:9]
	s_wait_xcnt 0x0
	s_or_b32 exec_lo, exec_lo, s0
	s_delay_alu instid0(SALU_CYCLE_1)
	s_mov_b32 s0, exec_lo
	v_cmpx_gt_i32_e64 s14, v0
	s_cbranch_execz .LBB2_43
.LBB2_60:
	v_lshrrev_b32_e32 v1, 8, v4
	v_add_nc_u32_e32 v5, s12, v0
	v_add_nc_u32_e32 v0, 0x100, v0
	global_store_b8 v5, v1, s[8:9]
	s_wait_xcnt 0x0
	s_or_b32 exec_lo, exec_lo, s0
	s_delay_alu instid0(SALU_CYCLE_1)
	s_mov_b32 s0, exec_lo
	v_cmpx_gt_i32_e64 s14, v0
	s_cbranch_execz .LBB2_44
.LBB2_61:
	v_add_nc_u32_e32 v1, s12, v0
	v_add_nc_u32_e32 v0, 0x100, v0
	global_store_d16_hi_b8 v1, v4, s[8:9]
	s_wait_xcnt 0x0
	s_or_b32 exec_lo, exec_lo, s0
	s_delay_alu instid0(SALU_CYCLE_1)
	s_mov_b32 s0, exec_lo
	v_cmpx_gt_i32_e64 s14, v0
	s_cbranch_execz .LBB2_45
.LBB2_62:
	v_lshrrev_b32_e32 v1, 24, v4
	v_add_nc_u32_e32 v4, s12, v0
	v_add_nc_u32_e32 v0, 0x100, v0
	global_store_b8 v4, v1, s[8:9]
	s_wait_xcnt 0x0
	s_or_b32 exec_lo, exec_lo, s0
	s_delay_alu instid0(SALU_CYCLE_1)
	s_mov_b32 s0, exec_lo
	v_cmpx_gt_i32_e64 s14, v0
	s_cbranch_execz .LBB2_46
.LBB2_63:
	v_add_nc_u32_e32 v1, s12, v0
	v_add_nc_u32_e32 v0, 0x100, v0
	global_store_b8 v1, v3, s[8:9]
	s_wait_xcnt 0x0
	s_or_b32 exec_lo, exec_lo, s0
	s_delay_alu instid0(SALU_CYCLE_1)
	s_mov_b32 s0, exec_lo
	v_cmpx_gt_i32_e64 s14, v0
	s_cbranch_execz .LBB2_47
.LBB2_64:
	v_dual_lshrrev_b32 v1, 8, v3 :: v_dual_add_nc_u32 v4, s12, v0
	v_add_nc_u32_e32 v0, 0x100, v0
	global_store_b8 v4, v1, s[8:9]
	s_wait_xcnt 0x0
	s_or_b32 exec_lo, exec_lo, s0
	s_delay_alu instid0(SALU_CYCLE_1)
	s_mov_b32 s0, exec_lo
	v_cmpx_gt_i32_e64 s14, v0
	s_cbranch_execz .LBB2_48
.LBB2_65:
	v_add_nc_u32_e32 v1, s12, v0
	v_add_nc_u32_e32 v0, 0x100, v0
	global_store_d16_hi_b8 v1, v3, s[8:9]
	s_wait_xcnt 0x0
	s_or_b32 exec_lo, exec_lo, s0
	s_delay_alu instid0(SALU_CYCLE_1)
	s_mov_b32 s0, exec_lo
	v_cmpx_gt_i32_e64 s14, v0
	s_cbranch_execz .LBB2_49
.LBB2_66:
	v_dual_lshrrev_b32 v1, 24, v3 :: v_dual_add_nc_u32 v3, s12, v0
	v_add_nc_u32_e32 v0, 0x100, v0
	global_store_b8 v3, v1, s[8:9]
	s_wait_xcnt 0x0
	s_or_b32 exec_lo, exec_lo, s0
	s_delay_alu instid0(SALU_CYCLE_1)
	s_mov_b32 s0, exec_lo
	v_cmpx_gt_i32_e64 s14, v0
	s_cbranch_execz .LBB2_50
.LBB2_67:
	v_add_nc_u32_e32 v1, s12, v0
	v_add_nc_u32_e32 v0, 0x100, v0
	global_store_b8 v1, v2, s[8:9]
	s_wait_xcnt 0x0
	s_or_b32 exec_lo, exec_lo, s0
	s_delay_alu instid0(SALU_CYCLE_1)
	s_mov_b32 s0, exec_lo
	v_cmpx_gt_i32_e64 s14, v0
	s_cbranch_execz .LBB2_51
.LBB2_68:
	v_dual_lshrrev_b32 v1, 8, v2 :: v_dual_add_nc_u32 v3, s12, v0
	v_add_nc_u32_e32 v0, 0x100, v0
	global_store_b8 v3, v1, s[8:9]
	s_wait_xcnt 0x0
	s_or_b32 exec_lo, exec_lo, s0
	s_delay_alu instid0(SALU_CYCLE_1)
	s_mov_b32 s0, exec_lo
	v_cmpx_gt_i32_e64 s14, v0
	s_cbranch_execz .LBB2_52
.LBB2_69:
	v_add_nc_u32_e32 v1, s12, v0
	v_add_nc_u32_e32 v0, 0x100, v0
	global_store_d16_hi_b8 v1, v2, s[8:9]
	s_wait_xcnt 0x0
	s_or_b32 exec_lo, exec_lo, s0
	s_delay_alu instid0(SALU_CYCLE_1)
	s_mov_b32 s0, exec_lo
	v_cmpx_gt_i32_e64 s14, v0
	s_cbranch_execnz .LBB2_53
	s_branch .LBB2_54
	.section	.rodata,"a",@progbits
	.p2align	6, 0x0
	.amdhsa_kernel _ZN2at6native29vectorized_elementwise_kernelILi4ENS0_13BinaryFunctorIhhbNS0_12_GLOBAL__N_116CompareEqFunctorIhEEEESt5arrayIPcLm3EEEEviT0_T1_
		.amdhsa_group_segment_fixed_size 0
		.amdhsa_private_segment_fixed_size 0
		.amdhsa_kernarg_size 32
		.amdhsa_user_sgpr_count 2
		.amdhsa_user_sgpr_dispatch_ptr 0
		.amdhsa_user_sgpr_queue_ptr 0
		.amdhsa_user_sgpr_kernarg_segment_ptr 1
		.amdhsa_user_sgpr_dispatch_id 0
		.amdhsa_user_sgpr_kernarg_preload_length 0
		.amdhsa_user_sgpr_kernarg_preload_offset 0
		.amdhsa_user_sgpr_private_segment_size 0
		.amdhsa_wavefront_size32 1
		.amdhsa_uses_dynamic_stack 0
		.amdhsa_enable_private_segment 0
		.amdhsa_system_sgpr_workgroup_id_x 1
		.amdhsa_system_sgpr_workgroup_id_y 0
		.amdhsa_system_sgpr_workgroup_id_z 0
		.amdhsa_system_sgpr_workgroup_info 0
		.amdhsa_system_vgpr_workitem_id 0
		.amdhsa_next_free_vgpr 39
		.amdhsa_next_free_sgpr 23
		.amdhsa_named_barrier_count 0
		.amdhsa_reserve_vcc 1
		.amdhsa_float_round_mode_32 0
		.amdhsa_float_round_mode_16_64 0
		.amdhsa_float_denorm_mode_32 3
		.amdhsa_float_denorm_mode_16_64 3
		.amdhsa_fp16_overflow 0
		.amdhsa_memory_ordered 1
		.amdhsa_forward_progress 1
		.amdhsa_inst_pref_size 47
		.amdhsa_round_robin_scheduling 0
		.amdhsa_exception_fp_ieee_invalid_op 0
		.amdhsa_exception_fp_denorm_src 0
		.amdhsa_exception_fp_ieee_div_zero 0
		.amdhsa_exception_fp_ieee_overflow 0
		.amdhsa_exception_fp_ieee_underflow 0
		.amdhsa_exception_fp_ieee_inexact 0
		.amdhsa_exception_int_div_zero 0
	.end_amdhsa_kernel
	.section	.text._ZN2at6native29vectorized_elementwise_kernelILi4ENS0_13BinaryFunctorIhhbNS0_12_GLOBAL__N_116CompareEqFunctorIhEEEESt5arrayIPcLm3EEEEviT0_T1_,"axG",@progbits,_ZN2at6native29vectorized_elementwise_kernelILi4ENS0_13BinaryFunctorIhhbNS0_12_GLOBAL__N_116CompareEqFunctorIhEEEESt5arrayIPcLm3EEEEviT0_T1_,comdat
.Lfunc_end2:
	.size	_ZN2at6native29vectorized_elementwise_kernelILi4ENS0_13BinaryFunctorIhhbNS0_12_GLOBAL__N_116CompareEqFunctorIhEEEESt5arrayIPcLm3EEEEviT0_T1_, .Lfunc_end2-_ZN2at6native29vectorized_elementwise_kernelILi4ENS0_13BinaryFunctorIhhbNS0_12_GLOBAL__N_116CompareEqFunctorIhEEEESt5arrayIPcLm3EEEEviT0_T1_
                                        ; -- End function
	.set _ZN2at6native29vectorized_elementwise_kernelILi4ENS0_13BinaryFunctorIhhbNS0_12_GLOBAL__N_116CompareEqFunctorIhEEEESt5arrayIPcLm3EEEEviT0_T1_.num_vgpr, 39
	.set _ZN2at6native29vectorized_elementwise_kernelILi4ENS0_13BinaryFunctorIhhbNS0_12_GLOBAL__N_116CompareEqFunctorIhEEEESt5arrayIPcLm3EEEEviT0_T1_.num_agpr, 0
	.set _ZN2at6native29vectorized_elementwise_kernelILi4ENS0_13BinaryFunctorIhhbNS0_12_GLOBAL__N_116CompareEqFunctorIhEEEESt5arrayIPcLm3EEEEviT0_T1_.numbered_sgpr, 23
	.set _ZN2at6native29vectorized_elementwise_kernelILi4ENS0_13BinaryFunctorIhhbNS0_12_GLOBAL__N_116CompareEqFunctorIhEEEESt5arrayIPcLm3EEEEviT0_T1_.num_named_barrier, 0
	.set _ZN2at6native29vectorized_elementwise_kernelILi4ENS0_13BinaryFunctorIhhbNS0_12_GLOBAL__N_116CompareEqFunctorIhEEEESt5arrayIPcLm3EEEEviT0_T1_.private_seg_size, 0
	.set _ZN2at6native29vectorized_elementwise_kernelILi4ENS0_13BinaryFunctorIhhbNS0_12_GLOBAL__N_116CompareEqFunctorIhEEEESt5arrayIPcLm3EEEEviT0_T1_.uses_vcc, 1
	.set _ZN2at6native29vectorized_elementwise_kernelILi4ENS0_13BinaryFunctorIhhbNS0_12_GLOBAL__N_116CompareEqFunctorIhEEEESt5arrayIPcLm3EEEEviT0_T1_.uses_flat_scratch, 0
	.set _ZN2at6native29vectorized_elementwise_kernelILi4ENS0_13BinaryFunctorIhhbNS0_12_GLOBAL__N_116CompareEqFunctorIhEEEESt5arrayIPcLm3EEEEviT0_T1_.has_dyn_sized_stack, 0
	.set _ZN2at6native29vectorized_elementwise_kernelILi4ENS0_13BinaryFunctorIhhbNS0_12_GLOBAL__N_116CompareEqFunctorIhEEEESt5arrayIPcLm3EEEEviT0_T1_.has_recursion, 0
	.set _ZN2at6native29vectorized_elementwise_kernelILi4ENS0_13BinaryFunctorIhhbNS0_12_GLOBAL__N_116CompareEqFunctorIhEEEESt5arrayIPcLm3EEEEviT0_T1_.has_indirect_call, 0
	.section	.AMDGPU.csdata,"",@progbits
; Kernel info:
; codeLenInByte = 5968
; TotalNumSgprs: 25
; NumVgprs: 39
; ScratchSize: 0
; MemoryBound: 0
; FloatMode: 240
; IeeeMode: 1
; LDSByteSize: 0 bytes/workgroup (compile time only)
; SGPRBlocks: 0
; VGPRBlocks: 2
; NumSGPRsForWavesPerEU: 25
; NumVGPRsForWavesPerEU: 39
; NamedBarCnt: 0
; Occupancy: 16
; WaveLimiterHint : 1
; COMPUTE_PGM_RSRC2:SCRATCH_EN: 0
; COMPUTE_PGM_RSRC2:USER_SGPR: 2
; COMPUTE_PGM_RSRC2:TRAP_HANDLER: 0
; COMPUTE_PGM_RSRC2:TGID_X_EN: 1
; COMPUTE_PGM_RSRC2:TGID_Y_EN: 0
; COMPUTE_PGM_RSRC2:TGID_Z_EN: 0
; COMPUTE_PGM_RSRC2:TIDIG_COMP_CNT: 0
	.section	.text._ZN2at6native29vectorized_elementwise_kernelILi2ENS0_13BinaryFunctorIhhbNS0_12_GLOBAL__N_116CompareEqFunctorIhEEEESt5arrayIPcLm3EEEEviT0_T1_,"axG",@progbits,_ZN2at6native29vectorized_elementwise_kernelILi2ENS0_13BinaryFunctorIhhbNS0_12_GLOBAL__N_116CompareEqFunctorIhEEEESt5arrayIPcLm3EEEEviT0_T1_,comdat
	.globl	_ZN2at6native29vectorized_elementwise_kernelILi2ENS0_13BinaryFunctorIhhbNS0_12_GLOBAL__N_116CompareEqFunctorIhEEEESt5arrayIPcLm3EEEEviT0_T1_ ; -- Begin function _ZN2at6native29vectorized_elementwise_kernelILi2ENS0_13BinaryFunctorIhhbNS0_12_GLOBAL__N_116CompareEqFunctorIhEEEESt5arrayIPcLm3EEEEviT0_T1_
	.p2align	8
	.type	_ZN2at6native29vectorized_elementwise_kernelILi2ENS0_13BinaryFunctorIhhbNS0_12_GLOBAL__N_116CompareEqFunctorIhEEEESt5arrayIPcLm3EEEEviT0_T1_,@function
_ZN2at6native29vectorized_elementwise_kernelILi2ENS0_13BinaryFunctorIhhbNS0_12_GLOBAL__N_116CompareEqFunctorIhEEEESt5arrayIPcLm3EEEEviT0_T1_: ; @_ZN2at6native29vectorized_elementwise_kernelILi2ENS0_13BinaryFunctorIhhbNS0_12_GLOBAL__N_116CompareEqFunctorIhEEEESt5arrayIPcLm3EEEEviT0_T1_
; %bb.0:
	s_clause 0x2
	s_load_b64 s[14:15], s[0:1], 0x0
	s_load_b128 s[16:19], s[0:1], 0x8
	s_load_b64 s[22:23], s[0:1], 0x18
	s_wait_xcnt 0x0
	s_bfe_u32 s0, ttmp6, 0x4000c
	s_and_b32 s1, ttmp6, 15
	s_add_co_i32 s0, s0, 1
	s_getreg_b32 s2, hwreg(HW_REG_IB_STS2, 6, 4)
	s_mul_i32 s0, ttmp9, s0
	s_mov_b32 s25, -1
	s_add_co_i32 s1, s1, s0
	s_cmp_eq_u32 s2, 0
	s_cselect_b32 s0, ttmp9, s1
	s_delay_alu instid0(SALU_CYCLE_1) | instskip(SKIP_2) | instid1(SALU_CYCLE_1)
	s_lshl_b32 s20, s0, 12
	s_wait_kmcnt 0x0
	s_sub_co_i32 s24, s14, s20
	s_cmp_gt_i32 s24, 0xfff
	s_cbranch_scc0 .LBB3_2
; %bb.1:
	s_ashr_i32 s21, s20, 31
	s_cmp_eq_u32 s15, 0
	s_add_nc_u64 s[0:1], s[18:19], s[20:21]
	s_add_nc_u64 s[2:3], s[22:23], s[20:21]
	s_clause 0xf
	global_load_u16 v1, v0, s[0:1] scale_offset
	global_load_u16 v2, v0, s[0:1] offset:512 scale_offset
	global_load_u16 v3, v0, s[0:1] offset:1024 scale_offset
	;; [unrolled: 1-line block ×7, first 2 shown]
	global_load_u16 v9, v0, s[2:3] scale_offset
	global_load_u16 v10, v0, s[2:3] offset:512 scale_offset
	global_load_u16 v11, v0, s[2:3] offset:1024 scale_offset
	;; [unrolled: 1-line block ×6, first 2 shown]
	; meta instruction
	global_load_u16 v16, v0, s[2:3] offset:3584 scale_offset
	s_add_nc_u64 s[26:27], s[16:17], s[20:21]
	s_cselect_b32 s21, -1, 0
	s_mov_b32 s25, 0
	s_wait_loadcnt 0xf
	v_and_b32_e32 v17, 0xff, v1
	s_wait_loadcnt 0xe
	v_and_b32_e32 v18, 0xff, v2
	;; [unrolled: 2-line block ×8, first 2 shown]
	s_wait_loadcnt 0x7
	v_xor_b32_e32 v1, v9, v1
	s_wait_loadcnt 0x6
	v_and_b32_e32 v26, 0xff, v10
	v_xor_b32_e32 v2, v10, v2
	s_wait_loadcnt 0x5
	v_and_b32_e32 v27, 0xff, v11
	v_xor_b32_e32 v3, v11, v3
	v_cmp_lt_u16_e64 s0, 0xff, v1
	v_cmp_ne_u16_e64 s1, v18, v26
	s_wait_xcnt 0x0
	v_cmp_lt_u16_e64 s2, 0xff, v2
	s_wait_loadcnt 0x4
	v_and_b32_e32 v28, 0xff, v12
	v_xor_b32_e32 v4, v12, v4
	s_xor_b32 s0, s21, s0
	v_cmp_ne_u16_e64 s3, v19, v27
	v_cndmask_b32_e64 v2, 0, 1, s0
	s_xor_b32 s0, s21, s1
	s_wait_loadcnt 0x3
	v_xor_b32_e32 v5, v13, v5
	v_cmp_lt_u16_e64 s4, 0xff, v3
	v_and_b32_e32 v29, 0xff, v13
	v_cndmask_b32_e64 v3, 0, 1, s0
	s_xor_b32 s0, s21, s2
	s_wait_loadcnt 0x2
	v_xor_b32_e32 v6, v14, v6
	v_cmp_ne_u16_e64 s5, v20, v28
	v_cmp_lt_u16_e64 s6, 0xff, v4
	v_cndmask_b32_e64 v4, 0, 1, s0
	s_xor_b32 s0, s21, s3
	s_wait_loadcnt 0x1
	v_xor_b32_e32 v7, v15, v7
	v_and_b32_e32 v30, 0xff, v14
	v_cmp_lt_u16_e64 s8, 0xff, v5
	v_cndmask_b32_e64 v5, 0, 1, s0
	s_xor_b32 s0, s21, s4
	s_wait_loadcnt 0x0
	v_xor_b32_e32 v8, v16, v8
	v_cmp_ne_u16_e64 s7, v21, v29
	v_cmp_lt_u16_e64 s10, 0xff, v6
	v_cndmask_b32_e64 v6, 0, 1, s0
	s_xor_b32 s0, s21, s5
	v_cmp_lt_u16_e64 s12, 0xff, v7
	v_cndmask_b32_e64 v7, 0, 1, s0
	s_xor_b32 s0, s21, s6
	v_cmp_ne_u16_e64 s9, v22, v30
	v_and_b32_e32 v25, 0xff, v9
	v_cmp_lt_u16_e64 s14, 0xff, v8
	v_cndmask_b32_e64 v8, 0, 1, s0
	s_xor_b32 s0, s21, s7
	v_and_b32_e32 v31, 0xff, v15
	v_cndmask_b32_e64 v9, 0, 1, s0
	s_xor_b32 s0, s21, s8
	v_and_b32_e32 v32, 0xff, v16
	v_cndmask_b32_e64 v10, 0, 1, s0
	s_xor_b32 s0, s21, s9
	v_cmp_ne_u16_e32 vcc_lo, v17, v25
	v_cndmask_b32_e64 v11, 0, 1, s0
	s_xor_b32 s0, s21, s10
	v_cmp_ne_u16_e64 s11, v23, v31
	v_cndmask_b32_e64 v12, 0, 1, s0
	s_xor_b32 s0, s21, s12
	v_cmp_ne_u16_e64 s13, v24, v32
	s_xor_b32 s28, s21, vcc_lo
	v_cndmask_b32_e64 v13, 0, 1, s0
	s_xor_b32 s0, s21, s14
	v_cndmask_b32_e64 v1, 0, 1, s28
	v_cndmask_b32_e64 v14, 0, 1, s0
	v_lshlrev_b16 v2, 8, v2
	s_xor_b32 s0, s21, s11
	v_lshlrev_b16 v4, 8, v4
	v_lshlrev_b16 v6, 8, v6
	v_cndmask_b32_e64 v15, 0, 1, s0
	s_xor_b32 s0, s21, s13
	v_lshlrev_b16 v8, 8, v8
	v_lshlrev_b16 v10, 8, v10
	v_cndmask_b32_e64 v16, 0, 1, s0
	v_lshlrev_b16 v14, 8, v14
	v_lshlrev_b16 v13, 8, v13
	;; [unrolled: 1-line block ×3, first 2 shown]
	v_or_b32_e32 v1, v1, v2
	v_or_b32_e32 v2, v3, v4
	;; [unrolled: 1-line block ×8, first 2 shown]
	s_clause 0x7
	global_store_b16 v0, v1, s[26:27] scale_offset
	global_store_b16 v0, v2, s[26:27] offset:512 scale_offset
	global_store_b16 v0, v3, s[26:27] offset:1024 scale_offset
	;; [unrolled: 1-line block ×7, first 2 shown]
.LBB3_2:
	s_and_not1_b32 vcc_lo, exec_lo, s25
	s_cbranch_vccnz .LBB3_54
; %bb.3:
	v_cmp_le_i32_e64 s0, s24, v0
	s_wait_xcnt 0x7
	v_or_b32_e32 v1, 0x100, v0
	v_cmp_gt_i32_e32 vcc_lo, s24, v0
	s_wait_xcnt 0x0
	s_and_saveexec_b32 s1, s0
	s_delay_alu instid0(SALU_CYCLE_1)
	s_xor_b32 s0, exec_lo, s1
; %bb.4:
	v_or_b32_e32 v1, 0x100, v0
; %bb.5:
	s_or_saveexec_b32 s1, s0
	v_dual_mov_b32 v35, 0 :: v_dual_bitop2_b32 v8, s20, v0 bitop3:0x54
	v_dual_mov_b32 v34, 0 :: v_dual_mov_b32 v36, 0
	v_dual_mov_b32 v33, 0 :: v_dual_mov_b32 v32, 0
	;; [unrolled: 1-line block ×14, first 2 shown]
	v_mov_b32_e32 v28, 0
	s_mov_b32 s5, 0
	s_xor_b32 exec_lo, exec_lo, s1
	s_cbranch_execz .LBB3_37
; %bb.6:
	s_clause 0x1
	global_load_u8 v26, v8, s[18:19]
	global_load_u8 v28, v8, s[22:23]
	v_cmp_gt_u32_e64 s0, s24, v1
	v_dual_mov_b32 v17, 0 :: v_dual_mov_b32 v16, 0
	v_dual_mov_b32 v3, 0 :: v_dual_mov_b32 v10, 0
	;; [unrolled: 1-line block ×14, first 2 shown]
	s_mov_b32 s3, 0
	s_wait_xcnt 0x0
	s_and_saveexec_b32 s2, s0
	s_cbranch_execz .LBB3_36
; %bb.7:
	v_dual_mov_b32 v3, 0 :: v_dual_add_nc_u32 v2, s20, v0
	v_or_b32_e32 v4, 0x200, v0
	v_dual_mov_b32 v10, 0 :: v_dual_mov_b32 v9, 0
	v_mov_b32_e32 v29, 0
	s_clause 0x1
	global_load_u8 v16, v2, s[18:19] offset:256
	global_load_u8 v17, v2, s[22:23] offset:256
	v_cmp_gt_u32_e64 s0, s24, v4
	v_dual_mov_b32 v4, 0 :: v_dual_mov_b32 v30, 0
	v_dual_mov_b32 v25, 0 :: v_dual_mov_b32 v27, 0
	;; [unrolled: 1-line block ×11, first 2 shown]
	s_mov_b32 s4, 0
	s_wait_xcnt 0x0
	s_and_saveexec_b32 s3, s0
	s_cbranch_execz .LBB3_35
; %bb.8:
	v_add_nc_u64_e32 v[4:5], s[18:19], v[2:3]
	v_add_nc_u64_e32 v[6:7], s[22:23], v[2:3]
	v_or_b32_e32 v9, 0x300, v0
	v_dual_mov_b32 v30, 0 :: v_dual_mov_b32 v25, 0
	v_dual_mov_b32 v29, 0 :: v_dual_mov_b32 v27, 0
	v_mov_b32_e32 v22, 0
	global_load_u8 v10, v[4:5], off offset:512
	global_load_u8 v2, v[6:7], off offset:512
	v_cmp_gt_u32_e64 s0, s24, v9
	v_dual_mov_b32 v9, 0 :: v_dual_mov_b32 v24, 0
	v_dual_mov_b32 v18, 0 :: v_dual_mov_b32 v19, 0
	;; [unrolled: 1-line block ×9, first 2 shown]
	s_wait_xcnt 0x0
	s_and_saveexec_b32 s4, s0
	s_cbranch_execz .LBB3_34
; %bb.9:
	global_load_u8 v9, v[4:5], off offset:768
	global_load_u8 v3, v[6:7], off offset:768
	v_or_b32_e32 v11, 0x400, v0
	v_dual_mov_b32 v29, 0 :: v_dual_mov_b32 v30, 0
	v_dual_mov_b32 v25, 0 :: v_dual_mov_b32 v27, 0
	s_delay_alu instid0(VALU_DEP_3)
	v_cmp_gt_u32_e64 s0, s24, v11
	v_dual_mov_b32 v22, 0 :: v_dual_mov_b32 v24, 0
	v_dual_mov_b32 v18, 0 :: v_dual_mov_b32 v19, 0
	;; [unrolled: 1-line block ×9, first 2 shown]
	s_mov_b32 s6, 0
	s_wait_xcnt 0x0
	s_and_saveexec_b32 s5, s0
	s_cbranch_execz .LBB3_33
; %bb.10:
	global_load_u8 v30, v[4:5], off offset:1024
	global_load_u8 v29, v[6:7], off offset:1024
	v_or_b32_e32 v11, 0x500, v0
	v_dual_mov_b32 v25, 0 :: v_dual_mov_b32 v27, 0
	v_dual_mov_b32 v22, 0 :: v_dual_mov_b32 v24, 0
	s_delay_alu instid0(VALU_DEP_3)
	v_cmp_gt_u32_e64 s0, s24, v11
	v_dual_mov_b32 v18, 0 :: v_dual_mov_b32 v19, 0
	v_dual_mov_b32 v20, 0 :: v_dual_mov_b32 v21, 0
	;; [unrolled: 1-line block ×8, first 2 shown]
	s_mov_b32 s7, 0
	s_wait_xcnt 0x0
	s_and_saveexec_b32 s6, s0
	s_cbranch_execz .LBB3_32
; %bb.11:
	global_load_u8 v27, v[4:5], off offset:1280
	global_load_u8 v25, v[6:7], off offset:1280
	v_or_b32_e32 v11, 0x600, v0
	v_dual_mov_b32 v22, 0 :: v_dual_mov_b32 v24, 0
	v_dual_mov_b32 v18, 0 :: v_dual_mov_b32 v19, 0
	s_delay_alu instid0(VALU_DEP_3)
	v_cmp_gt_u32_e64 s0, s24, v11
	v_dual_mov_b32 v20, 0 :: v_dual_mov_b32 v21, 0
	v_dual_mov_b32 v23, 0 :: v_dual_mov_b32 v13, 0
	;; [unrolled: 1-line block ×7, first 2 shown]
	s_mov_b32 s8, 0
	s_wait_xcnt 0x0
	s_and_saveexec_b32 s7, s0
	s_cbranch_execz .LBB3_31
; %bb.12:
	global_load_u8 v24, v[4:5], off offset:1536
	global_load_u8 v22, v[6:7], off offset:1536
	v_or_b32_e32 v11, 0x700, v0
	v_dual_mov_b32 v18, 0 :: v_dual_mov_b32 v19, 0
	v_dual_mov_b32 v20, 0 :: v_dual_mov_b32 v21, 0
	s_delay_alu instid0(VALU_DEP_3)
	v_cmp_gt_u32_e64 s0, s24, v11
	v_dual_mov_b32 v23, 0 :: v_dual_mov_b32 v13, 0
	v_dual_mov_b32 v11, 0 :: v_dual_mov_b32 v14, 0
	;; [unrolled: 1-line block ×6, first 2 shown]
	s_mov_b32 s9, 0
	s_wait_xcnt 0x0
	s_and_saveexec_b32 s8, s0
	s_cbranch_execz .LBB3_30
; %bb.13:
	global_load_u8 v19, v[4:5], off offset:1792
	global_load_u8 v18, v[6:7], off offset:1792
	v_or_b32_e32 v11, 0x800, v0
	v_dual_mov_b32 v20, 0 :: v_dual_mov_b32 v21, 0
	v_dual_mov_b32 v23, 0 :: v_dual_mov_b32 v13, 0
	s_delay_alu instid0(VALU_DEP_3)
	v_cmp_gt_u32_e64 s0, s24, v11
	v_dual_mov_b32 v11, 0 :: v_dual_mov_b32 v14, 0
	v_dual_mov_b32 v12, 0 :: v_dual_mov_b32 v15, 0
	;; [unrolled: 1-line block ×5, first 2 shown]
	s_mov_b32 s10, 0
	s_wait_xcnt 0x0
	s_and_saveexec_b32 s9, s0
	s_cbranch_execz .LBB3_29
; %bb.14:
	global_load_u8 v21, v[4:5], off offset:2048
	global_load_u8 v20, v[6:7], off offset:2048
	v_or_b32_e32 v11, 0x900, v0
	v_dual_mov_b32 v23, 0 :: v_dual_mov_b32 v13, 0
	v_dual_mov_b32 v12, 0 :: v_dual_mov_b32 v15, 0
	s_delay_alu instid0(VALU_DEP_3)
	v_cmp_gt_u32_e64 s0, s24, v11
	v_dual_mov_b32 v11, 0 :: v_dual_mov_b32 v14, 0
	v_dual_mov_b32 v31, 0 :: v_dual_mov_b32 v32, 0
	;; [unrolled: 1-line block ×4, first 2 shown]
	s_mov_b32 s11, 0
	s_wait_xcnt 0x0
	s_and_saveexec_b32 s10, s0
	s_cbranch_execz .LBB3_28
; %bb.15:
	global_load_u8 v13, v[4:5], off offset:2304
	global_load_u8 v23, v[6:7], off offset:2304
	v_or_b32_e32 v11, 0xa00, v0
	v_dual_mov_b32 v12, 0 :: v_dual_mov_b32 v15, 0
	v_dual_mov_b32 v31, 0 :: v_dual_mov_b32 v32, 0
	s_delay_alu instid0(VALU_DEP_3)
	v_cmp_gt_u32_e64 s0, s24, v11
	v_dual_mov_b32 v11, 0 :: v_dual_mov_b32 v14, 0
	v_dual_mov_b32 v33, 0 :: v_dual_mov_b32 v36, 0
	;; [unrolled: 1-line block ×3, first 2 shown]
	s_mov_b32 s12, 0
	s_wait_xcnt 0x0
	s_and_saveexec_b32 s11, s0
	s_cbranch_execz .LBB3_27
; %bb.16:
	global_load_u8 v14, v[4:5], off offset:2560
	global_load_u8 v11, v[6:7], off offset:2560
	v_or_b32_e32 v12, 0xb00, v0
	v_dual_mov_b32 v31, 0 :: v_dual_mov_b32 v32, 0
	v_dual_mov_b32 v33, 0 :: v_dual_mov_b32 v36, 0
	s_delay_alu instid0(VALU_DEP_3)
	v_cmp_gt_u32_e64 s0, s24, v12
	v_dual_mov_b32 v12, 0 :: v_dual_mov_b32 v15, 0
	v_dual_mov_b32 v34, 0 :: v_dual_mov_b32 v35, 0
	s_mov_b32 s13, 0
	s_wait_xcnt 0x0
	s_and_saveexec_b32 s12, s0
	s_cbranch_execz .LBB3_26
; %bb.17:
	global_load_u8 v15, v[4:5], off offset:2816
	global_load_u8 v12, v[6:7], off offset:2816
	v_or_b32_e32 v31, 0xc00, v0
	v_dual_mov_b32 v33, 0 :: v_dual_mov_b32 v36, 0
	v_dual_mov_b32 v34, 0 :: v_dual_mov_b32 v35, 0
	s_delay_alu instid0(VALU_DEP_3)
	v_cmp_gt_u32_e64 s0, s24, v31
	v_dual_mov_b32 v31, 0 :: v_dual_mov_b32 v32, 0
	s_mov_b32 s14, 0
	s_wait_xcnt 0x0
	s_and_saveexec_b32 s13, s0
	s_cbranch_execz .LBB3_25
; %bb.18:
	global_load_u8 v32, v[4:5], off offset:3072
	global_load_u8 v31, v[6:7], off offset:3072
	v_or_b32_e32 v33, 0xd00, v0
	v_dual_mov_b32 v34, 0 :: v_dual_mov_b32 v35, 0
	s_mov_b32 s18, 0
	v_mov_b32_e32 v36, 0
	s_delay_alu instid0(VALU_DEP_3)
	v_cmp_gt_u32_e64 s0, s24, v33
	v_mov_b32_e32 v33, 0
	s_wait_xcnt 0x0
	s_and_saveexec_b32 s14, s0
	s_cbranch_execz .LBB3_24
; %bb.19:
	global_load_u8 v36, v[4:5], off offset:3328
	global_load_u8 v33, v[6:7], off offset:3328
	v_or_b32_e32 v34, 0xe00, v0
	s_mov_b32 s19, 0
	v_mov_b32_e32 v35, 0
	s_delay_alu instid0(VALU_DEP_2)
	v_cmp_gt_u32_e64 s0, s24, v34
	v_mov_b32_e32 v34, 0
	s_wait_xcnt 0x0
	s_and_saveexec_b32 s18, s0
	s_cbranch_execz .LBB3_23
; %bb.20:
	global_load_u8 v35, v[4:5], off offset:3584
	global_load_u8 v34, v[6:7], off offset:3584
	v_or_b32_e32 v37, 0xf00, v0
	s_mov_b32 s21, 0
	s_mov_b32 s19, exec_lo
	s_wait_xcnt 0x0
	s_delay_alu instid0(VALU_DEP_1)
	v_cmpx_gt_u32_e64 s24, v37
	s_cbranch_execz .LBB3_22
; %bb.21:
	global_load_u8 v37, v[4:5], off offset:3840
	global_load_u8 v38, v[6:7], off offset:3840
	s_wait_loadcnt 0x0
	v_cmp_ne_u16_e64 s0, v37, v38
	s_and_b32 s21, s0, exec_lo
.LBB3_22:
	s_wait_xcnt 0x0
	s_or_b32 exec_lo, exec_lo, s19
	s_delay_alu instid0(SALU_CYCLE_1)
	s_and_b32 s19, s21, exec_lo
.LBB3_23:
	s_or_b32 exec_lo, exec_lo, s18
	s_delay_alu instid0(SALU_CYCLE_1)
	s_and_b32 s18, s19, exec_lo
.LBB3_24:
	s_or_b32 exec_lo, exec_lo, s14
	s_delay_alu instid0(SALU_CYCLE_1)
	s_and_b32 s14, s18, exec_lo
.LBB3_25:
	s_or_b32 exec_lo, exec_lo, s13
	s_delay_alu instid0(SALU_CYCLE_1)
	s_and_b32 s13, s14, exec_lo
.LBB3_26:
	s_or_b32 exec_lo, exec_lo, s12
	s_delay_alu instid0(SALU_CYCLE_1)
	s_and_b32 s12, s13, exec_lo
.LBB3_27:
	s_or_b32 exec_lo, exec_lo, s11
	s_delay_alu instid0(SALU_CYCLE_1)
	s_and_b32 s11, s12, exec_lo
.LBB3_28:
	s_or_b32 exec_lo, exec_lo, s10
	s_delay_alu instid0(SALU_CYCLE_1)
	s_and_b32 s10, s11, exec_lo
.LBB3_29:
	s_or_b32 exec_lo, exec_lo, s9
	s_delay_alu instid0(SALU_CYCLE_1)
	s_and_b32 s9, s10, exec_lo
.LBB3_30:
	s_or_b32 exec_lo, exec_lo, s8
	s_delay_alu instid0(SALU_CYCLE_1)
	s_and_b32 s8, s9, exec_lo
.LBB3_31:
	s_or_b32 exec_lo, exec_lo, s7
	s_delay_alu instid0(SALU_CYCLE_1)
	s_and_b32 s7, s8, exec_lo
.LBB3_32:
	s_or_b32 exec_lo, exec_lo, s6
	s_delay_alu instid0(SALU_CYCLE_1)
	s_and_b32 s6, s7, exec_lo
.LBB3_33:
	s_or_b32 exec_lo, exec_lo, s5
	s_delay_alu instid0(SALU_CYCLE_1)
	s_and_b32 s5, s6, exec_lo
.LBB3_34:
	s_or_b32 exec_lo, exec_lo, s4
	s_wait_loadcnt 0x0
	v_dual_mov_b32 v4, v3 :: v_dual_mov_b32 v3, v2
	s_and_b32 s4, s5, exec_lo
.LBB3_35:
	s_or_b32 exec_lo, exec_lo, s3
	s_delay_alu instid0(SALU_CYCLE_1)
	s_and_b32 s3, s4, exec_lo
.LBB3_36:
	s_or_b32 exec_lo, exec_lo, s2
	s_delay_alu instid0(SALU_CYCLE_1)
	s_and_b32 s5, s3, exec_lo
.LBB3_37:
	s_or_b32 exec_lo, exec_lo, s1
	s_wait_loadcnt 0x0
	v_and_b32_e32 v2, 0xff, v28
	v_and_b32_e32 v5, 0xff, v26
	;; [unrolled: 1-line block ×4, first 2 shown]
	s_cmp_eq_u32 s15, 0
	v_and_b32_e32 v3, 0xff, v3
	v_cmp_ne_u16_e64 s0, v5, v2
	s_cselect_b32 s6, -1, 0
	v_cmp_ne_u16_e64 s1, v7, v6
	v_and_b32_e32 v2, 0xff, v17
	v_and_b32_e32 v6, 0xff, v16
	s_xor_b32 s0, s6, s0
	v_and_b32_e32 v16, 0xff, v25
	v_cndmask_b32_e64 v5, 0, 1, s0
	s_xor_b32 s0, s6, s1
	v_and_b32_e32 v17, 0xff, v27
	v_cndmask_b32_e64 v7, 0, 1, s0
	v_cmp_ne_u16_e64 s0, v6, v2
	v_cndmask_b32_e32 v2, 0, v5, vcc_lo
	v_and_b32_e32 v10, 0xff, v10
	v_cmp_ne_u16_e64 s1, v17, v16
	v_bitop3_b16 v5, v7, 0, 0xff00 bitop3:0xf8
	v_or_b32_e32 v7, 0x400, v0
	s_xor_b32 s0, s6, s0
	v_and_b32_e32 v4, 0xff, v4
	v_cndmask_b32_e64 v6, 0, 1, s0
	s_xor_b32 s0, s6, s1
	v_and_b32_e32 v5, 0xffff, v5
	v_cndmask_b32_e64 v16, 0, 1, s0
	v_cmp_gt_i32_e64 s0, s24, v7
	v_lshlrev_b16 v6, 8, v6
	v_cmp_gt_i32_e64 s1, s24, v1
	v_and_b32_e32 v17, 0xff, v33
	v_lshlrev_b16 v7, 8, v16
	v_cndmask_b32_e64 v5, 0, v5, s0
	v_cmp_ne_u16_e64 s0, v10, v3
	v_or_b32_e32 v3, 0x500, v0
	v_and_b32_e32 v10, 0xff, v22
	v_and_b32_e32 v16, 0xff, v24
	v_bitop3_b16 v7, v5, v7, 0xff bitop3:0xec
	s_xor_b32 s0, s6, s0
	v_and_b32_e32 v13, 0xff, v13
	v_and_b32_e32 v11, 0xff, v11
	;; [unrolled: 1-line block ×4, first 2 shown]
	v_or_b32_e32 v6, v2, v6
	s_delay_alu instid0(VALU_DEP_1) | instskip(NEXT) | instid1(VALU_DEP_1)
	v_and_b32_e32 v6, 0xffff, v6
	v_cndmask_b32_e64 v2, v2, v6, s1
	v_cmp_gt_i32_e64 s1, s24, v3
	v_and_b32_e32 v6, 0xff, v9
	s_delay_alu instid0(VALU_DEP_2)
	v_cndmask_b32_e64 v3, v5, v7, s1
	v_cmp_ne_u16_e64 s1, v16, v10
	v_cndmask_b32_e64 v5, 0, 1, s0
	v_or_b32_e32 v10, 0x200, v0
	v_and_b32_e32 v16, 0xff, v32
	v_lshrrev_b32_e32 v7, 16, v3
	s_xor_b32 s0, s6, s1
	v_lshl_or_b32 v5, v5, 16, v2
	v_cndmask_b32_e64 v9, 0, 1, s0
	v_cmp_ne_u16_e64 s0, v6, v4
	v_cmp_gt_i32_e64 s1, s24, v10
	v_and_b32_e32 v10, 0xff, v31
	s_delay_alu instid0(VALU_DEP_4)
	v_bitop3_b16 v4, v9, v7, 0xff00 bitop3:0xf8
	s_xor_b32 s0, s6, s0
	v_cndmask_b32_e64 v2, v2, v5, s1
	v_cndmask_b32_e64 v5, 0, 1, s0
	v_or_b32_e32 v7, 0x600, v0
	v_lshlrev_b32_e32 v4, 16, v4
	v_cmp_ne_u16_e64 s1, v16, v10
	v_and_b32_e32 v9, 0xff, v23
	v_lshlrev_b16 v5, 8, v5
	v_cmp_gt_i32_e64 s0, s24, v7
	v_and_or_b32 v4, 0xffff, v3, v4
	v_lshrrev_b32_e32 v6, 16, v2
	s_xor_b32 s1, s6, s1
	v_cmp_ne_u16_e64 s4, v13, v9
	v_or_b32_e32 v16, 0xd00, v0
	v_cndmask_b32_e64 v3, v3, v4, s0
	v_bitop3_b16 v5, v6, v5, 0xff bitop3:0xec
	v_and_b32_e32 v4, 0xff, v18
	v_and_b32_e32 v6, 0xff, v19
	;; [unrolled: 1-line block ×3, first 2 shown]
	v_or_b32_e32 v19, 0x800, v0
	v_or_b32_e32 v13, 0x900, v0
	v_dual_lshlrev_b32 v5, 16, v5 :: v_dual_lshrrev_b32 v7, 16, v3
	v_cmp_ne_u16_e64 s0, v6, v4
	v_and_b32_e32 v4, 0xff, v20
	v_and_b32_e32 v6, 0xff, v21
	v_cmp_ne_u16_e64 s3, v18, v17
	v_and_b32_e32 v17, 0xff, v34
	v_and_b32_e32 v18, 0xff, v35
	s_xor_b32 s0, s6, s0
	v_cmp_ne_u16_e64 s2, v6, v4
	v_or_b32_e32 v4, 0xc00, v0
	v_cndmask_b32_e64 v6, 0, 1, s1
	s_xor_b32 s1, s6, s3
	v_and_or_b32 v5, 0xffff, v2, v5
	v_cndmask_b32_e64 v9, 0, 1, s1
	s_xor_b32 s1, s6, s2
	v_cmp_gt_i32_e64 s2, s24, v16
	v_cndmask_b32_e64 v10, 0, 1, s1
	v_cmp_gt_i32_e64 s1, s24, v4
	v_cndmask_b32_e64 v16, 0, 1, s0
	v_cmp_gt_i32_e64 s0, s24, v13
	s_delay_alu instid0(VALU_DEP_3)
	v_cndmask_b32_e64 v4, 0, v6, s1
	s_xor_b32 s1, s6, s4
	v_lshlrev_b16 v6, 8, v9
	v_cndmask_b32_e64 v9, 0, 1, s1
	v_cmp_gt_i32_e64 s1, s24, v19
	v_lshlrev_b16 v13, 8, v16
	s_delay_alu instid0(VALU_DEP_3) | instskip(NEXT) | instid1(VALU_DEP_3)
	v_lshlrev_b16 v9, 8, v9
	v_cndmask_b32_e64 v10, 0, v10, s1
	v_cmp_ne_u16_e64 s1, v14, v11
	s_delay_alu instid0(VALU_DEP_4) | instskip(SKIP_1) | instid1(VALU_DEP_4)
	v_bitop3_b16 v7, v7, v13, 0xff bitop3:0xec
	v_or_b32_e32 v13, 0x300, v0
	v_or_b32_e32 v9, v10, v9
	v_bitop3_b16 v6, v4, v6, 0xff bitop3:0xec
	s_xor_b32 s1, s6, s1
	v_lshlrev_b32_e32 v7, 16, v7
	s_delay_alu instid0(VALU_DEP_2) | instskip(NEXT) | instid1(VALU_DEP_2)
	v_and_b32_e32 v6, 0xffff, v6
	v_and_or_b32 v7, 0xffff, v3, v7
	s_delay_alu instid0(VALU_DEP_2) | instskip(SKIP_3) | instid1(VALU_DEP_4)
	v_cndmask_b32_e64 v4, v4, v6, s2
	v_cmp_ne_u16_e64 s2, v18, v17
	v_and_b32_e32 v6, 0xffff, v9
	v_cndmask_b32_e64 v9, 0, 1, s1
	v_lshrrev_b32_e32 v11, 16, v4
	s_xor_b32 s1, s6, s2
	s_delay_alu instid0(VALU_DEP_3) | instskip(SKIP_1) | instid1(VALU_DEP_1)
	v_cndmask_b32_e64 v6, v10, v6, s0
	v_cndmask_b32_e64 v14, 0, 1, s1
	v_bitop3_b16 v10, v14, v11, 0xff00 bitop3:0xf8
	v_and_b32_e32 v11, 0xff, v12
	v_and_b32_e32 v12, 0xff, v15
	v_lshlrev_b32_e32 v9, 16, v9
	v_or_b32_e32 v14, 0xa00, v0
	v_lshlrev_b32_e32 v10, 16, v10
	s_delay_alu instid0(VALU_DEP_4) | instskip(NEXT) | instid1(VALU_DEP_4)
	v_cmp_ne_u16_e64 s0, v12, v11
	v_and_or_b32 v9, 0x1ff, v6, v9
	v_or_b32_e32 v11, 0xe00, v0
	v_cmp_gt_i32_e64 s1, s24, v14
	v_and_or_b32 v10, 0xffff, v4, v10
	s_xor_b32 s0, s6, s0
	v_cndmask_b32_e64 v6, v6, v9, s1
	v_cndmask_b32_e64 v9, 0, 1, s0
	v_cmp_gt_i32_e64 s0, s24, v11
	s_delay_alu instid0(VALU_DEP_2) | instskip(NEXT) | instid1(VALU_DEP_2)
	v_lshlrev_b16 v9, 8, v9
	v_cndmask_b32_e64 v10, v4, v10, s0
	s_xor_b32 s0, s6, s5
	v_lshrrev_b32_e32 v11, 16, v6
	v_cndmask_b32_e64 v4, 0, 1, s0
	v_cmp_gt_i32_e64 s0, s24, v13
	v_lshrrev_b32_e32 v12, 16, v10
	s_delay_alu instid0(VALU_DEP_4) | instskip(NEXT) | instid1(VALU_DEP_4)
	v_bitop3_b16 v9, v11, v9, 0xff bitop3:0xec
	v_lshlrev_b16 v4, 8, v4
	s_delay_alu instid0(VALU_DEP_4) | instskip(SKIP_1) | instid1(VALU_DEP_3)
	v_cndmask_b32_e64 v5, v2, v5, s0
	v_or_b32_e32 v11, 0xb00, v0
	v_bitop3_b16 v4, v12, v4, 0xff bitop3:0xec
	v_lshlrev_b32_e32 v2, 16, v9
	v_or_b32_e32 v9, 0x700, v0
	v_or_b32_e32 v12, 0xf00, v0
	s_delay_alu instid0(VALU_DEP_4) | instskip(NEXT) | instid1(VALU_DEP_4)
	v_lshlrev_b32_e32 v4, 16, v4
	v_and_or_b32 v2, 0xffff, v6, v2
	s_delay_alu instid0(VALU_DEP_4) | instskip(NEXT) | instid1(VALU_DEP_3)
	v_cmp_gt_i32_e64 s0, s24, v9
	v_and_or_b32 v13, 0xffff, v10, v4
	s_delay_alu instid0(VALU_DEP_2) | instskip(SKIP_1) | instid1(VALU_DEP_1)
	v_cndmask_b32_e64 v4, v3, v7, s0
	v_cmp_gt_i32_e64 s0, s24, v11
	v_cndmask_b32_e64 v3, v6, v2, s0
	v_cmp_gt_i32_e64 s0, s24, v12
	s_delay_alu instid0(VALU_DEP_1)
	v_cndmask_b32_e64 v2, v10, v13, s0
	s_and_saveexec_b32 s0, vcc_lo
	s_cbranch_execnz .LBB3_55
; %bb.38:
	s_or_b32 exec_lo, exec_lo, s0
	s_delay_alu instid0(SALU_CYCLE_1)
	s_mov_b32 s0, exec_lo
	v_cmpx_gt_i32_e64 s24, v0
	s_cbranch_execnz .LBB3_56
.LBB3_39:
	s_or_b32 exec_lo, exec_lo, s0
	s_delay_alu instid0(SALU_CYCLE_1)
	s_mov_b32 s0, exec_lo
	v_cmpx_gt_i32_e64 s24, v0
	s_cbranch_execnz .LBB3_57
.LBB3_40:
	s_or_b32 exec_lo, exec_lo, s0
	s_delay_alu instid0(SALU_CYCLE_1)
	s_mov_b32 s0, exec_lo
	v_cmpx_gt_i32_e64 s24, v0
	s_cbranch_execnz .LBB3_58
.LBB3_41:
	s_or_b32 exec_lo, exec_lo, s0
	s_delay_alu instid0(SALU_CYCLE_1)
	s_mov_b32 s0, exec_lo
	v_cmpx_gt_i32_e64 s24, v0
	s_cbranch_execnz .LBB3_59
.LBB3_42:
	s_or_b32 exec_lo, exec_lo, s0
	s_delay_alu instid0(SALU_CYCLE_1)
	s_mov_b32 s0, exec_lo
	v_cmpx_gt_i32_e64 s24, v0
	s_cbranch_execnz .LBB3_60
.LBB3_43:
	s_or_b32 exec_lo, exec_lo, s0
	s_delay_alu instid0(SALU_CYCLE_1)
	s_mov_b32 s0, exec_lo
	v_cmpx_gt_i32_e64 s24, v0
	s_cbranch_execnz .LBB3_61
.LBB3_44:
	s_or_b32 exec_lo, exec_lo, s0
	s_delay_alu instid0(SALU_CYCLE_1)
	s_mov_b32 s0, exec_lo
	v_cmpx_gt_i32_e64 s24, v0
	s_cbranch_execnz .LBB3_62
.LBB3_45:
	s_or_b32 exec_lo, exec_lo, s0
	s_delay_alu instid0(SALU_CYCLE_1)
	s_mov_b32 s0, exec_lo
	v_cmpx_gt_i32_e64 s24, v0
	s_cbranch_execnz .LBB3_63
.LBB3_46:
	s_or_b32 exec_lo, exec_lo, s0
	s_delay_alu instid0(SALU_CYCLE_1)
	s_mov_b32 s0, exec_lo
	v_cmpx_gt_i32_e64 s24, v0
	s_cbranch_execnz .LBB3_64
.LBB3_47:
	s_or_b32 exec_lo, exec_lo, s0
	s_delay_alu instid0(SALU_CYCLE_1)
	s_mov_b32 s0, exec_lo
	v_cmpx_gt_i32_e64 s24, v0
	s_cbranch_execnz .LBB3_65
.LBB3_48:
	s_or_b32 exec_lo, exec_lo, s0
	s_delay_alu instid0(SALU_CYCLE_1)
	s_mov_b32 s0, exec_lo
	v_cmpx_gt_i32_e64 s24, v0
	s_cbranch_execnz .LBB3_66
.LBB3_49:
	s_or_b32 exec_lo, exec_lo, s0
	s_delay_alu instid0(SALU_CYCLE_1)
	s_mov_b32 s0, exec_lo
	v_cmpx_gt_i32_e64 s24, v0
	s_cbranch_execnz .LBB3_67
.LBB3_50:
	s_or_b32 exec_lo, exec_lo, s0
	s_delay_alu instid0(SALU_CYCLE_1)
	s_mov_b32 s0, exec_lo
	v_cmpx_gt_i32_e64 s24, v0
	s_cbranch_execnz .LBB3_68
.LBB3_51:
	s_or_b32 exec_lo, exec_lo, s0
	s_delay_alu instid0(SALU_CYCLE_1)
	s_mov_b32 s0, exec_lo
	v_cmpx_gt_i32_e64 s24, v0
	s_cbranch_execnz .LBB3_69
.LBB3_52:
	s_or_b32 exec_lo, exec_lo, s0
	s_delay_alu instid0(SALU_CYCLE_1)
	s_mov_b32 s0, exec_lo
	v_cmpx_gt_i32_e64 s24, v0
	s_cbranch_execz .LBB3_54
.LBB3_53:
	v_dual_lshrrev_b32 v1, 24, v2 :: v_dual_add_nc_u32 v0, s20, v0
	global_store_b8 v0, v1, s[16:17]
.LBB3_54:
	s_endpgm
.LBB3_55:
	v_mov_b32_e32 v0, v1
	global_store_b8 v8, v5, s[16:17]
	s_wait_xcnt 0x0
	s_or_b32 exec_lo, exec_lo, s0
	s_delay_alu instid0(SALU_CYCLE_1)
	s_mov_b32 s0, exec_lo
	v_cmpx_gt_i32_e64 s24, v0
	s_cbranch_execz .LBB3_39
.LBB3_56:
	v_dual_lshrrev_b32 v1, 8, v5 :: v_dual_add_nc_u32 v6, s20, v0
	v_add_nc_u32_e32 v0, 0x100, v0
	global_store_b8 v6, v1, s[16:17]
	s_wait_xcnt 0x0
	s_or_b32 exec_lo, exec_lo, s0
	s_delay_alu instid0(SALU_CYCLE_1)
	s_mov_b32 s0, exec_lo
	v_cmpx_gt_i32_e64 s24, v0
	s_cbranch_execz .LBB3_40
.LBB3_57:
	v_add_nc_u32_e32 v1, s20, v0
	v_add_nc_u32_e32 v0, 0x100, v0
	global_store_d16_hi_b8 v1, v5, s[16:17]
	s_wait_xcnt 0x0
	s_or_b32 exec_lo, exec_lo, s0
	s_delay_alu instid0(SALU_CYCLE_1)
	s_mov_b32 s0, exec_lo
	v_cmpx_gt_i32_e64 s24, v0
	s_cbranch_execz .LBB3_41
.LBB3_58:
	v_dual_lshrrev_b32 v1, 24, v5 :: v_dual_add_nc_u32 v5, s20, v0
	v_add_nc_u32_e32 v0, 0x100, v0
	global_store_b8 v5, v1, s[16:17]
	s_wait_xcnt 0x0
	s_or_b32 exec_lo, exec_lo, s0
	s_delay_alu instid0(SALU_CYCLE_1)
	s_mov_b32 s0, exec_lo
	v_cmpx_gt_i32_e64 s24, v0
	s_cbranch_execz .LBB3_42
.LBB3_59:
	v_add_nc_u32_e32 v1, s20, v0
	v_add_nc_u32_e32 v0, 0x100, v0
	global_store_b8 v1, v4, s[16:17]
	s_wait_xcnt 0x0
	s_or_b32 exec_lo, exec_lo, s0
	s_delay_alu instid0(SALU_CYCLE_1)
	s_mov_b32 s0, exec_lo
	v_cmpx_gt_i32_e64 s24, v0
	s_cbranch_execz .LBB3_43
.LBB3_60:
	v_lshrrev_b32_e32 v1, 8, v4
	v_add_nc_u32_e32 v5, s20, v0
	v_add_nc_u32_e32 v0, 0x100, v0
	global_store_b8 v5, v1, s[16:17]
	s_wait_xcnt 0x0
	s_or_b32 exec_lo, exec_lo, s0
	s_delay_alu instid0(SALU_CYCLE_1)
	s_mov_b32 s0, exec_lo
	v_cmpx_gt_i32_e64 s24, v0
	s_cbranch_execz .LBB3_44
.LBB3_61:
	v_add_nc_u32_e32 v1, s20, v0
	v_add_nc_u32_e32 v0, 0x100, v0
	global_store_d16_hi_b8 v1, v4, s[16:17]
	s_wait_xcnt 0x0
	s_or_b32 exec_lo, exec_lo, s0
	s_delay_alu instid0(SALU_CYCLE_1)
	s_mov_b32 s0, exec_lo
	v_cmpx_gt_i32_e64 s24, v0
	s_cbranch_execz .LBB3_45
.LBB3_62:
	v_lshrrev_b32_e32 v1, 24, v4
	v_add_nc_u32_e32 v4, s20, v0
	v_add_nc_u32_e32 v0, 0x100, v0
	global_store_b8 v4, v1, s[16:17]
	s_wait_xcnt 0x0
	s_or_b32 exec_lo, exec_lo, s0
	s_delay_alu instid0(SALU_CYCLE_1)
	s_mov_b32 s0, exec_lo
	v_cmpx_gt_i32_e64 s24, v0
	s_cbranch_execz .LBB3_46
.LBB3_63:
	v_add_nc_u32_e32 v1, s20, v0
	v_add_nc_u32_e32 v0, 0x100, v0
	global_store_b8 v1, v3, s[16:17]
	s_wait_xcnt 0x0
	s_or_b32 exec_lo, exec_lo, s0
	s_delay_alu instid0(SALU_CYCLE_1)
	s_mov_b32 s0, exec_lo
	v_cmpx_gt_i32_e64 s24, v0
	s_cbranch_execz .LBB3_47
.LBB3_64:
	v_dual_lshrrev_b32 v1, 8, v3 :: v_dual_add_nc_u32 v4, s20, v0
	v_add_nc_u32_e32 v0, 0x100, v0
	global_store_b8 v4, v1, s[16:17]
	s_wait_xcnt 0x0
	s_or_b32 exec_lo, exec_lo, s0
	s_delay_alu instid0(SALU_CYCLE_1)
	s_mov_b32 s0, exec_lo
	v_cmpx_gt_i32_e64 s24, v0
	s_cbranch_execz .LBB3_48
.LBB3_65:
	v_add_nc_u32_e32 v1, s20, v0
	v_add_nc_u32_e32 v0, 0x100, v0
	global_store_d16_hi_b8 v1, v3, s[16:17]
	s_wait_xcnt 0x0
	s_or_b32 exec_lo, exec_lo, s0
	s_delay_alu instid0(SALU_CYCLE_1)
	s_mov_b32 s0, exec_lo
	v_cmpx_gt_i32_e64 s24, v0
	s_cbranch_execz .LBB3_49
.LBB3_66:
	v_dual_lshrrev_b32 v1, 24, v3 :: v_dual_add_nc_u32 v3, s20, v0
	v_add_nc_u32_e32 v0, 0x100, v0
	global_store_b8 v3, v1, s[16:17]
	s_wait_xcnt 0x0
	s_or_b32 exec_lo, exec_lo, s0
	s_delay_alu instid0(SALU_CYCLE_1)
	s_mov_b32 s0, exec_lo
	v_cmpx_gt_i32_e64 s24, v0
	s_cbranch_execz .LBB3_50
.LBB3_67:
	v_add_nc_u32_e32 v1, s20, v0
	v_add_nc_u32_e32 v0, 0x100, v0
	global_store_b8 v1, v2, s[16:17]
	s_wait_xcnt 0x0
	s_or_b32 exec_lo, exec_lo, s0
	s_delay_alu instid0(SALU_CYCLE_1)
	s_mov_b32 s0, exec_lo
	v_cmpx_gt_i32_e64 s24, v0
	s_cbranch_execz .LBB3_51
.LBB3_68:
	v_dual_lshrrev_b32 v1, 8, v2 :: v_dual_add_nc_u32 v3, s20, v0
	v_add_nc_u32_e32 v0, 0x100, v0
	global_store_b8 v3, v1, s[16:17]
	s_wait_xcnt 0x0
	s_or_b32 exec_lo, exec_lo, s0
	s_delay_alu instid0(SALU_CYCLE_1)
	s_mov_b32 s0, exec_lo
	v_cmpx_gt_i32_e64 s24, v0
	s_cbranch_execz .LBB3_52
.LBB3_69:
	v_add_nc_u32_e32 v1, s20, v0
	v_add_nc_u32_e32 v0, 0x100, v0
	global_store_d16_hi_b8 v1, v2, s[16:17]
	s_wait_xcnt 0x0
	s_or_b32 exec_lo, exec_lo, s0
	s_delay_alu instid0(SALU_CYCLE_1)
	s_mov_b32 s0, exec_lo
	v_cmpx_gt_i32_e64 s24, v0
	s_cbranch_execnz .LBB3_53
	s_branch .LBB3_54
	.section	.rodata,"a",@progbits
	.p2align	6, 0x0
	.amdhsa_kernel _ZN2at6native29vectorized_elementwise_kernelILi2ENS0_13BinaryFunctorIhhbNS0_12_GLOBAL__N_116CompareEqFunctorIhEEEESt5arrayIPcLm3EEEEviT0_T1_
		.amdhsa_group_segment_fixed_size 0
		.amdhsa_private_segment_fixed_size 0
		.amdhsa_kernarg_size 32
		.amdhsa_user_sgpr_count 2
		.amdhsa_user_sgpr_dispatch_ptr 0
		.amdhsa_user_sgpr_queue_ptr 0
		.amdhsa_user_sgpr_kernarg_segment_ptr 1
		.amdhsa_user_sgpr_dispatch_id 0
		.amdhsa_user_sgpr_kernarg_preload_length 0
		.amdhsa_user_sgpr_kernarg_preload_offset 0
		.amdhsa_user_sgpr_private_segment_size 0
		.amdhsa_wavefront_size32 1
		.amdhsa_uses_dynamic_stack 0
		.amdhsa_enable_private_segment 0
		.amdhsa_system_sgpr_workgroup_id_x 1
		.amdhsa_system_sgpr_workgroup_id_y 0
		.amdhsa_system_sgpr_workgroup_id_z 0
		.amdhsa_system_sgpr_workgroup_info 0
		.amdhsa_system_vgpr_workitem_id 0
		.amdhsa_next_free_vgpr 39
		.amdhsa_next_free_sgpr 29
		.amdhsa_named_barrier_count 0
		.amdhsa_reserve_vcc 1
		.amdhsa_float_round_mode_32 0
		.amdhsa_float_round_mode_16_64 0
		.amdhsa_float_denorm_mode_32 3
		.amdhsa_float_denorm_mode_16_64 3
		.amdhsa_fp16_overflow 0
		.amdhsa_memory_ordered 1
		.amdhsa_forward_progress 1
		.amdhsa_inst_pref_size 47
		.amdhsa_round_robin_scheduling 0
		.amdhsa_exception_fp_ieee_invalid_op 0
		.amdhsa_exception_fp_denorm_src 0
		.amdhsa_exception_fp_ieee_div_zero 0
		.amdhsa_exception_fp_ieee_overflow 0
		.amdhsa_exception_fp_ieee_underflow 0
		.amdhsa_exception_fp_ieee_inexact 0
		.amdhsa_exception_int_div_zero 0
	.end_amdhsa_kernel
	.section	.text._ZN2at6native29vectorized_elementwise_kernelILi2ENS0_13BinaryFunctorIhhbNS0_12_GLOBAL__N_116CompareEqFunctorIhEEEESt5arrayIPcLm3EEEEviT0_T1_,"axG",@progbits,_ZN2at6native29vectorized_elementwise_kernelILi2ENS0_13BinaryFunctorIhhbNS0_12_GLOBAL__N_116CompareEqFunctorIhEEEESt5arrayIPcLm3EEEEviT0_T1_,comdat
.Lfunc_end3:
	.size	_ZN2at6native29vectorized_elementwise_kernelILi2ENS0_13BinaryFunctorIhhbNS0_12_GLOBAL__N_116CompareEqFunctorIhEEEESt5arrayIPcLm3EEEEviT0_T1_, .Lfunc_end3-_ZN2at6native29vectorized_elementwise_kernelILi2ENS0_13BinaryFunctorIhhbNS0_12_GLOBAL__N_116CompareEqFunctorIhEEEESt5arrayIPcLm3EEEEviT0_T1_
                                        ; -- End function
	.set _ZN2at6native29vectorized_elementwise_kernelILi2ENS0_13BinaryFunctorIhhbNS0_12_GLOBAL__N_116CompareEqFunctorIhEEEESt5arrayIPcLm3EEEEviT0_T1_.num_vgpr, 39
	.set _ZN2at6native29vectorized_elementwise_kernelILi2ENS0_13BinaryFunctorIhhbNS0_12_GLOBAL__N_116CompareEqFunctorIhEEEESt5arrayIPcLm3EEEEviT0_T1_.num_agpr, 0
	.set _ZN2at6native29vectorized_elementwise_kernelILi2ENS0_13BinaryFunctorIhhbNS0_12_GLOBAL__N_116CompareEqFunctorIhEEEESt5arrayIPcLm3EEEEviT0_T1_.numbered_sgpr, 29
	.set _ZN2at6native29vectorized_elementwise_kernelILi2ENS0_13BinaryFunctorIhhbNS0_12_GLOBAL__N_116CompareEqFunctorIhEEEESt5arrayIPcLm3EEEEviT0_T1_.num_named_barrier, 0
	.set _ZN2at6native29vectorized_elementwise_kernelILi2ENS0_13BinaryFunctorIhhbNS0_12_GLOBAL__N_116CompareEqFunctorIhEEEESt5arrayIPcLm3EEEEviT0_T1_.private_seg_size, 0
	.set _ZN2at6native29vectorized_elementwise_kernelILi2ENS0_13BinaryFunctorIhhbNS0_12_GLOBAL__N_116CompareEqFunctorIhEEEESt5arrayIPcLm3EEEEviT0_T1_.uses_vcc, 1
	.set _ZN2at6native29vectorized_elementwise_kernelILi2ENS0_13BinaryFunctorIhhbNS0_12_GLOBAL__N_116CompareEqFunctorIhEEEESt5arrayIPcLm3EEEEviT0_T1_.uses_flat_scratch, 0
	.set _ZN2at6native29vectorized_elementwise_kernelILi2ENS0_13BinaryFunctorIhhbNS0_12_GLOBAL__N_116CompareEqFunctorIhEEEESt5arrayIPcLm3EEEEviT0_T1_.has_dyn_sized_stack, 0
	.set _ZN2at6native29vectorized_elementwise_kernelILi2ENS0_13BinaryFunctorIhhbNS0_12_GLOBAL__N_116CompareEqFunctorIhEEEESt5arrayIPcLm3EEEEviT0_T1_.has_recursion, 0
	.set _ZN2at6native29vectorized_elementwise_kernelILi2ENS0_13BinaryFunctorIhhbNS0_12_GLOBAL__N_116CompareEqFunctorIhEEEESt5arrayIPcLm3EEEEviT0_T1_.has_indirect_call, 0
	.section	.AMDGPU.csdata,"",@progbits
; Kernel info:
; codeLenInByte = 5952
; TotalNumSgprs: 31
; NumVgprs: 39
; ScratchSize: 0
; MemoryBound: 0
; FloatMode: 240
; IeeeMode: 1
; LDSByteSize: 0 bytes/workgroup (compile time only)
; SGPRBlocks: 0
; VGPRBlocks: 2
; NumSGPRsForWavesPerEU: 31
; NumVGPRsForWavesPerEU: 39
; NamedBarCnt: 0
; Occupancy: 16
; WaveLimiterHint : 1
; COMPUTE_PGM_RSRC2:SCRATCH_EN: 0
; COMPUTE_PGM_RSRC2:USER_SGPR: 2
; COMPUTE_PGM_RSRC2:TRAP_HANDLER: 0
; COMPUTE_PGM_RSRC2:TGID_X_EN: 1
; COMPUTE_PGM_RSRC2:TGID_Y_EN: 0
; COMPUTE_PGM_RSRC2:TGID_Z_EN: 0
; COMPUTE_PGM_RSRC2:TIDIG_COMP_CNT: 0
	.section	.text._ZN2at6native27unrolled_elementwise_kernelINS0_13BinaryFunctorIhhbNS0_12_GLOBAL__N_116CompareEqFunctorIhEEEESt5arrayIPcLm3EELi4E23TrivialOffsetCalculatorILi2EjESA_ILi1EjENS0_6memory15LoadWithoutCastENSD_16StoreWithoutCastEEEviT_T0_T2_T3_T4_T5_,"axG",@progbits,_ZN2at6native27unrolled_elementwise_kernelINS0_13BinaryFunctorIhhbNS0_12_GLOBAL__N_116CompareEqFunctorIhEEEESt5arrayIPcLm3EELi4E23TrivialOffsetCalculatorILi2EjESA_ILi1EjENS0_6memory15LoadWithoutCastENSD_16StoreWithoutCastEEEviT_T0_T2_T3_T4_T5_,comdat
	.globl	_ZN2at6native27unrolled_elementwise_kernelINS0_13BinaryFunctorIhhbNS0_12_GLOBAL__N_116CompareEqFunctorIhEEEESt5arrayIPcLm3EELi4E23TrivialOffsetCalculatorILi2EjESA_ILi1EjENS0_6memory15LoadWithoutCastENSD_16StoreWithoutCastEEEviT_T0_T2_T3_T4_T5_ ; -- Begin function _ZN2at6native27unrolled_elementwise_kernelINS0_13BinaryFunctorIhhbNS0_12_GLOBAL__N_116CompareEqFunctorIhEEEESt5arrayIPcLm3EELi4E23TrivialOffsetCalculatorILi2EjESA_ILi1EjENS0_6memory15LoadWithoutCastENSD_16StoreWithoutCastEEEviT_T0_T2_T3_T4_T5_
	.p2align	8
	.type	_ZN2at6native27unrolled_elementwise_kernelINS0_13BinaryFunctorIhhbNS0_12_GLOBAL__N_116CompareEqFunctorIhEEEESt5arrayIPcLm3EELi4E23TrivialOffsetCalculatorILi2EjESA_ILi1EjENS0_6memory15LoadWithoutCastENSD_16StoreWithoutCastEEEviT_T0_T2_T3_T4_T5_,@function
_ZN2at6native27unrolled_elementwise_kernelINS0_13BinaryFunctorIhhbNS0_12_GLOBAL__N_116CompareEqFunctorIhEEEESt5arrayIPcLm3EELi4E23TrivialOffsetCalculatorILi2EjESA_ILi1EjENS0_6memory15LoadWithoutCastENSD_16StoreWithoutCastEEEviT_T0_T2_T3_T4_T5_: ; @_ZN2at6native27unrolled_elementwise_kernelINS0_13BinaryFunctorIhhbNS0_12_GLOBAL__N_116CompareEqFunctorIhEEEESt5arrayIPcLm3EELi4E23TrivialOffsetCalculatorILi2EjESA_ILi1EjENS0_6memory15LoadWithoutCastENSD_16StoreWithoutCastEEEviT_T0_T2_T3_T4_T5_
; %bb.0:
	s_load_b64 s[2:3], s[0:1], 0x0
	s_bfe_u32 s10, ttmp6, 0x4000c
	s_clause 0x1
	s_load_b128 s[4:7], s[0:1], 0x8
	s_load_b64 s[8:9], s[0:1], 0x18
	s_add_co_i32 s10, s10, 1
	s_wait_xcnt 0x0
	s_and_b32 s0, ttmp6, 15
	s_mul_i32 s1, ttmp9, s10
	s_getreg_b32 s10, hwreg(HW_REG_IB_STS2, 6, 4)
	s_add_co_i32 s0, s0, s1
	s_cmp_eq_u32 s10, 0
	v_or_b32_e32 v1, 0x100, v0
	s_cselect_b32 s0, ttmp9, s0
	s_mov_b32 s11, 0
	s_lshl_b32 s10, s0, 10
	s_wait_kmcnt 0x0
	s_sub_co_i32 s2, s2, s10
	s_delay_alu instid0(SALU_CYCLE_1) | instskip(SKIP_2) | instid1(SALU_CYCLE_1)
	v_cmp_le_i32_e64 s0, s2, v0
	v_cmp_gt_i32_e32 vcc_lo, s2, v0
	s_and_saveexec_b32 s1, s0
	s_xor_b32 s0, exec_lo, s1
; %bb.1:
	v_or_b32_e32 v1, 0x100, v0
; %bb.2:
	s_or_saveexec_b32 s1, s0
	v_dual_mov_b32 v3, 0 :: v_dual_bitop2_b32 v2, s10, v0 bitop3:0x54
	v_dual_mov_b32 v4, 0 :: v_dual_mov_b32 v6, 0
	v_dual_mov_b32 v7, 0 :: v_dual_mov_b32 v5, 0
	v_mov_b32_e32 v8, 0
	s_xor_b32 exec_lo, exec_lo, s1
	s_cbranch_execz .LBB4_10
; %bb.3:
	s_clause 0x1
	global_load_u8 v5, v2, s[6:7]
	global_load_u8 v8, v2, s[8:9]
	v_dual_mov_b32 v7, 0 :: v_dual_mov_b32 v6, 0
	v_dual_mov_b32 v4, 0 :: v_dual_mov_b32 v3, 0
	s_mov_b32 s12, 0
	s_mov_b32 s11, exec_lo
	s_wait_xcnt 0x0
	v_cmpx_gt_u32_e64 s2, v1
	s_cbranch_execz .LBB4_9
; %bb.4:
	v_dual_mov_b32 v4, 0 :: v_dual_add_nc_u32 v3, s10, v1
	v_or_b32_e32 v9, 0x200, v0
	s_mov_b32 s13, 0
	s_mov_b32 s12, exec_lo
	s_clause 0x1
	global_load_u8 v6, v3, s[6:7]
	global_load_u8 v7, v3, s[8:9]
	s_wait_xcnt 0x0
	v_mov_b32_e32 v3, 0
	v_cmpx_gt_u32_e64 s2, v9
	s_cbranch_execz .LBB4_8
; %bb.5:
	v_add_nc_u32_e32 v9, s10, v9
	s_mov_b32 s14, 0
	s_mov_b32 s13, exec_lo
	s_clause 0x1
	global_load_u8 v3, v9, s[6:7]
	global_load_u8 v4, v9, s[8:9]
	s_wait_xcnt 0x0
	v_or_b32_e32 v9, 0x300, v0
	s_delay_alu instid0(VALU_DEP_1)
	v_cmpx_gt_u32_e64 s2, v9
	s_cbranch_execz .LBB4_7
; %bb.6:
	v_add_nc_u32_e32 v9, s10, v9
	s_clause 0x1
	global_load_u8 v10, v9, s[6:7]
	global_load_u8 v11, v9, s[8:9]
	s_wait_loadcnt 0x0
	v_cmp_ne_u16_e64 s0, v10, v11
	s_and_b32 s14, s0, exec_lo
.LBB4_7:
	s_or_b32 exec_lo, exec_lo, s13
	s_delay_alu instid0(SALU_CYCLE_1)
	s_and_b32 s13, s14, exec_lo
.LBB4_8:
	s_or_b32 exec_lo, exec_lo, s12
	s_delay_alu instid0(SALU_CYCLE_1)
	s_and_b32 s12, s13, exec_lo
.LBB4_9:
	s_or_b32 exec_lo, exec_lo, s11
	s_delay_alu instid0(SALU_CYCLE_1)
	s_and_b32 s11, s12, exec_lo
.LBB4_10:
	s_or_b32 exec_lo, exec_lo, s1
	s_wait_loadcnt 0x0
	v_and_b32_e32 v8, 0xff, v8
	v_and_b32_e32 v5, 0xff, v5
	;; [unrolled: 1-line block ×4, first 2 shown]
	s_cmp_eq_u32 s3, 0
	v_and_b32_e32 v4, 0xff, v4
	v_cmp_ne_u16_e64 s0, v5, v8
	s_cselect_b32 s3, -1, 0
	v_cmp_ne_u16_e64 s1, v6, v7
	v_and_b32_e32 v3, 0xff, v3
	s_xor_b32 s0, s3, s0
	s_delay_alu instid0(SALU_CYCLE_1) | instskip(SKIP_1) | instid1(SALU_CYCLE_1)
	v_cndmask_b32_e64 v5, 0, 1, s0
	s_xor_b32 s0, s3, s1
	v_cndmask_b32_e64 v6, 0, 1, s0
	v_cmp_ne_u16_e64 s0, v3, v4
	s_delay_alu instid0(VALU_DEP_2) | instskip(SKIP_1) | instid1(SALU_CYCLE_1)
	v_lshlrev_b16 v6, 8, v6
	s_xor_b32 s0, s3, s0
	v_cndmask_b32_e64 v4, 0, 1, s0
	v_cndmask_b32_e32 v5, 0, v5, vcc_lo
	v_cmp_gt_i32_e64 s0, s2, v1
	s_delay_alu instid0(VALU_DEP_2) | instskip(NEXT) | instid1(VALU_DEP_1)
	v_dual_lshlrev_b32 v4, 16, v4 :: v_dual_bitop2_b32 v3, v5, v6 bitop3:0x54
	v_and_b32_e32 v3, 0xffff, v3
	s_delay_alu instid0(VALU_DEP_1) | instskip(SKIP_1) | instid1(VALU_DEP_2)
	v_cndmask_b32_e64 v3, v5, v3, s0
	v_or_b32_e32 v5, 0x200, v0
	v_or_b32_e32 v4, v3, v4
	s_delay_alu instid0(VALU_DEP_2) | instskip(NEXT) | instid1(VALU_DEP_1)
	v_cmp_gt_i32_e64 s0, s2, v5
	v_cndmask_b32_e64 v3, v3, v4, s0
	s_xor_b32 s0, s3, s11
	s_delay_alu instid0(SALU_CYCLE_1) | instskip(NEXT) | instid1(VALU_DEP_2)
	v_cndmask_b32_e64 v4, 0, 1, s0
	v_lshrrev_b32_e32 v5, 16, v3
	s_delay_alu instid0(VALU_DEP_2) | instskip(NEXT) | instid1(VALU_DEP_1)
	v_lshlrev_b16 v4, 8, v4
	v_bitop3_b16 v4, v5, v4, 0xff bitop3:0xec
	v_or_b32_e32 v5, 0x300, v0
	s_delay_alu instid0(VALU_DEP_2) | instskip(NEXT) | instid1(VALU_DEP_2)
	v_lshlrev_b32_e32 v4, 16, v4
	v_cmp_gt_i32_e64 s0, s2, v5
	s_delay_alu instid0(VALU_DEP_2) | instskip(NEXT) | instid1(VALU_DEP_1)
	v_and_or_b32 v4, 0xffff, v3, v4
	v_cndmask_b32_e64 v3, v3, v4, s0
	s_and_saveexec_b32 s0, vcc_lo
	s_cbranch_execnz .LBB4_15
; %bb.11:
	s_or_b32 exec_lo, exec_lo, s0
	s_delay_alu instid0(SALU_CYCLE_1)
	s_mov_b32 s0, exec_lo
	v_cmpx_gt_i32_e64 s2, v0
	s_cbranch_execnz .LBB4_16
.LBB4_12:
	s_or_b32 exec_lo, exec_lo, s0
	s_delay_alu instid0(SALU_CYCLE_1)
	s_mov_b32 s0, exec_lo
	v_cmpx_gt_i32_e64 s2, v0
	s_cbranch_execnz .LBB4_17
.LBB4_13:
	s_or_b32 exec_lo, exec_lo, s0
	s_delay_alu instid0(SALU_CYCLE_1)
	s_mov_b32 s0, exec_lo
	v_cmpx_gt_i32_e64 s2, v0
	s_cbranch_execnz .LBB4_18
.LBB4_14:
	s_endpgm
.LBB4_15:
	v_mov_b32_e32 v0, v1
	global_store_b8 v2, v3, s[4:5]
	s_wait_xcnt 0x0
	s_or_b32 exec_lo, exec_lo, s0
	s_delay_alu instid0(SALU_CYCLE_1)
	s_mov_b32 s0, exec_lo
	v_cmpx_gt_i32_e64 s2, v0
	s_cbranch_execz .LBB4_12
.LBB4_16:
	v_add_nc_u32_e32 v1, 0x100, v0
	v_dual_add_nc_u32 v2, s10, v0 :: v_dual_lshrrev_b32 v4, 8, v3
	s_delay_alu instid0(VALU_DEP_2) | instskip(SKIP_3) | instid1(SALU_CYCLE_1)
	v_mov_b32_e32 v0, v1
	global_store_b8 v2, v4, s[4:5]
	s_wait_xcnt 0x0
	s_or_b32 exec_lo, exec_lo, s0
	s_mov_b32 s0, exec_lo
	v_cmpx_gt_i32_e64 s2, v0
	s_cbranch_execz .LBB4_13
.LBB4_17:
	v_add_nc_u32_e32 v1, 0x100, v0
	s_delay_alu instid0(VALU_DEP_1) | instskip(SKIP_3) | instid1(SALU_CYCLE_1)
	v_dual_add_nc_u32 v2, s10, v0 :: v_dual_mov_b32 v0, v1
	global_store_d16_hi_b8 v2, v3, s[4:5]
	s_wait_xcnt 0x0
	s_or_b32 exec_lo, exec_lo, s0
	s_mov_b32 s0, exec_lo
	v_cmpx_gt_i32_e64 s2, v0
	s_cbranch_execz .LBB4_14
.LBB4_18:
	v_dual_add_nc_u32 v0, s10, v0 :: v_dual_lshrrev_b32 v1, 24, v3
	global_store_b8 v0, v1, s[4:5]
	s_endpgm
	.section	.rodata,"a",@progbits
	.p2align	6, 0x0
	.amdhsa_kernel _ZN2at6native27unrolled_elementwise_kernelINS0_13BinaryFunctorIhhbNS0_12_GLOBAL__N_116CompareEqFunctorIhEEEESt5arrayIPcLm3EELi4E23TrivialOffsetCalculatorILi2EjESA_ILi1EjENS0_6memory15LoadWithoutCastENSD_16StoreWithoutCastEEEviT_T0_T2_T3_T4_T5_
		.amdhsa_group_segment_fixed_size 0
		.amdhsa_private_segment_fixed_size 0
		.amdhsa_kernarg_size 36
		.amdhsa_user_sgpr_count 2
		.amdhsa_user_sgpr_dispatch_ptr 0
		.amdhsa_user_sgpr_queue_ptr 0
		.amdhsa_user_sgpr_kernarg_segment_ptr 1
		.amdhsa_user_sgpr_dispatch_id 0
		.amdhsa_user_sgpr_kernarg_preload_length 0
		.amdhsa_user_sgpr_kernarg_preload_offset 0
		.amdhsa_user_sgpr_private_segment_size 0
		.amdhsa_wavefront_size32 1
		.amdhsa_uses_dynamic_stack 0
		.amdhsa_enable_private_segment 0
		.amdhsa_system_sgpr_workgroup_id_x 1
		.amdhsa_system_sgpr_workgroup_id_y 0
		.amdhsa_system_sgpr_workgroup_id_z 0
		.amdhsa_system_sgpr_workgroup_info 0
		.amdhsa_system_vgpr_workitem_id 0
		.amdhsa_next_free_vgpr 12
		.amdhsa_next_free_sgpr 15
		.amdhsa_named_barrier_count 0
		.amdhsa_reserve_vcc 1
		.amdhsa_float_round_mode_32 0
		.amdhsa_float_round_mode_16_64 0
		.amdhsa_float_denorm_mode_32 3
		.amdhsa_float_denorm_mode_16_64 3
		.amdhsa_fp16_overflow 0
		.amdhsa_memory_ordered 1
		.amdhsa_forward_progress 1
		.amdhsa_inst_pref_size 9
		.amdhsa_round_robin_scheduling 0
		.amdhsa_exception_fp_ieee_invalid_op 0
		.amdhsa_exception_fp_denorm_src 0
		.amdhsa_exception_fp_ieee_div_zero 0
		.amdhsa_exception_fp_ieee_overflow 0
		.amdhsa_exception_fp_ieee_underflow 0
		.amdhsa_exception_fp_ieee_inexact 0
		.amdhsa_exception_int_div_zero 0
	.end_amdhsa_kernel
	.section	.text._ZN2at6native27unrolled_elementwise_kernelINS0_13BinaryFunctorIhhbNS0_12_GLOBAL__N_116CompareEqFunctorIhEEEESt5arrayIPcLm3EELi4E23TrivialOffsetCalculatorILi2EjESA_ILi1EjENS0_6memory15LoadWithoutCastENSD_16StoreWithoutCastEEEviT_T0_T2_T3_T4_T5_,"axG",@progbits,_ZN2at6native27unrolled_elementwise_kernelINS0_13BinaryFunctorIhhbNS0_12_GLOBAL__N_116CompareEqFunctorIhEEEESt5arrayIPcLm3EELi4E23TrivialOffsetCalculatorILi2EjESA_ILi1EjENS0_6memory15LoadWithoutCastENSD_16StoreWithoutCastEEEviT_T0_T2_T3_T4_T5_,comdat
.Lfunc_end4:
	.size	_ZN2at6native27unrolled_elementwise_kernelINS0_13BinaryFunctorIhhbNS0_12_GLOBAL__N_116CompareEqFunctorIhEEEESt5arrayIPcLm3EELi4E23TrivialOffsetCalculatorILi2EjESA_ILi1EjENS0_6memory15LoadWithoutCastENSD_16StoreWithoutCastEEEviT_T0_T2_T3_T4_T5_, .Lfunc_end4-_ZN2at6native27unrolled_elementwise_kernelINS0_13BinaryFunctorIhhbNS0_12_GLOBAL__N_116CompareEqFunctorIhEEEESt5arrayIPcLm3EELi4E23TrivialOffsetCalculatorILi2EjESA_ILi1EjENS0_6memory15LoadWithoutCastENSD_16StoreWithoutCastEEEviT_T0_T2_T3_T4_T5_
                                        ; -- End function
	.set _ZN2at6native27unrolled_elementwise_kernelINS0_13BinaryFunctorIhhbNS0_12_GLOBAL__N_116CompareEqFunctorIhEEEESt5arrayIPcLm3EELi4E23TrivialOffsetCalculatorILi2EjESA_ILi1EjENS0_6memory15LoadWithoutCastENSD_16StoreWithoutCastEEEviT_T0_T2_T3_T4_T5_.num_vgpr, 12
	.set _ZN2at6native27unrolled_elementwise_kernelINS0_13BinaryFunctorIhhbNS0_12_GLOBAL__N_116CompareEqFunctorIhEEEESt5arrayIPcLm3EELi4E23TrivialOffsetCalculatorILi2EjESA_ILi1EjENS0_6memory15LoadWithoutCastENSD_16StoreWithoutCastEEEviT_T0_T2_T3_T4_T5_.num_agpr, 0
	.set _ZN2at6native27unrolled_elementwise_kernelINS0_13BinaryFunctorIhhbNS0_12_GLOBAL__N_116CompareEqFunctorIhEEEESt5arrayIPcLm3EELi4E23TrivialOffsetCalculatorILi2EjESA_ILi1EjENS0_6memory15LoadWithoutCastENSD_16StoreWithoutCastEEEviT_T0_T2_T3_T4_T5_.numbered_sgpr, 15
	.set _ZN2at6native27unrolled_elementwise_kernelINS0_13BinaryFunctorIhhbNS0_12_GLOBAL__N_116CompareEqFunctorIhEEEESt5arrayIPcLm3EELi4E23TrivialOffsetCalculatorILi2EjESA_ILi1EjENS0_6memory15LoadWithoutCastENSD_16StoreWithoutCastEEEviT_T0_T2_T3_T4_T5_.num_named_barrier, 0
	.set _ZN2at6native27unrolled_elementwise_kernelINS0_13BinaryFunctorIhhbNS0_12_GLOBAL__N_116CompareEqFunctorIhEEEESt5arrayIPcLm3EELi4E23TrivialOffsetCalculatorILi2EjESA_ILi1EjENS0_6memory15LoadWithoutCastENSD_16StoreWithoutCastEEEviT_T0_T2_T3_T4_T5_.private_seg_size, 0
	.set _ZN2at6native27unrolled_elementwise_kernelINS0_13BinaryFunctorIhhbNS0_12_GLOBAL__N_116CompareEqFunctorIhEEEESt5arrayIPcLm3EELi4E23TrivialOffsetCalculatorILi2EjESA_ILi1EjENS0_6memory15LoadWithoutCastENSD_16StoreWithoutCastEEEviT_T0_T2_T3_T4_T5_.uses_vcc, 1
	.set _ZN2at6native27unrolled_elementwise_kernelINS0_13BinaryFunctorIhhbNS0_12_GLOBAL__N_116CompareEqFunctorIhEEEESt5arrayIPcLm3EELi4E23TrivialOffsetCalculatorILi2EjESA_ILi1EjENS0_6memory15LoadWithoutCastENSD_16StoreWithoutCastEEEviT_T0_T2_T3_T4_T5_.uses_flat_scratch, 0
	.set _ZN2at6native27unrolled_elementwise_kernelINS0_13BinaryFunctorIhhbNS0_12_GLOBAL__N_116CompareEqFunctorIhEEEESt5arrayIPcLm3EELi4E23TrivialOffsetCalculatorILi2EjESA_ILi1EjENS0_6memory15LoadWithoutCastENSD_16StoreWithoutCastEEEviT_T0_T2_T3_T4_T5_.has_dyn_sized_stack, 0
	.set _ZN2at6native27unrolled_elementwise_kernelINS0_13BinaryFunctorIhhbNS0_12_GLOBAL__N_116CompareEqFunctorIhEEEESt5arrayIPcLm3EELi4E23TrivialOffsetCalculatorILi2EjESA_ILi1EjENS0_6memory15LoadWithoutCastENSD_16StoreWithoutCastEEEviT_T0_T2_T3_T4_T5_.has_recursion, 0
	.set _ZN2at6native27unrolled_elementwise_kernelINS0_13BinaryFunctorIhhbNS0_12_GLOBAL__N_116CompareEqFunctorIhEEEESt5arrayIPcLm3EELi4E23TrivialOffsetCalculatorILi2EjESA_ILi1EjENS0_6memory15LoadWithoutCastENSD_16StoreWithoutCastEEEviT_T0_T2_T3_T4_T5_.has_indirect_call, 0
	.section	.AMDGPU.csdata,"",@progbits
; Kernel info:
; codeLenInByte = 1060
; TotalNumSgprs: 17
; NumVgprs: 12
; ScratchSize: 0
; MemoryBound: 0
; FloatMode: 240
; IeeeMode: 1
; LDSByteSize: 0 bytes/workgroup (compile time only)
; SGPRBlocks: 0
; VGPRBlocks: 0
; NumSGPRsForWavesPerEU: 17
; NumVGPRsForWavesPerEU: 12
; NamedBarCnt: 0
; Occupancy: 16
; WaveLimiterHint : 0
; COMPUTE_PGM_RSRC2:SCRATCH_EN: 0
; COMPUTE_PGM_RSRC2:USER_SGPR: 2
; COMPUTE_PGM_RSRC2:TRAP_HANDLER: 0
; COMPUTE_PGM_RSRC2:TGID_X_EN: 1
; COMPUTE_PGM_RSRC2:TGID_Y_EN: 0
; COMPUTE_PGM_RSRC2:TGID_Z_EN: 0
; COMPUTE_PGM_RSRC2:TIDIG_COMP_CNT: 0
	.section	.text._ZN2at6native32elementwise_kernel_manual_unrollILi128ELi8EZNS0_22gpu_kernel_impl_nocastINS0_13BinaryFunctorIhhbNS0_12_GLOBAL__N_116CompareEqFunctorIhEEEEEEvRNS_18TensorIteratorBaseERKT_EUlibE_EEviT1_,"axG",@progbits,_ZN2at6native32elementwise_kernel_manual_unrollILi128ELi8EZNS0_22gpu_kernel_impl_nocastINS0_13BinaryFunctorIhhbNS0_12_GLOBAL__N_116CompareEqFunctorIhEEEEEEvRNS_18TensorIteratorBaseERKT_EUlibE_EEviT1_,comdat
	.globl	_ZN2at6native32elementwise_kernel_manual_unrollILi128ELi8EZNS0_22gpu_kernel_impl_nocastINS0_13BinaryFunctorIhhbNS0_12_GLOBAL__N_116CompareEqFunctorIhEEEEEEvRNS_18TensorIteratorBaseERKT_EUlibE_EEviT1_ ; -- Begin function _ZN2at6native32elementwise_kernel_manual_unrollILi128ELi8EZNS0_22gpu_kernel_impl_nocastINS0_13BinaryFunctorIhhbNS0_12_GLOBAL__N_116CompareEqFunctorIhEEEEEEvRNS_18TensorIteratorBaseERKT_EUlibE_EEviT1_
	.p2align	8
	.type	_ZN2at6native32elementwise_kernel_manual_unrollILi128ELi8EZNS0_22gpu_kernel_impl_nocastINS0_13BinaryFunctorIhhbNS0_12_GLOBAL__N_116CompareEqFunctorIhEEEEEEvRNS_18TensorIteratorBaseERKT_EUlibE_EEviT1_,@function
_ZN2at6native32elementwise_kernel_manual_unrollILi128ELi8EZNS0_22gpu_kernel_impl_nocastINS0_13BinaryFunctorIhhbNS0_12_GLOBAL__N_116CompareEqFunctorIhEEEEEEvRNS_18TensorIteratorBaseERKT_EUlibE_EEviT1_: ; @_ZN2at6native32elementwise_kernel_manual_unrollILi128ELi8EZNS0_22gpu_kernel_impl_nocastINS0_13BinaryFunctorIhhbNS0_12_GLOBAL__N_116CompareEqFunctorIhEEEEEEvRNS_18TensorIteratorBaseERKT_EUlibE_EEviT1_
; %bb.0:
	s_clause 0x1
	s_load_b32 s26, s[0:1], 0x8
	s_load_b32 s33, s[0:1], 0x0
	s_bfe_u32 s2, ttmp6, 0x4000c
	s_and_b32 s3, ttmp6, 15
	s_add_co_i32 s2, s2, 1
	s_getreg_b32 s4, hwreg(HW_REG_IB_STS2, 6, 4)
	s_mul_i32 s2, ttmp9, s2
	s_add_nc_u64 s[16:17], s[0:1], 8
	s_add_co_i32 s3, s3, s2
	s_cmp_eq_u32 s4, 0
	s_mov_b32 s21, 0
	s_cselect_b32 s2, ttmp9, s3
	s_wait_xcnt 0x0
	s_mov_b32 s0, exec_lo
	v_lshl_or_b32 v0, s2, 10, v0
	s_delay_alu instid0(VALU_DEP_1) | instskip(SKIP_2) | instid1(SALU_CYCLE_1)
	v_or_b32_e32 v4, 0x380, v0
	s_wait_kmcnt 0x0
	s_add_co_i32 s27, s26, -1
	s_cmp_gt_u32 s27, 1
	s_cselect_b32 s28, -1, 0
	v_cmpx_le_i32_e64 s33, v4
	s_xor_b32 s29, exec_lo, s0
	s_cbranch_execz .LBB5_106
; %bb.1:
	s_clause 0x5
	s_load_b128 s[4:7], s[16:17], 0x4
	s_load_b64 s[18:19], s[16:17], 0x14
	s_load_b96 s[12:14], s[16:17], 0x198
	s_load_b128 s[8:11], s[16:17], 0xc4
	s_load_b64 s[22:23], s[16:17], 0xd4
	s_load_b128 s[0:3], s[16:17], 0x188
	s_cmp_lg_u32 s26, 0
	s_mov_b32 s25, s21
	s_cselect_b32 s34, -1, 0
	s_min_u32 s31, s27, 15
	s_cmp_gt_u32 s26, 1
	s_cselect_b32 s30, -1, 0
	s_wait_kmcnt 0x0
	s_mov_b32 s20, s5
	s_mov_b32 s24, s18
	s_cmp_eq_u32 s14, 0
	s_mov_b32 s18, exec_lo
	s_cselect_b32 s5, -1, 0
	v_cmpx_gt_i32_e64 s33, v0
	s_cbranch_execnz .LBB5_9
; %bb.2:
	s_or_b32 exec_lo, exec_lo, s18
	s_delay_alu instid0(SALU_CYCLE_1)
	s_mov_b32 s18, exec_lo
	v_cmpx_gt_i32_e64 s33, v0
	s_cbranch_execnz .LBB5_21
.LBB5_3:
	s_or_b32 exec_lo, exec_lo, s18
	s_delay_alu instid0(SALU_CYCLE_1)
	s_mov_b32 s18, exec_lo
	v_cmpx_gt_i32_e64 s33, v0
	s_cbranch_execnz .LBB5_33
.LBB5_4:
	s_or_b32 exec_lo, exec_lo, s18
	s_delay_alu instid0(SALU_CYCLE_1)
	s_mov_b32 s18, exec_lo
	v_cmpx_gt_i32_e64 s33, v0
	s_cbranch_execnz .LBB5_45
.LBB5_5:
	s_or_b32 exec_lo, exec_lo, s18
	s_delay_alu instid0(SALU_CYCLE_1)
	s_mov_b32 s18, exec_lo
	v_cmpx_gt_i32_e64 s33, v0
	s_cbranch_execnz .LBB5_57
.LBB5_6:
	s_or_b32 exec_lo, exec_lo, s18
	s_delay_alu instid0(SALU_CYCLE_1)
	s_mov_b32 s18, exec_lo
	v_cmpx_gt_i32_e64 s33, v0
	s_cbranch_execnz .LBB5_69
.LBB5_7:
	s_or_b32 exec_lo, exec_lo, s18
	s_delay_alu instid0(SALU_CYCLE_1)
	s_mov_b32 s18, exec_lo
	v_cmpx_gt_i32_e64 s33, v0
	s_cbranch_execnz .LBB5_81
.LBB5_8:
	s_or_b32 exec_lo, exec_lo, s18
	s_delay_alu instid0(SALU_CYCLE_1)
	s_mov_b32 s18, exec_lo
	v_cmpx_gt_i32_e64 s33, v0
	s_cbranch_execnz .LBB5_93
	s_branch .LBB5_105
.LBB5_9:
	s_and_not1_b32 vcc_lo, exec_lo, s28
	s_cbranch_vccnz .LBB5_15
; %bb.10:
	s_and_not1_b32 vcc_lo, exec_lo, s34
	s_cbranch_vccnz .LBB5_16
; %bb.11:
	v_dual_mov_b32 v4, 0 :: v_dual_mov_b32 v1, v0
	v_dual_mov_b32 v6, 0 :: v_dual_mov_b32 v5, 0
	s_add_co_i32 s35, s31, 1
	s_mov_b64 s[14:15], 0xffffffffffffffe8
	s_and_b32 s35, s35, 30
	s_add_nc_u64 s[14:15], s[16:17], s[14:15]
.LBB5_12:                               ; =>This Inner Loop Header: Depth=1
	s_clause 0x1
	s_load_b128 s[36:39], s[14:15], 0x1c
	s_load_b64 s[44:45], s[14:15], 0x2c
	s_add_co_i32 s35, s35, -2
	s_delay_alu instid0(SALU_CYCLE_1) | instskip(SKIP_2) | instid1(VALU_DEP_1)
	s_cmp_lg_u32 s35, 0
	s_wait_kmcnt 0x0
	v_mul_hi_u32 v2, s37, v1
	v_add_nc_u32_e32 v2, v1, v2
	s_delay_alu instid0(VALU_DEP_1) | instskip(NEXT) | instid1(VALU_DEP_1)
	v_lshrrev_b32_e32 v2, s38, v2
	v_mul_hi_u32 v3, s44, v2
	v_mul_lo_u32 v7, v2, s36
	s_clause 0x1
	s_load_b128 s[40:43], s[14:15], 0xdc
	s_load_b64 s[36:37], s[14:15], 0xec
	s_wait_xcnt 0x0
	s_add_nc_u64 s[14:15], s[14:15], 24
	s_delay_alu instid0(VALU_DEP_2) | instskip(NEXT) | instid1(VALU_DEP_2)
	v_add_nc_u32_e32 v3, v2, v3
	v_sub_nc_u32_e32 v7, v1, v7
	s_delay_alu instid0(VALU_DEP_2) | instskip(SKIP_1) | instid1(VALU_DEP_2)
	v_lshrrev_b32_e32 v1, s45, v3
	s_wait_kmcnt 0x0
	v_mad_u32 v4, v7, s40, v4
	s_delay_alu instid0(VALU_DEP_2) | instskip(SKIP_2) | instid1(VALU_DEP_3)
	v_mul_lo_u32 v3, v1, s39
	v_mad_u32 v5, v7, s42, v5
	v_mad_u32 v6, v7, s41, v6
	v_sub_nc_u32_e32 v2, v2, v3
	s_delay_alu instid0(VALU_DEP_1) | instskip(NEXT) | instid1(VALU_DEP_4)
	v_mad_u32 v4, v2, s43, v4
	v_mad_u32 v5, v2, s37, v5
	s_delay_alu instid0(VALU_DEP_4)
	v_mad_u32 v6, v2, s36, v6
	s_cbranch_scc1 .LBB5_12
; %bb.13:
	s_bitcmp1_b32 s31, 0
	s_cselect_b32 s35, -1, 0
	s_delay_alu instid0(SALU_CYCLE_1)
	s_and_b32 vcc_lo, exec_lo, s35
	s_cbranch_vccnz .LBB5_17
; %bb.14:
	s_clause 0x1
	s_load_b96 s[36:38], s[14:15], 0x1c
	s_load_b96 s[40:42], s[14:15], 0xdc
	s_wait_xcnt 0x0
	s_wait_kmcnt 0x0
	v_mul_hi_u32 v2, s37, v1
	s_delay_alu instid0(VALU_DEP_1) | instskip(NEXT) | instid1(VALU_DEP_1)
	v_add_nc_u32_e32 v2, v1, v2
	v_lshrrev_b32_e32 v2, s38, v2
	s_delay_alu instid0(VALU_DEP_1) | instskip(NEXT) | instid1(VALU_DEP_1)
	v_mul_lo_u32 v2, v2, s36
	v_sub_nc_u32_e32 v1, v1, v2
	s_delay_alu instid0(VALU_DEP_1)
	v_mad_u32 v4, v1, s40, v4
	v_mad_u32 v6, v1, s41, v6
	;; [unrolled: 1-line block ×3, first 2 shown]
	s_cbranch_execz .LBB5_18
	s_branch .LBB5_20
.LBB5_15:
                                        ; implicit-def: $vgpr5
                                        ; implicit-def: $vgpr6
                                        ; implicit-def: $vgpr4
	s_branch .LBB5_18
.LBB5_16:
	v_dual_mov_b32 v5, 0 :: v_dual_mov_b32 v6, 0
	v_mov_b32_e32 v4, 0
.LBB5_17:
	s_cbranch_execnz .LBB5_20
.LBB5_18:
	v_mov_b32_e32 v1, 0
	s_and_not1_b32 vcc_lo, exec_lo, s30
	s_delay_alu instid0(VALU_DEP_1) | instskip(NEXT) | instid1(VALU_DEP_1)
	v_mul_u64_e32 v[2:3], s[20:21], v[0:1]
	v_add_nc_u32_e32 v2, v0, v3
	s_delay_alu instid0(VALU_DEP_1) | instskip(NEXT) | instid1(VALU_DEP_1)
	v_lshrrev_b32_e32 v2, s6, v2
	v_mul_lo_u32 v3, v2, s4
	s_delay_alu instid0(VALU_DEP_1) | instskip(NEXT) | instid1(VALU_DEP_1)
	v_sub_nc_u32_e32 v3, v0, v3
	v_mul_lo_u32 v4, v3, s8
	v_mul_lo_u32 v5, v3, s10
	;; [unrolled: 1-line block ×3, first 2 shown]
	s_cbranch_vccnz .LBB5_20
; %bb.19:
	v_mov_b32_e32 v3, v1
	s_delay_alu instid0(VALU_DEP_1) | instskip(NEXT) | instid1(VALU_DEP_1)
	v_mul_u64_e32 v[8:9], s[24:25], v[2:3]
	v_add_nc_u32_e32 v1, v2, v9
	s_delay_alu instid0(VALU_DEP_1) | instskip(NEXT) | instid1(VALU_DEP_1)
	v_lshrrev_b32_e32 v1, s19, v1
	v_mul_lo_u32 v1, v1, s7
	s_delay_alu instid0(VALU_DEP_1) | instskip(NEXT) | instid1(VALU_DEP_1)
	v_sub_nc_u32_e32 v1, v2, v1
	v_mad_u32 v4, v1, s11, v4
	v_mad_u32 v6, v1, s22, v6
	;; [unrolled: 1-line block ×3, first 2 shown]
.LBB5_20:
	global_load_u8 v1, v6, s[2:3]
	global_load_u8 v2, v5, s[12:13]
	v_add_nc_u32_e32 v0, 0x80, v0
	s_wait_loadcnt 0x0
	v_cmp_ne_u16_e32 vcc_lo, v1, v2
	s_xor_b32 s14, s5, vcc_lo
	s_delay_alu instid0(SALU_CYCLE_1) | instskip(SKIP_3) | instid1(SALU_CYCLE_1)
	v_cndmask_b32_e64 v1, 0, 1, s14
	global_store_b8 v4, v1, s[0:1]
	s_wait_xcnt 0x0
	s_or_b32 exec_lo, exec_lo, s18
	s_mov_b32 s18, exec_lo
	v_cmpx_gt_i32_e64 s33, v0
	s_cbranch_execz .LBB5_3
.LBB5_21:
	s_and_not1_b32 vcc_lo, exec_lo, s28
	s_cbranch_vccnz .LBB5_27
; %bb.22:
	s_and_not1_b32 vcc_lo, exec_lo, s34
	s_cbranch_vccnz .LBB5_28
; %bb.23:
	v_dual_mov_b32 v4, 0 :: v_dual_mov_b32 v1, v0
	v_dual_mov_b32 v6, 0 :: v_dual_mov_b32 v5, 0
	s_add_co_i32 s35, s31, 1
	s_mov_b64 s[14:15], 0xffffffffffffffe8
	s_and_b32 s35, s35, 30
	s_add_nc_u64 s[14:15], s[16:17], s[14:15]
.LBB5_24:                               ; =>This Inner Loop Header: Depth=1
	s_clause 0x1
	s_load_b128 s[36:39], s[14:15], 0x1c
	s_load_b64 s[44:45], s[14:15], 0x2c
	s_add_co_i32 s35, s35, -2
	s_delay_alu instid0(SALU_CYCLE_1) | instskip(SKIP_2) | instid1(VALU_DEP_1)
	s_cmp_eq_u32 s35, 0
	s_wait_kmcnt 0x0
	v_mul_hi_u32 v2, s37, v1
	v_add_nc_u32_e32 v2, v1, v2
	s_delay_alu instid0(VALU_DEP_1) | instskip(NEXT) | instid1(VALU_DEP_1)
	v_lshrrev_b32_e32 v2, s38, v2
	v_mul_hi_u32 v3, s44, v2
	v_mul_lo_u32 v7, v2, s36
	s_clause 0x1
	s_load_b128 s[40:43], s[14:15], 0xdc
	s_load_b64 s[36:37], s[14:15], 0xec
	s_wait_xcnt 0x0
	s_add_nc_u64 s[14:15], s[14:15], 24
	s_delay_alu instid0(VALU_DEP_2) | instskip(NEXT) | instid1(VALU_DEP_2)
	v_add_nc_u32_e32 v3, v2, v3
	v_sub_nc_u32_e32 v7, v1, v7
	s_delay_alu instid0(VALU_DEP_2) | instskip(SKIP_1) | instid1(VALU_DEP_2)
	v_lshrrev_b32_e32 v1, s45, v3
	s_wait_kmcnt 0x0
	v_mad_u32 v4, v7, s40, v4
	s_delay_alu instid0(VALU_DEP_2) | instskip(SKIP_2) | instid1(VALU_DEP_3)
	v_mul_lo_u32 v3, v1, s39
	v_mad_u32 v5, v7, s42, v5
	v_mad_u32 v6, v7, s41, v6
	v_sub_nc_u32_e32 v2, v2, v3
	s_delay_alu instid0(VALU_DEP_1) | instskip(NEXT) | instid1(VALU_DEP_4)
	v_mad_u32 v4, v2, s43, v4
	v_mad_u32 v5, v2, s37, v5
	s_delay_alu instid0(VALU_DEP_4)
	v_mad_u32 v6, v2, s36, v6
	s_cbranch_scc0 .LBB5_24
; %bb.25:
	s_bitcmp1_b32 s31, 0
	s_cselect_b32 s35, -1, 0
	s_delay_alu instid0(SALU_CYCLE_1)
	s_and_b32 vcc_lo, exec_lo, s35
	s_cbranch_vccnz .LBB5_29
; %bb.26:
	s_clause 0x1
	s_load_b96 s[36:38], s[14:15], 0x1c
	s_load_b96 s[40:42], s[14:15], 0xdc
	s_wait_kmcnt 0x0
	v_mul_hi_u32 v2, s37, v1
	s_delay_alu instid0(VALU_DEP_1) | instskip(NEXT) | instid1(VALU_DEP_1)
	v_add_nc_u32_e32 v2, v1, v2
	v_lshrrev_b32_e32 v2, s38, v2
	s_delay_alu instid0(VALU_DEP_1) | instskip(NEXT) | instid1(VALU_DEP_1)
	v_mul_lo_u32 v2, v2, s36
	v_sub_nc_u32_e32 v1, v1, v2
	s_delay_alu instid0(VALU_DEP_1)
	v_mad_u32 v4, v1, s40, v4
	v_mad_u32 v6, v1, s41, v6
	;; [unrolled: 1-line block ×3, first 2 shown]
	s_branch .LBB5_29
.LBB5_27:
                                        ; implicit-def: $vgpr5
                                        ; implicit-def: $vgpr6
                                        ; implicit-def: $vgpr4
	s_branch .LBB5_30
.LBB5_28:
	v_dual_mov_b32 v5, 0 :: v_dual_mov_b32 v6, 0
	v_mov_b32_e32 v4, 0
.LBB5_29:
	s_cbranch_execnz .LBB5_32
.LBB5_30:
	v_mov_b32_e32 v1, 0
	s_and_not1_b32 vcc_lo, exec_lo, s30
	s_delay_alu instid0(VALU_DEP_1) | instskip(NEXT) | instid1(VALU_DEP_1)
	v_mul_u64_e32 v[2:3], s[20:21], v[0:1]
	v_add_nc_u32_e32 v2, v0, v3
	s_delay_alu instid0(VALU_DEP_1) | instskip(NEXT) | instid1(VALU_DEP_1)
	v_lshrrev_b32_e32 v2, s6, v2
	v_mul_lo_u32 v3, v2, s4
	s_delay_alu instid0(VALU_DEP_1) | instskip(NEXT) | instid1(VALU_DEP_1)
	v_sub_nc_u32_e32 v3, v0, v3
	v_mul_lo_u32 v4, v3, s8
	v_mul_lo_u32 v5, v3, s10
	;; [unrolled: 1-line block ×3, first 2 shown]
	s_cbranch_vccnz .LBB5_32
; %bb.31:
	v_mov_b32_e32 v3, v1
	s_delay_alu instid0(VALU_DEP_1) | instskip(NEXT) | instid1(VALU_DEP_1)
	v_mul_u64_e32 v[8:9], s[24:25], v[2:3]
	v_add_nc_u32_e32 v1, v2, v9
	s_delay_alu instid0(VALU_DEP_1) | instskip(NEXT) | instid1(VALU_DEP_1)
	v_lshrrev_b32_e32 v1, s19, v1
	v_mul_lo_u32 v1, v1, s7
	s_delay_alu instid0(VALU_DEP_1) | instskip(NEXT) | instid1(VALU_DEP_1)
	v_sub_nc_u32_e32 v1, v2, v1
	v_mad_u32 v4, v1, s11, v4
	v_mad_u32 v6, v1, s22, v6
	;; [unrolled: 1-line block ×3, first 2 shown]
.LBB5_32:
	global_load_u8 v1, v6, s[2:3]
	global_load_u8 v2, v5, s[12:13]
	v_add_nc_u32_e32 v0, 0x80, v0
	s_wait_loadcnt 0x0
	v_cmp_ne_u16_e32 vcc_lo, v1, v2
	s_xor_b32 s14, s5, vcc_lo
	s_delay_alu instid0(SALU_CYCLE_1) | instskip(SKIP_3) | instid1(SALU_CYCLE_1)
	v_cndmask_b32_e64 v1, 0, 1, s14
	global_store_b8 v4, v1, s[0:1]
	s_wait_xcnt 0x0
	s_or_b32 exec_lo, exec_lo, s18
	s_mov_b32 s18, exec_lo
	v_cmpx_gt_i32_e64 s33, v0
	s_cbranch_execz .LBB5_4
.LBB5_33:
	s_and_not1_b32 vcc_lo, exec_lo, s28
	s_cbranch_vccnz .LBB5_39
; %bb.34:
	s_and_not1_b32 vcc_lo, exec_lo, s34
	s_cbranch_vccnz .LBB5_40
; %bb.35:
	v_dual_mov_b32 v4, 0 :: v_dual_mov_b32 v1, v0
	v_dual_mov_b32 v6, 0 :: v_dual_mov_b32 v5, 0
	s_add_co_i32 s35, s31, 1
	s_mov_b64 s[14:15], 0xffffffffffffffe8
	s_and_b32 s35, s35, 30
	s_add_nc_u64 s[14:15], s[16:17], s[14:15]
.LBB5_36:                               ; =>This Inner Loop Header: Depth=1
	s_clause 0x1
	s_load_b128 s[36:39], s[14:15], 0x1c
	s_load_b64 s[44:45], s[14:15], 0x2c
	s_add_co_i32 s35, s35, -2
	s_delay_alu instid0(SALU_CYCLE_1) | instskip(SKIP_2) | instid1(VALU_DEP_1)
	s_cmp_eq_u32 s35, 0
	s_wait_kmcnt 0x0
	v_mul_hi_u32 v2, s37, v1
	v_add_nc_u32_e32 v2, v1, v2
	s_delay_alu instid0(VALU_DEP_1) | instskip(NEXT) | instid1(VALU_DEP_1)
	v_lshrrev_b32_e32 v2, s38, v2
	v_mul_hi_u32 v3, s44, v2
	v_mul_lo_u32 v7, v2, s36
	s_clause 0x1
	s_load_b128 s[40:43], s[14:15], 0xdc
	s_load_b64 s[36:37], s[14:15], 0xec
	s_wait_xcnt 0x0
	s_add_nc_u64 s[14:15], s[14:15], 24
	s_delay_alu instid0(VALU_DEP_2) | instskip(NEXT) | instid1(VALU_DEP_2)
	v_add_nc_u32_e32 v3, v2, v3
	v_sub_nc_u32_e32 v7, v1, v7
	s_delay_alu instid0(VALU_DEP_2) | instskip(SKIP_1) | instid1(VALU_DEP_2)
	v_lshrrev_b32_e32 v1, s45, v3
	s_wait_kmcnt 0x0
	v_mad_u32 v4, v7, s40, v4
	s_delay_alu instid0(VALU_DEP_2) | instskip(SKIP_2) | instid1(VALU_DEP_3)
	v_mul_lo_u32 v3, v1, s39
	v_mad_u32 v5, v7, s42, v5
	v_mad_u32 v6, v7, s41, v6
	v_sub_nc_u32_e32 v2, v2, v3
	s_delay_alu instid0(VALU_DEP_1) | instskip(NEXT) | instid1(VALU_DEP_4)
	v_mad_u32 v4, v2, s43, v4
	v_mad_u32 v5, v2, s37, v5
	s_delay_alu instid0(VALU_DEP_4)
	v_mad_u32 v6, v2, s36, v6
	s_cbranch_scc0 .LBB5_36
; %bb.37:
	s_bitcmp1_b32 s31, 0
	s_cselect_b32 s35, -1, 0
	s_delay_alu instid0(SALU_CYCLE_1)
	s_and_b32 vcc_lo, exec_lo, s35
	s_cbranch_vccnz .LBB5_41
; %bb.38:
	s_clause 0x1
	s_load_b96 s[36:38], s[14:15], 0x1c
	s_load_b96 s[40:42], s[14:15], 0xdc
	s_wait_kmcnt 0x0
	v_mul_hi_u32 v2, s37, v1
	s_delay_alu instid0(VALU_DEP_1) | instskip(NEXT) | instid1(VALU_DEP_1)
	v_add_nc_u32_e32 v2, v1, v2
	v_lshrrev_b32_e32 v2, s38, v2
	s_delay_alu instid0(VALU_DEP_1) | instskip(NEXT) | instid1(VALU_DEP_1)
	v_mul_lo_u32 v2, v2, s36
	v_sub_nc_u32_e32 v1, v1, v2
	s_delay_alu instid0(VALU_DEP_1)
	v_mad_u32 v4, v1, s40, v4
	v_mad_u32 v6, v1, s41, v6
	;; [unrolled: 1-line block ×3, first 2 shown]
	s_branch .LBB5_41
.LBB5_39:
                                        ; implicit-def: $vgpr5
                                        ; implicit-def: $vgpr6
                                        ; implicit-def: $vgpr4
	s_branch .LBB5_42
.LBB5_40:
	v_dual_mov_b32 v5, 0 :: v_dual_mov_b32 v6, 0
	v_mov_b32_e32 v4, 0
.LBB5_41:
	s_cbranch_execnz .LBB5_44
.LBB5_42:
	v_mov_b32_e32 v1, 0
	s_and_not1_b32 vcc_lo, exec_lo, s30
	s_delay_alu instid0(VALU_DEP_1) | instskip(NEXT) | instid1(VALU_DEP_1)
	v_mul_u64_e32 v[2:3], s[20:21], v[0:1]
	v_add_nc_u32_e32 v2, v0, v3
	s_delay_alu instid0(VALU_DEP_1) | instskip(NEXT) | instid1(VALU_DEP_1)
	v_lshrrev_b32_e32 v2, s6, v2
	v_mul_lo_u32 v3, v2, s4
	s_delay_alu instid0(VALU_DEP_1) | instskip(NEXT) | instid1(VALU_DEP_1)
	v_sub_nc_u32_e32 v3, v0, v3
	v_mul_lo_u32 v4, v3, s8
	v_mul_lo_u32 v5, v3, s10
	;; [unrolled: 1-line block ×3, first 2 shown]
	s_cbranch_vccnz .LBB5_44
; %bb.43:
	v_mov_b32_e32 v3, v1
	s_delay_alu instid0(VALU_DEP_1) | instskip(NEXT) | instid1(VALU_DEP_1)
	v_mul_u64_e32 v[8:9], s[24:25], v[2:3]
	v_add_nc_u32_e32 v1, v2, v9
	s_delay_alu instid0(VALU_DEP_1) | instskip(NEXT) | instid1(VALU_DEP_1)
	v_lshrrev_b32_e32 v1, s19, v1
	v_mul_lo_u32 v1, v1, s7
	s_delay_alu instid0(VALU_DEP_1) | instskip(NEXT) | instid1(VALU_DEP_1)
	v_sub_nc_u32_e32 v1, v2, v1
	v_mad_u32 v4, v1, s11, v4
	v_mad_u32 v6, v1, s22, v6
	;; [unrolled: 1-line block ×3, first 2 shown]
.LBB5_44:
	global_load_u8 v1, v6, s[2:3]
	global_load_u8 v2, v5, s[12:13]
	v_add_nc_u32_e32 v0, 0x80, v0
	s_wait_loadcnt 0x0
	v_cmp_ne_u16_e32 vcc_lo, v1, v2
	s_xor_b32 s14, s5, vcc_lo
	s_delay_alu instid0(SALU_CYCLE_1) | instskip(SKIP_3) | instid1(SALU_CYCLE_1)
	v_cndmask_b32_e64 v1, 0, 1, s14
	global_store_b8 v4, v1, s[0:1]
	s_wait_xcnt 0x0
	s_or_b32 exec_lo, exec_lo, s18
	s_mov_b32 s18, exec_lo
	v_cmpx_gt_i32_e64 s33, v0
	s_cbranch_execz .LBB5_5
.LBB5_45:
	s_and_not1_b32 vcc_lo, exec_lo, s28
	s_cbranch_vccnz .LBB5_51
; %bb.46:
	s_and_not1_b32 vcc_lo, exec_lo, s34
	s_cbranch_vccnz .LBB5_52
; %bb.47:
	v_dual_mov_b32 v4, 0 :: v_dual_mov_b32 v1, v0
	v_dual_mov_b32 v6, 0 :: v_dual_mov_b32 v5, 0
	s_add_co_i32 s35, s31, 1
	s_mov_b64 s[14:15], 0xffffffffffffffe8
	s_and_b32 s35, s35, 30
	s_add_nc_u64 s[14:15], s[16:17], s[14:15]
.LBB5_48:                               ; =>This Inner Loop Header: Depth=1
	s_clause 0x1
	s_load_b128 s[36:39], s[14:15], 0x1c
	s_load_b64 s[44:45], s[14:15], 0x2c
	s_add_co_i32 s35, s35, -2
	s_delay_alu instid0(SALU_CYCLE_1) | instskip(SKIP_2) | instid1(VALU_DEP_1)
	s_cmp_eq_u32 s35, 0
	s_wait_kmcnt 0x0
	v_mul_hi_u32 v2, s37, v1
	v_add_nc_u32_e32 v2, v1, v2
	s_delay_alu instid0(VALU_DEP_1) | instskip(NEXT) | instid1(VALU_DEP_1)
	v_lshrrev_b32_e32 v2, s38, v2
	v_mul_hi_u32 v3, s44, v2
	v_mul_lo_u32 v7, v2, s36
	s_clause 0x1
	s_load_b128 s[40:43], s[14:15], 0xdc
	s_load_b64 s[36:37], s[14:15], 0xec
	s_wait_xcnt 0x0
	s_add_nc_u64 s[14:15], s[14:15], 24
	s_delay_alu instid0(VALU_DEP_2) | instskip(NEXT) | instid1(VALU_DEP_2)
	v_add_nc_u32_e32 v3, v2, v3
	v_sub_nc_u32_e32 v7, v1, v7
	s_delay_alu instid0(VALU_DEP_2) | instskip(SKIP_1) | instid1(VALU_DEP_2)
	v_lshrrev_b32_e32 v1, s45, v3
	s_wait_kmcnt 0x0
	v_mad_u32 v4, v7, s40, v4
	s_delay_alu instid0(VALU_DEP_2) | instskip(SKIP_2) | instid1(VALU_DEP_3)
	v_mul_lo_u32 v3, v1, s39
	v_mad_u32 v5, v7, s42, v5
	v_mad_u32 v6, v7, s41, v6
	v_sub_nc_u32_e32 v2, v2, v3
	s_delay_alu instid0(VALU_DEP_1) | instskip(NEXT) | instid1(VALU_DEP_4)
	v_mad_u32 v4, v2, s43, v4
	v_mad_u32 v5, v2, s37, v5
	s_delay_alu instid0(VALU_DEP_4)
	v_mad_u32 v6, v2, s36, v6
	s_cbranch_scc0 .LBB5_48
; %bb.49:
	s_bitcmp1_b32 s31, 0
	s_cselect_b32 s35, -1, 0
	s_delay_alu instid0(SALU_CYCLE_1)
	s_and_b32 vcc_lo, exec_lo, s35
	s_cbranch_vccnz .LBB5_53
; %bb.50:
	s_clause 0x1
	s_load_b96 s[36:38], s[14:15], 0x1c
	s_load_b96 s[40:42], s[14:15], 0xdc
	s_wait_kmcnt 0x0
	v_mul_hi_u32 v2, s37, v1
	s_delay_alu instid0(VALU_DEP_1) | instskip(NEXT) | instid1(VALU_DEP_1)
	v_add_nc_u32_e32 v2, v1, v2
	v_lshrrev_b32_e32 v2, s38, v2
	s_delay_alu instid0(VALU_DEP_1) | instskip(NEXT) | instid1(VALU_DEP_1)
	v_mul_lo_u32 v2, v2, s36
	v_sub_nc_u32_e32 v1, v1, v2
	s_delay_alu instid0(VALU_DEP_1)
	v_mad_u32 v4, v1, s40, v4
	v_mad_u32 v6, v1, s41, v6
	;; [unrolled: 1-line block ×3, first 2 shown]
	s_branch .LBB5_53
.LBB5_51:
                                        ; implicit-def: $vgpr5
                                        ; implicit-def: $vgpr6
                                        ; implicit-def: $vgpr4
	s_branch .LBB5_54
.LBB5_52:
	v_dual_mov_b32 v5, 0 :: v_dual_mov_b32 v6, 0
	v_mov_b32_e32 v4, 0
.LBB5_53:
	s_cbranch_execnz .LBB5_56
.LBB5_54:
	v_mov_b32_e32 v1, 0
	s_and_not1_b32 vcc_lo, exec_lo, s30
	s_delay_alu instid0(VALU_DEP_1) | instskip(NEXT) | instid1(VALU_DEP_1)
	v_mul_u64_e32 v[2:3], s[20:21], v[0:1]
	v_add_nc_u32_e32 v2, v0, v3
	s_delay_alu instid0(VALU_DEP_1) | instskip(NEXT) | instid1(VALU_DEP_1)
	v_lshrrev_b32_e32 v2, s6, v2
	v_mul_lo_u32 v3, v2, s4
	s_delay_alu instid0(VALU_DEP_1) | instskip(NEXT) | instid1(VALU_DEP_1)
	v_sub_nc_u32_e32 v3, v0, v3
	v_mul_lo_u32 v4, v3, s8
	v_mul_lo_u32 v5, v3, s10
	;; [unrolled: 1-line block ×3, first 2 shown]
	s_cbranch_vccnz .LBB5_56
; %bb.55:
	v_mov_b32_e32 v3, v1
	s_delay_alu instid0(VALU_DEP_1) | instskip(NEXT) | instid1(VALU_DEP_1)
	v_mul_u64_e32 v[8:9], s[24:25], v[2:3]
	v_add_nc_u32_e32 v1, v2, v9
	s_delay_alu instid0(VALU_DEP_1) | instskip(NEXT) | instid1(VALU_DEP_1)
	v_lshrrev_b32_e32 v1, s19, v1
	v_mul_lo_u32 v1, v1, s7
	s_delay_alu instid0(VALU_DEP_1) | instskip(NEXT) | instid1(VALU_DEP_1)
	v_sub_nc_u32_e32 v1, v2, v1
	v_mad_u32 v4, v1, s11, v4
	v_mad_u32 v6, v1, s22, v6
	;; [unrolled: 1-line block ×3, first 2 shown]
.LBB5_56:
	global_load_u8 v1, v6, s[2:3]
	global_load_u8 v2, v5, s[12:13]
	v_add_nc_u32_e32 v0, 0x80, v0
	s_wait_loadcnt 0x0
	v_cmp_ne_u16_e32 vcc_lo, v1, v2
	s_xor_b32 s14, s5, vcc_lo
	s_delay_alu instid0(SALU_CYCLE_1) | instskip(SKIP_3) | instid1(SALU_CYCLE_1)
	v_cndmask_b32_e64 v1, 0, 1, s14
	global_store_b8 v4, v1, s[0:1]
	s_wait_xcnt 0x0
	s_or_b32 exec_lo, exec_lo, s18
	s_mov_b32 s18, exec_lo
	v_cmpx_gt_i32_e64 s33, v0
	s_cbranch_execz .LBB5_6
.LBB5_57:
	s_and_not1_b32 vcc_lo, exec_lo, s28
	s_cbranch_vccnz .LBB5_63
; %bb.58:
	s_and_not1_b32 vcc_lo, exec_lo, s34
	s_cbranch_vccnz .LBB5_64
; %bb.59:
	v_dual_mov_b32 v4, 0 :: v_dual_mov_b32 v1, v0
	v_dual_mov_b32 v6, 0 :: v_dual_mov_b32 v5, 0
	s_add_co_i32 s35, s31, 1
	s_mov_b64 s[14:15], 0xffffffffffffffe8
	s_and_b32 s35, s35, 30
	s_add_nc_u64 s[14:15], s[16:17], s[14:15]
.LBB5_60:                               ; =>This Inner Loop Header: Depth=1
	s_clause 0x1
	s_load_b128 s[36:39], s[14:15], 0x1c
	s_load_b64 s[44:45], s[14:15], 0x2c
	s_add_co_i32 s35, s35, -2
	s_delay_alu instid0(SALU_CYCLE_1) | instskip(SKIP_2) | instid1(VALU_DEP_1)
	s_cmp_eq_u32 s35, 0
	s_wait_kmcnt 0x0
	v_mul_hi_u32 v2, s37, v1
	v_add_nc_u32_e32 v2, v1, v2
	s_delay_alu instid0(VALU_DEP_1) | instskip(NEXT) | instid1(VALU_DEP_1)
	v_lshrrev_b32_e32 v2, s38, v2
	v_mul_hi_u32 v3, s44, v2
	v_mul_lo_u32 v7, v2, s36
	s_clause 0x1
	s_load_b128 s[40:43], s[14:15], 0xdc
	s_load_b64 s[36:37], s[14:15], 0xec
	s_wait_xcnt 0x0
	s_add_nc_u64 s[14:15], s[14:15], 24
	s_delay_alu instid0(VALU_DEP_2) | instskip(NEXT) | instid1(VALU_DEP_2)
	v_add_nc_u32_e32 v3, v2, v3
	v_sub_nc_u32_e32 v7, v1, v7
	s_delay_alu instid0(VALU_DEP_2) | instskip(SKIP_1) | instid1(VALU_DEP_2)
	v_lshrrev_b32_e32 v1, s45, v3
	s_wait_kmcnt 0x0
	v_mad_u32 v4, v7, s40, v4
	s_delay_alu instid0(VALU_DEP_2) | instskip(SKIP_2) | instid1(VALU_DEP_3)
	v_mul_lo_u32 v3, v1, s39
	v_mad_u32 v5, v7, s42, v5
	v_mad_u32 v6, v7, s41, v6
	v_sub_nc_u32_e32 v2, v2, v3
	s_delay_alu instid0(VALU_DEP_1) | instskip(NEXT) | instid1(VALU_DEP_4)
	v_mad_u32 v4, v2, s43, v4
	v_mad_u32 v5, v2, s37, v5
	s_delay_alu instid0(VALU_DEP_4)
	v_mad_u32 v6, v2, s36, v6
	s_cbranch_scc0 .LBB5_60
; %bb.61:
	s_bitcmp1_b32 s31, 0
	s_cselect_b32 s35, -1, 0
	s_delay_alu instid0(SALU_CYCLE_1)
	s_and_b32 vcc_lo, exec_lo, s35
	s_cbranch_vccnz .LBB5_65
; %bb.62:
	s_clause 0x1
	s_load_b96 s[36:38], s[14:15], 0x1c
	s_load_b96 s[40:42], s[14:15], 0xdc
	s_wait_kmcnt 0x0
	v_mul_hi_u32 v2, s37, v1
	s_delay_alu instid0(VALU_DEP_1) | instskip(NEXT) | instid1(VALU_DEP_1)
	v_add_nc_u32_e32 v2, v1, v2
	v_lshrrev_b32_e32 v2, s38, v2
	s_delay_alu instid0(VALU_DEP_1) | instskip(NEXT) | instid1(VALU_DEP_1)
	v_mul_lo_u32 v2, v2, s36
	v_sub_nc_u32_e32 v1, v1, v2
	s_delay_alu instid0(VALU_DEP_1)
	v_mad_u32 v4, v1, s40, v4
	v_mad_u32 v6, v1, s41, v6
	;; [unrolled: 1-line block ×3, first 2 shown]
	s_branch .LBB5_65
.LBB5_63:
                                        ; implicit-def: $vgpr5
                                        ; implicit-def: $vgpr6
                                        ; implicit-def: $vgpr4
	s_branch .LBB5_66
.LBB5_64:
	v_dual_mov_b32 v5, 0 :: v_dual_mov_b32 v6, 0
	v_mov_b32_e32 v4, 0
.LBB5_65:
	s_cbranch_execnz .LBB5_68
.LBB5_66:
	v_mov_b32_e32 v1, 0
	s_and_not1_b32 vcc_lo, exec_lo, s30
	s_delay_alu instid0(VALU_DEP_1) | instskip(NEXT) | instid1(VALU_DEP_1)
	v_mul_u64_e32 v[2:3], s[20:21], v[0:1]
	v_add_nc_u32_e32 v2, v0, v3
	s_delay_alu instid0(VALU_DEP_1) | instskip(NEXT) | instid1(VALU_DEP_1)
	v_lshrrev_b32_e32 v2, s6, v2
	v_mul_lo_u32 v3, v2, s4
	s_delay_alu instid0(VALU_DEP_1) | instskip(NEXT) | instid1(VALU_DEP_1)
	v_sub_nc_u32_e32 v3, v0, v3
	v_mul_lo_u32 v4, v3, s8
	v_mul_lo_u32 v5, v3, s10
	;; [unrolled: 1-line block ×3, first 2 shown]
	s_cbranch_vccnz .LBB5_68
; %bb.67:
	v_mov_b32_e32 v3, v1
	s_delay_alu instid0(VALU_DEP_1) | instskip(NEXT) | instid1(VALU_DEP_1)
	v_mul_u64_e32 v[8:9], s[24:25], v[2:3]
	v_add_nc_u32_e32 v1, v2, v9
	s_delay_alu instid0(VALU_DEP_1) | instskip(NEXT) | instid1(VALU_DEP_1)
	v_lshrrev_b32_e32 v1, s19, v1
	v_mul_lo_u32 v1, v1, s7
	s_delay_alu instid0(VALU_DEP_1) | instskip(NEXT) | instid1(VALU_DEP_1)
	v_sub_nc_u32_e32 v1, v2, v1
	v_mad_u32 v4, v1, s11, v4
	v_mad_u32 v6, v1, s22, v6
	v_mad_u32 v5, v1, s23, v5
.LBB5_68:
	global_load_u8 v1, v6, s[2:3]
	global_load_u8 v2, v5, s[12:13]
	v_add_nc_u32_e32 v0, 0x80, v0
	s_wait_loadcnt 0x0
	v_cmp_ne_u16_e32 vcc_lo, v1, v2
	s_xor_b32 s14, s5, vcc_lo
	s_delay_alu instid0(SALU_CYCLE_1) | instskip(SKIP_3) | instid1(SALU_CYCLE_1)
	v_cndmask_b32_e64 v1, 0, 1, s14
	global_store_b8 v4, v1, s[0:1]
	s_wait_xcnt 0x0
	s_or_b32 exec_lo, exec_lo, s18
	s_mov_b32 s18, exec_lo
	v_cmpx_gt_i32_e64 s33, v0
	s_cbranch_execz .LBB5_7
.LBB5_69:
	s_and_not1_b32 vcc_lo, exec_lo, s28
	s_cbranch_vccnz .LBB5_75
; %bb.70:
	s_and_not1_b32 vcc_lo, exec_lo, s34
	s_cbranch_vccnz .LBB5_76
; %bb.71:
	v_dual_mov_b32 v4, 0 :: v_dual_mov_b32 v1, v0
	v_dual_mov_b32 v6, 0 :: v_dual_mov_b32 v5, 0
	s_add_co_i32 s35, s31, 1
	s_mov_b64 s[14:15], 0xffffffffffffffe8
	s_and_b32 s35, s35, 30
	s_add_nc_u64 s[14:15], s[16:17], s[14:15]
.LBB5_72:                               ; =>This Inner Loop Header: Depth=1
	s_clause 0x1
	s_load_b128 s[36:39], s[14:15], 0x1c
	s_load_b64 s[44:45], s[14:15], 0x2c
	s_add_co_i32 s35, s35, -2
	s_delay_alu instid0(SALU_CYCLE_1) | instskip(SKIP_2) | instid1(VALU_DEP_1)
	s_cmp_eq_u32 s35, 0
	s_wait_kmcnt 0x0
	v_mul_hi_u32 v2, s37, v1
	v_add_nc_u32_e32 v2, v1, v2
	s_delay_alu instid0(VALU_DEP_1) | instskip(NEXT) | instid1(VALU_DEP_1)
	v_lshrrev_b32_e32 v2, s38, v2
	v_mul_hi_u32 v3, s44, v2
	v_mul_lo_u32 v7, v2, s36
	s_clause 0x1
	s_load_b128 s[40:43], s[14:15], 0xdc
	s_load_b64 s[36:37], s[14:15], 0xec
	s_wait_xcnt 0x0
	s_add_nc_u64 s[14:15], s[14:15], 24
	s_delay_alu instid0(VALU_DEP_2) | instskip(NEXT) | instid1(VALU_DEP_2)
	v_add_nc_u32_e32 v3, v2, v3
	v_sub_nc_u32_e32 v7, v1, v7
	s_delay_alu instid0(VALU_DEP_2) | instskip(SKIP_1) | instid1(VALU_DEP_2)
	v_lshrrev_b32_e32 v1, s45, v3
	s_wait_kmcnt 0x0
	v_mad_u32 v4, v7, s40, v4
	s_delay_alu instid0(VALU_DEP_2) | instskip(SKIP_2) | instid1(VALU_DEP_3)
	v_mul_lo_u32 v3, v1, s39
	v_mad_u32 v5, v7, s42, v5
	v_mad_u32 v6, v7, s41, v6
	v_sub_nc_u32_e32 v2, v2, v3
	s_delay_alu instid0(VALU_DEP_1) | instskip(NEXT) | instid1(VALU_DEP_4)
	v_mad_u32 v4, v2, s43, v4
	v_mad_u32 v5, v2, s37, v5
	s_delay_alu instid0(VALU_DEP_4)
	v_mad_u32 v6, v2, s36, v6
	s_cbranch_scc0 .LBB5_72
; %bb.73:
	s_bitcmp1_b32 s31, 0
	s_cselect_b32 s35, -1, 0
	s_delay_alu instid0(SALU_CYCLE_1)
	s_and_b32 vcc_lo, exec_lo, s35
	s_cbranch_vccnz .LBB5_77
; %bb.74:
	s_clause 0x1
	s_load_b96 s[36:38], s[14:15], 0x1c
	s_load_b96 s[40:42], s[14:15], 0xdc
	s_wait_kmcnt 0x0
	v_mul_hi_u32 v2, s37, v1
	s_delay_alu instid0(VALU_DEP_1) | instskip(NEXT) | instid1(VALU_DEP_1)
	v_add_nc_u32_e32 v2, v1, v2
	v_lshrrev_b32_e32 v2, s38, v2
	s_delay_alu instid0(VALU_DEP_1) | instskip(NEXT) | instid1(VALU_DEP_1)
	v_mul_lo_u32 v2, v2, s36
	v_sub_nc_u32_e32 v1, v1, v2
	s_delay_alu instid0(VALU_DEP_1)
	v_mad_u32 v4, v1, s40, v4
	v_mad_u32 v6, v1, s41, v6
	;; [unrolled: 1-line block ×3, first 2 shown]
	s_branch .LBB5_77
.LBB5_75:
                                        ; implicit-def: $vgpr5
                                        ; implicit-def: $vgpr6
                                        ; implicit-def: $vgpr4
	s_branch .LBB5_78
.LBB5_76:
	v_dual_mov_b32 v5, 0 :: v_dual_mov_b32 v6, 0
	v_mov_b32_e32 v4, 0
.LBB5_77:
	s_cbranch_execnz .LBB5_80
.LBB5_78:
	v_mov_b32_e32 v1, 0
	s_and_not1_b32 vcc_lo, exec_lo, s30
	s_delay_alu instid0(VALU_DEP_1) | instskip(NEXT) | instid1(VALU_DEP_1)
	v_mul_u64_e32 v[2:3], s[20:21], v[0:1]
	v_add_nc_u32_e32 v2, v0, v3
	s_delay_alu instid0(VALU_DEP_1) | instskip(NEXT) | instid1(VALU_DEP_1)
	v_lshrrev_b32_e32 v2, s6, v2
	v_mul_lo_u32 v3, v2, s4
	s_delay_alu instid0(VALU_DEP_1) | instskip(NEXT) | instid1(VALU_DEP_1)
	v_sub_nc_u32_e32 v3, v0, v3
	v_mul_lo_u32 v4, v3, s8
	v_mul_lo_u32 v5, v3, s10
	;; [unrolled: 1-line block ×3, first 2 shown]
	s_cbranch_vccnz .LBB5_80
; %bb.79:
	v_mov_b32_e32 v3, v1
	s_delay_alu instid0(VALU_DEP_1) | instskip(NEXT) | instid1(VALU_DEP_1)
	v_mul_u64_e32 v[8:9], s[24:25], v[2:3]
	v_add_nc_u32_e32 v1, v2, v9
	s_delay_alu instid0(VALU_DEP_1) | instskip(NEXT) | instid1(VALU_DEP_1)
	v_lshrrev_b32_e32 v1, s19, v1
	v_mul_lo_u32 v1, v1, s7
	s_delay_alu instid0(VALU_DEP_1) | instskip(NEXT) | instid1(VALU_DEP_1)
	v_sub_nc_u32_e32 v1, v2, v1
	v_mad_u32 v4, v1, s11, v4
	v_mad_u32 v6, v1, s22, v6
	;; [unrolled: 1-line block ×3, first 2 shown]
.LBB5_80:
	global_load_u8 v1, v6, s[2:3]
	global_load_u8 v2, v5, s[12:13]
	v_add_nc_u32_e32 v0, 0x80, v0
	s_wait_loadcnt 0x0
	v_cmp_ne_u16_e32 vcc_lo, v1, v2
	s_xor_b32 s14, s5, vcc_lo
	s_delay_alu instid0(SALU_CYCLE_1) | instskip(SKIP_3) | instid1(SALU_CYCLE_1)
	v_cndmask_b32_e64 v1, 0, 1, s14
	global_store_b8 v4, v1, s[0:1]
	s_wait_xcnt 0x0
	s_or_b32 exec_lo, exec_lo, s18
	s_mov_b32 s18, exec_lo
	v_cmpx_gt_i32_e64 s33, v0
	s_cbranch_execz .LBB5_8
.LBB5_81:
	s_and_not1_b32 vcc_lo, exec_lo, s28
	s_cbranch_vccnz .LBB5_87
; %bb.82:
	s_and_not1_b32 vcc_lo, exec_lo, s34
	s_cbranch_vccnz .LBB5_88
; %bb.83:
	v_dual_mov_b32 v4, 0 :: v_dual_mov_b32 v1, v0
	v_dual_mov_b32 v6, 0 :: v_dual_mov_b32 v5, 0
	s_add_co_i32 s35, s31, 1
	s_mov_b64 s[14:15], 0xffffffffffffffe8
	s_and_b32 s35, s35, 30
	s_add_nc_u64 s[14:15], s[16:17], s[14:15]
.LBB5_84:                               ; =>This Inner Loop Header: Depth=1
	s_clause 0x1
	s_load_b128 s[36:39], s[14:15], 0x1c
	s_load_b64 s[44:45], s[14:15], 0x2c
	s_add_co_i32 s35, s35, -2
	s_delay_alu instid0(SALU_CYCLE_1) | instskip(SKIP_2) | instid1(VALU_DEP_1)
	s_cmp_eq_u32 s35, 0
	s_wait_kmcnt 0x0
	v_mul_hi_u32 v2, s37, v1
	v_add_nc_u32_e32 v2, v1, v2
	s_delay_alu instid0(VALU_DEP_1) | instskip(NEXT) | instid1(VALU_DEP_1)
	v_lshrrev_b32_e32 v2, s38, v2
	v_mul_hi_u32 v3, s44, v2
	v_mul_lo_u32 v7, v2, s36
	s_clause 0x1
	s_load_b128 s[40:43], s[14:15], 0xdc
	s_load_b64 s[36:37], s[14:15], 0xec
	s_wait_xcnt 0x0
	s_add_nc_u64 s[14:15], s[14:15], 24
	s_delay_alu instid0(VALU_DEP_2) | instskip(NEXT) | instid1(VALU_DEP_2)
	v_add_nc_u32_e32 v3, v2, v3
	v_sub_nc_u32_e32 v7, v1, v7
	s_delay_alu instid0(VALU_DEP_2) | instskip(SKIP_1) | instid1(VALU_DEP_2)
	v_lshrrev_b32_e32 v1, s45, v3
	s_wait_kmcnt 0x0
	v_mad_u32 v4, v7, s40, v4
	s_delay_alu instid0(VALU_DEP_2) | instskip(SKIP_2) | instid1(VALU_DEP_3)
	v_mul_lo_u32 v3, v1, s39
	v_mad_u32 v5, v7, s42, v5
	v_mad_u32 v6, v7, s41, v6
	v_sub_nc_u32_e32 v2, v2, v3
	s_delay_alu instid0(VALU_DEP_1) | instskip(NEXT) | instid1(VALU_DEP_4)
	v_mad_u32 v4, v2, s43, v4
	v_mad_u32 v5, v2, s37, v5
	s_delay_alu instid0(VALU_DEP_4)
	v_mad_u32 v6, v2, s36, v6
	s_cbranch_scc0 .LBB5_84
; %bb.85:
	s_bitcmp1_b32 s31, 0
	s_cselect_b32 s35, -1, 0
	s_delay_alu instid0(SALU_CYCLE_1)
	s_and_b32 vcc_lo, exec_lo, s35
	s_cbranch_vccnz .LBB5_89
; %bb.86:
	s_clause 0x1
	s_load_b96 s[36:38], s[14:15], 0x1c
	s_load_b96 s[40:42], s[14:15], 0xdc
	s_wait_kmcnt 0x0
	v_mul_hi_u32 v2, s37, v1
	s_delay_alu instid0(VALU_DEP_1) | instskip(NEXT) | instid1(VALU_DEP_1)
	v_add_nc_u32_e32 v2, v1, v2
	v_lshrrev_b32_e32 v2, s38, v2
	s_delay_alu instid0(VALU_DEP_1) | instskip(NEXT) | instid1(VALU_DEP_1)
	v_mul_lo_u32 v2, v2, s36
	v_sub_nc_u32_e32 v1, v1, v2
	s_delay_alu instid0(VALU_DEP_1)
	v_mad_u32 v4, v1, s40, v4
	v_mad_u32 v6, v1, s41, v6
	;; [unrolled: 1-line block ×3, first 2 shown]
	s_branch .LBB5_89
.LBB5_87:
                                        ; implicit-def: $vgpr5
                                        ; implicit-def: $vgpr6
                                        ; implicit-def: $vgpr4
	s_branch .LBB5_90
.LBB5_88:
	v_dual_mov_b32 v5, 0 :: v_dual_mov_b32 v6, 0
	v_mov_b32_e32 v4, 0
.LBB5_89:
	s_cbranch_execnz .LBB5_92
.LBB5_90:
	v_mov_b32_e32 v1, 0
	s_and_not1_b32 vcc_lo, exec_lo, s30
	s_delay_alu instid0(VALU_DEP_1) | instskip(NEXT) | instid1(VALU_DEP_1)
	v_mul_u64_e32 v[2:3], s[20:21], v[0:1]
	v_add_nc_u32_e32 v2, v0, v3
	s_delay_alu instid0(VALU_DEP_1) | instskip(NEXT) | instid1(VALU_DEP_1)
	v_lshrrev_b32_e32 v2, s6, v2
	v_mul_lo_u32 v3, v2, s4
	s_delay_alu instid0(VALU_DEP_1) | instskip(NEXT) | instid1(VALU_DEP_1)
	v_sub_nc_u32_e32 v3, v0, v3
	v_mul_lo_u32 v4, v3, s8
	v_mul_lo_u32 v5, v3, s10
	;; [unrolled: 1-line block ×3, first 2 shown]
	s_cbranch_vccnz .LBB5_92
; %bb.91:
	v_mov_b32_e32 v3, v1
	s_delay_alu instid0(VALU_DEP_1) | instskip(NEXT) | instid1(VALU_DEP_1)
	v_mul_u64_e32 v[8:9], s[24:25], v[2:3]
	v_add_nc_u32_e32 v1, v2, v9
	s_delay_alu instid0(VALU_DEP_1) | instskip(NEXT) | instid1(VALU_DEP_1)
	v_lshrrev_b32_e32 v1, s19, v1
	v_mul_lo_u32 v1, v1, s7
	s_delay_alu instid0(VALU_DEP_1) | instskip(NEXT) | instid1(VALU_DEP_1)
	v_sub_nc_u32_e32 v1, v2, v1
	v_mad_u32 v4, v1, s11, v4
	v_mad_u32 v6, v1, s22, v6
	;; [unrolled: 1-line block ×3, first 2 shown]
.LBB5_92:
	global_load_u8 v1, v6, s[2:3]
	global_load_u8 v2, v5, s[12:13]
	v_add_nc_u32_e32 v0, 0x80, v0
	s_wait_loadcnt 0x0
	v_cmp_ne_u16_e32 vcc_lo, v1, v2
	s_xor_b32 s14, s5, vcc_lo
	s_delay_alu instid0(SALU_CYCLE_1) | instskip(SKIP_3) | instid1(SALU_CYCLE_1)
	v_cndmask_b32_e64 v1, 0, 1, s14
	global_store_b8 v4, v1, s[0:1]
	s_wait_xcnt 0x0
	s_or_b32 exec_lo, exec_lo, s18
	s_mov_b32 s18, exec_lo
	v_cmpx_gt_i32_e64 s33, v0
	s_cbranch_execz .LBB5_105
.LBB5_93:
	s_and_not1_b32 vcc_lo, exec_lo, s28
	s_cbranch_vccnz .LBB5_99
; %bb.94:
	s_and_not1_b32 vcc_lo, exec_lo, s34
	s_cbranch_vccnz .LBB5_100
; %bb.95:
	v_dual_mov_b32 v4, 0 :: v_dual_mov_b32 v1, v0
	v_dual_mov_b32 v6, 0 :: v_dual_mov_b32 v5, 0
	s_add_co_i32 s33, s31, 1
	s_mov_b64 s[14:15], 0xffffffffffffffe8
	s_and_b32 s33, s33, 30
	s_add_nc_u64 s[14:15], s[16:17], s[14:15]
.LBB5_96:                               ; =>This Inner Loop Header: Depth=1
	s_clause 0x1
	s_load_b128 s[36:39], s[14:15], 0x1c
	s_load_b64 s[34:35], s[14:15], 0x2c
	s_add_co_i32 s33, s33, -2
	s_delay_alu instid0(SALU_CYCLE_1) | instskip(SKIP_2) | instid1(VALU_DEP_1)
	s_cmp_eq_u32 s33, 0
	s_wait_kmcnt 0x0
	v_mul_hi_u32 v2, s37, v1
	v_add_nc_u32_e32 v2, v1, v2
	s_delay_alu instid0(VALU_DEP_1) | instskip(NEXT) | instid1(VALU_DEP_1)
	v_lshrrev_b32_e32 v2, s38, v2
	v_mul_hi_u32 v3, s34, v2
	v_mul_lo_u32 v7, v2, s36
	s_clause 0x1
	s_load_b128 s[40:43], s[14:15], 0xdc
	s_load_b64 s[36:37], s[14:15], 0xec
	s_wait_xcnt 0x0
	s_add_nc_u64 s[14:15], s[14:15], 24
	s_delay_alu instid0(VALU_DEP_2) | instskip(NEXT) | instid1(VALU_DEP_2)
	v_add_nc_u32_e32 v3, v2, v3
	v_sub_nc_u32_e32 v7, v1, v7
	s_delay_alu instid0(VALU_DEP_2) | instskip(SKIP_1) | instid1(VALU_DEP_2)
	v_lshrrev_b32_e32 v1, s35, v3
	s_wait_kmcnt 0x0
	v_mad_u32 v4, v7, s40, v4
	s_delay_alu instid0(VALU_DEP_2) | instskip(SKIP_2) | instid1(VALU_DEP_3)
	v_mul_lo_u32 v3, v1, s39
	v_mad_u32 v5, v7, s42, v5
	v_mad_u32 v6, v7, s41, v6
	v_sub_nc_u32_e32 v2, v2, v3
	s_delay_alu instid0(VALU_DEP_1) | instskip(NEXT) | instid1(VALU_DEP_4)
	v_mad_u32 v4, v2, s43, v4
	v_mad_u32 v5, v2, s37, v5
	s_delay_alu instid0(VALU_DEP_4)
	v_mad_u32 v6, v2, s36, v6
	s_cbranch_scc0 .LBB5_96
; %bb.97:
	s_bitcmp1_b32 s31, 0
	s_cselect_b32 s31, -1, 0
	s_delay_alu instid0(SALU_CYCLE_1)
	s_and_b32 vcc_lo, exec_lo, s31
	s_cbranch_vccnz .LBB5_101
; %bb.98:
	s_clause 0x1
	s_load_b96 s[36:38], s[14:15], 0x1c
	s_load_b96 s[40:42], s[14:15], 0xdc
	s_wait_kmcnt 0x0
	v_mul_hi_u32 v2, s37, v1
	s_delay_alu instid0(VALU_DEP_1) | instskip(NEXT) | instid1(VALU_DEP_1)
	v_add_nc_u32_e32 v2, v1, v2
	v_lshrrev_b32_e32 v2, s38, v2
	s_delay_alu instid0(VALU_DEP_1) | instskip(NEXT) | instid1(VALU_DEP_1)
	v_mul_lo_u32 v2, v2, s36
	v_sub_nc_u32_e32 v1, v1, v2
	s_delay_alu instid0(VALU_DEP_1)
	v_mad_u32 v4, v1, s40, v4
	v_mad_u32 v6, v1, s41, v6
	;; [unrolled: 1-line block ×3, first 2 shown]
	s_branch .LBB5_101
.LBB5_99:
                                        ; implicit-def: $vgpr5
                                        ; implicit-def: $vgpr6
                                        ; implicit-def: $vgpr4
	s_branch .LBB5_102
.LBB5_100:
	v_dual_mov_b32 v5, 0 :: v_dual_mov_b32 v6, 0
	v_mov_b32_e32 v4, 0
.LBB5_101:
	s_cbranch_execnz .LBB5_104
.LBB5_102:
	v_mov_b32_e32 v1, 0
	s_and_not1_b32 vcc_lo, exec_lo, s30
	s_delay_alu instid0(VALU_DEP_1) | instskip(NEXT) | instid1(VALU_DEP_1)
	v_mul_u64_e32 v[2:3], s[20:21], v[0:1]
	v_add_nc_u32_e32 v2, v0, v3
	s_delay_alu instid0(VALU_DEP_1) | instskip(NEXT) | instid1(VALU_DEP_1)
	v_lshrrev_b32_e32 v2, s6, v2
	v_mul_lo_u32 v3, v2, s4
	s_delay_alu instid0(VALU_DEP_1) | instskip(NEXT) | instid1(VALU_DEP_1)
	v_sub_nc_u32_e32 v0, v0, v3
	v_mul_lo_u32 v4, v0, s8
	v_mul_lo_u32 v5, v0, s10
	;; [unrolled: 1-line block ×3, first 2 shown]
	s_cbranch_vccnz .LBB5_104
; %bb.103:
	v_mov_b32_e32 v3, v1
	s_delay_alu instid0(VALU_DEP_1) | instskip(NEXT) | instid1(VALU_DEP_1)
	v_mul_u64_e32 v[0:1], s[24:25], v[2:3]
	v_add_nc_u32_e32 v0, v2, v1
	s_delay_alu instid0(VALU_DEP_1) | instskip(NEXT) | instid1(VALU_DEP_1)
	v_lshrrev_b32_e32 v0, s19, v0
	v_mul_lo_u32 v0, v0, s7
	s_delay_alu instid0(VALU_DEP_1) | instskip(NEXT) | instid1(VALU_DEP_1)
	v_sub_nc_u32_e32 v0, v2, v0
	v_mad_u32 v4, v0, s11, v4
	v_mad_u32 v6, v0, s22, v6
	;; [unrolled: 1-line block ×3, first 2 shown]
.LBB5_104:
	global_load_u8 v0, v6, s[2:3]
	global_load_u8 v1, v5, s[12:13]
	s_wait_loadcnt 0x0
	v_cmp_ne_u16_e32 vcc_lo, v0, v1
	s_wait_xcnt 0x1
	s_xor_b32 s2, s5, vcc_lo
	s_delay_alu instid0(SALU_CYCLE_1)
	v_cndmask_b32_e64 v0, 0, 1, s2
	global_store_b8 v4, v0, s[0:1]
.LBB5_105:
	s_wait_xcnt 0x0
	s_or_b32 exec_lo, exec_lo, s18
                                        ; implicit-def: $vgpr4
                                        ; implicit-def: $vgpr0
.LBB5_106:
	s_and_not1_saveexec_b32 s0, s29
	s_cbranch_execz .LBB5_113
; %bb.107:
	v_cndmask_b32_e64 v8, 0, 1, s28
	s_and_not1_b32 vcc_lo, exec_lo, s28
	s_cbranch_vccnz .LBB5_114
; %bb.108:
	s_cmp_lg_u32 s26, 0
	s_mov_b32 s2, 0
	s_cbranch_scc0 .LBB5_118
; %bb.109:
	s_min_u32 s3, s27, 15
	v_dual_mov_b32 v1, 0 :: v_dual_mov_b32 v5, v0
	v_dual_mov_b32 v3, 0 :: v_dual_mov_b32 v2, 0
	s_add_co_i32 s4, s3, 1
	s_mov_b64 s[0:1], 0xffffffffffffffe8
	s_and_b32 s4, s4, 30
	s_add_nc_u64 s[0:1], s[16:17], s[0:1]
.LBB5_110:                              ; =>This Inner Loop Header: Depth=1
	s_clause 0x1
	s_load_b128 s[8:11], s[0:1], 0x1c
	s_load_b64 s[6:7], s[0:1], 0x2c
	s_add_co_i32 s4, s4, -2
	s_delay_alu instid0(SALU_CYCLE_1) | instskip(SKIP_2) | instid1(VALU_DEP_1)
	s_cmp_lg_u32 s4, 0
	s_wait_kmcnt 0x0
	v_mul_hi_u32 v6, s9, v5
	v_add_nc_u32_e32 v6, v5, v6
	s_delay_alu instid0(VALU_DEP_1) | instskip(NEXT) | instid1(VALU_DEP_1)
	v_lshrrev_b32_e32 v6, s10, v6
	v_mul_hi_u32 v7, s6, v6
	v_mul_lo_u32 v9, v6, s8
	s_clause 0x1
	s_load_b128 s[12:15], s[0:1], 0xdc
	s_load_b64 s[8:9], s[0:1], 0xec
	s_wait_xcnt 0x0
	s_add_nc_u64 s[0:1], s[0:1], 24
	s_delay_alu instid0(VALU_DEP_1) | instskip(NEXT) | instid1(VALU_DEP_1)
	v_dual_add_nc_u32 v7, v6, v7 :: v_dual_sub_nc_u32 v9, v5, v9
	v_lshrrev_b32_e32 v5, s7, v7
	s_wait_kmcnt 0x0
	s_delay_alu instid0(VALU_DEP_2) | instskip(NEXT) | instid1(VALU_DEP_2)
	v_mad_u32 v1, v9, s12, v1
	v_mul_lo_u32 v7, v5, s11
	v_mad_u32 v2, v9, s14, v2
	v_mad_u32 v3, v9, s13, v3
	s_delay_alu instid0(VALU_DEP_3) | instskip(NEXT) | instid1(VALU_DEP_1)
	v_sub_nc_u32_e32 v6, v6, v7
	v_mad_u32 v1, v6, s15, v1
	s_delay_alu instid0(VALU_DEP_4) | instskip(NEXT) | instid1(VALU_DEP_4)
	v_mad_u32 v2, v6, s9, v2
	v_mad_u32 v3, v6, s8, v3
	s_cbranch_scc1 .LBB5_110
; %bb.111:
	s_bitcmp1_b32 s3, 0
	s_cselect_b32 s3, -1, 0
	s_delay_alu instid0(SALU_CYCLE_1)
	s_and_b32 vcc_lo, exec_lo, s3
	s_cbranch_vccnz .LBB5_115
; %bb.112:
	s_clause 0x1
	s_load_b96 s[4:6], s[0:1], 0x1c
	s_load_b96 s[8:10], s[0:1], 0xdc
	s_wait_kmcnt 0x0
	v_mul_hi_u32 v6, s5, v5
	s_delay_alu instid0(VALU_DEP_1) | instskip(NEXT) | instid1(VALU_DEP_1)
	v_add_nc_u32_e32 v6, v5, v6
	v_lshrrev_b32_e32 v6, s6, v6
	s_delay_alu instid0(VALU_DEP_1) | instskip(NEXT) | instid1(VALU_DEP_1)
	v_mul_lo_u32 v6, v6, s4
	v_sub_nc_u32_e32 v5, v5, v6
	s_delay_alu instid0(VALU_DEP_1)
	v_mad_u32 v1, v5, s8, v1
	v_mad_u32 v3, v5, s9, v3
	;; [unrolled: 1-line block ×3, first 2 shown]
	s_and_not1_b32 vcc_lo, exec_lo, s2
	s_cbranch_vccz .LBB5_116
	s_branch .LBB5_119
.LBB5_113:
	s_endpgm
.LBB5_114:
	s_mov_b32 s2, -1
                                        ; implicit-def: $vgpr2
                                        ; implicit-def: $vgpr3
                                        ; implicit-def: $vgpr1
.LBB5_115:
	s_delay_alu instid0(SALU_CYCLE_1)
	s_and_not1_b32 vcc_lo, exec_lo, s2
	s_cbranch_vccnz .LBB5_119
.LBB5_116:
	s_clause 0x1
	s_load_b96 s[0:2], s[16:17], 0x4
	s_load_b96 s[4:6], s[16:17], 0xc4
	s_cmp_lt_u32 s26, 2
	s_wait_kmcnt 0x0
	v_mul_hi_u32 v1, s1, v0
	s_delay_alu instid0(VALU_DEP_1) | instskip(NEXT) | instid1(VALU_DEP_1)
	v_add_nc_u32_e32 v1, v0, v1
	v_lshrrev_b32_e32 v5, s2, v1
	s_delay_alu instid0(VALU_DEP_1) | instskip(NEXT) | instid1(VALU_DEP_1)
	v_mul_lo_u32 v1, v5, s0
	v_sub_nc_u32_e32 v3, v0, v1
	s_delay_alu instid0(VALU_DEP_1)
	v_mul_lo_u32 v1, v3, s4
	v_mul_lo_u32 v2, v3, s6
	;; [unrolled: 1-line block ×3, first 2 shown]
	s_cbranch_scc1 .LBB5_119
; %bb.117:
	s_clause 0x1
	s_load_b96 s[0:2], s[16:17], 0x10
	s_load_b96 s[4:6], s[16:17], 0xd0
	s_wait_kmcnt 0x0
	v_mul_hi_u32 v6, s1, v5
	s_delay_alu instid0(VALU_DEP_1) | instskip(NEXT) | instid1(VALU_DEP_1)
	v_add_nc_u32_e32 v6, v5, v6
	v_lshrrev_b32_e32 v6, s2, v6
	s_delay_alu instid0(VALU_DEP_1) | instskip(NEXT) | instid1(VALU_DEP_1)
	v_mul_lo_u32 v6, v6, s0
	v_sub_nc_u32_e32 v5, v5, v6
	s_delay_alu instid0(VALU_DEP_1)
	v_mad_u32 v1, v5, s4, v1
	v_mad_u32 v3, v5, s5, v3
	;; [unrolled: 1-line block ×3, first 2 shown]
	s_branch .LBB5_119
.LBB5_118:
	v_dual_mov_b32 v2, 0 :: v_dual_mov_b32 v3, 0
	v_mov_b32_e32 v1, 0
	s_and_not1_b32 vcc_lo, exec_lo, s2
	s_cbranch_vccz .LBB5_116
.LBB5_119:
	v_cmp_ne_u32_e32 vcc_lo, 1, v8
	v_add_nc_u32_e32 v9, 0x80, v0
	s_cbranch_vccnz .LBB5_125
; %bb.120:
	s_cmp_lg_u32 s26, 0
	s_mov_b32 s2, 0
	s_cbranch_scc0 .LBB5_129
; %bb.121:
	s_min_u32 s3, s27, 15
	v_dual_mov_b32 v5, 0 :: v_dual_mov_b32 v10, v9
	v_dual_mov_b32 v6, 0 :: v_dual_mov_b32 v7, 0
	s_add_co_i32 s4, s3, 1
	s_mov_b64 s[0:1], 0xffffffffffffffe8
	s_and_b32 s4, s4, 30
	s_add_nc_u64 s[0:1], s[16:17], s[0:1]
.LBB5_122:                              ; =>This Inner Loop Header: Depth=1
	s_clause 0x1
	s_load_b128 s[8:11], s[0:1], 0x1c
	s_load_b64 s[6:7], s[0:1], 0x2c
	s_add_co_i32 s4, s4, -2
	s_delay_alu instid0(SALU_CYCLE_1) | instskip(SKIP_2) | instid1(VALU_DEP_1)
	s_cmp_lg_u32 s4, 0
	s_wait_kmcnt 0x0
	v_mul_hi_u32 v11, s9, v10
	v_add_nc_u32_e32 v11, v10, v11
	s_delay_alu instid0(VALU_DEP_1) | instskip(NEXT) | instid1(VALU_DEP_1)
	v_lshrrev_b32_e32 v11, s10, v11
	v_mul_hi_u32 v12, s6, v11
	v_mul_lo_u32 v13, v11, s8
	s_clause 0x1
	s_load_b128 s[12:15], s[0:1], 0xdc
	s_load_b64 s[8:9], s[0:1], 0xec
	s_wait_xcnt 0x0
	s_add_nc_u64 s[0:1], s[0:1], 24
	s_delay_alu instid0(VALU_DEP_1) | instskip(NEXT) | instid1(VALU_DEP_1)
	v_dual_add_nc_u32 v12, v11, v12 :: v_dual_sub_nc_u32 v13, v10, v13
	v_lshrrev_b32_e32 v10, s7, v12
	s_wait_kmcnt 0x0
	s_delay_alu instid0(VALU_DEP_2) | instskip(NEXT) | instid1(VALU_DEP_2)
	v_mad_u32 v5, v13, s12, v5
	v_mul_lo_u32 v12, v10, s11
	v_mad_u32 v7, v13, s14, v7
	v_mad_u32 v6, v13, s13, v6
	s_delay_alu instid0(VALU_DEP_3) | instskip(NEXT) | instid1(VALU_DEP_1)
	v_sub_nc_u32_e32 v11, v11, v12
	v_mad_u32 v5, v11, s15, v5
	s_delay_alu instid0(VALU_DEP_4) | instskip(NEXT) | instid1(VALU_DEP_4)
	v_mad_u32 v7, v11, s9, v7
	v_mad_u32 v6, v11, s8, v6
	s_cbranch_scc1 .LBB5_122
; %bb.123:
	s_bitcmp1_b32 s3, 0
	s_cselect_b32 s3, -1, 0
	s_delay_alu instid0(SALU_CYCLE_1)
	s_and_b32 vcc_lo, exec_lo, s3
	s_cbranch_vccnz .LBB5_126
; %bb.124:
	s_clause 0x1
	s_load_b96 s[4:6], s[0:1], 0x1c
	s_load_b96 s[8:10], s[0:1], 0xdc
	s_wait_kmcnt 0x0
	v_mul_hi_u32 v11, s5, v10
	s_delay_alu instid0(VALU_DEP_1) | instskip(NEXT) | instid1(VALU_DEP_1)
	v_add_nc_u32_e32 v11, v10, v11
	v_lshrrev_b32_e32 v11, s6, v11
	s_delay_alu instid0(VALU_DEP_1) | instskip(NEXT) | instid1(VALU_DEP_1)
	v_mul_lo_u32 v11, v11, s4
	v_sub_nc_u32_e32 v10, v10, v11
	s_delay_alu instid0(VALU_DEP_1)
	v_mad_u32 v5, v10, s8, v5
	v_mad_u32 v6, v10, s9, v6
	;; [unrolled: 1-line block ×3, first 2 shown]
	s_and_not1_b32 vcc_lo, exec_lo, s2
	s_cbranch_vccz .LBB5_127
	s_branch .LBB5_130
.LBB5_125:
	s_mov_b32 s2, -1
                                        ; implicit-def: $vgpr7
                                        ; implicit-def: $vgpr6
                                        ; implicit-def: $vgpr5
.LBB5_126:
	s_delay_alu instid0(SALU_CYCLE_1)
	s_and_not1_b32 vcc_lo, exec_lo, s2
	s_cbranch_vccnz .LBB5_130
.LBB5_127:
	s_clause 0x1
	s_load_b96 s[0:2], s[16:17], 0x4
	s_load_b96 s[4:6], s[16:17], 0xc4
	s_cmp_lt_u32 s26, 2
	s_wait_kmcnt 0x0
	v_mul_hi_u32 v5, s1, v9
	s_delay_alu instid0(VALU_DEP_1) | instskip(NEXT) | instid1(VALU_DEP_1)
	v_add_nc_u32_e32 v5, v9, v5
	v_lshrrev_b32_e32 v10, s2, v5
	s_delay_alu instid0(VALU_DEP_1) | instskip(NEXT) | instid1(VALU_DEP_1)
	v_mul_lo_u32 v5, v10, s0
	v_sub_nc_u32_e32 v6, v9, v5
	s_delay_alu instid0(VALU_DEP_1)
	v_mul_lo_u32 v5, v6, s4
	v_mul_lo_u32 v7, v6, s6
	;; [unrolled: 1-line block ×3, first 2 shown]
	s_cbranch_scc1 .LBB5_130
; %bb.128:
	s_clause 0x1
	s_load_b96 s[0:2], s[16:17], 0x10
	s_load_b96 s[4:6], s[16:17], 0xd0
	s_wait_kmcnt 0x0
	v_mul_hi_u32 v9, s1, v10
	s_delay_alu instid0(VALU_DEP_1) | instskip(NEXT) | instid1(VALU_DEP_1)
	v_add_nc_u32_e32 v9, v10, v9
	v_lshrrev_b32_e32 v9, s2, v9
	s_delay_alu instid0(VALU_DEP_1) | instskip(NEXT) | instid1(VALU_DEP_1)
	v_mul_lo_u32 v9, v9, s0
	v_sub_nc_u32_e32 v9, v10, v9
	s_delay_alu instid0(VALU_DEP_1)
	v_mad_u32 v5, v9, s4, v5
	v_mad_u32 v6, v9, s5, v6
	;; [unrolled: 1-line block ×3, first 2 shown]
	s_branch .LBB5_130
.LBB5_129:
	v_dual_mov_b32 v7, 0 :: v_dual_mov_b32 v6, 0
	v_mov_b32_e32 v5, 0
	s_and_not1_b32 vcc_lo, exec_lo, s2
	s_cbranch_vccz .LBB5_127
.LBB5_130:
	v_cmp_ne_u32_e32 vcc_lo, 1, v8
	v_add_nc_u32_e32 v12, 0x100, v0
	s_cbranch_vccnz .LBB5_136
; %bb.131:
	s_cmp_lg_u32 s26, 0
	s_mov_b32 s2, 0
	s_cbranch_scc0 .LBB5_140
; %bb.132:
	s_min_u32 s3, s27, 15
	v_dual_mov_b32 v9, 0 :: v_dual_mov_b32 v13, v12
	v_dual_mov_b32 v11, 0 :: v_dual_mov_b32 v10, 0
	s_add_co_i32 s4, s3, 1
	s_mov_b64 s[0:1], 0xffffffffffffffe8
	s_and_b32 s4, s4, 30
	s_add_nc_u64 s[0:1], s[16:17], s[0:1]
.LBB5_133:                              ; =>This Inner Loop Header: Depth=1
	s_clause 0x1
	s_load_b128 s[8:11], s[0:1], 0x1c
	s_load_b64 s[6:7], s[0:1], 0x2c
	s_add_co_i32 s4, s4, -2
	s_delay_alu instid0(SALU_CYCLE_1) | instskip(SKIP_2) | instid1(VALU_DEP_1)
	s_cmp_lg_u32 s4, 0
	s_wait_kmcnt 0x0
	v_mul_hi_u32 v14, s9, v13
	v_add_nc_u32_e32 v14, v13, v14
	s_delay_alu instid0(VALU_DEP_1) | instskip(NEXT) | instid1(VALU_DEP_1)
	v_lshrrev_b32_e32 v14, s10, v14
	v_mul_hi_u32 v15, s6, v14
	v_mul_lo_u32 v16, v14, s8
	s_clause 0x1
	s_load_b128 s[12:15], s[0:1], 0xdc
	s_load_b64 s[8:9], s[0:1], 0xec
	s_wait_xcnt 0x0
	s_add_nc_u64 s[0:1], s[0:1], 24
	s_delay_alu instid0(VALU_DEP_1) | instskip(NEXT) | instid1(VALU_DEP_1)
	v_dual_add_nc_u32 v15, v14, v15 :: v_dual_sub_nc_u32 v16, v13, v16
	v_lshrrev_b32_e32 v13, s7, v15
	s_wait_kmcnt 0x0
	s_delay_alu instid0(VALU_DEP_2) | instskip(NEXT) | instid1(VALU_DEP_2)
	v_mad_u32 v9, v16, s12, v9
	v_mul_lo_u32 v15, v13, s11
	v_mad_u32 v10, v16, s14, v10
	v_mad_u32 v11, v16, s13, v11
	s_delay_alu instid0(VALU_DEP_3) | instskip(NEXT) | instid1(VALU_DEP_1)
	v_sub_nc_u32_e32 v14, v14, v15
	v_mad_u32 v9, v14, s15, v9
	s_delay_alu instid0(VALU_DEP_4) | instskip(NEXT) | instid1(VALU_DEP_4)
	v_mad_u32 v10, v14, s9, v10
	v_mad_u32 v11, v14, s8, v11
	s_cbranch_scc1 .LBB5_133
; %bb.134:
	s_bitcmp1_b32 s3, 0
	s_cselect_b32 s3, -1, 0
	s_delay_alu instid0(SALU_CYCLE_1)
	s_and_b32 vcc_lo, exec_lo, s3
	s_cbranch_vccnz .LBB5_137
; %bb.135:
	s_clause 0x1
	s_load_b96 s[4:6], s[0:1], 0x1c
	s_load_b96 s[8:10], s[0:1], 0xdc
	s_wait_kmcnt 0x0
	v_mul_hi_u32 v14, s5, v13
	s_delay_alu instid0(VALU_DEP_1) | instskip(NEXT) | instid1(VALU_DEP_1)
	v_add_nc_u32_e32 v14, v13, v14
	v_lshrrev_b32_e32 v14, s6, v14
	s_delay_alu instid0(VALU_DEP_1) | instskip(NEXT) | instid1(VALU_DEP_1)
	v_mul_lo_u32 v14, v14, s4
	v_sub_nc_u32_e32 v13, v13, v14
	s_delay_alu instid0(VALU_DEP_1)
	v_mad_u32 v9, v13, s8, v9
	v_mad_u32 v11, v13, s9, v11
	v_mad_u32 v10, v13, s10, v10
	s_and_not1_b32 vcc_lo, exec_lo, s2
	s_cbranch_vccz .LBB5_138
	s_branch .LBB5_141
.LBB5_136:
	s_mov_b32 s2, -1
                                        ; implicit-def: $vgpr10
                                        ; implicit-def: $vgpr11
                                        ; implicit-def: $vgpr9
.LBB5_137:
	s_delay_alu instid0(SALU_CYCLE_1)
	s_and_not1_b32 vcc_lo, exec_lo, s2
	s_cbranch_vccnz .LBB5_141
.LBB5_138:
	s_clause 0x1
	s_load_b96 s[0:2], s[16:17], 0x4
	s_load_b96 s[4:6], s[16:17], 0xc4
	s_cmp_lt_u32 s26, 2
	s_wait_kmcnt 0x0
	v_mul_hi_u32 v9, s1, v12
	s_delay_alu instid0(VALU_DEP_1) | instskip(NEXT) | instid1(VALU_DEP_1)
	v_add_nc_u32_e32 v9, v12, v9
	v_lshrrev_b32_e32 v13, s2, v9
	s_delay_alu instid0(VALU_DEP_1) | instskip(NEXT) | instid1(VALU_DEP_1)
	v_mul_lo_u32 v9, v13, s0
	v_sub_nc_u32_e32 v11, v12, v9
	s_delay_alu instid0(VALU_DEP_1)
	v_mul_lo_u32 v9, v11, s4
	v_mul_lo_u32 v10, v11, s6
	v_mul_lo_u32 v11, v11, s5
	s_cbranch_scc1 .LBB5_141
; %bb.139:
	s_clause 0x1
	s_load_b96 s[0:2], s[16:17], 0x10
	s_load_b96 s[4:6], s[16:17], 0xd0
	s_wait_kmcnt 0x0
	v_mul_hi_u32 v12, s1, v13
	s_delay_alu instid0(VALU_DEP_1) | instskip(NEXT) | instid1(VALU_DEP_1)
	v_add_nc_u32_e32 v12, v13, v12
	v_lshrrev_b32_e32 v12, s2, v12
	s_delay_alu instid0(VALU_DEP_1) | instskip(NEXT) | instid1(VALU_DEP_1)
	v_mul_lo_u32 v12, v12, s0
	v_sub_nc_u32_e32 v12, v13, v12
	s_delay_alu instid0(VALU_DEP_1)
	v_mad_u32 v9, v12, s4, v9
	v_mad_u32 v11, v12, s5, v11
	;; [unrolled: 1-line block ×3, first 2 shown]
	s_branch .LBB5_141
.LBB5_140:
	v_dual_mov_b32 v10, 0 :: v_dual_mov_b32 v11, 0
	v_mov_b32_e32 v9, 0
	s_and_not1_b32 vcc_lo, exec_lo, s2
	s_cbranch_vccz .LBB5_138
.LBB5_141:
	v_cmp_ne_u32_e32 vcc_lo, 1, v8
	v_add_nc_u32_e32 v15, 0x180, v0
	s_cbranch_vccnz .LBB5_147
; %bb.142:
	s_cmp_lg_u32 s26, 0
	s_mov_b32 s2, 0
	s_cbranch_scc0 .LBB5_151
; %bb.143:
	s_min_u32 s3, s27, 15
	v_dual_mov_b32 v12, 0 :: v_dual_mov_b32 v16, v15
	v_dual_mov_b32 v14, 0 :: v_dual_mov_b32 v13, 0
	s_add_co_i32 s4, s3, 1
	s_mov_b64 s[0:1], 0xffffffffffffffe8
	s_and_b32 s4, s4, 30
	s_add_nc_u64 s[0:1], s[16:17], s[0:1]
.LBB5_144:                              ; =>This Inner Loop Header: Depth=1
	s_clause 0x1
	s_load_b128 s[8:11], s[0:1], 0x1c
	s_load_b64 s[6:7], s[0:1], 0x2c
	s_add_co_i32 s4, s4, -2
	s_delay_alu instid0(SALU_CYCLE_1) | instskip(SKIP_2) | instid1(VALU_DEP_1)
	s_cmp_lg_u32 s4, 0
	s_wait_kmcnt 0x0
	v_mul_hi_u32 v17, s9, v16
	v_add_nc_u32_e32 v17, v16, v17
	s_delay_alu instid0(VALU_DEP_1) | instskip(NEXT) | instid1(VALU_DEP_1)
	v_lshrrev_b32_e32 v17, s10, v17
	v_mul_hi_u32 v18, s6, v17
	v_mul_lo_u32 v19, v17, s8
	s_clause 0x1
	s_load_b128 s[12:15], s[0:1], 0xdc
	s_load_b64 s[8:9], s[0:1], 0xec
	s_wait_xcnt 0x0
	s_add_nc_u64 s[0:1], s[0:1], 24
	s_delay_alu instid0(VALU_DEP_1) | instskip(NEXT) | instid1(VALU_DEP_1)
	v_dual_add_nc_u32 v18, v17, v18 :: v_dual_sub_nc_u32 v19, v16, v19
	v_lshrrev_b32_e32 v16, s7, v18
	s_wait_kmcnt 0x0
	s_delay_alu instid0(VALU_DEP_2) | instskip(NEXT) | instid1(VALU_DEP_2)
	v_mad_u32 v12, v19, s12, v12
	v_mul_lo_u32 v18, v16, s11
	v_mad_u32 v13, v19, s14, v13
	v_mad_u32 v14, v19, s13, v14
	s_delay_alu instid0(VALU_DEP_3) | instskip(NEXT) | instid1(VALU_DEP_1)
	v_sub_nc_u32_e32 v17, v17, v18
	v_mad_u32 v12, v17, s15, v12
	s_delay_alu instid0(VALU_DEP_4) | instskip(NEXT) | instid1(VALU_DEP_4)
	v_mad_u32 v13, v17, s9, v13
	v_mad_u32 v14, v17, s8, v14
	s_cbranch_scc1 .LBB5_144
; %bb.145:
	s_bitcmp1_b32 s3, 0
	s_cselect_b32 s3, -1, 0
	s_delay_alu instid0(SALU_CYCLE_1)
	s_and_b32 vcc_lo, exec_lo, s3
	s_cbranch_vccnz .LBB5_148
; %bb.146:
	s_clause 0x1
	s_load_b96 s[4:6], s[0:1], 0x1c
	s_load_b96 s[8:10], s[0:1], 0xdc
	s_wait_kmcnt 0x0
	v_mul_hi_u32 v17, s5, v16
	s_delay_alu instid0(VALU_DEP_1) | instskip(NEXT) | instid1(VALU_DEP_1)
	v_add_nc_u32_e32 v17, v16, v17
	v_lshrrev_b32_e32 v17, s6, v17
	s_delay_alu instid0(VALU_DEP_1) | instskip(NEXT) | instid1(VALU_DEP_1)
	v_mul_lo_u32 v17, v17, s4
	v_sub_nc_u32_e32 v16, v16, v17
	s_delay_alu instid0(VALU_DEP_1)
	v_mad_u32 v12, v16, s8, v12
	v_mad_u32 v14, v16, s9, v14
	;; [unrolled: 1-line block ×3, first 2 shown]
	s_and_not1_b32 vcc_lo, exec_lo, s2
	s_cbranch_vccz .LBB5_149
	s_branch .LBB5_152
.LBB5_147:
	s_mov_b32 s2, -1
                                        ; implicit-def: $vgpr13
                                        ; implicit-def: $vgpr14
                                        ; implicit-def: $vgpr12
.LBB5_148:
	s_delay_alu instid0(SALU_CYCLE_1)
	s_and_not1_b32 vcc_lo, exec_lo, s2
	s_cbranch_vccnz .LBB5_152
.LBB5_149:
	s_clause 0x1
	s_load_b96 s[0:2], s[16:17], 0x4
	s_load_b96 s[4:6], s[16:17], 0xc4
	s_cmp_lt_u32 s26, 2
	s_wait_kmcnt 0x0
	v_mul_hi_u32 v12, s1, v15
	s_delay_alu instid0(VALU_DEP_1) | instskip(NEXT) | instid1(VALU_DEP_1)
	v_add_nc_u32_e32 v12, v15, v12
	v_lshrrev_b32_e32 v16, s2, v12
	s_delay_alu instid0(VALU_DEP_1) | instskip(NEXT) | instid1(VALU_DEP_1)
	v_mul_lo_u32 v12, v16, s0
	v_sub_nc_u32_e32 v14, v15, v12
	s_delay_alu instid0(VALU_DEP_1)
	v_mul_lo_u32 v12, v14, s4
	v_mul_lo_u32 v13, v14, s6
	;; [unrolled: 1-line block ×3, first 2 shown]
	s_cbranch_scc1 .LBB5_152
; %bb.150:
	s_clause 0x1
	s_load_b96 s[0:2], s[16:17], 0x10
	s_load_b96 s[4:6], s[16:17], 0xd0
	s_wait_kmcnt 0x0
	v_mul_hi_u32 v15, s1, v16
	s_delay_alu instid0(VALU_DEP_1) | instskip(NEXT) | instid1(VALU_DEP_1)
	v_add_nc_u32_e32 v15, v16, v15
	v_lshrrev_b32_e32 v15, s2, v15
	s_delay_alu instid0(VALU_DEP_1) | instskip(NEXT) | instid1(VALU_DEP_1)
	v_mul_lo_u32 v15, v15, s0
	v_sub_nc_u32_e32 v15, v16, v15
	s_delay_alu instid0(VALU_DEP_1)
	v_mad_u32 v12, v15, s4, v12
	v_mad_u32 v14, v15, s5, v14
	;; [unrolled: 1-line block ×3, first 2 shown]
	s_branch .LBB5_152
.LBB5_151:
	v_dual_mov_b32 v13, 0 :: v_dual_mov_b32 v14, 0
	v_mov_b32_e32 v12, 0
	s_and_not1_b32 vcc_lo, exec_lo, s2
	s_cbranch_vccz .LBB5_149
.LBB5_152:
	v_cmp_ne_u32_e32 vcc_lo, 1, v8
	v_add_nc_u32_e32 v18, 0x200, v0
	s_cbranch_vccnz .LBB5_158
; %bb.153:
	s_cmp_lg_u32 s26, 0
	s_mov_b32 s2, 0
	s_cbranch_scc0 .LBB5_162
; %bb.154:
	s_min_u32 s3, s27, 15
	v_dual_mov_b32 v15, 0 :: v_dual_mov_b32 v19, v18
	v_dual_mov_b32 v16, 0 :: v_dual_mov_b32 v17, 0
	s_add_co_i32 s4, s3, 1
	s_mov_b64 s[0:1], 0xffffffffffffffe8
	s_and_b32 s4, s4, 30
	s_add_nc_u64 s[0:1], s[16:17], s[0:1]
.LBB5_155:                              ; =>This Inner Loop Header: Depth=1
	s_clause 0x1
	s_load_b128 s[8:11], s[0:1], 0x1c
	s_load_b64 s[6:7], s[0:1], 0x2c
	s_add_co_i32 s4, s4, -2
	s_delay_alu instid0(SALU_CYCLE_1) | instskip(SKIP_2) | instid1(VALU_DEP_1)
	s_cmp_lg_u32 s4, 0
	s_wait_kmcnt 0x0
	v_mul_hi_u32 v20, s9, v19
	v_add_nc_u32_e32 v20, v19, v20
	s_delay_alu instid0(VALU_DEP_1) | instskip(NEXT) | instid1(VALU_DEP_1)
	v_lshrrev_b32_e32 v20, s10, v20
	v_mul_hi_u32 v21, s6, v20
	v_mul_lo_u32 v22, v20, s8
	s_clause 0x1
	s_load_b128 s[12:15], s[0:1], 0xdc
	s_load_b64 s[8:9], s[0:1], 0xec
	s_wait_xcnt 0x0
	s_add_nc_u64 s[0:1], s[0:1], 24
	s_delay_alu instid0(VALU_DEP_1) | instskip(NEXT) | instid1(VALU_DEP_1)
	v_dual_add_nc_u32 v21, v20, v21 :: v_dual_sub_nc_u32 v22, v19, v22
	v_lshrrev_b32_e32 v19, s7, v21
	s_wait_kmcnt 0x0
	s_delay_alu instid0(VALU_DEP_2) | instskip(NEXT) | instid1(VALU_DEP_2)
	v_mad_u32 v15, v22, s12, v15
	v_mul_lo_u32 v21, v19, s11
	v_mad_u32 v17, v22, s14, v17
	v_mad_u32 v16, v22, s13, v16
	s_delay_alu instid0(VALU_DEP_3) | instskip(NEXT) | instid1(VALU_DEP_1)
	v_sub_nc_u32_e32 v20, v20, v21
	v_mad_u32 v15, v20, s15, v15
	s_delay_alu instid0(VALU_DEP_4) | instskip(NEXT) | instid1(VALU_DEP_4)
	v_mad_u32 v17, v20, s9, v17
	v_mad_u32 v16, v20, s8, v16
	s_cbranch_scc1 .LBB5_155
; %bb.156:
	s_bitcmp1_b32 s3, 0
	s_cselect_b32 s3, -1, 0
	s_delay_alu instid0(SALU_CYCLE_1)
	s_and_b32 vcc_lo, exec_lo, s3
	s_cbranch_vccnz .LBB5_159
; %bb.157:
	s_clause 0x1
	s_load_b96 s[4:6], s[0:1], 0x1c
	s_load_b96 s[8:10], s[0:1], 0xdc
	s_wait_kmcnt 0x0
	v_mul_hi_u32 v20, s5, v19
	s_delay_alu instid0(VALU_DEP_1) | instskip(NEXT) | instid1(VALU_DEP_1)
	v_add_nc_u32_e32 v20, v19, v20
	v_lshrrev_b32_e32 v20, s6, v20
	s_delay_alu instid0(VALU_DEP_1) | instskip(NEXT) | instid1(VALU_DEP_1)
	v_mul_lo_u32 v20, v20, s4
	v_sub_nc_u32_e32 v19, v19, v20
	s_delay_alu instid0(VALU_DEP_1)
	v_mad_u32 v15, v19, s8, v15
	v_mad_u32 v16, v19, s9, v16
	;; [unrolled: 1-line block ×3, first 2 shown]
	s_and_not1_b32 vcc_lo, exec_lo, s2
	s_cbranch_vccz .LBB5_160
	s_branch .LBB5_163
.LBB5_158:
	s_mov_b32 s2, -1
                                        ; implicit-def: $vgpr17
                                        ; implicit-def: $vgpr16
                                        ; implicit-def: $vgpr15
.LBB5_159:
	s_delay_alu instid0(SALU_CYCLE_1)
	s_and_not1_b32 vcc_lo, exec_lo, s2
	s_cbranch_vccnz .LBB5_163
.LBB5_160:
	s_clause 0x1
	s_load_b96 s[0:2], s[16:17], 0x4
	s_load_b96 s[4:6], s[16:17], 0xc4
	s_cmp_lt_u32 s26, 2
	s_wait_kmcnt 0x0
	v_mul_hi_u32 v15, s1, v18
	s_delay_alu instid0(VALU_DEP_1) | instskip(NEXT) | instid1(VALU_DEP_1)
	v_add_nc_u32_e32 v15, v18, v15
	v_lshrrev_b32_e32 v19, s2, v15
	s_delay_alu instid0(VALU_DEP_1) | instskip(NEXT) | instid1(VALU_DEP_1)
	v_mul_lo_u32 v15, v19, s0
	v_sub_nc_u32_e32 v16, v18, v15
	s_delay_alu instid0(VALU_DEP_1)
	v_mul_lo_u32 v15, v16, s4
	v_mul_lo_u32 v17, v16, s6
	;; [unrolled: 1-line block ×3, first 2 shown]
	s_cbranch_scc1 .LBB5_163
; %bb.161:
	s_clause 0x1
	s_load_b96 s[0:2], s[16:17], 0x10
	s_load_b96 s[4:6], s[16:17], 0xd0
	s_wait_kmcnt 0x0
	v_mul_hi_u32 v18, s1, v19
	s_delay_alu instid0(VALU_DEP_1) | instskip(NEXT) | instid1(VALU_DEP_1)
	v_add_nc_u32_e32 v18, v19, v18
	v_lshrrev_b32_e32 v18, s2, v18
	s_delay_alu instid0(VALU_DEP_1) | instskip(NEXT) | instid1(VALU_DEP_1)
	v_mul_lo_u32 v18, v18, s0
	v_sub_nc_u32_e32 v18, v19, v18
	s_delay_alu instid0(VALU_DEP_1)
	v_mad_u32 v15, v18, s4, v15
	v_mad_u32 v16, v18, s5, v16
	;; [unrolled: 1-line block ×3, first 2 shown]
	s_branch .LBB5_163
.LBB5_162:
	v_dual_mov_b32 v17, 0 :: v_dual_mov_b32 v16, 0
	v_mov_b32_e32 v15, 0
	s_and_not1_b32 vcc_lo, exec_lo, s2
	s_cbranch_vccz .LBB5_160
.LBB5_163:
	v_cmp_ne_u32_e32 vcc_lo, 1, v8
	v_add_nc_u32_e32 v21, 0x280, v0
	s_cbranch_vccnz .LBB5_169
; %bb.164:
	s_cmp_lg_u32 s26, 0
	s_mov_b32 s2, 0
	s_cbranch_scc0 .LBB5_173
; %bb.165:
	s_min_u32 s3, s27, 15
	v_dual_mov_b32 v18, 0 :: v_dual_mov_b32 v22, v21
	v_dual_mov_b32 v19, 0 :: v_dual_mov_b32 v20, 0
	s_add_co_i32 s4, s3, 1
	s_mov_b64 s[0:1], 0xffffffffffffffe8
	s_and_b32 s4, s4, 30
	s_add_nc_u64 s[0:1], s[16:17], s[0:1]
.LBB5_166:                              ; =>This Inner Loop Header: Depth=1
	s_clause 0x1
	s_load_b128 s[8:11], s[0:1], 0x1c
	s_load_b64 s[6:7], s[0:1], 0x2c
	s_add_co_i32 s4, s4, -2
	s_delay_alu instid0(SALU_CYCLE_1) | instskip(SKIP_2) | instid1(VALU_DEP_1)
	s_cmp_lg_u32 s4, 0
	s_wait_kmcnt 0x0
	v_mul_hi_u32 v23, s9, v22
	v_add_nc_u32_e32 v23, v22, v23
	s_delay_alu instid0(VALU_DEP_1) | instskip(NEXT) | instid1(VALU_DEP_1)
	v_lshrrev_b32_e32 v23, s10, v23
	v_mul_hi_u32 v24, s6, v23
	v_mul_lo_u32 v25, v23, s8
	s_clause 0x1
	s_load_b128 s[12:15], s[0:1], 0xdc
	s_load_b64 s[8:9], s[0:1], 0xec
	s_wait_xcnt 0x0
	s_add_nc_u64 s[0:1], s[0:1], 24
	s_delay_alu instid0(VALU_DEP_1) | instskip(NEXT) | instid1(VALU_DEP_1)
	v_dual_add_nc_u32 v24, v23, v24 :: v_dual_sub_nc_u32 v25, v22, v25
	v_lshrrev_b32_e32 v22, s7, v24
	s_wait_kmcnt 0x0
	s_delay_alu instid0(VALU_DEP_2) | instskip(NEXT) | instid1(VALU_DEP_2)
	v_mad_u32 v18, v25, s12, v18
	v_mul_lo_u32 v24, v22, s11
	v_mad_u32 v20, v25, s14, v20
	v_mad_u32 v19, v25, s13, v19
	s_delay_alu instid0(VALU_DEP_3) | instskip(NEXT) | instid1(VALU_DEP_1)
	v_sub_nc_u32_e32 v23, v23, v24
	v_mad_u32 v18, v23, s15, v18
	s_delay_alu instid0(VALU_DEP_4) | instskip(NEXT) | instid1(VALU_DEP_4)
	v_mad_u32 v20, v23, s9, v20
	v_mad_u32 v19, v23, s8, v19
	s_cbranch_scc1 .LBB5_166
; %bb.167:
	s_bitcmp1_b32 s3, 0
	s_cselect_b32 s3, -1, 0
	s_delay_alu instid0(SALU_CYCLE_1)
	s_and_b32 vcc_lo, exec_lo, s3
	s_cbranch_vccnz .LBB5_170
; %bb.168:
	s_clause 0x1
	s_load_b96 s[4:6], s[0:1], 0x1c
	s_load_b96 s[8:10], s[0:1], 0xdc
	s_wait_kmcnt 0x0
	v_mul_hi_u32 v23, s5, v22
	s_delay_alu instid0(VALU_DEP_1) | instskip(NEXT) | instid1(VALU_DEP_1)
	v_add_nc_u32_e32 v23, v22, v23
	v_lshrrev_b32_e32 v23, s6, v23
	s_delay_alu instid0(VALU_DEP_1) | instskip(NEXT) | instid1(VALU_DEP_1)
	v_mul_lo_u32 v23, v23, s4
	v_sub_nc_u32_e32 v22, v22, v23
	s_delay_alu instid0(VALU_DEP_1)
	v_mad_u32 v18, v22, s8, v18
	v_mad_u32 v19, v22, s9, v19
	;; [unrolled: 1-line block ×3, first 2 shown]
	s_and_not1_b32 vcc_lo, exec_lo, s2
	s_cbranch_vccz .LBB5_171
	s_branch .LBB5_174
.LBB5_169:
	s_mov_b32 s2, -1
                                        ; implicit-def: $vgpr20
                                        ; implicit-def: $vgpr19
                                        ; implicit-def: $vgpr18
.LBB5_170:
	s_delay_alu instid0(SALU_CYCLE_1)
	s_and_not1_b32 vcc_lo, exec_lo, s2
	s_cbranch_vccnz .LBB5_174
.LBB5_171:
	s_clause 0x1
	s_load_b96 s[0:2], s[16:17], 0x4
	s_load_b96 s[4:6], s[16:17], 0xc4
	s_cmp_lt_u32 s26, 2
	s_wait_kmcnt 0x0
	v_mul_hi_u32 v18, s1, v21
	s_delay_alu instid0(VALU_DEP_1) | instskip(NEXT) | instid1(VALU_DEP_1)
	v_add_nc_u32_e32 v18, v21, v18
	v_lshrrev_b32_e32 v22, s2, v18
	s_delay_alu instid0(VALU_DEP_1) | instskip(NEXT) | instid1(VALU_DEP_1)
	v_mul_lo_u32 v18, v22, s0
	v_sub_nc_u32_e32 v19, v21, v18
	s_delay_alu instid0(VALU_DEP_1)
	v_mul_lo_u32 v18, v19, s4
	v_mul_lo_u32 v20, v19, s6
	;; [unrolled: 1-line block ×3, first 2 shown]
	s_cbranch_scc1 .LBB5_174
; %bb.172:
	s_clause 0x1
	s_load_b96 s[0:2], s[16:17], 0x10
	s_load_b96 s[4:6], s[16:17], 0xd0
	s_wait_kmcnt 0x0
	v_mul_hi_u32 v21, s1, v22
	s_delay_alu instid0(VALU_DEP_1) | instskip(NEXT) | instid1(VALU_DEP_1)
	v_add_nc_u32_e32 v21, v22, v21
	v_lshrrev_b32_e32 v21, s2, v21
	s_delay_alu instid0(VALU_DEP_1) | instskip(NEXT) | instid1(VALU_DEP_1)
	v_mul_lo_u32 v21, v21, s0
	v_sub_nc_u32_e32 v21, v22, v21
	s_delay_alu instid0(VALU_DEP_1)
	v_mad_u32 v18, v21, s4, v18
	v_mad_u32 v19, v21, s5, v19
	;; [unrolled: 1-line block ×3, first 2 shown]
	s_branch .LBB5_174
.LBB5_173:
	v_dual_mov_b32 v20, 0 :: v_dual_mov_b32 v19, 0
	v_mov_b32_e32 v18, 0
	s_and_not1_b32 vcc_lo, exec_lo, s2
	s_cbranch_vccz .LBB5_171
.LBB5_174:
	v_cmp_ne_u32_e32 vcc_lo, 1, v8
	v_add_nc_u32_e32 v23, 0x300, v0
	s_cbranch_vccnz .LBB5_180
; %bb.175:
	s_cmp_lg_u32 s26, 0
	s_mov_b32 s2, 0
	s_cbranch_scc0 .LBB5_184
; %bb.176:
	s_min_u32 s3, s27, 15
	v_dual_mov_b32 v0, 0 :: v_dual_mov_b32 v24, v23
	v_dual_mov_b32 v22, 0 :: v_dual_mov_b32 v21, 0
	s_add_co_i32 s4, s3, 1
	s_mov_b64 s[0:1], 0xffffffffffffffe8
	s_and_b32 s4, s4, 30
	s_add_nc_u64 s[0:1], s[16:17], s[0:1]
.LBB5_177:                              ; =>This Inner Loop Header: Depth=1
	s_clause 0x1
	s_load_b128 s[8:11], s[0:1], 0x1c
	s_load_b64 s[6:7], s[0:1], 0x2c
	s_add_co_i32 s4, s4, -2
	s_delay_alu instid0(SALU_CYCLE_1) | instskip(SKIP_2) | instid1(VALU_DEP_1)
	s_cmp_lg_u32 s4, 0
	s_wait_kmcnt 0x0
	v_mul_hi_u32 v25, s9, v24
	v_add_nc_u32_e32 v25, v24, v25
	s_delay_alu instid0(VALU_DEP_1) | instskip(NEXT) | instid1(VALU_DEP_1)
	v_lshrrev_b32_e32 v25, s10, v25
	v_mul_hi_u32 v26, s6, v25
	v_mul_lo_u32 v27, v25, s8
	s_clause 0x1
	s_load_b128 s[12:15], s[0:1], 0xdc
	s_load_b64 s[8:9], s[0:1], 0xec
	s_wait_xcnt 0x0
	s_add_nc_u64 s[0:1], s[0:1], 24
	s_delay_alu instid0(VALU_DEP_1) | instskip(NEXT) | instid1(VALU_DEP_1)
	v_dual_add_nc_u32 v26, v25, v26 :: v_dual_sub_nc_u32 v27, v24, v27
	v_lshrrev_b32_e32 v24, s7, v26
	s_wait_kmcnt 0x0
	s_delay_alu instid0(VALU_DEP_2) | instskip(NEXT) | instid1(VALU_DEP_2)
	v_mad_u32 v0, v27, s12, v0
	v_mul_lo_u32 v26, v24, s11
	v_mad_u32 v21, v27, s14, v21
	v_mad_u32 v22, v27, s13, v22
	s_delay_alu instid0(VALU_DEP_3) | instskip(NEXT) | instid1(VALU_DEP_1)
	v_sub_nc_u32_e32 v25, v25, v26
	v_mad_u32 v0, v25, s15, v0
	s_delay_alu instid0(VALU_DEP_4) | instskip(NEXT) | instid1(VALU_DEP_4)
	v_mad_u32 v21, v25, s9, v21
	v_mad_u32 v22, v25, s8, v22
	s_cbranch_scc1 .LBB5_177
; %bb.178:
	s_bitcmp1_b32 s3, 0
	s_cselect_b32 s3, -1, 0
	s_delay_alu instid0(SALU_CYCLE_1)
	s_and_b32 vcc_lo, exec_lo, s3
	s_cbranch_vccnz .LBB5_181
; %bb.179:
	s_clause 0x1
	s_load_b96 s[4:6], s[0:1], 0x1c
	s_load_b96 s[8:10], s[0:1], 0xdc
	s_wait_kmcnt 0x0
	v_mul_hi_u32 v25, s5, v24
	s_delay_alu instid0(VALU_DEP_1) | instskip(NEXT) | instid1(VALU_DEP_1)
	v_add_nc_u32_e32 v25, v24, v25
	v_lshrrev_b32_e32 v25, s6, v25
	s_delay_alu instid0(VALU_DEP_1) | instskip(NEXT) | instid1(VALU_DEP_1)
	v_mul_lo_u32 v25, v25, s4
	v_sub_nc_u32_e32 v24, v24, v25
	s_delay_alu instid0(VALU_DEP_1)
	v_mad_u32 v0, v24, s8, v0
	v_mad_u32 v22, v24, s9, v22
	;; [unrolled: 1-line block ×3, first 2 shown]
	s_and_not1_b32 vcc_lo, exec_lo, s2
	s_cbranch_vccz .LBB5_182
	s_branch .LBB5_185
.LBB5_180:
	s_mov_b32 s2, -1
                                        ; implicit-def: $vgpr21
                                        ; implicit-def: $vgpr22
                                        ; implicit-def: $vgpr0
.LBB5_181:
	s_delay_alu instid0(SALU_CYCLE_1)
	s_and_not1_b32 vcc_lo, exec_lo, s2
	s_cbranch_vccnz .LBB5_185
.LBB5_182:
	s_clause 0x1
	s_load_b96 s[0:2], s[16:17], 0x4
	s_load_b96 s[4:6], s[16:17], 0xc4
	s_cmp_lt_u32 s26, 2
	s_wait_kmcnt 0x0
	v_mul_hi_u32 v0, s1, v23
	s_delay_alu instid0(VALU_DEP_1) | instskip(NEXT) | instid1(VALU_DEP_1)
	v_add_nc_u32_e32 v0, v23, v0
	v_lshrrev_b32_e32 v24, s2, v0
	s_delay_alu instid0(VALU_DEP_1) | instskip(NEXT) | instid1(VALU_DEP_1)
	v_mul_lo_u32 v0, v24, s0
	v_sub_nc_u32_e32 v22, v23, v0
	s_delay_alu instid0(VALU_DEP_1)
	v_mul_lo_u32 v0, v22, s4
	v_mul_lo_u32 v21, v22, s6
	;; [unrolled: 1-line block ×3, first 2 shown]
	s_cbranch_scc1 .LBB5_185
; %bb.183:
	s_clause 0x1
	s_load_b96 s[0:2], s[16:17], 0x10
	s_load_b96 s[4:6], s[16:17], 0xd0
	s_wait_kmcnt 0x0
	v_mul_hi_u32 v23, s1, v24
	s_delay_alu instid0(VALU_DEP_1) | instskip(NEXT) | instid1(VALU_DEP_1)
	v_add_nc_u32_e32 v23, v24, v23
	v_lshrrev_b32_e32 v23, s2, v23
	s_delay_alu instid0(VALU_DEP_1) | instskip(NEXT) | instid1(VALU_DEP_1)
	v_mul_lo_u32 v23, v23, s0
	v_sub_nc_u32_e32 v23, v24, v23
	s_delay_alu instid0(VALU_DEP_1)
	v_mad_u32 v0, v23, s4, v0
	v_mad_u32 v22, v23, s5, v22
	;; [unrolled: 1-line block ×3, first 2 shown]
	s_branch .LBB5_185
.LBB5_184:
	v_dual_mov_b32 v21, 0 :: v_dual_mov_b32 v22, 0
	v_mov_b32_e32 v0, 0
	s_and_not1_b32 vcc_lo, exec_lo, s2
	s_cbranch_vccz .LBB5_182
.LBB5_185:
	v_cmp_ne_u32_e32 vcc_lo, 1, v8
	s_cbranch_vccnz .LBB5_191
; %bb.186:
	s_cmp_lg_u32 s26, 0
	s_mov_b32 s2, 0
	s_cbranch_scc0 .LBB5_195
; %bb.187:
	s_min_u32 s3, s27, 15
	v_dual_mov_b32 v8, 0 :: v_dual_mov_b32 v25, v4
	v_dual_mov_b32 v24, 0 :: v_dual_mov_b32 v23, 0
	s_add_co_i32 s4, s3, 1
	s_mov_b64 s[0:1], 0xffffffffffffffe8
	s_and_b32 s4, s4, 30
	s_add_nc_u64 s[0:1], s[16:17], s[0:1]
.LBB5_188:                              ; =>This Inner Loop Header: Depth=1
	s_clause 0x1
	s_load_b128 s[8:11], s[0:1], 0x1c
	s_load_b64 s[6:7], s[0:1], 0x2c
	s_add_co_i32 s4, s4, -2
	s_delay_alu instid0(SALU_CYCLE_1) | instskip(SKIP_2) | instid1(VALU_DEP_1)
	s_cmp_lg_u32 s4, 0
	s_wait_kmcnt 0x0
	v_mul_hi_u32 v26, s9, v25
	v_add_nc_u32_e32 v26, v25, v26
	s_delay_alu instid0(VALU_DEP_1) | instskip(NEXT) | instid1(VALU_DEP_1)
	v_lshrrev_b32_e32 v26, s10, v26
	v_mul_hi_u32 v27, s6, v26
	v_mul_lo_u32 v28, v26, s8
	s_clause 0x1
	s_load_b128 s[12:15], s[0:1], 0xdc
	s_load_b64 s[8:9], s[0:1], 0xec
	s_wait_xcnt 0x0
	s_add_nc_u64 s[0:1], s[0:1], 24
	s_delay_alu instid0(VALU_DEP_1) | instskip(NEXT) | instid1(VALU_DEP_1)
	v_dual_add_nc_u32 v27, v26, v27 :: v_dual_sub_nc_u32 v28, v25, v28
	v_lshrrev_b32_e32 v25, s7, v27
	s_wait_kmcnt 0x0
	s_delay_alu instid0(VALU_DEP_2) | instskip(NEXT) | instid1(VALU_DEP_2)
	v_mad_u32 v8, v28, s12, v8
	v_mul_lo_u32 v27, v25, s11
	v_mad_u32 v23, v28, s14, v23
	v_mad_u32 v24, v28, s13, v24
	s_delay_alu instid0(VALU_DEP_3) | instskip(NEXT) | instid1(VALU_DEP_1)
	v_sub_nc_u32_e32 v26, v26, v27
	v_mad_u32 v8, v26, s15, v8
	s_delay_alu instid0(VALU_DEP_4) | instskip(NEXT) | instid1(VALU_DEP_4)
	v_mad_u32 v23, v26, s9, v23
	v_mad_u32 v24, v26, s8, v24
	s_cbranch_scc1 .LBB5_188
; %bb.189:
	s_bitcmp1_b32 s3, 0
	s_cselect_b32 s3, -1, 0
	s_delay_alu instid0(SALU_CYCLE_1)
	s_and_b32 vcc_lo, exec_lo, s3
	s_cbranch_vccnz .LBB5_192
; %bb.190:
	s_clause 0x1
	s_load_b96 s[4:6], s[0:1], 0x1c
	s_load_b96 s[8:10], s[0:1], 0xdc
	s_wait_kmcnt 0x0
	v_mul_hi_u32 v26, s5, v25
	s_delay_alu instid0(VALU_DEP_1) | instskip(NEXT) | instid1(VALU_DEP_1)
	v_add_nc_u32_e32 v26, v25, v26
	v_lshrrev_b32_e32 v26, s6, v26
	s_delay_alu instid0(VALU_DEP_1) | instskip(NEXT) | instid1(VALU_DEP_1)
	v_mul_lo_u32 v26, v26, s4
	v_sub_nc_u32_e32 v25, v25, v26
	s_delay_alu instid0(VALU_DEP_1)
	v_mad_u32 v8, v25, s8, v8
	v_mad_u32 v24, v25, s9, v24
	;; [unrolled: 1-line block ×3, first 2 shown]
	s_and_not1_b32 vcc_lo, exec_lo, s2
	s_cbranch_vccz .LBB5_193
	s_branch .LBB5_196
.LBB5_191:
	s_mov_b32 s2, -1
                                        ; implicit-def: $vgpr23
                                        ; implicit-def: $vgpr24
                                        ; implicit-def: $vgpr8
.LBB5_192:
	s_delay_alu instid0(SALU_CYCLE_1)
	s_and_not1_b32 vcc_lo, exec_lo, s2
	s_cbranch_vccnz .LBB5_196
.LBB5_193:
	s_clause 0x1
	s_load_b96 s[0:2], s[16:17], 0x4
	s_load_b96 s[4:6], s[16:17], 0xc4
	s_cmp_lt_u32 s26, 2
	s_wait_kmcnt 0x0
	v_mul_hi_u32 v8, s1, v4
	s_delay_alu instid0(VALU_DEP_1) | instskip(NEXT) | instid1(VALU_DEP_1)
	v_add_nc_u32_e32 v8, v4, v8
	v_lshrrev_b32_e32 v25, s2, v8
	s_delay_alu instid0(VALU_DEP_1) | instskip(NEXT) | instid1(VALU_DEP_1)
	v_mul_lo_u32 v8, v25, s0
	v_sub_nc_u32_e32 v4, v4, v8
	s_delay_alu instid0(VALU_DEP_1)
	v_mul_lo_u32 v8, v4, s4
	v_mul_lo_u32 v23, v4, s6
	;; [unrolled: 1-line block ×3, first 2 shown]
	s_cbranch_scc1 .LBB5_196
; %bb.194:
	s_clause 0x1
	s_load_b96 s[0:2], s[16:17], 0x10
	s_load_b96 s[4:6], s[16:17], 0xd0
	s_wait_kmcnt 0x0
	v_mul_hi_u32 v4, s1, v25
	s_delay_alu instid0(VALU_DEP_1) | instskip(NEXT) | instid1(VALU_DEP_1)
	v_add_nc_u32_e32 v4, v25, v4
	v_lshrrev_b32_e32 v4, s2, v4
	s_delay_alu instid0(VALU_DEP_1) | instskip(NEXT) | instid1(VALU_DEP_1)
	v_mul_lo_u32 v4, v4, s0
	v_sub_nc_u32_e32 v4, v25, v4
	s_delay_alu instid0(VALU_DEP_1)
	v_mad_u32 v8, v4, s4, v8
	v_mad_u32 v24, v4, s5, v24
	v_mad_u32 v23, v4, s6, v23
	s_branch .LBB5_196
.LBB5_195:
	v_dual_mov_b32 v23, 0 :: v_dual_mov_b32 v24, 0
	v_mov_b32_e32 v8, 0
	s_and_not1_b32 vcc_lo, exec_lo, s2
	s_cbranch_vccz .LBB5_193
.LBB5_196:
	s_clause 0x1
	s_load_b128 s[8:11], s[16:17], 0x188
	s_load_b96 s[0:2], s[16:17], 0x198
	s_wait_kmcnt 0x0
	global_load_u8 v4, v3, s[10:11]
	global_load_u8 v25, v2, s[0:1]
	;; [unrolled: 1-line block ×15, first 2 shown]
                                        ; kill: killed $vgpr17
                                        ; kill: killed $vgpr11
                                        ; kill: killed $vgpr22
                                        ; kill: killed $vgpr7
                                        ; kill: killed $vgpr20
                                        ; kill: killed $vgpr14
                                        ; kill: killed $vgpr24
                                        ; kill: killed $vgpr10
                                        ; kill: killed $vgpr3
                                        ; kill: killed $vgpr21
                                        ; kill: killed $vgpr16
                                        ; kill: killed $vgpr13
                                        ; kill: killed $vgpr6
                                        ; kill: killed $sgpr10_sgpr11
                                        ; kill: killed $vgpr19
                                        ; kill: killed $vgpr2
	global_load_u8 v2, v23, s[0:1]
	s_cmp_eq_u32 s2, 0
	s_cselect_b32 s7, -1, 0
	s_wait_loadcnt 0xe
	v_cmp_ne_u16_e32 vcc_lo, v4, v25
	s_wait_loadcnt 0xc
	s_wait_xcnt 0x0
	v_cmp_ne_u16_e64 s0, v26, v27
	s_wait_loadcnt 0xa
	v_cmp_ne_u16_e64 s1, v28, v29
	s_xor_b32 s10, s7, vcc_lo
	s_wait_loadcnt 0x8
	v_cmp_ne_u16_e64 s2, v30, v31
	s_xor_b32 s0, s7, s0
	s_wait_loadcnt 0x6
	v_cmp_ne_u16_e64 s3, v32, v33
	v_cndmask_b32_e64 v3, 0, 1, s0
	s_xor_b32 s0, s7, s1
	s_wait_loadcnt 0x4
	v_cmp_ne_u16_e64 s4, v34, v35
	v_cndmask_b32_e64 v4, 0, 1, s0
	;; [unrolled: 4-line block ×3, first 2 shown]
	s_xor_b32 s0, s7, s3
	s_delay_alu instid0(SALU_CYCLE_1) | instskip(SKIP_1) | instid1(SALU_CYCLE_1)
	v_cndmask_b32_e64 v7, 0, 1, s0
	s_xor_b32 s0, s7, s4
	v_cndmask_b32_e64 v10, 0, 1, s0
	s_xor_b32 s0, s7, s5
	s_delay_alu instid0(SALU_CYCLE_1) | instskip(SKIP_4) | instid1(SALU_CYCLE_1)
	v_cndmask_b32_e64 v11, 0, 1, s0
	s_wait_loadcnt 0x0
	v_cmp_ne_u16_e64 s6, v38, v2
	v_cndmask_b32_e64 v2, 0, 1, s10
	s_xor_b32 s0, s7, s6
	v_cndmask_b32_e64 v13, 0, 1, s0
	s_clause 0x7
	global_store_b8 v1, v2, s[8:9]
	global_store_b8 v5, v3, s[8:9]
	;; [unrolled: 1-line block ×8, first 2 shown]
	s_endpgm
	.section	.rodata,"a",@progbits
	.p2align	6, 0x0
	.amdhsa_kernel _ZN2at6native32elementwise_kernel_manual_unrollILi128ELi8EZNS0_22gpu_kernel_impl_nocastINS0_13BinaryFunctorIhhbNS0_12_GLOBAL__N_116CompareEqFunctorIhEEEEEEvRNS_18TensorIteratorBaseERKT_EUlibE_EEviT1_
		.amdhsa_group_segment_fixed_size 0
		.amdhsa_private_segment_fixed_size 0
		.amdhsa_kernarg_size 432
		.amdhsa_user_sgpr_count 2
		.amdhsa_user_sgpr_dispatch_ptr 0
		.amdhsa_user_sgpr_queue_ptr 0
		.amdhsa_user_sgpr_kernarg_segment_ptr 1
		.amdhsa_user_sgpr_dispatch_id 0
		.amdhsa_user_sgpr_kernarg_preload_length 0
		.amdhsa_user_sgpr_kernarg_preload_offset 0
		.amdhsa_user_sgpr_private_segment_size 0
		.amdhsa_wavefront_size32 1
		.amdhsa_uses_dynamic_stack 0
		.amdhsa_enable_private_segment 0
		.amdhsa_system_sgpr_workgroup_id_x 1
		.amdhsa_system_sgpr_workgroup_id_y 0
		.amdhsa_system_sgpr_workgroup_id_z 0
		.amdhsa_system_sgpr_workgroup_info 0
		.amdhsa_system_vgpr_workitem_id 0
		.amdhsa_next_free_vgpr 39
		.amdhsa_next_free_sgpr 46
		.amdhsa_named_barrier_count 0
		.amdhsa_reserve_vcc 1
		.amdhsa_float_round_mode_32 0
		.amdhsa_float_round_mode_16_64 0
		.amdhsa_float_denorm_mode_32 3
		.amdhsa_float_denorm_mode_16_64 3
		.amdhsa_fp16_overflow 0
		.amdhsa_memory_ordered 1
		.amdhsa_forward_progress 1
		.amdhsa_inst_pref_size 84
		.amdhsa_round_robin_scheduling 0
		.amdhsa_exception_fp_ieee_invalid_op 0
		.amdhsa_exception_fp_denorm_src 0
		.amdhsa_exception_fp_ieee_div_zero 0
		.amdhsa_exception_fp_ieee_overflow 0
		.amdhsa_exception_fp_ieee_underflow 0
		.amdhsa_exception_fp_ieee_inexact 0
		.amdhsa_exception_int_div_zero 0
	.end_amdhsa_kernel
	.section	.text._ZN2at6native32elementwise_kernel_manual_unrollILi128ELi8EZNS0_22gpu_kernel_impl_nocastINS0_13BinaryFunctorIhhbNS0_12_GLOBAL__N_116CompareEqFunctorIhEEEEEEvRNS_18TensorIteratorBaseERKT_EUlibE_EEviT1_,"axG",@progbits,_ZN2at6native32elementwise_kernel_manual_unrollILi128ELi8EZNS0_22gpu_kernel_impl_nocastINS0_13BinaryFunctorIhhbNS0_12_GLOBAL__N_116CompareEqFunctorIhEEEEEEvRNS_18TensorIteratorBaseERKT_EUlibE_EEviT1_,comdat
.Lfunc_end5:
	.size	_ZN2at6native32elementwise_kernel_manual_unrollILi128ELi8EZNS0_22gpu_kernel_impl_nocastINS0_13BinaryFunctorIhhbNS0_12_GLOBAL__N_116CompareEqFunctorIhEEEEEEvRNS_18TensorIteratorBaseERKT_EUlibE_EEviT1_, .Lfunc_end5-_ZN2at6native32elementwise_kernel_manual_unrollILi128ELi8EZNS0_22gpu_kernel_impl_nocastINS0_13BinaryFunctorIhhbNS0_12_GLOBAL__N_116CompareEqFunctorIhEEEEEEvRNS_18TensorIteratorBaseERKT_EUlibE_EEviT1_
                                        ; -- End function
	.set _ZN2at6native32elementwise_kernel_manual_unrollILi128ELi8EZNS0_22gpu_kernel_impl_nocastINS0_13BinaryFunctorIhhbNS0_12_GLOBAL__N_116CompareEqFunctorIhEEEEEEvRNS_18TensorIteratorBaseERKT_EUlibE_EEviT1_.num_vgpr, 39
	.set _ZN2at6native32elementwise_kernel_manual_unrollILi128ELi8EZNS0_22gpu_kernel_impl_nocastINS0_13BinaryFunctorIhhbNS0_12_GLOBAL__N_116CompareEqFunctorIhEEEEEEvRNS_18TensorIteratorBaseERKT_EUlibE_EEviT1_.num_agpr, 0
	.set _ZN2at6native32elementwise_kernel_manual_unrollILi128ELi8EZNS0_22gpu_kernel_impl_nocastINS0_13BinaryFunctorIhhbNS0_12_GLOBAL__N_116CompareEqFunctorIhEEEEEEvRNS_18TensorIteratorBaseERKT_EUlibE_EEviT1_.numbered_sgpr, 46
	.set _ZN2at6native32elementwise_kernel_manual_unrollILi128ELi8EZNS0_22gpu_kernel_impl_nocastINS0_13BinaryFunctorIhhbNS0_12_GLOBAL__N_116CompareEqFunctorIhEEEEEEvRNS_18TensorIteratorBaseERKT_EUlibE_EEviT1_.num_named_barrier, 0
	.set _ZN2at6native32elementwise_kernel_manual_unrollILi128ELi8EZNS0_22gpu_kernel_impl_nocastINS0_13BinaryFunctorIhhbNS0_12_GLOBAL__N_116CompareEqFunctorIhEEEEEEvRNS_18TensorIteratorBaseERKT_EUlibE_EEviT1_.private_seg_size, 0
	.set _ZN2at6native32elementwise_kernel_manual_unrollILi128ELi8EZNS0_22gpu_kernel_impl_nocastINS0_13BinaryFunctorIhhbNS0_12_GLOBAL__N_116CompareEqFunctorIhEEEEEEvRNS_18TensorIteratorBaseERKT_EUlibE_EEviT1_.uses_vcc, 1
	.set _ZN2at6native32elementwise_kernel_manual_unrollILi128ELi8EZNS0_22gpu_kernel_impl_nocastINS0_13BinaryFunctorIhhbNS0_12_GLOBAL__N_116CompareEqFunctorIhEEEEEEvRNS_18TensorIteratorBaseERKT_EUlibE_EEviT1_.uses_flat_scratch, 0
	.set _ZN2at6native32elementwise_kernel_manual_unrollILi128ELi8EZNS0_22gpu_kernel_impl_nocastINS0_13BinaryFunctorIhhbNS0_12_GLOBAL__N_116CompareEqFunctorIhEEEEEEvRNS_18TensorIteratorBaseERKT_EUlibE_EEviT1_.has_dyn_sized_stack, 0
	.set _ZN2at6native32elementwise_kernel_manual_unrollILi128ELi8EZNS0_22gpu_kernel_impl_nocastINS0_13BinaryFunctorIhhbNS0_12_GLOBAL__N_116CompareEqFunctorIhEEEEEEvRNS_18TensorIteratorBaseERKT_EUlibE_EEviT1_.has_recursion, 0
	.set _ZN2at6native32elementwise_kernel_manual_unrollILi128ELi8EZNS0_22gpu_kernel_impl_nocastINS0_13BinaryFunctorIhhbNS0_12_GLOBAL__N_116CompareEqFunctorIhEEEEEEvRNS_18TensorIteratorBaseERKT_EUlibE_EEviT1_.has_indirect_call, 0
	.section	.AMDGPU.csdata,"",@progbits
; Kernel info:
; codeLenInByte = 10744
; TotalNumSgprs: 48
; NumVgprs: 39
; ScratchSize: 0
; MemoryBound: 0
; FloatMode: 240
; IeeeMode: 1
; LDSByteSize: 0 bytes/workgroup (compile time only)
; SGPRBlocks: 0
; VGPRBlocks: 2
; NumSGPRsForWavesPerEU: 48
; NumVGPRsForWavesPerEU: 39
; NamedBarCnt: 0
; Occupancy: 16
; WaveLimiterHint : 1
; COMPUTE_PGM_RSRC2:SCRATCH_EN: 0
; COMPUTE_PGM_RSRC2:USER_SGPR: 2
; COMPUTE_PGM_RSRC2:TRAP_HANDLER: 0
; COMPUTE_PGM_RSRC2:TGID_X_EN: 1
; COMPUTE_PGM_RSRC2:TGID_Y_EN: 0
; COMPUTE_PGM_RSRC2:TGID_Z_EN: 0
; COMPUTE_PGM_RSRC2:TIDIG_COMP_CNT: 0
	.section	.text._ZN2at6native32elementwise_kernel_manual_unrollILi128ELi4EZNS0_15gpu_kernel_implINS0_13BinaryFunctorIhhbNS0_12_GLOBAL__N_116CompareEqFunctorIhEEEEEEvRNS_18TensorIteratorBaseERKT_EUlibE_EEviT1_,"axG",@progbits,_ZN2at6native32elementwise_kernel_manual_unrollILi128ELi4EZNS0_15gpu_kernel_implINS0_13BinaryFunctorIhhbNS0_12_GLOBAL__N_116CompareEqFunctorIhEEEEEEvRNS_18TensorIteratorBaseERKT_EUlibE_EEviT1_,comdat
	.globl	_ZN2at6native32elementwise_kernel_manual_unrollILi128ELi4EZNS0_15gpu_kernel_implINS0_13BinaryFunctorIhhbNS0_12_GLOBAL__N_116CompareEqFunctorIhEEEEEEvRNS_18TensorIteratorBaseERKT_EUlibE_EEviT1_ ; -- Begin function _ZN2at6native32elementwise_kernel_manual_unrollILi128ELi4EZNS0_15gpu_kernel_implINS0_13BinaryFunctorIhhbNS0_12_GLOBAL__N_116CompareEqFunctorIhEEEEEEvRNS_18TensorIteratorBaseERKT_EUlibE_EEviT1_
	.p2align	8
	.type	_ZN2at6native32elementwise_kernel_manual_unrollILi128ELi4EZNS0_15gpu_kernel_implINS0_13BinaryFunctorIhhbNS0_12_GLOBAL__N_116CompareEqFunctorIhEEEEEEvRNS_18TensorIteratorBaseERKT_EUlibE_EEviT1_,@function
_ZN2at6native32elementwise_kernel_manual_unrollILi128ELi4EZNS0_15gpu_kernel_implINS0_13BinaryFunctorIhhbNS0_12_GLOBAL__N_116CompareEqFunctorIhEEEEEEvRNS_18TensorIteratorBaseERKT_EUlibE_EEviT1_: ; @_ZN2at6native32elementwise_kernel_manual_unrollILi128ELi4EZNS0_15gpu_kernel_implINS0_13BinaryFunctorIhhbNS0_12_GLOBAL__N_116CompareEqFunctorIhEEEEEEvRNS_18TensorIteratorBaseERKT_EUlibE_EEviT1_
; %bb.0:
	s_load_b32 s12, s[0:1], 0x30
	s_bfe_u32 s2, ttmp6, 0x4000c
	s_clause 0x1
	s_load_b32 s17, s[0:1], 0x0
	s_load_b128 s[4:7], s[0:1], 0x8
	s_add_co_i32 s14, s2, 1
	s_clause 0x1
	s_load_b64 s[2:3], s[0:1], 0x18
	s_load_b128 s[8:11], s[0:1], 0x20
	s_and_b32 s13, ttmp6, 15
	s_wait_xcnt 0x0
	s_mul_i32 s0, ttmp9, s14
	s_getreg_b32 s15, hwreg(HW_REG_IB_STS2, 6, 4)
	s_add_co_i32 s13, s13, s0
	s_mov_b32 s16, 0
	s_wait_kmcnt 0x0
	s_lshr_b32 s14, s12, 8
	s_lshr_b32 s1, s12, 16
	s_cmp_eq_u32 s15, 0
	s_cselect_b32 s0, ttmp9, s13
	s_mov_b32 s13, 0
	v_lshl_or_b32 v18, s0, 9, v0
	s_mov_b32 s0, exec_lo
	s_delay_alu instid0(VALU_DEP_1) | instskip(NEXT) | instid1(VALU_DEP_1)
	v_or_b32_e32 v0, 0x180, v18
	v_cmpx_le_i32_e64 s17, v0
	s_xor_b32 s15, exec_lo, s0
	s_cbranch_execz .LBB6_1515
; %bb.1:
	s_cmp_eq_u32 s11, 0
	s_mov_b32 s22, 0
	s_cselect_b32 s16, -1, 0
	s_mov_b32 s25, -1
	s_mov_b32 s20, 0
	s_mov_b32 s19, 0
	s_mov_b32 s18, 0
	s_mov_b32 s21, exec_lo
	v_cmpx_gt_i32_e64 s17, v18
	s_cbranch_execz .LBB6_374
; %bb.2:
	v_mul_lo_u32 v0, v18, s9
	s_and_b32 s0, s14, 0xff
	s_delay_alu instid0(SALU_CYCLE_1) | instskip(NEXT) | instid1(VALU_DEP_1)
	s_cmp_lt_i32 s0, 11
	v_ashrrev_i32_e32 v1, 31, v0
	s_delay_alu instid0(VALU_DEP_1)
	v_add_nc_u64_e32 v[2:3], s[6:7], v[0:1]
	s_cbranch_scc1 .LBB6_9
; %bb.3:
	s_and_b32 s18, 0xffff, s0
	s_delay_alu instid0(SALU_CYCLE_1)
	s_cmp_gt_i32 s18, 25
	s_cbranch_scc0 .LBB6_18
; %bb.4:
	s_cmp_gt_i32 s18, 28
	s_cbranch_scc0 .LBB6_28
; %bb.5:
	;; [unrolled: 3-line block ×4, first 2 shown]
	s_cmp_eq_u32 s18, 46
	s_mov_b32 s23, 0
	s_cbranch_scc0 .LBB6_37
; %bb.8:
	global_load_b32 v0, v[2:3], off
	s_mov_b32 s19, -1
	s_wait_loadcnt 0x0
	v_lshlrev_b32_e32 v0, 16, v0
	s_delay_alu instid0(VALU_DEP_1) | instskip(NEXT) | instid1(VALU_DEP_1)
	v_trunc_f32_e32 v0, v0
	v_mul_f32_e64 v1, 0x2f800000, |v0|
	s_delay_alu instid0(VALU_DEP_1) | instskip(NEXT) | instid1(VALU_DEP_1)
	v_floor_f32_e32 v1, v1
	v_fma_f32 v1, 0xcf800000, v1, |v0|
	v_ashrrev_i32_e32 v0, 31, v0
	s_delay_alu instid0(VALU_DEP_2) | instskip(NEXT) | instid1(VALU_DEP_1)
	v_cvt_u32_f32_e32 v1, v1
	v_xor_b32_e32 v1, v1, v0
	s_delay_alu instid0(VALU_DEP_1)
	v_sub_nc_u32_e32 v0, v1, v0
	s_branch .LBB6_39
.LBB6_9:
                                        ; implicit-def: $vgpr0
	s_cbranch_execnz .LBB6_101
.LBB6_10:
	s_and_not1_b32 vcc_lo, exec_lo, s19
	s_cbranch_vccnz .LBB6_148
.LBB6_11:
	s_wait_xcnt 0x0
	v_mul_lo_u32 v2, v18, s10
	s_and_b32 s0, s1, 0xff
	s_delay_alu instid0(SALU_CYCLE_1) | instskip(NEXT) | instid1(VALU_DEP_1)
	s_cmp_lt_i32 s0, 11
	v_ashrrev_i32_e32 v3, 31, v2
	s_delay_alu instid0(VALU_DEP_1)
	v_add_nc_u64_e32 v[2:3], s[2:3], v[2:3]
	s_cbranch_scc1 .LBB6_19
; %bb.12:
	s_and_b32 s18, 0xffff, s0
	s_delay_alu instid0(SALU_CYCLE_1)
	s_cmp_gt_i32 s18, 25
	s_cbranch_scc0 .LBB6_29
; %bb.13:
	s_cmp_gt_i32 s18, 28
	s_cbranch_scc0 .LBB6_32
; %bb.14:
	;; [unrolled: 3-line block ×4, first 2 shown]
	s_cmp_eq_u32 s18, 46
	s_mov_b32 s24, 0
	s_cbranch_scc0 .LBB6_149
; %bb.17:
	s_wait_loadcnt 0x0
	global_load_b32 v1, v[2:3], off
	s_mov_b32 s23, -1
	s_mov_b32 s19, 0
	s_wait_loadcnt 0x0
	v_lshlrev_b32_e32 v1, 16, v1
	s_delay_alu instid0(VALU_DEP_1) | instskip(NEXT) | instid1(VALU_DEP_1)
	v_trunc_f32_e32 v1, v1
	v_mul_f32_e64 v4, 0x2f800000, |v1|
	s_delay_alu instid0(VALU_DEP_1) | instskip(NEXT) | instid1(VALU_DEP_1)
	v_floor_f32_e32 v4, v4
	v_fma_f32 v4, 0xcf800000, v4, |v1|
	v_ashrrev_i32_e32 v1, 31, v1
	s_delay_alu instid0(VALU_DEP_2) | instskip(NEXT) | instid1(VALU_DEP_1)
	v_cvt_u32_f32_e32 v4, v4
	v_xor_b32_e32 v4, v4, v1
	s_delay_alu instid0(VALU_DEP_1)
	v_sub_nc_u32_e32 v4, v4, v1
	s_branch .LBB6_151
.LBB6_18:
                                        ; implicit-def: $vgpr0
	s_cbranch_execnz .LBB6_68
	s_branch .LBB6_100
.LBB6_19:
	s_mov_b32 s19, 0
	s_mov_b32 s23, 0
                                        ; implicit-def: $vgpr4
	s_cbranch_execnz .LBB6_323
.LBB6_20:
	s_and_not1_b32 vcc_lo, exec_lo, s23
	s_cbranch_vccnz .LBB6_371
.LBB6_21:
	s_wait_xcnt 0x0
	v_mul_lo_u32 v2, v18, s8
	s_wait_loadcnt 0x0
	s_delay_alu instid0(VALU_DEP_2) | instskip(SKIP_2) | instid1(VALU_DEP_1)
	v_and_b32_e32 v1, 0xff, v4
	v_and_b32_e32 v0, 0xff, v0
	s_and_b32 s23, s12, 0xff
	v_cmp_ne_u16_e32 vcc_lo, v0, v1
	s_delay_alu instid0(VALU_DEP_4) | instskip(SKIP_2) | instid1(VALU_DEP_1)
	v_ashrrev_i32_e32 v3, 31, v2
	s_xor_b32 s18, s16, vcc_lo
	s_cmp_lt_i32 s23, 11
	v_add_nc_u64_e32 v[0:1], s[4:5], v[2:3]
	s_cbranch_scc1 .LBB6_30
; %bb.22:
	s_and_b32 s24, 0xffff, s23
	s_delay_alu instid0(SALU_CYCLE_1)
	s_cmp_gt_i32 s24, 25
	s_cbranch_scc0 .LBB6_33
; %bb.23:
	s_cmp_gt_i32 s24, 28
	s_cbranch_scc0 .LBB6_36
; %bb.24:
	;; [unrolled: 3-line block ×4, first 2 shown]
	s_mov_b32 s26, 0
	s_mov_b32 s0, -1
	s_cmp_eq_u32 s24, 46
	s_mov_b32 s25, 0
	s_cbranch_scc0 .LBB6_155
; %bb.27:
	v_cndmask_b32_e64 v2, 0, 1.0, s18
	s_mov_b32 s25, -1
	s_mov_b32 s0, 0
	s_delay_alu instid0(VALU_DEP_1) | instskip(NEXT) | instid1(VALU_DEP_1)
	v_bfe_u32 v3, v2, 16, 1
	v_add3_u32 v2, v2, v3, 0x7fff
	s_delay_alu instid0(VALU_DEP_1)
	v_lshrrev_b32_e32 v2, 16, v2
	global_store_b32 v[0:1], v2, off
	s_branch .LBB6_155
.LBB6_28:
	s_mov_b32 s23, -1
                                        ; implicit-def: $vgpr0
	s_branch .LBB6_51
.LBB6_29:
	s_mov_b32 s24, -1
	s_mov_b32 s19, 0
	s_mov_b32 s23, 0
                                        ; implicit-def: $vgpr4
	s_branch .LBB6_289
.LBB6_30:
	s_mov_b32 s24, -1
	s_mov_b32 s0, 0
	s_mov_b32 s25, 0
	s_branch .LBB6_224
.LBB6_31:
	s_mov_b32 s23, -1
                                        ; implicit-def: $vgpr0
	s_branch .LBB6_46
.LBB6_32:
	s_mov_b32 s24, -1
	s_mov_b32 s19, 0
	s_mov_b32 s23, 0
                                        ; implicit-def: $vgpr4
	s_branch .LBB6_272
.LBB6_33:
	s_mov_b32 s26, -1
	s_mov_b32 s0, 0
	s_mov_b32 s25, 0
	s_branch .LBB6_182
.LBB6_34:
	s_mov_b32 s23, -1
	s_branch .LBB6_38
.LBB6_35:
	s_mov_b32 s24, -1
	s_mov_b32 s19, 0
	s_mov_b32 s23, 0
                                        ; implicit-def: $vgpr4
	s_branch .LBB6_267
.LBB6_36:
	s_mov_b32 s26, -1
	s_mov_b32 s0, 0
	s_mov_b32 s25, 0
	s_branch .LBB6_165
.LBB6_37:
	s_mov_b32 s20, -1
.LBB6_38:
                                        ; implicit-def: $vgpr0
.LBB6_39:
	s_and_b32 vcc_lo, exec_lo, s23
	s_cbranch_vccz .LBB6_45
; %bb.40:
	s_cmp_eq_u32 s18, 44
	s_cbranch_scc0 .LBB6_44
; %bb.41:
	global_load_u8 v0, v[2:3], off
	s_mov_b32 s20, 0
	s_mov_b32 s19, -1
	s_wait_loadcnt 0x0
	v_lshlrev_b32_e32 v1, 23, v0
	v_cmp_ne_u32_e32 vcc_lo, 0, v0
	s_delay_alu instid0(VALU_DEP_2) | instskip(NEXT) | instid1(VALU_DEP_1)
	v_trunc_f32_e32 v1, v1
	v_mul_f32_e64 v4, 0x2f800000, |v1|
	s_delay_alu instid0(VALU_DEP_1) | instskip(NEXT) | instid1(VALU_DEP_1)
	v_floor_f32_e32 v4, v4
	v_fma_f32 v4, 0xcf800000, v4, |v1|
	v_ashrrev_i32_e32 v1, 31, v1
	s_delay_alu instid0(VALU_DEP_2) | instskip(NEXT) | instid1(VALU_DEP_1)
	v_cvt_u32_f32_e32 v4, v4
	v_xor_b32_e32 v4, v4, v1
	s_delay_alu instid0(VALU_DEP_1) | instskip(NEXT) | instid1(VALU_DEP_1)
	v_sub_nc_u32_e32 v1, v4, v1
	v_cndmask_b32_e32 v0, 0, v1, vcc_lo
	s_branch .LBB6_45
.LBB6_42:
	s_mov_b32 s24, -1
	s_mov_b32 s19, 0
	s_branch .LBB6_150
.LBB6_43:
	s_mov_b32 s26, -1
	s_mov_b32 s0, 0
	s_mov_b32 s25, 0
	s_branch .LBB6_161
.LBB6_44:
	s_mov_b32 s20, -1
                                        ; implicit-def: $vgpr0
.LBB6_45:
	s_mov_b32 s23, 0
.LBB6_46:
	s_delay_alu instid0(SALU_CYCLE_1)
	s_and_b32 vcc_lo, exec_lo, s23
	s_cbranch_vccz .LBB6_50
; %bb.47:
	s_cmp_eq_u32 s18, 29
	s_cbranch_scc0 .LBB6_49
; %bb.48:
	global_load_b64 v[0:1], v[2:3], off
	s_mov_b32 s19, -1
	s_mov_b32 s20, 0
	s_branch .LBB6_50
.LBB6_49:
	s_mov_b32 s20, -1
                                        ; implicit-def: $vgpr0
.LBB6_50:
	s_mov_b32 s23, 0
.LBB6_51:
	s_delay_alu instid0(SALU_CYCLE_1)
	s_and_b32 vcc_lo, exec_lo, s23
	s_cbranch_vccz .LBB6_67
; %bb.52:
	s_cmp_lt_i32 s18, 27
	s_cbranch_scc1 .LBB6_55
; %bb.53:
	s_cmp_gt_i32 s18, 27
	s_cbranch_scc0 .LBB6_56
; %bb.54:
	s_wait_loadcnt 0x0
	global_load_b32 v0, v[2:3], off
	s_mov_b32 s19, 0
	s_branch .LBB6_57
.LBB6_55:
	s_mov_b32 s19, -1
                                        ; implicit-def: $vgpr0
	s_branch .LBB6_60
.LBB6_56:
	s_mov_b32 s19, -1
                                        ; implicit-def: $vgpr0
.LBB6_57:
	s_delay_alu instid0(SALU_CYCLE_1)
	s_and_not1_b32 vcc_lo, exec_lo, s19
	s_cbranch_vccnz .LBB6_59
; %bb.58:
	s_wait_loadcnt 0x0
	global_load_u16 v0, v[2:3], off
.LBB6_59:
	s_mov_b32 s19, 0
.LBB6_60:
	s_delay_alu instid0(SALU_CYCLE_1)
	s_and_not1_b32 vcc_lo, exec_lo, s19
	s_cbranch_vccnz .LBB6_66
; %bb.61:
	s_wait_loadcnt 0x0
	global_load_u8 v1, v[2:3], off
	s_mov_b32 s23, 0
	s_mov_b32 s19, exec_lo
	s_wait_loadcnt 0x0
	v_cmpx_lt_i16_e32 0x7f, v1
	s_xor_b32 s19, exec_lo, s19
	s_cbranch_execz .LBB6_77
; %bb.62:
	v_cmp_ne_u16_e32 vcc_lo, 0x80, v1
	s_and_b32 s23, vcc_lo, exec_lo
	s_and_not1_saveexec_b32 s19, s19
	s_cbranch_execnz .LBB6_78
.LBB6_63:
	s_or_b32 exec_lo, exec_lo, s19
	v_mov_b32_e32 v0, 0
	s_and_saveexec_b32 s19, s23
	s_cbranch_execz .LBB6_65
.LBB6_64:
	v_and_b32_e32 v0, 0xffff, v1
	s_delay_alu instid0(VALU_DEP_1) | instskip(SKIP_1) | instid1(VALU_DEP_2)
	v_and_b32_e32 v4, 7, v0
	v_bfe_u32 v7, v0, 3, 4
	v_clz_i32_u32_e32 v5, v4
	s_delay_alu instid0(VALU_DEP_2) | instskip(NEXT) | instid1(VALU_DEP_2)
	v_cmp_eq_u32_e32 vcc_lo, 0, v7
	v_min_u32_e32 v5, 32, v5
	s_delay_alu instid0(VALU_DEP_1) | instskip(NEXT) | instid1(VALU_DEP_1)
	v_subrev_nc_u32_e32 v6, 28, v5
	v_dual_lshlrev_b32 v0, v6, v0 :: v_dual_sub_nc_u32 v5, 29, v5
	s_delay_alu instid0(VALU_DEP_1) | instskip(NEXT) | instid1(VALU_DEP_1)
	v_dual_lshlrev_b32 v1, 24, v1 :: v_dual_bitop2_b32 v0, 7, v0 bitop3:0x40
	v_dual_cndmask_b32 v0, v4, v0 :: v_dual_cndmask_b32 v5, v7, v5
	s_delay_alu instid0(VALU_DEP_2) | instskip(NEXT) | instid1(VALU_DEP_2)
	v_and_b32_e32 v1, 0x80000000, v1
	v_lshlrev_b32_e32 v0, 20, v0
	s_delay_alu instid0(VALU_DEP_3) | instskip(NEXT) | instid1(VALU_DEP_1)
	v_lshl_add_u32 v4, v5, 23, 0x3b800000
	v_or3_b32 v0, v1, v4, v0
	s_delay_alu instid0(VALU_DEP_1) | instskip(NEXT) | instid1(VALU_DEP_1)
	v_trunc_f32_e32 v0, v0
	v_mul_f32_e64 v1, 0x2f800000, |v0|
	s_delay_alu instid0(VALU_DEP_1) | instskip(NEXT) | instid1(VALU_DEP_1)
	v_floor_f32_e32 v1, v1
	v_fma_f32 v1, 0xcf800000, v1, |v0|
	v_ashrrev_i32_e32 v0, 31, v0
	s_delay_alu instid0(VALU_DEP_2) | instskip(NEXT) | instid1(VALU_DEP_1)
	v_cvt_u32_f32_e32 v1, v1
	v_xor_b32_e32 v1, v1, v0
	s_delay_alu instid0(VALU_DEP_1)
	v_sub_nc_u32_e32 v0, v1, v0
.LBB6_65:
	s_or_b32 exec_lo, exec_lo, s19
.LBB6_66:
	s_mov_b32 s19, -1
.LBB6_67:
	s_branch .LBB6_100
.LBB6_68:
	s_cmp_gt_i32 s18, 22
	s_cbranch_scc0 .LBB6_76
; %bb.69:
	s_cmp_lt_i32 s18, 24
	s_cbranch_scc1 .LBB6_79
; %bb.70:
	s_cmp_gt_i32 s18, 24
	s_cbranch_scc0 .LBB6_80
; %bb.71:
	s_wait_loadcnt 0x0
	global_load_u8 v1, v[2:3], off
	s_mov_b32 s23, 0
	s_mov_b32 s19, exec_lo
	s_wait_loadcnt 0x0
	v_cmpx_lt_i16_e32 0x7f, v1
	s_xor_b32 s19, exec_lo, s19
	s_cbranch_execz .LBB6_92
; %bb.72:
	v_cmp_ne_u16_e32 vcc_lo, 0x80, v1
	s_and_b32 s23, vcc_lo, exec_lo
	s_and_not1_saveexec_b32 s19, s19
	s_cbranch_execnz .LBB6_93
.LBB6_73:
	s_or_b32 exec_lo, exec_lo, s19
	v_mov_b32_e32 v0, 0
	s_and_saveexec_b32 s19, s23
	s_cbranch_execz .LBB6_75
.LBB6_74:
	v_and_b32_e32 v0, 0xffff, v1
	s_delay_alu instid0(VALU_DEP_1) | instskip(SKIP_1) | instid1(VALU_DEP_2)
	v_and_b32_e32 v4, 3, v0
	v_bfe_u32 v7, v0, 2, 5
	v_clz_i32_u32_e32 v5, v4
	s_delay_alu instid0(VALU_DEP_2) | instskip(NEXT) | instid1(VALU_DEP_2)
	v_cmp_eq_u32_e32 vcc_lo, 0, v7
	v_min_u32_e32 v5, 32, v5
	s_delay_alu instid0(VALU_DEP_1) | instskip(NEXT) | instid1(VALU_DEP_1)
	v_subrev_nc_u32_e32 v6, 29, v5
	v_dual_lshlrev_b32 v0, v6, v0 :: v_dual_sub_nc_u32 v5, 30, v5
	s_delay_alu instid0(VALU_DEP_1) | instskip(NEXT) | instid1(VALU_DEP_1)
	v_dual_lshlrev_b32 v1, 24, v1 :: v_dual_bitop2_b32 v0, 3, v0 bitop3:0x40
	v_dual_cndmask_b32 v0, v4, v0 :: v_dual_cndmask_b32 v5, v7, v5
	s_delay_alu instid0(VALU_DEP_2) | instskip(NEXT) | instid1(VALU_DEP_2)
	v_and_b32_e32 v1, 0x80000000, v1
	v_lshlrev_b32_e32 v0, 21, v0
	s_delay_alu instid0(VALU_DEP_3) | instskip(NEXT) | instid1(VALU_DEP_1)
	v_lshl_add_u32 v4, v5, 23, 0x37800000
	v_or3_b32 v0, v1, v4, v0
	s_delay_alu instid0(VALU_DEP_1) | instskip(NEXT) | instid1(VALU_DEP_1)
	v_trunc_f32_e32 v0, v0
	v_mul_f32_e64 v1, 0x2f800000, |v0|
	s_delay_alu instid0(VALU_DEP_1) | instskip(NEXT) | instid1(VALU_DEP_1)
	v_floor_f32_e32 v1, v1
	v_fma_f32 v1, 0xcf800000, v1, |v0|
	v_ashrrev_i32_e32 v0, 31, v0
	s_delay_alu instid0(VALU_DEP_2) | instskip(NEXT) | instid1(VALU_DEP_1)
	v_cvt_u32_f32_e32 v1, v1
	v_xor_b32_e32 v1, v1, v0
	s_delay_alu instid0(VALU_DEP_1)
	v_sub_nc_u32_e32 v0, v1, v0
.LBB6_75:
	s_or_b32 exec_lo, exec_lo, s19
	s_mov_b32 s19, 0
	s_branch .LBB6_81
.LBB6_76:
	s_mov_b32 s23, -1
                                        ; implicit-def: $vgpr0
	s_branch .LBB6_87
.LBB6_77:
	s_and_not1_saveexec_b32 s19, s19
	s_cbranch_execz .LBB6_63
.LBB6_78:
	v_cmp_ne_u16_e32 vcc_lo, 0, v1
	s_and_not1_b32 s23, s23, exec_lo
	s_and_b32 s24, vcc_lo, exec_lo
	s_delay_alu instid0(SALU_CYCLE_1)
	s_or_b32 s23, s23, s24
	s_or_b32 exec_lo, exec_lo, s19
	v_mov_b32_e32 v0, 0
	s_and_saveexec_b32 s19, s23
	s_cbranch_execnz .LBB6_64
	s_branch .LBB6_65
.LBB6_79:
	s_mov_b32 s19, -1
                                        ; implicit-def: $vgpr0
	s_branch .LBB6_84
.LBB6_80:
	s_mov_b32 s19, -1
                                        ; implicit-def: $vgpr0
.LBB6_81:
	s_delay_alu instid0(SALU_CYCLE_1)
	s_and_b32 vcc_lo, exec_lo, s19
	s_cbranch_vccz .LBB6_83
; %bb.82:
	s_wait_loadcnt 0x0
	global_load_u8 v0, v[2:3], off
	s_wait_loadcnt 0x0
	v_lshlrev_b32_e32 v0, 24, v0
	s_delay_alu instid0(VALU_DEP_1) | instskip(NEXT) | instid1(VALU_DEP_1)
	v_and_b32_e32 v1, 0x7f000000, v0
	v_clz_i32_u32_e32 v4, v1
	v_cmp_ne_u32_e32 vcc_lo, 0, v1
	v_add_nc_u32_e32 v6, 0x1000000, v1
	s_delay_alu instid0(VALU_DEP_3) | instskip(NEXT) | instid1(VALU_DEP_1)
	v_min_u32_e32 v4, 32, v4
	v_sub_nc_u32_e64 v4, v4, 4 clamp
	s_delay_alu instid0(VALU_DEP_1) | instskip(NEXT) | instid1(VALU_DEP_1)
	v_dual_lshlrev_b32 v5, v4, v1 :: v_dual_lshlrev_b32 v4, 23, v4
	v_lshrrev_b32_e32 v5, 4, v5
	s_delay_alu instid0(VALU_DEP_1) | instskip(NEXT) | instid1(VALU_DEP_1)
	v_dual_sub_nc_u32 v4, v5, v4 :: v_dual_ashrrev_i32 v5, 8, v6
	v_add_nc_u32_e32 v4, 0x3c000000, v4
	s_delay_alu instid0(VALU_DEP_1) | instskip(NEXT) | instid1(VALU_DEP_1)
	v_and_or_b32 v4, 0x7f800000, v5, v4
	v_cndmask_b32_e32 v1, 0, v4, vcc_lo
	s_delay_alu instid0(VALU_DEP_1) | instskip(NEXT) | instid1(VALU_DEP_1)
	v_and_or_b32 v0, 0x80000000, v0, v1
	v_trunc_f32_e32 v0, v0
	s_delay_alu instid0(VALU_DEP_1) | instskip(NEXT) | instid1(VALU_DEP_1)
	v_mul_f32_e64 v1, 0x2f800000, |v0|
	v_floor_f32_e32 v1, v1
	s_delay_alu instid0(VALU_DEP_1) | instskip(SKIP_1) | instid1(VALU_DEP_2)
	v_fma_f32 v1, 0xcf800000, v1, |v0|
	v_ashrrev_i32_e32 v0, 31, v0
	v_cvt_u32_f32_e32 v1, v1
	s_delay_alu instid0(VALU_DEP_1) | instskip(NEXT) | instid1(VALU_DEP_1)
	v_xor_b32_e32 v1, v1, v0
	v_sub_nc_u32_e32 v0, v1, v0
.LBB6_83:
	s_mov_b32 s19, 0
.LBB6_84:
	s_delay_alu instid0(SALU_CYCLE_1)
	s_and_not1_b32 vcc_lo, exec_lo, s19
	s_cbranch_vccnz .LBB6_86
; %bb.85:
	s_wait_loadcnt 0x0
	global_load_u8 v0, v[2:3], off
	s_wait_loadcnt 0x0
	v_lshlrev_b32_e32 v1, 25, v0
	v_lshlrev_b16 v0, 8, v0
	s_delay_alu instid0(VALU_DEP_1) | instskip(SKIP_1) | instid1(VALU_DEP_2)
	v_and_or_b32 v5, 0x7f00, v0, 0.5
	v_bfe_i32 v0, v0, 0, 16
	v_add_f32_e32 v5, -0.5, v5
	v_lshrrev_b32_e32 v4, 4, v1
	v_cmp_gt_u32_e32 vcc_lo, 0x8000000, v1
	s_delay_alu instid0(VALU_DEP_2) | instskip(NEXT) | instid1(VALU_DEP_1)
	v_or_b32_e32 v4, 0x70000000, v4
	v_mul_f32_e32 v4, 0x7800000, v4
	s_delay_alu instid0(VALU_DEP_1) | instskip(NEXT) | instid1(VALU_DEP_1)
	v_cndmask_b32_e32 v1, v4, v5, vcc_lo
	v_and_or_b32 v0, 0x80000000, v0, v1
	s_delay_alu instid0(VALU_DEP_1) | instskip(NEXT) | instid1(VALU_DEP_1)
	v_trunc_f32_e32 v0, v0
	v_mul_f32_e64 v1, 0x2f800000, |v0|
	s_delay_alu instid0(VALU_DEP_1) | instskip(NEXT) | instid1(VALU_DEP_1)
	v_floor_f32_e32 v1, v1
	v_fma_f32 v1, 0xcf800000, v1, |v0|
	v_ashrrev_i32_e32 v0, 31, v0
	s_delay_alu instid0(VALU_DEP_2) | instskip(NEXT) | instid1(VALU_DEP_1)
	v_cvt_u32_f32_e32 v1, v1
	v_xor_b32_e32 v1, v1, v0
	s_delay_alu instid0(VALU_DEP_1)
	v_sub_nc_u32_e32 v0, v1, v0
.LBB6_86:
	s_mov_b32 s23, 0
	s_mov_b32 s19, -1
.LBB6_87:
	s_and_not1_b32 vcc_lo, exec_lo, s23
	s_cbranch_vccnz .LBB6_100
; %bb.88:
	s_cmp_gt_i32 s18, 14
	s_cbranch_scc0 .LBB6_91
; %bb.89:
	s_cmp_eq_u32 s18, 15
	s_cbranch_scc0 .LBB6_94
; %bb.90:
	s_wait_loadcnt 0x0
	global_load_u16 v0, v[2:3], off
	s_mov_b32 s19, -1
	s_mov_b32 s20, 0
	s_wait_loadcnt 0x0
	v_lshlrev_b32_e32 v0, 16, v0
	s_delay_alu instid0(VALU_DEP_1) | instskip(NEXT) | instid1(VALU_DEP_1)
	v_trunc_f32_e32 v0, v0
	v_mul_f32_e64 v1, 0x2f800000, |v0|
	s_delay_alu instid0(VALU_DEP_1) | instskip(NEXT) | instid1(VALU_DEP_1)
	v_floor_f32_e32 v1, v1
	v_fma_f32 v1, 0xcf800000, v1, |v0|
	v_ashrrev_i32_e32 v0, 31, v0
	s_delay_alu instid0(VALU_DEP_2) | instskip(NEXT) | instid1(VALU_DEP_1)
	v_cvt_u32_f32_e32 v1, v1
	v_xor_b32_e32 v1, v1, v0
	s_delay_alu instid0(VALU_DEP_1)
	v_sub_nc_u32_e32 v0, v1, v0
	s_branch .LBB6_95
.LBB6_91:
	s_mov_b32 s23, -1
                                        ; implicit-def: $vgpr0
	s_branch .LBB6_96
.LBB6_92:
	s_and_not1_saveexec_b32 s19, s19
	s_cbranch_execz .LBB6_73
.LBB6_93:
	v_cmp_ne_u16_e32 vcc_lo, 0, v1
	s_and_not1_b32 s23, s23, exec_lo
	s_and_b32 s24, vcc_lo, exec_lo
	s_delay_alu instid0(SALU_CYCLE_1)
	s_or_b32 s23, s23, s24
	s_or_b32 exec_lo, exec_lo, s19
	v_mov_b32_e32 v0, 0
	s_and_saveexec_b32 s19, s23
	s_cbranch_execnz .LBB6_74
	s_branch .LBB6_75
.LBB6_94:
	s_mov_b32 s20, -1
                                        ; implicit-def: $vgpr0
.LBB6_95:
	s_mov_b32 s23, 0
.LBB6_96:
	s_delay_alu instid0(SALU_CYCLE_1)
	s_and_b32 vcc_lo, exec_lo, s23
	s_cbranch_vccz .LBB6_100
; %bb.97:
	s_cmp_eq_u32 s18, 11
	s_cbranch_scc0 .LBB6_99
; %bb.98:
	s_wait_loadcnt 0x0
	global_load_u8 v0, v[2:3], off
	s_mov_b32 s20, 0
	s_mov_b32 s19, -1
	s_wait_loadcnt 0x0
	v_cmp_ne_u16_e32 vcc_lo, 0, v0
	v_cndmask_b32_e64 v0, 0, 1, vcc_lo
	s_branch .LBB6_100
.LBB6_99:
	s_mov_b32 s20, -1
                                        ; implicit-def: $vgpr0
.LBB6_100:
	s_branch .LBB6_10
.LBB6_101:
	s_and_b32 s0, 0xffff, s0
	s_delay_alu instid0(SALU_CYCLE_1)
	s_cmp_lt_i32 s0, 5
	s_cbranch_scc1 .LBB6_106
; %bb.102:
	s_cmp_lt_i32 s0, 8
	s_cbranch_scc1 .LBB6_107
; %bb.103:
	;; [unrolled: 3-line block ×3, first 2 shown]
	s_cmp_gt_i32 s0, 9
	s_cbranch_scc0 .LBB6_109
; %bb.105:
	s_wait_loadcnt 0x0
	global_load_b64 v[0:1], v[2:3], off
	s_mov_b32 s18, 0
	s_wait_loadcnt 0x0
	v_trunc_f64_e32 v[0:1], v[0:1]
	s_delay_alu instid0(VALU_DEP_1) | instskip(NEXT) | instid1(VALU_DEP_1)
	v_ldexp_f64 v[4:5], v[0:1], 0xffffffe0
	v_floor_f64_e32 v[4:5], v[4:5]
	s_delay_alu instid0(VALU_DEP_1) | instskip(NEXT) | instid1(VALU_DEP_1)
	v_fmamk_f64 v[0:1], v[4:5], 0xc1f00000, v[0:1]
	v_cvt_u32_f64_e32 v0, v[0:1]
	s_branch .LBB6_110
.LBB6_106:
                                        ; implicit-def: $vgpr0
	s_branch .LBB6_128
.LBB6_107:
	s_mov_b32 s18, -1
                                        ; implicit-def: $vgpr0
	s_branch .LBB6_116
.LBB6_108:
	s_mov_b32 s18, -1
                                        ; implicit-def: $vgpr0
	s_branch .LBB6_113
.LBB6_109:
	s_mov_b32 s18, -1
                                        ; implicit-def: $vgpr0
.LBB6_110:
	s_delay_alu instid0(SALU_CYCLE_1)
	s_and_not1_b32 vcc_lo, exec_lo, s18
	s_cbranch_vccnz .LBB6_112
; %bb.111:
	s_wait_loadcnt 0x0
	global_load_b32 v0, v[2:3], off
	s_wait_loadcnt 0x0
	v_trunc_f32_e32 v0, v0
	s_delay_alu instid0(VALU_DEP_1) | instskip(NEXT) | instid1(VALU_DEP_1)
	v_mul_f32_e64 v1, 0x2f800000, |v0|
	v_floor_f32_e32 v1, v1
	s_delay_alu instid0(VALU_DEP_1) | instskip(SKIP_1) | instid1(VALU_DEP_2)
	v_fma_f32 v1, 0xcf800000, v1, |v0|
	v_ashrrev_i32_e32 v0, 31, v0
	v_cvt_u32_f32_e32 v1, v1
	s_delay_alu instid0(VALU_DEP_1) | instskip(NEXT) | instid1(VALU_DEP_1)
	v_xor_b32_e32 v1, v1, v0
	v_sub_nc_u32_e32 v0, v1, v0
.LBB6_112:
	s_mov_b32 s18, 0
.LBB6_113:
	s_delay_alu instid0(SALU_CYCLE_1)
	s_and_not1_b32 vcc_lo, exec_lo, s18
	s_cbranch_vccnz .LBB6_115
; %bb.114:
	s_wait_loadcnt 0x0
	global_load_b32 v0, v[2:3], off
	s_wait_loadcnt 0x0
	v_cvt_f32_f16_e32 v0, v0
	s_delay_alu instid0(VALU_DEP_1)
	v_cvt_i32_f32_e32 v0, v0
.LBB6_115:
	s_mov_b32 s18, 0
.LBB6_116:
	s_delay_alu instid0(SALU_CYCLE_1)
	s_and_not1_b32 vcc_lo, exec_lo, s18
	s_cbranch_vccnz .LBB6_127
; %bb.117:
	s_cmp_lt_i32 s0, 6
	s_cbranch_scc1 .LBB6_120
; %bb.118:
	s_cmp_gt_i32 s0, 6
	s_cbranch_scc0 .LBB6_121
; %bb.119:
	s_wait_loadcnt 0x0
	global_load_b64 v[0:1], v[2:3], off
	s_mov_b32 s18, 0
	s_wait_loadcnt 0x0
	v_trunc_f64_e32 v[0:1], v[0:1]
	s_delay_alu instid0(VALU_DEP_1) | instskip(NEXT) | instid1(VALU_DEP_1)
	v_ldexp_f64 v[4:5], v[0:1], 0xffffffe0
	v_floor_f64_e32 v[4:5], v[4:5]
	s_delay_alu instid0(VALU_DEP_1) | instskip(NEXT) | instid1(VALU_DEP_1)
	v_fmamk_f64 v[0:1], v[4:5], 0xc1f00000, v[0:1]
	v_cvt_u32_f64_e32 v0, v[0:1]
	s_branch .LBB6_122
.LBB6_120:
	s_mov_b32 s18, -1
                                        ; implicit-def: $vgpr0
	s_branch .LBB6_125
.LBB6_121:
	s_mov_b32 s18, -1
                                        ; implicit-def: $vgpr0
.LBB6_122:
	s_delay_alu instid0(SALU_CYCLE_1)
	s_and_not1_b32 vcc_lo, exec_lo, s18
	s_cbranch_vccnz .LBB6_124
; %bb.123:
	s_wait_loadcnt 0x0
	global_load_b32 v0, v[2:3], off
	s_wait_loadcnt 0x0
	v_trunc_f32_e32 v0, v0
	s_delay_alu instid0(VALU_DEP_1) | instskip(NEXT) | instid1(VALU_DEP_1)
	v_mul_f32_e64 v1, 0x2f800000, |v0|
	v_floor_f32_e32 v1, v1
	s_delay_alu instid0(VALU_DEP_1) | instskip(SKIP_1) | instid1(VALU_DEP_2)
	v_fma_f32 v1, 0xcf800000, v1, |v0|
	v_ashrrev_i32_e32 v0, 31, v0
	v_cvt_u32_f32_e32 v1, v1
	s_delay_alu instid0(VALU_DEP_1) | instskip(NEXT) | instid1(VALU_DEP_1)
	v_xor_b32_e32 v1, v1, v0
	v_sub_nc_u32_e32 v0, v1, v0
.LBB6_124:
	s_mov_b32 s18, 0
.LBB6_125:
	s_delay_alu instid0(SALU_CYCLE_1)
	s_and_not1_b32 vcc_lo, exec_lo, s18
	s_cbranch_vccnz .LBB6_127
; %bb.126:
	s_wait_loadcnt 0x0
	global_load_u16 v0, v[2:3], off
	s_wait_loadcnt 0x0
	v_cvt_f32_f16_e32 v0, v0
	s_delay_alu instid0(VALU_DEP_1)
	v_cvt_i32_f32_e32 v0, v0
.LBB6_127:
	s_cbranch_execnz .LBB6_147
.LBB6_128:
	s_cmp_lt_i32 s0, 2
	s_cbranch_scc1 .LBB6_132
; %bb.129:
	s_cmp_lt_i32 s0, 3
	s_cbranch_scc1 .LBB6_133
; %bb.130:
	s_cmp_gt_i32 s0, 3
	s_cbranch_scc0 .LBB6_134
; %bb.131:
	s_wait_loadcnt 0x0
	global_load_b64 v[0:1], v[2:3], off
	s_mov_b32 s18, 0
	s_branch .LBB6_135
.LBB6_132:
	s_mov_b32 s18, -1
                                        ; implicit-def: $vgpr0
	s_branch .LBB6_141
.LBB6_133:
	s_mov_b32 s18, -1
                                        ; implicit-def: $vgpr0
	s_branch .LBB6_138
.LBB6_134:
	s_mov_b32 s18, -1
                                        ; implicit-def: $vgpr0
.LBB6_135:
	s_delay_alu instid0(SALU_CYCLE_1)
	s_and_not1_b32 vcc_lo, exec_lo, s18
	s_cbranch_vccnz .LBB6_137
; %bb.136:
	s_wait_loadcnt 0x0
	global_load_b32 v0, v[2:3], off
.LBB6_137:
	s_mov_b32 s18, 0
.LBB6_138:
	s_delay_alu instid0(SALU_CYCLE_1)
	s_and_not1_b32 vcc_lo, exec_lo, s18
	s_cbranch_vccnz .LBB6_140
; %bb.139:
	s_wait_loadcnt 0x0
	global_load_u16 v0, v[2:3], off
.LBB6_140:
	s_mov_b32 s18, 0
.LBB6_141:
	s_delay_alu instid0(SALU_CYCLE_1)
	s_and_not1_b32 vcc_lo, exec_lo, s18
	s_cbranch_vccnz .LBB6_147
; %bb.142:
	s_cmp_gt_i32 s0, 0
	s_mov_b32 s0, 0
	s_cbranch_scc0 .LBB6_144
; %bb.143:
	s_wait_loadcnt 0x0
	global_load_u8 v0, v[2:3], off
	s_branch .LBB6_145
.LBB6_144:
	s_mov_b32 s0, -1
                                        ; implicit-def: $vgpr0
.LBB6_145:
	s_delay_alu instid0(SALU_CYCLE_1)
	s_and_not1_b32 vcc_lo, exec_lo, s0
	s_cbranch_vccnz .LBB6_147
; %bb.146:
	s_wait_loadcnt 0x0
	global_load_u8 v0, v[2:3], off
.LBB6_147:
	s_branch .LBB6_11
.LBB6_148:
	s_mov_b32 s0, 0
	s_mov_b32 s19, 0
	s_branch .LBB6_372
.LBB6_149:
	s_mov_b32 s19, -1
.LBB6_150:
	s_mov_b32 s23, 0
                                        ; implicit-def: $vgpr4
.LBB6_151:
	s_and_b32 vcc_lo, exec_lo, s24
	s_cbranch_vccz .LBB6_266
; %bb.152:
	s_cmp_eq_u32 s18, 44
	s_cbranch_scc0 .LBB6_265
; %bb.153:
	s_wait_loadcnt 0x0
	global_load_u8 v1, v[2:3], off
	s_mov_b32 s19, 0
	s_mov_b32 s23, -1
	s_wait_loadcnt 0x0
	v_lshlrev_b32_e32 v4, 23, v1
	v_cmp_ne_u32_e32 vcc_lo, 0, v1
	s_delay_alu instid0(VALU_DEP_2) | instskip(NEXT) | instid1(VALU_DEP_1)
	v_trunc_f32_e32 v4, v4
	v_mul_f32_e64 v5, 0x2f800000, |v4|
	s_delay_alu instid0(VALU_DEP_1) | instskip(NEXT) | instid1(VALU_DEP_1)
	v_floor_f32_e32 v5, v5
	v_fma_f32 v5, 0xcf800000, v5, |v4|
	v_ashrrev_i32_e32 v4, 31, v4
	s_delay_alu instid0(VALU_DEP_2) | instskip(NEXT) | instid1(VALU_DEP_1)
	v_cvt_u32_f32_e32 v5, v5
	v_xor_b32_e32 v5, v5, v4
	s_delay_alu instid0(VALU_DEP_1) | instskip(NEXT) | instid1(VALU_DEP_1)
	v_sub_nc_u32_e32 v4, v5, v4
	v_cndmask_b32_e32 v4, 0, v4, vcc_lo
	s_branch .LBB6_266
.LBB6_154:
	s_mov_b32 s26, -1
	s_mov_b32 s0, 0
	s_mov_b32 s25, 0
.LBB6_155:
	s_and_b32 vcc_lo, exec_lo, s26
	s_cbranch_vccz .LBB6_160
; %bb.156:
	s_cmp_eq_u32 s24, 44
	s_mov_b32 s0, -1
	s_cbranch_scc0 .LBB6_160
; %bb.157:
	v_cndmask_b32_e64 v4, 0, 1.0, s18
	s_mov_b32 s25, exec_lo
	s_wait_xcnt 0x0
	s_delay_alu instid0(VALU_DEP_1) | instskip(NEXT) | instid1(VALU_DEP_1)
	v_dual_mov_b32 v3, 0xff :: v_dual_lshrrev_b32 v2, 23, v4
	v_cmpx_ne_u32_e32 0xff, v2
; %bb.158:
	v_and_b32_e32 v3, 0x400000, v4
	v_and_or_b32 v4, 0x3fffff, v4, v2
	s_delay_alu instid0(VALU_DEP_2) | instskip(NEXT) | instid1(VALU_DEP_2)
	v_cmp_ne_u32_e32 vcc_lo, 0, v3
	v_cmp_ne_u32_e64 s0, 0, v4
	s_and_b32 s0, vcc_lo, s0
	s_delay_alu instid0(SALU_CYCLE_1) | instskip(NEXT) | instid1(VALU_DEP_1)
	v_cndmask_b32_e64 v3, 0, 1, s0
	v_add_nc_u32_e32 v3, v2, v3
; %bb.159:
	s_or_b32 exec_lo, exec_lo, s25
	s_mov_b32 s25, -1
	s_mov_b32 s0, 0
	global_store_b8 v[0:1], v3, off
.LBB6_160:
	s_mov_b32 s26, 0
.LBB6_161:
	s_delay_alu instid0(SALU_CYCLE_1)
	s_and_b32 vcc_lo, exec_lo, s26
	s_cbranch_vccz .LBB6_164
; %bb.162:
	s_cmp_eq_u32 s24, 29
	s_mov_b32 s0, -1
	s_cbranch_scc0 .LBB6_164
; %bb.163:
	s_mov_b32 s0, 0
	s_wait_xcnt 0x0
	v_cndmask_b32_e64 v2, 0, 1, s18
	v_mov_b32_e32 v3, s0
	s_mov_b32 s25, -1
	s_mov_b32 s26, 0
	global_store_b64 v[0:1], v[2:3], off
	s_branch .LBB6_165
.LBB6_164:
	s_mov_b32 s26, 0
.LBB6_165:
	s_delay_alu instid0(SALU_CYCLE_1)
	s_and_b32 vcc_lo, exec_lo, s26
	s_cbranch_vccz .LBB6_181
; %bb.166:
	s_cmp_lt_i32 s24, 27
	s_mov_b32 s25, -1
	s_cbranch_scc1 .LBB6_172
; %bb.167:
	s_cmp_gt_i32 s24, 27
	s_cbranch_scc0 .LBB6_169
; %bb.168:
	s_wait_xcnt 0x0
	v_cndmask_b32_e64 v2, 0, 1, s18
	s_mov_b32 s25, 0
	global_store_b32 v[0:1], v2, off
.LBB6_169:
	s_and_not1_b32 vcc_lo, exec_lo, s25
	s_cbranch_vccnz .LBB6_171
; %bb.170:
	s_wait_xcnt 0x0
	v_cndmask_b32_e64 v2, 0, 1, s18
	global_store_b16 v[0:1], v2, off
.LBB6_171:
	s_mov_b32 s25, 0
.LBB6_172:
	s_delay_alu instid0(SALU_CYCLE_1)
	s_and_not1_b32 vcc_lo, exec_lo, s25
	s_cbranch_vccnz .LBB6_180
; %bb.173:
	s_wait_xcnt 0x0
	v_cndmask_b32_e64 v3, 0, 1.0, s18
	v_mov_b32_e32 v4, 0x80
	s_mov_b32 s25, exec_lo
	s_delay_alu instid0(VALU_DEP_2)
	v_cmpx_gt_u32_e32 0x43800000, v3
	s_cbranch_execz .LBB6_179
; %bb.174:
	s_mov_b32 s26, 0
	s_mov_b32 s27, exec_lo
                                        ; implicit-def: $vgpr2
	v_cmpx_lt_u32_e32 0x3bffffff, v3
	s_xor_b32 s27, exec_lo, s27
	s_cbranch_execz .LBB6_403
; %bb.175:
	v_bfe_u32 v2, v3, 20, 1
	s_mov_b32 s26, exec_lo
	s_delay_alu instid0(VALU_DEP_1) | instskip(NEXT) | instid1(VALU_DEP_1)
	v_add3_u32 v2, v3, v2, 0x487ffff
                                        ; implicit-def: $vgpr3
	v_lshrrev_b32_e32 v2, 20, v2
	s_and_not1_saveexec_b32 s27, s27
	s_cbranch_execnz .LBB6_404
.LBB6_176:
	s_or_b32 exec_lo, exec_lo, s27
	v_mov_b32_e32 v4, 0
	s_and_saveexec_b32 s27, s26
.LBB6_177:
	v_mov_b32_e32 v4, v2
.LBB6_178:
	s_or_b32 exec_lo, exec_lo, s27
.LBB6_179:
	s_delay_alu instid0(SALU_CYCLE_1)
	s_or_b32 exec_lo, exec_lo, s25
	global_store_b8 v[0:1], v4, off
.LBB6_180:
	s_mov_b32 s25, -1
.LBB6_181:
	s_mov_b32 s26, 0
.LBB6_182:
	s_delay_alu instid0(SALU_CYCLE_1)
	s_and_b32 vcc_lo, exec_lo, s26
	s_cbranch_vccz .LBB6_223
; %bb.183:
	s_cmp_gt_i32 s24, 22
	s_mov_b32 s26, -1
	s_cbranch_scc0 .LBB6_215
; %bb.184:
	s_cmp_lt_i32 s24, 24
	s_mov_b32 s25, -1
	s_cbranch_scc1 .LBB6_204
; %bb.185:
	s_cmp_gt_i32 s24, 24
	s_cbranch_scc0 .LBB6_193
; %bb.186:
	s_wait_xcnt 0x0
	v_cndmask_b32_e64 v3, 0, 1.0, s18
	v_mov_b32_e32 v4, 0x80
	s_mov_b32 s25, exec_lo
	s_delay_alu instid0(VALU_DEP_2)
	v_cmpx_gt_u32_e32 0x47800000, v3
	s_cbranch_execz .LBB6_192
; %bb.187:
	s_mov_b32 s26, 0
	s_mov_b32 s27, exec_lo
                                        ; implicit-def: $vgpr2
	v_cmpx_lt_u32_e32 0x37ffffff, v3
	s_xor_b32 s27, exec_lo, s27
	s_cbranch_execz .LBB6_518
; %bb.188:
	v_bfe_u32 v2, v3, 21, 1
	s_mov_b32 s26, exec_lo
	s_delay_alu instid0(VALU_DEP_1) | instskip(NEXT) | instid1(VALU_DEP_1)
	v_add3_u32 v2, v3, v2, 0x88fffff
                                        ; implicit-def: $vgpr3
	v_lshrrev_b32_e32 v2, 21, v2
	s_and_not1_saveexec_b32 s27, s27
	s_cbranch_execnz .LBB6_519
.LBB6_189:
	s_or_b32 exec_lo, exec_lo, s27
	v_mov_b32_e32 v4, 0
	s_and_saveexec_b32 s27, s26
.LBB6_190:
	v_mov_b32_e32 v4, v2
.LBB6_191:
	s_or_b32 exec_lo, exec_lo, s27
.LBB6_192:
	s_delay_alu instid0(SALU_CYCLE_1)
	s_or_b32 exec_lo, exec_lo, s25
	s_mov_b32 s25, 0
	global_store_b8 v[0:1], v4, off
.LBB6_193:
	s_and_b32 vcc_lo, exec_lo, s25
	s_cbranch_vccz .LBB6_203
; %bb.194:
	s_wait_xcnt 0x0
	v_cndmask_b32_e64 v3, 0, 1.0, s18
	s_mov_b32 s25, exec_lo
                                        ; implicit-def: $vgpr2
	s_delay_alu instid0(VALU_DEP_1)
	v_cmpx_gt_u32_e32 0x43f00000, v3
	s_xor_b32 s25, exec_lo, s25
	s_cbranch_execz .LBB6_200
; %bb.195:
	s_mov_b32 s26, exec_lo
                                        ; implicit-def: $vgpr2
	v_cmpx_lt_u32_e32 0x3c7fffff, v3
	s_xor_b32 s26, exec_lo, s26
; %bb.196:
	v_bfe_u32 v2, v3, 20, 1
	s_delay_alu instid0(VALU_DEP_1) | instskip(NEXT) | instid1(VALU_DEP_1)
	v_add3_u32 v2, v3, v2, 0x407ffff
	v_and_b32_e32 v3, 0xff00000, v2
	v_lshrrev_b32_e32 v2, 20, v2
	s_delay_alu instid0(VALU_DEP_2) | instskip(NEXT) | instid1(VALU_DEP_2)
	v_cmp_ne_u32_e32 vcc_lo, 0x7f00000, v3
                                        ; implicit-def: $vgpr3
	v_cndmask_b32_e32 v2, 0x7e, v2, vcc_lo
; %bb.197:
	s_and_not1_saveexec_b32 s26, s26
; %bb.198:
	v_add_f32_e32 v2, 0x46800000, v3
; %bb.199:
	s_or_b32 exec_lo, exec_lo, s26
                                        ; implicit-def: $vgpr3
.LBB6_200:
	s_and_not1_saveexec_b32 s25, s25
; %bb.201:
	v_mov_b32_e32 v2, 0x7f
	v_cmp_lt_u32_e32 vcc_lo, 0x7f800000, v3
	s_delay_alu instid0(VALU_DEP_2)
	v_cndmask_b32_e32 v2, 0x7e, v2, vcc_lo
; %bb.202:
	s_or_b32 exec_lo, exec_lo, s25
	global_store_b8 v[0:1], v2, off
.LBB6_203:
	s_mov_b32 s25, 0
.LBB6_204:
	s_delay_alu instid0(SALU_CYCLE_1)
	s_and_not1_b32 vcc_lo, exec_lo, s25
	s_cbranch_vccnz .LBB6_214
; %bb.205:
	s_wait_xcnt 0x0
	v_cndmask_b32_e64 v3, 0, 1.0, s18
	s_mov_b32 s25, exec_lo
                                        ; implicit-def: $vgpr2
	s_delay_alu instid0(VALU_DEP_1)
	v_cmpx_gt_u32_e32 0x47800000, v3
	s_xor_b32 s25, exec_lo, s25
	s_cbranch_execz .LBB6_211
; %bb.206:
	s_mov_b32 s26, exec_lo
                                        ; implicit-def: $vgpr2
	v_cmpx_lt_u32_e32 0x387fffff, v3
	s_xor_b32 s26, exec_lo, s26
; %bb.207:
	v_bfe_u32 v2, v3, 21, 1
	s_delay_alu instid0(VALU_DEP_1) | instskip(NEXT) | instid1(VALU_DEP_1)
	v_add3_u32 v2, v3, v2, 0x80fffff
                                        ; implicit-def: $vgpr3
	v_lshrrev_b32_e32 v2, 21, v2
; %bb.208:
	s_and_not1_saveexec_b32 s26, s26
; %bb.209:
	v_add_f32_e32 v2, 0x43000000, v3
; %bb.210:
	s_or_b32 exec_lo, exec_lo, s26
                                        ; implicit-def: $vgpr3
.LBB6_211:
	s_and_not1_saveexec_b32 s25, s25
; %bb.212:
	v_mov_b32_e32 v2, 0x7f
	v_cmp_lt_u32_e32 vcc_lo, 0x7f800000, v3
	s_delay_alu instid0(VALU_DEP_2)
	v_cndmask_b32_e32 v2, 0x7c, v2, vcc_lo
; %bb.213:
	s_or_b32 exec_lo, exec_lo, s25
	global_store_b8 v[0:1], v2, off
.LBB6_214:
	s_mov_b32 s26, 0
	s_mov_b32 s25, -1
.LBB6_215:
	s_and_not1_b32 vcc_lo, exec_lo, s26
	s_cbranch_vccnz .LBB6_223
; %bb.216:
	s_cmp_gt_i32 s24, 14
	s_mov_b32 s26, -1
	s_cbranch_scc0 .LBB6_220
; %bb.217:
	s_cmp_eq_u32 s24, 15
	s_mov_b32 s0, -1
	s_cbranch_scc0 .LBB6_219
; %bb.218:
	s_wait_xcnt 0x0
	v_cndmask_b32_e64 v2, 0, 1.0, s18
	s_mov_b32 s25, -1
	s_mov_b32 s0, 0
	s_delay_alu instid0(VALU_DEP_1) | instskip(NEXT) | instid1(VALU_DEP_1)
	v_bfe_u32 v3, v2, 16, 1
	v_add3_u32 v2, v2, v3, 0x7fff
	global_store_d16_hi_b16 v[0:1], v2, off
.LBB6_219:
	s_mov_b32 s26, 0
.LBB6_220:
	s_delay_alu instid0(SALU_CYCLE_1)
	s_and_b32 vcc_lo, exec_lo, s26
	s_cbranch_vccz .LBB6_223
; %bb.221:
	s_cmp_eq_u32 s24, 11
	s_mov_b32 s0, -1
	s_cbranch_scc0 .LBB6_223
; %bb.222:
	s_wait_xcnt 0x0
	v_cndmask_b32_e64 v2, 0, 1, s18
	s_mov_b32 s25, -1
	s_mov_b32 s0, 0
	global_store_b8 v[0:1], v2, off
.LBB6_223:
	s_mov_b32 s24, 0
.LBB6_224:
	s_delay_alu instid0(SALU_CYCLE_1)
	s_and_b32 vcc_lo, exec_lo, s24
	s_cbranch_vccz .LBB6_263
; %bb.225:
	s_and_b32 s23, 0xffff, s23
	s_mov_b32 s24, -1
	s_cmp_lt_i32 s23, 5
	s_cbranch_scc1 .LBB6_246
; %bb.226:
	s_cmp_lt_i32 s23, 8
	s_cbranch_scc1 .LBB6_236
; %bb.227:
	;; [unrolled: 3-line block ×3, first 2 shown]
	s_cmp_gt_i32 s23, 9
	s_cbranch_scc0 .LBB6_230
; %bb.229:
	s_wait_xcnt 0x0
	v_cndmask_b32_e64 v2, 0, 1, s18
	v_mov_b32_e32 v4, 0
	s_mov_b32 s24, 0
	s_delay_alu instid0(VALU_DEP_2) | instskip(NEXT) | instid1(VALU_DEP_2)
	v_cvt_f64_u32_e32 v[2:3], v2
	v_mov_b32_e32 v5, v4
	global_store_b128 v[0:1], v[2:5], off
.LBB6_230:
	s_and_not1_b32 vcc_lo, exec_lo, s24
	s_cbranch_vccnz .LBB6_232
; %bb.231:
	s_wait_xcnt 0x0
	v_cndmask_b32_e64 v2, 0, 1.0, s18
	v_mov_b32_e32 v3, 0
	global_store_b64 v[0:1], v[2:3], off
.LBB6_232:
	s_mov_b32 s24, 0
.LBB6_233:
	s_delay_alu instid0(SALU_CYCLE_1)
	s_and_not1_b32 vcc_lo, exec_lo, s24
	s_cbranch_vccnz .LBB6_235
; %bb.234:
	s_wait_xcnt 0x0
	v_cndmask_b32_e64 v2, 0, 1.0, s18
	s_delay_alu instid0(VALU_DEP_1) | instskip(NEXT) | instid1(VALU_DEP_1)
	v_cvt_f16_f32_e32 v2, v2
	v_and_b32_e32 v2, 0xffff, v2
	global_store_b32 v[0:1], v2, off
.LBB6_235:
	s_mov_b32 s24, 0
.LBB6_236:
	s_delay_alu instid0(SALU_CYCLE_1)
	s_and_not1_b32 vcc_lo, exec_lo, s24
	s_cbranch_vccnz .LBB6_245
; %bb.237:
	s_cmp_lt_i32 s23, 6
	s_mov_b32 s24, -1
	s_cbranch_scc1 .LBB6_243
; %bb.238:
	s_cmp_gt_i32 s23, 6
	s_cbranch_scc0 .LBB6_240
; %bb.239:
	s_wait_xcnt 0x0
	v_cndmask_b32_e64 v2, 0, 1, s18
	s_mov_b32 s24, 0
	s_delay_alu instid0(VALU_DEP_1)
	v_cvt_f64_u32_e32 v[2:3], v2
	global_store_b64 v[0:1], v[2:3], off
.LBB6_240:
	s_and_not1_b32 vcc_lo, exec_lo, s24
	s_cbranch_vccnz .LBB6_242
; %bb.241:
	s_wait_xcnt 0x0
	v_cndmask_b32_e64 v2, 0, 1.0, s18
	global_store_b32 v[0:1], v2, off
.LBB6_242:
	s_mov_b32 s24, 0
.LBB6_243:
	s_delay_alu instid0(SALU_CYCLE_1)
	s_and_not1_b32 vcc_lo, exec_lo, s24
	s_cbranch_vccnz .LBB6_245
; %bb.244:
	s_wait_xcnt 0x0
	v_cndmask_b32_e64 v2, 0, 1.0, s18
	s_delay_alu instid0(VALU_DEP_1)
	v_cvt_f16_f32_e32 v2, v2
	global_store_b16 v[0:1], v2, off
.LBB6_245:
	s_mov_b32 s24, 0
.LBB6_246:
	s_delay_alu instid0(SALU_CYCLE_1)
	s_and_not1_b32 vcc_lo, exec_lo, s24
	s_cbranch_vccnz .LBB6_262
; %bb.247:
	s_cmp_lt_i32 s23, 2
	s_mov_b32 s24, -1
	s_cbranch_scc1 .LBB6_257
; %bb.248:
	s_cmp_lt_i32 s23, 3
	s_cbranch_scc1 .LBB6_254
; %bb.249:
	s_cmp_gt_i32 s23, 3
	s_cbranch_scc0 .LBB6_251
; %bb.250:
	s_mov_b32 s24, 0
	s_wait_xcnt 0x0
	v_cndmask_b32_e64 v2, 0, 1, s18
	v_mov_b32_e32 v3, s24
	global_store_b64 v[0:1], v[2:3], off
.LBB6_251:
	s_and_not1_b32 vcc_lo, exec_lo, s24
	s_cbranch_vccnz .LBB6_253
; %bb.252:
	s_wait_xcnt 0x0
	v_cndmask_b32_e64 v2, 0, 1, s18
	global_store_b32 v[0:1], v2, off
.LBB6_253:
	s_mov_b32 s24, 0
.LBB6_254:
	s_delay_alu instid0(SALU_CYCLE_1)
	s_and_not1_b32 vcc_lo, exec_lo, s24
	s_cbranch_vccnz .LBB6_256
; %bb.255:
	s_wait_xcnt 0x0
	v_cndmask_b32_e64 v2, 0, 1, s18
	global_store_b16 v[0:1], v2, off
.LBB6_256:
	s_mov_b32 s24, 0
.LBB6_257:
	s_delay_alu instid0(SALU_CYCLE_1)
	s_and_not1_b32 vcc_lo, exec_lo, s24
	s_cbranch_vccnz .LBB6_262
; %bb.258:
	s_wait_xcnt 0x0
	v_cndmask_b32_e64 v2, 0, 1, s18
	s_cmp_gt_i32 s23, 0
	s_mov_b32 s18, -1
	s_cbranch_scc0 .LBB6_260
; %bb.259:
	s_mov_b32 s18, 0
	global_store_b8 v[0:1], v2, off
.LBB6_260:
	s_and_not1_b32 vcc_lo, exec_lo, s18
	s_cbranch_vccnz .LBB6_262
; %bb.261:
	global_store_b8 v[0:1], v2, off
.LBB6_262:
	s_mov_b32 s25, -1
.LBB6_263:
	s_delay_alu instid0(SALU_CYCLE_1)
	s_and_not1_b32 vcc_lo, exec_lo, s25
	s_cbranch_vccnz .LBB6_372
; %bb.264:
	v_add_nc_u32_e32 v18, 0x80, v18
	s_mov_b32 s23, -1
	s_branch .LBB6_373
.LBB6_265:
	s_mov_b32 s19, -1
                                        ; implicit-def: $vgpr4
.LBB6_266:
	s_mov_b32 s24, 0
.LBB6_267:
	s_delay_alu instid0(SALU_CYCLE_1)
	s_and_b32 vcc_lo, exec_lo, s24
	s_cbranch_vccz .LBB6_271
; %bb.268:
	s_cmp_eq_u32 s18, 29
	s_cbranch_scc0 .LBB6_270
; %bb.269:
	global_load_b64 v[4:5], v[2:3], off
	s_mov_b32 s23, -1
	s_mov_b32 s19, 0
	s_branch .LBB6_271
.LBB6_270:
	s_mov_b32 s19, -1
                                        ; implicit-def: $vgpr4
.LBB6_271:
	s_mov_b32 s24, 0
.LBB6_272:
	s_delay_alu instid0(SALU_CYCLE_1)
	s_and_b32 vcc_lo, exec_lo, s24
	s_cbranch_vccz .LBB6_288
; %bb.273:
	s_cmp_lt_i32 s18, 27
	s_cbranch_scc1 .LBB6_276
; %bb.274:
	s_cmp_gt_i32 s18, 27
	s_cbranch_scc0 .LBB6_277
; %bb.275:
	s_wait_loadcnt 0x0
	global_load_b32 v4, v[2:3], off
	s_mov_b32 s23, 0
	s_branch .LBB6_278
.LBB6_276:
	s_mov_b32 s23, -1
                                        ; implicit-def: $vgpr4
	s_branch .LBB6_281
.LBB6_277:
	s_mov_b32 s23, -1
                                        ; implicit-def: $vgpr4
.LBB6_278:
	s_delay_alu instid0(SALU_CYCLE_1)
	s_and_not1_b32 vcc_lo, exec_lo, s23
	s_cbranch_vccnz .LBB6_280
; %bb.279:
	s_wait_loadcnt 0x0
	global_load_u16 v4, v[2:3], off
.LBB6_280:
	s_mov_b32 s23, 0
.LBB6_281:
	s_delay_alu instid0(SALU_CYCLE_1)
	s_and_not1_b32 vcc_lo, exec_lo, s23
	s_cbranch_vccnz .LBB6_287
; %bb.282:
	s_wait_loadcnt 0x0
	global_load_u8 v1, v[2:3], off
	s_mov_b32 s24, 0
	s_mov_b32 s23, exec_lo
	s_wait_loadcnt 0x0
	v_cmpx_lt_i16_e32 0x7f, v1
	s_xor_b32 s23, exec_lo, s23
	s_cbranch_execz .LBB6_299
; %bb.283:
	v_cmp_ne_u16_e32 vcc_lo, 0x80, v1
	s_and_b32 s24, vcc_lo, exec_lo
	s_and_not1_saveexec_b32 s23, s23
	s_cbranch_execnz .LBB6_300
.LBB6_284:
	s_or_b32 exec_lo, exec_lo, s23
	v_mov_b32_e32 v4, 0
	s_and_saveexec_b32 s23, s24
	s_cbranch_execz .LBB6_286
.LBB6_285:
	v_and_b32_e32 v4, 0xffff, v1
	s_delay_alu instid0(VALU_DEP_1) | instskip(SKIP_1) | instid1(VALU_DEP_2)
	v_and_b32_e32 v5, 7, v4
	v_bfe_u32 v8, v4, 3, 4
	v_clz_i32_u32_e32 v6, v5
	s_delay_alu instid0(VALU_DEP_2) | instskip(NEXT) | instid1(VALU_DEP_2)
	v_cmp_eq_u32_e32 vcc_lo, 0, v8
	v_min_u32_e32 v6, 32, v6
	s_delay_alu instid0(VALU_DEP_1) | instskip(NEXT) | instid1(VALU_DEP_1)
	v_subrev_nc_u32_e32 v7, 28, v6
	v_dual_lshlrev_b32 v4, v7, v4 :: v_dual_sub_nc_u32 v6, 29, v6
	s_delay_alu instid0(VALU_DEP_1) | instskip(NEXT) | instid1(VALU_DEP_1)
	v_dual_lshlrev_b32 v1, 24, v1 :: v_dual_bitop2_b32 v4, 7, v4 bitop3:0x40
	v_dual_cndmask_b32 v6, v8, v6, vcc_lo :: v_dual_cndmask_b32 v4, v5, v4, vcc_lo
	s_delay_alu instid0(VALU_DEP_2) | instskip(NEXT) | instid1(VALU_DEP_2)
	v_and_b32_e32 v1, 0x80000000, v1
	v_lshl_add_u32 v5, v6, 23, 0x3b800000
	s_delay_alu instid0(VALU_DEP_3) | instskip(NEXT) | instid1(VALU_DEP_1)
	v_lshlrev_b32_e32 v4, 20, v4
	v_or3_b32 v1, v1, v5, v4
	s_delay_alu instid0(VALU_DEP_1) | instskip(NEXT) | instid1(VALU_DEP_1)
	v_trunc_f32_e32 v1, v1
	v_mul_f32_e64 v4, 0x2f800000, |v1|
	s_delay_alu instid0(VALU_DEP_1) | instskip(NEXT) | instid1(VALU_DEP_1)
	v_floor_f32_e32 v4, v4
	v_fma_f32 v4, 0xcf800000, v4, |v1|
	v_ashrrev_i32_e32 v1, 31, v1
	s_delay_alu instid0(VALU_DEP_2) | instskip(NEXT) | instid1(VALU_DEP_1)
	v_cvt_u32_f32_e32 v4, v4
	v_xor_b32_e32 v4, v4, v1
	s_delay_alu instid0(VALU_DEP_1)
	v_sub_nc_u32_e32 v4, v4, v1
.LBB6_286:
	s_or_b32 exec_lo, exec_lo, s23
.LBB6_287:
	s_mov_b32 s23, -1
.LBB6_288:
	s_mov_b32 s24, 0
.LBB6_289:
	s_delay_alu instid0(SALU_CYCLE_1)
	s_and_b32 vcc_lo, exec_lo, s24
	s_cbranch_vccz .LBB6_322
; %bb.290:
	s_cmp_gt_i32 s18, 22
	s_cbranch_scc0 .LBB6_298
; %bb.291:
	s_cmp_lt_i32 s18, 24
	s_cbranch_scc1 .LBB6_301
; %bb.292:
	s_cmp_gt_i32 s18, 24
	s_cbranch_scc0 .LBB6_302
; %bb.293:
	s_wait_loadcnt 0x0
	global_load_u8 v1, v[2:3], off
	s_mov_b32 s24, 0
	s_mov_b32 s23, exec_lo
	s_wait_loadcnt 0x0
	v_cmpx_lt_i16_e32 0x7f, v1
	s_xor_b32 s23, exec_lo, s23
	s_cbranch_execz .LBB6_314
; %bb.294:
	v_cmp_ne_u16_e32 vcc_lo, 0x80, v1
	s_and_b32 s24, vcc_lo, exec_lo
	s_and_not1_saveexec_b32 s23, s23
	s_cbranch_execnz .LBB6_315
.LBB6_295:
	s_or_b32 exec_lo, exec_lo, s23
	v_mov_b32_e32 v4, 0
	s_and_saveexec_b32 s23, s24
	s_cbranch_execz .LBB6_297
.LBB6_296:
	v_and_b32_e32 v4, 0xffff, v1
	s_delay_alu instid0(VALU_DEP_1) | instskip(SKIP_1) | instid1(VALU_DEP_2)
	v_and_b32_e32 v5, 3, v4
	v_bfe_u32 v8, v4, 2, 5
	v_clz_i32_u32_e32 v6, v5
	s_delay_alu instid0(VALU_DEP_2) | instskip(NEXT) | instid1(VALU_DEP_2)
	v_cmp_eq_u32_e32 vcc_lo, 0, v8
	v_min_u32_e32 v6, 32, v6
	s_delay_alu instid0(VALU_DEP_1) | instskip(NEXT) | instid1(VALU_DEP_1)
	v_subrev_nc_u32_e32 v7, 29, v6
	v_dual_lshlrev_b32 v4, v7, v4 :: v_dual_sub_nc_u32 v6, 30, v6
	s_delay_alu instid0(VALU_DEP_1) | instskip(NEXT) | instid1(VALU_DEP_1)
	v_dual_lshlrev_b32 v1, 24, v1 :: v_dual_bitop2_b32 v4, 3, v4 bitop3:0x40
	v_dual_cndmask_b32 v6, v8, v6, vcc_lo :: v_dual_cndmask_b32 v4, v5, v4, vcc_lo
	s_delay_alu instid0(VALU_DEP_2) | instskip(NEXT) | instid1(VALU_DEP_2)
	v_and_b32_e32 v1, 0x80000000, v1
	v_lshl_add_u32 v5, v6, 23, 0x37800000
	s_delay_alu instid0(VALU_DEP_3) | instskip(NEXT) | instid1(VALU_DEP_1)
	v_lshlrev_b32_e32 v4, 21, v4
	v_or3_b32 v1, v1, v5, v4
	s_delay_alu instid0(VALU_DEP_1) | instskip(NEXT) | instid1(VALU_DEP_1)
	v_trunc_f32_e32 v1, v1
	v_mul_f32_e64 v4, 0x2f800000, |v1|
	s_delay_alu instid0(VALU_DEP_1) | instskip(NEXT) | instid1(VALU_DEP_1)
	v_floor_f32_e32 v4, v4
	v_fma_f32 v4, 0xcf800000, v4, |v1|
	v_ashrrev_i32_e32 v1, 31, v1
	s_delay_alu instid0(VALU_DEP_2) | instskip(NEXT) | instid1(VALU_DEP_1)
	v_cvt_u32_f32_e32 v4, v4
	v_xor_b32_e32 v4, v4, v1
	s_delay_alu instid0(VALU_DEP_1)
	v_sub_nc_u32_e32 v4, v4, v1
.LBB6_297:
	s_or_b32 exec_lo, exec_lo, s23
	s_mov_b32 s23, 0
	s_branch .LBB6_303
.LBB6_298:
	s_mov_b32 s24, -1
                                        ; implicit-def: $vgpr4
	s_branch .LBB6_309
.LBB6_299:
	s_and_not1_saveexec_b32 s23, s23
	s_cbranch_execz .LBB6_284
.LBB6_300:
	v_cmp_ne_u16_e32 vcc_lo, 0, v1
	s_and_not1_b32 s24, s24, exec_lo
	s_and_b32 s25, vcc_lo, exec_lo
	s_delay_alu instid0(SALU_CYCLE_1)
	s_or_b32 s24, s24, s25
	s_or_b32 exec_lo, exec_lo, s23
	v_mov_b32_e32 v4, 0
	s_and_saveexec_b32 s23, s24
	s_cbranch_execnz .LBB6_285
	s_branch .LBB6_286
.LBB6_301:
	s_mov_b32 s23, -1
                                        ; implicit-def: $vgpr4
	s_branch .LBB6_306
.LBB6_302:
	s_mov_b32 s23, -1
                                        ; implicit-def: $vgpr4
.LBB6_303:
	s_delay_alu instid0(SALU_CYCLE_1)
	s_and_b32 vcc_lo, exec_lo, s23
	s_cbranch_vccz .LBB6_305
; %bb.304:
	s_wait_loadcnt 0x0
	global_load_u8 v1, v[2:3], off
	s_wait_loadcnt 0x0
	v_lshlrev_b32_e32 v1, 24, v1
	s_delay_alu instid0(VALU_DEP_1) | instskip(NEXT) | instid1(VALU_DEP_1)
	v_and_b32_e32 v4, 0x7f000000, v1
	v_clz_i32_u32_e32 v5, v4
	v_cmp_ne_u32_e32 vcc_lo, 0, v4
	v_add_nc_u32_e32 v7, 0x1000000, v4
	s_delay_alu instid0(VALU_DEP_3) | instskip(NEXT) | instid1(VALU_DEP_1)
	v_min_u32_e32 v5, 32, v5
	v_sub_nc_u32_e64 v5, v5, 4 clamp
	s_delay_alu instid0(VALU_DEP_1) | instskip(NEXT) | instid1(VALU_DEP_1)
	v_dual_lshlrev_b32 v6, v5, v4 :: v_dual_lshlrev_b32 v5, 23, v5
	v_lshrrev_b32_e32 v6, 4, v6
	s_delay_alu instid0(VALU_DEP_1) | instskip(NEXT) | instid1(VALU_DEP_1)
	v_dual_sub_nc_u32 v5, v6, v5 :: v_dual_ashrrev_i32 v6, 8, v7
	v_add_nc_u32_e32 v5, 0x3c000000, v5
	s_delay_alu instid0(VALU_DEP_1) | instskip(NEXT) | instid1(VALU_DEP_1)
	v_and_or_b32 v5, 0x7f800000, v6, v5
	v_cndmask_b32_e32 v4, 0, v5, vcc_lo
	s_delay_alu instid0(VALU_DEP_1) | instskip(NEXT) | instid1(VALU_DEP_1)
	v_and_or_b32 v1, 0x80000000, v1, v4
	v_trunc_f32_e32 v1, v1
	s_delay_alu instid0(VALU_DEP_1) | instskip(NEXT) | instid1(VALU_DEP_1)
	v_mul_f32_e64 v4, 0x2f800000, |v1|
	v_floor_f32_e32 v4, v4
	s_delay_alu instid0(VALU_DEP_1) | instskip(SKIP_1) | instid1(VALU_DEP_2)
	v_fma_f32 v4, 0xcf800000, v4, |v1|
	v_ashrrev_i32_e32 v1, 31, v1
	v_cvt_u32_f32_e32 v4, v4
	s_delay_alu instid0(VALU_DEP_1) | instskip(NEXT) | instid1(VALU_DEP_1)
	v_xor_b32_e32 v4, v4, v1
	v_sub_nc_u32_e32 v4, v4, v1
.LBB6_305:
	s_mov_b32 s23, 0
.LBB6_306:
	s_delay_alu instid0(SALU_CYCLE_1)
	s_and_not1_b32 vcc_lo, exec_lo, s23
	s_cbranch_vccnz .LBB6_308
; %bb.307:
	s_wait_loadcnt 0x0
	global_load_u8 v1, v[2:3], off
	s_wait_loadcnt 0x0
	v_lshlrev_b32_e32 v4, 25, v1
	v_lshlrev_b16 v1, 8, v1
	s_delay_alu instid0(VALU_DEP_1) | instskip(SKIP_1) | instid1(VALU_DEP_2)
	v_and_or_b32 v6, 0x7f00, v1, 0.5
	v_bfe_i32 v1, v1, 0, 16
	v_dual_add_f32 v6, -0.5, v6 :: v_dual_lshrrev_b32 v5, 4, v4
	v_cmp_gt_u32_e32 vcc_lo, 0x8000000, v4
	s_delay_alu instid0(VALU_DEP_2) | instskip(NEXT) | instid1(VALU_DEP_1)
	v_or_b32_e32 v5, 0x70000000, v5
	v_mul_f32_e32 v5, 0x7800000, v5
	s_delay_alu instid0(VALU_DEP_1) | instskip(NEXT) | instid1(VALU_DEP_1)
	v_cndmask_b32_e32 v4, v5, v6, vcc_lo
	v_and_or_b32 v1, 0x80000000, v1, v4
	s_delay_alu instid0(VALU_DEP_1) | instskip(NEXT) | instid1(VALU_DEP_1)
	v_trunc_f32_e32 v1, v1
	v_mul_f32_e64 v4, 0x2f800000, |v1|
	s_delay_alu instid0(VALU_DEP_1) | instskip(NEXT) | instid1(VALU_DEP_1)
	v_floor_f32_e32 v4, v4
	v_fma_f32 v4, 0xcf800000, v4, |v1|
	v_ashrrev_i32_e32 v1, 31, v1
	s_delay_alu instid0(VALU_DEP_2) | instskip(NEXT) | instid1(VALU_DEP_1)
	v_cvt_u32_f32_e32 v4, v4
	v_xor_b32_e32 v4, v4, v1
	s_delay_alu instid0(VALU_DEP_1)
	v_sub_nc_u32_e32 v4, v4, v1
.LBB6_308:
	s_mov_b32 s24, 0
	s_mov_b32 s23, -1
.LBB6_309:
	s_and_not1_b32 vcc_lo, exec_lo, s24
	s_cbranch_vccnz .LBB6_322
; %bb.310:
	s_cmp_gt_i32 s18, 14
	s_cbranch_scc0 .LBB6_313
; %bb.311:
	s_cmp_eq_u32 s18, 15
	s_cbranch_scc0 .LBB6_316
; %bb.312:
	s_wait_loadcnt 0x0
	global_load_u16 v1, v[2:3], off
	s_mov_b32 s23, -1
	s_mov_b32 s19, 0
	s_wait_loadcnt 0x0
	v_lshlrev_b32_e32 v1, 16, v1
	s_delay_alu instid0(VALU_DEP_1) | instskip(NEXT) | instid1(VALU_DEP_1)
	v_trunc_f32_e32 v1, v1
	v_mul_f32_e64 v4, 0x2f800000, |v1|
	s_delay_alu instid0(VALU_DEP_1) | instskip(NEXT) | instid1(VALU_DEP_1)
	v_floor_f32_e32 v4, v4
	v_fma_f32 v4, 0xcf800000, v4, |v1|
	v_ashrrev_i32_e32 v1, 31, v1
	s_delay_alu instid0(VALU_DEP_2) | instskip(NEXT) | instid1(VALU_DEP_1)
	v_cvt_u32_f32_e32 v4, v4
	v_xor_b32_e32 v4, v4, v1
	s_delay_alu instid0(VALU_DEP_1)
	v_sub_nc_u32_e32 v4, v4, v1
	s_branch .LBB6_317
.LBB6_313:
	s_mov_b32 s24, -1
                                        ; implicit-def: $vgpr4
	s_branch .LBB6_318
.LBB6_314:
	s_and_not1_saveexec_b32 s23, s23
	s_cbranch_execz .LBB6_295
.LBB6_315:
	v_cmp_ne_u16_e32 vcc_lo, 0, v1
	s_and_not1_b32 s24, s24, exec_lo
	s_and_b32 s25, vcc_lo, exec_lo
	s_delay_alu instid0(SALU_CYCLE_1)
	s_or_b32 s24, s24, s25
	s_or_b32 exec_lo, exec_lo, s23
	v_mov_b32_e32 v4, 0
	s_and_saveexec_b32 s23, s24
	s_cbranch_execnz .LBB6_296
	s_branch .LBB6_297
.LBB6_316:
	s_mov_b32 s19, -1
                                        ; implicit-def: $vgpr4
.LBB6_317:
	s_mov_b32 s24, 0
.LBB6_318:
	s_delay_alu instid0(SALU_CYCLE_1)
	s_and_b32 vcc_lo, exec_lo, s24
	s_cbranch_vccz .LBB6_322
; %bb.319:
	s_cmp_eq_u32 s18, 11
	s_cbranch_scc0 .LBB6_321
; %bb.320:
	s_wait_loadcnt 0x0
	global_load_u8 v1, v[2:3], off
	s_mov_b32 s19, 0
	s_mov_b32 s23, -1
	s_wait_loadcnt 0x0
	v_cmp_ne_u16_e32 vcc_lo, 0, v1
	v_cndmask_b32_e64 v4, 0, 1, vcc_lo
	s_branch .LBB6_322
.LBB6_321:
	s_mov_b32 s19, -1
                                        ; implicit-def: $vgpr4
.LBB6_322:
	s_branch .LBB6_20
.LBB6_323:
	s_and_b32 s0, 0xffff, s0
	s_delay_alu instid0(SALU_CYCLE_1)
	s_cmp_lt_i32 s0, 5
	s_cbranch_scc1 .LBB6_328
; %bb.324:
	s_cmp_lt_i32 s0, 8
	s_cbranch_scc1 .LBB6_329
; %bb.325:
	;; [unrolled: 3-line block ×3, first 2 shown]
	s_cmp_gt_i32 s0, 9
	s_cbranch_scc0 .LBB6_331
; %bb.327:
	s_wait_loadcnt 0x0
	global_load_b64 v[4:5], v[2:3], off
	s_mov_b32 s18, 0
	s_wait_loadcnt 0x0
	v_trunc_f64_e32 v[4:5], v[4:5]
	s_delay_alu instid0(VALU_DEP_1) | instskip(NEXT) | instid1(VALU_DEP_1)
	v_ldexp_f64 v[6:7], v[4:5], 0xffffffe0
	v_floor_f64_e32 v[6:7], v[6:7]
	s_delay_alu instid0(VALU_DEP_1) | instskip(NEXT) | instid1(VALU_DEP_1)
	v_fmamk_f64 v[4:5], v[6:7], 0xc1f00000, v[4:5]
	v_cvt_u32_f64_e32 v4, v[4:5]
	s_branch .LBB6_332
.LBB6_328:
	s_mov_b32 s18, -1
                                        ; implicit-def: $vgpr4
	s_branch .LBB6_350
.LBB6_329:
	s_mov_b32 s18, -1
                                        ; implicit-def: $vgpr4
	s_branch .LBB6_338
.LBB6_330:
	s_mov_b32 s18, -1
                                        ; implicit-def: $vgpr4
	s_branch .LBB6_335
.LBB6_331:
	s_mov_b32 s18, -1
                                        ; implicit-def: $vgpr4
.LBB6_332:
	s_delay_alu instid0(SALU_CYCLE_1)
	s_and_not1_b32 vcc_lo, exec_lo, s18
	s_cbranch_vccnz .LBB6_334
; %bb.333:
	s_wait_loadcnt 0x0
	global_load_b32 v1, v[2:3], off
	s_wait_loadcnt 0x0
	v_trunc_f32_e32 v1, v1
	s_delay_alu instid0(VALU_DEP_1) | instskip(NEXT) | instid1(VALU_DEP_1)
	v_mul_f32_e64 v4, 0x2f800000, |v1|
	v_floor_f32_e32 v4, v4
	s_delay_alu instid0(VALU_DEP_1) | instskip(SKIP_1) | instid1(VALU_DEP_2)
	v_fma_f32 v4, 0xcf800000, v4, |v1|
	v_ashrrev_i32_e32 v1, 31, v1
	v_cvt_u32_f32_e32 v4, v4
	s_delay_alu instid0(VALU_DEP_1) | instskip(NEXT) | instid1(VALU_DEP_1)
	v_xor_b32_e32 v4, v4, v1
	v_sub_nc_u32_e32 v4, v4, v1
.LBB6_334:
	s_mov_b32 s18, 0
.LBB6_335:
	s_delay_alu instid0(SALU_CYCLE_1)
	s_and_not1_b32 vcc_lo, exec_lo, s18
	s_cbranch_vccnz .LBB6_337
; %bb.336:
	s_wait_loadcnt 0x0
	global_load_b32 v1, v[2:3], off
	s_wait_loadcnt 0x0
	v_cvt_f32_f16_e32 v1, v1
	s_delay_alu instid0(VALU_DEP_1)
	v_cvt_i32_f32_e32 v4, v1
.LBB6_337:
	s_mov_b32 s18, 0
.LBB6_338:
	s_delay_alu instid0(SALU_CYCLE_1)
	s_and_not1_b32 vcc_lo, exec_lo, s18
	s_cbranch_vccnz .LBB6_349
; %bb.339:
	s_cmp_lt_i32 s0, 6
	s_cbranch_scc1 .LBB6_342
; %bb.340:
	s_cmp_gt_i32 s0, 6
	s_cbranch_scc0 .LBB6_343
; %bb.341:
	s_wait_loadcnt 0x0
	global_load_b64 v[4:5], v[2:3], off
	s_mov_b32 s18, 0
	s_wait_loadcnt 0x0
	v_trunc_f64_e32 v[4:5], v[4:5]
	s_delay_alu instid0(VALU_DEP_1) | instskip(NEXT) | instid1(VALU_DEP_1)
	v_ldexp_f64 v[6:7], v[4:5], 0xffffffe0
	v_floor_f64_e32 v[6:7], v[6:7]
	s_delay_alu instid0(VALU_DEP_1) | instskip(NEXT) | instid1(VALU_DEP_1)
	v_fmamk_f64 v[4:5], v[6:7], 0xc1f00000, v[4:5]
	v_cvt_u32_f64_e32 v4, v[4:5]
	s_branch .LBB6_344
.LBB6_342:
	s_mov_b32 s18, -1
                                        ; implicit-def: $vgpr4
	s_branch .LBB6_347
.LBB6_343:
	s_mov_b32 s18, -1
                                        ; implicit-def: $vgpr4
.LBB6_344:
	s_delay_alu instid0(SALU_CYCLE_1)
	s_and_not1_b32 vcc_lo, exec_lo, s18
	s_cbranch_vccnz .LBB6_346
; %bb.345:
	s_wait_loadcnt 0x0
	global_load_b32 v1, v[2:3], off
	s_wait_loadcnt 0x0
	v_trunc_f32_e32 v1, v1
	s_delay_alu instid0(VALU_DEP_1) | instskip(NEXT) | instid1(VALU_DEP_1)
	v_mul_f32_e64 v4, 0x2f800000, |v1|
	v_floor_f32_e32 v4, v4
	s_delay_alu instid0(VALU_DEP_1) | instskip(SKIP_1) | instid1(VALU_DEP_2)
	v_fma_f32 v4, 0xcf800000, v4, |v1|
	v_ashrrev_i32_e32 v1, 31, v1
	v_cvt_u32_f32_e32 v4, v4
	s_delay_alu instid0(VALU_DEP_1) | instskip(NEXT) | instid1(VALU_DEP_1)
	v_xor_b32_e32 v4, v4, v1
	v_sub_nc_u32_e32 v4, v4, v1
.LBB6_346:
	s_mov_b32 s18, 0
.LBB6_347:
	s_delay_alu instid0(SALU_CYCLE_1)
	s_and_not1_b32 vcc_lo, exec_lo, s18
	s_cbranch_vccnz .LBB6_349
; %bb.348:
	s_wait_loadcnt 0x0
	global_load_u16 v1, v[2:3], off
	s_wait_loadcnt 0x0
	v_cvt_f32_f16_e32 v1, v1
	s_delay_alu instid0(VALU_DEP_1)
	v_cvt_i32_f32_e32 v4, v1
.LBB6_349:
	s_mov_b32 s18, 0
.LBB6_350:
	s_delay_alu instid0(SALU_CYCLE_1)
	s_and_not1_b32 vcc_lo, exec_lo, s18
	s_cbranch_vccnz .LBB6_370
; %bb.351:
	s_cmp_lt_i32 s0, 2
	s_cbranch_scc1 .LBB6_355
; %bb.352:
	s_cmp_lt_i32 s0, 3
	s_cbranch_scc1 .LBB6_356
; %bb.353:
	s_cmp_gt_i32 s0, 3
	s_cbranch_scc0 .LBB6_357
; %bb.354:
	s_wait_loadcnt 0x0
	global_load_b64 v[4:5], v[2:3], off
	s_mov_b32 s18, 0
	s_branch .LBB6_358
.LBB6_355:
	s_mov_b32 s18, -1
                                        ; implicit-def: $vgpr4
	s_branch .LBB6_364
.LBB6_356:
	s_mov_b32 s18, -1
                                        ; implicit-def: $vgpr4
	s_branch .LBB6_361
.LBB6_357:
	s_mov_b32 s18, -1
                                        ; implicit-def: $vgpr4
.LBB6_358:
	s_delay_alu instid0(SALU_CYCLE_1)
	s_and_not1_b32 vcc_lo, exec_lo, s18
	s_cbranch_vccnz .LBB6_360
; %bb.359:
	s_wait_loadcnt 0x0
	global_load_b32 v4, v[2:3], off
.LBB6_360:
	s_mov_b32 s18, 0
.LBB6_361:
	s_delay_alu instid0(SALU_CYCLE_1)
	s_and_not1_b32 vcc_lo, exec_lo, s18
	s_cbranch_vccnz .LBB6_363
; %bb.362:
	s_wait_loadcnt 0x0
	global_load_u16 v4, v[2:3], off
.LBB6_363:
	s_mov_b32 s18, 0
.LBB6_364:
	s_delay_alu instid0(SALU_CYCLE_1)
	s_and_not1_b32 vcc_lo, exec_lo, s18
	s_cbranch_vccnz .LBB6_370
; %bb.365:
	s_cmp_gt_i32 s0, 0
	s_mov_b32 s0, 0
	s_cbranch_scc0 .LBB6_367
; %bb.366:
	s_wait_loadcnt 0x0
	global_load_u8 v4, v[2:3], off
	s_branch .LBB6_368
.LBB6_367:
	s_mov_b32 s0, -1
                                        ; implicit-def: $vgpr4
.LBB6_368:
	s_delay_alu instid0(SALU_CYCLE_1)
	s_and_not1_b32 vcc_lo, exec_lo, s0
	s_cbranch_vccnz .LBB6_370
; %bb.369:
	s_wait_loadcnt 0x0
	global_load_u8 v4, v[2:3], off
.LBB6_370:
	s_branch .LBB6_21
.LBB6_371:
	s_mov_b32 s0, 0
.LBB6_372:
	s_mov_b32 s23, 0
                                        ; implicit-def: $vgpr18
.LBB6_373:
	s_and_b32 s18, s0, exec_lo
	s_and_b32 s19, s19, exec_lo
	;; [unrolled: 1-line block ×3, first 2 shown]
	s_or_not1_b32 s25, s23, exec_lo
.LBB6_374:
	s_wait_xcnt 0x0
	s_or_b32 exec_lo, exec_lo, s21
	s_mov_b32 s24, 0
	s_mov_b32 s23, 0
                                        ; implicit-def: $sgpr0
                                        ; implicit-def: $vgpr2_vgpr3
                                        ; implicit-def: $vgpr0
	s_and_saveexec_b32 s21, s25
	s_cbranch_execz .LBB6_383
; %bb.375:
	s_mov_b32 s27, -1
	s_mov_b32 s22, s20
	s_mov_b32 s24, s19
	;; [unrolled: 1-line block ×3, first 2 shown]
	s_mov_b32 s25, exec_lo
	v_cmpx_gt_i32_e64 s17, v18
	s_cbranch_execz .LBB6_759
; %bb.376:
	s_wait_loadcnt 0x0
	v_mul_lo_u32 v0, v18, s9
	s_and_b32 s0, s14, 0xff
	s_delay_alu instid0(SALU_CYCLE_1) | instskip(NEXT) | instid1(VALU_DEP_1)
	s_cmp_lt_i32 s0, 11
	v_ashrrev_i32_e32 v1, 31, v0
	s_delay_alu instid0(VALU_DEP_1)
	v_add_nc_u64_e32 v[2:3], s[6:7], v[0:1]
	s_cbranch_scc1 .LBB6_386
; %bb.377:
	s_and_b32 s23, 0xffff, s0
	s_delay_alu instid0(SALU_CYCLE_1)
	s_cmp_gt_i32 s23, 25
	s_cbranch_scc0 .LBB6_395
; %bb.378:
	s_cmp_gt_i32 s23, 28
	s_cbranch_scc0 .LBB6_397
; %bb.379:
	;; [unrolled: 3-line block ×4, first 2 shown]
	s_cmp_eq_u32 s23, 46
	s_mov_b32 s26, 0
	s_cbranch_scc0 .LBB6_405
; %bb.382:
	global_load_b32 v0, v[2:3], off
	s_mov_b32 s24, -1
	s_mov_b32 s22, 0
	s_wait_loadcnt 0x0
	v_lshlrev_b32_e32 v0, 16, v0
	s_delay_alu instid0(VALU_DEP_1) | instskip(NEXT) | instid1(VALU_DEP_1)
	v_trunc_f32_e32 v0, v0
	v_mul_f32_e64 v1, 0x2f800000, |v0|
	s_delay_alu instid0(VALU_DEP_1) | instskip(NEXT) | instid1(VALU_DEP_1)
	v_floor_f32_e32 v1, v1
	v_fma_f32 v1, 0xcf800000, v1, |v0|
	v_ashrrev_i32_e32 v0, 31, v0
	s_delay_alu instid0(VALU_DEP_2) | instskip(NEXT) | instid1(VALU_DEP_1)
	v_cvt_u32_f32_e32 v1, v1
	v_xor_b32_e32 v1, v1, v0
	s_delay_alu instid0(VALU_DEP_1)
	v_sub_nc_u32_e32 v0, v1, v0
	s_branch .LBB6_407
.LBB6_383:
	s_or_b32 exec_lo, exec_lo, s21
	s_mov_b32 s17, 0
	s_and_saveexec_b32 s21, s20
	s_cbranch_execnz .LBB6_1223
.LBB6_384:
	s_or_b32 exec_lo, exec_lo, s21
	s_and_saveexec_b32 s20, s22
	s_delay_alu instid0(SALU_CYCLE_1)
	s_xor_b32 s20, exec_lo, s20
	s_cbranch_execz .LBB6_1224
.LBB6_385:
	s_wait_loadcnt 0x0
	global_load_u8 v0, v[2:3], off
	s_or_b32 s23, s23, exec_lo
	s_wait_loadcnt 0x0
	v_cmp_ne_u16_e32 vcc_lo, 0, v0
	v_cndmask_b32_e64 v0, 0, 1, vcc_lo
	s_wait_xcnt 0x0
	s_or_b32 exec_lo, exec_lo, s20
	s_and_saveexec_b32 s20, s24
	s_cbranch_execz .LBB6_1270
	s_branch .LBB6_1225
.LBB6_386:
	s_mov_b32 s24, 0
	s_mov_b32 s22, s20
                                        ; implicit-def: $vgpr0
	s_cbranch_execnz .LBB6_469
.LBB6_387:
	s_and_not1_b32 vcc_lo, exec_lo, s24
	s_cbranch_vccnz .LBB6_517
.LBB6_388:
	s_wait_xcnt 0x0
	v_mul_lo_u32 v2, v18, s10
	s_and_b32 s0, s1, 0xff
	s_delay_alu instid0(SALU_CYCLE_1) | instskip(NEXT) | instid1(VALU_DEP_1)
	s_cmp_lt_i32 s0, 11
	v_ashrrev_i32_e32 v3, 31, v2
	s_delay_alu instid0(VALU_DEP_1)
	v_add_nc_u64_e32 v[2:3], s[2:3], v[2:3]
	s_cbranch_scc1 .LBB6_396
; %bb.389:
	s_and_b32 s23, 0xffff, s0
	s_delay_alu instid0(SALU_CYCLE_1)
	s_cmp_gt_i32 s23, 25
	s_cbranch_scc0 .LBB6_398
; %bb.390:
	s_cmp_gt_i32 s23, 28
	s_cbranch_scc0 .LBB6_400
; %bb.391:
	;; [unrolled: 3-line block ×4, first 2 shown]
	s_cmp_eq_u32 s23, 46
	s_mov_b32 s27, 0
	s_cbranch_scc0 .LBB6_520
; %bb.394:
	s_wait_loadcnt 0x0
	global_load_b32 v1, v[2:3], off
	s_mov_b32 s26, -1
	s_mov_b32 s24, 0
	s_wait_loadcnt 0x0
	v_lshlrev_b32_e32 v1, 16, v1
	s_delay_alu instid0(VALU_DEP_1) | instskip(NEXT) | instid1(VALU_DEP_1)
	v_trunc_f32_e32 v1, v1
	v_mul_f32_e64 v4, 0x2f800000, |v1|
	s_delay_alu instid0(VALU_DEP_1) | instskip(NEXT) | instid1(VALU_DEP_1)
	v_floor_f32_e32 v4, v4
	v_fma_f32 v4, 0xcf800000, v4, |v1|
	v_ashrrev_i32_e32 v1, 31, v1
	s_delay_alu instid0(VALU_DEP_2) | instskip(NEXT) | instid1(VALU_DEP_1)
	v_cvt_u32_f32_e32 v4, v4
	v_xor_b32_e32 v4, v4, v1
	s_delay_alu instid0(VALU_DEP_1)
	v_sub_nc_u32_e32 v4, v4, v1
	s_branch .LBB6_522
.LBB6_395:
	s_mov_b32 s26, -1
	s_mov_b32 s24, 0
	s_mov_b32 s22, s20
                                        ; implicit-def: $vgpr0
	s_branch .LBB6_435
.LBB6_396:
	s_mov_b32 s23, -1
	s_mov_b32 s26, 0
	s_mov_b32 s24, s19
                                        ; implicit-def: $vgpr4
	s_branch .LBB6_583
.LBB6_397:
	s_mov_b32 s26, -1
	s_mov_b32 s24, 0
	s_mov_b32 s22, s20
                                        ; implicit-def: $vgpr0
	s_branch .LBB6_418
.LBB6_398:
	s_mov_b32 s27, -1
	s_mov_b32 s26, 0
	s_mov_b32 s24, s19
                                        ; implicit-def: $vgpr4
	s_branch .LBB6_549
.LBB6_399:
	s_mov_b32 s26, -1
	s_mov_b32 s24, 0
	s_mov_b32 s22, s20
                                        ; implicit-def: $vgpr0
	s_branch .LBB6_413
.LBB6_400:
	s_mov_b32 s27, -1
	s_mov_b32 s26, 0
	s_mov_b32 s24, s19
                                        ; implicit-def: $vgpr4
	s_branch .LBB6_532
.LBB6_401:
	s_mov_b32 s26, -1
	s_mov_b32 s24, 0
	s_mov_b32 s22, s20
	s_branch .LBB6_406
.LBB6_402:
	s_mov_b32 s27, -1
	s_mov_b32 s26, 0
	s_mov_b32 s24, s19
                                        ; implicit-def: $vgpr4
	s_branch .LBB6_527
.LBB6_403:
	s_and_not1_saveexec_b32 s27, s27
	s_cbranch_execz .LBB6_176
.LBB6_404:
	v_add_f32_e32 v2, 0x46000000, v3
	s_and_not1_b32 s26, s26, exec_lo
	s_delay_alu instid0(VALU_DEP_1) | instskip(NEXT) | instid1(VALU_DEP_1)
	v_and_b32_e32 v2, 0xff, v2
	v_cmp_ne_u32_e32 vcc_lo, 0, v2
	s_and_b32 s28, vcc_lo, exec_lo
	s_delay_alu instid0(SALU_CYCLE_1)
	s_or_b32 s26, s26, s28
	s_or_b32 exec_lo, exec_lo, s27
	v_mov_b32_e32 v4, 0
	s_and_saveexec_b32 s27, s26
	s_cbranch_execnz .LBB6_177
	s_branch .LBB6_178
.LBB6_405:
	s_mov_b32 s22, -1
	s_mov_b32 s24, 0
.LBB6_406:
                                        ; implicit-def: $vgpr0
.LBB6_407:
	s_and_b32 vcc_lo, exec_lo, s26
	s_cbranch_vccz .LBB6_412
; %bb.408:
	s_cmp_eq_u32 s23, 44
	s_cbranch_scc0 .LBB6_411
; %bb.409:
	global_load_u8 v0, v[2:3], off
	s_mov_b32 s22, 0
	s_mov_b32 s24, -1
	s_wait_loadcnt 0x0
	v_lshlrev_b32_e32 v1, 23, v0
	v_cmp_ne_u32_e32 vcc_lo, 0, v0
	s_delay_alu instid0(VALU_DEP_2) | instskip(NEXT) | instid1(VALU_DEP_1)
	v_trunc_f32_e32 v1, v1
	v_mul_f32_e64 v4, 0x2f800000, |v1|
	s_delay_alu instid0(VALU_DEP_1) | instskip(NEXT) | instid1(VALU_DEP_1)
	v_floor_f32_e32 v4, v4
	v_fma_f32 v4, 0xcf800000, v4, |v1|
	v_ashrrev_i32_e32 v1, 31, v1
	s_delay_alu instid0(VALU_DEP_2) | instskip(NEXT) | instid1(VALU_DEP_1)
	v_cvt_u32_f32_e32 v4, v4
	v_xor_b32_e32 v4, v4, v1
	s_delay_alu instid0(VALU_DEP_1) | instskip(NEXT) | instid1(VALU_DEP_1)
	v_sub_nc_u32_e32 v1, v4, v1
	v_cndmask_b32_e32 v0, 0, v1, vcc_lo
	s_branch .LBB6_412
.LBB6_410:
	s_mov_b32 s27, -1
	s_mov_b32 s26, 0
	s_mov_b32 s24, s19
	s_branch .LBB6_521
.LBB6_411:
	s_mov_b32 s22, -1
                                        ; implicit-def: $vgpr0
.LBB6_412:
	s_mov_b32 s26, 0
.LBB6_413:
	s_delay_alu instid0(SALU_CYCLE_1)
	s_and_b32 vcc_lo, exec_lo, s26
	s_cbranch_vccz .LBB6_417
; %bb.414:
	s_cmp_eq_u32 s23, 29
	s_cbranch_scc0 .LBB6_416
; %bb.415:
	global_load_b64 v[0:1], v[2:3], off
	s_mov_b32 s24, -1
	s_mov_b32 s22, 0
	s_branch .LBB6_417
.LBB6_416:
	s_mov_b32 s22, -1
                                        ; implicit-def: $vgpr0
.LBB6_417:
	s_mov_b32 s26, 0
.LBB6_418:
	s_delay_alu instid0(SALU_CYCLE_1)
	s_and_b32 vcc_lo, exec_lo, s26
	s_cbranch_vccz .LBB6_434
; %bb.419:
	s_cmp_lt_i32 s23, 27
	s_cbranch_scc1 .LBB6_422
; %bb.420:
	s_cmp_gt_i32 s23, 27
	s_cbranch_scc0 .LBB6_423
; %bb.421:
	s_wait_loadcnt 0x0
	global_load_b32 v0, v[2:3], off
	s_mov_b32 s24, 0
	s_branch .LBB6_424
.LBB6_422:
	s_mov_b32 s24, -1
                                        ; implicit-def: $vgpr0
	s_branch .LBB6_427
.LBB6_423:
	s_mov_b32 s24, -1
                                        ; implicit-def: $vgpr0
.LBB6_424:
	s_delay_alu instid0(SALU_CYCLE_1)
	s_and_not1_b32 vcc_lo, exec_lo, s24
	s_cbranch_vccnz .LBB6_426
; %bb.425:
	s_wait_loadcnt 0x0
	global_load_u16 v0, v[2:3], off
.LBB6_426:
	s_mov_b32 s24, 0
.LBB6_427:
	s_delay_alu instid0(SALU_CYCLE_1)
	s_and_not1_b32 vcc_lo, exec_lo, s24
	s_cbranch_vccnz .LBB6_433
; %bb.428:
	s_wait_loadcnt 0x0
	global_load_u8 v1, v[2:3], off
	s_mov_b32 s26, 0
	s_mov_b32 s24, exec_lo
	s_wait_loadcnt 0x0
	v_cmpx_lt_i16_e32 0x7f, v1
	s_xor_b32 s24, exec_lo, s24
	s_cbranch_execz .LBB6_445
; %bb.429:
	v_cmp_ne_u16_e32 vcc_lo, 0x80, v1
	s_and_b32 s26, vcc_lo, exec_lo
	s_and_not1_saveexec_b32 s24, s24
	s_cbranch_execnz .LBB6_446
.LBB6_430:
	s_or_b32 exec_lo, exec_lo, s24
	v_mov_b32_e32 v0, 0
	s_and_saveexec_b32 s24, s26
	s_cbranch_execz .LBB6_432
.LBB6_431:
	v_and_b32_e32 v0, 0xffff, v1
	s_delay_alu instid0(VALU_DEP_1) | instskip(SKIP_1) | instid1(VALU_DEP_2)
	v_and_b32_e32 v4, 7, v0
	v_bfe_u32 v7, v0, 3, 4
	v_clz_i32_u32_e32 v5, v4
	s_delay_alu instid0(VALU_DEP_2) | instskip(NEXT) | instid1(VALU_DEP_2)
	v_cmp_eq_u32_e32 vcc_lo, 0, v7
	v_min_u32_e32 v5, 32, v5
	s_delay_alu instid0(VALU_DEP_1) | instskip(NEXT) | instid1(VALU_DEP_1)
	v_subrev_nc_u32_e32 v6, 28, v5
	v_dual_lshlrev_b32 v0, v6, v0 :: v_dual_sub_nc_u32 v5, 29, v5
	s_delay_alu instid0(VALU_DEP_1) | instskip(NEXT) | instid1(VALU_DEP_1)
	v_dual_lshlrev_b32 v1, 24, v1 :: v_dual_bitop2_b32 v0, 7, v0 bitop3:0x40
	v_dual_cndmask_b32 v0, v4, v0 :: v_dual_cndmask_b32 v5, v7, v5
	s_delay_alu instid0(VALU_DEP_2) | instskip(NEXT) | instid1(VALU_DEP_2)
	v_and_b32_e32 v1, 0x80000000, v1
	v_lshlrev_b32_e32 v0, 20, v0
	s_delay_alu instid0(VALU_DEP_3) | instskip(NEXT) | instid1(VALU_DEP_1)
	v_lshl_add_u32 v4, v5, 23, 0x3b800000
	v_or3_b32 v0, v1, v4, v0
	s_delay_alu instid0(VALU_DEP_1) | instskip(NEXT) | instid1(VALU_DEP_1)
	v_trunc_f32_e32 v0, v0
	v_mul_f32_e64 v1, 0x2f800000, |v0|
	s_delay_alu instid0(VALU_DEP_1) | instskip(NEXT) | instid1(VALU_DEP_1)
	v_floor_f32_e32 v1, v1
	v_fma_f32 v1, 0xcf800000, v1, |v0|
	v_ashrrev_i32_e32 v0, 31, v0
	s_delay_alu instid0(VALU_DEP_2) | instskip(NEXT) | instid1(VALU_DEP_1)
	v_cvt_u32_f32_e32 v1, v1
	v_xor_b32_e32 v1, v1, v0
	s_delay_alu instid0(VALU_DEP_1)
	v_sub_nc_u32_e32 v0, v1, v0
.LBB6_432:
	s_or_b32 exec_lo, exec_lo, s24
.LBB6_433:
	s_mov_b32 s24, -1
.LBB6_434:
	s_mov_b32 s26, 0
.LBB6_435:
	s_delay_alu instid0(SALU_CYCLE_1)
	s_and_b32 vcc_lo, exec_lo, s26
	s_cbranch_vccz .LBB6_468
; %bb.436:
	s_cmp_gt_i32 s23, 22
	s_cbranch_scc0 .LBB6_444
; %bb.437:
	s_cmp_lt_i32 s23, 24
	s_cbranch_scc1 .LBB6_447
; %bb.438:
	s_cmp_gt_i32 s23, 24
	s_cbranch_scc0 .LBB6_448
; %bb.439:
	s_wait_loadcnt 0x0
	global_load_u8 v1, v[2:3], off
	s_mov_b32 s26, 0
	s_mov_b32 s24, exec_lo
	s_wait_loadcnt 0x0
	v_cmpx_lt_i16_e32 0x7f, v1
	s_xor_b32 s24, exec_lo, s24
	s_cbranch_execz .LBB6_460
; %bb.440:
	v_cmp_ne_u16_e32 vcc_lo, 0x80, v1
	s_and_b32 s26, vcc_lo, exec_lo
	s_and_not1_saveexec_b32 s24, s24
	s_cbranch_execnz .LBB6_461
.LBB6_441:
	s_or_b32 exec_lo, exec_lo, s24
	v_mov_b32_e32 v0, 0
	s_and_saveexec_b32 s24, s26
	s_cbranch_execz .LBB6_443
.LBB6_442:
	v_and_b32_e32 v0, 0xffff, v1
	s_delay_alu instid0(VALU_DEP_1) | instskip(SKIP_1) | instid1(VALU_DEP_2)
	v_and_b32_e32 v4, 3, v0
	v_bfe_u32 v7, v0, 2, 5
	v_clz_i32_u32_e32 v5, v4
	s_delay_alu instid0(VALU_DEP_2) | instskip(NEXT) | instid1(VALU_DEP_2)
	v_cmp_eq_u32_e32 vcc_lo, 0, v7
	v_min_u32_e32 v5, 32, v5
	s_delay_alu instid0(VALU_DEP_1) | instskip(NEXT) | instid1(VALU_DEP_1)
	v_subrev_nc_u32_e32 v6, 29, v5
	v_dual_lshlrev_b32 v0, v6, v0 :: v_dual_sub_nc_u32 v5, 30, v5
	s_delay_alu instid0(VALU_DEP_1) | instskip(NEXT) | instid1(VALU_DEP_1)
	v_dual_lshlrev_b32 v1, 24, v1 :: v_dual_bitop2_b32 v0, 3, v0 bitop3:0x40
	v_dual_cndmask_b32 v0, v4, v0 :: v_dual_cndmask_b32 v5, v7, v5
	s_delay_alu instid0(VALU_DEP_2) | instskip(NEXT) | instid1(VALU_DEP_2)
	v_and_b32_e32 v1, 0x80000000, v1
	v_lshlrev_b32_e32 v0, 21, v0
	s_delay_alu instid0(VALU_DEP_3) | instskip(NEXT) | instid1(VALU_DEP_1)
	v_lshl_add_u32 v4, v5, 23, 0x37800000
	v_or3_b32 v0, v1, v4, v0
	s_delay_alu instid0(VALU_DEP_1) | instskip(NEXT) | instid1(VALU_DEP_1)
	v_trunc_f32_e32 v0, v0
	v_mul_f32_e64 v1, 0x2f800000, |v0|
	s_delay_alu instid0(VALU_DEP_1) | instskip(NEXT) | instid1(VALU_DEP_1)
	v_floor_f32_e32 v1, v1
	v_fma_f32 v1, 0xcf800000, v1, |v0|
	v_ashrrev_i32_e32 v0, 31, v0
	s_delay_alu instid0(VALU_DEP_2) | instskip(NEXT) | instid1(VALU_DEP_1)
	v_cvt_u32_f32_e32 v1, v1
	v_xor_b32_e32 v1, v1, v0
	s_delay_alu instid0(VALU_DEP_1)
	v_sub_nc_u32_e32 v0, v1, v0
.LBB6_443:
	s_or_b32 exec_lo, exec_lo, s24
	s_mov_b32 s24, 0
	s_branch .LBB6_449
.LBB6_444:
	s_mov_b32 s26, -1
                                        ; implicit-def: $vgpr0
	s_branch .LBB6_455
.LBB6_445:
	s_and_not1_saveexec_b32 s24, s24
	s_cbranch_execz .LBB6_430
.LBB6_446:
	v_cmp_ne_u16_e32 vcc_lo, 0, v1
	s_and_not1_b32 s26, s26, exec_lo
	s_and_b32 s27, vcc_lo, exec_lo
	s_delay_alu instid0(SALU_CYCLE_1)
	s_or_b32 s26, s26, s27
	s_or_b32 exec_lo, exec_lo, s24
	v_mov_b32_e32 v0, 0
	s_and_saveexec_b32 s24, s26
	s_cbranch_execnz .LBB6_431
	s_branch .LBB6_432
.LBB6_447:
	s_mov_b32 s24, -1
                                        ; implicit-def: $vgpr0
	s_branch .LBB6_452
.LBB6_448:
	s_mov_b32 s24, -1
                                        ; implicit-def: $vgpr0
.LBB6_449:
	s_delay_alu instid0(SALU_CYCLE_1)
	s_and_b32 vcc_lo, exec_lo, s24
	s_cbranch_vccz .LBB6_451
; %bb.450:
	s_wait_loadcnt 0x0
	global_load_u8 v0, v[2:3], off
	s_wait_loadcnt 0x0
	v_lshlrev_b32_e32 v0, 24, v0
	s_delay_alu instid0(VALU_DEP_1) | instskip(NEXT) | instid1(VALU_DEP_1)
	v_and_b32_e32 v1, 0x7f000000, v0
	v_clz_i32_u32_e32 v4, v1
	v_cmp_ne_u32_e32 vcc_lo, 0, v1
	v_add_nc_u32_e32 v6, 0x1000000, v1
	s_delay_alu instid0(VALU_DEP_3) | instskip(NEXT) | instid1(VALU_DEP_1)
	v_min_u32_e32 v4, 32, v4
	v_sub_nc_u32_e64 v4, v4, 4 clamp
	s_delay_alu instid0(VALU_DEP_1) | instskip(NEXT) | instid1(VALU_DEP_1)
	v_dual_lshlrev_b32 v5, v4, v1 :: v_dual_lshlrev_b32 v4, 23, v4
	v_lshrrev_b32_e32 v5, 4, v5
	s_delay_alu instid0(VALU_DEP_1) | instskip(NEXT) | instid1(VALU_DEP_1)
	v_dual_sub_nc_u32 v4, v5, v4 :: v_dual_ashrrev_i32 v5, 8, v6
	v_add_nc_u32_e32 v4, 0x3c000000, v4
	s_delay_alu instid0(VALU_DEP_1) | instskip(NEXT) | instid1(VALU_DEP_1)
	v_and_or_b32 v4, 0x7f800000, v5, v4
	v_cndmask_b32_e32 v1, 0, v4, vcc_lo
	s_delay_alu instid0(VALU_DEP_1) | instskip(NEXT) | instid1(VALU_DEP_1)
	v_and_or_b32 v0, 0x80000000, v0, v1
	v_trunc_f32_e32 v0, v0
	s_delay_alu instid0(VALU_DEP_1) | instskip(NEXT) | instid1(VALU_DEP_1)
	v_mul_f32_e64 v1, 0x2f800000, |v0|
	v_floor_f32_e32 v1, v1
	s_delay_alu instid0(VALU_DEP_1) | instskip(SKIP_1) | instid1(VALU_DEP_2)
	v_fma_f32 v1, 0xcf800000, v1, |v0|
	v_ashrrev_i32_e32 v0, 31, v0
	v_cvt_u32_f32_e32 v1, v1
	s_delay_alu instid0(VALU_DEP_1) | instskip(NEXT) | instid1(VALU_DEP_1)
	v_xor_b32_e32 v1, v1, v0
	v_sub_nc_u32_e32 v0, v1, v0
.LBB6_451:
	s_mov_b32 s24, 0
.LBB6_452:
	s_delay_alu instid0(SALU_CYCLE_1)
	s_and_not1_b32 vcc_lo, exec_lo, s24
	s_cbranch_vccnz .LBB6_454
; %bb.453:
	s_wait_loadcnt 0x0
	global_load_u8 v0, v[2:3], off
	s_wait_loadcnt 0x0
	v_lshlrev_b32_e32 v1, 25, v0
	v_lshlrev_b16 v0, 8, v0
	s_delay_alu instid0(VALU_DEP_1) | instskip(SKIP_1) | instid1(VALU_DEP_2)
	v_and_or_b32 v5, 0x7f00, v0, 0.5
	v_bfe_i32 v0, v0, 0, 16
	v_add_f32_e32 v5, -0.5, v5
	v_lshrrev_b32_e32 v4, 4, v1
	v_cmp_gt_u32_e32 vcc_lo, 0x8000000, v1
	s_delay_alu instid0(VALU_DEP_2) | instskip(NEXT) | instid1(VALU_DEP_1)
	v_or_b32_e32 v4, 0x70000000, v4
	v_mul_f32_e32 v4, 0x7800000, v4
	s_delay_alu instid0(VALU_DEP_1) | instskip(NEXT) | instid1(VALU_DEP_1)
	v_cndmask_b32_e32 v1, v4, v5, vcc_lo
	v_and_or_b32 v0, 0x80000000, v0, v1
	s_delay_alu instid0(VALU_DEP_1) | instskip(NEXT) | instid1(VALU_DEP_1)
	v_trunc_f32_e32 v0, v0
	v_mul_f32_e64 v1, 0x2f800000, |v0|
	s_delay_alu instid0(VALU_DEP_1) | instskip(NEXT) | instid1(VALU_DEP_1)
	v_floor_f32_e32 v1, v1
	v_fma_f32 v1, 0xcf800000, v1, |v0|
	v_ashrrev_i32_e32 v0, 31, v0
	s_delay_alu instid0(VALU_DEP_2) | instskip(NEXT) | instid1(VALU_DEP_1)
	v_cvt_u32_f32_e32 v1, v1
	v_xor_b32_e32 v1, v1, v0
	s_delay_alu instid0(VALU_DEP_1)
	v_sub_nc_u32_e32 v0, v1, v0
.LBB6_454:
	s_mov_b32 s26, 0
	s_mov_b32 s24, -1
.LBB6_455:
	s_and_not1_b32 vcc_lo, exec_lo, s26
	s_cbranch_vccnz .LBB6_468
; %bb.456:
	s_cmp_gt_i32 s23, 14
	s_cbranch_scc0 .LBB6_459
; %bb.457:
	s_cmp_eq_u32 s23, 15
	s_cbranch_scc0 .LBB6_462
; %bb.458:
	s_wait_loadcnt 0x0
	global_load_u16 v0, v[2:3], off
	s_mov_b32 s24, -1
	s_mov_b32 s22, 0
	s_wait_loadcnt 0x0
	v_lshlrev_b32_e32 v0, 16, v0
	s_delay_alu instid0(VALU_DEP_1) | instskip(NEXT) | instid1(VALU_DEP_1)
	v_trunc_f32_e32 v0, v0
	v_mul_f32_e64 v1, 0x2f800000, |v0|
	s_delay_alu instid0(VALU_DEP_1) | instskip(NEXT) | instid1(VALU_DEP_1)
	v_floor_f32_e32 v1, v1
	v_fma_f32 v1, 0xcf800000, v1, |v0|
	v_ashrrev_i32_e32 v0, 31, v0
	s_delay_alu instid0(VALU_DEP_2) | instskip(NEXT) | instid1(VALU_DEP_1)
	v_cvt_u32_f32_e32 v1, v1
	v_xor_b32_e32 v1, v1, v0
	s_delay_alu instid0(VALU_DEP_1)
	v_sub_nc_u32_e32 v0, v1, v0
	s_branch .LBB6_463
.LBB6_459:
	s_mov_b32 s26, -1
                                        ; implicit-def: $vgpr0
	s_branch .LBB6_464
.LBB6_460:
	s_and_not1_saveexec_b32 s24, s24
	s_cbranch_execz .LBB6_441
.LBB6_461:
	v_cmp_ne_u16_e32 vcc_lo, 0, v1
	s_and_not1_b32 s26, s26, exec_lo
	s_and_b32 s27, vcc_lo, exec_lo
	s_delay_alu instid0(SALU_CYCLE_1)
	s_or_b32 s26, s26, s27
	s_or_b32 exec_lo, exec_lo, s24
	v_mov_b32_e32 v0, 0
	s_and_saveexec_b32 s24, s26
	s_cbranch_execnz .LBB6_442
	s_branch .LBB6_443
.LBB6_462:
	s_mov_b32 s22, -1
                                        ; implicit-def: $vgpr0
.LBB6_463:
	s_mov_b32 s26, 0
.LBB6_464:
	s_delay_alu instid0(SALU_CYCLE_1)
	s_and_b32 vcc_lo, exec_lo, s26
	s_cbranch_vccz .LBB6_468
; %bb.465:
	s_cmp_eq_u32 s23, 11
	s_cbranch_scc0 .LBB6_467
; %bb.466:
	s_wait_loadcnt 0x0
	global_load_u8 v0, v[2:3], off
	s_mov_b32 s22, 0
	s_mov_b32 s24, -1
	s_wait_loadcnt 0x0
	v_cmp_ne_u16_e32 vcc_lo, 0, v0
	v_cndmask_b32_e64 v0, 0, 1, vcc_lo
	s_branch .LBB6_468
.LBB6_467:
	s_mov_b32 s22, -1
                                        ; implicit-def: $vgpr0
.LBB6_468:
	s_branch .LBB6_387
.LBB6_469:
	s_and_b32 s0, 0xffff, s0
	s_delay_alu instid0(SALU_CYCLE_1)
	s_cmp_lt_i32 s0, 5
	s_cbranch_scc1 .LBB6_474
; %bb.470:
	s_cmp_lt_i32 s0, 8
	s_cbranch_scc1 .LBB6_475
; %bb.471:
	s_cmp_lt_i32 s0, 9
	s_cbranch_scc1 .LBB6_476
; %bb.472:
	s_cmp_gt_i32 s0, 9
	s_cbranch_scc0 .LBB6_477
; %bb.473:
	s_wait_loadcnt 0x0
	global_load_b64 v[0:1], v[2:3], off
	s_mov_b32 s23, 0
	s_wait_loadcnt 0x0
	v_trunc_f64_e32 v[0:1], v[0:1]
	s_delay_alu instid0(VALU_DEP_1) | instskip(NEXT) | instid1(VALU_DEP_1)
	v_ldexp_f64 v[4:5], v[0:1], 0xffffffe0
	v_floor_f64_e32 v[4:5], v[4:5]
	s_delay_alu instid0(VALU_DEP_1) | instskip(NEXT) | instid1(VALU_DEP_1)
	v_fmamk_f64 v[0:1], v[4:5], 0xc1f00000, v[0:1]
	v_cvt_u32_f64_e32 v0, v[0:1]
	s_branch .LBB6_478
.LBB6_474:
	s_mov_b32 s23, -1
                                        ; implicit-def: $vgpr0
	s_branch .LBB6_496
.LBB6_475:
	s_mov_b32 s23, -1
                                        ; implicit-def: $vgpr0
	s_branch .LBB6_484
.LBB6_476:
	s_mov_b32 s23, -1
                                        ; implicit-def: $vgpr0
	s_branch .LBB6_481
.LBB6_477:
	s_mov_b32 s23, -1
                                        ; implicit-def: $vgpr0
.LBB6_478:
	s_delay_alu instid0(SALU_CYCLE_1)
	s_and_not1_b32 vcc_lo, exec_lo, s23
	s_cbranch_vccnz .LBB6_480
; %bb.479:
	s_wait_loadcnt 0x0
	global_load_b32 v0, v[2:3], off
	s_wait_loadcnt 0x0
	v_trunc_f32_e32 v0, v0
	s_delay_alu instid0(VALU_DEP_1) | instskip(NEXT) | instid1(VALU_DEP_1)
	v_mul_f32_e64 v1, 0x2f800000, |v0|
	v_floor_f32_e32 v1, v1
	s_delay_alu instid0(VALU_DEP_1) | instskip(SKIP_1) | instid1(VALU_DEP_2)
	v_fma_f32 v1, 0xcf800000, v1, |v0|
	v_ashrrev_i32_e32 v0, 31, v0
	v_cvt_u32_f32_e32 v1, v1
	s_delay_alu instid0(VALU_DEP_1) | instskip(NEXT) | instid1(VALU_DEP_1)
	v_xor_b32_e32 v1, v1, v0
	v_sub_nc_u32_e32 v0, v1, v0
.LBB6_480:
	s_mov_b32 s23, 0
.LBB6_481:
	s_delay_alu instid0(SALU_CYCLE_1)
	s_and_not1_b32 vcc_lo, exec_lo, s23
	s_cbranch_vccnz .LBB6_483
; %bb.482:
	s_wait_loadcnt 0x0
	global_load_b32 v0, v[2:3], off
	s_wait_loadcnt 0x0
	v_cvt_f32_f16_e32 v0, v0
	s_delay_alu instid0(VALU_DEP_1)
	v_cvt_i32_f32_e32 v0, v0
.LBB6_483:
	s_mov_b32 s23, 0
.LBB6_484:
	s_delay_alu instid0(SALU_CYCLE_1)
	s_and_not1_b32 vcc_lo, exec_lo, s23
	s_cbranch_vccnz .LBB6_495
; %bb.485:
	s_cmp_lt_i32 s0, 6
	s_cbranch_scc1 .LBB6_488
; %bb.486:
	s_cmp_gt_i32 s0, 6
	s_cbranch_scc0 .LBB6_489
; %bb.487:
	s_wait_loadcnt 0x0
	global_load_b64 v[0:1], v[2:3], off
	s_mov_b32 s23, 0
	s_wait_loadcnt 0x0
	v_trunc_f64_e32 v[0:1], v[0:1]
	s_delay_alu instid0(VALU_DEP_1) | instskip(NEXT) | instid1(VALU_DEP_1)
	v_ldexp_f64 v[4:5], v[0:1], 0xffffffe0
	v_floor_f64_e32 v[4:5], v[4:5]
	s_delay_alu instid0(VALU_DEP_1) | instskip(NEXT) | instid1(VALU_DEP_1)
	v_fmamk_f64 v[0:1], v[4:5], 0xc1f00000, v[0:1]
	v_cvt_u32_f64_e32 v0, v[0:1]
	s_branch .LBB6_490
.LBB6_488:
	s_mov_b32 s23, -1
                                        ; implicit-def: $vgpr0
	s_branch .LBB6_493
.LBB6_489:
	s_mov_b32 s23, -1
                                        ; implicit-def: $vgpr0
.LBB6_490:
	s_delay_alu instid0(SALU_CYCLE_1)
	s_and_not1_b32 vcc_lo, exec_lo, s23
	s_cbranch_vccnz .LBB6_492
; %bb.491:
	s_wait_loadcnt 0x0
	global_load_b32 v0, v[2:3], off
	s_wait_loadcnt 0x0
	v_trunc_f32_e32 v0, v0
	s_delay_alu instid0(VALU_DEP_1) | instskip(NEXT) | instid1(VALU_DEP_1)
	v_mul_f32_e64 v1, 0x2f800000, |v0|
	v_floor_f32_e32 v1, v1
	s_delay_alu instid0(VALU_DEP_1) | instskip(SKIP_1) | instid1(VALU_DEP_2)
	v_fma_f32 v1, 0xcf800000, v1, |v0|
	v_ashrrev_i32_e32 v0, 31, v0
	v_cvt_u32_f32_e32 v1, v1
	s_delay_alu instid0(VALU_DEP_1) | instskip(NEXT) | instid1(VALU_DEP_1)
	v_xor_b32_e32 v1, v1, v0
	v_sub_nc_u32_e32 v0, v1, v0
.LBB6_492:
	s_mov_b32 s23, 0
.LBB6_493:
	s_delay_alu instid0(SALU_CYCLE_1)
	s_and_not1_b32 vcc_lo, exec_lo, s23
	s_cbranch_vccnz .LBB6_495
; %bb.494:
	s_wait_loadcnt 0x0
	global_load_u16 v0, v[2:3], off
	s_wait_loadcnt 0x0
	v_cvt_f32_f16_e32 v0, v0
	s_delay_alu instid0(VALU_DEP_1)
	v_cvt_i32_f32_e32 v0, v0
.LBB6_495:
	s_mov_b32 s23, 0
.LBB6_496:
	s_delay_alu instid0(SALU_CYCLE_1)
	s_and_not1_b32 vcc_lo, exec_lo, s23
	s_cbranch_vccnz .LBB6_516
; %bb.497:
	s_cmp_lt_i32 s0, 2
	s_cbranch_scc1 .LBB6_501
; %bb.498:
	s_cmp_lt_i32 s0, 3
	s_cbranch_scc1 .LBB6_502
; %bb.499:
	s_cmp_gt_i32 s0, 3
	s_cbranch_scc0 .LBB6_503
; %bb.500:
	s_wait_loadcnt 0x0
	global_load_b64 v[0:1], v[2:3], off
	s_mov_b32 s23, 0
	s_branch .LBB6_504
.LBB6_501:
	s_mov_b32 s23, -1
                                        ; implicit-def: $vgpr0
	s_branch .LBB6_510
.LBB6_502:
	s_mov_b32 s23, -1
                                        ; implicit-def: $vgpr0
	s_branch .LBB6_507
.LBB6_503:
	s_mov_b32 s23, -1
                                        ; implicit-def: $vgpr0
.LBB6_504:
	s_delay_alu instid0(SALU_CYCLE_1)
	s_and_not1_b32 vcc_lo, exec_lo, s23
	s_cbranch_vccnz .LBB6_506
; %bb.505:
	s_wait_loadcnt 0x0
	global_load_b32 v0, v[2:3], off
.LBB6_506:
	s_mov_b32 s23, 0
.LBB6_507:
	s_delay_alu instid0(SALU_CYCLE_1)
	s_and_not1_b32 vcc_lo, exec_lo, s23
	s_cbranch_vccnz .LBB6_509
; %bb.508:
	s_wait_loadcnt 0x0
	global_load_u16 v0, v[2:3], off
.LBB6_509:
	s_mov_b32 s23, 0
.LBB6_510:
	s_delay_alu instid0(SALU_CYCLE_1)
	s_and_not1_b32 vcc_lo, exec_lo, s23
	s_cbranch_vccnz .LBB6_516
; %bb.511:
	s_cmp_gt_i32 s0, 0
	s_mov_b32 s0, 0
	s_cbranch_scc0 .LBB6_513
; %bb.512:
	s_wait_loadcnt 0x0
	global_load_u8 v0, v[2:3], off
	s_branch .LBB6_514
.LBB6_513:
	s_mov_b32 s0, -1
                                        ; implicit-def: $vgpr0
.LBB6_514:
	s_delay_alu instid0(SALU_CYCLE_1)
	s_and_not1_b32 vcc_lo, exec_lo, s0
	s_cbranch_vccnz .LBB6_516
; %bb.515:
	s_wait_loadcnt 0x0
	global_load_u8 v0, v[2:3], off
.LBB6_516:
	s_branch .LBB6_388
.LBB6_517:
	s_mov_b32 s26, 0
	s_mov_b32 s0, s18
	;; [unrolled: 1-line block ×3, first 2 shown]
	s_branch .LBB6_757
.LBB6_518:
	s_and_not1_saveexec_b32 s27, s27
	s_cbranch_execz .LBB6_189
.LBB6_519:
	v_add_f32_e32 v2, 0x42800000, v3
	s_and_not1_b32 s26, s26, exec_lo
	s_delay_alu instid0(VALU_DEP_1) | instskip(NEXT) | instid1(VALU_DEP_1)
	v_and_b32_e32 v2, 0xff, v2
	v_cmp_ne_u32_e32 vcc_lo, 0, v2
	s_and_b32 s28, vcc_lo, exec_lo
	s_delay_alu instid0(SALU_CYCLE_1)
	s_or_b32 s26, s26, s28
	s_or_b32 exec_lo, exec_lo, s27
	v_mov_b32_e32 v4, 0
	s_and_saveexec_b32 s27, s26
	s_cbranch_execnz .LBB6_190
	s_branch .LBB6_191
.LBB6_520:
	s_mov_b32 s24, -1
	s_mov_b32 s26, 0
.LBB6_521:
                                        ; implicit-def: $vgpr4
.LBB6_522:
	s_and_b32 vcc_lo, exec_lo, s27
	s_cbranch_vccz .LBB6_526
; %bb.523:
	s_cmp_eq_u32 s23, 44
	s_cbranch_scc0 .LBB6_525
; %bb.524:
	s_wait_loadcnt 0x0
	global_load_u8 v1, v[2:3], off
	s_mov_b32 s24, 0
	s_mov_b32 s26, -1
	s_wait_loadcnt 0x0
	v_lshlrev_b32_e32 v4, 23, v1
	v_cmp_ne_u32_e32 vcc_lo, 0, v1
	s_delay_alu instid0(VALU_DEP_2) | instskip(NEXT) | instid1(VALU_DEP_1)
	v_trunc_f32_e32 v4, v4
	v_mul_f32_e64 v5, 0x2f800000, |v4|
	s_delay_alu instid0(VALU_DEP_1) | instskip(NEXT) | instid1(VALU_DEP_1)
	v_floor_f32_e32 v5, v5
	v_fma_f32 v5, 0xcf800000, v5, |v4|
	v_ashrrev_i32_e32 v4, 31, v4
	s_delay_alu instid0(VALU_DEP_2) | instskip(NEXT) | instid1(VALU_DEP_1)
	v_cvt_u32_f32_e32 v5, v5
	v_xor_b32_e32 v5, v5, v4
	s_delay_alu instid0(VALU_DEP_1) | instskip(NEXT) | instid1(VALU_DEP_1)
	v_sub_nc_u32_e32 v4, v5, v4
	v_cndmask_b32_e32 v4, 0, v4, vcc_lo
	s_branch .LBB6_526
.LBB6_525:
	s_mov_b32 s24, -1
                                        ; implicit-def: $vgpr4
.LBB6_526:
	s_mov_b32 s27, 0
.LBB6_527:
	s_delay_alu instid0(SALU_CYCLE_1)
	s_and_b32 vcc_lo, exec_lo, s27
	s_cbranch_vccz .LBB6_531
; %bb.528:
	s_cmp_eq_u32 s23, 29
	s_cbranch_scc0 .LBB6_530
; %bb.529:
	global_load_b64 v[4:5], v[2:3], off
	s_mov_b32 s26, -1
	s_mov_b32 s24, 0
	s_branch .LBB6_531
.LBB6_530:
	s_mov_b32 s24, -1
                                        ; implicit-def: $vgpr4
.LBB6_531:
	s_mov_b32 s27, 0
.LBB6_532:
	s_delay_alu instid0(SALU_CYCLE_1)
	s_and_b32 vcc_lo, exec_lo, s27
	s_cbranch_vccz .LBB6_548
; %bb.533:
	s_cmp_lt_i32 s23, 27
	s_cbranch_scc1 .LBB6_536
; %bb.534:
	s_cmp_gt_i32 s23, 27
	s_cbranch_scc0 .LBB6_537
; %bb.535:
	s_wait_loadcnt 0x0
	global_load_b32 v4, v[2:3], off
	s_mov_b32 s26, 0
	s_branch .LBB6_538
.LBB6_536:
	s_mov_b32 s26, -1
                                        ; implicit-def: $vgpr4
	s_branch .LBB6_541
.LBB6_537:
	s_mov_b32 s26, -1
                                        ; implicit-def: $vgpr4
.LBB6_538:
	s_delay_alu instid0(SALU_CYCLE_1)
	s_and_not1_b32 vcc_lo, exec_lo, s26
	s_cbranch_vccnz .LBB6_540
; %bb.539:
	s_wait_loadcnt 0x0
	global_load_u16 v4, v[2:3], off
.LBB6_540:
	s_mov_b32 s26, 0
.LBB6_541:
	s_delay_alu instid0(SALU_CYCLE_1)
	s_and_not1_b32 vcc_lo, exec_lo, s26
	s_cbranch_vccnz .LBB6_547
; %bb.542:
	s_wait_loadcnt 0x0
	global_load_u8 v1, v[2:3], off
	s_mov_b32 s27, 0
	s_mov_b32 s26, exec_lo
	s_wait_loadcnt 0x0
	v_cmpx_lt_i16_e32 0x7f, v1
	s_xor_b32 s26, exec_lo, s26
	s_cbranch_execz .LBB6_559
; %bb.543:
	v_cmp_ne_u16_e32 vcc_lo, 0x80, v1
	s_and_b32 s27, vcc_lo, exec_lo
	s_and_not1_saveexec_b32 s26, s26
	s_cbranch_execnz .LBB6_560
.LBB6_544:
	s_or_b32 exec_lo, exec_lo, s26
	v_mov_b32_e32 v4, 0
	s_and_saveexec_b32 s26, s27
	s_cbranch_execz .LBB6_546
.LBB6_545:
	v_and_b32_e32 v4, 0xffff, v1
	s_delay_alu instid0(VALU_DEP_1) | instskip(SKIP_1) | instid1(VALU_DEP_2)
	v_and_b32_e32 v5, 7, v4
	v_bfe_u32 v8, v4, 3, 4
	v_clz_i32_u32_e32 v6, v5
	s_delay_alu instid0(VALU_DEP_2) | instskip(NEXT) | instid1(VALU_DEP_2)
	v_cmp_eq_u32_e32 vcc_lo, 0, v8
	v_min_u32_e32 v6, 32, v6
	s_delay_alu instid0(VALU_DEP_1) | instskip(NEXT) | instid1(VALU_DEP_1)
	v_subrev_nc_u32_e32 v7, 28, v6
	v_dual_lshlrev_b32 v4, v7, v4 :: v_dual_sub_nc_u32 v6, 29, v6
	s_delay_alu instid0(VALU_DEP_1) | instskip(NEXT) | instid1(VALU_DEP_1)
	v_dual_lshlrev_b32 v1, 24, v1 :: v_dual_bitop2_b32 v4, 7, v4 bitop3:0x40
	v_dual_cndmask_b32 v6, v8, v6, vcc_lo :: v_dual_cndmask_b32 v4, v5, v4, vcc_lo
	s_delay_alu instid0(VALU_DEP_2) | instskip(NEXT) | instid1(VALU_DEP_2)
	v_and_b32_e32 v1, 0x80000000, v1
	v_lshl_add_u32 v5, v6, 23, 0x3b800000
	s_delay_alu instid0(VALU_DEP_3) | instskip(NEXT) | instid1(VALU_DEP_1)
	v_lshlrev_b32_e32 v4, 20, v4
	v_or3_b32 v1, v1, v5, v4
	s_delay_alu instid0(VALU_DEP_1) | instskip(NEXT) | instid1(VALU_DEP_1)
	v_trunc_f32_e32 v1, v1
	v_mul_f32_e64 v4, 0x2f800000, |v1|
	s_delay_alu instid0(VALU_DEP_1) | instskip(NEXT) | instid1(VALU_DEP_1)
	v_floor_f32_e32 v4, v4
	v_fma_f32 v4, 0xcf800000, v4, |v1|
	v_ashrrev_i32_e32 v1, 31, v1
	s_delay_alu instid0(VALU_DEP_2) | instskip(NEXT) | instid1(VALU_DEP_1)
	v_cvt_u32_f32_e32 v4, v4
	v_xor_b32_e32 v4, v4, v1
	s_delay_alu instid0(VALU_DEP_1)
	v_sub_nc_u32_e32 v4, v4, v1
.LBB6_546:
	s_or_b32 exec_lo, exec_lo, s26
.LBB6_547:
	s_mov_b32 s26, -1
.LBB6_548:
	s_mov_b32 s27, 0
.LBB6_549:
	s_delay_alu instid0(SALU_CYCLE_1)
	s_and_b32 vcc_lo, exec_lo, s27
	s_cbranch_vccz .LBB6_582
; %bb.550:
	s_cmp_gt_i32 s23, 22
	s_cbranch_scc0 .LBB6_558
; %bb.551:
	s_cmp_lt_i32 s23, 24
	s_cbranch_scc1 .LBB6_561
; %bb.552:
	s_cmp_gt_i32 s23, 24
	s_cbranch_scc0 .LBB6_562
; %bb.553:
	s_wait_loadcnt 0x0
	global_load_u8 v1, v[2:3], off
	s_mov_b32 s27, 0
	s_mov_b32 s26, exec_lo
	s_wait_loadcnt 0x0
	v_cmpx_lt_i16_e32 0x7f, v1
	s_xor_b32 s26, exec_lo, s26
	s_cbranch_execz .LBB6_574
; %bb.554:
	v_cmp_ne_u16_e32 vcc_lo, 0x80, v1
	s_and_b32 s27, vcc_lo, exec_lo
	s_and_not1_saveexec_b32 s26, s26
	s_cbranch_execnz .LBB6_575
.LBB6_555:
	s_or_b32 exec_lo, exec_lo, s26
	v_mov_b32_e32 v4, 0
	s_and_saveexec_b32 s26, s27
	s_cbranch_execz .LBB6_557
.LBB6_556:
	v_and_b32_e32 v4, 0xffff, v1
	s_delay_alu instid0(VALU_DEP_1) | instskip(SKIP_1) | instid1(VALU_DEP_2)
	v_and_b32_e32 v5, 3, v4
	v_bfe_u32 v8, v4, 2, 5
	v_clz_i32_u32_e32 v6, v5
	s_delay_alu instid0(VALU_DEP_2) | instskip(NEXT) | instid1(VALU_DEP_2)
	v_cmp_eq_u32_e32 vcc_lo, 0, v8
	v_min_u32_e32 v6, 32, v6
	s_delay_alu instid0(VALU_DEP_1) | instskip(NEXT) | instid1(VALU_DEP_1)
	v_subrev_nc_u32_e32 v7, 29, v6
	v_dual_lshlrev_b32 v4, v7, v4 :: v_dual_sub_nc_u32 v6, 30, v6
	s_delay_alu instid0(VALU_DEP_1) | instskip(NEXT) | instid1(VALU_DEP_1)
	v_dual_lshlrev_b32 v1, 24, v1 :: v_dual_bitop2_b32 v4, 3, v4 bitop3:0x40
	v_dual_cndmask_b32 v6, v8, v6, vcc_lo :: v_dual_cndmask_b32 v4, v5, v4, vcc_lo
	s_delay_alu instid0(VALU_DEP_2) | instskip(NEXT) | instid1(VALU_DEP_2)
	v_and_b32_e32 v1, 0x80000000, v1
	v_lshl_add_u32 v5, v6, 23, 0x37800000
	s_delay_alu instid0(VALU_DEP_3) | instskip(NEXT) | instid1(VALU_DEP_1)
	v_lshlrev_b32_e32 v4, 21, v4
	v_or3_b32 v1, v1, v5, v4
	s_delay_alu instid0(VALU_DEP_1) | instskip(NEXT) | instid1(VALU_DEP_1)
	v_trunc_f32_e32 v1, v1
	v_mul_f32_e64 v4, 0x2f800000, |v1|
	s_delay_alu instid0(VALU_DEP_1) | instskip(NEXT) | instid1(VALU_DEP_1)
	v_floor_f32_e32 v4, v4
	v_fma_f32 v4, 0xcf800000, v4, |v1|
	v_ashrrev_i32_e32 v1, 31, v1
	s_delay_alu instid0(VALU_DEP_2) | instskip(NEXT) | instid1(VALU_DEP_1)
	v_cvt_u32_f32_e32 v4, v4
	v_xor_b32_e32 v4, v4, v1
	s_delay_alu instid0(VALU_DEP_1)
	v_sub_nc_u32_e32 v4, v4, v1
.LBB6_557:
	s_or_b32 exec_lo, exec_lo, s26
	s_mov_b32 s26, 0
	s_branch .LBB6_563
.LBB6_558:
	s_mov_b32 s27, -1
                                        ; implicit-def: $vgpr4
	s_branch .LBB6_569
.LBB6_559:
	s_and_not1_saveexec_b32 s26, s26
	s_cbranch_execz .LBB6_544
.LBB6_560:
	v_cmp_ne_u16_e32 vcc_lo, 0, v1
	s_and_not1_b32 s27, s27, exec_lo
	s_and_b32 s28, vcc_lo, exec_lo
	s_delay_alu instid0(SALU_CYCLE_1)
	s_or_b32 s27, s27, s28
	s_or_b32 exec_lo, exec_lo, s26
	v_mov_b32_e32 v4, 0
	s_and_saveexec_b32 s26, s27
	s_cbranch_execnz .LBB6_545
	s_branch .LBB6_546
.LBB6_561:
	s_mov_b32 s26, -1
                                        ; implicit-def: $vgpr4
	s_branch .LBB6_566
.LBB6_562:
	s_mov_b32 s26, -1
                                        ; implicit-def: $vgpr4
.LBB6_563:
	s_delay_alu instid0(SALU_CYCLE_1)
	s_and_b32 vcc_lo, exec_lo, s26
	s_cbranch_vccz .LBB6_565
; %bb.564:
	s_wait_loadcnt 0x0
	global_load_u8 v1, v[2:3], off
	s_wait_loadcnt 0x0
	v_lshlrev_b32_e32 v1, 24, v1
	s_delay_alu instid0(VALU_DEP_1) | instskip(NEXT) | instid1(VALU_DEP_1)
	v_and_b32_e32 v4, 0x7f000000, v1
	v_clz_i32_u32_e32 v5, v4
	v_cmp_ne_u32_e32 vcc_lo, 0, v4
	v_add_nc_u32_e32 v7, 0x1000000, v4
	s_delay_alu instid0(VALU_DEP_3) | instskip(NEXT) | instid1(VALU_DEP_1)
	v_min_u32_e32 v5, 32, v5
	v_sub_nc_u32_e64 v5, v5, 4 clamp
	s_delay_alu instid0(VALU_DEP_1) | instskip(NEXT) | instid1(VALU_DEP_1)
	v_dual_lshlrev_b32 v6, v5, v4 :: v_dual_lshlrev_b32 v5, 23, v5
	v_lshrrev_b32_e32 v6, 4, v6
	s_delay_alu instid0(VALU_DEP_1) | instskip(NEXT) | instid1(VALU_DEP_1)
	v_dual_sub_nc_u32 v5, v6, v5 :: v_dual_ashrrev_i32 v6, 8, v7
	v_add_nc_u32_e32 v5, 0x3c000000, v5
	s_delay_alu instid0(VALU_DEP_1) | instskip(NEXT) | instid1(VALU_DEP_1)
	v_and_or_b32 v5, 0x7f800000, v6, v5
	v_cndmask_b32_e32 v4, 0, v5, vcc_lo
	s_delay_alu instid0(VALU_DEP_1) | instskip(NEXT) | instid1(VALU_DEP_1)
	v_and_or_b32 v1, 0x80000000, v1, v4
	v_trunc_f32_e32 v1, v1
	s_delay_alu instid0(VALU_DEP_1) | instskip(NEXT) | instid1(VALU_DEP_1)
	v_mul_f32_e64 v4, 0x2f800000, |v1|
	v_floor_f32_e32 v4, v4
	s_delay_alu instid0(VALU_DEP_1) | instskip(SKIP_1) | instid1(VALU_DEP_2)
	v_fma_f32 v4, 0xcf800000, v4, |v1|
	v_ashrrev_i32_e32 v1, 31, v1
	v_cvt_u32_f32_e32 v4, v4
	s_delay_alu instid0(VALU_DEP_1) | instskip(NEXT) | instid1(VALU_DEP_1)
	v_xor_b32_e32 v4, v4, v1
	v_sub_nc_u32_e32 v4, v4, v1
.LBB6_565:
	s_mov_b32 s26, 0
.LBB6_566:
	s_delay_alu instid0(SALU_CYCLE_1)
	s_and_not1_b32 vcc_lo, exec_lo, s26
	s_cbranch_vccnz .LBB6_568
; %bb.567:
	s_wait_loadcnt 0x0
	global_load_u8 v1, v[2:3], off
	s_wait_loadcnt 0x0
	v_lshlrev_b32_e32 v4, 25, v1
	v_lshlrev_b16 v1, 8, v1
	s_delay_alu instid0(VALU_DEP_1) | instskip(SKIP_1) | instid1(VALU_DEP_2)
	v_and_or_b32 v6, 0x7f00, v1, 0.5
	v_bfe_i32 v1, v1, 0, 16
	v_dual_add_f32 v6, -0.5, v6 :: v_dual_lshrrev_b32 v5, 4, v4
	v_cmp_gt_u32_e32 vcc_lo, 0x8000000, v4
	s_delay_alu instid0(VALU_DEP_2) | instskip(NEXT) | instid1(VALU_DEP_1)
	v_or_b32_e32 v5, 0x70000000, v5
	v_mul_f32_e32 v5, 0x7800000, v5
	s_delay_alu instid0(VALU_DEP_1) | instskip(NEXT) | instid1(VALU_DEP_1)
	v_cndmask_b32_e32 v4, v5, v6, vcc_lo
	v_and_or_b32 v1, 0x80000000, v1, v4
	s_delay_alu instid0(VALU_DEP_1) | instskip(NEXT) | instid1(VALU_DEP_1)
	v_trunc_f32_e32 v1, v1
	v_mul_f32_e64 v4, 0x2f800000, |v1|
	s_delay_alu instid0(VALU_DEP_1) | instskip(NEXT) | instid1(VALU_DEP_1)
	v_floor_f32_e32 v4, v4
	v_fma_f32 v4, 0xcf800000, v4, |v1|
	v_ashrrev_i32_e32 v1, 31, v1
	s_delay_alu instid0(VALU_DEP_2) | instskip(NEXT) | instid1(VALU_DEP_1)
	v_cvt_u32_f32_e32 v4, v4
	v_xor_b32_e32 v4, v4, v1
	s_delay_alu instid0(VALU_DEP_1)
	v_sub_nc_u32_e32 v4, v4, v1
.LBB6_568:
	s_mov_b32 s27, 0
	s_mov_b32 s26, -1
.LBB6_569:
	s_and_not1_b32 vcc_lo, exec_lo, s27
	s_cbranch_vccnz .LBB6_582
; %bb.570:
	s_cmp_gt_i32 s23, 14
	s_cbranch_scc0 .LBB6_573
; %bb.571:
	s_cmp_eq_u32 s23, 15
	s_cbranch_scc0 .LBB6_576
; %bb.572:
	s_wait_loadcnt 0x0
	global_load_u16 v1, v[2:3], off
	s_mov_b32 s26, -1
	s_mov_b32 s24, 0
	s_wait_loadcnt 0x0
	v_lshlrev_b32_e32 v1, 16, v1
	s_delay_alu instid0(VALU_DEP_1) | instskip(NEXT) | instid1(VALU_DEP_1)
	v_trunc_f32_e32 v1, v1
	v_mul_f32_e64 v4, 0x2f800000, |v1|
	s_delay_alu instid0(VALU_DEP_1) | instskip(NEXT) | instid1(VALU_DEP_1)
	v_floor_f32_e32 v4, v4
	v_fma_f32 v4, 0xcf800000, v4, |v1|
	v_ashrrev_i32_e32 v1, 31, v1
	s_delay_alu instid0(VALU_DEP_2) | instskip(NEXT) | instid1(VALU_DEP_1)
	v_cvt_u32_f32_e32 v4, v4
	v_xor_b32_e32 v4, v4, v1
	s_delay_alu instid0(VALU_DEP_1)
	v_sub_nc_u32_e32 v4, v4, v1
	s_branch .LBB6_577
.LBB6_573:
	s_mov_b32 s27, -1
                                        ; implicit-def: $vgpr4
	s_branch .LBB6_578
.LBB6_574:
	s_and_not1_saveexec_b32 s26, s26
	s_cbranch_execz .LBB6_555
.LBB6_575:
	v_cmp_ne_u16_e32 vcc_lo, 0, v1
	s_and_not1_b32 s27, s27, exec_lo
	s_and_b32 s28, vcc_lo, exec_lo
	s_delay_alu instid0(SALU_CYCLE_1)
	s_or_b32 s27, s27, s28
	s_or_b32 exec_lo, exec_lo, s26
	v_mov_b32_e32 v4, 0
	s_and_saveexec_b32 s26, s27
	s_cbranch_execnz .LBB6_556
	s_branch .LBB6_557
.LBB6_576:
	s_mov_b32 s24, -1
                                        ; implicit-def: $vgpr4
.LBB6_577:
	s_mov_b32 s27, 0
.LBB6_578:
	s_delay_alu instid0(SALU_CYCLE_1)
	s_and_b32 vcc_lo, exec_lo, s27
	s_cbranch_vccz .LBB6_582
; %bb.579:
	s_cmp_eq_u32 s23, 11
	s_cbranch_scc0 .LBB6_581
; %bb.580:
	s_wait_loadcnt 0x0
	global_load_u8 v1, v[2:3], off
	s_mov_b32 s24, 0
	s_mov_b32 s26, -1
	s_wait_loadcnt 0x0
	v_cmp_ne_u16_e32 vcc_lo, 0, v1
	v_cndmask_b32_e64 v4, 0, 1, vcc_lo
	s_branch .LBB6_582
.LBB6_581:
	s_mov_b32 s24, -1
                                        ; implicit-def: $vgpr4
.LBB6_582:
	s_mov_b32 s23, 0
.LBB6_583:
	s_delay_alu instid0(SALU_CYCLE_1)
	s_and_b32 vcc_lo, exec_lo, s23
	s_cbranch_vccz .LBB6_632
; %bb.584:
	s_and_b32 s0, 0xffff, s0
	s_delay_alu instid0(SALU_CYCLE_1)
	s_cmp_lt_i32 s0, 5
	s_cbranch_scc1 .LBB6_589
; %bb.585:
	s_cmp_lt_i32 s0, 8
	s_cbranch_scc1 .LBB6_590
; %bb.586:
	s_cmp_lt_i32 s0, 9
	s_cbranch_scc1 .LBB6_591
; %bb.587:
	s_cmp_gt_i32 s0, 9
	s_cbranch_scc0 .LBB6_592
; %bb.588:
	s_wait_loadcnt 0x0
	global_load_b64 v[4:5], v[2:3], off
	s_mov_b32 s23, 0
	s_wait_loadcnt 0x0
	v_trunc_f64_e32 v[4:5], v[4:5]
	s_delay_alu instid0(VALU_DEP_1) | instskip(NEXT) | instid1(VALU_DEP_1)
	v_ldexp_f64 v[6:7], v[4:5], 0xffffffe0
	v_floor_f64_e32 v[6:7], v[6:7]
	s_delay_alu instid0(VALU_DEP_1) | instskip(NEXT) | instid1(VALU_DEP_1)
	v_fmamk_f64 v[4:5], v[6:7], 0xc1f00000, v[4:5]
	v_cvt_u32_f64_e32 v4, v[4:5]
	s_branch .LBB6_593
.LBB6_589:
	s_mov_b32 s23, -1
                                        ; implicit-def: $vgpr4
	s_branch .LBB6_611
.LBB6_590:
	s_mov_b32 s23, -1
                                        ; implicit-def: $vgpr4
	s_branch .LBB6_599
.LBB6_591:
	s_mov_b32 s23, -1
                                        ; implicit-def: $vgpr4
	s_branch .LBB6_596
.LBB6_592:
	s_mov_b32 s23, -1
                                        ; implicit-def: $vgpr4
.LBB6_593:
	s_delay_alu instid0(SALU_CYCLE_1)
	s_and_not1_b32 vcc_lo, exec_lo, s23
	s_cbranch_vccnz .LBB6_595
; %bb.594:
	s_wait_loadcnt 0x0
	global_load_b32 v1, v[2:3], off
	s_wait_loadcnt 0x0
	v_trunc_f32_e32 v1, v1
	s_delay_alu instid0(VALU_DEP_1) | instskip(NEXT) | instid1(VALU_DEP_1)
	v_mul_f32_e64 v4, 0x2f800000, |v1|
	v_floor_f32_e32 v4, v4
	s_delay_alu instid0(VALU_DEP_1) | instskip(SKIP_1) | instid1(VALU_DEP_2)
	v_fma_f32 v4, 0xcf800000, v4, |v1|
	v_ashrrev_i32_e32 v1, 31, v1
	v_cvt_u32_f32_e32 v4, v4
	s_delay_alu instid0(VALU_DEP_1) | instskip(NEXT) | instid1(VALU_DEP_1)
	v_xor_b32_e32 v4, v4, v1
	v_sub_nc_u32_e32 v4, v4, v1
.LBB6_595:
	s_mov_b32 s23, 0
.LBB6_596:
	s_delay_alu instid0(SALU_CYCLE_1)
	s_and_not1_b32 vcc_lo, exec_lo, s23
	s_cbranch_vccnz .LBB6_598
; %bb.597:
	s_wait_loadcnt 0x0
	global_load_b32 v1, v[2:3], off
	s_wait_loadcnt 0x0
	v_cvt_f32_f16_e32 v1, v1
	s_delay_alu instid0(VALU_DEP_1)
	v_cvt_i32_f32_e32 v4, v1
.LBB6_598:
	s_mov_b32 s23, 0
.LBB6_599:
	s_delay_alu instid0(SALU_CYCLE_1)
	s_and_not1_b32 vcc_lo, exec_lo, s23
	s_cbranch_vccnz .LBB6_610
; %bb.600:
	s_cmp_lt_i32 s0, 6
	s_cbranch_scc1 .LBB6_603
; %bb.601:
	s_cmp_gt_i32 s0, 6
	s_cbranch_scc0 .LBB6_604
; %bb.602:
	s_wait_loadcnt 0x0
	global_load_b64 v[4:5], v[2:3], off
	s_mov_b32 s23, 0
	s_wait_loadcnt 0x0
	v_trunc_f64_e32 v[4:5], v[4:5]
	s_delay_alu instid0(VALU_DEP_1) | instskip(NEXT) | instid1(VALU_DEP_1)
	v_ldexp_f64 v[6:7], v[4:5], 0xffffffe0
	v_floor_f64_e32 v[6:7], v[6:7]
	s_delay_alu instid0(VALU_DEP_1) | instskip(NEXT) | instid1(VALU_DEP_1)
	v_fmamk_f64 v[4:5], v[6:7], 0xc1f00000, v[4:5]
	v_cvt_u32_f64_e32 v4, v[4:5]
	s_branch .LBB6_605
.LBB6_603:
	s_mov_b32 s23, -1
                                        ; implicit-def: $vgpr4
	s_branch .LBB6_608
.LBB6_604:
	s_mov_b32 s23, -1
                                        ; implicit-def: $vgpr4
.LBB6_605:
	s_delay_alu instid0(SALU_CYCLE_1)
	s_and_not1_b32 vcc_lo, exec_lo, s23
	s_cbranch_vccnz .LBB6_607
; %bb.606:
	s_wait_loadcnt 0x0
	global_load_b32 v1, v[2:3], off
	s_wait_loadcnt 0x0
	v_trunc_f32_e32 v1, v1
	s_delay_alu instid0(VALU_DEP_1) | instskip(NEXT) | instid1(VALU_DEP_1)
	v_mul_f32_e64 v4, 0x2f800000, |v1|
	v_floor_f32_e32 v4, v4
	s_delay_alu instid0(VALU_DEP_1) | instskip(SKIP_1) | instid1(VALU_DEP_2)
	v_fma_f32 v4, 0xcf800000, v4, |v1|
	v_ashrrev_i32_e32 v1, 31, v1
	v_cvt_u32_f32_e32 v4, v4
	s_delay_alu instid0(VALU_DEP_1) | instskip(NEXT) | instid1(VALU_DEP_1)
	v_xor_b32_e32 v4, v4, v1
	v_sub_nc_u32_e32 v4, v4, v1
.LBB6_607:
	s_mov_b32 s23, 0
.LBB6_608:
	s_delay_alu instid0(SALU_CYCLE_1)
	s_and_not1_b32 vcc_lo, exec_lo, s23
	s_cbranch_vccnz .LBB6_610
; %bb.609:
	s_wait_loadcnt 0x0
	global_load_u16 v1, v[2:3], off
	s_wait_loadcnt 0x0
	v_cvt_f32_f16_e32 v1, v1
	s_delay_alu instid0(VALU_DEP_1)
	v_cvt_i32_f32_e32 v4, v1
.LBB6_610:
	s_mov_b32 s23, 0
.LBB6_611:
	s_delay_alu instid0(SALU_CYCLE_1)
	s_and_not1_b32 vcc_lo, exec_lo, s23
	s_cbranch_vccnz .LBB6_631
; %bb.612:
	s_cmp_lt_i32 s0, 2
	s_cbranch_scc1 .LBB6_616
; %bb.613:
	s_cmp_lt_i32 s0, 3
	s_cbranch_scc1 .LBB6_617
; %bb.614:
	s_cmp_gt_i32 s0, 3
	s_cbranch_scc0 .LBB6_618
; %bb.615:
	s_wait_loadcnt 0x0
	global_load_b64 v[4:5], v[2:3], off
	s_mov_b32 s23, 0
	s_branch .LBB6_619
.LBB6_616:
	s_mov_b32 s23, -1
                                        ; implicit-def: $vgpr4
	s_branch .LBB6_625
.LBB6_617:
	s_mov_b32 s23, -1
                                        ; implicit-def: $vgpr4
	s_branch .LBB6_622
.LBB6_618:
	s_mov_b32 s23, -1
                                        ; implicit-def: $vgpr4
.LBB6_619:
	s_delay_alu instid0(SALU_CYCLE_1)
	s_and_not1_b32 vcc_lo, exec_lo, s23
	s_cbranch_vccnz .LBB6_621
; %bb.620:
	s_wait_loadcnt 0x0
	global_load_b32 v4, v[2:3], off
.LBB6_621:
	s_mov_b32 s23, 0
.LBB6_622:
	s_delay_alu instid0(SALU_CYCLE_1)
	s_and_not1_b32 vcc_lo, exec_lo, s23
	s_cbranch_vccnz .LBB6_624
; %bb.623:
	s_wait_loadcnt 0x0
	global_load_u16 v4, v[2:3], off
.LBB6_624:
	s_mov_b32 s23, 0
.LBB6_625:
	s_delay_alu instid0(SALU_CYCLE_1)
	s_and_not1_b32 vcc_lo, exec_lo, s23
	s_cbranch_vccnz .LBB6_631
; %bb.626:
	s_cmp_gt_i32 s0, 0
	s_mov_b32 s0, 0
	s_cbranch_scc0 .LBB6_628
; %bb.627:
	s_wait_loadcnt 0x0
	global_load_u8 v4, v[2:3], off
	s_branch .LBB6_629
.LBB6_628:
	s_mov_b32 s0, -1
                                        ; implicit-def: $vgpr4
.LBB6_629:
	s_delay_alu instid0(SALU_CYCLE_1)
	s_and_not1_b32 vcc_lo, exec_lo, s0
	s_cbranch_vccnz .LBB6_631
; %bb.630:
	s_wait_loadcnt 0x0
	global_load_u8 v4, v[2:3], off
.LBB6_631:
	s_mov_b32 s26, -1
.LBB6_632:
	s_delay_alu instid0(SALU_CYCLE_1)
	s_and_not1_b32 vcc_lo, exec_lo, s26
	s_cbranch_vccnz .LBB6_640
; %bb.633:
	s_wait_xcnt 0x0
	v_mul_lo_u32 v2, v18, s8
	s_wait_loadcnt 0x0
	s_delay_alu instid0(VALU_DEP_2) | instskip(SKIP_2) | instid1(VALU_DEP_1)
	v_and_b32_e32 v1, 0xff, v4
	v_and_b32_e32 v0, 0xff, v0
	s_and_b32 s26, s12, 0xff
	v_cmp_ne_u16_e32 vcc_lo, v0, v1
	s_delay_alu instid0(VALU_DEP_4) | instskip(SKIP_2) | instid1(VALU_DEP_1)
	v_ashrrev_i32_e32 v3, 31, v2
	s_xor_b32 s23, s16, vcc_lo
	s_cmp_lt_i32 s26, 11
	v_add_nc_u64_e32 v[0:1], s[4:5], v[2:3]
	s_cbranch_scc1 .LBB6_641
; %bb.634:
	s_and_b32 s27, 0xffff, s26
	s_delay_alu instid0(SALU_CYCLE_1)
	s_cmp_gt_i32 s27, 25
	s_cbranch_scc0 .LBB6_642
; %bb.635:
	s_cmp_gt_i32 s27, 28
	s_cbranch_scc0 .LBB6_643
; %bb.636:
	;; [unrolled: 3-line block ×4, first 2 shown]
	s_mov_b32 s29, 0
	s_mov_b32 s0, -1
	s_cmp_eq_u32 s27, 46
	s_mov_b32 s28, 0
	s_cbranch_scc0 .LBB6_646
; %bb.639:
	v_cndmask_b32_e64 v2, 0, 1.0, s23
	s_mov_b32 s28, -1
	s_mov_b32 s0, 0
	s_delay_alu instid0(VALU_DEP_1) | instskip(NEXT) | instid1(VALU_DEP_1)
	v_bfe_u32 v3, v2, 16, 1
	v_add3_u32 v2, v2, v3, 0x7fff
	s_delay_alu instid0(VALU_DEP_1)
	v_lshrrev_b32_e32 v2, 16, v2
	global_store_b32 v[0:1], v2, off
	s_branch .LBB6_646
.LBB6_640:
	s_mov_b32 s26, 0
	s_mov_b32 s0, s18
	s_branch .LBB6_757
.LBB6_641:
	s_mov_b32 s27, -1
	s_mov_b32 s28, 0
	s_mov_b32 s0, s18
	s_branch .LBB6_715
.LBB6_642:
	s_mov_b32 s29, -1
	s_mov_b32 s28, 0
	s_mov_b32 s0, s18
	s_branch .LBB6_673
.LBB6_643:
	s_mov_b32 s29, -1
	s_mov_b32 s28, 0
	s_mov_b32 s0, s18
	s_branch .LBB6_656
.LBB6_644:
	s_mov_b32 s29, -1
	s_mov_b32 s28, 0
	s_mov_b32 s0, s18
	s_branch .LBB6_652
.LBB6_645:
	s_mov_b32 s29, -1
	s_mov_b32 s28, 0
	s_mov_b32 s0, s18
.LBB6_646:
	s_and_b32 vcc_lo, exec_lo, s29
	s_cbranch_vccz .LBB6_651
; %bb.647:
	s_cmp_eq_u32 s27, 44
	s_mov_b32 s0, -1
	s_cbranch_scc0 .LBB6_651
; %bb.648:
	v_cndmask_b32_e64 v4, 0, 1.0, s23
	s_mov_b32 s28, exec_lo
	s_wait_xcnt 0x0
	s_delay_alu instid0(VALU_DEP_1) | instskip(NEXT) | instid1(VALU_DEP_1)
	v_dual_mov_b32 v3, 0xff :: v_dual_lshrrev_b32 v2, 23, v4
	v_cmpx_ne_u32_e32 0xff, v2
; %bb.649:
	v_and_b32_e32 v3, 0x400000, v4
	v_and_or_b32 v4, 0x3fffff, v4, v2
	s_delay_alu instid0(VALU_DEP_2) | instskip(NEXT) | instid1(VALU_DEP_2)
	v_cmp_ne_u32_e32 vcc_lo, 0, v3
	v_cmp_ne_u32_e64 s0, 0, v4
	s_and_b32 s0, vcc_lo, s0
	s_delay_alu instid0(SALU_CYCLE_1) | instskip(NEXT) | instid1(VALU_DEP_1)
	v_cndmask_b32_e64 v3, 0, 1, s0
	v_add_nc_u32_e32 v3, v2, v3
; %bb.650:
	s_or_b32 exec_lo, exec_lo, s28
	s_mov_b32 s28, -1
	s_mov_b32 s0, 0
	global_store_b8 v[0:1], v3, off
.LBB6_651:
	s_mov_b32 s29, 0
.LBB6_652:
	s_delay_alu instid0(SALU_CYCLE_1)
	s_and_b32 vcc_lo, exec_lo, s29
	s_cbranch_vccz .LBB6_655
; %bb.653:
	s_cmp_eq_u32 s27, 29
	s_mov_b32 s0, -1
	s_cbranch_scc0 .LBB6_655
; %bb.654:
	s_mov_b32 s0, 0
	s_wait_xcnt 0x0
	v_cndmask_b32_e64 v2, 0, 1, s23
	v_mov_b32_e32 v3, s0
	s_mov_b32 s28, -1
	s_mov_b32 s29, 0
	global_store_b64 v[0:1], v[2:3], off
	s_branch .LBB6_656
.LBB6_655:
	s_mov_b32 s29, 0
.LBB6_656:
	s_delay_alu instid0(SALU_CYCLE_1)
	s_and_b32 vcc_lo, exec_lo, s29
	s_cbranch_vccz .LBB6_672
; %bb.657:
	s_cmp_lt_i32 s27, 27
	s_mov_b32 s28, -1
	s_cbranch_scc1 .LBB6_663
; %bb.658:
	s_cmp_gt_i32 s27, 27
	s_cbranch_scc0 .LBB6_660
; %bb.659:
	s_wait_xcnt 0x0
	v_cndmask_b32_e64 v2, 0, 1, s23
	s_mov_b32 s28, 0
	global_store_b32 v[0:1], v2, off
.LBB6_660:
	s_and_not1_b32 vcc_lo, exec_lo, s28
	s_cbranch_vccnz .LBB6_662
; %bb.661:
	s_wait_xcnt 0x0
	v_cndmask_b32_e64 v2, 0, 1, s23
	global_store_b16 v[0:1], v2, off
.LBB6_662:
	s_mov_b32 s28, 0
.LBB6_663:
	s_delay_alu instid0(SALU_CYCLE_1)
	s_and_not1_b32 vcc_lo, exec_lo, s28
	s_cbranch_vccnz .LBB6_671
; %bb.664:
	s_wait_xcnt 0x0
	v_cndmask_b32_e64 v3, 0, 1.0, s23
	v_mov_b32_e32 v4, 0x80
	s_mov_b32 s28, exec_lo
	s_delay_alu instid0(VALU_DEP_2)
	v_cmpx_gt_u32_e32 0x43800000, v3
	s_cbranch_execz .LBB6_670
; %bb.665:
	s_mov_b32 s29, 0
	s_mov_b32 s30, exec_lo
                                        ; implicit-def: $vgpr2
	v_cmpx_lt_u32_e32 0x3bffffff, v3
	s_xor_b32 s30, exec_lo, s30
	s_cbranch_execz .LBB6_773
; %bb.666:
	v_bfe_u32 v2, v3, 20, 1
	s_mov_b32 s29, exec_lo
	s_delay_alu instid0(VALU_DEP_1) | instskip(NEXT) | instid1(VALU_DEP_1)
	v_add3_u32 v2, v3, v2, 0x487ffff
                                        ; implicit-def: $vgpr3
	v_lshrrev_b32_e32 v2, 20, v2
	s_and_not1_saveexec_b32 s30, s30
	s_cbranch_execnz .LBB6_774
.LBB6_667:
	s_or_b32 exec_lo, exec_lo, s30
	v_mov_b32_e32 v4, 0
	s_and_saveexec_b32 s30, s29
.LBB6_668:
	v_mov_b32_e32 v4, v2
.LBB6_669:
	s_or_b32 exec_lo, exec_lo, s30
.LBB6_670:
	s_delay_alu instid0(SALU_CYCLE_1)
	s_or_b32 exec_lo, exec_lo, s28
	global_store_b8 v[0:1], v4, off
.LBB6_671:
	s_mov_b32 s28, -1
.LBB6_672:
	s_mov_b32 s29, 0
.LBB6_673:
	s_delay_alu instid0(SALU_CYCLE_1)
	s_and_b32 vcc_lo, exec_lo, s29
	s_cbranch_vccz .LBB6_714
; %bb.674:
	s_cmp_gt_i32 s27, 22
	s_mov_b32 s29, -1
	s_cbranch_scc0 .LBB6_706
; %bb.675:
	s_cmp_lt_i32 s27, 24
	s_mov_b32 s28, -1
	s_cbranch_scc1 .LBB6_695
; %bb.676:
	s_cmp_gt_i32 s27, 24
	s_cbranch_scc0 .LBB6_684
; %bb.677:
	s_wait_xcnt 0x0
	v_cndmask_b32_e64 v3, 0, 1.0, s23
	v_mov_b32_e32 v4, 0x80
	s_mov_b32 s28, exec_lo
	s_delay_alu instid0(VALU_DEP_2)
	v_cmpx_gt_u32_e32 0x47800000, v3
	s_cbranch_execz .LBB6_683
; %bb.678:
	s_mov_b32 s29, 0
	s_mov_b32 s30, exec_lo
                                        ; implicit-def: $vgpr2
	v_cmpx_lt_u32_e32 0x37ffffff, v3
	s_xor_b32 s30, exec_lo, s30
	s_cbranch_execz .LBB6_901
; %bb.679:
	v_bfe_u32 v2, v3, 21, 1
	s_mov_b32 s29, exec_lo
	s_delay_alu instid0(VALU_DEP_1) | instskip(NEXT) | instid1(VALU_DEP_1)
	v_add3_u32 v2, v3, v2, 0x88fffff
                                        ; implicit-def: $vgpr3
	v_lshrrev_b32_e32 v2, 21, v2
	s_and_not1_saveexec_b32 s30, s30
	s_cbranch_execnz .LBB6_902
.LBB6_680:
	s_or_b32 exec_lo, exec_lo, s30
	v_mov_b32_e32 v4, 0
	s_and_saveexec_b32 s30, s29
.LBB6_681:
	v_mov_b32_e32 v4, v2
.LBB6_682:
	s_or_b32 exec_lo, exec_lo, s30
.LBB6_683:
	s_delay_alu instid0(SALU_CYCLE_1)
	s_or_b32 exec_lo, exec_lo, s28
	s_mov_b32 s28, 0
	global_store_b8 v[0:1], v4, off
.LBB6_684:
	s_and_b32 vcc_lo, exec_lo, s28
	s_cbranch_vccz .LBB6_694
; %bb.685:
	s_wait_xcnt 0x0
	v_cndmask_b32_e64 v3, 0, 1.0, s23
	s_mov_b32 s28, exec_lo
                                        ; implicit-def: $vgpr2
	s_delay_alu instid0(VALU_DEP_1)
	v_cmpx_gt_u32_e32 0x43f00000, v3
	s_xor_b32 s28, exec_lo, s28
	s_cbranch_execz .LBB6_691
; %bb.686:
	s_mov_b32 s29, exec_lo
                                        ; implicit-def: $vgpr2
	v_cmpx_lt_u32_e32 0x3c7fffff, v3
	s_xor_b32 s29, exec_lo, s29
; %bb.687:
	v_bfe_u32 v2, v3, 20, 1
	s_delay_alu instid0(VALU_DEP_1) | instskip(NEXT) | instid1(VALU_DEP_1)
	v_add3_u32 v2, v3, v2, 0x407ffff
	v_and_b32_e32 v3, 0xff00000, v2
	v_lshrrev_b32_e32 v2, 20, v2
	s_delay_alu instid0(VALU_DEP_2) | instskip(NEXT) | instid1(VALU_DEP_2)
	v_cmp_ne_u32_e32 vcc_lo, 0x7f00000, v3
                                        ; implicit-def: $vgpr3
	v_cndmask_b32_e32 v2, 0x7e, v2, vcc_lo
; %bb.688:
	s_and_not1_saveexec_b32 s29, s29
; %bb.689:
	v_add_f32_e32 v2, 0x46800000, v3
; %bb.690:
	s_or_b32 exec_lo, exec_lo, s29
                                        ; implicit-def: $vgpr3
.LBB6_691:
	s_and_not1_saveexec_b32 s28, s28
; %bb.692:
	v_mov_b32_e32 v2, 0x7f
	v_cmp_lt_u32_e32 vcc_lo, 0x7f800000, v3
	s_delay_alu instid0(VALU_DEP_2)
	v_cndmask_b32_e32 v2, 0x7e, v2, vcc_lo
; %bb.693:
	s_or_b32 exec_lo, exec_lo, s28
	global_store_b8 v[0:1], v2, off
.LBB6_694:
	s_mov_b32 s28, 0
.LBB6_695:
	s_delay_alu instid0(SALU_CYCLE_1)
	s_and_not1_b32 vcc_lo, exec_lo, s28
	s_cbranch_vccnz .LBB6_705
; %bb.696:
	s_wait_xcnt 0x0
	v_cndmask_b32_e64 v3, 0, 1.0, s23
	s_mov_b32 s28, exec_lo
                                        ; implicit-def: $vgpr2
	s_delay_alu instid0(VALU_DEP_1)
	v_cmpx_gt_u32_e32 0x47800000, v3
	s_xor_b32 s28, exec_lo, s28
	s_cbranch_execz .LBB6_702
; %bb.697:
	s_mov_b32 s29, exec_lo
                                        ; implicit-def: $vgpr2
	v_cmpx_lt_u32_e32 0x387fffff, v3
	s_xor_b32 s29, exec_lo, s29
; %bb.698:
	v_bfe_u32 v2, v3, 21, 1
	s_delay_alu instid0(VALU_DEP_1) | instskip(NEXT) | instid1(VALU_DEP_1)
	v_add3_u32 v2, v3, v2, 0x80fffff
                                        ; implicit-def: $vgpr3
	v_lshrrev_b32_e32 v2, 21, v2
; %bb.699:
	s_and_not1_saveexec_b32 s29, s29
; %bb.700:
	v_add_f32_e32 v2, 0x43000000, v3
; %bb.701:
	s_or_b32 exec_lo, exec_lo, s29
                                        ; implicit-def: $vgpr3
.LBB6_702:
	s_and_not1_saveexec_b32 s28, s28
; %bb.703:
	v_mov_b32_e32 v2, 0x7f
	v_cmp_lt_u32_e32 vcc_lo, 0x7f800000, v3
	s_delay_alu instid0(VALU_DEP_2)
	v_cndmask_b32_e32 v2, 0x7c, v2, vcc_lo
; %bb.704:
	s_or_b32 exec_lo, exec_lo, s28
	global_store_b8 v[0:1], v2, off
.LBB6_705:
	s_mov_b32 s29, 0
	s_mov_b32 s28, -1
.LBB6_706:
	s_and_not1_b32 vcc_lo, exec_lo, s29
	s_cbranch_vccnz .LBB6_714
; %bb.707:
	s_cmp_gt_i32 s27, 14
	s_mov_b32 s29, -1
	s_cbranch_scc0 .LBB6_711
; %bb.708:
	s_cmp_eq_u32 s27, 15
	s_mov_b32 s0, -1
	s_cbranch_scc0 .LBB6_710
; %bb.709:
	s_wait_xcnt 0x0
	v_cndmask_b32_e64 v2, 0, 1.0, s23
	s_mov_b32 s28, -1
	s_mov_b32 s0, 0
	s_delay_alu instid0(VALU_DEP_1) | instskip(NEXT) | instid1(VALU_DEP_1)
	v_bfe_u32 v3, v2, 16, 1
	v_add3_u32 v2, v2, v3, 0x7fff
	global_store_d16_hi_b16 v[0:1], v2, off
.LBB6_710:
	s_mov_b32 s29, 0
.LBB6_711:
	s_delay_alu instid0(SALU_CYCLE_1)
	s_and_b32 vcc_lo, exec_lo, s29
	s_cbranch_vccz .LBB6_714
; %bb.712:
	s_cmp_eq_u32 s27, 11
	s_mov_b32 s0, -1
	s_cbranch_scc0 .LBB6_714
; %bb.713:
	s_wait_xcnt 0x0
	v_cndmask_b32_e64 v2, 0, 1, s23
	s_mov_b32 s28, -1
	s_mov_b32 s0, 0
	global_store_b8 v[0:1], v2, off
.LBB6_714:
	s_mov_b32 s27, 0
.LBB6_715:
	s_delay_alu instid0(SALU_CYCLE_1)
	s_and_b32 vcc_lo, exec_lo, s27
	s_cbranch_vccz .LBB6_754
; %bb.716:
	s_and_b32 s26, 0xffff, s26
	s_mov_b32 s27, -1
	s_cmp_lt_i32 s26, 5
	s_cbranch_scc1 .LBB6_737
; %bb.717:
	s_cmp_lt_i32 s26, 8
	s_cbranch_scc1 .LBB6_727
; %bb.718:
	;; [unrolled: 3-line block ×3, first 2 shown]
	s_cmp_gt_i32 s26, 9
	s_cbranch_scc0 .LBB6_721
; %bb.720:
	s_wait_xcnt 0x0
	v_cndmask_b32_e64 v2, 0, 1, s23
	v_mov_b32_e32 v4, 0
	s_mov_b32 s27, 0
	s_delay_alu instid0(VALU_DEP_2) | instskip(NEXT) | instid1(VALU_DEP_2)
	v_cvt_f64_u32_e32 v[2:3], v2
	v_mov_b32_e32 v5, v4
	global_store_b128 v[0:1], v[2:5], off
.LBB6_721:
	s_and_not1_b32 vcc_lo, exec_lo, s27
	s_cbranch_vccnz .LBB6_723
; %bb.722:
	s_wait_xcnt 0x0
	v_cndmask_b32_e64 v2, 0, 1.0, s23
	v_mov_b32_e32 v3, 0
	global_store_b64 v[0:1], v[2:3], off
.LBB6_723:
	s_mov_b32 s27, 0
.LBB6_724:
	s_delay_alu instid0(SALU_CYCLE_1)
	s_and_not1_b32 vcc_lo, exec_lo, s27
	s_cbranch_vccnz .LBB6_726
; %bb.725:
	s_wait_xcnt 0x0
	v_cndmask_b32_e64 v2, 0, 1.0, s23
	s_delay_alu instid0(VALU_DEP_1) | instskip(NEXT) | instid1(VALU_DEP_1)
	v_cvt_f16_f32_e32 v2, v2
	v_and_b32_e32 v2, 0xffff, v2
	global_store_b32 v[0:1], v2, off
.LBB6_726:
	s_mov_b32 s27, 0
.LBB6_727:
	s_delay_alu instid0(SALU_CYCLE_1)
	s_and_not1_b32 vcc_lo, exec_lo, s27
	s_cbranch_vccnz .LBB6_736
; %bb.728:
	s_cmp_lt_i32 s26, 6
	s_mov_b32 s27, -1
	s_cbranch_scc1 .LBB6_734
; %bb.729:
	s_cmp_gt_i32 s26, 6
	s_cbranch_scc0 .LBB6_731
; %bb.730:
	s_wait_xcnt 0x0
	v_cndmask_b32_e64 v2, 0, 1, s23
	s_mov_b32 s27, 0
	s_delay_alu instid0(VALU_DEP_1)
	v_cvt_f64_u32_e32 v[2:3], v2
	global_store_b64 v[0:1], v[2:3], off
.LBB6_731:
	s_and_not1_b32 vcc_lo, exec_lo, s27
	s_cbranch_vccnz .LBB6_733
; %bb.732:
	s_wait_xcnt 0x0
	v_cndmask_b32_e64 v2, 0, 1.0, s23
	global_store_b32 v[0:1], v2, off
.LBB6_733:
	s_mov_b32 s27, 0
.LBB6_734:
	s_delay_alu instid0(SALU_CYCLE_1)
	s_and_not1_b32 vcc_lo, exec_lo, s27
	s_cbranch_vccnz .LBB6_736
; %bb.735:
	s_wait_xcnt 0x0
	v_cndmask_b32_e64 v2, 0, 1.0, s23
	s_delay_alu instid0(VALU_DEP_1)
	v_cvt_f16_f32_e32 v2, v2
	global_store_b16 v[0:1], v2, off
.LBB6_736:
	s_mov_b32 s27, 0
.LBB6_737:
	s_delay_alu instid0(SALU_CYCLE_1)
	s_and_not1_b32 vcc_lo, exec_lo, s27
	s_cbranch_vccnz .LBB6_753
; %bb.738:
	s_cmp_lt_i32 s26, 2
	s_mov_b32 s27, -1
	s_cbranch_scc1 .LBB6_748
; %bb.739:
	s_cmp_lt_i32 s26, 3
	s_cbranch_scc1 .LBB6_745
; %bb.740:
	s_cmp_gt_i32 s26, 3
	s_cbranch_scc0 .LBB6_742
; %bb.741:
	s_mov_b32 s27, 0
	s_wait_xcnt 0x0
	v_cndmask_b32_e64 v2, 0, 1, s23
	v_mov_b32_e32 v3, s27
	global_store_b64 v[0:1], v[2:3], off
.LBB6_742:
	s_and_not1_b32 vcc_lo, exec_lo, s27
	s_cbranch_vccnz .LBB6_744
; %bb.743:
	s_wait_xcnt 0x0
	v_cndmask_b32_e64 v2, 0, 1, s23
	global_store_b32 v[0:1], v2, off
.LBB6_744:
	s_mov_b32 s27, 0
.LBB6_745:
	s_delay_alu instid0(SALU_CYCLE_1)
	s_and_not1_b32 vcc_lo, exec_lo, s27
	s_cbranch_vccnz .LBB6_747
; %bb.746:
	s_wait_xcnt 0x0
	v_cndmask_b32_e64 v2, 0, 1, s23
	global_store_b16 v[0:1], v2, off
.LBB6_747:
	s_mov_b32 s27, 0
.LBB6_748:
	s_delay_alu instid0(SALU_CYCLE_1)
	s_and_not1_b32 vcc_lo, exec_lo, s27
	s_cbranch_vccnz .LBB6_753
; %bb.749:
	s_wait_xcnt 0x0
	v_cndmask_b32_e64 v2, 0, 1, s23
	s_cmp_gt_i32 s26, 0
	s_mov_b32 s23, -1
	s_cbranch_scc0 .LBB6_751
; %bb.750:
	s_mov_b32 s23, 0
	global_store_b8 v[0:1], v2, off
.LBB6_751:
	s_and_not1_b32 vcc_lo, exec_lo, s23
	s_cbranch_vccnz .LBB6_753
; %bb.752:
	global_store_b8 v[0:1], v2, off
.LBB6_753:
	s_mov_b32 s28, -1
.LBB6_754:
	s_delay_alu instid0(SALU_CYCLE_1)
	s_and_not1_b32 vcc_lo, exec_lo, s28
	s_cbranch_vccnz .LBB6_756
; %bb.755:
	v_add_nc_u32_e32 v18, 0x80, v18
	s_mov_b32 s26, -1
	s_branch .LBB6_758
.LBB6_756:
	s_mov_b32 s26, 0
.LBB6_757:
                                        ; implicit-def: $vgpr18
.LBB6_758:
	s_and_not1_b32 s23, s18, exec_lo
	s_and_b32 s0, s0, exec_lo
	s_and_b32 s24, s24, exec_lo
	s_or_b32 s23, s23, s0
	s_and_not1_b32 s0, s19, exec_lo
	s_and_not1_b32 s27, s20, exec_lo
	s_and_b32 s22, s22, exec_lo
	s_or_b32 s24, s0, s24
	s_or_b32 s22, s27, s22
	s_or_not1_b32 s27, s26, exec_lo
.LBB6_759:
	s_wait_xcnt 0x0
	s_or_b32 exec_lo, exec_lo, s25
	s_mov_b32 s26, 0
	s_mov_b32 s28, 0
	;; [unrolled: 1-line block ×3, first 2 shown]
                                        ; implicit-def: $sgpr0
                                        ; implicit-def: $vgpr2_vgpr3
                                        ; implicit-def: $vgpr0
	s_and_saveexec_b32 s25, s27
	s_cbranch_execz .LBB6_1222
; %bb.760:
	s_mov_b32 s34, -1
	s_mov_b32 s27, s22
	s_mov_b32 s28, s24
	;; [unrolled: 1-line block ×3, first 2 shown]
	s_mov_b32 s26, exec_lo
	v_cmpx_gt_i32_e64 s17, v18
	s_cbranch_execz .LBB6_1142
; %bb.761:
	s_wait_loadcnt 0x0
	v_mul_lo_u32 v0, v18, s9
	s_and_b32 s0, s14, 0xff
	s_delay_alu instid0(SALU_CYCLE_1) | instskip(NEXT) | instid1(VALU_DEP_1)
	s_cmp_lt_i32 s0, 11
	v_ashrrev_i32_e32 v1, 31, v0
	s_delay_alu instid0(VALU_DEP_1)
	v_add_nc_u64_e32 v[2:3], s[6:7], v[0:1]
	s_cbranch_scc1 .LBB6_768
; %bb.762:
	s_and_b32 s28, 0xffff, s0
	s_delay_alu instid0(SALU_CYCLE_1)
	s_cmp_gt_i32 s28, 25
	s_cbranch_scc0 .LBB6_769
; %bb.763:
	s_cmp_gt_i32 s28, 28
	s_cbranch_scc0 .LBB6_770
; %bb.764:
	;; [unrolled: 3-line block ×4, first 2 shown]
	s_cmp_eq_u32 s28, 46
	s_mov_b32 s30, 0
	s_cbranch_scc0 .LBB6_775
; %bb.767:
	global_load_b32 v0, v[2:3], off
	s_mov_b32 s29, -1
	s_mov_b32 s27, 0
	s_wait_loadcnt 0x0
	v_lshlrev_b32_e32 v0, 16, v0
	s_delay_alu instid0(VALU_DEP_1) | instskip(NEXT) | instid1(VALU_DEP_1)
	v_trunc_f32_e32 v0, v0
	v_mul_f32_e64 v1, 0x2f800000, |v0|
	s_delay_alu instid0(VALU_DEP_1) | instskip(NEXT) | instid1(VALU_DEP_1)
	v_floor_f32_e32 v1, v1
	v_fma_f32 v1, 0xcf800000, v1, |v0|
	v_ashrrev_i32_e32 v0, 31, v0
	s_delay_alu instid0(VALU_DEP_2) | instskip(NEXT) | instid1(VALU_DEP_1)
	v_cvt_u32_f32_e32 v1, v1
	v_xor_b32_e32 v1, v1, v0
	s_delay_alu instid0(VALU_DEP_1)
	v_sub_nc_u32_e32 v0, v1, v0
	s_branch .LBB6_777
.LBB6_768:
	s_mov_b32 s28, -1
	s_mov_b32 s29, 0
	s_mov_b32 s27, s22
                                        ; implicit-def: $vgpr0
	s_branch .LBB6_838
.LBB6_769:
	s_mov_b32 s30, -1
	s_mov_b32 s29, 0
	s_mov_b32 s27, s22
                                        ; implicit-def: $vgpr0
	s_branch .LBB6_804
.LBB6_770:
	s_mov_b32 s30, -1
	s_mov_b32 s29, 0
	s_mov_b32 s27, s22
                                        ; implicit-def: $vgpr0
	s_branch .LBB6_787
.LBB6_771:
	s_mov_b32 s30, -1
	s_mov_b32 s29, 0
	s_mov_b32 s27, s22
                                        ; implicit-def: $vgpr0
	s_branch .LBB6_782
.LBB6_772:
	s_mov_b32 s30, -1
	s_mov_b32 s29, 0
	s_mov_b32 s27, s22
	s_branch .LBB6_776
.LBB6_773:
	s_and_not1_saveexec_b32 s30, s30
	s_cbranch_execz .LBB6_667
.LBB6_774:
	v_add_f32_e32 v2, 0x46000000, v3
	s_and_not1_b32 s29, s29, exec_lo
	s_delay_alu instid0(VALU_DEP_1) | instskip(NEXT) | instid1(VALU_DEP_1)
	v_and_b32_e32 v2, 0xff, v2
	v_cmp_ne_u32_e32 vcc_lo, 0, v2
	s_and_b32 s31, vcc_lo, exec_lo
	s_delay_alu instid0(SALU_CYCLE_1)
	s_or_b32 s29, s29, s31
	s_or_b32 exec_lo, exec_lo, s30
	v_mov_b32_e32 v4, 0
	s_and_saveexec_b32 s30, s29
	s_cbranch_execnz .LBB6_668
	s_branch .LBB6_669
.LBB6_775:
	s_mov_b32 s27, -1
	s_mov_b32 s29, 0
.LBB6_776:
                                        ; implicit-def: $vgpr0
.LBB6_777:
	s_and_b32 vcc_lo, exec_lo, s30
	s_cbranch_vccz .LBB6_781
; %bb.778:
	s_cmp_eq_u32 s28, 44
	s_cbranch_scc0 .LBB6_780
; %bb.779:
	global_load_u8 v0, v[2:3], off
	s_mov_b32 s27, 0
	s_mov_b32 s29, -1
	s_wait_loadcnt 0x0
	v_lshlrev_b32_e32 v1, 23, v0
	v_cmp_ne_u32_e32 vcc_lo, 0, v0
	s_delay_alu instid0(VALU_DEP_2) | instskip(NEXT) | instid1(VALU_DEP_1)
	v_trunc_f32_e32 v1, v1
	v_mul_f32_e64 v4, 0x2f800000, |v1|
	s_delay_alu instid0(VALU_DEP_1) | instskip(NEXT) | instid1(VALU_DEP_1)
	v_floor_f32_e32 v4, v4
	v_fma_f32 v4, 0xcf800000, v4, |v1|
	v_ashrrev_i32_e32 v1, 31, v1
	s_delay_alu instid0(VALU_DEP_2) | instskip(NEXT) | instid1(VALU_DEP_1)
	v_cvt_u32_f32_e32 v4, v4
	v_xor_b32_e32 v4, v4, v1
	s_delay_alu instid0(VALU_DEP_1) | instskip(NEXT) | instid1(VALU_DEP_1)
	v_sub_nc_u32_e32 v1, v4, v1
	v_cndmask_b32_e32 v0, 0, v1, vcc_lo
	s_branch .LBB6_781
.LBB6_780:
	s_mov_b32 s27, -1
                                        ; implicit-def: $vgpr0
.LBB6_781:
	s_mov_b32 s30, 0
.LBB6_782:
	s_delay_alu instid0(SALU_CYCLE_1)
	s_and_b32 vcc_lo, exec_lo, s30
	s_cbranch_vccz .LBB6_786
; %bb.783:
	s_cmp_eq_u32 s28, 29
	s_cbranch_scc0 .LBB6_785
; %bb.784:
	global_load_b64 v[0:1], v[2:3], off
	s_mov_b32 s29, -1
	s_mov_b32 s27, 0
	s_branch .LBB6_786
.LBB6_785:
	s_mov_b32 s27, -1
                                        ; implicit-def: $vgpr0
.LBB6_786:
	s_mov_b32 s30, 0
.LBB6_787:
	s_delay_alu instid0(SALU_CYCLE_1)
	s_and_b32 vcc_lo, exec_lo, s30
	s_cbranch_vccz .LBB6_803
; %bb.788:
	s_cmp_lt_i32 s28, 27
	s_cbranch_scc1 .LBB6_791
; %bb.789:
	s_cmp_gt_i32 s28, 27
	s_cbranch_scc0 .LBB6_792
; %bb.790:
	s_wait_loadcnt 0x0
	global_load_b32 v0, v[2:3], off
	s_mov_b32 s29, 0
	s_branch .LBB6_793
.LBB6_791:
	s_mov_b32 s29, -1
                                        ; implicit-def: $vgpr0
	s_branch .LBB6_796
.LBB6_792:
	s_mov_b32 s29, -1
                                        ; implicit-def: $vgpr0
.LBB6_793:
	s_delay_alu instid0(SALU_CYCLE_1)
	s_and_not1_b32 vcc_lo, exec_lo, s29
	s_cbranch_vccnz .LBB6_795
; %bb.794:
	s_wait_loadcnt 0x0
	global_load_u16 v0, v[2:3], off
.LBB6_795:
	s_mov_b32 s29, 0
.LBB6_796:
	s_delay_alu instid0(SALU_CYCLE_1)
	s_and_not1_b32 vcc_lo, exec_lo, s29
	s_cbranch_vccnz .LBB6_802
; %bb.797:
	s_wait_loadcnt 0x0
	global_load_u8 v1, v[2:3], off
	s_mov_b32 s30, 0
	s_mov_b32 s29, exec_lo
	s_wait_loadcnt 0x0
	v_cmpx_lt_i16_e32 0x7f, v1
	s_xor_b32 s29, exec_lo, s29
	s_cbranch_execz .LBB6_814
; %bb.798:
	v_cmp_ne_u16_e32 vcc_lo, 0x80, v1
	s_and_b32 s30, vcc_lo, exec_lo
	s_and_not1_saveexec_b32 s29, s29
	s_cbranch_execnz .LBB6_815
.LBB6_799:
	s_or_b32 exec_lo, exec_lo, s29
	v_mov_b32_e32 v0, 0
	s_and_saveexec_b32 s29, s30
	s_cbranch_execz .LBB6_801
.LBB6_800:
	v_and_b32_e32 v0, 0xffff, v1
	s_delay_alu instid0(VALU_DEP_1) | instskip(SKIP_1) | instid1(VALU_DEP_2)
	v_and_b32_e32 v4, 7, v0
	v_bfe_u32 v7, v0, 3, 4
	v_clz_i32_u32_e32 v5, v4
	s_delay_alu instid0(VALU_DEP_2) | instskip(NEXT) | instid1(VALU_DEP_2)
	v_cmp_eq_u32_e32 vcc_lo, 0, v7
	v_min_u32_e32 v5, 32, v5
	s_delay_alu instid0(VALU_DEP_1) | instskip(NEXT) | instid1(VALU_DEP_1)
	v_subrev_nc_u32_e32 v6, 28, v5
	v_dual_lshlrev_b32 v0, v6, v0 :: v_dual_sub_nc_u32 v5, 29, v5
	s_delay_alu instid0(VALU_DEP_1) | instskip(NEXT) | instid1(VALU_DEP_1)
	v_dual_lshlrev_b32 v1, 24, v1 :: v_dual_bitop2_b32 v0, 7, v0 bitop3:0x40
	v_dual_cndmask_b32 v0, v4, v0 :: v_dual_cndmask_b32 v5, v7, v5
	s_delay_alu instid0(VALU_DEP_2) | instskip(NEXT) | instid1(VALU_DEP_2)
	v_and_b32_e32 v1, 0x80000000, v1
	v_lshlrev_b32_e32 v0, 20, v0
	s_delay_alu instid0(VALU_DEP_3) | instskip(NEXT) | instid1(VALU_DEP_1)
	v_lshl_add_u32 v4, v5, 23, 0x3b800000
	v_or3_b32 v0, v1, v4, v0
	s_delay_alu instid0(VALU_DEP_1) | instskip(NEXT) | instid1(VALU_DEP_1)
	v_trunc_f32_e32 v0, v0
	v_mul_f32_e64 v1, 0x2f800000, |v0|
	s_delay_alu instid0(VALU_DEP_1) | instskip(NEXT) | instid1(VALU_DEP_1)
	v_floor_f32_e32 v1, v1
	v_fma_f32 v1, 0xcf800000, v1, |v0|
	v_ashrrev_i32_e32 v0, 31, v0
	s_delay_alu instid0(VALU_DEP_2) | instskip(NEXT) | instid1(VALU_DEP_1)
	v_cvt_u32_f32_e32 v1, v1
	v_xor_b32_e32 v1, v1, v0
	s_delay_alu instid0(VALU_DEP_1)
	v_sub_nc_u32_e32 v0, v1, v0
.LBB6_801:
	s_or_b32 exec_lo, exec_lo, s29
.LBB6_802:
	s_mov_b32 s29, -1
.LBB6_803:
	s_mov_b32 s30, 0
.LBB6_804:
	s_delay_alu instid0(SALU_CYCLE_1)
	s_and_b32 vcc_lo, exec_lo, s30
	s_cbranch_vccz .LBB6_837
; %bb.805:
	s_cmp_gt_i32 s28, 22
	s_cbranch_scc0 .LBB6_813
; %bb.806:
	s_cmp_lt_i32 s28, 24
	s_cbranch_scc1 .LBB6_816
; %bb.807:
	s_cmp_gt_i32 s28, 24
	s_cbranch_scc0 .LBB6_817
; %bb.808:
	s_wait_loadcnt 0x0
	global_load_u8 v1, v[2:3], off
	s_mov_b32 s30, 0
	s_mov_b32 s29, exec_lo
	s_wait_loadcnt 0x0
	v_cmpx_lt_i16_e32 0x7f, v1
	s_xor_b32 s29, exec_lo, s29
	s_cbranch_execz .LBB6_829
; %bb.809:
	v_cmp_ne_u16_e32 vcc_lo, 0x80, v1
	s_and_b32 s30, vcc_lo, exec_lo
	s_and_not1_saveexec_b32 s29, s29
	s_cbranch_execnz .LBB6_830
.LBB6_810:
	s_or_b32 exec_lo, exec_lo, s29
	v_mov_b32_e32 v0, 0
	s_and_saveexec_b32 s29, s30
	s_cbranch_execz .LBB6_812
.LBB6_811:
	v_and_b32_e32 v0, 0xffff, v1
	s_delay_alu instid0(VALU_DEP_1) | instskip(SKIP_1) | instid1(VALU_DEP_2)
	v_and_b32_e32 v4, 3, v0
	v_bfe_u32 v7, v0, 2, 5
	v_clz_i32_u32_e32 v5, v4
	s_delay_alu instid0(VALU_DEP_2) | instskip(NEXT) | instid1(VALU_DEP_2)
	v_cmp_eq_u32_e32 vcc_lo, 0, v7
	v_min_u32_e32 v5, 32, v5
	s_delay_alu instid0(VALU_DEP_1) | instskip(NEXT) | instid1(VALU_DEP_1)
	v_subrev_nc_u32_e32 v6, 29, v5
	v_dual_lshlrev_b32 v0, v6, v0 :: v_dual_sub_nc_u32 v5, 30, v5
	s_delay_alu instid0(VALU_DEP_1) | instskip(NEXT) | instid1(VALU_DEP_1)
	v_dual_lshlrev_b32 v1, 24, v1 :: v_dual_bitop2_b32 v0, 3, v0 bitop3:0x40
	v_dual_cndmask_b32 v0, v4, v0 :: v_dual_cndmask_b32 v5, v7, v5
	s_delay_alu instid0(VALU_DEP_2) | instskip(NEXT) | instid1(VALU_DEP_2)
	v_and_b32_e32 v1, 0x80000000, v1
	v_lshlrev_b32_e32 v0, 21, v0
	s_delay_alu instid0(VALU_DEP_3) | instskip(NEXT) | instid1(VALU_DEP_1)
	v_lshl_add_u32 v4, v5, 23, 0x37800000
	v_or3_b32 v0, v1, v4, v0
	s_delay_alu instid0(VALU_DEP_1) | instskip(NEXT) | instid1(VALU_DEP_1)
	v_trunc_f32_e32 v0, v0
	v_mul_f32_e64 v1, 0x2f800000, |v0|
	s_delay_alu instid0(VALU_DEP_1) | instskip(NEXT) | instid1(VALU_DEP_1)
	v_floor_f32_e32 v1, v1
	v_fma_f32 v1, 0xcf800000, v1, |v0|
	v_ashrrev_i32_e32 v0, 31, v0
	s_delay_alu instid0(VALU_DEP_2) | instskip(NEXT) | instid1(VALU_DEP_1)
	v_cvt_u32_f32_e32 v1, v1
	v_xor_b32_e32 v1, v1, v0
	s_delay_alu instid0(VALU_DEP_1)
	v_sub_nc_u32_e32 v0, v1, v0
.LBB6_812:
	s_or_b32 exec_lo, exec_lo, s29
	s_mov_b32 s29, 0
	s_branch .LBB6_818
.LBB6_813:
	s_mov_b32 s30, -1
                                        ; implicit-def: $vgpr0
	s_branch .LBB6_824
.LBB6_814:
	s_and_not1_saveexec_b32 s29, s29
	s_cbranch_execz .LBB6_799
.LBB6_815:
	v_cmp_ne_u16_e32 vcc_lo, 0, v1
	s_and_not1_b32 s30, s30, exec_lo
	s_and_b32 s31, vcc_lo, exec_lo
	s_delay_alu instid0(SALU_CYCLE_1)
	s_or_b32 s30, s30, s31
	s_or_b32 exec_lo, exec_lo, s29
	v_mov_b32_e32 v0, 0
	s_and_saveexec_b32 s29, s30
	s_cbranch_execnz .LBB6_800
	s_branch .LBB6_801
.LBB6_816:
	s_mov_b32 s29, -1
                                        ; implicit-def: $vgpr0
	s_branch .LBB6_821
.LBB6_817:
	s_mov_b32 s29, -1
                                        ; implicit-def: $vgpr0
.LBB6_818:
	s_delay_alu instid0(SALU_CYCLE_1)
	s_and_b32 vcc_lo, exec_lo, s29
	s_cbranch_vccz .LBB6_820
; %bb.819:
	s_wait_loadcnt 0x0
	global_load_u8 v0, v[2:3], off
	s_wait_loadcnt 0x0
	v_lshlrev_b32_e32 v0, 24, v0
	s_delay_alu instid0(VALU_DEP_1) | instskip(NEXT) | instid1(VALU_DEP_1)
	v_and_b32_e32 v1, 0x7f000000, v0
	v_clz_i32_u32_e32 v4, v1
	v_cmp_ne_u32_e32 vcc_lo, 0, v1
	v_add_nc_u32_e32 v6, 0x1000000, v1
	s_delay_alu instid0(VALU_DEP_3) | instskip(NEXT) | instid1(VALU_DEP_1)
	v_min_u32_e32 v4, 32, v4
	v_sub_nc_u32_e64 v4, v4, 4 clamp
	s_delay_alu instid0(VALU_DEP_1) | instskip(NEXT) | instid1(VALU_DEP_1)
	v_dual_lshlrev_b32 v5, v4, v1 :: v_dual_lshlrev_b32 v4, 23, v4
	v_lshrrev_b32_e32 v5, 4, v5
	s_delay_alu instid0(VALU_DEP_1) | instskip(NEXT) | instid1(VALU_DEP_1)
	v_dual_sub_nc_u32 v4, v5, v4 :: v_dual_ashrrev_i32 v5, 8, v6
	v_add_nc_u32_e32 v4, 0x3c000000, v4
	s_delay_alu instid0(VALU_DEP_1) | instskip(NEXT) | instid1(VALU_DEP_1)
	v_and_or_b32 v4, 0x7f800000, v5, v4
	v_cndmask_b32_e32 v1, 0, v4, vcc_lo
	s_delay_alu instid0(VALU_DEP_1) | instskip(NEXT) | instid1(VALU_DEP_1)
	v_and_or_b32 v0, 0x80000000, v0, v1
	v_trunc_f32_e32 v0, v0
	s_delay_alu instid0(VALU_DEP_1) | instskip(NEXT) | instid1(VALU_DEP_1)
	v_mul_f32_e64 v1, 0x2f800000, |v0|
	v_floor_f32_e32 v1, v1
	s_delay_alu instid0(VALU_DEP_1) | instskip(SKIP_1) | instid1(VALU_DEP_2)
	v_fma_f32 v1, 0xcf800000, v1, |v0|
	v_ashrrev_i32_e32 v0, 31, v0
	v_cvt_u32_f32_e32 v1, v1
	s_delay_alu instid0(VALU_DEP_1) | instskip(NEXT) | instid1(VALU_DEP_1)
	v_xor_b32_e32 v1, v1, v0
	v_sub_nc_u32_e32 v0, v1, v0
.LBB6_820:
	s_mov_b32 s29, 0
.LBB6_821:
	s_delay_alu instid0(SALU_CYCLE_1)
	s_and_not1_b32 vcc_lo, exec_lo, s29
	s_cbranch_vccnz .LBB6_823
; %bb.822:
	s_wait_loadcnt 0x0
	global_load_u8 v0, v[2:3], off
	s_wait_loadcnt 0x0
	v_lshlrev_b32_e32 v1, 25, v0
	v_lshlrev_b16 v0, 8, v0
	s_delay_alu instid0(VALU_DEP_1) | instskip(SKIP_1) | instid1(VALU_DEP_2)
	v_and_or_b32 v5, 0x7f00, v0, 0.5
	v_bfe_i32 v0, v0, 0, 16
	v_add_f32_e32 v5, -0.5, v5
	v_lshrrev_b32_e32 v4, 4, v1
	v_cmp_gt_u32_e32 vcc_lo, 0x8000000, v1
	s_delay_alu instid0(VALU_DEP_2) | instskip(NEXT) | instid1(VALU_DEP_1)
	v_or_b32_e32 v4, 0x70000000, v4
	v_mul_f32_e32 v4, 0x7800000, v4
	s_delay_alu instid0(VALU_DEP_1) | instskip(NEXT) | instid1(VALU_DEP_1)
	v_cndmask_b32_e32 v1, v4, v5, vcc_lo
	v_and_or_b32 v0, 0x80000000, v0, v1
	s_delay_alu instid0(VALU_DEP_1) | instskip(NEXT) | instid1(VALU_DEP_1)
	v_trunc_f32_e32 v0, v0
	v_mul_f32_e64 v1, 0x2f800000, |v0|
	s_delay_alu instid0(VALU_DEP_1) | instskip(NEXT) | instid1(VALU_DEP_1)
	v_floor_f32_e32 v1, v1
	v_fma_f32 v1, 0xcf800000, v1, |v0|
	v_ashrrev_i32_e32 v0, 31, v0
	s_delay_alu instid0(VALU_DEP_2) | instskip(NEXT) | instid1(VALU_DEP_1)
	v_cvt_u32_f32_e32 v1, v1
	v_xor_b32_e32 v1, v1, v0
	s_delay_alu instid0(VALU_DEP_1)
	v_sub_nc_u32_e32 v0, v1, v0
.LBB6_823:
	s_mov_b32 s30, 0
	s_mov_b32 s29, -1
.LBB6_824:
	s_and_not1_b32 vcc_lo, exec_lo, s30
	s_cbranch_vccnz .LBB6_837
; %bb.825:
	s_cmp_gt_i32 s28, 14
	s_cbranch_scc0 .LBB6_828
; %bb.826:
	s_cmp_eq_u32 s28, 15
	s_cbranch_scc0 .LBB6_831
; %bb.827:
	s_wait_loadcnt 0x0
	global_load_u16 v0, v[2:3], off
	s_mov_b32 s29, -1
	s_mov_b32 s27, 0
	s_wait_loadcnt 0x0
	v_lshlrev_b32_e32 v0, 16, v0
	s_delay_alu instid0(VALU_DEP_1) | instskip(NEXT) | instid1(VALU_DEP_1)
	v_trunc_f32_e32 v0, v0
	v_mul_f32_e64 v1, 0x2f800000, |v0|
	s_delay_alu instid0(VALU_DEP_1) | instskip(NEXT) | instid1(VALU_DEP_1)
	v_floor_f32_e32 v1, v1
	v_fma_f32 v1, 0xcf800000, v1, |v0|
	v_ashrrev_i32_e32 v0, 31, v0
	s_delay_alu instid0(VALU_DEP_2) | instskip(NEXT) | instid1(VALU_DEP_1)
	v_cvt_u32_f32_e32 v1, v1
	v_xor_b32_e32 v1, v1, v0
	s_delay_alu instid0(VALU_DEP_1)
	v_sub_nc_u32_e32 v0, v1, v0
	s_branch .LBB6_832
.LBB6_828:
	s_mov_b32 s30, -1
                                        ; implicit-def: $vgpr0
	s_branch .LBB6_833
.LBB6_829:
	s_and_not1_saveexec_b32 s29, s29
	s_cbranch_execz .LBB6_810
.LBB6_830:
	v_cmp_ne_u16_e32 vcc_lo, 0, v1
	s_and_not1_b32 s30, s30, exec_lo
	s_and_b32 s31, vcc_lo, exec_lo
	s_delay_alu instid0(SALU_CYCLE_1)
	s_or_b32 s30, s30, s31
	s_or_b32 exec_lo, exec_lo, s29
	v_mov_b32_e32 v0, 0
	s_and_saveexec_b32 s29, s30
	s_cbranch_execnz .LBB6_811
	s_branch .LBB6_812
.LBB6_831:
	s_mov_b32 s27, -1
                                        ; implicit-def: $vgpr0
.LBB6_832:
	s_mov_b32 s30, 0
.LBB6_833:
	s_delay_alu instid0(SALU_CYCLE_1)
	s_and_b32 vcc_lo, exec_lo, s30
	s_cbranch_vccz .LBB6_837
; %bb.834:
	s_cmp_eq_u32 s28, 11
	s_cbranch_scc0 .LBB6_836
; %bb.835:
	s_wait_loadcnt 0x0
	global_load_u8 v0, v[2:3], off
	s_mov_b32 s27, 0
	s_mov_b32 s29, -1
	s_wait_loadcnt 0x0
	v_cmp_ne_u16_e32 vcc_lo, 0, v0
	v_cndmask_b32_e64 v0, 0, 1, vcc_lo
	s_branch .LBB6_837
.LBB6_836:
	s_mov_b32 s27, -1
                                        ; implicit-def: $vgpr0
.LBB6_837:
	s_mov_b32 s28, 0
.LBB6_838:
	s_delay_alu instid0(SALU_CYCLE_1)
	s_and_b32 vcc_lo, exec_lo, s28
	s_cbranch_vccz .LBB6_887
; %bb.839:
	s_and_b32 s0, 0xffff, s0
	s_delay_alu instid0(SALU_CYCLE_1)
	s_cmp_lt_i32 s0, 5
	s_cbranch_scc1 .LBB6_844
; %bb.840:
	s_cmp_lt_i32 s0, 8
	s_cbranch_scc1 .LBB6_845
; %bb.841:
	;; [unrolled: 3-line block ×3, first 2 shown]
	s_cmp_gt_i32 s0, 9
	s_cbranch_scc0 .LBB6_847
; %bb.843:
	s_wait_loadcnt 0x0
	global_load_b64 v[0:1], v[2:3], off
	s_mov_b32 s28, 0
	s_wait_loadcnt 0x0
	v_trunc_f64_e32 v[0:1], v[0:1]
	s_delay_alu instid0(VALU_DEP_1) | instskip(NEXT) | instid1(VALU_DEP_1)
	v_ldexp_f64 v[4:5], v[0:1], 0xffffffe0
	v_floor_f64_e32 v[4:5], v[4:5]
	s_delay_alu instid0(VALU_DEP_1) | instskip(NEXT) | instid1(VALU_DEP_1)
	v_fmamk_f64 v[0:1], v[4:5], 0xc1f00000, v[0:1]
	v_cvt_u32_f64_e32 v0, v[0:1]
	s_branch .LBB6_848
.LBB6_844:
	s_mov_b32 s28, -1
                                        ; implicit-def: $vgpr0
	s_branch .LBB6_866
.LBB6_845:
	s_mov_b32 s28, -1
                                        ; implicit-def: $vgpr0
	s_branch .LBB6_854
.LBB6_846:
	s_mov_b32 s28, -1
                                        ; implicit-def: $vgpr0
	s_branch .LBB6_851
.LBB6_847:
	s_mov_b32 s28, -1
                                        ; implicit-def: $vgpr0
.LBB6_848:
	s_delay_alu instid0(SALU_CYCLE_1)
	s_and_not1_b32 vcc_lo, exec_lo, s28
	s_cbranch_vccnz .LBB6_850
; %bb.849:
	s_wait_loadcnt 0x0
	global_load_b32 v0, v[2:3], off
	s_wait_loadcnt 0x0
	v_trunc_f32_e32 v0, v0
	s_delay_alu instid0(VALU_DEP_1) | instskip(NEXT) | instid1(VALU_DEP_1)
	v_mul_f32_e64 v1, 0x2f800000, |v0|
	v_floor_f32_e32 v1, v1
	s_delay_alu instid0(VALU_DEP_1) | instskip(SKIP_1) | instid1(VALU_DEP_2)
	v_fma_f32 v1, 0xcf800000, v1, |v0|
	v_ashrrev_i32_e32 v0, 31, v0
	v_cvt_u32_f32_e32 v1, v1
	s_delay_alu instid0(VALU_DEP_1) | instskip(NEXT) | instid1(VALU_DEP_1)
	v_xor_b32_e32 v1, v1, v0
	v_sub_nc_u32_e32 v0, v1, v0
.LBB6_850:
	s_mov_b32 s28, 0
.LBB6_851:
	s_delay_alu instid0(SALU_CYCLE_1)
	s_and_not1_b32 vcc_lo, exec_lo, s28
	s_cbranch_vccnz .LBB6_853
; %bb.852:
	s_wait_loadcnt 0x0
	global_load_b32 v0, v[2:3], off
	s_wait_loadcnt 0x0
	v_cvt_f32_f16_e32 v0, v0
	s_delay_alu instid0(VALU_DEP_1)
	v_cvt_i32_f32_e32 v0, v0
.LBB6_853:
	s_mov_b32 s28, 0
.LBB6_854:
	s_delay_alu instid0(SALU_CYCLE_1)
	s_and_not1_b32 vcc_lo, exec_lo, s28
	s_cbranch_vccnz .LBB6_865
; %bb.855:
	s_cmp_lt_i32 s0, 6
	s_cbranch_scc1 .LBB6_858
; %bb.856:
	s_cmp_gt_i32 s0, 6
	s_cbranch_scc0 .LBB6_859
; %bb.857:
	s_wait_loadcnt 0x0
	global_load_b64 v[0:1], v[2:3], off
	s_mov_b32 s28, 0
	s_wait_loadcnt 0x0
	v_trunc_f64_e32 v[0:1], v[0:1]
	s_delay_alu instid0(VALU_DEP_1) | instskip(NEXT) | instid1(VALU_DEP_1)
	v_ldexp_f64 v[4:5], v[0:1], 0xffffffe0
	v_floor_f64_e32 v[4:5], v[4:5]
	s_delay_alu instid0(VALU_DEP_1) | instskip(NEXT) | instid1(VALU_DEP_1)
	v_fmamk_f64 v[0:1], v[4:5], 0xc1f00000, v[0:1]
	v_cvt_u32_f64_e32 v0, v[0:1]
	s_branch .LBB6_860
.LBB6_858:
	s_mov_b32 s28, -1
                                        ; implicit-def: $vgpr0
	s_branch .LBB6_863
.LBB6_859:
	s_mov_b32 s28, -1
                                        ; implicit-def: $vgpr0
.LBB6_860:
	s_delay_alu instid0(SALU_CYCLE_1)
	s_and_not1_b32 vcc_lo, exec_lo, s28
	s_cbranch_vccnz .LBB6_862
; %bb.861:
	s_wait_loadcnt 0x0
	global_load_b32 v0, v[2:3], off
	s_wait_loadcnt 0x0
	v_trunc_f32_e32 v0, v0
	s_delay_alu instid0(VALU_DEP_1) | instskip(NEXT) | instid1(VALU_DEP_1)
	v_mul_f32_e64 v1, 0x2f800000, |v0|
	v_floor_f32_e32 v1, v1
	s_delay_alu instid0(VALU_DEP_1) | instskip(SKIP_1) | instid1(VALU_DEP_2)
	v_fma_f32 v1, 0xcf800000, v1, |v0|
	v_ashrrev_i32_e32 v0, 31, v0
	v_cvt_u32_f32_e32 v1, v1
	s_delay_alu instid0(VALU_DEP_1) | instskip(NEXT) | instid1(VALU_DEP_1)
	v_xor_b32_e32 v1, v1, v0
	v_sub_nc_u32_e32 v0, v1, v0
.LBB6_862:
	s_mov_b32 s28, 0
.LBB6_863:
	s_delay_alu instid0(SALU_CYCLE_1)
	s_and_not1_b32 vcc_lo, exec_lo, s28
	s_cbranch_vccnz .LBB6_865
; %bb.864:
	s_wait_loadcnt 0x0
	global_load_u16 v0, v[2:3], off
	s_wait_loadcnt 0x0
	v_cvt_f32_f16_e32 v0, v0
	s_delay_alu instid0(VALU_DEP_1)
	v_cvt_i32_f32_e32 v0, v0
.LBB6_865:
	s_mov_b32 s28, 0
.LBB6_866:
	s_delay_alu instid0(SALU_CYCLE_1)
	s_and_not1_b32 vcc_lo, exec_lo, s28
	s_cbranch_vccnz .LBB6_886
; %bb.867:
	s_cmp_lt_i32 s0, 2
	s_cbranch_scc1 .LBB6_871
; %bb.868:
	s_cmp_lt_i32 s0, 3
	s_cbranch_scc1 .LBB6_872
; %bb.869:
	s_cmp_gt_i32 s0, 3
	s_cbranch_scc0 .LBB6_873
; %bb.870:
	s_wait_loadcnt 0x0
	global_load_b64 v[0:1], v[2:3], off
	s_mov_b32 s28, 0
	s_branch .LBB6_874
.LBB6_871:
	s_mov_b32 s28, -1
                                        ; implicit-def: $vgpr0
	s_branch .LBB6_880
.LBB6_872:
	s_mov_b32 s28, -1
                                        ; implicit-def: $vgpr0
	s_branch .LBB6_877
.LBB6_873:
	s_mov_b32 s28, -1
                                        ; implicit-def: $vgpr0
.LBB6_874:
	s_delay_alu instid0(SALU_CYCLE_1)
	s_and_not1_b32 vcc_lo, exec_lo, s28
	s_cbranch_vccnz .LBB6_876
; %bb.875:
	s_wait_loadcnt 0x0
	global_load_b32 v0, v[2:3], off
.LBB6_876:
	s_mov_b32 s28, 0
.LBB6_877:
	s_delay_alu instid0(SALU_CYCLE_1)
	s_and_not1_b32 vcc_lo, exec_lo, s28
	s_cbranch_vccnz .LBB6_879
; %bb.878:
	s_wait_loadcnt 0x0
	global_load_u16 v0, v[2:3], off
.LBB6_879:
	s_mov_b32 s28, 0
.LBB6_880:
	s_delay_alu instid0(SALU_CYCLE_1)
	s_and_not1_b32 vcc_lo, exec_lo, s28
	s_cbranch_vccnz .LBB6_886
; %bb.881:
	s_cmp_gt_i32 s0, 0
	s_mov_b32 s0, 0
	s_cbranch_scc0 .LBB6_883
; %bb.882:
	s_wait_loadcnt 0x0
	global_load_u8 v0, v[2:3], off
	s_branch .LBB6_884
.LBB6_883:
	s_mov_b32 s0, -1
                                        ; implicit-def: $vgpr0
.LBB6_884:
	s_delay_alu instid0(SALU_CYCLE_1)
	s_and_not1_b32 vcc_lo, exec_lo, s0
	s_cbranch_vccnz .LBB6_886
; %bb.885:
	s_wait_loadcnt 0x0
	global_load_u8 v0, v[2:3], off
.LBB6_886:
	s_mov_b32 s29, -1
.LBB6_887:
	s_delay_alu instid0(SALU_CYCLE_1)
	s_and_not1_b32 vcc_lo, exec_lo, s29
	s_cbranch_vccnz .LBB6_895
; %bb.888:
	s_wait_xcnt 0x0
	v_mul_lo_u32 v2, v18, s10
	s_and_b32 s0, s1, 0xff
	s_delay_alu instid0(SALU_CYCLE_1) | instskip(NEXT) | instid1(VALU_DEP_1)
	s_cmp_lt_i32 s0, 11
	v_ashrrev_i32_e32 v3, 31, v2
	s_delay_alu instid0(VALU_DEP_1)
	v_add_nc_u64_e32 v[2:3], s[2:3], v[2:3]
	s_cbranch_scc1 .LBB6_896
; %bb.889:
	s_and_b32 s29, 0xffff, s0
	s_delay_alu instid0(SALU_CYCLE_1)
	s_cmp_gt_i32 s29, 25
	s_cbranch_scc0 .LBB6_897
; %bb.890:
	s_cmp_gt_i32 s29, 28
	s_cbranch_scc0 .LBB6_898
; %bb.891:
	;; [unrolled: 3-line block ×4, first 2 shown]
	s_cmp_eq_u32 s29, 46
	s_mov_b32 s31, 0
	s_cbranch_scc0 .LBB6_903
; %bb.894:
	s_wait_loadcnt 0x0
	global_load_b32 v1, v[2:3], off
	s_mov_b32 s30, -1
	s_mov_b32 s28, 0
	s_wait_loadcnt 0x0
	v_lshlrev_b32_e32 v1, 16, v1
	s_delay_alu instid0(VALU_DEP_1) | instskip(NEXT) | instid1(VALU_DEP_1)
	v_trunc_f32_e32 v1, v1
	v_mul_f32_e64 v4, 0x2f800000, |v1|
	s_delay_alu instid0(VALU_DEP_1) | instskip(NEXT) | instid1(VALU_DEP_1)
	v_floor_f32_e32 v4, v4
	v_fma_f32 v4, 0xcf800000, v4, |v1|
	v_ashrrev_i32_e32 v1, 31, v1
	s_delay_alu instid0(VALU_DEP_2) | instskip(NEXT) | instid1(VALU_DEP_1)
	v_cvt_u32_f32_e32 v4, v4
	v_xor_b32_e32 v4, v4, v1
	s_delay_alu instid0(VALU_DEP_1)
	v_sub_nc_u32_e32 v4, v4, v1
	s_branch .LBB6_905
.LBB6_895:
	s_mov_b32 s30, 0
	s_mov_b32 s0, s23
	;; [unrolled: 1-line block ×3, first 2 shown]
	s_branch .LBB6_1140
.LBB6_896:
	s_mov_b32 s29, -1
	s_mov_b32 s30, 0
	s_mov_b32 s28, s24
                                        ; implicit-def: $vgpr4
	s_branch .LBB6_966
.LBB6_897:
	s_mov_b32 s31, -1
	s_mov_b32 s30, 0
	s_mov_b32 s28, s24
                                        ; implicit-def: $vgpr4
	s_branch .LBB6_932
.LBB6_898:
	s_mov_b32 s31, -1
	s_mov_b32 s30, 0
	s_mov_b32 s28, s24
                                        ; implicit-def: $vgpr4
	s_branch .LBB6_915
.LBB6_899:
	s_mov_b32 s31, -1
	s_mov_b32 s30, 0
	s_mov_b32 s28, s24
                                        ; implicit-def: $vgpr4
	s_branch .LBB6_910
.LBB6_900:
	s_mov_b32 s31, -1
	s_mov_b32 s30, 0
	s_mov_b32 s28, s24
	s_branch .LBB6_904
.LBB6_901:
	s_and_not1_saveexec_b32 s30, s30
	s_cbranch_execz .LBB6_680
.LBB6_902:
	v_add_f32_e32 v2, 0x42800000, v3
	s_and_not1_b32 s29, s29, exec_lo
	s_delay_alu instid0(VALU_DEP_1) | instskip(NEXT) | instid1(VALU_DEP_1)
	v_and_b32_e32 v2, 0xff, v2
	v_cmp_ne_u32_e32 vcc_lo, 0, v2
	s_and_b32 s31, vcc_lo, exec_lo
	s_delay_alu instid0(SALU_CYCLE_1)
	s_or_b32 s29, s29, s31
	s_or_b32 exec_lo, exec_lo, s30
	v_mov_b32_e32 v4, 0
	s_and_saveexec_b32 s30, s29
	s_cbranch_execnz .LBB6_681
	s_branch .LBB6_682
.LBB6_903:
	s_mov_b32 s28, -1
	s_mov_b32 s30, 0
.LBB6_904:
                                        ; implicit-def: $vgpr4
.LBB6_905:
	s_and_b32 vcc_lo, exec_lo, s31
	s_cbranch_vccz .LBB6_909
; %bb.906:
	s_cmp_eq_u32 s29, 44
	s_cbranch_scc0 .LBB6_908
; %bb.907:
	s_wait_loadcnt 0x0
	global_load_u8 v1, v[2:3], off
	s_mov_b32 s28, 0
	s_mov_b32 s30, -1
	s_wait_loadcnt 0x0
	v_lshlrev_b32_e32 v4, 23, v1
	v_cmp_ne_u32_e32 vcc_lo, 0, v1
	s_delay_alu instid0(VALU_DEP_2) | instskip(NEXT) | instid1(VALU_DEP_1)
	v_trunc_f32_e32 v4, v4
	v_mul_f32_e64 v5, 0x2f800000, |v4|
	s_delay_alu instid0(VALU_DEP_1) | instskip(NEXT) | instid1(VALU_DEP_1)
	v_floor_f32_e32 v5, v5
	v_fma_f32 v5, 0xcf800000, v5, |v4|
	v_ashrrev_i32_e32 v4, 31, v4
	s_delay_alu instid0(VALU_DEP_2) | instskip(NEXT) | instid1(VALU_DEP_1)
	v_cvt_u32_f32_e32 v5, v5
	v_xor_b32_e32 v5, v5, v4
	s_delay_alu instid0(VALU_DEP_1) | instskip(NEXT) | instid1(VALU_DEP_1)
	v_sub_nc_u32_e32 v4, v5, v4
	v_cndmask_b32_e32 v4, 0, v4, vcc_lo
	s_branch .LBB6_909
.LBB6_908:
	s_mov_b32 s28, -1
                                        ; implicit-def: $vgpr4
.LBB6_909:
	s_mov_b32 s31, 0
.LBB6_910:
	s_delay_alu instid0(SALU_CYCLE_1)
	s_and_b32 vcc_lo, exec_lo, s31
	s_cbranch_vccz .LBB6_914
; %bb.911:
	s_cmp_eq_u32 s29, 29
	s_cbranch_scc0 .LBB6_913
; %bb.912:
	global_load_b64 v[4:5], v[2:3], off
	s_mov_b32 s30, -1
	s_mov_b32 s28, 0
	s_branch .LBB6_914
.LBB6_913:
	s_mov_b32 s28, -1
                                        ; implicit-def: $vgpr4
.LBB6_914:
	s_mov_b32 s31, 0
.LBB6_915:
	s_delay_alu instid0(SALU_CYCLE_1)
	s_and_b32 vcc_lo, exec_lo, s31
	s_cbranch_vccz .LBB6_931
; %bb.916:
	s_cmp_lt_i32 s29, 27
	s_cbranch_scc1 .LBB6_919
; %bb.917:
	s_cmp_gt_i32 s29, 27
	s_cbranch_scc0 .LBB6_920
; %bb.918:
	s_wait_loadcnt 0x0
	global_load_b32 v4, v[2:3], off
	s_mov_b32 s30, 0
	s_branch .LBB6_921
.LBB6_919:
	s_mov_b32 s30, -1
                                        ; implicit-def: $vgpr4
	s_branch .LBB6_924
.LBB6_920:
	s_mov_b32 s30, -1
                                        ; implicit-def: $vgpr4
.LBB6_921:
	s_delay_alu instid0(SALU_CYCLE_1)
	s_and_not1_b32 vcc_lo, exec_lo, s30
	s_cbranch_vccnz .LBB6_923
; %bb.922:
	s_wait_loadcnt 0x0
	global_load_u16 v4, v[2:3], off
.LBB6_923:
	s_mov_b32 s30, 0
.LBB6_924:
	s_delay_alu instid0(SALU_CYCLE_1)
	s_and_not1_b32 vcc_lo, exec_lo, s30
	s_cbranch_vccnz .LBB6_930
; %bb.925:
	s_wait_loadcnt 0x0
	global_load_u8 v1, v[2:3], off
	s_mov_b32 s31, 0
	s_mov_b32 s30, exec_lo
	s_wait_loadcnt 0x0
	v_cmpx_lt_i16_e32 0x7f, v1
	s_xor_b32 s30, exec_lo, s30
	s_cbranch_execz .LBB6_942
; %bb.926:
	v_cmp_ne_u16_e32 vcc_lo, 0x80, v1
	s_and_b32 s31, vcc_lo, exec_lo
	s_and_not1_saveexec_b32 s30, s30
	s_cbranch_execnz .LBB6_943
.LBB6_927:
	s_or_b32 exec_lo, exec_lo, s30
	v_mov_b32_e32 v4, 0
	s_and_saveexec_b32 s30, s31
	s_cbranch_execz .LBB6_929
.LBB6_928:
	v_and_b32_e32 v4, 0xffff, v1
	s_delay_alu instid0(VALU_DEP_1) | instskip(SKIP_1) | instid1(VALU_DEP_2)
	v_and_b32_e32 v5, 7, v4
	v_bfe_u32 v8, v4, 3, 4
	v_clz_i32_u32_e32 v6, v5
	s_delay_alu instid0(VALU_DEP_2) | instskip(NEXT) | instid1(VALU_DEP_2)
	v_cmp_eq_u32_e32 vcc_lo, 0, v8
	v_min_u32_e32 v6, 32, v6
	s_delay_alu instid0(VALU_DEP_1) | instskip(NEXT) | instid1(VALU_DEP_1)
	v_subrev_nc_u32_e32 v7, 28, v6
	v_dual_lshlrev_b32 v4, v7, v4 :: v_dual_sub_nc_u32 v6, 29, v6
	s_delay_alu instid0(VALU_DEP_1) | instskip(NEXT) | instid1(VALU_DEP_1)
	v_dual_lshlrev_b32 v1, 24, v1 :: v_dual_bitop2_b32 v4, 7, v4 bitop3:0x40
	v_dual_cndmask_b32 v6, v8, v6, vcc_lo :: v_dual_cndmask_b32 v4, v5, v4, vcc_lo
	s_delay_alu instid0(VALU_DEP_2) | instskip(NEXT) | instid1(VALU_DEP_2)
	v_and_b32_e32 v1, 0x80000000, v1
	v_lshl_add_u32 v5, v6, 23, 0x3b800000
	s_delay_alu instid0(VALU_DEP_3) | instskip(NEXT) | instid1(VALU_DEP_1)
	v_lshlrev_b32_e32 v4, 20, v4
	v_or3_b32 v1, v1, v5, v4
	s_delay_alu instid0(VALU_DEP_1) | instskip(NEXT) | instid1(VALU_DEP_1)
	v_trunc_f32_e32 v1, v1
	v_mul_f32_e64 v4, 0x2f800000, |v1|
	s_delay_alu instid0(VALU_DEP_1) | instskip(NEXT) | instid1(VALU_DEP_1)
	v_floor_f32_e32 v4, v4
	v_fma_f32 v4, 0xcf800000, v4, |v1|
	v_ashrrev_i32_e32 v1, 31, v1
	s_delay_alu instid0(VALU_DEP_2) | instskip(NEXT) | instid1(VALU_DEP_1)
	v_cvt_u32_f32_e32 v4, v4
	v_xor_b32_e32 v4, v4, v1
	s_delay_alu instid0(VALU_DEP_1)
	v_sub_nc_u32_e32 v4, v4, v1
.LBB6_929:
	s_or_b32 exec_lo, exec_lo, s30
.LBB6_930:
	s_mov_b32 s30, -1
.LBB6_931:
	s_mov_b32 s31, 0
.LBB6_932:
	s_delay_alu instid0(SALU_CYCLE_1)
	s_and_b32 vcc_lo, exec_lo, s31
	s_cbranch_vccz .LBB6_965
; %bb.933:
	s_cmp_gt_i32 s29, 22
	s_cbranch_scc0 .LBB6_941
; %bb.934:
	s_cmp_lt_i32 s29, 24
	s_cbranch_scc1 .LBB6_944
; %bb.935:
	s_cmp_gt_i32 s29, 24
	s_cbranch_scc0 .LBB6_945
; %bb.936:
	s_wait_loadcnt 0x0
	global_load_u8 v1, v[2:3], off
	s_mov_b32 s31, 0
	s_mov_b32 s30, exec_lo
	s_wait_loadcnt 0x0
	v_cmpx_lt_i16_e32 0x7f, v1
	s_xor_b32 s30, exec_lo, s30
	s_cbranch_execz .LBB6_957
; %bb.937:
	v_cmp_ne_u16_e32 vcc_lo, 0x80, v1
	s_and_b32 s31, vcc_lo, exec_lo
	s_and_not1_saveexec_b32 s30, s30
	s_cbranch_execnz .LBB6_958
.LBB6_938:
	s_or_b32 exec_lo, exec_lo, s30
	v_mov_b32_e32 v4, 0
	s_and_saveexec_b32 s30, s31
	s_cbranch_execz .LBB6_940
.LBB6_939:
	v_and_b32_e32 v4, 0xffff, v1
	s_delay_alu instid0(VALU_DEP_1) | instskip(SKIP_1) | instid1(VALU_DEP_2)
	v_and_b32_e32 v5, 3, v4
	v_bfe_u32 v8, v4, 2, 5
	v_clz_i32_u32_e32 v6, v5
	s_delay_alu instid0(VALU_DEP_2) | instskip(NEXT) | instid1(VALU_DEP_2)
	v_cmp_eq_u32_e32 vcc_lo, 0, v8
	v_min_u32_e32 v6, 32, v6
	s_delay_alu instid0(VALU_DEP_1) | instskip(NEXT) | instid1(VALU_DEP_1)
	v_subrev_nc_u32_e32 v7, 29, v6
	v_dual_lshlrev_b32 v4, v7, v4 :: v_dual_sub_nc_u32 v6, 30, v6
	s_delay_alu instid0(VALU_DEP_1) | instskip(NEXT) | instid1(VALU_DEP_1)
	v_dual_lshlrev_b32 v1, 24, v1 :: v_dual_bitop2_b32 v4, 3, v4 bitop3:0x40
	v_dual_cndmask_b32 v6, v8, v6, vcc_lo :: v_dual_cndmask_b32 v4, v5, v4, vcc_lo
	s_delay_alu instid0(VALU_DEP_2) | instskip(NEXT) | instid1(VALU_DEP_2)
	v_and_b32_e32 v1, 0x80000000, v1
	v_lshl_add_u32 v5, v6, 23, 0x37800000
	s_delay_alu instid0(VALU_DEP_3) | instskip(NEXT) | instid1(VALU_DEP_1)
	v_lshlrev_b32_e32 v4, 21, v4
	v_or3_b32 v1, v1, v5, v4
	s_delay_alu instid0(VALU_DEP_1) | instskip(NEXT) | instid1(VALU_DEP_1)
	v_trunc_f32_e32 v1, v1
	v_mul_f32_e64 v4, 0x2f800000, |v1|
	s_delay_alu instid0(VALU_DEP_1) | instskip(NEXT) | instid1(VALU_DEP_1)
	v_floor_f32_e32 v4, v4
	v_fma_f32 v4, 0xcf800000, v4, |v1|
	v_ashrrev_i32_e32 v1, 31, v1
	s_delay_alu instid0(VALU_DEP_2) | instskip(NEXT) | instid1(VALU_DEP_1)
	v_cvt_u32_f32_e32 v4, v4
	v_xor_b32_e32 v4, v4, v1
	s_delay_alu instid0(VALU_DEP_1)
	v_sub_nc_u32_e32 v4, v4, v1
.LBB6_940:
	s_or_b32 exec_lo, exec_lo, s30
	s_mov_b32 s30, 0
	s_branch .LBB6_946
.LBB6_941:
	s_mov_b32 s31, -1
                                        ; implicit-def: $vgpr4
	s_branch .LBB6_952
.LBB6_942:
	s_and_not1_saveexec_b32 s30, s30
	s_cbranch_execz .LBB6_927
.LBB6_943:
	v_cmp_ne_u16_e32 vcc_lo, 0, v1
	s_and_not1_b32 s31, s31, exec_lo
	s_and_b32 s33, vcc_lo, exec_lo
	s_delay_alu instid0(SALU_CYCLE_1)
	s_or_b32 s31, s31, s33
	s_or_b32 exec_lo, exec_lo, s30
	v_mov_b32_e32 v4, 0
	s_and_saveexec_b32 s30, s31
	s_cbranch_execnz .LBB6_928
	s_branch .LBB6_929
.LBB6_944:
	s_mov_b32 s30, -1
                                        ; implicit-def: $vgpr4
	s_branch .LBB6_949
.LBB6_945:
	s_mov_b32 s30, -1
                                        ; implicit-def: $vgpr4
.LBB6_946:
	s_delay_alu instid0(SALU_CYCLE_1)
	s_and_b32 vcc_lo, exec_lo, s30
	s_cbranch_vccz .LBB6_948
; %bb.947:
	s_wait_loadcnt 0x0
	global_load_u8 v1, v[2:3], off
	s_wait_loadcnt 0x0
	v_lshlrev_b32_e32 v1, 24, v1
	s_delay_alu instid0(VALU_DEP_1) | instskip(NEXT) | instid1(VALU_DEP_1)
	v_and_b32_e32 v4, 0x7f000000, v1
	v_clz_i32_u32_e32 v5, v4
	v_cmp_ne_u32_e32 vcc_lo, 0, v4
	v_add_nc_u32_e32 v7, 0x1000000, v4
	s_delay_alu instid0(VALU_DEP_3) | instskip(NEXT) | instid1(VALU_DEP_1)
	v_min_u32_e32 v5, 32, v5
	v_sub_nc_u32_e64 v5, v5, 4 clamp
	s_delay_alu instid0(VALU_DEP_1) | instskip(NEXT) | instid1(VALU_DEP_1)
	v_dual_lshlrev_b32 v6, v5, v4 :: v_dual_lshlrev_b32 v5, 23, v5
	v_lshrrev_b32_e32 v6, 4, v6
	s_delay_alu instid0(VALU_DEP_1) | instskip(NEXT) | instid1(VALU_DEP_1)
	v_dual_sub_nc_u32 v5, v6, v5 :: v_dual_ashrrev_i32 v6, 8, v7
	v_add_nc_u32_e32 v5, 0x3c000000, v5
	s_delay_alu instid0(VALU_DEP_1) | instskip(NEXT) | instid1(VALU_DEP_1)
	v_and_or_b32 v5, 0x7f800000, v6, v5
	v_cndmask_b32_e32 v4, 0, v5, vcc_lo
	s_delay_alu instid0(VALU_DEP_1) | instskip(NEXT) | instid1(VALU_DEP_1)
	v_and_or_b32 v1, 0x80000000, v1, v4
	v_trunc_f32_e32 v1, v1
	s_delay_alu instid0(VALU_DEP_1) | instskip(NEXT) | instid1(VALU_DEP_1)
	v_mul_f32_e64 v4, 0x2f800000, |v1|
	v_floor_f32_e32 v4, v4
	s_delay_alu instid0(VALU_DEP_1) | instskip(SKIP_1) | instid1(VALU_DEP_2)
	v_fma_f32 v4, 0xcf800000, v4, |v1|
	v_ashrrev_i32_e32 v1, 31, v1
	v_cvt_u32_f32_e32 v4, v4
	s_delay_alu instid0(VALU_DEP_1) | instskip(NEXT) | instid1(VALU_DEP_1)
	v_xor_b32_e32 v4, v4, v1
	v_sub_nc_u32_e32 v4, v4, v1
.LBB6_948:
	s_mov_b32 s30, 0
.LBB6_949:
	s_delay_alu instid0(SALU_CYCLE_1)
	s_and_not1_b32 vcc_lo, exec_lo, s30
	s_cbranch_vccnz .LBB6_951
; %bb.950:
	s_wait_loadcnt 0x0
	global_load_u8 v1, v[2:3], off
	s_wait_loadcnt 0x0
	v_lshlrev_b32_e32 v4, 25, v1
	v_lshlrev_b16 v1, 8, v1
	s_delay_alu instid0(VALU_DEP_1) | instskip(SKIP_1) | instid1(VALU_DEP_2)
	v_and_or_b32 v6, 0x7f00, v1, 0.5
	v_bfe_i32 v1, v1, 0, 16
	v_dual_add_f32 v6, -0.5, v6 :: v_dual_lshrrev_b32 v5, 4, v4
	v_cmp_gt_u32_e32 vcc_lo, 0x8000000, v4
	s_delay_alu instid0(VALU_DEP_2) | instskip(NEXT) | instid1(VALU_DEP_1)
	v_or_b32_e32 v5, 0x70000000, v5
	v_mul_f32_e32 v5, 0x7800000, v5
	s_delay_alu instid0(VALU_DEP_1) | instskip(NEXT) | instid1(VALU_DEP_1)
	v_cndmask_b32_e32 v4, v5, v6, vcc_lo
	v_and_or_b32 v1, 0x80000000, v1, v4
	s_delay_alu instid0(VALU_DEP_1) | instskip(NEXT) | instid1(VALU_DEP_1)
	v_trunc_f32_e32 v1, v1
	v_mul_f32_e64 v4, 0x2f800000, |v1|
	s_delay_alu instid0(VALU_DEP_1) | instskip(NEXT) | instid1(VALU_DEP_1)
	v_floor_f32_e32 v4, v4
	v_fma_f32 v4, 0xcf800000, v4, |v1|
	v_ashrrev_i32_e32 v1, 31, v1
	s_delay_alu instid0(VALU_DEP_2) | instskip(NEXT) | instid1(VALU_DEP_1)
	v_cvt_u32_f32_e32 v4, v4
	v_xor_b32_e32 v4, v4, v1
	s_delay_alu instid0(VALU_DEP_1)
	v_sub_nc_u32_e32 v4, v4, v1
.LBB6_951:
	s_mov_b32 s31, 0
	s_mov_b32 s30, -1
.LBB6_952:
	s_and_not1_b32 vcc_lo, exec_lo, s31
	s_cbranch_vccnz .LBB6_965
; %bb.953:
	s_cmp_gt_i32 s29, 14
	s_cbranch_scc0 .LBB6_956
; %bb.954:
	s_cmp_eq_u32 s29, 15
	s_cbranch_scc0 .LBB6_959
; %bb.955:
	s_wait_loadcnt 0x0
	global_load_u16 v1, v[2:3], off
	s_mov_b32 s30, -1
	s_mov_b32 s28, 0
	s_wait_loadcnt 0x0
	v_lshlrev_b32_e32 v1, 16, v1
	s_delay_alu instid0(VALU_DEP_1) | instskip(NEXT) | instid1(VALU_DEP_1)
	v_trunc_f32_e32 v1, v1
	v_mul_f32_e64 v4, 0x2f800000, |v1|
	s_delay_alu instid0(VALU_DEP_1) | instskip(NEXT) | instid1(VALU_DEP_1)
	v_floor_f32_e32 v4, v4
	v_fma_f32 v4, 0xcf800000, v4, |v1|
	v_ashrrev_i32_e32 v1, 31, v1
	s_delay_alu instid0(VALU_DEP_2) | instskip(NEXT) | instid1(VALU_DEP_1)
	v_cvt_u32_f32_e32 v4, v4
	v_xor_b32_e32 v4, v4, v1
	s_delay_alu instid0(VALU_DEP_1)
	v_sub_nc_u32_e32 v4, v4, v1
	s_branch .LBB6_960
.LBB6_956:
	s_mov_b32 s31, -1
                                        ; implicit-def: $vgpr4
	s_branch .LBB6_961
.LBB6_957:
	s_and_not1_saveexec_b32 s30, s30
	s_cbranch_execz .LBB6_938
.LBB6_958:
	v_cmp_ne_u16_e32 vcc_lo, 0, v1
	s_and_not1_b32 s31, s31, exec_lo
	s_and_b32 s33, vcc_lo, exec_lo
	s_delay_alu instid0(SALU_CYCLE_1)
	s_or_b32 s31, s31, s33
	s_or_b32 exec_lo, exec_lo, s30
	v_mov_b32_e32 v4, 0
	s_and_saveexec_b32 s30, s31
	s_cbranch_execnz .LBB6_939
	s_branch .LBB6_940
.LBB6_959:
	s_mov_b32 s28, -1
                                        ; implicit-def: $vgpr4
.LBB6_960:
	s_mov_b32 s31, 0
.LBB6_961:
	s_delay_alu instid0(SALU_CYCLE_1)
	s_and_b32 vcc_lo, exec_lo, s31
	s_cbranch_vccz .LBB6_965
; %bb.962:
	s_cmp_eq_u32 s29, 11
	s_cbranch_scc0 .LBB6_964
; %bb.963:
	s_wait_loadcnt 0x0
	global_load_u8 v1, v[2:3], off
	s_mov_b32 s28, 0
	s_mov_b32 s30, -1
	s_wait_loadcnt 0x0
	v_cmp_ne_u16_e32 vcc_lo, 0, v1
	v_cndmask_b32_e64 v4, 0, 1, vcc_lo
	s_branch .LBB6_965
.LBB6_964:
	s_mov_b32 s28, -1
                                        ; implicit-def: $vgpr4
.LBB6_965:
	s_mov_b32 s29, 0
.LBB6_966:
	s_delay_alu instid0(SALU_CYCLE_1)
	s_and_b32 vcc_lo, exec_lo, s29
	s_cbranch_vccz .LBB6_1015
; %bb.967:
	s_and_b32 s0, 0xffff, s0
	s_delay_alu instid0(SALU_CYCLE_1)
	s_cmp_lt_i32 s0, 5
	s_cbranch_scc1 .LBB6_972
; %bb.968:
	s_cmp_lt_i32 s0, 8
	s_cbranch_scc1 .LBB6_973
; %bb.969:
	;; [unrolled: 3-line block ×3, first 2 shown]
	s_cmp_gt_i32 s0, 9
	s_cbranch_scc0 .LBB6_975
; %bb.971:
	s_wait_loadcnt 0x0
	global_load_b64 v[4:5], v[2:3], off
	s_mov_b32 s29, 0
	s_wait_loadcnt 0x0
	v_trunc_f64_e32 v[4:5], v[4:5]
	s_delay_alu instid0(VALU_DEP_1) | instskip(NEXT) | instid1(VALU_DEP_1)
	v_ldexp_f64 v[6:7], v[4:5], 0xffffffe0
	v_floor_f64_e32 v[6:7], v[6:7]
	s_delay_alu instid0(VALU_DEP_1) | instskip(NEXT) | instid1(VALU_DEP_1)
	v_fmamk_f64 v[4:5], v[6:7], 0xc1f00000, v[4:5]
	v_cvt_u32_f64_e32 v4, v[4:5]
	s_branch .LBB6_976
.LBB6_972:
	s_mov_b32 s29, -1
                                        ; implicit-def: $vgpr4
	s_branch .LBB6_994
.LBB6_973:
	s_mov_b32 s29, -1
                                        ; implicit-def: $vgpr4
	s_branch .LBB6_982
.LBB6_974:
	s_mov_b32 s29, -1
                                        ; implicit-def: $vgpr4
	s_branch .LBB6_979
.LBB6_975:
	s_mov_b32 s29, -1
                                        ; implicit-def: $vgpr4
.LBB6_976:
	s_delay_alu instid0(SALU_CYCLE_1)
	s_and_not1_b32 vcc_lo, exec_lo, s29
	s_cbranch_vccnz .LBB6_978
; %bb.977:
	s_wait_loadcnt 0x0
	global_load_b32 v1, v[2:3], off
	s_wait_loadcnt 0x0
	v_trunc_f32_e32 v1, v1
	s_delay_alu instid0(VALU_DEP_1) | instskip(NEXT) | instid1(VALU_DEP_1)
	v_mul_f32_e64 v4, 0x2f800000, |v1|
	v_floor_f32_e32 v4, v4
	s_delay_alu instid0(VALU_DEP_1) | instskip(SKIP_1) | instid1(VALU_DEP_2)
	v_fma_f32 v4, 0xcf800000, v4, |v1|
	v_ashrrev_i32_e32 v1, 31, v1
	v_cvt_u32_f32_e32 v4, v4
	s_delay_alu instid0(VALU_DEP_1) | instskip(NEXT) | instid1(VALU_DEP_1)
	v_xor_b32_e32 v4, v4, v1
	v_sub_nc_u32_e32 v4, v4, v1
.LBB6_978:
	s_mov_b32 s29, 0
.LBB6_979:
	s_delay_alu instid0(SALU_CYCLE_1)
	s_and_not1_b32 vcc_lo, exec_lo, s29
	s_cbranch_vccnz .LBB6_981
; %bb.980:
	s_wait_loadcnt 0x0
	global_load_b32 v1, v[2:3], off
	s_wait_loadcnt 0x0
	v_cvt_f32_f16_e32 v1, v1
	s_delay_alu instid0(VALU_DEP_1)
	v_cvt_i32_f32_e32 v4, v1
.LBB6_981:
	s_mov_b32 s29, 0
.LBB6_982:
	s_delay_alu instid0(SALU_CYCLE_1)
	s_and_not1_b32 vcc_lo, exec_lo, s29
	s_cbranch_vccnz .LBB6_993
; %bb.983:
	s_cmp_lt_i32 s0, 6
	s_cbranch_scc1 .LBB6_986
; %bb.984:
	s_cmp_gt_i32 s0, 6
	s_cbranch_scc0 .LBB6_987
; %bb.985:
	s_wait_loadcnt 0x0
	global_load_b64 v[4:5], v[2:3], off
	s_mov_b32 s29, 0
	s_wait_loadcnt 0x0
	v_trunc_f64_e32 v[4:5], v[4:5]
	s_delay_alu instid0(VALU_DEP_1) | instskip(NEXT) | instid1(VALU_DEP_1)
	v_ldexp_f64 v[6:7], v[4:5], 0xffffffe0
	v_floor_f64_e32 v[6:7], v[6:7]
	s_delay_alu instid0(VALU_DEP_1) | instskip(NEXT) | instid1(VALU_DEP_1)
	v_fmamk_f64 v[4:5], v[6:7], 0xc1f00000, v[4:5]
	v_cvt_u32_f64_e32 v4, v[4:5]
	s_branch .LBB6_988
.LBB6_986:
	s_mov_b32 s29, -1
                                        ; implicit-def: $vgpr4
	s_branch .LBB6_991
.LBB6_987:
	s_mov_b32 s29, -1
                                        ; implicit-def: $vgpr4
.LBB6_988:
	s_delay_alu instid0(SALU_CYCLE_1)
	s_and_not1_b32 vcc_lo, exec_lo, s29
	s_cbranch_vccnz .LBB6_990
; %bb.989:
	s_wait_loadcnt 0x0
	global_load_b32 v1, v[2:3], off
	s_wait_loadcnt 0x0
	v_trunc_f32_e32 v1, v1
	s_delay_alu instid0(VALU_DEP_1) | instskip(NEXT) | instid1(VALU_DEP_1)
	v_mul_f32_e64 v4, 0x2f800000, |v1|
	v_floor_f32_e32 v4, v4
	s_delay_alu instid0(VALU_DEP_1) | instskip(SKIP_1) | instid1(VALU_DEP_2)
	v_fma_f32 v4, 0xcf800000, v4, |v1|
	v_ashrrev_i32_e32 v1, 31, v1
	v_cvt_u32_f32_e32 v4, v4
	s_delay_alu instid0(VALU_DEP_1) | instskip(NEXT) | instid1(VALU_DEP_1)
	v_xor_b32_e32 v4, v4, v1
	v_sub_nc_u32_e32 v4, v4, v1
.LBB6_990:
	s_mov_b32 s29, 0
.LBB6_991:
	s_delay_alu instid0(SALU_CYCLE_1)
	s_and_not1_b32 vcc_lo, exec_lo, s29
	s_cbranch_vccnz .LBB6_993
; %bb.992:
	s_wait_loadcnt 0x0
	global_load_u16 v1, v[2:3], off
	s_wait_loadcnt 0x0
	v_cvt_f32_f16_e32 v1, v1
	s_delay_alu instid0(VALU_DEP_1)
	v_cvt_i32_f32_e32 v4, v1
.LBB6_993:
	s_mov_b32 s29, 0
.LBB6_994:
	s_delay_alu instid0(SALU_CYCLE_1)
	s_and_not1_b32 vcc_lo, exec_lo, s29
	s_cbranch_vccnz .LBB6_1014
; %bb.995:
	s_cmp_lt_i32 s0, 2
	s_cbranch_scc1 .LBB6_999
; %bb.996:
	s_cmp_lt_i32 s0, 3
	s_cbranch_scc1 .LBB6_1000
; %bb.997:
	s_cmp_gt_i32 s0, 3
	s_cbranch_scc0 .LBB6_1001
; %bb.998:
	s_wait_loadcnt 0x0
	global_load_b64 v[4:5], v[2:3], off
	s_mov_b32 s29, 0
	s_branch .LBB6_1002
.LBB6_999:
	s_mov_b32 s29, -1
                                        ; implicit-def: $vgpr4
	s_branch .LBB6_1008
.LBB6_1000:
	s_mov_b32 s29, -1
                                        ; implicit-def: $vgpr4
	s_branch .LBB6_1005
.LBB6_1001:
	s_mov_b32 s29, -1
                                        ; implicit-def: $vgpr4
.LBB6_1002:
	s_delay_alu instid0(SALU_CYCLE_1)
	s_and_not1_b32 vcc_lo, exec_lo, s29
	s_cbranch_vccnz .LBB6_1004
; %bb.1003:
	s_wait_loadcnt 0x0
	global_load_b32 v4, v[2:3], off
.LBB6_1004:
	s_mov_b32 s29, 0
.LBB6_1005:
	s_delay_alu instid0(SALU_CYCLE_1)
	s_and_not1_b32 vcc_lo, exec_lo, s29
	s_cbranch_vccnz .LBB6_1007
; %bb.1006:
	s_wait_loadcnt 0x0
	global_load_u16 v4, v[2:3], off
.LBB6_1007:
	s_mov_b32 s29, 0
.LBB6_1008:
	s_delay_alu instid0(SALU_CYCLE_1)
	s_and_not1_b32 vcc_lo, exec_lo, s29
	s_cbranch_vccnz .LBB6_1014
; %bb.1009:
	s_cmp_gt_i32 s0, 0
	s_mov_b32 s0, 0
	s_cbranch_scc0 .LBB6_1011
; %bb.1010:
	s_wait_loadcnt 0x0
	global_load_u8 v4, v[2:3], off
	s_branch .LBB6_1012
.LBB6_1011:
	s_mov_b32 s0, -1
                                        ; implicit-def: $vgpr4
.LBB6_1012:
	s_delay_alu instid0(SALU_CYCLE_1)
	s_and_not1_b32 vcc_lo, exec_lo, s0
	s_cbranch_vccnz .LBB6_1014
; %bb.1013:
	s_wait_loadcnt 0x0
	global_load_u8 v4, v[2:3], off
.LBB6_1014:
	s_mov_b32 s30, -1
.LBB6_1015:
	s_delay_alu instid0(SALU_CYCLE_1)
	s_and_not1_b32 vcc_lo, exec_lo, s30
	s_cbranch_vccnz .LBB6_1023
; %bb.1016:
	s_wait_xcnt 0x0
	v_mul_lo_u32 v2, v18, s8
	s_wait_loadcnt 0x0
	s_delay_alu instid0(VALU_DEP_2) | instskip(SKIP_2) | instid1(VALU_DEP_1)
	v_and_b32_e32 v1, 0xff, v4
	v_and_b32_e32 v0, 0xff, v0
	s_and_b32 s30, s12, 0xff
	v_cmp_ne_u16_e32 vcc_lo, v0, v1
	s_delay_alu instid0(VALU_DEP_4) | instskip(SKIP_2) | instid1(VALU_DEP_1)
	v_ashrrev_i32_e32 v3, 31, v2
	s_xor_b32 s29, s16, vcc_lo
	s_cmp_lt_i32 s30, 11
	v_add_nc_u64_e32 v[0:1], s[4:5], v[2:3]
	s_cbranch_scc1 .LBB6_1024
; %bb.1017:
	s_and_b32 s31, 0xffff, s30
	s_delay_alu instid0(SALU_CYCLE_1)
	s_cmp_gt_i32 s31, 25
	s_cbranch_scc0 .LBB6_1025
; %bb.1018:
	s_cmp_gt_i32 s31, 28
	s_cbranch_scc0 .LBB6_1026
; %bb.1019:
	;; [unrolled: 3-line block ×4, first 2 shown]
	s_mov_b32 s34, 0
	s_mov_b32 s0, -1
	s_cmp_eq_u32 s31, 46
	s_mov_b32 s33, 0
	s_cbranch_scc0 .LBB6_1029
; %bb.1022:
	v_cndmask_b32_e64 v2, 0, 1.0, s29
	s_mov_b32 s33, -1
	s_mov_b32 s0, 0
	s_delay_alu instid0(VALU_DEP_1) | instskip(NEXT) | instid1(VALU_DEP_1)
	v_bfe_u32 v3, v2, 16, 1
	v_add3_u32 v2, v2, v3, 0x7fff
	s_delay_alu instid0(VALU_DEP_1)
	v_lshrrev_b32_e32 v2, 16, v2
	global_store_b32 v[0:1], v2, off
	s_branch .LBB6_1029
.LBB6_1023:
	s_mov_b32 s30, 0
	s_mov_b32 s0, s23
	s_branch .LBB6_1140
.LBB6_1024:
	s_mov_b32 s31, -1
	s_mov_b32 s33, 0
	s_mov_b32 s0, s23
	s_branch .LBB6_1098
.LBB6_1025:
	s_mov_b32 s33, 0
	s_mov_b32 s0, s23
	s_branch .LBB6_1056
.LBB6_1026:
	s_mov_b32 s33, 0
	s_mov_b32 s0, s23
	s_branch .LBB6_1039
.LBB6_1027:
	s_mov_b32 s33, 0
	s_mov_b32 s0, s23
	s_branch .LBB6_1035
.LBB6_1028:
	s_mov_b32 s33, 0
	s_mov_b32 s0, s23
.LBB6_1029:
	s_and_b32 vcc_lo, exec_lo, s34
	s_cbranch_vccz .LBB6_1034
; %bb.1030:
	s_cmp_eq_u32 s31, 44
	s_mov_b32 s0, -1
	s_cbranch_scc0 .LBB6_1034
; %bb.1031:
	v_cndmask_b32_e64 v4, 0, 1.0, s29
	s_mov_b32 s33, exec_lo
	s_wait_xcnt 0x0
	s_delay_alu instid0(VALU_DEP_1) | instskip(NEXT) | instid1(VALU_DEP_1)
	v_dual_mov_b32 v3, 0xff :: v_dual_lshrrev_b32 v2, 23, v4
	v_cmpx_ne_u32_e32 0xff, v2
; %bb.1032:
	v_and_b32_e32 v3, 0x400000, v4
	v_and_or_b32 v4, 0x3fffff, v4, v2
	s_delay_alu instid0(VALU_DEP_2) | instskip(NEXT) | instid1(VALU_DEP_2)
	v_cmp_ne_u32_e32 vcc_lo, 0, v3
	v_cmp_ne_u32_e64 s0, 0, v4
	s_and_b32 s0, vcc_lo, s0
	s_delay_alu instid0(SALU_CYCLE_1) | instskip(NEXT) | instid1(VALU_DEP_1)
	v_cndmask_b32_e64 v3, 0, 1, s0
	v_add_nc_u32_e32 v3, v2, v3
; %bb.1033:
	s_or_b32 exec_lo, exec_lo, s33
	s_mov_b32 s33, -1
	s_mov_b32 s0, 0
	global_store_b8 v[0:1], v3, off
.LBB6_1034:
	s_mov_b32 s34, 0
.LBB6_1035:
	s_delay_alu instid0(SALU_CYCLE_1)
	s_and_b32 vcc_lo, exec_lo, s34
	s_cbranch_vccz .LBB6_1038
; %bb.1036:
	s_cmp_eq_u32 s31, 29
	s_mov_b32 s0, -1
	s_cbranch_scc0 .LBB6_1038
; %bb.1037:
	s_mov_b32 s0, 0
	s_wait_xcnt 0x0
	v_cndmask_b32_e64 v2, 0, 1, s29
	v_mov_b32_e32 v3, s0
	s_mov_b32 s33, -1
	s_mov_b32 s34, 0
	global_store_b64 v[0:1], v[2:3], off
	s_branch .LBB6_1039
.LBB6_1038:
	s_mov_b32 s34, 0
.LBB6_1039:
	s_delay_alu instid0(SALU_CYCLE_1)
	s_and_b32 vcc_lo, exec_lo, s34
	s_cbranch_vccz .LBB6_1055
; %bb.1040:
	s_cmp_lt_i32 s31, 27
	s_mov_b32 s33, -1
	s_cbranch_scc1 .LBB6_1046
; %bb.1041:
	s_cmp_gt_i32 s31, 27
	s_cbranch_scc0 .LBB6_1043
; %bb.1042:
	s_wait_xcnt 0x0
	v_cndmask_b32_e64 v2, 0, 1, s29
	s_mov_b32 s33, 0
	global_store_b32 v[0:1], v2, off
.LBB6_1043:
	s_and_not1_b32 vcc_lo, exec_lo, s33
	s_cbranch_vccnz .LBB6_1045
; %bb.1044:
	s_wait_xcnt 0x0
	v_cndmask_b32_e64 v2, 0, 1, s29
	global_store_b16 v[0:1], v2, off
.LBB6_1045:
	s_mov_b32 s33, 0
.LBB6_1046:
	s_delay_alu instid0(SALU_CYCLE_1)
	s_and_not1_b32 vcc_lo, exec_lo, s33
	s_cbranch_vccnz .LBB6_1054
; %bb.1047:
	s_wait_xcnt 0x0
	v_cndmask_b32_e64 v3, 0, 1.0, s29
	v_mov_b32_e32 v4, 0x80
	s_mov_b32 s33, exec_lo
	s_delay_alu instid0(VALU_DEP_2)
	v_cmpx_gt_u32_e32 0x43800000, v3
	s_cbranch_execz .LBB6_1053
; %bb.1048:
	s_mov_b32 s34, 0
	s_mov_b32 s35, exec_lo
                                        ; implicit-def: $vgpr2
	v_cmpx_lt_u32_e32 0x3bffffff, v3
	s_xor_b32 s35, exec_lo, s35
	s_cbranch_execz .LBB6_1156
; %bb.1049:
	v_bfe_u32 v2, v3, 20, 1
	s_mov_b32 s34, exec_lo
	s_delay_alu instid0(VALU_DEP_1) | instskip(NEXT) | instid1(VALU_DEP_1)
	v_add3_u32 v2, v3, v2, 0x487ffff
                                        ; implicit-def: $vgpr3
	v_lshrrev_b32_e32 v2, 20, v2
	s_and_not1_saveexec_b32 s35, s35
	s_cbranch_execnz .LBB6_1157
.LBB6_1050:
	s_or_b32 exec_lo, exec_lo, s35
	v_mov_b32_e32 v4, 0
	s_and_saveexec_b32 s35, s34
.LBB6_1051:
	v_mov_b32_e32 v4, v2
.LBB6_1052:
	s_or_b32 exec_lo, exec_lo, s35
.LBB6_1053:
	s_delay_alu instid0(SALU_CYCLE_1)
	s_or_b32 exec_lo, exec_lo, s33
	global_store_b8 v[0:1], v4, off
.LBB6_1054:
	s_mov_b32 s33, -1
.LBB6_1055:
	s_mov_b32 s34, 0
.LBB6_1056:
	s_delay_alu instid0(SALU_CYCLE_1)
	s_and_b32 vcc_lo, exec_lo, s34
	s_cbranch_vccz .LBB6_1097
; %bb.1057:
	s_cmp_gt_i32 s31, 22
	s_mov_b32 s34, -1
	s_cbranch_scc0 .LBB6_1089
; %bb.1058:
	s_cmp_lt_i32 s31, 24
	s_mov_b32 s33, -1
	s_cbranch_scc1 .LBB6_1078
; %bb.1059:
	s_cmp_gt_i32 s31, 24
	s_cbranch_scc0 .LBB6_1067
; %bb.1060:
	s_wait_xcnt 0x0
	v_cndmask_b32_e64 v3, 0, 1.0, s29
	v_mov_b32_e32 v4, 0x80
	s_mov_b32 s33, exec_lo
	s_delay_alu instid0(VALU_DEP_2)
	v_cmpx_gt_u32_e32 0x47800000, v3
	s_cbranch_execz .LBB6_1066
; %bb.1061:
	s_mov_b32 s34, 0
	s_mov_b32 s35, exec_lo
                                        ; implicit-def: $vgpr2
	v_cmpx_lt_u32_e32 0x37ffffff, v3
	s_xor_b32 s35, exec_lo, s35
	s_cbranch_execz .LBB6_2155
; %bb.1062:
	v_bfe_u32 v2, v3, 21, 1
	s_mov_b32 s34, exec_lo
	s_delay_alu instid0(VALU_DEP_1) | instskip(NEXT) | instid1(VALU_DEP_1)
	v_add3_u32 v2, v3, v2, 0x88fffff
                                        ; implicit-def: $vgpr3
	v_lshrrev_b32_e32 v2, 21, v2
	s_and_not1_saveexec_b32 s35, s35
	s_cbranch_execnz .LBB6_2156
.LBB6_1063:
	s_or_b32 exec_lo, exec_lo, s35
	v_mov_b32_e32 v4, 0
	s_and_saveexec_b32 s35, s34
.LBB6_1064:
	v_mov_b32_e32 v4, v2
.LBB6_1065:
	s_or_b32 exec_lo, exec_lo, s35
.LBB6_1066:
	s_delay_alu instid0(SALU_CYCLE_1)
	s_or_b32 exec_lo, exec_lo, s33
	s_mov_b32 s33, 0
	global_store_b8 v[0:1], v4, off
.LBB6_1067:
	s_and_b32 vcc_lo, exec_lo, s33
	s_cbranch_vccz .LBB6_1077
; %bb.1068:
	s_wait_xcnt 0x0
	v_cndmask_b32_e64 v3, 0, 1.0, s29
	s_mov_b32 s33, exec_lo
                                        ; implicit-def: $vgpr2
	s_delay_alu instid0(VALU_DEP_1)
	v_cmpx_gt_u32_e32 0x43f00000, v3
	s_xor_b32 s33, exec_lo, s33
	s_cbranch_execz .LBB6_1074
; %bb.1069:
	s_mov_b32 s34, exec_lo
                                        ; implicit-def: $vgpr2
	v_cmpx_lt_u32_e32 0x3c7fffff, v3
	s_xor_b32 s34, exec_lo, s34
; %bb.1070:
	v_bfe_u32 v2, v3, 20, 1
	s_delay_alu instid0(VALU_DEP_1) | instskip(NEXT) | instid1(VALU_DEP_1)
	v_add3_u32 v2, v3, v2, 0x407ffff
	v_and_b32_e32 v3, 0xff00000, v2
	v_lshrrev_b32_e32 v2, 20, v2
	s_delay_alu instid0(VALU_DEP_2) | instskip(NEXT) | instid1(VALU_DEP_2)
	v_cmp_ne_u32_e32 vcc_lo, 0x7f00000, v3
                                        ; implicit-def: $vgpr3
	v_cndmask_b32_e32 v2, 0x7e, v2, vcc_lo
; %bb.1071:
	s_and_not1_saveexec_b32 s34, s34
; %bb.1072:
	v_add_f32_e32 v2, 0x46800000, v3
; %bb.1073:
	s_or_b32 exec_lo, exec_lo, s34
                                        ; implicit-def: $vgpr3
.LBB6_1074:
	s_and_not1_saveexec_b32 s33, s33
; %bb.1075:
	v_mov_b32_e32 v2, 0x7f
	v_cmp_lt_u32_e32 vcc_lo, 0x7f800000, v3
	s_delay_alu instid0(VALU_DEP_2)
	v_cndmask_b32_e32 v2, 0x7e, v2, vcc_lo
; %bb.1076:
	s_or_b32 exec_lo, exec_lo, s33
	global_store_b8 v[0:1], v2, off
.LBB6_1077:
	s_mov_b32 s33, 0
.LBB6_1078:
	s_delay_alu instid0(SALU_CYCLE_1)
	s_and_not1_b32 vcc_lo, exec_lo, s33
	s_cbranch_vccnz .LBB6_1088
; %bb.1079:
	s_wait_xcnt 0x0
	v_cndmask_b32_e64 v3, 0, 1.0, s29
	s_mov_b32 s33, exec_lo
                                        ; implicit-def: $vgpr2
	s_delay_alu instid0(VALU_DEP_1)
	v_cmpx_gt_u32_e32 0x47800000, v3
	s_xor_b32 s33, exec_lo, s33
	s_cbranch_execz .LBB6_1085
; %bb.1080:
	s_mov_b32 s34, exec_lo
                                        ; implicit-def: $vgpr2
	v_cmpx_lt_u32_e32 0x387fffff, v3
	s_xor_b32 s34, exec_lo, s34
; %bb.1081:
	v_bfe_u32 v2, v3, 21, 1
	s_delay_alu instid0(VALU_DEP_1) | instskip(NEXT) | instid1(VALU_DEP_1)
	v_add3_u32 v2, v3, v2, 0x80fffff
                                        ; implicit-def: $vgpr3
	v_lshrrev_b32_e32 v2, 21, v2
; %bb.1082:
	s_and_not1_saveexec_b32 s34, s34
; %bb.1083:
	v_add_f32_e32 v2, 0x43000000, v3
; %bb.1084:
	s_or_b32 exec_lo, exec_lo, s34
                                        ; implicit-def: $vgpr3
.LBB6_1085:
	s_and_not1_saveexec_b32 s33, s33
; %bb.1086:
	v_mov_b32_e32 v2, 0x7f
	v_cmp_lt_u32_e32 vcc_lo, 0x7f800000, v3
	s_delay_alu instid0(VALU_DEP_2)
	v_cndmask_b32_e32 v2, 0x7c, v2, vcc_lo
; %bb.1087:
	s_or_b32 exec_lo, exec_lo, s33
	global_store_b8 v[0:1], v2, off
.LBB6_1088:
	s_mov_b32 s34, 0
	s_mov_b32 s33, -1
.LBB6_1089:
	s_and_not1_b32 vcc_lo, exec_lo, s34
	s_cbranch_vccnz .LBB6_1097
; %bb.1090:
	s_cmp_gt_i32 s31, 14
	s_mov_b32 s34, -1
	s_cbranch_scc0 .LBB6_1094
; %bb.1091:
	s_cmp_eq_u32 s31, 15
	s_mov_b32 s0, -1
	s_cbranch_scc0 .LBB6_1093
; %bb.1092:
	s_wait_xcnt 0x0
	v_cndmask_b32_e64 v2, 0, 1.0, s29
	s_mov_b32 s33, -1
	s_mov_b32 s0, 0
	s_delay_alu instid0(VALU_DEP_1) | instskip(NEXT) | instid1(VALU_DEP_1)
	v_bfe_u32 v3, v2, 16, 1
	v_add3_u32 v2, v2, v3, 0x7fff
	global_store_d16_hi_b16 v[0:1], v2, off
.LBB6_1093:
	s_mov_b32 s34, 0
.LBB6_1094:
	s_delay_alu instid0(SALU_CYCLE_1)
	s_and_b32 vcc_lo, exec_lo, s34
	s_cbranch_vccz .LBB6_1097
; %bb.1095:
	s_cmp_eq_u32 s31, 11
	s_mov_b32 s0, -1
	s_cbranch_scc0 .LBB6_1097
; %bb.1096:
	s_wait_xcnt 0x0
	v_cndmask_b32_e64 v2, 0, 1, s29
	s_mov_b32 s33, -1
	s_mov_b32 s0, 0
	global_store_b8 v[0:1], v2, off
.LBB6_1097:
	s_mov_b32 s31, 0
.LBB6_1098:
	s_delay_alu instid0(SALU_CYCLE_1)
	s_and_b32 vcc_lo, exec_lo, s31
	s_cbranch_vccz .LBB6_1137
; %bb.1099:
	s_and_b32 s30, 0xffff, s30
	s_mov_b32 s31, -1
	s_cmp_lt_i32 s30, 5
	s_cbranch_scc1 .LBB6_1120
; %bb.1100:
	s_cmp_lt_i32 s30, 8
	s_cbranch_scc1 .LBB6_1110
; %bb.1101:
	;; [unrolled: 3-line block ×3, first 2 shown]
	s_cmp_gt_i32 s30, 9
	s_cbranch_scc0 .LBB6_1104
; %bb.1103:
	s_wait_xcnt 0x0
	v_cndmask_b32_e64 v2, 0, 1, s29
	v_mov_b32_e32 v4, 0
	s_mov_b32 s31, 0
	s_delay_alu instid0(VALU_DEP_2) | instskip(NEXT) | instid1(VALU_DEP_2)
	v_cvt_f64_u32_e32 v[2:3], v2
	v_mov_b32_e32 v5, v4
	global_store_b128 v[0:1], v[2:5], off
.LBB6_1104:
	s_and_not1_b32 vcc_lo, exec_lo, s31
	s_cbranch_vccnz .LBB6_1106
; %bb.1105:
	s_wait_xcnt 0x0
	v_cndmask_b32_e64 v2, 0, 1.0, s29
	v_mov_b32_e32 v3, 0
	global_store_b64 v[0:1], v[2:3], off
.LBB6_1106:
	s_mov_b32 s31, 0
.LBB6_1107:
	s_delay_alu instid0(SALU_CYCLE_1)
	s_and_not1_b32 vcc_lo, exec_lo, s31
	s_cbranch_vccnz .LBB6_1109
; %bb.1108:
	s_wait_xcnt 0x0
	v_cndmask_b32_e64 v2, 0, 1.0, s29
	s_delay_alu instid0(VALU_DEP_1) | instskip(NEXT) | instid1(VALU_DEP_1)
	v_cvt_f16_f32_e32 v2, v2
	v_and_b32_e32 v2, 0xffff, v2
	global_store_b32 v[0:1], v2, off
.LBB6_1109:
	s_mov_b32 s31, 0
.LBB6_1110:
	s_delay_alu instid0(SALU_CYCLE_1)
	s_and_not1_b32 vcc_lo, exec_lo, s31
	s_cbranch_vccnz .LBB6_1119
; %bb.1111:
	s_cmp_lt_i32 s30, 6
	s_mov_b32 s31, -1
	s_cbranch_scc1 .LBB6_1117
; %bb.1112:
	s_cmp_gt_i32 s30, 6
	s_cbranch_scc0 .LBB6_1114
; %bb.1113:
	s_wait_xcnt 0x0
	v_cndmask_b32_e64 v2, 0, 1, s29
	s_mov_b32 s31, 0
	s_delay_alu instid0(VALU_DEP_1)
	v_cvt_f64_u32_e32 v[2:3], v2
	global_store_b64 v[0:1], v[2:3], off
.LBB6_1114:
	s_and_not1_b32 vcc_lo, exec_lo, s31
	s_cbranch_vccnz .LBB6_1116
; %bb.1115:
	s_wait_xcnt 0x0
	v_cndmask_b32_e64 v2, 0, 1.0, s29
	global_store_b32 v[0:1], v2, off
.LBB6_1116:
	s_mov_b32 s31, 0
.LBB6_1117:
	s_delay_alu instid0(SALU_CYCLE_1)
	s_and_not1_b32 vcc_lo, exec_lo, s31
	s_cbranch_vccnz .LBB6_1119
; %bb.1118:
	s_wait_xcnt 0x0
	v_cndmask_b32_e64 v2, 0, 1.0, s29
	s_delay_alu instid0(VALU_DEP_1)
	v_cvt_f16_f32_e32 v2, v2
	global_store_b16 v[0:1], v2, off
.LBB6_1119:
	s_mov_b32 s31, 0
.LBB6_1120:
	s_delay_alu instid0(SALU_CYCLE_1)
	s_and_not1_b32 vcc_lo, exec_lo, s31
	s_cbranch_vccnz .LBB6_1136
; %bb.1121:
	s_cmp_lt_i32 s30, 2
	s_mov_b32 s31, -1
	s_cbranch_scc1 .LBB6_1131
; %bb.1122:
	s_cmp_lt_i32 s30, 3
	s_cbranch_scc1 .LBB6_1128
; %bb.1123:
	s_cmp_gt_i32 s30, 3
	s_cbranch_scc0 .LBB6_1125
; %bb.1124:
	s_mov_b32 s31, 0
	s_wait_xcnt 0x0
	v_cndmask_b32_e64 v2, 0, 1, s29
	v_mov_b32_e32 v3, s31
	global_store_b64 v[0:1], v[2:3], off
.LBB6_1125:
	s_and_not1_b32 vcc_lo, exec_lo, s31
	s_cbranch_vccnz .LBB6_1127
; %bb.1126:
	s_wait_xcnt 0x0
	v_cndmask_b32_e64 v2, 0, 1, s29
	global_store_b32 v[0:1], v2, off
.LBB6_1127:
	s_mov_b32 s31, 0
.LBB6_1128:
	s_delay_alu instid0(SALU_CYCLE_1)
	s_and_not1_b32 vcc_lo, exec_lo, s31
	s_cbranch_vccnz .LBB6_1130
; %bb.1129:
	s_wait_xcnt 0x0
	v_cndmask_b32_e64 v2, 0, 1, s29
	global_store_b16 v[0:1], v2, off
.LBB6_1130:
	s_mov_b32 s31, 0
.LBB6_1131:
	s_delay_alu instid0(SALU_CYCLE_1)
	s_and_not1_b32 vcc_lo, exec_lo, s31
	s_cbranch_vccnz .LBB6_1136
; %bb.1132:
	s_wait_xcnt 0x0
	v_cndmask_b32_e64 v2, 0, 1, s29
	s_cmp_gt_i32 s30, 0
	s_mov_b32 s29, -1
	s_cbranch_scc0 .LBB6_1134
; %bb.1133:
	s_mov_b32 s29, 0
	global_store_b8 v[0:1], v2, off
.LBB6_1134:
	s_and_not1_b32 vcc_lo, exec_lo, s29
	s_cbranch_vccnz .LBB6_1136
; %bb.1135:
	global_store_b8 v[0:1], v2, off
.LBB6_1136:
	s_mov_b32 s33, -1
.LBB6_1137:
	s_delay_alu instid0(SALU_CYCLE_1)
	s_and_not1_b32 vcc_lo, exec_lo, s33
	s_cbranch_vccnz .LBB6_1139
; %bb.1138:
	v_add_nc_u32_e32 v18, 0x80, v18
	s_mov_b32 s30, -1
	s_branch .LBB6_1141
.LBB6_1139:
	s_mov_b32 s30, 0
.LBB6_1140:
                                        ; implicit-def: $vgpr18
.LBB6_1141:
	s_and_not1_b32 s29, s23, exec_lo
	s_and_b32 s0, s0, exec_lo
	s_and_b32 s28, s28, exec_lo
	s_or_b32 s29, s29, s0
	s_and_not1_b32 s0, s24, exec_lo
	s_and_not1_b32 s31, s22, exec_lo
	s_and_b32 s27, s27, exec_lo
	s_or_b32 s28, s0, s28
	s_or_b32 s27, s31, s27
	s_or_not1_b32 s34, s30, exec_lo
.LBB6_1142:
	s_wait_xcnt 0x0
	s_or_b32 exec_lo, exec_lo, s26
	s_mov_b32 s30, 0
	s_mov_b32 s31, 0
	;; [unrolled: 1-line block ×3, first 2 shown]
                                        ; implicit-def: $sgpr0
                                        ; implicit-def: $vgpr2_vgpr3
                                        ; implicit-def: $vgpr0
	s_and_saveexec_b32 s26, s34
	s_cbranch_execz .LBB6_1221
; %bb.1143:
	v_cmp_gt_i32_e32 vcc_lo, s17, v18
	s_mov_b32 s35, s27
	s_mov_b32 s34, 0
	;; [unrolled: 1-line block ×3, first 2 shown]
                                        ; implicit-def: $sgpr0
                                        ; implicit-def: $vgpr2_vgpr3
                                        ; implicit-def: $vgpr0
	s_and_saveexec_b32 s17, vcc_lo
	s_cbranch_execz .LBB6_1220
; %bb.1144:
	s_wait_loadcnt 0x0
	v_mul_lo_u32 v0, v18, s9
	s_and_b32 s0, s14, 0xff
	s_delay_alu instid0(SALU_CYCLE_1) | instskip(NEXT) | instid1(VALU_DEP_1)
	s_cmp_lt_i32 s0, 11
	v_ashrrev_i32_e32 v1, 31, v0
	s_delay_alu instid0(VALU_DEP_1)
	v_add_nc_u64_e32 v[2:3], s[6:7], v[0:1]
	s_cbranch_scc1 .LBB6_1151
; %bb.1145:
	s_and_b32 s30, 0xffff, s0
	s_delay_alu instid0(SALU_CYCLE_1)
	s_cmp_gt_i32 s30, 25
	s_cbranch_scc0 .LBB6_1152
; %bb.1146:
	s_cmp_gt_i32 s30, 28
	s_cbranch_scc0 .LBB6_1153
; %bb.1147:
	;; [unrolled: 3-line block ×4, first 2 shown]
	s_cmp_eq_u32 s30, 46
	s_mov_b32 s35, 0
	s_cbranch_scc0 .LBB6_1158
; %bb.1150:
	global_load_b32 v0, v[2:3], off
	s_mov_b32 s34, -1
	s_wait_loadcnt 0x0
	v_lshlrev_b32_e32 v0, 16, v0
	s_delay_alu instid0(VALU_DEP_1) | instskip(NEXT) | instid1(VALU_DEP_1)
	v_trunc_f32_e32 v0, v0
	v_mul_f32_e64 v1, 0x2f800000, |v0|
	s_delay_alu instid0(VALU_DEP_1) | instskip(NEXT) | instid1(VALU_DEP_1)
	v_floor_f32_e32 v1, v1
	v_fma_f32 v1, 0xcf800000, v1, |v0|
	v_ashrrev_i32_e32 v0, 31, v0
	s_delay_alu instid0(VALU_DEP_2) | instskip(NEXT) | instid1(VALU_DEP_1)
	v_cvt_u32_f32_e32 v1, v1
	v_xor_b32_e32 v1, v1, v0
	s_delay_alu instid0(VALU_DEP_1)
	v_sub_nc_u32_e32 v0, v1, v0
	s_branch .LBB6_1160
.LBB6_1151:
	s_mov_b32 s30, -1
	s_mov_b32 s31, s27
                                        ; implicit-def: $vgpr0
	s_branch .LBB6_1219
.LBB6_1152:
	s_mov_b32 s35, -1
	s_mov_b32 s31, s27
                                        ; implicit-def: $vgpr0
	s_branch .LBB6_1187
.LBB6_1153:
	s_mov_b32 s35, -1
	s_mov_b32 s31, s27
                                        ; implicit-def: $vgpr0
	s_branch .LBB6_1170
.LBB6_1154:
	s_mov_b32 s35, -1
	s_mov_b32 s31, s27
                                        ; implicit-def: $vgpr0
	s_branch .LBB6_1165
.LBB6_1155:
	s_mov_b32 s35, -1
	s_mov_b32 s31, s27
	s_branch .LBB6_1159
.LBB6_1156:
	s_and_not1_saveexec_b32 s35, s35
	s_cbranch_execz .LBB6_1050
.LBB6_1157:
	v_add_f32_e32 v2, 0x46000000, v3
	s_and_not1_b32 s34, s34, exec_lo
	s_delay_alu instid0(VALU_DEP_1) | instskip(NEXT) | instid1(VALU_DEP_1)
	v_and_b32_e32 v2, 0xff, v2
	v_cmp_ne_u32_e32 vcc_lo, 0, v2
	s_and_b32 s36, vcc_lo, exec_lo
	s_delay_alu instid0(SALU_CYCLE_1)
	s_or_b32 s34, s34, s36
	s_or_b32 exec_lo, exec_lo, s35
	v_mov_b32_e32 v4, 0
	s_and_saveexec_b32 s35, s34
	s_cbranch_execnz .LBB6_1051
	s_branch .LBB6_1052
.LBB6_1158:
	s_mov_b32 s31, -1
.LBB6_1159:
                                        ; implicit-def: $vgpr0
.LBB6_1160:
	s_and_b32 vcc_lo, exec_lo, s35
	s_cbranch_vccz .LBB6_1164
; %bb.1161:
	s_cmp_eq_u32 s30, 44
	s_cbranch_scc0 .LBB6_1163
; %bb.1162:
	global_load_u8 v0, v[2:3], off
	s_mov_b32 s31, 0
	s_mov_b32 s34, -1
	s_wait_loadcnt 0x0
	v_lshlrev_b32_e32 v1, 23, v0
	v_cmp_ne_u32_e32 vcc_lo, 0, v0
	s_delay_alu instid0(VALU_DEP_2) | instskip(NEXT) | instid1(VALU_DEP_1)
	v_trunc_f32_e32 v1, v1
	v_mul_f32_e64 v4, 0x2f800000, |v1|
	s_delay_alu instid0(VALU_DEP_1) | instskip(NEXT) | instid1(VALU_DEP_1)
	v_floor_f32_e32 v4, v4
	v_fma_f32 v4, 0xcf800000, v4, |v1|
	v_ashrrev_i32_e32 v1, 31, v1
	s_delay_alu instid0(VALU_DEP_2) | instskip(NEXT) | instid1(VALU_DEP_1)
	v_cvt_u32_f32_e32 v4, v4
	v_xor_b32_e32 v4, v4, v1
	s_delay_alu instid0(VALU_DEP_1) | instskip(NEXT) | instid1(VALU_DEP_1)
	v_sub_nc_u32_e32 v1, v4, v1
	v_cndmask_b32_e32 v0, 0, v1, vcc_lo
	s_branch .LBB6_1164
.LBB6_1163:
	s_mov_b32 s31, -1
                                        ; implicit-def: $vgpr0
.LBB6_1164:
	s_mov_b32 s35, 0
.LBB6_1165:
	s_delay_alu instid0(SALU_CYCLE_1)
	s_and_b32 vcc_lo, exec_lo, s35
	s_cbranch_vccz .LBB6_1169
; %bb.1166:
	s_cmp_eq_u32 s30, 29
	s_cbranch_scc0 .LBB6_1168
; %bb.1167:
	global_load_b64 v[0:1], v[2:3], off
	s_mov_b32 s31, 0
	s_mov_b32 s34, -1
	s_branch .LBB6_1169
.LBB6_1168:
	s_mov_b32 s31, -1
                                        ; implicit-def: $vgpr0
.LBB6_1169:
	s_mov_b32 s35, 0
.LBB6_1170:
	s_delay_alu instid0(SALU_CYCLE_1)
	s_and_b32 vcc_lo, exec_lo, s35
	s_cbranch_vccz .LBB6_1186
; %bb.1171:
	s_cmp_lt_i32 s30, 27
	s_cbranch_scc1 .LBB6_1174
; %bb.1172:
	s_cmp_gt_i32 s30, 27
	s_cbranch_scc0 .LBB6_1175
; %bb.1173:
	s_wait_loadcnt 0x0
	global_load_b32 v0, v[2:3], off
	s_mov_b32 s34, 0
	s_branch .LBB6_1176
.LBB6_1174:
	s_mov_b32 s34, -1
                                        ; implicit-def: $vgpr0
	s_branch .LBB6_1179
.LBB6_1175:
	s_mov_b32 s34, -1
                                        ; implicit-def: $vgpr0
.LBB6_1176:
	s_delay_alu instid0(SALU_CYCLE_1)
	s_and_not1_b32 vcc_lo, exec_lo, s34
	s_cbranch_vccnz .LBB6_1178
; %bb.1177:
	s_wait_loadcnt 0x0
	global_load_u16 v0, v[2:3], off
.LBB6_1178:
	s_mov_b32 s34, 0
.LBB6_1179:
	s_delay_alu instid0(SALU_CYCLE_1)
	s_and_not1_b32 vcc_lo, exec_lo, s34
	s_cbranch_vccnz .LBB6_1185
; %bb.1180:
	s_wait_loadcnt 0x0
	global_load_u8 v1, v[2:3], off
	s_mov_b32 s35, 0
	s_mov_b32 s34, exec_lo
	s_wait_loadcnt 0x0
	v_cmpx_lt_i16_e32 0x7f, v1
	s_xor_b32 s34, exec_lo, s34
	s_cbranch_execz .LBB6_1197
; %bb.1181:
	v_cmp_ne_u16_e32 vcc_lo, 0x80, v1
	s_and_b32 s35, vcc_lo, exec_lo
	s_and_not1_saveexec_b32 s34, s34
	s_cbranch_execnz .LBB6_1198
.LBB6_1182:
	s_or_b32 exec_lo, exec_lo, s34
	v_mov_b32_e32 v0, 0
	s_and_saveexec_b32 s34, s35
	s_cbranch_execz .LBB6_1184
.LBB6_1183:
	v_and_b32_e32 v0, 0xffff, v1
	s_delay_alu instid0(VALU_DEP_1) | instskip(SKIP_1) | instid1(VALU_DEP_2)
	v_and_b32_e32 v4, 7, v0
	v_bfe_u32 v7, v0, 3, 4
	v_clz_i32_u32_e32 v5, v4
	s_delay_alu instid0(VALU_DEP_2) | instskip(NEXT) | instid1(VALU_DEP_2)
	v_cmp_eq_u32_e32 vcc_lo, 0, v7
	v_min_u32_e32 v5, 32, v5
	s_delay_alu instid0(VALU_DEP_1) | instskip(NEXT) | instid1(VALU_DEP_1)
	v_subrev_nc_u32_e32 v6, 28, v5
	v_dual_lshlrev_b32 v0, v6, v0 :: v_dual_sub_nc_u32 v5, 29, v5
	s_delay_alu instid0(VALU_DEP_1) | instskip(NEXT) | instid1(VALU_DEP_1)
	v_dual_lshlrev_b32 v1, 24, v1 :: v_dual_bitop2_b32 v0, 7, v0 bitop3:0x40
	v_dual_cndmask_b32 v0, v4, v0 :: v_dual_cndmask_b32 v5, v7, v5
	s_delay_alu instid0(VALU_DEP_2) | instskip(NEXT) | instid1(VALU_DEP_2)
	v_and_b32_e32 v1, 0x80000000, v1
	v_lshlrev_b32_e32 v0, 20, v0
	s_delay_alu instid0(VALU_DEP_3) | instskip(NEXT) | instid1(VALU_DEP_1)
	v_lshl_add_u32 v4, v5, 23, 0x3b800000
	v_or3_b32 v0, v1, v4, v0
	s_delay_alu instid0(VALU_DEP_1) | instskip(NEXT) | instid1(VALU_DEP_1)
	v_trunc_f32_e32 v0, v0
	v_mul_f32_e64 v1, 0x2f800000, |v0|
	s_delay_alu instid0(VALU_DEP_1) | instskip(NEXT) | instid1(VALU_DEP_1)
	v_floor_f32_e32 v1, v1
	v_fma_f32 v1, 0xcf800000, v1, |v0|
	v_ashrrev_i32_e32 v0, 31, v0
	s_delay_alu instid0(VALU_DEP_2) | instskip(NEXT) | instid1(VALU_DEP_1)
	v_cvt_u32_f32_e32 v1, v1
	v_xor_b32_e32 v1, v1, v0
	s_delay_alu instid0(VALU_DEP_1)
	v_sub_nc_u32_e32 v0, v1, v0
.LBB6_1184:
	s_or_b32 exec_lo, exec_lo, s34
.LBB6_1185:
	s_mov_b32 s34, -1
.LBB6_1186:
	s_mov_b32 s35, 0
.LBB6_1187:
	s_delay_alu instid0(SALU_CYCLE_1)
	s_and_b32 vcc_lo, exec_lo, s35
	s_cbranch_vccz .LBB6_1218
; %bb.1188:
	s_cmp_gt_i32 s30, 22
	s_cbranch_scc0 .LBB6_1196
; %bb.1189:
	s_cmp_lt_i32 s30, 24
	s_cbranch_scc1 .LBB6_1199
; %bb.1190:
	s_cmp_gt_i32 s30, 24
	s_cbranch_scc0 .LBB6_1200
; %bb.1191:
	s_wait_loadcnt 0x0
	global_load_u8 v1, v[2:3], off
	s_mov_b32 s34, 0
	s_mov_b32 s33, exec_lo
	s_wait_loadcnt 0x0
	v_cmpx_lt_i16_e32 0x7f, v1
	s_xor_b32 s33, exec_lo, s33
	s_cbranch_execz .LBB6_1212
; %bb.1192:
	v_cmp_ne_u16_e32 vcc_lo, 0x80, v1
	s_and_b32 s34, vcc_lo, exec_lo
	s_and_not1_saveexec_b32 s33, s33
	s_cbranch_execnz .LBB6_1213
.LBB6_1193:
	s_or_b32 exec_lo, exec_lo, s33
	v_mov_b32_e32 v0, 0
	s_and_saveexec_b32 s33, s34
	s_cbranch_execz .LBB6_1195
.LBB6_1194:
	v_and_b32_e32 v0, 0xffff, v1
	s_delay_alu instid0(VALU_DEP_1) | instskip(SKIP_1) | instid1(VALU_DEP_2)
	v_and_b32_e32 v4, 3, v0
	v_bfe_u32 v7, v0, 2, 5
	v_clz_i32_u32_e32 v5, v4
	s_delay_alu instid0(VALU_DEP_2) | instskip(NEXT) | instid1(VALU_DEP_2)
	v_cmp_eq_u32_e32 vcc_lo, 0, v7
	v_min_u32_e32 v5, 32, v5
	s_delay_alu instid0(VALU_DEP_1) | instskip(NEXT) | instid1(VALU_DEP_1)
	v_subrev_nc_u32_e32 v6, 29, v5
	v_dual_lshlrev_b32 v0, v6, v0 :: v_dual_sub_nc_u32 v5, 30, v5
	s_delay_alu instid0(VALU_DEP_1) | instskip(NEXT) | instid1(VALU_DEP_1)
	v_dual_lshlrev_b32 v1, 24, v1 :: v_dual_bitop2_b32 v0, 3, v0 bitop3:0x40
	v_dual_cndmask_b32 v0, v4, v0 :: v_dual_cndmask_b32 v5, v7, v5
	s_delay_alu instid0(VALU_DEP_2) | instskip(NEXT) | instid1(VALU_DEP_2)
	v_and_b32_e32 v1, 0x80000000, v1
	v_lshlrev_b32_e32 v0, 21, v0
	s_delay_alu instid0(VALU_DEP_3) | instskip(NEXT) | instid1(VALU_DEP_1)
	v_lshl_add_u32 v4, v5, 23, 0x37800000
	v_or3_b32 v0, v1, v4, v0
	s_delay_alu instid0(VALU_DEP_1) | instskip(NEXT) | instid1(VALU_DEP_1)
	v_trunc_f32_e32 v0, v0
	v_mul_f32_e64 v1, 0x2f800000, |v0|
	s_delay_alu instid0(VALU_DEP_1) | instskip(NEXT) | instid1(VALU_DEP_1)
	v_floor_f32_e32 v1, v1
	v_fma_f32 v1, 0xcf800000, v1, |v0|
	v_ashrrev_i32_e32 v0, 31, v0
	s_delay_alu instid0(VALU_DEP_2) | instskip(NEXT) | instid1(VALU_DEP_1)
	v_cvt_u32_f32_e32 v1, v1
	v_xor_b32_e32 v1, v1, v0
	s_delay_alu instid0(VALU_DEP_1)
	v_sub_nc_u32_e32 v0, v1, v0
.LBB6_1195:
	s_or_b32 exec_lo, exec_lo, s33
	s_mov_b32 s33, 0
	s_branch .LBB6_1201
.LBB6_1196:
	s_mov_b32 s33, -1
                                        ; implicit-def: $vgpr0
	s_branch .LBB6_1207
.LBB6_1197:
	s_and_not1_saveexec_b32 s34, s34
	s_cbranch_execz .LBB6_1182
.LBB6_1198:
	v_cmp_ne_u16_e32 vcc_lo, 0, v1
	s_and_not1_b32 s35, s35, exec_lo
	s_and_b32 s36, vcc_lo, exec_lo
	s_delay_alu instid0(SALU_CYCLE_1)
	s_or_b32 s35, s35, s36
	s_or_b32 exec_lo, exec_lo, s34
	v_mov_b32_e32 v0, 0
	s_and_saveexec_b32 s34, s35
	s_cbranch_execnz .LBB6_1183
	s_branch .LBB6_1184
.LBB6_1199:
	s_mov_b32 s33, -1
                                        ; implicit-def: $vgpr0
	s_branch .LBB6_1204
.LBB6_1200:
	s_mov_b32 s33, -1
                                        ; implicit-def: $vgpr0
.LBB6_1201:
	s_delay_alu instid0(SALU_CYCLE_1)
	s_and_b32 vcc_lo, exec_lo, s33
	s_cbranch_vccz .LBB6_1203
; %bb.1202:
	s_wait_loadcnt 0x0
	global_load_u8 v0, v[2:3], off
	s_wait_loadcnt 0x0
	v_lshlrev_b32_e32 v0, 24, v0
	s_delay_alu instid0(VALU_DEP_1) | instskip(NEXT) | instid1(VALU_DEP_1)
	v_and_b32_e32 v1, 0x7f000000, v0
	v_clz_i32_u32_e32 v4, v1
	v_cmp_ne_u32_e32 vcc_lo, 0, v1
	v_add_nc_u32_e32 v6, 0x1000000, v1
	s_delay_alu instid0(VALU_DEP_3) | instskip(NEXT) | instid1(VALU_DEP_1)
	v_min_u32_e32 v4, 32, v4
	v_sub_nc_u32_e64 v4, v4, 4 clamp
	s_delay_alu instid0(VALU_DEP_1) | instskip(NEXT) | instid1(VALU_DEP_1)
	v_dual_lshlrev_b32 v5, v4, v1 :: v_dual_lshlrev_b32 v4, 23, v4
	v_lshrrev_b32_e32 v5, 4, v5
	s_delay_alu instid0(VALU_DEP_1) | instskip(NEXT) | instid1(VALU_DEP_1)
	v_dual_sub_nc_u32 v4, v5, v4 :: v_dual_ashrrev_i32 v5, 8, v6
	v_add_nc_u32_e32 v4, 0x3c000000, v4
	s_delay_alu instid0(VALU_DEP_1) | instskip(NEXT) | instid1(VALU_DEP_1)
	v_and_or_b32 v4, 0x7f800000, v5, v4
	v_cndmask_b32_e32 v1, 0, v4, vcc_lo
	s_delay_alu instid0(VALU_DEP_1) | instskip(NEXT) | instid1(VALU_DEP_1)
	v_and_or_b32 v0, 0x80000000, v0, v1
	v_trunc_f32_e32 v0, v0
	s_delay_alu instid0(VALU_DEP_1) | instskip(NEXT) | instid1(VALU_DEP_1)
	v_mul_f32_e64 v1, 0x2f800000, |v0|
	v_floor_f32_e32 v1, v1
	s_delay_alu instid0(VALU_DEP_1) | instskip(SKIP_1) | instid1(VALU_DEP_2)
	v_fma_f32 v1, 0xcf800000, v1, |v0|
	v_ashrrev_i32_e32 v0, 31, v0
	v_cvt_u32_f32_e32 v1, v1
	s_delay_alu instid0(VALU_DEP_1) | instskip(NEXT) | instid1(VALU_DEP_1)
	v_xor_b32_e32 v1, v1, v0
	v_sub_nc_u32_e32 v0, v1, v0
.LBB6_1203:
	s_mov_b32 s33, 0
.LBB6_1204:
	s_delay_alu instid0(SALU_CYCLE_1)
	s_and_not1_b32 vcc_lo, exec_lo, s33
	s_cbranch_vccnz .LBB6_1206
; %bb.1205:
	s_wait_loadcnt 0x0
	global_load_u8 v0, v[2:3], off
	s_wait_loadcnt 0x0
	v_lshlrev_b32_e32 v1, 25, v0
	v_lshlrev_b16 v0, 8, v0
	s_delay_alu instid0(VALU_DEP_1) | instskip(SKIP_1) | instid1(VALU_DEP_2)
	v_and_or_b32 v5, 0x7f00, v0, 0.5
	v_bfe_i32 v0, v0, 0, 16
	v_add_f32_e32 v5, -0.5, v5
	v_lshrrev_b32_e32 v4, 4, v1
	v_cmp_gt_u32_e32 vcc_lo, 0x8000000, v1
	s_delay_alu instid0(VALU_DEP_2) | instskip(NEXT) | instid1(VALU_DEP_1)
	v_or_b32_e32 v4, 0x70000000, v4
	v_mul_f32_e32 v4, 0x7800000, v4
	s_delay_alu instid0(VALU_DEP_1) | instskip(NEXT) | instid1(VALU_DEP_1)
	v_cndmask_b32_e32 v1, v4, v5, vcc_lo
	v_and_or_b32 v0, 0x80000000, v0, v1
	s_delay_alu instid0(VALU_DEP_1) | instskip(NEXT) | instid1(VALU_DEP_1)
	v_trunc_f32_e32 v0, v0
	v_mul_f32_e64 v1, 0x2f800000, |v0|
	s_delay_alu instid0(VALU_DEP_1) | instskip(NEXT) | instid1(VALU_DEP_1)
	v_floor_f32_e32 v1, v1
	v_fma_f32 v1, 0xcf800000, v1, |v0|
	v_ashrrev_i32_e32 v0, 31, v0
	s_delay_alu instid0(VALU_DEP_2) | instskip(NEXT) | instid1(VALU_DEP_1)
	v_cvt_u32_f32_e32 v1, v1
	v_xor_b32_e32 v1, v1, v0
	s_delay_alu instid0(VALU_DEP_1)
	v_sub_nc_u32_e32 v0, v1, v0
.LBB6_1206:
	s_mov_b32 s33, 0
	s_mov_b32 s34, -1
.LBB6_1207:
	s_and_not1_b32 vcc_lo, exec_lo, s33
	s_mov_b32 s33, 0
	s_cbranch_vccnz .LBB6_1218
; %bb.1208:
	s_cmp_gt_i32 s30, 14
	s_cbranch_scc0 .LBB6_1211
; %bb.1209:
	s_cmp_eq_u32 s30, 15
	s_cbranch_scc0 .LBB6_1214
; %bb.1210:
	s_wait_loadcnt 0x0
	global_load_u16 v0, v[2:3], off
	s_mov_b32 s31, 0
	s_mov_b32 s34, -1
	s_wait_loadcnt 0x0
	v_lshlrev_b32_e32 v0, 16, v0
	s_delay_alu instid0(VALU_DEP_1) | instskip(NEXT) | instid1(VALU_DEP_1)
	v_trunc_f32_e32 v0, v0
	v_mul_f32_e64 v1, 0x2f800000, |v0|
	s_delay_alu instid0(VALU_DEP_1) | instskip(NEXT) | instid1(VALU_DEP_1)
	v_floor_f32_e32 v1, v1
	v_fma_f32 v1, 0xcf800000, v1, |v0|
	v_ashrrev_i32_e32 v0, 31, v0
	s_delay_alu instid0(VALU_DEP_2) | instskip(NEXT) | instid1(VALU_DEP_1)
	v_cvt_u32_f32_e32 v1, v1
	v_xor_b32_e32 v1, v1, v0
	s_delay_alu instid0(VALU_DEP_1)
	v_sub_nc_u32_e32 v0, v1, v0
	s_branch .LBB6_1216
.LBB6_1211:
	s_mov_b32 s33, -1
	s_branch .LBB6_1215
.LBB6_1212:
	s_and_not1_saveexec_b32 s33, s33
	s_cbranch_execz .LBB6_1193
.LBB6_1213:
	v_cmp_ne_u16_e32 vcc_lo, 0, v1
	s_and_not1_b32 s34, s34, exec_lo
	s_and_b32 s35, vcc_lo, exec_lo
	s_delay_alu instid0(SALU_CYCLE_1)
	s_or_b32 s34, s34, s35
	s_or_b32 exec_lo, exec_lo, s33
	v_mov_b32_e32 v0, 0
	s_and_saveexec_b32 s33, s34
	s_cbranch_execnz .LBB6_1194
	s_branch .LBB6_1195
.LBB6_1214:
	s_mov_b32 s31, -1
.LBB6_1215:
                                        ; implicit-def: $vgpr0
.LBB6_1216:
	s_and_b32 vcc_lo, exec_lo, s33
	s_mov_b32 s33, 0
	s_cbranch_vccz .LBB6_1218
; %bb.1217:
	s_cmp_lg_u32 s30, 11
	s_mov_b32 s33, -1
	s_cselect_b32 s30, -1, 0
	s_and_not1_b32 s31, s31, exec_lo
	s_and_b32 s30, s30, exec_lo
	s_delay_alu instid0(SALU_CYCLE_1)
	s_or_b32 s31, s31, s30
.LBB6_1218:
	s_mov_b32 s30, 0
.LBB6_1219:
	s_and_not1_b32 s35, s27, exec_lo
	s_and_b32 s31, s31, exec_lo
	s_and_b32 s36, s34, exec_lo
	;; [unrolled: 1-line block ×4, first 2 shown]
	s_or_b32 s35, s35, s31
.LBB6_1220:
	s_wait_xcnt 0x0
	s_or_b32 exec_lo, exec_lo, s17
	s_delay_alu instid0(SALU_CYCLE_1)
	s_and_not1_b32 s17, s27, exec_lo
	s_and_b32 s27, s35, exec_lo
	s_and_b32 s33, s36, exec_lo
	;; [unrolled: 1-line block ×4, first 2 shown]
	s_or_b32 s27, s17, s27
.LBB6_1221:
	s_or_b32 exec_lo, exec_lo, s26
	s_delay_alu instid0(SALU_CYCLE_1)
	s_and_not1_b32 s17, s23, exec_lo
	s_and_b32 s23, s29, exec_lo
	s_and_not1_b32 s24, s24, exec_lo
	s_and_b32 s26, s28, exec_lo
	s_or_b32 s23, s17, s23
	s_and_not1_b32 s17, s22, exec_lo
	s_and_b32 s22, s27, exec_lo
	s_or_b32 s24, s24, s26
	s_and_b32 s29, s33, exec_lo
	s_and_b32 s28, s31, exec_lo
	;; [unrolled: 1-line block ×3, first 2 shown]
	s_or_b32 s22, s17, s22
.LBB6_1222:
	s_or_b32 exec_lo, exec_lo, s25
	s_delay_alu instid0(SALU_CYCLE_1)
	s_and_not1_b32 s17, s18, exec_lo
	s_and_b32 s18, s23, exec_lo
	s_and_not1_b32 s19, s19, exec_lo
	s_and_b32 s23, s24, exec_lo
	s_or_b32 s18, s17, s18
	s_and_not1_b32 s17, s20, exec_lo
	s_and_b32 s20, s22, exec_lo
	s_or_b32 s19, s19, s23
	s_and_b32 s23, s29, exec_lo
	s_and_b32 s24, s28, exec_lo
	s_and_b32 s22, s26, exec_lo
	s_or_b32 s20, s17, s20
	s_or_b32 exec_lo, exec_lo, s21
	s_mov_b32 s17, 0
	s_and_saveexec_b32 s21, s20
	s_cbranch_execz .LBB6_384
.LBB6_1223:
	s_mov_b32 s17, exec_lo
	s_and_not1_b32 s22, s22, exec_lo
	s_trap 2
	s_or_b32 exec_lo, exec_lo, s21
	s_and_saveexec_b32 s20, s22
	s_delay_alu instid0(SALU_CYCLE_1)
	s_xor_b32 s20, exec_lo, s20
	s_cbranch_execnz .LBB6_385
.LBB6_1224:
	s_or_b32 exec_lo, exec_lo, s20
	s_and_saveexec_b32 s20, s24
	s_cbranch_execz .LBB6_1270
.LBB6_1225:
	s_sext_i32_i16 s21, s0
	s_delay_alu instid0(SALU_CYCLE_1)
	s_cmp_lt_i32 s21, 5
	s_cbranch_scc1 .LBB6_1230
; %bb.1226:
	s_cmp_lt_i32 s21, 8
	s_cbranch_scc1 .LBB6_1231
; %bb.1227:
	;; [unrolled: 3-line block ×3, first 2 shown]
	s_cmp_gt_i32 s21, 9
	s_cbranch_scc0 .LBB6_1233
; %bb.1229:
	s_wait_loadcnt 0x0
	global_load_b64 v[0:1], v[2:3], off
	s_mov_b32 s21, 0
	s_wait_loadcnt 0x0
	v_trunc_f64_e32 v[0:1], v[0:1]
	s_delay_alu instid0(VALU_DEP_1) | instskip(NEXT) | instid1(VALU_DEP_1)
	v_ldexp_f64 v[4:5], v[0:1], 0xffffffe0
	v_floor_f64_e32 v[4:5], v[4:5]
	s_delay_alu instid0(VALU_DEP_1) | instskip(NEXT) | instid1(VALU_DEP_1)
	v_fmamk_f64 v[0:1], v[4:5], 0xc1f00000, v[0:1]
	v_cvt_u32_f64_e32 v0, v[0:1]
	s_branch .LBB6_1234
.LBB6_1230:
                                        ; implicit-def: $vgpr0
	s_branch .LBB6_1251
.LBB6_1231:
                                        ; implicit-def: $vgpr0
	s_branch .LBB6_1240
.LBB6_1232:
	s_mov_b32 s21, -1
                                        ; implicit-def: $vgpr0
	s_branch .LBB6_1237
.LBB6_1233:
	s_mov_b32 s21, -1
                                        ; implicit-def: $vgpr0
.LBB6_1234:
	s_delay_alu instid0(SALU_CYCLE_1)
	s_and_not1_b32 vcc_lo, exec_lo, s21
	s_cbranch_vccnz .LBB6_1236
; %bb.1235:
	s_wait_loadcnt 0x0
	global_load_b32 v0, v[2:3], off
	s_wait_loadcnt 0x0
	v_trunc_f32_e32 v0, v0
	s_delay_alu instid0(VALU_DEP_1) | instskip(NEXT) | instid1(VALU_DEP_1)
	v_mul_f32_e64 v1, 0x2f800000, |v0|
	v_floor_f32_e32 v1, v1
	s_delay_alu instid0(VALU_DEP_1) | instskip(SKIP_1) | instid1(VALU_DEP_2)
	v_fma_f32 v1, 0xcf800000, v1, |v0|
	v_ashrrev_i32_e32 v0, 31, v0
	v_cvt_u32_f32_e32 v1, v1
	s_delay_alu instid0(VALU_DEP_1) | instskip(NEXT) | instid1(VALU_DEP_1)
	v_xor_b32_e32 v1, v1, v0
	v_sub_nc_u32_e32 v0, v1, v0
.LBB6_1236:
	s_mov_b32 s21, 0
.LBB6_1237:
	s_delay_alu instid0(SALU_CYCLE_1)
	s_and_not1_b32 vcc_lo, exec_lo, s21
	s_cbranch_vccnz .LBB6_1239
; %bb.1238:
	s_wait_loadcnt 0x0
	global_load_b32 v0, v[2:3], off
	s_wait_loadcnt 0x0
	v_cvt_f32_f16_e32 v0, v0
	s_delay_alu instid0(VALU_DEP_1)
	v_cvt_i32_f32_e32 v0, v0
.LBB6_1239:
	s_cbranch_execnz .LBB6_1250
.LBB6_1240:
	s_sext_i32_i16 s21, s0
	s_delay_alu instid0(SALU_CYCLE_1)
	s_cmp_lt_i32 s21, 6
	s_cbranch_scc1 .LBB6_1243
; %bb.1241:
	s_cmp_gt_i32 s21, 6
	s_cbranch_scc0 .LBB6_1244
; %bb.1242:
	s_wait_loadcnt 0x0
	global_load_b64 v[0:1], v[2:3], off
	s_mov_b32 s21, 0
	s_wait_loadcnt 0x0
	v_trunc_f64_e32 v[0:1], v[0:1]
	s_delay_alu instid0(VALU_DEP_1) | instskip(NEXT) | instid1(VALU_DEP_1)
	v_ldexp_f64 v[4:5], v[0:1], 0xffffffe0
	v_floor_f64_e32 v[4:5], v[4:5]
	s_delay_alu instid0(VALU_DEP_1) | instskip(NEXT) | instid1(VALU_DEP_1)
	v_fmamk_f64 v[0:1], v[4:5], 0xc1f00000, v[0:1]
	v_cvt_u32_f64_e32 v0, v[0:1]
	s_branch .LBB6_1245
.LBB6_1243:
	s_mov_b32 s21, -1
                                        ; implicit-def: $vgpr0
	s_branch .LBB6_1248
.LBB6_1244:
	s_mov_b32 s21, -1
                                        ; implicit-def: $vgpr0
.LBB6_1245:
	s_delay_alu instid0(SALU_CYCLE_1)
	s_and_not1_b32 vcc_lo, exec_lo, s21
	s_cbranch_vccnz .LBB6_1247
; %bb.1246:
	s_wait_loadcnt 0x0
	global_load_b32 v0, v[2:3], off
	s_wait_loadcnt 0x0
	v_trunc_f32_e32 v0, v0
	s_delay_alu instid0(VALU_DEP_1) | instskip(NEXT) | instid1(VALU_DEP_1)
	v_mul_f32_e64 v1, 0x2f800000, |v0|
	v_floor_f32_e32 v1, v1
	s_delay_alu instid0(VALU_DEP_1) | instskip(SKIP_1) | instid1(VALU_DEP_2)
	v_fma_f32 v1, 0xcf800000, v1, |v0|
	v_ashrrev_i32_e32 v0, 31, v0
	v_cvt_u32_f32_e32 v1, v1
	s_delay_alu instid0(VALU_DEP_1) | instskip(NEXT) | instid1(VALU_DEP_1)
	v_xor_b32_e32 v1, v1, v0
	v_sub_nc_u32_e32 v0, v1, v0
.LBB6_1247:
	s_mov_b32 s21, 0
.LBB6_1248:
	s_delay_alu instid0(SALU_CYCLE_1)
	s_and_not1_b32 vcc_lo, exec_lo, s21
	s_cbranch_vccnz .LBB6_1250
; %bb.1249:
	s_wait_loadcnt 0x0
	global_load_u16 v0, v[2:3], off
	s_wait_loadcnt 0x0
	v_cvt_f32_f16_e32 v0, v0
	s_delay_alu instid0(VALU_DEP_1)
	v_cvt_i32_f32_e32 v0, v0
.LBB6_1250:
	s_cbranch_execnz .LBB6_1269
.LBB6_1251:
	s_sext_i32_i16 s21, s0
	s_delay_alu instid0(SALU_CYCLE_1)
	s_cmp_lt_i32 s21, 2
	s_cbranch_scc1 .LBB6_1255
; %bb.1252:
	s_cmp_lt_i32 s21, 3
	s_cbranch_scc1 .LBB6_1256
; %bb.1253:
	s_cmp_gt_i32 s21, 3
	s_cbranch_scc0 .LBB6_1257
; %bb.1254:
	s_wait_loadcnt 0x0
	global_load_b64 v[0:1], v[2:3], off
	s_mov_b32 s21, 0
	s_branch .LBB6_1258
.LBB6_1255:
                                        ; implicit-def: $vgpr0
	s_branch .LBB6_1264
.LBB6_1256:
	s_mov_b32 s21, -1
                                        ; implicit-def: $vgpr0
	s_branch .LBB6_1261
.LBB6_1257:
	s_mov_b32 s21, -1
                                        ; implicit-def: $vgpr0
.LBB6_1258:
	s_delay_alu instid0(SALU_CYCLE_1)
	s_and_not1_b32 vcc_lo, exec_lo, s21
	s_cbranch_vccnz .LBB6_1260
; %bb.1259:
	s_wait_loadcnt 0x0
	global_load_b32 v0, v[2:3], off
.LBB6_1260:
	s_mov_b32 s21, 0
.LBB6_1261:
	s_delay_alu instid0(SALU_CYCLE_1)
	s_and_not1_b32 vcc_lo, exec_lo, s21
	s_cbranch_vccnz .LBB6_1263
; %bb.1262:
	s_wait_loadcnt 0x0
	global_load_u16 v0, v[2:3], off
.LBB6_1263:
	s_cbranch_execnz .LBB6_1269
.LBB6_1264:
	s_sext_i32_i16 s0, s0
	s_delay_alu instid0(SALU_CYCLE_1)
	s_cmp_gt_i32 s0, 0
	s_mov_b32 s0, 0
	s_cbranch_scc0 .LBB6_1266
; %bb.1265:
	s_wait_loadcnt 0x0
	global_load_u8 v0, v[2:3], off
	s_branch .LBB6_1267
.LBB6_1266:
	s_mov_b32 s0, -1
                                        ; implicit-def: $vgpr0
.LBB6_1267:
	s_delay_alu instid0(SALU_CYCLE_1)
	s_and_not1_b32 vcc_lo, exec_lo, s0
	s_cbranch_vccnz .LBB6_1269
; %bb.1268:
	s_wait_loadcnt 0x0
	global_load_u8 v0, v[2:3], off
.LBB6_1269:
	s_or_b32 s23, s23, exec_lo
.LBB6_1270:
	s_wait_xcnt 0x0
	s_or_b32 exec_lo, exec_lo, s20
	s_mov_b32 s22, 0
	s_mov_b32 s21, 0
	;; [unrolled: 1-line block ×3, first 2 shown]
                                        ; implicit-def: $sgpr0
                                        ; implicit-def: $vgpr2_vgpr3
                                        ; implicit-def: $vgpr4
	s_and_saveexec_b32 s20, s23
	s_cbranch_execz .LBB6_1278
; %bb.1271:
	v_mul_lo_u32 v2, v18, s10
	s_and_b32 s0, s1, 0xff
	s_delay_alu instid0(SALU_CYCLE_1) | instskip(NEXT) | instid1(VALU_DEP_1)
	s_cmp_lt_i32 s0, 11
	v_ashrrev_i32_e32 v3, 31, v2
	s_delay_alu instid0(VALU_DEP_1)
	v_add_nc_u64_e32 v[2:3], s[2:3], v[2:3]
	s_cbranch_scc1 .LBB6_1281
; %bb.1272:
	s_and_b32 s21, 0xffff, s0
	s_mov_b32 s23, 0
	s_cmp_gt_i32 s21, 25
	s_cbranch_scc0 .LBB6_1282
; %bb.1273:
	s_cmp_gt_i32 s21, 28
	s_cbranch_scc0 .LBB6_1283
; %bb.1274:
	s_cmp_gt_i32 s21, 43
	s_cbranch_scc0 .LBB6_1284
; %bb.1275:
	s_cmp_gt_i32 s21, 45
	s_cbranch_scc0 .LBB6_1285
; %bb.1276:
	s_cmp_eq_u32 s21, 46
	s_mov_b32 s25, 0
	s_cbranch_scc0 .LBB6_1286
; %bb.1277:
	s_wait_loadcnt 0x0
	global_load_b32 v1, v[2:3], off
	s_mov_b32 s24, -1
	s_wait_loadcnt 0x0
	v_lshlrev_b32_e32 v1, 16, v1
	s_delay_alu instid0(VALU_DEP_1) | instskip(NEXT) | instid1(VALU_DEP_1)
	v_trunc_f32_e32 v1, v1
	v_mul_f32_e64 v4, 0x2f800000, |v1|
	s_delay_alu instid0(VALU_DEP_1) | instskip(NEXT) | instid1(VALU_DEP_1)
	v_floor_f32_e32 v4, v4
	v_fma_f32 v4, 0xcf800000, v4, |v1|
	v_ashrrev_i32_e32 v1, 31, v1
	s_delay_alu instid0(VALU_DEP_2) | instskip(NEXT) | instid1(VALU_DEP_1)
	v_cvt_u32_f32_e32 v4, v4
	v_xor_b32_e32 v4, v4, v1
	s_delay_alu instid0(VALU_DEP_1)
	v_sub_nc_u32_e32 v4, v4, v1
	s_branch .LBB6_1288
.LBB6_1278:
	s_or_b32 exec_lo, exec_lo, s20
	s_and_saveexec_b32 s20, s19
	s_cbranch_execnz .LBB6_1347
.LBB6_1279:
	s_or_b32 exec_lo, exec_lo, s20
	s_and_saveexec_b32 s19, s22
	s_delay_alu instid0(SALU_CYCLE_1)
	s_xor_b32 s19, exec_lo, s19
	s_cbranch_execz .LBB6_1348
.LBB6_1280:
	s_wait_loadcnt 0x0
	global_load_u8 v1, v[2:3], off
	s_or_b32 s24, s24, exec_lo
	s_wait_loadcnt 0x0
	v_cmp_ne_u16_e32 vcc_lo, 0, v1
	v_cndmask_b32_e64 v4, 0, 1, vcc_lo
	s_wait_xcnt 0x0
	s_or_b32 exec_lo, exec_lo, s19
	s_and_saveexec_b32 s19, s21
	s_cbranch_execz .LBB6_1394
	s_branch .LBB6_1349
.LBB6_1281:
	s_mov_b32 s21, -1
	s_mov_b32 s23, 0
	s_mov_b32 s22, s19
                                        ; implicit-def: $vgpr4
	s_branch .LBB6_1346
.LBB6_1282:
	s_mov_b32 s22, s19
                                        ; implicit-def: $vgpr4
	s_cbranch_execnz .LBB6_1315
	s_branch .LBB6_1345
.LBB6_1283:
	s_mov_b32 s25, -1
	s_mov_b32 s22, s19
                                        ; implicit-def: $vgpr4
	s_branch .LBB6_1298
.LBB6_1284:
	s_mov_b32 s25, -1
	s_mov_b32 s22, s19
                                        ; implicit-def: $vgpr4
	s_branch .LBB6_1293
.LBB6_1285:
	s_mov_b32 s25, -1
	s_mov_b32 s22, s19
	s_branch .LBB6_1287
.LBB6_1286:
	s_mov_b32 s22, -1
.LBB6_1287:
                                        ; implicit-def: $vgpr4
.LBB6_1288:
	s_and_b32 vcc_lo, exec_lo, s25
	s_cbranch_vccz .LBB6_1292
; %bb.1289:
	s_cmp_eq_u32 s21, 44
	s_cbranch_scc0 .LBB6_1291
; %bb.1290:
	s_wait_loadcnt 0x0
	global_load_u8 v1, v[2:3], off
	s_mov_b32 s22, 0
	s_mov_b32 s24, -1
	s_wait_loadcnt 0x0
	v_lshlrev_b32_e32 v4, 23, v1
	v_cmp_ne_u32_e32 vcc_lo, 0, v1
	s_delay_alu instid0(VALU_DEP_2) | instskip(NEXT) | instid1(VALU_DEP_1)
	v_trunc_f32_e32 v4, v4
	v_mul_f32_e64 v5, 0x2f800000, |v4|
	s_delay_alu instid0(VALU_DEP_1) | instskip(NEXT) | instid1(VALU_DEP_1)
	v_floor_f32_e32 v5, v5
	v_fma_f32 v5, 0xcf800000, v5, |v4|
	v_ashrrev_i32_e32 v4, 31, v4
	s_delay_alu instid0(VALU_DEP_2) | instskip(NEXT) | instid1(VALU_DEP_1)
	v_cvt_u32_f32_e32 v5, v5
	v_xor_b32_e32 v5, v5, v4
	s_delay_alu instid0(VALU_DEP_1) | instskip(NEXT) | instid1(VALU_DEP_1)
	v_sub_nc_u32_e32 v4, v5, v4
	v_cndmask_b32_e32 v4, 0, v4, vcc_lo
	s_branch .LBB6_1292
.LBB6_1291:
	s_mov_b32 s22, -1
                                        ; implicit-def: $vgpr4
.LBB6_1292:
	s_mov_b32 s25, 0
.LBB6_1293:
	s_delay_alu instid0(SALU_CYCLE_1)
	s_and_b32 vcc_lo, exec_lo, s25
	s_cbranch_vccz .LBB6_1297
; %bb.1294:
	s_cmp_eq_u32 s21, 29
	s_cbranch_scc0 .LBB6_1296
; %bb.1295:
	s_wait_loadcnt 0x0
	global_load_b64 v[4:5], v[2:3], off
	s_mov_b32 s22, 0
	s_mov_b32 s24, -1
	s_branch .LBB6_1297
.LBB6_1296:
	s_mov_b32 s22, -1
                                        ; implicit-def: $vgpr4
.LBB6_1297:
	s_mov_b32 s25, 0
.LBB6_1298:
	s_delay_alu instid0(SALU_CYCLE_1)
	s_and_b32 vcc_lo, exec_lo, s25
	s_cbranch_vccz .LBB6_1314
; %bb.1299:
	s_cmp_lt_i32 s21, 27
	s_cbranch_scc1 .LBB6_1302
; %bb.1300:
	s_cmp_gt_i32 s21, 27
	s_cbranch_scc0 .LBB6_1303
; %bb.1301:
	s_wait_loadcnt 0x0
	global_load_b32 v4, v[2:3], off
	s_mov_b32 s24, 0
	s_branch .LBB6_1304
.LBB6_1302:
	s_mov_b32 s24, -1
                                        ; implicit-def: $vgpr4
	s_branch .LBB6_1307
.LBB6_1303:
	s_mov_b32 s24, -1
                                        ; implicit-def: $vgpr4
.LBB6_1304:
	s_delay_alu instid0(SALU_CYCLE_1)
	s_and_not1_b32 vcc_lo, exec_lo, s24
	s_cbranch_vccnz .LBB6_1306
; %bb.1305:
	s_wait_loadcnt 0x0
	global_load_u16 v4, v[2:3], off
.LBB6_1306:
	s_mov_b32 s24, 0
.LBB6_1307:
	s_delay_alu instid0(SALU_CYCLE_1)
	s_and_not1_b32 vcc_lo, exec_lo, s24
	s_cbranch_vccnz .LBB6_1313
; %bb.1308:
	s_wait_loadcnt 0x0
	global_load_u8 v1, v[2:3], off
	s_mov_b32 s25, 0
	s_mov_b32 s24, exec_lo
	s_wait_loadcnt 0x0
	v_cmpx_lt_i16_e32 0x7f, v1
	s_xor_b32 s24, exec_lo, s24
	s_cbranch_execz .LBB6_1324
; %bb.1309:
	v_cmp_ne_u16_e32 vcc_lo, 0x80, v1
	s_and_b32 s25, vcc_lo, exec_lo
	s_and_not1_saveexec_b32 s24, s24
	s_cbranch_execnz .LBB6_1325
.LBB6_1310:
	s_or_b32 exec_lo, exec_lo, s24
	v_mov_b32_e32 v4, 0
	s_and_saveexec_b32 s24, s25
	s_cbranch_execz .LBB6_1312
.LBB6_1311:
	v_and_b32_e32 v4, 0xffff, v1
	s_delay_alu instid0(VALU_DEP_1) | instskip(SKIP_1) | instid1(VALU_DEP_2)
	v_and_b32_e32 v5, 7, v4
	v_bfe_u32 v8, v4, 3, 4
	v_clz_i32_u32_e32 v6, v5
	s_delay_alu instid0(VALU_DEP_2) | instskip(NEXT) | instid1(VALU_DEP_2)
	v_cmp_eq_u32_e32 vcc_lo, 0, v8
	v_min_u32_e32 v6, 32, v6
	s_delay_alu instid0(VALU_DEP_1) | instskip(NEXT) | instid1(VALU_DEP_1)
	v_subrev_nc_u32_e32 v7, 28, v6
	v_dual_lshlrev_b32 v4, v7, v4 :: v_dual_sub_nc_u32 v6, 29, v6
	s_delay_alu instid0(VALU_DEP_1) | instskip(NEXT) | instid1(VALU_DEP_1)
	v_dual_lshlrev_b32 v1, 24, v1 :: v_dual_bitop2_b32 v4, 7, v4 bitop3:0x40
	v_dual_cndmask_b32 v6, v8, v6, vcc_lo :: v_dual_cndmask_b32 v4, v5, v4, vcc_lo
	s_delay_alu instid0(VALU_DEP_2) | instskip(NEXT) | instid1(VALU_DEP_2)
	v_and_b32_e32 v1, 0x80000000, v1
	v_lshl_add_u32 v5, v6, 23, 0x3b800000
	s_delay_alu instid0(VALU_DEP_3) | instskip(NEXT) | instid1(VALU_DEP_1)
	v_lshlrev_b32_e32 v4, 20, v4
	v_or3_b32 v1, v1, v5, v4
	s_delay_alu instid0(VALU_DEP_1) | instskip(NEXT) | instid1(VALU_DEP_1)
	v_trunc_f32_e32 v1, v1
	v_mul_f32_e64 v4, 0x2f800000, |v1|
	s_delay_alu instid0(VALU_DEP_1) | instskip(NEXT) | instid1(VALU_DEP_1)
	v_floor_f32_e32 v4, v4
	v_fma_f32 v4, 0xcf800000, v4, |v1|
	v_ashrrev_i32_e32 v1, 31, v1
	s_delay_alu instid0(VALU_DEP_2) | instskip(NEXT) | instid1(VALU_DEP_1)
	v_cvt_u32_f32_e32 v4, v4
	v_xor_b32_e32 v4, v4, v1
	s_delay_alu instid0(VALU_DEP_1)
	v_sub_nc_u32_e32 v4, v4, v1
.LBB6_1312:
	s_or_b32 exec_lo, exec_lo, s24
.LBB6_1313:
	s_mov_b32 s24, -1
.LBB6_1314:
	s_branch .LBB6_1345
.LBB6_1315:
	s_cmp_gt_i32 s21, 22
	s_cbranch_scc0 .LBB6_1323
; %bb.1316:
	s_cmp_lt_i32 s21, 24
	s_cbranch_scc1 .LBB6_1326
; %bb.1317:
	s_cmp_gt_i32 s21, 24
	s_cbranch_scc0 .LBB6_1327
; %bb.1318:
	s_wait_loadcnt 0x0
	global_load_u8 v1, v[2:3], off
	s_mov_b32 s24, 0
	s_mov_b32 s23, exec_lo
	s_wait_loadcnt 0x0
	v_cmpx_lt_i16_e32 0x7f, v1
	s_xor_b32 s23, exec_lo, s23
	s_cbranch_execz .LBB6_1339
; %bb.1319:
	v_cmp_ne_u16_e32 vcc_lo, 0x80, v1
	s_and_b32 s24, vcc_lo, exec_lo
	s_and_not1_saveexec_b32 s23, s23
	s_cbranch_execnz .LBB6_1340
.LBB6_1320:
	s_or_b32 exec_lo, exec_lo, s23
	v_mov_b32_e32 v4, 0
	s_and_saveexec_b32 s23, s24
	s_cbranch_execz .LBB6_1322
.LBB6_1321:
	v_and_b32_e32 v4, 0xffff, v1
	s_delay_alu instid0(VALU_DEP_1) | instskip(SKIP_1) | instid1(VALU_DEP_2)
	v_and_b32_e32 v5, 3, v4
	v_bfe_u32 v8, v4, 2, 5
	v_clz_i32_u32_e32 v6, v5
	s_delay_alu instid0(VALU_DEP_2) | instskip(NEXT) | instid1(VALU_DEP_2)
	v_cmp_eq_u32_e32 vcc_lo, 0, v8
	v_min_u32_e32 v6, 32, v6
	s_delay_alu instid0(VALU_DEP_1) | instskip(NEXT) | instid1(VALU_DEP_1)
	v_subrev_nc_u32_e32 v7, 29, v6
	v_dual_lshlrev_b32 v4, v7, v4 :: v_dual_sub_nc_u32 v6, 30, v6
	s_delay_alu instid0(VALU_DEP_1) | instskip(NEXT) | instid1(VALU_DEP_1)
	v_dual_lshlrev_b32 v1, 24, v1 :: v_dual_bitop2_b32 v4, 3, v4 bitop3:0x40
	v_dual_cndmask_b32 v6, v8, v6, vcc_lo :: v_dual_cndmask_b32 v4, v5, v4, vcc_lo
	s_delay_alu instid0(VALU_DEP_2) | instskip(NEXT) | instid1(VALU_DEP_2)
	v_and_b32_e32 v1, 0x80000000, v1
	v_lshl_add_u32 v5, v6, 23, 0x37800000
	s_delay_alu instid0(VALU_DEP_3) | instskip(NEXT) | instid1(VALU_DEP_1)
	v_lshlrev_b32_e32 v4, 21, v4
	v_or3_b32 v1, v1, v5, v4
	s_delay_alu instid0(VALU_DEP_1) | instskip(NEXT) | instid1(VALU_DEP_1)
	v_trunc_f32_e32 v1, v1
	v_mul_f32_e64 v4, 0x2f800000, |v1|
	s_delay_alu instid0(VALU_DEP_1) | instskip(NEXT) | instid1(VALU_DEP_1)
	v_floor_f32_e32 v4, v4
	v_fma_f32 v4, 0xcf800000, v4, |v1|
	v_ashrrev_i32_e32 v1, 31, v1
	s_delay_alu instid0(VALU_DEP_2) | instskip(NEXT) | instid1(VALU_DEP_1)
	v_cvt_u32_f32_e32 v4, v4
	v_xor_b32_e32 v4, v4, v1
	s_delay_alu instid0(VALU_DEP_1)
	v_sub_nc_u32_e32 v4, v4, v1
.LBB6_1322:
	s_or_b32 exec_lo, exec_lo, s23
	s_mov_b32 s23, 0
	s_branch .LBB6_1328
.LBB6_1323:
	s_mov_b32 s23, -1
                                        ; implicit-def: $vgpr4
	s_branch .LBB6_1334
.LBB6_1324:
	s_and_not1_saveexec_b32 s24, s24
	s_cbranch_execz .LBB6_1310
.LBB6_1325:
	v_cmp_ne_u16_e32 vcc_lo, 0, v1
	s_and_not1_b32 s25, s25, exec_lo
	s_and_b32 s26, vcc_lo, exec_lo
	s_delay_alu instid0(SALU_CYCLE_1)
	s_or_b32 s25, s25, s26
	s_or_b32 exec_lo, exec_lo, s24
	v_mov_b32_e32 v4, 0
	s_and_saveexec_b32 s24, s25
	s_cbranch_execnz .LBB6_1311
	s_branch .LBB6_1312
.LBB6_1326:
	s_mov_b32 s23, -1
                                        ; implicit-def: $vgpr4
	s_branch .LBB6_1331
.LBB6_1327:
	s_mov_b32 s23, -1
                                        ; implicit-def: $vgpr4
.LBB6_1328:
	s_delay_alu instid0(SALU_CYCLE_1)
	s_and_b32 vcc_lo, exec_lo, s23
	s_cbranch_vccz .LBB6_1330
; %bb.1329:
	s_wait_loadcnt 0x0
	global_load_u8 v1, v[2:3], off
	s_wait_loadcnt 0x0
	v_lshlrev_b32_e32 v1, 24, v1
	s_delay_alu instid0(VALU_DEP_1) | instskip(NEXT) | instid1(VALU_DEP_1)
	v_and_b32_e32 v4, 0x7f000000, v1
	v_clz_i32_u32_e32 v5, v4
	v_cmp_ne_u32_e32 vcc_lo, 0, v4
	v_add_nc_u32_e32 v7, 0x1000000, v4
	s_delay_alu instid0(VALU_DEP_3) | instskip(NEXT) | instid1(VALU_DEP_1)
	v_min_u32_e32 v5, 32, v5
	v_sub_nc_u32_e64 v5, v5, 4 clamp
	s_delay_alu instid0(VALU_DEP_1) | instskip(NEXT) | instid1(VALU_DEP_1)
	v_dual_lshlrev_b32 v6, v5, v4 :: v_dual_lshlrev_b32 v5, 23, v5
	v_lshrrev_b32_e32 v6, 4, v6
	s_delay_alu instid0(VALU_DEP_1) | instskip(NEXT) | instid1(VALU_DEP_1)
	v_dual_sub_nc_u32 v5, v6, v5 :: v_dual_ashrrev_i32 v6, 8, v7
	v_add_nc_u32_e32 v5, 0x3c000000, v5
	s_delay_alu instid0(VALU_DEP_1) | instskip(NEXT) | instid1(VALU_DEP_1)
	v_and_or_b32 v5, 0x7f800000, v6, v5
	v_cndmask_b32_e32 v4, 0, v5, vcc_lo
	s_delay_alu instid0(VALU_DEP_1) | instskip(NEXT) | instid1(VALU_DEP_1)
	v_and_or_b32 v1, 0x80000000, v1, v4
	v_trunc_f32_e32 v1, v1
	s_delay_alu instid0(VALU_DEP_1) | instskip(NEXT) | instid1(VALU_DEP_1)
	v_mul_f32_e64 v4, 0x2f800000, |v1|
	v_floor_f32_e32 v4, v4
	s_delay_alu instid0(VALU_DEP_1) | instskip(SKIP_1) | instid1(VALU_DEP_2)
	v_fma_f32 v4, 0xcf800000, v4, |v1|
	v_ashrrev_i32_e32 v1, 31, v1
	v_cvt_u32_f32_e32 v4, v4
	s_delay_alu instid0(VALU_DEP_1) | instskip(NEXT) | instid1(VALU_DEP_1)
	v_xor_b32_e32 v4, v4, v1
	v_sub_nc_u32_e32 v4, v4, v1
.LBB6_1330:
	s_mov_b32 s23, 0
.LBB6_1331:
	s_delay_alu instid0(SALU_CYCLE_1)
	s_and_not1_b32 vcc_lo, exec_lo, s23
	s_cbranch_vccnz .LBB6_1333
; %bb.1332:
	s_wait_loadcnt 0x0
	global_load_u8 v1, v[2:3], off
	s_wait_loadcnt 0x0
	v_lshlrev_b32_e32 v4, 25, v1
	v_lshlrev_b16 v1, 8, v1
	s_delay_alu instid0(VALU_DEP_1) | instskip(SKIP_1) | instid1(VALU_DEP_2)
	v_and_or_b32 v6, 0x7f00, v1, 0.5
	v_bfe_i32 v1, v1, 0, 16
	v_dual_add_f32 v6, -0.5, v6 :: v_dual_lshrrev_b32 v5, 4, v4
	v_cmp_gt_u32_e32 vcc_lo, 0x8000000, v4
	s_delay_alu instid0(VALU_DEP_2) | instskip(NEXT) | instid1(VALU_DEP_1)
	v_or_b32_e32 v5, 0x70000000, v5
	v_mul_f32_e32 v5, 0x7800000, v5
	s_delay_alu instid0(VALU_DEP_1) | instskip(NEXT) | instid1(VALU_DEP_1)
	v_cndmask_b32_e32 v4, v5, v6, vcc_lo
	v_and_or_b32 v1, 0x80000000, v1, v4
	s_delay_alu instid0(VALU_DEP_1) | instskip(NEXT) | instid1(VALU_DEP_1)
	v_trunc_f32_e32 v1, v1
	v_mul_f32_e64 v4, 0x2f800000, |v1|
	s_delay_alu instid0(VALU_DEP_1) | instskip(NEXT) | instid1(VALU_DEP_1)
	v_floor_f32_e32 v4, v4
	v_fma_f32 v4, 0xcf800000, v4, |v1|
	v_ashrrev_i32_e32 v1, 31, v1
	s_delay_alu instid0(VALU_DEP_2) | instskip(NEXT) | instid1(VALU_DEP_1)
	v_cvt_u32_f32_e32 v4, v4
	v_xor_b32_e32 v4, v4, v1
	s_delay_alu instid0(VALU_DEP_1)
	v_sub_nc_u32_e32 v4, v4, v1
.LBB6_1333:
	s_mov_b32 s23, 0
	s_mov_b32 s24, -1
.LBB6_1334:
	s_and_not1_b32 vcc_lo, exec_lo, s23
	s_mov_b32 s23, 0
	s_cbranch_vccnz .LBB6_1345
; %bb.1335:
	s_cmp_gt_i32 s21, 14
	s_cbranch_scc0 .LBB6_1338
; %bb.1336:
	s_cmp_eq_u32 s21, 15
	s_cbranch_scc0 .LBB6_1341
; %bb.1337:
	s_wait_loadcnt 0x0
	global_load_u16 v1, v[2:3], off
	s_mov_b32 s22, 0
	s_mov_b32 s24, -1
	s_wait_loadcnt 0x0
	v_lshlrev_b32_e32 v1, 16, v1
	s_delay_alu instid0(VALU_DEP_1) | instskip(NEXT) | instid1(VALU_DEP_1)
	v_trunc_f32_e32 v1, v1
	v_mul_f32_e64 v4, 0x2f800000, |v1|
	s_delay_alu instid0(VALU_DEP_1) | instskip(NEXT) | instid1(VALU_DEP_1)
	v_floor_f32_e32 v4, v4
	v_fma_f32 v4, 0xcf800000, v4, |v1|
	v_ashrrev_i32_e32 v1, 31, v1
	s_delay_alu instid0(VALU_DEP_2) | instskip(NEXT) | instid1(VALU_DEP_1)
	v_cvt_u32_f32_e32 v4, v4
	v_xor_b32_e32 v4, v4, v1
	s_delay_alu instid0(VALU_DEP_1)
	v_sub_nc_u32_e32 v4, v4, v1
	s_branch .LBB6_1343
.LBB6_1338:
	s_mov_b32 s23, -1
	s_branch .LBB6_1342
.LBB6_1339:
	s_and_not1_saveexec_b32 s23, s23
	s_cbranch_execz .LBB6_1320
.LBB6_1340:
	v_cmp_ne_u16_e32 vcc_lo, 0, v1
	s_and_not1_b32 s24, s24, exec_lo
	s_and_b32 s25, vcc_lo, exec_lo
	s_delay_alu instid0(SALU_CYCLE_1)
	s_or_b32 s24, s24, s25
	s_or_b32 exec_lo, exec_lo, s23
	v_mov_b32_e32 v4, 0
	s_and_saveexec_b32 s23, s24
	s_cbranch_execnz .LBB6_1321
	s_branch .LBB6_1322
.LBB6_1341:
	s_mov_b32 s22, -1
.LBB6_1342:
                                        ; implicit-def: $vgpr4
.LBB6_1343:
	s_and_b32 vcc_lo, exec_lo, s23
	s_mov_b32 s23, 0
	s_cbranch_vccz .LBB6_1345
; %bb.1344:
	s_cmp_lg_u32 s21, 11
	s_mov_b32 s23, -1
	s_cselect_b32 s21, -1, 0
	s_and_not1_b32 s22, s22, exec_lo
	s_and_b32 s21, s21, exec_lo
	s_delay_alu instid0(SALU_CYCLE_1)
	s_or_b32 s22, s22, s21
.LBB6_1345:
	s_mov_b32 s21, 0
.LBB6_1346:
	s_and_not1_b32 s19, s19, exec_lo
	s_and_b32 s25, s22, exec_lo
	s_and_b32 s24, s24, exec_lo
	;; [unrolled: 1-line block ×4, first 2 shown]
	s_or_b32 s19, s19, s25
	s_wait_xcnt 0x0
	s_or_b32 exec_lo, exec_lo, s20
	s_and_saveexec_b32 s20, s19
	s_cbranch_execz .LBB6_1279
.LBB6_1347:
	s_or_b32 s17, s17, exec_lo
	s_and_not1_b32 s22, s22, exec_lo
	s_trap 2
	s_or_b32 exec_lo, exec_lo, s20
	s_and_saveexec_b32 s19, s22
	s_delay_alu instid0(SALU_CYCLE_1)
	s_xor_b32 s19, exec_lo, s19
	s_cbranch_execnz .LBB6_1280
.LBB6_1348:
	s_or_b32 exec_lo, exec_lo, s19
	s_and_saveexec_b32 s19, s21
	s_cbranch_execz .LBB6_1394
.LBB6_1349:
	s_sext_i32_i16 s20, s0
	s_delay_alu instid0(SALU_CYCLE_1)
	s_cmp_lt_i32 s20, 5
	s_cbranch_scc1 .LBB6_1354
; %bb.1350:
	s_cmp_lt_i32 s20, 8
	s_cbranch_scc1 .LBB6_1355
; %bb.1351:
	;; [unrolled: 3-line block ×3, first 2 shown]
	s_cmp_gt_i32 s20, 9
	s_cbranch_scc0 .LBB6_1357
; %bb.1353:
	s_wait_loadcnt 0x0
	global_load_b64 v[4:5], v[2:3], off
	s_mov_b32 s20, 0
	s_wait_loadcnt 0x0
	v_trunc_f64_e32 v[4:5], v[4:5]
	s_delay_alu instid0(VALU_DEP_1) | instskip(NEXT) | instid1(VALU_DEP_1)
	v_ldexp_f64 v[6:7], v[4:5], 0xffffffe0
	v_floor_f64_e32 v[6:7], v[6:7]
	s_delay_alu instid0(VALU_DEP_1) | instskip(NEXT) | instid1(VALU_DEP_1)
	v_fmamk_f64 v[4:5], v[6:7], 0xc1f00000, v[4:5]
	v_cvt_u32_f64_e32 v4, v[4:5]
	s_branch .LBB6_1358
.LBB6_1354:
                                        ; implicit-def: $vgpr4
	s_branch .LBB6_1375
.LBB6_1355:
                                        ; implicit-def: $vgpr4
	s_branch .LBB6_1364
.LBB6_1356:
	s_mov_b32 s20, -1
                                        ; implicit-def: $vgpr4
	s_branch .LBB6_1361
.LBB6_1357:
	s_mov_b32 s20, -1
                                        ; implicit-def: $vgpr4
.LBB6_1358:
	s_delay_alu instid0(SALU_CYCLE_1)
	s_and_not1_b32 vcc_lo, exec_lo, s20
	s_cbranch_vccnz .LBB6_1360
; %bb.1359:
	s_wait_loadcnt 0x0
	global_load_b32 v1, v[2:3], off
	s_wait_loadcnt 0x0
	v_trunc_f32_e32 v1, v1
	s_delay_alu instid0(VALU_DEP_1) | instskip(NEXT) | instid1(VALU_DEP_1)
	v_mul_f32_e64 v4, 0x2f800000, |v1|
	v_floor_f32_e32 v4, v4
	s_delay_alu instid0(VALU_DEP_1) | instskip(SKIP_1) | instid1(VALU_DEP_2)
	v_fma_f32 v4, 0xcf800000, v4, |v1|
	v_ashrrev_i32_e32 v1, 31, v1
	v_cvt_u32_f32_e32 v4, v4
	s_delay_alu instid0(VALU_DEP_1) | instskip(NEXT) | instid1(VALU_DEP_1)
	v_xor_b32_e32 v4, v4, v1
	v_sub_nc_u32_e32 v4, v4, v1
.LBB6_1360:
	s_mov_b32 s20, 0
.LBB6_1361:
	s_delay_alu instid0(SALU_CYCLE_1)
	s_and_not1_b32 vcc_lo, exec_lo, s20
	s_cbranch_vccnz .LBB6_1363
; %bb.1362:
	s_wait_loadcnt 0x0
	global_load_b32 v1, v[2:3], off
	s_wait_loadcnt 0x0
	v_cvt_f32_f16_e32 v1, v1
	s_delay_alu instid0(VALU_DEP_1)
	v_cvt_i32_f32_e32 v4, v1
.LBB6_1363:
	s_cbranch_execnz .LBB6_1374
.LBB6_1364:
	s_sext_i32_i16 s20, s0
	s_delay_alu instid0(SALU_CYCLE_1)
	s_cmp_lt_i32 s20, 6
	s_cbranch_scc1 .LBB6_1367
; %bb.1365:
	s_cmp_gt_i32 s20, 6
	s_cbranch_scc0 .LBB6_1368
; %bb.1366:
	s_wait_loadcnt 0x0
	global_load_b64 v[4:5], v[2:3], off
	s_mov_b32 s20, 0
	s_wait_loadcnt 0x0
	v_trunc_f64_e32 v[4:5], v[4:5]
	s_delay_alu instid0(VALU_DEP_1) | instskip(NEXT) | instid1(VALU_DEP_1)
	v_ldexp_f64 v[6:7], v[4:5], 0xffffffe0
	v_floor_f64_e32 v[6:7], v[6:7]
	s_delay_alu instid0(VALU_DEP_1) | instskip(NEXT) | instid1(VALU_DEP_1)
	v_fmamk_f64 v[4:5], v[6:7], 0xc1f00000, v[4:5]
	v_cvt_u32_f64_e32 v4, v[4:5]
	s_branch .LBB6_1369
.LBB6_1367:
	s_mov_b32 s20, -1
                                        ; implicit-def: $vgpr4
	s_branch .LBB6_1372
.LBB6_1368:
	s_mov_b32 s20, -1
                                        ; implicit-def: $vgpr4
.LBB6_1369:
	s_delay_alu instid0(SALU_CYCLE_1)
	s_and_not1_b32 vcc_lo, exec_lo, s20
	s_cbranch_vccnz .LBB6_1371
; %bb.1370:
	s_wait_loadcnt 0x0
	global_load_b32 v1, v[2:3], off
	s_wait_loadcnt 0x0
	v_trunc_f32_e32 v1, v1
	s_delay_alu instid0(VALU_DEP_1) | instskip(NEXT) | instid1(VALU_DEP_1)
	v_mul_f32_e64 v4, 0x2f800000, |v1|
	v_floor_f32_e32 v4, v4
	s_delay_alu instid0(VALU_DEP_1) | instskip(SKIP_1) | instid1(VALU_DEP_2)
	v_fma_f32 v4, 0xcf800000, v4, |v1|
	v_ashrrev_i32_e32 v1, 31, v1
	v_cvt_u32_f32_e32 v4, v4
	s_delay_alu instid0(VALU_DEP_1) | instskip(NEXT) | instid1(VALU_DEP_1)
	v_xor_b32_e32 v4, v4, v1
	v_sub_nc_u32_e32 v4, v4, v1
.LBB6_1371:
	s_mov_b32 s20, 0
.LBB6_1372:
	s_delay_alu instid0(SALU_CYCLE_1)
	s_and_not1_b32 vcc_lo, exec_lo, s20
	s_cbranch_vccnz .LBB6_1374
; %bb.1373:
	s_wait_loadcnt 0x0
	global_load_u16 v1, v[2:3], off
	s_wait_loadcnt 0x0
	v_cvt_f32_f16_e32 v1, v1
	s_delay_alu instid0(VALU_DEP_1)
	v_cvt_i32_f32_e32 v4, v1
.LBB6_1374:
	s_cbranch_execnz .LBB6_1393
.LBB6_1375:
	s_sext_i32_i16 s20, s0
	s_delay_alu instid0(SALU_CYCLE_1)
	s_cmp_lt_i32 s20, 2
	s_cbranch_scc1 .LBB6_1379
; %bb.1376:
	s_cmp_lt_i32 s20, 3
	s_cbranch_scc1 .LBB6_1380
; %bb.1377:
	s_cmp_gt_i32 s20, 3
	s_cbranch_scc0 .LBB6_1381
; %bb.1378:
	s_wait_loadcnt 0x0
	global_load_b64 v[4:5], v[2:3], off
	s_mov_b32 s20, 0
	s_branch .LBB6_1382
.LBB6_1379:
                                        ; implicit-def: $vgpr4
	s_branch .LBB6_1388
.LBB6_1380:
	s_mov_b32 s20, -1
                                        ; implicit-def: $vgpr4
	s_branch .LBB6_1385
.LBB6_1381:
	s_mov_b32 s20, -1
                                        ; implicit-def: $vgpr4
.LBB6_1382:
	s_delay_alu instid0(SALU_CYCLE_1)
	s_and_not1_b32 vcc_lo, exec_lo, s20
	s_cbranch_vccnz .LBB6_1384
; %bb.1383:
	s_wait_loadcnt 0x0
	global_load_b32 v4, v[2:3], off
.LBB6_1384:
	s_mov_b32 s20, 0
.LBB6_1385:
	s_delay_alu instid0(SALU_CYCLE_1)
	s_and_not1_b32 vcc_lo, exec_lo, s20
	s_cbranch_vccnz .LBB6_1387
; %bb.1386:
	s_wait_loadcnt 0x0
	global_load_u16 v4, v[2:3], off
.LBB6_1387:
	s_cbranch_execnz .LBB6_1393
.LBB6_1388:
	s_sext_i32_i16 s0, s0
	s_delay_alu instid0(SALU_CYCLE_1)
	s_cmp_gt_i32 s0, 0
	s_mov_b32 s0, 0
	s_cbranch_scc0 .LBB6_1390
; %bb.1389:
	s_wait_loadcnt 0x0
	global_load_u8 v4, v[2:3], off
	s_branch .LBB6_1391
.LBB6_1390:
	s_mov_b32 s0, -1
                                        ; implicit-def: $vgpr4
.LBB6_1391:
	s_delay_alu instid0(SALU_CYCLE_1)
	s_and_not1_b32 vcc_lo, exec_lo, s0
	s_cbranch_vccnz .LBB6_1393
; %bb.1392:
	s_wait_loadcnt 0x0
	global_load_u8 v4, v[2:3], off
.LBB6_1393:
	s_or_b32 s24, s24, exec_lo
.LBB6_1394:
	s_wait_xcnt 0x0
	s_or_b32 exec_lo, exec_lo, s19
	s_mov_b32 s0, 0
	s_mov_b32 s22, 0
                                        ; implicit-def: $sgpr19
                                        ; implicit-def: $sgpr20
                                        ; implicit-def: $vgpr2_vgpr3
	s_and_saveexec_b32 s21, s24
	s_cbranch_execz .LBB6_1402
; %bb.1395:
	v_mul_lo_u32 v2, v18, s8
	s_wait_loadcnt 0x0
	s_delay_alu instid0(VALU_DEP_2) | instskip(SKIP_2) | instid1(VALU_DEP_1)
	v_and_b32_e32 v1, 0xff, v4
	v_and_b32_e32 v0, 0xff, v0
	s_and_b32 s20, s12, 0xff
	v_cmp_ne_u16_e32 vcc_lo, v0, v1
	s_delay_alu instid0(VALU_DEP_4) | instskip(SKIP_2) | instid1(VALU_DEP_1)
	v_ashrrev_i32_e32 v3, 31, v2
	s_xor_b32 s19, s16, vcc_lo
	s_cmp_lt_i32 s20, 11
	v_add_nc_u64_e32 v[2:3], s[4:5], v[2:3]
	s_cbranch_scc1 .LBB6_1405
; %bb.1396:
	s_and_b32 s16, 0xffff, s20
	s_mov_b32 s22, -1
	s_cmp_gt_i32 s16, 25
	s_mov_b32 s0, s18
	s_cbranch_scc0 .LBB6_1433
; %bb.1397:
	s_cmp_gt_i32 s16, 28
	s_mov_b32 s0, s18
	s_cbranch_scc0 .LBB6_1417
; %bb.1398:
	;; [unrolled: 4-line block ×4, first 2 shown]
	s_cmp_eq_u32 s16, 46
	s_mov_b32 s0, -1
	s_cbranch_scc0 .LBB6_1406
; %bb.1401:
	v_cndmask_b32_e64 v0, 0, 1.0, s19
	s_mov_b32 s0, 0
	s_mov_b32 s22, 0
	s_delay_alu instid0(VALU_DEP_1) | instskip(NEXT) | instid1(VALU_DEP_1)
	v_bfe_u32 v1, v0, 16, 1
	v_add3_u32 v0, v0, v1, 0x7fff
	s_delay_alu instid0(VALU_DEP_1)
	v_lshrrev_b32_e32 v0, 16, v0
	global_store_b32 v[2:3], v0, off
	s_branch .LBB6_1407
.LBB6_1402:
	s_or_b32 exec_lo, exec_lo, s21
	s_and_saveexec_b32 s16, s18
	s_cbranch_execnz .LBB6_1475
.LBB6_1403:
	s_or_b32 exec_lo, exec_lo, s16
	s_and_saveexec_b32 s16, s0
	s_delay_alu instid0(SALU_CYCLE_1)
	s_xor_b32 s0, exec_lo, s16
	s_cbranch_execz .LBB6_1476
.LBB6_1404:
	s_wait_loadcnt 0x0
	v_cndmask_b32_e64 v0, 0, 1, s19
	global_store_b8 v[2:3], v0, off
	s_wait_xcnt 0x0
	s_or_b32 exec_lo, exec_lo, s0
	s_and_saveexec_b32 s0, s22
	s_delay_alu instid0(SALU_CYCLE_1)
	s_xor_b32 s0, exec_lo, s0
	s_cbranch_execz .LBB6_1514
	s_branch .LBB6_1477
.LBB6_1405:
	s_mov_b32 s23, 0
	s_mov_b32 s22, -1
	s_mov_b32 s0, s18
	s_branch .LBB6_1474
.LBB6_1406:
	s_mov_b32 s22, 0
.LBB6_1407:
	s_delay_alu instid0(SALU_CYCLE_1)
	s_and_b32 vcc_lo, exec_lo, s22
	s_cbranch_vccz .LBB6_1412
; %bb.1408:
	s_cmp_eq_u32 s16, 44
	s_mov_b32 s0, -1
	s_cbranch_scc0 .LBB6_1412
; %bb.1409:
	v_cndmask_b32_e64 v4, 0, 1.0, s19
	s_mov_b32 s22, exec_lo
	s_wait_xcnt 0x0
	s_delay_alu instid0(VALU_DEP_1) | instskip(NEXT) | instid1(VALU_DEP_1)
	v_dual_mov_b32 v1, 0xff :: v_dual_lshrrev_b32 v0, 23, v4
	v_cmpx_ne_u32_e32 0xff, v0
; %bb.1410:
	v_and_b32_e32 v1, 0x400000, v4
	v_and_or_b32 v4, 0x3fffff, v4, v0
	s_delay_alu instid0(VALU_DEP_2) | instskip(NEXT) | instid1(VALU_DEP_2)
	v_cmp_ne_u32_e32 vcc_lo, 0, v1
	v_cmp_ne_u32_e64 s0, 0, v4
	s_and_b32 s0, vcc_lo, s0
	s_delay_alu instid0(SALU_CYCLE_1) | instskip(NEXT) | instid1(VALU_DEP_1)
	v_cndmask_b32_e64 v1, 0, 1, s0
	v_add_nc_u32_e32 v1, v0, v1
; %bb.1411:
	s_or_b32 exec_lo, exec_lo, s22
	s_mov_b32 s0, 0
	global_store_b8 v[2:3], v1, off
.LBB6_1412:
	s_mov_b32 s22, 0
.LBB6_1413:
	s_delay_alu instid0(SALU_CYCLE_1)
	s_and_b32 vcc_lo, exec_lo, s22
	s_cbranch_vccz .LBB6_1416
; %bb.1414:
	s_cmp_eq_u32 s16, 29
	s_mov_b32 s0, -1
	s_cbranch_scc0 .LBB6_1416
; %bb.1415:
	s_mov_b32 s0, 0
	s_wait_xcnt 0x0
	v_cndmask_b32_e64 v0, 0, 1, s19
	v_mov_b32_e32 v1, s0
	s_mov_b32 s22, 0
	global_store_b64 v[2:3], v[0:1], off
	s_branch .LBB6_1417
.LBB6_1416:
	s_mov_b32 s22, 0
.LBB6_1417:
	s_delay_alu instid0(SALU_CYCLE_1)
	s_and_b32 vcc_lo, exec_lo, s22
	s_cbranch_vccz .LBB6_1432
; %bb.1418:
	s_cmp_lt_i32 s16, 27
	s_mov_b32 s22, -1
	s_cbranch_scc1 .LBB6_1424
; %bb.1419:
	s_wait_xcnt 0x0
	v_cndmask_b32_e64 v0, 0, 1, s19
	s_cmp_gt_i32 s16, 27
	s_cbranch_scc0 .LBB6_1421
; %bb.1420:
	s_mov_b32 s22, 0
	global_store_b32 v[2:3], v0, off
.LBB6_1421:
	s_and_not1_b32 vcc_lo, exec_lo, s22
	s_cbranch_vccnz .LBB6_1423
; %bb.1422:
	global_store_b16 v[2:3], v0, off
.LBB6_1423:
	s_mov_b32 s22, 0
.LBB6_1424:
	s_delay_alu instid0(SALU_CYCLE_1)
	s_and_not1_b32 vcc_lo, exec_lo, s22
	s_cbranch_vccnz .LBB6_1432
; %bb.1425:
	s_wait_xcnt 0x0
	v_cndmask_b32_e64 v1, 0, 1.0, s19
	v_mov_b32_e32 v4, 0x80
	s_mov_b32 s22, exec_lo
	s_delay_alu instid0(VALU_DEP_2)
	v_cmpx_gt_u32_e32 0x43800000, v1
	s_cbranch_execz .LBB6_1431
; %bb.1426:
	s_mov_b32 s23, 0
	s_mov_b32 s24, exec_lo
                                        ; implicit-def: $vgpr0
	v_cmpx_lt_u32_e32 0x3bffffff, v1
	s_xor_b32 s24, exec_lo, s24
	s_cbranch_execz .LBB6_1529
; %bb.1427:
	v_bfe_u32 v0, v1, 20, 1
	s_mov_b32 s23, exec_lo
	s_delay_alu instid0(VALU_DEP_1) | instskip(NEXT) | instid1(VALU_DEP_1)
	v_add3_u32 v0, v1, v0, 0x487ffff
                                        ; implicit-def: $vgpr1
	v_lshrrev_b32_e32 v0, 20, v0
	s_and_not1_saveexec_b32 s24, s24
	s_cbranch_execnz .LBB6_1530
.LBB6_1428:
	s_or_b32 exec_lo, exec_lo, s24
	v_mov_b32_e32 v4, 0
	s_and_saveexec_b32 s24, s23
.LBB6_1429:
	v_mov_b32_e32 v4, v0
.LBB6_1430:
	s_or_b32 exec_lo, exec_lo, s24
.LBB6_1431:
	s_delay_alu instid0(SALU_CYCLE_1)
	s_or_b32 exec_lo, exec_lo, s22
	global_store_b8 v[2:3], v4, off
.LBB6_1432:
	s_mov_b32 s22, 0
.LBB6_1433:
	s_delay_alu instid0(SALU_CYCLE_1)
	s_and_b32 vcc_lo, exec_lo, s22
	s_mov_b32 s22, 0
	s_cbranch_vccz .LBB6_1473
; %bb.1434:
	s_cmp_gt_i32 s16, 22
	s_mov_b32 s23, -1
	s_cbranch_scc0 .LBB6_1466
; %bb.1435:
	s_cmp_lt_i32 s16, 24
	s_cbranch_scc1 .LBB6_1455
; %bb.1436:
	s_cmp_gt_i32 s16, 24
	s_cbranch_scc0 .LBB6_1444
; %bb.1437:
	s_wait_xcnt 0x0
	v_cndmask_b32_e64 v1, 0, 1.0, s19
	v_mov_b32_e32 v4, 0x80
	s_mov_b32 s23, exec_lo
	s_delay_alu instid0(VALU_DEP_2)
	v_cmpx_gt_u32_e32 0x47800000, v1
	s_cbranch_execz .LBB6_1443
; %bb.1438:
	s_mov_b32 s24, 0
	s_mov_b32 s25, exec_lo
                                        ; implicit-def: $vgpr0
	v_cmpx_lt_u32_e32 0x37ffffff, v1
	s_xor_b32 s25, exec_lo, s25
	s_cbranch_execz .LBB6_1650
; %bb.1439:
	v_bfe_u32 v0, v1, 21, 1
	s_mov_b32 s24, exec_lo
	s_delay_alu instid0(VALU_DEP_1) | instskip(NEXT) | instid1(VALU_DEP_1)
	v_add3_u32 v0, v1, v0, 0x88fffff
                                        ; implicit-def: $vgpr1
	v_lshrrev_b32_e32 v0, 21, v0
	s_and_not1_saveexec_b32 s25, s25
	s_cbranch_execnz .LBB6_1651
.LBB6_1440:
	s_or_b32 exec_lo, exec_lo, s25
	v_mov_b32_e32 v4, 0
	s_and_saveexec_b32 s25, s24
.LBB6_1441:
	v_mov_b32_e32 v4, v0
.LBB6_1442:
	s_or_b32 exec_lo, exec_lo, s25
.LBB6_1443:
	s_delay_alu instid0(SALU_CYCLE_1)
	s_or_b32 exec_lo, exec_lo, s23
	s_mov_b32 s23, 0
	global_store_b8 v[2:3], v4, off
.LBB6_1444:
	s_and_b32 vcc_lo, exec_lo, s23
	s_cbranch_vccz .LBB6_1454
; %bb.1445:
	s_wait_xcnt 0x0
	v_cndmask_b32_e64 v1, 0, 1.0, s19
	s_mov_b32 s23, exec_lo
                                        ; implicit-def: $vgpr0
	s_delay_alu instid0(VALU_DEP_1)
	v_cmpx_gt_u32_e32 0x43f00000, v1
	s_xor_b32 s23, exec_lo, s23
	s_cbranch_execz .LBB6_1451
; %bb.1446:
	s_mov_b32 s24, exec_lo
                                        ; implicit-def: $vgpr0
	v_cmpx_lt_u32_e32 0x3c7fffff, v1
	s_xor_b32 s24, exec_lo, s24
; %bb.1447:
	v_bfe_u32 v0, v1, 20, 1
	s_delay_alu instid0(VALU_DEP_1) | instskip(NEXT) | instid1(VALU_DEP_1)
	v_add3_u32 v0, v1, v0, 0x407ffff
	v_and_b32_e32 v1, 0xff00000, v0
	v_lshrrev_b32_e32 v0, 20, v0
	s_delay_alu instid0(VALU_DEP_2) | instskip(NEXT) | instid1(VALU_DEP_2)
	v_cmp_ne_u32_e32 vcc_lo, 0x7f00000, v1
                                        ; implicit-def: $vgpr1
	v_cndmask_b32_e32 v0, 0x7e, v0, vcc_lo
; %bb.1448:
	s_and_not1_saveexec_b32 s24, s24
; %bb.1449:
	v_add_f32_e32 v0, 0x46800000, v1
; %bb.1450:
	s_or_b32 exec_lo, exec_lo, s24
                                        ; implicit-def: $vgpr1
.LBB6_1451:
	s_and_not1_saveexec_b32 s23, s23
; %bb.1452:
	v_mov_b32_e32 v0, 0x7f
	v_cmp_lt_u32_e32 vcc_lo, 0x7f800000, v1
	s_delay_alu instid0(VALU_DEP_2)
	v_cndmask_b32_e32 v0, 0x7e, v0, vcc_lo
; %bb.1453:
	s_or_b32 exec_lo, exec_lo, s23
	global_store_b8 v[2:3], v0, off
.LBB6_1454:
	s_mov_b32 s23, 0
.LBB6_1455:
	s_delay_alu instid0(SALU_CYCLE_1)
	s_and_not1_b32 vcc_lo, exec_lo, s23
	s_cbranch_vccnz .LBB6_1465
; %bb.1456:
	s_wait_xcnt 0x0
	v_cndmask_b32_e64 v1, 0, 1.0, s19
	s_mov_b32 s23, exec_lo
                                        ; implicit-def: $vgpr0
	s_delay_alu instid0(VALU_DEP_1)
	v_cmpx_gt_u32_e32 0x47800000, v1
	s_xor_b32 s23, exec_lo, s23
	s_cbranch_execz .LBB6_1462
; %bb.1457:
	s_mov_b32 s24, exec_lo
                                        ; implicit-def: $vgpr0
	v_cmpx_lt_u32_e32 0x387fffff, v1
	s_xor_b32 s24, exec_lo, s24
; %bb.1458:
	v_bfe_u32 v0, v1, 21, 1
	s_delay_alu instid0(VALU_DEP_1) | instskip(NEXT) | instid1(VALU_DEP_1)
	v_add3_u32 v0, v1, v0, 0x80fffff
                                        ; implicit-def: $vgpr1
	v_lshrrev_b32_e32 v0, 21, v0
; %bb.1459:
	s_and_not1_saveexec_b32 s24, s24
; %bb.1460:
	v_add_f32_e32 v0, 0x43000000, v1
; %bb.1461:
	s_or_b32 exec_lo, exec_lo, s24
                                        ; implicit-def: $vgpr1
.LBB6_1462:
	s_and_not1_saveexec_b32 s23, s23
; %bb.1463:
	v_mov_b32_e32 v0, 0x7f
	v_cmp_lt_u32_e32 vcc_lo, 0x7f800000, v1
	s_delay_alu instid0(VALU_DEP_2)
	v_cndmask_b32_e32 v0, 0x7c, v0, vcc_lo
; %bb.1464:
	s_or_b32 exec_lo, exec_lo, s23
	global_store_b8 v[2:3], v0, off
.LBB6_1465:
	s_mov_b32 s23, 0
.LBB6_1466:
	s_delay_alu instid0(SALU_CYCLE_1)
	s_and_not1_b32 vcc_lo, exec_lo, s23
	s_mov_b32 s23, 0
	s_cbranch_vccnz .LBB6_1474
; %bb.1467:
	s_cmp_gt_i32 s16, 14
	s_mov_b32 s23, -1
	s_cbranch_scc0 .LBB6_1471
; %bb.1468:
	s_cmp_eq_u32 s16, 15
	s_mov_b32 s0, -1
	s_cbranch_scc0 .LBB6_1470
; %bb.1469:
	s_wait_xcnt 0x0
	v_cndmask_b32_e64 v0, 0, 1.0, s19
	s_mov_b32 s0, 0
	s_delay_alu instid0(VALU_DEP_1) | instskip(NEXT) | instid1(VALU_DEP_1)
	v_bfe_u32 v1, v0, 16, 1
	v_add3_u32 v0, v0, v1, 0x7fff
	global_store_d16_hi_b16 v[2:3], v0, off
.LBB6_1470:
	s_mov_b32 s23, 0
.LBB6_1471:
	s_delay_alu instid0(SALU_CYCLE_1)
	s_and_b32 vcc_lo, exec_lo, s23
	s_mov_b32 s23, 0
	s_cbranch_vccz .LBB6_1474
; %bb.1472:
	s_cmp_lg_u32 s16, 11
	s_mov_b32 s23, -1
	s_cselect_b32 s16, -1, 0
	s_and_not1_b32 s0, s0, exec_lo
	s_and_b32 s16, s16, exec_lo
	s_delay_alu instid0(SALU_CYCLE_1)
	s_or_b32 s0, s0, s16
	s_branch .LBB6_1474
.LBB6_1473:
	s_mov_b32 s23, 0
.LBB6_1474:
	s_and_not1_b32 s16, s18, exec_lo
	s_and_b32 s18, s0, exec_lo
	s_and_b32 s22, s22, exec_lo
	;; [unrolled: 1-line block ×3, first 2 shown]
	s_or_b32 s18, s16, s18
	s_wait_xcnt 0x0
	s_or_b32 exec_lo, exec_lo, s21
	s_and_saveexec_b32 s16, s18
	s_cbranch_execz .LBB6_1403
.LBB6_1475:
	s_or_b32 s17, s17, exec_lo
	s_and_not1_b32 s0, s0, exec_lo
	s_trap 2
	s_or_b32 exec_lo, exec_lo, s16
	s_and_saveexec_b32 s16, s0
	s_delay_alu instid0(SALU_CYCLE_1)
	s_xor_b32 s0, exec_lo, s16
	s_cbranch_execnz .LBB6_1404
.LBB6_1476:
	s_or_b32 exec_lo, exec_lo, s0
	s_and_saveexec_b32 s0, s22
	s_delay_alu instid0(SALU_CYCLE_1)
	s_xor_b32 s0, exec_lo, s0
	s_cbranch_execz .LBB6_1514
.LBB6_1477:
	s_sext_i32_i16 s18, s20
	s_mov_b32 s16, -1
	s_cmp_lt_i32 s18, 5
	s_cbranch_scc1 .LBB6_1498
; %bb.1478:
	s_cmp_lt_i32 s18, 8
	s_cbranch_scc1 .LBB6_1488
; %bb.1479:
	;; [unrolled: 3-line block ×3, first 2 shown]
	s_cmp_gt_i32 s18, 9
	s_cbranch_scc0 .LBB6_1482
; %bb.1481:
	s_wait_loadcnt 0x0
	v_cndmask_b32_e64 v0, 0, 1, s19
	v_mov_b32_e32 v6, 0
	s_mov_b32 s16, 0
	s_delay_alu instid0(VALU_DEP_2) | instskip(NEXT) | instid1(VALU_DEP_2)
	v_cvt_f64_u32_e32 v[4:5], v0
	v_mov_b32_e32 v7, v6
	global_store_b128 v[2:3], v[4:7], off
.LBB6_1482:
	s_and_not1_b32 vcc_lo, exec_lo, s16
	s_cbranch_vccnz .LBB6_1484
; %bb.1483:
	s_wait_loadcnt 0x0
	v_cndmask_b32_e64 v0, 0, 1.0, s19
	v_mov_b32_e32 v1, 0
	global_store_b64 v[2:3], v[0:1], off
.LBB6_1484:
	s_mov_b32 s16, 0
.LBB6_1485:
	s_delay_alu instid0(SALU_CYCLE_1)
	s_and_not1_b32 vcc_lo, exec_lo, s16
	s_cbranch_vccnz .LBB6_1487
; %bb.1486:
	s_wait_loadcnt 0x0
	v_cndmask_b32_e64 v0, 0, 1.0, s19
	s_delay_alu instid0(VALU_DEP_1) | instskip(NEXT) | instid1(VALU_DEP_1)
	v_cvt_f16_f32_e32 v0, v0
	v_and_b32_e32 v0, 0xffff, v0
	global_store_b32 v[2:3], v0, off
.LBB6_1487:
	s_mov_b32 s16, 0
.LBB6_1488:
	s_delay_alu instid0(SALU_CYCLE_1)
	s_and_not1_b32 vcc_lo, exec_lo, s16
	s_cbranch_vccnz .LBB6_1497
; %bb.1489:
	s_sext_i32_i16 s18, s20
	s_mov_b32 s16, -1
	s_cmp_lt_i32 s18, 6
	s_cbranch_scc1 .LBB6_1495
; %bb.1490:
	s_cmp_gt_i32 s18, 6
	s_cbranch_scc0 .LBB6_1492
; %bb.1491:
	s_wait_loadcnt 0x0
	v_cndmask_b32_e64 v0, 0, 1, s19
	s_mov_b32 s16, 0
	s_delay_alu instid0(VALU_DEP_1)
	v_cvt_f64_u32_e32 v[0:1], v0
	global_store_b64 v[2:3], v[0:1], off
.LBB6_1492:
	s_and_not1_b32 vcc_lo, exec_lo, s16
	s_cbranch_vccnz .LBB6_1494
; %bb.1493:
	s_wait_loadcnt 0x0
	v_cndmask_b32_e64 v0, 0, 1.0, s19
	global_store_b32 v[2:3], v0, off
.LBB6_1494:
	s_mov_b32 s16, 0
.LBB6_1495:
	s_delay_alu instid0(SALU_CYCLE_1)
	s_and_not1_b32 vcc_lo, exec_lo, s16
	s_cbranch_vccnz .LBB6_1497
; %bb.1496:
	s_wait_loadcnt 0x0
	v_cndmask_b32_e64 v0, 0, 1.0, s19
	s_delay_alu instid0(VALU_DEP_1)
	v_cvt_f16_f32_e32 v0, v0
	global_store_b16 v[2:3], v0, off
.LBB6_1497:
	s_mov_b32 s16, 0
.LBB6_1498:
	s_delay_alu instid0(SALU_CYCLE_1)
	s_and_not1_b32 vcc_lo, exec_lo, s16
	s_cbranch_vccnz .LBB6_1514
; %bb.1499:
	s_sext_i32_i16 s18, s20
	s_mov_b32 s16, -1
	s_cmp_lt_i32 s18, 2
	s_cbranch_scc1 .LBB6_1509
; %bb.1500:
	s_cmp_lt_i32 s18, 3
	s_cbranch_scc1 .LBB6_1506
; %bb.1501:
	s_cmp_gt_i32 s18, 3
	s_cbranch_scc0 .LBB6_1503
; %bb.1502:
	s_mov_b32 s16, 0
	s_wait_loadcnt 0x0
	v_cndmask_b32_e64 v0, 0, 1, s19
	v_mov_b32_e32 v1, s16
	global_store_b64 v[2:3], v[0:1], off
.LBB6_1503:
	s_and_not1_b32 vcc_lo, exec_lo, s16
	s_cbranch_vccnz .LBB6_1505
; %bb.1504:
	s_wait_loadcnt 0x0
	v_cndmask_b32_e64 v0, 0, 1, s19
	global_store_b32 v[2:3], v0, off
.LBB6_1505:
	s_mov_b32 s16, 0
.LBB6_1506:
	s_delay_alu instid0(SALU_CYCLE_1)
	s_and_not1_b32 vcc_lo, exec_lo, s16
	s_cbranch_vccnz .LBB6_1508
; %bb.1507:
	s_wait_loadcnt 0x0
	v_cndmask_b32_e64 v0, 0, 1, s19
	global_store_b16 v[2:3], v0, off
.LBB6_1508:
	s_mov_b32 s16, 0
.LBB6_1509:
	s_delay_alu instid0(SALU_CYCLE_1)
	s_and_not1_b32 vcc_lo, exec_lo, s16
	s_cbranch_vccnz .LBB6_1514
; %bb.1510:
	s_wait_loadcnt 0x0
	v_cndmask_b32_e64 v0, 0, 1, s19
	s_sext_i32_i16 s16, s20
	s_delay_alu instid0(SALU_CYCLE_1)
	s_cmp_gt_i32 s16, 0
	s_mov_b32 s16, -1
	s_cbranch_scc0 .LBB6_1512
; %bb.1511:
	s_mov_b32 s16, 0
	global_store_b8 v[2:3], v0, off
.LBB6_1512:
	s_and_not1_b32 vcc_lo, exec_lo, s16
	s_cbranch_vccnz .LBB6_1514
; %bb.1513:
	global_store_b8 v[2:3], v0, off
.LBB6_1514:
	s_wait_xcnt 0x0
	s_or_b32 exec_lo, exec_lo, s0
	s_delay_alu instid0(SALU_CYCLE_1)
	s_and_b32 s16, s17, exec_lo
                                        ; implicit-def: $vgpr18
.LBB6_1515:
	s_or_saveexec_b32 s15, s15
	s_mov_b32 s0, 0
                                        ; implicit-def: $sgpr18
                                        ; implicit-def: $sgpr17
                                        ; implicit-def: $vgpr0_vgpr1
	s_xor_b32 exec_lo, exec_lo, s15
	s_cbranch_execz .LBB6_2959
; %bb.1516:
	s_wait_loadcnt 0x0
	v_mul_lo_u32 v4, s9, v18
	s_and_b32 s0, s14, 0xff
	s_delay_alu instid0(SALU_CYCLE_1) | instskip(NEXT) | instid1(VALU_DEP_1)
	s_cmp_lt_i32 s0, 11
	v_ashrrev_i32_e32 v5, 31, v4
	s_delay_alu instid0(VALU_DEP_1)
	v_add_nc_u64_e32 v[2:3], s[6:7], v[4:5]
	s_cbranch_scc1 .LBB6_1523
; %bb.1517:
	s_and_b32 s13, 0xffff, s0
	s_mov_b32 s17, 0
	s_cmp_gt_i32 s13, 25
	s_cbranch_scc0 .LBB6_1525
; %bb.1518:
	s_cmp_gt_i32 s13, 28
	s_cbranch_scc0 .LBB6_1526
; %bb.1519:
	s_cmp_gt_i32 s13, 43
	s_cbranch_scc0 .LBB6_1527
; %bb.1520:
	s_cmp_gt_i32 s13, 45
	s_cbranch_scc0 .LBB6_1528
; %bb.1521:
	s_cmp_eq_u32 s13, 46
	s_mov_b32 s19, 0
	s_cbranch_scc0 .LBB6_1531
; %bb.1522:
	global_load_b32 v0, v[2:3], off
	s_mov_b32 s14, 0
	s_mov_b32 s18, -1
	s_wait_loadcnt 0x0
	v_lshlrev_b32_e32 v0, 16, v0
	s_delay_alu instid0(VALU_DEP_1) | instskip(NEXT) | instid1(VALU_DEP_1)
	v_trunc_f32_e32 v0, v0
	v_mul_f32_e64 v1, 0x2f800000, |v0|
	s_delay_alu instid0(VALU_DEP_1) | instskip(NEXT) | instid1(VALU_DEP_1)
	v_floor_f32_e32 v1, v1
	v_fma_f32 v1, 0xcf800000, v1, |v0|
	v_ashrrev_i32_e32 v0, 31, v0
	s_delay_alu instid0(VALU_DEP_2) | instskip(NEXT) | instid1(VALU_DEP_1)
	v_cvt_u32_f32_e32 v1, v1
	v_xor_b32_e32 v1, v1, v0
	s_delay_alu instid0(VALU_DEP_1)
	v_sub_nc_u32_e32 v0, v1, v0
	s_branch .LBB6_1533
.LBB6_1523:
	s_mov_b32 s18, 0
	s_mov_b32 s13, s16
                                        ; implicit-def: $vgpr0
	s_cbranch_execnz .LBB6_1591
.LBB6_1524:
	s_and_not1_b32 vcc_lo, exec_lo, s18
	s_cbranch_vccz .LBB6_1636
	s_branch .LBB6_2957
.LBB6_1525:
	s_mov_b32 s18, 0
	s_mov_b32 s14, 0
                                        ; implicit-def: $vgpr0
	s_cbranch_execnz .LBB6_1558
	s_branch .LBB6_1587
.LBB6_1526:
	s_mov_b32 s18, 0
	s_mov_b32 s14, 0
                                        ; implicit-def: $vgpr0
	s_cbranch_execz .LBB6_1557
	s_branch .LBB6_1542
.LBB6_1527:
	s_mov_b32 s18, 0
	s_mov_b32 s14, 0
                                        ; implicit-def: $vgpr0
	s_cbranch_execnz .LBB6_1538
	s_branch .LBB6_1541
.LBB6_1528:
	s_mov_b32 s19, -1
	s_mov_b32 s18, 0
	s_mov_b32 s14, 0
	s_branch .LBB6_1532
.LBB6_1529:
	s_and_not1_saveexec_b32 s24, s24
	s_cbranch_execz .LBB6_1428
.LBB6_1530:
	v_add_f32_e32 v0, 0x46000000, v1
	s_and_not1_b32 s23, s23, exec_lo
	s_delay_alu instid0(VALU_DEP_1) | instskip(NEXT) | instid1(VALU_DEP_1)
	v_and_b32_e32 v0, 0xff, v0
	v_cmp_ne_u32_e32 vcc_lo, 0, v0
	s_and_b32 s25, vcc_lo, exec_lo
	s_delay_alu instid0(SALU_CYCLE_1)
	s_or_b32 s23, s23, s25
	s_or_b32 exec_lo, exec_lo, s24
	v_mov_b32_e32 v4, 0
	s_and_saveexec_b32 s24, s23
	s_cbranch_execnz .LBB6_1429
	s_branch .LBB6_1430
.LBB6_1531:
	s_mov_b32 s14, -1
	s_mov_b32 s18, 0
.LBB6_1532:
                                        ; implicit-def: $vgpr0
.LBB6_1533:
	s_and_b32 vcc_lo, exec_lo, s19
	s_cbranch_vccz .LBB6_1536
; %bb.1534:
	s_cmp_eq_u32 s13, 44
	s_cbranch_scc0 .LBB6_1537
; %bb.1535:
	global_load_u8 v0, v[2:3], off
	s_mov_b32 s14, 0
	s_mov_b32 s18, -1
	s_wait_loadcnt 0x0
	v_lshlrev_b32_e32 v1, 23, v0
	v_cmp_ne_u32_e32 vcc_lo, 0, v0
	s_delay_alu instid0(VALU_DEP_2) | instskip(NEXT) | instid1(VALU_DEP_1)
	v_trunc_f32_e32 v1, v1
	v_mul_f32_e64 v5, 0x2f800000, |v1|
	s_delay_alu instid0(VALU_DEP_1) | instskip(NEXT) | instid1(VALU_DEP_1)
	v_floor_f32_e32 v5, v5
	v_fma_f32 v5, 0xcf800000, v5, |v1|
	v_ashrrev_i32_e32 v1, 31, v1
	s_delay_alu instid0(VALU_DEP_2) | instskip(NEXT) | instid1(VALU_DEP_1)
	v_cvt_u32_f32_e32 v5, v5
	v_xor_b32_e32 v5, v5, v1
	s_delay_alu instid0(VALU_DEP_1) | instskip(NEXT) | instid1(VALU_DEP_1)
	v_sub_nc_u32_e32 v1, v5, v1
	v_cndmask_b32_e32 v0, 0, v1, vcc_lo
.LBB6_1536:
	s_branch .LBB6_1541
.LBB6_1537:
	s_mov_b32 s14, -1
                                        ; implicit-def: $vgpr0
	s_branch .LBB6_1541
.LBB6_1538:
	s_cmp_eq_u32 s13, 29
	s_cbranch_scc0 .LBB6_1540
; %bb.1539:
	global_load_b64 v[0:1], v[2:3], off
	s_mov_b32 s14, 0
	s_mov_b32 s18, -1
	s_branch .LBB6_1541
.LBB6_1540:
	s_mov_b32 s14, -1
                                        ; implicit-def: $vgpr0
.LBB6_1541:
	s_branch .LBB6_1557
.LBB6_1542:
	s_cmp_lt_i32 s13, 27
	s_cbranch_scc1 .LBB6_1545
; %bb.1543:
	s_cmp_gt_i32 s13, 27
	s_cbranch_scc0 .LBB6_1546
; %bb.1544:
	s_wait_loadcnt 0x0
	global_load_b32 v0, v[2:3], off
	s_mov_b32 s18, 0
	s_branch .LBB6_1547
.LBB6_1545:
	s_mov_b32 s18, -1
                                        ; implicit-def: $vgpr0
	s_branch .LBB6_1550
.LBB6_1546:
	s_mov_b32 s18, -1
                                        ; implicit-def: $vgpr0
.LBB6_1547:
	s_delay_alu instid0(SALU_CYCLE_1)
	s_and_not1_b32 vcc_lo, exec_lo, s18
	s_cbranch_vccnz .LBB6_1549
; %bb.1548:
	s_wait_loadcnt 0x0
	global_load_u16 v0, v[2:3], off
.LBB6_1549:
	s_mov_b32 s18, 0
.LBB6_1550:
	s_delay_alu instid0(SALU_CYCLE_1)
	s_and_not1_b32 vcc_lo, exec_lo, s18
	s_cbranch_vccnz .LBB6_1556
; %bb.1551:
	s_wait_loadcnt 0x0
	global_load_u8 v1, v[2:3], off
	s_mov_b32 s19, 0
	s_mov_b32 s18, exec_lo
	s_wait_loadcnt 0x0
	v_cmpx_lt_i16_e32 0x7f, v1
	s_xor_b32 s18, exec_lo, s18
	s_cbranch_execz .LBB6_1567
; %bb.1552:
	v_cmp_ne_u16_e32 vcc_lo, 0x80, v1
	s_and_b32 s19, vcc_lo, exec_lo
	s_and_not1_saveexec_b32 s18, s18
	s_cbranch_execnz .LBB6_1568
.LBB6_1553:
	s_or_b32 exec_lo, exec_lo, s18
	v_mov_b32_e32 v0, 0
	s_and_saveexec_b32 s18, s19
	s_cbranch_execz .LBB6_1555
.LBB6_1554:
	v_and_b32_e32 v0, 0xffff, v1
	s_delay_alu instid0(VALU_DEP_1) | instskip(SKIP_1) | instid1(VALU_DEP_2)
	v_and_b32_e32 v5, 7, v0
	v_bfe_u32 v8, v0, 3, 4
	v_clz_i32_u32_e32 v6, v5
	s_delay_alu instid0(VALU_DEP_2) | instskip(NEXT) | instid1(VALU_DEP_2)
	v_cmp_eq_u32_e32 vcc_lo, 0, v8
	v_min_u32_e32 v6, 32, v6
	s_delay_alu instid0(VALU_DEP_1) | instskip(NEXT) | instid1(VALU_DEP_1)
	v_subrev_nc_u32_e32 v7, 28, v6
	v_dual_lshlrev_b32 v0, v7, v0 :: v_dual_sub_nc_u32 v6, 29, v6
	s_delay_alu instid0(VALU_DEP_1) | instskip(NEXT) | instid1(VALU_DEP_1)
	v_dual_lshlrev_b32 v1, 24, v1 :: v_dual_bitop2_b32 v0, 7, v0 bitop3:0x40
	v_dual_cndmask_b32 v6, v8, v6, vcc_lo :: v_dual_cndmask_b32 v0, v5, v0, vcc_lo
	s_delay_alu instid0(VALU_DEP_2) | instskip(NEXT) | instid1(VALU_DEP_2)
	v_and_b32_e32 v1, 0x80000000, v1
	v_lshl_add_u32 v5, v6, 23, 0x3b800000
	s_delay_alu instid0(VALU_DEP_3) | instskip(NEXT) | instid1(VALU_DEP_1)
	v_lshlrev_b32_e32 v0, 20, v0
	v_or3_b32 v0, v1, v5, v0
	s_delay_alu instid0(VALU_DEP_1) | instskip(NEXT) | instid1(VALU_DEP_1)
	v_trunc_f32_e32 v0, v0
	v_mul_f32_e64 v1, 0x2f800000, |v0|
	s_delay_alu instid0(VALU_DEP_1) | instskip(NEXT) | instid1(VALU_DEP_1)
	v_floor_f32_e32 v1, v1
	v_fma_f32 v1, 0xcf800000, v1, |v0|
	v_ashrrev_i32_e32 v0, 31, v0
	s_delay_alu instid0(VALU_DEP_2) | instskip(NEXT) | instid1(VALU_DEP_1)
	v_cvt_u32_f32_e32 v1, v1
	v_xor_b32_e32 v1, v1, v0
	s_delay_alu instid0(VALU_DEP_1)
	v_sub_nc_u32_e32 v0, v1, v0
.LBB6_1555:
	s_or_b32 exec_lo, exec_lo, s18
.LBB6_1556:
	s_mov_b32 s18, -1
.LBB6_1557:
	s_branch .LBB6_1587
.LBB6_1558:
	s_cmp_gt_i32 s13, 22
	s_cbranch_scc0 .LBB6_1566
; %bb.1559:
	s_cmp_lt_i32 s13, 24
	s_cbranch_scc1 .LBB6_1569
; %bb.1560:
	s_cmp_gt_i32 s13, 24
	s_cbranch_scc0 .LBB6_1570
; %bb.1561:
	s_wait_loadcnt 0x0
	global_load_u8 v1, v[2:3], off
	s_mov_b32 s18, 0
	s_mov_b32 s17, exec_lo
	s_wait_loadcnt 0x0
	v_cmpx_lt_i16_e32 0x7f, v1
	s_xor_b32 s17, exec_lo, s17
	s_cbranch_execz .LBB6_1581
; %bb.1562:
	v_cmp_ne_u16_e32 vcc_lo, 0x80, v1
	s_and_b32 s18, vcc_lo, exec_lo
	s_and_not1_saveexec_b32 s17, s17
	s_cbranch_execnz .LBB6_1582
.LBB6_1563:
	s_or_b32 exec_lo, exec_lo, s17
	v_mov_b32_e32 v0, 0
	s_and_saveexec_b32 s17, s18
	s_cbranch_execz .LBB6_1565
.LBB6_1564:
	v_and_b32_e32 v0, 0xffff, v1
	s_delay_alu instid0(VALU_DEP_1) | instskip(SKIP_1) | instid1(VALU_DEP_2)
	v_and_b32_e32 v5, 3, v0
	v_bfe_u32 v8, v0, 2, 5
	v_clz_i32_u32_e32 v6, v5
	s_delay_alu instid0(VALU_DEP_2) | instskip(NEXT) | instid1(VALU_DEP_2)
	v_cmp_eq_u32_e32 vcc_lo, 0, v8
	v_min_u32_e32 v6, 32, v6
	s_delay_alu instid0(VALU_DEP_1) | instskip(NEXT) | instid1(VALU_DEP_1)
	v_subrev_nc_u32_e32 v7, 29, v6
	v_dual_lshlrev_b32 v0, v7, v0 :: v_dual_sub_nc_u32 v6, 30, v6
	s_delay_alu instid0(VALU_DEP_1) | instskip(NEXT) | instid1(VALU_DEP_1)
	v_dual_lshlrev_b32 v1, 24, v1 :: v_dual_bitop2_b32 v0, 3, v0 bitop3:0x40
	v_dual_cndmask_b32 v6, v8, v6, vcc_lo :: v_dual_cndmask_b32 v0, v5, v0, vcc_lo
	s_delay_alu instid0(VALU_DEP_2) | instskip(NEXT) | instid1(VALU_DEP_2)
	v_and_b32_e32 v1, 0x80000000, v1
	v_lshl_add_u32 v5, v6, 23, 0x37800000
	s_delay_alu instid0(VALU_DEP_3) | instskip(NEXT) | instid1(VALU_DEP_1)
	v_lshlrev_b32_e32 v0, 21, v0
	v_or3_b32 v0, v1, v5, v0
	s_delay_alu instid0(VALU_DEP_1) | instskip(NEXT) | instid1(VALU_DEP_1)
	v_trunc_f32_e32 v0, v0
	v_mul_f32_e64 v1, 0x2f800000, |v0|
	s_delay_alu instid0(VALU_DEP_1) | instskip(NEXT) | instid1(VALU_DEP_1)
	v_floor_f32_e32 v1, v1
	v_fma_f32 v1, 0xcf800000, v1, |v0|
	v_ashrrev_i32_e32 v0, 31, v0
	s_delay_alu instid0(VALU_DEP_2) | instskip(NEXT) | instid1(VALU_DEP_1)
	v_cvt_u32_f32_e32 v1, v1
	v_xor_b32_e32 v1, v1, v0
	s_delay_alu instid0(VALU_DEP_1)
	v_sub_nc_u32_e32 v0, v1, v0
.LBB6_1565:
	s_or_b32 exec_lo, exec_lo, s17
	s_mov_b32 s17, 0
	s_branch .LBB6_1571
.LBB6_1566:
                                        ; implicit-def: $vgpr0
	s_mov_b32 s17, 0
	s_branch .LBB6_1577
.LBB6_1567:
	s_and_not1_saveexec_b32 s18, s18
	s_cbranch_execz .LBB6_1553
.LBB6_1568:
	v_cmp_ne_u16_e32 vcc_lo, 0, v1
	s_and_not1_b32 s19, s19, exec_lo
	s_and_b32 s20, vcc_lo, exec_lo
	s_delay_alu instid0(SALU_CYCLE_1)
	s_or_b32 s19, s19, s20
	s_or_b32 exec_lo, exec_lo, s18
	v_mov_b32_e32 v0, 0
	s_and_saveexec_b32 s18, s19
	s_cbranch_execnz .LBB6_1554
	s_branch .LBB6_1555
.LBB6_1569:
	s_mov_b32 s17, -1
                                        ; implicit-def: $vgpr0
	s_branch .LBB6_1574
.LBB6_1570:
	s_mov_b32 s17, -1
                                        ; implicit-def: $vgpr0
.LBB6_1571:
	s_delay_alu instid0(SALU_CYCLE_1)
	s_and_b32 vcc_lo, exec_lo, s17
	s_cbranch_vccz .LBB6_1573
; %bb.1572:
	s_wait_loadcnt 0x0
	global_load_u8 v0, v[2:3], off
	s_wait_loadcnt 0x0
	v_lshlrev_b32_e32 v0, 24, v0
	s_delay_alu instid0(VALU_DEP_1) | instskip(NEXT) | instid1(VALU_DEP_1)
	v_and_b32_e32 v1, 0x7f000000, v0
	v_clz_i32_u32_e32 v5, v1
	v_add_nc_u32_e32 v7, 0x1000000, v1
	v_cmp_ne_u32_e32 vcc_lo, 0, v1
	s_delay_alu instid0(VALU_DEP_3) | instskip(NEXT) | instid1(VALU_DEP_1)
	v_min_u32_e32 v5, 32, v5
	v_sub_nc_u32_e64 v5, v5, 4 clamp
	s_delay_alu instid0(VALU_DEP_1) | instskip(NEXT) | instid1(VALU_DEP_1)
	v_lshlrev_b32_e32 v6, v5, v1
	v_dual_lshlrev_b32 v5, 23, v5 :: v_dual_lshrrev_b32 v6, 4, v6
	s_delay_alu instid0(VALU_DEP_1) | instskip(NEXT) | instid1(VALU_DEP_1)
	v_dual_sub_nc_u32 v5, v6, v5 :: v_dual_ashrrev_i32 v6, 8, v7
	v_add_nc_u32_e32 v5, 0x3c000000, v5
	s_delay_alu instid0(VALU_DEP_1) | instskip(NEXT) | instid1(VALU_DEP_1)
	v_and_or_b32 v5, 0x7f800000, v6, v5
	v_cndmask_b32_e32 v1, 0, v5, vcc_lo
	s_delay_alu instid0(VALU_DEP_1) | instskip(NEXT) | instid1(VALU_DEP_1)
	v_and_or_b32 v0, 0x80000000, v0, v1
	v_trunc_f32_e32 v0, v0
	s_delay_alu instid0(VALU_DEP_1) | instskip(NEXT) | instid1(VALU_DEP_1)
	v_mul_f32_e64 v1, 0x2f800000, |v0|
	v_floor_f32_e32 v1, v1
	s_delay_alu instid0(VALU_DEP_1) | instskip(SKIP_1) | instid1(VALU_DEP_2)
	v_fma_f32 v1, 0xcf800000, v1, |v0|
	v_ashrrev_i32_e32 v0, 31, v0
	v_cvt_u32_f32_e32 v1, v1
	s_delay_alu instid0(VALU_DEP_1) | instskip(NEXT) | instid1(VALU_DEP_1)
	v_xor_b32_e32 v1, v1, v0
	v_sub_nc_u32_e32 v0, v1, v0
.LBB6_1573:
	s_mov_b32 s17, 0
.LBB6_1574:
	s_delay_alu instid0(SALU_CYCLE_1)
	s_and_not1_b32 vcc_lo, exec_lo, s17
	s_cbranch_vccnz .LBB6_1576
; %bb.1575:
	s_wait_loadcnt 0x0
	global_load_u8 v0, v[2:3], off
	s_wait_loadcnt 0x0
	v_lshlrev_b32_e32 v1, 25, v0
	v_lshlrev_b16 v0, 8, v0
	s_delay_alu instid0(VALU_DEP_1) | instskip(SKIP_1) | instid1(VALU_DEP_2)
	v_and_or_b32 v6, 0x7f00, v0, 0.5
	v_bfe_i32 v0, v0, 0, 16
	v_dual_add_f32 v6, -0.5, v6 :: v_dual_lshrrev_b32 v5, 4, v1
	v_cmp_gt_u32_e32 vcc_lo, 0x8000000, v1
	s_delay_alu instid0(VALU_DEP_2) | instskip(NEXT) | instid1(VALU_DEP_1)
	v_or_b32_e32 v5, 0x70000000, v5
	v_mul_f32_e32 v5, 0x7800000, v5
	s_delay_alu instid0(VALU_DEP_1) | instskip(NEXT) | instid1(VALU_DEP_1)
	v_cndmask_b32_e32 v1, v5, v6, vcc_lo
	v_and_or_b32 v0, 0x80000000, v0, v1
	s_delay_alu instid0(VALU_DEP_1) | instskip(NEXT) | instid1(VALU_DEP_1)
	v_trunc_f32_e32 v0, v0
	v_mul_f32_e64 v1, 0x2f800000, |v0|
	s_delay_alu instid0(VALU_DEP_1) | instskip(NEXT) | instid1(VALU_DEP_1)
	v_floor_f32_e32 v1, v1
	v_fma_f32 v1, 0xcf800000, v1, |v0|
	v_ashrrev_i32_e32 v0, 31, v0
	s_delay_alu instid0(VALU_DEP_2) | instskip(NEXT) | instid1(VALU_DEP_1)
	v_cvt_u32_f32_e32 v1, v1
	v_xor_b32_e32 v1, v1, v0
	s_delay_alu instid0(VALU_DEP_1)
	v_sub_nc_u32_e32 v0, v1, v0
.LBB6_1576:
	s_mov_b32 s18, -1
	s_mov_b32 s17, 0
	s_cbranch_execnz .LBB6_1587
.LBB6_1577:
	s_cmp_gt_i32 s13, 14
	s_cbranch_scc0 .LBB6_1580
; %bb.1578:
	s_cmp_eq_u32 s13, 15
	s_cbranch_scc0 .LBB6_1583
; %bb.1579:
	s_wait_loadcnt 0x0
	global_load_u16 v0, v[2:3], off
	s_mov_b32 s14, 0
	s_mov_b32 s18, -1
	s_wait_loadcnt 0x0
	v_lshlrev_b32_e32 v0, 16, v0
	s_delay_alu instid0(VALU_DEP_1) | instskip(NEXT) | instid1(VALU_DEP_1)
	v_trunc_f32_e32 v0, v0
	v_mul_f32_e64 v1, 0x2f800000, |v0|
	s_delay_alu instid0(VALU_DEP_1) | instskip(NEXT) | instid1(VALU_DEP_1)
	v_floor_f32_e32 v1, v1
	v_fma_f32 v1, 0xcf800000, v1, |v0|
	v_ashrrev_i32_e32 v0, 31, v0
	s_delay_alu instid0(VALU_DEP_2) | instskip(NEXT) | instid1(VALU_DEP_1)
	v_cvt_u32_f32_e32 v1, v1
	v_xor_b32_e32 v1, v1, v0
	s_delay_alu instid0(VALU_DEP_1)
	v_sub_nc_u32_e32 v0, v1, v0
	s_branch .LBB6_1585
.LBB6_1580:
	s_mov_b32 s17, -1
	s_branch .LBB6_1584
.LBB6_1581:
	s_and_not1_saveexec_b32 s17, s17
	s_cbranch_execz .LBB6_1563
.LBB6_1582:
	v_cmp_ne_u16_e32 vcc_lo, 0, v1
	s_and_not1_b32 s18, s18, exec_lo
	s_and_b32 s19, vcc_lo, exec_lo
	s_delay_alu instid0(SALU_CYCLE_1)
	s_or_b32 s18, s18, s19
	s_or_b32 exec_lo, exec_lo, s17
	v_mov_b32_e32 v0, 0
	s_and_saveexec_b32 s17, s18
	s_cbranch_execnz .LBB6_1564
	s_branch .LBB6_1565
.LBB6_1583:
	s_mov_b32 s14, -1
.LBB6_1584:
                                        ; implicit-def: $vgpr0
.LBB6_1585:
	s_and_b32 vcc_lo, exec_lo, s17
	s_mov_b32 s17, 0
	s_cbranch_vccz .LBB6_1587
; %bb.1586:
	s_cmp_lg_u32 s13, 11
	s_mov_b32 s17, -1
	s_cselect_b32 s14, -1, 0
.LBB6_1587:
	s_delay_alu instid0(SALU_CYCLE_1)
	s_and_b32 vcc_lo, exec_lo, s14
	s_mov_b32 s13, s16
	s_cbranch_vccnz .LBB6_1648
; %bb.1588:
	s_and_not1_b32 vcc_lo, exec_lo, s17
	s_cbranch_vccnz .LBB6_1590
.LBB6_1589:
	s_wait_loadcnt 0x0
	global_load_u8 v0, v[2:3], off
	s_mov_b32 s18, -1
	s_wait_loadcnt 0x0
	v_cmp_ne_u16_e32 vcc_lo, 0, v0
	v_cndmask_b32_e64 v0, 0, 1, vcc_lo
.LBB6_1590:
	s_branch .LBB6_1524
.LBB6_1591:
	s_and_b32 s14, 0xffff, s0
	s_delay_alu instid0(SALU_CYCLE_1)
	s_cmp_lt_i32 s14, 5
	s_cbranch_scc1 .LBB6_1596
; %bb.1592:
	s_cmp_lt_i32 s14, 8
	s_cbranch_scc1 .LBB6_1597
; %bb.1593:
	;; [unrolled: 3-line block ×3, first 2 shown]
	s_cmp_gt_i32 s14, 9
	s_cbranch_scc0 .LBB6_1599
; %bb.1595:
	s_wait_loadcnt 0x0
	global_load_b64 v[0:1], v[2:3], off
	s_mov_b32 s17, 0
	s_wait_loadcnt 0x0
	v_trunc_f64_e32 v[0:1], v[0:1]
	s_delay_alu instid0(VALU_DEP_1) | instskip(NEXT) | instid1(VALU_DEP_1)
	v_ldexp_f64 v[6:7], v[0:1], 0xffffffe0
	v_floor_f64_e32 v[6:7], v[6:7]
	s_delay_alu instid0(VALU_DEP_1) | instskip(NEXT) | instid1(VALU_DEP_1)
	v_fmamk_f64 v[0:1], v[6:7], 0xc1f00000, v[0:1]
	v_cvt_u32_f64_e32 v0, v[0:1]
	s_branch .LBB6_1600
.LBB6_1596:
                                        ; implicit-def: $vgpr0
	s_branch .LBB6_1617
.LBB6_1597:
                                        ; implicit-def: $vgpr0
	s_branch .LBB6_1606
.LBB6_1598:
	s_mov_b32 s17, -1
                                        ; implicit-def: $vgpr0
	s_branch .LBB6_1603
.LBB6_1599:
	s_mov_b32 s17, -1
                                        ; implicit-def: $vgpr0
.LBB6_1600:
	s_delay_alu instid0(SALU_CYCLE_1)
	s_and_not1_b32 vcc_lo, exec_lo, s17
	s_cbranch_vccnz .LBB6_1602
; %bb.1601:
	s_wait_loadcnt 0x0
	global_load_b32 v0, v[2:3], off
	s_wait_loadcnt 0x0
	v_trunc_f32_e32 v0, v0
	s_delay_alu instid0(VALU_DEP_1) | instskip(NEXT) | instid1(VALU_DEP_1)
	v_mul_f32_e64 v1, 0x2f800000, |v0|
	v_floor_f32_e32 v1, v1
	s_delay_alu instid0(VALU_DEP_1) | instskip(SKIP_1) | instid1(VALU_DEP_2)
	v_fma_f32 v1, 0xcf800000, v1, |v0|
	v_ashrrev_i32_e32 v0, 31, v0
	v_cvt_u32_f32_e32 v1, v1
	s_delay_alu instid0(VALU_DEP_1) | instskip(NEXT) | instid1(VALU_DEP_1)
	v_xor_b32_e32 v1, v1, v0
	v_sub_nc_u32_e32 v0, v1, v0
.LBB6_1602:
	s_mov_b32 s17, 0
.LBB6_1603:
	s_delay_alu instid0(SALU_CYCLE_1)
	s_and_not1_b32 vcc_lo, exec_lo, s17
	s_cbranch_vccnz .LBB6_1605
; %bb.1604:
	s_wait_loadcnt 0x0
	global_load_b32 v0, v[2:3], off
	s_wait_loadcnt 0x0
	v_cvt_f32_f16_e32 v0, v0
	s_delay_alu instid0(VALU_DEP_1)
	v_cvt_i32_f32_e32 v0, v0
.LBB6_1605:
	s_cbranch_execnz .LBB6_1616
.LBB6_1606:
	s_cmp_lt_i32 s14, 6
	s_cbranch_scc1 .LBB6_1609
; %bb.1607:
	s_cmp_gt_i32 s14, 6
	s_cbranch_scc0 .LBB6_1610
; %bb.1608:
	s_wait_loadcnt 0x0
	global_load_b64 v[0:1], v[2:3], off
	s_mov_b32 s17, 0
	s_wait_loadcnt 0x0
	v_trunc_f64_e32 v[0:1], v[0:1]
	s_delay_alu instid0(VALU_DEP_1) | instskip(NEXT) | instid1(VALU_DEP_1)
	v_ldexp_f64 v[6:7], v[0:1], 0xffffffe0
	v_floor_f64_e32 v[6:7], v[6:7]
	s_delay_alu instid0(VALU_DEP_1) | instskip(NEXT) | instid1(VALU_DEP_1)
	v_fmamk_f64 v[0:1], v[6:7], 0xc1f00000, v[0:1]
	v_cvt_u32_f64_e32 v0, v[0:1]
	s_branch .LBB6_1611
.LBB6_1609:
	s_mov_b32 s17, -1
                                        ; implicit-def: $vgpr0
	s_branch .LBB6_1614
.LBB6_1610:
	s_mov_b32 s17, -1
                                        ; implicit-def: $vgpr0
.LBB6_1611:
	s_delay_alu instid0(SALU_CYCLE_1)
	s_and_not1_b32 vcc_lo, exec_lo, s17
	s_cbranch_vccnz .LBB6_1613
; %bb.1612:
	s_wait_loadcnt 0x0
	global_load_b32 v0, v[2:3], off
	s_wait_loadcnt 0x0
	v_trunc_f32_e32 v0, v0
	s_delay_alu instid0(VALU_DEP_1) | instskip(NEXT) | instid1(VALU_DEP_1)
	v_mul_f32_e64 v1, 0x2f800000, |v0|
	v_floor_f32_e32 v1, v1
	s_delay_alu instid0(VALU_DEP_1) | instskip(SKIP_1) | instid1(VALU_DEP_2)
	v_fma_f32 v1, 0xcf800000, v1, |v0|
	v_ashrrev_i32_e32 v0, 31, v0
	v_cvt_u32_f32_e32 v1, v1
	s_delay_alu instid0(VALU_DEP_1) | instskip(NEXT) | instid1(VALU_DEP_1)
	v_xor_b32_e32 v1, v1, v0
	v_sub_nc_u32_e32 v0, v1, v0
.LBB6_1613:
	s_mov_b32 s17, 0
.LBB6_1614:
	s_delay_alu instid0(SALU_CYCLE_1)
	s_and_not1_b32 vcc_lo, exec_lo, s17
	s_cbranch_vccnz .LBB6_1616
; %bb.1615:
	s_wait_loadcnt 0x0
	global_load_u16 v0, v[2:3], off
	s_wait_loadcnt 0x0
	v_cvt_f32_f16_e32 v0, v0
	s_delay_alu instid0(VALU_DEP_1)
	v_cvt_i32_f32_e32 v0, v0
.LBB6_1616:
	s_cbranch_execnz .LBB6_1635
.LBB6_1617:
	s_cmp_lt_i32 s14, 2
	s_cbranch_scc1 .LBB6_1621
; %bb.1618:
	s_cmp_lt_i32 s14, 3
	s_cbranch_scc1 .LBB6_1622
; %bb.1619:
	s_cmp_gt_i32 s14, 3
	s_cbranch_scc0 .LBB6_1623
; %bb.1620:
	s_wait_loadcnt 0x0
	global_load_b64 v[0:1], v[2:3], off
	s_mov_b32 s17, 0
	s_branch .LBB6_1624
.LBB6_1621:
                                        ; implicit-def: $vgpr0
	s_branch .LBB6_1630
.LBB6_1622:
	s_mov_b32 s17, -1
                                        ; implicit-def: $vgpr0
	s_branch .LBB6_1627
.LBB6_1623:
	s_mov_b32 s17, -1
                                        ; implicit-def: $vgpr0
.LBB6_1624:
	s_delay_alu instid0(SALU_CYCLE_1)
	s_and_not1_b32 vcc_lo, exec_lo, s17
	s_cbranch_vccnz .LBB6_1626
; %bb.1625:
	s_wait_loadcnt 0x0
	global_load_b32 v0, v[2:3], off
.LBB6_1626:
	s_mov_b32 s17, 0
.LBB6_1627:
	s_delay_alu instid0(SALU_CYCLE_1)
	s_and_not1_b32 vcc_lo, exec_lo, s17
	s_cbranch_vccnz .LBB6_1629
; %bb.1628:
	s_wait_loadcnt 0x0
	global_load_u16 v0, v[2:3], off
.LBB6_1629:
	s_cbranch_execnz .LBB6_1635
.LBB6_1630:
	s_cmp_gt_i32 s14, 0
	s_mov_b32 s14, 0
	s_cbranch_scc0 .LBB6_1632
; %bb.1631:
	s_wait_loadcnt 0x0
	global_load_u8 v0, v[2:3], off
	s_branch .LBB6_1633
.LBB6_1632:
	s_mov_b32 s14, -1
                                        ; implicit-def: $vgpr0
.LBB6_1633:
	s_delay_alu instid0(SALU_CYCLE_1)
	s_and_not1_b32 vcc_lo, exec_lo, s14
	s_cbranch_vccnz .LBB6_1635
; %bb.1634:
	s_wait_loadcnt 0x0
	global_load_u8 v0, v[2:3], off
.LBB6_1635:
.LBB6_1636:
	v_mul_lo_u32 v6, s10, v18
	s_and_b32 s1, s1, 0xff
	s_delay_alu instid0(SALU_CYCLE_1) | instskip(NEXT) | instid1(VALU_DEP_1)
	s_cmp_lt_i32 s1, 11
	v_ashrrev_i32_e32 v7, 31, v6
	s_delay_alu instid0(VALU_DEP_1)
	v_add_nc_u64_e32 v[8:9], s[2:3], v[6:7]
	s_cbranch_scc1 .LBB6_1643
; %bb.1637:
	s_and_b32 s14, 0xffff, s1
	s_mov_b32 s18, 0
	s_cmp_gt_i32 s14, 25
	s_cbranch_scc0 .LBB6_1645
; %bb.1638:
	s_cmp_gt_i32 s14, 28
	s_cbranch_scc0 .LBB6_1646
; %bb.1639:
	;; [unrolled: 3-line block ×4, first 2 shown]
	s_cmp_eq_u32 s14, 46
	s_mov_b32 s20, 0
	s_cbranch_scc0 .LBB6_1652
; %bb.1642:
	s_wait_loadcnt 0x0
	global_load_b32 v1, v[8:9], off
	s_mov_b32 s17, 0
	s_mov_b32 s19, -1
	s_wait_loadcnt 0x0
	v_lshlrev_b32_e32 v1, 16, v1
	s_delay_alu instid0(VALU_DEP_1) | instskip(SKIP_1) | instid1(VALU_DEP_1)
	v_trunc_f32_e32 v1, v1
	s_wait_xcnt 0x1
	v_mul_f32_e64 v2, 0x2f800000, |v1|
	s_delay_alu instid0(VALU_DEP_1) | instskip(NEXT) | instid1(VALU_DEP_1)
	v_floor_f32_e32 v2, v2
	v_fma_f32 v2, 0xcf800000, v2, |v1|
	v_ashrrev_i32_e32 v1, 31, v1
	s_delay_alu instid0(VALU_DEP_2) | instskip(NEXT) | instid1(VALU_DEP_1)
	v_cvt_u32_f32_e32 v2, v2
	v_xor_b32_e32 v2, v2, v1
	s_delay_alu instid0(VALU_DEP_1)
	v_sub_nc_u32_e32 v2, v2, v1
	s_branch .LBB6_1654
.LBB6_1643:
	s_mov_b32 s19, 0
                                        ; implicit-def: $vgpr2
	s_cbranch_execnz .LBB6_1715
.LBB6_1644:
	s_and_not1_b32 vcc_lo, exec_lo, s19
	s_cbranch_vccnz .LBB6_2957
	s_branch .LBB6_1762
.LBB6_1645:
	s_mov_b32 s19, 0
	s_mov_b32 s17, 0
                                        ; implicit-def: $vgpr2
	s_cbranch_execnz .LBB6_1681
	s_branch .LBB6_1711
.LBB6_1646:
	s_mov_b32 s20, -1
	s_mov_b32 s19, 0
	s_mov_b32 s17, 0
                                        ; implicit-def: $vgpr2
	s_branch .LBB6_1664
.LBB6_1647:
	s_mov_b32 s20, -1
	s_mov_b32 s19, 0
	s_mov_b32 s17, 0
                                        ; implicit-def: $vgpr2
	s_branch .LBB6_1659
.LBB6_1648:
	s_or_b32 s13, s16, exec_lo
	s_trap 2
	s_cbranch_execz .LBB6_1589
	s_branch .LBB6_1590
.LBB6_1649:
	s_mov_b32 s20, -1
	s_mov_b32 s19, 0
	s_mov_b32 s17, 0
	s_branch .LBB6_1653
.LBB6_1650:
	s_and_not1_saveexec_b32 s25, s25
	s_cbranch_execz .LBB6_1440
.LBB6_1651:
	v_add_f32_e32 v0, 0x42800000, v1
	s_and_not1_b32 s24, s24, exec_lo
	s_delay_alu instid0(VALU_DEP_1) | instskip(NEXT) | instid1(VALU_DEP_1)
	v_and_b32_e32 v0, 0xff, v0
	v_cmp_ne_u32_e32 vcc_lo, 0, v0
	s_and_b32 s26, vcc_lo, exec_lo
	s_delay_alu instid0(SALU_CYCLE_1)
	s_or_b32 s24, s24, s26
	s_or_b32 exec_lo, exec_lo, s25
	v_mov_b32_e32 v4, 0
	s_and_saveexec_b32 s25, s24
	s_cbranch_execnz .LBB6_1441
	s_branch .LBB6_1442
.LBB6_1652:
	s_mov_b32 s17, -1
	s_mov_b32 s19, 0
.LBB6_1653:
                                        ; implicit-def: $vgpr2
.LBB6_1654:
	s_and_b32 vcc_lo, exec_lo, s20
	s_cbranch_vccz .LBB6_1658
; %bb.1655:
	s_cmp_eq_u32 s14, 44
	s_cbranch_scc0 .LBB6_1657
; %bb.1656:
	s_wait_loadcnt 0x0
	global_load_u8 v1, v[8:9], off
	s_mov_b32 s17, 0
	s_mov_b32 s19, -1
	s_wait_loadcnt 0x0
	s_wait_xcnt 0x1
	v_lshlrev_b32_e32 v2, 23, v1
	v_cmp_ne_u32_e32 vcc_lo, 0, v1
	s_delay_alu instid0(VALU_DEP_2) | instskip(NEXT) | instid1(VALU_DEP_1)
	v_trunc_f32_e32 v2, v2
	v_mul_f32_e64 v3, 0x2f800000, |v2|
	s_delay_alu instid0(VALU_DEP_1) | instskip(NEXT) | instid1(VALU_DEP_1)
	v_floor_f32_e32 v3, v3
	v_fma_f32 v3, 0xcf800000, v3, |v2|
	v_ashrrev_i32_e32 v2, 31, v2
	s_delay_alu instid0(VALU_DEP_2) | instskip(NEXT) | instid1(VALU_DEP_1)
	v_cvt_u32_f32_e32 v3, v3
	v_xor_b32_e32 v3, v3, v2
	s_delay_alu instid0(VALU_DEP_1) | instskip(NEXT) | instid1(VALU_DEP_1)
	v_sub_nc_u32_e32 v2, v3, v2
	v_cndmask_b32_e32 v2, 0, v2, vcc_lo
	s_branch .LBB6_1658
.LBB6_1657:
	s_mov_b32 s17, -1
                                        ; implicit-def: $vgpr2
.LBB6_1658:
	s_mov_b32 s20, 0
.LBB6_1659:
	s_delay_alu instid0(SALU_CYCLE_1)
	s_and_b32 vcc_lo, exec_lo, s20
	s_cbranch_vccz .LBB6_1663
; %bb.1660:
	s_cmp_eq_u32 s14, 29
	s_cbranch_scc0 .LBB6_1662
; %bb.1661:
	global_load_b64 v[2:3], v[8:9], off
	s_mov_b32 s17, 0
	s_mov_b32 s19, -1
	s_branch .LBB6_1663
.LBB6_1662:
	s_mov_b32 s17, -1
                                        ; implicit-def: $vgpr2
.LBB6_1663:
	s_mov_b32 s20, 0
.LBB6_1664:
	s_delay_alu instid0(SALU_CYCLE_1)
	s_and_b32 vcc_lo, exec_lo, s20
	s_cbranch_vccz .LBB6_1680
; %bb.1665:
	s_cmp_lt_i32 s14, 27
	s_cbranch_scc1 .LBB6_1668
; %bb.1666:
	s_cmp_gt_i32 s14, 27
	s_cbranch_scc0 .LBB6_1669
; %bb.1667:
	s_wait_loadcnt 0x0
	global_load_b32 v2, v[8:9], off
	s_mov_b32 s19, 0
	s_branch .LBB6_1670
.LBB6_1668:
	s_mov_b32 s19, -1
                                        ; implicit-def: $vgpr2
	s_branch .LBB6_1673
.LBB6_1669:
	s_mov_b32 s19, -1
                                        ; implicit-def: $vgpr2
.LBB6_1670:
	s_delay_alu instid0(SALU_CYCLE_1)
	s_and_not1_b32 vcc_lo, exec_lo, s19
	s_cbranch_vccnz .LBB6_1672
; %bb.1671:
	s_wait_loadcnt 0x0
	global_load_u16 v2, v[8:9], off
.LBB6_1672:
	s_mov_b32 s19, 0
.LBB6_1673:
	s_delay_alu instid0(SALU_CYCLE_1)
	s_and_not1_b32 vcc_lo, exec_lo, s19
	s_cbranch_vccnz .LBB6_1679
; %bb.1674:
	s_wait_loadcnt 0x0
	global_load_u8 v1, v[8:9], off
	s_mov_b32 s20, 0
	s_mov_b32 s19, exec_lo
	s_wait_loadcnt 0x0
	v_cmpx_lt_i16_e32 0x7f, v1
	s_xor_b32 s19, exec_lo, s19
	s_cbranch_execz .LBB6_1690
; %bb.1675:
	v_cmp_ne_u16_e32 vcc_lo, 0x80, v1
	s_and_b32 s20, vcc_lo, exec_lo
	s_and_not1_saveexec_b32 s19, s19
	s_cbranch_execnz .LBB6_1691
.LBB6_1676:
	s_or_b32 exec_lo, exec_lo, s19
	v_mov_b32_e32 v2, 0
	s_and_saveexec_b32 s19, s20
	s_cbranch_execz .LBB6_1678
.LBB6_1677:
	v_and_b32_e32 v2, 0xffff, v1
	s_delay_alu instid0(VALU_DEP_1) | instskip(SKIP_1) | instid1(VALU_DEP_2)
	v_and_b32_e32 v3, 7, v2
	v_bfe_u32 v10, v2, 3, 4
	v_clz_i32_u32_e32 v5, v3
	s_delay_alu instid0(VALU_DEP_2) | instskip(NEXT) | instid1(VALU_DEP_2)
	v_cmp_eq_u32_e32 vcc_lo, 0, v10
	v_min_u32_e32 v5, 32, v5
	s_delay_alu instid0(VALU_DEP_1) | instskip(NEXT) | instid1(VALU_DEP_1)
	v_subrev_nc_u32_e32 v7, 28, v5
	v_dual_lshlrev_b32 v2, v7, v2 :: v_dual_sub_nc_u32 v5, 29, v5
	s_delay_alu instid0(VALU_DEP_1) | instskip(NEXT) | instid1(VALU_DEP_1)
	v_dual_lshlrev_b32 v1, 24, v1 :: v_dual_bitop2_b32 v2, 7, v2 bitop3:0x40
	v_dual_cndmask_b32 v2, v3, v2 :: v_dual_cndmask_b32 v5, v10, v5
	s_delay_alu instid0(VALU_DEP_2) | instskip(NEXT) | instid1(VALU_DEP_2)
	v_and_b32_e32 v1, 0x80000000, v1
	v_lshlrev_b32_e32 v2, 20, v2
	s_delay_alu instid0(VALU_DEP_3) | instskip(NEXT) | instid1(VALU_DEP_1)
	v_lshl_add_u32 v3, v5, 23, 0x3b800000
	v_or3_b32 v1, v1, v3, v2
	s_delay_alu instid0(VALU_DEP_1) | instskip(NEXT) | instid1(VALU_DEP_1)
	v_trunc_f32_e32 v1, v1
	v_mul_f32_e64 v2, 0x2f800000, |v1|
	s_delay_alu instid0(VALU_DEP_1) | instskip(NEXT) | instid1(VALU_DEP_1)
	v_floor_f32_e32 v2, v2
	v_fma_f32 v2, 0xcf800000, v2, |v1|
	v_ashrrev_i32_e32 v1, 31, v1
	s_delay_alu instid0(VALU_DEP_2) | instskip(NEXT) | instid1(VALU_DEP_1)
	v_cvt_u32_f32_e32 v2, v2
	v_xor_b32_e32 v2, v2, v1
	s_delay_alu instid0(VALU_DEP_1)
	v_sub_nc_u32_e32 v2, v2, v1
.LBB6_1678:
	s_or_b32 exec_lo, exec_lo, s19
.LBB6_1679:
	s_mov_b32 s19, -1
.LBB6_1680:
	s_branch .LBB6_1711
.LBB6_1681:
	s_cmp_gt_i32 s14, 22
	s_cbranch_scc0 .LBB6_1689
; %bb.1682:
	s_cmp_lt_i32 s14, 24
	s_cbranch_scc1 .LBB6_1692
; %bb.1683:
	s_cmp_gt_i32 s14, 24
	s_cbranch_scc0 .LBB6_1693
; %bb.1684:
	s_wait_loadcnt 0x0
	global_load_u8 v1, v[8:9], off
	s_mov_b32 s19, 0
	s_mov_b32 s18, exec_lo
	s_wait_loadcnt 0x0
	v_cmpx_lt_i16_e32 0x7f, v1
	s_xor_b32 s18, exec_lo, s18
	s_cbranch_execz .LBB6_1705
; %bb.1685:
	v_cmp_ne_u16_e32 vcc_lo, 0x80, v1
	s_and_b32 s19, vcc_lo, exec_lo
	s_and_not1_saveexec_b32 s18, s18
	s_cbranch_execnz .LBB6_1706
.LBB6_1686:
	s_or_b32 exec_lo, exec_lo, s18
	v_mov_b32_e32 v2, 0
	s_and_saveexec_b32 s18, s19
	s_cbranch_execz .LBB6_1688
.LBB6_1687:
	v_and_b32_e32 v2, 0xffff, v1
	s_delay_alu instid0(VALU_DEP_1) | instskip(SKIP_1) | instid1(VALU_DEP_2)
	v_and_b32_e32 v3, 3, v2
	v_bfe_u32 v10, v2, 2, 5
	v_clz_i32_u32_e32 v5, v3
	s_delay_alu instid0(VALU_DEP_2) | instskip(NEXT) | instid1(VALU_DEP_2)
	v_cmp_eq_u32_e32 vcc_lo, 0, v10
	v_min_u32_e32 v5, 32, v5
	s_delay_alu instid0(VALU_DEP_1) | instskip(NEXT) | instid1(VALU_DEP_1)
	v_subrev_nc_u32_e32 v7, 29, v5
	v_dual_lshlrev_b32 v2, v7, v2 :: v_dual_sub_nc_u32 v5, 30, v5
	s_delay_alu instid0(VALU_DEP_1) | instskip(NEXT) | instid1(VALU_DEP_1)
	v_dual_lshlrev_b32 v1, 24, v1 :: v_dual_bitop2_b32 v2, 3, v2 bitop3:0x40
	v_dual_cndmask_b32 v2, v3, v2 :: v_dual_cndmask_b32 v5, v10, v5
	s_delay_alu instid0(VALU_DEP_2) | instskip(NEXT) | instid1(VALU_DEP_2)
	v_and_b32_e32 v1, 0x80000000, v1
	v_lshlrev_b32_e32 v2, 21, v2
	s_delay_alu instid0(VALU_DEP_3) | instskip(NEXT) | instid1(VALU_DEP_1)
	v_lshl_add_u32 v3, v5, 23, 0x37800000
	v_or3_b32 v1, v1, v3, v2
	s_delay_alu instid0(VALU_DEP_1) | instskip(NEXT) | instid1(VALU_DEP_1)
	v_trunc_f32_e32 v1, v1
	v_mul_f32_e64 v2, 0x2f800000, |v1|
	s_delay_alu instid0(VALU_DEP_1) | instskip(NEXT) | instid1(VALU_DEP_1)
	v_floor_f32_e32 v2, v2
	v_fma_f32 v2, 0xcf800000, v2, |v1|
	v_ashrrev_i32_e32 v1, 31, v1
	s_delay_alu instid0(VALU_DEP_2) | instskip(NEXT) | instid1(VALU_DEP_1)
	v_cvt_u32_f32_e32 v2, v2
	v_xor_b32_e32 v2, v2, v1
	s_delay_alu instid0(VALU_DEP_1)
	v_sub_nc_u32_e32 v2, v2, v1
.LBB6_1688:
	s_or_b32 exec_lo, exec_lo, s18
	s_mov_b32 s18, 0
	s_branch .LBB6_1694
.LBB6_1689:
	s_mov_b32 s18, -1
                                        ; implicit-def: $vgpr2
	s_branch .LBB6_1700
.LBB6_1690:
	s_and_not1_saveexec_b32 s19, s19
	s_cbranch_execz .LBB6_1676
.LBB6_1691:
	v_cmp_ne_u16_e32 vcc_lo, 0, v1
	s_and_not1_b32 s20, s20, exec_lo
	s_and_b32 s21, vcc_lo, exec_lo
	s_delay_alu instid0(SALU_CYCLE_1)
	s_or_b32 s20, s20, s21
	s_or_b32 exec_lo, exec_lo, s19
	v_mov_b32_e32 v2, 0
	s_and_saveexec_b32 s19, s20
	s_cbranch_execnz .LBB6_1677
	s_branch .LBB6_1678
.LBB6_1692:
	s_mov_b32 s18, -1
                                        ; implicit-def: $vgpr2
	s_branch .LBB6_1697
.LBB6_1693:
	s_mov_b32 s18, -1
                                        ; implicit-def: $vgpr2
.LBB6_1694:
	s_delay_alu instid0(SALU_CYCLE_1)
	s_and_b32 vcc_lo, exec_lo, s18
	s_cbranch_vccz .LBB6_1696
; %bb.1695:
	s_wait_loadcnt 0x0
	global_load_u8 v1, v[8:9], off
	s_wait_loadcnt 0x0
	v_lshlrev_b32_e32 v1, 24, v1
	s_wait_xcnt 0x1
	s_delay_alu instid0(VALU_DEP_1) | instskip(NEXT) | instid1(VALU_DEP_1)
	v_and_b32_e32 v2, 0x7f000000, v1
	v_clz_i32_u32_e32 v3, v2
	v_cmp_ne_u32_e32 vcc_lo, 0, v2
	v_add_nc_u32_e32 v7, 0x1000000, v2
	s_delay_alu instid0(VALU_DEP_3) | instskip(NEXT) | instid1(VALU_DEP_1)
	v_min_u32_e32 v3, 32, v3
	v_sub_nc_u32_e64 v3, v3, 4 clamp
	s_delay_alu instid0(VALU_DEP_1) | instskip(NEXT) | instid1(VALU_DEP_1)
	v_dual_lshlrev_b32 v5, v3, v2 :: v_dual_lshlrev_b32 v3, 23, v3
	v_lshrrev_b32_e32 v5, 4, v5
	s_delay_alu instid0(VALU_DEP_1) | instskip(SKIP_1) | instid1(VALU_DEP_2)
	v_sub_nc_u32_e32 v3, v5, v3
	v_ashrrev_i32_e32 v5, 8, v7
	v_add_nc_u32_e32 v3, 0x3c000000, v3
	s_delay_alu instid0(VALU_DEP_1) | instskip(NEXT) | instid1(VALU_DEP_1)
	v_and_or_b32 v3, 0x7f800000, v5, v3
	v_cndmask_b32_e32 v2, 0, v3, vcc_lo
	s_delay_alu instid0(VALU_DEP_1) | instskip(NEXT) | instid1(VALU_DEP_1)
	v_and_or_b32 v1, 0x80000000, v1, v2
	v_trunc_f32_e32 v1, v1
	s_delay_alu instid0(VALU_DEP_1) | instskip(NEXT) | instid1(VALU_DEP_1)
	v_mul_f32_e64 v2, 0x2f800000, |v1|
	v_floor_f32_e32 v2, v2
	s_delay_alu instid0(VALU_DEP_1) | instskip(SKIP_1) | instid1(VALU_DEP_2)
	v_fma_f32 v2, 0xcf800000, v2, |v1|
	v_ashrrev_i32_e32 v1, 31, v1
	v_cvt_u32_f32_e32 v2, v2
	s_delay_alu instid0(VALU_DEP_1) | instskip(NEXT) | instid1(VALU_DEP_1)
	v_xor_b32_e32 v2, v2, v1
	v_sub_nc_u32_e32 v2, v2, v1
.LBB6_1696:
	s_mov_b32 s18, 0
.LBB6_1697:
	s_delay_alu instid0(SALU_CYCLE_1)
	s_and_not1_b32 vcc_lo, exec_lo, s18
	s_cbranch_vccnz .LBB6_1699
; %bb.1698:
	s_wait_loadcnt 0x0
	global_load_u8 v1, v[8:9], off
	s_wait_loadcnt 0x0
	s_wait_xcnt 0x1
	v_lshlrev_b32_e32 v2, 25, v1
	v_lshlrev_b16 v1, 8, v1
	s_delay_alu instid0(VALU_DEP_1) | instskip(NEXT) | instid1(VALU_DEP_3)
	v_and_or_b32 v5, 0x7f00, v1, 0.5
	v_lshrrev_b32_e32 v3, 4, v2
	v_bfe_i32 v1, v1, 0, 16
	s_delay_alu instid0(VALU_DEP_3) | instskip(NEXT) | instid1(VALU_DEP_3)
	v_add_f32_e32 v5, -0.5, v5
	v_or_b32_e32 v3, 0x70000000, v3
	s_delay_alu instid0(VALU_DEP_1) | instskip(SKIP_1) | instid1(VALU_DEP_2)
	v_mul_f32_e32 v3, 0x7800000, v3
	v_cmp_gt_u32_e32 vcc_lo, 0x8000000, v2
	v_cndmask_b32_e32 v2, v3, v5, vcc_lo
	s_delay_alu instid0(VALU_DEP_1) | instskip(NEXT) | instid1(VALU_DEP_1)
	v_and_or_b32 v1, 0x80000000, v1, v2
	v_trunc_f32_e32 v1, v1
	s_delay_alu instid0(VALU_DEP_1) | instskip(NEXT) | instid1(VALU_DEP_1)
	v_mul_f32_e64 v2, 0x2f800000, |v1|
	v_floor_f32_e32 v2, v2
	s_delay_alu instid0(VALU_DEP_1) | instskip(SKIP_1) | instid1(VALU_DEP_2)
	v_fma_f32 v2, 0xcf800000, v2, |v1|
	v_ashrrev_i32_e32 v1, 31, v1
	v_cvt_u32_f32_e32 v2, v2
	s_delay_alu instid0(VALU_DEP_1) | instskip(NEXT) | instid1(VALU_DEP_1)
	v_xor_b32_e32 v2, v2, v1
	v_sub_nc_u32_e32 v2, v2, v1
.LBB6_1699:
	s_mov_b32 s18, 0
	s_mov_b32 s19, -1
.LBB6_1700:
	s_and_not1_b32 vcc_lo, exec_lo, s18
	s_mov_b32 s18, 0
	s_cbranch_vccnz .LBB6_1711
; %bb.1701:
	s_cmp_gt_i32 s14, 14
	s_cbranch_scc0 .LBB6_1704
; %bb.1702:
	s_cmp_eq_u32 s14, 15
	s_cbranch_scc0 .LBB6_1707
; %bb.1703:
	s_wait_loadcnt 0x0
	global_load_u16 v1, v[8:9], off
	s_mov_b32 s17, 0
	s_mov_b32 s19, -1
	s_wait_loadcnt 0x0
	v_lshlrev_b32_e32 v1, 16, v1
	s_delay_alu instid0(VALU_DEP_1) | instskip(SKIP_1) | instid1(VALU_DEP_1)
	v_trunc_f32_e32 v1, v1
	s_wait_xcnt 0x1
	v_mul_f32_e64 v2, 0x2f800000, |v1|
	s_delay_alu instid0(VALU_DEP_1) | instskip(NEXT) | instid1(VALU_DEP_1)
	v_floor_f32_e32 v2, v2
	v_fma_f32 v2, 0xcf800000, v2, |v1|
	v_ashrrev_i32_e32 v1, 31, v1
	s_delay_alu instid0(VALU_DEP_2) | instskip(NEXT) | instid1(VALU_DEP_1)
	v_cvt_u32_f32_e32 v2, v2
	v_xor_b32_e32 v2, v2, v1
	s_delay_alu instid0(VALU_DEP_1)
	v_sub_nc_u32_e32 v2, v2, v1
	s_branch .LBB6_1709
.LBB6_1704:
	s_mov_b32 s18, -1
	s_branch .LBB6_1708
.LBB6_1705:
	s_and_not1_saveexec_b32 s18, s18
	s_cbranch_execz .LBB6_1686
.LBB6_1706:
	v_cmp_ne_u16_e32 vcc_lo, 0, v1
	s_and_not1_b32 s19, s19, exec_lo
	s_and_b32 s20, vcc_lo, exec_lo
	s_delay_alu instid0(SALU_CYCLE_1)
	s_or_b32 s19, s19, s20
	s_or_b32 exec_lo, exec_lo, s18
	v_mov_b32_e32 v2, 0
	s_and_saveexec_b32 s18, s19
	s_cbranch_execnz .LBB6_1687
	s_branch .LBB6_1688
.LBB6_1707:
	s_mov_b32 s17, -1
.LBB6_1708:
                                        ; implicit-def: $vgpr2
.LBB6_1709:
	s_and_b32 vcc_lo, exec_lo, s18
	s_mov_b32 s18, 0
	s_cbranch_vccz .LBB6_1711
; %bb.1710:
	s_cmp_lg_u32 s14, 11
	s_mov_b32 s18, -1
	s_cselect_b32 s17, -1, 0
.LBB6_1711:
	s_delay_alu instid0(SALU_CYCLE_1)
	s_and_b32 vcc_lo, exec_lo, s17
	s_cbranch_vccnz .LBB6_1774
; %bb.1712:
	s_and_not1_b32 vcc_lo, exec_lo, s18
	s_cbranch_vccnz .LBB6_1714
.LBB6_1713:
	s_wait_loadcnt 0x0
	global_load_u8 v1, v[8:9], off
	s_mov_b32 s19, -1
	s_wait_loadcnt 0x0
	v_cmp_ne_u16_e32 vcc_lo, 0, v1
	s_wait_xcnt 0x1
	v_cndmask_b32_e64 v2, 0, 1, vcc_lo
.LBB6_1714:
	s_branch .LBB6_1644
.LBB6_1715:
	s_and_b32 s14, 0xffff, s1
	s_delay_alu instid0(SALU_CYCLE_1)
	s_cmp_lt_i32 s14, 5
	s_cbranch_scc1 .LBB6_1720
; %bb.1716:
	s_cmp_lt_i32 s14, 8
	s_cbranch_scc1 .LBB6_1721
; %bb.1717:
	;; [unrolled: 3-line block ×3, first 2 shown]
	s_cmp_gt_i32 s14, 9
	s_cbranch_scc0 .LBB6_1723
; %bb.1719:
	s_wait_loadcnt 0x0
	global_load_b64 v[2:3], v[8:9], off
	s_mov_b32 s17, 0
	s_wait_loadcnt 0x0
	v_trunc_f64_e32 v[2:3], v[2:3]
	s_delay_alu instid0(VALU_DEP_1) | instskip(NEXT) | instid1(VALU_DEP_1)
	v_ldexp_f64 v[10:11], v[2:3], 0xffffffe0
	v_floor_f64_e32 v[10:11], v[10:11]
	s_delay_alu instid0(VALU_DEP_1) | instskip(NEXT) | instid1(VALU_DEP_1)
	v_fmamk_f64 v[2:3], v[10:11], 0xc1f00000, v[2:3]
	v_cvt_u32_f64_e32 v2, v[2:3]
	s_branch .LBB6_1724
.LBB6_1720:
                                        ; implicit-def: $vgpr2
	s_branch .LBB6_1742
.LBB6_1721:
	s_mov_b32 s17, -1
                                        ; implicit-def: $vgpr2
	s_branch .LBB6_1730
.LBB6_1722:
	s_mov_b32 s17, -1
                                        ; implicit-def: $vgpr2
	s_branch .LBB6_1727
.LBB6_1723:
	s_mov_b32 s17, -1
                                        ; implicit-def: $vgpr2
.LBB6_1724:
	s_delay_alu instid0(SALU_CYCLE_1)
	s_and_not1_b32 vcc_lo, exec_lo, s17
	s_cbranch_vccnz .LBB6_1726
; %bb.1725:
	s_wait_loadcnt 0x0
	global_load_b32 v1, v[8:9], off
	s_wait_loadcnt 0x0
	v_trunc_f32_e32 v1, v1
	s_wait_xcnt 0x1
	s_delay_alu instid0(VALU_DEP_1) | instskip(NEXT) | instid1(VALU_DEP_1)
	v_mul_f32_e64 v2, 0x2f800000, |v1|
	v_floor_f32_e32 v2, v2
	s_delay_alu instid0(VALU_DEP_1) | instskip(SKIP_1) | instid1(VALU_DEP_2)
	v_fma_f32 v2, 0xcf800000, v2, |v1|
	v_ashrrev_i32_e32 v1, 31, v1
	v_cvt_u32_f32_e32 v2, v2
	s_delay_alu instid0(VALU_DEP_1) | instskip(NEXT) | instid1(VALU_DEP_1)
	v_xor_b32_e32 v2, v2, v1
	v_sub_nc_u32_e32 v2, v2, v1
.LBB6_1726:
	s_mov_b32 s17, 0
.LBB6_1727:
	s_delay_alu instid0(SALU_CYCLE_1)
	s_and_not1_b32 vcc_lo, exec_lo, s17
	s_cbranch_vccnz .LBB6_1729
; %bb.1728:
	s_wait_loadcnt 0x0
	global_load_b32 v1, v[8:9], off
	s_wait_loadcnt 0x0
	v_cvt_f32_f16_e32 v1, v1
	s_wait_xcnt 0x1
	s_delay_alu instid0(VALU_DEP_1)
	v_cvt_i32_f32_e32 v2, v1
.LBB6_1729:
	s_mov_b32 s17, 0
.LBB6_1730:
	s_delay_alu instid0(SALU_CYCLE_1)
	s_and_not1_b32 vcc_lo, exec_lo, s17
	s_cbranch_vccnz .LBB6_1741
; %bb.1731:
	s_cmp_lt_i32 s14, 6
	s_cbranch_scc1 .LBB6_1734
; %bb.1732:
	s_cmp_gt_i32 s14, 6
	s_cbranch_scc0 .LBB6_1735
; %bb.1733:
	s_wait_loadcnt 0x0
	global_load_b64 v[2:3], v[8:9], off
	s_mov_b32 s17, 0
	s_wait_loadcnt 0x0
	v_trunc_f64_e32 v[2:3], v[2:3]
	s_delay_alu instid0(VALU_DEP_1) | instskip(NEXT) | instid1(VALU_DEP_1)
	v_ldexp_f64 v[10:11], v[2:3], 0xffffffe0
	v_floor_f64_e32 v[10:11], v[10:11]
	s_delay_alu instid0(VALU_DEP_1) | instskip(NEXT) | instid1(VALU_DEP_1)
	v_fmamk_f64 v[2:3], v[10:11], 0xc1f00000, v[2:3]
	v_cvt_u32_f64_e32 v2, v[2:3]
	s_branch .LBB6_1736
.LBB6_1734:
	s_mov_b32 s17, -1
                                        ; implicit-def: $vgpr2
	s_branch .LBB6_1739
.LBB6_1735:
	s_mov_b32 s17, -1
                                        ; implicit-def: $vgpr2
.LBB6_1736:
	s_delay_alu instid0(SALU_CYCLE_1)
	s_and_not1_b32 vcc_lo, exec_lo, s17
	s_cbranch_vccnz .LBB6_1738
; %bb.1737:
	s_wait_loadcnt 0x0
	global_load_b32 v1, v[8:9], off
	s_wait_loadcnt 0x0
	v_trunc_f32_e32 v1, v1
	s_wait_xcnt 0x1
	s_delay_alu instid0(VALU_DEP_1) | instskip(NEXT) | instid1(VALU_DEP_1)
	v_mul_f32_e64 v2, 0x2f800000, |v1|
	v_floor_f32_e32 v2, v2
	s_delay_alu instid0(VALU_DEP_1) | instskip(SKIP_1) | instid1(VALU_DEP_2)
	v_fma_f32 v2, 0xcf800000, v2, |v1|
	v_ashrrev_i32_e32 v1, 31, v1
	v_cvt_u32_f32_e32 v2, v2
	s_delay_alu instid0(VALU_DEP_1) | instskip(NEXT) | instid1(VALU_DEP_1)
	v_xor_b32_e32 v2, v2, v1
	v_sub_nc_u32_e32 v2, v2, v1
.LBB6_1738:
	s_mov_b32 s17, 0
.LBB6_1739:
	s_delay_alu instid0(SALU_CYCLE_1)
	s_and_not1_b32 vcc_lo, exec_lo, s17
	s_cbranch_vccnz .LBB6_1741
; %bb.1740:
	s_wait_loadcnt 0x0
	global_load_u16 v1, v[8:9], off
	s_wait_loadcnt 0x0
	v_cvt_f32_f16_e32 v1, v1
	s_wait_xcnt 0x1
	s_delay_alu instid0(VALU_DEP_1)
	v_cvt_i32_f32_e32 v2, v1
.LBB6_1741:
	s_cbranch_execnz .LBB6_1761
.LBB6_1742:
	s_cmp_lt_i32 s14, 2
	s_cbranch_scc1 .LBB6_1746
; %bb.1743:
	s_cmp_lt_i32 s14, 3
	s_cbranch_scc1 .LBB6_1747
; %bb.1744:
	s_cmp_gt_i32 s14, 3
	s_cbranch_scc0 .LBB6_1748
; %bb.1745:
	s_wait_loadcnt 0x0
	global_load_b64 v[2:3], v[8:9], off
	s_mov_b32 s17, 0
	s_branch .LBB6_1749
.LBB6_1746:
	s_mov_b32 s17, -1
                                        ; implicit-def: $vgpr2
	s_branch .LBB6_1755
.LBB6_1747:
	s_mov_b32 s17, -1
                                        ; implicit-def: $vgpr2
	s_branch .LBB6_1752
.LBB6_1748:
	s_mov_b32 s17, -1
                                        ; implicit-def: $vgpr2
.LBB6_1749:
	s_delay_alu instid0(SALU_CYCLE_1)
	s_and_not1_b32 vcc_lo, exec_lo, s17
	s_cbranch_vccnz .LBB6_1751
; %bb.1750:
	s_wait_loadcnt 0x0
	global_load_b32 v2, v[8:9], off
.LBB6_1751:
	s_mov_b32 s17, 0
.LBB6_1752:
	s_delay_alu instid0(SALU_CYCLE_1)
	s_and_not1_b32 vcc_lo, exec_lo, s17
	s_cbranch_vccnz .LBB6_1754
; %bb.1753:
	s_wait_loadcnt 0x0
	global_load_u16 v2, v[8:9], off
.LBB6_1754:
	s_mov_b32 s17, 0
.LBB6_1755:
	s_delay_alu instid0(SALU_CYCLE_1)
	s_and_not1_b32 vcc_lo, exec_lo, s17
	s_cbranch_vccnz .LBB6_1761
; %bb.1756:
	s_cmp_gt_i32 s14, 0
	s_mov_b32 s14, 0
	s_cbranch_scc0 .LBB6_1758
; %bb.1757:
	s_wait_loadcnt 0x0
	global_load_u8 v2, v[8:9], off
	s_branch .LBB6_1759
.LBB6_1758:
	s_mov_b32 s14, -1
                                        ; implicit-def: $vgpr2
.LBB6_1759:
	s_delay_alu instid0(SALU_CYCLE_1)
	s_and_not1_b32 vcc_lo, exec_lo, s14
	s_cbranch_vccnz .LBB6_1761
; %bb.1760:
	s_wait_loadcnt 0x0
	global_load_u8 v2, v[8:9], off
.LBB6_1761:
.LBB6_1762:
	s_lshl_b32 s9, s9, 7
	s_cmp_lt_i32 s0, 11
	s_wait_xcnt 0x0
	v_add_nc_u32_e32 v8, s9, v4
	s_delay_alu instid0(VALU_DEP_1) | instskip(NEXT) | instid1(VALU_DEP_1)
	v_ashrrev_i32_e32 v9, 31, v8
	v_add_nc_u64_e32 v[10:11], s[6:7], v[8:9]
	s_cbranch_scc1 .LBB6_1769
; %bb.1763:
	s_and_b32 s14, 0xffff, s0
	s_mov_b32 s18, 0
	s_cmp_gt_i32 s14, 25
	s_cbranch_scc0 .LBB6_1771
; %bb.1764:
	s_cmp_gt_i32 s14, 28
	s_cbranch_scc0 .LBB6_1772
; %bb.1765:
	;; [unrolled: 3-line block ×4, first 2 shown]
	s_cmp_eq_u32 s14, 46
	s_mov_b32 s20, 0
	s_cbranch_scc0 .LBB6_1776
; %bb.1768:
	s_wait_loadcnt 0x0
	global_load_b32 v1, v[10:11], off
	s_mov_b32 s17, 0
	s_mov_b32 s19, -1
	s_wait_loadcnt 0x0
	v_lshlrev_b32_e32 v1, 16, v1
	s_delay_alu instid0(VALU_DEP_1) | instskip(NEXT) | instid1(VALU_DEP_1)
	v_trunc_f32_e32 v1, v1
	v_mul_f32_e64 v3, 0x2f800000, |v1|
	s_delay_alu instid0(VALU_DEP_1) | instskip(NEXT) | instid1(VALU_DEP_1)
	v_floor_f32_e32 v3, v3
	v_fma_f32 v3, 0xcf800000, v3, |v1|
	v_ashrrev_i32_e32 v1, 31, v1
	s_delay_alu instid0(VALU_DEP_2) | instskip(NEXT) | instid1(VALU_DEP_1)
	v_cvt_u32_f32_e32 v3, v3
	v_xor_b32_e32 v3, v3, v1
	s_delay_alu instid0(VALU_DEP_1)
	v_sub_nc_u32_e32 v4, v3, v1
	s_branch .LBB6_1778
.LBB6_1769:
	s_mov_b32 s19, 0
                                        ; implicit-def: $vgpr4
	s_cbranch_execnz .LBB6_1840
.LBB6_1770:
	s_and_not1_b32 vcc_lo, exec_lo, s19
	s_cbranch_vccnz .LBB6_2957
	s_branch .LBB6_1888
.LBB6_1771:
	s_mov_b32 s20, -1
	s_mov_b32 s19, 0
	s_mov_b32 s17, 0
                                        ; implicit-def: $vgpr4
	s_branch .LBB6_1805
.LBB6_1772:
	s_mov_b32 s20, -1
	s_mov_b32 s19, 0
	s_mov_b32 s17, 0
                                        ; implicit-def: $vgpr4
	s_branch .LBB6_1788
.LBB6_1773:
	s_mov_b32 s20, -1
	s_mov_b32 s19, 0
	s_mov_b32 s17, 0
                                        ; implicit-def: $vgpr4
	s_branch .LBB6_1783
.LBB6_1774:
	s_or_b32 s13, s13, exec_lo
	s_trap 2
	s_cbranch_execz .LBB6_1713
	s_branch .LBB6_1714
.LBB6_1775:
	s_mov_b32 s20, -1
	s_mov_b32 s19, 0
	s_mov_b32 s17, 0
	s_branch .LBB6_1777
.LBB6_1776:
	s_mov_b32 s17, -1
	s_mov_b32 s19, 0
.LBB6_1777:
                                        ; implicit-def: $vgpr4
.LBB6_1778:
	s_and_b32 vcc_lo, exec_lo, s20
	s_cbranch_vccz .LBB6_1782
; %bb.1779:
	s_cmp_eq_u32 s14, 44
	s_cbranch_scc0 .LBB6_1781
; %bb.1780:
	s_wait_loadcnt 0x0
	global_load_u8 v1, v[10:11], off
	s_mov_b32 s17, 0
	s_mov_b32 s19, -1
	s_wait_loadcnt 0x0
	v_lshlrev_b32_e32 v3, 23, v1
	v_cmp_ne_u32_e32 vcc_lo, 0, v1
	s_delay_alu instid0(VALU_DEP_2) | instskip(NEXT) | instid1(VALU_DEP_1)
	v_trunc_f32_e32 v3, v3
	v_mul_f32_e64 v4, 0x2f800000, |v3|
	s_delay_alu instid0(VALU_DEP_1) | instskip(NEXT) | instid1(VALU_DEP_1)
	v_floor_f32_e32 v4, v4
	v_fma_f32 v4, 0xcf800000, v4, |v3|
	v_ashrrev_i32_e32 v3, 31, v3
	s_delay_alu instid0(VALU_DEP_2) | instskip(NEXT) | instid1(VALU_DEP_1)
	v_cvt_u32_f32_e32 v4, v4
	v_xor_b32_e32 v4, v4, v3
	s_delay_alu instid0(VALU_DEP_1) | instskip(NEXT) | instid1(VALU_DEP_1)
	v_sub_nc_u32_e32 v3, v4, v3
	v_cndmask_b32_e32 v4, 0, v3, vcc_lo
	s_branch .LBB6_1782
.LBB6_1781:
	s_mov_b32 s17, -1
                                        ; implicit-def: $vgpr4
.LBB6_1782:
	s_mov_b32 s20, 0
.LBB6_1783:
	s_delay_alu instid0(SALU_CYCLE_1)
	s_and_b32 vcc_lo, exec_lo, s20
	s_cbranch_vccz .LBB6_1787
; %bb.1784:
	s_cmp_eq_u32 s14, 29
	s_cbranch_scc0 .LBB6_1786
; %bb.1785:
	global_load_b64 v[4:5], v[10:11], off
	s_mov_b32 s17, 0
	s_mov_b32 s19, -1
	s_branch .LBB6_1787
.LBB6_1786:
	s_mov_b32 s17, -1
                                        ; implicit-def: $vgpr4
.LBB6_1787:
	s_mov_b32 s20, 0
.LBB6_1788:
	s_delay_alu instid0(SALU_CYCLE_1)
	s_and_b32 vcc_lo, exec_lo, s20
	s_cbranch_vccz .LBB6_1804
; %bb.1789:
	s_cmp_lt_i32 s14, 27
	s_cbranch_scc1 .LBB6_1792
; %bb.1790:
	s_cmp_gt_i32 s14, 27
	s_cbranch_scc0 .LBB6_1793
; %bb.1791:
	s_wait_loadcnt 0x0
	global_load_b32 v4, v[10:11], off
	s_mov_b32 s19, 0
	s_branch .LBB6_1794
.LBB6_1792:
	s_mov_b32 s19, -1
                                        ; implicit-def: $vgpr4
	s_branch .LBB6_1797
.LBB6_1793:
	s_mov_b32 s19, -1
                                        ; implicit-def: $vgpr4
.LBB6_1794:
	s_delay_alu instid0(SALU_CYCLE_1)
	s_and_not1_b32 vcc_lo, exec_lo, s19
	s_cbranch_vccnz .LBB6_1796
; %bb.1795:
	s_wait_loadcnt 0x0
	global_load_u16 v4, v[10:11], off
.LBB6_1796:
	s_mov_b32 s19, 0
.LBB6_1797:
	s_delay_alu instid0(SALU_CYCLE_1)
	s_and_not1_b32 vcc_lo, exec_lo, s19
	s_cbranch_vccnz .LBB6_1803
; %bb.1798:
	s_wait_loadcnt 0x0
	global_load_u8 v1, v[10:11], off
	s_mov_b32 s20, 0
	s_mov_b32 s19, exec_lo
	s_wait_loadcnt 0x0
	v_cmpx_lt_i16_e32 0x7f, v1
	s_xor_b32 s19, exec_lo, s19
	s_cbranch_execz .LBB6_1815
; %bb.1799:
	v_cmp_ne_u16_e32 vcc_lo, 0x80, v1
	s_and_b32 s20, vcc_lo, exec_lo
	s_and_not1_saveexec_b32 s19, s19
	s_cbranch_execnz .LBB6_1816
.LBB6_1800:
	s_or_b32 exec_lo, exec_lo, s19
	v_mov_b32_e32 v4, 0
	s_and_saveexec_b32 s19, s20
	s_cbranch_execz .LBB6_1802
.LBB6_1801:
	v_and_b32_e32 v3, 0xffff, v1
	s_delay_alu instid0(VALU_DEP_1) | instskip(SKIP_1) | instid1(VALU_DEP_2)
	v_and_b32_e32 v4, 7, v3
	v_bfe_u32 v9, v3, 3, 4
	v_clz_i32_u32_e32 v5, v4
	s_delay_alu instid0(VALU_DEP_2) | instskip(NEXT) | instid1(VALU_DEP_2)
	v_cmp_eq_u32_e32 vcc_lo, 0, v9
	v_min_u32_e32 v5, 32, v5
	s_delay_alu instid0(VALU_DEP_1) | instskip(NEXT) | instid1(VALU_DEP_1)
	v_subrev_nc_u32_e32 v7, 28, v5
	v_dual_lshlrev_b32 v3, v7, v3 :: v_dual_sub_nc_u32 v5, 29, v5
	s_delay_alu instid0(VALU_DEP_1) | instskip(NEXT) | instid1(VALU_DEP_1)
	v_dual_lshlrev_b32 v1, 24, v1 :: v_dual_bitop2_b32 v3, 7, v3 bitop3:0x40
	v_dual_cndmask_b32 v3, v4, v3, vcc_lo :: v_dual_cndmask_b32 v5, v9, v5, vcc_lo
	s_delay_alu instid0(VALU_DEP_2) | instskip(NEXT) | instid1(VALU_DEP_2)
	v_and_b32_e32 v1, 0x80000000, v1
	v_lshlrev_b32_e32 v3, 20, v3
	s_delay_alu instid0(VALU_DEP_3) | instskip(NEXT) | instid1(VALU_DEP_1)
	v_lshl_add_u32 v4, v5, 23, 0x3b800000
	v_or3_b32 v1, v1, v4, v3
	s_delay_alu instid0(VALU_DEP_1) | instskip(NEXT) | instid1(VALU_DEP_1)
	v_trunc_f32_e32 v1, v1
	v_mul_f32_e64 v3, 0x2f800000, |v1|
	s_delay_alu instid0(VALU_DEP_1) | instskip(NEXT) | instid1(VALU_DEP_1)
	v_floor_f32_e32 v3, v3
	v_fma_f32 v3, 0xcf800000, v3, |v1|
	v_ashrrev_i32_e32 v1, 31, v1
	s_delay_alu instid0(VALU_DEP_2) | instskip(NEXT) | instid1(VALU_DEP_1)
	v_cvt_u32_f32_e32 v3, v3
	v_xor_b32_e32 v3, v3, v1
	s_delay_alu instid0(VALU_DEP_1)
	v_sub_nc_u32_e32 v4, v3, v1
.LBB6_1802:
	s_or_b32 exec_lo, exec_lo, s19
.LBB6_1803:
	s_mov_b32 s19, -1
.LBB6_1804:
	s_mov_b32 s20, 0
.LBB6_1805:
	s_delay_alu instid0(SALU_CYCLE_1)
	s_and_b32 vcc_lo, exec_lo, s20
	s_cbranch_vccz .LBB6_1836
; %bb.1806:
	s_cmp_gt_i32 s14, 22
	s_cbranch_scc0 .LBB6_1814
; %bb.1807:
	s_cmp_lt_i32 s14, 24
	s_cbranch_scc1 .LBB6_1817
; %bb.1808:
	s_cmp_gt_i32 s14, 24
	s_cbranch_scc0 .LBB6_1818
; %bb.1809:
	s_wait_loadcnt 0x0
	global_load_u8 v1, v[10:11], off
	s_mov_b32 s19, 0
	s_mov_b32 s18, exec_lo
	s_wait_loadcnt 0x0
	v_cmpx_lt_i16_e32 0x7f, v1
	s_xor_b32 s18, exec_lo, s18
	s_cbranch_execz .LBB6_1830
; %bb.1810:
	v_cmp_ne_u16_e32 vcc_lo, 0x80, v1
	s_and_b32 s19, vcc_lo, exec_lo
	s_and_not1_saveexec_b32 s18, s18
	s_cbranch_execnz .LBB6_1831
.LBB6_1811:
	s_or_b32 exec_lo, exec_lo, s18
	v_mov_b32_e32 v4, 0
	s_and_saveexec_b32 s18, s19
	s_cbranch_execz .LBB6_1813
.LBB6_1812:
	v_and_b32_e32 v3, 0xffff, v1
	s_delay_alu instid0(VALU_DEP_1) | instskip(SKIP_1) | instid1(VALU_DEP_2)
	v_and_b32_e32 v4, 3, v3
	v_bfe_u32 v9, v3, 2, 5
	v_clz_i32_u32_e32 v5, v4
	s_delay_alu instid0(VALU_DEP_2) | instskip(NEXT) | instid1(VALU_DEP_2)
	v_cmp_eq_u32_e32 vcc_lo, 0, v9
	v_min_u32_e32 v5, 32, v5
	s_delay_alu instid0(VALU_DEP_1) | instskip(NEXT) | instid1(VALU_DEP_1)
	v_subrev_nc_u32_e32 v7, 29, v5
	v_dual_lshlrev_b32 v3, v7, v3 :: v_dual_sub_nc_u32 v5, 30, v5
	s_delay_alu instid0(VALU_DEP_1) | instskip(NEXT) | instid1(VALU_DEP_1)
	v_dual_lshlrev_b32 v1, 24, v1 :: v_dual_bitop2_b32 v3, 3, v3 bitop3:0x40
	v_dual_cndmask_b32 v3, v4, v3, vcc_lo :: v_dual_cndmask_b32 v5, v9, v5, vcc_lo
	s_delay_alu instid0(VALU_DEP_2) | instskip(NEXT) | instid1(VALU_DEP_2)
	v_and_b32_e32 v1, 0x80000000, v1
	v_lshlrev_b32_e32 v3, 21, v3
	s_delay_alu instid0(VALU_DEP_3) | instskip(NEXT) | instid1(VALU_DEP_1)
	v_lshl_add_u32 v4, v5, 23, 0x37800000
	v_or3_b32 v1, v1, v4, v3
	s_delay_alu instid0(VALU_DEP_1) | instskip(NEXT) | instid1(VALU_DEP_1)
	v_trunc_f32_e32 v1, v1
	v_mul_f32_e64 v3, 0x2f800000, |v1|
	s_delay_alu instid0(VALU_DEP_1) | instskip(NEXT) | instid1(VALU_DEP_1)
	v_floor_f32_e32 v3, v3
	v_fma_f32 v3, 0xcf800000, v3, |v1|
	v_ashrrev_i32_e32 v1, 31, v1
	s_delay_alu instid0(VALU_DEP_2) | instskip(NEXT) | instid1(VALU_DEP_1)
	v_cvt_u32_f32_e32 v3, v3
	v_xor_b32_e32 v3, v3, v1
	s_delay_alu instid0(VALU_DEP_1)
	v_sub_nc_u32_e32 v4, v3, v1
.LBB6_1813:
	s_or_b32 exec_lo, exec_lo, s18
	s_mov_b32 s18, 0
	s_branch .LBB6_1819
.LBB6_1814:
	s_mov_b32 s18, -1
                                        ; implicit-def: $vgpr4
	s_branch .LBB6_1825
.LBB6_1815:
	s_and_not1_saveexec_b32 s19, s19
	s_cbranch_execz .LBB6_1800
.LBB6_1816:
	v_cmp_ne_u16_e32 vcc_lo, 0, v1
	s_and_not1_b32 s20, s20, exec_lo
	s_and_b32 s21, vcc_lo, exec_lo
	s_delay_alu instid0(SALU_CYCLE_1)
	s_or_b32 s20, s20, s21
	s_or_b32 exec_lo, exec_lo, s19
	v_mov_b32_e32 v4, 0
	s_and_saveexec_b32 s19, s20
	s_cbranch_execnz .LBB6_1801
	s_branch .LBB6_1802
.LBB6_1817:
	s_mov_b32 s18, -1
                                        ; implicit-def: $vgpr4
	s_branch .LBB6_1822
.LBB6_1818:
	s_mov_b32 s18, -1
                                        ; implicit-def: $vgpr4
.LBB6_1819:
	s_delay_alu instid0(SALU_CYCLE_1)
	s_and_b32 vcc_lo, exec_lo, s18
	s_cbranch_vccz .LBB6_1821
; %bb.1820:
	s_wait_loadcnt 0x0
	global_load_u8 v1, v[10:11], off
	s_wait_loadcnt 0x0
	v_lshlrev_b32_e32 v1, 24, v1
	s_delay_alu instid0(VALU_DEP_1) | instskip(NEXT) | instid1(VALU_DEP_1)
	v_and_b32_e32 v3, 0x7f000000, v1
	v_clz_i32_u32_e32 v4, v3
	v_add_nc_u32_e32 v7, 0x1000000, v3
	v_cmp_ne_u32_e32 vcc_lo, 0, v3
	s_delay_alu instid0(VALU_DEP_3) | instskip(NEXT) | instid1(VALU_DEP_1)
	v_min_u32_e32 v4, 32, v4
	v_sub_nc_u32_e64 v4, v4, 4 clamp
	s_delay_alu instid0(VALU_DEP_1) | instskip(NEXT) | instid1(VALU_DEP_1)
	v_dual_lshlrev_b32 v5, v4, v3 :: v_dual_lshlrev_b32 v4, 23, v4
	v_lshrrev_b32_e32 v5, 4, v5
	s_delay_alu instid0(VALU_DEP_1) | instskip(NEXT) | instid1(VALU_DEP_1)
	v_dual_sub_nc_u32 v4, v5, v4 :: v_dual_ashrrev_i32 v5, 8, v7
	v_add_nc_u32_e32 v4, 0x3c000000, v4
	s_delay_alu instid0(VALU_DEP_1) | instskip(NEXT) | instid1(VALU_DEP_1)
	v_and_or_b32 v4, 0x7f800000, v5, v4
	v_cndmask_b32_e32 v3, 0, v4, vcc_lo
	s_delay_alu instid0(VALU_DEP_1) | instskip(NEXT) | instid1(VALU_DEP_1)
	v_and_or_b32 v1, 0x80000000, v1, v3
	v_trunc_f32_e32 v1, v1
	s_delay_alu instid0(VALU_DEP_1) | instskip(NEXT) | instid1(VALU_DEP_1)
	v_mul_f32_e64 v3, 0x2f800000, |v1|
	v_floor_f32_e32 v3, v3
	s_delay_alu instid0(VALU_DEP_1) | instskip(SKIP_1) | instid1(VALU_DEP_2)
	v_fma_f32 v3, 0xcf800000, v3, |v1|
	v_ashrrev_i32_e32 v1, 31, v1
	v_cvt_u32_f32_e32 v3, v3
	s_delay_alu instid0(VALU_DEP_1) | instskip(NEXT) | instid1(VALU_DEP_1)
	v_xor_b32_e32 v3, v3, v1
	v_sub_nc_u32_e32 v4, v3, v1
.LBB6_1821:
	s_mov_b32 s18, 0
.LBB6_1822:
	s_delay_alu instid0(SALU_CYCLE_1)
	s_and_not1_b32 vcc_lo, exec_lo, s18
	s_cbranch_vccnz .LBB6_1824
; %bb.1823:
	s_wait_loadcnt 0x0
	global_load_u8 v1, v[10:11], off
	s_wait_loadcnt 0x0
	v_lshlrev_b32_e32 v3, 25, v1
	v_lshlrev_b16 v1, 8, v1
	s_delay_alu instid0(VALU_DEP_1) | instskip(NEXT) | instid1(VALU_DEP_3)
	v_and_or_b32 v5, 0x7f00, v1, 0.5
	v_lshrrev_b32_e32 v4, 4, v3
	v_bfe_i32 v1, v1, 0, 16
	s_delay_alu instid0(VALU_DEP_3) | instskip(NEXT) | instid1(VALU_DEP_3)
	v_add_f32_e32 v5, -0.5, v5
	v_or_b32_e32 v4, 0x70000000, v4
	s_delay_alu instid0(VALU_DEP_1) | instskip(SKIP_1) | instid1(VALU_DEP_2)
	v_mul_f32_e32 v4, 0x7800000, v4
	v_cmp_gt_u32_e32 vcc_lo, 0x8000000, v3
	v_cndmask_b32_e32 v3, v4, v5, vcc_lo
	s_delay_alu instid0(VALU_DEP_1) | instskip(NEXT) | instid1(VALU_DEP_1)
	v_and_or_b32 v1, 0x80000000, v1, v3
	v_trunc_f32_e32 v1, v1
	s_delay_alu instid0(VALU_DEP_1) | instskip(NEXT) | instid1(VALU_DEP_1)
	v_mul_f32_e64 v3, 0x2f800000, |v1|
	v_floor_f32_e32 v3, v3
	s_delay_alu instid0(VALU_DEP_1) | instskip(SKIP_1) | instid1(VALU_DEP_2)
	v_fma_f32 v3, 0xcf800000, v3, |v1|
	v_ashrrev_i32_e32 v1, 31, v1
	v_cvt_u32_f32_e32 v3, v3
	s_delay_alu instid0(VALU_DEP_1) | instskip(NEXT) | instid1(VALU_DEP_1)
	v_xor_b32_e32 v3, v3, v1
	v_sub_nc_u32_e32 v4, v3, v1
.LBB6_1824:
	s_mov_b32 s18, 0
	s_mov_b32 s19, -1
.LBB6_1825:
	s_and_not1_b32 vcc_lo, exec_lo, s18
	s_mov_b32 s18, 0
	s_cbranch_vccnz .LBB6_1836
; %bb.1826:
	s_cmp_gt_i32 s14, 14
	s_cbranch_scc0 .LBB6_1829
; %bb.1827:
	s_cmp_eq_u32 s14, 15
	s_cbranch_scc0 .LBB6_1832
; %bb.1828:
	s_wait_loadcnt 0x0
	global_load_u16 v1, v[10:11], off
	s_mov_b32 s17, 0
	s_mov_b32 s19, -1
	s_wait_loadcnt 0x0
	v_lshlrev_b32_e32 v1, 16, v1
	s_delay_alu instid0(VALU_DEP_1) | instskip(NEXT) | instid1(VALU_DEP_1)
	v_trunc_f32_e32 v1, v1
	v_mul_f32_e64 v3, 0x2f800000, |v1|
	s_delay_alu instid0(VALU_DEP_1) | instskip(NEXT) | instid1(VALU_DEP_1)
	v_floor_f32_e32 v3, v3
	v_fma_f32 v3, 0xcf800000, v3, |v1|
	v_ashrrev_i32_e32 v1, 31, v1
	s_delay_alu instid0(VALU_DEP_2) | instskip(NEXT) | instid1(VALU_DEP_1)
	v_cvt_u32_f32_e32 v3, v3
	v_xor_b32_e32 v3, v3, v1
	s_delay_alu instid0(VALU_DEP_1)
	v_sub_nc_u32_e32 v4, v3, v1
	s_branch .LBB6_1834
.LBB6_1829:
	s_mov_b32 s18, -1
	s_branch .LBB6_1833
.LBB6_1830:
	s_and_not1_saveexec_b32 s18, s18
	s_cbranch_execz .LBB6_1811
.LBB6_1831:
	v_cmp_ne_u16_e32 vcc_lo, 0, v1
	s_and_not1_b32 s19, s19, exec_lo
	s_and_b32 s20, vcc_lo, exec_lo
	s_delay_alu instid0(SALU_CYCLE_1)
	s_or_b32 s19, s19, s20
	s_or_b32 exec_lo, exec_lo, s18
	v_mov_b32_e32 v4, 0
	s_and_saveexec_b32 s18, s19
	s_cbranch_execnz .LBB6_1812
	s_branch .LBB6_1813
.LBB6_1832:
	s_mov_b32 s17, -1
.LBB6_1833:
                                        ; implicit-def: $vgpr4
.LBB6_1834:
	s_and_b32 vcc_lo, exec_lo, s18
	s_mov_b32 s18, 0
	s_cbranch_vccz .LBB6_1836
; %bb.1835:
	s_cmp_lg_u32 s14, 11
	s_mov_b32 s18, -1
	s_cselect_b32 s17, -1, 0
.LBB6_1836:
	s_delay_alu instid0(SALU_CYCLE_1)
	s_and_b32 vcc_lo, exec_lo, s17
	s_cbranch_vccnz .LBB6_1899
; %bb.1837:
	s_and_not1_b32 vcc_lo, exec_lo, s18
	s_cbranch_vccnz .LBB6_1839
.LBB6_1838:
	s_wait_loadcnt 0x0
	global_load_u8 v1, v[10:11], off
	s_mov_b32 s19, -1
	s_wait_loadcnt 0x0
	v_cmp_ne_u16_e32 vcc_lo, 0, v1
	v_cndmask_b32_e64 v4, 0, 1, vcc_lo
.LBB6_1839:
	s_branch .LBB6_1770
.LBB6_1840:
	s_and_b32 s14, 0xffff, s0
	s_delay_alu instid0(SALU_CYCLE_1)
	s_cmp_lt_i32 s14, 5
	s_cbranch_scc1 .LBB6_1845
; %bb.1841:
	s_cmp_lt_i32 s14, 8
	s_cbranch_scc1 .LBB6_1846
; %bb.1842:
	s_cmp_lt_i32 s14, 9
	s_cbranch_scc1 .LBB6_1847
; %bb.1843:
	s_cmp_gt_i32 s14, 9
	s_cbranch_scc0 .LBB6_1848
; %bb.1844:
	s_wait_loadcnt 0x0
	global_load_b64 v[4:5], v[10:11], off
	s_mov_b32 s17, 0
	s_wait_loadcnt 0x0
	v_trunc_f64_e32 v[4:5], v[4:5]
	s_delay_alu instid0(VALU_DEP_1) | instskip(NEXT) | instid1(VALU_DEP_1)
	v_ldexp_f64 v[12:13], v[4:5], 0xffffffe0
	v_floor_f64_e32 v[12:13], v[12:13]
	s_delay_alu instid0(VALU_DEP_1) | instskip(NEXT) | instid1(VALU_DEP_1)
	v_fmamk_f64 v[4:5], v[12:13], 0xc1f00000, v[4:5]
	v_cvt_u32_f64_e32 v4, v[4:5]
	s_branch .LBB6_1849
.LBB6_1845:
	s_mov_b32 s17, -1
                                        ; implicit-def: $vgpr4
	s_branch .LBB6_1867
.LBB6_1846:
	s_mov_b32 s17, -1
                                        ; implicit-def: $vgpr4
	s_branch .LBB6_1855
.LBB6_1847:
	s_mov_b32 s17, -1
                                        ; implicit-def: $vgpr4
	s_branch .LBB6_1852
.LBB6_1848:
	s_mov_b32 s17, -1
                                        ; implicit-def: $vgpr4
.LBB6_1849:
	s_delay_alu instid0(SALU_CYCLE_1)
	s_and_not1_b32 vcc_lo, exec_lo, s17
	s_cbranch_vccnz .LBB6_1851
; %bb.1850:
	s_wait_loadcnt 0x0
	global_load_b32 v1, v[10:11], off
	s_wait_loadcnt 0x0
	v_trunc_f32_e32 v1, v1
	s_delay_alu instid0(VALU_DEP_1) | instskip(NEXT) | instid1(VALU_DEP_1)
	v_mul_f32_e64 v3, 0x2f800000, |v1|
	v_floor_f32_e32 v3, v3
	s_delay_alu instid0(VALU_DEP_1) | instskip(SKIP_1) | instid1(VALU_DEP_2)
	v_fma_f32 v3, 0xcf800000, v3, |v1|
	v_ashrrev_i32_e32 v1, 31, v1
	v_cvt_u32_f32_e32 v3, v3
	s_delay_alu instid0(VALU_DEP_1) | instskip(NEXT) | instid1(VALU_DEP_1)
	v_xor_b32_e32 v3, v3, v1
	v_sub_nc_u32_e32 v4, v3, v1
.LBB6_1851:
	s_mov_b32 s17, 0
.LBB6_1852:
	s_delay_alu instid0(SALU_CYCLE_1)
	s_and_not1_b32 vcc_lo, exec_lo, s17
	s_cbranch_vccnz .LBB6_1854
; %bb.1853:
	s_wait_loadcnt 0x0
	global_load_b32 v1, v[10:11], off
	s_wait_loadcnt 0x0
	v_cvt_f32_f16_e32 v1, v1
	s_delay_alu instid0(VALU_DEP_1)
	v_cvt_i32_f32_e32 v4, v1
.LBB6_1854:
	s_mov_b32 s17, 0
.LBB6_1855:
	s_delay_alu instid0(SALU_CYCLE_1)
	s_and_not1_b32 vcc_lo, exec_lo, s17
	s_cbranch_vccnz .LBB6_1866
; %bb.1856:
	s_cmp_lt_i32 s14, 6
	s_cbranch_scc1 .LBB6_1859
; %bb.1857:
	s_cmp_gt_i32 s14, 6
	s_cbranch_scc0 .LBB6_1860
; %bb.1858:
	s_wait_loadcnt 0x0
	global_load_b64 v[4:5], v[10:11], off
	s_mov_b32 s17, 0
	s_wait_loadcnt 0x0
	v_trunc_f64_e32 v[4:5], v[4:5]
	s_delay_alu instid0(VALU_DEP_1) | instskip(NEXT) | instid1(VALU_DEP_1)
	v_ldexp_f64 v[12:13], v[4:5], 0xffffffe0
	v_floor_f64_e32 v[12:13], v[12:13]
	s_delay_alu instid0(VALU_DEP_1) | instskip(NEXT) | instid1(VALU_DEP_1)
	v_fmamk_f64 v[4:5], v[12:13], 0xc1f00000, v[4:5]
	v_cvt_u32_f64_e32 v4, v[4:5]
	s_branch .LBB6_1861
.LBB6_1859:
	s_mov_b32 s17, -1
                                        ; implicit-def: $vgpr4
	s_branch .LBB6_1864
.LBB6_1860:
	s_mov_b32 s17, -1
                                        ; implicit-def: $vgpr4
.LBB6_1861:
	s_delay_alu instid0(SALU_CYCLE_1)
	s_and_not1_b32 vcc_lo, exec_lo, s17
	s_cbranch_vccnz .LBB6_1863
; %bb.1862:
	s_wait_loadcnt 0x0
	global_load_b32 v1, v[10:11], off
	s_wait_loadcnt 0x0
	v_trunc_f32_e32 v1, v1
	s_delay_alu instid0(VALU_DEP_1) | instskip(NEXT) | instid1(VALU_DEP_1)
	v_mul_f32_e64 v3, 0x2f800000, |v1|
	v_floor_f32_e32 v3, v3
	s_delay_alu instid0(VALU_DEP_1) | instskip(SKIP_1) | instid1(VALU_DEP_2)
	v_fma_f32 v3, 0xcf800000, v3, |v1|
	v_ashrrev_i32_e32 v1, 31, v1
	v_cvt_u32_f32_e32 v3, v3
	s_delay_alu instid0(VALU_DEP_1) | instskip(NEXT) | instid1(VALU_DEP_1)
	v_xor_b32_e32 v3, v3, v1
	v_sub_nc_u32_e32 v4, v3, v1
.LBB6_1863:
	s_mov_b32 s17, 0
.LBB6_1864:
	s_delay_alu instid0(SALU_CYCLE_1)
	s_and_not1_b32 vcc_lo, exec_lo, s17
	s_cbranch_vccnz .LBB6_1866
; %bb.1865:
	s_wait_loadcnt 0x0
	global_load_u16 v1, v[10:11], off
	s_wait_loadcnt 0x0
	v_cvt_f32_f16_e32 v1, v1
	s_delay_alu instid0(VALU_DEP_1)
	v_cvt_i32_f32_e32 v4, v1
.LBB6_1866:
	s_mov_b32 s17, 0
.LBB6_1867:
	s_delay_alu instid0(SALU_CYCLE_1)
	s_and_not1_b32 vcc_lo, exec_lo, s17
	s_cbranch_vccnz .LBB6_1887
; %bb.1868:
	s_cmp_lt_i32 s14, 2
	s_cbranch_scc1 .LBB6_1872
; %bb.1869:
	s_cmp_lt_i32 s14, 3
	s_cbranch_scc1 .LBB6_1873
; %bb.1870:
	s_cmp_gt_i32 s14, 3
	s_cbranch_scc0 .LBB6_1874
; %bb.1871:
	s_wait_loadcnt 0x0
	global_load_b64 v[4:5], v[10:11], off
	s_mov_b32 s17, 0
	s_branch .LBB6_1875
.LBB6_1872:
	s_mov_b32 s17, -1
                                        ; implicit-def: $vgpr4
	s_branch .LBB6_1881
.LBB6_1873:
	s_mov_b32 s17, -1
                                        ; implicit-def: $vgpr4
	s_branch .LBB6_1878
.LBB6_1874:
	s_mov_b32 s17, -1
                                        ; implicit-def: $vgpr4
.LBB6_1875:
	s_delay_alu instid0(SALU_CYCLE_1)
	s_and_not1_b32 vcc_lo, exec_lo, s17
	s_cbranch_vccnz .LBB6_1877
; %bb.1876:
	s_wait_loadcnt 0x0
	global_load_b32 v4, v[10:11], off
.LBB6_1877:
	s_mov_b32 s17, 0
.LBB6_1878:
	s_delay_alu instid0(SALU_CYCLE_1)
	s_and_not1_b32 vcc_lo, exec_lo, s17
	s_cbranch_vccnz .LBB6_1880
; %bb.1879:
	s_wait_loadcnt 0x0
	global_load_u16 v4, v[10:11], off
.LBB6_1880:
	s_mov_b32 s17, 0
.LBB6_1881:
	s_delay_alu instid0(SALU_CYCLE_1)
	s_and_not1_b32 vcc_lo, exec_lo, s17
	s_cbranch_vccnz .LBB6_1887
; %bb.1882:
	s_cmp_gt_i32 s14, 0
	s_mov_b32 s14, 0
	s_cbranch_scc0 .LBB6_1884
; %bb.1883:
	s_wait_loadcnt 0x0
	global_load_u8 v4, v[10:11], off
	s_branch .LBB6_1885
.LBB6_1884:
	s_mov_b32 s14, -1
                                        ; implicit-def: $vgpr4
.LBB6_1885:
	s_delay_alu instid0(SALU_CYCLE_1)
	s_and_not1_b32 vcc_lo, exec_lo, s14
	s_cbranch_vccnz .LBB6_1887
; %bb.1886:
	s_wait_loadcnt 0x0
	global_load_u8 v4, v[10:11], off
.LBB6_1887:
.LBB6_1888:
	s_lshl_b32 s10, s10, 7
	s_cmp_lt_i32 s1, 11
	s_wait_xcnt 0x0
	v_add_nc_u32_e32 v10, s10, v6
	s_delay_alu instid0(VALU_DEP_1) | instskip(NEXT) | instid1(VALU_DEP_1)
	v_ashrrev_i32_e32 v11, 31, v10
	v_add_nc_u64_e32 v[12:13], s[2:3], v[10:11]
	s_cbranch_scc1 .LBB6_1895
; %bb.1889:
	s_and_b32 s14, 0xffff, s1
	s_mov_b32 s18, 0
	s_cmp_gt_i32 s14, 25
	s_cbranch_scc0 .LBB6_1896
; %bb.1890:
	s_cmp_gt_i32 s14, 28
	s_cbranch_scc0 .LBB6_1897
; %bb.1891:
	;; [unrolled: 3-line block ×4, first 2 shown]
	s_cmp_eq_u32 s14, 46
	s_mov_b32 s20, 0
	s_cbranch_scc0 .LBB6_1901
; %bb.1894:
	s_wait_loadcnt 0x0
	global_load_b32 v1, v[12:13], off
	s_mov_b32 s17, 0
	s_mov_b32 s19, -1
	s_wait_loadcnt 0x0
	v_lshlrev_b32_e32 v1, 16, v1
	s_delay_alu instid0(VALU_DEP_1) | instskip(NEXT) | instid1(VALU_DEP_1)
	v_trunc_f32_e32 v1, v1
	v_mul_f32_e64 v3, 0x2f800000, |v1|
	s_delay_alu instid0(VALU_DEP_1) | instskip(NEXT) | instid1(VALU_DEP_1)
	v_floor_f32_e32 v3, v3
	v_fma_f32 v3, 0xcf800000, v3, |v1|
	v_ashrrev_i32_e32 v1, 31, v1
	s_delay_alu instid0(VALU_DEP_2) | instskip(NEXT) | instid1(VALU_DEP_1)
	v_cvt_u32_f32_e32 v3, v3
	v_xor_b32_e32 v3, v3, v1
	s_delay_alu instid0(VALU_DEP_1)
	v_sub_nc_u32_e32 v6, v3, v1
	s_branch .LBB6_1903
.LBB6_1895:
	s_mov_b32 s14, -1
	s_mov_b32 s19, 0
                                        ; implicit-def: $vgpr6
	s_branch .LBB6_1965
.LBB6_1896:
	s_mov_b32 s20, -1
	s_mov_b32 s19, 0
	s_mov_b32 s17, 0
                                        ; implicit-def: $vgpr6
	s_branch .LBB6_1930
.LBB6_1897:
	s_mov_b32 s20, -1
	s_mov_b32 s19, 0
	s_mov_b32 s17, 0
                                        ; implicit-def: $vgpr6
	s_branch .LBB6_1913
.LBB6_1898:
	s_mov_b32 s20, -1
	s_mov_b32 s19, 0
	s_mov_b32 s17, 0
                                        ; implicit-def: $vgpr6
	s_branch .LBB6_1908
.LBB6_1899:
	s_or_b32 s13, s13, exec_lo
	s_trap 2
	s_cbranch_execz .LBB6_1838
	s_branch .LBB6_1839
.LBB6_1900:
	s_mov_b32 s20, -1
	s_mov_b32 s19, 0
	s_mov_b32 s17, 0
	s_branch .LBB6_1902
.LBB6_1901:
	s_mov_b32 s17, -1
	s_mov_b32 s19, 0
.LBB6_1902:
                                        ; implicit-def: $vgpr6
.LBB6_1903:
	s_and_b32 vcc_lo, exec_lo, s20
	s_cbranch_vccz .LBB6_1907
; %bb.1904:
	s_cmp_eq_u32 s14, 44
	s_cbranch_scc0 .LBB6_1906
; %bb.1905:
	s_wait_loadcnt 0x0
	global_load_u8 v1, v[12:13], off
	s_mov_b32 s17, 0
	s_mov_b32 s19, -1
	s_wait_loadcnt 0x0
	v_lshlrev_b32_e32 v3, 23, v1
	v_cmp_ne_u32_e32 vcc_lo, 0, v1
	s_delay_alu instid0(VALU_DEP_2) | instskip(NEXT) | instid1(VALU_DEP_1)
	v_trunc_f32_e32 v3, v3
	v_mul_f32_e64 v5, 0x2f800000, |v3|
	s_delay_alu instid0(VALU_DEP_1) | instskip(NEXT) | instid1(VALU_DEP_1)
	v_floor_f32_e32 v5, v5
	v_fma_f32 v5, 0xcf800000, v5, |v3|
	v_ashrrev_i32_e32 v3, 31, v3
	s_delay_alu instid0(VALU_DEP_2) | instskip(NEXT) | instid1(VALU_DEP_1)
	v_cvt_u32_f32_e32 v5, v5
	v_xor_b32_e32 v5, v5, v3
	s_delay_alu instid0(VALU_DEP_1) | instskip(NEXT) | instid1(VALU_DEP_1)
	v_sub_nc_u32_e32 v3, v5, v3
	v_cndmask_b32_e32 v6, 0, v3, vcc_lo
	s_branch .LBB6_1907
.LBB6_1906:
	s_mov_b32 s17, -1
                                        ; implicit-def: $vgpr6
.LBB6_1907:
	s_mov_b32 s20, 0
.LBB6_1908:
	s_delay_alu instid0(SALU_CYCLE_1)
	s_and_b32 vcc_lo, exec_lo, s20
	s_cbranch_vccz .LBB6_1912
; %bb.1909:
	s_cmp_eq_u32 s14, 29
	s_cbranch_scc0 .LBB6_1911
; %bb.1910:
	global_load_b64 v[6:7], v[12:13], off
	s_mov_b32 s17, 0
	s_mov_b32 s19, -1
	s_branch .LBB6_1912
.LBB6_1911:
	s_mov_b32 s17, -1
                                        ; implicit-def: $vgpr6
.LBB6_1912:
	s_mov_b32 s20, 0
.LBB6_1913:
	s_delay_alu instid0(SALU_CYCLE_1)
	s_and_b32 vcc_lo, exec_lo, s20
	s_cbranch_vccz .LBB6_1929
; %bb.1914:
	s_cmp_lt_i32 s14, 27
	s_cbranch_scc1 .LBB6_1917
; %bb.1915:
	s_cmp_gt_i32 s14, 27
	s_cbranch_scc0 .LBB6_1918
; %bb.1916:
	s_wait_loadcnt 0x0
	global_load_b32 v6, v[12:13], off
	s_mov_b32 s19, 0
	s_branch .LBB6_1919
.LBB6_1917:
	s_mov_b32 s19, -1
                                        ; implicit-def: $vgpr6
	s_branch .LBB6_1922
.LBB6_1918:
	s_mov_b32 s19, -1
                                        ; implicit-def: $vgpr6
.LBB6_1919:
	s_delay_alu instid0(SALU_CYCLE_1)
	s_and_not1_b32 vcc_lo, exec_lo, s19
	s_cbranch_vccnz .LBB6_1921
; %bb.1920:
	s_wait_loadcnt 0x0
	global_load_u16 v6, v[12:13], off
.LBB6_1921:
	s_mov_b32 s19, 0
.LBB6_1922:
	s_delay_alu instid0(SALU_CYCLE_1)
	s_and_not1_b32 vcc_lo, exec_lo, s19
	s_cbranch_vccnz .LBB6_1928
; %bb.1923:
	s_wait_loadcnt 0x0
	global_load_u8 v1, v[12:13], off
	s_mov_b32 s20, 0
	s_mov_b32 s19, exec_lo
	s_wait_loadcnt 0x0
	v_cmpx_lt_i16_e32 0x7f, v1
	s_xor_b32 s19, exec_lo, s19
	s_cbranch_execz .LBB6_1940
; %bb.1924:
	v_cmp_ne_u16_e32 vcc_lo, 0x80, v1
	s_and_b32 s20, vcc_lo, exec_lo
	s_and_not1_saveexec_b32 s19, s19
	s_cbranch_execnz .LBB6_1941
.LBB6_1925:
	s_or_b32 exec_lo, exec_lo, s19
	v_mov_b32_e32 v6, 0
	s_and_saveexec_b32 s19, s20
	s_cbranch_execz .LBB6_1927
.LBB6_1926:
	v_and_b32_e32 v3, 0xffff, v1
	s_delay_alu instid0(VALU_DEP_1) | instskip(SKIP_1) | instid1(VALU_DEP_2)
	v_and_b32_e32 v5, 7, v3
	v_bfe_u32 v9, v3, 3, 4
	v_clz_i32_u32_e32 v6, v5
	s_delay_alu instid0(VALU_DEP_2) | instskip(NEXT) | instid1(VALU_DEP_2)
	v_cmp_eq_u32_e32 vcc_lo, 0, v9
	v_min_u32_e32 v6, 32, v6
	s_delay_alu instid0(VALU_DEP_1) | instskip(NEXT) | instid1(VALU_DEP_1)
	v_subrev_nc_u32_e32 v7, 28, v6
	v_dual_lshlrev_b32 v3, v7, v3 :: v_dual_sub_nc_u32 v6, 29, v6
	s_delay_alu instid0(VALU_DEP_1) | instskip(NEXT) | instid1(VALU_DEP_2)
	v_dual_lshlrev_b32 v1, 24, v1 :: v_dual_bitop2_b32 v3, 7, v3 bitop3:0x40
	v_cndmask_b32_e32 v6, v9, v6, vcc_lo
	s_delay_alu instid0(VALU_DEP_2) | instskip(NEXT) | instid1(VALU_DEP_3)
	v_cndmask_b32_e32 v3, v5, v3, vcc_lo
	v_and_b32_e32 v1, 0x80000000, v1
	s_delay_alu instid0(VALU_DEP_3) | instskip(NEXT) | instid1(VALU_DEP_3)
	v_lshl_add_u32 v5, v6, 23, 0x3b800000
	v_lshlrev_b32_e32 v3, 20, v3
	s_delay_alu instid0(VALU_DEP_1) | instskip(NEXT) | instid1(VALU_DEP_1)
	v_or3_b32 v1, v1, v5, v3
	v_trunc_f32_e32 v1, v1
	s_delay_alu instid0(VALU_DEP_1) | instskip(NEXT) | instid1(VALU_DEP_1)
	v_mul_f32_e64 v3, 0x2f800000, |v1|
	v_floor_f32_e32 v3, v3
	s_delay_alu instid0(VALU_DEP_1) | instskip(SKIP_1) | instid1(VALU_DEP_2)
	v_fma_f32 v3, 0xcf800000, v3, |v1|
	v_ashrrev_i32_e32 v1, 31, v1
	v_cvt_u32_f32_e32 v3, v3
	s_delay_alu instid0(VALU_DEP_1) | instskip(NEXT) | instid1(VALU_DEP_1)
	v_xor_b32_e32 v3, v3, v1
	v_sub_nc_u32_e32 v6, v3, v1
.LBB6_1927:
	s_or_b32 exec_lo, exec_lo, s19
.LBB6_1928:
	s_mov_b32 s19, -1
.LBB6_1929:
	s_mov_b32 s20, 0
.LBB6_1930:
	s_delay_alu instid0(SALU_CYCLE_1)
	s_and_b32 vcc_lo, exec_lo, s20
	s_cbranch_vccz .LBB6_1961
; %bb.1931:
	s_cmp_gt_i32 s14, 22
	s_cbranch_scc0 .LBB6_1939
; %bb.1932:
	s_cmp_lt_i32 s14, 24
	s_cbranch_scc1 .LBB6_1942
; %bb.1933:
	s_cmp_gt_i32 s14, 24
	s_cbranch_scc0 .LBB6_1943
; %bb.1934:
	s_wait_loadcnt 0x0
	global_load_u8 v1, v[12:13], off
	s_mov_b32 s19, 0
	s_mov_b32 s18, exec_lo
	s_wait_loadcnt 0x0
	v_cmpx_lt_i16_e32 0x7f, v1
	s_xor_b32 s18, exec_lo, s18
	s_cbranch_execz .LBB6_1955
; %bb.1935:
	v_cmp_ne_u16_e32 vcc_lo, 0x80, v1
	s_and_b32 s19, vcc_lo, exec_lo
	s_and_not1_saveexec_b32 s18, s18
	s_cbranch_execnz .LBB6_1956
.LBB6_1936:
	s_or_b32 exec_lo, exec_lo, s18
	v_mov_b32_e32 v6, 0
	s_and_saveexec_b32 s18, s19
	s_cbranch_execz .LBB6_1938
.LBB6_1937:
	v_and_b32_e32 v3, 0xffff, v1
	s_delay_alu instid0(VALU_DEP_1) | instskip(SKIP_1) | instid1(VALU_DEP_2)
	v_and_b32_e32 v5, 3, v3
	v_bfe_u32 v9, v3, 2, 5
	v_clz_i32_u32_e32 v6, v5
	s_delay_alu instid0(VALU_DEP_2) | instskip(NEXT) | instid1(VALU_DEP_2)
	v_cmp_eq_u32_e32 vcc_lo, 0, v9
	v_min_u32_e32 v6, 32, v6
	s_delay_alu instid0(VALU_DEP_1) | instskip(NEXT) | instid1(VALU_DEP_1)
	v_subrev_nc_u32_e32 v7, 29, v6
	v_dual_lshlrev_b32 v3, v7, v3 :: v_dual_sub_nc_u32 v6, 30, v6
	s_delay_alu instid0(VALU_DEP_1) | instskip(NEXT) | instid1(VALU_DEP_2)
	v_dual_lshlrev_b32 v1, 24, v1 :: v_dual_bitop2_b32 v3, 3, v3 bitop3:0x40
	v_cndmask_b32_e32 v6, v9, v6, vcc_lo
	s_delay_alu instid0(VALU_DEP_2) | instskip(NEXT) | instid1(VALU_DEP_3)
	v_cndmask_b32_e32 v3, v5, v3, vcc_lo
	v_and_b32_e32 v1, 0x80000000, v1
	s_delay_alu instid0(VALU_DEP_3) | instskip(NEXT) | instid1(VALU_DEP_3)
	v_lshl_add_u32 v5, v6, 23, 0x37800000
	v_lshlrev_b32_e32 v3, 21, v3
	s_delay_alu instid0(VALU_DEP_1) | instskip(NEXT) | instid1(VALU_DEP_1)
	v_or3_b32 v1, v1, v5, v3
	v_trunc_f32_e32 v1, v1
	s_delay_alu instid0(VALU_DEP_1) | instskip(NEXT) | instid1(VALU_DEP_1)
	v_mul_f32_e64 v3, 0x2f800000, |v1|
	v_floor_f32_e32 v3, v3
	s_delay_alu instid0(VALU_DEP_1) | instskip(SKIP_1) | instid1(VALU_DEP_2)
	v_fma_f32 v3, 0xcf800000, v3, |v1|
	v_ashrrev_i32_e32 v1, 31, v1
	v_cvt_u32_f32_e32 v3, v3
	s_delay_alu instid0(VALU_DEP_1) | instskip(NEXT) | instid1(VALU_DEP_1)
	v_xor_b32_e32 v3, v3, v1
	v_sub_nc_u32_e32 v6, v3, v1
.LBB6_1938:
	s_or_b32 exec_lo, exec_lo, s18
	s_mov_b32 s18, 0
	s_branch .LBB6_1944
.LBB6_1939:
	s_mov_b32 s18, -1
                                        ; implicit-def: $vgpr6
	s_branch .LBB6_1950
.LBB6_1940:
	s_and_not1_saveexec_b32 s19, s19
	s_cbranch_execz .LBB6_1925
.LBB6_1941:
	v_cmp_ne_u16_e32 vcc_lo, 0, v1
	s_and_not1_b32 s20, s20, exec_lo
	s_and_b32 s21, vcc_lo, exec_lo
	s_delay_alu instid0(SALU_CYCLE_1)
	s_or_b32 s20, s20, s21
	s_or_b32 exec_lo, exec_lo, s19
	v_mov_b32_e32 v6, 0
	s_and_saveexec_b32 s19, s20
	s_cbranch_execnz .LBB6_1926
	s_branch .LBB6_1927
.LBB6_1942:
	s_mov_b32 s18, -1
                                        ; implicit-def: $vgpr6
	s_branch .LBB6_1947
.LBB6_1943:
	s_mov_b32 s18, -1
                                        ; implicit-def: $vgpr6
.LBB6_1944:
	s_delay_alu instid0(SALU_CYCLE_1)
	s_and_b32 vcc_lo, exec_lo, s18
	s_cbranch_vccz .LBB6_1946
; %bb.1945:
	s_wait_loadcnt 0x0
	global_load_u8 v1, v[12:13], off
	s_wait_loadcnt 0x0
	v_lshlrev_b32_e32 v1, 24, v1
	s_delay_alu instid0(VALU_DEP_1) | instskip(NEXT) | instid1(VALU_DEP_1)
	v_and_b32_e32 v3, 0x7f000000, v1
	v_clz_i32_u32_e32 v5, v3
	v_add_nc_u32_e32 v7, 0x1000000, v3
	v_cmp_ne_u32_e32 vcc_lo, 0, v3
	s_delay_alu instid0(VALU_DEP_3) | instskip(NEXT) | instid1(VALU_DEP_1)
	v_min_u32_e32 v5, 32, v5
	v_sub_nc_u32_e64 v5, v5, 4 clamp
	s_delay_alu instid0(VALU_DEP_1) | instskip(NEXT) | instid1(VALU_DEP_1)
	v_dual_lshlrev_b32 v6, v5, v3 :: v_dual_lshlrev_b32 v5, 23, v5
	v_lshrrev_b32_e32 v6, 4, v6
	s_delay_alu instid0(VALU_DEP_1) | instskip(NEXT) | instid1(VALU_DEP_1)
	v_dual_sub_nc_u32 v5, v6, v5 :: v_dual_ashrrev_i32 v6, 8, v7
	v_add_nc_u32_e32 v5, 0x3c000000, v5
	s_delay_alu instid0(VALU_DEP_1) | instskip(NEXT) | instid1(VALU_DEP_1)
	v_and_or_b32 v5, 0x7f800000, v6, v5
	v_cndmask_b32_e32 v3, 0, v5, vcc_lo
	s_delay_alu instid0(VALU_DEP_1) | instskip(NEXT) | instid1(VALU_DEP_1)
	v_and_or_b32 v1, 0x80000000, v1, v3
	v_trunc_f32_e32 v1, v1
	s_delay_alu instid0(VALU_DEP_1) | instskip(NEXT) | instid1(VALU_DEP_1)
	v_mul_f32_e64 v3, 0x2f800000, |v1|
	v_floor_f32_e32 v3, v3
	s_delay_alu instid0(VALU_DEP_1) | instskip(SKIP_1) | instid1(VALU_DEP_2)
	v_fma_f32 v3, 0xcf800000, v3, |v1|
	v_ashrrev_i32_e32 v1, 31, v1
	v_cvt_u32_f32_e32 v3, v3
	s_delay_alu instid0(VALU_DEP_1) | instskip(NEXT) | instid1(VALU_DEP_1)
	v_xor_b32_e32 v3, v3, v1
	v_sub_nc_u32_e32 v6, v3, v1
.LBB6_1946:
	s_mov_b32 s18, 0
.LBB6_1947:
	s_delay_alu instid0(SALU_CYCLE_1)
	s_and_not1_b32 vcc_lo, exec_lo, s18
	s_cbranch_vccnz .LBB6_1949
; %bb.1948:
	s_wait_loadcnt 0x0
	global_load_u8 v1, v[12:13], off
	s_wait_loadcnt 0x0
	v_lshlrev_b32_e32 v3, 25, v1
	v_lshlrev_b16 v1, 8, v1
	s_delay_alu instid0(VALU_DEP_1) | instskip(SKIP_1) | instid1(VALU_DEP_2)
	v_and_or_b32 v6, 0x7f00, v1, 0.5
	v_bfe_i32 v1, v1, 0, 16
	v_dual_add_f32 v6, -0.5, v6 :: v_dual_lshrrev_b32 v5, 4, v3
	v_cmp_gt_u32_e32 vcc_lo, 0x8000000, v3
	s_delay_alu instid0(VALU_DEP_2) | instskip(NEXT) | instid1(VALU_DEP_1)
	v_or_b32_e32 v5, 0x70000000, v5
	v_mul_f32_e32 v5, 0x7800000, v5
	s_delay_alu instid0(VALU_DEP_1) | instskip(NEXT) | instid1(VALU_DEP_1)
	v_cndmask_b32_e32 v3, v5, v6, vcc_lo
	v_and_or_b32 v1, 0x80000000, v1, v3
	s_delay_alu instid0(VALU_DEP_1) | instskip(NEXT) | instid1(VALU_DEP_1)
	v_trunc_f32_e32 v1, v1
	v_mul_f32_e64 v3, 0x2f800000, |v1|
	s_delay_alu instid0(VALU_DEP_1) | instskip(NEXT) | instid1(VALU_DEP_1)
	v_floor_f32_e32 v3, v3
	v_fma_f32 v3, 0xcf800000, v3, |v1|
	v_ashrrev_i32_e32 v1, 31, v1
	s_delay_alu instid0(VALU_DEP_2) | instskip(NEXT) | instid1(VALU_DEP_1)
	v_cvt_u32_f32_e32 v3, v3
	v_xor_b32_e32 v3, v3, v1
	s_delay_alu instid0(VALU_DEP_1)
	v_sub_nc_u32_e32 v6, v3, v1
.LBB6_1949:
	s_mov_b32 s18, 0
	s_mov_b32 s19, -1
.LBB6_1950:
	s_and_not1_b32 vcc_lo, exec_lo, s18
	s_mov_b32 s18, 0
	s_cbranch_vccnz .LBB6_1961
; %bb.1951:
	s_cmp_gt_i32 s14, 14
	s_cbranch_scc0 .LBB6_1954
; %bb.1952:
	s_cmp_eq_u32 s14, 15
	s_cbranch_scc0 .LBB6_1957
; %bb.1953:
	s_wait_loadcnt 0x0
	global_load_u16 v1, v[12:13], off
	s_mov_b32 s17, 0
	s_mov_b32 s19, -1
	s_wait_loadcnt 0x0
	v_lshlrev_b32_e32 v1, 16, v1
	s_delay_alu instid0(VALU_DEP_1) | instskip(NEXT) | instid1(VALU_DEP_1)
	v_trunc_f32_e32 v1, v1
	v_mul_f32_e64 v3, 0x2f800000, |v1|
	s_delay_alu instid0(VALU_DEP_1) | instskip(NEXT) | instid1(VALU_DEP_1)
	v_floor_f32_e32 v3, v3
	v_fma_f32 v3, 0xcf800000, v3, |v1|
	v_ashrrev_i32_e32 v1, 31, v1
	s_delay_alu instid0(VALU_DEP_2) | instskip(NEXT) | instid1(VALU_DEP_1)
	v_cvt_u32_f32_e32 v3, v3
	v_xor_b32_e32 v3, v3, v1
	s_delay_alu instid0(VALU_DEP_1)
	v_sub_nc_u32_e32 v6, v3, v1
	s_branch .LBB6_1959
.LBB6_1954:
	s_mov_b32 s18, -1
	s_branch .LBB6_1958
.LBB6_1955:
	s_and_not1_saveexec_b32 s18, s18
	s_cbranch_execz .LBB6_1936
.LBB6_1956:
	v_cmp_ne_u16_e32 vcc_lo, 0, v1
	s_and_not1_b32 s19, s19, exec_lo
	s_and_b32 s20, vcc_lo, exec_lo
	s_delay_alu instid0(SALU_CYCLE_1)
	s_or_b32 s19, s19, s20
	s_or_b32 exec_lo, exec_lo, s18
	v_mov_b32_e32 v6, 0
	s_and_saveexec_b32 s18, s19
	s_cbranch_execnz .LBB6_1937
	s_branch .LBB6_1938
.LBB6_1957:
	s_mov_b32 s17, -1
.LBB6_1958:
                                        ; implicit-def: $vgpr6
.LBB6_1959:
	s_and_b32 vcc_lo, exec_lo, s18
	s_mov_b32 s18, 0
	s_cbranch_vccz .LBB6_1961
; %bb.1960:
	s_cmp_lg_u32 s14, 11
	s_mov_b32 s18, -1
	s_cselect_b32 s17, -1, 0
.LBB6_1961:
	s_delay_alu instid0(SALU_CYCLE_1)
	s_and_b32 vcc_lo, exec_lo, s17
	s_cbranch_vccnz .LBB6_2026
; %bb.1962:
	s_and_not1_b32 vcc_lo, exec_lo, s18
	s_cbranch_vccnz .LBB6_1964
.LBB6_1963:
	s_wait_loadcnt 0x0
	global_load_u8 v1, v[12:13], off
	s_mov_b32 s19, -1
	s_wait_loadcnt 0x0
	v_cmp_ne_u16_e32 vcc_lo, 0, v1
	v_cndmask_b32_e64 v6, 0, 1, vcc_lo
.LBB6_1964:
	s_mov_b32 s14, 0
.LBB6_1965:
	s_delay_alu instid0(SALU_CYCLE_1)
	s_and_b32 vcc_lo, exec_lo, s14
	s_cbranch_vccz .LBB6_2014
; %bb.1966:
	s_and_b32 s14, 0xffff, s1
	s_delay_alu instid0(SALU_CYCLE_1)
	s_cmp_lt_i32 s14, 5
	s_cbranch_scc1 .LBB6_1971
; %bb.1967:
	s_cmp_lt_i32 s14, 8
	s_cbranch_scc1 .LBB6_1972
; %bb.1968:
	;; [unrolled: 3-line block ×3, first 2 shown]
	s_cmp_gt_i32 s14, 9
	s_cbranch_scc0 .LBB6_1974
; %bb.1970:
	s_wait_loadcnt 0x0
	global_load_b64 v[6:7], v[12:13], off
	s_mov_b32 s17, 0
	s_wait_loadcnt 0x0
	v_trunc_f64_e32 v[6:7], v[6:7]
	s_delay_alu instid0(VALU_DEP_1) | instskip(NEXT) | instid1(VALU_DEP_1)
	v_ldexp_f64 v[14:15], v[6:7], 0xffffffe0
	v_floor_f64_e32 v[14:15], v[14:15]
	s_delay_alu instid0(VALU_DEP_1) | instskip(NEXT) | instid1(VALU_DEP_1)
	v_fmamk_f64 v[6:7], v[14:15], 0xc1f00000, v[6:7]
	v_cvt_u32_f64_e32 v6, v[6:7]
	s_branch .LBB6_1975
.LBB6_1971:
	s_mov_b32 s17, -1
                                        ; implicit-def: $vgpr6
	s_branch .LBB6_1993
.LBB6_1972:
	s_mov_b32 s17, -1
                                        ; implicit-def: $vgpr6
	s_branch .LBB6_1981
.LBB6_1973:
	s_mov_b32 s17, -1
                                        ; implicit-def: $vgpr6
	s_branch .LBB6_1978
.LBB6_1974:
	s_mov_b32 s17, -1
                                        ; implicit-def: $vgpr6
.LBB6_1975:
	s_delay_alu instid0(SALU_CYCLE_1)
	s_and_not1_b32 vcc_lo, exec_lo, s17
	s_cbranch_vccnz .LBB6_1977
; %bb.1976:
	s_wait_loadcnt 0x0
	global_load_b32 v1, v[12:13], off
	s_wait_loadcnt 0x0
	v_trunc_f32_e32 v1, v1
	s_delay_alu instid0(VALU_DEP_1) | instskip(NEXT) | instid1(VALU_DEP_1)
	v_mul_f32_e64 v3, 0x2f800000, |v1|
	v_floor_f32_e32 v3, v3
	s_delay_alu instid0(VALU_DEP_1) | instskip(SKIP_1) | instid1(VALU_DEP_2)
	v_fma_f32 v3, 0xcf800000, v3, |v1|
	v_ashrrev_i32_e32 v1, 31, v1
	v_cvt_u32_f32_e32 v3, v3
	s_delay_alu instid0(VALU_DEP_1) | instskip(NEXT) | instid1(VALU_DEP_1)
	v_xor_b32_e32 v3, v3, v1
	v_sub_nc_u32_e32 v6, v3, v1
.LBB6_1977:
	s_mov_b32 s17, 0
.LBB6_1978:
	s_delay_alu instid0(SALU_CYCLE_1)
	s_and_not1_b32 vcc_lo, exec_lo, s17
	s_cbranch_vccnz .LBB6_1980
; %bb.1979:
	s_wait_loadcnt 0x0
	global_load_b32 v1, v[12:13], off
	s_wait_loadcnt 0x0
	v_cvt_f32_f16_e32 v1, v1
	s_delay_alu instid0(VALU_DEP_1)
	v_cvt_i32_f32_e32 v6, v1
.LBB6_1980:
	s_mov_b32 s17, 0
.LBB6_1981:
	s_delay_alu instid0(SALU_CYCLE_1)
	s_and_not1_b32 vcc_lo, exec_lo, s17
	s_cbranch_vccnz .LBB6_1992
; %bb.1982:
	s_cmp_lt_i32 s14, 6
	s_cbranch_scc1 .LBB6_1985
; %bb.1983:
	s_cmp_gt_i32 s14, 6
	s_cbranch_scc0 .LBB6_1986
; %bb.1984:
	s_wait_loadcnt 0x0
	global_load_b64 v[6:7], v[12:13], off
	s_mov_b32 s17, 0
	s_wait_loadcnt 0x0
	v_trunc_f64_e32 v[6:7], v[6:7]
	s_delay_alu instid0(VALU_DEP_1) | instskip(NEXT) | instid1(VALU_DEP_1)
	v_ldexp_f64 v[14:15], v[6:7], 0xffffffe0
	v_floor_f64_e32 v[14:15], v[14:15]
	s_delay_alu instid0(VALU_DEP_1) | instskip(NEXT) | instid1(VALU_DEP_1)
	v_fmamk_f64 v[6:7], v[14:15], 0xc1f00000, v[6:7]
	v_cvt_u32_f64_e32 v6, v[6:7]
	s_branch .LBB6_1987
.LBB6_1985:
	s_mov_b32 s17, -1
                                        ; implicit-def: $vgpr6
	s_branch .LBB6_1990
.LBB6_1986:
	s_mov_b32 s17, -1
                                        ; implicit-def: $vgpr6
.LBB6_1987:
	s_delay_alu instid0(SALU_CYCLE_1)
	s_and_not1_b32 vcc_lo, exec_lo, s17
	s_cbranch_vccnz .LBB6_1989
; %bb.1988:
	s_wait_loadcnt 0x0
	global_load_b32 v1, v[12:13], off
	s_wait_loadcnt 0x0
	v_trunc_f32_e32 v1, v1
	s_delay_alu instid0(VALU_DEP_1) | instskip(NEXT) | instid1(VALU_DEP_1)
	v_mul_f32_e64 v3, 0x2f800000, |v1|
	v_floor_f32_e32 v3, v3
	s_delay_alu instid0(VALU_DEP_1) | instskip(SKIP_1) | instid1(VALU_DEP_2)
	v_fma_f32 v3, 0xcf800000, v3, |v1|
	v_ashrrev_i32_e32 v1, 31, v1
	v_cvt_u32_f32_e32 v3, v3
	s_delay_alu instid0(VALU_DEP_1) | instskip(NEXT) | instid1(VALU_DEP_1)
	v_xor_b32_e32 v3, v3, v1
	v_sub_nc_u32_e32 v6, v3, v1
.LBB6_1989:
	s_mov_b32 s17, 0
.LBB6_1990:
	s_delay_alu instid0(SALU_CYCLE_1)
	s_and_not1_b32 vcc_lo, exec_lo, s17
	s_cbranch_vccnz .LBB6_1992
; %bb.1991:
	s_wait_loadcnt 0x0
	global_load_u16 v1, v[12:13], off
	s_wait_loadcnt 0x0
	v_cvt_f32_f16_e32 v1, v1
	s_delay_alu instid0(VALU_DEP_1)
	v_cvt_i32_f32_e32 v6, v1
.LBB6_1992:
	s_mov_b32 s17, 0
.LBB6_1993:
	s_delay_alu instid0(SALU_CYCLE_1)
	s_and_not1_b32 vcc_lo, exec_lo, s17
	s_cbranch_vccnz .LBB6_2013
; %bb.1994:
	s_cmp_lt_i32 s14, 2
	s_cbranch_scc1 .LBB6_1998
; %bb.1995:
	s_cmp_lt_i32 s14, 3
	s_cbranch_scc1 .LBB6_1999
; %bb.1996:
	s_cmp_gt_i32 s14, 3
	s_cbranch_scc0 .LBB6_2000
; %bb.1997:
	s_wait_loadcnt 0x0
	global_load_b64 v[6:7], v[12:13], off
	s_mov_b32 s17, 0
	s_branch .LBB6_2001
.LBB6_1998:
	s_mov_b32 s17, -1
                                        ; implicit-def: $vgpr6
	s_branch .LBB6_2007
.LBB6_1999:
	s_mov_b32 s17, -1
                                        ; implicit-def: $vgpr6
	s_branch .LBB6_2004
.LBB6_2000:
	s_mov_b32 s17, -1
                                        ; implicit-def: $vgpr6
.LBB6_2001:
	s_delay_alu instid0(SALU_CYCLE_1)
	s_and_not1_b32 vcc_lo, exec_lo, s17
	s_cbranch_vccnz .LBB6_2003
; %bb.2002:
	s_wait_loadcnt 0x0
	global_load_b32 v6, v[12:13], off
.LBB6_2003:
	s_mov_b32 s17, 0
.LBB6_2004:
	s_delay_alu instid0(SALU_CYCLE_1)
	s_and_not1_b32 vcc_lo, exec_lo, s17
	s_cbranch_vccnz .LBB6_2006
; %bb.2005:
	s_wait_loadcnt 0x0
	global_load_u16 v6, v[12:13], off
.LBB6_2006:
	s_mov_b32 s17, 0
.LBB6_2007:
	s_delay_alu instid0(SALU_CYCLE_1)
	s_and_not1_b32 vcc_lo, exec_lo, s17
	s_cbranch_vccnz .LBB6_2013
; %bb.2008:
	s_cmp_gt_i32 s14, 0
	s_mov_b32 s14, 0
	s_cbranch_scc0 .LBB6_2010
; %bb.2009:
	s_wait_loadcnt 0x0
	global_load_u8 v6, v[12:13], off
	s_branch .LBB6_2011
.LBB6_2010:
	s_mov_b32 s14, -1
                                        ; implicit-def: $vgpr6
.LBB6_2011:
	s_delay_alu instid0(SALU_CYCLE_1)
	s_and_not1_b32 vcc_lo, exec_lo, s14
	s_cbranch_vccnz .LBB6_2013
; %bb.2012:
	s_wait_loadcnt 0x0
	global_load_u8 v6, v[12:13], off
.LBB6_2013:
	s_mov_b32 s19, -1
.LBB6_2014:
	s_delay_alu instid0(SALU_CYCLE_1)
	s_and_not1_b32 vcc_lo, exec_lo, s19
	s_cbranch_vccnz .LBB6_2957
; %bb.2015:
	s_wait_xcnt 0x0
	v_add_nc_u32_e32 v12, s9, v8
	s_cmp_lt_i32 s0, 11
	s_delay_alu instid0(VALU_DEP_1) | instskip(NEXT) | instid1(VALU_DEP_1)
	v_ashrrev_i32_e32 v13, 31, v12
	v_add_nc_u64_e32 v[14:15], s[6:7], v[12:13]
	s_cbranch_scc1 .LBB6_2022
; %bb.2016:
	s_and_b32 s14, 0xffff, s0
	s_mov_b32 s18, 0
	s_cmp_gt_i32 s14, 25
	s_cbranch_scc0 .LBB6_2023
; %bb.2017:
	s_cmp_gt_i32 s14, 28
	s_cbranch_scc0 .LBB6_2024
; %bb.2018:
	;; [unrolled: 3-line block ×4, first 2 shown]
	s_cmp_eq_u32 s14, 46
	s_mov_b32 s20, 0
	s_cbranch_scc0 .LBB6_2028
; %bb.2021:
	s_wait_loadcnt 0x0
	global_load_b32 v1, v[14:15], off
	s_mov_b32 s17, 0
	s_mov_b32 s19, -1
	s_wait_loadcnt 0x0
	v_lshlrev_b32_e32 v1, 16, v1
	s_delay_alu instid0(VALU_DEP_1) | instskip(NEXT) | instid1(VALU_DEP_1)
	v_trunc_f32_e32 v1, v1
	v_mul_f32_e64 v3, 0x2f800000, |v1|
	s_delay_alu instid0(VALU_DEP_1) | instskip(NEXT) | instid1(VALU_DEP_1)
	v_floor_f32_e32 v3, v3
	v_fma_f32 v3, 0xcf800000, v3, |v1|
	v_ashrrev_i32_e32 v1, 31, v1
	s_delay_alu instid0(VALU_DEP_2) | instskip(NEXT) | instid1(VALU_DEP_1)
	v_cvt_u32_f32_e32 v3, v3
	v_xor_b32_e32 v3, v3, v1
	s_delay_alu instid0(VALU_DEP_1)
	v_sub_nc_u32_e32 v8, v3, v1
	s_branch .LBB6_2030
.LBB6_2022:
	s_mov_b32 s14, -1
	s_mov_b32 s19, 0
                                        ; implicit-def: $vgpr8
	s_branch .LBB6_2092
.LBB6_2023:
	s_mov_b32 s20, -1
	s_mov_b32 s19, 0
	s_mov_b32 s17, 0
                                        ; implicit-def: $vgpr8
	s_branch .LBB6_2057
.LBB6_2024:
	s_mov_b32 s20, -1
	s_mov_b32 s19, 0
	s_mov_b32 s17, 0
                                        ; implicit-def: $vgpr8
	s_branch .LBB6_2040
.LBB6_2025:
	s_mov_b32 s20, -1
	s_mov_b32 s19, 0
	s_mov_b32 s17, 0
                                        ; implicit-def: $vgpr8
	s_branch .LBB6_2035
.LBB6_2026:
	s_or_b32 s13, s13, exec_lo
	s_trap 2
	s_cbranch_execz .LBB6_1963
	s_branch .LBB6_1964
.LBB6_2027:
	s_mov_b32 s20, -1
	s_mov_b32 s19, 0
	s_mov_b32 s17, 0
	s_branch .LBB6_2029
.LBB6_2028:
	s_mov_b32 s17, -1
	s_mov_b32 s19, 0
.LBB6_2029:
                                        ; implicit-def: $vgpr8
.LBB6_2030:
	s_and_b32 vcc_lo, exec_lo, s20
	s_cbranch_vccz .LBB6_2034
; %bb.2031:
	s_cmp_eq_u32 s14, 44
	s_cbranch_scc0 .LBB6_2033
; %bb.2032:
	s_wait_loadcnt 0x0
	global_load_u8 v1, v[14:15], off
	s_mov_b32 s17, 0
	s_mov_b32 s19, -1
	s_wait_loadcnt 0x0
	v_lshlrev_b32_e32 v3, 23, v1
	v_cmp_ne_u32_e32 vcc_lo, 0, v1
	s_delay_alu instid0(VALU_DEP_2) | instskip(NEXT) | instid1(VALU_DEP_1)
	v_trunc_f32_e32 v3, v3
	v_mul_f32_e64 v5, 0x2f800000, |v3|
	s_delay_alu instid0(VALU_DEP_1) | instskip(NEXT) | instid1(VALU_DEP_1)
	v_floor_f32_e32 v5, v5
	v_fma_f32 v5, 0xcf800000, v5, |v3|
	v_ashrrev_i32_e32 v3, 31, v3
	s_delay_alu instid0(VALU_DEP_2) | instskip(NEXT) | instid1(VALU_DEP_1)
	v_cvt_u32_f32_e32 v5, v5
	v_xor_b32_e32 v5, v5, v3
	s_delay_alu instid0(VALU_DEP_1) | instskip(NEXT) | instid1(VALU_DEP_1)
	v_sub_nc_u32_e32 v3, v5, v3
	v_cndmask_b32_e32 v8, 0, v3, vcc_lo
	s_branch .LBB6_2034
.LBB6_2033:
	s_mov_b32 s17, -1
                                        ; implicit-def: $vgpr8
.LBB6_2034:
	s_mov_b32 s20, 0
.LBB6_2035:
	s_delay_alu instid0(SALU_CYCLE_1)
	s_and_b32 vcc_lo, exec_lo, s20
	s_cbranch_vccz .LBB6_2039
; %bb.2036:
	s_cmp_eq_u32 s14, 29
	s_cbranch_scc0 .LBB6_2038
; %bb.2037:
	global_load_b64 v[8:9], v[14:15], off
	s_mov_b32 s17, 0
	s_mov_b32 s19, -1
	s_branch .LBB6_2039
.LBB6_2038:
	s_mov_b32 s17, -1
                                        ; implicit-def: $vgpr8
.LBB6_2039:
	s_mov_b32 s20, 0
.LBB6_2040:
	s_delay_alu instid0(SALU_CYCLE_1)
	s_and_b32 vcc_lo, exec_lo, s20
	s_cbranch_vccz .LBB6_2056
; %bb.2041:
	s_cmp_lt_i32 s14, 27
	s_cbranch_scc1 .LBB6_2044
; %bb.2042:
	s_cmp_gt_i32 s14, 27
	s_cbranch_scc0 .LBB6_2045
; %bb.2043:
	s_wait_loadcnt 0x0
	global_load_b32 v8, v[14:15], off
	s_mov_b32 s19, 0
	s_branch .LBB6_2046
.LBB6_2044:
	s_mov_b32 s19, -1
                                        ; implicit-def: $vgpr8
	s_branch .LBB6_2049
.LBB6_2045:
	s_mov_b32 s19, -1
                                        ; implicit-def: $vgpr8
.LBB6_2046:
	s_delay_alu instid0(SALU_CYCLE_1)
	s_and_not1_b32 vcc_lo, exec_lo, s19
	s_cbranch_vccnz .LBB6_2048
; %bb.2047:
	s_wait_loadcnt 0x0
	global_load_u16 v8, v[14:15], off
.LBB6_2048:
	s_mov_b32 s19, 0
.LBB6_2049:
	s_delay_alu instid0(SALU_CYCLE_1)
	s_and_not1_b32 vcc_lo, exec_lo, s19
	s_cbranch_vccnz .LBB6_2055
; %bb.2050:
	s_wait_loadcnt 0x0
	global_load_u8 v1, v[14:15], off
	s_mov_b32 s20, 0
	s_mov_b32 s19, exec_lo
	s_wait_loadcnt 0x0
	v_cmpx_lt_i16_e32 0x7f, v1
	s_xor_b32 s19, exec_lo, s19
	s_cbranch_execz .LBB6_2067
; %bb.2051:
	v_cmp_ne_u16_e32 vcc_lo, 0x80, v1
	s_and_b32 s20, vcc_lo, exec_lo
	s_and_not1_saveexec_b32 s19, s19
	s_cbranch_execnz .LBB6_2068
.LBB6_2052:
	s_or_b32 exec_lo, exec_lo, s19
	v_mov_b32_e32 v8, 0
	s_and_saveexec_b32 s19, s20
	s_cbranch_execz .LBB6_2054
.LBB6_2053:
	v_and_b32_e32 v3, 0xffff, v1
	s_delay_alu instid0(VALU_DEP_1) | instskip(SKIP_1) | instid1(VALU_DEP_2)
	v_dual_lshlrev_b32 v1, 24, v1 :: v_dual_bitop2_b32 v5, 7, v3 bitop3:0x40
	v_bfe_u32 v9, v3, 3, 4
	v_and_b32_e32 v1, 0x80000000, v1
	s_delay_alu instid0(VALU_DEP_3) | instskip(NEXT) | instid1(VALU_DEP_3)
	v_clz_i32_u32_e32 v7, v5
	v_cmp_eq_u32_e32 vcc_lo, 0, v9
	s_delay_alu instid0(VALU_DEP_2) | instskip(NEXT) | instid1(VALU_DEP_1)
	v_min_u32_e32 v7, 32, v7
	v_subrev_nc_u32_e32 v8, 28, v7
	v_sub_nc_u32_e32 v7, 29, v7
	s_delay_alu instid0(VALU_DEP_2) | instskip(NEXT) | instid1(VALU_DEP_2)
	v_lshlrev_b32_e32 v3, v8, v3
	v_cndmask_b32_e32 v7, v9, v7, vcc_lo
	s_delay_alu instid0(VALU_DEP_2) | instskip(NEXT) | instid1(VALU_DEP_1)
	v_and_b32_e32 v3, 7, v3
	v_cndmask_b32_e32 v3, v5, v3, vcc_lo
	s_delay_alu instid0(VALU_DEP_3) | instskip(NEXT) | instid1(VALU_DEP_2)
	v_lshl_add_u32 v5, v7, 23, 0x3b800000
	v_lshlrev_b32_e32 v3, 20, v3
	s_delay_alu instid0(VALU_DEP_1) | instskip(NEXT) | instid1(VALU_DEP_1)
	v_or3_b32 v1, v1, v5, v3
	v_trunc_f32_e32 v1, v1
	s_delay_alu instid0(VALU_DEP_1) | instskip(NEXT) | instid1(VALU_DEP_1)
	v_mul_f32_e64 v3, 0x2f800000, |v1|
	v_floor_f32_e32 v3, v3
	s_delay_alu instid0(VALU_DEP_1) | instskip(SKIP_1) | instid1(VALU_DEP_2)
	v_fma_f32 v3, 0xcf800000, v3, |v1|
	v_ashrrev_i32_e32 v1, 31, v1
	v_cvt_u32_f32_e32 v3, v3
	s_delay_alu instid0(VALU_DEP_1) | instskip(NEXT) | instid1(VALU_DEP_1)
	v_xor_b32_e32 v3, v3, v1
	v_sub_nc_u32_e32 v8, v3, v1
.LBB6_2054:
	s_or_b32 exec_lo, exec_lo, s19
.LBB6_2055:
	s_mov_b32 s19, -1
.LBB6_2056:
	s_mov_b32 s20, 0
.LBB6_2057:
	s_delay_alu instid0(SALU_CYCLE_1)
	s_and_b32 vcc_lo, exec_lo, s20
	s_cbranch_vccz .LBB6_2088
; %bb.2058:
	s_cmp_gt_i32 s14, 22
	s_cbranch_scc0 .LBB6_2066
; %bb.2059:
	s_cmp_lt_i32 s14, 24
	s_cbranch_scc1 .LBB6_2069
; %bb.2060:
	s_cmp_gt_i32 s14, 24
	s_cbranch_scc0 .LBB6_2070
; %bb.2061:
	s_wait_loadcnt 0x0
	global_load_u8 v1, v[14:15], off
	s_mov_b32 s19, 0
	s_mov_b32 s18, exec_lo
	s_wait_loadcnt 0x0
	v_cmpx_lt_i16_e32 0x7f, v1
	s_xor_b32 s18, exec_lo, s18
	s_cbranch_execz .LBB6_2082
; %bb.2062:
	v_cmp_ne_u16_e32 vcc_lo, 0x80, v1
	s_and_b32 s19, vcc_lo, exec_lo
	s_and_not1_saveexec_b32 s18, s18
	s_cbranch_execnz .LBB6_2083
.LBB6_2063:
	s_or_b32 exec_lo, exec_lo, s18
	v_mov_b32_e32 v8, 0
	s_and_saveexec_b32 s18, s19
	s_cbranch_execz .LBB6_2065
.LBB6_2064:
	v_and_b32_e32 v3, 0xffff, v1
	s_delay_alu instid0(VALU_DEP_1) | instskip(SKIP_1) | instid1(VALU_DEP_2)
	v_dual_lshlrev_b32 v1, 24, v1 :: v_dual_bitop2_b32 v5, 3, v3 bitop3:0x40
	v_bfe_u32 v9, v3, 2, 5
	v_and_b32_e32 v1, 0x80000000, v1
	s_delay_alu instid0(VALU_DEP_3) | instskip(NEXT) | instid1(VALU_DEP_3)
	v_clz_i32_u32_e32 v7, v5
	v_cmp_eq_u32_e32 vcc_lo, 0, v9
	s_delay_alu instid0(VALU_DEP_2) | instskip(NEXT) | instid1(VALU_DEP_1)
	v_min_u32_e32 v7, 32, v7
	v_subrev_nc_u32_e32 v8, 29, v7
	v_sub_nc_u32_e32 v7, 30, v7
	s_delay_alu instid0(VALU_DEP_2) | instskip(NEXT) | instid1(VALU_DEP_2)
	v_lshlrev_b32_e32 v3, v8, v3
	v_cndmask_b32_e32 v7, v9, v7, vcc_lo
	s_delay_alu instid0(VALU_DEP_2) | instskip(NEXT) | instid1(VALU_DEP_1)
	v_and_b32_e32 v3, 3, v3
	v_cndmask_b32_e32 v3, v5, v3, vcc_lo
	s_delay_alu instid0(VALU_DEP_3) | instskip(NEXT) | instid1(VALU_DEP_2)
	v_lshl_add_u32 v5, v7, 23, 0x37800000
	v_lshlrev_b32_e32 v3, 21, v3
	s_delay_alu instid0(VALU_DEP_1) | instskip(NEXT) | instid1(VALU_DEP_1)
	v_or3_b32 v1, v1, v5, v3
	v_trunc_f32_e32 v1, v1
	s_delay_alu instid0(VALU_DEP_1) | instskip(NEXT) | instid1(VALU_DEP_1)
	v_mul_f32_e64 v3, 0x2f800000, |v1|
	v_floor_f32_e32 v3, v3
	s_delay_alu instid0(VALU_DEP_1) | instskip(SKIP_1) | instid1(VALU_DEP_2)
	v_fma_f32 v3, 0xcf800000, v3, |v1|
	v_ashrrev_i32_e32 v1, 31, v1
	v_cvt_u32_f32_e32 v3, v3
	s_delay_alu instid0(VALU_DEP_1) | instskip(NEXT) | instid1(VALU_DEP_1)
	v_xor_b32_e32 v3, v3, v1
	v_sub_nc_u32_e32 v8, v3, v1
.LBB6_2065:
	s_or_b32 exec_lo, exec_lo, s18
	s_mov_b32 s18, 0
	s_branch .LBB6_2071
.LBB6_2066:
	s_mov_b32 s18, -1
                                        ; implicit-def: $vgpr8
	s_branch .LBB6_2077
.LBB6_2067:
	s_and_not1_saveexec_b32 s19, s19
	s_cbranch_execz .LBB6_2052
.LBB6_2068:
	v_cmp_ne_u16_e32 vcc_lo, 0, v1
	s_and_not1_b32 s20, s20, exec_lo
	s_and_b32 s21, vcc_lo, exec_lo
	s_delay_alu instid0(SALU_CYCLE_1)
	s_or_b32 s20, s20, s21
	s_or_b32 exec_lo, exec_lo, s19
	v_mov_b32_e32 v8, 0
	s_and_saveexec_b32 s19, s20
	s_cbranch_execnz .LBB6_2053
	s_branch .LBB6_2054
.LBB6_2069:
	s_mov_b32 s18, -1
                                        ; implicit-def: $vgpr8
	s_branch .LBB6_2074
.LBB6_2070:
	s_mov_b32 s18, -1
                                        ; implicit-def: $vgpr8
.LBB6_2071:
	s_delay_alu instid0(SALU_CYCLE_1)
	s_and_b32 vcc_lo, exec_lo, s18
	s_cbranch_vccz .LBB6_2073
; %bb.2072:
	s_wait_loadcnt 0x0
	global_load_u8 v1, v[14:15], off
	s_wait_loadcnt 0x0
	v_lshlrev_b32_e32 v1, 24, v1
	s_delay_alu instid0(VALU_DEP_1) | instskip(NEXT) | instid1(VALU_DEP_1)
	v_and_b32_e32 v3, 0x7f000000, v1
	v_clz_i32_u32_e32 v5, v3
	v_cmp_ne_u32_e32 vcc_lo, 0, v3
	v_add_nc_u32_e32 v8, 0x1000000, v3
	s_delay_alu instid0(VALU_DEP_3) | instskip(NEXT) | instid1(VALU_DEP_1)
	v_min_u32_e32 v5, 32, v5
	v_sub_nc_u32_e64 v5, v5, 4 clamp
	s_delay_alu instid0(VALU_DEP_1) | instskip(NEXT) | instid1(VALU_DEP_1)
	v_dual_lshlrev_b32 v7, v5, v3 :: v_dual_lshlrev_b32 v5, 23, v5
	v_lshrrev_b32_e32 v7, 4, v7
	s_delay_alu instid0(VALU_DEP_1) | instskip(NEXT) | instid1(VALU_DEP_1)
	v_dual_sub_nc_u32 v5, v7, v5 :: v_dual_ashrrev_i32 v7, 8, v8
	v_add_nc_u32_e32 v5, 0x3c000000, v5
	s_delay_alu instid0(VALU_DEP_1) | instskip(NEXT) | instid1(VALU_DEP_1)
	v_and_or_b32 v5, 0x7f800000, v7, v5
	v_cndmask_b32_e32 v3, 0, v5, vcc_lo
	s_delay_alu instid0(VALU_DEP_1) | instskip(NEXT) | instid1(VALU_DEP_1)
	v_and_or_b32 v1, 0x80000000, v1, v3
	v_trunc_f32_e32 v1, v1
	s_delay_alu instid0(VALU_DEP_1) | instskip(NEXT) | instid1(VALU_DEP_1)
	v_mul_f32_e64 v3, 0x2f800000, |v1|
	v_floor_f32_e32 v3, v3
	s_delay_alu instid0(VALU_DEP_1) | instskip(SKIP_1) | instid1(VALU_DEP_2)
	v_fma_f32 v3, 0xcf800000, v3, |v1|
	v_ashrrev_i32_e32 v1, 31, v1
	v_cvt_u32_f32_e32 v3, v3
	s_delay_alu instid0(VALU_DEP_1) | instskip(NEXT) | instid1(VALU_DEP_1)
	v_xor_b32_e32 v3, v3, v1
	v_sub_nc_u32_e32 v8, v3, v1
.LBB6_2073:
	s_mov_b32 s18, 0
.LBB6_2074:
	s_delay_alu instid0(SALU_CYCLE_1)
	s_and_not1_b32 vcc_lo, exec_lo, s18
	s_cbranch_vccnz .LBB6_2076
; %bb.2075:
	s_wait_loadcnt 0x0
	global_load_u8 v1, v[14:15], off
	s_wait_loadcnt 0x0
	v_lshlrev_b32_e32 v3, 25, v1
	v_lshlrev_b16 v1, 8, v1
	s_delay_alu instid0(VALU_DEP_1) | instskip(SKIP_1) | instid1(VALU_DEP_2)
	v_and_or_b32 v7, 0x7f00, v1, 0.5
	v_bfe_i32 v1, v1, 0, 16
	v_add_f32_e32 v7, -0.5, v7
	v_lshrrev_b32_e32 v5, 4, v3
	v_cmp_gt_u32_e32 vcc_lo, 0x8000000, v3
	s_delay_alu instid0(VALU_DEP_2) | instskip(NEXT) | instid1(VALU_DEP_1)
	v_or_b32_e32 v5, 0x70000000, v5
	v_mul_f32_e32 v5, 0x7800000, v5
	s_delay_alu instid0(VALU_DEP_1) | instskip(NEXT) | instid1(VALU_DEP_1)
	v_cndmask_b32_e32 v3, v5, v7, vcc_lo
	v_and_or_b32 v1, 0x80000000, v1, v3
	s_delay_alu instid0(VALU_DEP_1) | instskip(NEXT) | instid1(VALU_DEP_1)
	v_trunc_f32_e32 v1, v1
	v_mul_f32_e64 v3, 0x2f800000, |v1|
	s_delay_alu instid0(VALU_DEP_1) | instskip(NEXT) | instid1(VALU_DEP_1)
	v_floor_f32_e32 v3, v3
	v_fma_f32 v3, 0xcf800000, v3, |v1|
	v_ashrrev_i32_e32 v1, 31, v1
	s_delay_alu instid0(VALU_DEP_2) | instskip(NEXT) | instid1(VALU_DEP_1)
	v_cvt_u32_f32_e32 v3, v3
	v_xor_b32_e32 v3, v3, v1
	s_delay_alu instid0(VALU_DEP_1)
	v_sub_nc_u32_e32 v8, v3, v1
.LBB6_2076:
	s_mov_b32 s18, 0
	s_mov_b32 s19, -1
.LBB6_2077:
	s_and_not1_b32 vcc_lo, exec_lo, s18
	s_mov_b32 s18, 0
	s_cbranch_vccnz .LBB6_2088
; %bb.2078:
	s_cmp_gt_i32 s14, 14
	s_cbranch_scc0 .LBB6_2081
; %bb.2079:
	s_cmp_eq_u32 s14, 15
	s_cbranch_scc0 .LBB6_2084
; %bb.2080:
	s_wait_loadcnt 0x0
	global_load_u16 v1, v[14:15], off
	s_mov_b32 s17, 0
	s_mov_b32 s19, -1
	s_wait_loadcnt 0x0
	v_lshlrev_b32_e32 v1, 16, v1
	s_delay_alu instid0(VALU_DEP_1) | instskip(NEXT) | instid1(VALU_DEP_1)
	v_trunc_f32_e32 v1, v1
	v_mul_f32_e64 v3, 0x2f800000, |v1|
	s_delay_alu instid0(VALU_DEP_1) | instskip(NEXT) | instid1(VALU_DEP_1)
	v_floor_f32_e32 v3, v3
	v_fma_f32 v3, 0xcf800000, v3, |v1|
	v_ashrrev_i32_e32 v1, 31, v1
	s_delay_alu instid0(VALU_DEP_2) | instskip(NEXT) | instid1(VALU_DEP_1)
	v_cvt_u32_f32_e32 v3, v3
	v_xor_b32_e32 v3, v3, v1
	s_delay_alu instid0(VALU_DEP_1)
	v_sub_nc_u32_e32 v8, v3, v1
	s_branch .LBB6_2086
.LBB6_2081:
	s_mov_b32 s18, -1
	s_branch .LBB6_2085
.LBB6_2082:
	s_and_not1_saveexec_b32 s18, s18
	s_cbranch_execz .LBB6_2063
.LBB6_2083:
	v_cmp_ne_u16_e32 vcc_lo, 0, v1
	s_and_not1_b32 s19, s19, exec_lo
	s_and_b32 s20, vcc_lo, exec_lo
	s_delay_alu instid0(SALU_CYCLE_1)
	s_or_b32 s19, s19, s20
	s_or_b32 exec_lo, exec_lo, s18
	v_mov_b32_e32 v8, 0
	s_and_saveexec_b32 s18, s19
	s_cbranch_execnz .LBB6_2064
	s_branch .LBB6_2065
.LBB6_2084:
	s_mov_b32 s17, -1
.LBB6_2085:
                                        ; implicit-def: $vgpr8
.LBB6_2086:
	s_and_b32 vcc_lo, exec_lo, s18
	s_mov_b32 s18, 0
	s_cbranch_vccz .LBB6_2088
; %bb.2087:
	s_cmp_lg_u32 s14, 11
	s_mov_b32 s18, -1
	s_cselect_b32 s17, -1, 0
.LBB6_2088:
	s_delay_alu instid0(SALU_CYCLE_1)
	s_and_b32 vcc_lo, exec_lo, s17
	s_cbranch_vccnz .LBB6_2153
; %bb.2089:
	s_and_not1_b32 vcc_lo, exec_lo, s18
	s_cbranch_vccnz .LBB6_2091
.LBB6_2090:
	s_wait_loadcnt 0x0
	global_load_u8 v1, v[14:15], off
	s_mov_b32 s19, -1
	s_wait_loadcnt 0x0
	v_cmp_ne_u16_e32 vcc_lo, 0, v1
	v_cndmask_b32_e64 v8, 0, 1, vcc_lo
.LBB6_2091:
	s_mov_b32 s14, 0
.LBB6_2092:
	s_delay_alu instid0(SALU_CYCLE_1)
	s_and_b32 vcc_lo, exec_lo, s14
	s_cbranch_vccz .LBB6_2141
; %bb.2093:
	s_and_b32 s14, 0xffff, s0
	s_delay_alu instid0(SALU_CYCLE_1)
	s_cmp_lt_i32 s14, 5
	s_cbranch_scc1 .LBB6_2098
; %bb.2094:
	s_cmp_lt_i32 s14, 8
	s_cbranch_scc1 .LBB6_2099
; %bb.2095:
	;; [unrolled: 3-line block ×3, first 2 shown]
	s_cmp_gt_i32 s14, 9
	s_cbranch_scc0 .LBB6_2101
; %bb.2097:
	s_wait_loadcnt 0x0
	global_load_b64 v[8:9], v[14:15], off
	s_mov_b32 s17, 0
	s_wait_loadcnt 0x0
	v_trunc_f64_e32 v[8:9], v[8:9]
	s_delay_alu instid0(VALU_DEP_1) | instskip(NEXT) | instid1(VALU_DEP_1)
	v_ldexp_f64 v[16:17], v[8:9], 0xffffffe0
	v_floor_f64_e32 v[16:17], v[16:17]
	s_delay_alu instid0(VALU_DEP_1) | instskip(NEXT) | instid1(VALU_DEP_1)
	v_fmamk_f64 v[8:9], v[16:17], 0xc1f00000, v[8:9]
	v_cvt_u32_f64_e32 v8, v[8:9]
	s_branch .LBB6_2102
.LBB6_2098:
	s_mov_b32 s17, -1
                                        ; implicit-def: $vgpr8
	s_branch .LBB6_2120
.LBB6_2099:
	s_mov_b32 s17, -1
                                        ; implicit-def: $vgpr8
	s_branch .LBB6_2108
.LBB6_2100:
	s_mov_b32 s17, -1
                                        ; implicit-def: $vgpr8
	s_branch .LBB6_2105
.LBB6_2101:
	s_mov_b32 s17, -1
                                        ; implicit-def: $vgpr8
.LBB6_2102:
	s_delay_alu instid0(SALU_CYCLE_1)
	s_and_not1_b32 vcc_lo, exec_lo, s17
	s_cbranch_vccnz .LBB6_2104
; %bb.2103:
	s_wait_loadcnt 0x0
	global_load_b32 v1, v[14:15], off
	s_wait_loadcnt 0x0
	v_trunc_f32_e32 v1, v1
	s_delay_alu instid0(VALU_DEP_1) | instskip(NEXT) | instid1(VALU_DEP_1)
	v_mul_f32_e64 v3, 0x2f800000, |v1|
	v_floor_f32_e32 v3, v3
	s_delay_alu instid0(VALU_DEP_1) | instskip(SKIP_1) | instid1(VALU_DEP_2)
	v_fma_f32 v3, 0xcf800000, v3, |v1|
	v_ashrrev_i32_e32 v1, 31, v1
	v_cvt_u32_f32_e32 v3, v3
	s_delay_alu instid0(VALU_DEP_1) | instskip(NEXT) | instid1(VALU_DEP_1)
	v_xor_b32_e32 v3, v3, v1
	v_sub_nc_u32_e32 v8, v3, v1
.LBB6_2104:
	s_mov_b32 s17, 0
.LBB6_2105:
	s_delay_alu instid0(SALU_CYCLE_1)
	s_and_not1_b32 vcc_lo, exec_lo, s17
	s_cbranch_vccnz .LBB6_2107
; %bb.2106:
	s_wait_loadcnt 0x0
	global_load_b32 v1, v[14:15], off
	s_wait_loadcnt 0x0
	v_cvt_f32_f16_e32 v1, v1
	s_delay_alu instid0(VALU_DEP_1)
	v_cvt_i32_f32_e32 v8, v1
.LBB6_2107:
	s_mov_b32 s17, 0
.LBB6_2108:
	s_delay_alu instid0(SALU_CYCLE_1)
	s_and_not1_b32 vcc_lo, exec_lo, s17
	s_cbranch_vccnz .LBB6_2119
; %bb.2109:
	s_cmp_lt_i32 s14, 6
	s_cbranch_scc1 .LBB6_2112
; %bb.2110:
	s_cmp_gt_i32 s14, 6
	s_cbranch_scc0 .LBB6_2113
; %bb.2111:
	s_wait_loadcnt 0x0
	global_load_b64 v[8:9], v[14:15], off
	s_mov_b32 s17, 0
	s_wait_loadcnt 0x0
	v_trunc_f64_e32 v[8:9], v[8:9]
	s_delay_alu instid0(VALU_DEP_1) | instskip(NEXT) | instid1(VALU_DEP_1)
	v_ldexp_f64 v[16:17], v[8:9], 0xffffffe0
	v_floor_f64_e32 v[16:17], v[16:17]
	s_delay_alu instid0(VALU_DEP_1) | instskip(NEXT) | instid1(VALU_DEP_1)
	v_fmamk_f64 v[8:9], v[16:17], 0xc1f00000, v[8:9]
	v_cvt_u32_f64_e32 v8, v[8:9]
	s_branch .LBB6_2114
.LBB6_2112:
	s_mov_b32 s17, -1
                                        ; implicit-def: $vgpr8
	s_branch .LBB6_2117
.LBB6_2113:
	s_mov_b32 s17, -1
                                        ; implicit-def: $vgpr8
.LBB6_2114:
	s_delay_alu instid0(SALU_CYCLE_1)
	s_and_not1_b32 vcc_lo, exec_lo, s17
	s_cbranch_vccnz .LBB6_2116
; %bb.2115:
	s_wait_loadcnt 0x0
	global_load_b32 v1, v[14:15], off
	s_wait_loadcnt 0x0
	v_trunc_f32_e32 v1, v1
	s_delay_alu instid0(VALU_DEP_1) | instskip(NEXT) | instid1(VALU_DEP_1)
	v_mul_f32_e64 v3, 0x2f800000, |v1|
	v_floor_f32_e32 v3, v3
	s_delay_alu instid0(VALU_DEP_1) | instskip(SKIP_1) | instid1(VALU_DEP_2)
	v_fma_f32 v3, 0xcf800000, v3, |v1|
	v_ashrrev_i32_e32 v1, 31, v1
	v_cvt_u32_f32_e32 v3, v3
	s_delay_alu instid0(VALU_DEP_1) | instskip(NEXT) | instid1(VALU_DEP_1)
	v_xor_b32_e32 v3, v3, v1
	v_sub_nc_u32_e32 v8, v3, v1
.LBB6_2116:
	s_mov_b32 s17, 0
.LBB6_2117:
	s_delay_alu instid0(SALU_CYCLE_1)
	s_and_not1_b32 vcc_lo, exec_lo, s17
	s_cbranch_vccnz .LBB6_2119
; %bb.2118:
	s_wait_loadcnt 0x0
	global_load_u16 v1, v[14:15], off
	s_wait_loadcnt 0x0
	v_cvt_f32_f16_e32 v1, v1
	s_delay_alu instid0(VALU_DEP_1)
	v_cvt_i32_f32_e32 v8, v1
.LBB6_2119:
	s_mov_b32 s17, 0
.LBB6_2120:
	s_delay_alu instid0(SALU_CYCLE_1)
	s_and_not1_b32 vcc_lo, exec_lo, s17
	s_cbranch_vccnz .LBB6_2140
; %bb.2121:
	s_cmp_lt_i32 s14, 2
	s_cbranch_scc1 .LBB6_2125
; %bb.2122:
	s_cmp_lt_i32 s14, 3
	s_cbranch_scc1 .LBB6_2126
; %bb.2123:
	s_cmp_gt_i32 s14, 3
	s_cbranch_scc0 .LBB6_2127
; %bb.2124:
	s_wait_loadcnt 0x0
	global_load_b64 v[8:9], v[14:15], off
	s_mov_b32 s17, 0
	s_branch .LBB6_2128
.LBB6_2125:
	s_mov_b32 s17, -1
                                        ; implicit-def: $vgpr8
	s_branch .LBB6_2134
.LBB6_2126:
	s_mov_b32 s17, -1
                                        ; implicit-def: $vgpr8
	s_branch .LBB6_2131
.LBB6_2127:
	s_mov_b32 s17, -1
                                        ; implicit-def: $vgpr8
.LBB6_2128:
	s_delay_alu instid0(SALU_CYCLE_1)
	s_and_not1_b32 vcc_lo, exec_lo, s17
	s_cbranch_vccnz .LBB6_2130
; %bb.2129:
	s_wait_loadcnt 0x0
	global_load_b32 v8, v[14:15], off
.LBB6_2130:
	s_mov_b32 s17, 0
.LBB6_2131:
	s_delay_alu instid0(SALU_CYCLE_1)
	s_and_not1_b32 vcc_lo, exec_lo, s17
	s_cbranch_vccnz .LBB6_2133
; %bb.2132:
	s_wait_loadcnt 0x0
	global_load_u16 v8, v[14:15], off
.LBB6_2133:
	s_mov_b32 s17, 0
.LBB6_2134:
	s_delay_alu instid0(SALU_CYCLE_1)
	s_and_not1_b32 vcc_lo, exec_lo, s17
	s_cbranch_vccnz .LBB6_2140
; %bb.2135:
	s_cmp_gt_i32 s14, 0
	s_mov_b32 s14, 0
	s_cbranch_scc0 .LBB6_2137
; %bb.2136:
	s_wait_loadcnt 0x0
	global_load_u8 v8, v[14:15], off
	s_branch .LBB6_2138
.LBB6_2137:
	s_mov_b32 s14, -1
                                        ; implicit-def: $vgpr8
.LBB6_2138:
	s_delay_alu instid0(SALU_CYCLE_1)
	s_and_not1_b32 vcc_lo, exec_lo, s14
	s_cbranch_vccnz .LBB6_2140
; %bb.2139:
	s_wait_loadcnt 0x0
	global_load_u8 v8, v[14:15], off
.LBB6_2140:
	s_mov_b32 s19, -1
.LBB6_2141:
	s_delay_alu instid0(SALU_CYCLE_1)
	s_and_not1_b32 vcc_lo, exec_lo, s19
	s_cbranch_vccnz .LBB6_2957
; %bb.2142:
	s_wait_xcnt 0x0
	v_add_nc_u32_e32 v14, s10, v10
	s_cmp_lt_i32 s1, 11
	s_delay_alu instid0(VALU_DEP_1) | instskip(NEXT) | instid1(VALU_DEP_1)
	v_ashrrev_i32_e32 v15, 31, v14
	v_add_nc_u64_e32 v[16:17], s[2:3], v[14:15]
	s_cbranch_scc1 .LBB6_2149
; %bb.2143:
	s_and_b32 s14, 0xffff, s1
	s_mov_b32 s18, 0
	s_cmp_gt_i32 s14, 25
	s_cbranch_scc0 .LBB6_2150
; %bb.2144:
	s_cmp_gt_i32 s14, 28
	s_cbranch_scc0 .LBB6_2151
; %bb.2145:
	;; [unrolled: 3-line block ×4, first 2 shown]
	s_cmp_eq_u32 s14, 46
	s_mov_b32 s20, 0
	s_cbranch_scc0 .LBB6_2157
; %bb.2148:
	s_wait_loadcnt 0x0
	global_load_b32 v1, v[16:17], off
	s_mov_b32 s17, 0
	s_mov_b32 s19, -1
	s_wait_loadcnt 0x0
	v_lshlrev_b32_e32 v1, 16, v1
	s_delay_alu instid0(VALU_DEP_1) | instskip(NEXT) | instid1(VALU_DEP_1)
	v_trunc_f32_e32 v1, v1
	v_mul_f32_e64 v3, 0x2f800000, |v1|
	s_delay_alu instid0(VALU_DEP_1) | instskip(NEXT) | instid1(VALU_DEP_1)
	v_floor_f32_e32 v3, v3
	v_fma_f32 v3, 0xcf800000, v3, |v1|
	v_ashrrev_i32_e32 v1, 31, v1
	s_delay_alu instid0(VALU_DEP_2) | instskip(NEXT) | instid1(VALU_DEP_1)
	v_cvt_u32_f32_e32 v3, v3
	v_xor_b32_e32 v3, v3, v1
	s_delay_alu instid0(VALU_DEP_1)
	v_sub_nc_u32_e32 v10, v3, v1
	s_branch .LBB6_2159
.LBB6_2149:
	s_mov_b32 s14, -1
	s_mov_b32 s19, 0
                                        ; implicit-def: $vgpr10
	s_branch .LBB6_2221
.LBB6_2150:
	s_mov_b32 s20, -1
	s_mov_b32 s19, 0
	s_mov_b32 s17, 0
                                        ; implicit-def: $vgpr10
	s_branch .LBB6_2186
.LBB6_2151:
	s_mov_b32 s20, -1
	s_mov_b32 s19, 0
	s_mov_b32 s17, 0
                                        ; implicit-def: $vgpr10
	s_branch .LBB6_2169
.LBB6_2152:
	s_mov_b32 s20, -1
	s_mov_b32 s19, 0
	s_mov_b32 s17, 0
                                        ; implicit-def: $vgpr10
	s_branch .LBB6_2164
.LBB6_2153:
	s_or_b32 s13, s13, exec_lo
	s_trap 2
	s_cbranch_execz .LBB6_2090
	s_branch .LBB6_2091
.LBB6_2154:
	s_mov_b32 s20, -1
	s_mov_b32 s19, 0
	s_mov_b32 s17, 0
	s_branch .LBB6_2158
.LBB6_2155:
	s_and_not1_saveexec_b32 s35, s35
	s_cbranch_execz .LBB6_1063
.LBB6_2156:
	v_add_f32_e32 v2, 0x42800000, v3
	s_and_not1_b32 s34, s34, exec_lo
	s_delay_alu instid0(VALU_DEP_1) | instskip(NEXT) | instid1(VALU_DEP_1)
	v_and_b32_e32 v2, 0xff, v2
	v_cmp_ne_u32_e32 vcc_lo, 0, v2
	s_and_b32 s36, vcc_lo, exec_lo
	s_delay_alu instid0(SALU_CYCLE_1)
	s_or_b32 s34, s34, s36
	s_or_b32 exec_lo, exec_lo, s35
	v_mov_b32_e32 v4, 0
	s_and_saveexec_b32 s35, s34
	s_cbranch_execnz .LBB6_1064
	s_branch .LBB6_1065
.LBB6_2157:
	s_mov_b32 s17, -1
	s_mov_b32 s19, 0
.LBB6_2158:
                                        ; implicit-def: $vgpr10
.LBB6_2159:
	s_and_b32 vcc_lo, exec_lo, s20
	s_cbranch_vccz .LBB6_2163
; %bb.2160:
	s_cmp_eq_u32 s14, 44
	s_cbranch_scc0 .LBB6_2162
; %bb.2161:
	s_wait_loadcnt 0x0
	global_load_u8 v1, v[16:17], off
	s_mov_b32 s17, 0
	s_mov_b32 s19, -1
	s_wait_loadcnt 0x0
	v_lshlrev_b32_e32 v3, 23, v1
	v_cmp_ne_u32_e32 vcc_lo, 0, v1
	s_delay_alu instid0(VALU_DEP_2) | instskip(NEXT) | instid1(VALU_DEP_1)
	v_trunc_f32_e32 v3, v3
	v_mul_f32_e64 v5, 0x2f800000, |v3|
	s_delay_alu instid0(VALU_DEP_1) | instskip(NEXT) | instid1(VALU_DEP_1)
	v_floor_f32_e32 v5, v5
	v_fma_f32 v5, 0xcf800000, v5, |v3|
	v_ashrrev_i32_e32 v3, 31, v3
	s_delay_alu instid0(VALU_DEP_2) | instskip(NEXT) | instid1(VALU_DEP_1)
	v_cvt_u32_f32_e32 v5, v5
	v_xor_b32_e32 v5, v5, v3
	s_delay_alu instid0(VALU_DEP_1) | instskip(NEXT) | instid1(VALU_DEP_1)
	v_sub_nc_u32_e32 v3, v5, v3
	v_cndmask_b32_e32 v10, 0, v3, vcc_lo
	s_branch .LBB6_2163
.LBB6_2162:
	s_mov_b32 s17, -1
                                        ; implicit-def: $vgpr10
.LBB6_2163:
	s_mov_b32 s20, 0
.LBB6_2164:
	s_delay_alu instid0(SALU_CYCLE_1)
	s_and_b32 vcc_lo, exec_lo, s20
	s_cbranch_vccz .LBB6_2168
; %bb.2165:
	s_cmp_eq_u32 s14, 29
	s_cbranch_scc0 .LBB6_2167
; %bb.2166:
	global_load_b64 v[10:11], v[16:17], off
	s_mov_b32 s17, 0
	s_mov_b32 s19, -1
	s_branch .LBB6_2168
.LBB6_2167:
	s_mov_b32 s17, -1
                                        ; implicit-def: $vgpr10
.LBB6_2168:
	s_mov_b32 s20, 0
.LBB6_2169:
	s_delay_alu instid0(SALU_CYCLE_1)
	s_and_b32 vcc_lo, exec_lo, s20
	s_cbranch_vccz .LBB6_2185
; %bb.2170:
	s_cmp_lt_i32 s14, 27
	s_cbranch_scc1 .LBB6_2173
; %bb.2171:
	s_cmp_gt_i32 s14, 27
	s_cbranch_scc0 .LBB6_2174
; %bb.2172:
	s_wait_loadcnt 0x0
	global_load_b32 v10, v[16:17], off
	s_mov_b32 s19, 0
	s_branch .LBB6_2175
.LBB6_2173:
	s_mov_b32 s19, -1
                                        ; implicit-def: $vgpr10
	s_branch .LBB6_2178
.LBB6_2174:
	s_mov_b32 s19, -1
                                        ; implicit-def: $vgpr10
.LBB6_2175:
	s_delay_alu instid0(SALU_CYCLE_1)
	s_and_not1_b32 vcc_lo, exec_lo, s19
	s_cbranch_vccnz .LBB6_2177
; %bb.2176:
	s_wait_loadcnt 0x0
	global_load_u16 v10, v[16:17], off
.LBB6_2177:
	s_mov_b32 s19, 0
.LBB6_2178:
	s_delay_alu instid0(SALU_CYCLE_1)
	s_and_not1_b32 vcc_lo, exec_lo, s19
	s_cbranch_vccnz .LBB6_2184
; %bb.2179:
	s_wait_loadcnt 0x0
	global_load_u8 v1, v[16:17], off
	s_mov_b32 s20, 0
	s_mov_b32 s19, exec_lo
	s_wait_loadcnt 0x0
	v_cmpx_lt_i16_e32 0x7f, v1
	s_xor_b32 s19, exec_lo, s19
	s_cbranch_execz .LBB6_2196
; %bb.2180:
	v_cmp_ne_u16_e32 vcc_lo, 0x80, v1
	s_and_b32 s20, vcc_lo, exec_lo
	s_and_not1_saveexec_b32 s19, s19
	s_cbranch_execnz .LBB6_2197
.LBB6_2181:
	s_or_b32 exec_lo, exec_lo, s19
	v_mov_b32_e32 v10, 0
	s_and_saveexec_b32 s19, s20
	s_cbranch_execz .LBB6_2183
.LBB6_2182:
	v_and_b32_e32 v3, 0xffff, v1
	s_delay_alu instid0(VALU_DEP_1) | instskip(SKIP_1) | instid1(VALU_DEP_2)
	v_dual_lshlrev_b32 v1, 24, v1 :: v_dual_bitop2_b32 v5, 7, v3 bitop3:0x40
	v_bfe_u32 v10, v3, 3, 4
	v_and_b32_e32 v1, 0x80000000, v1
	s_delay_alu instid0(VALU_DEP_3) | instskip(NEXT) | instid1(VALU_DEP_3)
	v_clz_i32_u32_e32 v7, v5
	v_cmp_eq_u32_e32 vcc_lo, 0, v10
	s_delay_alu instid0(VALU_DEP_2) | instskip(NEXT) | instid1(VALU_DEP_1)
	v_min_u32_e32 v7, 32, v7
	v_subrev_nc_u32_e32 v9, 28, v7
	v_sub_nc_u32_e32 v7, 29, v7
	s_delay_alu instid0(VALU_DEP_2) | instskip(NEXT) | instid1(VALU_DEP_2)
	v_lshlrev_b32_e32 v3, v9, v3
	v_cndmask_b32_e32 v7, v10, v7, vcc_lo
	s_delay_alu instid0(VALU_DEP_2) | instskip(NEXT) | instid1(VALU_DEP_1)
	v_and_b32_e32 v3, 7, v3
	v_cndmask_b32_e32 v3, v5, v3, vcc_lo
	s_delay_alu instid0(VALU_DEP_3) | instskip(NEXT) | instid1(VALU_DEP_2)
	v_lshl_add_u32 v5, v7, 23, 0x3b800000
	v_lshlrev_b32_e32 v3, 20, v3
	s_delay_alu instid0(VALU_DEP_1) | instskip(NEXT) | instid1(VALU_DEP_1)
	v_or3_b32 v1, v1, v5, v3
	v_trunc_f32_e32 v1, v1
	s_delay_alu instid0(VALU_DEP_1) | instskip(NEXT) | instid1(VALU_DEP_1)
	v_mul_f32_e64 v3, 0x2f800000, |v1|
	v_floor_f32_e32 v3, v3
	s_delay_alu instid0(VALU_DEP_1) | instskip(SKIP_1) | instid1(VALU_DEP_2)
	v_fma_f32 v3, 0xcf800000, v3, |v1|
	v_ashrrev_i32_e32 v1, 31, v1
	v_cvt_u32_f32_e32 v3, v3
	s_delay_alu instid0(VALU_DEP_1) | instskip(NEXT) | instid1(VALU_DEP_1)
	v_xor_b32_e32 v3, v3, v1
	v_sub_nc_u32_e32 v10, v3, v1
.LBB6_2183:
	s_or_b32 exec_lo, exec_lo, s19
.LBB6_2184:
	s_mov_b32 s19, -1
.LBB6_2185:
	s_mov_b32 s20, 0
.LBB6_2186:
	s_delay_alu instid0(SALU_CYCLE_1)
	s_and_b32 vcc_lo, exec_lo, s20
	s_cbranch_vccz .LBB6_2217
; %bb.2187:
	s_cmp_gt_i32 s14, 22
	s_cbranch_scc0 .LBB6_2195
; %bb.2188:
	s_cmp_lt_i32 s14, 24
	s_cbranch_scc1 .LBB6_2198
; %bb.2189:
	s_cmp_gt_i32 s14, 24
	s_cbranch_scc0 .LBB6_2199
; %bb.2190:
	s_wait_loadcnt 0x0
	global_load_u8 v1, v[16:17], off
	s_mov_b32 s19, 0
	s_mov_b32 s18, exec_lo
	s_wait_loadcnt 0x0
	v_cmpx_lt_i16_e32 0x7f, v1
	s_xor_b32 s18, exec_lo, s18
	s_cbranch_execz .LBB6_2211
; %bb.2191:
	v_cmp_ne_u16_e32 vcc_lo, 0x80, v1
	s_and_b32 s19, vcc_lo, exec_lo
	s_and_not1_saveexec_b32 s18, s18
	s_cbranch_execnz .LBB6_2212
.LBB6_2192:
	s_or_b32 exec_lo, exec_lo, s18
	v_mov_b32_e32 v10, 0
	s_and_saveexec_b32 s18, s19
	s_cbranch_execz .LBB6_2194
.LBB6_2193:
	v_and_b32_e32 v3, 0xffff, v1
	s_delay_alu instid0(VALU_DEP_1) | instskip(SKIP_1) | instid1(VALU_DEP_2)
	v_dual_lshlrev_b32 v1, 24, v1 :: v_dual_bitop2_b32 v5, 3, v3 bitop3:0x40
	v_bfe_u32 v10, v3, 2, 5
	v_and_b32_e32 v1, 0x80000000, v1
	s_delay_alu instid0(VALU_DEP_3) | instskip(NEXT) | instid1(VALU_DEP_3)
	v_clz_i32_u32_e32 v7, v5
	v_cmp_eq_u32_e32 vcc_lo, 0, v10
	s_delay_alu instid0(VALU_DEP_2) | instskip(NEXT) | instid1(VALU_DEP_1)
	v_min_u32_e32 v7, 32, v7
	v_subrev_nc_u32_e32 v9, 29, v7
	v_sub_nc_u32_e32 v7, 30, v7
	s_delay_alu instid0(VALU_DEP_2) | instskip(NEXT) | instid1(VALU_DEP_2)
	v_lshlrev_b32_e32 v3, v9, v3
	v_cndmask_b32_e32 v7, v10, v7, vcc_lo
	s_delay_alu instid0(VALU_DEP_2) | instskip(NEXT) | instid1(VALU_DEP_1)
	v_and_b32_e32 v3, 3, v3
	v_cndmask_b32_e32 v3, v5, v3, vcc_lo
	s_delay_alu instid0(VALU_DEP_3) | instskip(NEXT) | instid1(VALU_DEP_2)
	v_lshl_add_u32 v5, v7, 23, 0x37800000
	v_lshlrev_b32_e32 v3, 21, v3
	s_delay_alu instid0(VALU_DEP_1) | instskip(NEXT) | instid1(VALU_DEP_1)
	v_or3_b32 v1, v1, v5, v3
	v_trunc_f32_e32 v1, v1
	s_delay_alu instid0(VALU_DEP_1) | instskip(NEXT) | instid1(VALU_DEP_1)
	v_mul_f32_e64 v3, 0x2f800000, |v1|
	v_floor_f32_e32 v3, v3
	s_delay_alu instid0(VALU_DEP_1) | instskip(SKIP_1) | instid1(VALU_DEP_2)
	v_fma_f32 v3, 0xcf800000, v3, |v1|
	v_ashrrev_i32_e32 v1, 31, v1
	v_cvt_u32_f32_e32 v3, v3
	s_delay_alu instid0(VALU_DEP_1) | instskip(NEXT) | instid1(VALU_DEP_1)
	v_xor_b32_e32 v3, v3, v1
	v_sub_nc_u32_e32 v10, v3, v1
.LBB6_2194:
	s_or_b32 exec_lo, exec_lo, s18
	s_mov_b32 s18, 0
	s_branch .LBB6_2200
.LBB6_2195:
	s_mov_b32 s18, -1
                                        ; implicit-def: $vgpr10
	s_branch .LBB6_2206
.LBB6_2196:
	s_and_not1_saveexec_b32 s19, s19
	s_cbranch_execz .LBB6_2181
.LBB6_2197:
	v_cmp_ne_u16_e32 vcc_lo, 0, v1
	s_and_not1_b32 s20, s20, exec_lo
	s_and_b32 s21, vcc_lo, exec_lo
	s_delay_alu instid0(SALU_CYCLE_1)
	s_or_b32 s20, s20, s21
	s_or_b32 exec_lo, exec_lo, s19
	v_mov_b32_e32 v10, 0
	s_and_saveexec_b32 s19, s20
	s_cbranch_execnz .LBB6_2182
	s_branch .LBB6_2183
.LBB6_2198:
	s_mov_b32 s18, -1
                                        ; implicit-def: $vgpr10
	s_branch .LBB6_2203
.LBB6_2199:
	s_mov_b32 s18, -1
                                        ; implicit-def: $vgpr10
.LBB6_2200:
	s_delay_alu instid0(SALU_CYCLE_1)
	s_and_b32 vcc_lo, exec_lo, s18
	s_cbranch_vccz .LBB6_2202
; %bb.2201:
	s_wait_loadcnt 0x0
	global_load_u8 v1, v[16:17], off
	s_wait_loadcnt 0x0
	v_lshlrev_b32_e32 v1, 24, v1
	s_delay_alu instid0(VALU_DEP_1) | instskip(NEXT) | instid1(VALU_DEP_1)
	v_and_b32_e32 v3, 0x7f000000, v1
	v_clz_i32_u32_e32 v5, v3
	v_add_nc_u32_e32 v9, 0x1000000, v3
	v_cmp_ne_u32_e32 vcc_lo, 0, v3
	s_delay_alu instid0(VALU_DEP_3) | instskip(NEXT) | instid1(VALU_DEP_1)
	v_min_u32_e32 v5, 32, v5
	v_sub_nc_u32_e64 v5, v5, 4 clamp
	s_delay_alu instid0(VALU_DEP_1) | instskip(NEXT) | instid1(VALU_DEP_1)
	v_dual_lshlrev_b32 v7, v5, v3 :: v_dual_lshlrev_b32 v5, 23, v5
	v_lshrrev_b32_e32 v7, 4, v7
	s_delay_alu instid0(VALU_DEP_1) | instskip(SKIP_1) | instid1(VALU_DEP_2)
	v_sub_nc_u32_e32 v5, v7, v5
	v_ashrrev_i32_e32 v7, 8, v9
	v_add_nc_u32_e32 v5, 0x3c000000, v5
	s_delay_alu instid0(VALU_DEP_1) | instskip(NEXT) | instid1(VALU_DEP_1)
	v_and_or_b32 v5, 0x7f800000, v7, v5
	v_cndmask_b32_e32 v3, 0, v5, vcc_lo
	s_delay_alu instid0(VALU_DEP_1) | instskip(NEXT) | instid1(VALU_DEP_1)
	v_and_or_b32 v1, 0x80000000, v1, v3
	v_trunc_f32_e32 v1, v1
	s_delay_alu instid0(VALU_DEP_1) | instskip(NEXT) | instid1(VALU_DEP_1)
	v_mul_f32_e64 v3, 0x2f800000, |v1|
	v_floor_f32_e32 v3, v3
	s_delay_alu instid0(VALU_DEP_1) | instskip(SKIP_1) | instid1(VALU_DEP_2)
	v_fma_f32 v3, 0xcf800000, v3, |v1|
	v_ashrrev_i32_e32 v1, 31, v1
	v_cvt_u32_f32_e32 v3, v3
	s_delay_alu instid0(VALU_DEP_1) | instskip(NEXT) | instid1(VALU_DEP_1)
	v_xor_b32_e32 v3, v3, v1
	v_sub_nc_u32_e32 v10, v3, v1
.LBB6_2202:
	s_mov_b32 s18, 0
.LBB6_2203:
	s_delay_alu instid0(SALU_CYCLE_1)
	s_and_not1_b32 vcc_lo, exec_lo, s18
	s_cbranch_vccnz .LBB6_2205
; %bb.2204:
	s_wait_loadcnt 0x0
	global_load_u8 v1, v[16:17], off
	s_wait_loadcnt 0x0
	v_lshlrev_b32_e32 v3, 25, v1
	v_lshlrev_b16 v1, 8, v1
	s_delay_alu instid0(VALU_DEP_1) | instskip(SKIP_1) | instid1(VALU_DEP_2)
	v_and_or_b32 v7, 0x7f00, v1, 0.5
	v_bfe_i32 v1, v1, 0, 16
	v_add_f32_e32 v7, -0.5, v7
	v_lshrrev_b32_e32 v5, 4, v3
	v_cmp_gt_u32_e32 vcc_lo, 0x8000000, v3
	s_delay_alu instid0(VALU_DEP_2) | instskip(NEXT) | instid1(VALU_DEP_1)
	v_or_b32_e32 v5, 0x70000000, v5
	v_mul_f32_e32 v5, 0x7800000, v5
	s_delay_alu instid0(VALU_DEP_1) | instskip(NEXT) | instid1(VALU_DEP_1)
	v_cndmask_b32_e32 v3, v5, v7, vcc_lo
	v_and_or_b32 v1, 0x80000000, v1, v3
	s_delay_alu instid0(VALU_DEP_1) | instskip(NEXT) | instid1(VALU_DEP_1)
	v_trunc_f32_e32 v1, v1
	v_mul_f32_e64 v3, 0x2f800000, |v1|
	s_delay_alu instid0(VALU_DEP_1) | instskip(NEXT) | instid1(VALU_DEP_1)
	v_floor_f32_e32 v3, v3
	v_fma_f32 v3, 0xcf800000, v3, |v1|
	v_ashrrev_i32_e32 v1, 31, v1
	s_delay_alu instid0(VALU_DEP_2) | instskip(NEXT) | instid1(VALU_DEP_1)
	v_cvt_u32_f32_e32 v3, v3
	v_xor_b32_e32 v3, v3, v1
	s_delay_alu instid0(VALU_DEP_1)
	v_sub_nc_u32_e32 v10, v3, v1
.LBB6_2205:
	s_mov_b32 s18, 0
	s_mov_b32 s19, -1
.LBB6_2206:
	s_and_not1_b32 vcc_lo, exec_lo, s18
	s_mov_b32 s18, 0
	s_cbranch_vccnz .LBB6_2217
; %bb.2207:
	s_cmp_gt_i32 s14, 14
	s_cbranch_scc0 .LBB6_2210
; %bb.2208:
	s_cmp_eq_u32 s14, 15
	s_cbranch_scc0 .LBB6_2213
; %bb.2209:
	s_wait_loadcnt 0x0
	global_load_u16 v1, v[16:17], off
	s_mov_b32 s17, 0
	s_mov_b32 s19, -1
	s_wait_loadcnt 0x0
	v_lshlrev_b32_e32 v1, 16, v1
	s_delay_alu instid0(VALU_DEP_1) | instskip(NEXT) | instid1(VALU_DEP_1)
	v_trunc_f32_e32 v1, v1
	v_mul_f32_e64 v3, 0x2f800000, |v1|
	s_delay_alu instid0(VALU_DEP_1) | instskip(NEXT) | instid1(VALU_DEP_1)
	v_floor_f32_e32 v3, v3
	v_fma_f32 v3, 0xcf800000, v3, |v1|
	v_ashrrev_i32_e32 v1, 31, v1
	s_delay_alu instid0(VALU_DEP_2) | instskip(NEXT) | instid1(VALU_DEP_1)
	v_cvt_u32_f32_e32 v3, v3
	v_xor_b32_e32 v3, v3, v1
	s_delay_alu instid0(VALU_DEP_1)
	v_sub_nc_u32_e32 v10, v3, v1
	s_branch .LBB6_2215
.LBB6_2210:
	s_mov_b32 s18, -1
	s_branch .LBB6_2214
.LBB6_2211:
	s_and_not1_saveexec_b32 s18, s18
	s_cbranch_execz .LBB6_2192
.LBB6_2212:
	v_cmp_ne_u16_e32 vcc_lo, 0, v1
	s_and_not1_b32 s19, s19, exec_lo
	s_and_b32 s20, vcc_lo, exec_lo
	s_delay_alu instid0(SALU_CYCLE_1)
	s_or_b32 s19, s19, s20
	s_or_b32 exec_lo, exec_lo, s18
	v_mov_b32_e32 v10, 0
	s_and_saveexec_b32 s18, s19
	s_cbranch_execnz .LBB6_2193
	s_branch .LBB6_2194
.LBB6_2213:
	s_mov_b32 s17, -1
.LBB6_2214:
                                        ; implicit-def: $vgpr10
.LBB6_2215:
	s_and_b32 vcc_lo, exec_lo, s18
	s_mov_b32 s18, 0
	s_cbranch_vccz .LBB6_2217
; %bb.2216:
	s_cmp_lg_u32 s14, 11
	s_mov_b32 s18, -1
	s_cselect_b32 s17, -1, 0
.LBB6_2217:
	s_delay_alu instid0(SALU_CYCLE_1)
	s_and_b32 vcc_lo, exec_lo, s17
	s_cbranch_vccnz .LBB6_2282
; %bb.2218:
	s_and_not1_b32 vcc_lo, exec_lo, s18
	s_cbranch_vccnz .LBB6_2220
.LBB6_2219:
	s_wait_loadcnt 0x0
	global_load_u8 v1, v[16:17], off
	s_mov_b32 s19, -1
	s_wait_loadcnt 0x0
	v_cmp_ne_u16_e32 vcc_lo, 0, v1
	v_cndmask_b32_e64 v10, 0, 1, vcc_lo
.LBB6_2220:
	s_mov_b32 s14, 0
.LBB6_2221:
	s_delay_alu instid0(SALU_CYCLE_1)
	s_and_b32 vcc_lo, exec_lo, s14
	s_cbranch_vccz .LBB6_2270
; %bb.2222:
	s_and_b32 s14, 0xffff, s1
	s_delay_alu instid0(SALU_CYCLE_1)
	s_cmp_lt_i32 s14, 5
	s_cbranch_scc1 .LBB6_2227
; %bb.2223:
	s_cmp_lt_i32 s14, 8
	s_cbranch_scc1 .LBB6_2228
; %bb.2224:
	;; [unrolled: 3-line block ×3, first 2 shown]
	s_cmp_gt_i32 s14, 9
	s_cbranch_scc0 .LBB6_2230
; %bb.2226:
	s_wait_loadcnt 0x0
	global_load_b64 v[10:11], v[16:17], off
	s_mov_b32 s17, 0
	s_wait_loadcnt 0x0
	v_trunc_f64_e32 v[10:11], v[10:11]
	s_delay_alu instid0(VALU_DEP_1) | instskip(NEXT) | instid1(VALU_DEP_1)
	v_ldexp_f64 v[20:21], v[10:11], 0xffffffe0
	v_floor_f64_e32 v[20:21], v[20:21]
	s_delay_alu instid0(VALU_DEP_1) | instskip(NEXT) | instid1(VALU_DEP_1)
	v_fmamk_f64 v[10:11], v[20:21], 0xc1f00000, v[10:11]
	v_cvt_u32_f64_e32 v10, v[10:11]
	s_branch .LBB6_2231
.LBB6_2227:
	s_mov_b32 s17, -1
                                        ; implicit-def: $vgpr10
	s_branch .LBB6_2249
.LBB6_2228:
	s_mov_b32 s17, -1
                                        ; implicit-def: $vgpr10
	s_branch .LBB6_2237
.LBB6_2229:
	s_mov_b32 s17, -1
                                        ; implicit-def: $vgpr10
	s_branch .LBB6_2234
.LBB6_2230:
	s_mov_b32 s17, -1
                                        ; implicit-def: $vgpr10
.LBB6_2231:
	s_delay_alu instid0(SALU_CYCLE_1)
	s_and_not1_b32 vcc_lo, exec_lo, s17
	s_cbranch_vccnz .LBB6_2233
; %bb.2232:
	s_wait_loadcnt 0x0
	global_load_b32 v1, v[16:17], off
	s_wait_loadcnt 0x0
	v_trunc_f32_e32 v1, v1
	s_delay_alu instid0(VALU_DEP_1) | instskip(NEXT) | instid1(VALU_DEP_1)
	v_mul_f32_e64 v3, 0x2f800000, |v1|
	v_floor_f32_e32 v3, v3
	s_delay_alu instid0(VALU_DEP_1) | instskip(SKIP_1) | instid1(VALU_DEP_2)
	v_fma_f32 v3, 0xcf800000, v3, |v1|
	v_ashrrev_i32_e32 v1, 31, v1
	v_cvt_u32_f32_e32 v3, v3
	s_delay_alu instid0(VALU_DEP_1) | instskip(NEXT) | instid1(VALU_DEP_1)
	v_xor_b32_e32 v3, v3, v1
	v_sub_nc_u32_e32 v10, v3, v1
.LBB6_2233:
	s_mov_b32 s17, 0
.LBB6_2234:
	s_delay_alu instid0(SALU_CYCLE_1)
	s_and_not1_b32 vcc_lo, exec_lo, s17
	s_cbranch_vccnz .LBB6_2236
; %bb.2235:
	s_wait_loadcnt 0x0
	global_load_b32 v1, v[16:17], off
	s_wait_loadcnt 0x0
	v_cvt_f32_f16_e32 v1, v1
	s_delay_alu instid0(VALU_DEP_1)
	v_cvt_i32_f32_e32 v10, v1
.LBB6_2236:
	s_mov_b32 s17, 0
.LBB6_2237:
	s_delay_alu instid0(SALU_CYCLE_1)
	s_and_not1_b32 vcc_lo, exec_lo, s17
	s_cbranch_vccnz .LBB6_2248
; %bb.2238:
	s_cmp_lt_i32 s14, 6
	s_cbranch_scc1 .LBB6_2241
; %bb.2239:
	s_cmp_gt_i32 s14, 6
	s_cbranch_scc0 .LBB6_2242
; %bb.2240:
	s_wait_loadcnt 0x0
	global_load_b64 v[10:11], v[16:17], off
	s_mov_b32 s17, 0
	s_wait_loadcnt 0x0
	v_trunc_f64_e32 v[10:11], v[10:11]
	s_delay_alu instid0(VALU_DEP_1) | instskip(NEXT) | instid1(VALU_DEP_1)
	v_ldexp_f64 v[20:21], v[10:11], 0xffffffe0
	v_floor_f64_e32 v[20:21], v[20:21]
	s_delay_alu instid0(VALU_DEP_1) | instskip(NEXT) | instid1(VALU_DEP_1)
	v_fmamk_f64 v[10:11], v[20:21], 0xc1f00000, v[10:11]
	v_cvt_u32_f64_e32 v10, v[10:11]
	s_branch .LBB6_2243
.LBB6_2241:
	s_mov_b32 s17, -1
                                        ; implicit-def: $vgpr10
	s_branch .LBB6_2246
.LBB6_2242:
	s_mov_b32 s17, -1
                                        ; implicit-def: $vgpr10
.LBB6_2243:
	s_delay_alu instid0(SALU_CYCLE_1)
	s_and_not1_b32 vcc_lo, exec_lo, s17
	s_cbranch_vccnz .LBB6_2245
; %bb.2244:
	s_wait_loadcnt 0x0
	global_load_b32 v1, v[16:17], off
	s_wait_loadcnt 0x0
	v_trunc_f32_e32 v1, v1
	s_delay_alu instid0(VALU_DEP_1) | instskip(NEXT) | instid1(VALU_DEP_1)
	v_mul_f32_e64 v3, 0x2f800000, |v1|
	v_floor_f32_e32 v3, v3
	s_delay_alu instid0(VALU_DEP_1) | instskip(SKIP_1) | instid1(VALU_DEP_2)
	v_fma_f32 v3, 0xcf800000, v3, |v1|
	v_ashrrev_i32_e32 v1, 31, v1
	v_cvt_u32_f32_e32 v3, v3
	s_delay_alu instid0(VALU_DEP_1) | instskip(NEXT) | instid1(VALU_DEP_1)
	v_xor_b32_e32 v3, v3, v1
	v_sub_nc_u32_e32 v10, v3, v1
.LBB6_2245:
	s_mov_b32 s17, 0
.LBB6_2246:
	s_delay_alu instid0(SALU_CYCLE_1)
	s_and_not1_b32 vcc_lo, exec_lo, s17
	s_cbranch_vccnz .LBB6_2248
; %bb.2247:
	s_wait_loadcnt 0x0
	global_load_u16 v1, v[16:17], off
	s_wait_loadcnt 0x0
	v_cvt_f32_f16_e32 v1, v1
	s_delay_alu instid0(VALU_DEP_1)
	v_cvt_i32_f32_e32 v10, v1
.LBB6_2248:
	s_mov_b32 s17, 0
.LBB6_2249:
	s_delay_alu instid0(SALU_CYCLE_1)
	s_and_not1_b32 vcc_lo, exec_lo, s17
	s_cbranch_vccnz .LBB6_2269
; %bb.2250:
	s_cmp_lt_i32 s14, 2
	s_cbranch_scc1 .LBB6_2254
; %bb.2251:
	s_cmp_lt_i32 s14, 3
	s_cbranch_scc1 .LBB6_2255
; %bb.2252:
	s_cmp_gt_i32 s14, 3
	s_cbranch_scc0 .LBB6_2256
; %bb.2253:
	s_wait_loadcnt 0x0
	global_load_b64 v[10:11], v[16:17], off
	s_mov_b32 s17, 0
	s_branch .LBB6_2257
.LBB6_2254:
	s_mov_b32 s17, -1
                                        ; implicit-def: $vgpr10
	s_branch .LBB6_2263
.LBB6_2255:
	s_mov_b32 s17, -1
                                        ; implicit-def: $vgpr10
	s_branch .LBB6_2260
.LBB6_2256:
	s_mov_b32 s17, -1
                                        ; implicit-def: $vgpr10
.LBB6_2257:
	s_delay_alu instid0(SALU_CYCLE_1)
	s_and_not1_b32 vcc_lo, exec_lo, s17
	s_cbranch_vccnz .LBB6_2259
; %bb.2258:
	s_wait_loadcnt 0x0
	global_load_b32 v10, v[16:17], off
.LBB6_2259:
	s_mov_b32 s17, 0
.LBB6_2260:
	s_delay_alu instid0(SALU_CYCLE_1)
	s_and_not1_b32 vcc_lo, exec_lo, s17
	s_cbranch_vccnz .LBB6_2262
; %bb.2261:
	s_wait_loadcnt 0x0
	global_load_u16 v10, v[16:17], off
.LBB6_2262:
	s_mov_b32 s17, 0
.LBB6_2263:
	s_delay_alu instid0(SALU_CYCLE_1)
	s_and_not1_b32 vcc_lo, exec_lo, s17
	s_cbranch_vccnz .LBB6_2269
; %bb.2264:
	s_cmp_gt_i32 s14, 0
	s_mov_b32 s14, 0
	s_cbranch_scc0 .LBB6_2266
; %bb.2265:
	s_wait_loadcnt 0x0
	global_load_u8 v10, v[16:17], off
	s_branch .LBB6_2267
.LBB6_2266:
	s_mov_b32 s14, -1
                                        ; implicit-def: $vgpr10
.LBB6_2267:
	s_delay_alu instid0(SALU_CYCLE_1)
	s_and_not1_b32 vcc_lo, exec_lo, s14
	s_cbranch_vccnz .LBB6_2269
; %bb.2268:
	s_wait_loadcnt 0x0
	global_load_u8 v10, v[16:17], off
.LBB6_2269:
	s_mov_b32 s19, -1
.LBB6_2270:
	s_delay_alu instid0(SALU_CYCLE_1)
	s_and_not1_b32 vcc_lo, exec_lo, s19
	s_cbranch_vccnz .LBB6_2957
; %bb.2271:
	v_add_nc_u32_e32 v12, s9, v12
	s_cmp_lt_i32 s0, 11
	s_delay_alu instid0(VALU_DEP_1) | instskip(SKIP_1) | instid1(VALU_DEP_1)
	v_ashrrev_i32_e32 v13, 31, v12
	s_wait_xcnt 0x0
	v_add_nc_u64_e32 v[16:17], s[6:7], v[12:13]
	s_cbranch_scc1 .LBB6_2278
; %bb.2272:
	s_and_b32 s6, 0xffff, s0
	s_mov_b32 s9, 0
	s_cmp_gt_i32 s6, 25
	s_cbranch_scc0 .LBB6_2279
; %bb.2273:
	s_cmp_gt_i32 s6, 28
	s_cbranch_scc0 .LBB6_2280
; %bb.2274:
	;; [unrolled: 3-line block ×4, first 2 shown]
	s_cmp_eq_u32 s6, 46
	s_mov_b32 s17, 0
	s_cbranch_scc0 .LBB6_2284
; %bb.2277:
	s_wait_loadcnt 0x0
	global_load_b32 v1, v[16:17], off
	s_mov_b32 s7, 0
	s_mov_b32 s14, -1
	s_wait_loadcnt 0x0
	v_lshlrev_b32_e32 v1, 16, v1
	s_delay_alu instid0(VALU_DEP_1) | instskip(NEXT) | instid1(VALU_DEP_1)
	v_trunc_f32_e32 v1, v1
	v_mul_f32_e64 v3, 0x2f800000, |v1|
	s_delay_alu instid0(VALU_DEP_1) | instskip(NEXT) | instid1(VALU_DEP_1)
	v_floor_f32_e32 v3, v3
	v_fma_f32 v3, 0xcf800000, v3, |v1|
	v_ashrrev_i32_e32 v1, 31, v1
	s_delay_alu instid0(VALU_DEP_2) | instskip(NEXT) | instid1(VALU_DEP_1)
	v_cvt_u32_f32_e32 v3, v3
	v_xor_b32_e32 v3, v3, v1
	s_delay_alu instid0(VALU_DEP_1)
	v_sub_nc_u32_e32 v12, v3, v1
	s_branch .LBB6_2286
.LBB6_2278:
	s_mov_b32 s6, -1
	s_mov_b32 s14, 0
                                        ; implicit-def: $vgpr12
	s_branch .LBB6_2348
.LBB6_2279:
	s_mov_b32 s17, -1
	s_mov_b32 s14, 0
	s_mov_b32 s7, 0
                                        ; implicit-def: $vgpr12
	s_branch .LBB6_2313
.LBB6_2280:
	s_mov_b32 s17, -1
	s_mov_b32 s14, 0
	s_mov_b32 s7, 0
                                        ; implicit-def: $vgpr12
	s_branch .LBB6_2296
.LBB6_2281:
	s_mov_b32 s17, -1
	s_mov_b32 s14, 0
	s_mov_b32 s7, 0
                                        ; implicit-def: $vgpr12
	s_branch .LBB6_2291
.LBB6_2282:
	s_or_b32 s13, s13, exec_lo
	s_trap 2
	s_cbranch_execz .LBB6_2219
	s_branch .LBB6_2220
.LBB6_2283:
	s_mov_b32 s17, -1
	s_mov_b32 s14, 0
	s_mov_b32 s7, 0
	s_branch .LBB6_2285
.LBB6_2284:
	s_mov_b32 s7, -1
	s_mov_b32 s14, 0
.LBB6_2285:
                                        ; implicit-def: $vgpr12
.LBB6_2286:
	s_and_b32 vcc_lo, exec_lo, s17
	s_cbranch_vccz .LBB6_2290
; %bb.2287:
	s_cmp_eq_u32 s6, 44
	s_cbranch_scc0 .LBB6_2289
; %bb.2288:
	s_wait_loadcnt 0x0
	global_load_u8 v1, v[16:17], off
	s_mov_b32 s7, 0
	s_mov_b32 s14, -1
	s_wait_loadcnt 0x0
	v_lshlrev_b32_e32 v3, 23, v1
	v_cmp_ne_u32_e32 vcc_lo, 0, v1
	s_delay_alu instid0(VALU_DEP_2) | instskip(NEXT) | instid1(VALU_DEP_1)
	v_trunc_f32_e32 v3, v3
	v_mul_f32_e64 v5, 0x2f800000, |v3|
	s_delay_alu instid0(VALU_DEP_1) | instskip(NEXT) | instid1(VALU_DEP_1)
	v_floor_f32_e32 v5, v5
	v_fma_f32 v5, 0xcf800000, v5, |v3|
	v_ashrrev_i32_e32 v3, 31, v3
	s_delay_alu instid0(VALU_DEP_2) | instskip(NEXT) | instid1(VALU_DEP_1)
	v_cvt_u32_f32_e32 v5, v5
	v_xor_b32_e32 v5, v5, v3
	s_delay_alu instid0(VALU_DEP_1) | instskip(NEXT) | instid1(VALU_DEP_1)
	v_sub_nc_u32_e32 v3, v5, v3
	v_cndmask_b32_e32 v12, 0, v3, vcc_lo
	s_branch .LBB6_2290
.LBB6_2289:
	s_mov_b32 s7, -1
                                        ; implicit-def: $vgpr12
.LBB6_2290:
	s_mov_b32 s17, 0
.LBB6_2291:
	s_delay_alu instid0(SALU_CYCLE_1)
	s_and_b32 vcc_lo, exec_lo, s17
	s_cbranch_vccz .LBB6_2295
; %bb.2292:
	s_cmp_eq_u32 s6, 29
	s_cbranch_scc0 .LBB6_2294
; %bb.2293:
	global_load_b64 v[12:13], v[16:17], off
	s_mov_b32 s7, 0
	s_mov_b32 s14, -1
	s_branch .LBB6_2295
.LBB6_2294:
	s_mov_b32 s7, -1
                                        ; implicit-def: $vgpr12
.LBB6_2295:
	s_mov_b32 s17, 0
.LBB6_2296:
	s_delay_alu instid0(SALU_CYCLE_1)
	s_and_b32 vcc_lo, exec_lo, s17
	s_cbranch_vccz .LBB6_2312
; %bb.2297:
	s_cmp_lt_i32 s6, 27
	s_cbranch_scc1 .LBB6_2300
; %bb.2298:
	s_cmp_gt_i32 s6, 27
	s_cbranch_scc0 .LBB6_2301
; %bb.2299:
	s_wait_loadcnt 0x0
	global_load_b32 v12, v[16:17], off
	s_mov_b32 s14, 0
	s_branch .LBB6_2302
.LBB6_2300:
	s_mov_b32 s14, -1
                                        ; implicit-def: $vgpr12
	s_branch .LBB6_2305
.LBB6_2301:
	s_mov_b32 s14, -1
                                        ; implicit-def: $vgpr12
.LBB6_2302:
	s_delay_alu instid0(SALU_CYCLE_1)
	s_and_not1_b32 vcc_lo, exec_lo, s14
	s_cbranch_vccnz .LBB6_2304
; %bb.2303:
	s_wait_loadcnt 0x0
	global_load_u16 v12, v[16:17], off
.LBB6_2304:
	s_mov_b32 s14, 0
.LBB6_2305:
	s_delay_alu instid0(SALU_CYCLE_1)
	s_and_not1_b32 vcc_lo, exec_lo, s14
	s_cbranch_vccnz .LBB6_2311
; %bb.2306:
	s_wait_loadcnt 0x0
	global_load_u8 v1, v[16:17], off
	s_mov_b32 s17, 0
	s_mov_b32 s14, exec_lo
	s_wait_loadcnt 0x0
	v_cmpx_lt_i16_e32 0x7f, v1
	s_xor_b32 s14, exec_lo, s14
	s_cbranch_execz .LBB6_2323
; %bb.2307:
	v_cmp_ne_u16_e32 vcc_lo, 0x80, v1
	s_and_b32 s17, vcc_lo, exec_lo
	s_and_not1_saveexec_b32 s14, s14
	s_cbranch_execnz .LBB6_2324
.LBB6_2308:
	s_or_b32 exec_lo, exec_lo, s14
	v_mov_b32_e32 v12, 0
	s_and_saveexec_b32 s14, s17
	s_cbranch_execz .LBB6_2310
.LBB6_2309:
	v_and_b32_e32 v3, 0xffff, v1
	s_delay_alu instid0(VALU_DEP_1) | instskip(SKIP_1) | instid1(VALU_DEP_2)
	v_dual_lshlrev_b32 v1, 24, v1 :: v_dual_bitop2_b32 v5, 7, v3 bitop3:0x40
	v_bfe_u32 v11, v3, 3, 4
	v_and_b32_e32 v1, 0x80000000, v1
	s_delay_alu instid0(VALU_DEP_3) | instskip(NEXT) | instid1(VALU_DEP_3)
	v_clz_i32_u32_e32 v7, v5
	v_cmp_eq_u32_e32 vcc_lo, 0, v11
	s_delay_alu instid0(VALU_DEP_2) | instskip(NEXT) | instid1(VALU_DEP_1)
	v_min_u32_e32 v7, 32, v7
	v_subrev_nc_u32_e32 v9, 28, v7
	v_sub_nc_u32_e32 v7, 29, v7
	s_delay_alu instid0(VALU_DEP_2) | instskip(NEXT) | instid1(VALU_DEP_2)
	v_lshlrev_b32_e32 v3, v9, v3
	v_cndmask_b32_e32 v7, v11, v7, vcc_lo
	s_delay_alu instid0(VALU_DEP_2) | instskip(NEXT) | instid1(VALU_DEP_1)
	v_and_b32_e32 v3, 7, v3
	v_cndmask_b32_e32 v3, v5, v3, vcc_lo
	s_delay_alu instid0(VALU_DEP_3) | instskip(NEXT) | instid1(VALU_DEP_2)
	v_lshl_add_u32 v5, v7, 23, 0x3b800000
	v_lshlrev_b32_e32 v3, 20, v3
	s_delay_alu instid0(VALU_DEP_1) | instskip(NEXT) | instid1(VALU_DEP_1)
	v_or3_b32 v1, v1, v5, v3
	v_trunc_f32_e32 v1, v1
	s_delay_alu instid0(VALU_DEP_1) | instskip(NEXT) | instid1(VALU_DEP_1)
	v_mul_f32_e64 v3, 0x2f800000, |v1|
	v_floor_f32_e32 v3, v3
	s_delay_alu instid0(VALU_DEP_1) | instskip(SKIP_1) | instid1(VALU_DEP_2)
	v_fma_f32 v3, 0xcf800000, v3, |v1|
	v_ashrrev_i32_e32 v1, 31, v1
	v_cvt_u32_f32_e32 v3, v3
	s_delay_alu instid0(VALU_DEP_1) | instskip(NEXT) | instid1(VALU_DEP_1)
	v_xor_b32_e32 v3, v3, v1
	v_sub_nc_u32_e32 v12, v3, v1
.LBB6_2310:
	s_or_b32 exec_lo, exec_lo, s14
.LBB6_2311:
	s_mov_b32 s14, -1
.LBB6_2312:
	s_mov_b32 s17, 0
.LBB6_2313:
	s_delay_alu instid0(SALU_CYCLE_1)
	s_and_b32 vcc_lo, exec_lo, s17
	s_cbranch_vccz .LBB6_2344
; %bb.2314:
	s_cmp_gt_i32 s6, 22
	s_cbranch_scc0 .LBB6_2322
; %bb.2315:
	s_cmp_lt_i32 s6, 24
	s_cbranch_scc1 .LBB6_2325
; %bb.2316:
	s_cmp_gt_i32 s6, 24
	s_cbranch_scc0 .LBB6_2326
; %bb.2317:
	s_wait_loadcnt 0x0
	global_load_u8 v1, v[16:17], off
	s_mov_b32 s14, 0
	s_mov_b32 s9, exec_lo
	s_wait_loadcnt 0x0
	v_cmpx_lt_i16_e32 0x7f, v1
	s_xor_b32 s9, exec_lo, s9
	s_cbranch_execz .LBB6_2338
; %bb.2318:
	v_cmp_ne_u16_e32 vcc_lo, 0x80, v1
	s_and_b32 s14, vcc_lo, exec_lo
	s_and_not1_saveexec_b32 s9, s9
	s_cbranch_execnz .LBB6_2339
.LBB6_2319:
	s_or_b32 exec_lo, exec_lo, s9
	v_mov_b32_e32 v12, 0
	s_and_saveexec_b32 s9, s14
	s_cbranch_execz .LBB6_2321
.LBB6_2320:
	v_and_b32_e32 v3, 0xffff, v1
	s_delay_alu instid0(VALU_DEP_1) | instskip(SKIP_1) | instid1(VALU_DEP_2)
	v_dual_lshlrev_b32 v1, 24, v1 :: v_dual_bitop2_b32 v5, 3, v3 bitop3:0x40
	v_bfe_u32 v11, v3, 2, 5
	v_and_b32_e32 v1, 0x80000000, v1
	s_delay_alu instid0(VALU_DEP_3) | instskip(NEXT) | instid1(VALU_DEP_3)
	v_clz_i32_u32_e32 v7, v5
	v_cmp_eq_u32_e32 vcc_lo, 0, v11
	s_delay_alu instid0(VALU_DEP_2) | instskip(NEXT) | instid1(VALU_DEP_1)
	v_min_u32_e32 v7, 32, v7
	v_subrev_nc_u32_e32 v9, 29, v7
	v_sub_nc_u32_e32 v7, 30, v7
	s_delay_alu instid0(VALU_DEP_2) | instskip(NEXT) | instid1(VALU_DEP_2)
	v_lshlrev_b32_e32 v3, v9, v3
	v_cndmask_b32_e32 v7, v11, v7, vcc_lo
	s_delay_alu instid0(VALU_DEP_2) | instskip(NEXT) | instid1(VALU_DEP_1)
	v_and_b32_e32 v3, 3, v3
	v_cndmask_b32_e32 v3, v5, v3, vcc_lo
	s_delay_alu instid0(VALU_DEP_3) | instskip(NEXT) | instid1(VALU_DEP_2)
	v_lshl_add_u32 v5, v7, 23, 0x37800000
	v_lshlrev_b32_e32 v3, 21, v3
	s_delay_alu instid0(VALU_DEP_1) | instskip(NEXT) | instid1(VALU_DEP_1)
	v_or3_b32 v1, v1, v5, v3
	v_trunc_f32_e32 v1, v1
	s_delay_alu instid0(VALU_DEP_1) | instskip(NEXT) | instid1(VALU_DEP_1)
	v_mul_f32_e64 v3, 0x2f800000, |v1|
	v_floor_f32_e32 v3, v3
	s_delay_alu instid0(VALU_DEP_1) | instskip(SKIP_1) | instid1(VALU_DEP_2)
	v_fma_f32 v3, 0xcf800000, v3, |v1|
	v_ashrrev_i32_e32 v1, 31, v1
	v_cvt_u32_f32_e32 v3, v3
	s_delay_alu instid0(VALU_DEP_1) | instskip(NEXT) | instid1(VALU_DEP_1)
	v_xor_b32_e32 v3, v3, v1
	v_sub_nc_u32_e32 v12, v3, v1
.LBB6_2321:
	s_or_b32 exec_lo, exec_lo, s9
	s_mov_b32 s9, 0
	s_branch .LBB6_2327
.LBB6_2322:
	s_mov_b32 s9, -1
                                        ; implicit-def: $vgpr12
	s_branch .LBB6_2333
.LBB6_2323:
	s_and_not1_saveexec_b32 s14, s14
	s_cbranch_execz .LBB6_2308
.LBB6_2324:
	v_cmp_ne_u16_e32 vcc_lo, 0, v1
	s_and_not1_b32 s17, s17, exec_lo
	s_and_b32 s18, vcc_lo, exec_lo
	s_delay_alu instid0(SALU_CYCLE_1)
	s_or_b32 s17, s17, s18
	s_or_b32 exec_lo, exec_lo, s14
	v_mov_b32_e32 v12, 0
	s_and_saveexec_b32 s14, s17
	s_cbranch_execnz .LBB6_2309
	s_branch .LBB6_2310
.LBB6_2325:
	s_mov_b32 s9, -1
                                        ; implicit-def: $vgpr12
	s_branch .LBB6_2330
.LBB6_2326:
	s_mov_b32 s9, -1
                                        ; implicit-def: $vgpr12
.LBB6_2327:
	s_delay_alu instid0(SALU_CYCLE_1)
	s_and_b32 vcc_lo, exec_lo, s9
	s_cbranch_vccz .LBB6_2329
; %bb.2328:
	s_wait_loadcnt 0x0
	global_load_u8 v1, v[16:17], off
	s_wait_loadcnt 0x0
	v_lshlrev_b32_e32 v1, 24, v1
	s_delay_alu instid0(VALU_DEP_1) | instskip(NEXT) | instid1(VALU_DEP_1)
	v_and_b32_e32 v3, 0x7f000000, v1
	v_clz_i32_u32_e32 v5, v3
	v_add_nc_u32_e32 v9, 0x1000000, v3
	v_cmp_ne_u32_e32 vcc_lo, 0, v3
	s_delay_alu instid0(VALU_DEP_3) | instskip(NEXT) | instid1(VALU_DEP_1)
	v_min_u32_e32 v5, 32, v5
	v_sub_nc_u32_e64 v5, v5, 4 clamp
	s_delay_alu instid0(VALU_DEP_1) | instskip(NEXT) | instid1(VALU_DEP_1)
	v_dual_lshlrev_b32 v7, v5, v3 :: v_dual_lshlrev_b32 v5, 23, v5
	v_lshrrev_b32_e32 v7, 4, v7
	s_delay_alu instid0(VALU_DEP_1) | instskip(SKIP_1) | instid1(VALU_DEP_2)
	v_sub_nc_u32_e32 v5, v7, v5
	v_ashrrev_i32_e32 v7, 8, v9
	v_add_nc_u32_e32 v5, 0x3c000000, v5
	s_delay_alu instid0(VALU_DEP_1) | instskip(NEXT) | instid1(VALU_DEP_1)
	v_and_or_b32 v5, 0x7f800000, v7, v5
	v_cndmask_b32_e32 v3, 0, v5, vcc_lo
	s_delay_alu instid0(VALU_DEP_1) | instskip(NEXT) | instid1(VALU_DEP_1)
	v_and_or_b32 v1, 0x80000000, v1, v3
	v_trunc_f32_e32 v1, v1
	s_delay_alu instid0(VALU_DEP_1) | instskip(NEXT) | instid1(VALU_DEP_1)
	v_mul_f32_e64 v3, 0x2f800000, |v1|
	v_floor_f32_e32 v3, v3
	s_delay_alu instid0(VALU_DEP_1) | instskip(SKIP_1) | instid1(VALU_DEP_2)
	v_fma_f32 v3, 0xcf800000, v3, |v1|
	v_ashrrev_i32_e32 v1, 31, v1
	v_cvt_u32_f32_e32 v3, v3
	s_delay_alu instid0(VALU_DEP_1) | instskip(NEXT) | instid1(VALU_DEP_1)
	v_xor_b32_e32 v3, v3, v1
	v_sub_nc_u32_e32 v12, v3, v1
.LBB6_2329:
	s_mov_b32 s9, 0
.LBB6_2330:
	s_delay_alu instid0(SALU_CYCLE_1)
	s_and_not1_b32 vcc_lo, exec_lo, s9
	s_cbranch_vccnz .LBB6_2332
; %bb.2331:
	s_wait_loadcnt 0x0
	global_load_u8 v1, v[16:17], off
	s_wait_loadcnt 0x0
	v_lshlrev_b32_e32 v3, 25, v1
	v_lshlrev_b16 v1, 8, v1
	s_delay_alu instid0(VALU_DEP_1) | instskip(SKIP_1) | instid1(VALU_DEP_2)
	v_and_or_b32 v7, 0x7f00, v1, 0.5
	v_bfe_i32 v1, v1, 0, 16
	v_add_f32_e32 v7, -0.5, v7
	v_lshrrev_b32_e32 v5, 4, v3
	v_cmp_gt_u32_e32 vcc_lo, 0x8000000, v3
	s_delay_alu instid0(VALU_DEP_2) | instskip(NEXT) | instid1(VALU_DEP_1)
	v_or_b32_e32 v5, 0x70000000, v5
	v_mul_f32_e32 v5, 0x7800000, v5
	s_delay_alu instid0(VALU_DEP_1) | instskip(NEXT) | instid1(VALU_DEP_1)
	v_cndmask_b32_e32 v3, v5, v7, vcc_lo
	v_and_or_b32 v1, 0x80000000, v1, v3
	s_delay_alu instid0(VALU_DEP_1) | instskip(NEXT) | instid1(VALU_DEP_1)
	v_trunc_f32_e32 v1, v1
	v_mul_f32_e64 v3, 0x2f800000, |v1|
	s_delay_alu instid0(VALU_DEP_1) | instskip(NEXT) | instid1(VALU_DEP_1)
	v_floor_f32_e32 v3, v3
	v_fma_f32 v3, 0xcf800000, v3, |v1|
	v_ashrrev_i32_e32 v1, 31, v1
	s_delay_alu instid0(VALU_DEP_2) | instskip(NEXT) | instid1(VALU_DEP_1)
	v_cvt_u32_f32_e32 v3, v3
	v_xor_b32_e32 v3, v3, v1
	s_delay_alu instid0(VALU_DEP_1)
	v_sub_nc_u32_e32 v12, v3, v1
.LBB6_2332:
	s_mov_b32 s9, 0
	s_mov_b32 s14, -1
.LBB6_2333:
	s_and_not1_b32 vcc_lo, exec_lo, s9
	s_mov_b32 s9, 0
	s_cbranch_vccnz .LBB6_2344
; %bb.2334:
	s_cmp_gt_i32 s6, 14
	s_cbranch_scc0 .LBB6_2337
; %bb.2335:
	s_cmp_eq_u32 s6, 15
	s_cbranch_scc0 .LBB6_2340
; %bb.2336:
	s_wait_loadcnt 0x0
	global_load_u16 v1, v[16:17], off
	s_mov_b32 s7, 0
	s_mov_b32 s14, -1
	s_wait_loadcnt 0x0
	v_lshlrev_b32_e32 v1, 16, v1
	s_delay_alu instid0(VALU_DEP_1) | instskip(NEXT) | instid1(VALU_DEP_1)
	v_trunc_f32_e32 v1, v1
	v_mul_f32_e64 v3, 0x2f800000, |v1|
	s_delay_alu instid0(VALU_DEP_1) | instskip(NEXT) | instid1(VALU_DEP_1)
	v_floor_f32_e32 v3, v3
	v_fma_f32 v3, 0xcf800000, v3, |v1|
	v_ashrrev_i32_e32 v1, 31, v1
	s_delay_alu instid0(VALU_DEP_2) | instskip(NEXT) | instid1(VALU_DEP_1)
	v_cvt_u32_f32_e32 v3, v3
	v_xor_b32_e32 v3, v3, v1
	s_delay_alu instid0(VALU_DEP_1)
	v_sub_nc_u32_e32 v12, v3, v1
	s_branch .LBB6_2342
.LBB6_2337:
	s_mov_b32 s9, -1
	s_branch .LBB6_2341
.LBB6_2338:
	s_and_not1_saveexec_b32 s9, s9
	s_cbranch_execz .LBB6_2319
.LBB6_2339:
	v_cmp_ne_u16_e32 vcc_lo, 0, v1
	s_and_not1_b32 s14, s14, exec_lo
	s_and_b32 s17, vcc_lo, exec_lo
	s_delay_alu instid0(SALU_CYCLE_1)
	s_or_b32 s14, s14, s17
	s_or_b32 exec_lo, exec_lo, s9
	v_mov_b32_e32 v12, 0
	s_and_saveexec_b32 s9, s14
	s_cbranch_execnz .LBB6_2320
	s_branch .LBB6_2321
.LBB6_2340:
	s_mov_b32 s7, -1
.LBB6_2341:
                                        ; implicit-def: $vgpr12
.LBB6_2342:
	s_and_b32 vcc_lo, exec_lo, s9
	s_mov_b32 s9, 0
	s_cbranch_vccz .LBB6_2344
; %bb.2343:
	s_cmp_lg_u32 s6, 11
	s_mov_b32 s9, -1
	s_cselect_b32 s7, -1, 0
.LBB6_2344:
	s_delay_alu instid0(SALU_CYCLE_1)
	s_and_b32 vcc_lo, exec_lo, s7
	s_cbranch_vccnz .LBB6_2409
; %bb.2345:
	s_and_not1_b32 vcc_lo, exec_lo, s9
	s_cbranch_vccnz .LBB6_2347
.LBB6_2346:
	s_wait_loadcnt 0x0
	global_load_u8 v1, v[16:17], off
	s_mov_b32 s14, -1
	s_wait_loadcnt 0x0
	v_cmp_ne_u16_e32 vcc_lo, 0, v1
	v_cndmask_b32_e64 v12, 0, 1, vcc_lo
.LBB6_2347:
	s_mov_b32 s6, 0
.LBB6_2348:
	s_delay_alu instid0(SALU_CYCLE_1)
	s_and_b32 vcc_lo, exec_lo, s6
	s_cbranch_vccz .LBB6_2397
; %bb.2349:
	s_and_b32 s0, 0xffff, s0
	s_delay_alu instid0(SALU_CYCLE_1)
	s_cmp_lt_i32 s0, 5
	s_cbranch_scc1 .LBB6_2354
; %bb.2350:
	s_cmp_lt_i32 s0, 8
	s_cbranch_scc1 .LBB6_2355
; %bb.2351:
	;; [unrolled: 3-line block ×3, first 2 shown]
	s_cmp_gt_i32 s0, 9
	s_cbranch_scc0 .LBB6_2357
; %bb.2353:
	s_wait_loadcnt 0x0
	global_load_b64 v[12:13], v[16:17], off
	s_mov_b32 s6, 0
	s_wait_loadcnt 0x0
	v_trunc_f64_e32 v[12:13], v[12:13]
	s_delay_alu instid0(VALU_DEP_1) | instskip(NEXT) | instid1(VALU_DEP_1)
	v_ldexp_f64 v[20:21], v[12:13], 0xffffffe0
	v_floor_f64_e32 v[20:21], v[20:21]
	s_delay_alu instid0(VALU_DEP_1) | instskip(NEXT) | instid1(VALU_DEP_1)
	v_fmamk_f64 v[12:13], v[20:21], 0xc1f00000, v[12:13]
	v_cvt_u32_f64_e32 v12, v[12:13]
	s_branch .LBB6_2358
.LBB6_2354:
	s_mov_b32 s6, -1
                                        ; implicit-def: $vgpr12
	s_branch .LBB6_2376
.LBB6_2355:
	s_mov_b32 s6, -1
                                        ; implicit-def: $vgpr12
	s_branch .LBB6_2364
.LBB6_2356:
	s_mov_b32 s6, -1
                                        ; implicit-def: $vgpr12
	s_branch .LBB6_2361
.LBB6_2357:
	s_mov_b32 s6, -1
                                        ; implicit-def: $vgpr12
.LBB6_2358:
	s_delay_alu instid0(SALU_CYCLE_1)
	s_and_not1_b32 vcc_lo, exec_lo, s6
	s_cbranch_vccnz .LBB6_2360
; %bb.2359:
	s_wait_loadcnt 0x0
	global_load_b32 v1, v[16:17], off
	s_wait_loadcnt 0x0
	v_trunc_f32_e32 v1, v1
	s_delay_alu instid0(VALU_DEP_1) | instskip(NEXT) | instid1(VALU_DEP_1)
	v_mul_f32_e64 v3, 0x2f800000, |v1|
	v_floor_f32_e32 v3, v3
	s_delay_alu instid0(VALU_DEP_1) | instskip(SKIP_1) | instid1(VALU_DEP_2)
	v_fma_f32 v3, 0xcf800000, v3, |v1|
	v_ashrrev_i32_e32 v1, 31, v1
	v_cvt_u32_f32_e32 v3, v3
	s_delay_alu instid0(VALU_DEP_1) | instskip(NEXT) | instid1(VALU_DEP_1)
	v_xor_b32_e32 v3, v3, v1
	v_sub_nc_u32_e32 v12, v3, v1
.LBB6_2360:
	s_mov_b32 s6, 0
.LBB6_2361:
	s_delay_alu instid0(SALU_CYCLE_1)
	s_and_not1_b32 vcc_lo, exec_lo, s6
	s_cbranch_vccnz .LBB6_2363
; %bb.2362:
	s_wait_loadcnt 0x0
	global_load_b32 v1, v[16:17], off
	s_wait_loadcnt 0x0
	v_cvt_f32_f16_e32 v1, v1
	s_delay_alu instid0(VALU_DEP_1)
	v_cvt_i32_f32_e32 v12, v1
.LBB6_2363:
	s_mov_b32 s6, 0
.LBB6_2364:
	s_delay_alu instid0(SALU_CYCLE_1)
	s_and_not1_b32 vcc_lo, exec_lo, s6
	s_cbranch_vccnz .LBB6_2375
; %bb.2365:
	s_cmp_lt_i32 s0, 6
	s_cbranch_scc1 .LBB6_2368
; %bb.2366:
	s_cmp_gt_i32 s0, 6
	s_cbranch_scc0 .LBB6_2369
; %bb.2367:
	s_wait_loadcnt 0x0
	global_load_b64 v[12:13], v[16:17], off
	s_mov_b32 s6, 0
	s_wait_loadcnt 0x0
	v_trunc_f64_e32 v[12:13], v[12:13]
	s_delay_alu instid0(VALU_DEP_1) | instskip(NEXT) | instid1(VALU_DEP_1)
	v_ldexp_f64 v[20:21], v[12:13], 0xffffffe0
	v_floor_f64_e32 v[20:21], v[20:21]
	s_delay_alu instid0(VALU_DEP_1) | instskip(NEXT) | instid1(VALU_DEP_1)
	v_fmamk_f64 v[12:13], v[20:21], 0xc1f00000, v[12:13]
	v_cvt_u32_f64_e32 v12, v[12:13]
	s_branch .LBB6_2370
.LBB6_2368:
	s_mov_b32 s6, -1
                                        ; implicit-def: $vgpr12
	s_branch .LBB6_2373
.LBB6_2369:
	s_mov_b32 s6, -1
                                        ; implicit-def: $vgpr12
.LBB6_2370:
	s_delay_alu instid0(SALU_CYCLE_1)
	s_and_not1_b32 vcc_lo, exec_lo, s6
	s_cbranch_vccnz .LBB6_2372
; %bb.2371:
	s_wait_loadcnt 0x0
	global_load_b32 v1, v[16:17], off
	s_wait_loadcnt 0x0
	v_trunc_f32_e32 v1, v1
	s_delay_alu instid0(VALU_DEP_1) | instskip(NEXT) | instid1(VALU_DEP_1)
	v_mul_f32_e64 v3, 0x2f800000, |v1|
	v_floor_f32_e32 v3, v3
	s_delay_alu instid0(VALU_DEP_1) | instskip(SKIP_1) | instid1(VALU_DEP_2)
	v_fma_f32 v3, 0xcf800000, v3, |v1|
	v_ashrrev_i32_e32 v1, 31, v1
	v_cvt_u32_f32_e32 v3, v3
	s_delay_alu instid0(VALU_DEP_1) | instskip(NEXT) | instid1(VALU_DEP_1)
	v_xor_b32_e32 v3, v3, v1
	v_sub_nc_u32_e32 v12, v3, v1
.LBB6_2372:
	s_mov_b32 s6, 0
.LBB6_2373:
	s_delay_alu instid0(SALU_CYCLE_1)
	s_and_not1_b32 vcc_lo, exec_lo, s6
	s_cbranch_vccnz .LBB6_2375
; %bb.2374:
	s_wait_loadcnt 0x0
	global_load_u16 v1, v[16:17], off
	s_wait_loadcnt 0x0
	v_cvt_f32_f16_e32 v1, v1
	s_delay_alu instid0(VALU_DEP_1)
	v_cvt_i32_f32_e32 v12, v1
.LBB6_2375:
	s_mov_b32 s6, 0
.LBB6_2376:
	s_delay_alu instid0(SALU_CYCLE_1)
	s_and_not1_b32 vcc_lo, exec_lo, s6
	s_cbranch_vccnz .LBB6_2396
; %bb.2377:
	s_cmp_lt_i32 s0, 2
	s_cbranch_scc1 .LBB6_2381
; %bb.2378:
	s_cmp_lt_i32 s0, 3
	s_cbranch_scc1 .LBB6_2382
; %bb.2379:
	s_cmp_gt_i32 s0, 3
	s_cbranch_scc0 .LBB6_2383
; %bb.2380:
	s_wait_loadcnt 0x0
	global_load_b64 v[12:13], v[16:17], off
	s_mov_b32 s6, 0
	s_branch .LBB6_2384
.LBB6_2381:
	s_mov_b32 s6, -1
                                        ; implicit-def: $vgpr12
	s_branch .LBB6_2390
.LBB6_2382:
	s_mov_b32 s6, -1
                                        ; implicit-def: $vgpr12
	s_branch .LBB6_2387
.LBB6_2383:
	s_mov_b32 s6, -1
                                        ; implicit-def: $vgpr12
.LBB6_2384:
	s_delay_alu instid0(SALU_CYCLE_1)
	s_and_not1_b32 vcc_lo, exec_lo, s6
	s_cbranch_vccnz .LBB6_2386
; %bb.2385:
	s_wait_loadcnt 0x0
	global_load_b32 v12, v[16:17], off
.LBB6_2386:
	s_mov_b32 s6, 0
.LBB6_2387:
	s_delay_alu instid0(SALU_CYCLE_1)
	s_and_not1_b32 vcc_lo, exec_lo, s6
	s_cbranch_vccnz .LBB6_2389
; %bb.2388:
	s_wait_loadcnt 0x0
	global_load_u16 v12, v[16:17], off
.LBB6_2389:
	s_mov_b32 s6, 0
.LBB6_2390:
	s_delay_alu instid0(SALU_CYCLE_1)
	s_and_not1_b32 vcc_lo, exec_lo, s6
	s_cbranch_vccnz .LBB6_2396
; %bb.2391:
	s_cmp_gt_i32 s0, 0
	s_mov_b32 s0, 0
	s_cbranch_scc0 .LBB6_2393
; %bb.2392:
	s_wait_loadcnt 0x0
	global_load_u8 v12, v[16:17], off
	s_branch .LBB6_2394
.LBB6_2393:
	s_mov_b32 s0, -1
                                        ; implicit-def: $vgpr12
.LBB6_2394:
	s_delay_alu instid0(SALU_CYCLE_1)
	s_and_not1_b32 vcc_lo, exec_lo, s0
	s_cbranch_vccnz .LBB6_2396
; %bb.2395:
	s_wait_loadcnt 0x0
	global_load_u8 v12, v[16:17], off
.LBB6_2396:
	s_mov_b32 s14, -1
.LBB6_2397:
	s_delay_alu instid0(SALU_CYCLE_1)
	s_and_not1_b32 vcc_lo, exec_lo, s14
	s_cbranch_vccnz .LBB6_2957
; %bb.2398:
	v_add_nc_u32_e32 v14, s10, v14
	s_cmp_lt_i32 s1, 11
	s_delay_alu instid0(VALU_DEP_1) | instskip(SKIP_1) | instid1(VALU_DEP_1)
	v_ashrrev_i32_e32 v15, 31, v14
	s_wait_xcnt 0x0
	v_add_nc_u64_e32 v[16:17], s[2:3], v[14:15]
	s_cbranch_scc1 .LBB6_2405
; %bb.2399:
	s_and_b32 s0, 0xffff, s1
	s_mov_b32 s3, 0
	s_cmp_gt_i32 s0, 25
	s_cbranch_scc0 .LBB6_2406
; %bb.2400:
	s_cmp_gt_i32 s0, 28
	s_cbranch_scc0 .LBB6_2407
; %bb.2401:
	;; [unrolled: 3-line block ×4, first 2 shown]
	s_cmp_eq_u32 s0, 46
	s_mov_b32 s7, 0
	s_cbranch_scc0 .LBB6_2411
; %bb.2404:
	s_wait_loadcnt 0x0
	global_load_b32 v1, v[16:17], off
	s_mov_b32 s2, 0
	s_mov_b32 s6, -1
	s_wait_loadcnt 0x0
	v_lshlrev_b32_e32 v1, 16, v1
	s_delay_alu instid0(VALU_DEP_1) | instskip(NEXT) | instid1(VALU_DEP_1)
	v_trunc_f32_e32 v1, v1
	v_mul_f32_e64 v3, 0x2f800000, |v1|
	s_delay_alu instid0(VALU_DEP_1) | instskip(NEXT) | instid1(VALU_DEP_1)
	v_floor_f32_e32 v3, v3
	v_fma_f32 v3, 0xcf800000, v3, |v1|
	v_ashrrev_i32_e32 v1, 31, v1
	s_delay_alu instid0(VALU_DEP_2) | instskip(NEXT) | instid1(VALU_DEP_1)
	v_cvt_u32_f32_e32 v3, v3
	v_xor_b32_e32 v3, v3, v1
	s_delay_alu instid0(VALU_DEP_1)
	v_sub_nc_u32_e32 v14, v3, v1
	s_branch .LBB6_2413
.LBB6_2405:
	s_mov_b32 s0, -1
	s_mov_b32 s6, 0
                                        ; implicit-def: $vgpr14
	s_branch .LBB6_2475
.LBB6_2406:
	s_mov_b32 s7, -1
	s_mov_b32 s6, 0
	s_mov_b32 s2, 0
                                        ; implicit-def: $vgpr14
	s_branch .LBB6_2440
.LBB6_2407:
	s_mov_b32 s7, -1
	s_mov_b32 s6, 0
	s_mov_b32 s2, 0
                                        ; implicit-def: $vgpr14
	s_branch .LBB6_2423
.LBB6_2408:
	s_mov_b32 s7, -1
	s_mov_b32 s6, 0
	s_mov_b32 s2, 0
                                        ; implicit-def: $vgpr14
	s_branch .LBB6_2418
.LBB6_2409:
	s_or_b32 s13, s13, exec_lo
	s_trap 2
	s_cbranch_execz .LBB6_2346
	s_branch .LBB6_2347
.LBB6_2410:
	s_mov_b32 s7, -1
	s_mov_b32 s6, 0
	s_mov_b32 s2, 0
	s_branch .LBB6_2412
.LBB6_2411:
	s_mov_b32 s2, -1
	s_mov_b32 s6, 0
.LBB6_2412:
                                        ; implicit-def: $vgpr14
.LBB6_2413:
	s_and_b32 vcc_lo, exec_lo, s7
	s_cbranch_vccz .LBB6_2417
; %bb.2414:
	s_cmp_eq_u32 s0, 44
	s_cbranch_scc0 .LBB6_2416
; %bb.2415:
	s_wait_loadcnt 0x0
	global_load_u8 v1, v[16:17], off
	s_mov_b32 s2, 0
	s_mov_b32 s6, -1
	s_wait_loadcnt 0x0
	v_lshlrev_b32_e32 v3, 23, v1
	v_cmp_ne_u32_e32 vcc_lo, 0, v1
	s_delay_alu instid0(VALU_DEP_2) | instskip(NEXT) | instid1(VALU_DEP_1)
	v_trunc_f32_e32 v3, v3
	v_mul_f32_e64 v5, 0x2f800000, |v3|
	s_delay_alu instid0(VALU_DEP_1) | instskip(NEXT) | instid1(VALU_DEP_1)
	v_floor_f32_e32 v5, v5
	v_fma_f32 v5, 0xcf800000, v5, |v3|
	v_ashrrev_i32_e32 v3, 31, v3
	s_delay_alu instid0(VALU_DEP_2) | instskip(NEXT) | instid1(VALU_DEP_1)
	v_cvt_u32_f32_e32 v5, v5
	v_xor_b32_e32 v5, v5, v3
	s_delay_alu instid0(VALU_DEP_1) | instskip(NEXT) | instid1(VALU_DEP_1)
	v_sub_nc_u32_e32 v3, v5, v3
	v_cndmask_b32_e32 v14, 0, v3, vcc_lo
	s_branch .LBB6_2417
.LBB6_2416:
	s_mov_b32 s2, -1
                                        ; implicit-def: $vgpr14
.LBB6_2417:
	s_mov_b32 s7, 0
.LBB6_2418:
	s_delay_alu instid0(SALU_CYCLE_1)
	s_and_b32 vcc_lo, exec_lo, s7
	s_cbranch_vccz .LBB6_2422
; %bb.2419:
	s_cmp_eq_u32 s0, 29
	s_cbranch_scc0 .LBB6_2421
; %bb.2420:
	global_load_b64 v[14:15], v[16:17], off
	s_mov_b32 s2, 0
	s_mov_b32 s6, -1
	s_branch .LBB6_2422
.LBB6_2421:
	s_mov_b32 s2, -1
                                        ; implicit-def: $vgpr14
.LBB6_2422:
	s_mov_b32 s7, 0
.LBB6_2423:
	s_delay_alu instid0(SALU_CYCLE_1)
	s_and_b32 vcc_lo, exec_lo, s7
	s_cbranch_vccz .LBB6_2439
; %bb.2424:
	s_cmp_lt_i32 s0, 27
	s_cbranch_scc1 .LBB6_2427
; %bb.2425:
	s_cmp_gt_i32 s0, 27
	s_cbranch_scc0 .LBB6_2428
; %bb.2426:
	s_wait_loadcnt 0x0
	global_load_b32 v14, v[16:17], off
	s_mov_b32 s6, 0
	s_branch .LBB6_2429
.LBB6_2427:
	s_mov_b32 s6, -1
                                        ; implicit-def: $vgpr14
	s_branch .LBB6_2432
.LBB6_2428:
	s_mov_b32 s6, -1
                                        ; implicit-def: $vgpr14
.LBB6_2429:
	s_delay_alu instid0(SALU_CYCLE_1)
	s_and_not1_b32 vcc_lo, exec_lo, s6
	s_cbranch_vccnz .LBB6_2431
; %bb.2430:
	s_wait_loadcnt 0x0
	global_load_u16 v14, v[16:17], off
.LBB6_2431:
	s_mov_b32 s6, 0
.LBB6_2432:
	s_delay_alu instid0(SALU_CYCLE_1)
	s_and_not1_b32 vcc_lo, exec_lo, s6
	s_cbranch_vccnz .LBB6_2438
; %bb.2433:
	s_wait_loadcnt 0x0
	global_load_u8 v1, v[16:17], off
	s_mov_b32 s7, 0
	s_mov_b32 s6, exec_lo
	s_wait_loadcnt 0x0
	v_cmpx_lt_i16_e32 0x7f, v1
	s_xor_b32 s6, exec_lo, s6
	s_cbranch_execz .LBB6_2450
; %bb.2434:
	v_cmp_ne_u16_e32 vcc_lo, 0x80, v1
	s_and_b32 s7, vcc_lo, exec_lo
	s_and_not1_saveexec_b32 s6, s6
	s_cbranch_execnz .LBB6_2451
.LBB6_2435:
	s_or_b32 exec_lo, exec_lo, s6
	v_mov_b32_e32 v14, 0
	s_and_saveexec_b32 s6, s7
	s_cbranch_execz .LBB6_2437
.LBB6_2436:
	v_and_b32_e32 v3, 0xffff, v1
	s_delay_alu instid0(VALU_DEP_1) | instskip(SKIP_1) | instid1(VALU_DEP_2)
	v_dual_lshlrev_b32 v1, 24, v1 :: v_dual_bitop2_b32 v5, 7, v3 bitop3:0x40
	v_bfe_u32 v11, v3, 3, 4
	v_and_b32_e32 v1, 0x80000000, v1
	s_delay_alu instid0(VALU_DEP_3) | instskip(NEXT) | instid1(VALU_DEP_3)
	v_clz_i32_u32_e32 v7, v5
	v_cmp_eq_u32_e32 vcc_lo, 0, v11
	s_delay_alu instid0(VALU_DEP_2) | instskip(NEXT) | instid1(VALU_DEP_1)
	v_min_u32_e32 v7, 32, v7
	v_subrev_nc_u32_e32 v9, 28, v7
	v_sub_nc_u32_e32 v7, 29, v7
	s_delay_alu instid0(VALU_DEP_2) | instskip(NEXT) | instid1(VALU_DEP_2)
	v_lshlrev_b32_e32 v3, v9, v3
	v_cndmask_b32_e32 v7, v11, v7, vcc_lo
	s_delay_alu instid0(VALU_DEP_2) | instskip(NEXT) | instid1(VALU_DEP_1)
	v_and_b32_e32 v3, 7, v3
	v_cndmask_b32_e32 v3, v5, v3, vcc_lo
	s_delay_alu instid0(VALU_DEP_3) | instskip(NEXT) | instid1(VALU_DEP_2)
	v_lshl_add_u32 v5, v7, 23, 0x3b800000
	v_lshlrev_b32_e32 v3, 20, v3
	s_delay_alu instid0(VALU_DEP_1) | instskip(NEXT) | instid1(VALU_DEP_1)
	v_or3_b32 v1, v1, v5, v3
	v_trunc_f32_e32 v1, v1
	s_delay_alu instid0(VALU_DEP_1) | instskip(NEXT) | instid1(VALU_DEP_1)
	v_mul_f32_e64 v3, 0x2f800000, |v1|
	v_floor_f32_e32 v3, v3
	s_delay_alu instid0(VALU_DEP_1) | instskip(SKIP_1) | instid1(VALU_DEP_2)
	v_fma_f32 v3, 0xcf800000, v3, |v1|
	v_ashrrev_i32_e32 v1, 31, v1
	v_cvt_u32_f32_e32 v3, v3
	s_delay_alu instid0(VALU_DEP_1) | instskip(NEXT) | instid1(VALU_DEP_1)
	v_xor_b32_e32 v3, v3, v1
	v_sub_nc_u32_e32 v14, v3, v1
.LBB6_2437:
	s_or_b32 exec_lo, exec_lo, s6
.LBB6_2438:
	s_mov_b32 s6, -1
.LBB6_2439:
	s_mov_b32 s7, 0
.LBB6_2440:
	s_delay_alu instid0(SALU_CYCLE_1)
	s_and_b32 vcc_lo, exec_lo, s7
	s_cbranch_vccz .LBB6_2471
; %bb.2441:
	s_cmp_gt_i32 s0, 22
	s_cbranch_scc0 .LBB6_2449
; %bb.2442:
	s_cmp_lt_i32 s0, 24
	s_cbranch_scc1 .LBB6_2452
; %bb.2443:
	s_cmp_gt_i32 s0, 24
	s_cbranch_scc0 .LBB6_2453
; %bb.2444:
	s_wait_loadcnt 0x0
	global_load_u8 v1, v[16:17], off
	s_mov_b32 s6, 0
	s_mov_b32 s3, exec_lo
	s_wait_loadcnt 0x0
	v_cmpx_lt_i16_e32 0x7f, v1
	s_xor_b32 s3, exec_lo, s3
	s_cbranch_execz .LBB6_2465
; %bb.2445:
	v_cmp_ne_u16_e32 vcc_lo, 0x80, v1
	s_and_b32 s6, vcc_lo, exec_lo
	s_and_not1_saveexec_b32 s3, s3
	s_cbranch_execnz .LBB6_2466
.LBB6_2446:
	s_or_b32 exec_lo, exec_lo, s3
	v_mov_b32_e32 v14, 0
	s_and_saveexec_b32 s3, s6
	s_cbranch_execz .LBB6_2448
.LBB6_2447:
	v_and_b32_e32 v3, 0xffff, v1
	s_delay_alu instid0(VALU_DEP_1) | instskip(SKIP_1) | instid1(VALU_DEP_2)
	v_dual_lshlrev_b32 v1, 24, v1 :: v_dual_bitop2_b32 v5, 3, v3 bitop3:0x40
	v_bfe_u32 v11, v3, 2, 5
	v_and_b32_e32 v1, 0x80000000, v1
	s_delay_alu instid0(VALU_DEP_3) | instskip(NEXT) | instid1(VALU_DEP_3)
	v_clz_i32_u32_e32 v7, v5
	v_cmp_eq_u32_e32 vcc_lo, 0, v11
	s_delay_alu instid0(VALU_DEP_2) | instskip(NEXT) | instid1(VALU_DEP_1)
	v_min_u32_e32 v7, 32, v7
	v_subrev_nc_u32_e32 v9, 29, v7
	v_sub_nc_u32_e32 v7, 30, v7
	s_delay_alu instid0(VALU_DEP_2) | instskip(NEXT) | instid1(VALU_DEP_2)
	v_lshlrev_b32_e32 v3, v9, v3
	v_cndmask_b32_e32 v7, v11, v7, vcc_lo
	s_delay_alu instid0(VALU_DEP_2) | instskip(NEXT) | instid1(VALU_DEP_1)
	v_and_b32_e32 v3, 3, v3
	v_cndmask_b32_e32 v3, v5, v3, vcc_lo
	s_delay_alu instid0(VALU_DEP_3) | instskip(NEXT) | instid1(VALU_DEP_2)
	v_lshl_add_u32 v5, v7, 23, 0x37800000
	v_lshlrev_b32_e32 v3, 21, v3
	s_delay_alu instid0(VALU_DEP_1) | instskip(NEXT) | instid1(VALU_DEP_1)
	v_or3_b32 v1, v1, v5, v3
	v_trunc_f32_e32 v1, v1
	s_delay_alu instid0(VALU_DEP_1) | instskip(NEXT) | instid1(VALU_DEP_1)
	v_mul_f32_e64 v3, 0x2f800000, |v1|
	v_floor_f32_e32 v3, v3
	s_delay_alu instid0(VALU_DEP_1) | instskip(SKIP_1) | instid1(VALU_DEP_2)
	v_fma_f32 v3, 0xcf800000, v3, |v1|
	v_ashrrev_i32_e32 v1, 31, v1
	v_cvt_u32_f32_e32 v3, v3
	s_delay_alu instid0(VALU_DEP_1) | instskip(NEXT) | instid1(VALU_DEP_1)
	v_xor_b32_e32 v3, v3, v1
	v_sub_nc_u32_e32 v14, v3, v1
.LBB6_2448:
	s_or_b32 exec_lo, exec_lo, s3
	s_mov_b32 s3, 0
	s_branch .LBB6_2454
.LBB6_2449:
	s_mov_b32 s3, -1
                                        ; implicit-def: $vgpr14
	s_branch .LBB6_2460
.LBB6_2450:
	s_and_not1_saveexec_b32 s6, s6
	s_cbranch_execz .LBB6_2435
.LBB6_2451:
	v_cmp_ne_u16_e32 vcc_lo, 0, v1
	s_and_not1_b32 s7, s7, exec_lo
	s_and_b32 s9, vcc_lo, exec_lo
	s_delay_alu instid0(SALU_CYCLE_1)
	s_or_b32 s7, s7, s9
	s_or_b32 exec_lo, exec_lo, s6
	v_mov_b32_e32 v14, 0
	s_and_saveexec_b32 s6, s7
	s_cbranch_execnz .LBB6_2436
	s_branch .LBB6_2437
.LBB6_2452:
	s_mov_b32 s3, -1
                                        ; implicit-def: $vgpr14
	s_branch .LBB6_2457
.LBB6_2453:
	s_mov_b32 s3, -1
                                        ; implicit-def: $vgpr14
.LBB6_2454:
	s_delay_alu instid0(SALU_CYCLE_1)
	s_and_b32 vcc_lo, exec_lo, s3
	s_cbranch_vccz .LBB6_2456
; %bb.2455:
	s_wait_loadcnt 0x0
	global_load_u8 v1, v[16:17], off
	s_wait_loadcnt 0x0
	v_lshlrev_b32_e32 v1, 24, v1
	s_delay_alu instid0(VALU_DEP_1) | instskip(NEXT) | instid1(VALU_DEP_1)
	v_and_b32_e32 v3, 0x7f000000, v1
	v_clz_i32_u32_e32 v5, v3
	v_add_nc_u32_e32 v9, 0x1000000, v3
	v_cmp_ne_u32_e32 vcc_lo, 0, v3
	s_delay_alu instid0(VALU_DEP_3) | instskip(NEXT) | instid1(VALU_DEP_1)
	v_min_u32_e32 v5, 32, v5
	v_sub_nc_u32_e64 v5, v5, 4 clamp
	s_delay_alu instid0(VALU_DEP_1) | instskip(NEXT) | instid1(VALU_DEP_1)
	v_dual_lshlrev_b32 v7, v5, v3 :: v_dual_lshlrev_b32 v5, 23, v5
	v_lshrrev_b32_e32 v7, 4, v7
	s_delay_alu instid0(VALU_DEP_1) | instskip(SKIP_1) | instid1(VALU_DEP_2)
	v_sub_nc_u32_e32 v5, v7, v5
	v_ashrrev_i32_e32 v7, 8, v9
	v_add_nc_u32_e32 v5, 0x3c000000, v5
	s_delay_alu instid0(VALU_DEP_1) | instskip(NEXT) | instid1(VALU_DEP_1)
	v_and_or_b32 v5, 0x7f800000, v7, v5
	v_cndmask_b32_e32 v3, 0, v5, vcc_lo
	s_delay_alu instid0(VALU_DEP_1) | instskip(NEXT) | instid1(VALU_DEP_1)
	v_and_or_b32 v1, 0x80000000, v1, v3
	v_trunc_f32_e32 v1, v1
	s_delay_alu instid0(VALU_DEP_1) | instskip(NEXT) | instid1(VALU_DEP_1)
	v_mul_f32_e64 v3, 0x2f800000, |v1|
	v_floor_f32_e32 v3, v3
	s_delay_alu instid0(VALU_DEP_1) | instskip(SKIP_1) | instid1(VALU_DEP_2)
	v_fma_f32 v3, 0xcf800000, v3, |v1|
	v_ashrrev_i32_e32 v1, 31, v1
	v_cvt_u32_f32_e32 v3, v3
	s_delay_alu instid0(VALU_DEP_1) | instskip(NEXT) | instid1(VALU_DEP_1)
	v_xor_b32_e32 v3, v3, v1
	v_sub_nc_u32_e32 v14, v3, v1
.LBB6_2456:
	s_mov_b32 s3, 0
.LBB6_2457:
	s_delay_alu instid0(SALU_CYCLE_1)
	s_and_not1_b32 vcc_lo, exec_lo, s3
	s_cbranch_vccnz .LBB6_2459
; %bb.2458:
	s_wait_loadcnt 0x0
	global_load_u8 v1, v[16:17], off
	s_wait_loadcnt 0x0
	v_lshlrev_b32_e32 v3, 25, v1
	v_lshlrev_b16 v1, 8, v1
	s_delay_alu instid0(VALU_DEP_1) | instskip(SKIP_1) | instid1(VALU_DEP_2)
	v_and_or_b32 v7, 0x7f00, v1, 0.5
	v_bfe_i32 v1, v1, 0, 16
	v_add_f32_e32 v7, -0.5, v7
	v_lshrrev_b32_e32 v5, 4, v3
	v_cmp_gt_u32_e32 vcc_lo, 0x8000000, v3
	s_delay_alu instid0(VALU_DEP_2) | instskip(NEXT) | instid1(VALU_DEP_1)
	v_or_b32_e32 v5, 0x70000000, v5
	v_mul_f32_e32 v5, 0x7800000, v5
	s_delay_alu instid0(VALU_DEP_1) | instskip(NEXT) | instid1(VALU_DEP_1)
	v_cndmask_b32_e32 v3, v5, v7, vcc_lo
	v_and_or_b32 v1, 0x80000000, v1, v3
	s_delay_alu instid0(VALU_DEP_1) | instskip(NEXT) | instid1(VALU_DEP_1)
	v_trunc_f32_e32 v1, v1
	v_mul_f32_e64 v3, 0x2f800000, |v1|
	s_delay_alu instid0(VALU_DEP_1) | instskip(NEXT) | instid1(VALU_DEP_1)
	v_floor_f32_e32 v3, v3
	v_fma_f32 v3, 0xcf800000, v3, |v1|
	v_ashrrev_i32_e32 v1, 31, v1
	s_delay_alu instid0(VALU_DEP_2) | instskip(NEXT) | instid1(VALU_DEP_1)
	v_cvt_u32_f32_e32 v3, v3
	v_xor_b32_e32 v3, v3, v1
	s_delay_alu instid0(VALU_DEP_1)
	v_sub_nc_u32_e32 v14, v3, v1
.LBB6_2459:
	s_mov_b32 s3, 0
	s_mov_b32 s6, -1
.LBB6_2460:
	s_and_not1_b32 vcc_lo, exec_lo, s3
	s_mov_b32 s3, 0
	s_cbranch_vccnz .LBB6_2471
; %bb.2461:
	s_cmp_gt_i32 s0, 14
	s_cbranch_scc0 .LBB6_2464
; %bb.2462:
	s_cmp_eq_u32 s0, 15
	s_cbranch_scc0 .LBB6_2467
; %bb.2463:
	s_wait_loadcnt 0x0
	global_load_u16 v1, v[16:17], off
	s_mov_b32 s2, 0
	s_mov_b32 s6, -1
	s_wait_loadcnt 0x0
	v_lshlrev_b32_e32 v1, 16, v1
	s_delay_alu instid0(VALU_DEP_1) | instskip(NEXT) | instid1(VALU_DEP_1)
	v_trunc_f32_e32 v1, v1
	v_mul_f32_e64 v3, 0x2f800000, |v1|
	s_delay_alu instid0(VALU_DEP_1) | instskip(NEXT) | instid1(VALU_DEP_1)
	v_floor_f32_e32 v3, v3
	v_fma_f32 v3, 0xcf800000, v3, |v1|
	v_ashrrev_i32_e32 v1, 31, v1
	s_delay_alu instid0(VALU_DEP_2) | instskip(NEXT) | instid1(VALU_DEP_1)
	v_cvt_u32_f32_e32 v3, v3
	v_xor_b32_e32 v3, v3, v1
	s_delay_alu instid0(VALU_DEP_1)
	v_sub_nc_u32_e32 v14, v3, v1
	s_branch .LBB6_2469
.LBB6_2464:
	s_mov_b32 s3, -1
	s_branch .LBB6_2468
.LBB6_2465:
	s_and_not1_saveexec_b32 s3, s3
	s_cbranch_execz .LBB6_2446
.LBB6_2466:
	v_cmp_ne_u16_e32 vcc_lo, 0, v1
	s_and_not1_b32 s6, s6, exec_lo
	s_and_b32 s7, vcc_lo, exec_lo
	s_delay_alu instid0(SALU_CYCLE_1)
	s_or_b32 s6, s6, s7
	s_or_b32 exec_lo, exec_lo, s3
	v_mov_b32_e32 v14, 0
	s_and_saveexec_b32 s3, s6
	s_cbranch_execnz .LBB6_2447
	s_branch .LBB6_2448
.LBB6_2467:
	s_mov_b32 s2, -1
.LBB6_2468:
                                        ; implicit-def: $vgpr14
.LBB6_2469:
	s_and_b32 vcc_lo, exec_lo, s3
	s_mov_b32 s3, 0
	s_cbranch_vccz .LBB6_2471
; %bb.2470:
	s_cmp_lg_u32 s0, 11
	s_mov_b32 s3, -1
	s_cselect_b32 s2, -1, 0
.LBB6_2471:
	s_delay_alu instid0(SALU_CYCLE_1)
	s_and_b32 vcc_lo, exec_lo, s2
	s_cbranch_vccnz .LBB6_3003
; %bb.2472:
	s_and_not1_b32 vcc_lo, exec_lo, s3
	s_cbranch_vccnz .LBB6_2474
.LBB6_2473:
	s_wait_loadcnt 0x0
	global_load_u8 v1, v[16:17], off
	s_mov_b32 s6, -1
	s_wait_loadcnt 0x0
	v_cmp_ne_u16_e32 vcc_lo, 0, v1
	v_cndmask_b32_e64 v14, 0, 1, vcc_lo
.LBB6_2474:
	s_mov_b32 s0, 0
.LBB6_2475:
	s_delay_alu instid0(SALU_CYCLE_1)
	s_and_b32 vcc_lo, exec_lo, s0
	s_cbranch_vccz .LBB6_2524
; %bb.2476:
	s_and_b32 s0, 0xffff, s1
	s_delay_alu instid0(SALU_CYCLE_1)
	s_cmp_lt_i32 s0, 5
	s_cbranch_scc1 .LBB6_2481
; %bb.2477:
	s_cmp_lt_i32 s0, 8
	s_cbranch_scc1 .LBB6_2482
; %bb.2478:
	;; [unrolled: 3-line block ×3, first 2 shown]
	s_cmp_gt_i32 s0, 9
	s_cbranch_scc0 .LBB6_2484
; %bb.2480:
	s_wait_loadcnt 0x0
	global_load_b64 v[14:15], v[16:17], off
	s_mov_b32 s1, 0
	s_wait_loadcnt 0x0
	v_trunc_f64_e32 v[14:15], v[14:15]
	s_delay_alu instid0(VALU_DEP_1) | instskip(NEXT) | instid1(VALU_DEP_1)
	v_ldexp_f64 v[20:21], v[14:15], 0xffffffe0
	v_floor_f64_e32 v[20:21], v[20:21]
	s_delay_alu instid0(VALU_DEP_1) | instskip(NEXT) | instid1(VALU_DEP_1)
	v_fmamk_f64 v[14:15], v[20:21], 0xc1f00000, v[14:15]
	v_cvt_u32_f64_e32 v14, v[14:15]
	s_branch .LBB6_2485
.LBB6_2481:
	s_mov_b32 s1, -1
                                        ; implicit-def: $vgpr14
	s_branch .LBB6_2503
.LBB6_2482:
	s_mov_b32 s1, -1
                                        ; implicit-def: $vgpr14
	s_branch .LBB6_2491
.LBB6_2483:
	s_mov_b32 s1, -1
                                        ; implicit-def: $vgpr14
	s_branch .LBB6_2488
.LBB6_2484:
	s_mov_b32 s1, -1
                                        ; implicit-def: $vgpr14
.LBB6_2485:
	s_delay_alu instid0(SALU_CYCLE_1)
	s_and_not1_b32 vcc_lo, exec_lo, s1
	s_cbranch_vccnz .LBB6_2487
; %bb.2486:
	s_wait_loadcnt 0x0
	global_load_b32 v1, v[16:17], off
	s_wait_loadcnt 0x0
	v_trunc_f32_e32 v1, v1
	s_delay_alu instid0(VALU_DEP_1) | instskip(NEXT) | instid1(VALU_DEP_1)
	v_mul_f32_e64 v3, 0x2f800000, |v1|
	v_floor_f32_e32 v3, v3
	s_delay_alu instid0(VALU_DEP_1) | instskip(SKIP_1) | instid1(VALU_DEP_2)
	v_fma_f32 v3, 0xcf800000, v3, |v1|
	v_ashrrev_i32_e32 v1, 31, v1
	v_cvt_u32_f32_e32 v3, v3
	s_delay_alu instid0(VALU_DEP_1) | instskip(NEXT) | instid1(VALU_DEP_1)
	v_xor_b32_e32 v3, v3, v1
	v_sub_nc_u32_e32 v14, v3, v1
.LBB6_2487:
	s_mov_b32 s1, 0
.LBB6_2488:
	s_delay_alu instid0(SALU_CYCLE_1)
	s_and_not1_b32 vcc_lo, exec_lo, s1
	s_cbranch_vccnz .LBB6_2490
; %bb.2489:
	s_wait_loadcnt 0x0
	global_load_b32 v1, v[16:17], off
	s_wait_loadcnt 0x0
	v_cvt_f32_f16_e32 v1, v1
	s_delay_alu instid0(VALU_DEP_1)
	v_cvt_i32_f32_e32 v14, v1
.LBB6_2490:
	s_mov_b32 s1, 0
.LBB6_2491:
	s_delay_alu instid0(SALU_CYCLE_1)
	s_and_not1_b32 vcc_lo, exec_lo, s1
	s_cbranch_vccnz .LBB6_2502
; %bb.2492:
	s_cmp_lt_i32 s0, 6
	s_cbranch_scc1 .LBB6_2495
; %bb.2493:
	s_cmp_gt_i32 s0, 6
	s_cbranch_scc0 .LBB6_2496
; %bb.2494:
	s_wait_loadcnt 0x0
	global_load_b64 v[14:15], v[16:17], off
	s_mov_b32 s1, 0
	s_wait_loadcnt 0x0
	v_trunc_f64_e32 v[14:15], v[14:15]
	s_delay_alu instid0(VALU_DEP_1) | instskip(NEXT) | instid1(VALU_DEP_1)
	v_ldexp_f64 v[20:21], v[14:15], 0xffffffe0
	v_floor_f64_e32 v[20:21], v[20:21]
	s_delay_alu instid0(VALU_DEP_1) | instskip(NEXT) | instid1(VALU_DEP_1)
	v_fmamk_f64 v[14:15], v[20:21], 0xc1f00000, v[14:15]
	v_cvt_u32_f64_e32 v14, v[14:15]
	s_branch .LBB6_2497
.LBB6_2495:
	s_mov_b32 s1, -1
                                        ; implicit-def: $vgpr14
	s_branch .LBB6_2500
.LBB6_2496:
	s_mov_b32 s1, -1
                                        ; implicit-def: $vgpr14
.LBB6_2497:
	s_delay_alu instid0(SALU_CYCLE_1)
	s_and_not1_b32 vcc_lo, exec_lo, s1
	s_cbranch_vccnz .LBB6_2499
; %bb.2498:
	s_wait_loadcnt 0x0
	global_load_b32 v1, v[16:17], off
	s_wait_loadcnt 0x0
	v_trunc_f32_e32 v1, v1
	s_delay_alu instid0(VALU_DEP_1) | instskip(NEXT) | instid1(VALU_DEP_1)
	v_mul_f32_e64 v3, 0x2f800000, |v1|
	v_floor_f32_e32 v3, v3
	s_delay_alu instid0(VALU_DEP_1) | instskip(SKIP_1) | instid1(VALU_DEP_2)
	v_fma_f32 v3, 0xcf800000, v3, |v1|
	v_ashrrev_i32_e32 v1, 31, v1
	v_cvt_u32_f32_e32 v3, v3
	s_delay_alu instid0(VALU_DEP_1) | instskip(NEXT) | instid1(VALU_DEP_1)
	v_xor_b32_e32 v3, v3, v1
	v_sub_nc_u32_e32 v14, v3, v1
.LBB6_2499:
	s_mov_b32 s1, 0
.LBB6_2500:
	s_delay_alu instid0(SALU_CYCLE_1)
	s_and_not1_b32 vcc_lo, exec_lo, s1
	s_cbranch_vccnz .LBB6_2502
; %bb.2501:
	s_wait_loadcnt 0x0
	global_load_u16 v1, v[16:17], off
	s_wait_loadcnt 0x0
	v_cvt_f32_f16_e32 v1, v1
	s_delay_alu instid0(VALU_DEP_1)
	v_cvt_i32_f32_e32 v14, v1
.LBB6_2502:
	s_mov_b32 s1, 0
.LBB6_2503:
	s_delay_alu instid0(SALU_CYCLE_1)
	s_and_not1_b32 vcc_lo, exec_lo, s1
	s_cbranch_vccnz .LBB6_2523
; %bb.2504:
	s_cmp_lt_i32 s0, 2
	s_cbranch_scc1 .LBB6_2508
; %bb.2505:
	s_cmp_lt_i32 s0, 3
	s_cbranch_scc1 .LBB6_2509
; %bb.2506:
	s_cmp_gt_i32 s0, 3
	s_cbranch_scc0 .LBB6_2510
; %bb.2507:
	s_wait_loadcnt 0x0
	global_load_b64 v[14:15], v[16:17], off
	s_mov_b32 s1, 0
	s_branch .LBB6_2511
.LBB6_2508:
	s_mov_b32 s1, -1
                                        ; implicit-def: $vgpr14
	s_branch .LBB6_2517
.LBB6_2509:
	s_mov_b32 s1, -1
                                        ; implicit-def: $vgpr14
	s_branch .LBB6_2514
.LBB6_2510:
	s_mov_b32 s1, -1
                                        ; implicit-def: $vgpr14
.LBB6_2511:
	s_delay_alu instid0(SALU_CYCLE_1)
	s_and_not1_b32 vcc_lo, exec_lo, s1
	s_cbranch_vccnz .LBB6_2513
; %bb.2512:
	s_wait_loadcnt 0x0
	global_load_b32 v14, v[16:17], off
.LBB6_2513:
	s_mov_b32 s1, 0
.LBB6_2514:
	s_delay_alu instid0(SALU_CYCLE_1)
	s_and_not1_b32 vcc_lo, exec_lo, s1
	s_cbranch_vccnz .LBB6_2516
; %bb.2515:
	s_wait_loadcnt 0x0
	global_load_u16 v14, v[16:17], off
.LBB6_2516:
	s_mov_b32 s1, 0
.LBB6_2517:
	s_delay_alu instid0(SALU_CYCLE_1)
	s_and_not1_b32 vcc_lo, exec_lo, s1
	s_cbranch_vccnz .LBB6_2523
; %bb.2518:
	s_cmp_gt_i32 s0, 0
	s_mov_b32 s0, 0
	s_cbranch_scc0 .LBB6_2520
; %bb.2519:
	s_wait_loadcnt 0x0
	global_load_u8 v14, v[16:17], off
	s_branch .LBB6_2521
.LBB6_2520:
	s_mov_b32 s0, -1
                                        ; implicit-def: $vgpr14
.LBB6_2521:
	s_delay_alu instid0(SALU_CYCLE_1)
	s_and_not1_b32 vcc_lo, exec_lo, s0
	s_cbranch_vccnz .LBB6_2523
; %bb.2522:
	s_wait_loadcnt 0x0
	global_load_u8 v14, v[16:17], off
.LBB6_2523:
	s_mov_b32 s6, -1
.LBB6_2524:
	s_delay_alu instid0(SALU_CYCLE_1)
	s_and_not1_b32 vcc_lo, exec_lo, s6
	s_cbranch_vccnz .LBB6_2957
; %bb.2525:
	s_wait_xcnt 0x0
	v_mul_lo_u32 v16, s8, v18
	s_wait_loadcnt 0x0
	v_and_b32_e32 v1, 0xff, v2
	v_and_b32_e32 v0, 0xff, v0
	s_cmp_eq_u32 s11, 0
	s_mov_b32 s7, 0
	s_cselect_b32 s1, -1, 0
	s_and_b32 s17, s12, 0xff
	v_cmp_ne_u16_e32 vcc_lo, v0, v1
	s_mov_b32 s0, -1
	s_delay_alu instid0(VALU_DEP_4) | instskip(SKIP_2) | instid1(VALU_DEP_1)
	v_ashrrev_i32_e32 v17, 31, v16
	s_xor_b32 s2, s1, vcc_lo
	s_cmp_lt_i32 s17, 11
	v_add_nc_u64_e32 v[0:1], s[4:5], v[16:17]
	s_cbranch_scc1 .LBB6_2604
; %bb.2526:
	s_and_b32 s3, 0xffff, s17
	s_mov_b32 s9, -1
	s_mov_b32 s6, 0
	s_cmp_gt_i32 s3, 25
	s_mov_b32 s0, 0
	s_cbranch_scc0 .LBB6_2559
; %bb.2527:
	s_cmp_gt_i32 s3, 28
	s_cbranch_scc0 .LBB6_2542
; %bb.2528:
	s_cmp_gt_i32 s3, 43
	s_cbranch_scc0 .LBB6_2538
; %bb.2529:
	s_cmp_gt_i32 s3, 45
	s_cbranch_scc0 .LBB6_2532
; %bb.2530:
	s_mov_b32 s0, -1
	s_mov_b32 s9, 0
	s_cmp_eq_u32 s3, 46
	s_cbranch_scc0 .LBB6_2532
; %bb.2531:
	v_cndmask_b32_e64 v2, 0, 1.0, s2
	s_mov_b32 s0, 0
	s_mov_b32 s7, -1
	s_delay_alu instid0(VALU_DEP_1) | instskip(NEXT) | instid1(VALU_DEP_1)
	v_bfe_u32 v3, v2, 16, 1
	v_add3_u32 v2, v2, v3, 0x7fff
	s_delay_alu instid0(VALU_DEP_1)
	v_lshrrev_b32_e32 v2, 16, v2
	global_store_b32 v[0:1], v2, off
.LBB6_2532:
	s_and_b32 vcc_lo, exec_lo, s9
	s_cbranch_vccz .LBB6_2537
; %bb.2533:
	s_cmp_eq_u32 s3, 44
	s_mov_b32 s0, -1
	s_cbranch_scc0 .LBB6_2537
; %bb.2534:
	v_cndmask_b32_e64 v5, 0, 1.0, s2
	s_mov_b32 s7, exec_lo
	s_wait_xcnt 0x0
	s_delay_alu instid0(VALU_DEP_1) | instskip(NEXT) | instid1(VALU_DEP_1)
	v_dual_mov_b32 v3, 0xff :: v_dual_lshrrev_b32 v2, 23, v5
	v_cmpx_ne_u32_e32 0xff, v2
; %bb.2535:
	v_and_b32_e32 v3, 0x400000, v5
	v_and_or_b32 v5, 0x3fffff, v5, v2
	s_delay_alu instid0(VALU_DEP_2) | instskip(NEXT) | instid1(VALU_DEP_2)
	v_cmp_ne_u32_e32 vcc_lo, 0, v3
	v_cmp_ne_u32_e64 s0, 0, v5
	s_and_b32 s0, vcc_lo, s0
	s_delay_alu instid0(SALU_CYCLE_1) | instskip(NEXT) | instid1(VALU_DEP_1)
	v_cndmask_b32_e64 v3, 0, 1, s0
	v_add_nc_u32_e32 v3, v2, v3
; %bb.2536:
	s_or_b32 exec_lo, exec_lo, s7
	s_mov_b32 s0, 0
	s_mov_b32 s7, -1
	global_store_b8 v[0:1], v3, off
.LBB6_2537:
	s_mov_b32 s9, 0
.LBB6_2538:
	s_delay_alu instid0(SALU_CYCLE_1)
	s_and_b32 vcc_lo, exec_lo, s9
	s_cbranch_vccz .LBB6_2541
; %bb.2539:
	s_cmp_eq_u32 s3, 29
	s_mov_b32 s0, -1
	s_cbranch_scc0 .LBB6_2541
; %bb.2540:
	s_mov_b32 s0, 0
	s_wait_xcnt 0x0
	v_cndmask_b32_e64 v2, 0, 1, s2
	v_mov_b32_e32 v3, s0
	s_mov_b32 s7, -1
	global_store_b64 v[0:1], v[2:3], off
.LBB6_2541:
	s_mov_b32 s9, 0
.LBB6_2542:
	s_delay_alu instid0(SALU_CYCLE_1)
	s_and_b32 vcc_lo, exec_lo, s9
	s_cbranch_vccz .LBB6_2558
; %bb.2543:
	s_cmp_lt_i32 s3, 27
	s_mov_b32 s7, -1
	s_cbranch_scc1 .LBB6_2549
; %bb.2544:
	s_cmp_gt_i32 s3, 27
	s_cbranch_scc0 .LBB6_2546
; %bb.2545:
	s_wait_xcnt 0x0
	v_cndmask_b32_e64 v2, 0, 1, s2
	s_mov_b32 s7, 0
	global_store_b32 v[0:1], v2, off
.LBB6_2546:
	s_and_not1_b32 vcc_lo, exec_lo, s7
	s_cbranch_vccnz .LBB6_2548
; %bb.2547:
	s_wait_xcnt 0x0
	v_cndmask_b32_e64 v2, 0, 1, s2
	global_store_b16 v[0:1], v2, off
.LBB6_2548:
	s_mov_b32 s7, 0
.LBB6_2549:
	s_delay_alu instid0(SALU_CYCLE_1)
	s_and_not1_b32 vcc_lo, exec_lo, s7
	s_cbranch_vccnz .LBB6_2557
; %bb.2550:
	s_wait_xcnt 0x0
	v_cndmask_b32_e64 v3, 0, 1.0, s2
	v_mov_b32_e32 v5, 0x80
	s_mov_b32 s7, exec_lo
	s_delay_alu instid0(VALU_DEP_2)
	v_cmpx_gt_u32_e32 0x43800000, v3
	s_cbranch_execz .LBB6_2556
; %bb.2551:
	s_mov_b32 s9, 0
	s_mov_b32 s10, exec_lo
                                        ; implicit-def: $vgpr2
	v_cmpx_lt_u32_e32 0x3bffffff, v3
	s_xor_b32 s10, exec_lo, s10
	s_cbranch_execz .LBB6_3004
; %bb.2552:
	v_bfe_u32 v2, v3, 20, 1
	s_mov_b32 s9, exec_lo
	s_delay_alu instid0(VALU_DEP_1) | instskip(NEXT) | instid1(VALU_DEP_1)
	v_add3_u32 v2, v3, v2, 0x487ffff
                                        ; implicit-def: $vgpr3
	v_lshrrev_b32_e32 v2, 20, v2
	s_and_not1_saveexec_b32 s10, s10
	s_cbranch_execnz .LBB6_3005
.LBB6_2553:
	s_or_b32 exec_lo, exec_lo, s10
	v_mov_b32_e32 v5, 0
	s_and_saveexec_b32 s10, s9
.LBB6_2554:
	v_mov_b32_e32 v5, v2
.LBB6_2555:
	s_or_b32 exec_lo, exec_lo, s10
.LBB6_2556:
	s_delay_alu instid0(SALU_CYCLE_1)
	s_or_b32 exec_lo, exec_lo, s7
	global_store_b8 v[0:1], v5, off
.LBB6_2557:
	s_mov_b32 s7, -1
.LBB6_2558:
	s_mov_b32 s9, 0
.LBB6_2559:
	s_delay_alu instid0(SALU_CYCLE_1)
	s_and_b32 vcc_lo, exec_lo, s9
	s_cbranch_vccz .LBB6_2599
; %bb.2560:
	s_cmp_gt_i32 s3, 22
	s_mov_b32 s6, -1
	s_cbranch_scc0 .LBB6_2592
; %bb.2561:
	s_cmp_lt_i32 s3, 24
	s_cbranch_scc1 .LBB6_2581
; %bb.2562:
	s_cmp_gt_i32 s3, 24
	s_cbranch_scc0 .LBB6_2570
; %bb.2563:
	s_wait_xcnt 0x0
	v_cndmask_b32_e64 v3, 0, 1.0, s2
	v_mov_b32_e32 v5, 0x80
	s_mov_b32 s6, exec_lo
	s_delay_alu instid0(VALU_DEP_2)
	v_cmpx_gt_u32_e32 0x47800000, v3
	s_cbranch_execz .LBB6_2569
; %bb.2564:
	s_mov_b32 s7, 0
	s_mov_b32 s9, exec_lo
                                        ; implicit-def: $vgpr2
	v_cmpx_lt_u32_e32 0x37ffffff, v3
	s_xor_b32 s9, exec_lo, s9
	s_cbranch_execz .LBB6_3007
; %bb.2565:
	v_bfe_u32 v2, v3, 21, 1
	s_mov_b32 s7, exec_lo
	s_delay_alu instid0(VALU_DEP_1) | instskip(NEXT) | instid1(VALU_DEP_1)
	v_add3_u32 v2, v3, v2, 0x88fffff
                                        ; implicit-def: $vgpr3
	v_lshrrev_b32_e32 v2, 21, v2
	s_and_not1_saveexec_b32 s9, s9
	s_cbranch_execnz .LBB6_3008
.LBB6_2566:
	s_or_b32 exec_lo, exec_lo, s9
	v_mov_b32_e32 v5, 0
	s_and_saveexec_b32 s9, s7
.LBB6_2567:
	v_mov_b32_e32 v5, v2
.LBB6_2568:
	s_or_b32 exec_lo, exec_lo, s9
.LBB6_2569:
	s_delay_alu instid0(SALU_CYCLE_1)
	s_or_b32 exec_lo, exec_lo, s6
	s_mov_b32 s6, 0
	global_store_b8 v[0:1], v5, off
.LBB6_2570:
	s_and_b32 vcc_lo, exec_lo, s6
	s_cbranch_vccz .LBB6_2580
; %bb.2571:
	s_wait_xcnt 0x0
	v_cndmask_b32_e64 v3, 0, 1.0, s2
	s_mov_b32 s6, exec_lo
                                        ; implicit-def: $vgpr2
	s_delay_alu instid0(VALU_DEP_1)
	v_cmpx_gt_u32_e32 0x43f00000, v3
	s_xor_b32 s6, exec_lo, s6
	s_cbranch_execz .LBB6_2577
; %bb.2572:
	s_mov_b32 s7, exec_lo
                                        ; implicit-def: $vgpr2
	v_cmpx_lt_u32_e32 0x3c7fffff, v3
	s_xor_b32 s7, exec_lo, s7
; %bb.2573:
	v_bfe_u32 v2, v3, 20, 1
	s_delay_alu instid0(VALU_DEP_1) | instskip(NEXT) | instid1(VALU_DEP_1)
	v_add3_u32 v2, v3, v2, 0x407ffff
	v_and_b32_e32 v3, 0xff00000, v2
	v_lshrrev_b32_e32 v2, 20, v2
	s_delay_alu instid0(VALU_DEP_2) | instskip(NEXT) | instid1(VALU_DEP_2)
	v_cmp_ne_u32_e32 vcc_lo, 0x7f00000, v3
                                        ; implicit-def: $vgpr3
	v_cndmask_b32_e32 v2, 0x7e, v2, vcc_lo
; %bb.2574:
	s_and_not1_saveexec_b32 s7, s7
; %bb.2575:
	v_add_f32_e32 v2, 0x46800000, v3
; %bb.2576:
	s_or_b32 exec_lo, exec_lo, s7
                                        ; implicit-def: $vgpr3
.LBB6_2577:
	s_and_not1_saveexec_b32 s6, s6
; %bb.2578:
	v_mov_b32_e32 v2, 0x7f
	v_cmp_lt_u32_e32 vcc_lo, 0x7f800000, v3
	s_delay_alu instid0(VALU_DEP_2)
	v_cndmask_b32_e32 v2, 0x7e, v2, vcc_lo
; %bb.2579:
	s_or_b32 exec_lo, exec_lo, s6
	global_store_b8 v[0:1], v2, off
.LBB6_2580:
	s_mov_b32 s6, 0
.LBB6_2581:
	s_delay_alu instid0(SALU_CYCLE_1)
	s_and_not1_b32 vcc_lo, exec_lo, s6
	s_cbranch_vccnz .LBB6_2591
; %bb.2582:
	s_wait_xcnt 0x0
	v_cndmask_b32_e64 v3, 0, 1.0, s2
	s_mov_b32 s6, exec_lo
                                        ; implicit-def: $vgpr2
	s_delay_alu instid0(VALU_DEP_1)
	v_cmpx_gt_u32_e32 0x47800000, v3
	s_xor_b32 s6, exec_lo, s6
	s_cbranch_execz .LBB6_2588
; %bb.2583:
	s_mov_b32 s7, exec_lo
                                        ; implicit-def: $vgpr2
	v_cmpx_lt_u32_e32 0x387fffff, v3
	s_xor_b32 s7, exec_lo, s7
; %bb.2584:
	v_bfe_u32 v2, v3, 21, 1
	s_delay_alu instid0(VALU_DEP_1) | instskip(NEXT) | instid1(VALU_DEP_1)
	v_add3_u32 v2, v3, v2, 0x80fffff
                                        ; implicit-def: $vgpr3
	v_lshrrev_b32_e32 v2, 21, v2
; %bb.2585:
	s_and_not1_saveexec_b32 s7, s7
; %bb.2586:
	v_add_f32_e32 v2, 0x43000000, v3
; %bb.2587:
	s_or_b32 exec_lo, exec_lo, s7
                                        ; implicit-def: $vgpr3
.LBB6_2588:
	s_and_not1_saveexec_b32 s6, s6
; %bb.2589:
	v_mov_b32_e32 v2, 0x7f
	v_cmp_lt_u32_e32 vcc_lo, 0x7f800000, v3
	s_delay_alu instid0(VALU_DEP_2)
	v_cndmask_b32_e32 v2, 0x7c, v2, vcc_lo
; %bb.2590:
	s_or_b32 exec_lo, exec_lo, s6
	global_store_b8 v[0:1], v2, off
.LBB6_2591:
	s_mov_b32 s6, 0
	s_mov_b32 s7, -1
.LBB6_2592:
	s_and_not1_b32 vcc_lo, exec_lo, s6
	s_mov_b32 s6, 0
	s_cbranch_vccnz .LBB6_2599
; %bb.2593:
	s_cmp_gt_i32 s3, 14
	s_mov_b32 s6, -1
	s_cbranch_scc0 .LBB6_2597
; %bb.2594:
	s_cmp_eq_u32 s3, 15
	s_mov_b32 s0, -1
	s_cbranch_scc0 .LBB6_2596
; %bb.2595:
	s_wait_xcnt 0x0
	v_cndmask_b32_e64 v2, 0, 1.0, s2
	s_mov_b32 s0, 0
	s_mov_b32 s7, -1
	s_delay_alu instid0(VALU_DEP_1) | instskip(NEXT) | instid1(VALU_DEP_1)
	v_bfe_u32 v3, v2, 16, 1
	v_add3_u32 v2, v2, v3, 0x7fff
	global_store_d16_hi_b16 v[0:1], v2, off
.LBB6_2596:
	s_mov_b32 s6, 0
.LBB6_2597:
	s_delay_alu instid0(SALU_CYCLE_1)
	s_and_b32 vcc_lo, exec_lo, s6
	s_mov_b32 s6, 0
	s_cbranch_vccz .LBB6_2599
; %bb.2598:
	s_cmp_lg_u32 s3, 11
	s_mov_b32 s6, -1
	s_cselect_b32 s0, -1, 0
.LBB6_2599:
	s_delay_alu instid0(SALU_CYCLE_1)
	s_and_b32 vcc_lo, exec_lo, s0
	s_cbranch_vccnz .LBB6_3006
; %bb.2600:
	s_and_not1_b32 vcc_lo, exec_lo, s6
	s_cbranch_vccnz .LBB6_2602
.LBB6_2601:
	s_wait_xcnt 0x0
	v_cndmask_b32_e64 v2, 0, 1, s2
	s_mov_b32 s7, -1
	global_store_b8 v[0:1], v2, off
.LBB6_2602:
.LBB6_2603:
	s_and_not1_b32 vcc_lo, exec_lo, s7
	s_cbranch_vccnz .LBB6_2957
	s_branch .LBB6_2643
.LBB6_2604:
	s_and_b32 vcc_lo, exec_lo, s0
	s_cbranch_vccz .LBB6_2603
; %bb.2605:
	s_and_b32 s0, 0xffff, s17
	s_mov_b32 s3, -1
	s_cmp_lt_i32 s0, 5
	s_cbranch_scc1 .LBB6_2626
; %bb.2606:
	s_cmp_lt_i32 s0, 8
	s_cbranch_scc1 .LBB6_2616
; %bb.2607:
	;; [unrolled: 3-line block ×3, first 2 shown]
	s_cmp_gt_i32 s0, 9
	s_cbranch_scc0 .LBB6_2610
; %bb.2609:
	s_wait_xcnt 0x0
	v_cndmask_b32_e64 v2, 0, 1, s2
	v_mov_b32_e32 v20, 0
	s_mov_b32 s3, 0
	s_delay_alu instid0(VALU_DEP_2) | instskip(NEXT) | instid1(VALU_DEP_2)
	v_cvt_f64_u32_e32 v[18:19], v2
	v_mov_b32_e32 v21, v20
	global_store_b128 v[0:1], v[18:21], off
.LBB6_2610:
	s_and_not1_b32 vcc_lo, exec_lo, s3
	s_cbranch_vccnz .LBB6_2612
; %bb.2611:
	s_wait_xcnt 0x0
	v_cndmask_b32_e64 v2, 0, 1.0, s2
	v_mov_b32_e32 v3, 0
	global_store_b64 v[0:1], v[2:3], off
.LBB6_2612:
	s_mov_b32 s3, 0
.LBB6_2613:
	s_delay_alu instid0(SALU_CYCLE_1)
	s_and_not1_b32 vcc_lo, exec_lo, s3
	s_cbranch_vccnz .LBB6_2615
; %bb.2614:
	s_wait_xcnt 0x0
	v_cndmask_b32_e64 v2, 0, 1.0, s2
	s_delay_alu instid0(VALU_DEP_1) | instskip(NEXT) | instid1(VALU_DEP_1)
	v_cvt_f16_f32_e32 v2, v2
	v_and_b32_e32 v2, 0xffff, v2
	global_store_b32 v[0:1], v2, off
.LBB6_2615:
	s_mov_b32 s3, 0
.LBB6_2616:
	s_delay_alu instid0(SALU_CYCLE_1)
	s_and_not1_b32 vcc_lo, exec_lo, s3
	s_cbranch_vccnz .LBB6_2625
; %bb.2617:
	s_cmp_lt_i32 s0, 6
	s_mov_b32 s3, -1
	s_cbranch_scc1 .LBB6_2623
; %bb.2618:
	s_cmp_gt_i32 s0, 6
	s_cbranch_scc0 .LBB6_2620
; %bb.2619:
	s_wait_xcnt 0x0
	v_cndmask_b32_e64 v2, 0, 1, s2
	s_mov_b32 s3, 0
	s_delay_alu instid0(VALU_DEP_1)
	v_cvt_f64_u32_e32 v[2:3], v2
	global_store_b64 v[0:1], v[2:3], off
.LBB6_2620:
	s_and_not1_b32 vcc_lo, exec_lo, s3
	s_cbranch_vccnz .LBB6_2622
; %bb.2621:
	s_wait_xcnt 0x0
	v_cndmask_b32_e64 v2, 0, 1.0, s2
	global_store_b32 v[0:1], v2, off
.LBB6_2622:
	s_mov_b32 s3, 0
.LBB6_2623:
	s_delay_alu instid0(SALU_CYCLE_1)
	s_and_not1_b32 vcc_lo, exec_lo, s3
	s_cbranch_vccnz .LBB6_2625
; %bb.2624:
	s_wait_xcnt 0x0
	v_cndmask_b32_e64 v2, 0, 1.0, s2
	s_delay_alu instid0(VALU_DEP_1)
	v_cvt_f16_f32_e32 v2, v2
	global_store_b16 v[0:1], v2, off
.LBB6_2625:
	s_mov_b32 s3, 0
.LBB6_2626:
	s_delay_alu instid0(SALU_CYCLE_1)
	s_and_not1_b32 vcc_lo, exec_lo, s3
	s_cbranch_vccnz .LBB6_2642
; %bb.2627:
	s_cmp_lt_i32 s0, 2
	s_mov_b32 s3, -1
	s_cbranch_scc1 .LBB6_2637
; %bb.2628:
	s_cmp_lt_i32 s0, 3
	s_cbranch_scc1 .LBB6_2634
; %bb.2629:
	s_cmp_gt_i32 s0, 3
	s_cbranch_scc0 .LBB6_2631
; %bb.2630:
	s_mov_b32 s3, 0
	s_wait_xcnt 0x0
	v_cndmask_b32_e64 v2, 0, 1, s2
	v_mov_b32_e32 v3, s3
	global_store_b64 v[0:1], v[2:3], off
.LBB6_2631:
	s_and_not1_b32 vcc_lo, exec_lo, s3
	s_cbranch_vccnz .LBB6_2633
; %bb.2632:
	s_wait_xcnt 0x0
	v_cndmask_b32_e64 v2, 0, 1, s2
	global_store_b32 v[0:1], v2, off
.LBB6_2633:
	s_mov_b32 s3, 0
.LBB6_2634:
	s_delay_alu instid0(SALU_CYCLE_1)
	s_and_not1_b32 vcc_lo, exec_lo, s3
	s_cbranch_vccnz .LBB6_2636
; %bb.2635:
	s_wait_xcnt 0x0
	v_cndmask_b32_e64 v2, 0, 1, s2
	global_store_b16 v[0:1], v2, off
.LBB6_2636:
	s_mov_b32 s3, 0
.LBB6_2637:
	s_delay_alu instid0(SALU_CYCLE_1)
	s_and_not1_b32 vcc_lo, exec_lo, s3
	s_cbranch_vccnz .LBB6_2642
; %bb.2638:
	s_wait_xcnt 0x0
	v_cndmask_b32_e64 v2, 0, 1, s2
	s_cmp_gt_i32 s0, 0
	s_mov_b32 s0, -1
	s_cbranch_scc0 .LBB6_2640
; %bb.2639:
	s_mov_b32 s0, 0
	global_store_b8 v[0:1], v2, off
.LBB6_2640:
	s_and_not1_b32 vcc_lo, exec_lo, s0
	s_cbranch_vccnz .LBB6_2642
; %bb.2641:
	global_store_b8 v[0:1], v2, off
.LBB6_2642:
.LBB6_2643:
	s_lshl_b32 s2, s8, 7
	s_wait_xcnt 0x0
	v_and_b32_e32 v2, 0xff, v6
	v_add_nc_u32_e32 v0, s2, v16
	v_and_b32_e32 v3, 0xff, v4
	s_delay_alu instid0(VALU_DEP_2) | instskip(NEXT) | instid1(VALU_DEP_2)
	v_ashrrev_i32_e32 v1, 31, v0
	v_cmp_ne_u16_e32 vcc_lo, v3, v2
	s_delay_alu instid0(VALU_DEP_2)
	v_add_nc_u64_e32 v[2:3], s[4:5], v[0:1]
	s_xor_b32 s3, s1, vcc_lo
	s_cmp_lt_i32 s17, 11
	s_cbranch_scc1 .LBB6_2721
; %bb.2644:
	s_and_b32 s6, 0xffff, s17
	s_mov_b32 s9, -1
	s_mov_b32 s7, 0
	s_cmp_gt_i32 s6, 25
	s_mov_b32 s8, 0
	s_mov_b32 s0, 0
	s_cbranch_scc0 .LBB6_2677
; %bb.2645:
	s_cmp_gt_i32 s6, 28
	s_cbranch_scc0 .LBB6_2660
; %bb.2646:
	s_cmp_gt_i32 s6, 43
	;; [unrolled: 3-line block ×3, first 2 shown]
	s_cbranch_scc0 .LBB6_2650
; %bb.2648:
	s_mov_b32 s0, -1
	s_mov_b32 s9, 0
	s_cmp_eq_u32 s6, 46
	s_cbranch_scc0 .LBB6_2650
; %bb.2649:
	v_cndmask_b32_e64 v1, 0, 1.0, s3
	s_mov_b32 s0, 0
	s_mov_b32 s8, -1
	s_delay_alu instid0(VALU_DEP_1) | instskip(NEXT) | instid1(VALU_DEP_1)
	v_bfe_u32 v4, v1, 16, 1
	v_add3_u32 v1, v1, v4, 0x7fff
	s_delay_alu instid0(VALU_DEP_1)
	v_lshrrev_b32_e32 v1, 16, v1
	global_store_b32 v[2:3], v1, off
.LBB6_2650:
	s_and_b32 vcc_lo, exec_lo, s9
	s_cbranch_vccz .LBB6_2655
; %bb.2651:
	s_cmp_eq_u32 s6, 44
	s_mov_b32 s0, -1
	s_cbranch_scc0 .LBB6_2655
; %bb.2652:
	v_cndmask_b32_e64 v5, 0, 1.0, s3
	s_mov_b32 s8, exec_lo
	s_wait_xcnt 0x0
	s_delay_alu instid0(VALU_DEP_1) | instskip(NEXT) | instid1(VALU_DEP_1)
	v_dual_mov_b32 v4, 0xff :: v_dual_lshrrev_b32 v1, 23, v5
	v_cmpx_ne_u32_e32 0xff, v1
; %bb.2653:
	v_and_b32_e32 v4, 0x400000, v5
	v_and_or_b32 v5, 0x3fffff, v5, v1
	s_delay_alu instid0(VALU_DEP_2) | instskip(NEXT) | instid1(VALU_DEP_2)
	v_cmp_ne_u32_e32 vcc_lo, 0, v4
	v_cmp_ne_u32_e64 s0, 0, v5
	s_and_b32 s0, vcc_lo, s0
	s_delay_alu instid0(SALU_CYCLE_1) | instskip(NEXT) | instid1(VALU_DEP_1)
	v_cndmask_b32_e64 v4, 0, 1, s0
	v_add_nc_u32_e32 v4, v1, v4
; %bb.2654:
	s_or_b32 exec_lo, exec_lo, s8
	s_mov_b32 s0, 0
	s_mov_b32 s8, -1
	global_store_b8 v[2:3], v4, off
.LBB6_2655:
	s_mov_b32 s9, 0
.LBB6_2656:
	s_delay_alu instid0(SALU_CYCLE_1)
	s_and_b32 vcc_lo, exec_lo, s9
	s_cbranch_vccz .LBB6_2659
; %bb.2657:
	s_cmp_eq_u32 s6, 29
	s_mov_b32 s0, -1
	s_cbranch_scc0 .LBB6_2659
; %bb.2658:
	s_mov_b32 s0, 0
	s_wait_xcnt 0x0
	v_cndmask_b32_e64 v4, 0, 1, s3
	v_mov_b32_e32 v5, s0
	s_mov_b32 s8, -1
	global_store_b64 v[2:3], v[4:5], off
.LBB6_2659:
	s_mov_b32 s9, 0
.LBB6_2660:
	s_delay_alu instid0(SALU_CYCLE_1)
	s_and_b32 vcc_lo, exec_lo, s9
	s_cbranch_vccz .LBB6_2676
; %bb.2661:
	s_cmp_lt_i32 s6, 27
	s_mov_b32 s8, -1
	s_cbranch_scc1 .LBB6_2667
; %bb.2662:
	s_cmp_gt_i32 s6, 27
	s_cbranch_scc0 .LBB6_2664
; %bb.2663:
	s_wait_xcnt 0x0
	v_cndmask_b32_e64 v1, 0, 1, s3
	s_mov_b32 s8, 0
	global_store_b32 v[2:3], v1, off
.LBB6_2664:
	s_and_not1_b32 vcc_lo, exec_lo, s8
	s_cbranch_vccnz .LBB6_2666
; %bb.2665:
	s_wait_xcnt 0x0
	v_cndmask_b32_e64 v1, 0, 1, s3
	global_store_b16 v[2:3], v1, off
.LBB6_2666:
	s_mov_b32 s8, 0
.LBB6_2667:
	s_delay_alu instid0(SALU_CYCLE_1)
	s_and_not1_b32 vcc_lo, exec_lo, s8
	s_cbranch_vccnz .LBB6_2675
; %bb.2668:
	s_wait_xcnt 0x0
	v_cndmask_b32_e64 v4, 0, 1.0, s3
	v_mov_b32_e32 v5, 0x80
	s_mov_b32 s8, exec_lo
	s_delay_alu instid0(VALU_DEP_2)
	v_cmpx_gt_u32_e32 0x43800000, v4
	s_cbranch_execz .LBB6_2674
; %bb.2669:
	s_mov_b32 s9, 0
	s_mov_b32 s10, exec_lo
                                        ; implicit-def: $vgpr1
	v_cmpx_lt_u32_e32 0x3bffffff, v4
	s_xor_b32 s10, exec_lo, s10
	s_cbranch_execz .LBB6_3009
; %bb.2670:
	v_bfe_u32 v1, v4, 20, 1
	s_mov_b32 s9, exec_lo
	s_delay_alu instid0(VALU_DEP_1) | instskip(NEXT) | instid1(VALU_DEP_1)
	v_add3_u32 v1, v4, v1, 0x487ffff
                                        ; implicit-def: $vgpr4
	v_lshrrev_b32_e32 v1, 20, v1
	s_and_not1_saveexec_b32 s10, s10
	s_cbranch_execnz .LBB6_3010
.LBB6_2671:
	s_or_b32 exec_lo, exec_lo, s10
	v_mov_b32_e32 v5, 0
	s_and_saveexec_b32 s10, s9
.LBB6_2672:
	v_mov_b32_e32 v5, v1
.LBB6_2673:
	s_or_b32 exec_lo, exec_lo, s10
.LBB6_2674:
	s_delay_alu instid0(SALU_CYCLE_1)
	s_or_b32 exec_lo, exec_lo, s8
	global_store_b8 v[2:3], v5, off
.LBB6_2675:
	s_mov_b32 s8, -1
.LBB6_2676:
	s_mov_b32 s9, 0
.LBB6_2677:
	s_delay_alu instid0(SALU_CYCLE_1)
	s_and_b32 vcc_lo, exec_lo, s9
	s_cbranch_vccz .LBB6_2717
; %bb.2678:
	s_cmp_gt_i32 s6, 22
	s_mov_b32 s7, -1
	s_cbranch_scc0 .LBB6_2710
; %bb.2679:
	s_cmp_lt_i32 s6, 24
	s_cbranch_scc1 .LBB6_2699
; %bb.2680:
	s_cmp_gt_i32 s6, 24
	s_cbranch_scc0 .LBB6_2688
; %bb.2681:
	s_wait_xcnt 0x0
	v_cndmask_b32_e64 v4, 0, 1.0, s3
	v_mov_b32_e32 v5, 0x80
	s_mov_b32 s7, exec_lo
	s_delay_alu instid0(VALU_DEP_2)
	v_cmpx_gt_u32_e32 0x47800000, v4
	s_cbranch_execz .LBB6_2687
; %bb.2682:
	s_mov_b32 s8, 0
	s_mov_b32 s9, exec_lo
                                        ; implicit-def: $vgpr1
	v_cmpx_lt_u32_e32 0x37ffffff, v4
	s_xor_b32 s9, exec_lo, s9
	s_cbranch_execz .LBB6_3012
; %bb.2683:
	v_bfe_u32 v1, v4, 21, 1
	s_mov_b32 s8, exec_lo
	s_delay_alu instid0(VALU_DEP_1) | instskip(NEXT) | instid1(VALU_DEP_1)
	v_add3_u32 v1, v4, v1, 0x88fffff
                                        ; implicit-def: $vgpr4
	v_lshrrev_b32_e32 v1, 21, v1
	s_and_not1_saveexec_b32 s9, s9
	s_cbranch_execnz .LBB6_3013
.LBB6_2684:
	s_or_b32 exec_lo, exec_lo, s9
	v_mov_b32_e32 v5, 0
	s_and_saveexec_b32 s9, s8
.LBB6_2685:
	v_mov_b32_e32 v5, v1
.LBB6_2686:
	s_or_b32 exec_lo, exec_lo, s9
.LBB6_2687:
	s_delay_alu instid0(SALU_CYCLE_1)
	s_or_b32 exec_lo, exec_lo, s7
	s_mov_b32 s7, 0
	global_store_b8 v[2:3], v5, off
.LBB6_2688:
	s_and_b32 vcc_lo, exec_lo, s7
	s_cbranch_vccz .LBB6_2698
; %bb.2689:
	s_wait_xcnt 0x0
	v_cndmask_b32_e64 v4, 0, 1.0, s3
	s_mov_b32 s7, exec_lo
                                        ; implicit-def: $vgpr1
	s_delay_alu instid0(VALU_DEP_1)
	v_cmpx_gt_u32_e32 0x43f00000, v4
	s_xor_b32 s7, exec_lo, s7
	s_cbranch_execz .LBB6_2695
; %bb.2690:
	s_mov_b32 s8, exec_lo
                                        ; implicit-def: $vgpr1
	v_cmpx_lt_u32_e32 0x3c7fffff, v4
	s_xor_b32 s8, exec_lo, s8
; %bb.2691:
	v_bfe_u32 v1, v4, 20, 1
	s_delay_alu instid0(VALU_DEP_1) | instskip(NEXT) | instid1(VALU_DEP_1)
	v_add3_u32 v1, v4, v1, 0x407ffff
	v_and_b32_e32 v4, 0xff00000, v1
	v_lshrrev_b32_e32 v1, 20, v1
	s_delay_alu instid0(VALU_DEP_2) | instskip(NEXT) | instid1(VALU_DEP_2)
	v_cmp_ne_u32_e32 vcc_lo, 0x7f00000, v4
                                        ; implicit-def: $vgpr4
	v_cndmask_b32_e32 v1, 0x7e, v1, vcc_lo
; %bb.2692:
	s_and_not1_saveexec_b32 s8, s8
; %bb.2693:
	v_add_f32_e32 v1, 0x46800000, v4
; %bb.2694:
	s_or_b32 exec_lo, exec_lo, s8
                                        ; implicit-def: $vgpr4
.LBB6_2695:
	s_and_not1_saveexec_b32 s7, s7
; %bb.2696:
	v_mov_b32_e32 v1, 0x7f
	v_cmp_lt_u32_e32 vcc_lo, 0x7f800000, v4
	s_delay_alu instid0(VALU_DEP_2)
	v_cndmask_b32_e32 v1, 0x7e, v1, vcc_lo
; %bb.2697:
	s_or_b32 exec_lo, exec_lo, s7
	global_store_b8 v[2:3], v1, off
.LBB6_2698:
	s_mov_b32 s7, 0
.LBB6_2699:
	s_delay_alu instid0(SALU_CYCLE_1)
	s_and_not1_b32 vcc_lo, exec_lo, s7
	s_cbranch_vccnz .LBB6_2709
; %bb.2700:
	s_wait_xcnt 0x0
	v_cndmask_b32_e64 v4, 0, 1.0, s3
	s_mov_b32 s7, exec_lo
                                        ; implicit-def: $vgpr1
	s_delay_alu instid0(VALU_DEP_1)
	v_cmpx_gt_u32_e32 0x47800000, v4
	s_xor_b32 s7, exec_lo, s7
	s_cbranch_execz .LBB6_2706
; %bb.2701:
	s_mov_b32 s8, exec_lo
                                        ; implicit-def: $vgpr1
	v_cmpx_lt_u32_e32 0x387fffff, v4
	s_xor_b32 s8, exec_lo, s8
; %bb.2702:
	v_bfe_u32 v1, v4, 21, 1
	s_delay_alu instid0(VALU_DEP_1) | instskip(NEXT) | instid1(VALU_DEP_1)
	v_add3_u32 v1, v4, v1, 0x80fffff
                                        ; implicit-def: $vgpr4
	v_lshrrev_b32_e32 v1, 21, v1
; %bb.2703:
	s_and_not1_saveexec_b32 s8, s8
; %bb.2704:
	v_add_f32_e32 v1, 0x43000000, v4
; %bb.2705:
	s_or_b32 exec_lo, exec_lo, s8
                                        ; implicit-def: $vgpr4
.LBB6_2706:
	s_and_not1_saveexec_b32 s7, s7
; %bb.2707:
	v_mov_b32_e32 v1, 0x7f
	v_cmp_lt_u32_e32 vcc_lo, 0x7f800000, v4
	s_delay_alu instid0(VALU_DEP_2)
	v_cndmask_b32_e32 v1, 0x7c, v1, vcc_lo
; %bb.2708:
	s_or_b32 exec_lo, exec_lo, s7
	global_store_b8 v[2:3], v1, off
.LBB6_2709:
	s_mov_b32 s7, 0
	s_mov_b32 s8, -1
.LBB6_2710:
	s_and_not1_b32 vcc_lo, exec_lo, s7
	s_mov_b32 s7, 0
	s_cbranch_vccnz .LBB6_2717
; %bb.2711:
	s_cmp_gt_i32 s6, 14
	s_mov_b32 s7, -1
	s_cbranch_scc0 .LBB6_2715
; %bb.2712:
	s_cmp_eq_u32 s6, 15
	s_mov_b32 s0, -1
	s_cbranch_scc0 .LBB6_2714
; %bb.2713:
	s_wait_xcnt 0x0
	v_cndmask_b32_e64 v1, 0, 1.0, s3
	s_mov_b32 s0, 0
	s_mov_b32 s8, -1
	s_delay_alu instid0(VALU_DEP_1) | instskip(NEXT) | instid1(VALU_DEP_1)
	v_bfe_u32 v4, v1, 16, 1
	v_add3_u32 v1, v1, v4, 0x7fff
	global_store_d16_hi_b16 v[2:3], v1, off
.LBB6_2714:
	s_mov_b32 s7, 0
.LBB6_2715:
	s_delay_alu instid0(SALU_CYCLE_1)
	s_and_b32 vcc_lo, exec_lo, s7
	s_mov_b32 s7, 0
	s_cbranch_vccz .LBB6_2717
; %bb.2716:
	s_cmp_lg_u32 s6, 11
	s_mov_b32 s7, -1
	s_cselect_b32 s0, -1, 0
.LBB6_2717:
	s_delay_alu instid0(SALU_CYCLE_1)
	s_and_b32 vcc_lo, exec_lo, s0
	s_cbranch_vccnz .LBB6_3011
; %bb.2718:
	s_and_not1_b32 vcc_lo, exec_lo, s7
	s_cbranch_vccnz .LBB6_2720
.LBB6_2719:
	s_wait_xcnt 0x0
	v_cndmask_b32_e64 v1, 0, 1, s3
	s_mov_b32 s8, -1
	global_store_b8 v[2:3], v1, off
.LBB6_2720:
	s_mov_b32 s0, 0
	s_branch .LBB6_2722
.LBB6_2721:
	s_mov_b32 s0, -1
	s_mov_b32 s8, 0
.LBB6_2722:
	s_and_b32 vcc_lo, exec_lo, s0
	s_cbranch_vccz .LBB6_2761
; %bb.2723:
	s_and_b32 s0, 0xffff, s17
	s_mov_b32 s6, -1
	s_cmp_lt_i32 s0, 5
	s_cbranch_scc1 .LBB6_2744
; %bb.2724:
	s_cmp_lt_i32 s0, 8
	s_cbranch_scc1 .LBB6_2734
; %bb.2725:
	;; [unrolled: 3-line block ×3, first 2 shown]
	s_cmp_gt_i32 s0, 9
	s_cbranch_scc0 .LBB6_2728
; %bb.2727:
	s_wait_xcnt 0x0
	v_cndmask_b32_e64 v1, 0, 1, s3
	v_mov_b32_e32 v6, 0
	s_mov_b32 s6, 0
	s_delay_alu instid0(VALU_DEP_2) | instskip(NEXT) | instid1(VALU_DEP_2)
	v_cvt_f64_u32_e32 v[4:5], v1
	v_mov_b32_e32 v7, v6
	global_store_b128 v[2:3], v[4:7], off
.LBB6_2728:
	s_and_not1_b32 vcc_lo, exec_lo, s6
	s_cbranch_vccnz .LBB6_2730
; %bb.2729:
	s_wait_xcnt 0x0
	v_cndmask_b32_e64 v4, 0, 1.0, s3
	v_mov_b32_e32 v5, 0
	global_store_b64 v[2:3], v[4:5], off
.LBB6_2730:
	s_mov_b32 s6, 0
.LBB6_2731:
	s_delay_alu instid0(SALU_CYCLE_1)
	s_and_not1_b32 vcc_lo, exec_lo, s6
	s_cbranch_vccnz .LBB6_2733
; %bb.2732:
	s_wait_xcnt 0x0
	v_cndmask_b32_e64 v1, 0, 1.0, s3
	s_delay_alu instid0(VALU_DEP_1) | instskip(NEXT) | instid1(VALU_DEP_1)
	v_cvt_f16_f32_e32 v1, v1
	v_and_b32_e32 v1, 0xffff, v1
	global_store_b32 v[2:3], v1, off
.LBB6_2733:
	s_mov_b32 s6, 0
.LBB6_2734:
	s_delay_alu instid0(SALU_CYCLE_1)
	s_and_not1_b32 vcc_lo, exec_lo, s6
	s_cbranch_vccnz .LBB6_2743
; %bb.2735:
	s_cmp_lt_i32 s0, 6
	s_mov_b32 s6, -1
	s_cbranch_scc1 .LBB6_2741
; %bb.2736:
	s_cmp_gt_i32 s0, 6
	s_cbranch_scc0 .LBB6_2738
; %bb.2737:
	s_wait_xcnt 0x0
	v_cndmask_b32_e64 v1, 0, 1, s3
	s_mov_b32 s6, 0
	s_delay_alu instid0(VALU_DEP_1)
	v_cvt_f64_u32_e32 v[4:5], v1
	global_store_b64 v[2:3], v[4:5], off
.LBB6_2738:
	s_and_not1_b32 vcc_lo, exec_lo, s6
	s_cbranch_vccnz .LBB6_2740
; %bb.2739:
	s_wait_xcnt 0x0
	v_cndmask_b32_e64 v1, 0, 1.0, s3
	global_store_b32 v[2:3], v1, off
.LBB6_2740:
	s_mov_b32 s6, 0
.LBB6_2741:
	s_delay_alu instid0(SALU_CYCLE_1)
	s_and_not1_b32 vcc_lo, exec_lo, s6
	s_cbranch_vccnz .LBB6_2743
; %bb.2742:
	s_wait_xcnt 0x0
	v_cndmask_b32_e64 v1, 0, 1.0, s3
	s_delay_alu instid0(VALU_DEP_1)
	v_cvt_f16_f32_e32 v1, v1
	global_store_b16 v[2:3], v1, off
.LBB6_2743:
	s_mov_b32 s6, 0
.LBB6_2744:
	s_delay_alu instid0(SALU_CYCLE_1)
	s_and_not1_b32 vcc_lo, exec_lo, s6
	s_cbranch_vccnz .LBB6_2760
; %bb.2745:
	s_cmp_lt_i32 s0, 2
	s_mov_b32 s6, -1
	s_cbranch_scc1 .LBB6_2755
; %bb.2746:
	s_cmp_lt_i32 s0, 3
	s_cbranch_scc1 .LBB6_2752
; %bb.2747:
	s_cmp_gt_i32 s0, 3
	s_cbranch_scc0 .LBB6_2749
; %bb.2748:
	s_mov_b32 s6, 0
	s_wait_xcnt 0x0
	v_cndmask_b32_e64 v4, 0, 1, s3
	v_mov_b32_e32 v5, s6
	global_store_b64 v[2:3], v[4:5], off
.LBB6_2749:
	s_and_not1_b32 vcc_lo, exec_lo, s6
	s_cbranch_vccnz .LBB6_2751
; %bb.2750:
	s_wait_xcnt 0x0
	v_cndmask_b32_e64 v1, 0, 1, s3
	global_store_b32 v[2:3], v1, off
.LBB6_2751:
	s_mov_b32 s6, 0
.LBB6_2752:
	s_delay_alu instid0(SALU_CYCLE_1)
	s_and_not1_b32 vcc_lo, exec_lo, s6
	s_cbranch_vccnz .LBB6_2754
; %bb.2753:
	s_wait_xcnt 0x0
	v_cndmask_b32_e64 v1, 0, 1, s3
	global_store_b16 v[2:3], v1, off
.LBB6_2754:
	s_mov_b32 s6, 0
.LBB6_2755:
	s_delay_alu instid0(SALU_CYCLE_1)
	s_and_not1_b32 vcc_lo, exec_lo, s6
	s_cbranch_vccnz .LBB6_2760
; %bb.2756:
	s_wait_xcnt 0x0
	v_cndmask_b32_e64 v1, 0, 1, s3
	s_cmp_gt_i32 s0, 0
	s_mov_b32 s0, -1
	s_cbranch_scc0 .LBB6_2758
; %bb.2757:
	s_mov_b32 s0, 0
	global_store_b8 v[2:3], v1, off
.LBB6_2758:
	s_and_not1_b32 vcc_lo, exec_lo, s0
	s_cbranch_vccnz .LBB6_2760
; %bb.2759:
	global_store_b8 v[2:3], v1, off
.LBB6_2760:
	s_mov_b32 s8, -1
.LBB6_2761:
	s_delay_alu instid0(SALU_CYCLE_1)
	s_and_not1_b32 vcc_lo, exec_lo, s8
	s_cbranch_vccnz .LBB6_2957
; %bb.2762:
	v_add_nc_u32_e32 v0, s2, v0
	s_wait_xcnt 0x0
	v_and_b32_e32 v2, 0xff, v10
	v_and_b32_e32 v3, 0xff, v8
	s_delay_alu instid0(VALU_DEP_3) | instskip(NEXT) | instid1(VALU_DEP_2)
	v_ashrrev_i32_e32 v1, 31, v0
	v_cmp_ne_u16_e32 vcc_lo, v3, v2
	s_delay_alu instid0(VALU_DEP_2)
	v_add_nc_u64_e32 v[2:3], s[4:5], v[0:1]
	s_xor_b32 s3, s1, vcc_lo
	s_cmp_lt_i32 s17, 11
	s_cbranch_scc1 .LBB6_2840
; %bb.2763:
	s_and_b32 s6, 0xffff, s17
	s_mov_b32 s9, -1
	s_mov_b32 s7, 0
	s_cmp_gt_i32 s6, 25
	s_mov_b32 s8, 0
	s_mov_b32 s0, 0
	s_cbranch_scc0 .LBB6_2796
; %bb.2764:
	s_cmp_gt_i32 s6, 28
	s_cbranch_scc0 .LBB6_2779
; %bb.2765:
	s_cmp_gt_i32 s6, 43
	;; [unrolled: 3-line block ×3, first 2 shown]
	s_cbranch_scc0 .LBB6_2769
; %bb.2767:
	s_mov_b32 s0, -1
	s_mov_b32 s9, 0
	s_cmp_eq_u32 s6, 46
	s_cbranch_scc0 .LBB6_2769
; %bb.2768:
	v_cndmask_b32_e64 v1, 0, 1.0, s3
	s_mov_b32 s0, 0
	s_mov_b32 s8, -1
	s_delay_alu instid0(VALU_DEP_1) | instskip(NEXT) | instid1(VALU_DEP_1)
	v_bfe_u32 v4, v1, 16, 1
	v_add3_u32 v1, v1, v4, 0x7fff
	s_delay_alu instid0(VALU_DEP_1)
	v_lshrrev_b32_e32 v1, 16, v1
	global_store_b32 v[2:3], v1, off
.LBB6_2769:
	s_and_b32 vcc_lo, exec_lo, s9
	s_cbranch_vccz .LBB6_2774
; %bb.2770:
	s_cmp_eq_u32 s6, 44
	s_mov_b32 s0, -1
	s_cbranch_scc0 .LBB6_2774
; %bb.2771:
	v_cndmask_b32_e64 v5, 0, 1.0, s3
	s_mov_b32 s8, exec_lo
	s_wait_xcnt 0x0
	s_delay_alu instid0(VALU_DEP_1) | instskip(NEXT) | instid1(VALU_DEP_1)
	v_dual_mov_b32 v4, 0xff :: v_dual_lshrrev_b32 v1, 23, v5
	v_cmpx_ne_u32_e32 0xff, v1
; %bb.2772:
	v_and_b32_e32 v4, 0x400000, v5
	v_and_or_b32 v5, 0x3fffff, v5, v1
	s_delay_alu instid0(VALU_DEP_2) | instskip(NEXT) | instid1(VALU_DEP_2)
	v_cmp_ne_u32_e32 vcc_lo, 0, v4
	v_cmp_ne_u32_e64 s0, 0, v5
	s_and_b32 s0, vcc_lo, s0
	s_delay_alu instid0(SALU_CYCLE_1) | instskip(NEXT) | instid1(VALU_DEP_1)
	v_cndmask_b32_e64 v4, 0, 1, s0
	v_add_nc_u32_e32 v4, v1, v4
; %bb.2773:
	s_or_b32 exec_lo, exec_lo, s8
	s_mov_b32 s0, 0
	s_mov_b32 s8, -1
	global_store_b8 v[2:3], v4, off
.LBB6_2774:
	s_mov_b32 s9, 0
.LBB6_2775:
	s_delay_alu instid0(SALU_CYCLE_1)
	s_and_b32 vcc_lo, exec_lo, s9
	s_cbranch_vccz .LBB6_2778
; %bb.2776:
	s_cmp_eq_u32 s6, 29
	s_mov_b32 s0, -1
	s_cbranch_scc0 .LBB6_2778
; %bb.2777:
	s_mov_b32 s0, 0
	s_wait_xcnt 0x0
	v_cndmask_b32_e64 v4, 0, 1, s3
	v_mov_b32_e32 v5, s0
	s_mov_b32 s8, -1
	global_store_b64 v[2:3], v[4:5], off
.LBB6_2778:
	s_mov_b32 s9, 0
.LBB6_2779:
	s_delay_alu instid0(SALU_CYCLE_1)
	s_and_b32 vcc_lo, exec_lo, s9
	s_cbranch_vccz .LBB6_2795
; %bb.2780:
	s_cmp_lt_i32 s6, 27
	s_mov_b32 s8, -1
	s_cbranch_scc1 .LBB6_2786
; %bb.2781:
	s_cmp_gt_i32 s6, 27
	s_cbranch_scc0 .LBB6_2783
; %bb.2782:
	s_wait_xcnt 0x0
	v_cndmask_b32_e64 v1, 0, 1, s3
	s_mov_b32 s8, 0
	global_store_b32 v[2:3], v1, off
.LBB6_2783:
	s_and_not1_b32 vcc_lo, exec_lo, s8
	s_cbranch_vccnz .LBB6_2785
; %bb.2784:
	s_wait_xcnt 0x0
	v_cndmask_b32_e64 v1, 0, 1, s3
	global_store_b16 v[2:3], v1, off
.LBB6_2785:
	s_mov_b32 s8, 0
.LBB6_2786:
	s_delay_alu instid0(SALU_CYCLE_1)
	s_and_not1_b32 vcc_lo, exec_lo, s8
	s_cbranch_vccnz .LBB6_2794
; %bb.2787:
	s_wait_xcnt 0x0
	v_cndmask_b32_e64 v4, 0, 1.0, s3
	v_mov_b32_e32 v5, 0x80
	s_mov_b32 s8, exec_lo
	s_delay_alu instid0(VALU_DEP_2)
	v_cmpx_gt_u32_e32 0x43800000, v4
	s_cbranch_execz .LBB6_2793
; %bb.2788:
	s_mov_b32 s9, 0
	s_mov_b32 s10, exec_lo
                                        ; implicit-def: $vgpr1
	v_cmpx_lt_u32_e32 0x3bffffff, v4
	s_xor_b32 s10, exec_lo, s10
	s_cbranch_execz .LBB6_3014
; %bb.2789:
	v_bfe_u32 v1, v4, 20, 1
	s_mov_b32 s9, exec_lo
	s_delay_alu instid0(VALU_DEP_1) | instskip(NEXT) | instid1(VALU_DEP_1)
	v_add3_u32 v1, v4, v1, 0x487ffff
                                        ; implicit-def: $vgpr4
	v_lshrrev_b32_e32 v1, 20, v1
	s_and_not1_saveexec_b32 s10, s10
	s_cbranch_execnz .LBB6_3015
.LBB6_2790:
	s_or_b32 exec_lo, exec_lo, s10
	v_mov_b32_e32 v5, 0
	s_and_saveexec_b32 s10, s9
.LBB6_2791:
	v_mov_b32_e32 v5, v1
.LBB6_2792:
	s_or_b32 exec_lo, exec_lo, s10
.LBB6_2793:
	s_delay_alu instid0(SALU_CYCLE_1)
	s_or_b32 exec_lo, exec_lo, s8
	global_store_b8 v[2:3], v5, off
.LBB6_2794:
	s_mov_b32 s8, -1
.LBB6_2795:
	s_mov_b32 s9, 0
.LBB6_2796:
	s_delay_alu instid0(SALU_CYCLE_1)
	s_and_b32 vcc_lo, exec_lo, s9
	s_cbranch_vccz .LBB6_2836
; %bb.2797:
	s_cmp_gt_i32 s6, 22
	s_mov_b32 s7, -1
	s_cbranch_scc0 .LBB6_2829
; %bb.2798:
	s_cmp_lt_i32 s6, 24
	s_cbranch_scc1 .LBB6_2818
; %bb.2799:
	s_cmp_gt_i32 s6, 24
	s_cbranch_scc0 .LBB6_2807
; %bb.2800:
	s_wait_xcnt 0x0
	v_cndmask_b32_e64 v4, 0, 1.0, s3
	v_mov_b32_e32 v5, 0x80
	s_mov_b32 s7, exec_lo
	s_delay_alu instid0(VALU_DEP_2)
	v_cmpx_gt_u32_e32 0x47800000, v4
	s_cbranch_execz .LBB6_2806
; %bb.2801:
	s_mov_b32 s8, 0
	s_mov_b32 s9, exec_lo
                                        ; implicit-def: $vgpr1
	v_cmpx_lt_u32_e32 0x37ffffff, v4
	s_xor_b32 s9, exec_lo, s9
	s_cbranch_execz .LBB6_3017
; %bb.2802:
	v_bfe_u32 v1, v4, 21, 1
	s_mov_b32 s8, exec_lo
	s_delay_alu instid0(VALU_DEP_1) | instskip(NEXT) | instid1(VALU_DEP_1)
	v_add3_u32 v1, v4, v1, 0x88fffff
                                        ; implicit-def: $vgpr4
	v_lshrrev_b32_e32 v1, 21, v1
	s_and_not1_saveexec_b32 s9, s9
	s_cbranch_execnz .LBB6_3018
.LBB6_2803:
	s_or_b32 exec_lo, exec_lo, s9
	v_mov_b32_e32 v5, 0
	s_and_saveexec_b32 s9, s8
.LBB6_2804:
	v_mov_b32_e32 v5, v1
.LBB6_2805:
	s_or_b32 exec_lo, exec_lo, s9
.LBB6_2806:
	s_delay_alu instid0(SALU_CYCLE_1)
	s_or_b32 exec_lo, exec_lo, s7
	s_mov_b32 s7, 0
	global_store_b8 v[2:3], v5, off
.LBB6_2807:
	s_and_b32 vcc_lo, exec_lo, s7
	s_cbranch_vccz .LBB6_2817
; %bb.2808:
	s_wait_xcnt 0x0
	v_cndmask_b32_e64 v4, 0, 1.0, s3
	s_mov_b32 s7, exec_lo
                                        ; implicit-def: $vgpr1
	s_delay_alu instid0(VALU_DEP_1)
	v_cmpx_gt_u32_e32 0x43f00000, v4
	s_xor_b32 s7, exec_lo, s7
	s_cbranch_execz .LBB6_2814
; %bb.2809:
	s_mov_b32 s8, exec_lo
                                        ; implicit-def: $vgpr1
	v_cmpx_lt_u32_e32 0x3c7fffff, v4
	s_xor_b32 s8, exec_lo, s8
; %bb.2810:
	v_bfe_u32 v1, v4, 20, 1
	s_delay_alu instid0(VALU_DEP_1) | instskip(NEXT) | instid1(VALU_DEP_1)
	v_add3_u32 v1, v4, v1, 0x407ffff
	v_and_b32_e32 v4, 0xff00000, v1
	v_lshrrev_b32_e32 v1, 20, v1
	s_delay_alu instid0(VALU_DEP_2) | instskip(NEXT) | instid1(VALU_DEP_2)
	v_cmp_ne_u32_e32 vcc_lo, 0x7f00000, v4
                                        ; implicit-def: $vgpr4
	v_cndmask_b32_e32 v1, 0x7e, v1, vcc_lo
; %bb.2811:
	s_and_not1_saveexec_b32 s8, s8
; %bb.2812:
	v_add_f32_e32 v1, 0x46800000, v4
; %bb.2813:
	s_or_b32 exec_lo, exec_lo, s8
                                        ; implicit-def: $vgpr4
.LBB6_2814:
	s_and_not1_saveexec_b32 s7, s7
; %bb.2815:
	v_mov_b32_e32 v1, 0x7f
	v_cmp_lt_u32_e32 vcc_lo, 0x7f800000, v4
	s_delay_alu instid0(VALU_DEP_2)
	v_cndmask_b32_e32 v1, 0x7e, v1, vcc_lo
; %bb.2816:
	s_or_b32 exec_lo, exec_lo, s7
	global_store_b8 v[2:3], v1, off
.LBB6_2817:
	s_mov_b32 s7, 0
.LBB6_2818:
	s_delay_alu instid0(SALU_CYCLE_1)
	s_and_not1_b32 vcc_lo, exec_lo, s7
	s_cbranch_vccnz .LBB6_2828
; %bb.2819:
	s_wait_xcnt 0x0
	v_cndmask_b32_e64 v4, 0, 1.0, s3
	s_mov_b32 s7, exec_lo
                                        ; implicit-def: $vgpr1
	s_delay_alu instid0(VALU_DEP_1)
	v_cmpx_gt_u32_e32 0x47800000, v4
	s_xor_b32 s7, exec_lo, s7
	s_cbranch_execz .LBB6_2825
; %bb.2820:
	s_mov_b32 s8, exec_lo
                                        ; implicit-def: $vgpr1
	v_cmpx_lt_u32_e32 0x387fffff, v4
	s_xor_b32 s8, exec_lo, s8
; %bb.2821:
	v_bfe_u32 v1, v4, 21, 1
	s_delay_alu instid0(VALU_DEP_1) | instskip(NEXT) | instid1(VALU_DEP_1)
	v_add3_u32 v1, v4, v1, 0x80fffff
                                        ; implicit-def: $vgpr4
	v_lshrrev_b32_e32 v1, 21, v1
; %bb.2822:
	s_and_not1_saveexec_b32 s8, s8
; %bb.2823:
	v_add_f32_e32 v1, 0x43000000, v4
; %bb.2824:
	s_or_b32 exec_lo, exec_lo, s8
                                        ; implicit-def: $vgpr4
.LBB6_2825:
	s_and_not1_saveexec_b32 s7, s7
; %bb.2826:
	v_mov_b32_e32 v1, 0x7f
	v_cmp_lt_u32_e32 vcc_lo, 0x7f800000, v4
	s_delay_alu instid0(VALU_DEP_2)
	v_cndmask_b32_e32 v1, 0x7c, v1, vcc_lo
; %bb.2827:
	s_or_b32 exec_lo, exec_lo, s7
	global_store_b8 v[2:3], v1, off
.LBB6_2828:
	s_mov_b32 s7, 0
	s_mov_b32 s8, -1
.LBB6_2829:
	s_and_not1_b32 vcc_lo, exec_lo, s7
	s_mov_b32 s7, 0
	s_cbranch_vccnz .LBB6_2836
; %bb.2830:
	s_cmp_gt_i32 s6, 14
	s_mov_b32 s7, -1
	s_cbranch_scc0 .LBB6_2834
; %bb.2831:
	s_cmp_eq_u32 s6, 15
	s_mov_b32 s0, -1
	s_cbranch_scc0 .LBB6_2833
; %bb.2832:
	s_wait_xcnt 0x0
	v_cndmask_b32_e64 v1, 0, 1.0, s3
	s_mov_b32 s0, 0
	s_mov_b32 s8, -1
	s_delay_alu instid0(VALU_DEP_1) | instskip(NEXT) | instid1(VALU_DEP_1)
	v_bfe_u32 v4, v1, 16, 1
	v_add3_u32 v1, v1, v4, 0x7fff
	global_store_d16_hi_b16 v[2:3], v1, off
.LBB6_2833:
	s_mov_b32 s7, 0
.LBB6_2834:
	s_delay_alu instid0(SALU_CYCLE_1)
	s_and_b32 vcc_lo, exec_lo, s7
	s_mov_b32 s7, 0
	s_cbranch_vccz .LBB6_2836
; %bb.2835:
	s_cmp_lg_u32 s6, 11
	s_mov_b32 s7, -1
	s_cselect_b32 s0, -1, 0
.LBB6_2836:
	s_delay_alu instid0(SALU_CYCLE_1)
	s_and_b32 vcc_lo, exec_lo, s0
	s_cbranch_vccnz .LBB6_3016
; %bb.2837:
	s_and_not1_b32 vcc_lo, exec_lo, s7
	s_cbranch_vccnz .LBB6_2839
.LBB6_2838:
	s_wait_xcnt 0x0
	v_cndmask_b32_e64 v1, 0, 1, s3
	s_mov_b32 s8, -1
	global_store_b8 v[2:3], v1, off
.LBB6_2839:
	s_mov_b32 s0, 0
	s_branch .LBB6_2841
.LBB6_2840:
	s_mov_b32 s0, -1
	s_mov_b32 s8, 0
.LBB6_2841:
	s_and_b32 vcc_lo, exec_lo, s0
	s_cbranch_vccz .LBB6_2880
; %bb.2842:
	s_and_b32 s0, 0xffff, s17
	s_mov_b32 s6, -1
	s_cmp_lt_i32 s0, 5
	s_cbranch_scc1 .LBB6_2863
; %bb.2843:
	s_cmp_lt_i32 s0, 8
	s_cbranch_scc1 .LBB6_2853
; %bb.2844:
	;; [unrolled: 3-line block ×3, first 2 shown]
	s_cmp_gt_i32 s0, 9
	s_cbranch_scc0 .LBB6_2847
; %bb.2846:
	s_wait_xcnt 0x0
	v_cndmask_b32_e64 v1, 0, 1, s3
	v_mov_b32_e32 v6, 0
	s_mov_b32 s6, 0
	s_delay_alu instid0(VALU_DEP_2) | instskip(NEXT) | instid1(VALU_DEP_2)
	v_cvt_f64_u32_e32 v[4:5], v1
	v_mov_b32_e32 v7, v6
	global_store_b128 v[2:3], v[4:7], off
.LBB6_2847:
	s_and_not1_b32 vcc_lo, exec_lo, s6
	s_cbranch_vccnz .LBB6_2849
; %bb.2848:
	s_wait_xcnt 0x0
	v_cndmask_b32_e64 v4, 0, 1.0, s3
	v_mov_b32_e32 v5, 0
	global_store_b64 v[2:3], v[4:5], off
.LBB6_2849:
	s_mov_b32 s6, 0
.LBB6_2850:
	s_delay_alu instid0(SALU_CYCLE_1)
	s_and_not1_b32 vcc_lo, exec_lo, s6
	s_cbranch_vccnz .LBB6_2852
; %bb.2851:
	s_wait_xcnt 0x0
	v_cndmask_b32_e64 v1, 0, 1.0, s3
	s_delay_alu instid0(VALU_DEP_1) | instskip(NEXT) | instid1(VALU_DEP_1)
	v_cvt_f16_f32_e32 v1, v1
	v_and_b32_e32 v1, 0xffff, v1
	global_store_b32 v[2:3], v1, off
.LBB6_2852:
	s_mov_b32 s6, 0
.LBB6_2853:
	s_delay_alu instid0(SALU_CYCLE_1)
	s_and_not1_b32 vcc_lo, exec_lo, s6
	s_cbranch_vccnz .LBB6_2862
; %bb.2854:
	s_cmp_lt_i32 s0, 6
	s_mov_b32 s6, -1
	s_cbranch_scc1 .LBB6_2860
; %bb.2855:
	s_cmp_gt_i32 s0, 6
	s_cbranch_scc0 .LBB6_2857
; %bb.2856:
	s_wait_xcnt 0x0
	v_cndmask_b32_e64 v1, 0, 1, s3
	s_mov_b32 s6, 0
	s_delay_alu instid0(VALU_DEP_1)
	v_cvt_f64_u32_e32 v[4:5], v1
	global_store_b64 v[2:3], v[4:5], off
.LBB6_2857:
	s_and_not1_b32 vcc_lo, exec_lo, s6
	s_cbranch_vccnz .LBB6_2859
; %bb.2858:
	s_wait_xcnt 0x0
	v_cndmask_b32_e64 v1, 0, 1.0, s3
	global_store_b32 v[2:3], v1, off
.LBB6_2859:
	s_mov_b32 s6, 0
.LBB6_2860:
	s_delay_alu instid0(SALU_CYCLE_1)
	s_and_not1_b32 vcc_lo, exec_lo, s6
	s_cbranch_vccnz .LBB6_2862
; %bb.2861:
	s_wait_xcnt 0x0
	v_cndmask_b32_e64 v1, 0, 1.0, s3
	s_delay_alu instid0(VALU_DEP_1)
	v_cvt_f16_f32_e32 v1, v1
	global_store_b16 v[2:3], v1, off
.LBB6_2862:
	s_mov_b32 s6, 0
.LBB6_2863:
	s_delay_alu instid0(SALU_CYCLE_1)
	s_and_not1_b32 vcc_lo, exec_lo, s6
	s_cbranch_vccnz .LBB6_2879
; %bb.2864:
	s_cmp_lt_i32 s0, 2
	s_mov_b32 s6, -1
	s_cbranch_scc1 .LBB6_2874
; %bb.2865:
	s_cmp_lt_i32 s0, 3
	s_cbranch_scc1 .LBB6_2871
; %bb.2866:
	s_cmp_gt_i32 s0, 3
	s_cbranch_scc0 .LBB6_2868
; %bb.2867:
	s_mov_b32 s6, 0
	s_wait_xcnt 0x0
	v_cndmask_b32_e64 v4, 0, 1, s3
	v_mov_b32_e32 v5, s6
	global_store_b64 v[2:3], v[4:5], off
.LBB6_2868:
	s_and_not1_b32 vcc_lo, exec_lo, s6
	s_cbranch_vccnz .LBB6_2870
; %bb.2869:
	s_wait_xcnt 0x0
	v_cndmask_b32_e64 v1, 0, 1, s3
	global_store_b32 v[2:3], v1, off
.LBB6_2870:
	s_mov_b32 s6, 0
.LBB6_2871:
	s_delay_alu instid0(SALU_CYCLE_1)
	s_and_not1_b32 vcc_lo, exec_lo, s6
	s_cbranch_vccnz .LBB6_2873
; %bb.2872:
	s_wait_xcnt 0x0
	v_cndmask_b32_e64 v1, 0, 1, s3
	global_store_b16 v[2:3], v1, off
.LBB6_2873:
	s_mov_b32 s6, 0
.LBB6_2874:
	s_delay_alu instid0(SALU_CYCLE_1)
	s_and_not1_b32 vcc_lo, exec_lo, s6
	s_cbranch_vccnz .LBB6_2879
; %bb.2875:
	s_wait_xcnt 0x0
	v_cndmask_b32_e64 v1, 0, 1, s3
	s_cmp_gt_i32 s0, 0
	s_mov_b32 s0, -1
	s_cbranch_scc0 .LBB6_2877
; %bb.2876:
	s_mov_b32 s0, 0
	global_store_b8 v[2:3], v1, off
.LBB6_2877:
	s_and_not1_b32 vcc_lo, exec_lo, s0
	s_cbranch_vccnz .LBB6_2879
; %bb.2878:
	global_store_b8 v[2:3], v1, off
.LBB6_2879:
	s_mov_b32 s8, -1
.LBB6_2880:
	s_delay_alu instid0(SALU_CYCLE_1)
	s_and_not1_b32 vcc_lo, exec_lo, s8
	s_cbranch_vccnz .LBB6_2957
; %bb.2881:
	v_add_nc_u32_e32 v0, s2, v0
	s_wait_xcnt 0x0
	v_and_b32_e32 v2, 0xff, v14
	v_and_b32_e32 v3, 0xff, v12
	s_delay_alu instid0(VALU_DEP_3) | instskip(NEXT) | instid1(VALU_DEP_2)
	v_ashrrev_i32_e32 v1, 31, v0
	v_cmp_ne_u16_e32 vcc_lo, v3, v2
	s_delay_alu instid0(VALU_DEP_2)
	v_add_nc_u64_e32 v[0:1], s[4:5], v[0:1]
	s_xor_b32 s18, s1, vcc_lo
	s_cmp_lt_i32 s17, 11
	s_cbranch_scc1 .LBB6_3002
; %bb.2882:
	s_and_b32 s1, 0xffff, s17
	s_mov_b32 s3, -1
	s_mov_b32 s2, 0
	s_cmp_gt_i32 s1, 25
	s_mov_b32 s0, 0
	s_cbranch_scc0 .LBB6_2915
; %bb.2883:
	s_cmp_gt_i32 s1, 28
	s_cbranch_scc0 .LBB6_2899
; %bb.2884:
	s_cmp_gt_i32 s1, 43
	;; [unrolled: 3-line block ×3, first 2 shown]
	s_cbranch_scc0 .LBB6_2889
; %bb.2886:
	s_cmp_eq_u32 s1, 46
	s_mov_b32 s0, -1
	s_cbranch_scc0 .LBB6_2888
; %bb.2887:
	v_cndmask_b32_e64 v2, 0, 1.0, s18
	s_mov_b32 s0, 0
	s_delay_alu instid0(VALU_DEP_1) | instskip(NEXT) | instid1(VALU_DEP_1)
	v_bfe_u32 v3, v2, 16, 1
	v_add3_u32 v2, v2, v3, 0x7fff
	s_delay_alu instid0(VALU_DEP_1)
	v_lshrrev_b32_e32 v2, 16, v2
	global_store_b32 v[0:1], v2, off
.LBB6_2888:
	s_mov_b32 s3, 0
.LBB6_2889:
	s_delay_alu instid0(SALU_CYCLE_1)
	s_and_b32 vcc_lo, exec_lo, s3
	s_cbranch_vccz .LBB6_2894
; %bb.2890:
	s_cmp_eq_u32 s1, 44
	s_mov_b32 s0, -1
	s_cbranch_scc0 .LBB6_2894
; %bb.2891:
	v_cndmask_b32_e64 v4, 0, 1.0, s18
	s_mov_b32 s3, exec_lo
	s_wait_xcnt 0x0
	s_delay_alu instid0(VALU_DEP_1) | instskip(NEXT) | instid1(VALU_DEP_1)
	v_dual_mov_b32 v3, 0xff :: v_dual_lshrrev_b32 v2, 23, v4
	v_cmpx_ne_u32_e32 0xff, v2
; %bb.2892:
	v_and_b32_e32 v3, 0x400000, v4
	v_and_or_b32 v4, 0x3fffff, v4, v2
	s_delay_alu instid0(VALU_DEP_2) | instskip(NEXT) | instid1(VALU_DEP_2)
	v_cmp_ne_u32_e32 vcc_lo, 0, v3
	v_cmp_ne_u32_e64 s0, 0, v4
	s_and_b32 s0, vcc_lo, s0
	s_delay_alu instid0(SALU_CYCLE_1) | instskip(NEXT) | instid1(VALU_DEP_1)
	v_cndmask_b32_e64 v3, 0, 1, s0
	v_add_nc_u32_e32 v3, v2, v3
; %bb.2893:
	s_or_b32 exec_lo, exec_lo, s3
	s_mov_b32 s0, 0
	global_store_b8 v[0:1], v3, off
.LBB6_2894:
	s_mov_b32 s3, 0
.LBB6_2895:
	s_delay_alu instid0(SALU_CYCLE_1)
	s_and_b32 vcc_lo, exec_lo, s3
	s_cbranch_vccz .LBB6_2898
; %bb.2896:
	s_cmp_eq_u32 s1, 29
	s_mov_b32 s0, -1
	s_cbranch_scc0 .LBB6_2898
; %bb.2897:
	s_mov_b32 s0, 0
	s_wait_xcnt 0x0
	v_cndmask_b32_e64 v2, 0, 1, s18
	v_mov_b32_e32 v3, s0
	global_store_b64 v[0:1], v[2:3], off
.LBB6_2898:
	s_mov_b32 s3, 0
.LBB6_2899:
	s_delay_alu instid0(SALU_CYCLE_1)
	s_and_b32 vcc_lo, exec_lo, s3
	s_cbranch_vccz .LBB6_2914
; %bb.2900:
	s_cmp_lt_i32 s1, 27
	s_mov_b32 s3, -1
	s_cbranch_scc1 .LBB6_2906
; %bb.2901:
	s_wait_xcnt 0x0
	v_cndmask_b32_e64 v2, 0, 1, s18
	s_cmp_gt_i32 s1, 27
	s_cbranch_scc0 .LBB6_2903
; %bb.2902:
	s_mov_b32 s3, 0
	global_store_b32 v[0:1], v2, off
.LBB6_2903:
	s_and_not1_b32 vcc_lo, exec_lo, s3
	s_cbranch_vccnz .LBB6_2905
; %bb.2904:
	global_store_b16 v[0:1], v2, off
.LBB6_2905:
	s_mov_b32 s3, 0
.LBB6_2906:
	s_delay_alu instid0(SALU_CYCLE_1)
	s_and_not1_b32 vcc_lo, exec_lo, s3
	s_cbranch_vccnz .LBB6_2914
; %bb.2907:
	s_wait_xcnt 0x0
	v_cndmask_b32_e64 v3, 0, 1.0, s18
	v_mov_b32_e32 v4, 0x80
	s_mov_b32 s3, exec_lo
	s_delay_alu instid0(VALU_DEP_2)
	v_cmpx_gt_u32_e32 0x43800000, v3
	s_cbranch_execz .LBB6_2913
; %bb.2908:
	s_mov_b32 s4, 0
	s_mov_b32 s5, exec_lo
                                        ; implicit-def: $vgpr2
	v_cmpx_lt_u32_e32 0x3bffffff, v3
	s_xor_b32 s5, exec_lo, s5
	s_cbranch_execz .LBB6_3019
; %bb.2909:
	v_bfe_u32 v2, v3, 20, 1
	s_mov_b32 s4, exec_lo
	s_delay_alu instid0(VALU_DEP_1) | instskip(NEXT) | instid1(VALU_DEP_1)
	v_add3_u32 v2, v3, v2, 0x487ffff
                                        ; implicit-def: $vgpr3
	v_lshrrev_b32_e32 v2, 20, v2
	s_and_not1_saveexec_b32 s5, s5
	s_cbranch_execnz .LBB6_3020
.LBB6_2910:
	s_or_b32 exec_lo, exec_lo, s5
	v_mov_b32_e32 v4, 0
	s_and_saveexec_b32 s5, s4
.LBB6_2911:
	v_mov_b32_e32 v4, v2
.LBB6_2912:
	s_or_b32 exec_lo, exec_lo, s5
.LBB6_2913:
	s_delay_alu instid0(SALU_CYCLE_1)
	s_or_b32 exec_lo, exec_lo, s3
	global_store_b8 v[0:1], v4, off
.LBB6_2914:
	s_mov_b32 s3, 0
.LBB6_2915:
	s_delay_alu instid0(SALU_CYCLE_1)
	s_and_b32 vcc_lo, exec_lo, s3
	s_cbranch_vccz .LBB6_2955
; %bb.2916:
	s_cmp_gt_i32 s1, 22
	s_mov_b32 s2, -1
	s_cbranch_scc0 .LBB6_2948
; %bb.2917:
	s_cmp_lt_i32 s1, 24
	s_cbranch_scc1 .LBB6_2937
; %bb.2918:
	s_cmp_gt_i32 s1, 24
	s_cbranch_scc0 .LBB6_2926
; %bb.2919:
	s_wait_xcnt 0x0
	v_cndmask_b32_e64 v3, 0, 1.0, s18
	v_mov_b32_e32 v4, 0x80
	s_mov_b32 s2, exec_lo
	s_delay_alu instid0(VALU_DEP_2)
	v_cmpx_gt_u32_e32 0x47800000, v3
	s_cbranch_execz .LBB6_2925
; %bb.2920:
	s_mov_b32 s3, 0
	s_mov_b32 s4, exec_lo
                                        ; implicit-def: $vgpr2
	v_cmpx_lt_u32_e32 0x37ffffff, v3
	s_xor_b32 s4, exec_lo, s4
	s_cbranch_execz .LBB6_3022
; %bb.2921:
	v_bfe_u32 v2, v3, 21, 1
	s_mov_b32 s3, exec_lo
	s_delay_alu instid0(VALU_DEP_1) | instskip(NEXT) | instid1(VALU_DEP_1)
	v_add3_u32 v2, v3, v2, 0x88fffff
                                        ; implicit-def: $vgpr3
	v_lshrrev_b32_e32 v2, 21, v2
	s_and_not1_saveexec_b32 s4, s4
	s_cbranch_execnz .LBB6_3023
.LBB6_2922:
	s_or_b32 exec_lo, exec_lo, s4
	v_mov_b32_e32 v4, 0
	s_and_saveexec_b32 s4, s3
.LBB6_2923:
	v_mov_b32_e32 v4, v2
.LBB6_2924:
	s_or_b32 exec_lo, exec_lo, s4
.LBB6_2925:
	s_delay_alu instid0(SALU_CYCLE_1)
	s_or_b32 exec_lo, exec_lo, s2
	s_mov_b32 s2, 0
	global_store_b8 v[0:1], v4, off
.LBB6_2926:
	s_and_b32 vcc_lo, exec_lo, s2
	s_cbranch_vccz .LBB6_2936
; %bb.2927:
	s_wait_xcnt 0x0
	v_cndmask_b32_e64 v3, 0, 1.0, s18
	s_mov_b32 s2, exec_lo
                                        ; implicit-def: $vgpr2
	s_delay_alu instid0(VALU_DEP_1)
	v_cmpx_gt_u32_e32 0x43f00000, v3
	s_xor_b32 s2, exec_lo, s2
	s_cbranch_execz .LBB6_2933
; %bb.2928:
	s_mov_b32 s3, exec_lo
                                        ; implicit-def: $vgpr2
	v_cmpx_lt_u32_e32 0x3c7fffff, v3
	s_xor_b32 s3, exec_lo, s3
; %bb.2929:
	v_bfe_u32 v2, v3, 20, 1
	s_delay_alu instid0(VALU_DEP_1) | instskip(NEXT) | instid1(VALU_DEP_1)
	v_add3_u32 v2, v3, v2, 0x407ffff
	v_and_b32_e32 v3, 0xff00000, v2
	v_lshrrev_b32_e32 v2, 20, v2
	s_delay_alu instid0(VALU_DEP_2) | instskip(NEXT) | instid1(VALU_DEP_2)
	v_cmp_ne_u32_e32 vcc_lo, 0x7f00000, v3
                                        ; implicit-def: $vgpr3
	v_cndmask_b32_e32 v2, 0x7e, v2, vcc_lo
; %bb.2930:
	s_and_not1_saveexec_b32 s3, s3
; %bb.2931:
	v_add_f32_e32 v2, 0x46800000, v3
; %bb.2932:
	s_or_b32 exec_lo, exec_lo, s3
                                        ; implicit-def: $vgpr3
.LBB6_2933:
	s_and_not1_saveexec_b32 s2, s2
; %bb.2934:
	v_mov_b32_e32 v2, 0x7f
	v_cmp_lt_u32_e32 vcc_lo, 0x7f800000, v3
	s_delay_alu instid0(VALU_DEP_2)
	v_cndmask_b32_e32 v2, 0x7e, v2, vcc_lo
; %bb.2935:
	s_or_b32 exec_lo, exec_lo, s2
	global_store_b8 v[0:1], v2, off
.LBB6_2936:
	s_mov_b32 s2, 0
.LBB6_2937:
	s_delay_alu instid0(SALU_CYCLE_1)
	s_and_not1_b32 vcc_lo, exec_lo, s2
	s_cbranch_vccnz .LBB6_2947
; %bb.2938:
	s_wait_xcnt 0x0
	v_cndmask_b32_e64 v3, 0, 1.0, s18
	s_mov_b32 s2, exec_lo
                                        ; implicit-def: $vgpr2
	s_delay_alu instid0(VALU_DEP_1)
	v_cmpx_gt_u32_e32 0x47800000, v3
	s_xor_b32 s2, exec_lo, s2
	s_cbranch_execz .LBB6_2944
; %bb.2939:
	s_mov_b32 s3, exec_lo
                                        ; implicit-def: $vgpr2
	v_cmpx_lt_u32_e32 0x387fffff, v3
	s_xor_b32 s3, exec_lo, s3
; %bb.2940:
	v_bfe_u32 v2, v3, 21, 1
	s_delay_alu instid0(VALU_DEP_1) | instskip(NEXT) | instid1(VALU_DEP_1)
	v_add3_u32 v2, v3, v2, 0x80fffff
                                        ; implicit-def: $vgpr3
	v_lshrrev_b32_e32 v2, 21, v2
; %bb.2941:
	s_and_not1_saveexec_b32 s3, s3
; %bb.2942:
	v_add_f32_e32 v2, 0x43000000, v3
; %bb.2943:
	s_or_b32 exec_lo, exec_lo, s3
                                        ; implicit-def: $vgpr3
.LBB6_2944:
	s_and_not1_saveexec_b32 s2, s2
; %bb.2945:
	v_mov_b32_e32 v2, 0x7f
	v_cmp_lt_u32_e32 vcc_lo, 0x7f800000, v3
	s_delay_alu instid0(VALU_DEP_2)
	v_cndmask_b32_e32 v2, 0x7c, v2, vcc_lo
; %bb.2946:
	s_or_b32 exec_lo, exec_lo, s2
	global_store_b8 v[0:1], v2, off
.LBB6_2947:
	s_mov_b32 s2, 0
.LBB6_2948:
	s_delay_alu instid0(SALU_CYCLE_1)
	s_and_not1_b32 vcc_lo, exec_lo, s2
	s_mov_b32 s2, 0
	s_cbranch_vccnz .LBB6_2955
; %bb.2949:
	s_cmp_gt_i32 s1, 14
	s_mov_b32 s2, -1
	s_cbranch_scc0 .LBB6_2953
; %bb.2950:
	s_cmp_eq_u32 s1, 15
	s_mov_b32 s0, -1
	s_cbranch_scc0 .LBB6_2952
; %bb.2951:
	s_wait_xcnt 0x0
	v_cndmask_b32_e64 v2, 0, 1.0, s18
	s_mov_b32 s0, 0
	s_delay_alu instid0(VALU_DEP_1) | instskip(NEXT) | instid1(VALU_DEP_1)
	v_bfe_u32 v3, v2, 16, 1
	v_add3_u32 v2, v2, v3, 0x7fff
	global_store_d16_hi_b16 v[0:1], v2, off
.LBB6_2952:
	s_mov_b32 s2, 0
.LBB6_2953:
	s_delay_alu instid0(SALU_CYCLE_1)
	s_and_b32 vcc_lo, exec_lo, s2
	s_mov_b32 s2, 0
	s_cbranch_vccz .LBB6_2955
; %bb.2954:
	s_cmp_lg_u32 s1, 11
	s_mov_b32 s2, -1
	s_cselect_b32 s0, -1, 0
.LBB6_2955:
	s_delay_alu instid0(SALU_CYCLE_1)
	s_and_b32 vcc_lo, exec_lo, s0
	s_cbranch_vccnz .LBB6_3021
.LBB6_2956:
	s_mov_b32 s0, 0
	s_branch .LBB6_2958
.LBB6_2957:
	s_mov_b32 s0, 0
	s_mov_b32 s2, 0
                                        ; implicit-def: $sgpr18
                                        ; implicit-def: $sgpr17
                                        ; implicit-def: $vgpr0_vgpr1
.LBB6_2958:
	s_and_not1_b32 s1, s16, exec_lo
	s_and_b32 s3, s13, exec_lo
	s_and_b32 s0, s0, exec_lo
	;; [unrolled: 1-line block ×3, first 2 shown]
	s_or_b32 s16, s1, s3
.LBB6_2959:
	s_wait_xcnt 0x0
	s_or_b32 exec_lo, exec_lo, s15
	s_and_saveexec_b32 s1, s16
	s_cbranch_execz .LBB6_2962
; %bb.2960:
	; divergent unreachable
	s_or_b32 exec_lo, exec_lo, s1
	s_and_saveexec_b32 s1, s13
	s_delay_alu instid0(SALU_CYCLE_1)
	s_xor_b32 s1, exec_lo, s1
	s_cbranch_execnz .LBB6_2963
.LBB6_2961:
	s_or_b32 exec_lo, exec_lo, s1
	s_and_saveexec_b32 s1, s0
	s_cbranch_execnz .LBB6_2964
	s_branch .LBB6_3001
.LBB6_2962:
	s_or_b32 exec_lo, exec_lo, s1
	s_and_saveexec_b32 s1, s13
	s_delay_alu instid0(SALU_CYCLE_1)
	s_xor_b32 s1, exec_lo, s1
	s_cbranch_execz .LBB6_2961
.LBB6_2963:
	s_wait_loadcnt 0x0
	v_cndmask_b32_e64 v2, 0, 1, s18
	global_store_b8 v[0:1], v2, off
	s_wait_xcnt 0x0
	s_or_b32 exec_lo, exec_lo, s1
	s_and_saveexec_b32 s1, s0
	s_cbranch_execz .LBB6_3001
.LBB6_2964:
	s_sext_i32_i16 s1, s17
	s_mov_b32 s0, -1
	s_cmp_lt_i32 s1, 5
	s_cbranch_scc1 .LBB6_2985
; %bb.2965:
	s_cmp_lt_i32 s1, 8
	s_cbranch_scc1 .LBB6_2975
; %bb.2966:
	;; [unrolled: 3-line block ×3, first 2 shown]
	s_cmp_gt_i32 s1, 9
	s_cbranch_scc0 .LBB6_2969
; %bb.2968:
	s_wait_loadcnt 0x0
	v_cndmask_b32_e64 v2, 0, 1, s18
	v_mov_b32_e32 v4, 0
	s_mov_b32 s0, 0
	s_delay_alu instid0(VALU_DEP_2) | instskip(NEXT) | instid1(VALU_DEP_2)
	v_cvt_f64_u32_e32 v[2:3], v2
	v_mov_b32_e32 v5, v4
	global_store_b128 v[0:1], v[2:5], off
.LBB6_2969:
	s_and_not1_b32 vcc_lo, exec_lo, s0
	s_cbranch_vccnz .LBB6_2971
; %bb.2970:
	s_wait_loadcnt 0x0
	v_cndmask_b32_e64 v2, 0, 1.0, s18
	v_mov_b32_e32 v3, 0
	global_store_b64 v[0:1], v[2:3], off
.LBB6_2971:
	s_mov_b32 s0, 0
.LBB6_2972:
	s_delay_alu instid0(SALU_CYCLE_1)
	s_and_not1_b32 vcc_lo, exec_lo, s0
	s_cbranch_vccnz .LBB6_2974
; %bb.2973:
	s_wait_loadcnt 0x0
	v_cndmask_b32_e64 v2, 0, 1.0, s18
	s_delay_alu instid0(VALU_DEP_1) | instskip(NEXT) | instid1(VALU_DEP_1)
	v_cvt_f16_f32_e32 v2, v2
	v_and_b32_e32 v2, 0xffff, v2
	global_store_b32 v[0:1], v2, off
.LBB6_2974:
	s_mov_b32 s0, 0
.LBB6_2975:
	s_delay_alu instid0(SALU_CYCLE_1)
	s_and_not1_b32 vcc_lo, exec_lo, s0
	s_cbranch_vccnz .LBB6_2984
; %bb.2976:
	s_sext_i32_i16 s1, s17
	s_mov_b32 s0, -1
	s_cmp_lt_i32 s1, 6
	s_cbranch_scc1 .LBB6_2982
; %bb.2977:
	s_cmp_gt_i32 s1, 6
	s_cbranch_scc0 .LBB6_2979
; %bb.2978:
	s_wait_loadcnt 0x0
	v_cndmask_b32_e64 v2, 0, 1, s18
	s_mov_b32 s0, 0
	s_delay_alu instid0(VALU_DEP_1)
	v_cvt_f64_u32_e32 v[2:3], v2
	global_store_b64 v[0:1], v[2:3], off
.LBB6_2979:
	s_and_not1_b32 vcc_lo, exec_lo, s0
	s_cbranch_vccnz .LBB6_2981
; %bb.2980:
	s_wait_loadcnt 0x0
	v_cndmask_b32_e64 v2, 0, 1.0, s18
	global_store_b32 v[0:1], v2, off
.LBB6_2981:
	s_mov_b32 s0, 0
.LBB6_2982:
	s_delay_alu instid0(SALU_CYCLE_1)
	s_and_not1_b32 vcc_lo, exec_lo, s0
	s_cbranch_vccnz .LBB6_2984
; %bb.2983:
	s_wait_loadcnt 0x0
	v_cndmask_b32_e64 v2, 0, 1.0, s18
	s_delay_alu instid0(VALU_DEP_1)
	v_cvt_f16_f32_e32 v2, v2
	global_store_b16 v[0:1], v2, off
.LBB6_2984:
	s_mov_b32 s0, 0
.LBB6_2985:
	s_delay_alu instid0(SALU_CYCLE_1)
	s_and_not1_b32 vcc_lo, exec_lo, s0
	s_cbranch_vccnz .LBB6_3001
; %bb.2986:
	s_sext_i32_i16 s1, s17
	s_mov_b32 s0, -1
	s_cmp_lt_i32 s1, 2
	s_cbranch_scc1 .LBB6_2996
; %bb.2987:
	s_cmp_lt_i32 s1, 3
	s_cbranch_scc1 .LBB6_2993
; %bb.2988:
	s_cmp_gt_i32 s1, 3
	s_cbranch_scc0 .LBB6_2990
; %bb.2989:
	s_mov_b32 s0, 0
	s_wait_loadcnt 0x0
	v_cndmask_b32_e64 v2, 0, 1, s18
	v_mov_b32_e32 v3, s0
	global_store_b64 v[0:1], v[2:3], off
.LBB6_2990:
	s_and_not1_b32 vcc_lo, exec_lo, s0
	s_cbranch_vccnz .LBB6_2992
; %bb.2991:
	s_wait_loadcnt 0x0
	v_cndmask_b32_e64 v2, 0, 1, s18
	global_store_b32 v[0:1], v2, off
.LBB6_2992:
	s_mov_b32 s0, 0
.LBB6_2993:
	s_delay_alu instid0(SALU_CYCLE_1)
	s_and_not1_b32 vcc_lo, exec_lo, s0
	s_cbranch_vccnz .LBB6_2995
; %bb.2994:
	s_wait_loadcnt 0x0
	v_cndmask_b32_e64 v2, 0, 1, s18
	global_store_b16 v[0:1], v2, off
.LBB6_2995:
	s_mov_b32 s0, 0
.LBB6_2996:
	s_delay_alu instid0(SALU_CYCLE_1)
	s_and_not1_b32 vcc_lo, exec_lo, s0
	s_cbranch_vccnz .LBB6_3001
; %bb.2997:
	s_wait_loadcnt 0x0
	v_cndmask_b32_e64 v2, 0, 1, s18
	s_sext_i32_i16 s0, s17
	s_delay_alu instid0(SALU_CYCLE_1)
	s_cmp_gt_i32 s0, 0
	s_mov_b32 s0, -1
	s_cbranch_scc0 .LBB6_2999
; %bb.2998:
	s_mov_b32 s0, 0
	global_store_b8 v[0:1], v2, off
.LBB6_2999:
	s_and_not1_b32 vcc_lo, exec_lo, s0
	s_cbranch_vccnz .LBB6_3001
; %bb.3000:
	global_store_b8 v[0:1], v2, off
	s_endpgm
.LBB6_3001:
	s_endpgm
.LBB6_3002:
	s_mov_b32 s2, 0
	s_mov_b32 s0, -1
	s_branch .LBB6_2958
.LBB6_3003:
	s_or_b32 s13, s13, exec_lo
	s_trap 2
	s_cbranch_execz .LBB6_2473
	s_branch .LBB6_2474
.LBB6_3004:
	s_and_not1_saveexec_b32 s10, s10
	s_cbranch_execz .LBB6_2553
.LBB6_3005:
	v_add_f32_e32 v2, 0x46000000, v3
	s_and_not1_b32 s9, s9, exec_lo
	s_delay_alu instid0(VALU_DEP_1) | instskip(NEXT) | instid1(VALU_DEP_1)
	v_and_b32_e32 v2, 0xff, v2
	v_cmp_ne_u32_e32 vcc_lo, 0, v2
	s_and_b32 s11, vcc_lo, exec_lo
	s_delay_alu instid0(SALU_CYCLE_1)
	s_or_b32 s9, s9, s11
	s_or_b32 exec_lo, exec_lo, s10
	v_mov_b32_e32 v5, 0
	s_and_saveexec_b32 s10, s9
	s_cbranch_execnz .LBB6_2554
	s_branch .LBB6_2555
.LBB6_3006:
	s_or_b32 s13, s13, exec_lo
	s_trap 2
	s_cbranch_execz .LBB6_2601
	s_branch .LBB6_2602
.LBB6_3007:
	s_and_not1_saveexec_b32 s9, s9
	s_cbranch_execz .LBB6_2566
.LBB6_3008:
	v_add_f32_e32 v2, 0x42800000, v3
	s_and_not1_b32 s7, s7, exec_lo
	s_delay_alu instid0(VALU_DEP_1) | instskip(NEXT) | instid1(VALU_DEP_1)
	v_and_b32_e32 v2, 0xff, v2
	v_cmp_ne_u32_e32 vcc_lo, 0, v2
	s_and_b32 s10, vcc_lo, exec_lo
	s_delay_alu instid0(SALU_CYCLE_1)
	s_or_b32 s7, s7, s10
	s_or_b32 exec_lo, exec_lo, s9
	v_mov_b32_e32 v5, 0
	s_and_saveexec_b32 s9, s7
	s_cbranch_execnz .LBB6_2567
	s_branch .LBB6_2568
.LBB6_3009:
	s_and_not1_saveexec_b32 s10, s10
	s_cbranch_execz .LBB6_2671
.LBB6_3010:
	v_add_f32_e32 v1, 0x46000000, v4
	s_and_not1_b32 s9, s9, exec_lo
	s_delay_alu instid0(VALU_DEP_1) | instskip(NEXT) | instid1(VALU_DEP_1)
	v_and_b32_e32 v1, 0xff, v1
	v_cmp_ne_u32_e32 vcc_lo, 0, v1
	s_and_b32 s11, vcc_lo, exec_lo
	s_delay_alu instid0(SALU_CYCLE_1)
	s_or_b32 s9, s9, s11
	s_or_b32 exec_lo, exec_lo, s10
	v_mov_b32_e32 v5, 0
	s_and_saveexec_b32 s10, s9
	s_cbranch_execnz .LBB6_2672
	s_branch .LBB6_2673
.LBB6_3011:
	s_or_b32 s13, s13, exec_lo
	s_trap 2
	s_cbranch_execz .LBB6_2719
	s_branch .LBB6_2720
.LBB6_3012:
	s_and_not1_saveexec_b32 s9, s9
	s_cbranch_execz .LBB6_2684
.LBB6_3013:
	v_add_f32_e32 v1, 0x42800000, v4
	s_and_not1_b32 s8, s8, exec_lo
	s_delay_alu instid0(VALU_DEP_1) | instskip(NEXT) | instid1(VALU_DEP_1)
	v_and_b32_e32 v1, 0xff, v1
	v_cmp_ne_u32_e32 vcc_lo, 0, v1
	s_and_b32 s10, vcc_lo, exec_lo
	s_delay_alu instid0(SALU_CYCLE_1)
	s_or_b32 s8, s8, s10
	s_or_b32 exec_lo, exec_lo, s9
	v_mov_b32_e32 v5, 0
	s_and_saveexec_b32 s9, s8
	s_cbranch_execnz .LBB6_2685
	s_branch .LBB6_2686
.LBB6_3014:
	s_and_not1_saveexec_b32 s10, s10
	s_cbranch_execz .LBB6_2790
.LBB6_3015:
	v_add_f32_e32 v1, 0x46000000, v4
	s_and_not1_b32 s9, s9, exec_lo
	s_delay_alu instid0(VALU_DEP_1) | instskip(NEXT) | instid1(VALU_DEP_1)
	v_and_b32_e32 v1, 0xff, v1
	v_cmp_ne_u32_e32 vcc_lo, 0, v1
	s_and_b32 s11, vcc_lo, exec_lo
	s_delay_alu instid0(SALU_CYCLE_1)
	s_or_b32 s9, s9, s11
	s_or_b32 exec_lo, exec_lo, s10
	v_mov_b32_e32 v5, 0
	s_and_saveexec_b32 s10, s9
	s_cbranch_execnz .LBB6_2791
	s_branch .LBB6_2792
.LBB6_3016:
	s_or_b32 s13, s13, exec_lo
	s_trap 2
	s_cbranch_execz .LBB6_2838
	s_branch .LBB6_2839
.LBB6_3017:
	s_and_not1_saveexec_b32 s9, s9
	s_cbranch_execz .LBB6_2803
.LBB6_3018:
	v_add_f32_e32 v1, 0x42800000, v4
	s_and_not1_b32 s8, s8, exec_lo
	s_delay_alu instid0(VALU_DEP_1) | instskip(NEXT) | instid1(VALU_DEP_1)
	v_and_b32_e32 v1, 0xff, v1
	v_cmp_ne_u32_e32 vcc_lo, 0, v1
	s_and_b32 s10, vcc_lo, exec_lo
	s_delay_alu instid0(SALU_CYCLE_1)
	s_or_b32 s8, s8, s10
	s_or_b32 exec_lo, exec_lo, s9
	v_mov_b32_e32 v5, 0
	s_and_saveexec_b32 s9, s8
	s_cbranch_execnz .LBB6_2804
	s_branch .LBB6_2805
.LBB6_3019:
	s_and_not1_saveexec_b32 s5, s5
	s_cbranch_execz .LBB6_2910
.LBB6_3020:
	v_add_f32_e32 v2, 0x46000000, v3
	s_and_not1_b32 s4, s4, exec_lo
	s_delay_alu instid0(VALU_DEP_1) | instskip(NEXT) | instid1(VALU_DEP_1)
	v_and_b32_e32 v2, 0xff, v2
	v_cmp_ne_u32_e32 vcc_lo, 0, v2
	s_and_b32 s6, vcc_lo, exec_lo
	s_delay_alu instid0(SALU_CYCLE_1)
	s_or_b32 s4, s4, s6
	s_or_b32 exec_lo, exec_lo, s5
	v_mov_b32_e32 v4, 0
	s_and_saveexec_b32 s5, s4
	s_cbranch_execnz .LBB6_2911
	s_branch .LBB6_2912
.LBB6_3021:
	s_mov_b32 s2, 0
	s_or_b32 s13, s13, exec_lo
	s_trap 2
	s_branch .LBB6_2956
.LBB6_3022:
	s_and_not1_saveexec_b32 s4, s4
	s_cbranch_execz .LBB6_2922
.LBB6_3023:
	v_add_f32_e32 v2, 0x42800000, v3
	s_and_not1_b32 s3, s3, exec_lo
	s_delay_alu instid0(VALU_DEP_1) | instskip(NEXT) | instid1(VALU_DEP_1)
	v_and_b32_e32 v2, 0xff, v2
	v_cmp_ne_u32_e32 vcc_lo, 0, v2
	s_and_b32 s5, vcc_lo, exec_lo
	s_delay_alu instid0(SALU_CYCLE_1)
	s_or_b32 s3, s3, s5
	s_or_b32 exec_lo, exec_lo, s4
	v_mov_b32_e32 v4, 0
	s_and_saveexec_b32 s4, s3
	s_cbranch_execnz .LBB6_2923
	s_branch .LBB6_2924
	.section	.rodata,"a",@progbits
	.p2align	6, 0x0
	.amdhsa_kernel _ZN2at6native32elementwise_kernel_manual_unrollILi128ELi4EZNS0_15gpu_kernel_implINS0_13BinaryFunctorIhhbNS0_12_GLOBAL__N_116CompareEqFunctorIhEEEEEEvRNS_18TensorIteratorBaseERKT_EUlibE_EEviT1_
		.amdhsa_group_segment_fixed_size 0
		.amdhsa_private_segment_fixed_size 0
		.amdhsa_kernarg_size 56
		.amdhsa_user_sgpr_count 2
		.amdhsa_user_sgpr_dispatch_ptr 0
		.amdhsa_user_sgpr_queue_ptr 0
		.amdhsa_user_sgpr_kernarg_segment_ptr 1
		.amdhsa_user_sgpr_dispatch_id 0
		.amdhsa_user_sgpr_kernarg_preload_length 0
		.amdhsa_user_sgpr_kernarg_preload_offset 0
		.amdhsa_user_sgpr_private_segment_size 0
		.amdhsa_wavefront_size32 1
		.amdhsa_uses_dynamic_stack 0
		.amdhsa_enable_private_segment 0
		.amdhsa_system_sgpr_workgroup_id_x 1
		.amdhsa_system_sgpr_workgroup_id_y 0
		.amdhsa_system_sgpr_workgroup_id_z 0
		.amdhsa_system_sgpr_workgroup_info 0
		.amdhsa_system_vgpr_workitem_id 0
		.amdhsa_next_free_vgpr 22
		.amdhsa_next_free_sgpr 37
		.amdhsa_named_barrier_count 0
		.amdhsa_reserve_vcc 1
		.amdhsa_float_round_mode_32 0
		.amdhsa_float_round_mode_16_64 0
		.amdhsa_float_denorm_mode_32 3
		.amdhsa_float_denorm_mode_16_64 3
		.amdhsa_fp16_overflow 0
		.amdhsa_memory_ordered 1
		.amdhsa_forward_progress 1
		.amdhsa_inst_pref_size 255
		.amdhsa_round_robin_scheduling 0
		.amdhsa_exception_fp_ieee_invalid_op 0
		.amdhsa_exception_fp_denorm_src 0
		.amdhsa_exception_fp_ieee_div_zero 0
		.amdhsa_exception_fp_ieee_overflow 0
		.amdhsa_exception_fp_ieee_underflow 0
		.amdhsa_exception_fp_ieee_inexact 0
		.amdhsa_exception_int_div_zero 0
	.end_amdhsa_kernel
	.section	.text._ZN2at6native32elementwise_kernel_manual_unrollILi128ELi4EZNS0_15gpu_kernel_implINS0_13BinaryFunctorIhhbNS0_12_GLOBAL__N_116CompareEqFunctorIhEEEEEEvRNS_18TensorIteratorBaseERKT_EUlibE_EEviT1_,"axG",@progbits,_ZN2at6native32elementwise_kernel_manual_unrollILi128ELi4EZNS0_15gpu_kernel_implINS0_13BinaryFunctorIhhbNS0_12_GLOBAL__N_116CompareEqFunctorIhEEEEEEvRNS_18TensorIteratorBaseERKT_EUlibE_EEviT1_,comdat
.Lfunc_end6:
	.size	_ZN2at6native32elementwise_kernel_manual_unrollILi128ELi4EZNS0_15gpu_kernel_implINS0_13BinaryFunctorIhhbNS0_12_GLOBAL__N_116CompareEqFunctorIhEEEEEEvRNS_18TensorIteratorBaseERKT_EUlibE_EEviT1_, .Lfunc_end6-_ZN2at6native32elementwise_kernel_manual_unrollILi128ELi4EZNS0_15gpu_kernel_implINS0_13BinaryFunctorIhhbNS0_12_GLOBAL__N_116CompareEqFunctorIhEEEEEEvRNS_18TensorIteratorBaseERKT_EUlibE_EEviT1_
                                        ; -- End function
	.set _ZN2at6native32elementwise_kernel_manual_unrollILi128ELi4EZNS0_15gpu_kernel_implINS0_13BinaryFunctorIhhbNS0_12_GLOBAL__N_116CompareEqFunctorIhEEEEEEvRNS_18TensorIteratorBaseERKT_EUlibE_EEviT1_.num_vgpr, 22
	.set _ZN2at6native32elementwise_kernel_manual_unrollILi128ELi4EZNS0_15gpu_kernel_implINS0_13BinaryFunctorIhhbNS0_12_GLOBAL__N_116CompareEqFunctorIhEEEEEEvRNS_18TensorIteratorBaseERKT_EUlibE_EEviT1_.num_agpr, 0
	.set _ZN2at6native32elementwise_kernel_manual_unrollILi128ELi4EZNS0_15gpu_kernel_implINS0_13BinaryFunctorIhhbNS0_12_GLOBAL__N_116CompareEqFunctorIhEEEEEEvRNS_18TensorIteratorBaseERKT_EUlibE_EEviT1_.numbered_sgpr, 37
	.set _ZN2at6native32elementwise_kernel_manual_unrollILi128ELi4EZNS0_15gpu_kernel_implINS0_13BinaryFunctorIhhbNS0_12_GLOBAL__N_116CompareEqFunctorIhEEEEEEvRNS_18TensorIteratorBaseERKT_EUlibE_EEviT1_.num_named_barrier, 0
	.set _ZN2at6native32elementwise_kernel_manual_unrollILi128ELi4EZNS0_15gpu_kernel_implINS0_13BinaryFunctorIhhbNS0_12_GLOBAL__N_116CompareEqFunctorIhEEEEEEvRNS_18TensorIteratorBaseERKT_EUlibE_EEviT1_.private_seg_size, 0
	.set _ZN2at6native32elementwise_kernel_manual_unrollILi128ELi4EZNS0_15gpu_kernel_implINS0_13BinaryFunctorIhhbNS0_12_GLOBAL__N_116CompareEqFunctorIhEEEEEEvRNS_18TensorIteratorBaseERKT_EUlibE_EEviT1_.uses_vcc, 1
	.set _ZN2at6native32elementwise_kernel_manual_unrollILi128ELi4EZNS0_15gpu_kernel_implINS0_13BinaryFunctorIhhbNS0_12_GLOBAL__N_116CompareEqFunctorIhEEEEEEvRNS_18TensorIteratorBaseERKT_EUlibE_EEviT1_.uses_flat_scratch, 0
	.set _ZN2at6native32elementwise_kernel_manual_unrollILi128ELi4EZNS0_15gpu_kernel_implINS0_13BinaryFunctorIhhbNS0_12_GLOBAL__N_116CompareEqFunctorIhEEEEEEvRNS_18TensorIteratorBaseERKT_EUlibE_EEviT1_.has_dyn_sized_stack, 0
	.set _ZN2at6native32elementwise_kernel_manual_unrollILi128ELi4EZNS0_15gpu_kernel_implINS0_13BinaryFunctorIhhbNS0_12_GLOBAL__N_116CompareEqFunctorIhEEEEEEvRNS_18TensorIteratorBaseERKT_EUlibE_EEviT1_.has_recursion, 0
	.set _ZN2at6native32elementwise_kernel_manual_unrollILi128ELi4EZNS0_15gpu_kernel_implINS0_13BinaryFunctorIhhbNS0_12_GLOBAL__N_116CompareEqFunctorIhEEEEEEvRNS_18TensorIteratorBaseERKT_EUlibE_EEviT1_.has_indirect_call, 0
	.section	.AMDGPU.csdata,"",@progbits
; Kernel info:
; codeLenInByte = 61428
; TotalNumSgprs: 39
; NumVgprs: 22
; ScratchSize: 0
; MemoryBound: 1
; FloatMode: 240
; IeeeMode: 1
; LDSByteSize: 0 bytes/workgroup (compile time only)
; SGPRBlocks: 0
; VGPRBlocks: 1
; NumSGPRsForWavesPerEU: 39
; NumVGPRsForWavesPerEU: 22
; NamedBarCnt: 0
; Occupancy: 16
; WaveLimiterHint : 0
; COMPUTE_PGM_RSRC2:SCRATCH_EN: 0
; COMPUTE_PGM_RSRC2:USER_SGPR: 2
; COMPUTE_PGM_RSRC2:TRAP_HANDLER: 0
; COMPUTE_PGM_RSRC2:TGID_X_EN: 1
; COMPUTE_PGM_RSRC2:TGID_Y_EN: 0
; COMPUTE_PGM_RSRC2:TGID_Z_EN: 0
; COMPUTE_PGM_RSRC2:TIDIG_COMP_CNT: 0
	.section	.text._ZN2at6native32elementwise_kernel_manual_unrollILi128ELi4EZNS0_15gpu_kernel_implINS0_13BinaryFunctorIhhbNS0_12_GLOBAL__N_116CompareEqFunctorIhEEEEEEvRNS_18TensorIteratorBaseERKT_EUlibE0_EEviT1_,"axG",@progbits,_ZN2at6native32elementwise_kernel_manual_unrollILi128ELi4EZNS0_15gpu_kernel_implINS0_13BinaryFunctorIhhbNS0_12_GLOBAL__N_116CompareEqFunctorIhEEEEEEvRNS_18TensorIteratorBaseERKT_EUlibE0_EEviT1_,comdat
	.globl	_ZN2at6native32elementwise_kernel_manual_unrollILi128ELi4EZNS0_15gpu_kernel_implINS0_13BinaryFunctorIhhbNS0_12_GLOBAL__N_116CompareEqFunctorIhEEEEEEvRNS_18TensorIteratorBaseERKT_EUlibE0_EEviT1_ ; -- Begin function _ZN2at6native32elementwise_kernel_manual_unrollILi128ELi4EZNS0_15gpu_kernel_implINS0_13BinaryFunctorIhhbNS0_12_GLOBAL__N_116CompareEqFunctorIhEEEEEEvRNS_18TensorIteratorBaseERKT_EUlibE0_EEviT1_
	.p2align	8
	.type	_ZN2at6native32elementwise_kernel_manual_unrollILi128ELi4EZNS0_15gpu_kernel_implINS0_13BinaryFunctorIhhbNS0_12_GLOBAL__N_116CompareEqFunctorIhEEEEEEvRNS_18TensorIteratorBaseERKT_EUlibE0_EEviT1_,@function
_ZN2at6native32elementwise_kernel_manual_unrollILi128ELi4EZNS0_15gpu_kernel_implINS0_13BinaryFunctorIhhbNS0_12_GLOBAL__N_116CompareEqFunctorIhEEEEEEvRNS_18TensorIteratorBaseERKT_EUlibE0_EEviT1_: ; @_ZN2at6native32elementwise_kernel_manual_unrollILi128ELi4EZNS0_15gpu_kernel_implINS0_13BinaryFunctorIhhbNS0_12_GLOBAL__N_116CompareEqFunctorIhEEEEEEvRNS_18TensorIteratorBaseERKT_EUlibE0_EEviT1_
; %bb.0:
	s_clause 0x1
	s_load_b32 s28, s[0:1], 0x8
	s_load_b32 s37, s[0:1], 0x0
	s_bfe_u32 s2, ttmp6, 0x4000c
	s_and_b32 s3, ttmp6, 15
	s_add_co_i32 s2, s2, 1
	s_getreg_b32 s4, hwreg(HW_REG_IB_STS2, 6, 4)
	s_mul_i32 s2, ttmp9, s2
	s_mov_b32 s30, 0
	s_add_co_i32 s3, s3, s2
	s_cmp_eq_u32 s4, 0
	s_mov_b32 s27, -1
	s_cselect_b32 s2, ttmp9, s3
	s_mov_b32 s8, 0
	v_lshl_or_b32 v0, s2, 9, v0
	s_add_nc_u64 s[2:3], s[0:1], 8
	s_wait_xcnt 0x0
	s_mov_b32 s0, exec_lo
	s_delay_alu instid0(VALU_DEP_1) | instskip(SKIP_2) | instid1(SALU_CYCLE_1)
	v_or_b32_e32 v1, 0x180, v0
	s_wait_kmcnt 0x0
	s_add_co_i32 s29, s28, -1
	s_cmp_gt_u32 s29, 1
	s_cselect_b32 s31, -1, 0
	v_cmpx_le_i32_e64 s37, v1
	s_xor_b32 s33, exec_lo, s0
	s_cbranch_execz .LBB7_1561
; %bb.1:
	s_clause 0x4
	s_load_b128 s[12:15], s[2:3], 0x4
	s_load_b256 s[4:11], s[2:3], 0x188
	s_load_b64 s[0:1], s[2:3], 0x14
	s_load_b128 s[16:19], s[2:3], 0xc4
	s_load_b64 s[22:23], s[2:3], 0xd4
	s_cmp_lg_u32 s28, 0
	s_mov_b32 s21, 0
	s_cselect_b32 s38, -1, 0
	s_min_u32 s36, s29, 15
	s_cmp_gt_u32 s28, 1
	s_mov_b32 s25, s21
	s_cselect_b32 s35, -1, 0
	s_mov_b32 s41, s21
	s_mov_b32 s40, s21
	;; [unrolled: 1-line block ×3, first 2 shown]
	s_mov_b32 s42, exec_lo
	s_wait_kmcnt 0x0
	s_mov_b32 s20, s13
	s_lshr_b32 s34, s11, 8
	s_lshr_b32 s13, s11, 16
	s_cmp_eq_u32 s10, 0
	s_mov_b32 s24, s0
	s_cselect_b32 s10, -1, 0
	v_cmpx_gt_i32_e64 s37, v0
	s_cbranch_execz .LBB7_385
; %bb.2:
	s_and_not1_b32 vcc_lo, exec_lo, s31
	s_cbranch_vccnz .LBB7_8
; %bb.3:
	s_and_not1_b32 vcc_lo, exec_lo, s38
	s_cbranch_vccnz .LBB7_9
; %bb.4:
	v_dual_mov_b32 v2, 0 :: v_dual_mov_b32 v1, v0
	v_dual_mov_b32 v4, 0 :: v_dual_mov_b32 v6, 0
	s_add_co_i32 s0, s36, 1
	s_mov_b64 s[26:27], 0xffffffffffffffe8
	s_and_b32 s0, s0, 30
	s_add_nc_u64 s[26:27], s[2:3], s[26:27]
.LBB7_5:                                ; =>This Inner Loop Header: Depth=1
	s_clause 0x1
	s_load_b128 s[44:47], s[26:27], 0x1c
	s_load_b64 s[40:41], s[26:27], 0x2c
	s_add_co_i32 s0, s0, -2
	s_delay_alu instid0(SALU_CYCLE_1) | instskip(SKIP_2) | instid1(VALU_DEP_1)
	s_cmp_lg_u32 s0, 0
	s_wait_kmcnt 0x0
	v_mul_hi_u32 v3, s45, v1
	v_add_nc_u32_e32 v3, v1, v3
	s_delay_alu instid0(VALU_DEP_1) | instskip(NEXT) | instid1(VALU_DEP_1)
	v_lshrrev_b32_e32 v3, s46, v3
	v_mul_hi_u32 v5, s40, v3
	v_mul_lo_u32 v7, v3, s44
	s_clause 0x1
	s_load_b128 s[48:51], s[26:27], 0xdc
	s_load_b64 s[44:45], s[26:27], 0xec
	s_wait_xcnt 0x0
	s_add_nc_u64 s[26:27], s[26:27], 24
	s_delay_alu instid0(VALU_DEP_1) | instskip(NEXT) | instid1(VALU_DEP_1)
	v_dual_add_nc_u32 v5, v3, v5 :: v_dual_sub_nc_u32 v7, v1, v7
	v_lshrrev_b32_e32 v1, s41, v5
	s_wait_kmcnt 0x0
	s_delay_alu instid0(VALU_DEP_2) | instskip(NEXT) | instid1(VALU_DEP_2)
	v_mad_u32 v2, v7, s48, v2
	v_mul_lo_u32 v5, v1, s47
	v_mad_u32 v6, v7, s50, v6
	v_mad_u32 v4, v7, s49, v4
	s_delay_alu instid0(VALU_DEP_3) | instskip(NEXT) | instid1(VALU_DEP_1)
	v_sub_nc_u32_e32 v3, v3, v5
	v_mad_u32 v2, v3, s51, v2
	s_delay_alu instid0(VALU_DEP_4) | instskip(NEXT) | instid1(VALU_DEP_4)
	v_mad_u32 v6, v3, s45, v6
	v_mad_u32 v4, v3, s44, v4
	s_cbranch_scc1 .LBB7_5
; %bb.6:
	s_bitcmp1_b32 s36, 0
	s_cselect_b32 s0, -1, 0
	s_delay_alu instid0(SALU_CYCLE_1)
	s_and_b32 vcc_lo, exec_lo, s0
	s_cbranch_vccnz .LBB7_10
; %bb.7:
	s_clause 0x1
	s_load_b96 s[44:46], s[26:27], 0x1c
	s_load_b96 s[48:50], s[26:27], 0xdc
	s_wait_kmcnt 0x0
	v_mul_hi_u32 v3, s45, v1
	s_delay_alu instid0(VALU_DEP_1) | instskip(NEXT) | instid1(VALU_DEP_1)
	v_add_nc_u32_e32 v3, v1, v3
	v_lshrrev_b32_e32 v3, s46, v3
	s_delay_alu instid0(VALU_DEP_1) | instskip(NEXT) | instid1(VALU_DEP_1)
	v_mul_lo_u32 v3, v3, s44
	v_sub_nc_u32_e32 v1, v1, v3
	s_delay_alu instid0(VALU_DEP_1)
	v_mad_u32 v2, v1, s48, v2
	v_mad_u32 v4, v1, s49, v4
	;; [unrolled: 1-line block ×3, first 2 shown]
	s_cbranch_execz .LBB7_11
	s_branch .LBB7_13
.LBB7_8:
                                        ; implicit-def: $vgpr6
                                        ; implicit-def: $vgpr4
                                        ; implicit-def: $vgpr2
	s_branch .LBB7_11
.LBB7_9:
	v_dual_mov_b32 v6, 0 :: v_dual_mov_b32 v4, 0
	v_mov_b32_e32 v2, 0
.LBB7_10:
	s_cbranch_execnz .LBB7_13
.LBB7_11:
	v_mov_b32_e32 v1, 0
	s_and_not1_b32 vcc_lo, exec_lo, s35
	s_delay_alu instid0(VALU_DEP_1) | instskip(NEXT) | instid1(VALU_DEP_1)
	v_mul_u64_e32 v[2:3], s[20:21], v[0:1]
	v_add_nc_u32_e32 v2, v0, v3
	s_delay_alu instid0(VALU_DEP_1) | instskip(NEXT) | instid1(VALU_DEP_1)
	v_lshrrev_b32_e32 v8, s14, v2
	v_mul_lo_u32 v2, v8, s12
	s_delay_alu instid0(VALU_DEP_1) | instskip(NEXT) | instid1(VALU_DEP_1)
	v_sub_nc_u32_e32 v3, v0, v2
	v_mul_lo_u32 v2, v3, s16
	v_mul_lo_u32 v6, v3, s18
	;; [unrolled: 1-line block ×3, first 2 shown]
	s_cbranch_vccnz .LBB7_13
; %bb.12:
	v_mov_b32_e32 v9, v1
	s_delay_alu instid0(VALU_DEP_1) | instskip(NEXT) | instid1(VALU_DEP_1)
	v_mul_u64_e32 v[10:11], s[24:25], v[8:9]
	v_add_nc_u32_e32 v1, v8, v11
	s_delay_alu instid0(VALU_DEP_1) | instskip(NEXT) | instid1(VALU_DEP_1)
	v_lshrrev_b32_e32 v1, s1, v1
	v_mul_lo_u32 v1, v1, s15
	s_delay_alu instid0(VALU_DEP_1) | instskip(NEXT) | instid1(VALU_DEP_1)
	v_sub_nc_u32_e32 v1, v8, v1
	v_mad_u32 v2, v1, s19, v2
	v_mad_u32 v4, v1, s22, v4
	;; [unrolled: 1-line block ×3, first 2 shown]
.LBB7_13:
	v_mov_b32_e32 v5, 0
	s_and_b32 s0, s34, 0xff
	s_delay_alu instid0(SALU_CYCLE_1) | instskip(NEXT) | instid1(VALU_DEP_1)
	s_cmp_lt_i32 s0, 11
	v_add_nc_u64_e32 v[8:9], s[6:7], v[4:5]
	s_cbranch_scc1 .LBB7_20
; %bb.14:
	s_and_b32 s27, 0xffff, s0
	s_delay_alu instid0(SALU_CYCLE_1)
	s_cmp_gt_i32 s27, 25
	s_cbranch_scc0 .LBB7_29
; %bb.15:
	s_cmp_gt_i32 s27, 28
	s_cbranch_scc0 .LBB7_39
; %bb.16:
	;; [unrolled: 3-line block ×4, first 2 shown]
	s_cmp_eq_u32 s27, 46
	s_mov_b32 s40, 0
	s_cbranch_scc0 .LBB7_48
; %bb.19:
	global_load_b32 v1, v[8:9], off
	s_mov_b32 s39, -1
	s_mov_b32 s26, 0
	s_wait_loadcnt 0x0
	v_lshlrev_b32_e32 v1, 16, v1
	s_delay_alu instid0(VALU_DEP_1) | instskip(NEXT) | instid1(VALU_DEP_1)
	v_trunc_f32_e32 v1, v1
	v_mul_f32_e64 v3, 0x2f800000, |v1|
	s_delay_alu instid0(VALU_DEP_1) | instskip(NEXT) | instid1(VALU_DEP_1)
	v_floor_f32_e32 v3, v3
	v_fma_f32 v3, 0xcf800000, v3, |v1|
	v_ashrrev_i32_e32 v1, 31, v1
	s_delay_alu instid0(VALU_DEP_2) | instskip(NEXT) | instid1(VALU_DEP_1)
	v_cvt_u32_f32_e32 v3, v3
	v_xor_b32_e32 v3, v3, v1
	s_delay_alu instid0(VALU_DEP_1)
	v_sub_nc_u32_e32 v4, v3, v1
	s_branch .LBB7_50
.LBB7_20:
	s_mov_b32 s26, 0
	s_mov_b32 s39, 0
                                        ; implicit-def: $vgpr4
	s_cbranch_execnz .LBB7_112
.LBB7_21:
	s_and_not1_b32 vcc_lo, exec_lo, s39
	s_cbranch_vccnz .LBB7_159
.LBB7_22:
	v_mov_b32_e32 v7, 0
	s_and_b32 s0, s13, 0xff
	s_delay_alu instid0(SALU_CYCLE_1) | instskip(NEXT) | instid1(VALU_DEP_1)
	s_cmp_lt_i32 s0, 11
	v_add_nc_u64_e32 v[6:7], s[8:9], v[6:7]
	s_cbranch_scc1 .LBB7_30
; %bb.23:
	s_and_b32 s39, 0xffff, s0
	s_delay_alu instid0(SALU_CYCLE_1)
	s_cmp_gt_i32 s39, 25
	s_cbranch_scc0 .LBB7_40
; %bb.24:
	s_cmp_gt_i32 s39, 28
	s_cbranch_scc0 .LBB7_43
; %bb.25:
	;; [unrolled: 3-line block ×4, first 2 shown]
	s_cmp_eq_u32 s39, 46
	s_mov_b32 s41, 0
	s_cbranch_scc0 .LBB7_160
; %bb.28:
	global_load_b32 v1, v[6:7], off
	s_mov_b32 s40, -1
	s_mov_b32 s27, 0
	s_wait_loadcnt 0x0
	v_lshlrev_b32_e32 v1, 16, v1
	s_delay_alu instid0(VALU_DEP_1) | instskip(NEXT) | instid1(VALU_DEP_1)
	v_trunc_f32_e32 v1, v1
	v_mul_f32_e64 v3, 0x2f800000, |v1|
	s_delay_alu instid0(VALU_DEP_1) | instskip(NEXT) | instid1(VALU_DEP_1)
	v_floor_f32_e32 v3, v3
	v_fma_f32 v3, 0xcf800000, v3, |v1|
	v_ashrrev_i32_e32 v1, 31, v1
	s_delay_alu instid0(VALU_DEP_2) | instskip(NEXT) | instid1(VALU_DEP_1)
	v_cvt_u32_f32_e32 v3, v3
	v_xor_b32_e32 v3, v3, v1
	s_delay_alu instid0(VALU_DEP_1)
	v_sub_nc_u32_e32 v8, v3, v1
	s_branch .LBB7_162
.LBB7_29:
	s_mov_b32 s26, 0
	s_mov_b32 s39, 0
                                        ; implicit-def: $vgpr4
	s_cbranch_execnz .LBB7_79
	s_branch .LBB7_111
.LBB7_30:
	s_mov_b32 s27, 0
	s_mov_b32 s40, 0
                                        ; implicit-def: $vgpr8
	s_cbranch_execnz .LBB7_334
.LBB7_31:
	s_and_not1_b32 vcc_lo, exec_lo, s40
	s_cbranch_vccnz .LBB7_382
.LBB7_32:
	s_wait_loadcnt 0x0
	s_delay_alu instid0(VALU_DEP_1) | instskip(NEXT) | instid1(VALU_DEP_4)
	v_and_b32_e32 v1, 0xff, v8
	v_and_b32_e32 v4, 0xff, v4
	v_mov_b32_e32 v3, 0
	s_and_b32 s40, s11, 0xff
	s_delay_alu instid0(VALU_DEP_2) | instskip(NEXT) | instid1(VALU_DEP_2)
	v_cmp_ne_u16_e32 vcc_lo, v4, v1
	v_add_nc_u64_e32 v[2:3], s[4:5], v[2:3]
	s_xor_b32 s39, s10, vcc_lo
	s_cmp_lt_i32 s40, 11
	s_cbranch_scc1 .LBB7_41
; %bb.33:
	s_and_b32 s41, 0xffff, s40
	s_delay_alu instid0(SALU_CYCLE_1)
	s_cmp_gt_i32 s41, 25
	s_cbranch_scc0 .LBB7_44
; %bb.34:
	s_cmp_gt_i32 s41, 28
	s_cbranch_scc0 .LBB7_47
; %bb.35:
	;; [unrolled: 3-line block ×4, first 2 shown]
	s_mov_b32 s44, 0
	s_mov_b32 s0, -1
	s_cmp_eq_u32 s41, 46
	s_mov_b32 s43, 0
	s_cbranch_scc0 .LBB7_166
; %bb.38:
	v_cndmask_b32_e64 v1, 0, 1.0, s39
	s_mov_b32 s43, -1
	s_mov_b32 s0, 0
	s_delay_alu instid0(VALU_DEP_1) | instskip(NEXT) | instid1(VALU_DEP_1)
	v_bfe_u32 v4, v1, 16, 1
	v_add3_u32 v1, v1, v4, 0x7fff
	s_delay_alu instid0(VALU_DEP_1)
	v_lshrrev_b32_e32 v1, 16, v1
	global_store_b32 v[2:3], v1, off
	s_branch .LBB7_166
.LBB7_39:
	s_mov_b32 s40, -1
	s_mov_b32 s26, 0
	s_mov_b32 s39, 0
                                        ; implicit-def: $vgpr4
	s_branch .LBB7_62
.LBB7_40:
	s_mov_b32 s41, -1
	s_mov_b32 s27, 0
	s_mov_b32 s40, 0
                                        ; implicit-def: $vgpr8
	s_branch .LBB7_300
.LBB7_41:
	s_mov_b32 s41, -1
	s_mov_b32 s0, 0
	s_mov_b32 s43, 0
	s_branch .LBB7_235
.LBB7_42:
	s_mov_b32 s40, -1
	s_mov_b32 s26, 0
	s_mov_b32 s39, 0
                                        ; implicit-def: $vgpr4
	s_branch .LBB7_57
.LBB7_43:
	s_mov_b32 s41, -1
	s_mov_b32 s27, 0
	s_mov_b32 s40, 0
                                        ; implicit-def: $vgpr8
	s_branch .LBB7_283
.LBB7_44:
	s_mov_b32 s44, -1
	s_mov_b32 s0, 0
	s_mov_b32 s43, 0
	s_branch .LBB7_193
.LBB7_45:
	s_mov_b32 s40, -1
	s_mov_b32 s26, 0
	s_branch .LBB7_49
.LBB7_46:
	s_mov_b32 s41, -1
	s_mov_b32 s27, 0
	s_mov_b32 s40, 0
                                        ; implicit-def: $vgpr8
	s_branch .LBB7_278
.LBB7_47:
	s_mov_b32 s44, -1
	s_mov_b32 s0, 0
	s_mov_b32 s43, 0
	s_branch .LBB7_176
.LBB7_48:
	s_mov_b32 s26, -1
.LBB7_49:
	s_mov_b32 s39, 0
                                        ; implicit-def: $vgpr4
.LBB7_50:
	s_and_b32 vcc_lo, exec_lo, s40
	s_cbranch_vccz .LBB7_56
; %bb.51:
	s_cmp_eq_u32 s27, 44
	s_cbranch_scc0 .LBB7_55
; %bb.52:
	global_load_u8 v1, v[8:9], off
	s_mov_b32 s26, 0
	s_mov_b32 s39, -1
	s_wait_loadcnt 0x0
	v_lshlrev_b32_e32 v3, 23, v1
	v_cmp_ne_u32_e32 vcc_lo, 0, v1
	s_delay_alu instid0(VALU_DEP_2) | instskip(NEXT) | instid1(VALU_DEP_1)
	v_trunc_f32_e32 v3, v3
	v_mul_f32_e64 v4, 0x2f800000, |v3|
	s_delay_alu instid0(VALU_DEP_1) | instskip(NEXT) | instid1(VALU_DEP_1)
	v_floor_f32_e32 v4, v4
	v_fma_f32 v4, 0xcf800000, v4, |v3|
	v_ashrrev_i32_e32 v3, 31, v3
	s_delay_alu instid0(VALU_DEP_2) | instskip(NEXT) | instid1(VALU_DEP_1)
	v_cvt_u32_f32_e32 v4, v4
	v_xor_b32_e32 v4, v4, v3
	s_delay_alu instid0(VALU_DEP_1) | instskip(NEXT) | instid1(VALU_DEP_1)
	v_sub_nc_u32_e32 v3, v4, v3
	v_cndmask_b32_e32 v4, 0, v3, vcc_lo
	s_branch .LBB7_56
.LBB7_53:
	s_mov_b32 s41, -1
	s_mov_b32 s27, 0
	s_branch .LBB7_161
.LBB7_54:
	s_mov_b32 s44, -1
	s_mov_b32 s0, 0
	s_mov_b32 s43, 0
	s_branch .LBB7_172
.LBB7_55:
	s_mov_b32 s26, -1
                                        ; implicit-def: $vgpr4
.LBB7_56:
	s_mov_b32 s40, 0
.LBB7_57:
	s_delay_alu instid0(SALU_CYCLE_1)
	s_and_b32 vcc_lo, exec_lo, s40
	s_cbranch_vccz .LBB7_61
; %bb.58:
	s_cmp_eq_u32 s27, 29
	s_cbranch_scc0 .LBB7_60
; %bb.59:
	global_load_b64 v[4:5], v[8:9], off
	s_mov_b32 s39, -1
	s_mov_b32 s26, 0
	s_branch .LBB7_61
.LBB7_60:
	s_mov_b32 s26, -1
                                        ; implicit-def: $vgpr4
.LBB7_61:
	s_mov_b32 s40, 0
.LBB7_62:
	s_delay_alu instid0(SALU_CYCLE_1)
	s_and_b32 vcc_lo, exec_lo, s40
	s_cbranch_vccz .LBB7_78
; %bb.63:
	s_cmp_lt_i32 s27, 27
	s_cbranch_scc1 .LBB7_66
; %bb.64:
	s_cmp_gt_i32 s27, 27
	s_cbranch_scc0 .LBB7_67
; %bb.65:
	s_wait_loadcnt 0x0
	global_load_b32 v4, v[8:9], off
	s_mov_b32 s39, 0
	s_branch .LBB7_68
.LBB7_66:
	s_mov_b32 s39, -1
                                        ; implicit-def: $vgpr4
	s_branch .LBB7_71
.LBB7_67:
	s_mov_b32 s39, -1
                                        ; implicit-def: $vgpr4
.LBB7_68:
	s_delay_alu instid0(SALU_CYCLE_1)
	s_and_not1_b32 vcc_lo, exec_lo, s39
	s_cbranch_vccnz .LBB7_70
; %bb.69:
	s_wait_loadcnt 0x0
	global_load_u16 v4, v[8:9], off
.LBB7_70:
	s_mov_b32 s39, 0
.LBB7_71:
	s_delay_alu instid0(SALU_CYCLE_1)
	s_and_not1_b32 vcc_lo, exec_lo, s39
	s_cbranch_vccnz .LBB7_77
; %bb.72:
	global_load_u8 v1, v[8:9], off
	s_mov_b32 s40, 0
	s_mov_b32 s39, exec_lo
	s_wait_loadcnt 0x0
	v_cmpx_lt_i16_e32 0x7f, v1
	s_xor_b32 s39, exec_lo, s39
	s_cbranch_execz .LBB7_88
; %bb.73:
	v_cmp_ne_u16_e32 vcc_lo, 0x80, v1
	s_and_b32 s40, vcc_lo, exec_lo
	s_and_not1_saveexec_b32 s39, s39
	s_cbranch_execnz .LBB7_89
.LBB7_74:
	s_or_b32 exec_lo, exec_lo, s39
	v_mov_b32_e32 v4, 0
	s_and_saveexec_b32 s39, s40
	s_cbranch_execz .LBB7_76
.LBB7_75:
	v_and_b32_e32 v3, 0xffff, v1
	s_delay_alu instid0(VALU_DEP_1) | instskip(SKIP_1) | instid1(VALU_DEP_2)
	v_and_b32_e32 v4, 7, v3
	v_bfe_u32 v10, v3, 3, 4
	v_clz_i32_u32_e32 v5, v4
	s_delay_alu instid0(VALU_DEP_2) | instskip(NEXT) | instid1(VALU_DEP_2)
	v_cmp_eq_u32_e32 vcc_lo, 0, v10
	v_min_u32_e32 v5, 32, v5
	s_delay_alu instid0(VALU_DEP_1) | instskip(NEXT) | instid1(VALU_DEP_1)
	v_subrev_nc_u32_e32 v7, 28, v5
	v_dual_lshlrev_b32 v3, v7, v3 :: v_dual_sub_nc_u32 v5, 29, v5
	s_delay_alu instid0(VALU_DEP_1) | instskip(NEXT) | instid1(VALU_DEP_1)
	v_dual_lshlrev_b32 v1, 24, v1 :: v_dual_bitop2_b32 v3, 7, v3 bitop3:0x40
	v_dual_cndmask_b32 v3, v4, v3, vcc_lo :: v_dual_cndmask_b32 v5, v10, v5, vcc_lo
	s_delay_alu instid0(VALU_DEP_2) | instskip(NEXT) | instid1(VALU_DEP_2)
	v_and_b32_e32 v1, 0x80000000, v1
	v_lshlrev_b32_e32 v3, 20, v3
	s_delay_alu instid0(VALU_DEP_3) | instskip(NEXT) | instid1(VALU_DEP_1)
	v_lshl_add_u32 v4, v5, 23, 0x3b800000
	v_or3_b32 v1, v1, v4, v3
	s_delay_alu instid0(VALU_DEP_1) | instskip(NEXT) | instid1(VALU_DEP_1)
	v_trunc_f32_e32 v1, v1
	v_mul_f32_e64 v3, 0x2f800000, |v1|
	s_delay_alu instid0(VALU_DEP_1) | instskip(NEXT) | instid1(VALU_DEP_1)
	v_floor_f32_e32 v3, v3
	v_fma_f32 v3, 0xcf800000, v3, |v1|
	v_ashrrev_i32_e32 v1, 31, v1
	s_delay_alu instid0(VALU_DEP_2) | instskip(NEXT) | instid1(VALU_DEP_1)
	v_cvt_u32_f32_e32 v3, v3
	v_xor_b32_e32 v3, v3, v1
	s_delay_alu instid0(VALU_DEP_1)
	v_sub_nc_u32_e32 v4, v3, v1
.LBB7_76:
	s_or_b32 exec_lo, exec_lo, s39
.LBB7_77:
	s_mov_b32 s39, -1
.LBB7_78:
	s_branch .LBB7_111
.LBB7_79:
	s_cmp_gt_i32 s27, 22
	s_cbranch_scc0 .LBB7_87
; %bb.80:
	s_cmp_lt_i32 s27, 24
	s_cbranch_scc1 .LBB7_90
; %bb.81:
	s_cmp_gt_i32 s27, 24
	s_cbranch_scc0 .LBB7_91
; %bb.82:
	global_load_u8 v1, v[8:9], off
	s_mov_b32 s40, 0
	s_mov_b32 s39, exec_lo
	s_wait_loadcnt 0x0
	v_cmpx_lt_i16_e32 0x7f, v1
	s_xor_b32 s39, exec_lo, s39
	s_cbranch_execz .LBB7_103
; %bb.83:
	v_cmp_ne_u16_e32 vcc_lo, 0x80, v1
	s_and_b32 s40, vcc_lo, exec_lo
	s_and_not1_saveexec_b32 s39, s39
	s_cbranch_execnz .LBB7_104
.LBB7_84:
	s_or_b32 exec_lo, exec_lo, s39
	v_mov_b32_e32 v4, 0
	s_and_saveexec_b32 s39, s40
	s_cbranch_execz .LBB7_86
.LBB7_85:
	v_and_b32_e32 v3, 0xffff, v1
	s_delay_alu instid0(VALU_DEP_1) | instskip(SKIP_1) | instid1(VALU_DEP_2)
	v_and_b32_e32 v4, 3, v3
	v_bfe_u32 v10, v3, 2, 5
	v_clz_i32_u32_e32 v5, v4
	s_delay_alu instid0(VALU_DEP_2) | instskip(NEXT) | instid1(VALU_DEP_2)
	v_cmp_eq_u32_e32 vcc_lo, 0, v10
	v_min_u32_e32 v5, 32, v5
	s_delay_alu instid0(VALU_DEP_1) | instskip(NEXT) | instid1(VALU_DEP_1)
	v_subrev_nc_u32_e32 v7, 29, v5
	v_dual_lshlrev_b32 v3, v7, v3 :: v_dual_sub_nc_u32 v5, 30, v5
	s_delay_alu instid0(VALU_DEP_1) | instskip(NEXT) | instid1(VALU_DEP_1)
	v_dual_lshlrev_b32 v1, 24, v1 :: v_dual_bitop2_b32 v3, 3, v3 bitop3:0x40
	v_dual_cndmask_b32 v3, v4, v3, vcc_lo :: v_dual_cndmask_b32 v5, v10, v5, vcc_lo
	s_delay_alu instid0(VALU_DEP_2) | instskip(NEXT) | instid1(VALU_DEP_2)
	v_and_b32_e32 v1, 0x80000000, v1
	v_lshlrev_b32_e32 v3, 21, v3
	s_delay_alu instid0(VALU_DEP_3) | instskip(NEXT) | instid1(VALU_DEP_1)
	v_lshl_add_u32 v4, v5, 23, 0x37800000
	v_or3_b32 v1, v1, v4, v3
	s_delay_alu instid0(VALU_DEP_1) | instskip(NEXT) | instid1(VALU_DEP_1)
	v_trunc_f32_e32 v1, v1
	v_mul_f32_e64 v3, 0x2f800000, |v1|
	s_delay_alu instid0(VALU_DEP_1) | instskip(NEXT) | instid1(VALU_DEP_1)
	v_floor_f32_e32 v3, v3
	v_fma_f32 v3, 0xcf800000, v3, |v1|
	v_ashrrev_i32_e32 v1, 31, v1
	s_delay_alu instid0(VALU_DEP_2) | instskip(NEXT) | instid1(VALU_DEP_1)
	v_cvt_u32_f32_e32 v3, v3
	v_xor_b32_e32 v3, v3, v1
	s_delay_alu instid0(VALU_DEP_1)
	v_sub_nc_u32_e32 v4, v3, v1
.LBB7_86:
	s_or_b32 exec_lo, exec_lo, s39
	s_mov_b32 s39, 0
	s_branch .LBB7_92
.LBB7_87:
	s_mov_b32 s40, -1
                                        ; implicit-def: $vgpr4
	s_branch .LBB7_98
.LBB7_88:
	s_and_not1_saveexec_b32 s39, s39
	s_cbranch_execz .LBB7_74
.LBB7_89:
	v_cmp_ne_u16_e32 vcc_lo, 0, v1
	s_and_not1_b32 s40, s40, exec_lo
	s_and_b32 s41, vcc_lo, exec_lo
	s_delay_alu instid0(SALU_CYCLE_1)
	s_or_b32 s40, s40, s41
	s_or_b32 exec_lo, exec_lo, s39
	v_mov_b32_e32 v4, 0
	s_and_saveexec_b32 s39, s40
	s_cbranch_execnz .LBB7_75
	s_branch .LBB7_76
.LBB7_90:
	s_mov_b32 s39, -1
                                        ; implicit-def: $vgpr4
	s_branch .LBB7_95
.LBB7_91:
	s_mov_b32 s39, -1
                                        ; implicit-def: $vgpr4
.LBB7_92:
	s_delay_alu instid0(SALU_CYCLE_1)
	s_and_b32 vcc_lo, exec_lo, s39
	s_cbranch_vccz .LBB7_94
; %bb.93:
	global_load_u8 v1, v[8:9], off
	s_wait_loadcnt 0x0
	v_lshlrev_b32_e32 v1, 24, v1
	s_delay_alu instid0(VALU_DEP_1) | instskip(NEXT) | instid1(VALU_DEP_1)
	v_and_b32_e32 v3, 0x7f000000, v1
	v_clz_i32_u32_e32 v4, v3
	v_add_nc_u32_e32 v7, 0x1000000, v3
	v_cmp_ne_u32_e32 vcc_lo, 0, v3
	s_delay_alu instid0(VALU_DEP_3) | instskip(NEXT) | instid1(VALU_DEP_1)
	v_min_u32_e32 v4, 32, v4
	v_sub_nc_u32_e64 v4, v4, 4 clamp
	s_delay_alu instid0(VALU_DEP_1) | instskip(NEXT) | instid1(VALU_DEP_1)
	v_dual_lshlrev_b32 v5, v4, v3 :: v_dual_lshlrev_b32 v4, 23, v4
	v_lshrrev_b32_e32 v5, 4, v5
	s_delay_alu instid0(VALU_DEP_1) | instskip(NEXT) | instid1(VALU_DEP_1)
	v_dual_sub_nc_u32 v4, v5, v4 :: v_dual_ashrrev_i32 v5, 8, v7
	v_add_nc_u32_e32 v4, 0x3c000000, v4
	s_delay_alu instid0(VALU_DEP_1) | instskip(NEXT) | instid1(VALU_DEP_1)
	v_and_or_b32 v4, 0x7f800000, v5, v4
	v_cndmask_b32_e32 v3, 0, v4, vcc_lo
	s_delay_alu instid0(VALU_DEP_1) | instskip(NEXT) | instid1(VALU_DEP_1)
	v_and_or_b32 v1, 0x80000000, v1, v3
	v_trunc_f32_e32 v1, v1
	s_delay_alu instid0(VALU_DEP_1) | instskip(NEXT) | instid1(VALU_DEP_1)
	v_mul_f32_e64 v3, 0x2f800000, |v1|
	v_floor_f32_e32 v3, v3
	s_delay_alu instid0(VALU_DEP_1) | instskip(SKIP_1) | instid1(VALU_DEP_2)
	v_fma_f32 v3, 0xcf800000, v3, |v1|
	v_ashrrev_i32_e32 v1, 31, v1
	v_cvt_u32_f32_e32 v3, v3
	s_delay_alu instid0(VALU_DEP_1) | instskip(NEXT) | instid1(VALU_DEP_1)
	v_xor_b32_e32 v3, v3, v1
	v_sub_nc_u32_e32 v4, v3, v1
.LBB7_94:
	s_mov_b32 s39, 0
.LBB7_95:
	s_delay_alu instid0(SALU_CYCLE_1)
	s_and_not1_b32 vcc_lo, exec_lo, s39
	s_cbranch_vccnz .LBB7_97
; %bb.96:
	global_load_u8 v1, v[8:9], off
	s_wait_loadcnt 0x0
	v_lshlrev_b32_e32 v3, 25, v1
	v_lshlrev_b16 v1, 8, v1
	s_delay_alu instid0(VALU_DEP_1) | instskip(NEXT) | instid1(VALU_DEP_3)
	v_and_or_b32 v5, 0x7f00, v1, 0.5
	v_lshrrev_b32_e32 v4, 4, v3
	v_bfe_i32 v1, v1, 0, 16
	s_delay_alu instid0(VALU_DEP_3) | instskip(NEXT) | instid1(VALU_DEP_3)
	v_add_f32_e32 v5, -0.5, v5
	v_or_b32_e32 v4, 0x70000000, v4
	s_delay_alu instid0(VALU_DEP_1) | instskip(SKIP_1) | instid1(VALU_DEP_2)
	v_mul_f32_e32 v4, 0x7800000, v4
	v_cmp_gt_u32_e32 vcc_lo, 0x8000000, v3
	v_cndmask_b32_e32 v3, v4, v5, vcc_lo
	s_delay_alu instid0(VALU_DEP_1) | instskip(NEXT) | instid1(VALU_DEP_1)
	v_and_or_b32 v1, 0x80000000, v1, v3
	v_trunc_f32_e32 v1, v1
	s_delay_alu instid0(VALU_DEP_1) | instskip(NEXT) | instid1(VALU_DEP_1)
	v_mul_f32_e64 v3, 0x2f800000, |v1|
	v_floor_f32_e32 v3, v3
	s_delay_alu instid0(VALU_DEP_1) | instskip(SKIP_1) | instid1(VALU_DEP_2)
	v_fma_f32 v3, 0xcf800000, v3, |v1|
	v_ashrrev_i32_e32 v1, 31, v1
	v_cvt_u32_f32_e32 v3, v3
	s_delay_alu instid0(VALU_DEP_1) | instskip(NEXT) | instid1(VALU_DEP_1)
	v_xor_b32_e32 v3, v3, v1
	v_sub_nc_u32_e32 v4, v3, v1
.LBB7_97:
	s_mov_b32 s40, 0
	s_mov_b32 s39, -1
.LBB7_98:
	s_and_not1_b32 vcc_lo, exec_lo, s40
	s_cbranch_vccnz .LBB7_111
; %bb.99:
	s_cmp_gt_i32 s27, 14
	s_cbranch_scc0 .LBB7_102
; %bb.100:
	s_cmp_eq_u32 s27, 15
	s_cbranch_scc0 .LBB7_105
; %bb.101:
	global_load_u16 v1, v[8:9], off
	s_mov_b32 s39, -1
	s_mov_b32 s26, 0
	s_wait_loadcnt 0x0
	v_lshlrev_b32_e32 v1, 16, v1
	s_delay_alu instid0(VALU_DEP_1) | instskip(NEXT) | instid1(VALU_DEP_1)
	v_trunc_f32_e32 v1, v1
	v_mul_f32_e64 v3, 0x2f800000, |v1|
	s_delay_alu instid0(VALU_DEP_1) | instskip(NEXT) | instid1(VALU_DEP_1)
	v_floor_f32_e32 v3, v3
	v_fma_f32 v3, 0xcf800000, v3, |v1|
	v_ashrrev_i32_e32 v1, 31, v1
	s_delay_alu instid0(VALU_DEP_2) | instskip(NEXT) | instid1(VALU_DEP_1)
	v_cvt_u32_f32_e32 v3, v3
	v_xor_b32_e32 v3, v3, v1
	s_delay_alu instid0(VALU_DEP_1)
	v_sub_nc_u32_e32 v4, v3, v1
	s_branch .LBB7_106
.LBB7_102:
	s_mov_b32 s40, -1
                                        ; implicit-def: $vgpr4
	s_branch .LBB7_107
.LBB7_103:
	s_and_not1_saveexec_b32 s39, s39
	s_cbranch_execz .LBB7_84
.LBB7_104:
	v_cmp_ne_u16_e32 vcc_lo, 0, v1
	s_and_not1_b32 s40, s40, exec_lo
	s_and_b32 s41, vcc_lo, exec_lo
	s_delay_alu instid0(SALU_CYCLE_1)
	s_or_b32 s40, s40, s41
	s_or_b32 exec_lo, exec_lo, s39
	v_mov_b32_e32 v4, 0
	s_and_saveexec_b32 s39, s40
	s_cbranch_execnz .LBB7_85
	s_branch .LBB7_86
.LBB7_105:
	s_mov_b32 s26, -1
                                        ; implicit-def: $vgpr4
.LBB7_106:
	s_mov_b32 s40, 0
.LBB7_107:
	s_delay_alu instid0(SALU_CYCLE_1)
	s_and_b32 vcc_lo, exec_lo, s40
	s_cbranch_vccz .LBB7_111
; %bb.108:
	s_cmp_eq_u32 s27, 11
	s_cbranch_scc0 .LBB7_110
; %bb.109:
	global_load_u8 v1, v[8:9], off
	s_mov_b32 s26, 0
	s_mov_b32 s39, -1
	s_wait_loadcnt 0x0
	v_cmp_ne_u16_e32 vcc_lo, 0, v1
	v_cndmask_b32_e64 v4, 0, 1, vcc_lo
	s_branch .LBB7_111
.LBB7_110:
	s_mov_b32 s26, -1
                                        ; implicit-def: $vgpr4
.LBB7_111:
	s_branch .LBB7_21
.LBB7_112:
	s_and_b32 s0, 0xffff, s0
	s_delay_alu instid0(SALU_CYCLE_1)
	s_cmp_lt_i32 s0, 5
	s_cbranch_scc1 .LBB7_117
; %bb.113:
	s_cmp_lt_i32 s0, 8
	s_cbranch_scc1 .LBB7_118
; %bb.114:
	;; [unrolled: 3-line block ×3, first 2 shown]
	s_cmp_gt_i32 s0, 9
	s_cbranch_scc0 .LBB7_120
; %bb.116:
	s_wait_loadcnt 0x0
	global_load_b64 v[4:5], v[8:9], off
	s_mov_b32 s27, 0
	s_wait_loadcnt 0x0
	v_trunc_f64_e32 v[4:5], v[4:5]
	s_delay_alu instid0(VALU_DEP_1) | instskip(NEXT) | instid1(VALU_DEP_1)
	v_ldexp_f64 v[10:11], v[4:5], 0xffffffe0
	v_floor_f64_e32 v[10:11], v[10:11]
	s_delay_alu instid0(VALU_DEP_1) | instskip(NEXT) | instid1(VALU_DEP_1)
	v_fmamk_f64 v[4:5], v[10:11], 0xc1f00000, v[4:5]
	v_cvt_u32_f64_e32 v4, v[4:5]
	s_branch .LBB7_121
.LBB7_117:
                                        ; implicit-def: $vgpr4
	s_branch .LBB7_139
.LBB7_118:
	s_mov_b32 s27, -1
                                        ; implicit-def: $vgpr4
	s_branch .LBB7_127
.LBB7_119:
	s_mov_b32 s27, -1
                                        ; implicit-def: $vgpr4
	s_branch .LBB7_124
.LBB7_120:
	s_mov_b32 s27, -1
                                        ; implicit-def: $vgpr4
.LBB7_121:
	s_delay_alu instid0(SALU_CYCLE_1)
	s_and_not1_b32 vcc_lo, exec_lo, s27
	s_cbranch_vccnz .LBB7_123
; %bb.122:
	global_load_b32 v1, v[8:9], off
	s_wait_loadcnt 0x0
	v_trunc_f32_e32 v1, v1
	s_delay_alu instid0(VALU_DEP_1) | instskip(NEXT) | instid1(VALU_DEP_1)
	v_mul_f32_e64 v3, 0x2f800000, |v1|
	v_floor_f32_e32 v3, v3
	s_delay_alu instid0(VALU_DEP_1) | instskip(SKIP_1) | instid1(VALU_DEP_2)
	v_fma_f32 v3, 0xcf800000, v3, |v1|
	v_ashrrev_i32_e32 v1, 31, v1
	v_cvt_u32_f32_e32 v3, v3
	s_delay_alu instid0(VALU_DEP_1) | instskip(NEXT) | instid1(VALU_DEP_1)
	v_xor_b32_e32 v3, v3, v1
	v_sub_nc_u32_e32 v4, v3, v1
.LBB7_123:
	s_mov_b32 s27, 0
.LBB7_124:
	s_delay_alu instid0(SALU_CYCLE_1)
	s_and_not1_b32 vcc_lo, exec_lo, s27
	s_cbranch_vccnz .LBB7_126
; %bb.125:
	global_load_b32 v1, v[8:9], off
	s_wait_loadcnt 0x0
	v_cvt_f32_f16_e32 v1, v1
	s_delay_alu instid0(VALU_DEP_1)
	v_cvt_i32_f32_e32 v4, v1
.LBB7_126:
	s_mov_b32 s27, 0
.LBB7_127:
	s_delay_alu instid0(SALU_CYCLE_1)
	s_and_not1_b32 vcc_lo, exec_lo, s27
	s_cbranch_vccnz .LBB7_138
; %bb.128:
	s_cmp_lt_i32 s0, 6
	s_cbranch_scc1 .LBB7_131
; %bb.129:
	s_cmp_gt_i32 s0, 6
	s_cbranch_scc0 .LBB7_132
; %bb.130:
	s_wait_loadcnt 0x0
	global_load_b64 v[4:5], v[8:9], off
	s_mov_b32 s27, 0
	s_wait_loadcnt 0x0
	v_trunc_f64_e32 v[4:5], v[4:5]
	s_delay_alu instid0(VALU_DEP_1) | instskip(NEXT) | instid1(VALU_DEP_1)
	v_ldexp_f64 v[10:11], v[4:5], 0xffffffe0
	v_floor_f64_e32 v[10:11], v[10:11]
	s_delay_alu instid0(VALU_DEP_1) | instskip(NEXT) | instid1(VALU_DEP_1)
	v_fmamk_f64 v[4:5], v[10:11], 0xc1f00000, v[4:5]
	v_cvt_u32_f64_e32 v4, v[4:5]
	s_branch .LBB7_133
.LBB7_131:
	s_mov_b32 s27, -1
                                        ; implicit-def: $vgpr4
	s_branch .LBB7_136
.LBB7_132:
	s_mov_b32 s27, -1
                                        ; implicit-def: $vgpr4
.LBB7_133:
	s_delay_alu instid0(SALU_CYCLE_1)
	s_and_not1_b32 vcc_lo, exec_lo, s27
	s_cbranch_vccnz .LBB7_135
; %bb.134:
	global_load_b32 v1, v[8:9], off
	s_wait_loadcnt 0x0
	v_trunc_f32_e32 v1, v1
	s_delay_alu instid0(VALU_DEP_1) | instskip(NEXT) | instid1(VALU_DEP_1)
	v_mul_f32_e64 v3, 0x2f800000, |v1|
	v_floor_f32_e32 v3, v3
	s_delay_alu instid0(VALU_DEP_1) | instskip(SKIP_1) | instid1(VALU_DEP_2)
	v_fma_f32 v3, 0xcf800000, v3, |v1|
	v_ashrrev_i32_e32 v1, 31, v1
	v_cvt_u32_f32_e32 v3, v3
	s_delay_alu instid0(VALU_DEP_1) | instskip(NEXT) | instid1(VALU_DEP_1)
	v_xor_b32_e32 v3, v3, v1
	v_sub_nc_u32_e32 v4, v3, v1
.LBB7_135:
	s_mov_b32 s27, 0
.LBB7_136:
	s_delay_alu instid0(SALU_CYCLE_1)
	s_and_not1_b32 vcc_lo, exec_lo, s27
	s_cbranch_vccnz .LBB7_138
; %bb.137:
	global_load_u16 v1, v[8:9], off
	s_wait_loadcnt 0x0
	v_cvt_f32_f16_e32 v1, v1
	s_delay_alu instid0(VALU_DEP_1)
	v_cvt_i32_f32_e32 v4, v1
.LBB7_138:
	s_cbranch_execnz .LBB7_158
.LBB7_139:
	s_cmp_lt_i32 s0, 2
	s_cbranch_scc1 .LBB7_143
; %bb.140:
	s_cmp_lt_i32 s0, 3
	s_cbranch_scc1 .LBB7_144
; %bb.141:
	s_cmp_gt_i32 s0, 3
	s_cbranch_scc0 .LBB7_145
; %bb.142:
	s_wait_loadcnt 0x0
	global_load_b64 v[4:5], v[8:9], off
	s_mov_b32 s27, 0
	s_branch .LBB7_146
.LBB7_143:
	s_mov_b32 s27, -1
                                        ; implicit-def: $vgpr4
	s_branch .LBB7_152
.LBB7_144:
	s_mov_b32 s27, -1
                                        ; implicit-def: $vgpr4
	s_branch .LBB7_149
.LBB7_145:
	s_mov_b32 s27, -1
                                        ; implicit-def: $vgpr4
.LBB7_146:
	s_delay_alu instid0(SALU_CYCLE_1)
	s_and_not1_b32 vcc_lo, exec_lo, s27
	s_cbranch_vccnz .LBB7_148
; %bb.147:
	s_wait_loadcnt 0x0
	global_load_b32 v4, v[8:9], off
.LBB7_148:
	s_mov_b32 s27, 0
.LBB7_149:
	s_delay_alu instid0(SALU_CYCLE_1)
	s_and_not1_b32 vcc_lo, exec_lo, s27
	s_cbranch_vccnz .LBB7_151
; %bb.150:
	s_wait_loadcnt 0x0
	global_load_u16 v4, v[8:9], off
.LBB7_151:
	s_mov_b32 s27, 0
.LBB7_152:
	s_delay_alu instid0(SALU_CYCLE_1)
	s_and_not1_b32 vcc_lo, exec_lo, s27
	s_cbranch_vccnz .LBB7_158
; %bb.153:
	s_cmp_gt_i32 s0, 0
	s_mov_b32 s0, 0
	s_cbranch_scc0 .LBB7_155
; %bb.154:
	s_wait_loadcnt 0x0
	global_load_u8 v4, v[8:9], off
	s_branch .LBB7_156
.LBB7_155:
	s_mov_b32 s0, -1
                                        ; implicit-def: $vgpr4
.LBB7_156:
	s_delay_alu instid0(SALU_CYCLE_1)
	s_and_not1_b32 vcc_lo, exec_lo, s0
	s_cbranch_vccnz .LBB7_158
; %bb.157:
	s_wait_loadcnt 0x0
	global_load_u8 v4, v[8:9], off
.LBB7_158:
	s_branch .LBB7_22
.LBB7_159:
	s_mov_b32 s0, 0
	s_mov_b32 s27, 0
	s_branch .LBB7_383
.LBB7_160:
	s_mov_b32 s27, -1
.LBB7_161:
	s_mov_b32 s40, 0
                                        ; implicit-def: $vgpr8
.LBB7_162:
	s_and_b32 vcc_lo, exec_lo, s41
	s_cbranch_vccz .LBB7_277
; %bb.163:
	s_cmp_eq_u32 s39, 44
	s_cbranch_scc0 .LBB7_276
; %bb.164:
	global_load_u8 v1, v[6:7], off
	s_mov_b32 s27, 0
	s_mov_b32 s40, -1
	s_wait_loadcnt 0x0
	v_lshlrev_b32_e32 v3, 23, v1
	v_cmp_ne_u32_e32 vcc_lo, 0, v1
	s_delay_alu instid0(VALU_DEP_2) | instskip(NEXT) | instid1(VALU_DEP_1)
	v_trunc_f32_e32 v3, v3
	v_mul_f32_e64 v5, 0x2f800000, |v3|
	s_delay_alu instid0(VALU_DEP_1) | instskip(NEXT) | instid1(VALU_DEP_1)
	v_floor_f32_e32 v5, v5
	v_fma_f32 v5, 0xcf800000, v5, |v3|
	v_ashrrev_i32_e32 v3, 31, v3
	s_delay_alu instid0(VALU_DEP_2) | instskip(NEXT) | instid1(VALU_DEP_1)
	v_cvt_u32_f32_e32 v5, v5
	v_xor_b32_e32 v5, v5, v3
	s_delay_alu instid0(VALU_DEP_1) | instskip(NEXT) | instid1(VALU_DEP_1)
	v_sub_nc_u32_e32 v3, v5, v3
	v_cndmask_b32_e32 v8, 0, v3, vcc_lo
	s_branch .LBB7_277
.LBB7_165:
	s_mov_b32 s44, -1
	s_mov_b32 s0, 0
	s_mov_b32 s43, 0
.LBB7_166:
	s_and_b32 vcc_lo, exec_lo, s44
	s_cbranch_vccz .LBB7_171
; %bb.167:
	s_cmp_eq_u32 s41, 44
	s_mov_b32 s0, -1
	s_cbranch_scc0 .LBB7_171
; %bb.168:
	v_cndmask_b32_e64 v5, 0, 1.0, s39
	s_mov_b32 s43, exec_lo
	s_wait_xcnt 0x0
	s_delay_alu instid0(VALU_DEP_1) | instskip(NEXT) | instid1(VALU_DEP_1)
	v_dual_mov_b32 v4, 0xff :: v_dual_lshrrev_b32 v1, 23, v5
	v_cmpx_ne_u32_e32 0xff, v1
; %bb.169:
	v_and_b32_e32 v4, 0x400000, v5
	v_and_or_b32 v5, 0x3fffff, v5, v1
	s_delay_alu instid0(VALU_DEP_2) | instskip(NEXT) | instid1(VALU_DEP_2)
	v_cmp_ne_u32_e32 vcc_lo, 0, v4
	v_cmp_ne_u32_e64 s0, 0, v5
	s_and_b32 s0, vcc_lo, s0
	s_delay_alu instid0(SALU_CYCLE_1) | instskip(NEXT) | instid1(VALU_DEP_1)
	v_cndmask_b32_e64 v4, 0, 1, s0
	v_add_nc_u32_e32 v4, v1, v4
; %bb.170:
	s_or_b32 exec_lo, exec_lo, s43
	s_mov_b32 s43, -1
	s_mov_b32 s0, 0
	global_store_b8 v[2:3], v4, off
.LBB7_171:
	s_mov_b32 s44, 0
.LBB7_172:
	s_delay_alu instid0(SALU_CYCLE_1)
	s_and_b32 vcc_lo, exec_lo, s44
	s_cbranch_vccz .LBB7_175
; %bb.173:
	s_cmp_eq_u32 s41, 29
	s_mov_b32 s0, -1
	s_cbranch_scc0 .LBB7_175
; %bb.174:
	s_mov_b32 s0, 0
	s_wait_xcnt 0x0
	v_cndmask_b32_e64 v4, 0, 1, s39
	v_mov_b32_e32 v5, s0
	s_mov_b32 s43, -1
	s_mov_b32 s44, 0
	global_store_b64 v[2:3], v[4:5], off
	s_branch .LBB7_176
.LBB7_175:
	s_mov_b32 s44, 0
.LBB7_176:
	s_delay_alu instid0(SALU_CYCLE_1)
	s_and_b32 vcc_lo, exec_lo, s44
	s_cbranch_vccz .LBB7_192
; %bb.177:
	s_cmp_lt_i32 s41, 27
	s_mov_b32 s43, -1
	s_cbranch_scc1 .LBB7_183
; %bb.178:
	s_cmp_gt_i32 s41, 27
	s_cbranch_scc0 .LBB7_180
; %bb.179:
	s_wait_xcnt 0x0
	v_cndmask_b32_e64 v1, 0, 1, s39
	s_mov_b32 s43, 0
	global_store_b32 v[2:3], v1, off
.LBB7_180:
	s_and_not1_b32 vcc_lo, exec_lo, s43
	s_cbranch_vccnz .LBB7_182
; %bb.181:
	s_wait_xcnt 0x0
	v_cndmask_b32_e64 v1, 0, 1, s39
	global_store_b16 v[2:3], v1, off
.LBB7_182:
	s_mov_b32 s43, 0
.LBB7_183:
	s_delay_alu instid0(SALU_CYCLE_1)
	s_and_not1_b32 vcc_lo, exec_lo, s43
	s_cbranch_vccnz .LBB7_191
; %bb.184:
	s_wait_xcnt 0x0
	v_cndmask_b32_e64 v4, 0, 1.0, s39
	v_mov_b32_e32 v5, 0x80
	s_mov_b32 s43, exec_lo
	s_delay_alu instid0(VALU_DEP_2)
	v_cmpx_gt_u32_e32 0x43800000, v4
	s_cbranch_execz .LBB7_190
; %bb.185:
	s_mov_b32 s44, 0
	s_mov_b32 s45, exec_lo
                                        ; implicit-def: $vgpr1
	v_cmpx_lt_u32_e32 0x3bffffff, v4
	s_xor_b32 s45, exec_lo, s45
	s_cbranch_execz .LBB7_425
; %bb.186:
	v_bfe_u32 v1, v4, 20, 1
	s_mov_b32 s44, exec_lo
	s_delay_alu instid0(VALU_DEP_1) | instskip(NEXT) | instid1(VALU_DEP_1)
	v_add3_u32 v1, v4, v1, 0x487ffff
                                        ; implicit-def: $vgpr4
	v_lshrrev_b32_e32 v1, 20, v1
	s_and_not1_saveexec_b32 s45, s45
	s_cbranch_execnz .LBB7_426
.LBB7_187:
	s_or_b32 exec_lo, exec_lo, s45
	v_mov_b32_e32 v5, 0
	s_and_saveexec_b32 s45, s44
.LBB7_188:
	v_mov_b32_e32 v5, v1
.LBB7_189:
	s_or_b32 exec_lo, exec_lo, s45
.LBB7_190:
	s_delay_alu instid0(SALU_CYCLE_1)
	s_or_b32 exec_lo, exec_lo, s43
	global_store_b8 v[2:3], v5, off
.LBB7_191:
	s_mov_b32 s43, -1
.LBB7_192:
	s_mov_b32 s44, 0
.LBB7_193:
	s_delay_alu instid0(SALU_CYCLE_1)
	s_and_b32 vcc_lo, exec_lo, s44
	s_cbranch_vccz .LBB7_234
; %bb.194:
	s_cmp_gt_i32 s41, 22
	s_mov_b32 s44, -1
	s_cbranch_scc0 .LBB7_226
; %bb.195:
	s_cmp_lt_i32 s41, 24
	s_mov_b32 s43, -1
	s_cbranch_scc1 .LBB7_215
; %bb.196:
	s_cmp_gt_i32 s41, 24
	s_cbranch_scc0 .LBB7_204
; %bb.197:
	s_wait_xcnt 0x0
	v_cndmask_b32_e64 v4, 0, 1.0, s39
	v_mov_b32_e32 v5, 0x80
	s_mov_b32 s43, exec_lo
	s_delay_alu instid0(VALU_DEP_2)
	v_cmpx_gt_u32_e32 0x47800000, v4
	s_cbranch_execz .LBB7_203
; %bb.198:
	s_mov_b32 s44, 0
	s_mov_b32 s45, exec_lo
                                        ; implicit-def: $vgpr1
	v_cmpx_lt_u32_e32 0x37ffffff, v4
	s_xor_b32 s45, exec_lo, s45
	s_cbranch_execz .LBB7_540
; %bb.199:
	v_bfe_u32 v1, v4, 21, 1
	s_mov_b32 s44, exec_lo
	s_delay_alu instid0(VALU_DEP_1) | instskip(NEXT) | instid1(VALU_DEP_1)
	v_add3_u32 v1, v4, v1, 0x88fffff
                                        ; implicit-def: $vgpr4
	v_lshrrev_b32_e32 v1, 21, v1
	s_and_not1_saveexec_b32 s45, s45
	s_cbranch_execnz .LBB7_541
.LBB7_200:
	s_or_b32 exec_lo, exec_lo, s45
	v_mov_b32_e32 v5, 0
	s_and_saveexec_b32 s45, s44
.LBB7_201:
	v_mov_b32_e32 v5, v1
.LBB7_202:
	s_or_b32 exec_lo, exec_lo, s45
.LBB7_203:
	s_delay_alu instid0(SALU_CYCLE_1)
	s_or_b32 exec_lo, exec_lo, s43
	s_mov_b32 s43, 0
	global_store_b8 v[2:3], v5, off
.LBB7_204:
	s_and_b32 vcc_lo, exec_lo, s43
	s_cbranch_vccz .LBB7_214
; %bb.205:
	s_wait_xcnt 0x0
	v_cndmask_b32_e64 v4, 0, 1.0, s39
	s_mov_b32 s43, exec_lo
                                        ; implicit-def: $vgpr1
	s_delay_alu instid0(VALU_DEP_1)
	v_cmpx_gt_u32_e32 0x43f00000, v4
	s_xor_b32 s43, exec_lo, s43
	s_cbranch_execz .LBB7_211
; %bb.206:
	s_mov_b32 s44, exec_lo
                                        ; implicit-def: $vgpr1
	v_cmpx_lt_u32_e32 0x3c7fffff, v4
	s_xor_b32 s44, exec_lo, s44
; %bb.207:
	v_bfe_u32 v1, v4, 20, 1
	s_delay_alu instid0(VALU_DEP_1) | instskip(NEXT) | instid1(VALU_DEP_1)
	v_add3_u32 v1, v4, v1, 0x407ffff
	v_and_b32_e32 v4, 0xff00000, v1
	v_lshrrev_b32_e32 v1, 20, v1
	s_delay_alu instid0(VALU_DEP_2) | instskip(NEXT) | instid1(VALU_DEP_2)
	v_cmp_ne_u32_e32 vcc_lo, 0x7f00000, v4
                                        ; implicit-def: $vgpr4
	v_cndmask_b32_e32 v1, 0x7e, v1, vcc_lo
; %bb.208:
	s_and_not1_saveexec_b32 s44, s44
; %bb.209:
	v_add_f32_e32 v1, 0x46800000, v4
; %bb.210:
	s_or_b32 exec_lo, exec_lo, s44
                                        ; implicit-def: $vgpr4
.LBB7_211:
	s_and_not1_saveexec_b32 s43, s43
; %bb.212:
	v_mov_b32_e32 v1, 0x7f
	v_cmp_lt_u32_e32 vcc_lo, 0x7f800000, v4
	s_delay_alu instid0(VALU_DEP_2)
	v_cndmask_b32_e32 v1, 0x7e, v1, vcc_lo
; %bb.213:
	s_or_b32 exec_lo, exec_lo, s43
	global_store_b8 v[2:3], v1, off
.LBB7_214:
	s_mov_b32 s43, 0
.LBB7_215:
	s_delay_alu instid0(SALU_CYCLE_1)
	s_and_not1_b32 vcc_lo, exec_lo, s43
	s_cbranch_vccnz .LBB7_225
; %bb.216:
	s_wait_xcnt 0x0
	v_cndmask_b32_e64 v4, 0, 1.0, s39
	s_mov_b32 s43, exec_lo
                                        ; implicit-def: $vgpr1
	s_delay_alu instid0(VALU_DEP_1)
	v_cmpx_gt_u32_e32 0x47800000, v4
	s_xor_b32 s43, exec_lo, s43
	s_cbranch_execz .LBB7_222
; %bb.217:
	s_mov_b32 s44, exec_lo
                                        ; implicit-def: $vgpr1
	v_cmpx_lt_u32_e32 0x387fffff, v4
	s_xor_b32 s44, exec_lo, s44
; %bb.218:
	v_bfe_u32 v1, v4, 21, 1
	s_delay_alu instid0(VALU_DEP_1) | instskip(NEXT) | instid1(VALU_DEP_1)
	v_add3_u32 v1, v4, v1, 0x80fffff
                                        ; implicit-def: $vgpr4
	v_lshrrev_b32_e32 v1, 21, v1
; %bb.219:
	s_and_not1_saveexec_b32 s44, s44
; %bb.220:
	v_add_f32_e32 v1, 0x43000000, v4
; %bb.221:
	s_or_b32 exec_lo, exec_lo, s44
                                        ; implicit-def: $vgpr4
.LBB7_222:
	s_and_not1_saveexec_b32 s43, s43
; %bb.223:
	v_mov_b32_e32 v1, 0x7f
	v_cmp_lt_u32_e32 vcc_lo, 0x7f800000, v4
	s_delay_alu instid0(VALU_DEP_2)
	v_cndmask_b32_e32 v1, 0x7c, v1, vcc_lo
; %bb.224:
	s_or_b32 exec_lo, exec_lo, s43
	global_store_b8 v[2:3], v1, off
.LBB7_225:
	s_mov_b32 s44, 0
	s_mov_b32 s43, -1
.LBB7_226:
	s_and_not1_b32 vcc_lo, exec_lo, s44
	s_cbranch_vccnz .LBB7_234
; %bb.227:
	s_cmp_gt_i32 s41, 14
	s_mov_b32 s44, -1
	s_cbranch_scc0 .LBB7_231
; %bb.228:
	s_cmp_eq_u32 s41, 15
	s_mov_b32 s0, -1
	s_cbranch_scc0 .LBB7_230
; %bb.229:
	s_wait_xcnt 0x0
	v_cndmask_b32_e64 v1, 0, 1.0, s39
	s_mov_b32 s43, -1
	s_mov_b32 s0, 0
	s_delay_alu instid0(VALU_DEP_1) | instskip(NEXT) | instid1(VALU_DEP_1)
	v_bfe_u32 v4, v1, 16, 1
	v_add3_u32 v1, v1, v4, 0x7fff
	global_store_d16_hi_b16 v[2:3], v1, off
.LBB7_230:
	s_mov_b32 s44, 0
.LBB7_231:
	s_delay_alu instid0(SALU_CYCLE_1)
	s_and_b32 vcc_lo, exec_lo, s44
	s_cbranch_vccz .LBB7_234
; %bb.232:
	s_cmp_eq_u32 s41, 11
	s_mov_b32 s0, -1
	s_cbranch_scc0 .LBB7_234
; %bb.233:
	s_wait_xcnt 0x0
	v_cndmask_b32_e64 v1, 0, 1, s39
	s_mov_b32 s43, -1
	s_mov_b32 s0, 0
	global_store_b8 v[2:3], v1, off
.LBB7_234:
	s_mov_b32 s41, 0
.LBB7_235:
	s_delay_alu instid0(SALU_CYCLE_1)
	s_and_b32 vcc_lo, exec_lo, s41
	s_cbranch_vccz .LBB7_274
; %bb.236:
	s_and_b32 s40, 0xffff, s40
	s_mov_b32 s41, -1
	s_cmp_lt_i32 s40, 5
	s_cbranch_scc1 .LBB7_257
; %bb.237:
	s_cmp_lt_i32 s40, 8
	s_cbranch_scc1 .LBB7_247
; %bb.238:
	s_cmp_lt_i32 s40, 9
	s_cbranch_scc1 .LBB7_244
; %bb.239:
	s_cmp_gt_i32 s40, 9
	s_cbranch_scc0 .LBB7_241
; %bb.240:
	s_wait_xcnt 0x0
	v_cndmask_b32_e64 v1, 0, 1, s39
	v_mov_b32_e32 v6, 0
	s_mov_b32 s41, 0
	s_delay_alu instid0(VALU_DEP_2) | instskip(NEXT) | instid1(VALU_DEP_2)
	v_cvt_f64_u32_e32 v[4:5], v1
	v_mov_b32_e32 v7, v6
	global_store_b128 v[2:3], v[4:7], off
.LBB7_241:
	s_and_not1_b32 vcc_lo, exec_lo, s41
	s_cbranch_vccnz .LBB7_243
; %bb.242:
	s_wait_xcnt 0x0
	v_cndmask_b32_e64 v4, 0, 1.0, s39
	v_mov_b32_e32 v5, 0
	global_store_b64 v[2:3], v[4:5], off
.LBB7_243:
	s_mov_b32 s41, 0
.LBB7_244:
	s_delay_alu instid0(SALU_CYCLE_1)
	s_and_not1_b32 vcc_lo, exec_lo, s41
	s_cbranch_vccnz .LBB7_246
; %bb.245:
	s_wait_xcnt 0x0
	v_cndmask_b32_e64 v1, 0, 1.0, s39
	s_delay_alu instid0(VALU_DEP_1) | instskip(NEXT) | instid1(VALU_DEP_1)
	v_cvt_f16_f32_e32 v1, v1
	v_and_b32_e32 v1, 0xffff, v1
	global_store_b32 v[2:3], v1, off
.LBB7_246:
	s_mov_b32 s41, 0
.LBB7_247:
	s_delay_alu instid0(SALU_CYCLE_1)
	s_and_not1_b32 vcc_lo, exec_lo, s41
	s_cbranch_vccnz .LBB7_256
; %bb.248:
	s_cmp_lt_i32 s40, 6
	s_mov_b32 s41, -1
	s_cbranch_scc1 .LBB7_254
; %bb.249:
	s_cmp_gt_i32 s40, 6
	s_cbranch_scc0 .LBB7_251
; %bb.250:
	s_wait_xcnt 0x0
	v_cndmask_b32_e64 v1, 0, 1, s39
	s_mov_b32 s41, 0
	s_delay_alu instid0(VALU_DEP_1)
	v_cvt_f64_u32_e32 v[4:5], v1
	global_store_b64 v[2:3], v[4:5], off
.LBB7_251:
	s_and_not1_b32 vcc_lo, exec_lo, s41
	s_cbranch_vccnz .LBB7_253
; %bb.252:
	s_wait_xcnt 0x0
	v_cndmask_b32_e64 v1, 0, 1.0, s39
	global_store_b32 v[2:3], v1, off
.LBB7_253:
	s_mov_b32 s41, 0
.LBB7_254:
	s_delay_alu instid0(SALU_CYCLE_1)
	s_and_not1_b32 vcc_lo, exec_lo, s41
	s_cbranch_vccnz .LBB7_256
; %bb.255:
	s_wait_xcnt 0x0
	v_cndmask_b32_e64 v1, 0, 1.0, s39
	s_delay_alu instid0(VALU_DEP_1)
	v_cvt_f16_f32_e32 v1, v1
	global_store_b16 v[2:3], v1, off
.LBB7_256:
	s_mov_b32 s41, 0
.LBB7_257:
	s_delay_alu instid0(SALU_CYCLE_1)
	s_and_not1_b32 vcc_lo, exec_lo, s41
	s_cbranch_vccnz .LBB7_273
; %bb.258:
	s_cmp_lt_i32 s40, 2
	s_mov_b32 s41, -1
	s_cbranch_scc1 .LBB7_268
; %bb.259:
	s_cmp_lt_i32 s40, 3
	s_cbranch_scc1 .LBB7_265
; %bb.260:
	s_cmp_gt_i32 s40, 3
	s_cbranch_scc0 .LBB7_262
; %bb.261:
	s_mov_b32 s41, 0
	s_wait_xcnt 0x0
	v_cndmask_b32_e64 v4, 0, 1, s39
	v_mov_b32_e32 v5, s41
	global_store_b64 v[2:3], v[4:5], off
.LBB7_262:
	s_and_not1_b32 vcc_lo, exec_lo, s41
	s_cbranch_vccnz .LBB7_264
; %bb.263:
	s_wait_xcnt 0x0
	v_cndmask_b32_e64 v1, 0, 1, s39
	global_store_b32 v[2:3], v1, off
.LBB7_264:
	s_mov_b32 s41, 0
.LBB7_265:
	s_delay_alu instid0(SALU_CYCLE_1)
	s_and_not1_b32 vcc_lo, exec_lo, s41
	s_cbranch_vccnz .LBB7_267
; %bb.266:
	s_wait_xcnt 0x0
	v_cndmask_b32_e64 v1, 0, 1, s39
	global_store_b16 v[2:3], v1, off
.LBB7_267:
	s_mov_b32 s41, 0
.LBB7_268:
	s_delay_alu instid0(SALU_CYCLE_1)
	s_and_not1_b32 vcc_lo, exec_lo, s41
	s_cbranch_vccnz .LBB7_273
; %bb.269:
	s_cmp_gt_i32 s40, 0
	s_mov_b32 s40, -1
	s_cbranch_scc0 .LBB7_271
; %bb.270:
	s_wait_xcnt 0x0
	v_cndmask_b32_e64 v1, 0, 1, s39
	s_mov_b32 s40, 0
	global_store_b8 v[2:3], v1, off
.LBB7_271:
	s_and_not1_b32 vcc_lo, exec_lo, s40
	s_cbranch_vccnz .LBB7_273
; %bb.272:
	s_wait_xcnt 0x0
	v_cndmask_b32_e64 v1, 0, 1, s39
	global_store_b8 v[2:3], v1, off
.LBB7_273:
	s_mov_b32 s43, -1
.LBB7_274:
	s_delay_alu instid0(SALU_CYCLE_1)
	s_and_not1_b32 vcc_lo, exec_lo, s43
	s_cbranch_vccnz .LBB7_383
; %bb.275:
	v_add_nc_u32_e32 v0, 0x80, v0
	s_mov_b32 s43, -1
	s_branch .LBB7_384
.LBB7_276:
	s_mov_b32 s27, -1
                                        ; implicit-def: $vgpr8
.LBB7_277:
	s_mov_b32 s41, 0
.LBB7_278:
	s_delay_alu instid0(SALU_CYCLE_1)
	s_and_b32 vcc_lo, exec_lo, s41
	s_cbranch_vccz .LBB7_282
; %bb.279:
	s_cmp_eq_u32 s39, 29
	s_cbranch_scc0 .LBB7_281
; %bb.280:
	global_load_b64 v[8:9], v[6:7], off
	s_mov_b32 s40, -1
	s_mov_b32 s27, 0
	s_branch .LBB7_282
.LBB7_281:
	s_mov_b32 s27, -1
                                        ; implicit-def: $vgpr8
.LBB7_282:
	s_mov_b32 s41, 0
.LBB7_283:
	s_delay_alu instid0(SALU_CYCLE_1)
	s_and_b32 vcc_lo, exec_lo, s41
	s_cbranch_vccz .LBB7_299
; %bb.284:
	s_cmp_lt_i32 s39, 27
	s_cbranch_scc1 .LBB7_287
; %bb.285:
	s_cmp_gt_i32 s39, 27
	s_cbranch_scc0 .LBB7_288
; %bb.286:
	s_wait_loadcnt 0x0
	global_load_b32 v8, v[6:7], off
	s_mov_b32 s40, 0
	s_branch .LBB7_289
.LBB7_287:
	s_mov_b32 s40, -1
                                        ; implicit-def: $vgpr8
	s_branch .LBB7_292
.LBB7_288:
	s_mov_b32 s40, -1
                                        ; implicit-def: $vgpr8
.LBB7_289:
	s_delay_alu instid0(SALU_CYCLE_1)
	s_and_not1_b32 vcc_lo, exec_lo, s40
	s_cbranch_vccnz .LBB7_291
; %bb.290:
	s_wait_loadcnt 0x0
	global_load_u16 v8, v[6:7], off
.LBB7_291:
	s_mov_b32 s40, 0
.LBB7_292:
	s_delay_alu instid0(SALU_CYCLE_1)
	s_and_not1_b32 vcc_lo, exec_lo, s40
	s_cbranch_vccnz .LBB7_298
; %bb.293:
	global_load_u8 v1, v[6:7], off
	s_mov_b32 s41, 0
	s_mov_b32 s40, exec_lo
	s_wait_loadcnt 0x0
	v_cmpx_lt_i16_e32 0x7f, v1
	s_xor_b32 s40, exec_lo, s40
	s_cbranch_execz .LBB7_310
; %bb.294:
	v_cmp_ne_u16_e32 vcc_lo, 0x80, v1
	s_and_b32 s41, vcc_lo, exec_lo
	s_and_not1_saveexec_b32 s40, s40
	s_cbranch_execnz .LBB7_311
.LBB7_295:
	s_or_b32 exec_lo, exec_lo, s40
	v_mov_b32_e32 v8, 0
	s_and_saveexec_b32 s40, s41
	s_cbranch_execz .LBB7_297
.LBB7_296:
	v_and_b32_e32 v3, 0xffff, v1
	s_delay_alu instid0(VALU_DEP_1) | instskip(SKIP_1) | instid1(VALU_DEP_2)
	v_and_b32_e32 v5, 7, v3
	v_bfe_u32 v10, v3, 3, 4
	v_clz_i32_u32_e32 v8, v5
	s_delay_alu instid0(VALU_DEP_2) | instskip(NEXT) | instid1(VALU_DEP_2)
	v_cmp_eq_u32_e32 vcc_lo, 0, v10
	v_min_u32_e32 v8, 32, v8
	s_delay_alu instid0(VALU_DEP_1) | instskip(NEXT) | instid1(VALU_DEP_1)
	v_subrev_nc_u32_e32 v9, 28, v8
	v_dual_lshlrev_b32 v3, v9, v3 :: v_dual_sub_nc_u32 v8, 29, v8
	s_delay_alu instid0(VALU_DEP_1) | instskip(NEXT) | instid1(VALU_DEP_1)
	v_dual_lshlrev_b32 v1, 24, v1 :: v_dual_bitop2_b32 v3, 7, v3 bitop3:0x40
	v_dual_cndmask_b32 v8, v10, v8 :: v_dual_cndmask_b32 v3, v5, v3
	s_delay_alu instid0(VALU_DEP_2) | instskip(NEXT) | instid1(VALU_DEP_2)
	v_and_b32_e32 v1, 0x80000000, v1
	v_lshl_add_u32 v5, v8, 23, 0x3b800000
	s_delay_alu instid0(VALU_DEP_3) | instskip(NEXT) | instid1(VALU_DEP_1)
	v_lshlrev_b32_e32 v3, 20, v3
	v_or3_b32 v1, v1, v5, v3
	s_delay_alu instid0(VALU_DEP_1) | instskip(NEXT) | instid1(VALU_DEP_1)
	v_trunc_f32_e32 v1, v1
	v_mul_f32_e64 v3, 0x2f800000, |v1|
	s_delay_alu instid0(VALU_DEP_1) | instskip(NEXT) | instid1(VALU_DEP_1)
	v_floor_f32_e32 v3, v3
	v_fma_f32 v3, 0xcf800000, v3, |v1|
	v_ashrrev_i32_e32 v1, 31, v1
	s_delay_alu instid0(VALU_DEP_2) | instskip(NEXT) | instid1(VALU_DEP_1)
	v_cvt_u32_f32_e32 v3, v3
	v_xor_b32_e32 v3, v3, v1
	s_delay_alu instid0(VALU_DEP_1)
	v_sub_nc_u32_e32 v8, v3, v1
.LBB7_297:
	s_or_b32 exec_lo, exec_lo, s40
.LBB7_298:
	s_mov_b32 s40, -1
.LBB7_299:
	s_mov_b32 s41, 0
.LBB7_300:
	s_delay_alu instid0(SALU_CYCLE_1)
	s_and_b32 vcc_lo, exec_lo, s41
	s_cbranch_vccz .LBB7_333
; %bb.301:
	s_cmp_gt_i32 s39, 22
	s_cbranch_scc0 .LBB7_309
; %bb.302:
	s_cmp_lt_i32 s39, 24
	s_cbranch_scc1 .LBB7_312
; %bb.303:
	s_cmp_gt_i32 s39, 24
	s_cbranch_scc0 .LBB7_313
; %bb.304:
	global_load_u8 v1, v[6:7], off
	s_mov_b32 s41, 0
	s_mov_b32 s40, exec_lo
	s_wait_loadcnt 0x0
	v_cmpx_lt_i16_e32 0x7f, v1
	s_xor_b32 s40, exec_lo, s40
	s_cbranch_execz .LBB7_325
; %bb.305:
	v_cmp_ne_u16_e32 vcc_lo, 0x80, v1
	s_and_b32 s41, vcc_lo, exec_lo
	s_and_not1_saveexec_b32 s40, s40
	s_cbranch_execnz .LBB7_326
.LBB7_306:
	s_or_b32 exec_lo, exec_lo, s40
	v_mov_b32_e32 v8, 0
	s_and_saveexec_b32 s40, s41
	s_cbranch_execz .LBB7_308
.LBB7_307:
	v_and_b32_e32 v3, 0xffff, v1
	s_delay_alu instid0(VALU_DEP_1) | instskip(SKIP_1) | instid1(VALU_DEP_2)
	v_and_b32_e32 v5, 3, v3
	v_bfe_u32 v10, v3, 2, 5
	v_clz_i32_u32_e32 v8, v5
	s_delay_alu instid0(VALU_DEP_2) | instskip(NEXT) | instid1(VALU_DEP_2)
	v_cmp_eq_u32_e32 vcc_lo, 0, v10
	v_min_u32_e32 v8, 32, v8
	s_delay_alu instid0(VALU_DEP_1) | instskip(NEXT) | instid1(VALU_DEP_1)
	v_subrev_nc_u32_e32 v9, 29, v8
	v_dual_lshlrev_b32 v3, v9, v3 :: v_dual_sub_nc_u32 v8, 30, v8
	s_delay_alu instid0(VALU_DEP_1) | instskip(NEXT) | instid1(VALU_DEP_1)
	v_dual_lshlrev_b32 v1, 24, v1 :: v_dual_bitop2_b32 v3, 3, v3 bitop3:0x40
	v_dual_cndmask_b32 v8, v10, v8 :: v_dual_cndmask_b32 v3, v5, v3
	s_delay_alu instid0(VALU_DEP_2) | instskip(NEXT) | instid1(VALU_DEP_2)
	v_and_b32_e32 v1, 0x80000000, v1
	v_lshl_add_u32 v5, v8, 23, 0x37800000
	s_delay_alu instid0(VALU_DEP_3) | instskip(NEXT) | instid1(VALU_DEP_1)
	v_lshlrev_b32_e32 v3, 21, v3
	v_or3_b32 v1, v1, v5, v3
	s_delay_alu instid0(VALU_DEP_1) | instskip(NEXT) | instid1(VALU_DEP_1)
	v_trunc_f32_e32 v1, v1
	v_mul_f32_e64 v3, 0x2f800000, |v1|
	s_delay_alu instid0(VALU_DEP_1) | instskip(NEXT) | instid1(VALU_DEP_1)
	v_floor_f32_e32 v3, v3
	v_fma_f32 v3, 0xcf800000, v3, |v1|
	v_ashrrev_i32_e32 v1, 31, v1
	s_delay_alu instid0(VALU_DEP_2) | instskip(NEXT) | instid1(VALU_DEP_1)
	v_cvt_u32_f32_e32 v3, v3
	v_xor_b32_e32 v3, v3, v1
	s_delay_alu instid0(VALU_DEP_1)
	v_sub_nc_u32_e32 v8, v3, v1
.LBB7_308:
	s_or_b32 exec_lo, exec_lo, s40
	s_mov_b32 s40, 0
	s_branch .LBB7_314
.LBB7_309:
	s_mov_b32 s41, -1
                                        ; implicit-def: $vgpr8
	s_branch .LBB7_320
.LBB7_310:
	s_and_not1_saveexec_b32 s40, s40
	s_cbranch_execz .LBB7_295
.LBB7_311:
	v_cmp_ne_u16_e32 vcc_lo, 0, v1
	s_and_not1_b32 s41, s41, exec_lo
	s_and_b32 s43, vcc_lo, exec_lo
	s_delay_alu instid0(SALU_CYCLE_1)
	s_or_b32 s41, s41, s43
	s_or_b32 exec_lo, exec_lo, s40
	v_mov_b32_e32 v8, 0
	s_and_saveexec_b32 s40, s41
	s_cbranch_execnz .LBB7_296
	s_branch .LBB7_297
.LBB7_312:
	s_mov_b32 s40, -1
                                        ; implicit-def: $vgpr8
	s_branch .LBB7_317
.LBB7_313:
	s_mov_b32 s40, -1
                                        ; implicit-def: $vgpr8
.LBB7_314:
	s_delay_alu instid0(SALU_CYCLE_1)
	s_and_b32 vcc_lo, exec_lo, s40
	s_cbranch_vccz .LBB7_316
; %bb.315:
	global_load_u8 v1, v[6:7], off
	s_wait_loadcnt 0x0
	v_lshlrev_b32_e32 v1, 24, v1
	s_delay_alu instid0(VALU_DEP_1) | instskip(NEXT) | instid1(VALU_DEP_1)
	v_and_b32_e32 v3, 0x7f000000, v1
	v_clz_i32_u32_e32 v5, v3
	v_add_nc_u32_e32 v9, 0x1000000, v3
	v_cmp_ne_u32_e32 vcc_lo, 0, v3
	s_delay_alu instid0(VALU_DEP_3) | instskip(NEXT) | instid1(VALU_DEP_1)
	v_min_u32_e32 v5, 32, v5
	v_sub_nc_u32_e64 v5, v5, 4 clamp
	s_delay_alu instid0(VALU_DEP_1) | instskip(NEXT) | instid1(VALU_DEP_1)
	v_dual_lshlrev_b32 v8, v5, v3 :: v_dual_lshlrev_b32 v5, 23, v5
	v_lshrrev_b32_e32 v8, 4, v8
	s_delay_alu instid0(VALU_DEP_1) | instskip(SKIP_1) | instid1(VALU_DEP_2)
	v_sub_nc_u32_e32 v5, v8, v5
	v_ashrrev_i32_e32 v8, 8, v9
	v_add_nc_u32_e32 v5, 0x3c000000, v5
	s_delay_alu instid0(VALU_DEP_1) | instskip(NEXT) | instid1(VALU_DEP_1)
	v_and_or_b32 v5, 0x7f800000, v8, v5
	v_cndmask_b32_e32 v3, 0, v5, vcc_lo
	s_delay_alu instid0(VALU_DEP_1) | instskip(NEXT) | instid1(VALU_DEP_1)
	v_and_or_b32 v1, 0x80000000, v1, v3
	v_trunc_f32_e32 v1, v1
	s_delay_alu instid0(VALU_DEP_1) | instskip(NEXT) | instid1(VALU_DEP_1)
	v_mul_f32_e64 v3, 0x2f800000, |v1|
	v_floor_f32_e32 v3, v3
	s_delay_alu instid0(VALU_DEP_1) | instskip(SKIP_1) | instid1(VALU_DEP_2)
	v_fma_f32 v3, 0xcf800000, v3, |v1|
	v_ashrrev_i32_e32 v1, 31, v1
	v_cvt_u32_f32_e32 v3, v3
	s_delay_alu instid0(VALU_DEP_1) | instskip(NEXT) | instid1(VALU_DEP_1)
	v_xor_b32_e32 v3, v3, v1
	v_sub_nc_u32_e32 v8, v3, v1
.LBB7_316:
	s_mov_b32 s40, 0
.LBB7_317:
	s_delay_alu instid0(SALU_CYCLE_1)
	s_and_not1_b32 vcc_lo, exec_lo, s40
	s_cbranch_vccnz .LBB7_319
; %bb.318:
	global_load_u8 v1, v[6:7], off
	s_wait_loadcnt 0x0
	v_lshlrev_b32_e32 v3, 25, v1
	v_lshlrev_b16 v1, 8, v1
	s_delay_alu instid0(VALU_DEP_1) | instskip(SKIP_1) | instid1(VALU_DEP_2)
	v_and_or_b32 v8, 0x7f00, v1, 0.5
	v_bfe_i32 v1, v1, 0, 16
	v_dual_add_f32 v8, -0.5, v8 :: v_dual_lshrrev_b32 v5, 4, v3
	v_cmp_gt_u32_e32 vcc_lo, 0x8000000, v3
	s_delay_alu instid0(VALU_DEP_2) | instskip(NEXT) | instid1(VALU_DEP_1)
	v_or_b32_e32 v5, 0x70000000, v5
	v_mul_f32_e32 v5, 0x7800000, v5
	s_delay_alu instid0(VALU_DEP_1) | instskip(NEXT) | instid1(VALU_DEP_1)
	v_cndmask_b32_e32 v3, v5, v8, vcc_lo
	v_and_or_b32 v1, 0x80000000, v1, v3
	s_delay_alu instid0(VALU_DEP_1) | instskip(NEXT) | instid1(VALU_DEP_1)
	v_trunc_f32_e32 v1, v1
	v_mul_f32_e64 v3, 0x2f800000, |v1|
	s_delay_alu instid0(VALU_DEP_1) | instskip(NEXT) | instid1(VALU_DEP_1)
	v_floor_f32_e32 v3, v3
	v_fma_f32 v3, 0xcf800000, v3, |v1|
	v_ashrrev_i32_e32 v1, 31, v1
	s_delay_alu instid0(VALU_DEP_2) | instskip(NEXT) | instid1(VALU_DEP_1)
	v_cvt_u32_f32_e32 v3, v3
	v_xor_b32_e32 v3, v3, v1
	s_delay_alu instid0(VALU_DEP_1)
	v_sub_nc_u32_e32 v8, v3, v1
.LBB7_319:
	s_mov_b32 s41, 0
	s_mov_b32 s40, -1
.LBB7_320:
	s_and_not1_b32 vcc_lo, exec_lo, s41
	s_cbranch_vccnz .LBB7_333
; %bb.321:
	s_cmp_gt_i32 s39, 14
	s_cbranch_scc0 .LBB7_324
; %bb.322:
	s_cmp_eq_u32 s39, 15
	s_cbranch_scc0 .LBB7_327
; %bb.323:
	global_load_u16 v1, v[6:7], off
	s_mov_b32 s40, -1
	s_mov_b32 s27, 0
	s_wait_loadcnt 0x0
	v_lshlrev_b32_e32 v1, 16, v1
	s_delay_alu instid0(VALU_DEP_1) | instskip(NEXT) | instid1(VALU_DEP_1)
	v_trunc_f32_e32 v1, v1
	v_mul_f32_e64 v3, 0x2f800000, |v1|
	s_delay_alu instid0(VALU_DEP_1) | instskip(NEXT) | instid1(VALU_DEP_1)
	v_floor_f32_e32 v3, v3
	v_fma_f32 v3, 0xcf800000, v3, |v1|
	v_ashrrev_i32_e32 v1, 31, v1
	s_delay_alu instid0(VALU_DEP_2) | instskip(NEXT) | instid1(VALU_DEP_1)
	v_cvt_u32_f32_e32 v3, v3
	v_xor_b32_e32 v3, v3, v1
	s_delay_alu instid0(VALU_DEP_1)
	v_sub_nc_u32_e32 v8, v3, v1
	s_branch .LBB7_328
.LBB7_324:
	s_mov_b32 s41, -1
                                        ; implicit-def: $vgpr8
	s_branch .LBB7_329
.LBB7_325:
	s_and_not1_saveexec_b32 s40, s40
	s_cbranch_execz .LBB7_306
.LBB7_326:
	v_cmp_ne_u16_e32 vcc_lo, 0, v1
	s_and_not1_b32 s41, s41, exec_lo
	s_and_b32 s43, vcc_lo, exec_lo
	s_delay_alu instid0(SALU_CYCLE_1)
	s_or_b32 s41, s41, s43
	s_or_b32 exec_lo, exec_lo, s40
	v_mov_b32_e32 v8, 0
	s_and_saveexec_b32 s40, s41
	s_cbranch_execnz .LBB7_307
	s_branch .LBB7_308
.LBB7_327:
	s_mov_b32 s27, -1
                                        ; implicit-def: $vgpr8
.LBB7_328:
	s_mov_b32 s41, 0
.LBB7_329:
	s_delay_alu instid0(SALU_CYCLE_1)
	s_and_b32 vcc_lo, exec_lo, s41
	s_cbranch_vccz .LBB7_333
; %bb.330:
	s_cmp_eq_u32 s39, 11
	s_cbranch_scc0 .LBB7_332
; %bb.331:
	global_load_u8 v1, v[6:7], off
	s_mov_b32 s27, 0
	s_mov_b32 s40, -1
	s_wait_loadcnt 0x0
	v_cmp_ne_u16_e32 vcc_lo, 0, v1
	v_cndmask_b32_e64 v8, 0, 1, vcc_lo
	s_branch .LBB7_333
.LBB7_332:
	s_mov_b32 s27, -1
                                        ; implicit-def: $vgpr8
.LBB7_333:
	s_branch .LBB7_31
.LBB7_334:
	s_and_b32 s0, 0xffff, s0
	s_delay_alu instid0(SALU_CYCLE_1)
	s_cmp_lt_i32 s0, 5
	s_cbranch_scc1 .LBB7_339
; %bb.335:
	s_cmp_lt_i32 s0, 8
	s_cbranch_scc1 .LBB7_340
; %bb.336:
	;; [unrolled: 3-line block ×3, first 2 shown]
	s_cmp_gt_i32 s0, 9
	s_cbranch_scc0 .LBB7_342
; %bb.338:
	s_wait_loadcnt 0x0
	global_load_b64 v[8:9], v[6:7], off
	s_mov_b32 s39, 0
	s_wait_loadcnt 0x0
	v_trunc_f64_e32 v[8:9], v[8:9]
	s_delay_alu instid0(VALU_DEP_1) | instskip(NEXT) | instid1(VALU_DEP_1)
	v_ldexp_f64 v[10:11], v[8:9], 0xffffffe0
	v_floor_f64_e32 v[10:11], v[10:11]
	s_delay_alu instid0(VALU_DEP_1) | instskip(NEXT) | instid1(VALU_DEP_1)
	v_fmamk_f64 v[8:9], v[10:11], 0xc1f00000, v[8:9]
	v_cvt_u32_f64_e32 v8, v[8:9]
	s_branch .LBB7_343
.LBB7_339:
	s_mov_b32 s39, -1
                                        ; implicit-def: $vgpr8
	s_branch .LBB7_361
.LBB7_340:
	s_mov_b32 s39, -1
                                        ; implicit-def: $vgpr8
	s_branch .LBB7_349
.LBB7_341:
	s_mov_b32 s39, -1
                                        ; implicit-def: $vgpr8
	s_branch .LBB7_346
.LBB7_342:
	s_mov_b32 s39, -1
                                        ; implicit-def: $vgpr8
.LBB7_343:
	s_delay_alu instid0(SALU_CYCLE_1)
	s_and_not1_b32 vcc_lo, exec_lo, s39
	s_cbranch_vccnz .LBB7_345
; %bb.344:
	global_load_b32 v1, v[6:7], off
	s_wait_loadcnt 0x0
	v_trunc_f32_e32 v1, v1
	s_delay_alu instid0(VALU_DEP_1) | instskip(NEXT) | instid1(VALU_DEP_1)
	v_mul_f32_e64 v3, 0x2f800000, |v1|
	v_floor_f32_e32 v3, v3
	s_delay_alu instid0(VALU_DEP_1) | instskip(SKIP_1) | instid1(VALU_DEP_2)
	v_fma_f32 v3, 0xcf800000, v3, |v1|
	v_ashrrev_i32_e32 v1, 31, v1
	v_cvt_u32_f32_e32 v3, v3
	s_delay_alu instid0(VALU_DEP_1) | instskip(NEXT) | instid1(VALU_DEP_1)
	v_xor_b32_e32 v3, v3, v1
	v_sub_nc_u32_e32 v8, v3, v1
.LBB7_345:
	s_mov_b32 s39, 0
.LBB7_346:
	s_delay_alu instid0(SALU_CYCLE_1)
	s_and_not1_b32 vcc_lo, exec_lo, s39
	s_cbranch_vccnz .LBB7_348
; %bb.347:
	global_load_b32 v1, v[6:7], off
	s_wait_loadcnt 0x0
	v_cvt_f32_f16_e32 v1, v1
	s_delay_alu instid0(VALU_DEP_1)
	v_cvt_i32_f32_e32 v8, v1
.LBB7_348:
	s_mov_b32 s39, 0
.LBB7_349:
	s_delay_alu instid0(SALU_CYCLE_1)
	s_and_not1_b32 vcc_lo, exec_lo, s39
	s_cbranch_vccnz .LBB7_360
; %bb.350:
	s_cmp_lt_i32 s0, 6
	s_cbranch_scc1 .LBB7_353
; %bb.351:
	s_cmp_gt_i32 s0, 6
	s_cbranch_scc0 .LBB7_354
; %bb.352:
	s_wait_loadcnt 0x0
	global_load_b64 v[8:9], v[6:7], off
	s_mov_b32 s39, 0
	s_wait_loadcnt 0x0
	v_trunc_f64_e32 v[8:9], v[8:9]
	s_delay_alu instid0(VALU_DEP_1) | instskip(NEXT) | instid1(VALU_DEP_1)
	v_ldexp_f64 v[10:11], v[8:9], 0xffffffe0
	v_floor_f64_e32 v[10:11], v[10:11]
	s_delay_alu instid0(VALU_DEP_1) | instskip(NEXT) | instid1(VALU_DEP_1)
	v_fmamk_f64 v[8:9], v[10:11], 0xc1f00000, v[8:9]
	v_cvt_u32_f64_e32 v8, v[8:9]
	s_branch .LBB7_355
.LBB7_353:
	s_mov_b32 s39, -1
                                        ; implicit-def: $vgpr8
	s_branch .LBB7_358
.LBB7_354:
	s_mov_b32 s39, -1
                                        ; implicit-def: $vgpr8
.LBB7_355:
	s_delay_alu instid0(SALU_CYCLE_1)
	s_and_not1_b32 vcc_lo, exec_lo, s39
	s_cbranch_vccnz .LBB7_357
; %bb.356:
	global_load_b32 v1, v[6:7], off
	s_wait_loadcnt 0x0
	v_trunc_f32_e32 v1, v1
	s_delay_alu instid0(VALU_DEP_1) | instskip(NEXT) | instid1(VALU_DEP_1)
	v_mul_f32_e64 v3, 0x2f800000, |v1|
	v_floor_f32_e32 v3, v3
	s_delay_alu instid0(VALU_DEP_1) | instskip(SKIP_1) | instid1(VALU_DEP_2)
	v_fma_f32 v3, 0xcf800000, v3, |v1|
	v_ashrrev_i32_e32 v1, 31, v1
	v_cvt_u32_f32_e32 v3, v3
	s_delay_alu instid0(VALU_DEP_1) | instskip(NEXT) | instid1(VALU_DEP_1)
	v_xor_b32_e32 v3, v3, v1
	v_sub_nc_u32_e32 v8, v3, v1
.LBB7_357:
	s_mov_b32 s39, 0
.LBB7_358:
	s_delay_alu instid0(SALU_CYCLE_1)
	s_and_not1_b32 vcc_lo, exec_lo, s39
	s_cbranch_vccnz .LBB7_360
; %bb.359:
	global_load_u16 v1, v[6:7], off
	s_wait_loadcnt 0x0
	v_cvt_f32_f16_e32 v1, v1
	s_delay_alu instid0(VALU_DEP_1)
	v_cvt_i32_f32_e32 v8, v1
.LBB7_360:
	s_mov_b32 s39, 0
.LBB7_361:
	s_delay_alu instid0(SALU_CYCLE_1)
	s_and_not1_b32 vcc_lo, exec_lo, s39
	s_cbranch_vccnz .LBB7_381
; %bb.362:
	s_cmp_lt_i32 s0, 2
	s_cbranch_scc1 .LBB7_366
; %bb.363:
	s_cmp_lt_i32 s0, 3
	s_cbranch_scc1 .LBB7_367
; %bb.364:
	s_cmp_gt_i32 s0, 3
	s_cbranch_scc0 .LBB7_368
; %bb.365:
	s_wait_loadcnt 0x0
	global_load_b64 v[8:9], v[6:7], off
	s_mov_b32 s39, 0
	s_branch .LBB7_369
.LBB7_366:
	s_mov_b32 s39, -1
                                        ; implicit-def: $vgpr8
	s_branch .LBB7_375
.LBB7_367:
	s_mov_b32 s39, -1
                                        ; implicit-def: $vgpr8
	s_branch .LBB7_372
.LBB7_368:
	s_mov_b32 s39, -1
                                        ; implicit-def: $vgpr8
.LBB7_369:
	s_delay_alu instid0(SALU_CYCLE_1)
	s_and_not1_b32 vcc_lo, exec_lo, s39
	s_cbranch_vccnz .LBB7_371
; %bb.370:
	s_wait_loadcnt 0x0
	global_load_b32 v8, v[6:7], off
.LBB7_371:
	s_mov_b32 s39, 0
.LBB7_372:
	s_delay_alu instid0(SALU_CYCLE_1)
	s_and_not1_b32 vcc_lo, exec_lo, s39
	s_cbranch_vccnz .LBB7_374
; %bb.373:
	s_wait_loadcnt 0x0
	global_load_u16 v8, v[6:7], off
.LBB7_374:
	s_mov_b32 s39, 0
.LBB7_375:
	s_delay_alu instid0(SALU_CYCLE_1)
	s_and_not1_b32 vcc_lo, exec_lo, s39
	s_cbranch_vccnz .LBB7_381
; %bb.376:
	s_cmp_gt_i32 s0, 0
	s_mov_b32 s0, 0
	s_cbranch_scc0 .LBB7_378
; %bb.377:
	s_wait_loadcnt 0x0
	global_load_u8 v8, v[6:7], off
	s_branch .LBB7_379
.LBB7_378:
	s_mov_b32 s0, -1
                                        ; implicit-def: $vgpr8
.LBB7_379:
	s_delay_alu instid0(SALU_CYCLE_1)
	s_and_not1_b32 vcc_lo, exec_lo, s0
	s_cbranch_vccnz .LBB7_381
; %bb.380:
	s_wait_loadcnt 0x0
	global_load_u8 v8, v[6:7], off
.LBB7_381:
	s_branch .LBB7_32
.LBB7_382:
	s_mov_b32 s0, 0
.LBB7_383:
	s_mov_b32 s43, 0
                                        ; implicit-def: $vgpr0
.LBB7_384:
	s_and_b32 s39, s0, exec_lo
	s_and_b32 s40, s27, exec_lo
	;; [unrolled: 1-line block ×3, first 2 shown]
	s_or_not1_b32 s27, s43, exec_lo
.LBB7_385:
	s_wait_xcnt 0x0
	s_or_b32 exec_lo, exec_lo, s42
	s_mov_b32 s44, 0
	s_mov_b32 s26, 0
                                        ; implicit-def: $sgpr0
                                        ; implicit-def: $vgpr8_vgpr9
                                        ; implicit-def: $vgpr6
                                        ; implicit-def: $vgpr2
                                        ; implicit-def: $vgpr4
	s_and_saveexec_b32 s42, s27
	s_cbranch_execz .LBB7_393
; %bb.386:
	s_mov_b32 s48, -1
	s_mov_b32 s43, s41
	s_mov_b32 s45, s40
	;; [unrolled: 1-line block ×3, first 2 shown]
	s_mov_b32 s46, exec_lo
	v_cmpx_gt_i32_e64 s37, v0
	s_cbranch_execz .LBB7_781
; %bb.387:
	s_and_not1_b32 vcc_lo, exec_lo, s31
	s_cbranch_vccnz .LBB7_396
; %bb.388:
	s_and_not1_b32 vcc_lo, exec_lo, s38
	s_cbranch_vccnz .LBB7_397
; %bb.389:
	v_dual_mov_b32 v2, 0 :: v_dual_mov_b32 v1, v0
	s_wait_loadcnt 0x0
	v_dual_mov_b32 v4, 0 :: v_dual_mov_b32 v6, 0
	s_add_co_i32 s0, s36, 1
	s_mov_b64 s[26:27], 0xffffffffffffffe8
	s_and_b32 s0, s0, 30
	s_add_nc_u64 s[26:27], s[2:3], s[26:27]
.LBB7_390:                              ; =>This Inner Loop Header: Depth=1
	s_clause 0x1
	s_load_b128 s[48:51], s[26:27], 0x1c
	s_load_b64 s[44:45], s[26:27], 0x2c
	s_add_co_i32 s0, s0, -2
	s_delay_alu instid0(SALU_CYCLE_1) | instskip(SKIP_2) | instid1(VALU_DEP_1)
	s_cmp_eq_u32 s0, 0
	s_wait_kmcnt 0x0
	v_mul_hi_u32 v3, s49, v1
	v_add_nc_u32_e32 v3, v1, v3
	s_delay_alu instid0(VALU_DEP_1) | instskip(NEXT) | instid1(VALU_DEP_1)
	v_lshrrev_b32_e32 v3, s50, v3
	v_mul_hi_u32 v5, s44, v3
	v_mul_lo_u32 v7, v3, s48
	s_clause 0x1
	s_load_b128 s[52:55], s[26:27], 0xdc
	s_load_b64 s[48:49], s[26:27], 0xec
	s_wait_xcnt 0x0
	s_add_nc_u64 s[26:27], s[26:27], 24
	s_delay_alu instid0(VALU_DEP_1) | instskip(NEXT) | instid1(VALU_DEP_1)
	v_dual_add_nc_u32 v5, v3, v5 :: v_dual_sub_nc_u32 v7, v1, v7
	v_lshrrev_b32_e32 v1, s45, v5
	s_wait_kmcnt 0x0
	s_delay_alu instid0(VALU_DEP_2) | instskip(NEXT) | instid1(VALU_DEP_2)
	v_mad_u32 v2, v7, s52, v2
	v_mul_lo_u32 v5, v1, s51
	v_mad_u32 v6, v7, s54, v6
	v_mad_u32 v4, v7, s53, v4
	s_delay_alu instid0(VALU_DEP_3) | instskip(NEXT) | instid1(VALU_DEP_1)
	v_sub_nc_u32_e32 v3, v3, v5
	v_mad_u32 v2, v3, s55, v2
	s_delay_alu instid0(VALU_DEP_4) | instskip(NEXT) | instid1(VALU_DEP_4)
	v_mad_u32 v6, v3, s49, v6
	v_mad_u32 v4, v3, s48, v4
	s_cbranch_scc0 .LBB7_390
; %bb.391:
	s_bitcmp1_b32 s36, 0
	s_cselect_b32 s0, -1, 0
	s_delay_alu instid0(SALU_CYCLE_1)
	s_and_b32 vcc_lo, exec_lo, s0
	s_cbranch_vccnz .LBB7_398
; %bb.392:
	s_clause 0x1
	s_load_b96 s[48:50], s[26:27], 0x1c
	s_load_b96 s[52:54], s[26:27], 0xdc
	s_wait_kmcnt 0x0
	v_mul_hi_u32 v3, s49, v1
	s_delay_alu instid0(VALU_DEP_1) | instskip(NEXT) | instid1(VALU_DEP_1)
	v_add_nc_u32_e32 v3, v1, v3
	v_lshrrev_b32_e32 v3, s50, v3
	s_delay_alu instid0(VALU_DEP_1) | instskip(NEXT) | instid1(VALU_DEP_1)
	v_mul_lo_u32 v3, v3, s48
	v_sub_nc_u32_e32 v1, v1, v3
	s_delay_alu instid0(VALU_DEP_1)
	v_mad_u32 v2, v1, s52, v2
	v_mad_u32 v4, v1, s53, v4
	;; [unrolled: 1-line block ×3, first 2 shown]
	s_branch .LBB7_398
.LBB7_393:
	s_or_b32 exec_lo, exec_lo, s42
	s_mov_b32 s1, 0
	s_and_saveexec_b32 s6, s41
	s_cbranch_execnz .LBB7_1269
.LBB7_394:
	s_or_b32 exec_lo, exec_lo, s6
	s_and_saveexec_b32 s6, s21
	s_delay_alu instid0(SALU_CYCLE_1)
	s_xor_b32 s6, exec_lo, s6
	s_cbranch_execz .LBB7_1270
.LBB7_395:
	s_wait_loadcnt 0x0
	global_load_u8 v0, v[8:9], off
	s_or_b32 s26, s26, exec_lo
	s_wait_loadcnt 0x0
	v_cmp_ne_u16_e32 vcc_lo, 0, v0
	v_cndmask_b32_e64 v4, 0, 1, vcc_lo
	s_wait_xcnt 0x0
	s_or_b32 exec_lo, exec_lo, s6
	s_and_saveexec_b32 s6, s44
	s_cbranch_execz .LBB7_1316
	s_branch .LBB7_1271
.LBB7_396:
                                        ; implicit-def: $vgpr6
                                        ; implicit-def: $vgpr4
                                        ; implicit-def: $vgpr2
	s_branch .LBB7_399
.LBB7_397:
	s_wait_loadcnt 0x0
	v_dual_mov_b32 v6, 0 :: v_dual_mov_b32 v4, 0
	v_mov_b32_e32 v2, 0
.LBB7_398:
	s_cbranch_execnz .LBB7_401
.LBB7_399:
	v_mov_b32_e32 v1, 0
	s_and_not1_b32 vcc_lo, exec_lo, s35
	s_delay_alu instid0(VALU_DEP_1) | instskip(NEXT) | instid1(VALU_DEP_1)
	v_mul_u64_e32 v[2:3], s[20:21], v[0:1]
	v_add_nc_u32_e32 v2, v0, v3
	s_wait_loadcnt 0x0
	s_delay_alu instid0(VALU_DEP_1) | instskip(NEXT) | instid1(VALU_DEP_1)
	v_lshrrev_b32_e32 v8, s14, v2
	v_mul_lo_u32 v2, v8, s12
	s_delay_alu instid0(VALU_DEP_1) | instskip(NEXT) | instid1(VALU_DEP_1)
	v_sub_nc_u32_e32 v3, v0, v2
	v_mul_lo_u32 v2, v3, s16
	v_mul_lo_u32 v6, v3, s18
	;; [unrolled: 1-line block ×3, first 2 shown]
	s_cbranch_vccnz .LBB7_401
; %bb.400:
	v_mov_b32_e32 v9, v1
	s_delay_alu instid0(VALU_DEP_1) | instskip(NEXT) | instid1(VALU_DEP_1)
	v_mul_u64_e32 v[10:11], s[24:25], v[8:9]
	v_add_nc_u32_e32 v1, v8, v11
	s_delay_alu instid0(VALU_DEP_1) | instskip(NEXT) | instid1(VALU_DEP_1)
	v_lshrrev_b32_e32 v1, s1, v1
	v_mul_lo_u32 v1, v1, s15
	s_delay_alu instid0(VALU_DEP_1) | instskip(NEXT) | instid1(VALU_DEP_1)
	v_sub_nc_u32_e32 v1, v8, v1
	v_mad_u32 v2, v1, s19, v2
	v_mad_u32 v4, v1, s22, v4
	;; [unrolled: 1-line block ×3, first 2 shown]
.LBB7_401:
	s_wait_loadcnt 0x0
	v_mov_b32_e32 v5, 0
	s_and_b32 s0, s34, 0xff
	s_delay_alu instid0(SALU_CYCLE_1) | instskip(NEXT) | instid1(VALU_DEP_1)
	s_cmp_lt_i32 s0, 11
	v_add_nc_u64_e32 v[8:9], s[6:7], v[4:5]
	s_cbranch_scc1 .LBB7_408
; %bb.402:
	s_and_b32 s27, 0xffff, s0
	s_delay_alu instid0(SALU_CYCLE_1)
	s_cmp_gt_i32 s27, 25
	s_cbranch_scc0 .LBB7_417
; %bb.403:
	s_cmp_gt_i32 s27, 28
	s_cbranch_scc0 .LBB7_419
; %bb.404:
	;; [unrolled: 3-line block ×4, first 2 shown]
	s_cmp_eq_u32 s27, 46
	s_mov_b32 s44, 0
	s_cbranch_scc0 .LBB7_427
; %bb.407:
	global_load_b32 v1, v[8:9], off
	s_mov_b32 s43, -1
	s_mov_b32 s26, 0
	s_wait_loadcnt 0x0
	v_lshlrev_b32_e32 v1, 16, v1
	s_delay_alu instid0(VALU_DEP_1) | instskip(NEXT) | instid1(VALU_DEP_1)
	v_trunc_f32_e32 v1, v1
	v_mul_f32_e64 v3, 0x2f800000, |v1|
	s_delay_alu instid0(VALU_DEP_1) | instskip(NEXT) | instid1(VALU_DEP_1)
	v_floor_f32_e32 v3, v3
	v_fma_f32 v3, 0xcf800000, v3, |v1|
	v_ashrrev_i32_e32 v1, 31, v1
	s_delay_alu instid0(VALU_DEP_2) | instskip(NEXT) | instid1(VALU_DEP_1)
	v_cvt_u32_f32_e32 v3, v3
	v_xor_b32_e32 v3, v3, v1
	s_delay_alu instid0(VALU_DEP_1)
	v_sub_nc_u32_e32 v4, v3, v1
	s_branch .LBB7_429
.LBB7_408:
	s_mov_b32 s43, 0
	s_mov_b32 s26, s41
                                        ; implicit-def: $vgpr4
	s_cbranch_execnz .LBB7_491
.LBB7_409:
	s_and_not1_b32 vcc_lo, exec_lo, s43
	s_cbranch_vccnz .LBB7_539
.LBB7_410:
	v_mov_b32_e32 v7, 0
	s_and_b32 s0, s13, 0xff
	s_delay_alu instid0(SALU_CYCLE_1) | instskip(NEXT) | instid1(VALU_DEP_1)
	s_cmp_lt_i32 s0, 11
	v_add_nc_u64_e32 v[6:7], s[8:9], v[6:7]
	s_cbranch_scc1 .LBB7_418
; %bb.411:
	s_and_b32 s43, 0xffff, s0
	s_delay_alu instid0(SALU_CYCLE_1)
	s_cmp_gt_i32 s43, 25
	s_cbranch_scc0 .LBB7_420
; %bb.412:
	s_cmp_gt_i32 s43, 28
	s_cbranch_scc0 .LBB7_422
; %bb.413:
	;; [unrolled: 3-line block ×4, first 2 shown]
	s_cmp_eq_u32 s43, 46
	s_mov_b32 s45, 0
	s_cbranch_scc0 .LBB7_542
; %bb.416:
	global_load_b32 v1, v[6:7], off
	s_mov_b32 s44, -1
	s_mov_b32 s27, 0
	s_wait_loadcnt 0x0
	v_lshlrev_b32_e32 v1, 16, v1
	s_delay_alu instid0(VALU_DEP_1) | instskip(NEXT) | instid1(VALU_DEP_1)
	v_trunc_f32_e32 v1, v1
	v_mul_f32_e64 v3, 0x2f800000, |v1|
	s_delay_alu instid0(VALU_DEP_1) | instskip(NEXT) | instid1(VALU_DEP_1)
	v_floor_f32_e32 v3, v3
	v_fma_f32 v3, 0xcf800000, v3, |v1|
	v_ashrrev_i32_e32 v1, 31, v1
	s_delay_alu instid0(VALU_DEP_2) | instskip(NEXT) | instid1(VALU_DEP_1)
	v_cvt_u32_f32_e32 v3, v3
	v_xor_b32_e32 v3, v3, v1
	s_wait_xcnt 0x1
	s_delay_alu instid0(VALU_DEP_1)
	v_sub_nc_u32_e32 v8, v3, v1
	s_branch .LBB7_544
.LBB7_417:
	s_mov_b32 s44, -1
	s_mov_b32 s43, 0
	s_mov_b32 s26, s41
                                        ; implicit-def: $vgpr4
	s_branch .LBB7_457
.LBB7_418:
	s_mov_b32 s43, -1
	s_mov_b32 s44, 0
	s_mov_b32 s27, s40
                                        ; implicit-def: $vgpr8
	s_branch .LBB7_605
.LBB7_419:
	s_mov_b32 s44, -1
	s_mov_b32 s43, 0
	s_mov_b32 s26, s41
                                        ; implicit-def: $vgpr4
	s_branch .LBB7_440
.LBB7_420:
	s_mov_b32 s45, -1
	s_mov_b32 s44, 0
	s_mov_b32 s27, s40
                                        ; implicit-def: $vgpr8
	s_branch .LBB7_571
.LBB7_421:
	s_mov_b32 s44, -1
	s_mov_b32 s43, 0
	s_mov_b32 s26, s41
                                        ; implicit-def: $vgpr4
	s_branch .LBB7_435
.LBB7_422:
	s_mov_b32 s45, -1
	s_mov_b32 s44, 0
	s_mov_b32 s27, s40
                                        ; implicit-def: $vgpr8
	s_branch .LBB7_554
.LBB7_423:
	s_mov_b32 s44, -1
	s_mov_b32 s43, 0
	s_mov_b32 s26, s41
	s_branch .LBB7_428
.LBB7_424:
	s_mov_b32 s45, -1
	s_mov_b32 s44, 0
	s_mov_b32 s27, s40
                                        ; implicit-def: $vgpr8
	s_branch .LBB7_549
.LBB7_425:
	s_and_not1_saveexec_b32 s45, s45
	s_cbranch_execz .LBB7_187
.LBB7_426:
	v_add_f32_e32 v1, 0x46000000, v4
	s_and_not1_b32 s44, s44, exec_lo
	s_delay_alu instid0(VALU_DEP_1) | instskip(NEXT) | instid1(VALU_DEP_1)
	v_and_b32_e32 v1, 0xff, v1
	v_cmp_ne_u32_e32 vcc_lo, 0, v1
	s_and_b32 s46, vcc_lo, exec_lo
	s_delay_alu instid0(SALU_CYCLE_1)
	s_or_b32 s44, s44, s46
	s_or_b32 exec_lo, exec_lo, s45
	v_mov_b32_e32 v5, 0
	s_and_saveexec_b32 s45, s44
	s_cbranch_execnz .LBB7_188
	s_branch .LBB7_189
.LBB7_427:
	s_mov_b32 s26, -1
	s_mov_b32 s43, 0
.LBB7_428:
                                        ; implicit-def: $vgpr4
.LBB7_429:
	s_and_b32 vcc_lo, exec_lo, s44
	s_cbranch_vccz .LBB7_434
; %bb.430:
	s_cmp_eq_u32 s27, 44
	s_cbranch_scc0 .LBB7_433
; %bb.431:
	global_load_u8 v1, v[8:9], off
	s_mov_b32 s26, 0
	s_mov_b32 s43, -1
	s_wait_loadcnt 0x0
	v_lshlrev_b32_e32 v3, 23, v1
	v_cmp_ne_u32_e32 vcc_lo, 0, v1
	s_delay_alu instid0(VALU_DEP_2) | instskip(NEXT) | instid1(VALU_DEP_1)
	v_trunc_f32_e32 v3, v3
	v_mul_f32_e64 v4, 0x2f800000, |v3|
	s_delay_alu instid0(VALU_DEP_1) | instskip(NEXT) | instid1(VALU_DEP_1)
	v_floor_f32_e32 v4, v4
	v_fma_f32 v4, 0xcf800000, v4, |v3|
	v_ashrrev_i32_e32 v3, 31, v3
	s_delay_alu instid0(VALU_DEP_2) | instskip(NEXT) | instid1(VALU_DEP_1)
	v_cvt_u32_f32_e32 v4, v4
	v_xor_b32_e32 v4, v4, v3
	s_delay_alu instid0(VALU_DEP_1) | instskip(NEXT) | instid1(VALU_DEP_1)
	v_sub_nc_u32_e32 v3, v4, v3
	v_cndmask_b32_e32 v4, 0, v3, vcc_lo
	s_branch .LBB7_434
.LBB7_432:
	s_mov_b32 s45, -1
	s_mov_b32 s44, 0
	s_mov_b32 s27, s40
	s_branch .LBB7_543
.LBB7_433:
	s_mov_b32 s26, -1
                                        ; implicit-def: $vgpr4
.LBB7_434:
	s_mov_b32 s44, 0
.LBB7_435:
	s_delay_alu instid0(SALU_CYCLE_1)
	s_and_b32 vcc_lo, exec_lo, s44
	s_cbranch_vccz .LBB7_439
; %bb.436:
	s_cmp_eq_u32 s27, 29
	s_cbranch_scc0 .LBB7_438
; %bb.437:
	global_load_b64 v[4:5], v[8:9], off
	s_mov_b32 s43, -1
	s_mov_b32 s26, 0
	s_branch .LBB7_439
.LBB7_438:
	s_mov_b32 s26, -1
                                        ; implicit-def: $vgpr4
.LBB7_439:
	s_mov_b32 s44, 0
.LBB7_440:
	s_delay_alu instid0(SALU_CYCLE_1)
	s_and_b32 vcc_lo, exec_lo, s44
	s_cbranch_vccz .LBB7_456
; %bb.441:
	s_cmp_lt_i32 s27, 27
	s_cbranch_scc1 .LBB7_444
; %bb.442:
	s_cmp_gt_i32 s27, 27
	s_cbranch_scc0 .LBB7_445
; %bb.443:
	s_wait_loadcnt 0x0
	global_load_b32 v4, v[8:9], off
	s_mov_b32 s43, 0
	s_branch .LBB7_446
.LBB7_444:
	s_mov_b32 s43, -1
                                        ; implicit-def: $vgpr4
	s_branch .LBB7_449
.LBB7_445:
	s_mov_b32 s43, -1
                                        ; implicit-def: $vgpr4
.LBB7_446:
	s_delay_alu instid0(SALU_CYCLE_1)
	s_and_not1_b32 vcc_lo, exec_lo, s43
	s_cbranch_vccnz .LBB7_448
; %bb.447:
	s_wait_loadcnt 0x0
	global_load_u16 v4, v[8:9], off
.LBB7_448:
	s_mov_b32 s43, 0
.LBB7_449:
	s_delay_alu instid0(SALU_CYCLE_1)
	s_and_not1_b32 vcc_lo, exec_lo, s43
	s_cbranch_vccnz .LBB7_455
; %bb.450:
	global_load_u8 v1, v[8:9], off
	s_mov_b32 s44, 0
	s_mov_b32 s43, exec_lo
	s_wait_loadcnt 0x0
	v_cmpx_lt_i16_e32 0x7f, v1
	s_xor_b32 s43, exec_lo, s43
	s_cbranch_execz .LBB7_467
; %bb.451:
	v_cmp_ne_u16_e32 vcc_lo, 0x80, v1
	s_and_b32 s44, vcc_lo, exec_lo
	s_and_not1_saveexec_b32 s43, s43
	s_cbranch_execnz .LBB7_468
.LBB7_452:
	s_or_b32 exec_lo, exec_lo, s43
	v_mov_b32_e32 v4, 0
	s_and_saveexec_b32 s43, s44
	s_cbranch_execz .LBB7_454
.LBB7_453:
	v_and_b32_e32 v3, 0xffff, v1
	s_delay_alu instid0(VALU_DEP_1) | instskip(SKIP_1) | instid1(VALU_DEP_2)
	v_and_b32_e32 v4, 7, v3
	v_bfe_u32 v10, v3, 3, 4
	v_clz_i32_u32_e32 v5, v4
	s_delay_alu instid0(VALU_DEP_2) | instskip(NEXT) | instid1(VALU_DEP_2)
	v_cmp_eq_u32_e32 vcc_lo, 0, v10
	v_min_u32_e32 v5, 32, v5
	s_delay_alu instid0(VALU_DEP_1) | instskip(NEXT) | instid1(VALU_DEP_1)
	v_subrev_nc_u32_e32 v7, 28, v5
	v_dual_lshlrev_b32 v3, v7, v3 :: v_dual_sub_nc_u32 v5, 29, v5
	s_delay_alu instid0(VALU_DEP_1) | instskip(NEXT) | instid1(VALU_DEP_1)
	v_dual_lshlrev_b32 v1, 24, v1 :: v_dual_bitop2_b32 v3, 7, v3 bitop3:0x40
	v_dual_cndmask_b32 v3, v4, v3, vcc_lo :: v_dual_cndmask_b32 v5, v10, v5, vcc_lo
	s_delay_alu instid0(VALU_DEP_2) | instskip(NEXT) | instid1(VALU_DEP_2)
	v_and_b32_e32 v1, 0x80000000, v1
	v_lshlrev_b32_e32 v3, 20, v3
	s_delay_alu instid0(VALU_DEP_3) | instskip(NEXT) | instid1(VALU_DEP_1)
	v_lshl_add_u32 v4, v5, 23, 0x3b800000
	v_or3_b32 v1, v1, v4, v3
	s_delay_alu instid0(VALU_DEP_1) | instskip(NEXT) | instid1(VALU_DEP_1)
	v_trunc_f32_e32 v1, v1
	v_mul_f32_e64 v3, 0x2f800000, |v1|
	s_delay_alu instid0(VALU_DEP_1) | instskip(NEXT) | instid1(VALU_DEP_1)
	v_floor_f32_e32 v3, v3
	v_fma_f32 v3, 0xcf800000, v3, |v1|
	v_ashrrev_i32_e32 v1, 31, v1
	s_delay_alu instid0(VALU_DEP_2) | instskip(NEXT) | instid1(VALU_DEP_1)
	v_cvt_u32_f32_e32 v3, v3
	v_xor_b32_e32 v3, v3, v1
	s_delay_alu instid0(VALU_DEP_1)
	v_sub_nc_u32_e32 v4, v3, v1
.LBB7_454:
	s_or_b32 exec_lo, exec_lo, s43
.LBB7_455:
	s_mov_b32 s43, -1
.LBB7_456:
	s_mov_b32 s44, 0
.LBB7_457:
	s_delay_alu instid0(SALU_CYCLE_1)
	s_and_b32 vcc_lo, exec_lo, s44
	s_cbranch_vccz .LBB7_490
; %bb.458:
	s_cmp_gt_i32 s27, 22
	s_cbranch_scc0 .LBB7_466
; %bb.459:
	s_cmp_lt_i32 s27, 24
	s_cbranch_scc1 .LBB7_469
; %bb.460:
	s_cmp_gt_i32 s27, 24
	s_cbranch_scc0 .LBB7_470
; %bb.461:
	global_load_u8 v1, v[8:9], off
	s_mov_b32 s44, 0
	s_mov_b32 s43, exec_lo
	s_wait_loadcnt 0x0
	v_cmpx_lt_i16_e32 0x7f, v1
	s_xor_b32 s43, exec_lo, s43
	s_cbranch_execz .LBB7_482
; %bb.462:
	v_cmp_ne_u16_e32 vcc_lo, 0x80, v1
	s_and_b32 s44, vcc_lo, exec_lo
	s_and_not1_saveexec_b32 s43, s43
	s_cbranch_execnz .LBB7_483
.LBB7_463:
	s_or_b32 exec_lo, exec_lo, s43
	v_mov_b32_e32 v4, 0
	s_and_saveexec_b32 s43, s44
	s_cbranch_execz .LBB7_465
.LBB7_464:
	v_and_b32_e32 v3, 0xffff, v1
	s_delay_alu instid0(VALU_DEP_1) | instskip(SKIP_1) | instid1(VALU_DEP_2)
	v_and_b32_e32 v4, 3, v3
	v_bfe_u32 v10, v3, 2, 5
	v_clz_i32_u32_e32 v5, v4
	s_delay_alu instid0(VALU_DEP_2) | instskip(NEXT) | instid1(VALU_DEP_2)
	v_cmp_eq_u32_e32 vcc_lo, 0, v10
	v_min_u32_e32 v5, 32, v5
	s_delay_alu instid0(VALU_DEP_1) | instskip(NEXT) | instid1(VALU_DEP_1)
	v_subrev_nc_u32_e32 v7, 29, v5
	v_dual_lshlrev_b32 v3, v7, v3 :: v_dual_sub_nc_u32 v5, 30, v5
	s_delay_alu instid0(VALU_DEP_1) | instskip(NEXT) | instid1(VALU_DEP_1)
	v_dual_lshlrev_b32 v1, 24, v1 :: v_dual_bitop2_b32 v3, 3, v3 bitop3:0x40
	v_dual_cndmask_b32 v3, v4, v3, vcc_lo :: v_dual_cndmask_b32 v5, v10, v5, vcc_lo
	s_delay_alu instid0(VALU_DEP_2) | instskip(NEXT) | instid1(VALU_DEP_2)
	v_and_b32_e32 v1, 0x80000000, v1
	v_lshlrev_b32_e32 v3, 21, v3
	s_delay_alu instid0(VALU_DEP_3) | instskip(NEXT) | instid1(VALU_DEP_1)
	v_lshl_add_u32 v4, v5, 23, 0x37800000
	v_or3_b32 v1, v1, v4, v3
	s_delay_alu instid0(VALU_DEP_1) | instskip(NEXT) | instid1(VALU_DEP_1)
	v_trunc_f32_e32 v1, v1
	v_mul_f32_e64 v3, 0x2f800000, |v1|
	s_delay_alu instid0(VALU_DEP_1) | instskip(NEXT) | instid1(VALU_DEP_1)
	v_floor_f32_e32 v3, v3
	v_fma_f32 v3, 0xcf800000, v3, |v1|
	v_ashrrev_i32_e32 v1, 31, v1
	s_delay_alu instid0(VALU_DEP_2) | instskip(NEXT) | instid1(VALU_DEP_1)
	v_cvt_u32_f32_e32 v3, v3
	v_xor_b32_e32 v3, v3, v1
	s_delay_alu instid0(VALU_DEP_1)
	v_sub_nc_u32_e32 v4, v3, v1
.LBB7_465:
	s_or_b32 exec_lo, exec_lo, s43
	s_mov_b32 s43, 0
	s_branch .LBB7_471
.LBB7_466:
	s_mov_b32 s44, -1
                                        ; implicit-def: $vgpr4
	s_branch .LBB7_477
.LBB7_467:
	s_and_not1_saveexec_b32 s43, s43
	s_cbranch_execz .LBB7_452
.LBB7_468:
	v_cmp_ne_u16_e32 vcc_lo, 0, v1
	s_and_not1_b32 s44, s44, exec_lo
	s_and_b32 s45, vcc_lo, exec_lo
	s_delay_alu instid0(SALU_CYCLE_1)
	s_or_b32 s44, s44, s45
	s_or_b32 exec_lo, exec_lo, s43
	v_mov_b32_e32 v4, 0
	s_and_saveexec_b32 s43, s44
	s_cbranch_execnz .LBB7_453
	s_branch .LBB7_454
.LBB7_469:
	s_mov_b32 s43, -1
                                        ; implicit-def: $vgpr4
	s_branch .LBB7_474
.LBB7_470:
	s_mov_b32 s43, -1
                                        ; implicit-def: $vgpr4
.LBB7_471:
	s_delay_alu instid0(SALU_CYCLE_1)
	s_and_b32 vcc_lo, exec_lo, s43
	s_cbranch_vccz .LBB7_473
; %bb.472:
	global_load_u8 v1, v[8:9], off
	s_wait_loadcnt 0x0
	v_lshlrev_b32_e32 v1, 24, v1
	s_delay_alu instid0(VALU_DEP_1) | instskip(NEXT) | instid1(VALU_DEP_1)
	v_and_b32_e32 v3, 0x7f000000, v1
	v_clz_i32_u32_e32 v4, v3
	v_add_nc_u32_e32 v7, 0x1000000, v3
	v_cmp_ne_u32_e32 vcc_lo, 0, v3
	s_delay_alu instid0(VALU_DEP_3) | instskip(NEXT) | instid1(VALU_DEP_1)
	v_min_u32_e32 v4, 32, v4
	v_sub_nc_u32_e64 v4, v4, 4 clamp
	s_delay_alu instid0(VALU_DEP_1) | instskip(NEXT) | instid1(VALU_DEP_1)
	v_dual_lshlrev_b32 v5, v4, v3 :: v_dual_lshlrev_b32 v4, 23, v4
	v_lshrrev_b32_e32 v5, 4, v5
	s_delay_alu instid0(VALU_DEP_1) | instskip(NEXT) | instid1(VALU_DEP_1)
	v_dual_sub_nc_u32 v4, v5, v4 :: v_dual_ashrrev_i32 v5, 8, v7
	v_add_nc_u32_e32 v4, 0x3c000000, v4
	s_delay_alu instid0(VALU_DEP_1) | instskip(NEXT) | instid1(VALU_DEP_1)
	v_and_or_b32 v4, 0x7f800000, v5, v4
	v_cndmask_b32_e32 v3, 0, v4, vcc_lo
	s_delay_alu instid0(VALU_DEP_1) | instskip(NEXT) | instid1(VALU_DEP_1)
	v_and_or_b32 v1, 0x80000000, v1, v3
	v_trunc_f32_e32 v1, v1
	s_delay_alu instid0(VALU_DEP_1) | instskip(NEXT) | instid1(VALU_DEP_1)
	v_mul_f32_e64 v3, 0x2f800000, |v1|
	v_floor_f32_e32 v3, v3
	s_delay_alu instid0(VALU_DEP_1) | instskip(SKIP_1) | instid1(VALU_DEP_2)
	v_fma_f32 v3, 0xcf800000, v3, |v1|
	v_ashrrev_i32_e32 v1, 31, v1
	v_cvt_u32_f32_e32 v3, v3
	s_delay_alu instid0(VALU_DEP_1) | instskip(NEXT) | instid1(VALU_DEP_1)
	v_xor_b32_e32 v3, v3, v1
	v_sub_nc_u32_e32 v4, v3, v1
.LBB7_473:
	s_mov_b32 s43, 0
.LBB7_474:
	s_delay_alu instid0(SALU_CYCLE_1)
	s_and_not1_b32 vcc_lo, exec_lo, s43
	s_cbranch_vccnz .LBB7_476
; %bb.475:
	global_load_u8 v1, v[8:9], off
	s_wait_loadcnt 0x0
	v_lshlrev_b32_e32 v3, 25, v1
	v_lshlrev_b16 v1, 8, v1
	s_delay_alu instid0(VALU_DEP_1) | instskip(NEXT) | instid1(VALU_DEP_3)
	v_and_or_b32 v5, 0x7f00, v1, 0.5
	v_lshrrev_b32_e32 v4, 4, v3
	v_bfe_i32 v1, v1, 0, 16
	s_delay_alu instid0(VALU_DEP_3) | instskip(NEXT) | instid1(VALU_DEP_3)
	v_add_f32_e32 v5, -0.5, v5
	v_or_b32_e32 v4, 0x70000000, v4
	s_delay_alu instid0(VALU_DEP_1) | instskip(SKIP_1) | instid1(VALU_DEP_2)
	v_mul_f32_e32 v4, 0x7800000, v4
	v_cmp_gt_u32_e32 vcc_lo, 0x8000000, v3
	v_cndmask_b32_e32 v3, v4, v5, vcc_lo
	s_delay_alu instid0(VALU_DEP_1) | instskip(NEXT) | instid1(VALU_DEP_1)
	v_and_or_b32 v1, 0x80000000, v1, v3
	v_trunc_f32_e32 v1, v1
	s_delay_alu instid0(VALU_DEP_1) | instskip(NEXT) | instid1(VALU_DEP_1)
	v_mul_f32_e64 v3, 0x2f800000, |v1|
	v_floor_f32_e32 v3, v3
	s_delay_alu instid0(VALU_DEP_1) | instskip(SKIP_1) | instid1(VALU_DEP_2)
	v_fma_f32 v3, 0xcf800000, v3, |v1|
	v_ashrrev_i32_e32 v1, 31, v1
	v_cvt_u32_f32_e32 v3, v3
	s_delay_alu instid0(VALU_DEP_1) | instskip(NEXT) | instid1(VALU_DEP_1)
	v_xor_b32_e32 v3, v3, v1
	v_sub_nc_u32_e32 v4, v3, v1
.LBB7_476:
	s_mov_b32 s44, 0
	s_mov_b32 s43, -1
.LBB7_477:
	s_and_not1_b32 vcc_lo, exec_lo, s44
	s_cbranch_vccnz .LBB7_490
; %bb.478:
	s_cmp_gt_i32 s27, 14
	s_cbranch_scc0 .LBB7_481
; %bb.479:
	s_cmp_eq_u32 s27, 15
	s_cbranch_scc0 .LBB7_484
; %bb.480:
	global_load_u16 v1, v[8:9], off
	s_mov_b32 s43, -1
	s_mov_b32 s26, 0
	s_wait_loadcnt 0x0
	v_lshlrev_b32_e32 v1, 16, v1
	s_delay_alu instid0(VALU_DEP_1) | instskip(NEXT) | instid1(VALU_DEP_1)
	v_trunc_f32_e32 v1, v1
	v_mul_f32_e64 v3, 0x2f800000, |v1|
	s_delay_alu instid0(VALU_DEP_1) | instskip(NEXT) | instid1(VALU_DEP_1)
	v_floor_f32_e32 v3, v3
	v_fma_f32 v3, 0xcf800000, v3, |v1|
	v_ashrrev_i32_e32 v1, 31, v1
	s_delay_alu instid0(VALU_DEP_2) | instskip(NEXT) | instid1(VALU_DEP_1)
	v_cvt_u32_f32_e32 v3, v3
	v_xor_b32_e32 v3, v3, v1
	s_delay_alu instid0(VALU_DEP_1)
	v_sub_nc_u32_e32 v4, v3, v1
	s_branch .LBB7_485
.LBB7_481:
	s_mov_b32 s44, -1
                                        ; implicit-def: $vgpr4
	s_branch .LBB7_486
.LBB7_482:
	s_and_not1_saveexec_b32 s43, s43
	s_cbranch_execz .LBB7_463
.LBB7_483:
	v_cmp_ne_u16_e32 vcc_lo, 0, v1
	s_and_not1_b32 s44, s44, exec_lo
	s_and_b32 s45, vcc_lo, exec_lo
	s_delay_alu instid0(SALU_CYCLE_1)
	s_or_b32 s44, s44, s45
	s_or_b32 exec_lo, exec_lo, s43
	v_mov_b32_e32 v4, 0
	s_and_saveexec_b32 s43, s44
	s_cbranch_execnz .LBB7_464
	s_branch .LBB7_465
.LBB7_484:
	s_mov_b32 s26, -1
                                        ; implicit-def: $vgpr4
.LBB7_485:
	s_mov_b32 s44, 0
.LBB7_486:
	s_delay_alu instid0(SALU_CYCLE_1)
	s_and_b32 vcc_lo, exec_lo, s44
	s_cbranch_vccz .LBB7_490
; %bb.487:
	s_cmp_eq_u32 s27, 11
	s_cbranch_scc0 .LBB7_489
; %bb.488:
	global_load_u8 v1, v[8:9], off
	s_mov_b32 s26, 0
	s_mov_b32 s43, -1
	s_wait_loadcnt 0x0
	v_cmp_ne_u16_e32 vcc_lo, 0, v1
	v_cndmask_b32_e64 v4, 0, 1, vcc_lo
	s_branch .LBB7_490
.LBB7_489:
	s_mov_b32 s26, -1
                                        ; implicit-def: $vgpr4
.LBB7_490:
	s_branch .LBB7_409
.LBB7_491:
	s_and_b32 s0, 0xffff, s0
	s_delay_alu instid0(SALU_CYCLE_1)
	s_cmp_lt_i32 s0, 5
	s_cbranch_scc1 .LBB7_496
; %bb.492:
	s_cmp_lt_i32 s0, 8
	s_cbranch_scc1 .LBB7_497
; %bb.493:
	;; [unrolled: 3-line block ×3, first 2 shown]
	s_cmp_gt_i32 s0, 9
	s_cbranch_scc0 .LBB7_499
; %bb.495:
	s_wait_loadcnt 0x0
	global_load_b64 v[4:5], v[8:9], off
	s_mov_b32 s27, 0
	s_wait_loadcnt 0x0
	v_trunc_f64_e32 v[4:5], v[4:5]
	s_delay_alu instid0(VALU_DEP_1) | instskip(NEXT) | instid1(VALU_DEP_1)
	v_ldexp_f64 v[10:11], v[4:5], 0xffffffe0
	v_floor_f64_e32 v[10:11], v[10:11]
	s_delay_alu instid0(VALU_DEP_1) | instskip(NEXT) | instid1(VALU_DEP_1)
	v_fmamk_f64 v[4:5], v[10:11], 0xc1f00000, v[4:5]
	v_cvt_u32_f64_e32 v4, v[4:5]
	s_branch .LBB7_500
.LBB7_496:
	s_mov_b32 s27, -1
                                        ; implicit-def: $vgpr4
	s_branch .LBB7_518
.LBB7_497:
	s_mov_b32 s27, -1
                                        ; implicit-def: $vgpr4
	s_branch .LBB7_506
.LBB7_498:
	s_mov_b32 s27, -1
                                        ; implicit-def: $vgpr4
	s_branch .LBB7_503
.LBB7_499:
	s_mov_b32 s27, -1
                                        ; implicit-def: $vgpr4
.LBB7_500:
	s_delay_alu instid0(SALU_CYCLE_1)
	s_and_not1_b32 vcc_lo, exec_lo, s27
	s_cbranch_vccnz .LBB7_502
; %bb.501:
	global_load_b32 v1, v[8:9], off
	s_wait_loadcnt 0x0
	v_trunc_f32_e32 v1, v1
	s_delay_alu instid0(VALU_DEP_1) | instskip(NEXT) | instid1(VALU_DEP_1)
	v_mul_f32_e64 v3, 0x2f800000, |v1|
	v_floor_f32_e32 v3, v3
	s_delay_alu instid0(VALU_DEP_1) | instskip(SKIP_1) | instid1(VALU_DEP_2)
	v_fma_f32 v3, 0xcf800000, v3, |v1|
	v_ashrrev_i32_e32 v1, 31, v1
	v_cvt_u32_f32_e32 v3, v3
	s_delay_alu instid0(VALU_DEP_1) | instskip(NEXT) | instid1(VALU_DEP_1)
	v_xor_b32_e32 v3, v3, v1
	v_sub_nc_u32_e32 v4, v3, v1
.LBB7_502:
	s_mov_b32 s27, 0
.LBB7_503:
	s_delay_alu instid0(SALU_CYCLE_1)
	s_and_not1_b32 vcc_lo, exec_lo, s27
	s_cbranch_vccnz .LBB7_505
; %bb.504:
	global_load_b32 v1, v[8:9], off
	s_wait_loadcnt 0x0
	v_cvt_f32_f16_e32 v1, v1
	s_delay_alu instid0(VALU_DEP_1)
	v_cvt_i32_f32_e32 v4, v1
.LBB7_505:
	s_mov_b32 s27, 0
.LBB7_506:
	s_delay_alu instid0(SALU_CYCLE_1)
	s_and_not1_b32 vcc_lo, exec_lo, s27
	s_cbranch_vccnz .LBB7_517
; %bb.507:
	s_cmp_lt_i32 s0, 6
	s_cbranch_scc1 .LBB7_510
; %bb.508:
	s_cmp_gt_i32 s0, 6
	s_cbranch_scc0 .LBB7_511
; %bb.509:
	s_wait_loadcnt 0x0
	global_load_b64 v[4:5], v[8:9], off
	s_mov_b32 s27, 0
	s_wait_loadcnt 0x0
	v_trunc_f64_e32 v[4:5], v[4:5]
	s_delay_alu instid0(VALU_DEP_1) | instskip(NEXT) | instid1(VALU_DEP_1)
	v_ldexp_f64 v[10:11], v[4:5], 0xffffffe0
	v_floor_f64_e32 v[10:11], v[10:11]
	s_delay_alu instid0(VALU_DEP_1) | instskip(NEXT) | instid1(VALU_DEP_1)
	v_fmamk_f64 v[4:5], v[10:11], 0xc1f00000, v[4:5]
	v_cvt_u32_f64_e32 v4, v[4:5]
	s_branch .LBB7_512
.LBB7_510:
	s_mov_b32 s27, -1
                                        ; implicit-def: $vgpr4
	s_branch .LBB7_515
.LBB7_511:
	s_mov_b32 s27, -1
                                        ; implicit-def: $vgpr4
.LBB7_512:
	s_delay_alu instid0(SALU_CYCLE_1)
	s_and_not1_b32 vcc_lo, exec_lo, s27
	s_cbranch_vccnz .LBB7_514
; %bb.513:
	global_load_b32 v1, v[8:9], off
	s_wait_loadcnt 0x0
	v_trunc_f32_e32 v1, v1
	s_delay_alu instid0(VALU_DEP_1) | instskip(NEXT) | instid1(VALU_DEP_1)
	v_mul_f32_e64 v3, 0x2f800000, |v1|
	v_floor_f32_e32 v3, v3
	s_delay_alu instid0(VALU_DEP_1) | instskip(SKIP_1) | instid1(VALU_DEP_2)
	v_fma_f32 v3, 0xcf800000, v3, |v1|
	v_ashrrev_i32_e32 v1, 31, v1
	v_cvt_u32_f32_e32 v3, v3
	s_delay_alu instid0(VALU_DEP_1) | instskip(NEXT) | instid1(VALU_DEP_1)
	v_xor_b32_e32 v3, v3, v1
	v_sub_nc_u32_e32 v4, v3, v1
.LBB7_514:
	s_mov_b32 s27, 0
.LBB7_515:
	s_delay_alu instid0(SALU_CYCLE_1)
	s_and_not1_b32 vcc_lo, exec_lo, s27
	s_cbranch_vccnz .LBB7_517
; %bb.516:
	global_load_u16 v1, v[8:9], off
	s_wait_loadcnt 0x0
	v_cvt_f32_f16_e32 v1, v1
	s_delay_alu instid0(VALU_DEP_1)
	v_cvt_i32_f32_e32 v4, v1
.LBB7_517:
	s_mov_b32 s27, 0
.LBB7_518:
	s_delay_alu instid0(SALU_CYCLE_1)
	s_and_not1_b32 vcc_lo, exec_lo, s27
	s_cbranch_vccnz .LBB7_538
; %bb.519:
	s_cmp_lt_i32 s0, 2
	s_cbranch_scc1 .LBB7_523
; %bb.520:
	s_cmp_lt_i32 s0, 3
	s_cbranch_scc1 .LBB7_524
; %bb.521:
	s_cmp_gt_i32 s0, 3
	s_cbranch_scc0 .LBB7_525
; %bb.522:
	s_wait_loadcnt 0x0
	global_load_b64 v[4:5], v[8:9], off
	s_mov_b32 s27, 0
	s_branch .LBB7_526
.LBB7_523:
	s_mov_b32 s27, -1
                                        ; implicit-def: $vgpr4
	s_branch .LBB7_532
.LBB7_524:
	s_mov_b32 s27, -1
                                        ; implicit-def: $vgpr4
	s_branch .LBB7_529
.LBB7_525:
	s_mov_b32 s27, -1
                                        ; implicit-def: $vgpr4
.LBB7_526:
	s_delay_alu instid0(SALU_CYCLE_1)
	s_and_not1_b32 vcc_lo, exec_lo, s27
	s_cbranch_vccnz .LBB7_528
; %bb.527:
	s_wait_loadcnt 0x0
	global_load_b32 v4, v[8:9], off
.LBB7_528:
	s_mov_b32 s27, 0
.LBB7_529:
	s_delay_alu instid0(SALU_CYCLE_1)
	s_and_not1_b32 vcc_lo, exec_lo, s27
	s_cbranch_vccnz .LBB7_531
; %bb.530:
	s_wait_loadcnt 0x0
	global_load_u16 v4, v[8:9], off
.LBB7_531:
	s_mov_b32 s27, 0
.LBB7_532:
	s_delay_alu instid0(SALU_CYCLE_1)
	s_and_not1_b32 vcc_lo, exec_lo, s27
	s_cbranch_vccnz .LBB7_538
; %bb.533:
	s_cmp_gt_i32 s0, 0
	s_mov_b32 s0, 0
	s_cbranch_scc0 .LBB7_535
; %bb.534:
	s_wait_loadcnt 0x0
	global_load_u8 v4, v[8:9], off
	s_branch .LBB7_536
.LBB7_535:
	s_mov_b32 s0, -1
                                        ; implicit-def: $vgpr4
.LBB7_536:
	s_delay_alu instid0(SALU_CYCLE_1)
	s_and_not1_b32 vcc_lo, exec_lo, s0
	s_cbranch_vccnz .LBB7_538
; %bb.537:
	s_wait_loadcnt 0x0
	global_load_u8 v4, v[8:9], off
.LBB7_538:
	s_branch .LBB7_410
.LBB7_539:
	s_mov_b32 s47, 0
	s_mov_b32 s0, s39
	;; [unrolled: 1-line block ×3, first 2 shown]
	s_branch .LBB7_779
.LBB7_540:
	s_and_not1_saveexec_b32 s45, s45
	s_cbranch_execz .LBB7_200
.LBB7_541:
	v_add_f32_e32 v1, 0x42800000, v4
	s_and_not1_b32 s44, s44, exec_lo
	s_delay_alu instid0(VALU_DEP_1) | instskip(NEXT) | instid1(VALU_DEP_1)
	v_and_b32_e32 v1, 0xff, v1
	v_cmp_ne_u32_e32 vcc_lo, 0, v1
	s_and_b32 s46, vcc_lo, exec_lo
	s_delay_alu instid0(SALU_CYCLE_1)
	s_or_b32 s44, s44, s46
	s_or_b32 exec_lo, exec_lo, s45
	v_mov_b32_e32 v5, 0
	s_and_saveexec_b32 s45, s44
	s_cbranch_execnz .LBB7_201
	s_branch .LBB7_202
.LBB7_542:
	s_mov_b32 s27, -1
	s_mov_b32 s44, 0
.LBB7_543:
                                        ; implicit-def: $vgpr8
.LBB7_544:
	s_and_b32 vcc_lo, exec_lo, s45
	s_cbranch_vccz .LBB7_548
; %bb.545:
	s_cmp_eq_u32 s43, 44
	s_cbranch_scc0 .LBB7_547
; %bb.546:
	global_load_u8 v1, v[6:7], off
	s_mov_b32 s27, 0
	s_mov_b32 s44, -1
	s_wait_loadcnt 0x0
	v_lshlrev_b32_e32 v3, 23, v1
	v_cmp_ne_u32_e32 vcc_lo, 0, v1
	s_delay_alu instid0(VALU_DEP_2) | instskip(NEXT) | instid1(VALU_DEP_1)
	v_trunc_f32_e32 v3, v3
	v_mul_f32_e64 v5, 0x2f800000, |v3|
	s_delay_alu instid0(VALU_DEP_1) | instskip(NEXT) | instid1(VALU_DEP_1)
	v_floor_f32_e32 v5, v5
	v_fma_f32 v5, 0xcf800000, v5, |v3|
	v_ashrrev_i32_e32 v3, 31, v3
	s_delay_alu instid0(VALU_DEP_2) | instskip(NEXT) | instid1(VALU_DEP_1)
	v_cvt_u32_f32_e32 v5, v5
	v_xor_b32_e32 v5, v5, v3
	s_delay_alu instid0(VALU_DEP_1) | instskip(SKIP_1) | instid1(VALU_DEP_1)
	v_sub_nc_u32_e32 v3, v5, v3
	s_wait_xcnt 0x1
	v_cndmask_b32_e32 v8, 0, v3, vcc_lo
	s_branch .LBB7_548
.LBB7_547:
	s_mov_b32 s27, -1
                                        ; implicit-def: $vgpr8
.LBB7_548:
	s_mov_b32 s45, 0
.LBB7_549:
	s_delay_alu instid0(SALU_CYCLE_1)
	s_and_b32 vcc_lo, exec_lo, s45
	s_cbranch_vccz .LBB7_553
; %bb.550:
	s_cmp_eq_u32 s43, 29
	s_cbranch_scc0 .LBB7_552
; %bb.551:
	global_load_b64 v[8:9], v[6:7], off
	s_mov_b32 s44, -1
	s_mov_b32 s27, 0
	s_branch .LBB7_553
.LBB7_552:
	s_mov_b32 s27, -1
                                        ; implicit-def: $vgpr8
.LBB7_553:
	s_mov_b32 s45, 0
.LBB7_554:
	s_delay_alu instid0(SALU_CYCLE_1)
	s_and_b32 vcc_lo, exec_lo, s45
	s_cbranch_vccz .LBB7_570
; %bb.555:
	s_cmp_lt_i32 s43, 27
	s_cbranch_scc1 .LBB7_558
; %bb.556:
	s_cmp_gt_i32 s43, 27
	s_cbranch_scc0 .LBB7_559
; %bb.557:
	s_wait_loadcnt 0x0
	global_load_b32 v8, v[6:7], off
	s_mov_b32 s44, 0
	s_branch .LBB7_560
.LBB7_558:
	s_mov_b32 s44, -1
                                        ; implicit-def: $vgpr8
	s_branch .LBB7_563
.LBB7_559:
	s_mov_b32 s44, -1
                                        ; implicit-def: $vgpr8
.LBB7_560:
	s_delay_alu instid0(SALU_CYCLE_1)
	s_and_not1_b32 vcc_lo, exec_lo, s44
	s_cbranch_vccnz .LBB7_562
; %bb.561:
	s_wait_loadcnt 0x0
	global_load_u16 v8, v[6:7], off
.LBB7_562:
	s_mov_b32 s44, 0
.LBB7_563:
	s_delay_alu instid0(SALU_CYCLE_1)
	s_and_not1_b32 vcc_lo, exec_lo, s44
	s_cbranch_vccnz .LBB7_569
; %bb.564:
	global_load_u8 v1, v[6:7], off
	s_mov_b32 s45, 0
	s_mov_b32 s44, exec_lo
	s_wait_loadcnt 0x0
	v_cmpx_lt_i16_e32 0x7f, v1
	s_xor_b32 s44, exec_lo, s44
	s_cbranch_execz .LBB7_581
; %bb.565:
	v_cmp_ne_u16_e32 vcc_lo, 0x80, v1
	s_and_b32 s45, vcc_lo, exec_lo
	s_and_not1_saveexec_b32 s44, s44
	s_cbranch_execnz .LBB7_582
.LBB7_566:
	s_or_b32 exec_lo, exec_lo, s44
	v_mov_b32_e32 v8, 0
	s_and_saveexec_b32 s44, s45
	s_cbranch_execz .LBB7_568
.LBB7_567:
	v_and_b32_e32 v3, 0xffff, v1
	s_delay_alu instid0(VALU_DEP_1) | instskip(SKIP_1) | instid1(VALU_DEP_2)
	v_and_b32_e32 v5, 7, v3
	v_bfe_u32 v10, v3, 3, 4
	v_clz_i32_u32_e32 v8, v5
	s_delay_alu instid0(VALU_DEP_2) | instskip(NEXT) | instid1(VALU_DEP_2)
	v_cmp_eq_u32_e32 vcc_lo, 0, v10
	v_min_u32_e32 v8, 32, v8
	s_delay_alu instid0(VALU_DEP_1) | instskip(NEXT) | instid1(VALU_DEP_1)
	v_subrev_nc_u32_e32 v9, 28, v8
	v_dual_lshlrev_b32 v3, v9, v3 :: v_dual_sub_nc_u32 v8, 29, v8
	s_delay_alu instid0(VALU_DEP_1) | instskip(NEXT) | instid1(VALU_DEP_1)
	v_dual_lshlrev_b32 v1, 24, v1 :: v_dual_bitop2_b32 v3, 7, v3 bitop3:0x40
	v_dual_cndmask_b32 v8, v10, v8 :: v_dual_cndmask_b32 v3, v5, v3
	s_delay_alu instid0(VALU_DEP_2) | instskip(NEXT) | instid1(VALU_DEP_2)
	v_and_b32_e32 v1, 0x80000000, v1
	v_lshl_add_u32 v5, v8, 23, 0x3b800000
	s_delay_alu instid0(VALU_DEP_3) | instskip(NEXT) | instid1(VALU_DEP_1)
	v_lshlrev_b32_e32 v3, 20, v3
	v_or3_b32 v1, v1, v5, v3
	s_delay_alu instid0(VALU_DEP_1) | instskip(NEXT) | instid1(VALU_DEP_1)
	v_trunc_f32_e32 v1, v1
	v_mul_f32_e64 v3, 0x2f800000, |v1|
	s_delay_alu instid0(VALU_DEP_1) | instskip(NEXT) | instid1(VALU_DEP_1)
	v_floor_f32_e32 v3, v3
	v_fma_f32 v3, 0xcf800000, v3, |v1|
	v_ashrrev_i32_e32 v1, 31, v1
	s_delay_alu instid0(VALU_DEP_2) | instskip(NEXT) | instid1(VALU_DEP_1)
	v_cvt_u32_f32_e32 v3, v3
	v_xor_b32_e32 v3, v3, v1
	s_delay_alu instid0(VALU_DEP_1)
	v_sub_nc_u32_e32 v8, v3, v1
.LBB7_568:
	s_or_b32 exec_lo, exec_lo, s44
.LBB7_569:
	s_mov_b32 s44, -1
.LBB7_570:
	s_mov_b32 s45, 0
.LBB7_571:
	s_delay_alu instid0(SALU_CYCLE_1)
	s_and_b32 vcc_lo, exec_lo, s45
	s_cbranch_vccz .LBB7_604
; %bb.572:
	s_cmp_gt_i32 s43, 22
	s_cbranch_scc0 .LBB7_580
; %bb.573:
	s_cmp_lt_i32 s43, 24
	s_cbranch_scc1 .LBB7_583
; %bb.574:
	s_cmp_gt_i32 s43, 24
	s_cbranch_scc0 .LBB7_584
; %bb.575:
	global_load_u8 v1, v[6:7], off
	s_mov_b32 s45, 0
	s_mov_b32 s44, exec_lo
	s_wait_loadcnt 0x0
	v_cmpx_lt_i16_e32 0x7f, v1
	s_xor_b32 s44, exec_lo, s44
	s_cbranch_execz .LBB7_596
; %bb.576:
	v_cmp_ne_u16_e32 vcc_lo, 0x80, v1
	s_and_b32 s45, vcc_lo, exec_lo
	s_and_not1_saveexec_b32 s44, s44
	s_cbranch_execnz .LBB7_597
.LBB7_577:
	s_or_b32 exec_lo, exec_lo, s44
	v_mov_b32_e32 v8, 0
	s_and_saveexec_b32 s44, s45
	s_cbranch_execz .LBB7_579
.LBB7_578:
	v_and_b32_e32 v3, 0xffff, v1
	s_delay_alu instid0(VALU_DEP_1) | instskip(SKIP_1) | instid1(VALU_DEP_2)
	v_and_b32_e32 v5, 3, v3
	v_bfe_u32 v10, v3, 2, 5
	v_clz_i32_u32_e32 v8, v5
	s_delay_alu instid0(VALU_DEP_2) | instskip(NEXT) | instid1(VALU_DEP_2)
	v_cmp_eq_u32_e32 vcc_lo, 0, v10
	v_min_u32_e32 v8, 32, v8
	s_delay_alu instid0(VALU_DEP_1) | instskip(NEXT) | instid1(VALU_DEP_1)
	v_subrev_nc_u32_e32 v9, 29, v8
	v_dual_lshlrev_b32 v3, v9, v3 :: v_dual_sub_nc_u32 v8, 30, v8
	s_delay_alu instid0(VALU_DEP_1) | instskip(NEXT) | instid1(VALU_DEP_1)
	v_dual_lshlrev_b32 v1, 24, v1 :: v_dual_bitop2_b32 v3, 3, v3 bitop3:0x40
	v_dual_cndmask_b32 v8, v10, v8 :: v_dual_cndmask_b32 v3, v5, v3
	s_delay_alu instid0(VALU_DEP_2) | instskip(NEXT) | instid1(VALU_DEP_2)
	v_and_b32_e32 v1, 0x80000000, v1
	v_lshl_add_u32 v5, v8, 23, 0x37800000
	s_delay_alu instid0(VALU_DEP_3) | instskip(NEXT) | instid1(VALU_DEP_1)
	v_lshlrev_b32_e32 v3, 21, v3
	v_or3_b32 v1, v1, v5, v3
	s_delay_alu instid0(VALU_DEP_1) | instskip(NEXT) | instid1(VALU_DEP_1)
	v_trunc_f32_e32 v1, v1
	v_mul_f32_e64 v3, 0x2f800000, |v1|
	s_delay_alu instid0(VALU_DEP_1) | instskip(NEXT) | instid1(VALU_DEP_1)
	v_floor_f32_e32 v3, v3
	v_fma_f32 v3, 0xcf800000, v3, |v1|
	v_ashrrev_i32_e32 v1, 31, v1
	s_delay_alu instid0(VALU_DEP_2) | instskip(NEXT) | instid1(VALU_DEP_1)
	v_cvt_u32_f32_e32 v3, v3
	v_xor_b32_e32 v3, v3, v1
	s_delay_alu instid0(VALU_DEP_1)
	v_sub_nc_u32_e32 v8, v3, v1
.LBB7_579:
	s_or_b32 exec_lo, exec_lo, s44
	s_mov_b32 s44, 0
	s_branch .LBB7_585
.LBB7_580:
	s_mov_b32 s45, -1
                                        ; implicit-def: $vgpr8
	s_branch .LBB7_591
.LBB7_581:
	s_and_not1_saveexec_b32 s44, s44
	s_cbranch_execz .LBB7_566
.LBB7_582:
	v_cmp_ne_u16_e32 vcc_lo, 0, v1
	s_and_not1_b32 s45, s45, exec_lo
	s_and_b32 s47, vcc_lo, exec_lo
	s_delay_alu instid0(SALU_CYCLE_1)
	s_or_b32 s45, s45, s47
	s_or_b32 exec_lo, exec_lo, s44
	v_mov_b32_e32 v8, 0
	s_and_saveexec_b32 s44, s45
	s_cbranch_execnz .LBB7_567
	s_branch .LBB7_568
.LBB7_583:
	s_mov_b32 s44, -1
                                        ; implicit-def: $vgpr8
	s_branch .LBB7_588
.LBB7_584:
	s_mov_b32 s44, -1
                                        ; implicit-def: $vgpr8
.LBB7_585:
	s_delay_alu instid0(SALU_CYCLE_1)
	s_and_b32 vcc_lo, exec_lo, s44
	s_cbranch_vccz .LBB7_587
; %bb.586:
	global_load_u8 v1, v[6:7], off
	s_wait_loadcnt 0x0
	v_lshlrev_b32_e32 v1, 24, v1
	s_delay_alu instid0(VALU_DEP_1) | instskip(NEXT) | instid1(VALU_DEP_1)
	v_and_b32_e32 v3, 0x7f000000, v1
	v_clz_i32_u32_e32 v5, v3
	s_wait_xcnt 0x1
	v_add_nc_u32_e32 v9, 0x1000000, v3
	v_cmp_ne_u32_e32 vcc_lo, 0, v3
	s_delay_alu instid0(VALU_DEP_3) | instskip(NEXT) | instid1(VALU_DEP_1)
	v_min_u32_e32 v5, 32, v5
	v_sub_nc_u32_e64 v5, v5, 4 clamp
	s_delay_alu instid0(VALU_DEP_1) | instskip(NEXT) | instid1(VALU_DEP_1)
	v_dual_lshlrev_b32 v8, v5, v3 :: v_dual_lshlrev_b32 v5, 23, v5
	v_lshrrev_b32_e32 v8, 4, v8
	s_delay_alu instid0(VALU_DEP_1) | instskip(SKIP_1) | instid1(VALU_DEP_2)
	v_sub_nc_u32_e32 v5, v8, v5
	v_ashrrev_i32_e32 v8, 8, v9
	v_add_nc_u32_e32 v5, 0x3c000000, v5
	s_delay_alu instid0(VALU_DEP_1) | instskip(NEXT) | instid1(VALU_DEP_1)
	v_and_or_b32 v5, 0x7f800000, v8, v5
	v_cndmask_b32_e32 v3, 0, v5, vcc_lo
	s_delay_alu instid0(VALU_DEP_1) | instskip(NEXT) | instid1(VALU_DEP_1)
	v_and_or_b32 v1, 0x80000000, v1, v3
	v_trunc_f32_e32 v1, v1
	s_delay_alu instid0(VALU_DEP_1) | instskip(NEXT) | instid1(VALU_DEP_1)
	v_mul_f32_e64 v3, 0x2f800000, |v1|
	v_floor_f32_e32 v3, v3
	s_delay_alu instid0(VALU_DEP_1) | instskip(SKIP_1) | instid1(VALU_DEP_2)
	v_fma_f32 v3, 0xcf800000, v3, |v1|
	v_ashrrev_i32_e32 v1, 31, v1
	v_cvt_u32_f32_e32 v3, v3
	s_delay_alu instid0(VALU_DEP_1) | instskip(NEXT) | instid1(VALU_DEP_1)
	v_xor_b32_e32 v3, v3, v1
	v_sub_nc_u32_e32 v8, v3, v1
.LBB7_587:
	s_mov_b32 s44, 0
.LBB7_588:
	s_delay_alu instid0(SALU_CYCLE_1)
	s_and_not1_b32 vcc_lo, exec_lo, s44
	s_cbranch_vccnz .LBB7_590
; %bb.589:
	global_load_u8 v1, v[6:7], off
	s_wait_loadcnt 0x0
	v_lshlrev_b32_e32 v3, 25, v1
	v_lshlrev_b16 v1, 8, v1
	s_wait_xcnt 0x1
	s_delay_alu instid0(VALU_DEP_1) | instskip(SKIP_1) | instid1(VALU_DEP_2)
	v_and_or_b32 v8, 0x7f00, v1, 0.5
	v_bfe_i32 v1, v1, 0, 16
	v_dual_add_f32 v8, -0.5, v8 :: v_dual_lshrrev_b32 v5, 4, v3
	v_cmp_gt_u32_e32 vcc_lo, 0x8000000, v3
	s_delay_alu instid0(VALU_DEP_2) | instskip(NEXT) | instid1(VALU_DEP_1)
	v_or_b32_e32 v5, 0x70000000, v5
	v_mul_f32_e32 v5, 0x7800000, v5
	s_delay_alu instid0(VALU_DEP_1) | instskip(NEXT) | instid1(VALU_DEP_1)
	v_cndmask_b32_e32 v3, v5, v8, vcc_lo
	v_and_or_b32 v1, 0x80000000, v1, v3
	s_delay_alu instid0(VALU_DEP_1) | instskip(NEXT) | instid1(VALU_DEP_1)
	v_trunc_f32_e32 v1, v1
	v_mul_f32_e64 v3, 0x2f800000, |v1|
	s_delay_alu instid0(VALU_DEP_1) | instskip(NEXT) | instid1(VALU_DEP_1)
	v_floor_f32_e32 v3, v3
	v_fma_f32 v3, 0xcf800000, v3, |v1|
	v_ashrrev_i32_e32 v1, 31, v1
	s_delay_alu instid0(VALU_DEP_2) | instskip(NEXT) | instid1(VALU_DEP_1)
	v_cvt_u32_f32_e32 v3, v3
	v_xor_b32_e32 v3, v3, v1
	s_delay_alu instid0(VALU_DEP_1)
	v_sub_nc_u32_e32 v8, v3, v1
.LBB7_590:
	s_mov_b32 s45, 0
	s_mov_b32 s44, -1
.LBB7_591:
	s_and_not1_b32 vcc_lo, exec_lo, s45
	s_cbranch_vccnz .LBB7_604
; %bb.592:
	s_cmp_gt_i32 s43, 14
	s_cbranch_scc0 .LBB7_595
; %bb.593:
	s_cmp_eq_u32 s43, 15
	s_cbranch_scc0 .LBB7_598
; %bb.594:
	global_load_u16 v1, v[6:7], off
	s_mov_b32 s44, -1
	s_mov_b32 s27, 0
	s_wait_loadcnt 0x0
	v_lshlrev_b32_e32 v1, 16, v1
	s_delay_alu instid0(VALU_DEP_1) | instskip(NEXT) | instid1(VALU_DEP_1)
	v_trunc_f32_e32 v1, v1
	v_mul_f32_e64 v3, 0x2f800000, |v1|
	s_delay_alu instid0(VALU_DEP_1) | instskip(NEXT) | instid1(VALU_DEP_1)
	v_floor_f32_e32 v3, v3
	v_fma_f32 v3, 0xcf800000, v3, |v1|
	v_ashrrev_i32_e32 v1, 31, v1
	s_delay_alu instid0(VALU_DEP_2) | instskip(NEXT) | instid1(VALU_DEP_1)
	v_cvt_u32_f32_e32 v3, v3
	v_xor_b32_e32 v3, v3, v1
	s_wait_xcnt 0x1
	s_delay_alu instid0(VALU_DEP_1)
	v_sub_nc_u32_e32 v8, v3, v1
	s_branch .LBB7_599
.LBB7_595:
	s_mov_b32 s45, -1
                                        ; implicit-def: $vgpr8
	s_branch .LBB7_600
.LBB7_596:
	s_and_not1_saveexec_b32 s44, s44
	s_cbranch_execz .LBB7_577
.LBB7_597:
	v_cmp_ne_u16_e32 vcc_lo, 0, v1
	s_and_not1_b32 s45, s45, exec_lo
	s_and_b32 s47, vcc_lo, exec_lo
	s_delay_alu instid0(SALU_CYCLE_1)
	s_or_b32 s45, s45, s47
	s_or_b32 exec_lo, exec_lo, s44
	v_mov_b32_e32 v8, 0
	s_and_saveexec_b32 s44, s45
	s_cbranch_execnz .LBB7_578
	s_branch .LBB7_579
.LBB7_598:
	s_mov_b32 s27, -1
                                        ; implicit-def: $vgpr8
.LBB7_599:
	s_mov_b32 s45, 0
.LBB7_600:
	s_delay_alu instid0(SALU_CYCLE_1)
	s_and_b32 vcc_lo, exec_lo, s45
	s_cbranch_vccz .LBB7_604
; %bb.601:
	s_cmp_eq_u32 s43, 11
	s_cbranch_scc0 .LBB7_603
; %bb.602:
	global_load_u8 v1, v[6:7], off
	s_mov_b32 s27, 0
	s_mov_b32 s44, -1
	s_wait_loadcnt 0x0
	v_cmp_ne_u16_e32 vcc_lo, 0, v1
	s_wait_xcnt 0x1
	v_cndmask_b32_e64 v8, 0, 1, vcc_lo
	s_branch .LBB7_604
.LBB7_603:
	s_mov_b32 s27, -1
                                        ; implicit-def: $vgpr8
.LBB7_604:
	s_mov_b32 s43, 0
.LBB7_605:
	s_delay_alu instid0(SALU_CYCLE_1)
	s_and_b32 vcc_lo, exec_lo, s43
	s_cbranch_vccz .LBB7_654
; %bb.606:
	s_and_b32 s0, 0xffff, s0
	s_delay_alu instid0(SALU_CYCLE_1)
	s_cmp_lt_i32 s0, 5
	s_cbranch_scc1 .LBB7_611
; %bb.607:
	s_cmp_lt_i32 s0, 8
	s_cbranch_scc1 .LBB7_612
; %bb.608:
	;; [unrolled: 3-line block ×3, first 2 shown]
	s_cmp_gt_i32 s0, 9
	s_cbranch_scc0 .LBB7_614
; %bb.610:
	s_wait_loadcnt 0x0
	global_load_b64 v[8:9], v[6:7], off
	s_mov_b32 s43, 0
	s_wait_loadcnt 0x0
	v_trunc_f64_e32 v[8:9], v[8:9]
	s_delay_alu instid0(VALU_DEP_1) | instskip(NEXT) | instid1(VALU_DEP_1)
	v_ldexp_f64 v[10:11], v[8:9], 0xffffffe0
	v_floor_f64_e32 v[10:11], v[10:11]
	s_delay_alu instid0(VALU_DEP_1) | instskip(NEXT) | instid1(VALU_DEP_1)
	v_fmamk_f64 v[8:9], v[10:11], 0xc1f00000, v[8:9]
	v_cvt_u32_f64_e32 v8, v[8:9]
	s_branch .LBB7_615
.LBB7_611:
	s_mov_b32 s43, -1
                                        ; implicit-def: $vgpr8
	s_branch .LBB7_633
.LBB7_612:
	s_mov_b32 s43, -1
                                        ; implicit-def: $vgpr8
	s_branch .LBB7_621
.LBB7_613:
	s_mov_b32 s43, -1
                                        ; implicit-def: $vgpr8
	s_branch .LBB7_618
.LBB7_614:
	s_mov_b32 s43, -1
                                        ; implicit-def: $vgpr8
.LBB7_615:
	s_delay_alu instid0(SALU_CYCLE_1)
	s_and_not1_b32 vcc_lo, exec_lo, s43
	s_cbranch_vccnz .LBB7_617
; %bb.616:
	global_load_b32 v1, v[6:7], off
	s_wait_loadcnt 0x0
	v_trunc_f32_e32 v1, v1
	s_delay_alu instid0(VALU_DEP_1) | instskip(NEXT) | instid1(VALU_DEP_1)
	v_mul_f32_e64 v3, 0x2f800000, |v1|
	v_floor_f32_e32 v3, v3
	s_delay_alu instid0(VALU_DEP_1) | instskip(SKIP_1) | instid1(VALU_DEP_2)
	v_fma_f32 v3, 0xcf800000, v3, |v1|
	v_ashrrev_i32_e32 v1, 31, v1
	v_cvt_u32_f32_e32 v3, v3
	s_delay_alu instid0(VALU_DEP_1) | instskip(SKIP_1) | instid1(VALU_DEP_1)
	v_xor_b32_e32 v3, v3, v1
	s_wait_xcnt 0x1
	v_sub_nc_u32_e32 v8, v3, v1
.LBB7_617:
	s_mov_b32 s43, 0
.LBB7_618:
	s_delay_alu instid0(SALU_CYCLE_1)
	s_and_not1_b32 vcc_lo, exec_lo, s43
	s_cbranch_vccnz .LBB7_620
; %bb.619:
	global_load_b32 v1, v[6:7], off
	s_wait_loadcnt 0x0
	v_cvt_f32_f16_e32 v1, v1
	s_wait_xcnt 0x1
	s_delay_alu instid0(VALU_DEP_1)
	v_cvt_i32_f32_e32 v8, v1
.LBB7_620:
	s_mov_b32 s43, 0
.LBB7_621:
	s_delay_alu instid0(SALU_CYCLE_1)
	s_and_not1_b32 vcc_lo, exec_lo, s43
	s_cbranch_vccnz .LBB7_632
; %bb.622:
	s_cmp_lt_i32 s0, 6
	s_cbranch_scc1 .LBB7_625
; %bb.623:
	s_cmp_gt_i32 s0, 6
	s_cbranch_scc0 .LBB7_626
; %bb.624:
	s_wait_loadcnt 0x0
	global_load_b64 v[8:9], v[6:7], off
	s_mov_b32 s43, 0
	s_wait_loadcnt 0x0
	v_trunc_f64_e32 v[8:9], v[8:9]
	s_delay_alu instid0(VALU_DEP_1) | instskip(NEXT) | instid1(VALU_DEP_1)
	v_ldexp_f64 v[10:11], v[8:9], 0xffffffe0
	v_floor_f64_e32 v[10:11], v[10:11]
	s_delay_alu instid0(VALU_DEP_1) | instskip(NEXT) | instid1(VALU_DEP_1)
	v_fmamk_f64 v[8:9], v[10:11], 0xc1f00000, v[8:9]
	v_cvt_u32_f64_e32 v8, v[8:9]
	s_branch .LBB7_627
.LBB7_625:
	s_mov_b32 s43, -1
                                        ; implicit-def: $vgpr8
	s_branch .LBB7_630
.LBB7_626:
	s_mov_b32 s43, -1
                                        ; implicit-def: $vgpr8
.LBB7_627:
	s_delay_alu instid0(SALU_CYCLE_1)
	s_and_not1_b32 vcc_lo, exec_lo, s43
	s_cbranch_vccnz .LBB7_629
; %bb.628:
	global_load_b32 v1, v[6:7], off
	s_wait_loadcnt 0x0
	v_trunc_f32_e32 v1, v1
	s_delay_alu instid0(VALU_DEP_1) | instskip(NEXT) | instid1(VALU_DEP_1)
	v_mul_f32_e64 v3, 0x2f800000, |v1|
	v_floor_f32_e32 v3, v3
	s_delay_alu instid0(VALU_DEP_1) | instskip(SKIP_1) | instid1(VALU_DEP_2)
	v_fma_f32 v3, 0xcf800000, v3, |v1|
	v_ashrrev_i32_e32 v1, 31, v1
	v_cvt_u32_f32_e32 v3, v3
	s_delay_alu instid0(VALU_DEP_1) | instskip(SKIP_1) | instid1(VALU_DEP_1)
	v_xor_b32_e32 v3, v3, v1
	s_wait_xcnt 0x1
	v_sub_nc_u32_e32 v8, v3, v1
.LBB7_629:
	s_mov_b32 s43, 0
.LBB7_630:
	s_delay_alu instid0(SALU_CYCLE_1)
	s_and_not1_b32 vcc_lo, exec_lo, s43
	s_cbranch_vccnz .LBB7_632
; %bb.631:
	global_load_u16 v1, v[6:7], off
	s_wait_loadcnt 0x0
	v_cvt_f32_f16_e32 v1, v1
	s_wait_xcnt 0x1
	s_delay_alu instid0(VALU_DEP_1)
	v_cvt_i32_f32_e32 v8, v1
.LBB7_632:
	s_mov_b32 s43, 0
.LBB7_633:
	s_delay_alu instid0(SALU_CYCLE_1)
	s_and_not1_b32 vcc_lo, exec_lo, s43
	s_cbranch_vccnz .LBB7_653
; %bb.634:
	s_cmp_lt_i32 s0, 2
	s_cbranch_scc1 .LBB7_638
; %bb.635:
	s_cmp_lt_i32 s0, 3
	s_cbranch_scc1 .LBB7_639
; %bb.636:
	s_cmp_gt_i32 s0, 3
	s_cbranch_scc0 .LBB7_640
; %bb.637:
	s_wait_loadcnt 0x0
	global_load_b64 v[8:9], v[6:7], off
	s_mov_b32 s43, 0
	s_branch .LBB7_641
.LBB7_638:
	s_mov_b32 s43, -1
                                        ; implicit-def: $vgpr8
	s_branch .LBB7_647
.LBB7_639:
	s_mov_b32 s43, -1
                                        ; implicit-def: $vgpr8
	s_branch .LBB7_644
.LBB7_640:
	s_mov_b32 s43, -1
                                        ; implicit-def: $vgpr8
.LBB7_641:
	s_delay_alu instid0(SALU_CYCLE_1)
	s_and_not1_b32 vcc_lo, exec_lo, s43
	s_cbranch_vccnz .LBB7_643
; %bb.642:
	s_wait_loadcnt 0x0
	global_load_b32 v8, v[6:7], off
.LBB7_643:
	s_mov_b32 s43, 0
.LBB7_644:
	s_delay_alu instid0(SALU_CYCLE_1)
	s_and_not1_b32 vcc_lo, exec_lo, s43
	s_cbranch_vccnz .LBB7_646
; %bb.645:
	s_wait_loadcnt 0x0
	global_load_u16 v8, v[6:7], off
.LBB7_646:
	s_mov_b32 s43, 0
.LBB7_647:
	s_delay_alu instid0(SALU_CYCLE_1)
	s_and_not1_b32 vcc_lo, exec_lo, s43
	s_cbranch_vccnz .LBB7_653
; %bb.648:
	s_cmp_gt_i32 s0, 0
	s_mov_b32 s0, 0
	s_cbranch_scc0 .LBB7_650
; %bb.649:
	s_wait_loadcnt 0x0
	global_load_u8 v8, v[6:7], off
	s_branch .LBB7_651
.LBB7_650:
	s_mov_b32 s0, -1
                                        ; implicit-def: $vgpr8
.LBB7_651:
	s_delay_alu instid0(SALU_CYCLE_1)
	s_and_not1_b32 vcc_lo, exec_lo, s0
	s_cbranch_vccnz .LBB7_653
; %bb.652:
	s_wait_loadcnt 0x0
	global_load_u8 v8, v[6:7], off
.LBB7_653:
	s_mov_b32 s44, -1
.LBB7_654:
	s_delay_alu instid0(SALU_CYCLE_1)
	s_and_not1_b32 vcc_lo, exec_lo, s44
	s_cbranch_vccnz .LBB7_662
; %bb.655:
	s_wait_loadcnt 0x0
	s_delay_alu instid0(VALU_DEP_1) | instskip(NEXT) | instid1(VALU_DEP_4)
	v_and_b32_e32 v1, 0xff, v8
	v_and_b32_e32 v4, 0xff, v4
	v_mov_b32_e32 v3, 0
	s_and_b32 s44, s11, 0xff
	s_delay_alu instid0(VALU_DEP_2) | instskip(NEXT) | instid1(VALU_DEP_2)
	v_cmp_ne_u16_e32 vcc_lo, v4, v1
	v_add_nc_u64_e32 v[2:3], s[4:5], v[2:3]
	s_xor_b32 s43, s10, vcc_lo
	s_cmp_lt_i32 s44, 11
	s_cbranch_scc1 .LBB7_663
; %bb.656:
	s_and_b32 s45, 0xffff, s44
	s_delay_alu instid0(SALU_CYCLE_1)
	s_cmp_gt_i32 s45, 25
	s_cbranch_scc0 .LBB7_664
; %bb.657:
	s_cmp_gt_i32 s45, 28
	s_cbranch_scc0 .LBB7_665
; %bb.658:
	;; [unrolled: 3-line block ×4, first 2 shown]
	s_mov_b32 s48, 0
	s_mov_b32 s0, -1
	s_cmp_eq_u32 s45, 46
	s_mov_b32 s47, 0
	s_cbranch_scc0 .LBB7_668
; %bb.661:
	v_cndmask_b32_e64 v1, 0, 1.0, s43
	s_mov_b32 s47, -1
	s_mov_b32 s0, 0
	s_delay_alu instid0(VALU_DEP_1) | instskip(NEXT) | instid1(VALU_DEP_1)
	v_bfe_u32 v4, v1, 16, 1
	v_add3_u32 v1, v1, v4, 0x7fff
	s_delay_alu instid0(VALU_DEP_1)
	v_lshrrev_b32_e32 v1, 16, v1
	global_store_b32 v[2:3], v1, off
	s_branch .LBB7_668
.LBB7_662:
	s_mov_b32 s47, 0
	s_mov_b32 s0, s39
	s_branch .LBB7_779
.LBB7_663:
	s_mov_b32 s45, -1
	s_mov_b32 s47, 0
	s_mov_b32 s0, s39
	s_branch .LBB7_737
.LBB7_664:
	s_mov_b32 s48, -1
	s_mov_b32 s47, 0
	s_mov_b32 s0, s39
	s_branch .LBB7_695
.LBB7_665:
	s_mov_b32 s48, -1
	s_mov_b32 s47, 0
	s_mov_b32 s0, s39
	s_branch .LBB7_678
.LBB7_666:
	s_mov_b32 s48, -1
	s_mov_b32 s47, 0
	s_mov_b32 s0, s39
	s_branch .LBB7_674
.LBB7_667:
	s_mov_b32 s48, -1
	s_mov_b32 s47, 0
	s_mov_b32 s0, s39
.LBB7_668:
	s_and_b32 vcc_lo, exec_lo, s48
	s_cbranch_vccz .LBB7_673
; %bb.669:
	s_cmp_eq_u32 s45, 44
	s_mov_b32 s0, -1
	s_cbranch_scc0 .LBB7_673
; %bb.670:
	v_cndmask_b32_e64 v5, 0, 1.0, s43
	s_mov_b32 s47, exec_lo
	s_wait_xcnt 0x0
	s_delay_alu instid0(VALU_DEP_1) | instskip(NEXT) | instid1(VALU_DEP_1)
	v_dual_mov_b32 v4, 0xff :: v_dual_lshrrev_b32 v1, 23, v5
	v_cmpx_ne_u32_e32 0xff, v1
; %bb.671:
	v_and_b32_e32 v4, 0x400000, v5
	v_and_or_b32 v5, 0x3fffff, v5, v1
	s_delay_alu instid0(VALU_DEP_2) | instskip(NEXT) | instid1(VALU_DEP_2)
	v_cmp_ne_u32_e32 vcc_lo, 0, v4
	v_cmp_ne_u32_e64 s0, 0, v5
	s_and_b32 s0, vcc_lo, s0
	s_delay_alu instid0(SALU_CYCLE_1) | instskip(NEXT) | instid1(VALU_DEP_1)
	v_cndmask_b32_e64 v4, 0, 1, s0
	v_add_nc_u32_e32 v4, v1, v4
; %bb.672:
	s_or_b32 exec_lo, exec_lo, s47
	s_mov_b32 s47, -1
	s_mov_b32 s0, 0
	global_store_b8 v[2:3], v4, off
.LBB7_673:
	s_mov_b32 s48, 0
.LBB7_674:
	s_delay_alu instid0(SALU_CYCLE_1)
	s_and_b32 vcc_lo, exec_lo, s48
	s_cbranch_vccz .LBB7_677
; %bb.675:
	s_cmp_eq_u32 s45, 29
	s_mov_b32 s0, -1
	s_cbranch_scc0 .LBB7_677
; %bb.676:
	s_mov_b32 s0, 0
	s_wait_xcnt 0x0
	v_cndmask_b32_e64 v4, 0, 1, s43
	v_mov_b32_e32 v5, s0
	s_mov_b32 s47, -1
	s_mov_b32 s48, 0
	global_store_b64 v[2:3], v[4:5], off
	s_branch .LBB7_678
.LBB7_677:
	s_mov_b32 s48, 0
.LBB7_678:
	s_delay_alu instid0(SALU_CYCLE_1)
	s_and_b32 vcc_lo, exec_lo, s48
	s_cbranch_vccz .LBB7_694
; %bb.679:
	s_cmp_lt_i32 s45, 27
	s_mov_b32 s47, -1
	s_cbranch_scc1 .LBB7_685
; %bb.680:
	s_cmp_gt_i32 s45, 27
	s_cbranch_scc0 .LBB7_682
; %bb.681:
	s_wait_xcnt 0x0
	v_cndmask_b32_e64 v1, 0, 1, s43
	s_mov_b32 s47, 0
	global_store_b32 v[2:3], v1, off
.LBB7_682:
	s_and_not1_b32 vcc_lo, exec_lo, s47
	s_cbranch_vccnz .LBB7_684
; %bb.683:
	s_wait_xcnt 0x0
	v_cndmask_b32_e64 v1, 0, 1, s43
	global_store_b16 v[2:3], v1, off
.LBB7_684:
	s_mov_b32 s47, 0
.LBB7_685:
	s_delay_alu instid0(SALU_CYCLE_1)
	s_and_not1_b32 vcc_lo, exec_lo, s47
	s_cbranch_vccnz .LBB7_693
; %bb.686:
	s_wait_xcnt 0x0
	v_cndmask_b32_e64 v4, 0, 1.0, s43
	v_mov_b32_e32 v5, 0x80
	s_mov_b32 s47, exec_lo
	s_delay_alu instid0(VALU_DEP_2)
	v_cmpx_gt_u32_e32 0x43800000, v4
	s_cbranch_execz .LBB7_692
; %bb.687:
	s_mov_b32 s48, 0
	s_mov_b32 s49, exec_lo
                                        ; implicit-def: $vgpr1
	v_cmpx_lt_u32_e32 0x3bffffff, v4
	s_xor_b32 s49, exec_lo, s49
	s_cbranch_execz .LBB7_807
; %bb.688:
	v_bfe_u32 v1, v4, 20, 1
	s_mov_b32 s48, exec_lo
	s_delay_alu instid0(VALU_DEP_1) | instskip(NEXT) | instid1(VALU_DEP_1)
	v_add3_u32 v1, v4, v1, 0x487ffff
                                        ; implicit-def: $vgpr4
	v_lshrrev_b32_e32 v1, 20, v1
	s_and_not1_saveexec_b32 s49, s49
	s_cbranch_execnz .LBB7_808
.LBB7_689:
	s_or_b32 exec_lo, exec_lo, s49
	v_mov_b32_e32 v5, 0
	s_and_saveexec_b32 s49, s48
.LBB7_690:
	v_mov_b32_e32 v5, v1
.LBB7_691:
	s_or_b32 exec_lo, exec_lo, s49
.LBB7_692:
	s_delay_alu instid0(SALU_CYCLE_1)
	s_or_b32 exec_lo, exec_lo, s47
	global_store_b8 v[2:3], v5, off
.LBB7_693:
	s_mov_b32 s47, -1
.LBB7_694:
	s_mov_b32 s48, 0
.LBB7_695:
	s_delay_alu instid0(SALU_CYCLE_1)
	s_and_b32 vcc_lo, exec_lo, s48
	s_cbranch_vccz .LBB7_736
; %bb.696:
	s_cmp_gt_i32 s45, 22
	s_mov_b32 s48, -1
	s_cbranch_scc0 .LBB7_728
; %bb.697:
	s_cmp_lt_i32 s45, 24
	s_mov_b32 s47, -1
	s_cbranch_scc1 .LBB7_717
; %bb.698:
	s_cmp_gt_i32 s45, 24
	s_cbranch_scc0 .LBB7_706
; %bb.699:
	s_wait_xcnt 0x0
	v_cndmask_b32_e64 v4, 0, 1.0, s43
	v_mov_b32_e32 v5, 0x80
	s_mov_b32 s47, exec_lo
	s_delay_alu instid0(VALU_DEP_2)
	v_cmpx_gt_u32_e32 0x47800000, v4
	s_cbranch_execz .LBB7_705
; %bb.700:
	s_mov_b32 s48, 0
	s_mov_b32 s49, exec_lo
                                        ; implicit-def: $vgpr1
	v_cmpx_lt_u32_e32 0x37ffffff, v4
	s_xor_b32 s49, exec_lo, s49
	s_cbranch_execz .LBB7_935
; %bb.701:
	v_bfe_u32 v1, v4, 21, 1
	s_mov_b32 s48, exec_lo
	s_delay_alu instid0(VALU_DEP_1) | instskip(NEXT) | instid1(VALU_DEP_1)
	v_add3_u32 v1, v4, v1, 0x88fffff
                                        ; implicit-def: $vgpr4
	v_lshrrev_b32_e32 v1, 21, v1
	s_and_not1_saveexec_b32 s49, s49
	s_cbranch_execnz .LBB7_936
.LBB7_702:
	s_or_b32 exec_lo, exec_lo, s49
	v_mov_b32_e32 v5, 0
	s_and_saveexec_b32 s49, s48
.LBB7_703:
	v_mov_b32_e32 v5, v1
.LBB7_704:
	s_or_b32 exec_lo, exec_lo, s49
.LBB7_705:
	s_delay_alu instid0(SALU_CYCLE_1)
	s_or_b32 exec_lo, exec_lo, s47
	s_mov_b32 s47, 0
	global_store_b8 v[2:3], v5, off
.LBB7_706:
	s_and_b32 vcc_lo, exec_lo, s47
	s_cbranch_vccz .LBB7_716
; %bb.707:
	s_wait_xcnt 0x0
	v_cndmask_b32_e64 v4, 0, 1.0, s43
	s_mov_b32 s47, exec_lo
                                        ; implicit-def: $vgpr1
	s_delay_alu instid0(VALU_DEP_1)
	v_cmpx_gt_u32_e32 0x43f00000, v4
	s_xor_b32 s47, exec_lo, s47
	s_cbranch_execz .LBB7_713
; %bb.708:
	s_mov_b32 s48, exec_lo
                                        ; implicit-def: $vgpr1
	v_cmpx_lt_u32_e32 0x3c7fffff, v4
	s_xor_b32 s48, exec_lo, s48
; %bb.709:
	v_bfe_u32 v1, v4, 20, 1
	s_delay_alu instid0(VALU_DEP_1) | instskip(NEXT) | instid1(VALU_DEP_1)
	v_add3_u32 v1, v4, v1, 0x407ffff
	v_and_b32_e32 v4, 0xff00000, v1
	v_lshrrev_b32_e32 v1, 20, v1
	s_delay_alu instid0(VALU_DEP_2) | instskip(NEXT) | instid1(VALU_DEP_2)
	v_cmp_ne_u32_e32 vcc_lo, 0x7f00000, v4
                                        ; implicit-def: $vgpr4
	v_cndmask_b32_e32 v1, 0x7e, v1, vcc_lo
; %bb.710:
	s_and_not1_saveexec_b32 s48, s48
; %bb.711:
	v_add_f32_e32 v1, 0x46800000, v4
; %bb.712:
	s_or_b32 exec_lo, exec_lo, s48
                                        ; implicit-def: $vgpr4
.LBB7_713:
	s_and_not1_saveexec_b32 s47, s47
; %bb.714:
	v_mov_b32_e32 v1, 0x7f
	v_cmp_lt_u32_e32 vcc_lo, 0x7f800000, v4
	s_delay_alu instid0(VALU_DEP_2)
	v_cndmask_b32_e32 v1, 0x7e, v1, vcc_lo
; %bb.715:
	s_or_b32 exec_lo, exec_lo, s47
	global_store_b8 v[2:3], v1, off
.LBB7_716:
	s_mov_b32 s47, 0
.LBB7_717:
	s_delay_alu instid0(SALU_CYCLE_1)
	s_and_not1_b32 vcc_lo, exec_lo, s47
	s_cbranch_vccnz .LBB7_727
; %bb.718:
	s_wait_xcnt 0x0
	v_cndmask_b32_e64 v4, 0, 1.0, s43
	s_mov_b32 s47, exec_lo
                                        ; implicit-def: $vgpr1
	s_delay_alu instid0(VALU_DEP_1)
	v_cmpx_gt_u32_e32 0x47800000, v4
	s_xor_b32 s47, exec_lo, s47
	s_cbranch_execz .LBB7_724
; %bb.719:
	s_mov_b32 s48, exec_lo
                                        ; implicit-def: $vgpr1
	v_cmpx_lt_u32_e32 0x387fffff, v4
	s_xor_b32 s48, exec_lo, s48
; %bb.720:
	v_bfe_u32 v1, v4, 21, 1
	s_delay_alu instid0(VALU_DEP_1) | instskip(NEXT) | instid1(VALU_DEP_1)
	v_add3_u32 v1, v4, v1, 0x80fffff
                                        ; implicit-def: $vgpr4
	v_lshrrev_b32_e32 v1, 21, v1
; %bb.721:
	s_and_not1_saveexec_b32 s48, s48
; %bb.722:
	v_add_f32_e32 v1, 0x43000000, v4
; %bb.723:
	s_or_b32 exec_lo, exec_lo, s48
                                        ; implicit-def: $vgpr4
.LBB7_724:
	s_and_not1_saveexec_b32 s47, s47
; %bb.725:
	v_mov_b32_e32 v1, 0x7f
	v_cmp_lt_u32_e32 vcc_lo, 0x7f800000, v4
	s_delay_alu instid0(VALU_DEP_2)
	v_cndmask_b32_e32 v1, 0x7c, v1, vcc_lo
; %bb.726:
	s_or_b32 exec_lo, exec_lo, s47
	global_store_b8 v[2:3], v1, off
.LBB7_727:
	s_mov_b32 s48, 0
	s_mov_b32 s47, -1
.LBB7_728:
	s_and_not1_b32 vcc_lo, exec_lo, s48
	s_cbranch_vccnz .LBB7_736
; %bb.729:
	s_cmp_gt_i32 s45, 14
	s_mov_b32 s48, -1
	s_cbranch_scc0 .LBB7_733
; %bb.730:
	s_cmp_eq_u32 s45, 15
	s_mov_b32 s0, -1
	s_cbranch_scc0 .LBB7_732
; %bb.731:
	s_wait_xcnt 0x0
	v_cndmask_b32_e64 v1, 0, 1.0, s43
	s_mov_b32 s47, -1
	s_mov_b32 s0, 0
	s_delay_alu instid0(VALU_DEP_1) | instskip(NEXT) | instid1(VALU_DEP_1)
	v_bfe_u32 v4, v1, 16, 1
	v_add3_u32 v1, v1, v4, 0x7fff
	global_store_d16_hi_b16 v[2:3], v1, off
.LBB7_732:
	s_mov_b32 s48, 0
.LBB7_733:
	s_delay_alu instid0(SALU_CYCLE_1)
	s_and_b32 vcc_lo, exec_lo, s48
	s_cbranch_vccz .LBB7_736
; %bb.734:
	s_cmp_eq_u32 s45, 11
	s_mov_b32 s0, -1
	s_cbranch_scc0 .LBB7_736
; %bb.735:
	s_wait_xcnt 0x0
	v_cndmask_b32_e64 v1, 0, 1, s43
	s_mov_b32 s47, -1
	s_mov_b32 s0, 0
	global_store_b8 v[2:3], v1, off
.LBB7_736:
	s_mov_b32 s45, 0
.LBB7_737:
	s_delay_alu instid0(SALU_CYCLE_1)
	s_and_b32 vcc_lo, exec_lo, s45
	s_cbranch_vccz .LBB7_776
; %bb.738:
	s_and_b32 s44, 0xffff, s44
	s_mov_b32 s45, -1
	s_cmp_lt_i32 s44, 5
	s_cbranch_scc1 .LBB7_759
; %bb.739:
	s_cmp_lt_i32 s44, 8
	s_cbranch_scc1 .LBB7_749
; %bb.740:
	;; [unrolled: 3-line block ×3, first 2 shown]
	s_cmp_gt_i32 s44, 9
	s_cbranch_scc0 .LBB7_743
; %bb.742:
	s_wait_xcnt 0x0
	v_cndmask_b32_e64 v1, 0, 1, s43
	v_mov_b32_e32 v6, 0
	s_mov_b32 s45, 0
	s_delay_alu instid0(VALU_DEP_2) | instskip(NEXT) | instid1(VALU_DEP_2)
	v_cvt_f64_u32_e32 v[4:5], v1
	v_mov_b32_e32 v7, v6
	global_store_b128 v[2:3], v[4:7], off
.LBB7_743:
	s_and_not1_b32 vcc_lo, exec_lo, s45
	s_cbranch_vccnz .LBB7_745
; %bb.744:
	s_wait_xcnt 0x0
	v_cndmask_b32_e64 v4, 0, 1.0, s43
	v_mov_b32_e32 v5, 0
	global_store_b64 v[2:3], v[4:5], off
.LBB7_745:
	s_mov_b32 s45, 0
.LBB7_746:
	s_delay_alu instid0(SALU_CYCLE_1)
	s_and_not1_b32 vcc_lo, exec_lo, s45
	s_cbranch_vccnz .LBB7_748
; %bb.747:
	s_wait_xcnt 0x0
	v_cndmask_b32_e64 v1, 0, 1.0, s43
	s_delay_alu instid0(VALU_DEP_1) | instskip(NEXT) | instid1(VALU_DEP_1)
	v_cvt_f16_f32_e32 v1, v1
	v_and_b32_e32 v1, 0xffff, v1
	global_store_b32 v[2:3], v1, off
.LBB7_748:
	s_mov_b32 s45, 0
.LBB7_749:
	s_delay_alu instid0(SALU_CYCLE_1)
	s_and_not1_b32 vcc_lo, exec_lo, s45
	s_cbranch_vccnz .LBB7_758
; %bb.750:
	s_cmp_lt_i32 s44, 6
	s_mov_b32 s45, -1
	s_cbranch_scc1 .LBB7_756
; %bb.751:
	s_cmp_gt_i32 s44, 6
	s_cbranch_scc0 .LBB7_753
; %bb.752:
	s_wait_xcnt 0x0
	v_cndmask_b32_e64 v1, 0, 1, s43
	s_mov_b32 s45, 0
	s_delay_alu instid0(VALU_DEP_1)
	v_cvt_f64_u32_e32 v[4:5], v1
	global_store_b64 v[2:3], v[4:5], off
.LBB7_753:
	s_and_not1_b32 vcc_lo, exec_lo, s45
	s_cbranch_vccnz .LBB7_755
; %bb.754:
	s_wait_xcnt 0x0
	v_cndmask_b32_e64 v1, 0, 1.0, s43
	global_store_b32 v[2:3], v1, off
.LBB7_755:
	s_mov_b32 s45, 0
.LBB7_756:
	s_delay_alu instid0(SALU_CYCLE_1)
	s_and_not1_b32 vcc_lo, exec_lo, s45
	s_cbranch_vccnz .LBB7_758
; %bb.757:
	s_wait_xcnt 0x0
	v_cndmask_b32_e64 v1, 0, 1.0, s43
	s_delay_alu instid0(VALU_DEP_1)
	v_cvt_f16_f32_e32 v1, v1
	global_store_b16 v[2:3], v1, off
.LBB7_758:
	s_mov_b32 s45, 0
.LBB7_759:
	s_delay_alu instid0(SALU_CYCLE_1)
	s_and_not1_b32 vcc_lo, exec_lo, s45
	s_cbranch_vccnz .LBB7_775
; %bb.760:
	s_cmp_lt_i32 s44, 2
	s_mov_b32 s45, -1
	s_cbranch_scc1 .LBB7_770
; %bb.761:
	s_cmp_lt_i32 s44, 3
	s_cbranch_scc1 .LBB7_767
; %bb.762:
	s_cmp_gt_i32 s44, 3
	s_cbranch_scc0 .LBB7_764
; %bb.763:
	s_mov_b32 s45, 0
	s_wait_xcnt 0x0
	v_cndmask_b32_e64 v4, 0, 1, s43
	v_mov_b32_e32 v5, s45
	global_store_b64 v[2:3], v[4:5], off
.LBB7_764:
	s_and_not1_b32 vcc_lo, exec_lo, s45
	s_cbranch_vccnz .LBB7_766
; %bb.765:
	s_wait_xcnt 0x0
	v_cndmask_b32_e64 v1, 0, 1, s43
	global_store_b32 v[2:3], v1, off
.LBB7_766:
	s_mov_b32 s45, 0
.LBB7_767:
	s_delay_alu instid0(SALU_CYCLE_1)
	s_and_not1_b32 vcc_lo, exec_lo, s45
	s_cbranch_vccnz .LBB7_769
; %bb.768:
	s_wait_xcnt 0x0
	v_cndmask_b32_e64 v1, 0, 1, s43
	global_store_b16 v[2:3], v1, off
.LBB7_769:
	s_mov_b32 s45, 0
.LBB7_770:
	s_delay_alu instid0(SALU_CYCLE_1)
	s_and_not1_b32 vcc_lo, exec_lo, s45
	s_cbranch_vccnz .LBB7_775
; %bb.771:
	s_wait_xcnt 0x0
	v_cndmask_b32_e64 v1, 0, 1, s43
	s_cmp_gt_i32 s44, 0
	s_mov_b32 s43, -1
	s_cbranch_scc0 .LBB7_773
; %bb.772:
	s_mov_b32 s43, 0
	global_store_b8 v[2:3], v1, off
.LBB7_773:
	s_and_not1_b32 vcc_lo, exec_lo, s43
	s_cbranch_vccnz .LBB7_775
; %bb.774:
	global_store_b8 v[2:3], v1, off
.LBB7_775:
	s_mov_b32 s47, -1
.LBB7_776:
	s_delay_alu instid0(SALU_CYCLE_1)
	s_and_not1_b32 vcc_lo, exec_lo, s47
	s_cbranch_vccnz .LBB7_778
; %bb.777:
	v_add_nc_u32_e32 v0, 0x80, v0
	s_mov_b32 s47, -1
	s_branch .LBB7_780
.LBB7_778:
	s_mov_b32 s47, 0
.LBB7_779:
                                        ; implicit-def: $vgpr0
.LBB7_780:
	s_and_not1_b32 s43, s39, exec_lo
	s_and_b32 s0, s0, exec_lo
	s_and_b32 s27, s27, exec_lo
	s_or_b32 s44, s43, s0
	s_and_not1_b32 s0, s40, exec_lo
	s_and_not1_b32 s43, s41, exec_lo
	s_and_b32 s26, s26, exec_lo
	s_or_b32 s45, s0, s27
	s_or_b32 s43, s43, s26
	s_or_not1_b32 s48, s47, exec_lo
.LBB7_781:
	s_wait_xcnt 0x0
	s_or_b32 exec_lo, exec_lo, s46
	s_mov_b32 s27, 0
	s_mov_b32 s47, 0
	s_mov_b32 s26, 0
                                        ; implicit-def: $sgpr0
                                        ; implicit-def: $vgpr8_vgpr9
                                        ; implicit-def: $vgpr6
                                        ; implicit-def: $vgpr2
                                        ; implicit-def: $vgpr4
	s_and_saveexec_b32 s46, s48
	s_cbranch_execz .LBB7_1268
; %bb.782:
	s_mov_b32 s52, -1
	s_mov_b32 s48, s43
	s_mov_b32 s50, s45
	;; [unrolled: 1-line block ×3, first 2 shown]
	s_mov_b32 s47, exec_lo
	v_cmpx_gt_i32_e64 s37, v0
	s_cbranch_execz .LBB7_1176
; %bb.783:
	s_and_not1_b32 vcc_lo, exec_lo, s31
	s_cbranch_vccnz .LBB7_789
; %bb.784:
	s_and_not1_b32 vcc_lo, exec_lo, s38
	s_cbranch_vccnz .LBB7_790
; %bb.785:
	v_dual_mov_b32 v2, 0 :: v_dual_mov_b32 v1, v0
	s_wait_loadcnt 0x0
	v_dual_mov_b32 v4, 0 :: v_dual_mov_b32 v6, 0
	s_add_co_i32 s0, s36, 1
	s_mov_b64 s[26:27], 0xffffffffffffffe8
	s_and_b32 s0, s0, 30
	s_add_nc_u64 s[26:27], s[2:3], s[26:27]
.LBB7_786:                              ; =>This Inner Loop Header: Depth=1
	s_clause 0x1
	s_load_b128 s[48:51], s[26:27], 0x1c
	s_load_b64 s[56:57], s[26:27], 0x2c
	s_add_co_i32 s0, s0, -2
	s_delay_alu instid0(SALU_CYCLE_1) | instskip(SKIP_2) | instid1(VALU_DEP_1)
	s_cmp_eq_u32 s0, 0
	s_wait_kmcnt 0x0
	v_mul_hi_u32 v3, s49, v1
	v_add_nc_u32_e32 v3, v1, v3
	s_delay_alu instid0(VALU_DEP_1) | instskip(NEXT) | instid1(VALU_DEP_1)
	v_lshrrev_b32_e32 v3, s50, v3
	v_mul_hi_u32 v5, s56, v3
	v_mul_lo_u32 v7, v3, s48
	s_clause 0x1
	s_load_b128 s[52:55], s[26:27], 0xdc
	s_load_b64 s[48:49], s[26:27], 0xec
	s_wait_xcnt 0x0
	s_add_nc_u64 s[26:27], s[26:27], 24
	s_delay_alu instid0(VALU_DEP_1) | instskip(NEXT) | instid1(VALU_DEP_1)
	v_dual_add_nc_u32 v5, v3, v5 :: v_dual_sub_nc_u32 v7, v1, v7
	v_lshrrev_b32_e32 v1, s57, v5
	s_wait_kmcnt 0x0
	s_delay_alu instid0(VALU_DEP_2) | instskip(NEXT) | instid1(VALU_DEP_2)
	v_mad_u32 v2, v7, s52, v2
	v_mul_lo_u32 v5, v1, s51
	v_mad_u32 v6, v7, s54, v6
	v_mad_u32 v4, v7, s53, v4
	s_delay_alu instid0(VALU_DEP_3) | instskip(NEXT) | instid1(VALU_DEP_1)
	v_sub_nc_u32_e32 v3, v3, v5
	v_mad_u32 v2, v3, s55, v2
	s_delay_alu instid0(VALU_DEP_4) | instskip(NEXT) | instid1(VALU_DEP_4)
	v_mad_u32 v6, v3, s49, v6
	v_mad_u32 v4, v3, s48, v4
	s_cbranch_scc0 .LBB7_786
; %bb.787:
	s_bitcmp1_b32 s36, 0
	s_cselect_b32 s0, -1, 0
	s_delay_alu instid0(SALU_CYCLE_1)
	s_and_b32 vcc_lo, exec_lo, s0
	s_cbranch_vccnz .LBB7_791
; %bb.788:
	s_clause 0x1
	s_load_b96 s[48:50], s[26:27], 0x1c
	s_load_b96 s[52:54], s[26:27], 0xdc
	s_wait_kmcnt 0x0
	v_mul_hi_u32 v3, s49, v1
	s_delay_alu instid0(VALU_DEP_1) | instskip(NEXT) | instid1(VALU_DEP_1)
	v_add_nc_u32_e32 v3, v1, v3
	v_lshrrev_b32_e32 v3, s50, v3
	s_delay_alu instid0(VALU_DEP_1) | instskip(NEXT) | instid1(VALU_DEP_1)
	v_mul_lo_u32 v3, v3, s48
	v_sub_nc_u32_e32 v1, v1, v3
	s_delay_alu instid0(VALU_DEP_1)
	v_mad_u32 v2, v1, s52, v2
	v_mad_u32 v4, v1, s53, v4
	;; [unrolled: 1-line block ×3, first 2 shown]
	s_branch .LBB7_791
.LBB7_789:
	s_mov_b32 s0, -1
                                        ; implicit-def: $vgpr6
                                        ; implicit-def: $vgpr4
                                        ; implicit-def: $vgpr2
	s_branch .LBB7_792
.LBB7_790:
	s_wait_loadcnt 0x0
	v_dual_mov_b32 v6, 0 :: v_dual_mov_b32 v4, 0
	v_mov_b32_e32 v2, 0
.LBB7_791:
	s_mov_b32 s0, 0
.LBB7_792:
	s_delay_alu instid0(SALU_CYCLE_1)
	s_and_not1_b32 vcc_lo, exec_lo, s0
	s_cbranch_vccnz .LBB7_795
; %bb.793:
	v_mov_b32_e32 v1, 0
	s_and_not1_b32 vcc_lo, exec_lo, s35
	s_delay_alu instid0(VALU_DEP_1) | instskip(NEXT) | instid1(VALU_DEP_1)
	v_mul_u64_e32 v[2:3], s[20:21], v[0:1]
	v_add_nc_u32_e32 v2, v0, v3
	s_wait_loadcnt 0x0
	s_delay_alu instid0(VALU_DEP_1) | instskip(NEXT) | instid1(VALU_DEP_1)
	v_lshrrev_b32_e32 v8, s14, v2
	v_mul_lo_u32 v2, v8, s12
	s_delay_alu instid0(VALU_DEP_1) | instskip(NEXT) | instid1(VALU_DEP_1)
	v_sub_nc_u32_e32 v3, v0, v2
	v_mul_lo_u32 v2, v3, s16
	v_mul_lo_u32 v6, v3, s18
	;; [unrolled: 1-line block ×3, first 2 shown]
	s_cbranch_vccnz .LBB7_795
; %bb.794:
	v_mov_b32_e32 v9, v1
	s_delay_alu instid0(VALU_DEP_1) | instskip(NEXT) | instid1(VALU_DEP_1)
	v_mul_u64_e32 v[10:11], s[24:25], v[8:9]
	v_add_nc_u32_e32 v1, v8, v11
	s_delay_alu instid0(VALU_DEP_1) | instskip(NEXT) | instid1(VALU_DEP_1)
	v_lshrrev_b32_e32 v1, s1, v1
	v_mul_lo_u32 v1, v1, s15
	s_delay_alu instid0(VALU_DEP_1) | instskip(NEXT) | instid1(VALU_DEP_1)
	v_sub_nc_u32_e32 v1, v8, v1
	v_mad_u32 v2, v1, s19, v2
	v_mad_u32 v4, v1, s22, v4
	;; [unrolled: 1-line block ×3, first 2 shown]
.LBB7_795:
	s_wait_loadcnt 0x0
	v_mov_b32_e32 v5, 0
	s_and_b32 s0, s34, 0xff
	s_delay_alu instid0(SALU_CYCLE_1) | instskip(NEXT) | instid1(VALU_DEP_1)
	s_cmp_lt_i32 s0, 11
	v_add_nc_u64_e32 v[8:9], s[6:7], v[4:5]
	s_cbranch_scc1 .LBB7_802
; %bb.796:
	s_and_b32 s27, 0xffff, s0
	s_delay_alu instid0(SALU_CYCLE_1)
	s_cmp_gt_i32 s27, 25
	s_cbranch_scc0 .LBB7_803
; %bb.797:
	s_cmp_gt_i32 s27, 28
	s_cbranch_scc0 .LBB7_804
; %bb.798:
	s_cmp_gt_i32 s27, 43
	s_cbranch_scc0 .LBB7_805
; %bb.799:
	s_cmp_gt_i32 s27, 45
	s_cbranch_scc0 .LBB7_806
; %bb.800:
	s_cmp_eq_u32 s27, 46
	s_mov_b32 s49, 0
	s_cbranch_scc0 .LBB7_809
; %bb.801:
	global_load_b32 v1, v[8:9], off
	s_mov_b32 s48, -1
	s_mov_b32 s26, 0
	s_wait_loadcnt 0x0
	v_lshlrev_b32_e32 v1, 16, v1
	s_delay_alu instid0(VALU_DEP_1) | instskip(NEXT) | instid1(VALU_DEP_1)
	v_trunc_f32_e32 v1, v1
	v_mul_f32_e64 v3, 0x2f800000, |v1|
	s_delay_alu instid0(VALU_DEP_1) | instskip(NEXT) | instid1(VALU_DEP_1)
	v_floor_f32_e32 v3, v3
	v_fma_f32 v3, 0xcf800000, v3, |v1|
	v_ashrrev_i32_e32 v1, 31, v1
	s_delay_alu instid0(VALU_DEP_2) | instskip(NEXT) | instid1(VALU_DEP_1)
	v_cvt_u32_f32_e32 v3, v3
	v_xor_b32_e32 v3, v3, v1
	s_delay_alu instid0(VALU_DEP_1)
	v_sub_nc_u32_e32 v4, v3, v1
	s_branch .LBB7_811
.LBB7_802:
	s_mov_b32 s27, -1
	s_mov_b32 s48, 0
	s_mov_b32 s26, s43
                                        ; implicit-def: $vgpr4
	s_branch .LBB7_872
.LBB7_803:
	s_mov_b32 s49, -1
	s_mov_b32 s48, 0
	s_mov_b32 s26, s43
                                        ; implicit-def: $vgpr4
	s_branch .LBB7_838
.LBB7_804:
	s_mov_b32 s49, -1
	s_mov_b32 s48, 0
	s_mov_b32 s26, s43
                                        ; implicit-def: $vgpr4
	s_branch .LBB7_821
.LBB7_805:
	s_mov_b32 s49, -1
	s_mov_b32 s48, 0
	s_mov_b32 s26, s43
                                        ; implicit-def: $vgpr4
	s_branch .LBB7_816
.LBB7_806:
	s_mov_b32 s49, -1
	s_mov_b32 s48, 0
	s_mov_b32 s26, s43
	s_branch .LBB7_810
.LBB7_807:
	s_and_not1_saveexec_b32 s49, s49
	s_cbranch_execz .LBB7_689
.LBB7_808:
	v_add_f32_e32 v1, 0x46000000, v4
	s_and_not1_b32 s48, s48, exec_lo
	s_delay_alu instid0(VALU_DEP_1) | instskip(NEXT) | instid1(VALU_DEP_1)
	v_and_b32_e32 v1, 0xff, v1
	v_cmp_ne_u32_e32 vcc_lo, 0, v1
	s_and_b32 s50, vcc_lo, exec_lo
	s_delay_alu instid0(SALU_CYCLE_1)
	s_or_b32 s48, s48, s50
	s_or_b32 exec_lo, exec_lo, s49
	v_mov_b32_e32 v5, 0
	s_and_saveexec_b32 s49, s48
	s_cbranch_execnz .LBB7_690
	s_branch .LBB7_691
.LBB7_809:
	s_mov_b32 s26, -1
	s_mov_b32 s48, 0
.LBB7_810:
                                        ; implicit-def: $vgpr4
.LBB7_811:
	s_and_b32 vcc_lo, exec_lo, s49
	s_cbranch_vccz .LBB7_815
; %bb.812:
	s_cmp_eq_u32 s27, 44
	s_cbranch_scc0 .LBB7_814
; %bb.813:
	global_load_u8 v1, v[8:9], off
	s_mov_b32 s26, 0
	s_mov_b32 s48, -1
	s_wait_loadcnt 0x0
	v_lshlrev_b32_e32 v3, 23, v1
	v_cmp_ne_u32_e32 vcc_lo, 0, v1
	s_delay_alu instid0(VALU_DEP_2) | instskip(NEXT) | instid1(VALU_DEP_1)
	v_trunc_f32_e32 v3, v3
	v_mul_f32_e64 v4, 0x2f800000, |v3|
	s_delay_alu instid0(VALU_DEP_1) | instskip(NEXT) | instid1(VALU_DEP_1)
	v_floor_f32_e32 v4, v4
	v_fma_f32 v4, 0xcf800000, v4, |v3|
	v_ashrrev_i32_e32 v3, 31, v3
	s_delay_alu instid0(VALU_DEP_2) | instskip(NEXT) | instid1(VALU_DEP_1)
	v_cvt_u32_f32_e32 v4, v4
	v_xor_b32_e32 v4, v4, v3
	s_delay_alu instid0(VALU_DEP_1) | instskip(NEXT) | instid1(VALU_DEP_1)
	v_sub_nc_u32_e32 v3, v4, v3
	v_cndmask_b32_e32 v4, 0, v3, vcc_lo
	s_branch .LBB7_815
.LBB7_814:
	s_mov_b32 s26, -1
                                        ; implicit-def: $vgpr4
.LBB7_815:
	s_mov_b32 s49, 0
.LBB7_816:
	s_delay_alu instid0(SALU_CYCLE_1)
	s_and_b32 vcc_lo, exec_lo, s49
	s_cbranch_vccz .LBB7_820
; %bb.817:
	s_cmp_eq_u32 s27, 29
	s_cbranch_scc0 .LBB7_819
; %bb.818:
	global_load_b64 v[4:5], v[8:9], off
	s_mov_b32 s48, -1
	s_mov_b32 s26, 0
	s_branch .LBB7_820
.LBB7_819:
	s_mov_b32 s26, -1
                                        ; implicit-def: $vgpr4
.LBB7_820:
	s_mov_b32 s49, 0
.LBB7_821:
	s_delay_alu instid0(SALU_CYCLE_1)
	s_and_b32 vcc_lo, exec_lo, s49
	s_cbranch_vccz .LBB7_837
; %bb.822:
	s_cmp_lt_i32 s27, 27
	s_cbranch_scc1 .LBB7_825
; %bb.823:
	s_cmp_gt_i32 s27, 27
	s_cbranch_scc0 .LBB7_826
; %bb.824:
	s_wait_loadcnt 0x0
	global_load_b32 v4, v[8:9], off
	s_mov_b32 s48, 0
	s_branch .LBB7_827
.LBB7_825:
	s_mov_b32 s48, -1
                                        ; implicit-def: $vgpr4
	s_branch .LBB7_830
.LBB7_826:
	s_mov_b32 s48, -1
                                        ; implicit-def: $vgpr4
.LBB7_827:
	s_delay_alu instid0(SALU_CYCLE_1)
	s_and_not1_b32 vcc_lo, exec_lo, s48
	s_cbranch_vccnz .LBB7_829
; %bb.828:
	s_wait_loadcnt 0x0
	global_load_u16 v4, v[8:9], off
.LBB7_829:
	s_mov_b32 s48, 0
.LBB7_830:
	s_delay_alu instid0(SALU_CYCLE_1)
	s_and_not1_b32 vcc_lo, exec_lo, s48
	s_cbranch_vccnz .LBB7_836
; %bb.831:
	global_load_u8 v1, v[8:9], off
	s_mov_b32 s49, 0
	s_mov_b32 s48, exec_lo
	s_wait_loadcnt 0x0
	v_cmpx_lt_i16_e32 0x7f, v1
	s_xor_b32 s48, exec_lo, s48
	s_cbranch_execz .LBB7_848
; %bb.832:
	v_cmp_ne_u16_e32 vcc_lo, 0x80, v1
	s_and_b32 s49, vcc_lo, exec_lo
	s_and_not1_saveexec_b32 s48, s48
	s_cbranch_execnz .LBB7_849
.LBB7_833:
	s_or_b32 exec_lo, exec_lo, s48
	v_mov_b32_e32 v4, 0
	s_and_saveexec_b32 s48, s49
	s_cbranch_execz .LBB7_835
.LBB7_834:
	v_and_b32_e32 v3, 0xffff, v1
	s_delay_alu instid0(VALU_DEP_1) | instskip(SKIP_1) | instid1(VALU_DEP_2)
	v_and_b32_e32 v4, 7, v3
	v_bfe_u32 v10, v3, 3, 4
	v_clz_i32_u32_e32 v5, v4
	s_delay_alu instid0(VALU_DEP_2) | instskip(NEXT) | instid1(VALU_DEP_2)
	v_cmp_eq_u32_e32 vcc_lo, 0, v10
	v_min_u32_e32 v5, 32, v5
	s_delay_alu instid0(VALU_DEP_1) | instskip(NEXT) | instid1(VALU_DEP_1)
	v_subrev_nc_u32_e32 v7, 28, v5
	v_dual_lshlrev_b32 v3, v7, v3 :: v_dual_sub_nc_u32 v5, 29, v5
	s_delay_alu instid0(VALU_DEP_1) | instskip(NEXT) | instid1(VALU_DEP_1)
	v_dual_lshlrev_b32 v1, 24, v1 :: v_dual_bitop2_b32 v3, 7, v3 bitop3:0x40
	v_dual_cndmask_b32 v3, v4, v3, vcc_lo :: v_dual_cndmask_b32 v5, v10, v5, vcc_lo
	s_delay_alu instid0(VALU_DEP_2) | instskip(NEXT) | instid1(VALU_DEP_2)
	v_and_b32_e32 v1, 0x80000000, v1
	v_lshlrev_b32_e32 v3, 20, v3
	s_delay_alu instid0(VALU_DEP_3) | instskip(NEXT) | instid1(VALU_DEP_1)
	v_lshl_add_u32 v4, v5, 23, 0x3b800000
	v_or3_b32 v1, v1, v4, v3
	s_delay_alu instid0(VALU_DEP_1) | instskip(NEXT) | instid1(VALU_DEP_1)
	v_trunc_f32_e32 v1, v1
	v_mul_f32_e64 v3, 0x2f800000, |v1|
	s_delay_alu instid0(VALU_DEP_1) | instskip(NEXT) | instid1(VALU_DEP_1)
	v_floor_f32_e32 v3, v3
	v_fma_f32 v3, 0xcf800000, v3, |v1|
	v_ashrrev_i32_e32 v1, 31, v1
	s_delay_alu instid0(VALU_DEP_2) | instskip(NEXT) | instid1(VALU_DEP_1)
	v_cvt_u32_f32_e32 v3, v3
	v_xor_b32_e32 v3, v3, v1
	s_delay_alu instid0(VALU_DEP_1)
	v_sub_nc_u32_e32 v4, v3, v1
.LBB7_835:
	s_or_b32 exec_lo, exec_lo, s48
.LBB7_836:
	s_mov_b32 s48, -1
.LBB7_837:
	s_mov_b32 s49, 0
.LBB7_838:
	s_delay_alu instid0(SALU_CYCLE_1)
	s_and_b32 vcc_lo, exec_lo, s49
	s_cbranch_vccz .LBB7_871
; %bb.839:
	s_cmp_gt_i32 s27, 22
	s_cbranch_scc0 .LBB7_847
; %bb.840:
	s_cmp_lt_i32 s27, 24
	s_cbranch_scc1 .LBB7_850
; %bb.841:
	s_cmp_gt_i32 s27, 24
	s_cbranch_scc0 .LBB7_851
; %bb.842:
	global_load_u8 v1, v[8:9], off
	s_mov_b32 s49, 0
	s_mov_b32 s48, exec_lo
	s_wait_loadcnt 0x0
	v_cmpx_lt_i16_e32 0x7f, v1
	s_xor_b32 s48, exec_lo, s48
	s_cbranch_execz .LBB7_863
; %bb.843:
	v_cmp_ne_u16_e32 vcc_lo, 0x80, v1
	s_and_b32 s49, vcc_lo, exec_lo
	s_and_not1_saveexec_b32 s48, s48
	s_cbranch_execnz .LBB7_864
.LBB7_844:
	s_or_b32 exec_lo, exec_lo, s48
	v_mov_b32_e32 v4, 0
	s_and_saveexec_b32 s48, s49
	s_cbranch_execz .LBB7_846
.LBB7_845:
	v_and_b32_e32 v3, 0xffff, v1
	s_delay_alu instid0(VALU_DEP_1) | instskip(SKIP_1) | instid1(VALU_DEP_2)
	v_and_b32_e32 v4, 3, v3
	v_bfe_u32 v10, v3, 2, 5
	v_clz_i32_u32_e32 v5, v4
	s_delay_alu instid0(VALU_DEP_2) | instskip(NEXT) | instid1(VALU_DEP_2)
	v_cmp_eq_u32_e32 vcc_lo, 0, v10
	v_min_u32_e32 v5, 32, v5
	s_delay_alu instid0(VALU_DEP_1) | instskip(NEXT) | instid1(VALU_DEP_1)
	v_subrev_nc_u32_e32 v7, 29, v5
	v_dual_lshlrev_b32 v3, v7, v3 :: v_dual_sub_nc_u32 v5, 30, v5
	s_delay_alu instid0(VALU_DEP_1) | instskip(NEXT) | instid1(VALU_DEP_1)
	v_dual_lshlrev_b32 v1, 24, v1 :: v_dual_bitop2_b32 v3, 3, v3 bitop3:0x40
	v_dual_cndmask_b32 v3, v4, v3, vcc_lo :: v_dual_cndmask_b32 v5, v10, v5, vcc_lo
	s_delay_alu instid0(VALU_DEP_2) | instskip(NEXT) | instid1(VALU_DEP_2)
	v_and_b32_e32 v1, 0x80000000, v1
	v_lshlrev_b32_e32 v3, 21, v3
	s_delay_alu instid0(VALU_DEP_3) | instskip(NEXT) | instid1(VALU_DEP_1)
	v_lshl_add_u32 v4, v5, 23, 0x37800000
	v_or3_b32 v1, v1, v4, v3
	s_delay_alu instid0(VALU_DEP_1) | instskip(NEXT) | instid1(VALU_DEP_1)
	v_trunc_f32_e32 v1, v1
	v_mul_f32_e64 v3, 0x2f800000, |v1|
	s_delay_alu instid0(VALU_DEP_1) | instskip(NEXT) | instid1(VALU_DEP_1)
	v_floor_f32_e32 v3, v3
	v_fma_f32 v3, 0xcf800000, v3, |v1|
	v_ashrrev_i32_e32 v1, 31, v1
	s_delay_alu instid0(VALU_DEP_2) | instskip(NEXT) | instid1(VALU_DEP_1)
	v_cvt_u32_f32_e32 v3, v3
	v_xor_b32_e32 v3, v3, v1
	s_delay_alu instid0(VALU_DEP_1)
	v_sub_nc_u32_e32 v4, v3, v1
.LBB7_846:
	s_or_b32 exec_lo, exec_lo, s48
	s_mov_b32 s48, 0
	s_branch .LBB7_852
.LBB7_847:
	s_mov_b32 s49, -1
                                        ; implicit-def: $vgpr4
	s_branch .LBB7_858
.LBB7_848:
	s_and_not1_saveexec_b32 s48, s48
	s_cbranch_execz .LBB7_833
.LBB7_849:
	v_cmp_ne_u16_e32 vcc_lo, 0, v1
	s_and_not1_b32 s49, s49, exec_lo
	s_and_b32 s50, vcc_lo, exec_lo
	s_delay_alu instid0(SALU_CYCLE_1)
	s_or_b32 s49, s49, s50
	s_or_b32 exec_lo, exec_lo, s48
	v_mov_b32_e32 v4, 0
	s_and_saveexec_b32 s48, s49
	s_cbranch_execnz .LBB7_834
	s_branch .LBB7_835
.LBB7_850:
	s_mov_b32 s48, -1
                                        ; implicit-def: $vgpr4
	s_branch .LBB7_855
.LBB7_851:
	s_mov_b32 s48, -1
                                        ; implicit-def: $vgpr4
.LBB7_852:
	s_delay_alu instid0(SALU_CYCLE_1)
	s_and_b32 vcc_lo, exec_lo, s48
	s_cbranch_vccz .LBB7_854
; %bb.853:
	global_load_u8 v1, v[8:9], off
	s_wait_loadcnt 0x0
	v_lshlrev_b32_e32 v1, 24, v1
	s_delay_alu instid0(VALU_DEP_1) | instskip(NEXT) | instid1(VALU_DEP_1)
	v_and_b32_e32 v3, 0x7f000000, v1
	v_clz_i32_u32_e32 v4, v3
	v_add_nc_u32_e32 v7, 0x1000000, v3
	v_cmp_ne_u32_e32 vcc_lo, 0, v3
	s_delay_alu instid0(VALU_DEP_3) | instskip(NEXT) | instid1(VALU_DEP_1)
	v_min_u32_e32 v4, 32, v4
	v_sub_nc_u32_e64 v4, v4, 4 clamp
	s_delay_alu instid0(VALU_DEP_1) | instskip(NEXT) | instid1(VALU_DEP_1)
	v_dual_lshlrev_b32 v5, v4, v3 :: v_dual_lshlrev_b32 v4, 23, v4
	v_lshrrev_b32_e32 v5, 4, v5
	s_delay_alu instid0(VALU_DEP_1) | instskip(NEXT) | instid1(VALU_DEP_1)
	v_dual_sub_nc_u32 v4, v5, v4 :: v_dual_ashrrev_i32 v5, 8, v7
	v_add_nc_u32_e32 v4, 0x3c000000, v4
	s_delay_alu instid0(VALU_DEP_1) | instskip(NEXT) | instid1(VALU_DEP_1)
	v_and_or_b32 v4, 0x7f800000, v5, v4
	v_cndmask_b32_e32 v3, 0, v4, vcc_lo
	s_delay_alu instid0(VALU_DEP_1) | instskip(NEXT) | instid1(VALU_DEP_1)
	v_and_or_b32 v1, 0x80000000, v1, v3
	v_trunc_f32_e32 v1, v1
	s_delay_alu instid0(VALU_DEP_1) | instskip(NEXT) | instid1(VALU_DEP_1)
	v_mul_f32_e64 v3, 0x2f800000, |v1|
	v_floor_f32_e32 v3, v3
	s_delay_alu instid0(VALU_DEP_1) | instskip(SKIP_1) | instid1(VALU_DEP_2)
	v_fma_f32 v3, 0xcf800000, v3, |v1|
	v_ashrrev_i32_e32 v1, 31, v1
	v_cvt_u32_f32_e32 v3, v3
	s_delay_alu instid0(VALU_DEP_1) | instskip(NEXT) | instid1(VALU_DEP_1)
	v_xor_b32_e32 v3, v3, v1
	v_sub_nc_u32_e32 v4, v3, v1
.LBB7_854:
	s_mov_b32 s48, 0
.LBB7_855:
	s_delay_alu instid0(SALU_CYCLE_1)
	s_and_not1_b32 vcc_lo, exec_lo, s48
	s_cbranch_vccnz .LBB7_857
; %bb.856:
	global_load_u8 v1, v[8:9], off
	s_wait_loadcnt 0x0
	v_lshlrev_b32_e32 v3, 25, v1
	v_lshlrev_b16 v1, 8, v1
	s_delay_alu instid0(VALU_DEP_1) | instskip(NEXT) | instid1(VALU_DEP_3)
	v_and_or_b32 v5, 0x7f00, v1, 0.5
	v_lshrrev_b32_e32 v4, 4, v3
	v_bfe_i32 v1, v1, 0, 16
	s_delay_alu instid0(VALU_DEP_3) | instskip(NEXT) | instid1(VALU_DEP_3)
	v_add_f32_e32 v5, -0.5, v5
	v_or_b32_e32 v4, 0x70000000, v4
	s_delay_alu instid0(VALU_DEP_1) | instskip(SKIP_1) | instid1(VALU_DEP_2)
	v_mul_f32_e32 v4, 0x7800000, v4
	v_cmp_gt_u32_e32 vcc_lo, 0x8000000, v3
	v_cndmask_b32_e32 v3, v4, v5, vcc_lo
	s_delay_alu instid0(VALU_DEP_1) | instskip(NEXT) | instid1(VALU_DEP_1)
	v_and_or_b32 v1, 0x80000000, v1, v3
	v_trunc_f32_e32 v1, v1
	s_delay_alu instid0(VALU_DEP_1) | instskip(NEXT) | instid1(VALU_DEP_1)
	v_mul_f32_e64 v3, 0x2f800000, |v1|
	v_floor_f32_e32 v3, v3
	s_delay_alu instid0(VALU_DEP_1) | instskip(SKIP_1) | instid1(VALU_DEP_2)
	v_fma_f32 v3, 0xcf800000, v3, |v1|
	v_ashrrev_i32_e32 v1, 31, v1
	v_cvt_u32_f32_e32 v3, v3
	s_delay_alu instid0(VALU_DEP_1) | instskip(NEXT) | instid1(VALU_DEP_1)
	v_xor_b32_e32 v3, v3, v1
	v_sub_nc_u32_e32 v4, v3, v1
.LBB7_857:
	s_mov_b32 s49, 0
	s_mov_b32 s48, -1
.LBB7_858:
	s_and_not1_b32 vcc_lo, exec_lo, s49
	s_cbranch_vccnz .LBB7_871
; %bb.859:
	s_cmp_gt_i32 s27, 14
	s_cbranch_scc0 .LBB7_862
; %bb.860:
	s_cmp_eq_u32 s27, 15
	s_cbranch_scc0 .LBB7_865
; %bb.861:
	global_load_u16 v1, v[8:9], off
	s_mov_b32 s48, -1
	s_mov_b32 s26, 0
	s_wait_loadcnt 0x0
	v_lshlrev_b32_e32 v1, 16, v1
	s_delay_alu instid0(VALU_DEP_1) | instskip(NEXT) | instid1(VALU_DEP_1)
	v_trunc_f32_e32 v1, v1
	v_mul_f32_e64 v3, 0x2f800000, |v1|
	s_delay_alu instid0(VALU_DEP_1) | instskip(NEXT) | instid1(VALU_DEP_1)
	v_floor_f32_e32 v3, v3
	v_fma_f32 v3, 0xcf800000, v3, |v1|
	v_ashrrev_i32_e32 v1, 31, v1
	s_delay_alu instid0(VALU_DEP_2) | instskip(NEXT) | instid1(VALU_DEP_1)
	v_cvt_u32_f32_e32 v3, v3
	v_xor_b32_e32 v3, v3, v1
	s_delay_alu instid0(VALU_DEP_1)
	v_sub_nc_u32_e32 v4, v3, v1
	s_branch .LBB7_866
.LBB7_862:
	s_mov_b32 s49, -1
                                        ; implicit-def: $vgpr4
	s_branch .LBB7_867
.LBB7_863:
	s_and_not1_saveexec_b32 s48, s48
	s_cbranch_execz .LBB7_844
.LBB7_864:
	v_cmp_ne_u16_e32 vcc_lo, 0, v1
	s_and_not1_b32 s49, s49, exec_lo
	s_and_b32 s50, vcc_lo, exec_lo
	s_delay_alu instid0(SALU_CYCLE_1)
	s_or_b32 s49, s49, s50
	s_or_b32 exec_lo, exec_lo, s48
	v_mov_b32_e32 v4, 0
	s_and_saveexec_b32 s48, s49
	s_cbranch_execnz .LBB7_845
	s_branch .LBB7_846
.LBB7_865:
	s_mov_b32 s26, -1
                                        ; implicit-def: $vgpr4
.LBB7_866:
	s_mov_b32 s49, 0
.LBB7_867:
	s_delay_alu instid0(SALU_CYCLE_1)
	s_and_b32 vcc_lo, exec_lo, s49
	s_cbranch_vccz .LBB7_871
; %bb.868:
	s_cmp_eq_u32 s27, 11
	s_cbranch_scc0 .LBB7_870
; %bb.869:
	global_load_u8 v1, v[8:9], off
	s_mov_b32 s26, 0
	s_mov_b32 s48, -1
	s_wait_loadcnt 0x0
	v_cmp_ne_u16_e32 vcc_lo, 0, v1
	v_cndmask_b32_e64 v4, 0, 1, vcc_lo
	s_branch .LBB7_871
.LBB7_870:
	s_mov_b32 s26, -1
                                        ; implicit-def: $vgpr4
.LBB7_871:
	s_mov_b32 s27, 0
.LBB7_872:
	s_delay_alu instid0(SALU_CYCLE_1)
	s_and_b32 vcc_lo, exec_lo, s27
	s_cbranch_vccz .LBB7_921
; %bb.873:
	s_and_b32 s0, 0xffff, s0
	s_delay_alu instid0(SALU_CYCLE_1)
	s_cmp_lt_i32 s0, 5
	s_cbranch_scc1 .LBB7_878
; %bb.874:
	s_cmp_lt_i32 s0, 8
	s_cbranch_scc1 .LBB7_879
; %bb.875:
	;; [unrolled: 3-line block ×3, first 2 shown]
	s_cmp_gt_i32 s0, 9
	s_cbranch_scc0 .LBB7_881
; %bb.877:
	s_wait_loadcnt 0x0
	global_load_b64 v[4:5], v[8:9], off
	s_mov_b32 s27, 0
	s_wait_loadcnt 0x0
	v_trunc_f64_e32 v[4:5], v[4:5]
	s_delay_alu instid0(VALU_DEP_1) | instskip(NEXT) | instid1(VALU_DEP_1)
	v_ldexp_f64 v[10:11], v[4:5], 0xffffffe0
	v_floor_f64_e32 v[10:11], v[10:11]
	s_delay_alu instid0(VALU_DEP_1) | instskip(NEXT) | instid1(VALU_DEP_1)
	v_fmamk_f64 v[4:5], v[10:11], 0xc1f00000, v[4:5]
	v_cvt_u32_f64_e32 v4, v[4:5]
	s_branch .LBB7_882
.LBB7_878:
	s_mov_b32 s27, -1
                                        ; implicit-def: $vgpr4
	s_branch .LBB7_900
.LBB7_879:
	s_mov_b32 s27, -1
                                        ; implicit-def: $vgpr4
	s_branch .LBB7_888
.LBB7_880:
	s_mov_b32 s27, -1
                                        ; implicit-def: $vgpr4
	s_branch .LBB7_885
.LBB7_881:
	s_mov_b32 s27, -1
                                        ; implicit-def: $vgpr4
.LBB7_882:
	s_delay_alu instid0(SALU_CYCLE_1)
	s_and_not1_b32 vcc_lo, exec_lo, s27
	s_cbranch_vccnz .LBB7_884
; %bb.883:
	global_load_b32 v1, v[8:9], off
	s_wait_loadcnt 0x0
	v_trunc_f32_e32 v1, v1
	s_delay_alu instid0(VALU_DEP_1) | instskip(NEXT) | instid1(VALU_DEP_1)
	v_mul_f32_e64 v3, 0x2f800000, |v1|
	v_floor_f32_e32 v3, v3
	s_delay_alu instid0(VALU_DEP_1) | instskip(SKIP_1) | instid1(VALU_DEP_2)
	v_fma_f32 v3, 0xcf800000, v3, |v1|
	v_ashrrev_i32_e32 v1, 31, v1
	v_cvt_u32_f32_e32 v3, v3
	s_delay_alu instid0(VALU_DEP_1) | instskip(NEXT) | instid1(VALU_DEP_1)
	v_xor_b32_e32 v3, v3, v1
	v_sub_nc_u32_e32 v4, v3, v1
.LBB7_884:
	s_mov_b32 s27, 0
.LBB7_885:
	s_delay_alu instid0(SALU_CYCLE_1)
	s_and_not1_b32 vcc_lo, exec_lo, s27
	s_cbranch_vccnz .LBB7_887
; %bb.886:
	global_load_b32 v1, v[8:9], off
	s_wait_loadcnt 0x0
	v_cvt_f32_f16_e32 v1, v1
	s_delay_alu instid0(VALU_DEP_1)
	v_cvt_i32_f32_e32 v4, v1
.LBB7_887:
	s_mov_b32 s27, 0
.LBB7_888:
	s_delay_alu instid0(SALU_CYCLE_1)
	s_and_not1_b32 vcc_lo, exec_lo, s27
	s_cbranch_vccnz .LBB7_899
; %bb.889:
	s_cmp_lt_i32 s0, 6
	s_cbranch_scc1 .LBB7_892
; %bb.890:
	s_cmp_gt_i32 s0, 6
	s_cbranch_scc0 .LBB7_893
; %bb.891:
	s_wait_loadcnt 0x0
	global_load_b64 v[4:5], v[8:9], off
	s_mov_b32 s27, 0
	s_wait_loadcnt 0x0
	v_trunc_f64_e32 v[4:5], v[4:5]
	s_delay_alu instid0(VALU_DEP_1) | instskip(NEXT) | instid1(VALU_DEP_1)
	v_ldexp_f64 v[10:11], v[4:5], 0xffffffe0
	v_floor_f64_e32 v[10:11], v[10:11]
	s_delay_alu instid0(VALU_DEP_1) | instskip(NEXT) | instid1(VALU_DEP_1)
	v_fmamk_f64 v[4:5], v[10:11], 0xc1f00000, v[4:5]
	v_cvt_u32_f64_e32 v4, v[4:5]
	s_branch .LBB7_894
.LBB7_892:
	s_mov_b32 s27, -1
                                        ; implicit-def: $vgpr4
	s_branch .LBB7_897
.LBB7_893:
	s_mov_b32 s27, -1
                                        ; implicit-def: $vgpr4
.LBB7_894:
	s_delay_alu instid0(SALU_CYCLE_1)
	s_and_not1_b32 vcc_lo, exec_lo, s27
	s_cbranch_vccnz .LBB7_896
; %bb.895:
	global_load_b32 v1, v[8:9], off
	s_wait_loadcnt 0x0
	v_trunc_f32_e32 v1, v1
	s_delay_alu instid0(VALU_DEP_1) | instskip(NEXT) | instid1(VALU_DEP_1)
	v_mul_f32_e64 v3, 0x2f800000, |v1|
	v_floor_f32_e32 v3, v3
	s_delay_alu instid0(VALU_DEP_1) | instskip(SKIP_1) | instid1(VALU_DEP_2)
	v_fma_f32 v3, 0xcf800000, v3, |v1|
	v_ashrrev_i32_e32 v1, 31, v1
	v_cvt_u32_f32_e32 v3, v3
	s_delay_alu instid0(VALU_DEP_1) | instskip(NEXT) | instid1(VALU_DEP_1)
	v_xor_b32_e32 v3, v3, v1
	v_sub_nc_u32_e32 v4, v3, v1
.LBB7_896:
	s_mov_b32 s27, 0
.LBB7_897:
	s_delay_alu instid0(SALU_CYCLE_1)
	s_and_not1_b32 vcc_lo, exec_lo, s27
	s_cbranch_vccnz .LBB7_899
; %bb.898:
	global_load_u16 v1, v[8:9], off
	s_wait_loadcnt 0x0
	v_cvt_f32_f16_e32 v1, v1
	s_delay_alu instid0(VALU_DEP_1)
	v_cvt_i32_f32_e32 v4, v1
.LBB7_899:
	s_mov_b32 s27, 0
.LBB7_900:
	s_delay_alu instid0(SALU_CYCLE_1)
	s_and_not1_b32 vcc_lo, exec_lo, s27
	s_cbranch_vccnz .LBB7_920
; %bb.901:
	s_cmp_lt_i32 s0, 2
	s_cbranch_scc1 .LBB7_905
; %bb.902:
	s_cmp_lt_i32 s0, 3
	s_cbranch_scc1 .LBB7_906
; %bb.903:
	s_cmp_gt_i32 s0, 3
	s_cbranch_scc0 .LBB7_907
; %bb.904:
	s_wait_loadcnt 0x0
	global_load_b64 v[4:5], v[8:9], off
	s_mov_b32 s27, 0
	s_branch .LBB7_908
.LBB7_905:
	s_mov_b32 s27, -1
                                        ; implicit-def: $vgpr4
	s_branch .LBB7_914
.LBB7_906:
	s_mov_b32 s27, -1
                                        ; implicit-def: $vgpr4
	s_branch .LBB7_911
.LBB7_907:
	s_mov_b32 s27, -1
                                        ; implicit-def: $vgpr4
.LBB7_908:
	s_delay_alu instid0(SALU_CYCLE_1)
	s_and_not1_b32 vcc_lo, exec_lo, s27
	s_cbranch_vccnz .LBB7_910
; %bb.909:
	s_wait_loadcnt 0x0
	global_load_b32 v4, v[8:9], off
.LBB7_910:
	s_mov_b32 s27, 0
.LBB7_911:
	s_delay_alu instid0(SALU_CYCLE_1)
	s_and_not1_b32 vcc_lo, exec_lo, s27
	s_cbranch_vccnz .LBB7_913
; %bb.912:
	s_wait_loadcnt 0x0
	global_load_u16 v4, v[8:9], off
.LBB7_913:
	s_mov_b32 s27, 0
.LBB7_914:
	s_delay_alu instid0(SALU_CYCLE_1)
	s_and_not1_b32 vcc_lo, exec_lo, s27
	s_cbranch_vccnz .LBB7_920
; %bb.915:
	s_cmp_gt_i32 s0, 0
	s_mov_b32 s0, 0
	s_cbranch_scc0 .LBB7_917
; %bb.916:
	s_wait_loadcnt 0x0
	global_load_u8 v4, v[8:9], off
	s_branch .LBB7_918
.LBB7_917:
	s_mov_b32 s0, -1
                                        ; implicit-def: $vgpr4
.LBB7_918:
	s_delay_alu instid0(SALU_CYCLE_1)
	s_and_not1_b32 vcc_lo, exec_lo, s0
	s_cbranch_vccnz .LBB7_920
; %bb.919:
	s_wait_loadcnt 0x0
	global_load_u8 v4, v[8:9], off
.LBB7_920:
	s_mov_b32 s48, -1
.LBB7_921:
	s_delay_alu instid0(SALU_CYCLE_1)
	s_and_not1_b32 vcc_lo, exec_lo, s48
	s_cbranch_vccnz .LBB7_929
; %bb.922:
	v_mov_b32_e32 v7, 0
	s_and_b32 s0, s13, 0xff
	s_delay_alu instid0(SALU_CYCLE_1) | instskip(NEXT) | instid1(VALU_DEP_1)
	s_cmp_lt_i32 s0, 11
	v_add_nc_u64_e32 v[6:7], s[8:9], v[6:7]
	s_cbranch_scc1 .LBB7_930
; %bb.923:
	s_and_b32 s48, 0xffff, s0
	s_delay_alu instid0(SALU_CYCLE_1)
	s_cmp_gt_i32 s48, 25
	s_cbranch_scc0 .LBB7_931
; %bb.924:
	s_cmp_gt_i32 s48, 28
	s_cbranch_scc0 .LBB7_932
; %bb.925:
	;; [unrolled: 3-line block ×4, first 2 shown]
	s_cmp_eq_u32 s48, 46
	s_mov_b32 s50, 0
	s_cbranch_scc0 .LBB7_937
; %bb.928:
	global_load_b32 v1, v[6:7], off
	s_mov_b32 s49, -1
	s_mov_b32 s27, 0
	s_wait_loadcnt 0x0
	v_lshlrev_b32_e32 v1, 16, v1
	s_delay_alu instid0(VALU_DEP_1) | instskip(NEXT) | instid1(VALU_DEP_1)
	v_trunc_f32_e32 v1, v1
	v_mul_f32_e64 v3, 0x2f800000, |v1|
	s_delay_alu instid0(VALU_DEP_1) | instskip(NEXT) | instid1(VALU_DEP_1)
	v_floor_f32_e32 v3, v3
	v_fma_f32 v3, 0xcf800000, v3, |v1|
	v_ashrrev_i32_e32 v1, 31, v1
	s_delay_alu instid0(VALU_DEP_2) | instskip(NEXT) | instid1(VALU_DEP_1)
	v_cvt_u32_f32_e32 v3, v3
	v_xor_b32_e32 v3, v3, v1
	s_wait_xcnt 0x1
	s_delay_alu instid0(VALU_DEP_1)
	v_sub_nc_u32_e32 v8, v3, v1
	s_branch .LBB7_939
.LBB7_929:
	s_mov_b32 s51, 0
	s_mov_b32 s0, s44
	;; [unrolled: 1-line block ×3, first 2 shown]
	s_branch .LBB7_1174
.LBB7_930:
	s_mov_b32 s48, -1
	s_mov_b32 s49, 0
	s_mov_b32 s27, s45
                                        ; implicit-def: $vgpr8
	s_branch .LBB7_1000
.LBB7_931:
	s_mov_b32 s50, -1
	s_mov_b32 s49, 0
	s_mov_b32 s27, s45
                                        ; implicit-def: $vgpr8
	s_branch .LBB7_966
.LBB7_932:
	s_mov_b32 s50, -1
	s_mov_b32 s49, 0
	s_mov_b32 s27, s45
                                        ; implicit-def: $vgpr8
	s_branch .LBB7_949
.LBB7_933:
	s_mov_b32 s50, -1
	s_mov_b32 s49, 0
	s_mov_b32 s27, s45
                                        ; implicit-def: $vgpr8
	s_branch .LBB7_944
.LBB7_934:
	s_mov_b32 s50, -1
	s_mov_b32 s49, 0
	s_mov_b32 s27, s45
	s_branch .LBB7_938
.LBB7_935:
	s_and_not1_saveexec_b32 s49, s49
	s_cbranch_execz .LBB7_702
.LBB7_936:
	v_add_f32_e32 v1, 0x42800000, v4
	s_and_not1_b32 s48, s48, exec_lo
	s_delay_alu instid0(VALU_DEP_1) | instskip(NEXT) | instid1(VALU_DEP_1)
	v_and_b32_e32 v1, 0xff, v1
	v_cmp_ne_u32_e32 vcc_lo, 0, v1
	s_and_b32 s50, vcc_lo, exec_lo
	s_delay_alu instid0(SALU_CYCLE_1)
	s_or_b32 s48, s48, s50
	s_or_b32 exec_lo, exec_lo, s49
	v_mov_b32_e32 v5, 0
	s_and_saveexec_b32 s49, s48
	s_cbranch_execnz .LBB7_703
	s_branch .LBB7_704
.LBB7_937:
	s_mov_b32 s27, -1
	s_mov_b32 s49, 0
.LBB7_938:
                                        ; implicit-def: $vgpr8
.LBB7_939:
	s_and_b32 vcc_lo, exec_lo, s50
	s_cbranch_vccz .LBB7_943
; %bb.940:
	s_cmp_eq_u32 s48, 44
	s_cbranch_scc0 .LBB7_942
; %bb.941:
	global_load_u8 v1, v[6:7], off
	s_mov_b32 s27, 0
	s_mov_b32 s49, -1
	s_wait_loadcnt 0x0
	v_lshlrev_b32_e32 v3, 23, v1
	v_cmp_ne_u32_e32 vcc_lo, 0, v1
	s_delay_alu instid0(VALU_DEP_2) | instskip(NEXT) | instid1(VALU_DEP_1)
	v_trunc_f32_e32 v3, v3
	v_mul_f32_e64 v5, 0x2f800000, |v3|
	s_delay_alu instid0(VALU_DEP_1) | instskip(NEXT) | instid1(VALU_DEP_1)
	v_floor_f32_e32 v5, v5
	v_fma_f32 v5, 0xcf800000, v5, |v3|
	v_ashrrev_i32_e32 v3, 31, v3
	s_delay_alu instid0(VALU_DEP_2) | instskip(NEXT) | instid1(VALU_DEP_1)
	v_cvt_u32_f32_e32 v5, v5
	v_xor_b32_e32 v5, v5, v3
	s_delay_alu instid0(VALU_DEP_1) | instskip(SKIP_1) | instid1(VALU_DEP_1)
	v_sub_nc_u32_e32 v3, v5, v3
	s_wait_xcnt 0x1
	v_cndmask_b32_e32 v8, 0, v3, vcc_lo
	s_branch .LBB7_943
.LBB7_942:
	s_mov_b32 s27, -1
                                        ; implicit-def: $vgpr8
.LBB7_943:
	s_mov_b32 s50, 0
.LBB7_944:
	s_delay_alu instid0(SALU_CYCLE_1)
	s_and_b32 vcc_lo, exec_lo, s50
	s_cbranch_vccz .LBB7_948
; %bb.945:
	s_cmp_eq_u32 s48, 29
	s_cbranch_scc0 .LBB7_947
; %bb.946:
	global_load_b64 v[8:9], v[6:7], off
	s_mov_b32 s49, -1
	s_mov_b32 s27, 0
	s_branch .LBB7_948
.LBB7_947:
	s_mov_b32 s27, -1
                                        ; implicit-def: $vgpr8
.LBB7_948:
	s_mov_b32 s50, 0
.LBB7_949:
	s_delay_alu instid0(SALU_CYCLE_1)
	s_and_b32 vcc_lo, exec_lo, s50
	s_cbranch_vccz .LBB7_965
; %bb.950:
	s_cmp_lt_i32 s48, 27
	s_cbranch_scc1 .LBB7_953
; %bb.951:
	s_cmp_gt_i32 s48, 27
	s_cbranch_scc0 .LBB7_954
; %bb.952:
	s_wait_loadcnt 0x0
	global_load_b32 v8, v[6:7], off
	s_mov_b32 s49, 0
	s_branch .LBB7_955
.LBB7_953:
	s_mov_b32 s49, -1
                                        ; implicit-def: $vgpr8
	s_branch .LBB7_958
.LBB7_954:
	s_mov_b32 s49, -1
                                        ; implicit-def: $vgpr8
.LBB7_955:
	s_delay_alu instid0(SALU_CYCLE_1)
	s_and_not1_b32 vcc_lo, exec_lo, s49
	s_cbranch_vccnz .LBB7_957
; %bb.956:
	s_wait_loadcnt 0x0
	global_load_u16 v8, v[6:7], off
.LBB7_957:
	s_mov_b32 s49, 0
.LBB7_958:
	s_delay_alu instid0(SALU_CYCLE_1)
	s_and_not1_b32 vcc_lo, exec_lo, s49
	s_cbranch_vccnz .LBB7_964
; %bb.959:
	global_load_u8 v1, v[6:7], off
	s_mov_b32 s50, 0
	s_mov_b32 s49, exec_lo
	s_wait_loadcnt 0x0
	v_cmpx_lt_i16_e32 0x7f, v1
	s_xor_b32 s49, exec_lo, s49
	s_cbranch_execz .LBB7_976
; %bb.960:
	v_cmp_ne_u16_e32 vcc_lo, 0x80, v1
	s_and_b32 s50, vcc_lo, exec_lo
	s_and_not1_saveexec_b32 s49, s49
	s_cbranch_execnz .LBB7_977
.LBB7_961:
	s_or_b32 exec_lo, exec_lo, s49
	v_mov_b32_e32 v8, 0
	s_and_saveexec_b32 s49, s50
	s_cbranch_execz .LBB7_963
.LBB7_962:
	v_and_b32_e32 v3, 0xffff, v1
	s_delay_alu instid0(VALU_DEP_1) | instskip(SKIP_1) | instid1(VALU_DEP_2)
	v_and_b32_e32 v5, 7, v3
	v_bfe_u32 v10, v3, 3, 4
	v_clz_i32_u32_e32 v8, v5
	s_delay_alu instid0(VALU_DEP_2) | instskip(NEXT) | instid1(VALU_DEP_2)
	v_cmp_eq_u32_e32 vcc_lo, 0, v10
	v_min_u32_e32 v8, 32, v8
	s_delay_alu instid0(VALU_DEP_1) | instskip(NEXT) | instid1(VALU_DEP_1)
	v_subrev_nc_u32_e32 v9, 28, v8
	v_dual_lshlrev_b32 v3, v9, v3 :: v_dual_sub_nc_u32 v8, 29, v8
	s_delay_alu instid0(VALU_DEP_1) | instskip(NEXT) | instid1(VALU_DEP_1)
	v_dual_lshlrev_b32 v1, 24, v1 :: v_dual_bitop2_b32 v3, 7, v3 bitop3:0x40
	v_dual_cndmask_b32 v8, v10, v8 :: v_dual_cndmask_b32 v3, v5, v3
	s_delay_alu instid0(VALU_DEP_2) | instskip(NEXT) | instid1(VALU_DEP_2)
	v_and_b32_e32 v1, 0x80000000, v1
	v_lshl_add_u32 v5, v8, 23, 0x3b800000
	s_delay_alu instid0(VALU_DEP_3) | instskip(NEXT) | instid1(VALU_DEP_1)
	v_lshlrev_b32_e32 v3, 20, v3
	v_or3_b32 v1, v1, v5, v3
	s_delay_alu instid0(VALU_DEP_1) | instskip(NEXT) | instid1(VALU_DEP_1)
	v_trunc_f32_e32 v1, v1
	v_mul_f32_e64 v3, 0x2f800000, |v1|
	s_delay_alu instid0(VALU_DEP_1) | instskip(NEXT) | instid1(VALU_DEP_1)
	v_floor_f32_e32 v3, v3
	v_fma_f32 v3, 0xcf800000, v3, |v1|
	v_ashrrev_i32_e32 v1, 31, v1
	s_delay_alu instid0(VALU_DEP_2) | instskip(NEXT) | instid1(VALU_DEP_1)
	v_cvt_u32_f32_e32 v3, v3
	v_xor_b32_e32 v3, v3, v1
	s_delay_alu instid0(VALU_DEP_1)
	v_sub_nc_u32_e32 v8, v3, v1
.LBB7_963:
	s_or_b32 exec_lo, exec_lo, s49
.LBB7_964:
	s_mov_b32 s49, -1
.LBB7_965:
	s_mov_b32 s50, 0
.LBB7_966:
	s_delay_alu instid0(SALU_CYCLE_1)
	s_and_b32 vcc_lo, exec_lo, s50
	s_cbranch_vccz .LBB7_999
; %bb.967:
	s_cmp_gt_i32 s48, 22
	s_cbranch_scc0 .LBB7_975
; %bb.968:
	s_cmp_lt_i32 s48, 24
	s_cbranch_scc1 .LBB7_978
; %bb.969:
	s_cmp_gt_i32 s48, 24
	s_cbranch_scc0 .LBB7_979
; %bb.970:
	global_load_u8 v1, v[6:7], off
	s_mov_b32 s50, 0
	s_mov_b32 s49, exec_lo
	s_wait_loadcnt 0x0
	v_cmpx_lt_i16_e32 0x7f, v1
	s_xor_b32 s49, exec_lo, s49
	s_cbranch_execz .LBB7_991
; %bb.971:
	v_cmp_ne_u16_e32 vcc_lo, 0x80, v1
	s_and_b32 s50, vcc_lo, exec_lo
	s_and_not1_saveexec_b32 s49, s49
	s_cbranch_execnz .LBB7_992
.LBB7_972:
	s_or_b32 exec_lo, exec_lo, s49
	v_mov_b32_e32 v8, 0
	s_and_saveexec_b32 s49, s50
	s_cbranch_execz .LBB7_974
.LBB7_973:
	v_and_b32_e32 v3, 0xffff, v1
	s_delay_alu instid0(VALU_DEP_1) | instskip(SKIP_1) | instid1(VALU_DEP_2)
	v_and_b32_e32 v5, 3, v3
	v_bfe_u32 v10, v3, 2, 5
	v_clz_i32_u32_e32 v8, v5
	s_delay_alu instid0(VALU_DEP_2) | instskip(NEXT) | instid1(VALU_DEP_2)
	v_cmp_eq_u32_e32 vcc_lo, 0, v10
	v_min_u32_e32 v8, 32, v8
	s_delay_alu instid0(VALU_DEP_1) | instskip(NEXT) | instid1(VALU_DEP_1)
	v_subrev_nc_u32_e32 v9, 29, v8
	v_dual_lshlrev_b32 v3, v9, v3 :: v_dual_sub_nc_u32 v8, 30, v8
	s_delay_alu instid0(VALU_DEP_1) | instskip(NEXT) | instid1(VALU_DEP_1)
	v_dual_lshlrev_b32 v1, 24, v1 :: v_dual_bitop2_b32 v3, 3, v3 bitop3:0x40
	v_dual_cndmask_b32 v8, v10, v8 :: v_dual_cndmask_b32 v3, v5, v3
	s_delay_alu instid0(VALU_DEP_2) | instskip(NEXT) | instid1(VALU_DEP_2)
	v_and_b32_e32 v1, 0x80000000, v1
	v_lshl_add_u32 v5, v8, 23, 0x37800000
	s_delay_alu instid0(VALU_DEP_3) | instskip(NEXT) | instid1(VALU_DEP_1)
	v_lshlrev_b32_e32 v3, 21, v3
	v_or3_b32 v1, v1, v5, v3
	s_delay_alu instid0(VALU_DEP_1) | instskip(NEXT) | instid1(VALU_DEP_1)
	v_trunc_f32_e32 v1, v1
	v_mul_f32_e64 v3, 0x2f800000, |v1|
	s_delay_alu instid0(VALU_DEP_1) | instskip(NEXT) | instid1(VALU_DEP_1)
	v_floor_f32_e32 v3, v3
	v_fma_f32 v3, 0xcf800000, v3, |v1|
	v_ashrrev_i32_e32 v1, 31, v1
	s_delay_alu instid0(VALU_DEP_2) | instskip(NEXT) | instid1(VALU_DEP_1)
	v_cvt_u32_f32_e32 v3, v3
	v_xor_b32_e32 v3, v3, v1
	s_delay_alu instid0(VALU_DEP_1)
	v_sub_nc_u32_e32 v8, v3, v1
.LBB7_974:
	s_or_b32 exec_lo, exec_lo, s49
	s_mov_b32 s49, 0
	s_branch .LBB7_980
.LBB7_975:
	s_mov_b32 s50, -1
                                        ; implicit-def: $vgpr8
	s_branch .LBB7_986
.LBB7_976:
	s_and_not1_saveexec_b32 s49, s49
	s_cbranch_execz .LBB7_961
.LBB7_977:
	v_cmp_ne_u16_e32 vcc_lo, 0, v1
	s_and_not1_b32 s50, s50, exec_lo
	s_and_b32 s51, vcc_lo, exec_lo
	s_delay_alu instid0(SALU_CYCLE_1)
	s_or_b32 s50, s50, s51
	s_or_b32 exec_lo, exec_lo, s49
	v_mov_b32_e32 v8, 0
	s_and_saveexec_b32 s49, s50
	s_cbranch_execnz .LBB7_962
	s_branch .LBB7_963
.LBB7_978:
	s_mov_b32 s49, -1
                                        ; implicit-def: $vgpr8
	s_branch .LBB7_983
.LBB7_979:
	s_mov_b32 s49, -1
                                        ; implicit-def: $vgpr8
.LBB7_980:
	s_delay_alu instid0(SALU_CYCLE_1)
	s_and_b32 vcc_lo, exec_lo, s49
	s_cbranch_vccz .LBB7_982
; %bb.981:
	global_load_u8 v1, v[6:7], off
	s_wait_loadcnt 0x0
	v_lshlrev_b32_e32 v1, 24, v1
	s_delay_alu instid0(VALU_DEP_1) | instskip(NEXT) | instid1(VALU_DEP_1)
	v_and_b32_e32 v3, 0x7f000000, v1
	v_clz_i32_u32_e32 v5, v3
	s_wait_xcnt 0x1
	v_add_nc_u32_e32 v9, 0x1000000, v3
	v_cmp_ne_u32_e32 vcc_lo, 0, v3
	s_delay_alu instid0(VALU_DEP_3) | instskip(NEXT) | instid1(VALU_DEP_1)
	v_min_u32_e32 v5, 32, v5
	v_sub_nc_u32_e64 v5, v5, 4 clamp
	s_delay_alu instid0(VALU_DEP_1) | instskip(NEXT) | instid1(VALU_DEP_1)
	v_dual_lshlrev_b32 v8, v5, v3 :: v_dual_lshlrev_b32 v5, 23, v5
	v_lshrrev_b32_e32 v8, 4, v8
	s_delay_alu instid0(VALU_DEP_1) | instskip(SKIP_1) | instid1(VALU_DEP_2)
	v_sub_nc_u32_e32 v5, v8, v5
	v_ashrrev_i32_e32 v8, 8, v9
	v_add_nc_u32_e32 v5, 0x3c000000, v5
	s_delay_alu instid0(VALU_DEP_1) | instskip(NEXT) | instid1(VALU_DEP_1)
	v_and_or_b32 v5, 0x7f800000, v8, v5
	v_cndmask_b32_e32 v3, 0, v5, vcc_lo
	s_delay_alu instid0(VALU_DEP_1) | instskip(NEXT) | instid1(VALU_DEP_1)
	v_and_or_b32 v1, 0x80000000, v1, v3
	v_trunc_f32_e32 v1, v1
	s_delay_alu instid0(VALU_DEP_1) | instskip(NEXT) | instid1(VALU_DEP_1)
	v_mul_f32_e64 v3, 0x2f800000, |v1|
	v_floor_f32_e32 v3, v3
	s_delay_alu instid0(VALU_DEP_1) | instskip(SKIP_1) | instid1(VALU_DEP_2)
	v_fma_f32 v3, 0xcf800000, v3, |v1|
	v_ashrrev_i32_e32 v1, 31, v1
	v_cvt_u32_f32_e32 v3, v3
	s_delay_alu instid0(VALU_DEP_1) | instskip(NEXT) | instid1(VALU_DEP_1)
	v_xor_b32_e32 v3, v3, v1
	v_sub_nc_u32_e32 v8, v3, v1
.LBB7_982:
	s_mov_b32 s49, 0
.LBB7_983:
	s_delay_alu instid0(SALU_CYCLE_1)
	s_and_not1_b32 vcc_lo, exec_lo, s49
	s_cbranch_vccnz .LBB7_985
; %bb.984:
	global_load_u8 v1, v[6:7], off
	s_wait_loadcnt 0x0
	v_lshlrev_b32_e32 v3, 25, v1
	v_lshlrev_b16 v1, 8, v1
	s_wait_xcnt 0x1
	s_delay_alu instid0(VALU_DEP_1) | instskip(SKIP_1) | instid1(VALU_DEP_2)
	v_and_or_b32 v8, 0x7f00, v1, 0.5
	v_bfe_i32 v1, v1, 0, 16
	v_dual_add_f32 v8, -0.5, v8 :: v_dual_lshrrev_b32 v5, 4, v3
	v_cmp_gt_u32_e32 vcc_lo, 0x8000000, v3
	s_delay_alu instid0(VALU_DEP_2) | instskip(NEXT) | instid1(VALU_DEP_1)
	v_or_b32_e32 v5, 0x70000000, v5
	v_mul_f32_e32 v5, 0x7800000, v5
	s_delay_alu instid0(VALU_DEP_1) | instskip(NEXT) | instid1(VALU_DEP_1)
	v_cndmask_b32_e32 v3, v5, v8, vcc_lo
	v_and_or_b32 v1, 0x80000000, v1, v3
	s_delay_alu instid0(VALU_DEP_1) | instskip(NEXT) | instid1(VALU_DEP_1)
	v_trunc_f32_e32 v1, v1
	v_mul_f32_e64 v3, 0x2f800000, |v1|
	s_delay_alu instid0(VALU_DEP_1) | instskip(NEXT) | instid1(VALU_DEP_1)
	v_floor_f32_e32 v3, v3
	v_fma_f32 v3, 0xcf800000, v3, |v1|
	v_ashrrev_i32_e32 v1, 31, v1
	s_delay_alu instid0(VALU_DEP_2) | instskip(NEXT) | instid1(VALU_DEP_1)
	v_cvt_u32_f32_e32 v3, v3
	v_xor_b32_e32 v3, v3, v1
	s_delay_alu instid0(VALU_DEP_1)
	v_sub_nc_u32_e32 v8, v3, v1
.LBB7_985:
	s_mov_b32 s50, 0
	s_mov_b32 s49, -1
.LBB7_986:
	s_and_not1_b32 vcc_lo, exec_lo, s50
	s_cbranch_vccnz .LBB7_999
; %bb.987:
	s_cmp_gt_i32 s48, 14
	s_cbranch_scc0 .LBB7_990
; %bb.988:
	s_cmp_eq_u32 s48, 15
	s_cbranch_scc0 .LBB7_993
; %bb.989:
	global_load_u16 v1, v[6:7], off
	s_mov_b32 s49, -1
	s_mov_b32 s27, 0
	s_wait_loadcnt 0x0
	v_lshlrev_b32_e32 v1, 16, v1
	s_delay_alu instid0(VALU_DEP_1) | instskip(NEXT) | instid1(VALU_DEP_1)
	v_trunc_f32_e32 v1, v1
	v_mul_f32_e64 v3, 0x2f800000, |v1|
	s_delay_alu instid0(VALU_DEP_1) | instskip(NEXT) | instid1(VALU_DEP_1)
	v_floor_f32_e32 v3, v3
	v_fma_f32 v3, 0xcf800000, v3, |v1|
	v_ashrrev_i32_e32 v1, 31, v1
	s_delay_alu instid0(VALU_DEP_2) | instskip(NEXT) | instid1(VALU_DEP_1)
	v_cvt_u32_f32_e32 v3, v3
	v_xor_b32_e32 v3, v3, v1
	s_wait_xcnt 0x1
	s_delay_alu instid0(VALU_DEP_1)
	v_sub_nc_u32_e32 v8, v3, v1
	s_branch .LBB7_994
.LBB7_990:
	s_mov_b32 s50, -1
                                        ; implicit-def: $vgpr8
	s_branch .LBB7_995
.LBB7_991:
	s_and_not1_saveexec_b32 s49, s49
	s_cbranch_execz .LBB7_972
.LBB7_992:
	v_cmp_ne_u16_e32 vcc_lo, 0, v1
	s_and_not1_b32 s50, s50, exec_lo
	s_and_b32 s51, vcc_lo, exec_lo
	s_delay_alu instid0(SALU_CYCLE_1)
	s_or_b32 s50, s50, s51
	s_or_b32 exec_lo, exec_lo, s49
	v_mov_b32_e32 v8, 0
	s_and_saveexec_b32 s49, s50
	s_cbranch_execnz .LBB7_973
	s_branch .LBB7_974
.LBB7_993:
	s_mov_b32 s27, -1
                                        ; implicit-def: $vgpr8
.LBB7_994:
	s_mov_b32 s50, 0
.LBB7_995:
	s_delay_alu instid0(SALU_CYCLE_1)
	s_and_b32 vcc_lo, exec_lo, s50
	s_cbranch_vccz .LBB7_999
; %bb.996:
	s_cmp_eq_u32 s48, 11
	s_cbranch_scc0 .LBB7_998
; %bb.997:
	global_load_u8 v1, v[6:7], off
	s_mov_b32 s27, 0
	s_mov_b32 s49, -1
	s_wait_loadcnt 0x0
	v_cmp_ne_u16_e32 vcc_lo, 0, v1
	s_wait_xcnt 0x1
	v_cndmask_b32_e64 v8, 0, 1, vcc_lo
	s_branch .LBB7_999
.LBB7_998:
	s_mov_b32 s27, -1
                                        ; implicit-def: $vgpr8
.LBB7_999:
	s_mov_b32 s48, 0
.LBB7_1000:
	s_delay_alu instid0(SALU_CYCLE_1)
	s_and_b32 vcc_lo, exec_lo, s48
	s_cbranch_vccz .LBB7_1049
; %bb.1001:
	s_and_b32 s0, 0xffff, s0
	s_delay_alu instid0(SALU_CYCLE_1)
	s_cmp_lt_i32 s0, 5
	s_cbranch_scc1 .LBB7_1006
; %bb.1002:
	s_cmp_lt_i32 s0, 8
	s_cbranch_scc1 .LBB7_1007
; %bb.1003:
	;; [unrolled: 3-line block ×3, first 2 shown]
	s_cmp_gt_i32 s0, 9
	s_cbranch_scc0 .LBB7_1009
; %bb.1005:
	s_wait_loadcnt 0x0
	global_load_b64 v[8:9], v[6:7], off
	s_mov_b32 s48, 0
	s_wait_loadcnt 0x0
	v_trunc_f64_e32 v[8:9], v[8:9]
	s_delay_alu instid0(VALU_DEP_1) | instskip(NEXT) | instid1(VALU_DEP_1)
	v_ldexp_f64 v[10:11], v[8:9], 0xffffffe0
	v_floor_f64_e32 v[10:11], v[10:11]
	s_delay_alu instid0(VALU_DEP_1) | instskip(NEXT) | instid1(VALU_DEP_1)
	v_fmamk_f64 v[8:9], v[10:11], 0xc1f00000, v[8:9]
	v_cvt_u32_f64_e32 v8, v[8:9]
	s_branch .LBB7_1010
.LBB7_1006:
	s_mov_b32 s48, -1
                                        ; implicit-def: $vgpr8
	s_branch .LBB7_1028
.LBB7_1007:
	s_mov_b32 s48, -1
                                        ; implicit-def: $vgpr8
	s_branch .LBB7_1016
.LBB7_1008:
	s_mov_b32 s48, -1
                                        ; implicit-def: $vgpr8
	s_branch .LBB7_1013
.LBB7_1009:
	s_mov_b32 s48, -1
                                        ; implicit-def: $vgpr8
.LBB7_1010:
	s_delay_alu instid0(SALU_CYCLE_1)
	s_and_not1_b32 vcc_lo, exec_lo, s48
	s_cbranch_vccnz .LBB7_1012
; %bb.1011:
	global_load_b32 v1, v[6:7], off
	s_wait_loadcnt 0x0
	v_trunc_f32_e32 v1, v1
	s_delay_alu instid0(VALU_DEP_1) | instskip(NEXT) | instid1(VALU_DEP_1)
	v_mul_f32_e64 v3, 0x2f800000, |v1|
	v_floor_f32_e32 v3, v3
	s_delay_alu instid0(VALU_DEP_1) | instskip(SKIP_1) | instid1(VALU_DEP_2)
	v_fma_f32 v3, 0xcf800000, v3, |v1|
	v_ashrrev_i32_e32 v1, 31, v1
	v_cvt_u32_f32_e32 v3, v3
	s_delay_alu instid0(VALU_DEP_1) | instskip(SKIP_1) | instid1(VALU_DEP_1)
	v_xor_b32_e32 v3, v3, v1
	s_wait_xcnt 0x1
	v_sub_nc_u32_e32 v8, v3, v1
.LBB7_1012:
	s_mov_b32 s48, 0
.LBB7_1013:
	s_delay_alu instid0(SALU_CYCLE_1)
	s_and_not1_b32 vcc_lo, exec_lo, s48
	s_cbranch_vccnz .LBB7_1015
; %bb.1014:
	global_load_b32 v1, v[6:7], off
	s_wait_loadcnt 0x0
	v_cvt_f32_f16_e32 v1, v1
	s_wait_xcnt 0x1
	s_delay_alu instid0(VALU_DEP_1)
	v_cvt_i32_f32_e32 v8, v1
.LBB7_1015:
	s_mov_b32 s48, 0
.LBB7_1016:
	s_delay_alu instid0(SALU_CYCLE_1)
	s_and_not1_b32 vcc_lo, exec_lo, s48
	s_cbranch_vccnz .LBB7_1027
; %bb.1017:
	s_cmp_lt_i32 s0, 6
	s_cbranch_scc1 .LBB7_1020
; %bb.1018:
	s_cmp_gt_i32 s0, 6
	s_cbranch_scc0 .LBB7_1021
; %bb.1019:
	s_wait_loadcnt 0x0
	global_load_b64 v[8:9], v[6:7], off
	s_mov_b32 s48, 0
	s_wait_loadcnt 0x0
	v_trunc_f64_e32 v[8:9], v[8:9]
	s_delay_alu instid0(VALU_DEP_1) | instskip(NEXT) | instid1(VALU_DEP_1)
	v_ldexp_f64 v[10:11], v[8:9], 0xffffffe0
	v_floor_f64_e32 v[10:11], v[10:11]
	s_delay_alu instid0(VALU_DEP_1) | instskip(NEXT) | instid1(VALU_DEP_1)
	v_fmamk_f64 v[8:9], v[10:11], 0xc1f00000, v[8:9]
	v_cvt_u32_f64_e32 v8, v[8:9]
	s_branch .LBB7_1022
.LBB7_1020:
	s_mov_b32 s48, -1
                                        ; implicit-def: $vgpr8
	s_branch .LBB7_1025
.LBB7_1021:
	s_mov_b32 s48, -1
                                        ; implicit-def: $vgpr8
.LBB7_1022:
	s_delay_alu instid0(SALU_CYCLE_1)
	s_and_not1_b32 vcc_lo, exec_lo, s48
	s_cbranch_vccnz .LBB7_1024
; %bb.1023:
	global_load_b32 v1, v[6:7], off
	s_wait_loadcnt 0x0
	v_trunc_f32_e32 v1, v1
	s_delay_alu instid0(VALU_DEP_1) | instskip(NEXT) | instid1(VALU_DEP_1)
	v_mul_f32_e64 v3, 0x2f800000, |v1|
	v_floor_f32_e32 v3, v3
	s_delay_alu instid0(VALU_DEP_1) | instskip(SKIP_1) | instid1(VALU_DEP_2)
	v_fma_f32 v3, 0xcf800000, v3, |v1|
	v_ashrrev_i32_e32 v1, 31, v1
	v_cvt_u32_f32_e32 v3, v3
	s_delay_alu instid0(VALU_DEP_1) | instskip(SKIP_1) | instid1(VALU_DEP_1)
	v_xor_b32_e32 v3, v3, v1
	s_wait_xcnt 0x1
	v_sub_nc_u32_e32 v8, v3, v1
.LBB7_1024:
	s_mov_b32 s48, 0
.LBB7_1025:
	s_delay_alu instid0(SALU_CYCLE_1)
	s_and_not1_b32 vcc_lo, exec_lo, s48
	s_cbranch_vccnz .LBB7_1027
; %bb.1026:
	global_load_u16 v1, v[6:7], off
	s_wait_loadcnt 0x0
	v_cvt_f32_f16_e32 v1, v1
	s_wait_xcnt 0x1
	s_delay_alu instid0(VALU_DEP_1)
	v_cvt_i32_f32_e32 v8, v1
.LBB7_1027:
	s_mov_b32 s48, 0
.LBB7_1028:
	s_delay_alu instid0(SALU_CYCLE_1)
	s_and_not1_b32 vcc_lo, exec_lo, s48
	s_cbranch_vccnz .LBB7_1048
; %bb.1029:
	s_cmp_lt_i32 s0, 2
	s_cbranch_scc1 .LBB7_1033
; %bb.1030:
	s_cmp_lt_i32 s0, 3
	s_cbranch_scc1 .LBB7_1034
; %bb.1031:
	s_cmp_gt_i32 s0, 3
	s_cbranch_scc0 .LBB7_1035
; %bb.1032:
	s_wait_loadcnt 0x0
	global_load_b64 v[8:9], v[6:7], off
	s_mov_b32 s48, 0
	s_branch .LBB7_1036
.LBB7_1033:
	s_mov_b32 s48, -1
                                        ; implicit-def: $vgpr8
	s_branch .LBB7_1042
.LBB7_1034:
	s_mov_b32 s48, -1
                                        ; implicit-def: $vgpr8
	s_branch .LBB7_1039
.LBB7_1035:
	s_mov_b32 s48, -1
                                        ; implicit-def: $vgpr8
.LBB7_1036:
	s_delay_alu instid0(SALU_CYCLE_1)
	s_and_not1_b32 vcc_lo, exec_lo, s48
	s_cbranch_vccnz .LBB7_1038
; %bb.1037:
	s_wait_loadcnt 0x0
	global_load_b32 v8, v[6:7], off
.LBB7_1038:
	s_mov_b32 s48, 0
.LBB7_1039:
	s_delay_alu instid0(SALU_CYCLE_1)
	s_and_not1_b32 vcc_lo, exec_lo, s48
	s_cbranch_vccnz .LBB7_1041
; %bb.1040:
	s_wait_loadcnt 0x0
	global_load_u16 v8, v[6:7], off
.LBB7_1041:
	s_mov_b32 s48, 0
.LBB7_1042:
	s_delay_alu instid0(SALU_CYCLE_1)
	s_and_not1_b32 vcc_lo, exec_lo, s48
	s_cbranch_vccnz .LBB7_1048
; %bb.1043:
	s_cmp_gt_i32 s0, 0
	s_mov_b32 s0, 0
	s_cbranch_scc0 .LBB7_1045
; %bb.1044:
	s_wait_loadcnt 0x0
	global_load_u8 v8, v[6:7], off
	s_branch .LBB7_1046
.LBB7_1045:
	s_mov_b32 s0, -1
                                        ; implicit-def: $vgpr8
.LBB7_1046:
	s_delay_alu instid0(SALU_CYCLE_1)
	s_and_not1_b32 vcc_lo, exec_lo, s0
	s_cbranch_vccnz .LBB7_1048
; %bb.1047:
	s_wait_loadcnt 0x0
	global_load_u8 v8, v[6:7], off
.LBB7_1048:
	s_mov_b32 s49, -1
.LBB7_1049:
	s_delay_alu instid0(SALU_CYCLE_1)
	s_and_not1_b32 vcc_lo, exec_lo, s49
	s_cbranch_vccnz .LBB7_1057
; %bb.1050:
	s_wait_loadcnt 0x0
	s_delay_alu instid0(VALU_DEP_1) | instskip(NEXT) | instid1(VALU_DEP_4)
	v_and_b32_e32 v1, 0xff, v8
	v_and_b32_e32 v4, 0xff, v4
	v_mov_b32_e32 v3, 0
	s_and_b32 s49, s11, 0xff
	s_delay_alu instid0(VALU_DEP_2) | instskip(NEXT) | instid1(VALU_DEP_2)
	v_cmp_ne_u16_e32 vcc_lo, v4, v1
	v_add_nc_u64_e32 v[2:3], s[4:5], v[2:3]
	s_xor_b32 s48, s10, vcc_lo
	s_cmp_lt_i32 s49, 11
	s_cbranch_scc1 .LBB7_1058
; %bb.1051:
	s_and_b32 s50, 0xffff, s49
	s_delay_alu instid0(SALU_CYCLE_1)
	s_cmp_gt_i32 s50, 25
	s_cbranch_scc0 .LBB7_1059
; %bb.1052:
	s_cmp_gt_i32 s50, 28
	s_cbranch_scc0 .LBB7_1060
; %bb.1053:
	;; [unrolled: 3-line block ×4, first 2 shown]
	s_mov_b32 s52, 0
	s_mov_b32 s0, -1
	s_cmp_eq_u32 s50, 46
	s_mov_b32 s51, 0
	s_cbranch_scc0 .LBB7_1063
; %bb.1056:
	v_cndmask_b32_e64 v1, 0, 1.0, s48
	s_mov_b32 s51, -1
	s_mov_b32 s0, 0
	s_delay_alu instid0(VALU_DEP_1) | instskip(NEXT) | instid1(VALU_DEP_1)
	v_bfe_u32 v4, v1, 16, 1
	v_add3_u32 v1, v1, v4, 0x7fff
	s_delay_alu instid0(VALU_DEP_1)
	v_lshrrev_b32_e32 v1, 16, v1
	global_store_b32 v[2:3], v1, off
	s_branch .LBB7_1063
.LBB7_1057:
	s_mov_b32 s51, 0
	s_mov_b32 s0, s44
	s_branch .LBB7_1174
.LBB7_1058:
	s_mov_b32 s50, -1
	s_mov_b32 s51, 0
	s_mov_b32 s0, s44
	s_branch .LBB7_1132
.LBB7_1059:
	s_mov_b32 s52, -1
	s_mov_b32 s51, 0
	s_mov_b32 s0, s44
	s_branch .LBB7_1090
.LBB7_1060:
	s_mov_b32 s52, -1
	s_mov_b32 s51, 0
	s_mov_b32 s0, s44
	s_branch .LBB7_1073
.LBB7_1061:
	s_mov_b32 s52, -1
	s_mov_b32 s51, 0
	s_mov_b32 s0, s44
	s_branch .LBB7_1069
.LBB7_1062:
	s_mov_b32 s52, -1
	s_mov_b32 s51, 0
	s_mov_b32 s0, s44
.LBB7_1063:
	s_and_b32 vcc_lo, exec_lo, s52
	s_cbranch_vccz .LBB7_1068
; %bb.1064:
	s_cmp_eq_u32 s50, 44
	s_mov_b32 s0, -1
	s_cbranch_scc0 .LBB7_1068
; %bb.1065:
	v_cndmask_b32_e64 v5, 0, 1.0, s48
	s_mov_b32 s51, exec_lo
	s_wait_xcnt 0x0
	s_delay_alu instid0(VALU_DEP_1) | instskip(NEXT) | instid1(VALU_DEP_1)
	v_dual_mov_b32 v4, 0xff :: v_dual_lshrrev_b32 v1, 23, v5
	v_cmpx_ne_u32_e32 0xff, v1
; %bb.1066:
	v_and_b32_e32 v4, 0x400000, v5
	v_and_or_b32 v5, 0x3fffff, v5, v1
	s_delay_alu instid0(VALU_DEP_2) | instskip(NEXT) | instid1(VALU_DEP_2)
	v_cmp_ne_u32_e32 vcc_lo, 0, v4
	v_cmp_ne_u32_e64 s0, 0, v5
	s_and_b32 s0, vcc_lo, s0
	s_delay_alu instid0(SALU_CYCLE_1) | instskip(NEXT) | instid1(VALU_DEP_1)
	v_cndmask_b32_e64 v4, 0, 1, s0
	v_add_nc_u32_e32 v4, v1, v4
; %bb.1067:
	s_or_b32 exec_lo, exec_lo, s51
	s_mov_b32 s51, -1
	s_mov_b32 s0, 0
	global_store_b8 v[2:3], v4, off
.LBB7_1068:
	s_mov_b32 s52, 0
.LBB7_1069:
	s_delay_alu instid0(SALU_CYCLE_1)
	s_and_b32 vcc_lo, exec_lo, s52
	s_cbranch_vccz .LBB7_1072
; %bb.1070:
	s_cmp_eq_u32 s50, 29
	s_mov_b32 s0, -1
	s_cbranch_scc0 .LBB7_1072
; %bb.1071:
	s_mov_b32 s0, 0
	s_wait_xcnt 0x0
	v_cndmask_b32_e64 v4, 0, 1, s48
	v_mov_b32_e32 v5, s0
	s_mov_b32 s51, -1
	s_mov_b32 s52, 0
	global_store_b64 v[2:3], v[4:5], off
	s_branch .LBB7_1073
.LBB7_1072:
	s_mov_b32 s52, 0
.LBB7_1073:
	s_delay_alu instid0(SALU_CYCLE_1)
	s_and_b32 vcc_lo, exec_lo, s52
	s_cbranch_vccz .LBB7_1089
; %bb.1074:
	s_cmp_lt_i32 s50, 27
	s_mov_b32 s51, -1
	s_cbranch_scc1 .LBB7_1080
; %bb.1075:
	s_cmp_gt_i32 s50, 27
	s_cbranch_scc0 .LBB7_1077
; %bb.1076:
	s_wait_xcnt 0x0
	v_cndmask_b32_e64 v1, 0, 1, s48
	s_mov_b32 s51, 0
	global_store_b32 v[2:3], v1, off
.LBB7_1077:
	s_and_not1_b32 vcc_lo, exec_lo, s51
	s_cbranch_vccnz .LBB7_1079
; %bb.1078:
	s_wait_xcnt 0x0
	v_cndmask_b32_e64 v1, 0, 1, s48
	global_store_b16 v[2:3], v1, off
.LBB7_1079:
	s_mov_b32 s51, 0
.LBB7_1080:
	s_delay_alu instid0(SALU_CYCLE_1)
	s_and_not1_b32 vcc_lo, exec_lo, s51
	s_cbranch_vccnz .LBB7_1088
; %bb.1081:
	s_wait_xcnt 0x0
	v_cndmask_b32_e64 v4, 0, 1.0, s48
	v_mov_b32_e32 v5, 0x80
	s_mov_b32 s51, exec_lo
	s_delay_alu instid0(VALU_DEP_2)
	v_cmpx_gt_u32_e32 0x43800000, v4
	s_cbranch_execz .LBB7_1087
; %bb.1082:
	s_mov_b32 s52, 0
	s_mov_b32 s53, exec_lo
                                        ; implicit-def: $vgpr1
	v_cmpx_lt_u32_e32 0x3bffffff, v4
	s_xor_b32 s53, exec_lo, s53
	s_cbranch_execz .LBB7_1202
; %bb.1083:
	v_bfe_u32 v1, v4, 20, 1
	s_mov_b32 s52, exec_lo
	s_delay_alu instid0(VALU_DEP_1) | instskip(NEXT) | instid1(VALU_DEP_1)
	v_add3_u32 v1, v4, v1, 0x487ffff
                                        ; implicit-def: $vgpr4
	v_lshrrev_b32_e32 v1, 20, v1
	s_and_not1_saveexec_b32 s53, s53
	s_cbranch_execnz .LBB7_1203
.LBB7_1084:
	s_or_b32 exec_lo, exec_lo, s53
	v_mov_b32_e32 v5, 0
	s_and_saveexec_b32 s53, s52
.LBB7_1085:
	v_mov_b32_e32 v5, v1
.LBB7_1086:
	s_or_b32 exec_lo, exec_lo, s53
.LBB7_1087:
	s_delay_alu instid0(SALU_CYCLE_1)
	s_or_b32 exec_lo, exec_lo, s51
	global_store_b8 v[2:3], v5, off
.LBB7_1088:
	s_mov_b32 s51, -1
.LBB7_1089:
	s_mov_b32 s52, 0
.LBB7_1090:
	s_delay_alu instid0(SALU_CYCLE_1)
	s_and_b32 vcc_lo, exec_lo, s52
	s_cbranch_vccz .LBB7_1131
; %bb.1091:
	s_cmp_gt_i32 s50, 22
	s_mov_b32 s52, -1
	s_cbranch_scc0 .LBB7_1123
; %bb.1092:
	s_cmp_lt_i32 s50, 24
	s_mov_b32 s51, -1
	s_cbranch_scc1 .LBB7_1112
; %bb.1093:
	s_cmp_gt_i32 s50, 24
	s_cbranch_scc0 .LBB7_1101
; %bb.1094:
	s_wait_xcnt 0x0
	v_cndmask_b32_e64 v4, 0, 1.0, s48
	v_mov_b32_e32 v5, 0x80
	s_mov_b32 s51, exec_lo
	s_delay_alu instid0(VALU_DEP_2)
	v_cmpx_gt_u32_e32 0x47800000, v4
	s_cbranch_execz .LBB7_1100
; %bb.1095:
	s_mov_b32 s52, 0
	s_mov_b32 s53, exec_lo
                                        ; implicit-def: $vgpr1
	v_cmpx_lt_u32_e32 0x37ffffff, v4
	s_xor_b32 s53, exec_lo, s53
	s_cbranch_execz .LBB7_2245
; %bb.1096:
	v_bfe_u32 v1, v4, 21, 1
	s_mov_b32 s52, exec_lo
	s_delay_alu instid0(VALU_DEP_1) | instskip(NEXT) | instid1(VALU_DEP_1)
	v_add3_u32 v1, v4, v1, 0x88fffff
                                        ; implicit-def: $vgpr4
	v_lshrrev_b32_e32 v1, 21, v1
	s_and_not1_saveexec_b32 s53, s53
	s_cbranch_execnz .LBB7_2246
.LBB7_1097:
	s_or_b32 exec_lo, exec_lo, s53
	v_mov_b32_e32 v5, 0
	s_and_saveexec_b32 s53, s52
.LBB7_1098:
	v_mov_b32_e32 v5, v1
.LBB7_1099:
	s_or_b32 exec_lo, exec_lo, s53
.LBB7_1100:
	s_delay_alu instid0(SALU_CYCLE_1)
	s_or_b32 exec_lo, exec_lo, s51
	s_mov_b32 s51, 0
	global_store_b8 v[2:3], v5, off
.LBB7_1101:
	s_and_b32 vcc_lo, exec_lo, s51
	s_cbranch_vccz .LBB7_1111
; %bb.1102:
	s_wait_xcnt 0x0
	v_cndmask_b32_e64 v4, 0, 1.0, s48
	s_mov_b32 s51, exec_lo
                                        ; implicit-def: $vgpr1
	s_delay_alu instid0(VALU_DEP_1)
	v_cmpx_gt_u32_e32 0x43f00000, v4
	s_xor_b32 s51, exec_lo, s51
	s_cbranch_execz .LBB7_1108
; %bb.1103:
	s_mov_b32 s52, exec_lo
                                        ; implicit-def: $vgpr1
	v_cmpx_lt_u32_e32 0x3c7fffff, v4
	s_xor_b32 s52, exec_lo, s52
; %bb.1104:
	v_bfe_u32 v1, v4, 20, 1
	s_delay_alu instid0(VALU_DEP_1) | instskip(NEXT) | instid1(VALU_DEP_1)
	v_add3_u32 v1, v4, v1, 0x407ffff
	v_and_b32_e32 v4, 0xff00000, v1
	v_lshrrev_b32_e32 v1, 20, v1
	s_delay_alu instid0(VALU_DEP_2) | instskip(NEXT) | instid1(VALU_DEP_2)
	v_cmp_ne_u32_e32 vcc_lo, 0x7f00000, v4
                                        ; implicit-def: $vgpr4
	v_cndmask_b32_e32 v1, 0x7e, v1, vcc_lo
; %bb.1105:
	s_and_not1_saveexec_b32 s52, s52
; %bb.1106:
	v_add_f32_e32 v1, 0x46800000, v4
; %bb.1107:
	s_or_b32 exec_lo, exec_lo, s52
                                        ; implicit-def: $vgpr4
.LBB7_1108:
	s_and_not1_saveexec_b32 s51, s51
; %bb.1109:
	v_mov_b32_e32 v1, 0x7f
	v_cmp_lt_u32_e32 vcc_lo, 0x7f800000, v4
	s_delay_alu instid0(VALU_DEP_2)
	v_cndmask_b32_e32 v1, 0x7e, v1, vcc_lo
; %bb.1110:
	s_or_b32 exec_lo, exec_lo, s51
	global_store_b8 v[2:3], v1, off
.LBB7_1111:
	s_mov_b32 s51, 0
.LBB7_1112:
	s_delay_alu instid0(SALU_CYCLE_1)
	s_and_not1_b32 vcc_lo, exec_lo, s51
	s_cbranch_vccnz .LBB7_1122
; %bb.1113:
	s_wait_xcnt 0x0
	v_cndmask_b32_e64 v4, 0, 1.0, s48
	s_mov_b32 s51, exec_lo
                                        ; implicit-def: $vgpr1
	s_delay_alu instid0(VALU_DEP_1)
	v_cmpx_gt_u32_e32 0x47800000, v4
	s_xor_b32 s51, exec_lo, s51
	s_cbranch_execz .LBB7_1119
; %bb.1114:
	s_mov_b32 s52, exec_lo
                                        ; implicit-def: $vgpr1
	v_cmpx_lt_u32_e32 0x387fffff, v4
	s_xor_b32 s52, exec_lo, s52
; %bb.1115:
	v_bfe_u32 v1, v4, 21, 1
	s_delay_alu instid0(VALU_DEP_1) | instskip(NEXT) | instid1(VALU_DEP_1)
	v_add3_u32 v1, v4, v1, 0x80fffff
                                        ; implicit-def: $vgpr4
	v_lshrrev_b32_e32 v1, 21, v1
; %bb.1116:
	s_and_not1_saveexec_b32 s52, s52
; %bb.1117:
	v_add_f32_e32 v1, 0x43000000, v4
; %bb.1118:
	s_or_b32 exec_lo, exec_lo, s52
                                        ; implicit-def: $vgpr4
.LBB7_1119:
	s_and_not1_saveexec_b32 s51, s51
; %bb.1120:
	v_mov_b32_e32 v1, 0x7f
	v_cmp_lt_u32_e32 vcc_lo, 0x7f800000, v4
	s_delay_alu instid0(VALU_DEP_2)
	v_cndmask_b32_e32 v1, 0x7c, v1, vcc_lo
; %bb.1121:
	s_or_b32 exec_lo, exec_lo, s51
	global_store_b8 v[2:3], v1, off
.LBB7_1122:
	s_mov_b32 s52, 0
	s_mov_b32 s51, -1
.LBB7_1123:
	s_and_not1_b32 vcc_lo, exec_lo, s52
	s_cbranch_vccnz .LBB7_1131
; %bb.1124:
	s_cmp_gt_i32 s50, 14
	s_mov_b32 s52, -1
	s_cbranch_scc0 .LBB7_1128
; %bb.1125:
	s_cmp_eq_u32 s50, 15
	s_mov_b32 s0, -1
	s_cbranch_scc0 .LBB7_1127
; %bb.1126:
	s_wait_xcnt 0x0
	v_cndmask_b32_e64 v1, 0, 1.0, s48
	s_mov_b32 s51, -1
	s_mov_b32 s0, 0
	s_delay_alu instid0(VALU_DEP_1) | instskip(NEXT) | instid1(VALU_DEP_1)
	v_bfe_u32 v4, v1, 16, 1
	v_add3_u32 v1, v1, v4, 0x7fff
	global_store_d16_hi_b16 v[2:3], v1, off
.LBB7_1127:
	s_mov_b32 s52, 0
.LBB7_1128:
	s_delay_alu instid0(SALU_CYCLE_1)
	s_and_b32 vcc_lo, exec_lo, s52
	s_cbranch_vccz .LBB7_1131
; %bb.1129:
	s_cmp_eq_u32 s50, 11
	s_mov_b32 s0, -1
	s_cbranch_scc0 .LBB7_1131
; %bb.1130:
	s_wait_xcnt 0x0
	v_cndmask_b32_e64 v1, 0, 1, s48
	s_mov_b32 s51, -1
	s_mov_b32 s0, 0
	global_store_b8 v[2:3], v1, off
.LBB7_1131:
	s_mov_b32 s50, 0
.LBB7_1132:
	s_delay_alu instid0(SALU_CYCLE_1)
	s_and_b32 vcc_lo, exec_lo, s50
	s_cbranch_vccz .LBB7_1171
; %bb.1133:
	s_and_b32 s49, 0xffff, s49
	s_mov_b32 s50, -1
	s_cmp_lt_i32 s49, 5
	s_cbranch_scc1 .LBB7_1154
; %bb.1134:
	s_cmp_lt_i32 s49, 8
	s_cbranch_scc1 .LBB7_1144
; %bb.1135:
	;; [unrolled: 3-line block ×3, first 2 shown]
	s_cmp_gt_i32 s49, 9
	s_cbranch_scc0 .LBB7_1138
; %bb.1137:
	s_wait_xcnt 0x0
	v_cndmask_b32_e64 v1, 0, 1, s48
	v_mov_b32_e32 v6, 0
	s_mov_b32 s50, 0
	s_delay_alu instid0(VALU_DEP_2) | instskip(NEXT) | instid1(VALU_DEP_2)
	v_cvt_f64_u32_e32 v[4:5], v1
	v_mov_b32_e32 v7, v6
	global_store_b128 v[2:3], v[4:7], off
.LBB7_1138:
	s_and_not1_b32 vcc_lo, exec_lo, s50
	s_cbranch_vccnz .LBB7_1140
; %bb.1139:
	s_wait_xcnt 0x0
	v_cndmask_b32_e64 v4, 0, 1.0, s48
	v_mov_b32_e32 v5, 0
	global_store_b64 v[2:3], v[4:5], off
.LBB7_1140:
	s_mov_b32 s50, 0
.LBB7_1141:
	s_delay_alu instid0(SALU_CYCLE_1)
	s_and_not1_b32 vcc_lo, exec_lo, s50
	s_cbranch_vccnz .LBB7_1143
; %bb.1142:
	s_wait_xcnt 0x0
	v_cndmask_b32_e64 v1, 0, 1.0, s48
	s_delay_alu instid0(VALU_DEP_1) | instskip(NEXT) | instid1(VALU_DEP_1)
	v_cvt_f16_f32_e32 v1, v1
	v_and_b32_e32 v1, 0xffff, v1
	global_store_b32 v[2:3], v1, off
.LBB7_1143:
	s_mov_b32 s50, 0
.LBB7_1144:
	s_delay_alu instid0(SALU_CYCLE_1)
	s_and_not1_b32 vcc_lo, exec_lo, s50
	s_cbranch_vccnz .LBB7_1153
; %bb.1145:
	s_cmp_lt_i32 s49, 6
	s_mov_b32 s50, -1
	s_cbranch_scc1 .LBB7_1151
; %bb.1146:
	s_cmp_gt_i32 s49, 6
	s_cbranch_scc0 .LBB7_1148
; %bb.1147:
	s_wait_xcnt 0x0
	v_cndmask_b32_e64 v1, 0, 1, s48
	s_mov_b32 s50, 0
	s_delay_alu instid0(VALU_DEP_1)
	v_cvt_f64_u32_e32 v[4:5], v1
	global_store_b64 v[2:3], v[4:5], off
.LBB7_1148:
	s_and_not1_b32 vcc_lo, exec_lo, s50
	s_cbranch_vccnz .LBB7_1150
; %bb.1149:
	s_wait_xcnt 0x0
	v_cndmask_b32_e64 v1, 0, 1.0, s48
	global_store_b32 v[2:3], v1, off
.LBB7_1150:
	s_mov_b32 s50, 0
.LBB7_1151:
	s_delay_alu instid0(SALU_CYCLE_1)
	s_and_not1_b32 vcc_lo, exec_lo, s50
	s_cbranch_vccnz .LBB7_1153
; %bb.1152:
	s_wait_xcnt 0x0
	v_cndmask_b32_e64 v1, 0, 1.0, s48
	s_delay_alu instid0(VALU_DEP_1)
	v_cvt_f16_f32_e32 v1, v1
	global_store_b16 v[2:3], v1, off
.LBB7_1153:
	s_mov_b32 s50, 0
.LBB7_1154:
	s_delay_alu instid0(SALU_CYCLE_1)
	s_and_not1_b32 vcc_lo, exec_lo, s50
	s_cbranch_vccnz .LBB7_1170
; %bb.1155:
	s_cmp_lt_i32 s49, 2
	s_mov_b32 s50, -1
	s_cbranch_scc1 .LBB7_1165
; %bb.1156:
	s_cmp_lt_i32 s49, 3
	s_cbranch_scc1 .LBB7_1162
; %bb.1157:
	s_cmp_gt_i32 s49, 3
	s_cbranch_scc0 .LBB7_1159
; %bb.1158:
	s_mov_b32 s50, 0
	s_wait_xcnt 0x0
	v_cndmask_b32_e64 v4, 0, 1, s48
	v_mov_b32_e32 v5, s50
	global_store_b64 v[2:3], v[4:5], off
.LBB7_1159:
	s_and_not1_b32 vcc_lo, exec_lo, s50
	s_cbranch_vccnz .LBB7_1161
; %bb.1160:
	s_wait_xcnt 0x0
	v_cndmask_b32_e64 v1, 0, 1, s48
	global_store_b32 v[2:3], v1, off
.LBB7_1161:
	s_mov_b32 s50, 0
.LBB7_1162:
	s_delay_alu instid0(SALU_CYCLE_1)
	s_and_not1_b32 vcc_lo, exec_lo, s50
	s_cbranch_vccnz .LBB7_1164
; %bb.1163:
	s_wait_xcnt 0x0
	v_cndmask_b32_e64 v1, 0, 1, s48
	global_store_b16 v[2:3], v1, off
.LBB7_1164:
	s_mov_b32 s50, 0
.LBB7_1165:
	s_delay_alu instid0(SALU_CYCLE_1)
	s_and_not1_b32 vcc_lo, exec_lo, s50
	s_cbranch_vccnz .LBB7_1170
; %bb.1166:
	s_wait_xcnt 0x0
	v_cndmask_b32_e64 v1, 0, 1, s48
	s_cmp_gt_i32 s49, 0
	s_mov_b32 s48, -1
	s_cbranch_scc0 .LBB7_1168
; %bb.1167:
	s_mov_b32 s48, 0
	global_store_b8 v[2:3], v1, off
.LBB7_1168:
	s_and_not1_b32 vcc_lo, exec_lo, s48
	s_cbranch_vccnz .LBB7_1170
; %bb.1169:
	global_store_b8 v[2:3], v1, off
.LBB7_1170:
	s_mov_b32 s51, -1
.LBB7_1171:
	s_delay_alu instid0(SALU_CYCLE_1)
	s_and_not1_b32 vcc_lo, exec_lo, s51
	s_cbranch_vccnz .LBB7_1173
; %bb.1172:
	v_add_nc_u32_e32 v0, 0x80, v0
	s_mov_b32 s51, -1
	s_branch .LBB7_1175
.LBB7_1173:
	s_mov_b32 s51, 0
.LBB7_1174:
                                        ; implicit-def: $vgpr0
.LBB7_1175:
	s_and_not1_b32 s48, s44, exec_lo
	s_and_b32 s0, s0, exec_lo
	s_and_b32 s27, s27, exec_lo
	s_or_b32 s49, s48, s0
	s_and_not1_b32 s0, s45, exec_lo
	s_and_not1_b32 s48, s43, exec_lo
	s_and_b32 s26, s26, exec_lo
	s_or_b32 s50, s0, s27
	s_or_b32 s48, s48, s26
	s_or_not1_b32 s52, s51, exec_lo
.LBB7_1176:
	s_wait_xcnt 0x0
	s_or_b32 exec_lo, exec_lo, s47
	s_mov_b32 s27, 0
	s_mov_b32 s51, 0
	;; [unrolled: 1-line block ×3, first 2 shown]
                                        ; implicit-def: $sgpr0
                                        ; implicit-def: $vgpr8_vgpr9
                                        ; implicit-def: $vgpr6
                                        ; implicit-def: $vgpr2
                                        ; implicit-def: $vgpr4
	s_and_saveexec_b32 s47, s52
	s_cbranch_execz .LBB7_1267
; %bb.1177:
	v_cmp_gt_i32_e32 vcc_lo, s37, v0
	s_mov_b32 s52, s48
                                        ; implicit-def: $sgpr0
                                        ; implicit-def: $vgpr8_vgpr9
                                        ; implicit-def: $vgpr6
                                        ; implicit-def: $vgpr2
                                        ; implicit-def: $vgpr4
	s_and_saveexec_b32 s37, vcc_lo
	s_cbranch_execz .LBB7_1266
; %bb.1178:
	s_and_not1_b32 vcc_lo, exec_lo, s31
	s_cbranch_vccnz .LBB7_1184
; %bb.1179:
	s_and_not1_b32 vcc_lo, exec_lo, s38
	s_cbranch_vccnz .LBB7_1185
; %bb.1180:
	v_dual_mov_b32 v2, 0 :: v_dual_mov_b32 v1, v0
	s_wait_loadcnt 0x0
	v_dual_mov_b32 v4, 0 :: v_dual_mov_b32 v6, 0
	s_add_co_i32 s0, s36, 1
	s_mov_b64 s[26:27], 0xffffffffffffffe8
	s_and_b32 s0, s0, 30
	s_add_nc_u64 s[26:27], s[2:3], s[26:27]
.LBB7_1181:                             ; =>This Inner Loop Header: Depth=1
	s_clause 0x1
	s_load_b128 s[52:55], s[26:27], 0x1c
	s_load_b64 s[60:61], s[26:27], 0x2c
	s_add_co_i32 s0, s0, -2
	s_delay_alu instid0(SALU_CYCLE_1) | instskip(SKIP_2) | instid1(VALU_DEP_1)
	s_cmp_eq_u32 s0, 0
	s_wait_kmcnt 0x0
	v_mul_hi_u32 v3, s53, v1
	v_add_nc_u32_e32 v3, v1, v3
	s_delay_alu instid0(VALU_DEP_1) | instskip(NEXT) | instid1(VALU_DEP_1)
	v_lshrrev_b32_e32 v3, s54, v3
	v_mul_hi_u32 v5, s60, v3
	v_mul_lo_u32 v7, v3, s52
	s_clause 0x1
	s_load_b128 s[56:59], s[26:27], 0xdc
	s_load_b64 s[52:53], s[26:27], 0xec
	s_wait_xcnt 0x0
	s_add_nc_u64 s[26:27], s[26:27], 24
	s_delay_alu instid0(VALU_DEP_1) | instskip(NEXT) | instid1(VALU_DEP_1)
	v_dual_add_nc_u32 v5, v3, v5 :: v_dual_sub_nc_u32 v7, v1, v7
	v_lshrrev_b32_e32 v1, s61, v5
	s_wait_kmcnt 0x0
	s_delay_alu instid0(VALU_DEP_2) | instskip(NEXT) | instid1(VALU_DEP_2)
	v_mad_u32 v2, v7, s56, v2
	v_mul_lo_u32 v5, v1, s55
	v_mad_u32 v6, v7, s58, v6
	v_mad_u32 v4, v7, s57, v4
	s_delay_alu instid0(VALU_DEP_3) | instskip(NEXT) | instid1(VALU_DEP_1)
	v_sub_nc_u32_e32 v3, v3, v5
	v_mad_u32 v2, v3, s59, v2
	s_delay_alu instid0(VALU_DEP_4) | instskip(NEXT) | instid1(VALU_DEP_4)
	v_mad_u32 v6, v3, s53, v6
	v_mad_u32 v4, v3, s52, v4
	s_cbranch_scc0 .LBB7_1181
; %bb.1182:
	s_bitcmp1_b32 s36, 0
	s_cselect_b32 s0, -1, 0
	s_delay_alu instid0(SALU_CYCLE_1)
	s_and_b32 vcc_lo, exec_lo, s0
	s_cbranch_vccnz .LBB7_1186
; %bb.1183:
	s_clause 0x1
	s_load_b96 s[52:54], s[26:27], 0x1c
	s_load_b96 s[56:58], s[26:27], 0xdc
	s_wait_kmcnt 0x0
	v_mul_hi_u32 v3, s53, v1
	s_delay_alu instid0(VALU_DEP_1) | instskip(NEXT) | instid1(VALU_DEP_1)
	v_add_nc_u32_e32 v3, v1, v3
	v_lshrrev_b32_e32 v3, s54, v3
	s_delay_alu instid0(VALU_DEP_1) | instskip(NEXT) | instid1(VALU_DEP_1)
	v_mul_lo_u32 v3, v3, s52
	v_sub_nc_u32_e32 v1, v1, v3
	s_delay_alu instid0(VALU_DEP_1)
	v_mad_u32 v2, v1, s56, v2
	v_mad_u32 v4, v1, s57, v4
	;; [unrolled: 1-line block ×3, first 2 shown]
	s_branch .LBB7_1186
.LBB7_1184:
	s_mov_b32 s0, -1
                                        ; implicit-def: $vgpr6
                                        ; implicit-def: $vgpr4
                                        ; implicit-def: $vgpr2
	s_branch .LBB7_1187
.LBB7_1185:
	s_wait_loadcnt 0x0
	v_dual_mov_b32 v6, 0 :: v_dual_mov_b32 v4, 0
	v_mov_b32_e32 v2, 0
.LBB7_1186:
	s_mov_b32 s0, 0
.LBB7_1187:
	s_delay_alu instid0(SALU_CYCLE_1)
	s_and_not1_b32 vcc_lo, exec_lo, s0
	s_cbranch_vccnz .LBB7_1190
; %bb.1188:
	v_mov_b32_e32 v1, 0
	s_and_not1_b32 vcc_lo, exec_lo, s35
	s_delay_alu instid0(VALU_DEP_1) | instskip(NEXT) | instid1(VALU_DEP_1)
	v_mul_u64_e32 v[2:3], s[20:21], v[0:1]
	v_add_nc_u32_e32 v2, v0, v3
	s_wait_loadcnt 0x0
	s_delay_alu instid0(VALU_DEP_1) | instskip(NEXT) | instid1(VALU_DEP_1)
	v_lshrrev_b32_e32 v8, s14, v2
	v_mul_lo_u32 v2, v8, s12
	s_delay_alu instid0(VALU_DEP_1) | instskip(NEXT) | instid1(VALU_DEP_1)
	v_sub_nc_u32_e32 v0, v0, v2
	v_mul_lo_u32 v2, v0, s16
	v_mul_lo_u32 v6, v0, s18
	;; [unrolled: 1-line block ×3, first 2 shown]
	s_cbranch_vccnz .LBB7_1190
; %bb.1189:
	v_mov_b32_e32 v9, v1
	s_delay_alu instid0(VALU_DEP_1) | instskip(NEXT) | instid1(VALU_DEP_1)
	v_mul_u64_e32 v[0:1], s[24:25], v[8:9]
	v_add_nc_u32_e32 v0, v8, v1
	s_delay_alu instid0(VALU_DEP_1) | instskip(NEXT) | instid1(VALU_DEP_1)
	v_lshrrev_b32_e32 v0, s1, v0
	v_mul_lo_u32 v0, v0, s15
	s_delay_alu instid0(VALU_DEP_1) | instskip(NEXT) | instid1(VALU_DEP_1)
	v_sub_nc_u32_e32 v0, v8, v0
	v_mad_u32 v2, v0, s19, v2
	v_mad_u32 v4, v0, s22, v4
	;; [unrolled: 1-line block ×3, first 2 shown]
.LBB7_1190:
	s_wait_loadcnt 0x0
	v_mov_b32_e32 v5, 0
	s_and_b32 s0, s34, 0xff
	s_delay_alu instid0(SALU_CYCLE_1) | instskip(NEXT) | instid1(VALU_DEP_1)
	s_cmp_lt_i32 s0, 11
	v_add_nc_u64_e32 v[8:9], s[6:7], v[4:5]
	s_cbranch_scc1 .LBB7_1197
; %bb.1191:
	s_and_b32 s1, 0xffff, s0
	s_mov_b32 s7, 0
	s_cmp_gt_i32 s1, 25
	s_cbranch_scc0 .LBB7_1198
; %bb.1192:
	s_cmp_gt_i32 s1, 28
	s_cbranch_scc0 .LBB7_1199
; %bb.1193:
	;; [unrolled: 3-line block ×4, first 2 shown]
	s_cmp_eq_u32 s1, 46
	s_mov_b32 s14, 0
	s_cbranch_scc0 .LBB7_1204
; %bb.1196:
	global_load_b32 v0, v[8:9], off
	s_mov_b32 s6, 0
	s_mov_b32 s12, -1
	s_wait_loadcnt 0x0
	v_lshlrev_b32_e32 v0, 16, v0
	s_delay_alu instid0(VALU_DEP_1) | instskip(NEXT) | instid1(VALU_DEP_1)
	v_trunc_f32_e32 v0, v0
	v_mul_f32_e64 v1, 0x2f800000, |v0|
	s_delay_alu instid0(VALU_DEP_1) | instskip(NEXT) | instid1(VALU_DEP_1)
	v_floor_f32_e32 v1, v1
	v_fma_f32 v1, 0xcf800000, v1, |v0|
	v_ashrrev_i32_e32 v0, 31, v0
	s_delay_alu instid0(VALU_DEP_2) | instskip(NEXT) | instid1(VALU_DEP_1)
	v_cvt_u32_f32_e32 v1, v1
	v_xor_b32_e32 v1, v1, v0
	s_delay_alu instid0(VALU_DEP_1)
	v_sub_nc_u32_e32 v4, v1, v0
	s_branch .LBB7_1206
.LBB7_1197:
	s_mov_b32 s1, -1
	s_mov_b32 s12, 0
	s_mov_b32 s7, 0
	;; [unrolled: 1-line block ×3, first 2 shown]
                                        ; implicit-def: $vgpr4
	s_branch .LBB7_1265
.LBB7_1198:
	s_mov_b32 s14, -1
	s_mov_b32 s12, 0
	s_mov_b32 s6, s48
                                        ; implicit-def: $vgpr4
	s_branch .LBB7_1233
.LBB7_1199:
	s_mov_b32 s14, -1
	s_mov_b32 s12, 0
	s_mov_b32 s6, s48
                                        ; implicit-def: $vgpr4
	s_branch .LBB7_1216
.LBB7_1200:
	s_mov_b32 s14, -1
	s_mov_b32 s12, 0
	s_mov_b32 s6, s48
                                        ; implicit-def: $vgpr4
	s_branch .LBB7_1211
.LBB7_1201:
	s_mov_b32 s14, -1
	s_mov_b32 s12, 0
	s_mov_b32 s6, s48
	s_branch .LBB7_1205
.LBB7_1202:
	s_and_not1_saveexec_b32 s53, s53
	s_cbranch_execz .LBB7_1084
.LBB7_1203:
	v_add_f32_e32 v1, 0x46000000, v4
	s_and_not1_b32 s52, s52, exec_lo
	s_delay_alu instid0(VALU_DEP_1) | instskip(NEXT) | instid1(VALU_DEP_1)
	v_and_b32_e32 v1, 0xff, v1
	v_cmp_ne_u32_e32 vcc_lo, 0, v1
	s_and_b32 s54, vcc_lo, exec_lo
	s_delay_alu instid0(SALU_CYCLE_1)
	s_or_b32 s52, s52, s54
	s_or_b32 exec_lo, exec_lo, s53
	v_mov_b32_e32 v5, 0
	s_and_saveexec_b32 s53, s52
	s_cbranch_execnz .LBB7_1085
	s_branch .LBB7_1086
.LBB7_1204:
	s_mov_b32 s6, -1
	s_mov_b32 s12, 0
.LBB7_1205:
                                        ; implicit-def: $vgpr4
.LBB7_1206:
	s_and_b32 vcc_lo, exec_lo, s14
	s_cbranch_vccz .LBB7_1210
; %bb.1207:
	s_cmp_eq_u32 s1, 44
	s_cbranch_scc0 .LBB7_1209
; %bb.1208:
	global_load_u8 v0, v[8:9], off
	s_mov_b32 s6, 0
	s_mov_b32 s12, -1
	s_wait_loadcnt 0x0
	v_lshlrev_b32_e32 v1, 23, v0
	v_cmp_ne_u32_e32 vcc_lo, 0, v0
	s_delay_alu instid0(VALU_DEP_2) | instskip(NEXT) | instid1(VALU_DEP_1)
	v_trunc_f32_e32 v1, v1
	v_mul_f32_e64 v3, 0x2f800000, |v1|
	s_delay_alu instid0(VALU_DEP_1) | instskip(NEXT) | instid1(VALU_DEP_1)
	v_floor_f32_e32 v3, v3
	v_fma_f32 v3, 0xcf800000, v3, |v1|
	v_ashrrev_i32_e32 v1, 31, v1
	s_delay_alu instid0(VALU_DEP_2) | instskip(NEXT) | instid1(VALU_DEP_1)
	v_cvt_u32_f32_e32 v3, v3
	v_xor_b32_e32 v3, v3, v1
	s_delay_alu instid0(VALU_DEP_1) | instskip(NEXT) | instid1(VALU_DEP_1)
	v_sub_nc_u32_e32 v1, v3, v1
	v_cndmask_b32_e32 v4, 0, v1, vcc_lo
	s_branch .LBB7_1210
.LBB7_1209:
	s_mov_b32 s6, -1
                                        ; implicit-def: $vgpr4
.LBB7_1210:
	s_mov_b32 s14, 0
.LBB7_1211:
	s_delay_alu instid0(SALU_CYCLE_1)
	s_and_b32 vcc_lo, exec_lo, s14
	s_cbranch_vccz .LBB7_1215
; %bb.1212:
	s_cmp_eq_u32 s1, 29
	s_cbranch_scc0 .LBB7_1214
; %bb.1213:
	global_load_b64 v[4:5], v[8:9], off
	s_mov_b32 s6, 0
	s_mov_b32 s12, -1
	s_branch .LBB7_1215
.LBB7_1214:
	s_mov_b32 s6, -1
                                        ; implicit-def: $vgpr4
.LBB7_1215:
	s_mov_b32 s14, 0
.LBB7_1216:
	s_delay_alu instid0(SALU_CYCLE_1)
	s_and_b32 vcc_lo, exec_lo, s14
	s_cbranch_vccz .LBB7_1232
; %bb.1217:
	s_cmp_lt_i32 s1, 27
	s_cbranch_scc1 .LBB7_1220
; %bb.1218:
	s_cmp_gt_i32 s1, 27
	s_cbranch_scc0 .LBB7_1221
; %bb.1219:
	s_wait_loadcnt 0x0
	global_load_b32 v4, v[8:9], off
	s_mov_b32 s12, 0
	s_branch .LBB7_1222
.LBB7_1220:
	s_mov_b32 s12, -1
                                        ; implicit-def: $vgpr4
	s_branch .LBB7_1225
.LBB7_1221:
	s_mov_b32 s12, -1
                                        ; implicit-def: $vgpr4
.LBB7_1222:
	s_delay_alu instid0(SALU_CYCLE_1)
	s_and_not1_b32 vcc_lo, exec_lo, s12
	s_cbranch_vccnz .LBB7_1224
; %bb.1223:
	s_wait_loadcnt 0x0
	global_load_u16 v4, v[8:9], off
.LBB7_1224:
	s_mov_b32 s12, 0
.LBB7_1225:
	s_delay_alu instid0(SALU_CYCLE_1)
	s_and_not1_b32 vcc_lo, exec_lo, s12
	s_cbranch_vccnz .LBB7_1231
; %bb.1226:
	global_load_u8 v0, v[8:9], off
	s_mov_b32 s14, 0
	s_mov_b32 s12, exec_lo
	s_wait_loadcnt 0x0
	v_cmpx_lt_i16_e32 0x7f, v0
	s_xor_b32 s12, exec_lo, s12
	s_cbranch_execz .LBB7_1243
; %bb.1227:
	v_cmp_ne_u16_e32 vcc_lo, 0x80, v0
	s_and_b32 s14, vcc_lo, exec_lo
	s_and_not1_saveexec_b32 s12, s12
	s_cbranch_execnz .LBB7_1244
.LBB7_1228:
	s_or_b32 exec_lo, exec_lo, s12
	v_mov_b32_e32 v4, 0
	s_and_saveexec_b32 s12, s14
	s_cbranch_execz .LBB7_1230
.LBB7_1229:
	v_and_b32_e32 v1, 0xffff, v0
	s_delay_alu instid0(VALU_DEP_1) | instskip(SKIP_1) | instid1(VALU_DEP_2)
	v_and_b32_e32 v3, 7, v1
	v_bfe_u32 v7, v1, 3, 4
	v_clz_i32_u32_e32 v4, v3
	s_delay_alu instid0(VALU_DEP_2) | instskip(NEXT) | instid1(VALU_DEP_2)
	v_cmp_eq_u32_e32 vcc_lo, 0, v7
	v_min_u32_e32 v4, 32, v4
	s_delay_alu instid0(VALU_DEP_1) | instskip(NEXT) | instid1(VALU_DEP_1)
	v_subrev_nc_u32_e32 v5, 28, v4
	v_dual_lshlrev_b32 v1, v5, v1 :: v_dual_sub_nc_u32 v4, 29, v4
	s_delay_alu instid0(VALU_DEP_1) | instskip(NEXT) | instid1(VALU_DEP_1)
	v_dual_lshlrev_b32 v0, 24, v0 :: v_dual_bitop2_b32 v1, 7, v1 bitop3:0x40
	v_cndmask_b32_e32 v1, v3, v1, vcc_lo
	s_delay_alu instid0(VALU_DEP_3) | instskip(NEXT) | instid1(VALU_DEP_3)
	v_cndmask_b32_e32 v4, v7, v4, vcc_lo
	v_and_b32_e32 v0, 0x80000000, v0
	s_delay_alu instid0(VALU_DEP_3) | instskip(NEXT) | instid1(VALU_DEP_3)
	v_lshlrev_b32_e32 v1, 20, v1
	v_lshl_add_u32 v3, v4, 23, 0x3b800000
	s_delay_alu instid0(VALU_DEP_1) | instskip(NEXT) | instid1(VALU_DEP_1)
	v_or3_b32 v0, v0, v3, v1
	v_trunc_f32_e32 v0, v0
	s_delay_alu instid0(VALU_DEP_1) | instskip(NEXT) | instid1(VALU_DEP_1)
	v_mul_f32_e64 v1, 0x2f800000, |v0|
	v_floor_f32_e32 v1, v1
	s_delay_alu instid0(VALU_DEP_1) | instskip(SKIP_1) | instid1(VALU_DEP_2)
	v_fma_f32 v1, 0xcf800000, v1, |v0|
	v_ashrrev_i32_e32 v0, 31, v0
	v_cvt_u32_f32_e32 v1, v1
	s_delay_alu instid0(VALU_DEP_1) | instskip(NEXT) | instid1(VALU_DEP_1)
	v_xor_b32_e32 v1, v1, v0
	v_sub_nc_u32_e32 v4, v1, v0
.LBB7_1230:
	s_or_b32 exec_lo, exec_lo, s12
.LBB7_1231:
	s_mov_b32 s12, -1
.LBB7_1232:
	s_mov_b32 s14, 0
.LBB7_1233:
	s_delay_alu instid0(SALU_CYCLE_1)
	s_and_b32 vcc_lo, exec_lo, s14
	s_cbranch_vccz .LBB7_1264
; %bb.1234:
	s_cmp_gt_i32 s1, 22
	s_cbranch_scc0 .LBB7_1242
; %bb.1235:
	s_cmp_lt_i32 s1, 24
	s_cbranch_scc1 .LBB7_1245
; %bb.1236:
	s_cmp_gt_i32 s1, 24
	s_cbranch_scc0 .LBB7_1246
; %bb.1237:
	global_load_u8 v0, v[8:9], off
	s_mov_b32 s12, 0
	s_mov_b32 s7, exec_lo
	s_wait_loadcnt 0x0
	v_cmpx_lt_i16_e32 0x7f, v0
	s_xor_b32 s7, exec_lo, s7
	s_cbranch_execz .LBB7_1258
; %bb.1238:
	v_cmp_ne_u16_e32 vcc_lo, 0x80, v0
	s_and_b32 s12, vcc_lo, exec_lo
	s_and_not1_saveexec_b32 s7, s7
	s_cbranch_execnz .LBB7_1259
.LBB7_1239:
	s_or_b32 exec_lo, exec_lo, s7
	v_mov_b32_e32 v4, 0
	s_and_saveexec_b32 s7, s12
	s_cbranch_execz .LBB7_1241
.LBB7_1240:
	v_and_b32_e32 v1, 0xffff, v0
	s_delay_alu instid0(VALU_DEP_1) | instskip(SKIP_1) | instid1(VALU_DEP_2)
	v_and_b32_e32 v3, 3, v1
	v_bfe_u32 v7, v1, 2, 5
	v_clz_i32_u32_e32 v4, v3
	s_delay_alu instid0(VALU_DEP_2) | instskip(NEXT) | instid1(VALU_DEP_2)
	v_cmp_eq_u32_e32 vcc_lo, 0, v7
	v_min_u32_e32 v4, 32, v4
	s_delay_alu instid0(VALU_DEP_1) | instskip(NEXT) | instid1(VALU_DEP_1)
	v_subrev_nc_u32_e32 v5, 29, v4
	v_dual_lshlrev_b32 v1, v5, v1 :: v_dual_sub_nc_u32 v4, 30, v4
	s_delay_alu instid0(VALU_DEP_1) | instskip(NEXT) | instid1(VALU_DEP_1)
	v_dual_lshlrev_b32 v0, 24, v0 :: v_dual_bitop2_b32 v1, 3, v1 bitop3:0x40
	v_cndmask_b32_e32 v1, v3, v1, vcc_lo
	s_delay_alu instid0(VALU_DEP_3) | instskip(NEXT) | instid1(VALU_DEP_3)
	v_cndmask_b32_e32 v4, v7, v4, vcc_lo
	v_and_b32_e32 v0, 0x80000000, v0
	s_delay_alu instid0(VALU_DEP_3) | instskip(NEXT) | instid1(VALU_DEP_3)
	v_lshlrev_b32_e32 v1, 21, v1
	v_lshl_add_u32 v3, v4, 23, 0x37800000
	s_delay_alu instid0(VALU_DEP_1) | instskip(NEXT) | instid1(VALU_DEP_1)
	v_or3_b32 v0, v0, v3, v1
	v_trunc_f32_e32 v0, v0
	s_delay_alu instid0(VALU_DEP_1) | instskip(NEXT) | instid1(VALU_DEP_1)
	v_mul_f32_e64 v1, 0x2f800000, |v0|
	v_floor_f32_e32 v1, v1
	s_delay_alu instid0(VALU_DEP_1) | instskip(SKIP_1) | instid1(VALU_DEP_2)
	v_fma_f32 v1, 0xcf800000, v1, |v0|
	v_ashrrev_i32_e32 v0, 31, v0
	v_cvt_u32_f32_e32 v1, v1
	s_delay_alu instid0(VALU_DEP_1) | instskip(NEXT) | instid1(VALU_DEP_1)
	v_xor_b32_e32 v1, v1, v0
	v_sub_nc_u32_e32 v4, v1, v0
.LBB7_1241:
	s_or_b32 exec_lo, exec_lo, s7
	s_mov_b32 s7, 0
	s_branch .LBB7_1247
.LBB7_1242:
	s_mov_b32 s7, -1
                                        ; implicit-def: $vgpr4
	s_branch .LBB7_1253
.LBB7_1243:
	s_and_not1_saveexec_b32 s12, s12
	s_cbranch_execz .LBB7_1228
.LBB7_1244:
	v_cmp_ne_u16_e32 vcc_lo, 0, v0
	s_and_not1_b32 s14, s14, exec_lo
	s_and_b32 s15, vcc_lo, exec_lo
	s_delay_alu instid0(SALU_CYCLE_1)
	s_or_b32 s14, s14, s15
	s_or_b32 exec_lo, exec_lo, s12
	v_mov_b32_e32 v4, 0
	s_and_saveexec_b32 s12, s14
	s_cbranch_execnz .LBB7_1229
	s_branch .LBB7_1230
.LBB7_1245:
	s_mov_b32 s7, -1
                                        ; implicit-def: $vgpr4
	s_branch .LBB7_1250
.LBB7_1246:
	s_mov_b32 s7, -1
                                        ; implicit-def: $vgpr4
.LBB7_1247:
	s_delay_alu instid0(SALU_CYCLE_1)
	s_and_b32 vcc_lo, exec_lo, s7
	s_cbranch_vccz .LBB7_1249
; %bb.1248:
	global_load_u8 v0, v[8:9], off
	s_wait_loadcnt 0x0
	v_lshlrev_b32_e32 v0, 24, v0
	s_delay_alu instid0(VALU_DEP_1) | instskip(NEXT) | instid1(VALU_DEP_1)
	v_and_b32_e32 v1, 0x7f000000, v0
	v_clz_i32_u32_e32 v3, v1
	v_add_nc_u32_e32 v5, 0x1000000, v1
	v_cmp_ne_u32_e32 vcc_lo, 0, v1
	s_delay_alu instid0(VALU_DEP_3) | instskip(NEXT) | instid1(VALU_DEP_1)
	v_min_u32_e32 v3, 32, v3
	v_sub_nc_u32_e64 v3, v3, 4 clamp
	s_delay_alu instid0(VALU_DEP_1) | instskip(NEXT) | instid1(VALU_DEP_1)
	v_dual_lshlrev_b32 v4, v3, v1 :: v_dual_lshlrev_b32 v3, 23, v3
	v_lshrrev_b32_e32 v4, 4, v4
	s_delay_alu instid0(VALU_DEP_1) | instskip(NEXT) | instid1(VALU_DEP_1)
	v_dual_sub_nc_u32 v3, v4, v3 :: v_dual_ashrrev_i32 v4, 8, v5
	v_add_nc_u32_e32 v3, 0x3c000000, v3
	s_delay_alu instid0(VALU_DEP_1) | instskip(NEXT) | instid1(VALU_DEP_1)
	v_and_or_b32 v3, 0x7f800000, v4, v3
	v_cndmask_b32_e32 v1, 0, v3, vcc_lo
	s_delay_alu instid0(VALU_DEP_1) | instskip(NEXT) | instid1(VALU_DEP_1)
	v_and_or_b32 v0, 0x80000000, v0, v1
	v_trunc_f32_e32 v0, v0
	s_delay_alu instid0(VALU_DEP_1) | instskip(NEXT) | instid1(VALU_DEP_1)
	v_mul_f32_e64 v1, 0x2f800000, |v0|
	v_floor_f32_e32 v1, v1
	s_delay_alu instid0(VALU_DEP_1) | instskip(SKIP_1) | instid1(VALU_DEP_2)
	v_fma_f32 v1, 0xcf800000, v1, |v0|
	v_ashrrev_i32_e32 v0, 31, v0
	v_cvt_u32_f32_e32 v1, v1
	s_delay_alu instid0(VALU_DEP_1) | instskip(NEXT) | instid1(VALU_DEP_1)
	v_xor_b32_e32 v1, v1, v0
	v_sub_nc_u32_e32 v4, v1, v0
.LBB7_1249:
	s_mov_b32 s7, 0
.LBB7_1250:
	s_delay_alu instid0(SALU_CYCLE_1)
	s_and_not1_b32 vcc_lo, exec_lo, s7
	s_cbranch_vccnz .LBB7_1252
; %bb.1251:
	global_load_u8 v0, v[8:9], off
	s_wait_loadcnt 0x0
	v_lshlrev_b32_e32 v1, 25, v0
	v_lshlrev_b16 v0, 8, v0
	s_delay_alu instid0(VALU_DEP_2) | instskip(NEXT) | instid1(VALU_DEP_2)
	v_cmp_gt_u32_e32 vcc_lo, 0x8000000, v1
	v_and_or_b32 v4, 0x7f00, v0, 0.5
	v_lshrrev_b32_e32 v3, 4, v1
	v_bfe_i32 v0, v0, 0, 16
	s_delay_alu instid0(VALU_DEP_3) | instskip(NEXT) | instid1(VALU_DEP_3)
	v_add_f32_e32 v4, -0.5, v4
	v_or_b32_e32 v3, 0x70000000, v3
	s_delay_alu instid0(VALU_DEP_1) | instskip(NEXT) | instid1(VALU_DEP_1)
	v_mul_f32_e32 v3, 0x7800000, v3
	v_cndmask_b32_e32 v1, v3, v4, vcc_lo
	s_delay_alu instid0(VALU_DEP_1) | instskip(NEXT) | instid1(VALU_DEP_1)
	v_and_or_b32 v0, 0x80000000, v0, v1
	v_trunc_f32_e32 v0, v0
	s_delay_alu instid0(VALU_DEP_1) | instskip(NEXT) | instid1(VALU_DEP_1)
	v_mul_f32_e64 v1, 0x2f800000, |v0|
	v_floor_f32_e32 v1, v1
	s_delay_alu instid0(VALU_DEP_1) | instskip(SKIP_1) | instid1(VALU_DEP_2)
	v_fma_f32 v1, 0xcf800000, v1, |v0|
	v_ashrrev_i32_e32 v0, 31, v0
	v_cvt_u32_f32_e32 v1, v1
	s_delay_alu instid0(VALU_DEP_1) | instskip(NEXT) | instid1(VALU_DEP_1)
	v_xor_b32_e32 v1, v1, v0
	v_sub_nc_u32_e32 v4, v1, v0
.LBB7_1252:
	s_mov_b32 s7, 0
	s_mov_b32 s12, -1
.LBB7_1253:
	s_and_not1_b32 vcc_lo, exec_lo, s7
	s_mov_b32 s7, 0
	s_cbranch_vccnz .LBB7_1264
; %bb.1254:
	s_cmp_gt_i32 s1, 14
	s_cbranch_scc0 .LBB7_1257
; %bb.1255:
	s_cmp_eq_u32 s1, 15
	s_cbranch_scc0 .LBB7_1260
; %bb.1256:
	global_load_u16 v0, v[8:9], off
	s_mov_b32 s6, 0
	s_mov_b32 s12, -1
	s_wait_loadcnt 0x0
	v_lshlrev_b32_e32 v0, 16, v0
	s_delay_alu instid0(VALU_DEP_1) | instskip(NEXT) | instid1(VALU_DEP_1)
	v_trunc_f32_e32 v0, v0
	v_mul_f32_e64 v1, 0x2f800000, |v0|
	s_delay_alu instid0(VALU_DEP_1) | instskip(NEXT) | instid1(VALU_DEP_1)
	v_floor_f32_e32 v1, v1
	v_fma_f32 v1, 0xcf800000, v1, |v0|
	v_ashrrev_i32_e32 v0, 31, v0
	s_delay_alu instid0(VALU_DEP_2) | instskip(NEXT) | instid1(VALU_DEP_1)
	v_cvt_u32_f32_e32 v1, v1
	v_xor_b32_e32 v1, v1, v0
	s_delay_alu instid0(VALU_DEP_1)
	v_sub_nc_u32_e32 v4, v1, v0
	s_branch .LBB7_1262
.LBB7_1257:
	s_mov_b32 s7, -1
	s_branch .LBB7_1261
.LBB7_1258:
	s_and_not1_saveexec_b32 s7, s7
	s_cbranch_execz .LBB7_1239
.LBB7_1259:
	v_cmp_ne_u16_e32 vcc_lo, 0, v0
	s_and_not1_b32 s12, s12, exec_lo
	s_and_b32 s14, vcc_lo, exec_lo
	s_delay_alu instid0(SALU_CYCLE_1)
	s_or_b32 s12, s12, s14
	s_or_b32 exec_lo, exec_lo, s7
	v_mov_b32_e32 v4, 0
	s_and_saveexec_b32 s7, s12
	s_cbranch_execnz .LBB7_1240
	s_branch .LBB7_1241
.LBB7_1260:
	s_mov_b32 s6, -1
.LBB7_1261:
                                        ; implicit-def: $vgpr4
.LBB7_1262:
	s_and_b32 vcc_lo, exec_lo, s7
	s_mov_b32 s7, 0
	s_cbranch_vccz .LBB7_1264
; %bb.1263:
	s_cmp_lg_u32 s1, 11
	s_mov_b32 s7, -1
	s_cselect_b32 s1, -1, 0
	s_and_not1_b32 s6, s6, exec_lo
	s_and_b32 s1, s1, exec_lo
	s_delay_alu instid0(SALU_CYCLE_1)
	s_or_b32 s6, s6, s1
.LBB7_1264:
	s_mov_b32 s1, 0
.LBB7_1265:
	s_delay_alu instid0(SALU_CYCLE_1)
	s_and_b32 s51, s1, exec_lo
	s_and_not1_b32 s1, s48, exec_lo
	s_and_b32 s6, s6, exec_lo
	s_and_b32 s26, s12, exec_lo
	;; [unrolled: 1-line block ×3, first 2 shown]
	s_or_b32 s52, s1, s6
.LBB7_1266:
	s_wait_xcnt 0x0
	s_or_b32 exec_lo, exec_lo, s37
	s_delay_alu instid0(SALU_CYCLE_1)
	s_and_not1_b32 s1, s48, exec_lo
	s_and_b32 s6, s52, exec_lo
	s_and_b32 s26, s26, exec_lo
	;; [unrolled: 1-line block ×4, first 2 shown]
	s_or_b32 s48, s1, s6
.LBB7_1267:
	s_or_b32 exec_lo, exec_lo, s47
	s_delay_alu instid0(SALU_CYCLE_1)
	s_and_not1_b32 s1, s44, exec_lo
	s_and_b32 s6, s49, exec_lo
	s_and_not1_b32 s7, s45, exec_lo
	s_and_b32 s12, s50, exec_lo
	s_or_b32 s44, s1, s6
	s_and_not1_b32 s1, s43, exec_lo
	s_and_b32 s6, s48, exec_lo
	s_or_b32 s45, s7, s12
	s_and_b32 s26, s26, exec_lo
	s_and_b32 s47, s51, exec_lo
	;; [unrolled: 1-line block ×3, first 2 shown]
	s_or_b32 s43, s1, s6
.LBB7_1268:
	s_or_b32 exec_lo, exec_lo, s46
	s_delay_alu instid0(SALU_CYCLE_1)
	s_and_not1_b32 s1, s39, exec_lo
	s_and_b32 s6, s44, exec_lo
	s_and_not1_b32 s7, s40, exec_lo
	s_and_b32 s12, s45, exec_lo
	s_or_b32 s39, s1, s6
	s_and_not1_b32 s1, s41, exec_lo
	s_and_b32 s6, s43, exec_lo
	s_or_b32 s40, s7, s12
	s_and_b32 s26, s26, exec_lo
	s_and_b32 s44, s47, exec_lo
	;; [unrolled: 1-line block ×3, first 2 shown]
	s_or_b32 s41, s1, s6
	s_or_b32 exec_lo, exec_lo, s42
	s_mov_b32 s1, 0
	s_and_saveexec_b32 s6, s41
	s_cbranch_execz .LBB7_394
.LBB7_1269:
	s_mov_b32 s1, exec_lo
	s_and_not1_b32 s21, s21, exec_lo
	s_trap 2
	s_or_b32 exec_lo, exec_lo, s6
	s_and_saveexec_b32 s6, s21
	s_delay_alu instid0(SALU_CYCLE_1)
	s_xor_b32 s6, exec_lo, s6
	s_cbranch_execnz .LBB7_395
.LBB7_1270:
	s_or_b32 exec_lo, exec_lo, s6
	s_and_saveexec_b32 s6, s44
	s_cbranch_execz .LBB7_1316
.LBB7_1271:
	s_sext_i32_i16 s7, s0
	s_delay_alu instid0(SALU_CYCLE_1)
	s_cmp_lt_i32 s7, 5
	s_cbranch_scc1 .LBB7_1276
; %bb.1272:
	s_cmp_lt_i32 s7, 8
	s_cbranch_scc1 .LBB7_1277
; %bb.1273:
	;; [unrolled: 3-line block ×3, first 2 shown]
	s_cmp_gt_i32 s7, 9
	s_cbranch_scc0 .LBB7_1279
; %bb.1275:
	s_wait_loadcnt 0x0
	global_load_b64 v[0:1], v[8:9], off
	s_mov_b32 s7, 0
	s_wait_loadcnt 0x0
	v_trunc_f64_e32 v[0:1], v[0:1]
	s_delay_alu instid0(VALU_DEP_1) | instskip(NEXT) | instid1(VALU_DEP_1)
	v_ldexp_f64 v[4:5], v[0:1], 0xffffffe0
	v_floor_f64_e32 v[4:5], v[4:5]
	s_delay_alu instid0(VALU_DEP_1) | instskip(NEXT) | instid1(VALU_DEP_1)
	v_fmamk_f64 v[0:1], v[4:5], 0xc1f00000, v[0:1]
	v_cvt_u32_f64_e32 v4, v[0:1]
	s_branch .LBB7_1280
.LBB7_1276:
                                        ; implicit-def: $vgpr4
	s_branch .LBB7_1297
.LBB7_1277:
                                        ; implicit-def: $vgpr4
	s_branch .LBB7_1286
.LBB7_1278:
	s_mov_b32 s7, -1
                                        ; implicit-def: $vgpr4
	s_branch .LBB7_1283
.LBB7_1279:
	s_mov_b32 s7, -1
                                        ; implicit-def: $vgpr4
.LBB7_1280:
	s_delay_alu instid0(SALU_CYCLE_1)
	s_and_not1_b32 vcc_lo, exec_lo, s7
	s_cbranch_vccnz .LBB7_1282
; %bb.1281:
	s_wait_loadcnt 0x0
	global_load_b32 v0, v[8:9], off
	s_wait_loadcnt 0x0
	v_trunc_f32_e32 v0, v0
	s_delay_alu instid0(VALU_DEP_1) | instskip(NEXT) | instid1(VALU_DEP_1)
	v_mul_f32_e64 v1, 0x2f800000, |v0|
	v_floor_f32_e32 v1, v1
	s_delay_alu instid0(VALU_DEP_1) | instskip(SKIP_1) | instid1(VALU_DEP_2)
	v_fma_f32 v1, 0xcf800000, v1, |v0|
	v_ashrrev_i32_e32 v0, 31, v0
	v_cvt_u32_f32_e32 v1, v1
	s_delay_alu instid0(VALU_DEP_1) | instskip(NEXT) | instid1(VALU_DEP_1)
	v_xor_b32_e32 v1, v1, v0
	v_sub_nc_u32_e32 v4, v1, v0
.LBB7_1282:
	s_mov_b32 s7, 0
.LBB7_1283:
	s_delay_alu instid0(SALU_CYCLE_1)
	s_and_not1_b32 vcc_lo, exec_lo, s7
	s_cbranch_vccnz .LBB7_1285
; %bb.1284:
	s_wait_loadcnt 0x0
	global_load_b32 v0, v[8:9], off
	s_wait_loadcnt 0x0
	v_cvt_f32_f16_e32 v0, v0
	s_delay_alu instid0(VALU_DEP_1)
	v_cvt_i32_f32_e32 v4, v0
.LBB7_1285:
	s_cbranch_execnz .LBB7_1296
.LBB7_1286:
	s_sext_i32_i16 s7, s0
	s_delay_alu instid0(SALU_CYCLE_1)
	s_cmp_lt_i32 s7, 6
	s_cbranch_scc1 .LBB7_1289
; %bb.1287:
	s_cmp_gt_i32 s7, 6
	s_cbranch_scc0 .LBB7_1290
; %bb.1288:
	s_wait_loadcnt 0x0
	global_load_b64 v[0:1], v[8:9], off
	s_mov_b32 s7, 0
	s_wait_loadcnt 0x0
	v_trunc_f64_e32 v[0:1], v[0:1]
	s_delay_alu instid0(VALU_DEP_1) | instskip(NEXT) | instid1(VALU_DEP_1)
	v_ldexp_f64 v[4:5], v[0:1], 0xffffffe0
	v_floor_f64_e32 v[4:5], v[4:5]
	s_delay_alu instid0(VALU_DEP_1) | instskip(NEXT) | instid1(VALU_DEP_1)
	v_fmamk_f64 v[0:1], v[4:5], 0xc1f00000, v[0:1]
	v_cvt_u32_f64_e32 v4, v[0:1]
	s_branch .LBB7_1291
.LBB7_1289:
	s_mov_b32 s7, -1
                                        ; implicit-def: $vgpr4
	s_branch .LBB7_1294
.LBB7_1290:
	s_mov_b32 s7, -1
                                        ; implicit-def: $vgpr4
.LBB7_1291:
	s_delay_alu instid0(SALU_CYCLE_1)
	s_and_not1_b32 vcc_lo, exec_lo, s7
	s_cbranch_vccnz .LBB7_1293
; %bb.1292:
	s_wait_loadcnt 0x0
	global_load_b32 v0, v[8:9], off
	s_wait_loadcnt 0x0
	v_trunc_f32_e32 v0, v0
	s_delay_alu instid0(VALU_DEP_1) | instskip(NEXT) | instid1(VALU_DEP_1)
	v_mul_f32_e64 v1, 0x2f800000, |v0|
	v_floor_f32_e32 v1, v1
	s_delay_alu instid0(VALU_DEP_1) | instskip(SKIP_1) | instid1(VALU_DEP_2)
	v_fma_f32 v1, 0xcf800000, v1, |v0|
	v_ashrrev_i32_e32 v0, 31, v0
	v_cvt_u32_f32_e32 v1, v1
	s_delay_alu instid0(VALU_DEP_1) | instskip(NEXT) | instid1(VALU_DEP_1)
	v_xor_b32_e32 v1, v1, v0
	v_sub_nc_u32_e32 v4, v1, v0
.LBB7_1293:
	s_mov_b32 s7, 0
.LBB7_1294:
	s_delay_alu instid0(SALU_CYCLE_1)
	s_and_not1_b32 vcc_lo, exec_lo, s7
	s_cbranch_vccnz .LBB7_1296
; %bb.1295:
	s_wait_loadcnt 0x0
	global_load_u16 v0, v[8:9], off
	s_wait_loadcnt 0x0
	v_cvt_f32_f16_e32 v0, v0
	s_delay_alu instid0(VALU_DEP_1)
	v_cvt_i32_f32_e32 v4, v0
.LBB7_1296:
	s_cbranch_execnz .LBB7_1315
.LBB7_1297:
	s_sext_i32_i16 s7, s0
	s_delay_alu instid0(SALU_CYCLE_1)
	s_cmp_lt_i32 s7, 2
	s_cbranch_scc1 .LBB7_1301
; %bb.1298:
	s_cmp_lt_i32 s7, 3
	s_cbranch_scc1 .LBB7_1302
; %bb.1299:
	s_cmp_gt_i32 s7, 3
	s_cbranch_scc0 .LBB7_1303
; %bb.1300:
	s_wait_loadcnt 0x0
	global_load_b64 v[4:5], v[8:9], off
	s_mov_b32 s7, 0
	s_branch .LBB7_1304
.LBB7_1301:
                                        ; implicit-def: $vgpr4
	s_branch .LBB7_1310
.LBB7_1302:
	s_mov_b32 s7, -1
                                        ; implicit-def: $vgpr4
	s_branch .LBB7_1307
.LBB7_1303:
	s_mov_b32 s7, -1
                                        ; implicit-def: $vgpr4
.LBB7_1304:
	s_delay_alu instid0(SALU_CYCLE_1)
	s_and_not1_b32 vcc_lo, exec_lo, s7
	s_cbranch_vccnz .LBB7_1306
; %bb.1305:
	s_wait_loadcnt 0x0
	global_load_b32 v4, v[8:9], off
.LBB7_1306:
	s_mov_b32 s7, 0
.LBB7_1307:
	s_delay_alu instid0(SALU_CYCLE_1)
	s_and_not1_b32 vcc_lo, exec_lo, s7
	s_cbranch_vccnz .LBB7_1309
; %bb.1308:
	s_wait_loadcnt 0x0
	global_load_u16 v4, v[8:9], off
.LBB7_1309:
	s_cbranch_execnz .LBB7_1315
.LBB7_1310:
	s_sext_i32_i16 s0, s0
	s_delay_alu instid0(SALU_CYCLE_1)
	s_cmp_gt_i32 s0, 0
	s_mov_b32 s0, 0
	s_cbranch_scc0 .LBB7_1312
; %bb.1311:
	s_wait_loadcnt 0x0
	global_load_u8 v4, v[8:9], off
	s_branch .LBB7_1313
.LBB7_1312:
	s_mov_b32 s0, -1
                                        ; implicit-def: $vgpr4
.LBB7_1313:
	s_delay_alu instid0(SALU_CYCLE_1)
	s_and_not1_b32 vcc_lo, exec_lo, s0
	s_cbranch_vccnz .LBB7_1315
; %bb.1314:
	s_wait_loadcnt 0x0
	global_load_u8 v4, v[8:9], off
.LBB7_1315:
	s_or_b32 s26, s26, exec_lo
.LBB7_1316:
	s_wait_xcnt 0x0
	s_or_b32 exec_lo, exec_lo, s6
	s_mov_b32 s14, 0
	s_mov_b32 s7, 0
	;; [unrolled: 1-line block ×3, first 2 shown]
                                        ; implicit-def: $sgpr0
                                        ; implicit-def: $vgpr0_vgpr1
                                        ; implicit-def: $vgpr8
	s_and_saveexec_b32 s6, s26
	s_cbranch_execz .LBB7_1324
; %bb.1317:
	v_mov_b32_e32 v7, 0
	s_and_b32 s0, s13, 0xff
	s_delay_alu instid0(SALU_CYCLE_1) | instskip(NEXT) | instid1(VALU_DEP_1)
	s_cmp_lt_i32 s0, 11
	v_add_nc_u64_e32 v[0:1], s[8:9], v[6:7]
	s_cbranch_scc1 .LBB7_1327
; %bb.1318:
	s_and_b32 s7, 0xffff, s0
	s_mov_b32 s9, 0
	s_cmp_gt_i32 s7, 25
	s_cbranch_scc0 .LBB7_1328
; %bb.1319:
	s_cmp_gt_i32 s7, 28
	s_cbranch_scc0 .LBB7_1329
; %bb.1320:
	;; [unrolled: 3-line block ×4, first 2 shown]
	s_cmp_eq_u32 s7, 46
	s_mov_b32 s13, 0
	s_cbranch_scc0 .LBB7_1332
; %bb.1323:
	global_load_b32 v3, v[0:1], off
	s_mov_b32 s8, 0
	s_mov_b32 s12, -1
	s_wait_loadcnt 0x0
	v_lshlrev_b32_e32 v3, 16, v3
	s_delay_alu instid0(VALU_DEP_1) | instskip(NEXT) | instid1(VALU_DEP_1)
	v_trunc_f32_e32 v3, v3
	v_mul_f32_e64 v5, 0x2f800000, |v3|
	s_delay_alu instid0(VALU_DEP_1) | instskip(NEXT) | instid1(VALU_DEP_1)
	v_floor_f32_e32 v5, v5
	v_fma_f32 v5, 0xcf800000, v5, |v3|
	v_ashrrev_i32_e32 v3, 31, v3
	s_delay_alu instid0(VALU_DEP_2) | instskip(NEXT) | instid1(VALU_DEP_1)
	v_cvt_u32_f32_e32 v5, v5
	v_xor_b32_e32 v5, v5, v3
	s_delay_alu instid0(VALU_DEP_1)
	v_sub_nc_u32_e32 v8, v5, v3
	s_branch .LBB7_1334
.LBB7_1324:
	s_or_b32 exec_lo, exec_lo, s6
	s_and_saveexec_b32 s6, s40
	s_cbranch_execnz .LBB7_1393
.LBB7_1325:
	s_or_b32 exec_lo, exec_lo, s6
	s_and_saveexec_b32 s6, s14
	s_delay_alu instid0(SALU_CYCLE_1)
	s_xor_b32 s6, exec_lo, s6
	s_cbranch_execz .LBB7_1394
.LBB7_1326:
	global_load_u8 v3, v[0:1], off
	s_or_b32 s12, s12, exec_lo
	s_wait_loadcnt 0x0
	v_cmp_ne_u16_e32 vcc_lo, 0, v3
	v_cndmask_b32_e64 v8, 0, 1, vcc_lo
	s_wait_xcnt 0x0
	s_or_b32 exec_lo, exec_lo, s6
	s_and_saveexec_b32 s6, s7
	s_cbranch_execz .LBB7_1440
	s_branch .LBB7_1395
.LBB7_1327:
	s_mov_b32 s7, -1
	s_mov_b32 s9, 0
	s_mov_b32 s8, s40
                                        ; implicit-def: $vgpr8
	s_branch .LBB7_1392
.LBB7_1328:
	s_mov_b32 s8, s40
                                        ; implicit-def: $vgpr8
	s_cbranch_execnz .LBB7_1361
	s_branch .LBB7_1391
.LBB7_1329:
	s_mov_b32 s13, -1
	s_mov_b32 s8, s40
                                        ; implicit-def: $vgpr8
	s_branch .LBB7_1344
.LBB7_1330:
	s_mov_b32 s13, -1
	s_mov_b32 s8, s40
                                        ; implicit-def: $vgpr8
	s_branch .LBB7_1339
.LBB7_1331:
	s_mov_b32 s13, -1
	s_mov_b32 s8, s40
	s_branch .LBB7_1333
.LBB7_1332:
	s_mov_b32 s8, -1
.LBB7_1333:
                                        ; implicit-def: $vgpr8
.LBB7_1334:
	s_and_b32 vcc_lo, exec_lo, s13
	s_cbranch_vccz .LBB7_1338
; %bb.1335:
	s_cmp_eq_u32 s7, 44
	s_cbranch_scc0 .LBB7_1337
; %bb.1336:
	global_load_u8 v3, v[0:1], off
	s_mov_b32 s8, 0
	s_mov_b32 s12, -1
	s_wait_loadcnt 0x0
	v_lshlrev_b32_e32 v5, 23, v3
	v_cmp_ne_u32_e32 vcc_lo, 0, v3
	s_delay_alu instid0(VALU_DEP_2) | instskip(NEXT) | instid1(VALU_DEP_1)
	v_trunc_f32_e32 v5, v5
	v_mul_f32_e64 v6, 0x2f800000, |v5|
	s_delay_alu instid0(VALU_DEP_1) | instskip(NEXT) | instid1(VALU_DEP_1)
	v_floor_f32_e32 v6, v6
	v_fma_f32 v6, 0xcf800000, v6, |v5|
	v_ashrrev_i32_e32 v5, 31, v5
	s_delay_alu instid0(VALU_DEP_2) | instskip(NEXT) | instid1(VALU_DEP_1)
	v_cvt_u32_f32_e32 v6, v6
	v_xor_b32_e32 v6, v6, v5
	s_delay_alu instid0(VALU_DEP_1) | instskip(NEXT) | instid1(VALU_DEP_1)
	v_sub_nc_u32_e32 v5, v6, v5
	v_cndmask_b32_e32 v8, 0, v5, vcc_lo
	s_branch .LBB7_1338
.LBB7_1337:
	s_mov_b32 s8, -1
                                        ; implicit-def: $vgpr8
.LBB7_1338:
	s_mov_b32 s13, 0
.LBB7_1339:
	s_delay_alu instid0(SALU_CYCLE_1)
	s_and_b32 vcc_lo, exec_lo, s13
	s_cbranch_vccz .LBB7_1343
; %bb.1340:
	s_cmp_eq_u32 s7, 29
	s_cbranch_scc0 .LBB7_1342
; %bb.1341:
	s_wait_loadcnt 0x0
	global_load_b64 v[8:9], v[0:1], off
	s_mov_b32 s8, 0
	s_mov_b32 s12, -1
	s_branch .LBB7_1343
.LBB7_1342:
	s_mov_b32 s8, -1
                                        ; implicit-def: $vgpr8
.LBB7_1343:
	s_mov_b32 s13, 0
.LBB7_1344:
	s_delay_alu instid0(SALU_CYCLE_1)
	s_and_b32 vcc_lo, exec_lo, s13
	s_cbranch_vccz .LBB7_1360
; %bb.1345:
	s_cmp_lt_i32 s7, 27
	s_cbranch_scc1 .LBB7_1348
; %bb.1346:
	s_cmp_gt_i32 s7, 27
	s_cbranch_scc0 .LBB7_1349
; %bb.1347:
	s_wait_loadcnt 0x0
	global_load_b32 v8, v[0:1], off
	s_mov_b32 s12, 0
	s_branch .LBB7_1350
.LBB7_1348:
	s_mov_b32 s12, -1
                                        ; implicit-def: $vgpr8
	s_branch .LBB7_1353
.LBB7_1349:
	s_mov_b32 s12, -1
                                        ; implicit-def: $vgpr8
.LBB7_1350:
	s_delay_alu instid0(SALU_CYCLE_1)
	s_and_not1_b32 vcc_lo, exec_lo, s12
	s_cbranch_vccnz .LBB7_1352
; %bb.1351:
	s_wait_loadcnt 0x0
	global_load_u16 v8, v[0:1], off
.LBB7_1352:
	s_mov_b32 s12, 0
.LBB7_1353:
	s_delay_alu instid0(SALU_CYCLE_1)
	s_and_not1_b32 vcc_lo, exec_lo, s12
	s_cbranch_vccnz .LBB7_1359
; %bb.1354:
	global_load_u8 v3, v[0:1], off
	s_mov_b32 s13, 0
	s_mov_b32 s12, exec_lo
	s_wait_loadcnt 0x0
	v_cmpx_lt_i16_e32 0x7f, v3
	s_xor_b32 s12, exec_lo, s12
	s_cbranch_execz .LBB7_1370
; %bb.1355:
	v_cmp_ne_u16_e32 vcc_lo, 0x80, v3
	s_and_b32 s13, vcc_lo, exec_lo
	s_and_not1_saveexec_b32 s12, s12
	s_cbranch_execnz .LBB7_1371
.LBB7_1356:
	s_or_b32 exec_lo, exec_lo, s12
	v_mov_b32_e32 v8, 0
	s_and_saveexec_b32 s12, s13
	s_cbranch_execz .LBB7_1358
.LBB7_1357:
	v_and_b32_e32 v5, 0xffff, v3
	s_delay_alu instid0(VALU_DEP_1) | instskip(SKIP_1) | instid1(VALU_DEP_2)
	v_and_b32_e32 v6, 7, v5
	v_bfe_u32 v9, v5, 3, 4
	v_clz_i32_u32_e32 v7, v6
	s_delay_alu instid0(VALU_DEP_2) | instskip(NEXT) | instid1(VALU_DEP_2)
	v_cmp_eq_u32_e32 vcc_lo, 0, v9
	v_min_u32_e32 v7, 32, v7
	s_delay_alu instid0(VALU_DEP_1) | instskip(NEXT) | instid1(VALU_DEP_1)
	v_subrev_nc_u32_e32 v8, 28, v7
	v_dual_lshlrev_b32 v5, v8, v5 :: v_dual_sub_nc_u32 v7, 29, v7
	s_delay_alu instid0(VALU_DEP_1) | instskip(NEXT) | instid1(VALU_DEP_1)
	v_dual_lshlrev_b32 v3, 24, v3 :: v_dual_bitop2_b32 v5, 7, v5 bitop3:0x40
	v_dual_cndmask_b32 v5, v6, v5, vcc_lo :: v_dual_cndmask_b32 v7, v9, v7, vcc_lo
	s_delay_alu instid0(VALU_DEP_2) | instskip(NEXT) | instid1(VALU_DEP_2)
	v_and_b32_e32 v3, 0x80000000, v3
	v_lshlrev_b32_e32 v5, 20, v5
	s_delay_alu instid0(VALU_DEP_3) | instskip(NEXT) | instid1(VALU_DEP_1)
	v_lshl_add_u32 v6, v7, 23, 0x3b800000
	v_or3_b32 v3, v3, v6, v5
	s_delay_alu instid0(VALU_DEP_1) | instskip(NEXT) | instid1(VALU_DEP_1)
	v_trunc_f32_e32 v3, v3
	v_mul_f32_e64 v5, 0x2f800000, |v3|
	s_delay_alu instid0(VALU_DEP_1) | instskip(NEXT) | instid1(VALU_DEP_1)
	v_floor_f32_e32 v5, v5
	v_fma_f32 v5, 0xcf800000, v5, |v3|
	v_ashrrev_i32_e32 v3, 31, v3
	s_delay_alu instid0(VALU_DEP_2) | instskip(NEXT) | instid1(VALU_DEP_1)
	v_cvt_u32_f32_e32 v5, v5
	v_xor_b32_e32 v5, v5, v3
	s_delay_alu instid0(VALU_DEP_1)
	v_sub_nc_u32_e32 v8, v5, v3
.LBB7_1358:
	s_or_b32 exec_lo, exec_lo, s12
.LBB7_1359:
	s_mov_b32 s12, -1
.LBB7_1360:
	s_branch .LBB7_1391
.LBB7_1361:
	s_cmp_gt_i32 s7, 22
	s_cbranch_scc0 .LBB7_1369
; %bb.1362:
	s_cmp_lt_i32 s7, 24
	s_cbranch_scc1 .LBB7_1372
; %bb.1363:
	s_cmp_gt_i32 s7, 24
	s_cbranch_scc0 .LBB7_1373
; %bb.1364:
	global_load_u8 v3, v[0:1], off
	s_mov_b32 s12, 0
	s_mov_b32 s9, exec_lo
	s_wait_loadcnt 0x0
	v_cmpx_lt_i16_e32 0x7f, v3
	s_xor_b32 s9, exec_lo, s9
	s_cbranch_execz .LBB7_1385
; %bb.1365:
	v_cmp_ne_u16_e32 vcc_lo, 0x80, v3
	s_and_b32 s12, vcc_lo, exec_lo
	s_and_not1_saveexec_b32 s9, s9
	s_cbranch_execnz .LBB7_1386
.LBB7_1366:
	s_or_b32 exec_lo, exec_lo, s9
	v_mov_b32_e32 v8, 0
	s_and_saveexec_b32 s9, s12
	s_cbranch_execz .LBB7_1368
.LBB7_1367:
	v_and_b32_e32 v5, 0xffff, v3
	s_delay_alu instid0(VALU_DEP_1) | instskip(SKIP_1) | instid1(VALU_DEP_2)
	v_and_b32_e32 v6, 3, v5
	v_bfe_u32 v9, v5, 2, 5
	v_clz_i32_u32_e32 v7, v6
	s_delay_alu instid0(VALU_DEP_2) | instskip(NEXT) | instid1(VALU_DEP_2)
	v_cmp_eq_u32_e32 vcc_lo, 0, v9
	v_min_u32_e32 v7, 32, v7
	s_delay_alu instid0(VALU_DEP_1) | instskip(NEXT) | instid1(VALU_DEP_1)
	v_subrev_nc_u32_e32 v8, 29, v7
	v_dual_lshlrev_b32 v5, v8, v5 :: v_dual_sub_nc_u32 v7, 30, v7
	s_delay_alu instid0(VALU_DEP_1) | instskip(NEXT) | instid1(VALU_DEP_1)
	v_dual_lshlrev_b32 v3, 24, v3 :: v_dual_bitop2_b32 v5, 3, v5 bitop3:0x40
	v_dual_cndmask_b32 v5, v6, v5, vcc_lo :: v_dual_cndmask_b32 v7, v9, v7, vcc_lo
	s_delay_alu instid0(VALU_DEP_2) | instskip(NEXT) | instid1(VALU_DEP_2)
	v_and_b32_e32 v3, 0x80000000, v3
	v_lshlrev_b32_e32 v5, 21, v5
	s_delay_alu instid0(VALU_DEP_3) | instskip(NEXT) | instid1(VALU_DEP_1)
	v_lshl_add_u32 v6, v7, 23, 0x37800000
	v_or3_b32 v3, v3, v6, v5
	s_delay_alu instid0(VALU_DEP_1) | instskip(NEXT) | instid1(VALU_DEP_1)
	v_trunc_f32_e32 v3, v3
	v_mul_f32_e64 v5, 0x2f800000, |v3|
	s_delay_alu instid0(VALU_DEP_1) | instskip(NEXT) | instid1(VALU_DEP_1)
	v_floor_f32_e32 v5, v5
	v_fma_f32 v5, 0xcf800000, v5, |v3|
	v_ashrrev_i32_e32 v3, 31, v3
	s_delay_alu instid0(VALU_DEP_2) | instskip(NEXT) | instid1(VALU_DEP_1)
	v_cvt_u32_f32_e32 v5, v5
	v_xor_b32_e32 v5, v5, v3
	s_delay_alu instid0(VALU_DEP_1)
	v_sub_nc_u32_e32 v8, v5, v3
.LBB7_1368:
	s_or_b32 exec_lo, exec_lo, s9
	s_mov_b32 s9, 0
	s_branch .LBB7_1374
.LBB7_1369:
	s_mov_b32 s9, -1
                                        ; implicit-def: $vgpr8
	s_branch .LBB7_1380
.LBB7_1370:
	s_and_not1_saveexec_b32 s12, s12
	s_cbranch_execz .LBB7_1356
.LBB7_1371:
	v_cmp_ne_u16_e32 vcc_lo, 0, v3
	s_and_not1_b32 s13, s13, exec_lo
	s_and_b32 s14, vcc_lo, exec_lo
	s_delay_alu instid0(SALU_CYCLE_1)
	s_or_b32 s13, s13, s14
	s_or_b32 exec_lo, exec_lo, s12
	v_mov_b32_e32 v8, 0
	s_and_saveexec_b32 s12, s13
	s_cbranch_execnz .LBB7_1357
	s_branch .LBB7_1358
.LBB7_1372:
	s_mov_b32 s9, -1
                                        ; implicit-def: $vgpr8
	s_branch .LBB7_1377
.LBB7_1373:
	s_mov_b32 s9, -1
                                        ; implicit-def: $vgpr8
.LBB7_1374:
	s_delay_alu instid0(SALU_CYCLE_1)
	s_and_b32 vcc_lo, exec_lo, s9
	s_cbranch_vccz .LBB7_1376
; %bb.1375:
	global_load_u8 v3, v[0:1], off
	s_wait_loadcnt 0x0
	v_lshlrev_b32_e32 v3, 24, v3
	s_delay_alu instid0(VALU_DEP_1) | instskip(NEXT) | instid1(VALU_DEP_1)
	v_and_b32_e32 v5, 0x7f000000, v3
	v_clz_i32_u32_e32 v6, v5
	v_cmp_ne_u32_e32 vcc_lo, 0, v5
	v_add_nc_u32_e32 v8, 0x1000000, v5
	s_delay_alu instid0(VALU_DEP_3) | instskip(NEXT) | instid1(VALU_DEP_1)
	v_min_u32_e32 v6, 32, v6
	v_sub_nc_u32_e64 v6, v6, 4 clamp
	s_delay_alu instid0(VALU_DEP_1) | instskip(NEXT) | instid1(VALU_DEP_1)
	v_dual_lshlrev_b32 v7, v6, v5 :: v_dual_lshlrev_b32 v6, 23, v6
	v_lshrrev_b32_e32 v7, 4, v7
	s_delay_alu instid0(VALU_DEP_1) | instskip(NEXT) | instid1(VALU_DEP_1)
	v_dual_sub_nc_u32 v6, v7, v6 :: v_dual_ashrrev_i32 v7, 8, v8
	v_add_nc_u32_e32 v6, 0x3c000000, v6
	s_delay_alu instid0(VALU_DEP_1) | instskip(NEXT) | instid1(VALU_DEP_1)
	v_and_or_b32 v6, 0x7f800000, v7, v6
	v_cndmask_b32_e32 v5, 0, v6, vcc_lo
	s_delay_alu instid0(VALU_DEP_1) | instskip(NEXT) | instid1(VALU_DEP_1)
	v_and_or_b32 v3, 0x80000000, v3, v5
	v_trunc_f32_e32 v3, v3
	s_delay_alu instid0(VALU_DEP_1) | instskip(NEXT) | instid1(VALU_DEP_1)
	v_mul_f32_e64 v5, 0x2f800000, |v3|
	v_floor_f32_e32 v5, v5
	s_delay_alu instid0(VALU_DEP_1) | instskip(SKIP_1) | instid1(VALU_DEP_2)
	v_fma_f32 v5, 0xcf800000, v5, |v3|
	v_ashrrev_i32_e32 v3, 31, v3
	v_cvt_u32_f32_e32 v5, v5
	s_delay_alu instid0(VALU_DEP_1) | instskip(NEXT) | instid1(VALU_DEP_1)
	v_xor_b32_e32 v5, v5, v3
	v_sub_nc_u32_e32 v8, v5, v3
.LBB7_1376:
	s_mov_b32 s9, 0
.LBB7_1377:
	s_delay_alu instid0(SALU_CYCLE_1)
	s_and_not1_b32 vcc_lo, exec_lo, s9
	s_cbranch_vccnz .LBB7_1379
; %bb.1378:
	global_load_u8 v3, v[0:1], off
	s_wait_loadcnt 0x0
	v_lshlrev_b32_e32 v5, 25, v3
	v_lshlrev_b16 v3, 8, v3
	s_delay_alu instid0(VALU_DEP_1) | instskip(NEXT) | instid1(VALU_DEP_3)
	v_and_or_b32 v7, 0x7f00, v3, 0.5
	v_lshrrev_b32_e32 v6, 4, v5
	v_bfe_i32 v3, v3, 0, 16
	s_delay_alu instid0(VALU_DEP_3) | instskip(NEXT) | instid1(VALU_DEP_3)
	v_add_f32_e32 v7, -0.5, v7
	v_or_b32_e32 v6, 0x70000000, v6
	s_delay_alu instid0(VALU_DEP_1) | instskip(SKIP_1) | instid1(VALU_DEP_2)
	v_mul_f32_e32 v6, 0x7800000, v6
	v_cmp_gt_u32_e32 vcc_lo, 0x8000000, v5
	v_cndmask_b32_e32 v5, v6, v7, vcc_lo
	s_delay_alu instid0(VALU_DEP_1) | instskip(NEXT) | instid1(VALU_DEP_1)
	v_and_or_b32 v3, 0x80000000, v3, v5
	v_trunc_f32_e32 v3, v3
	s_delay_alu instid0(VALU_DEP_1) | instskip(NEXT) | instid1(VALU_DEP_1)
	v_mul_f32_e64 v5, 0x2f800000, |v3|
	v_floor_f32_e32 v5, v5
	s_delay_alu instid0(VALU_DEP_1) | instskip(SKIP_1) | instid1(VALU_DEP_2)
	v_fma_f32 v5, 0xcf800000, v5, |v3|
	v_ashrrev_i32_e32 v3, 31, v3
	v_cvt_u32_f32_e32 v5, v5
	s_delay_alu instid0(VALU_DEP_1) | instskip(NEXT) | instid1(VALU_DEP_1)
	v_xor_b32_e32 v5, v5, v3
	v_sub_nc_u32_e32 v8, v5, v3
.LBB7_1379:
	s_mov_b32 s9, 0
	s_mov_b32 s12, -1
.LBB7_1380:
	s_and_not1_b32 vcc_lo, exec_lo, s9
	s_mov_b32 s9, 0
	s_cbranch_vccnz .LBB7_1391
; %bb.1381:
	s_cmp_gt_i32 s7, 14
	s_cbranch_scc0 .LBB7_1384
; %bb.1382:
	s_cmp_eq_u32 s7, 15
	s_cbranch_scc0 .LBB7_1387
; %bb.1383:
	global_load_u16 v3, v[0:1], off
	s_mov_b32 s8, 0
	s_mov_b32 s12, -1
	s_wait_loadcnt 0x0
	v_lshlrev_b32_e32 v3, 16, v3
	s_delay_alu instid0(VALU_DEP_1) | instskip(NEXT) | instid1(VALU_DEP_1)
	v_trunc_f32_e32 v3, v3
	v_mul_f32_e64 v5, 0x2f800000, |v3|
	s_delay_alu instid0(VALU_DEP_1) | instskip(NEXT) | instid1(VALU_DEP_1)
	v_floor_f32_e32 v5, v5
	v_fma_f32 v5, 0xcf800000, v5, |v3|
	v_ashrrev_i32_e32 v3, 31, v3
	s_delay_alu instid0(VALU_DEP_2) | instskip(NEXT) | instid1(VALU_DEP_1)
	v_cvt_u32_f32_e32 v5, v5
	v_xor_b32_e32 v5, v5, v3
	s_delay_alu instid0(VALU_DEP_1)
	v_sub_nc_u32_e32 v8, v5, v3
	s_branch .LBB7_1389
.LBB7_1384:
	s_mov_b32 s9, -1
	s_branch .LBB7_1388
.LBB7_1385:
	s_and_not1_saveexec_b32 s9, s9
	s_cbranch_execz .LBB7_1366
.LBB7_1386:
	v_cmp_ne_u16_e32 vcc_lo, 0, v3
	s_and_not1_b32 s12, s12, exec_lo
	s_and_b32 s13, vcc_lo, exec_lo
	s_delay_alu instid0(SALU_CYCLE_1)
	s_or_b32 s12, s12, s13
	s_or_b32 exec_lo, exec_lo, s9
	v_mov_b32_e32 v8, 0
	s_and_saveexec_b32 s9, s12
	s_cbranch_execnz .LBB7_1367
	s_branch .LBB7_1368
.LBB7_1387:
	s_mov_b32 s8, -1
.LBB7_1388:
                                        ; implicit-def: $vgpr8
.LBB7_1389:
	s_and_b32 vcc_lo, exec_lo, s9
	s_mov_b32 s9, 0
	s_cbranch_vccz .LBB7_1391
; %bb.1390:
	s_cmp_lg_u32 s7, 11
	s_mov_b32 s9, -1
	s_cselect_b32 s7, -1, 0
	s_and_not1_b32 s8, s8, exec_lo
	s_and_b32 s7, s7, exec_lo
	s_delay_alu instid0(SALU_CYCLE_1)
	s_or_b32 s8, s8, s7
.LBB7_1391:
	s_mov_b32 s7, 0
.LBB7_1392:
	s_and_not1_b32 s13, s40, exec_lo
	s_and_b32 s8, s8, exec_lo
	s_and_b32 s12, s12, exec_lo
	;; [unrolled: 1-line block ×4, first 2 shown]
	s_or_b32 s40, s13, s8
	s_wait_xcnt 0x0
	s_or_b32 exec_lo, exec_lo, s6
	s_and_saveexec_b32 s6, s40
	s_cbranch_execz .LBB7_1325
.LBB7_1393:
	s_or_b32 s1, s1, exec_lo
	s_and_not1_b32 s14, s14, exec_lo
	s_trap 2
	s_or_b32 exec_lo, exec_lo, s6
	s_and_saveexec_b32 s6, s14
	s_delay_alu instid0(SALU_CYCLE_1)
	s_xor_b32 s6, exec_lo, s6
	s_cbranch_execnz .LBB7_1326
.LBB7_1394:
	s_or_b32 exec_lo, exec_lo, s6
	s_and_saveexec_b32 s6, s7
	s_cbranch_execz .LBB7_1440
.LBB7_1395:
	s_sext_i32_i16 s7, s0
	s_delay_alu instid0(SALU_CYCLE_1)
	s_cmp_lt_i32 s7, 5
	s_cbranch_scc1 .LBB7_1400
; %bb.1396:
	s_cmp_lt_i32 s7, 8
	s_cbranch_scc1 .LBB7_1401
; %bb.1397:
	;; [unrolled: 3-line block ×3, first 2 shown]
	s_cmp_gt_i32 s7, 9
	s_cbranch_scc0 .LBB7_1403
; %bb.1399:
	global_load_b64 v[6:7], v[0:1], off
	s_mov_b32 s7, 0
	s_wait_loadcnt 0x0
	v_trunc_f64_e32 v[6:7], v[6:7]
	s_delay_alu instid0(VALU_DEP_1) | instskip(NEXT) | instid1(VALU_DEP_1)
	v_ldexp_f64 v[8:9], v[6:7], 0xffffffe0
	v_floor_f64_e32 v[8:9], v[8:9]
	s_delay_alu instid0(VALU_DEP_1) | instskip(NEXT) | instid1(VALU_DEP_1)
	v_fmamk_f64 v[6:7], v[8:9], 0xc1f00000, v[6:7]
	v_cvt_u32_f64_e32 v8, v[6:7]
	s_branch .LBB7_1404
.LBB7_1400:
                                        ; implicit-def: $vgpr8
	s_branch .LBB7_1421
.LBB7_1401:
                                        ; implicit-def: $vgpr8
	s_branch .LBB7_1410
.LBB7_1402:
	s_mov_b32 s7, -1
                                        ; implicit-def: $vgpr8
	s_branch .LBB7_1407
.LBB7_1403:
	s_mov_b32 s7, -1
                                        ; implicit-def: $vgpr8
.LBB7_1404:
	s_delay_alu instid0(SALU_CYCLE_1)
	s_and_not1_b32 vcc_lo, exec_lo, s7
	s_cbranch_vccnz .LBB7_1406
; %bb.1405:
	global_load_b32 v3, v[0:1], off
	s_wait_loadcnt 0x0
	v_trunc_f32_e32 v3, v3
	s_delay_alu instid0(VALU_DEP_1) | instskip(NEXT) | instid1(VALU_DEP_1)
	v_mul_f32_e64 v5, 0x2f800000, |v3|
	v_floor_f32_e32 v5, v5
	s_delay_alu instid0(VALU_DEP_1) | instskip(SKIP_1) | instid1(VALU_DEP_2)
	v_fma_f32 v5, 0xcf800000, v5, |v3|
	v_ashrrev_i32_e32 v3, 31, v3
	v_cvt_u32_f32_e32 v5, v5
	s_delay_alu instid0(VALU_DEP_1) | instskip(NEXT) | instid1(VALU_DEP_1)
	v_xor_b32_e32 v5, v5, v3
	v_sub_nc_u32_e32 v8, v5, v3
.LBB7_1406:
	s_mov_b32 s7, 0
.LBB7_1407:
	s_delay_alu instid0(SALU_CYCLE_1)
	s_and_not1_b32 vcc_lo, exec_lo, s7
	s_cbranch_vccnz .LBB7_1409
; %bb.1408:
	global_load_b32 v3, v[0:1], off
	s_wait_loadcnt 0x0
	v_cvt_f32_f16_e32 v3, v3
	s_delay_alu instid0(VALU_DEP_1)
	v_cvt_i32_f32_e32 v8, v3
.LBB7_1409:
	s_cbranch_execnz .LBB7_1420
.LBB7_1410:
	s_sext_i32_i16 s7, s0
	s_delay_alu instid0(SALU_CYCLE_1)
	s_cmp_lt_i32 s7, 6
	s_cbranch_scc1 .LBB7_1413
; %bb.1411:
	s_cmp_gt_i32 s7, 6
	s_cbranch_scc0 .LBB7_1414
; %bb.1412:
	global_load_b64 v[6:7], v[0:1], off
	s_mov_b32 s7, 0
	s_wait_loadcnt 0x0
	v_trunc_f64_e32 v[6:7], v[6:7]
	s_delay_alu instid0(VALU_DEP_1) | instskip(NEXT) | instid1(VALU_DEP_1)
	v_ldexp_f64 v[8:9], v[6:7], 0xffffffe0
	v_floor_f64_e32 v[8:9], v[8:9]
	s_delay_alu instid0(VALU_DEP_1) | instskip(NEXT) | instid1(VALU_DEP_1)
	v_fmamk_f64 v[6:7], v[8:9], 0xc1f00000, v[6:7]
	v_cvt_u32_f64_e32 v8, v[6:7]
	s_branch .LBB7_1415
.LBB7_1413:
	s_mov_b32 s7, -1
                                        ; implicit-def: $vgpr8
	s_branch .LBB7_1418
.LBB7_1414:
	s_mov_b32 s7, -1
                                        ; implicit-def: $vgpr8
.LBB7_1415:
	s_delay_alu instid0(SALU_CYCLE_1)
	s_and_not1_b32 vcc_lo, exec_lo, s7
	s_cbranch_vccnz .LBB7_1417
; %bb.1416:
	global_load_b32 v3, v[0:1], off
	s_wait_loadcnt 0x0
	v_trunc_f32_e32 v3, v3
	s_delay_alu instid0(VALU_DEP_1) | instskip(NEXT) | instid1(VALU_DEP_1)
	v_mul_f32_e64 v5, 0x2f800000, |v3|
	v_floor_f32_e32 v5, v5
	s_delay_alu instid0(VALU_DEP_1) | instskip(SKIP_1) | instid1(VALU_DEP_2)
	v_fma_f32 v5, 0xcf800000, v5, |v3|
	v_ashrrev_i32_e32 v3, 31, v3
	v_cvt_u32_f32_e32 v5, v5
	s_delay_alu instid0(VALU_DEP_1) | instskip(NEXT) | instid1(VALU_DEP_1)
	v_xor_b32_e32 v5, v5, v3
	v_sub_nc_u32_e32 v8, v5, v3
.LBB7_1417:
	s_mov_b32 s7, 0
.LBB7_1418:
	s_delay_alu instid0(SALU_CYCLE_1)
	s_and_not1_b32 vcc_lo, exec_lo, s7
	s_cbranch_vccnz .LBB7_1420
; %bb.1419:
	global_load_u16 v3, v[0:1], off
	s_wait_loadcnt 0x0
	v_cvt_f32_f16_e32 v3, v3
	s_delay_alu instid0(VALU_DEP_1)
	v_cvt_i32_f32_e32 v8, v3
.LBB7_1420:
	s_cbranch_execnz .LBB7_1439
.LBB7_1421:
	s_sext_i32_i16 s7, s0
	s_delay_alu instid0(SALU_CYCLE_1)
	s_cmp_lt_i32 s7, 2
	s_cbranch_scc1 .LBB7_1425
; %bb.1422:
	s_cmp_lt_i32 s7, 3
	s_cbranch_scc1 .LBB7_1426
; %bb.1423:
	s_cmp_gt_i32 s7, 3
	s_cbranch_scc0 .LBB7_1427
; %bb.1424:
	s_wait_loadcnt 0x0
	global_load_b64 v[8:9], v[0:1], off
	s_mov_b32 s7, 0
	s_branch .LBB7_1428
.LBB7_1425:
                                        ; implicit-def: $vgpr8
	s_branch .LBB7_1434
.LBB7_1426:
	s_mov_b32 s7, -1
                                        ; implicit-def: $vgpr8
	s_branch .LBB7_1431
.LBB7_1427:
	s_mov_b32 s7, -1
                                        ; implicit-def: $vgpr8
.LBB7_1428:
	s_delay_alu instid0(SALU_CYCLE_1)
	s_and_not1_b32 vcc_lo, exec_lo, s7
	s_cbranch_vccnz .LBB7_1430
; %bb.1429:
	s_wait_loadcnt 0x0
	global_load_b32 v8, v[0:1], off
.LBB7_1430:
	s_mov_b32 s7, 0
.LBB7_1431:
	s_delay_alu instid0(SALU_CYCLE_1)
	s_and_not1_b32 vcc_lo, exec_lo, s7
	s_cbranch_vccnz .LBB7_1433
; %bb.1432:
	s_wait_loadcnt 0x0
	global_load_u16 v8, v[0:1], off
.LBB7_1433:
	s_cbranch_execnz .LBB7_1439
.LBB7_1434:
	s_sext_i32_i16 s0, s0
	s_delay_alu instid0(SALU_CYCLE_1)
	s_cmp_gt_i32 s0, 0
	s_mov_b32 s0, 0
	s_cbranch_scc0 .LBB7_1436
; %bb.1435:
	s_wait_loadcnt 0x0
	global_load_u8 v8, v[0:1], off
	s_branch .LBB7_1437
.LBB7_1436:
	s_mov_b32 s0, -1
                                        ; implicit-def: $vgpr8
.LBB7_1437:
	s_delay_alu instid0(SALU_CYCLE_1)
	s_and_not1_b32 vcc_lo, exec_lo, s0
	s_cbranch_vccnz .LBB7_1439
; %bb.1438:
	s_wait_loadcnt 0x0
	global_load_u8 v8, v[0:1], off
.LBB7_1439:
	s_or_b32 s12, s12, exec_lo
.LBB7_1440:
	s_wait_xcnt 0x0
	s_or_b32 exec_lo, exec_lo, s6
	s_mov_b32 s0, 0
	s_mov_b32 s9, 0
                                        ; implicit-def: $sgpr6
                                        ; implicit-def: $sgpr7
                                        ; implicit-def: $vgpr0_vgpr1
	s_and_saveexec_b32 s8, s12
	s_cbranch_execz .LBB7_1448
; %bb.1441:
	s_wait_loadcnt 0x0
	s_delay_alu instid0(VALU_DEP_1) | instskip(SKIP_3) | instid1(VALU_DEP_2)
	v_and_b32_e32 v0, 0xff, v8
	v_and_b32_e32 v1, 0xff, v4
	v_mov_b32_e32 v3, 0
	s_and_b32 s7, s11, 0xff
	v_cmp_ne_u16_e32 vcc_lo, v1, v0
	s_delay_alu instid0(VALU_DEP_2)
	v_add_nc_u64_e32 v[0:1], s[4:5], v[2:3]
	s_xor_b32 s6, s10, vcc_lo
	s_cmp_lt_i32 s7, 11
	s_cbranch_scc1 .LBB7_1451
; %bb.1442:
	s_and_b32 s4, 0xffff, s7
	s_mov_b32 s5, -1
	s_cmp_gt_i32 s4, 25
	s_mov_b32 s0, s39
	s_cbranch_scc0 .LBB7_1479
; %bb.1443:
	s_cmp_gt_i32 s4, 28
	s_mov_b32 s0, s39
	s_cbranch_scc0 .LBB7_1463
; %bb.1444:
	;; [unrolled: 4-line block ×4, first 2 shown]
	s_cmp_eq_u32 s4, 46
	s_mov_b32 s0, -1
	s_cbranch_scc0 .LBB7_1452
; %bb.1447:
	v_cndmask_b32_e64 v2, 0, 1.0, s6
	s_mov_b32 s0, 0
	s_mov_b32 s5, 0
	s_delay_alu instid0(VALU_DEP_1) | instskip(NEXT) | instid1(VALU_DEP_1)
	v_bfe_u32 v3, v2, 16, 1
	v_add3_u32 v2, v2, v3, 0x7fff
	s_delay_alu instid0(VALU_DEP_1)
	v_lshrrev_b32_e32 v2, 16, v2
	global_store_b32 v[0:1], v2, off
	s_branch .LBB7_1453
.LBB7_1448:
	s_or_b32 exec_lo, exec_lo, s8
	s_and_saveexec_b32 s4, s39
	s_cbranch_execnz .LBB7_1521
.LBB7_1449:
	s_or_b32 exec_lo, exec_lo, s4
	s_and_saveexec_b32 s4, s0
	s_delay_alu instid0(SALU_CYCLE_1)
	s_xor_b32 s0, exec_lo, s4
	s_cbranch_execz .LBB7_1522
.LBB7_1450:
	v_cndmask_b32_e64 v2, 0, 1, s6
	global_store_b8 v[0:1], v2, off
	s_wait_xcnt 0x0
	s_or_b32 exec_lo, exec_lo, s0
	s_and_saveexec_b32 s0, s9
	s_delay_alu instid0(SALU_CYCLE_1)
	s_xor_b32 s0, exec_lo, s0
	s_cbranch_execz .LBB7_1560
	s_branch .LBB7_1523
.LBB7_1451:
	s_mov_b32 s10, 0
	s_mov_b32 s5, -1
	s_mov_b32 s0, s39
	s_branch .LBB7_1520
.LBB7_1452:
	s_mov_b32 s5, 0
.LBB7_1453:
	s_delay_alu instid0(SALU_CYCLE_1)
	s_and_b32 vcc_lo, exec_lo, s5
	s_cbranch_vccz .LBB7_1458
; %bb.1454:
	s_cmp_eq_u32 s4, 44
	s_mov_b32 s0, -1
	s_cbranch_scc0 .LBB7_1458
; %bb.1455:
	v_cndmask_b32_e64 v4, 0, 1.0, s6
	s_mov_b32 s5, exec_lo
	s_wait_xcnt 0x0
	s_delay_alu instid0(VALU_DEP_1) | instskip(NEXT) | instid1(VALU_DEP_1)
	v_dual_mov_b32 v3, 0xff :: v_dual_lshrrev_b32 v2, 23, v4
	v_cmpx_ne_u32_e32 0xff, v2
; %bb.1456:
	v_and_b32_e32 v3, 0x400000, v4
	v_and_or_b32 v4, 0x3fffff, v4, v2
	s_delay_alu instid0(VALU_DEP_2) | instskip(NEXT) | instid1(VALU_DEP_2)
	v_cmp_ne_u32_e32 vcc_lo, 0, v3
	v_cmp_ne_u32_e64 s0, 0, v4
	s_and_b32 s0, vcc_lo, s0
	s_delay_alu instid0(SALU_CYCLE_1) | instskip(NEXT) | instid1(VALU_DEP_1)
	v_cndmask_b32_e64 v3, 0, 1, s0
	v_add_nc_u32_e32 v3, v2, v3
; %bb.1457:
	s_or_b32 exec_lo, exec_lo, s5
	s_mov_b32 s0, 0
	global_store_b8 v[0:1], v3, off
.LBB7_1458:
	s_mov_b32 s5, 0
.LBB7_1459:
	s_delay_alu instid0(SALU_CYCLE_1)
	s_and_b32 vcc_lo, exec_lo, s5
	s_cbranch_vccz .LBB7_1462
; %bb.1460:
	s_cmp_eq_u32 s4, 29
	s_mov_b32 s0, -1
	s_cbranch_scc0 .LBB7_1462
; %bb.1461:
	s_mov_b32 s0, 0
	s_wait_xcnt 0x0
	v_cndmask_b32_e64 v2, 0, 1, s6
	v_mov_b32_e32 v3, s0
	s_mov_b32 s5, 0
	global_store_b64 v[0:1], v[2:3], off
	s_branch .LBB7_1463
.LBB7_1462:
	s_mov_b32 s5, 0
.LBB7_1463:
	s_delay_alu instid0(SALU_CYCLE_1)
	s_and_b32 vcc_lo, exec_lo, s5
	s_cbranch_vccz .LBB7_1478
; %bb.1464:
	s_cmp_lt_i32 s4, 27
	s_mov_b32 s5, -1
	s_cbranch_scc1 .LBB7_1470
; %bb.1465:
	s_cmp_gt_i32 s4, 27
	s_cbranch_scc0 .LBB7_1467
; %bb.1466:
	s_wait_xcnt 0x0
	v_cndmask_b32_e64 v2, 0, 1, s6
	s_mov_b32 s5, 0
	global_store_b32 v[0:1], v2, off
.LBB7_1467:
	s_and_not1_b32 vcc_lo, exec_lo, s5
	s_cbranch_vccnz .LBB7_1469
; %bb.1468:
	s_wait_xcnt 0x0
	v_cndmask_b32_e64 v2, 0, 1, s6
	global_store_b16 v[0:1], v2, off
.LBB7_1469:
	s_mov_b32 s5, 0
.LBB7_1470:
	s_delay_alu instid0(SALU_CYCLE_1)
	s_and_not1_b32 vcc_lo, exec_lo, s5
	s_cbranch_vccnz .LBB7_1478
; %bb.1471:
	s_wait_xcnt 0x0
	v_cndmask_b32_e64 v3, 0, 1.0, s6
	v_mov_b32_e32 v4, 0x80
	s_mov_b32 s5, exec_lo
	s_delay_alu instid0(VALU_DEP_2)
	v_cmpx_gt_u32_e32 0x43800000, v3
	s_cbranch_execz .LBB7_1477
; %bb.1472:
	s_mov_b32 s10, exec_lo
                                        ; implicit-def: $vgpr2
	v_cmpx_lt_u32_e32 0x3bffffff, v3
	s_xor_b32 s10, exec_lo, s10
	s_cbranch_execz .LBB7_1619
; %bb.1473:
	v_bfe_u32 v2, v3, 20, 1
	s_mov_b32 s9, exec_lo
	s_delay_alu instid0(VALU_DEP_1) | instskip(NEXT) | instid1(VALU_DEP_1)
	v_add3_u32 v2, v3, v2, 0x487ffff
                                        ; implicit-def: $vgpr3
	v_lshrrev_b32_e32 v2, 20, v2
	s_and_not1_saveexec_b32 s10, s10
	s_cbranch_execnz .LBB7_1620
.LBB7_1474:
	s_or_b32 exec_lo, exec_lo, s10
	v_mov_b32_e32 v4, 0
	s_and_saveexec_b32 s10, s9
.LBB7_1475:
	v_mov_b32_e32 v4, v2
.LBB7_1476:
	s_or_b32 exec_lo, exec_lo, s10
.LBB7_1477:
	s_delay_alu instid0(SALU_CYCLE_1)
	s_or_b32 exec_lo, exec_lo, s5
	global_store_b8 v[0:1], v4, off
.LBB7_1478:
	s_mov_b32 s5, 0
.LBB7_1479:
	s_delay_alu instid0(SALU_CYCLE_1)
	s_and_b32 vcc_lo, exec_lo, s5
	s_mov_b32 s5, 0
	s_cbranch_vccz .LBB7_1519
; %bb.1480:
	s_cmp_gt_i32 s4, 22
	s_mov_b32 s9, -1
	s_cbranch_scc0 .LBB7_1512
; %bb.1481:
	s_cmp_lt_i32 s4, 24
	s_cbranch_scc1 .LBB7_1501
; %bb.1482:
	s_cmp_gt_i32 s4, 24
	s_cbranch_scc0 .LBB7_1490
; %bb.1483:
	s_wait_xcnt 0x0
	v_cndmask_b32_e64 v3, 0, 1.0, s6
	v_mov_b32_e32 v4, 0x80
	s_mov_b32 s9, exec_lo
	s_delay_alu instid0(VALU_DEP_2)
	v_cmpx_gt_u32_e32 0x47800000, v3
	s_cbranch_execz .LBB7_1489
; %bb.1484:
	s_mov_b32 s10, 0
	s_mov_b32 s11, exec_lo
                                        ; implicit-def: $vgpr2
	v_cmpx_lt_u32_e32 0x37ffffff, v3
	s_xor_b32 s11, exec_lo, s11
	s_cbranch_execz .LBB7_1740
; %bb.1485:
	v_bfe_u32 v2, v3, 21, 1
	s_mov_b32 s10, exec_lo
	s_delay_alu instid0(VALU_DEP_1) | instskip(NEXT) | instid1(VALU_DEP_1)
	v_add3_u32 v2, v3, v2, 0x88fffff
                                        ; implicit-def: $vgpr3
	v_lshrrev_b32_e32 v2, 21, v2
	s_and_not1_saveexec_b32 s11, s11
	s_cbranch_execnz .LBB7_1741
.LBB7_1486:
	s_or_b32 exec_lo, exec_lo, s11
	v_mov_b32_e32 v4, 0
	s_and_saveexec_b32 s11, s10
.LBB7_1487:
	v_mov_b32_e32 v4, v2
.LBB7_1488:
	s_or_b32 exec_lo, exec_lo, s11
.LBB7_1489:
	s_delay_alu instid0(SALU_CYCLE_1)
	s_or_b32 exec_lo, exec_lo, s9
	s_mov_b32 s9, 0
	global_store_b8 v[0:1], v4, off
.LBB7_1490:
	s_and_b32 vcc_lo, exec_lo, s9
	s_cbranch_vccz .LBB7_1500
; %bb.1491:
	s_wait_xcnt 0x0
	v_cndmask_b32_e64 v3, 0, 1.0, s6
	s_mov_b32 s9, exec_lo
                                        ; implicit-def: $vgpr2
	s_delay_alu instid0(VALU_DEP_1)
	v_cmpx_gt_u32_e32 0x43f00000, v3
	s_xor_b32 s9, exec_lo, s9
	s_cbranch_execz .LBB7_1497
; %bb.1492:
	s_mov_b32 s10, exec_lo
                                        ; implicit-def: $vgpr2
	v_cmpx_lt_u32_e32 0x3c7fffff, v3
	s_xor_b32 s10, exec_lo, s10
; %bb.1493:
	v_bfe_u32 v2, v3, 20, 1
	s_delay_alu instid0(VALU_DEP_1) | instskip(NEXT) | instid1(VALU_DEP_1)
	v_add3_u32 v2, v3, v2, 0x407ffff
	v_and_b32_e32 v3, 0xff00000, v2
	v_lshrrev_b32_e32 v2, 20, v2
	s_delay_alu instid0(VALU_DEP_2) | instskip(NEXT) | instid1(VALU_DEP_2)
	v_cmp_ne_u32_e32 vcc_lo, 0x7f00000, v3
                                        ; implicit-def: $vgpr3
	v_cndmask_b32_e32 v2, 0x7e, v2, vcc_lo
; %bb.1494:
	s_and_not1_saveexec_b32 s10, s10
; %bb.1495:
	v_add_f32_e32 v2, 0x46800000, v3
; %bb.1496:
	s_or_b32 exec_lo, exec_lo, s10
                                        ; implicit-def: $vgpr3
.LBB7_1497:
	s_and_not1_saveexec_b32 s9, s9
; %bb.1498:
	v_mov_b32_e32 v2, 0x7f
	v_cmp_lt_u32_e32 vcc_lo, 0x7f800000, v3
	s_delay_alu instid0(VALU_DEP_2)
	v_cndmask_b32_e32 v2, 0x7e, v2, vcc_lo
; %bb.1499:
	s_or_b32 exec_lo, exec_lo, s9
	global_store_b8 v[0:1], v2, off
.LBB7_1500:
	s_mov_b32 s9, 0
.LBB7_1501:
	s_delay_alu instid0(SALU_CYCLE_1)
	s_and_not1_b32 vcc_lo, exec_lo, s9
	s_cbranch_vccnz .LBB7_1511
; %bb.1502:
	s_wait_xcnt 0x0
	v_cndmask_b32_e64 v3, 0, 1.0, s6
	s_mov_b32 s9, exec_lo
                                        ; implicit-def: $vgpr2
	s_delay_alu instid0(VALU_DEP_1)
	v_cmpx_gt_u32_e32 0x47800000, v3
	s_xor_b32 s9, exec_lo, s9
	s_cbranch_execz .LBB7_1508
; %bb.1503:
	s_mov_b32 s10, exec_lo
                                        ; implicit-def: $vgpr2
	v_cmpx_lt_u32_e32 0x387fffff, v3
	s_xor_b32 s10, exec_lo, s10
; %bb.1504:
	v_bfe_u32 v2, v3, 21, 1
	s_delay_alu instid0(VALU_DEP_1) | instskip(NEXT) | instid1(VALU_DEP_1)
	v_add3_u32 v2, v3, v2, 0x80fffff
                                        ; implicit-def: $vgpr3
	v_lshrrev_b32_e32 v2, 21, v2
; %bb.1505:
	s_and_not1_saveexec_b32 s10, s10
; %bb.1506:
	v_add_f32_e32 v2, 0x43000000, v3
; %bb.1507:
	s_or_b32 exec_lo, exec_lo, s10
                                        ; implicit-def: $vgpr3
.LBB7_1508:
	s_and_not1_saveexec_b32 s9, s9
; %bb.1509:
	v_mov_b32_e32 v2, 0x7f
	v_cmp_lt_u32_e32 vcc_lo, 0x7f800000, v3
	s_delay_alu instid0(VALU_DEP_2)
	v_cndmask_b32_e32 v2, 0x7c, v2, vcc_lo
; %bb.1510:
	s_or_b32 exec_lo, exec_lo, s9
	global_store_b8 v[0:1], v2, off
.LBB7_1511:
	s_mov_b32 s9, 0
.LBB7_1512:
	s_delay_alu instid0(SALU_CYCLE_1)
	s_and_not1_b32 vcc_lo, exec_lo, s9
	s_mov_b32 s10, 0
	s_cbranch_vccnz .LBB7_1520
; %bb.1513:
	s_cmp_gt_i32 s4, 14
	s_mov_b32 s9, -1
	s_cbranch_scc0 .LBB7_1517
; %bb.1514:
	s_cmp_eq_u32 s4, 15
	s_mov_b32 s0, -1
	s_cbranch_scc0 .LBB7_1516
; %bb.1515:
	s_wait_xcnt 0x0
	v_cndmask_b32_e64 v2, 0, 1.0, s6
	s_mov_b32 s0, 0
	s_delay_alu instid0(VALU_DEP_1) | instskip(NEXT) | instid1(VALU_DEP_1)
	v_bfe_u32 v3, v2, 16, 1
	v_add3_u32 v2, v2, v3, 0x7fff
	global_store_d16_hi_b16 v[0:1], v2, off
.LBB7_1516:
	s_mov_b32 s9, 0
.LBB7_1517:
	s_delay_alu instid0(SALU_CYCLE_1)
	s_and_b32 vcc_lo, exec_lo, s9
	s_cbranch_vccz .LBB7_1520
; %bb.1518:
	s_cmp_lg_u32 s4, 11
	s_mov_b32 s10, -1
	s_cselect_b32 s4, -1, 0
	s_and_not1_b32 s0, s0, exec_lo
	s_and_b32 s4, s4, exec_lo
	s_delay_alu instid0(SALU_CYCLE_1)
	s_or_b32 s0, s0, s4
	s_branch .LBB7_1520
.LBB7_1519:
	s_mov_b32 s10, 0
.LBB7_1520:
	s_and_b32 s9, s5, exec_lo
	s_and_not1_b32 s4, s39, exec_lo
	s_and_b32 s5, s0, exec_lo
	s_and_b32 s0, s10, exec_lo
	s_or_b32 s39, s4, s5
	s_wait_xcnt 0x0
	s_or_b32 exec_lo, exec_lo, s8
	s_and_saveexec_b32 s4, s39
	s_cbranch_execz .LBB7_1449
.LBB7_1521:
	s_or_b32 s1, s1, exec_lo
	s_and_not1_b32 s0, s0, exec_lo
	s_trap 2
	s_or_b32 exec_lo, exec_lo, s4
	s_and_saveexec_b32 s4, s0
	s_delay_alu instid0(SALU_CYCLE_1)
	s_xor_b32 s0, exec_lo, s4
	s_cbranch_execnz .LBB7_1450
.LBB7_1522:
	s_or_b32 exec_lo, exec_lo, s0
	s_and_saveexec_b32 s0, s9
	s_delay_alu instid0(SALU_CYCLE_1)
	s_xor_b32 s0, exec_lo, s0
	s_cbranch_execz .LBB7_1560
.LBB7_1523:
	s_sext_i32_i16 s5, s7
	s_mov_b32 s4, -1
	s_cmp_lt_i32 s5, 5
	s_cbranch_scc1 .LBB7_1544
; %bb.1524:
	s_cmp_lt_i32 s5, 8
	s_cbranch_scc1 .LBB7_1534
; %bb.1525:
	;; [unrolled: 3-line block ×3, first 2 shown]
	s_cmp_gt_i32 s5, 9
	s_cbranch_scc0 .LBB7_1528
; %bb.1527:
	v_cndmask_b32_e64 v2, 0, 1, s6
	s_wait_loadcnt 0x0
	v_mov_b32_e32 v4, 0
	s_mov_b32 s4, 0
	s_delay_alu instid0(VALU_DEP_2) | instskip(NEXT) | instid1(VALU_DEP_2)
	v_cvt_f64_u32_e32 v[2:3], v2
	v_mov_b32_e32 v5, v4
	global_store_b128 v[0:1], v[2:5], off
.LBB7_1528:
	s_and_not1_b32 vcc_lo, exec_lo, s4
	s_cbranch_vccnz .LBB7_1530
; %bb.1529:
	s_wait_xcnt 0x0
	v_cndmask_b32_e64 v2, 0, 1.0, s6
	v_mov_b32_e32 v3, 0
	global_store_b64 v[0:1], v[2:3], off
.LBB7_1530:
	s_mov_b32 s4, 0
.LBB7_1531:
	s_delay_alu instid0(SALU_CYCLE_1)
	s_and_not1_b32 vcc_lo, exec_lo, s4
	s_cbranch_vccnz .LBB7_1533
; %bb.1532:
	s_wait_xcnt 0x0
	v_cndmask_b32_e64 v2, 0, 1.0, s6
	s_delay_alu instid0(VALU_DEP_1) | instskip(NEXT) | instid1(VALU_DEP_1)
	v_cvt_f16_f32_e32 v2, v2
	v_and_b32_e32 v2, 0xffff, v2
	global_store_b32 v[0:1], v2, off
.LBB7_1533:
	s_mov_b32 s4, 0
.LBB7_1534:
	s_delay_alu instid0(SALU_CYCLE_1)
	s_and_not1_b32 vcc_lo, exec_lo, s4
	s_cbranch_vccnz .LBB7_1543
; %bb.1535:
	s_sext_i32_i16 s5, s7
	s_mov_b32 s4, -1
	s_cmp_lt_i32 s5, 6
	s_cbranch_scc1 .LBB7_1541
; %bb.1536:
	s_cmp_gt_i32 s5, 6
	s_cbranch_scc0 .LBB7_1538
; %bb.1537:
	s_wait_xcnt 0x0
	v_cndmask_b32_e64 v2, 0, 1, s6
	s_mov_b32 s4, 0
	s_delay_alu instid0(VALU_DEP_1)
	v_cvt_f64_u32_e32 v[2:3], v2
	global_store_b64 v[0:1], v[2:3], off
.LBB7_1538:
	s_and_not1_b32 vcc_lo, exec_lo, s4
	s_cbranch_vccnz .LBB7_1540
; %bb.1539:
	s_wait_xcnt 0x0
	v_cndmask_b32_e64 v2, 0, 1.0, s6
	global_store_b32 v[0:1], v2, off
.LBB7_1540:
	s_mov_b32 s4, 0
.LBB7_1541:
	s_delay_alu instid0(SALU_CYCLE_1)
	s_and_not1_b32 vcc_lo, exec_lo, s4
	s_cbranch_vccnz .LBB7_1543
; %bb.1542:
	s_wait_xcnt 0x0
	v_cndmask_b32_e64 v2, 0, 1.0, s6
	s_delay_alu instid0(VALU_DEP_1)
	v_cvt_f16_f32_e32 v2, v2
	global_store_b16 v[0:1], v2, off
.LBB7_1543:
	s_mov_b32 s4, 0
.LBB7_1544:
	s_delay_alu instid0(SALU_CYCLE_1)
	s_and_not1_b32 vcc_lo, exec_lo, s4
	s_cbranch_vccnz .LBB7_1560
; %bb.1545:
	s_sext_i32_i16 s5, s7
	s_mov_b32 s4, -1
	s_cmp_lt_i32 s5, 2
	s_cbranch_scc1 .LBB7_1555
; %bb.1546:
	s_cmp_lt_i32 s5, 3
	s_cbranch_scc1 .LBB7_1552
; %bb.1547:
	s_cmp_gt_i32 s5, 3
	s_cbranch_scc0 .LBB7_1549
; %bb.1548:
	s_mov_b32 s4, 0
	s_wait_xcnt 0x0
	v_cndmask_b32_e64 v2, 0, 1, s6
	v_mov_b32_e32 v3, s4
	global_store_b64 v[0:1], v[2:3], off
.LBB7_1549:
	s_and_not1_b32 vcc_lo, exec_lo, s4
	s_cbranch_vccnz .LBB7_1551
; %bb.1550:
	s_wait_xcnt 0x0
	v_cndmask_b32_e64 v2, 0, 1, s6
	global_store_b32 v[0:1], v2, off
.LBB7_1551:
	s_mov_b32 s4, 0
.LBB7_1552:
	s_delay_alu instid0(SALU_CYCLE_1)
	s_and_not1_b32 vcc_lo, exec_lo, s4
	s_cbranch_vccnz .LBB7_1554
; %bb.1553:
	s_wait_xcnt 0x0
	v_cndmask_b32_e64 v2, 0, 1, s6
	global_store_b16 v[0:1], v2, off
.LBB7_1554:
	s_mov_b32 s4, 0
.LBB7_1555:
	s_delay_alu instid0(SALU_CYCLE_1)
	s_and_not1_b32 vcc_lo, exec_lo, s4
	s_cbranch_vccnz .LBB7_1560
; %bb.1556:
	s_wait_xcnt 0x0
	v_cndmask_b32_e64 v2, 0, 1, s6
	s_sext_i32_i16 s4, s7
	s_delay_alu instid0(SALU_CYCLE_1)
	s_cmp_gt_i32 s4, 0
	s_mov_b32 s4, -1
	s_cbranch_scc0 .LBB7_1558
; %bb.1557:
	s_mov_b32 s4, 0
	global_store_b8 v[0:1], v2, off
.LBB7_1558:
	s_and_not1_b32 vcc_lo, exec_lo, s4
	s_cbranch_vccnz .LBB7_1560
; %bb.1559:
	global_store_b8 v[0:1], v2, off
.LBB7_1560:
	s_wait_xcnt 0x0
	s_or_b32 exec_lo, exec_lo, s0
	s_delay_alu instid0(SALU_CYCLE_1)
	s_and_b32 s8, s1, exec_lo
                                        ; implicit-def: $vgpr1
                                        ; implicit-def: $vgpr0
.LBB7_1561:
	s_or_saveexec_b32 s9, s33
	s_mov_b32 s0, 0
                                        ; implicit-def: $sgpr4
                                        ; implicit-def: $vgpr2_vgpr3
                                        ; implicit-def: $sgpr1
	s_xor_b32 exec_lo, exec_lo, s9
	s_cbranch_execz .LBB7_3049
; %bb.1562:
	v_cndmask_b32_e64 v3, 0, 1, s31
	s_and_not1_b32 vcc_lo, exec_lo, s31
	s_cbranch_vccnz .LBB7_1568
; %bb.1563:
	s_cmp_lg_u32 s28, 0
	s_mov_b32 s4, 0
	s_cbranch_scc0 .LBB7_1572
; %bb.1564:
	s_min_u32 s5, s29, 15
	v_dual_mov_b32 v6, 0 :: v_dual_mov_b32 v2, v0
	s_wait_loadcnt 0x0
	v_dual_mov_b32 v8, 0 :: v_dual_mov_b32 v12, 0
	s_add_co_i32 s6, s5, 1
	s_mov_b64 s[0:1], 0xffffffffffffffe8
	s_and_b32 s6, s6, 30
	s_add_nc_u64 s[0:1], s[2:3], s[0:1]
.LBB7_1565:                             ; =>This Inner Loop Header: Depth=1
	s_clause 0x1
	s_load_b128 s[12:15], s[0:1], 0x1c
	s_load_b64 s[10:11], s[0:1], 0x2c
	s_add_co_i32 s6, s6, -2
	s_delay_alu instid0(SALU_CYCLE_1) | instskip(SKIP_2) | instid1(VALU_DEP_1)
	s_cmp_lg_u32 s6, 0
	s_wait_kmcnt 0x0
	v_mul_hi_u32 v4, s13, v2
	v_add_nc_u32_e32 v4, v2, v4
	s_delay_alu instid0(VALU_DEP_1) | instskip(NEXT) | instid1(VALU_DEP_1)
	v_lshrrev_b32_e32 v4, s14, v4
	v_mul_hi_u32 v5, s10, v4
	v_mul_lo_u32 v7, v4, s12
	s_clause 0x1
	s_load_b128 s[16:19], s[0:1], 0xdc
	s_load_b64 s[12:13], s[0:1], 0xec
	s_wait_xcnt 0x0
	s_add_nc_u64 s[0:1], s[0:1], 24
	s_delay_alu instid0(VALU_DEP_1) | instskip(NEXT) | instid1(VALU_DEP_1)
	v_dual_add_nc_u32 v5, v4, v5 :: v_dual_sub_nc_u32 v7, v2, v7
	v_lshrrev_b32_e32 v2, s11, v5
	s_wait_kmcnt 0x0
	s_delay_alu instid0(VALU_DEP_2) | instskip(NEXT) | instid1(VALU_DEP_2)
	v_mad_u32 v6, v7, s16, v6
	v_mul_lo_u32 v5, v2, s15
	v_mad_u32 v9, v7, s18, v12
	v_mad_u32 v7, v7, s17, v8
	s_delay_alu instid0(VALU_DEP_3) | instskip(NEXT) | instid1(VALU_DEP_1)
	v_sub_nc_u32_e32 v4, v4, v5
	v_mad_u32 v6, v4, s19, v6
	s_delay_alu instid0(VALU_DEP_4) | instskip(NEXT) | instid1(VALU_DEP_4)
	v_mad_u32 v12, v4, s13, v9
	v_mad_u32 v8, v4, s12, v7
	s_cbranch_scc1 .LBB7_1565
; %bb.1566:
	s_bitcmp1_b32 s5, 0
	s_cselect_b32 s5, -1, 0
	s_delay_alu instid0(SALU_CYCLE_1)
	s_and_b32 vcc_lo, exec_lo, s5
	s_cbranch_vccnz .LBB7_1569
; %bb.1567:
	s_clause 0x1
	s_load_b96 s[12:14], s[0:1], 0x1c
	s_load_b96 s[16:18], s[0:1], 0xdc
	s_wait_kmcnt 0x0
	v_mul_hi_u32 v4, s13, v2
	s_delay_alu instid0(VALU_DEP_1) | instskip(NEXT) | instid1(VALU_DEP_1)
	v_add_nc_u32_e32 v4, v2, v4
	v_lshrrev_b32_e32 v4, s14, v4
	s_delay_alu instid0(VALU_DEP_1) | instskip(NEXT) | instid1(VALU_DEP_1)
	v_mul_lo_u32 v4, v4, s12
	v_sub_nc_u32_e32 v2, v2, v4
	s_delay_alu instid0(VALU_DEP_1)
	v_mad_u32 v6, v2, s16, v6
	v_mad_u32 v8, v2, s17, v8
	;; [unrolled: 1-line block ×3, first 2 shown]
	s_and_not1_b32 vcc_lo, exec_lo, s4
	s_cbranch_vccz .LBB7_1570
	s_branch .LBB7_1573
.LBB7_1568:
	s_mov_b32 s4, -1
                                        ; implicit-def: $vgpr12
                                        ; implicit-def: $vgpr8
                                        ; implicit-def: $vgpr6
.LBB7_1569:
	s_delay_alu instid0(SALU_CYCLE_1)
	s_and_not1_b32 vcc_lo, exec_lo, s4
	s_cbranch_vccnz .LBB7_1573
.LBB7_1570:
	s_clause 0x1
	s_load_b96 s[4:6], s[2:3], 0x4
	s_load_b96 s[12:14], s[2:3], 0xc4
	s_cmp_lt_u32 s28, 2
	s_wait_kmcnt 0x0
	v_mul_hi_u32 v2, s5, v0
	s_delay_alu instid0(VALU_DEP_1) | instskip(NEXT) | instid1(VALU_DEP_1)
	v_add_nc_u32_e32 v2, v0, v2
	v_lshrrev_b32_e32 v2, s6, v2
	s_wait_loadcnt 0x0
	s_delay_alu instid0(VALU_DEP_1) | instskip(NEXT) | instid1(VALU_DEP_1)
	v_mul_lo_u32 v4, v2, s4
	v_sub_nc_u32_e32 v4, v0, v4
	s_delay_alu instid0(VALU_DEP_1)
	v_mul_lo_u32 v6, v4, s12
	v_mul_lo_u32 v12, v4, s14
	;; [unrolled: 1-line block ×3, first 2 shown]
	s_cbranch_scc1 .LBB7_1573
; %bb.1571:
	s_clause 0x1
	s_load_b96 s[4:6], s[2:3], 0x10
	s_load_b96 s[12:14], s[2:3], 0xd0
	s_wait_kmcnt 0x0
	v_mul_hi_u32 v4, s5, v2
	s_delay_alu instid0(VALU_DEP_1) | instskip(NEXT) | instid1(VALU_DEP_1)
	v_add_nc_u32_e32 v4, v2, v4
	v_lshrrev_b32_e32 v4, s6, v4
	s_delay_alu instid0(VALU_DEP_1) | instskip(NEXT) | instid1(VALU_DEP_1)
	v_mul_lo_u32 v4, v4, s4
	v_sub_nc_u32_e32 v2, v2, v4
	s_delay_alu instid0(VALU_DEP_1)
	v_mad_u32 v6, v2, s12, v6
	v_mad_u32 v8, v2, s13, v8
	;; [unrolled: 1-line block ×3, first 2 shown]
	s_branch .LBB7_1573
.LBB7_1572:
	s_wait_loadcnt 0x0
	v_dual_mov_b32 v12, 0 :: v_dual_mov_b32 v8, 0
	v_mov_b32_e32 v6, 0
	s_and_not1_b32 vcc_lo, exec_lo, s4
	s_cbranch_vccz .LBB7_1570
.LBB7_1573:
	v_cmp_ne_u32_e32 vcc_lo, 1, v3
	v_add_nc_u32_e32 v2, 0x80, v0
	s_cbranch_vccnz .LBB7_1579
; %bb.1574:
	s_cmp_lg_u32 s28, 0
	s_mov_b32 s4, 0
	s_cbranch_scc0 .LBB7_1583
; %bb.1575:
	s_min_u32 s5, s29, 15
	s_wait_loadcnt 0x0
	v_dual_mov_b32 v4, 0 :: v_dual_mov_b32 v5, v2
	v_dual_mov_b32 v14, 0 :: v_dual_mov_b32 v18, 0
	s_add_co_i32 s6, s5, 1
	s_mov_b64 s[0:1], 0xffffffffffffffe8
	s_and_b32 s6, s6, 30
	s_add_nc_u64 s[0:1], s[2:3], s[0:1]
.LBB7_1576:                             ; =>This Inner Loop Header: Depth=1
	s_clause 0x1
	s_load_b128 s[12:15], s[0:1], 0x1c
	s_load_b64 s[10:11], s[0:1], 0x2c
	s_add_co_i32 s6, s6, -2
	s_delay_alu instid0(SALU_CYCLE_1) | instskip(SKIP_2) | instid1(VALU_DEP_1)
	s_cmp_lg_u32 s6, 0
	s_wait_kmcnt 0x0
	v_mul_hi_u32 v7, s13, v5
	v_add_nc_u32_e32 v7, v5, v7
	s_delay_alu instid0(VALU_DEP_1) | instskip(NEXT) | instid1(VALU_DEP_1)
	v_lshrrev_b32_e32 v7, s14, v7
	v_mul_hi_u32 v9, s10, v7
	v_mul_lo_u32 v10, v7, s12
	s_clause 0x1
	s_load_b128 s[16:19], s[0:1], 0xdc
	s_load_b64 s[12:13], s[0:1], 0xec
	s_wait_xcnt 0x0
	s_add_nc_u64 s[0:1], s[0:1], 24
	s_delay_alu instid0(VALU_DEP_1) | instskip(NEXT) | instid1(VALU_DEP_1)
	v_dual_add_nc_u32 v9, v7, v9 :: v_dual_sub_nc_u32 v10, v5, v10
	v_lshrrev_b32_e32 v5, s11, v9
	s_wait_kmcnt 0x0
	s_delay_alu instid0(VALU_DEP_2) | instskip(NEXT) | instid1(VALU_DEP_2)
	v_mad_u32 v4, v10, s16, v4
	v_mul_lo_u32 v9, v5, s15
	v_mad_u32 v11, v10, s18, v18
	v_mad_u32 v10, v10, s17, v14
	s_delay_alu instid0(VALU_DEP_3) | instskip(NEXT) | instid1(VALU_DEP_1)
	v_sub_nc_u32_e32 v7, v7, v9
	v_mad_u32 v4, v7, s19, v4
	s_delay_alu instid0(VALU_DEP_4) | instskip(NEXT) | instid1(VALU_DEP_4)
	v_mad_u32 v18, v7, s13, v11
	v_mad_u32 v14, v7, s12, v10
	s_cbranch_scc1 .LBB7_1576
; %bb.1577:
	s_bitcmp1_b32 s5, 0
	s_cselect_b32 s5, -1, 0
	s_delay_alu instid0(SALU_CYCLE_1)
	s_and_b32 vcc_lo, exec_lo, s5
	s_cbranch_vccnz .LBB7_1580
; %bb.1578:
	s_clause 0x1
	s_load_b96 s[12:14], s[0:1], 0x1c
	s_load_b96 s[16:18], s[0:1], 0xdc
	s_wait_kmcnt 0x0
	v_mul_hi_u32 v7, s13, v5
	s_delay_alu instid0(VALU_DEP_1) | instskip(NEXT) | instid1(VALU_DEP_1)
	v_add_nc_u32_e32 v7, v5, v7
	v_lshrrev_b32_e32 v7, s14, v7
	s_delay_alu instid0(VALU_DEP_1) | instskip(NEXT) | instid1(VALU_DEP_1)
	v_mul_lo_u32 v7, v7, s12
	v_sub_nc_u32_e32 v5, v5, v7
	s_delay_alu instid0(VALU_DEP_1)
	v_mad_u32 v4, v5, s16, v4
	v_mad_u32 v14, v5, s17, v14
	;; [unrolled: 1-line block ×3, first 2 shown]
	s_and_not1_b32 vcc_lo, exec_lo, s4
	s_cbranch_vccz .LBB7_1581
	s_branch .LBB7_1584
.LBB7_1579:
	s_mov_b32 s4, -1
                                        ; implicit-def: $vgpr18
                                        ; implicit-def: $vgpr14
                                        ; implicit-def: $vgpr4
.LBB7_1580:
	s_delay_alu instid0(SALU_CYCLE_1)
	s_and_not1_b32 vcc_lo, exec_lo, s4
	s_cbranch_vccnz .LBB7_1584
.LBB7_1581:
	s_clause 0x1
	s_load_b96 s[4:6], s[2:3], 0x4
	s_load_b96 s[12:14], s[2:3], 0xc4
	s_cmp_lt_u32 s28, 2
	s_wait_loadcnt 0x0
	s_wait_kmcnt 0x0
	v_mul_hi_u32 v4, s5, v2
	s_delay_alu instid0(VALU_DEP_1) | instskip(NEXT) | instid1(VALU_DEP_1)
	v_add_nc_u32_e32 v4, v2, v4
	v_lshrrev_b32_e32 v5, s6, v4
	s_delay_alu instid0(VALU_DEP_1) | instskip(NEXT) | instid1(VALU_DEP_1)
	v_mul_lo_u32 v4, v5, s4
	v_sub_nc_u32_e32 v2, v2, v4
	s_delay_alu instid0(VALU_DEP_1)
	v_mul_lo_u32 v4, v2, s12
	v_mul_lo_u32 v18, v2, s14
	v_mul_lo_u32 v14, v2, s13
	s_cbranch_scc1 .LBB7_1584
; %bb.1582:
	s_clause 0x1
	s_load_b96 s[4:6], s[2:3], 0x10
	s_load_b96 s[12:14], s[2:3], 0xd0
	s_wait_kmcnt 0x0
	v_mul_hi_u32 v2, s5, v5
	s_delay_alu instid0(VALU_DEP_1) | instskip(NEXT) | instid1(VALU_DEP_1)
	v_add_nc_u32_e32 v2, v5, v2
	v_lshrrev_b32_e32 v2, s6, v2
	s_delay_alu instid0(VALU_DEP_1) | instskip(NEXT) | instid1(VALU_DEP_1)
	v_mul_lo_u32 v2, v2, s4
	v_sub_nc_u32_e32 v2, v5, v2
	s_delay_alu instid0(VALU_DEP_1)
	v_mad_u32 v4, v2, s12, v4
	v_mad_u32 v14, v2, s13, v14
	;; [unrolled: 1-line block ×3, first 2 shown]
	s_branch .LBB7_1584
.LBB7_1583:
	v_dual_mov_b32 v18, 0 :: v_dual_mov_b32 v14, 0
	s_wait_loadcnt 0x0
	v_mov_b32_e32 v4, 0
	s_and_not1_b32 vcc_lo, exec_lo, s4
	s_cbranch_vccz .LBB7_1581
.LBB7_1584:
	v_cmp_ne_u32_e32 vcc_lo, 1, v3
	v_add_nc_u32_e32 v0, 0x100, v0
	s_cbranch_vccnz .LBB7_1590
; %bb.1585:
	s_cmp_lg_u32 s28, 0
	s_mov_b32 s4, 0
	s_cbranch_scc0 .LBB7_1594
; %bb.1586:
	s_min_u32 s5, s29, 15
	s_wait_loadcnt 0x0
	v_dual_mov_b32 v2, 0 :: v_dual_mov_b32 v5, v0
	v_dual_mov_b32 v20, 0 :: v_dual_mov_b32 v22, 0
	s_add_co_i32 s6, s5, 1
	s_mov_b64 s[0:1], 0xffffffffffffffe8
	s_and_b32 s6, s6, 30
	s_add_nc_u64 s[0:1], s[2:3], s[0:1]
.LBB7_1587:                             ; =>This Inner Loop Header: Depth=1
	s_clause 0x1
	s_load_b128 s[12:15], s[0:1], 0x1c
	s_load_b64 s[10:11], s[0:1], 0x2c
	s_add_co_i32 s6, s6, -2
	s_delay_alu instid0(SALU_CYCLE_1) | instskip(SKIP_2) | instid1(VALU_DEP_1)
	s_cmp_lg_u32 s6, 0
	s_wait_kmcnt 0x0
	v_mul_hi_u32 v7, s13, v5
	v_add_nc_u32_e32 v7, v5, v7
	s_delay_alu instid0(VALU_DEP_1) | instskip(NEXT) | instid1(VALU_DEP_1)
	v_lshrrev_b32_e32 v7, s14, v7
	v_mul_hi_u32 v9, s10, v7
	v_mul_lo_u32 v10, v7, s12
	s_clause 0x1
	s_load_b128 s[16:19], s[0:1], 0xdc
	s_load_b64 s[12:13], s[0:1], 0xec
	s_wait_xcnt 0x0
	s_add_nc_u64 s[0:1], s[0:1], 24
	s_delay_alu instid0(VALU_DEP_1) | instskip(NEXT) | instid1(VALU_DEP_1)
	v_dual_add_nc_u32 v9, v7, v9 :: v_dual_sub_nc_u32 v10, v5, v10
	v_lshrrev_b32_e32 v5, s11, v9
	s_wait_kmcnt 0x0
	s_delay_alu instid0(VALU_DEP_2) | instskip(NEXT) | instid1(VALU_DEP_2)
	v_mad_u32 v2, v10, s16, v2
	v_mul_lo_u32 v9, v5, s15
	v_mad_u32 v11, v10, s18, v22
	v_mad_u32 v10, v10, s17, v20
	s_delay_alu instid0(VALU_DEP_3) | instskip(NEXT) | instid1(VALU_DEP_1)
	v_sub_nc_u32_e32 v7, v7, v9
	v_mad_u32 v2, v7, s19, v2
	s_delay_alu instid0(VALU_DEP_4) | instskip(NEXT) | instid1(VALU_DEP_4)
	v_mad_u32 v22, v7, s13, v11
	v_mad_u32 v20, v7, s12, v10
	s_cbranch_scc1 .LBB7_1587
; %bb.1588:
	s_bitcmp1_b32 s5, 0
	s_cselect_b32 s5, -1, 0
	s_delay_alu instid0(SALU_CYCLE_1)
	s_and_b32 vcc_lo, exec_lo, s5
	s_cbranch_vccnz .LBB7_1591
; %bb.1589:
	s_clause 0x1
	s_load_b96 s[12:14], s[0:1], 0x1c
	s_load_b96 s[16:18], s[0:1], 0xdc
	s_wait_kmcnt 0x0
	v_mul_hi_u32 v7, s13, v5
	s_delay_alu instid0(VALU_DEP_1) | instskip(NEXT) | instid1(VALU_DEP_1)
	v_add_nc_u32_e32 v7, v5, v7
	v_lshrrev_b32_e32 v7, s14, v7
	s_delay_alu instid0(VALU_DEP_1) | instskip(NEXT) | instid1(VALU_DEP_1)
	v_mul_lo_u32 v7, v7, s12
	v_sub_nc_u32_e32 v5, v5, v7
	s_delay_alu instid0(VALU_DEP_1)
	v_mad_u32 v2, v5, s16, v2
	v_mad_u32 v20, v5, s17, v20
	;; [unrolled: 1-line block ×3, first 2 shown]
	s_and_not1_b32 vcc_lo, exec_lo, s4
	s_cbranch_vccz .LBB7_1592
	s_branch .LBB7_1595
.LBB7_1590:
	s_mov_b32 s4, -1
                                        ; implicit-def: $vgpr22
                                        ; implicit-def: $vgpr20
                                        ; implicit-def: $vgpr2
.LBB7_1591:
	s_delay_alu instid0(SALU_CYCLE_1)
	s_and_not1_b32 vcc_lo, exec_lo, s4
	s_cbranch_vccnz .LBB7_1595
.LBB7_1592:
	s_clause 0x1
	s_load_b96 s[4:6], s[2:3], 0x4
	s_load_b96 s[12:14], s[2:3], 0xc4
	s_cmp_lt_u32 s28, 2
	s_wait_kmcnt 0x0
	v_mul_hi_u32 v2, s5, v0
	s_delay_alu instid0(VALU_DEP_1) | instskip(SKIP_1) | instid1(VALU_DEP_1)
	v_add_nc_u32_e32 v2, v0, v2
	s_wait_loadcnt 0x0
	v_lshrrev_b32_e32 v5, s6, v2
	s_delay_alu instid0(VALU_DEP_1) | instskip(NEXT) | instid1(VALU_DEP_1)
	v_mul_lo_u32 v2, v5, s4
	v_sub_nc_u32_e32 v0, v0, v2
	s_delay_alu instid0(VALU_DEP_1)
	v_mul_lo_u32 v2, v0, s12
	v_mul_lo_u32 v22, v0, s14
	;; [unrolled: 1-line block ×3, first 2 shown]
	s_cbranch_scc1 .LBB7_1595
; %bb.1593:
	s_clause 0x1
	s_load_b96 s[4:6], s[2:3], 0x10
	s_load_b96 s[12:14], s[2:3], 0xd0
	s_wait_kmcnt 0x0
	v_mul_hi_u32 v0, s5, v5
	s_delay_alu instid0(VALU_DEP_1) | instskip(NEXT) | instid1(VALU_DEP_1)
	v_add_nc_u32_e32 v0, v5, v0
	v_lshrrev_b32_e32 v0, s6, v0
	s_delay_alu instid0(VALU_DEP_1) | instskip(NEXT) | instid1(VALU_DEP_1)
	v_mul_lo_u32 v0, v0, s4
	v_sub_nc_u32_e32 v0, v5, v0
	s_delay_alu instid0(VALU_DEP_1)
	v_mad_u32 v2, v0, s12, v2
	v_mad_u32 v20, v0, s13, v20
	;; [unrolled: 1-line block ×3, first 2 shown]
	s_branch .LBB7_1595
.LBB7_1594:
	v_dual_mov_b32 v22, 0 :: v_dual_mov_b32 v20, 0
	v_mov_b32_e32 v2, 0
	s_and_not1_b32 vcc_lo, exec_lo, s4
	s_cbranch_vccz .LBB7_1592
.LBB7_1595:
	v_cmp_ne_u32_e32 vcc_lo, 1, v3
	s_cbranch_vccnz .LBB7_1601
; %bb.1596:
	s_cmp_lg_u32 s28, 0
	s_mov_b32 s4, 0
	s_cbranch_scc0 .LBB7_1605
; %bb.1597:
	s_min_u32 s5, s29, 15
	v_dual_mov_b32 v0, 0 :: v_dual_mov_b32 v3, v1
	v_dual_mov_b32 v16, 0 :: v_dual_mov_b32 v10, 0
	s_add_co_i32 s6, s5, 1
	s_mov_b64 s[0:1], 0xffffffffffffffe8
	s_and_b32 s6, s6, 30
	s_add_nc_u64 s[0:1], s[2:3], s[0:1]
.LBB7_1598:                             ; =>This Inner Loop Header: Depth=1
	s_clause 0x1
	s_load_b128 s[12:15], s[0:1], 0x1c
	s_load_b64 s[10:11], s[0:1], 0x2c
	s_add_co_i32 s6, s6, -2
	s_delay_alu instid0(SALU_CYCLE_1) | instskip(SKIP_3) | instid1(VALU_DEP_1)
	s_cmp_lg_u32 s6, 0
	s_wait_loadcnt 0x0
	s_wait_kmcnt 0x0
	v_mul_hi_u32 v5, s13, v3
	v_add_nc_u32_e32 v5, v3, v5
	s_delay_alu instid0(VALU_DEP_1) | instskip(NEXT) | instid1(VALU_DEP_1)
	v_lshrrev_b32_e32 v5, s14, v5
	v_mul_hi_u32 v7, s10, v5
	v_mul_lo_u32 v9, v5, s12
	s_clause 0x1
	s_load_b128 s[16:19], s[0:1], 0xdc
	s_load_b64 s[12:13], s[0:1], 0xec
	s_wait_xcnt 0x0
	s_add_nc_u64 s[0:1], s[0:1], 24
	s_delay_alu instid0(VALU_DEP_1) | instskip(NEXT) | instid1(VALU_DEP_1)
	v_dual_add_nc_u32 v7, v5, v7 :: v_dual_sub_nc_u32 v9, v3, v9
	v_lshrrev_b32_e32 v3, s11, v7
	s_wait_kmcnt 0x0
	s_delay_alu instid0(VALU_DEP_2) | instskip(NEXT) | instid1(VALU_DEP_2)
	v_mad_u32 v0, v9, s16, v0
	v_mul_lo_u32 v7, v3, s15
	v_mad_u32 v10, v9, s18, v10
	v_mad_u32 v9, v9, s17, v16
	s_delay_alu instid0(VALU_DEP_3) | instskip(NEXT) | instid1(VALU_DEP_1)
	v_sub_nc_u32_e32 v5, v5, v7
	v_mad_u32 v0, v5, s19, v0
	s_delay_alu instid0(VALU_DEP_4) | instskip(NEXT) | instid1(VALU_DEP_4)
	v_mad_u32 v10, v5, s13, v10
	v_mad_u32 v16, v5, s12, v9
	s_cbranch_scc1 .LBB7_1598
; %bb.1599:
	s_bitcmp1_b32 s5, 0
	s_cselect_b32 s5, -1, 0
	s_delay_alu instid0(SALU_CYCLE_1)
	s_and_b32 vcc_lo, exec_lo, s5
	s_cbranch_vccnz .LBB7_1602
; %bb.1600:
	s_clause 0x1
	s_load_b96 s[12:14], s[0:1], 0x1c
	s_load_b96 s[16:18], s[0:1], 0xdc
	s_wait_kmcnt 0x0
	v_mul_hi_u32 v5, s13, v3
	s_delay_alu instid0(VALU_DEP_1) | instskip(NEXT) | instid1(VALU_DEP_1)
	v_add_nc_u32_e32 v5, v3, v5
	v_lshrrev_b32_e32 v5, s14, v5
	s_delay_alu instid0(VALU_DEP_1) | instskip(NEXT) | instid1(VALU_DEP_1)
	v_mul_lo_u32 v5, v5, s12
	v_sub_nc_u32_e32 v3, v3, v5
	s_delay_alu instid0(VALU_DEP_1)
	v_mad_u32 v0, v3, s16, v0
	v_mad_u32 v16, v3, s17, v16
	;; [unrolled: 1-line block ×3, first 2 shown]
	s_and_not1_b32 vcc_lo, exec_lo, s4
	s_cbranch_vccz .LBB7_1603
	s_branch .LBB7_1606
.LBB7_1601:
	s_mov_b32 s4, -1
                                        ; implicit-def: $vgpr10
                                        ; implicit-def: $vgpr16
                                        ; implicit-def: $vgpr0
.LBB7_1602:
	s_delay_alu instid0(SALU_CYCLE_1)
	s_and_not1_b32 vcc_lo, exec_lo, s4
	s_cbranch_vccnz .LBB7_1606
.LBB7_1603:
	s_clause 0x1
	s_load_b96 s[4:6], s[2:3], 0x4
	s_load_b96 s[12:14], s[2:3], 0xc4
	s_cmp_lt_u32 s28, 2
	s_wait_kmcnt 0x0
	v_mul_hi_u32 v0, s5, v1
	s_delay_alu instid0(VALU_DEP_1) | instskip(NEXT) | instid1(VALU_DEP_1)
	v_add_nc_u32_e32 v0, v1, v0
	v_lshrrev_b32_e32 v3, s6, v0
	s_delay_alu instid0(VALU_DEP_1) | instskip(NEXT) | instid1(VALU_DEP_1)
	v_mul_lo_u32 v0, v3, s4
	v_sub_nc_u32_e32 v1, v1, v0
	s_delay_alu instid0(VALU_DEP_1)
	v_mul_lo_u32 v0, v1, s12
	v_mul_lo_u32 v10, v1, s14
	;; [unrolled: 1-line block ×3, first 2 shown]
	s_cbranch_scc1 .LBB7_1606
; %bb.1604:
	s_clause 0x1
	s_load_b96 s[4:6], s[2:3], 0x10
	s_load_b96 s[12:14], s[2:3], 0xd0
	s_wait_kmcnt 0x0
	v_mul_hi_u32 v1, s5, v3
	s_delay_alu instid0(VALU_DEP_1) | instskip(NEXT) | instid1(VALU_DEP_1)
	v_add_nc_u32_e32 v1, v3, v1
	v_lshrrev_b32_e32 v1, s6, v1
	s_delay_alu instid0(VALU_DEP_1) | instskip(NEXT) | instid1(VALU_DEP_1)
	v_mul_lo_u32 v1, v1, s4
	v_sub_nc_u32_e32 v1, v3, v1
	s_delay_alu instid0(VALU_DEP_1)
	v_mad_u32 v0, v1, s12, v0
	v_mad_u32 v16, v1, s13, v16
	;; [unrolled: 1-line block ×3, first 2 shown]
	s_branch .LBB7_1606
.LBB7_1605:
	v_dual_mov_b32 v10, 0 :: v_dual_mov_b32 v16, 0
	v_mov_b32_e32 v0, 0
	s_and_not1_b32 vcc_lo, exec_lo, s4
	s_cbranch_vccz .LBB7_1603
.LBB7_1606:
	s_wait_loadcnt 0x0
	v_mov_b32_e32 v9, 0
	s_load_b128 s[4:7], s[2:3], 0x188
	global_load_u8 v1, v9, s[2:3] offset:421
	s_wait_kmcnt 0x0
	v_add_nc_u64_e32 v[24:25], s[6:7], v[8:9]
	s_wait_loadcnt 0x0
	v_and_b32_e32 v3, 0xffff, v1
	v_readfirstlane_b32 s11, v1
	s_delay_alu instid0(VALU_DEP_2)
	v_cmp_gt_i32_e32 vcc_lo, 11, v3
	s_cbranch_vccnz .LBB7_1613
; %bb.1607:
	s_and_b32 s0, 0xffff, s11
	s_mov_b32 s12, 0
	s_cmp_gt_i32 s0, 25
	s_cbranch_scc0 .LBB7_1615
; %bb.1608:
	s_cmp_gt_i32 s0, 28
	s_cbranch_scc0 .LBB7_1616
; %bb.1609:
	;; [unrolled: 3-line block ×4, first 2 shown]
	s_cmp_eq_u32 s0, 46
	s_mov_b32 s10, 0
	s_cbranch_scc0 .LBB7_1621
; %bb.1612:
	global_load_b32 v1, v[24:25], off
	s_mov_b32 s1, 0
	s_mov_b32 s13, -1
	s_wait_loadcnt 0x0
	v_lshlrev_b32_e32 v1, 16, v1
	s_delay_alu instid0(VALU_DEP_1) | instskip(NEXT) | instid1(VALU_DEP_1)
	v_trunc_f32_e32 v1, v1
	v_mul_f32_e64 v3, 0x2f800000, |v1|
	s_delay_alu instid0(VALU_DEP_1) | instskip(NEXT) | instid1(VALU_DEP_1)
	v_floor_f32_e32 v3, v3
	v_fma_f32 v3, 0xcf800000, v3, |v1|
	v_ashrrev_i32_e32 v1, 31, v1
	s_delay_alu instid0(VALU_DEP_2) | instskip(NEXT) | instid1(VALU_DEP_1)
	v_cvt_u32_f32_e32 v3, v3
	v_xor_b32_e32 v3, v3, v1
	s_delay_alu instid0(VALU_DEP_1)
	v_sub_nc_u32_e32 v8, v3, v1
	s_branch .LBB7_1623
.LBB7_1613:
	s_mov_b32 s13, 0
	s_mov_b32 s10, s8
                                        ; implicit-def: $vgpr8
	s_cbranch_execnz .LBB7_1681
.LBB7_1614:
	s_and_not1_b32 vcc_lo, exec_lo, s13
	s_cbranch_vccz .LBB7_1726
	s_branch .LBB7_3047
.LBB7_1615:
	s_mov_b32 s13, 0
	s_mov_b32 s1, 0
                                        ; implicit-def: $vgpr8
	s_cbranch_execnz .LBB7_1648
	s_branch .LBB7_1677
.LBB7_1616:
	s_mov_b32 s13, 0
	s_mov_b32 s1, 0
                                        ; implicit-def: $vgpr8
	s_cbranch_execz .LBB7_1647
	s_branch .LBB7_1632
.LBB7_1617:
	s_mov_b32 s13, 0
	s_mov_b32 s1, 0
                                        ; implicit-def: $vgpr8
	s_cbranch_execnz .LBB7_1628
	s_branch .LBB7_1631
.LBB7_1618:
	s_mov_b32 s10, -1
	s_mov_b32 s13, 0
	s_mov_b32 s1, 0
	s_branch .LBB7_1622
.LBB7_1619:
	s_and_not1_saveexec_b32 s10, s10
	s_cbranch_execz .LBB7_1474
.LBB7_1620:
	v_add_f32_e32 v2, 0x46000000, v3
	s_and_not1_b32 s9, s9, exec_lo
	s_delay_alu instid0(VALU_DEP_1) | instskip(NEXT) | instid1(VALU_DEP_1)
	v_and_b32_e32 v2, 0xff, v2
	v_cmp_ne_u32_e32 vcc_lo, 0, v2
	s_and_b32 s11, vcc_lo, exec_lo
	s_delay_alu instid0(SALU_CYCLE_1)
	s_or_b32 s9, s9, s11
	s_or_b32 exec_lo, exec_lo, s10
	v_mov_b32_e32 v4, 0
	s_and_saveexec_b32 s10, s9
	s_cbranch_execnz .LBB7_1475
	s_branch .LBB7_1476
.LBB7_1621:
	s_mov_b32 s1, -1
	s_mov_b32 s13, 0
.LBB7_1622:
                                        ; implicit-def: $vgpr8
.LBB7_1623:
	s_and_b32 vcc_lo, exec_lo, s10
	s_cbranch_vccz .LBB7_1626
; %bb.1624:
	s_cmp_eq_u32 s0, 44
	s_cbranch_scc0 .LBB7_1627
; %bb.1625:
	global_load_u8 v1, v[24:25], off
	s_mov_b32 s1, 0
	s_mov_b32 s13, -1
	s_wait_loadcnt 0x0
	v_lshlrev_b32_e32 v3, 23, v1
	v_cmp_ne_u32_e32 vcc_lo, 0, v1
	s_delay_alu instid0(VALU_DEP_2) | instskip(NEXT) | instid1(VALU_DEP_1)
	v_trunc_f32_e32 v3, v3
	v_mul_f32_e64 v5, 0x2f800000, |v3|
	s_delay_alu instid0(VALU_DEP_1) | instskip(NEXT) | instid1(VALU_DEP_1)
	v_floor_f32_e32 v5, v5
	v_fma_f32 v5, 0xcf800000, v5, |v3|
	v_ashrrev_i32_e32 v3, 31, v3
	s_delay_alu instid0(VALU_DEP_2) | instskip(NEXT) | instid1(VALU_DEP_1)
	v_cvt_u32_f32_e32 v5, v5
	v_xor_b32_e32 v5, v5, v3
	s_delay_alu instid0(VALU_DEP_1) | instskip(NEXT) | instid1(VALU_DEP_1)
	v_sub_nc_u32_e32 v3, v5, v3
	v_cndmask_b32_e32 v8, 0, v3, vcc_lo
.LBB7_1626:
	s_branch .LBB7_1631
.LBB7_1627:
	s_mov_b32 s1, -1
                                        ; implicit-def: $vgpr8
	s_branch .LBB7_1631
.LBB7_1628:
	s_cmp_eq_u32 s0, 29
	s_cbranch_scc0 .LBB7_1630
; %bb.1629:
	global_load_b64 v[8:9], v[24:25], off
	s_mov_b32 s1, 0
	s_mov_b32 s13, -1
	s_branch .LBB7_1631
.LBB7_1630:
	s_mov_b32 s1, -1
                                        ; implicit-def: $vgpr8
.LBB7_1631:
	s_branch .LBB7_1647
.LBB7_1632:
	s_cmp_lt_i32 s0, 27
	s_cbranch_scc1 .LBB7_1635
; %bb.1633:
	s_cmp_gt_i32 s0, 27
	s_cbranch_scc0 .LBB7_1636
; %bb.1634:
	s_wait_loadcnt 0x0
	global_load_b32 v8, v[24:25], off
	s_mov_b32 s10, 0
	s_branch .LBB7_1637
.LBB7_1635:
	s_mov_b32 s10, -1
                                        ; implicit-def: $vgpr8
	s_branch .LBB7_1640
.LBB7_1636:
	s_mov_b32 s10, -1
                                        ; implicit-def: $vgpr8
.LBB7_1637:
	s_delay_alu instid0(SALU_CYCLE_1)
	s_and_not1_b32 vcc_lo, exec_lo, s10
	s_cbranch_vccnz .LBB7_1639
; %bb.1638:
	s_wait_loadcnt 0x0
	global_load_u16 v8, v[24:25], off
.LBB7_1639:
	s_mov_b32 s10, 0
.LBB7_1640:
	s_delay_alu instid0(SALU_CYCLE_1)
	s_and_not1_b32 vcc_lo, exec_lo, s10
	s_cbranch_vccnz .LBB7_1646
; %bb.1641:
	global_load_u8 v1, v[24:25], off
	s_mov_b32 s13, 0
	s_mov_b32 s10, exec_lo
	s_wait_loadcnt 0x0
	v_cmpx_lt_i16_e32 0x7f, v1
	s_xor_b32 s10, exec_lo, s10
	s_cbranch_execz .LBB7_1657
; %bb.1642:
	v_cmp_ne_u16_e32 vcc_lo, 0x80, v1
	s_and_b32 s13, vcc_lo, exec_lo
	s_and_not1_saveexec_b32 s10, s10
	s_cbranch_execnz .LBB7_1658
.LBB7_1643:
	s_or_b32 exec_lo, exec_lo, s10
	v_mov_b32_e32 v8, 0
	s_and_saveexec_b32 s10, s13
	s_cbranch_execz .LBB7_1645
.LBB7_1644:
	v_and_b32_e32 v3, 0xffff, v1
	s_delay_alu instid0(VALU_DEP_1) | instskip(SKIP_1) | instid1(VALU_DEP_2)
	v_dual_lshlrev_b32 v1, 24, v1 :: v_dual_bitop2_b32 v5, 7, v3 bitop3:0x40
	v_bfe_u32 v9, v3, 3, 4
	v_and_b32_e32 v1, 0x80000000, v1
	s_delay_alu instid0(VALU_DEP_3) | instskip(NEXT) | instid1(VALU_DEP_3)
	v_clz_i32_u32_e32 v7, v5
	v_cmp_eq_u32_e32 vcc_lo, 0, v9
	s_delay_alu instid0(VALU_DEP_2) | instskip(NEXT) | instid1(VALU_DEP_1)
	v_min_u32_e32 v7, 32, v7
	v_subrev_nc_u32_e32 v8, 28, v7
	v_sub_nc_u32_e32 v7, 29, v7
	s_delay_alu instid0(VALU_DEP_2) | instskip(NEXT) | instid1(VALU_DEP_2)
	v_lshlrev_b32_e32 v3, v8, v3
	v_cndmask_b32_e32 v7, v9, v7, vcc_lo
	s_delay_alu instid0(VALU_DEP_2) | instskip(NEXT) | instid1(VALU_DEP_1)
	v_and_b32_e32 v3, 7, v3
	v_cndmask_b32_e32 v3, v5, v3, vcc_lo
	s_delay_alu instid0(VALU_DEP_3) | instskip(NEXT) | instid1(VALU_DEP_2)
	v_lshl_add_u32 v5, v7, 23, 0x3b800000
	v_lshlrev_b32_e32 v3, 20, v3
	s_delay_alu instid0(VALU_DEP_1) | instskip(NEXT) | instid1(VALU_DEP_1)
	v_or3_b32 v1, v1, v5, v3
	v_trunc_f32_e32 v1, v1
	s_delay_alu instid0(VALU_DEP_1) | instskip(NEXT) | instid1(VALU_DEP_1)
	v_mul_f32_e64 v3, 0x2f800000, |v1|
	v_floor_f32_e32 v3, v3
	s_delay_alu instid0(VALU_DEP_1) | instskip(SKIP_1) | instid1(VALU_DEP_2)
	v_fma_f32 v3, 0xcf800000, v3, |v1|
	v_ashrrev_i32_e32 v1, 31, v1
	v_cvt_u32_f32_e32 v3, v3
	s_delay_alu instid0(VALU_DEP_1) | instskip(NEXT) | instid1(VALU_DEP_1)
	v_xor_b32_e32 v3, v3, v1
	v_sub_nc_u32_e32 v8, v3, v1
.LBB7_1645:
	s_or_b32 exec_lo, exec_lo, s10
.LBB7_1646:
	s_mov_b32 s13, -1
.LBB7_1647:
	s_branch .LBB7_1677
.LBB7_1648:
	s_cmp_gt_i32 s0, 22
	s_cbranch_scc0 .LBB7_1656
; %bb.1649:
	s_cmp_lt_i32 s0, 24
	s_cbranch_scc1 .LBB7_1659
; %bb.1650:
	s_cmp_gt_i32 s0, 24
	s_cbranch_scc0 .LBB7_1660
; %bb.1651:
	global_load_u8 v1, v[24:25], off
	s_mov_b32 s10, exec_lo
	s_wait_loadcnt 0x0
	v_cmpx_lt_i16_e32 0x7f, v1
	s_xor_b32 s10, exec_lo, s10
	s_cbranch_execz .LBB7_1671
; %bb.1652:
	v_cmp_ne_u16_e32 vcc_lo, 0x80, v1
	s_and_b32 s12, vcc_lo, exec_lo
	s_and_not1_saveexec_b32 s10, s10
	s_cbranch_execnz .LBB7_1672
.LBB7_1653:
	s_or_b32 exec_lo, exec_lo, s10
	v_mov_b32_e32 v8, 0
	s_and_saveexec_b32 s10, s12
	s_cbranch_execz .LBB7_1655
.LBB7_1654:
	v_and_b32_e32 v3, 0xffff, v1
	s_delay_alu instid0(VALU_DEP_1) | instskip(SKIP_1) | instid1(VALU_DEP_2)
	v_dual_lshlrev_b32 v1, 24, v1 :: v_dual_bitop2_b32 v5, 3, v3 bitop3:0x40
	v_bfe_u32 v9, v3, 2, 5
	v_and_b32_e32 v1, 0x80000000, v1
	s_delay_alu instid0(VALU_DEP_3) | instskip(NEXT) | instid1(VALU_DEP_3)
	v_clz_i32_u32_e32 v7, v5
	v_cmp_eq_u32_e32 vcc_lo, 0, v9
	s_delay_alu instid0(VALU_DEP_2) | instskip(NEXT) | instid1(VALU_DEP_1)
	v_min_u32_e32 v7, 32, v7
	v_subrev_nc_u32_e32 v8, 29, v7
	v_sub_nc_u32_e32 v7, 30, v7
	s_delay_alu instid0(VALU_DEP_2) | instskip(NEXT) | instid1(VALU_DEP_2)
	v_lshlrev_b32_e32 v3, v8, v3
	v_cndmask_b32_e32 v7, v9, v7, vcc_lo
	s_delay_alu instid0(VALU_DEP_2) | instskip(NEXT) | instid1(VALU_DEP_1)
	v_and_b32_e32 v3, 3, v3
	v_cndmask_b32_e32 v3, v5, v3, vcc_lo
	s_delay_alu instid0(VALU_DEP_3) | instskip(NEXT) | instid1(VALU_DEP_2)
	v_lshl_add_u32 v5, v7, 23, 0x37800000
	v_lshlrev_b32_e32 v3, 21, v3
	s_delay_alu instid0(VALU_DEP_1) | instskip(NEXT) | instid1(VALU_DEP_1)
	v_or3_b32 v1, v1, v5, v3
	v_trunc_f32_e32 v1, v1
	s_delay_alu instid0(VALU_DEP_1) | instskip(NEXT) | instid1(VALU_DEP_1)
	v_mul_f32_e64 v3, 0x2f800000, |v1|
	v_floor_f32_e32 v3, v3
	s_delay_alu instid0(VALU_DEP_1) | instskip(SKIP_1) | instid1(VALU_DEP_2)
	v_fma_f32 v3, 0xcf800000, v3, |v1|
	v_ashrrev_i32_e32 v1, 31, v1
	v_cvt_u32_f32_e32 v3, v3
	s_delay_alu instid0(VALU_DEP_1) | instskip(NEXT) | instid1(VALU_DEP_1)
	v_xor_b32_e32 v3, v3, v1
	v_sub_nc_u32_e32 v8, v3, v1
.LBB7_1655:
	s_or_b32 exec_lo, exec_lo, s10
	s_mov_b32 s10, 0
	s_branch .LBB7_1661
.LBB7_1656:
                                        ; implicit-def: $vgpr8
	s_mov_b32 s12, 0
	s_branch .LBB7_1667
.LBB7_1657:
	s_and_not1_saveexec_b32 s10, s10
	s_cbranch_execz .LBB7_1643
.LBB7_1658:
	v_cmp_ne_u16_e32 vcc_lo, 0, v1
	s_and_not1_b32 s13, s13, exec_lo
	s_and_b32 s14, vcc_lo, exec_lo
	s_delay_alu instid0(SALU_CYCLE_1)
	s_or_b32 s13, s13, s14
	s_or_b32 exec_lo, exec_lo, s10
	v_mov_b32_e32 v8, 0
	s_and_saveexec_b32 s10, s13
	s_cbranch_execnz .LBB7_1644
	s_branch .LBB7_1645
.LBB7_1659:
	s_mov_b32 s10, -1
                                        ; implicit-def: $vgpr8
	s_branch .LBB7_1664
.LBB7_1660:
	s_mov_b32 s10, -1
                                        ; implicit-def: $vgpr8
.LBB7_1661:
	s_delay_alu instid0(SALU_CYCLE_1)
	s_and_b32 vcc_lo, exec_lo, s10
	s_cbranch_vccz .LBB7_1663
; %bb.1662:
	global_load_u8 v1, v[24:25], off
	s_wait_loadcnt 0x0
	v_lshlrev_b32_e32 v1, 24, v1
	s_delay_alu instid0(VALU_DEP_1) | instskip(NEXT) | instid1(VALU_DEP_1)
	v_and_b32_e32 v3, 0x7f000000, v1
	v_clz_i32_u32_e32 v5, v3
	v_cmp_ne_u32_e32 vcc_lo, 0, v3
	v_add_nc_u32_e32 v8, 0x1000000, v3
	s_delay_alu instid0(VALU_DEP_3) | instskip(NEXT) | instid1(VALU_DEP_1)
	v_min_u32_e32 v5, 32, v5
	v_sub_nc_u32_e64 v5, v5, 4 clamp
	s_delay_alu instid0(VALU_DEP_1) | instskip(NEXT) | instid1(VALU_DEP_1)
	v_dual_lshlrev_b32 v7, v5, v3 :: v_dual_lshlrev_b32 v5, 23, v5
	v_lshrrev_b32_e32 v7, 4, v7
	s_delay_alu instid0(VALU_DEP_1) | instskip(NEXT) | instid1(VALU_DEP_1)
	v_dual_sub_nc_u32 v5, v7, v5 :: v_dual_ashrrev_i32 v7, 8, v8
	v_add_nc_u32_e32 v5, 0x3c000000, v5
	s_delay_alu instid0(VALU_DEP_1) | instskip(NEXT) | instid1(VALU_DEP_1)
	v_and_or_b32 v5, 0x7f800000, v7, v5
	v_cndmask_b32_e32 v3, 0, v5, vcc_lo
	s_delay_alu instid0(VALU_DEP_1) | instskip(NEXT) | instid1(VALU_DEP_1)
	v_and_or_b32 v1, 0x80000000, v1, v3
	v_trunc_f32_e32 v1, v1
	s_delay_alu instid0(VALU_DEP_1) | instskip(NEXT) | instid1(VALU_DEP_1)
	v_mul_f32_e64 v3, 0x2f800000, |v1|
	v_floor_f32_e32 v3, v3
	s_delay_alu instid0(VALU_DEP_1) | instskip(SKIP_1) | instid1(VALU_DEP_2)
	v_fma_f32 v3, 0xcf800000, v3, |v1|
	v_ashrrev_i32_e32 v1, 31, v1
	v_cvt_u32_f32_e32 v3, v3
	s_delay_alu instid0(VALU_DEP_1) | instskip(NEXT) | instid1(VALU_DEP_1)
	v_xor_b32_e32 v3, v3, v1
	v_sub_nc_u32_e32 v8, v3, v1
.LBB7_1663:
	s_mov_b32 s10, 0
.LBB7_1664:
	s_delay_alu instid0(SALU_CYCLE_1)
	s_and_not1_b32 vcc_lo, exec_lo, s10
	s_cbranch_vccnz .LBB7_1666
; %bb.1665:
	global_load_u8 v1, v[24:25], off
	s_wait_loadcnt 0x0
	v_lshlrev_b32_e32 v3, 25, v1
	v_lshlrev_b16 v1, 8, v1
	s_delay_alu instid0(VALU_DEP_1) | instskip(SKIP_1) | instid1(VALU_DEP_2)
	v_and_or_b32 v7, 0x7f00, v1, 0.5
	v_bfe_i32 v1, v1, 0, 16
	v_add_f32_e32 v7, -0.5, v7
	v_lshrrev_b32_e32 v5, 4, v3
	v_cmp_gt_u32_e32 vcc_lo, 0x8000000, v3
	s_delay_alu instid0(VALU_DEP_2) | instskip(NEXT) | instid1(VALU_DEP_1)
	v_or_b32_e32 v5, 0x70000000, v5
	v_mul_f32_e32 v5, 0x7800000, v5
	s_delay_alu instid0(VALU_DEP_1) | instskip(NEXT) | instid1(VALU_DEP_1)
	v_cndmask_b32_e32 v3, v5, v7, vcc_lo
	v_and_or_b32 v1, 0x80000000, v1, v3
	s_delay_alu instid0(VALU_DEP_1) | instskip(NEXT) | instid1(VALU_DEP_1)
	v_trunc_f32_e32 v1, v1
	v_mul_f32_e64 v3, 0x2f800000, |v1|
	s_delay_alu instid0(VALU_DEP_1) | instskip(NEXT) | instid1(VALU_DEP_1)
	v_floor_f32_e32 v3, v3
	v_fma_f32 v3, 0xcf800000, v3, |v1|
	v_ashrrev_i32_e32 v1, 31, v1
	s_delay_alu instid0(VALU_DEP_2) | instskip(NEXT) | instid1(VALU_DEP_1)
	v_cvt_u32_f32_e32 v3, v3
	v_xor_b32_e32 v3, v3, v1
	s_delay_alu instid0(VALU_DEP_1)
	v_sub_nc_u32_e32 v8, v3, v1
.LBB7_1666:
	s_mov_b32 s13, -1
	s_mov_b32 s12, 0
	s_cbranch_execnz .LBB7_1677
.LBB7_1667:
	s_cmp_gt_i32 s0, 14
	s_cbranch_scc0 .LBB7_1670
; %bb.1668:
	s_cmp_eq_u32 s0, 15
	s_cbranch_scc0 .LBB7_1673
; %bb.1669:
	global_load_u16 v1, v[24:25], off
	s_mov_b32 s1, 0
	s_mov_b32 s13, -1
	s_wait_loadcnt 0x0
	v_lshlrev_b32_e32 v1, 16, v1
	s_delay_alu instid0(VALU_DEP_1) | instskip(NEXT) | instid1(VALU_DEP_1)
	v_trunc_f32_e32 v1, v1
	v_mul_f32_e64 v3, 0x2f800000, |v1|
	s_delay_alu instid0(VALU_DEP_1) | instskip(NEXT) | instid1(VALU_DEP_1)
	v_floor_f32_e32 v3, v3
	v_fma_f32 v3, 0xcf800000, v3, |v1|
	v_ashrrev_i32_e32 v1, 31, v1
	s_delay_alu instid0(VALU_DEP_2) | instskip(NEXT) | instid1(VALU_DEP_1)
	v_cvt_u32_f32_e32 v3, v3
	v_xor_b32_e32 v3, v3, v1
	s_delay_alu instid0(VALU_DEP_1)
	v_sub_nc_u32_e32 v8, v3, v1
	s_branch .LBB7_1674
.LBB7_1670:
	s_mov_b32 s10, -1
                                        ; implicit-def: $vgpr8
	s_branch .LBB7_1675
.LBB7_1671:
	s_and_not1_saveexec_b32 s10, s10
	s_cbranch_execz .LBB7_1653
.LBB7_1672:
	v_cmp_ne_u16_e32 vcc_lo, 0, v1
	s_and_not1_b32 s12, s12, exec_lo
	s_and_b32 s13, vcc_lo, exec_lo
	s_delay_alu instid0(SALU_CYCLE_1)
	s_or_b32 s12, s12, s13
	s_or_b32 exec_lo, exec_lo, s10
	v_mov_b32_e32 v8, 0
	s_and_saveexec_b32 s10, s12
	s_cbranch_execnz .LBB7_1654
	s_branch .LBB7_1655
.LBB7_1673:
	s_mov_b32 s1, -1
                                        ; implicit-def: $vgpr8
.LBB7_1674:
	s_mov_b32 s10, 0
.LBB7_1675:
	s_delay_alu instid0(SALU_CYCLE_1)
	s_and_b32 vcc_lo, exec_lo, s10
	s_cbranch_vccz .LBB7_1677
; %bb.1676:
	s_cmp_lg_u32 s0, 11
	s_mov_b32 s12, -1
	s_cselect_b32 s1, -1, 0
.LBB7_1677:
	s_delay_alu instid0(SALU_CYCLE_1)
	s_and_b32 vcc_lo, exec_lo, s1
	s_mov_b32 s10, s8
	s_cbranch_vccnz .LBB7_1738
; %bb.1678:
	s_and_not1_b32 vcc_lo, exec_lo, s12
	s_cbranch_vccnz .LBB7_1680
.LBB7_1679:
	global_load_u8 v1, v[24:25], off
	s_mov_b32 s13, -1
	s_wait_loadcnt 0x0
	v_cmp_ne_u16_e32 vcc_lo, 0, v1
	v_cndmask_b32_e64 v8, 0, 1, vcc_lo
.LBB7_1680:
	s_branch .LBB7_1614
.LBB7_1681:
	s_and_b32 s0, 0xffff, s11
	s_delay_alu instid0(SALU_CYCLE_1)
	s_cmp_lt_i32 s0, 5
	s_cbranch_scc1 .LBB7_1686
; %bb.1682:
	s_cmp_lt_i32 s0, 8
	s_cbranch_scc1 .LBB7_1687
; %bb.1683:
	;; [unrolled: 3-line block ×3, first 2 shown]
	s_cmp_gt_i32 s0, 9
	s_cbranch_scc0 .LBB7_1689
; %bb.1685:
	s_wait_loadcnt 0x0
	global_load_b64 v[8:9], v[24:25], off
	s_mov_b32 s1, 0
	s_wait_loadcnt 0x0
	v_trunc_f64_e32 v[8:9], v[8:9]
	s_delay_alu instid0(VALU_DEP_1) | instskip(NEXT) | instid1(VALU_DEP_1)
	v_ldexp_f64 v[26:27], v[8:9], 0xffffffe0
	v_floor_f64_e32 v[26:27], v[26:27]
	s_delay_alu instid0(VALU_DEP_1) | instskip(NEXT) | instid1(VALU_DEP_1)
	v_fmamk_f64 v[8:9], v[26:27], 0xc1f00000, v[8:9]
	v_cvt_u32_f64_e32 v8, v[8:9]
	s_branch .LBB7_1690
.LBB7_1686:
                                        ; implicit-def: $vgpr8
	s_branch .LBB7_1707
.LBB7_1687:
                                        ; implicit-def: $vgpr8
	s_branch .LBB7_1696
.LBB7_1688:
	s_mov_b32 s1, -1
                                        ; implicit-def: $vgpr8
	s_branch .LBB7_1693
.LBB7_1689:
	s_mov_b32 s1, -1
                                        ; implicit-def: $vgpr8
.LBB7_1690:
	s_delay_alu instid0(SALU_CYCLE_1)
	s_and_not1_b32 vcc_lo, exec_lo, s1
	s_cbranch_vccnz .LBB7_1692
; %bb.1691:
	global_load_b32 v1, v[24:25], off
	s_wait_loadcnt 0x0
	v_trunc_f32_e32 v1, v1
	s_delay_alu instid0(VALU_DEP_1) | instskip(NEXT) | instid1(VALU_DEP_1)
	v_mul_f32_e64 v3, 0x2f800000, |v1|
	v_floor_f32_e32 v3, v3
	s_delay_alu instid0(VALU_DEP_1) | instskip(SKIP_1) | instid1(VALU_DEP_2)
	v_fma_f32 v3, 0xcf800000, v3, |v1|
	v_ashrrev_i32_e32 v1, 31, v1
	v_cvt_u32_f32_e32 v3, v3
	s_delay_alu instid0(VALU_DEP_1) | instskip(NEXT) | instid1(VALU_DEP_1)
	v_xor_b32_e32 v3, v3, v1
	v_sub_nc_u32_e32 v8, v3, v1
.LBB7_1692:
	s_mov_b32 s1, 0
.LBB7_1693:
	s_delay_alu instid0(SALU_CYCLE_1)
	s_and_not1_b32 vcc_lo, exec_lo, s1
	s_cbranch_vccnz .LBB7_1695
; %bb.1694:
	global_load_b32 v1, v[24:25], off
	s_wait_loadcnt 0x0
	v_cvt_f32_f16_e32 v1, v1
	s_delay_alu instid0(VALU_DEP_1)
	v_cvt_i32_f32_e32 v8, v1
.LBB7_1695:
	s_cbranch_execnz .LBB7_1706
.LBB7_1696:
	s_cmp_lt_i32 s0, 6
	s_cbranch_scc1 .LBB7_1699
; %bb.1697:
	s_cmp_gt_i32 s0, 6
	s_cbranch_scc0 .LBB7_1700
; %bb.1698:
	s_wait_loadcnt 0x0
	global_load_b64 v[8:9], v[24:25], off
	s_mov_b32 s1, 0
	s_wait_loadcnt 0x0
	v_trunc_f64_e32 v[8:9], v[8:9]
	s_delay_alu instid0(VALU_DEP_1) | instskip(NEXT) | instid1(VALU_DEP_1)
	v_ldexp_f64 v[26:27], v[8:9], 0xffffffe0
	v_floor_f64_e32 v[26:27], v[26:27]
	s_delay_alu instid0(VALU_DEP_1) | instskip(NEXT) | instid1(VALU_DEP_1)
	v_fmamk_f64 v[8:9], v[26:27], 0xc1f00000, v[8:9]
	v_cvt_u32_f64_e32 v8, v[8:9]
	s_branch .LBB7_1701
.LBB7_1699:
	s_mov_b32 s1, -1
                                        ; implicit-def: $vgpr8
	s_branch .LBB7_1704
.LBB7_1700:
	s_mov_b32 s1, -1
                                        ; implicit-def: $vgpr8
.LBB7_1701:
	s_delay_alu instid0(SALU_CYCLE_1)
	s_and_not1_b32 vcc_lo, exec_lo, s1
	s_cbranch_vccnz .LBB7_1703
; %bb.1702:
	global_load_b32 v1, v[24:25], off
	s_wait_loadcnt 0x0
	v_trunc_f32_e32 v1, v1
	s_delay_alu instid0(VALU_DEP_1) | instskip(NEXT) | instid1(VALU_DEP_1)
	v_mul_f32_e64 v3, 0x2f800000, |v1|
	v_floor_f32_e32 v3, v3
	s_delay_alu instid0(VALU_DEP_1) | instskip(SKIP_1) | instid1(VALU_DEP_2)
	v_fma_f32 v3, 0xcf800000, v3, |v1|
	v_ashrrev_i32_e32 v1, 31, v1
	v_cvt_u32_f32_e32 v3, v3
	s_delay_alu instid0(VALU_DEP_1) | instskip(NEXT) | instid1(VALU_DEP_1)
	v_xor_b32_e32 v3, v3, v1
	v_sub_nc_u32_e32 v8, v3, v1
.LBB7_1703:
	s_mov_b32 s1, 0
.LBB7_1704:
	s_delay_alu instid0(SALU_CYCLE_1)
	s_and_not1_b32 vcc_lo, exec_lo, s1
	s_cbranch_vccnz .LBB7_1706
; %bb.1705:
	global_load_u16 v1, v[24:25], off
	s_wait_loadcnt 0x0
	v_cvt_f32_f16_e32 v1, v1
	s_delay_alu instid0(VALU_DEP_1)
	v_cvt_i32_f32_e32 v8, v1
.LBB7_1706:
	s_cbranch_execnz .LBB7_1725
.LBB7_1707:
	s_cmp_lt_i32 s0, 2
	s_cbranch_scc1 .LBB7_1711
; %bb.1708:
	s_cmp_lt_i32 s0, 3
	s_cbranch_scc1 .LBB7_1712
; %bb.1709:
	s_cmp_gt_i32 s0, 3
	s_cbranch_scc0 .LBB7_1713
; %bb.1710:
	s_wait_loadcnt 0x0
	global_load_b64 v[8:9], v[24:25], off
	s_mov_b32 s1, 0
	s_branch .LBB7_1714
.LBB7_1711:
                                        ; implicit-def: $vgpr8
	s_branch .LBB7_1720
.LBB7_1712:
	s_mov_b32 s1, -1
                                        ; implicit-def: $vgpr8
	s_branch .LBB7_1717
.LBB7_1713:
	s_mov_b32 s1, -1
                                        ; implicit-def: $vgpr8
.LBB7_1714:
	s_delay_alu instid0(SALU_CYCLE_1)
	s_and_not1_b32 vcc_lo, exec_lo, s1
	s_cbranch_vccnz .LBB7_1716
; %bb.1715:
	s_wait_loadcnt 0x0
	global_load_b32 v8, v[24:25], off
.LBB7_1716:
	s_mov_b32 s1, 0
.LBB7_1717:
	s_delay_alu instid0(SALU_CYCLE_1)
	s_and_not1_b32 vcc_lo, exec_lo, s1
	s_cbranch_vccnz .LBB7_1719
; %bb.1718:
	s_wait_loadcnt 0x0
	global_load_u16 v8, v[24:25], off
.LBB7_1719:
	s_cbranch_execnz .LBB7_1725
.LBB7_1720:
	s_cmp_gt_i32 s0, 0
	s_mov_b32 s0, 0
	s_cbranch_scc0 .LBB7_1722
; %bb.1721:
	s_wait_loadcnt 0x0
	global_load_u8 v8, v[24:25], off
	s_branch .LBB7_1723
.LBB7_1722:
	s_mov_b32 s0, -1
                                        ; implicit-def: $vgpr8
.LBB7_1723:
	s_delay_alu instid0(SALU_CYCLE_1)
	s_and_not1_b32 vcc_lo, exec_lo, s0
	s_cbranch_vccnz .LBB7_1725
; %bb.1724:
	s_wait_loadcnt 0x0
	global_load_u8 v8, v[24:25], off
.LBB7_1725:
.LBB7_1726:
	v_mov_b32_e32 v13, 0
	s_load_b64 s[0:1], s[2:3], 0x198
	global_load_u8 v1, v13, s[2:3] offset:422
	s_wait_kmcnt 0x0
	v_add_nc_u64_e32 v[24:25], s[0:1], v[12:13]
	s_wait_loadcnt 0x0
	v_and_b32_e32 v3, 0xffff, v1
	v_readfirstlane_b32 s12, v1
	s_delay_alu instid0(VALU_DEP_2)
	v_cmp_gt_i32_e32 vcc_lo, 11, v3
	s_cbranch_vccnz .LBB7_1733
; %bb.1727:
	s_and_b32 s13, 0xffff, s12
	s_mov_b32 s15, 0
	s_cmp_gt_i32 s13, 25
	s_cbranch_scc0 .LBB7_1735
; %bb.1728:
	s_cmp_gt_i32 s13, 28
	s_cbranch_scc0 .LBB7_1736
; %bb.1729:
	;; [unrolled: 3-line block ×4, first 2 shown]
	s_cmp_eq_u32 s13, 46
	s_mov_b32 s17, 0
	s_cbranch_scc0 .LBB7_1742
; %bb.1732:
	global_load_b32 v1, v[24:25], off
	s_mov_b32 s14, 0
	s_mov_b32 s16, -1
	s_wait_loadcnt 0x0
	v_lshlrev_b32_e32 v1, 16, v1
	s_delay_alu instid0(VALU_DEP_1) | instskip(NEXT) | instid1(VALU_DEP_1)
	v_trunc_f32_e32 v1, v1
	v_mul_f32_e64 v3, 0x2f800000, |v1|
	s_delay_alu instid0(VALU_DEP_1) | instskip(NEXT) | instid1(VALU_DEP_1)
	v_floor_f32_e32 v3, v3
	v_fma_f32 v3, 0xcf800000, v3, |v1|
	v_ashrrev_i32_e32 v1, 31, v1
	s_delay_alu instid0(VALU_DEP_2) | instskip(NEXT) | instid1(VALU_DEP_1)
	v_cvt_u32_f32_e32 v3, v3
	v_xor_b32_e32 v3, v3, v1
	s_delay_alu instid0(VALU_DEP_1)
	v_sub_nc_u32_e32 v12, v3, v1
	s_branch .LBB7_1744
.LBB7_1733:
	s_mov_b32 s16, 0
                                        ; implicit-def: $vgpr12
	s_cbranch_execnz .LBB7_1805
.LBB7_1734:
	s_and_not1_b32 vcc_lo, exec_lo, s16
	s_cbranch_vccnz .LBB7_3047
	s_branch .LBB7_1852
.LBB7_1735:
	s_mov_b32 s16, 0
	s_mov_b32 s14, 0
                                        ; implicit-def: $vgpr12
	s_cbranch_execnz .LBB7_1771
	s_branch .LBB7_1801
.LBB7_1736:
	s_mov_b32 s17, -1
	s_mov_b32 s16, 0
	s_mov_b32 s14, 0
                                        ; implicit-def: $vgpr12
	s_branch .LBB7_1754
.LBB7_1737:
	s_mov_b32 s17, -1
	s_mov_b32 s16, 0
	s_mov_b32 s14, 0
                                        ; implicit-def: $vgpr12
	s_branch .LBB7_1749
.LBB7_1738:
	s_or_b32 s10, s8, exec_lo
	s_trap 2
	s_cbranch_execz .LBB7_1679
	s_branch .LBB7_1680
.LBB7_1739:
	s_mov_b32 s17, -1
	s_mov_b32 s16, 0
	s_mov_b32 s14, 0
	s_branch .LBB7_1743
.LBB7_1740:
	s_and_not1_saveexec_b32 s11, s11
	s_cbranch_execz .LBB7_1486
.LBB7_1741:
	v_add_f32_e32 v2, 0x42800000, v3
	s_and_not1_b32 s10, s10, exec_lo
	s_delay_alu instid0(VALU_DEP_1) | instskip(NEXT) | instid1(VALU_DEP_1)
	v_and_b32_e32 v2, 0xff, v2
	v_cmp_ne_u32_e32 vcc_lo, 0, v2
	s_and_b32 s12, vcc_lo, exec_lo
	s_delay_alu instid0(SALU_CYCLE_1)
	s_or_b32 s10, s10, s12
	s_or_b32 exec_lo, exec_lo, s11
	v_mov_b32_e32 v4, 0
	s_and_saveexec_b32 s11, s10
	s_cbranch_execnz .LBB7_1487
	s_branch .LBB7_1488
.LBB7_1742:
	s_mov_b32 s14, -1
	s_mov_b32 s16, 0
.LBB7_1743:
                                        ; implicit-def: $vgpr12
.LBB7_1744:
	s_and_b32 vcc_lo, exec_lo, s17
	s_cbranch_vccz .LBB7_1748
; %bb.1745:
	s_cmp_eq_u32 s13, 44
	s_cbranch_scc0 .LBB7_1747
; %bb.1746:
	global_load_u8 v1, v[24:25], off
	s_mov_b32 s14, 0
	s_mov_b32 s16, -1
	s_wait_loadcnt 0x0
	v_lshlrev_b32_e32 v3, 23, v1
	v_cmp_ne_u32_e32 vcc_lo, 0, v1
	s_delay_alu instid0(VALU_DEP_2) | instskip(NEXT) | instid1(VALU_DEP_1)
	v_trunc_f32_e32 v3, v3
	v_mul_f32_e64 v5, 0x2f800000, |v3|
	s_delay_alu instid0(VALU_DEP_1) | instskip(NEXT) | instid1(VALU_DEP_1)
	v_floor_f32_e32 v5, v5
	v_fma_f32 v5, 0xcf800000, v5, |v3|
	v_ashrrev_i32_e32 v3, 31, v3
	s_delay_alu instid0(VALU_DEP_2) | instskip(NEXT) | instid1(VALU_DEP_1)
	v_cvt_u32_f32_e32 v5, v5
	v_xor_b32_e32 v5, v5, v3
	s_delay_alu instid0(VALU_DEP_1) | instskip(NEXT) | instid1(VALU_DEP_1)
	v_sub_nc_u32_e32 v3, v5, v3
	v_cndmask_b32_e32 v12, 0, v3, vcc_lo
	s_branch .LBB7_1748
.LBB7_1747:
	s_mov_b32 s14, -1
                                        ; implicit-def: $vgpr12
.LBB7_1748:
	s_mov_b32 s17, 0
.LBB7_1749:
	s_delay_alu instid0(SALU_CYCLE_1)
	s_and_b32 vcc_lo, exec_lo, s17
	s_cbranch_vccz .LBB7_1753
; %bb.1750:
	s_cmp_eq_u32 s13, 29
	s_cbranch_scc0 .LBB7_1752
; %bb.1751:
	global_load_b64 v[12:13], v[24:25], off
	s_mov_b32 s14, 0
	s_mov_b32 s16, -1
	s_branch .LBB7_1753
.LBB7_1752:
	s_mov_b32 s14, -1
                                        ; implicit-def: $vgpr12
.LBB7_1753:
	s_mov_b32 s17, 0
.LBB7_1754:
	s_delay_alu instid0(SALU_CYCLE_1)
	s_and_b32 vcc_lo, exec_lo, s17
	s_cbranch_vccz .LBB7_1770
; %bb.1755:
	s_cmp_lt_i32 s13, 27
	s_cbranch_scc1 .LBB7_1758
; %bb.1756:
	s_cmp_gt_i32 s13, 27
	s_cbranch_scc0 .LBB7_1759
; %bb.1757:
	s_wait_loadcnt 0x0
	global_load_b32 v12, v[24:25], off
	s_mov_b32 s16, 0
	s_branch .LBB7_1760
.LBB7_1758:
	s_mov_b32 s16, -1
                                        ; implicit-def: $vgpr12
	s_branch .LBB7_1763
.LBB7_1759:
	s_mov_b32 s16, -1
                                        ; implicit-def: $vgpr12
.LBB7_1760:
	s_delay_alu instid0(SALU_CYCLE_1)
	s_and_not1_b32 vcc_lo, exec_lo, s16
	s_cbranch_vccnz .LBB7_1762
; %bb.1761:
	s_wait_loadcnt 0x0
	global_load_u16 v12, v[24:25], off
.LBB7_1762:
	s_mov_b32 s16, 0
.LBB7_1763:
	s_delay_alu instid0(SALU_CYCLE_1)
	s_and_not1_b32 vcc_lo, exec_lo, s16
	s_cbranch_vccnz .LBB7_1769
; %bb.1764:
	global_load_u8 v1, v[24:25], off
	s_mov_b32 s17, 0
	s_mov_b32 s16, exec_lo
	s_wait_loadcnt 0x0
	v_cmpx_lt_i16_e32 0x7f, v1
	s_xor_b32 s16, exec_lo, s16
	s_cbranch_execz .LBB7_1780
; %bb.1765:
	v_cmp_ne_u16_e32 vcc_lo, 0x80, v1
	s_and_b32 s17, vcc_lo, exec_lo
	s_and_not1_saveexec_b32 s16, s16
	s_cbranch_execnz .LBB7_1781
.LBB7_1766:
	s_or_b32 exec_lo, exec_lo, s16
	v_mov_b32_e32 v12, 0
	s_and_saveexec_b32 s16, s17
	s_cbranch_execz .LBB7_1768
.LBB7_1767:
	v_and_b32_e32 v3, 0xffff, v1
	s_delay_alu instid0(VALU_DEP_1) | instskip(SKIP_1) | instid1(VALU_DEP_2)
	v_dual_lshlrev_b32 v1, 24, v1 :: v_dual_bitop2_b32 v5, 7, v3 bitop3:0x40
	v_bfe_u32 v11, v3, 3, 4
	v_and_b32_e32 v1, 0x80000000, v1
	s_delay_alu instid0(VALU_DEP_3) | instskip(NEXT) | instid1(VALU_DEP_3)
	v_clz_i32_u32_e32 v7, v5
	v_cmp_eq_u32_e32 vcc_lo, 0, v11
	s_delay_alu instid0(VALU_DEP_2) | instskip(NEXT) | instid1(VALU_DEP_1)
	v_min_u32_e32 v7, 32, v7
	v_subrev_nc_u32_e32 v9, 28, v7
	v_sub_nc_u32_e32 v7, 29, v7
	s_delay_alu instid0(VALU_DEP_2) | instskip(NEXT) | instid1(VALU_DEP_2)
	v_lshlrev_b32_e32 v3, v9, v3
	v_cndmask_b32_e32 v7, v11, v7, vcc_lo
	s_delay_alu instid0(VALU_DEP_2) | instskip(NEXT) | instid1(VALU_DEP_1)
	v_and_b32_e32 v3, 7, v3
	v_cndmask_b32_e32 v3, v5, v3, vcc_lo
	s_delay_alu instid0(VALU_DEP_3) | instskip(NEXT) | instid1(VALU_DEP_2)
	v_lshl_add_u32 v5, v7, 23, 0x3b800000
	v_lshlrev_b32_e32 v3, 20, v3
	s_delay_alu instid0(VALU_DEP_1) | instskip(NEXT) | instid1(VALU_DEP_1)
	v_or3_b32 v1, v1, v5, v3
	v_trunc_f32_e32 v1, v1
	s_delay_alu instid0(VALU_DEP_1) | instskip(NEXT) | instid1(VALU_DEP_1)
	v_mul_f32_e64 v3, 0x2f800000, |v1|
	v_floor_f32_e32 v3, v3
	s_delay_alu instid0(VALU_DEP_1) | instskip(SKIP_1) | instid1(VALU_DEP_2)
	v_fma_f32 v3, 0xcf800000, v3, |v1|
	v_ashrrev_i32_e32 v1, 31, v1
	v_cvt_u32_f32_e32 v3, v3
	s_delay_alu instid0(VALU_DEP_1) | instskip(NEXT) | instid1(VALU_DEP_1)
	v_xor_b32_e32 v3, v3, v1
	v_sub_nc_u32_e32 v12, v3, v1
.LBB7_1768:
	s_or_b32 exec_lo, exec_lo, s16
.LBB7_1769:
	s_mov_b32 s16, -1
.LBB7_1770:
	s_branch .LBB7_1801
.LBB7_1771:
	s_cmp_gt_i32 s13, 22
	s_cbranch_scc0 .LBB7_1779
; %bb.1772:
	s_cmp_lt_i32 s13, 24
	s_cbranch_scc1 .LBB7_1782
; %bb.1773:
	s_cmp_gt_i32 s13, 24
	s_cbranch_scc0 .LBB7_1783
; %bb.1774:
	global_load_u8 v1, v[24:25], off
	s_mov_b32 s16, 0
	s_mov_b32 s15, exec_lo
	s_wait_loadcnt 0x0
	v_cmpx_lt_i16_e32 0x7f, v1
	s_xor_b32 s15, exec_lo, s15
	s_cbranch_execz .LBB7_1795
; %bb.1775:
	v_cmp_ne_u16_e32 vcc_lo, 0x80, v1
	s_and_b32 s16, vcc_lo, exec_lo
	s_and_not1_saveexec_b32 s15, s15
	s_cbranch_execnz .LBB7_1796
.LBB7_1776:
	s_or_b32 exec_lo, exec_lo, s15
	v_mov_b32_e32 v12, 0
	s_and_saveexec_b32 s15, s16
	s_cbranch_execz .LBB7_1778
.LBB7_1777:
	v_and_b32_e32 v3, 0xffff, v1
	s_delay_alu instid0(VALU_DEP_1) | instskip(SKIP_1) | instid1(VALU_DEP_2)
	v_dual_lshlrev_b32 v1, 24, v1 :: v_dual_bitop2_b32 v5, 3, v3 bitop3:0x40
	v_bfe_u32 v11, v3, 2, 5
	v_and_b32_e32 v1, 0x80000000, v1
	s_delay_alu instid0(VALU_DEP_3) | instskip(NEXT) | instid1(VALU_DEP_3)
	v_clz_i32_u32_e32 v7, v5
	v_cmp_eq_u32_e32 vcc_lo, 0, v11
	s_delay_alu instid0(VALU_DEP_2) | instskip(NEXT) | instid1(VALU_DEP_1)
	v_min_u32_e32 v7, 32, v7
	v_subrev_nc_u32_e32 v9, 29, v7
	v_sub_nc_u32_e32 v7, 30, v7
	s_delay_alu instid0(VALU_DEP_2) | instskip(NEXT) | instid1(VALU_DEP_2)
	v_lshlrev_b32_e32 v3, v9, v3
	v_cndmask_b32_e32 v7, v11, v7, vcc_lo
	s_delay_alu instid0(VALU_DEP_2) | instskip(NEXT) | instid1(VALU_DEP_1)
	v_and_b32_e32 v3, 3, v3
	v_cndmask_b32_e32 v3, v5, v3, vcc_lo
	s_delay_alu instid0(VALU_DEP_3) | instskip(NEXT) | instid1(VALU_DEP_2)
	v_lshl_add_u32 v5, v7, 23, 0x37800000
	v_lshlrev_b32_e32 v3, 21, v3
	s_delay_alu instid0(VALU_DEP_1) | instskip(NEXT) | instid1(VALU_DEP_1)
	v_or3_b32 v1, v1, v5, v3
	v_trunc_f32_e32 v1, v1
	s_delay_alu instid0(VALU_DEP_1) | instskip(NEXT) | instid1(VALU_DEP_1)
	v_mul_f32_e64 v3, 0x2f800000, |v1|
	v_floor_f32_e32 v3, v3
	s_delay_alu instid0(VALU_DEP_1) | instskip(SKIP_1) | instid1(VALU_DEP_2)
	v_fma_f32 v3, 0xcf800000, v3, |v1|
	v_ashrrev_i32_e32 v1, 31, v1
	v_cvt_u32_f32_e32 v3, v3
	s_delay_alu instid0(VALU_DEP_1) | instskip(NEXT) | instid1(VALU_DEP_1)
	v_xor_b32_e32 v3, v3, v1
	v_sub_nc_u32_e32 v12, v3, v1
.LBB7_1778:
	s_or_b32 exec_lo, exec_lo, s15
	s_mov_b32 s15, 0
	s_branch .LBB7_1784
.LBB7_1779:
	s_mov_b32 s15, -1
                                        ; implicit-def: $vgpr12
	s_branch .LBB7_1790
.LBB7_1780:
	s_and_not1_saveexec_b32 s16, s16
	s_cbranch_execz .LBB7_1766
.LBB7_1781:
	v_cmp_ne_u16_e32 vcc_lo, 0, v1
	s_and_not1_b32 s17, s17, exec_lo
	s_and_b32 s18, vcc_lo, exec_lo
	s_delay_alu instid0(SALU_CYCLE_1)
	s_or_b32 s17, s17, s18
	s_or_b32 exec_lo, exec_lo, s16
	v_mov_b32_e32 v12, 0
	s_and_saveexec_b32 s16, s17
	s_cbranch_execnz .LBB7_1767
	s_branch .LBB7_1768
.LBB7_1782:
	s_mov_b32 s15, -1
                                        ; implicit-def: $vgpr12
	s_branch .LBB7_1787
.LBB7_1783:
	s_mov_b32 s15, -1
                                        ; implicit-def: $vgpr12
.LBB7_1784:
	s_delay_alu instid0(SALU_CYCLE_1)
	s_and_b32 vcc_lo, exec_lo, s15
	s_cbranch_vccz .LBB7_1786
; %bb.1785:
	global_load_u8 v1, v[24:25], off
	s_wait_loadcnt 0x0
	v_lshlrev_b32_e32 v1, 24, v1
	s_delay_alu instid0(VALU_DEP_1) | instskip(NEXT) | instid1(VALU_DEP_1)
	v_and_b32_e32 v3, 0x7f000000, v1
	v_clz_i32_u32_e32 v5, v3
	v_add_nc_u32_e32 v9, 0x1000000, v3
	v_cmp_ne_u32_e32 vcc_lo, 0, v3
	s_delay_alu instid0(VALU_DEP_3) | instskip(NEXT) | instid1(VALU_DEP_1)
	v_min_u32_e32 v5, 32, v5
	v_sub_nc_u32_e64 v5, v5, 4 clamp
	s_delay_alu instid0(VALU_DEP_1) | instskip(NEXT) | instid1(VALU_DEP_1)
	v_dual_lshlrev_b32 v7, v5, v3 :: v_dual_lshlrev_b32 v5, 23, v5
	v_lshrrev_b32_e32 v7, 4, v7
	s_delay_alu instid0(VALU_DEP_1) | instskip(SKIP_1) | instid1(VALU_DEP_2)
	v_sub_nc_u32_e32 v5, v7, v5
	v_ashrrev_i32_e32 v7, 8, v9
	v_add_nc_u32_e32 v5, 0x3c000000, v5
	s_delay_alu instid0(VALU_DEP_1) | instskip(NEXT) | instid1(VALU_DEP_1)
	v_and_or_b32 v5, 0x7f800000, v7, v5
	v_cndmask_b32_e32 v3, 0, v5, vcc_lo
	s_delay_alu instid0(VALU_DEP_1) | instskip(NEXT) | instid1(VALU_DEP_1)
	v_and_or_b32 v1, 0x80000000, v1, v3
	v_trunc_f32_e32 v1, v1
	s_delay_alu instid0(VALU_DEP_1) | instskip(NEXT) | instid1(VALU_DEP_1)
	v_mul_f32_e64 v3, 0x2f800000, |v1|
	v_floor_f32_e32 v3, v3
	s_delay_alu instid0(VALU_DEP_1) | instskip(SKIP_1) | instid1(VALU_DEP_2)
	v_fma_f32 v3, 0xcf800000, v3, |v1|
	v_ashrrev_i32_e32 v1, 31, v1
	v_cvt_u32_f32_e32 v3, v3
	s_delay_alu instid0(VALU_DEP_1) | instskip(NEXT) | instid1(VALU_DEP_1)
	v_xor_b32_e32 v3, v3, v1
	v_sub_nc_u32_e32 v12, v3, v1
.LBB7_1786:
	s_mov_b32 s15, 0
.LBB7_1787:
	s_delay_alu instid0(SALU_CYCLE_1)
	s_and_not1_b32 vcc_lo, exec_lo, s15
	s_cbranch_vccnz .LBB7_1789
; %bb.1788:
	global_load_u8 v1, v[24:25], off
	s_wait_loadcnt 0x0
	v_lshlrev_b32_e32 v3, 25, v1
	v_lshlrev_b16 v1, 8, v1
	s_delay_alu instid0(VALU_DEP_1) | instskip(SKIP_1) | instid1(VALU_DEP_2)
	v_and_or_b32 v7, 0x7f00, v1, 0.5
	v_bfe_i32 v1, v1, 0, 16
	v_add_f32_e32 v7, -0.5, v7
	v_lshrrev_b32_e32 v5, 4, v3
	v_cmp_gt_u32_e32 vcc_lo, 0x8000000, v3
	s_delay_alu instid0(VALU_DEP_2) | instskip(NEXT) | instid1(VALU_DEP_1)
	v_or_b32_e32 v5, 0x70000000, v5
	v_mul_f32_e32 v5, 0x7800000, v5
	s_delay_alu instid0(VALU_DEP_1) | instskip(NEXT) | instid1(VALU_DEP_1)
	v_cndmask_b32_e32 v3, v5, v7, vcc_lo
	v_and_or_b32 v1, 0x80000000, v1, v3
	s_delay_alu instid0(VALU_DEP_1) | instskip(NEXT) | instid1(VALU_DEP_1)
	v_trunc_f32_e32 v1, v1
	v_mul_f32_e64 v3, 0x2f800000, |v1|
	s_delay_alu instid0(VALU_DEP_1) | instskip(NEXT) | instid1(VALU_DEP_1)
	v_floor_f32_e32 v3, v3
	v_fma_f32 v3, 0xcf800000, v3, |v1|
	v_ashrrev_i32_e32 v1, 31, v1
	s_delay_alu instid0(VALU_DEP_2) | instskip(NEXT) | instid1(VALU_DEP_1)
	v_cvt_u32_f32_e32 v3, v3
	v_xor_b32_e32 v3, v3, v1
	s_delay_alu instid0(VALU_DEP_1)
	v_sub_nc_u32_e32 v12, v3, v1
.LBB7_1789:
	s_mov_b32 s15, 0
	s_mov_b32 s16, -1
.LBB7_1790:
	s_and_not1_b32 vcc_lo, exec_lo, s15
	s_mov_b32 s15, 0
	s_cbranch_vccnz .LBB7_1801
; %bb.1791:
	s_cmp_gt_i32 s13, 14
	s_cbranch_scc0 .LBB7_1794
; %bb.1792:
	s_cmp_eq_u32 s13, 15
	s_cbranch_scc0 .LBB7_1797
; %bb.1793:
	global_load_u16 v1, v[24:25], off
	s_mov_b32 s14, 0
	s_mov_b32 s16, -1
	s_wait_loadcnt 0x0
	v_lshlrev_b32_e32 v1, 16, v1
	s_delay_alu instid0(VALU_DEP_1) | instskip(NEXT) | instid1(VALU_DEP_1)
	v_trunc_f32_e32 v1, v1
	v_mul_f32_e64 v3, 0x2f800000, |v1|
	s_delay_alu instid0(VALU_DEP_1) | instskip(NEXT) | instid1(VALU_DEP_1)
	v_floor_f32_e32 v3, v3
	v_fma_f32 v3, 0xcf800000, v3, |v1|
	v_ashrrev_i32_e32 v1, 31, v1
	s_delay_alu instid0(VALU_DEP_2) | instskip(NEXT) | instid1(VALU_DEP_1)
	v_cvt_u32_f32_e32 v3, v3
	v_xor_b32_e32 v3, v3, v1
	s_delay_alu instid0(VALU_DEP_1)
	v_sub_nc_u32_e32 v12, v3, v1
	s_branch .LBB7_1799
.LBB7_1794:
	s_mov_b32 s15, -1
	s_branch .LBB7_1798
.LBB7_1795:
	s_and_not1_saveexec_b32 s15, s15
	s_cbranch_execz .LBB7_1776
.LBB7_1796:
	v_cmp_ne_u16_e32 vcc_lo, 0, v1
	s_and_not1_b32 s16, s16, exec_lo
	s_and_b32 s17, vcc_lo, exec_lo
	s_delay_alu instid0(SALU_CYCLE_1)
	s_or_b32 s16, s16, s17
	s_or_b32 exec_lo, exec_lo, s15
	v_mov_b32_e32 v12, 0
	s_and_saveexec_b32 s15, s16
	s_cbranch_execnz .LBB7_1777
	s_branch .LBB7_1778
.LBB7_1797:
	s_mov_b32 s14, -1
.LBB7_1798:
                                        ; implicit-def: $vgpr12
.LBB7_1799:
	s_and_b32 vcc_lo, exec_lo, s15
	s_mov_b32 s15, 0
	s_cbranch_vccz .LBB7_1801
; %bb.1800:
	s_cmp_lg_u32 s13, 11
	s_mov_b32 s15, -1
	s_cselect_b32 s14, -1, 0
.LBB7_1801:
	s_delay_alu instid0(SALU_CYCLE_1)
	s_and_b32 vcc_lo, exec_lo, s14
	s_cbranch_vccnz .LBB7_1864
; %bb.1802:
	s_and_not1_b32 vcc_lo, exec_lo, s15
	s_cbranch_vccnz .LBB7_1804
.LBB7_1803:
	global_load_u8 v1, v[24:25], off
	s_mov_b32 s16, -1
	s_wait_loadcnt 0x0
	v_cmp_ne_u16_e32 vcc_lo, 0, v1
	v_cndmask_b32_e64 v12, 0, 1, vcc_lo
.LBB7_1804:
	s_branch .LBB7_1734
.LBB7_1805:
	s_and_b32 s13, 0xffff, s12
	s_delay_alu instid0(SALU_CYCLE_1)
	s_cmp_lt_i32 s13, 5
	s_cbranch_scc1 .LBB7_1810
; %bb.1806:
	s_cmp_lt_i32 s13, 8
	s_cbranch_scc1 .LBB7_1811
; %bb.1807:
	;; [unrolled: 3-line block ×3, first 2 shown]
	s_cmp_gt_i32 s13, 9
	s_cbranch_scc0 .LBB7_1813
; %bb.1809:
	s_wait_loadcnt 0x0
	global_load_b64 v[12:13], v[24:25], off
	s_mov_b32 s14, 0
	s_wait_loadcnt 0x0
	v_trunc_f64_e32 v[12:13], v[12:13]
	s_delay_alu instid0(VALU_DEP_1) | instskip(NEXT) | instid1(VALU_DEP_1)
	v_ldexp_f64 v[26:27], v[12:13], 0xffffffe0
	v_floor_f64_e32 v[26:27], v[26:27]
	s_delay_alu instid0(VALU_DEP_1) | instskip(NEXT) | instid1(VALU_DEP_1)
	v_fmamk_f64 v[12:13], v[26:27], 0xc1f00000, v[12:13]
	v_cvt_u32_f64_e32 v12, v[12:13]
	s_branch .LBB7_1814
.LBB7_1810:
                                        ; implicit-def: $vgpr12
	s_branch .LBB7_1832
.LBB7_1811:
	s_mov_b32 s14, -1
                                        ; implicit-def: $vgpr12
	s_branch .LBB7_1820
.LBB7_1812:
	s_mov_b32 s14, -1
                                        ; implicit-def: $vgpr12
	s_branch .LBB7_1817
.LBB7_1813:
	s_mov_b32 s14, -1
                                        ; implicit-def: $vgpr12
.LBB7_1814:
	s_delay_alu instid0(SALU_CYCLE_1)
	s_and_not1_b32 vcc_lo, exec_lo, s14
	s_cbranch_vccnz .LBB7_1816
; %bb.1815:
	global_load_b32 v1, v[24:25], off
	s_wait_loadcnt 0x0
	v_trunc_f32_e32 v1, v1
	s_delay_alu instid0(VALU_DEP_1) | instskip(NEXT) | instid1(VALU_DEP_1)
	v_mul_f32_e64 v3, 0x2f800000, |v1|
	v_floor_f32_e32 v3, v3
	s_delay_alu instid0(VALU_DEP_1) | instskip(SKIP_1) | instid1(VALU_DEP_2)
	v_fma_f32 v3, 0xcf800000, v3, |v1|
	v_ashrrev_i32_e32 v1, 31, v1
	v_cvt_u32_f32_e32 v3, v3
	s_delay_alu instid0(VALU_DEP_1) | instskip(NEXT) | instid1(VALU_DEP_1)
	v_xor_b32_e32 v3, v3, v1
	v_sub_nc_u32_e32 v12, v3, v1
.LBB7_1816:
	s_mov_b32 s14, 0
.LBB7_1817:
	s_delay_alu instid0(SALU_CYCLE_1)
	s_and_not1_b32 vcc_lo, exec_lo, s14
	s_cbranch_vccnz .LBB7_1819
; %bb.1818:
	global_load_b32 v1, v[24:25], off
	s_wait_loadcnt 0x0
	v_cvt_f32_f16_e32 v1, v1
	s_delay_alu instid0(VALU_DEP_1)
	v_cvt_i32_f32_e32 v12, v1
.LBB7_1819:
	s_mov_b32 s14, 0
.LBB7_1820:
	s_delay_alu instid0(SALU_CYCLE_1)
	s_and_not1_b32 vcc_lo, exec_lo, s14
	s_cbranch_vccnz .LBB7_1831
; %bb.1821:
	s_cmp_lt_i32 s13, 6
	s_cbranch_scc1 .LBB7_1824
; %bb.1822:
	s_cmp_gt_i32 s13, 6
	s_cbranch_scc0 .LBB7_1825
; %bb.1823:
	s_wait_loadcnt 0x0
	global_load_b64 v[12:13], v[24:25], off
	s_mov_b32 s14, 0
	s_wait_loadcnt 0x0
	v_trunc_f64_e32 v[12:13], v[12:13]
	s_delay_alu instid0(VALU_DEP_1) | instskip(NEXT) | instid1(VALU_DEP_1)
	v_ldexp_f64 v[26:27], v[12:13], 0xffffffe0
	v_floor_f64_e32 v[26:27], v[26:27]
	s_delay_alu instid0(VALU_DEP_1) | instskip(NEXT) | instid1(VALU_DEP_1)
	v_fmamk_f64 v[12:13], v[26:27], 0xc1f00000, v[12:13]
	v_cvt_u32_f64_e32 v12, v[12:13]
	s_branch .LBB7_1826
.LBB7_1824:
	s_mov_b32 s14, -1
                                        ; implicit-def: $vgpr12
	s_branch .LBB7_1829
.LBB7_1825:
	s_mov_b32 s14, -1
                                        ; implicit-def: $vgpr12
.LBB7_1826:
	s_delay_alu instid0(SALU_CYCLE_1)
	s_and_not1_b32 vcc_lo, exec_lo, s14
	s_cbranch_vccnz .LBB7_1828
; %bb.1827:
	global_load_b32 v1, v[24:25], off
	s_wait_loadcnt 0x0
	v_trunc_f32_e32 v1, v1
	s_delay_alu instid0(VALU_DEP_1) | instskip(NEXT) | instid1(VALU_DEP_1)
	v_mul_f32_e64 v3, 0x2f800000, |v1|
	v_floor_f32_e32 v3, v3
	s_delay_alu instid0(VALU_DEP_1) | instskip(SKIP_1) | instid1(VALU_DEP_2)
	v_fma_f32 v3, 0xcf800000, v3, |v1|
	v_ashrrev_i32_e32 v1, 31, v1
	v_cvt_u32_f32_e32 v3, v3
	s_delay_alu instid0(VALU_DEP_1) | instskip(NEXT) | instid1(VALU_DEP_1)
	v_xor_b32_e32 v3, v3, v1
	v_sub_nc_u32_e32 v12, v3, v1
.LBB7_1828:
	s_mov_b32 s14, 0
.LBB7_1829:
	s_delay_alu instid0(SALU_CYCLE_1)
	s_and_not1_b32 vcc_lo, exec_lo, s14
	s_cbranch_vccnz .LBB7_1831
; %bb.1830:
	global_load_u16 v1, v[24:25], off
	s_wait_loadcnt 0x0
	v_cvt_f32_f16_e32 v1, v1
	s_delay_alu instid0(VALU_DEP_1)
	v_cvt_i32_f32_e32 v12, v1
.LBB7_1831:
	s_cbranch_execnz .LBB7_1851
.LBB7_1832:
	s_cmp_lt_i32 s13, 2
	s_cbranch_scc1 .LBB7_1836
; %bb.1833:
	s_cmp_lt_i32 s13, 3
	s_cbranch_scc1 .LBB7_1837
; %bb.1834:
	s_cmp_gt_i32 s13, 3
	s_cbranch_scc0 .LBB7_1838
; %bb.1835:
	s_wait_loadcnt 0x0
	global_load_b64 v[12:13], v[24:25], off
	s_mov_b32 s14, 0
	s_branch .LBB7_1839
.LBB7_1836:
	s_mov_b32 s14, -1
                                        ; implicit-def: $vgpr12
	s_branch .LBB7_1845
.LBB7_1837:
	s_mov_b32 s14, -1
                                        ; implicit-def: $vgpr12
	s_branch .LBB7_1842
.LBB7_1838:
	s_mov_b32 s14, -1
                                        ; implicit-def: $vgpr12
.LBB7_1839:
	s_delay_alu instid0(SALU_CYCLE_1)
	s_and_not1_b32 vcc_lo, exec_lo, s14
	s_cbranch_vccnz .LBB7_1841
; %bb.1840:
	s_wait_loadcnt 0x0
	global_load_b32 v12, v[24:25], off
.LBB7_1841:
	s_mov_b32 s14, 0
.LBB7_1842:
	s_delay_alu instid0(SALU_CYCLE_1)
	s_and_not1_b32 vcc_lo, exec_lo, s14
	s_cbranch_vccnz .LBB7_1844
; %bb.1843:
	s_wait_loadcnt 0x0
	global_load_u16 v12, v[24:25], off
.LBB7_1844:
	s_mov_b32 s14, 0
.LBB7_1845:
	s_delay_alu instid0(SALU_CYCLE_1)
	s_and_not1_b32 vcc_lo, exec_lo, s14
	s_cbranch_vccnz .LBB7_1851
; %bb.1846:
	s_cmp_gt_i32 s13, 0
	s_mov_b32 s13, 0
	s_cbranch_scc0 .LBB7_1848
; %bb.1847:
	s_wait_loadcnt 0x0
	global_load_u8 v12, v[24:25], off
	s_branch .LBB7_1849
.LBB7_1848:
	s_mov_b32 s13, -1
                                        ; implicit-def: $vgpr12
.LBB7_1849:
	s_delay_alu instid0(SALU_CYCLE_1)
	s_and_not1_b32 vcc_lo, exec_lo, s13
	s_cbranch_vccnz .LBB7_1851
; %bb.1850:
	s_wait_loadcnt 0x0
	global_load_u8 v12, v[24:25], off
.LBB7_1851:
.LBB7_1852:
	v_mov_b32_e32 v15, 0
	s_and_b32 s11, 0xffff, s11
	s_delay_alu instid0(SALU_CYCLE_1) | instskip(SKIP_1) | instid1(VALU_DEP_1)
	s_cmp_lt_i32 s11, 11
	s_wait_xcnt 0x0
	v_add_nc_u64_e32 v[24:25], s[6:7], v[14:15]
	s_cbranch_scc1 .LBB7_1859
; %bb.1853:
	s_cmp_gt_i32 s11, 25
	s_mov_b32 s14, 0
	s_cbranch_scc0 .LBB7_1861
; %bb.1854:
	s_cmp_gt_i32 s11, 28
	s_cbranch_scc0 .LBB7_1862
; %bb.1855:
	s_cmp_gt_i32 s11, 43
	;; [unrolled: 3-line block ×3, first 2 shown]
	s_cbranch_scc0 .LBB7_1865
; %bb.1857:
	s_cmp_eq_u32 s11, 46
	s_mov_b32 s16, 0
	s_cbranch_scc0 .LBB7_1866
; %bb.1858:
	global_load_b32 v1, v[24:25], off
	s_mov_b32 s13, 0
	s_mov_b32 s15, -1
	s_wait_loadcnt 0x0
	v_lshlrev_b32_e32 v1, 16, v1
	s_delay_alu instid0(VALU_DEP_1) | instskip(NEXT) | instid1(VALU_DEP_1)
	v_trunc_f32_e32 v1, v1
	v_mul_f32_e64 v3, 0x2f800000, |v1|
	s_delay_alu instid0(VALU_DEP_1) | instskip(NEXT) | instid1(VALU_DEP_1)
	v_floor_f32_e32 v3, v3
	v_fma_f32 v3, 0xcf800000, v3, |v1|
	v_ashrrev_i32_e32 v1, 31, v1
	s_delay_alu instid0(VALU_DEP_2) | instskip(NEXT) | instid1(VALU_DEP_1)
	v_cvt_u32_f32_e32 v3, v3
	v_xor_b32_e32 v3, v3, v1
	s_delay_alu instid0(VALU_DEP_1)
	v_sub_nc_u32_e32 v14, v3, v1
	s_branch .LBB7_1868
.LBB7_1859:
	s_mov_b32 s15, 0
                                        ; implicit-def: $vgpr14
	s_cbranch_execnz .LBB7_1930
.LBB7_1860:
	s_and_not1_b32 vcc_lo, exec_lo, s15
	s_cbranch_vccnz .LBB7_3047
	s_branch .LBB7_1978
.LBB7_1861:
	s_mov_b32 s16, -1
	s_mov_b32 s15, 0
	s_mov_b32 s13, 0
                                        ; implicit-def: $vgpr14
	s_branch .LBB7_1895
.LBB7_1862:
	s_mov_b32 s16, -1
	s_mov_b32 s15, 0
	s_mov_b32 s13, 0
                                        ; implicit-def: $vgpr14
	s_branch .LBB7_1878
.LBB7_1863:
	s_mov_b32 s16, -1
	s_mov_b32 s15, 0
	s_mov_b32 s13, 0
                                        ; implicit-def: $vgpr14
	s_branch .LBB7_1873
.LBB7_1864:
	s_or_b32 s10, s10, exec_lo
	s_trap 2
	s_cbranch_execz .LBB7_1803
	s_branch .LBB7_1804
.LBB7_1865:
	s_mov_b32 s16, -1
	s_mov_b32 s15, 0
	s_mov_b32 s13, 0
	s_branch .LBB7_1867
.LBB7_1866:
	s_mov_b32 s13, -1
	s_mov_b32 s15, 0
.LBB7_1867:
                                        ; implicit-def: $vgpr14
.LBB7_1868:
	s_and_b32 vcc_lo, exec_lo, s16
	s_cbranch_vccz .LBB7_1872
; %bb.1869:
	s_cmp_eq_u32 s11, 44
	s_cbranch_scc0 .LBB7_1871
; %bb.1870:
	global_load_u8 v1, v[24:25], off
	s_mov_b32 s13, 0
	s_mov_b32 s15, -1
	s_wait_loadcnt 0x0
	v_lshlrev_b32_e32 v3, 23, v1
	v_cmp_ne_u32_e32 vcc_lo, 0, v1
	s_delay_alu instid0(VALU_DEP_2) | instskip(NEXT) | instid1(VALU_DEP_1)
	v_trunc_f32_e32 v3, v3
	v_mul_f32_e64 v5, 0x2f800000, |v3|
	s_delay_alu instid0(VALU_DEP_1) | instskip(NEXT) | instid1(VALU_DEP_1)
	v_floor_f32_e32 v5, v5
	v_fma_f32 v5, 0xcf800000, v5, |v3|
	v_ashrrev_i32_e32 v3, 31, v3
	s_delay_alu instid0(VALU_DEP_2) | instskip(NEXT) | instid1(VALU_DEP_1)
	v_cvt_u32_f32_e32 v5, v5
	v_xor_b32_e32 v5, v5, v3
	s_delay_alu instid0(VALU_DEP_1) | instskip(NEXT) | instid1(VALU_DEP_1)
	v_sub_nc_u32_e32 v3, v5, v3
	v_cndmask_b32_e32 v14, 0, v3, vcc_lo
	s_branch .LBB7_1872
.LBB7_1871:
	s_mov_b32 s13, -1
                                        ; implicit-def: $vgpr14
.LBB7_1872:
	s_mov_b32 s16, 0
.LBB7_1873:
	s_delay_alu instid0(SALU_CYCLE_1)
	s_and_b32 vcc_lo, exec_lo, s16
	s_cbranch_vccz .LBB7_1877
; %bb.1874:
	s_cmp_eq_u32 s11, 29
	s_cbranch_scc0 .LBB7_1876
; %bb.1875:
	global_load_b64 v[14:15], v[24:25], off
	s_mov_b32 s13, 0
	s_mov_b32 s15, -1
	s_branch .LBB7_1877
.LBB7_1876:
	s_mov_b32 s13, -1
                                        ; implicit-def: $vgpr14
.LBB7_1877:
	s_mov_b32 s16, 0
.LBB7_1878:
	s_delay_alu instid0(SALU_CYCLE_1)
	s_and_b32 vcc_lo, exec_lo, s16
	s_cbranch_vccz .LBB7_1894
; %bb.1879:
	s_cmp_lt_i32 s11, 27
	s_cbranch_scc1 .LBB7_1882
; %bb.1880:
	s_cmp_gt_i32 s11, 27
	s_cbranch_scc0 .LBB7_1883
; %bb.1881:
	s_wait_loadcnt 0x0
	global_load_b32 v14, v[24:25], off
	s_mov_b32 s15, 0
	s_branch .LBB7_1884
.LBB7_1882:
	s_mov_b32 s15, -1
                                        ; implicit-def: $vgpr14
	s_branch .LBB7_1887
.LBB7_1883:
	s_mov_b32 s15, -1
                                        ; implicit-def: $vgpr14
.LBB7_1884:
	s_delay_alu instid0(SALU_CYCLE_1)
	s_and_not1_b32 vcc_lo, exec_lo, s15
	s_cbranch_vccnz .LBB7_1886
; %bb.1885:
	s_wait_loadcnt 0x0
	global_load_u16 v14, v[24:25], off
.LBB7_1886:
	s_mov_b32 s15, 0
.LBB7_1887:
	s_delay_alu instid0(SALU_CYCLE_1)
	s_and_not1_b32 vcc_lo, exec_lo, s15
	s_cbranch_vccnz .LBB7_1893
; %bb.1888:
	global_load_u8 v1, v[24:25], off
	s_mov_b32 s16, 0
	s_mov_b32 s15, exec_lo
	s_wait_loadcnt 0x0
	v_cmpx_lt_i16_e32 0x7f, v1
	s_xor_b32 s15, exec_lo, s15
	s_cbranch_execz .LBB7_1905
; %bb.1889:
	v_cmp_ne_u16_e32 vcc_lo, 0x80, v1
	s_and_b32 s16, vcc_lo, exec_lo
	s_and_not1_saveexec_b32 s15, s15
	s_cbranch_execnz .LBB7_1906
.LBB7_1890:
	s_or_b32 exec_lo, exec_lo, s15
	v_mov_b32_e32 v14, 0
	s_and_saveexec_b32 s15, s16
	s_cbranch_execz .LBB7_1892
.LBB7_1891:
	v_and_b32_e32 v3, 0xffff, v1
	s_delay_alu instid0(VALU_DEP_1) | instskip(SKIP_1) | instid1(VALU_DEP_2)
	v_dual_lshlrev_b32 v1, 24, v1 :: v_dual_bitop2_b32 v5, 7, v3 bitop3:0x40
	v_bfe_u32 v11, v3, 3, 4
	v_and_b32_e32 v1, 0x80000000, v1
	s_delay_alu instid0(VALU_DEP_3) | instskip(NEXT) | instid1(VALU_DEP_3)
	v_clz_i32_u32_e32 v7, v5
	v_cmp_eq_u32_e32 vcc_lo, 0, v11
	s_delay_alu instid0(VALU_DEP_2) | instskip(NEXT) | instid1(VALU_DEP_1)
	v_min_u32_e32 v7, 32, v7
	v_subrev_nc_u32_e32 v9, 28, v7
	v_sub_nc_u32_e32 v7, 29, v7
	s_delay_alu instid0(VALU_DEP_2) | instskip(NEXT) | instid1(VALU_DEP_2)
	v_lshlrev_b32_e32 v3, v9, v3
	v_cndmask_b32_e32 v7, v11, v7, vcc_lo
	s_delay_alu instid0(VALU_DEP_2) | instskip(NEXT) | instid1(VALU_DEP_1)
	v_and_b32_e32 v3, 7, v3
	v_cndmask_b32_e32 v3, v5, v3, vcc_lo
	s_delay_alu instid0(VALU_DEP_3) | instskip(NEXT) | instid1(VALU_DEP_2)
	v_lshl_add_u32 v5, v7, 23, 0x3b800000
	v_lshlrev_b32_e32 v3, 20, v3
	s_delay_alu instid0(VALU_DEP_1) | instskip(NEXT) | instid1(VALU_DEP_1)
	v_or3_b32 v1, v1, v5, v3
	v_trunc_f32_e32 v1, v1
	s_delay_alu instid0(VALU_DEP_1) | instskip(NEXT) | instid1(VALU_DEP_1)
	v_mul_f32_e64 v3, 0x2f800000, |v1|
	v_floor_f32_e32 v3, v3
	s_delay_alu instid0(VALU_DEP_1) | instskip(SKIP_1) | instid1(VALU_DEP_2)
	v_fma_f32 v3, 0xcf800000, v3, |v1|
	v_ashrrev_i32_e32 v1, 31, v1
	v_cvt_u32_f32_e32 v3, v3
	s_delay_alu instid0(VALU_DEP_1) | instskip(NEXT) | instid1(VALU_DEP_1)
	v_xor_b32_e32 v3, v3, v1
	v_sub_nc_u32_e32 v14, v3, v1
.LBB7_1892:
	s_or_b32 exec_lo, exec_lo, s15
.LBB7_1893:
	s_mov_b32 s15, -1
.LBB7_1894:
	s_mov_b32 s16, 0
.LBB7_1895:
	s_delay_alu instid0(SALU_CYCLE_1)
	s_and_b32 vcc_lo, exec_lo, s16
	s_cbranch_vccz .LBB7_1926
; %bb.1896:
	s_cmp_gt_i32 s11, 22
	s_cbranch_scc0 .LBB7_1904
; %bb.1897:
	s_cmp_lt_i32 s11, 24
	s_cbranch_scc1 .LBB7_1907
; %bb.1898:
	s_cmp_gt_i32 s11, 24
	s_cbranch_scc0 .LBB7_1908
; %bb.1899:
	global_load_u8 v1, v[24:25], off
	s_mov_b32 s15, 0
	s_mov_b32 s14, exec_lo
	s_wait_loadcnt 0x0
	v_cmpx_lt_i16_e32 0x7f, v1
	s_xor_b32 s14, exec_lo, s14
	s_cbranch_execz .LBB7_1920
; %bb.1900:
	v_cmp_ne_u16_e32 vcc_lo, 0x80, v1
	s_and_b32 s15, vcc_lo, exec_lo
	s_and_not1_saveexec_b32 s14, s14
	s_cbranch_execnz .LBB7_1921
.LBB7_1901:
	s_or_b32 exec_lo, exec_lo, s14
	v_mov_b32_e32 v14, 0
	s_and_saveexec_b32 s14, s15
	s_cbranch_execz .LBB7_1903
.LBB7_1902:
	v_and_b32_e32 v3, 0xffff, v1
	s_delay_alu instid0(VALU_DEP_1) | instskip(SKIP_1) | instid1(VALU_DEP_2)
	v_dual_lshlrev_b32 v1, 24, v1 :: v_dual_bitop2_b32 v5, 3, v3 bitop3:0x40
	v_bfe_u32 v11, v3, 2, 5
	v_and_b32_e32 v1, 0x80000000, v1
	s_delay_alu instid0(VALU_DEP_3) | instskip(NEXT) | instid1(VALU_DEP_3)
	v_clz_i32_u32_e32 v7, v5
	v_cmp_eq_u32_e32 vcc_lo, 0, v11
	s_delay_alu instid0(VALU_DEP_2) | instskip(NEXT) | instid1(VALU_DEP_1)
	v_min_u32_e32 v7, 32, v7
	v_subrev_nc_u32_e32 v9, 29, v7
	v_sub_nc_u32_e32 v7, 30, v7
	s_delay_alu instid0(VALU_DEP_2) | instskip(NEXT) | instid1(VALU_DEP_2)
	v_lshlrev_b32_e32 v3, v9, v3
	v_cndmask_b32_e32 v7, v11, v7, vcc_lo
	s_delay_alu instid0(VALU_DEP_2) | instskip(NEXT) | instid1(VALU_DEP_1)
	v_and_b32_e32 v3, 3, v3
	v_cndmask_b32_e32 v3, v5, v3, vcc_lo
	s_delay_alu instid0(VALU_DEP_3) | instskip(NEXT) | instid1(VALU_DEP_2)
	v_lshl_add_u32 v5, v7, 23, 0x37800000
	v_lshlrev_b32_e32 v3, 21, v3
	s_delay_alu instid0(VALU_DEP_1) | instskip(NEXT) | instid1(VALU_DEP_1)
	v_or3_b32 v1, v1, v5, v3
	v_trunc_f32_e32 v1, v1
	s_delay_alu instid0(VALU_DEP_1) | instskip(NEXT) | instid1(VALU_DEP_1)
	v_mul_f32_e64 v3, 0x2f800000, |v1|
	v_floor_f32_e32 v3, v3
	s_delay_alu instid0(VALU_DEP_1) | instskip(SKIP_1) | instid1(VALU_DEP_2)
	v_fma_f32 v3, 0xcf800000, v3, |v1|
	v_ashrrev_i32_e32 v1, 31, v1
	v_cvt_u32_f32_e32 v3, v3
	s_delay_alu instid0(VALU_DEP_1) | instskip(NEXT) | instid1(VALU_DEP_1)
	v_xor_b32_e32 v3, v3, v1
	v_sub_nc_u32_e32 v14, v3, v1
.LBB7_1903:
	s_or_b32 exec_lo, exec_lo, s14
	s_mov_b32 s14, 0
	s_branch .LBB7_1909
.LBB7_1904:
	s_mov_b32 s14, -1
                                        ; implicit-def: $vgpr14
	s_branch .LBB7_1915
.LBB7_1905:
	s_and_not1_saveexec_b32 s15, s15
	s_cbranch_execz .LBB7_1890
.LBB7_1906:
	v_cmp_ne_u16_e32 vcc_lo, 0, v1
	s_and_not1_b32 s16, s16, exec_lo
	s_and_b32 s17, vcc_lo, exec_lo
	s_delay_alu instid0(SALU_CYCLE_1)
	s_or_b32 s16, s16, s17
	s_or_b32 exec_lo, exec_lo, s15
	v_mov_b32_e32 v14, 0
	s_and_saveexec_b32 s15, s16
	s_cbranch_execnz .LBB7_1891
	s_branch .LBB7_1892
.LBB7_1907:
	s_mov_b32 s14, -1
                                        ; implicit-def: $vgpr14
	s_branch .LBB7_1912
.LBB7_1908:
	s_mov_b32 s14, -1
                                        ; implicit-def: $vgpr14
.LBB7_1909:
	s_delay_alu instid0(SALU_CYCLE_1)
	s_and_b32 vcc_lo, exec_lo, s14
	s_cbranch_vccz .LBB7_1911
; %bb.1910:
	global_load_u8 v1, v[24:25], off
	s_wait_loadcnt 0x0
	v_lshlrev_b32_e32 v1, 24, v1
	s_delay_alu instid0(VALU_DEP_1) | instskip(NEXT) | instid1(VALU_DEP_1)
	v_and_b32_e32 v3, 0x7f000000, v1
	v_clz_i32_u32_e32 v5, v3
	v_add_nc_u32_e32 v9, 0x1000000, v3
	v_cmp_ne_u32_e32 vcc_lo, 0, v3
	s_delay_alu instid0(VALU_DEP_3) | instskip(NEXT) | instid1(VALU_DEP_1)
	v_min_u32_e32 v5, 32, v5
	v_sub_nc_u32_e64 v5, v5, 4 clamp
	s_delay_alu instid0(VALU_DEP_1) | instskip(NEXT) | instid1(VALU_DEP_1)
	v_dual_lshlrev_b32 v7, v5, v3 :: v_dual_lshlrev_b32 v5, 23, v5
	v_lshrrev_b32_e32 v7, 4, v7
	s_delay_alu instid0(VALU_DEP_1) | instskip(SKIP_1) | instid1(VALU_DEP_2)
	v_sub_nc_u32_e32 v5, v7, v5
	v_ashrrev_i32_e32 v7, 8, v9
	v_add_nc_u32_e32 v5, 0x3c000000, v5
	s_delay_alu instid0(VALU_DEP_1) | instskip(NEXT) | instid1(VALU_DEP_1)
	v_and_or_b32 v5, 0x7f800000, v7, v5
	v_cndmask_b32_e32 v3, 0, v5, vcc_lo
	s_delay_alu instid0(VALU_DEP_1) | instskip(NEXT) | instid1(VALU_DEP_1)
	v_and_or_b32 v1, 0x80000000, v1, v3
	v_trunc_f32_e32 v1, v1
	s_delay_alu instid0(VALU_DEP_1) | instskip(NEXT) | instid1(VALU_DEP_1)
	v_mul_f32_e64 v3, 0x2f800000, |v1|
	v_floor_f32_e32 v3, v3
	s_delay_alu instid0(VALU_DEP_1) | instskip(SKIP_1) | instid1(VALU_DEP_2)
	v_fma_f32 v3, 0xcf800000, v3, |v1|
	v_ashrrev_i32_e32 v1, 31, v1
	v_cvt_u32_f32_e32 v3, v3
	s_delay_alu instid0(VALU_DEP_1) | instskip(NEXT) | instid1(VALU_DEP_1)
	v_xor_b32_e32 v3, v3, v1
	v_sub_nc_u32_e32 v14, v3, v1
.LBB7_1911:
	s_mov_b32 s14, 0
.LBB7_1912:
	s_delay_alu instid0(SALU_CYCLE_1)
	s_and_not1_b32 vcc_lo, exec_lo, s14
	s_cbranch_vccnz .LBB7_1914
; %bb.1913:
	global_load_u8 v1, v[24:25], off
	s_wait_loadcnt 0x0
	v_lshlrev_b32_e32 v3, 25, v1
	v_lshlrev_b16 v1, 8, v1
	s_delay_alu instid0(VALU_DEP_1) | instskip(SKIP_1) | instid1(VALU_DEP_2)
	v_and_or_b32 v7, 0x7f00, v1, 0.5
	v_bfe_i32 v1, v1, 0, 16
	v_add_f32_e32 v7, -0.5, v7
	v_lshrrev_b32_e32 v5, 4, v3
	v_cmp_gt_u32_e32 vcc_lo, 0x8000000, v3
	s_delay_alu instid0(VALU_DEP_2) | instskip(NEXT) | instid1(VALU_DEP_1)
	v_or_b32_e32 v5, 0x70000000, v5
	v_mul_f32_e32 v5, 0x7800000, v5
	s_delay_alu instid0(VALU_DEP_1) | instskip(NEXT) | instid1(VALU_DEP_1)
	v_cndmask_b32_e32 v3, v5, v7, vcc_lo
	v_and_or_b32 v1, 0x80000000, v1, v3
	s_delay_alu instid0(VALU_DEP_1) | instskip(NEXT) | instid1(VALU_DEP_1)
	v_trunc_f32_e32 v1, v1
	v_mul_f32_e64 v3, 0x2f800000, |v1|
	s_delay_alu instid0(VALU_DEP_1) | instskip(NEXT) | instid1(VALU_DEP_1)
	v_floor_f32_e32 v3, v3
	v_fma_f32 v3, 0xcf800000, v3, |v1|
	v_ashrrev_i32_e32 v1, 31, v1
	s_delay_alu instid0(VALU_DEP_2) | instskip(NEXT) | instid1(VALU_DEP_1)
	v_cvt_u32_f32_e32 v3, v3
	v_xor_b32_e32 v3, v3, v1
	s_delay_alu instid0(VALU_DEP_1)
	v_sub_nc_u32_e32 v14, v3, v1
.LBB7_1914:
	s_mov_b32 s14, 0
	s_mov_b32 s15, -1
.LBB7_1915:
	s_and_not1_b32 vcc_lo, exec_lo, s14
	s_mov_b32 s14, 0
	s_cbranch_vccnz .LBB7_1926
; %bb.1916:
	s_cmp_gt_i32 s11, 14
	s_cbranch_scc0 .LBB7_1919
; %bb.1917:
	s_cmp_eq_u32 s11, 15
	s_cbranch_scc0 .LBB7_1922
; %bb.1918:
	global_load_u16 v1, v[24:25], off
	s_mov_b32 s13, 0
	s_mov_b32 s15, -1
	s_wait_loadcnt 0x0
	v_lshlrev_b32_e32 v1, 16, v1
	s_delay_alu instid0(VALU_DEP_1) | instskip(NEXT) | instid1(VALU_DEP_1)
	v_trunc_f32_e32 v1, v1
	v_mul_f32_e64 v3, 0x2f800000, |v1|
	s_delay_alu instid0(VALU_DEP_1) | instskip(NEXT) | instid1(VALU_DEP_1)
	v_floor_f32_e32 v3, v3
	v_fma_f32 v3, 0xcf800000, v3, |v1|
	v_ashrrev_i32_e32 v1, 31, v1
	s_delay_alu instid0(VALU_DEP_2) | instskip(NEXT) | instid1(VALU_DEP_1)
	v_cvt_u32_f32_e32 v3, v3
	v_xor_b32_e32 v3, v3, v1
	s_delay_alu instid0(VALU_DEP_1)
	v_sub_nc_u32_e32 v14, v3, v1
	s_branch .LBB7_1924
.LBB7_1919:
	s_mov_b32 s14, -1
	s_branch .LBB7_1923
.LBB7_1920:
	s_and_not1_saveexec_b32 s14, s14
	s_cbranch_execz .LBB7_1901
.LBB7_1921:
	v_cmp_ne_u16_e32 vcc_lo, 0, v1
	s_and_not1_b32 s15, s15, exec_lo
	s_and_b32 s16, vcc_lo, exec_lo
	s_delay_alu instid0(SALU_CYCLE_1)
	s_or_b32 s15, s15, s16
	s_or_b32 exec_lo, exec_lo, s14
	v_mov_b32_e32 v14, 0
	s_and_saveexec_b32 s14, s15
	s_cbranch_execnz .LBB7_1902
	s_branch .LBB7_1903
.LBB7_1922:
	s_mov_b32 s13, -1
.LBB7_1923:
                                        ; implicit-def: $vgpr14
.LBB7_1924:
	s_and_b32 vcc_lo, exec_lo, s14
	s_mov_b32 s14, 0
	s_cbranch_vccz .LBB7_1926
; %bb.1925:
	s_cmp_lg_u32 s11, 11
	s_mov_b32 s14, -1
	s_cselect_b32 s13, -1, 0
.LBB7_1926:
	s_delay_alu instid0(SALU_CYCLE_1)
	s_and_b32 vcc_lo, exec_lo, s13
	s_cbranch_vccnz .LBB7_1989
; %bb.1927:
	s_and_not1_b32 vcc_lo, exec_lo, s14
	s_cbranch_vccnz .LBB7_1929
.LBB7_1928:
	global_load_u8 v1, v[24:25], off
	s_mov_b32 s15, -1
	s_wait_loadcnt 0x0
	v_cmp_ne_u16_e32 vcc_lo, 0, v1
	v_cndmask_b32_e64 v14, 0, 1, vcc_lo
.LBB7_1929:
	s_branch .LBB7_1860
.LBB7_1930:
	s_cmp_lt_i32 s11, 5
	s_cbranch_scc1 .LBB7_1935
; %bb.1931:
	s_cmp_lt_i32 s11, 8
	s_cbranch_scc1 .LBB7_1936
; %bb.1932:
	;; [unrolled: 3-line block ×3, first 2 shown]
	s_cmp_gt_i32 s11, 9
	s_cbranch_scc0 .LBB7_1938
; %bb.1934:
	s_wait_loadcnt 0x0
	global_load_b64 v[14:15], v[24:25], off
	s_mov_b32 s13, 0
	s_wait_loadcnt 0x0
	v_trunc_f64_e32 v[14:15], v[14:15]
	s_delay_alu instid0(VALU_DEP_1) | instskip(NEXT) | instid1(VALU_DEP_1)
	v_ldexp_f64 v[26:27], v[14:15], 0xffffffe0
	v_floor_f64_e32 v[26:27], v[26:27]
	s_delay_alu instid0(VALU_DEP_1) | instskip(NEXT) | instid1(VALU_DEP_1)
	v_fmamk_f64 v[14:15], v[26:27], 0xc1f00000, v[14:15]
	v_cvt_u32_f64_e32 v14, v[14:15]
	s_branch .LBB7_1939
.LBB7_1935:
	s_mov_b32 s13, -1
                                        ; implicit-def: $vgpr14
	s_branch .LBB7_1957
.LBB7_1936:
	s_mov_b32 s13, -1
                                        ; implicit-def: $vgpr14
	s_branch .LBB7_1945
.LBB7_1937:
	s_mov_b32 s13, -1
                                        ; implicit-def: $vgpr14
	s_branch .LBB7_1942
.LBB7_1938:
	s_mov_b32 s13, -1
                                        ; implicit-def: $vgpr14
.LBB7_1939:
	s_delay_alu instid0(SALU_CYCLE_1)
	s_and_not1_b32 vcc_lo, exec_lo, s13
	s_cbranch_vccnz .LBB7_1941
; %bb.1940:
	global_load_b32 v1, v[24:25], off
	s_wait_loadcnt 0x0
	v_trunc_f32_e32 v1, v1
	s_delay_alu instid0(VALU_DEP_1) | instskip(NEXT) | instid1(VALU_DEP_1)
	v_mul_f32_e64 v3, 0x2f800000, |v1|
	v_floor_f32_e32 v3, v3
	s_delay_alu instid0(VALU_DEP_1) | instskip(SKIP_1) | instid1(VALU_DEP_2)
	v_fma_f32 v3, 0xcf800000, v3, |v1|
	v_ashrrev_i32_e32 v1, 31, v1
	v_cvt_u32_f32_e32 v3, v3
	s_delay_alu instid0(VALU_DEP_1) | instskip(NEXT) | instid1(VALU_DEP_1)
	v_xor_b32_e32 v3, v3, v1
	v_sub_nc_u32_e32 v14, v3, v1
.LBB7_1941:
	s_mov_b32 s13, 0
.LBB7_1942:
	s_delay_alu instid0(SALU_CYCLE_1)
	s_and_not1_b32 vcc_lo, exec_lo, s13
	s_cbranch_vccnz .LBB7_1944
; %bb.1943:
	global_load_b32 v1, v[24:25], off
	s_wait_loadcnt 0x0
	v_cvt_f32_f16_e32 v1, v1
	s_delay_alu instid0(VALU_DEP_1)
	v_cvt_i32_f32_e32 v14, v1
.LBB7_1944:
	s_mov_b32 s13, 0
.LBB7_1945:
	s_delay_alu instid0(SALU_CYCLE_1)
	s_and_not1_b32 vcc_lo, exec_lo, s13
	s_cbranch_vccnz .LBB7_1956
; %bb.1946:
	s_cmp_lt_i32 s11, 6
	s_cbranch_scc1 .LBB7_1949
; %bb.1947:
	s_cmp_gt_i32 s11, 6
	s_cbranch_scc0 .LBB7_1950
; %bb.1948:
	s_wait_loadcnt 0x0
	global_load_b64 v[14:15], v[24:25], off
	s_mov_b32 s13, 0
	s_wait_loadcnt 0x0
	v_trunc_f64_e32 v[14:15], v[14:15]
	s_delay_alu instid0(VALU_DEP_1) | instskip(NEXT) | instid1(VALU_DEP_1)
	v_ldexp_f64 v[26:27], v[14:15], 0xffffffe0
	v_floor_f64_e32 v[26:27], v[26:27]
	s_delay_alu instid0(VALU_DEP_1) | instskip(NEXT) | instid1(VALU_DEP_1)
	v_fmamk_f64 v[14:15], v[26:27], 0xc1f00000, v[14:15]
	v_cvt_u32_f64_e32 v14, v[14:15]
	s_branch .LBB7_1951
.LBB7_1949:
	s_mov_b32 s13, -1
                                        ; implicit-def: $vgpr14
	s_branch .LBB7_1954
.LBB7_1950:
	s_mov_b32 s13, -1
                                        ; implicit-def: $vgpr14
.LBB7_1951:
	s_delay_alu instid0(SALU_CYCLE_1)
	s_and_not1_b32 vcc_lo, exec_lo, s13
	s_cbranch_vccnz .LBB7_1953
; %bb.1952:
	global_load_b32 v1, v[24:25], off
	s_wait_loadcnt 0x0
	v_trunc_f32_e32 v1, v1
	s_delay_alu instid0(VALU_DEP_1) | instskip(NEXT) | instid1(VALU_DEP_1)
	v_mul_f32_e64 v3, 0x2f800000, |v1|
	v_floor_f32_e32 v3, v3
	s_delay_alu instid0(VALU_DEP_1) | instskip(SKIP_1) | instid1(VALU_DEP_2)
	v_fma_f32 v3, 0xcf800000, v3, |v1|
	v_ashrrev_i32_e32 v1, 31, v1
	v_cvt_u32_f32_e32 v3, v3
	s_delay_alu instid0(VALU_DEP_1) | instskip(NEXT) | instid1(VALU_DEP_1)
	v_xor_b32_e32 v3, v3, v1
	v_sub_nc_u32_e32 v14, v3, v1
.LBB7_1953:
	s_mov_b32 s13, 0
.LBB7_1954:
	s_delay_alu instid0(SALU_CYCLE_1)
	s_and_not1_b32 vcc_lo, exec_lo, s13
	s_cbranch_vccnz .LBB7_1956
; %bb.1955:
	global_load_u16 v1, v[24:25], off
	s_wait_loadcnt 0x0
	v_cvt_f32_f16_e32 v1, v1
	s_delay_alu instid0(VALU_DEP_1)
	v_cvt_i32_f32_e32 v14, v1
.LBB7_1956:
	s_mov_b32 s13, 0
.LBB7_1957:
	s_delay_alu instid0(SALU_CYCLE_1)
	s_and_not1_b32 vcc_lo, exec_lo, s13
	s_cbranch_vccnz .LBB7_1977
; %bb.1958:
	s_cmp_lt_i32 s11, 2
	s_cbranch_scc1 .LBB7_1962
; %bb.1959:
	s_cmp_lt_i32 s11, 3
	s_cbranch_scc1 .LBB7_1963
; %bb.1960:
	s_cmp_gt_i32 s11, 3
	s_cbranch_scc0 .LBB7_1964
; %bb.1961:
	s_wait_loadcnt 0x0
	global_load_b64 v[14:15], v[24:25], off
	s_mov_b32 s13, 0
	s_branch .LBB7_1965
.LBB7_1962:
	s_mov_b32 s13, -1
                                        ; implicit-def: $vgpr14
	s_branch .LBB7_1971
.LBB7_1963:
	s_mov_b32 s13, -1
                                        ; implicit-def: $vgpr14
	s_branch .LBB7_1968
.LBB7_1964:
	s_mov_b32 s13, -1
                                        ; implicit-def: $vgpr14
.LBB7_1965:
	s_delay_alu instid0(SALU_CYCLE_1)
	s_and_not1_b32 vcc_lo, exec_lo, s13
	s_cbranch_vccnz .LBB7_1967
; %bb.1966:
	s_wait_loadcnt 0x0
	global_load_b32 v14, v[24:25], off
.LBB7_1967:
	s_mov_b32 s13, 0
.LBB7_1968:
	s_delay_alu instid0(SALU_CYCLE_1)
	s_and_not1_b32 vcc_lo, exec_lo, s13
	s_cbranch_vccnz .LBB7_1970
; %bb.1969:
	s_wait_loadcnt 0x0
	global_load_u16 v14, v[24:25], off
.LBB7_1970:
	s_mov_b32 s13, 0
.LBB7_1971:
	s_delay_alu instid0(SALU_CYCLE_1)
	s_and_not1_b32 vcc_lo, exec_lo, s13
	s_cbranch_vccnz .LBB7_1977
; %bb.1972:
	s_cmp_gt_i32 s11, 0
	s_mov_b32 s13, 0
	s_cbranch_scc0 .LBB7_1974
; %bb.1973:
	s_wait_loadcnt 0x0
	global_load_u8 v14, v[24:25], off
	s_branch .LBB7_1975
.LBB7_1974:
	s_mov_b32 s13, -1
                                        ; implicit-def: $vgpr14
.LBB7_1975:
	s_delay_alu instid0(SALU_CYCLE_1)
	s_and_not1_b32 vcc_lo, exec_lo, s13
	s_cbranch_vccnz .LBB7_1977
; %bb.1976:
	s_wait_loadcnt 0x0
	global_load_u8 v14, v[24:25], off
.LBB7_1977:
.LBB7_1978:
	v_mov_b32_e32 v19, 0
	s_and_b32 s12, 0xffff, s12
	s_delay_alu instid0(SALU_CYCLE_1) | instskip(SKIP_1) | instid1(VALU_DEP_1)
	s_cmp_lt_i32 s12, 11
	s_wait_xcnt 0x0
	v_add_nc_u64_e32 v[24:25], s[0:1], v[18:19]
	s_cbranch_scc1 .LBB7_1985
; %bb.1979:
	s_cmp_gt_i32 s12, 25
	s_mov_b32 s14, 0
	s_cbranch_scc0 .LBB7_1986
; %bb.1980:
	s_cmp_gt_i32 s12, 28
	s_cbranch_scc0 .LBB7_1987
; %bb.1981:
	s_cmp_gt_i32 s12, 43
	;; [unrolled: 3-line block ×3, first 2 shown]
	s_cbranch_scc0 .LBB7_1990
; %bb.1983:
	s_cmp_eq_u32 s12, 46
	s_mov_b32 s16, 0
	s_cbranch_scc0 .LBB7_1991
; %bb.1984:
	global_load_b32 v1, v[24:25], off
	s_mov_b32 s13, 0
	s_mov_b32 s15, -1
	s_wait_loadcnt 0x0
	v_lshlrev_b32_e32 v1, 16, v1
	s_delay_alu instid0(VALU_DEP_1) | instskip(NEXT) | instid1(VALU_DEP_1)
	v_trunc_f32_e32 v1, v1
	v_mul_f32_e64 v3, 0x2f800000, |v1|
	s_delay_alu instid0(VALU_DEP_1) | instskip(NEXT) | instid1(VALU_DEP_1)
	v_floor_f32_e32 v3, v3
	v_fma_f32 v3, 0xcf800000, v3, |v1|
	v_ashrrev_i32_e32 v1, 31, v1
	s_delay_alu instid0(VALU_DEP_2) | instskip(NEXT) | instid1(VALU_DEP_1)
	v_cvt_u32_f32_e32 v3, v3
	v_xor_b32_e32 v3, v3, v1
	s_delay_alu instid0(VALU_DEP_1)
	v_sub_nc_u32_e32 v18, v3, v1
	s_branch .LBB7_1993
.LBB7_1985:
	s_mov_b32 s13, -1
	s_mov_b32 s15, 0
                                        ; implicit-def: $vgpr18
	s_branch .LBB7_2055
.LBB7_1986:
	s_mov_b32 s16, -1
	s_mov_b32 s15, 0
	s_mov_b32 s13, 0
                                        ; implicit-def: $vgpr18
	s_branch .LBB7_2020
.LBB7_1987:
	s_mov_b32 s16, -1
	s_mov_b32 s15, 0
	s_mov_b32 s13, 0
                                        ; implicit-def: $vgpr18
	s_branch .LBB7_2003
.LBB7_1988:
	s_mov_b32 s16, -1
	s_mov_b32 s15, 0
	s_mov_b32 s13, 0
                                        ; implicit-def: $vgpr18
	s_branch .LBB7_1998
.LBB7_1989:
	s_or_b32 s10, s10, exec_lo
	s_trap 2
	s_cbranch_execz .LBB7_1928
	s_branch .LBB7_1929
.LBB7_1990:
	s_mov_b32 s16, -1
	s_mov_b32 s15, 0
	s_mov_b32 s13, 0
	s_branch .LBB7_1992
.LBB7_1991:
	s_mov_b32 s13, -1
	s_mov_b32 s15, 0
.LBB7_1992:
                                        ; implicit-def: $vgpr18
.LBB7_1993:
	s_and_b32 vcc_lo, exec_lo, s16
	s_cbranch_vccz .LBB7_1997
; %bb.1994:
	s_cmp_eq_u32 s12, 44
	s_cbranch_scc0 .LBB7_1996
; %bb.1995:
	global_load_u8 v1, v[24:25], off
	s_mov_b32 s13, 0
	s_mov_b32 s15, -1
	s_wait_loadcnt 0x0
	v_lshlrev_b32_e32 v3, 23, v1
	v_cmp_ne_u32_e32 vcc_lo, 0, v1
	s_delay_alu instid0(VALU_DEP_2) | instskip(NEXT) | instid1(VALU_DEP_1)
	v_trunc_f32_e32 v3, v3
	v_mul_f32_e64 v5, 0x2f800000, |v3|
	s_delay_alu instid0(VALU_DEP_1) | instskip(NEXT) | instid1(VALU_DEP_1)
	v_floor_f32_e32 v5, v5
	v_fma_f32 v5, 0xcf800000, v5, |v3|
	v_ashrrev_i32_e32 v3, 31, v3
	s_delay_alu instid0(VALU_DEP_2) | instskip(NEXT) | instid1(VALU_DEP_1)
	v_cvt_u32_f32_e32 v5, v5
	v_xor_b32_e32 v5, v5, v3
	s_delay_alu instid0(VALU_DEP_1) | instskip(NEXT) | instid1(VALU_DEP_1)
	v_sub_nc_u32_e32 v3, v5, v3
	v_cndmask_b32_e32 v18, 0, v3, vcc_lo
	s_branch .LBB7_1997
.LBB7_1996:
	s_mov_b32 s13, -1
                                        ; implicit-def: $vgpr18
.LBB7_1997:
	s_mov_b32 s16, 0
.LBB7_1998:
	s_delay_alu instid0(SALU_CYCLE_1)
	s_and_b32 vcc_lo, exec_lo, s16
	s_cbranch_vccz .LBB7_2002
; %bb.1999:
	s_cmp_eq_u32 s12, 29
	s_cbranch_scc0 .LBB7_2001
; %bb.2000:
	global_load_b64 v[18:19], v[24:25], off
	s_mov_b32 s13, 0
	s_mov_b32 s15, -1
	s_branch .LBB7_2002
.LBB7_2001:
	s_mov_b32 s13, -1
                                        ; implicit-def: $vgpr18
.LBB7_2002:
	s_mov_b32 s16, 0
.LBB7_2003:
	s_delay_alu instid0(SALU_CYCLE_1)
	s_and_b32 vcc_lo, exec_lo, s16
	s_cbranch_vccz .LBB7_2019
; %bb.2004:
	s_cmp_lt_i32 s12, 27
	s_cbranch_scc1 .LBB7_2007
; %bb.2005:
	s_cmp_gt_i32 s12, 27
	s_cbranch_scc0 .LBB7_2008
; %bb.2006:
	s_wait_loadcnt 0x0
	global_load_b32 v18, v[24:25], off
	s_mov_b32 s15, 0
	s_branch .LBB7_2009
.LBB7_2007:
	s_mov_b32 s15, -1
                                        ; implicit-def: $vgpr18
	s_branch .LBB7_2012
.LBB7_2008:
	s_mov_b32 s15, -1
                                        ; implicit-def: $vgpr18
.LBB7_2009:
	s_delay_alu instid0(SALU_CYCLE_1)
	s_and_not1_b32 vcc_lo, exec_lo, s15
	s_cbranch_vccnz .LBB7_2011
; %bb.2010:
	s_wait_loadcnt 0x0
	global_load_u16 v18, v[24:25], off
.LBB7_2011:
	s_mov_b32 s15, 0
.LBB7_2012:
	s_delay_alu instid0(SALU_CYCLE_1)
	s_and_not1_b32 vcc_lo, exec_lo, s15
	s_cbranch_vccnz .LBB7_2018
; %bb.2013:
	global_load_u8 v1, v[24:25], off
	s_mov_b32 s16, 0
	s_mov_b32 s15, exec_lo
	s_wait_loadcnt 0x0
	v_cmpx_lt_i16_e32 0x7f, v1
	s_xor_b32 s15, exec_lo, s15
	s_cbranch_execz .LBB7_2030
; %bb.2014:
	v_cmp_ne_u16_e32 vcc_lo, 0x80, v1
	s_and_b32 s16, vcc_lo, exec_lo
	s_and_not1_saveexec_b32 s15, s15
	s_cbranch_execnz .LBB7_2031
.LBB7_2015:
	s_or_b32 exec_lo, exec_lo, s15
	v_mov_b32_e32 v18, 0
	s_and_saveexec_b32 s15, s16
	s_cbranch_execz .LBB7_2017
.LBB7_2016:
	v_and_b32_e32 v3, 0xffff, v1
	s_delay_alu instid0(VALU_DEP_1) | instskip(SKIP_1) | instid1(VALU_DEP_2)
	v_dual_lshlrev_b32 v1, 24, v1 :: v_dual_bitop2_b32 v5, 7, v3 bitop3:0x40
	v_bfe_u32 v11, v3, 3, 4
	v_and_b32_e32 v1, 0x80000000, v1
	s_delay_alu instid0(VALU_DEP_3) | instskip(NEXT) | instid1(VALU_DEP_3)
	v_clz_i32_u32_e32 v7, v5
	v_cmp_eq_u32_e32 vcc_lo, 0, v11
	s_delay_alu instid0(VALU_DEP_2) | instskip(NEXT) | instid1(VALU_DEP_1)
	v_min_u32_e32 v7, 32, v7
	v_subrev_nc_u32_e32 v9, 28, v7
	v_sub_nc_u32_e32 v7, 29, v7
	s_delay_alu instid0(VALU_DEP_2) | instskip(NEXT) | instid1(VALU_DEP_2)
	v_lshlrev_b32_e32 v3, v9, v3
	v_cndmask_b32_e32 v7, v11, v7, vcc_lo
	s_delay_alu instid0(VALU_DEP_2) | instskip(NEXT) | instid1(VALU_DEP_1)
	v_and_b32_e32 v3, 7, v3
	v_cndmask_b32_e32 v3, v5, v3, vcc_lo
	s_delay_alu instid0(VALU_DEP_3) | instskip(NEXT) | instid1(VALU_DEP_2)
	v_lshl_add_u32 v5, v7, 23, 0x3b800000
	v_lshlrev_b32_e32 v3, 20, v3
	s_delay_alu instid0(VALU_DEP_1) | instskip(NEXT) | instid1(VALU_DEP_1)
	v_or3_b32 v1, v1, v5, v3
	v_trunc_f32_e32 v1, v1
	s_delay_alu instid0(VALU_DEP_1) | instskip(NEXT) | instid1(VALU_DEP_1)
	v_mul_f32_e64 v3, 0x2f800000, |v1|
	v_floor_f32_e32 v3, v3
	s_delay_alu instid0(VALU_DEP_1) | instskip(SKIP_1) | instid1(VALU_DEP_2)
	v_fma_f32 v3, 0xcf800000, v3, |v1|
	v_ashrrev_i32_e32 v1, 31, v1
	v_cvt_u32_f32_e32 v3, v3
	s_delay_alu instid0(VALU_DEP_1) | instskip(NEXT) | instid1(VALU_DEP_1)
	v_xor_b32_e32 v3, v3, v1
	v_sub_nc_u32_e32 v18, v3, v1
.LBB7_2017:
	s_or_b32 exec_lo, exec_lo, s15
.LBB7_2018:
	s_mov_b32 s15, -1
.LBB7_2019:
	s_mov_b32 s16, 0
.LBB7_2020:
	s_delay_alu instid0(SALU_CYCLE_1)
	s_and_b32 vcc_lo, exec_lo, s16
	s_cbranch_vccz .LBB7_2051
; %bb.2021:
	s_cmp_gt_i32 s12, 22
	s_cbranch_scc0 .LBB7_2029
; %bb.2022:
	s_cmp_lt_i32 s12, 24
	s_cbranch_scc1 .LBB7_2032
; %bb.2023:
	s_cmp_gt_i32 s12, 24
	s_cbranch_scc0 .LBB7_2033
; %bb.2024:
	global_load_u8 v1, v[24:25], off
	s_mov_b32 s15, 0
	s_mov_b32 s14, exec_lo
	s_wait_loadcnt 0x0
	v_cmpx_lt_i16_e32 0x7f, v1
	s_xor_b32 s14, exec_lo, s14
	s_cbranch_execz .LBB7_2045
; %bb.2025:
	v_cmp_ne_u16_e32 vcc_lo, 0x80, v1
	s_and_b32 s15, vcc_lo, exec_lo
	s_and_not1_saveexec_b32 s14, s14
	s_cbranch_execnz .LBB7_2046
.LBB7_2026:
	s_or_b32 exec_lo, exec_lo, s14
	v_mov_b32_e32 v18, 0
	s_and_saveexec_b32 s14, s15
	s_cbranch_execz .LBB7_2028
.LBB7_2027:
	v_and_b32_e32 v3, 0xffff, v1
	s_delay_alu instid0(VALU_DEP_1) | instskip(SKIP_1) | instid1(VALU_DEP_2)
	v_dual_lshlrev_b32 v1, 24, v1 :: v_dual_bitop2_b32 v5, 3, v3 bitop3:0x40
	v_bfe_u32 v11, v3, 2, 5
	v_and_b32_e32 v1, 0x80000000, v1
	s_delay_alu instid0(VALU_DEP_3) | instskip(NEXT) | instid1(VALU_DEP_3)
	v_clz_i32_u32_e32 v7, v5
	v_cmp_eq_u32_e32 vcc_lo, 0, v11
	s_delay_alu instid0(VALU_DEP_2) | instskip(NEXT) | instid1(VALU_DEP_1)
	v_min_u32_e32 v7, 32, v7
	v_subrev_nc_u32_e32 v9, 29, v7
	v_sub_nc_u32_e32 v7, 30, v7
	s_delay_alu instid0(VALU_DEP_2) | instskip(NEXT) | instid1(VALU_DEP_2)
	v_lshlrev_b32_e32 v3, v9, v3
	v_cndmask_b32_e32 v7, v11, v7, vcc_lo
	s_delay_alu instid0(VALU_DEP_2) | instskip(NEXT) | instid1(VALU_DEP_1)
	v_and_b32_e32 v3, 3, v3
	v_cndmask_b32_e32 v3, v5, v3, vcc_lo
	s_delay_alu instid0(VALU_DEP_3) | instskip(NEXT) | instid1(VALU_DEP_2)
	v_lshl_add_u32 v5, v7, 23, 0x37800000
	v_lshlrev_b32_e32 v3, 21, v3
	s_delay_alu instid0(VALU_DEP_1) | instskip(NEXT) | instid1(VALU_DEP_1)
	v_or3_b32 v1, v1, v5, v3
	v_trunc_f32_e32 v1, v1
	s_delay_alu instid0(VALU_DEP_1) | instskip(NEXT) | instid1(VALU_DEP_1)
	v_mul_f32_e64 v3, 0x2f800000, |v1|
	v_floor_f32_e32 v3, v3
	s_delay_alu instid0(VALU_DEP_1) | instskip(SKIP_1) | instid1(VALU_DEP_2)
	v_fma_f32 v3, 0xcf800000, v3, |v1|
	v_ashrrev_i32_e32 v1, 31, v1
	v_cvt_u32_f32_e32 v3, v3
	s_delay_alu instid0(VALU_DEP_1) | instskip(NEXT) | instid1(VALU_DEP_1)
	v_xor_b32_e32 v3, v3, v1
	v_sub_nc_u32_e32 v18, v3, v1
.LBB7_2028:
	s_or_b32 exec_lo, exec_lo, s14
	s_mov_b32 s14, 0
	s_branch .LBB7_2034
.LBB7_2029:
	s_mov_b32 s14, -1
                                        ; implicit-def: $vgpr18
	s_branch .LBB7_2040
.LBB7_2030:
	s_and_not1_saveexec_b32 s15, s15
	s_cbranch_execz .LBB7_2015
.LBB7_2031:
	v_cmp_ne_u16_e32 vcc_lo, 0, v1
	s_and_not1_b32 s16, s16, exec_lo
	s_and_b32 s17, vcc_lo, exec_lo
	s_delay_alu instid0(SALU_CYCLE_1)
	s_or_b32 s16, s16, s17
	s_or_b32 exec_lo, exec_lo, s15
	v_mov_b32_e32 v18, 0
	s_and_saveexec_b32 s15, s16
	s_cbranch_execnz .LBB7_2016
	s_branch .LBB7_2017
.LBB7_2032:
	s_mov_b32 s14, -1
                                        ; implicit-def: $vgpr18
	s_branch .LBB7_2037
.LBB7_2033:
	s_mov_b32 s14, -1
                                        ; implicit-def: $vgpr18
.LBB7_2034:
	s_delay_alu instid0(SALU_CYCLE_1)
	s_and_b32 vcc_lo, exec_lo, s14
	s_cbranch_vccz .LBB7_2036
; %bb.2035:
	global_load_u8 v1, v[24:25], off
	s_wait_loadcnt 0x0
	v_lshlrev_b32_e32 v1, 24, v1
	s_delay_alu instid0(VALU_DEP_1) | instskip(NEXT) | instid1(VALU_DEP_1)
	v_and_b32_e32 v3, 0x7f000000, v1
	v_clz_i32_u32_e32 v5, v3
	v_add_nc_u32_e32 v9, 0x1000000, v3
	v_cmp_ne_u32_e32 vcc_lo, 0, v3
	s_delay_alu instid0(VALU_DEP_3) | instskip(NEXT) | instid1(VALU_DEP_1)
	v_min_u32_e32 v5, 32, v5
	v_sub_nc_u32_e64 v5, v5, 4 clamp
	s_delay_alu instid0(VALU_DEP_1) | instskip(NEXT) | instid1(VALU_DEP_1)
	v_dual_lshlrev_b32 v7, v5, v3 :: v_dual_lshlrev_b32 v5, 23, v5
	v_lshrrev_b32_e32 v7, 4, v7
	s_delay_alu instid0(VALU_DEP_1) | instskip(SKIP_1) | instid1(VALU_DEP_2)
	v_sub_nc_u32_e32 v5, v7, v5
	v_ashrrev_i32_e32 v7, 8, v9
	v_add_nc_u32_e32 v5, 0x3c000000, v5
	s_delay_alu instid0(VALU_DEP_1) | instskip(NEXT) | instid1(VALU_DEP_1)
	v_and_or_b32 v5, 0x7f800000, v7, v5
	v_cndmask_b32_e32 v3, 0, v5, vcc_lo
	s_delay_alu instid0(VALU_DEP_1) | instskip(NEXT) | instid1(VALU_DEP_1)
	v_and_or_b32 v1, 0x80000000, v1, v3
	v_trunc_f32_e32 v1, v1
	s_delay_alu instid0(VALU_DEP_1) | instskip(NEXT) | instid1(VALU_DEP_1)
	v_mul_f32_e64 v3, 0x2f800000, |v1|
	v_floor_f32_e32 v3, v3
	s_delay_alu instid0(VALU_DEP_1) | instskip(SKIP_1) | instid1(VALU_DEP_2)
	v_fma_f32 v3, 0xcf800000, v3, |v1|
	v_ashrrev_i32_e32 v1, 31, v1
	v_cvt_u32_f32_e32 v3, v3
	s_delay_alu instid0(VALU_DEP_1) | instskip(NEXT) | instid1(VALU_DEP_1)
	v_xor_b32_e32 v3, v3, v1
	v_sub_nc_u32_e32 v18, v3, v1
.LBB7_2036:
	s_mov_b32 s14, 0
.LBB7_2037:
	s_delay_alu instid0(SALU_CYCLE_1)
	s_and_not1_b32 vcc_lo, exec_lo, s14
	s_cbranch_vccnz .LBB7_2039
; %bb.2038:
	global_load_u8 v1, v[24:25], off
	s_wait_loadcnt 0x0
	v_lshlrev_b32_e32 v3, 25, v1
	v_lshlrev_b16 v1, 8, v1
	s_delay_alu instid0(VALU_DEP_1) | instskip(SKIP_1) | instid1(VALU_DEP_2)
	v_and_or_b32 v7, 0x7f00, v1, 0.5
	v_bfe_i32 v1, v1, 0, 16
	v_add_f32_e32 v7, -0.5, v7
	v_lshrrev_b32_e32 v5, 4, v3
	v_cmp_gt_u32_e32 vcc_lo, 0x8000000, v3
	s_delay_alu instid0(VALU_DEP_2) | instskip(NEXT) | instid1(VALU_DEP_1)
	v_or_b32_e32 v5, 0x70000000, v5
	v_mul_f32_e32 v5, 0x7800000, v5
	s_delay_alu instid0(VALU_DEP_1) | instskip(NEXT) | instid1(VALU_DEP_1)
	v_cndmask_b32_e32 v3, v5, v7, vcc_lo
	v_and_or_b32 v1, 0x80000000, v1, v3
	s_delay_alu instid0(VALU_DEP_1) | instskip(NEXT) | instid1(VALU_DEP_1)
	v_trunc_f32_e32 v1, v1
	v_mul_f32_e64 v3, 0x2f800000, |v1|
	s_delay_alu instid0(VALU_DEP_1) | instskip(NEXT) | instid1(VALU_DEP_1)
	v_floor_f32_e32 v3, v3
	v_fma_f32 v3, 0xcf800000, v3, |v1|
	v_ashrrev_i32_e32 v1, 31, v1
	s_delay_alu instid0(VALU_DEP_2) | instskip(NEXT) | instid1(VALU_DEP_1)
	v_cvt_u32_f32_e32 v3, v3
	v_xor_b32_e32 v3, v3, v1
	s_delay_alu instid0(VALU_DEP_1)
	v_sub_nc_u32_e32 v18, v3, v1
.LBB7_2039:
	s_mov_b32 s14, 0
	s_mov_b32 s15, -1
.LBB7_2040:
	s_and_not1_b32 vcc_lo, exec_lo, s14
	s_mov_b32 s14, 0
	s_cbranch_vccnz .LBB7_2051
; %bb.2041:
	s_cmp_gt_i32 s12, 14
	s_cbranch_scc0 .LBB7_2044
; %bb.2042:
	s_cmp_eq_u32 s12, 15
	s_cbranch_scc0 .LBB7_2047
; %bb.2043:
	global_load_u16 v1, v[24:25], off
	s_mov_b32 s13, 0
	s_mov_b32 s15, -1
	s_wait_loadcnt 0x0
	v_lshlrev_b32_e32 v1, 16, v1
	s_delay_alu instid0(VALU_DEP_1) | instskip(NEXT) | instid1(VALU_DEP_1)
	v_trunc_f32_e32 v1, v1
	v_mul_f32_e64 v3, 0x2f800000, |v1|
	s_delay_alu instid0(VALU_DEP_1) | instskip(NEXT) | instid1(VALU_DEP_1)
	v_floor_f32_e32 v3, v3
	v_fma_f32 v3, 0xcf800000, v3, |v1|
	v_ashrrev_i32_e32 v1, 31, v1
	s_delay_alu instid0(VALU_DEP_2) | instskip(NEXT) | instid1(VALU_DEP_1)
	v_cvt_u32_f32_e32 v3, v3
	v_xor_b32_e32 v3, v3, v1
	s_delay_alu instid0(VALU_DEP_1)
	v_sub_nc_u32_e32 v18, v3, v1
	s_branch .LBB7_2049
.LBB7_2044:
	s_mov_b32 s14, -1
	s_branch .LBB7_2048
.LBB7_2045:
	s_and_not1_saveexec_b32 s14, s14
	s_cbranch_execz .LBB7_2026
.LBB7_2046:
	v_cmp_ne_u16_e32 vcc_lo, 0, v1
	s_and_not1_b32 s15, s15, exec_lo
	s_and_b32 s16, vcc_lo, exec_lo
	s_delay_alu instid0(SALU_CYCLE_1)
	s_or_b32 s15, s15, s16
	s_or_b32 exec_lo, exec_lo, s14
	v_mov_b32_e32 v18, 0
	s_and_saveexec_b32 s14, s15
	s_cbranch_execnz .LBB7_2027
	s_branch .LBB7_2028
.LBB7_2047:
	s_mov_b32 s13, -1
.LBB7_2048:
                                        ; implicit-def: $vgpr18
.LBB7_2049:
	s_and_b32 vcc_lo, exec_lo, s14
	s_mov_b32 s14, 0
	s_cbranch_vccz .LBB7_2051
; %bb.2050:
	s_cmp_lg_u32 s12, 11
	s_mov_b32 s14, -1
	s_cselect_b32 s13, -1, 0
.LBB7_2051:
	s_delay_alu instid0(SALU_CYCLE_1)
	s_and_b32 vcc_lo, exec_lo, s13
	s_cbranch_vccnz .LBB7_2116
; %bb.2052:
	s_and_not1_b32 vcc_lo, exec_lo, s14
	s_cbranch_vccnz .LBB7_2054
.LBB7_2053:
	global_load_u8 v1, v[24:25], off
	s_mov_b32 s15, -1
	s_wait_loadcnt 0x0
	v_cmp_ne_u16_e32 vcc_lo, 0, v1
	v_cndmask_b32_e64 v18, 0, 1, vcc_lo
.LBB7_2054:
	s_mov_b32 s13, 0
.LBB7_2055:
	s_delay_alu instid0(SALU_CYCLE_1)
	s_and_b32 vcc_lo, exec_lo, s13
	s_cbranch_vccz .LBB7_2104
; %bb.2056:
	s_cmp_lt_i32 s12, 5
	s_cbranch_scc1 .LBB7_2061
; %bb.2057:
	s_cmp_lt_i32 s12, 8
	s_cbranch_scc1 .LBB7_2062
	;; [unrolled: 3-line block ×3, first 2 shown]
; %bb.2059:
	s_cmp_gt_i32 s12, 9
	s_cbranch_scc0 .LBB7_2064
; %bb.2060:
	s_wait_loadcnt 0x0
	global_load_b64 v[18:19], v[24:25], off
	s_mov_b32 s13, 0
	s_wait_loadcnt 0x0
	v_trunc_f64_e32 v[18:19], v[18:19]
	s_delay_alu instid0(VALU_DEP_1) | instskip(NEXT) | instid1(VALU_DEP_1)
	v_ldexp_f64 v[26:27], v[18:19], 0xffffffe0
	v_floor_f64_e32 v[26:27], v[26:27]
	s_delay_alu instid0(VALU_DEP_1) | instskip(NEXT) | instid1(VALU_DEP_1)
	v_fmamk_f64 v[18:19], v[26:27], 0xc1f00000, v[18:19]
	v_cvt_u32_f64_e32 v18, v[18:19]
	s_branch .LBB7_2065
.LBB7_2061:
	s_mov_b32 s13, -1
                                        ; implicit-def: $vgpr18
	s_branch .LBB7_2083
.LBB7_2062:
	s_mov_b32 s13, -1
                                        ; implicit-def: $vgpr18
	s_branch .LBB7_2071
.LBB7_2063:
	s_mov_b32 s13, -1
                                        ; implicit-def: $vgpr18
	s_branch .LBB7_2068
.LBB7_2064:
	s_mov_b32 s13, -1
                                        ; implicit-def: $vgpr18
.LBB7_2065:
	s_delay_alu instid0(SALU_CYCLE_1)
	s_and_not1_b32 vcc_lo, exec_lo, s13
	s_cbranch_vccnz .LBB7_2067
; %bb.2066:
	global_load_b32 v1, v[24:25], off
	s_wait_loadcnt 0x0
	v_trunc_f32_e32 v1, v1
	s_delay_alu instid0(VALU_DEP_1) | instskip(NEXT) | instid1(VALU_DEP_1)
	v_mul_f32_e64 v3, 0x2f800000, |v1|
	v_floor_f32_e32 v3, v3
	s_delay_alu instid0(VALU_DEP_1) | instskip(SKIP_1) | instid1(VALU_DEP_2)
	v_fma_f32 v3, 0xcf800000, v3, |v1|
	v_ashrrev_i32_e32 v1, 31, v1
	v_cvt_u32_f32_e32 v3, v3
	s_delay_alu instid0(VALU_DEP_1) | instskip(NEXT) | instid1(VALU_DEP_1)
	v_xor_b32_e32 v3, v3, v1
	v_sub_nc_u32_e32 v18, v3, v1
.LBB7_2067:
	s_mov_b32 s13, 0
.LBB7_2068:
	s_delay_alu instid0(SALU_CYCLE_1)
	s_and_not1_b32 vcc_lo, exec_lo, s13
	s_cbranch_vccnz .LBB7_2070
; %bb.2069:
	global_load_b32 v1, v[24:25], off
	s_wait_loadcnt 0x0
	v_cvt_f32_f16_e32 v1, v1
	s_delay_alu instid0(VALU_DEP_1)
	v_cvt_i32_f32_e32 v18, v1
.LBB7_2070:
	s_mov_b32 s13, 0
.LBB7_2071:
	s_delay_alu instid0(SALU_CYCLE_1)
	s_and_not1_b32 vcc_lo, exec_lo, s13
	s_cbranch_vccnz .LBB7_2082
; %bb.2072:
	s_cmp_lt_i32 s12, 6
	s_cbranch_scc1 .LBB7_2075
; %bb.2073:
	s_cmp_gt_i32 s12, 6
	s_cbranch_scc0 .LBB7_2076
; %bb.2074:
	s_wait_loadcnt 0x0
	global_load_b64 v[18:19], v[24:25], off
	s_mov_b32 s13, 0
	s_wait_loadcnt 0x0
	v_trunc_f64_e32 v[18:19], v[18:19]
	s_delay_alu instid0(VALU_DEP_1) | instskip(NEXT) | instid1(VALU_DEP_1)
	v_ldexp_f64 v[26:27], v[18:19], 0xffffffe0
	v_floor_f64_e32 v[26:27], v[26:27]
	s_delay_alu instid0(VALU_DEP_1) | instskip(NEXT) | instid1(VALU_DEP_1)
	v_fmamk_f64 v[18:19], v[26:27], 0xc1f00000, v[18:19]
	v_cvt_u32_f64_e32 v18, v[18:19]
	s_branch .LBB7_2077
.LBB7_2075:
	s_mov_b32 s13, -1
                                        ; implicit-def: $vgpr18
	s_branch .LBB7_2080
.LBB7_2076:
	s_mov_b32 s13, -1
                                        ; implicit-def: $vgpr18
.LBB7_2077:
	s_delay_alu instid0(SALU_CYCLE_1)
	s_and_not1_b32 vcc_lo, exec_lo, s13
	s_cbranch_vccnz .LBB7_2079
; %bb.2078:
	global_load_b32 v1, v[24:25], off
	s_wait_loadcnt 0x0
	v_trunc_f32_e32 v1, v1
	s_delay_alu instid0(VALU_DEP_1) | instskip(NEXT) | instid1(VALU_DEP_1)
	v_mul_f32_e64 v3, 0x2f800000, |v1|
	v_floor_f32_e32 v3, v3
	s_delay_alu instid0(VALU_DEP_1) | instskip(SKIP_1) | instid1(VALU_DEP_2)
	v_fma_f32 v3, 0xcf800000, v3, |v1|
	v_ashrrev_i32_e32 v1, 31, v1
	v_cvt_u32_f32_e32 v3, v3
	s_delay_alu instid0(VALU_DEP_1) | instskip(NEXT) | instid1(VALU_DEP_1)
	v_xor_b32_e32 v3, v3, v1
	v_sub_nc_u32_e32 v18, v3, v1
.LBB7_2079:
	s_mov_b32 s13, 0
.LBB7_2080:
	s_delay_alu instid0(SALU_CYCLE_1)
	s_and_not1_b32 vcc_lo, exec_lo, s13
	s_cbranch_vccnz .LBB7_2082
; %bb.2081:
	global_load_u16 v1, v[24:25], off
	s_wait_loadcnt 0x0
	v_cvt_f32_f16_e32 v1, v1
	s_delay_alu instid0(VALU_DEP_1)
	v_cvt_i32_f32_e32 v18, v1
.LBB7_2082:
	s_mov_b32 s13, 0
.LBB7_2083:
	s_delay_alu instid0(SALU_CYCLE_1)
	s_and_not1_b32 vcc_lo, exec_lo, s13
	s_cbranch_vccnz .LBB7_2103
; %bb.2084:
	s_cmp_lt_i32 s12, 2
	s_cbranch_scc1 .LBB7_2088
; %bb.2085:
	s_cmp_lt_i32 s12, 3
	s_cbranch_scc1 .LBB7_2089
; %bb.2086:
	s_cmp_gt_i32 s12, 3
	s_cbranch_scc0 .LBB7_2090
; %bb.2087:
	s_wait_loadcnt 0x0
	global_load_b64 v[18:19], v[24:25], off
	s_mov_b32 s13, 0
	s_branch .LBB7_2091
.LBB7_2088:
	s_mov_b32 s13, -1
                                        ; implicit-def: $vgpr18
	s_branch .LBB7_2097
.LBB7_2089:
	s_mov_b32 s13, -1
                                        ; implicit-def: $vgpr18
	s_branch .LBB7_2094
.LBB7_2090:
	s_mov_b32 s13, -1
                                        ; implicit-def: $vgpr18
.LBB7_2091:
	s_delay_alu instid0(SALU_CYCLE_1)
	s_and_not1_b32 vcc_lo, exec_lo, s13
	s_cbranch_vccnz .LBB7_2093
; %bb.2092:
	s_wait_loadcnt 0x0
	global_load_b32 v18, v[24:25], off
.LBB7_2093:
	s_mov_b32 s13, 0
.LBB7_2094:
	s_delay_alu instid0(SALU_CYCLE_1)
	s_and_not1_b32 vcc_lo, exec_lo, s13
	s_cbranch_vccnz .LBB7_2096
; %bb.2095:
	s_wait_loadcnt 0x0
	global_load_u16 v18, v[24:25], off
.LBB7_2096:
	s_mov_b32 s13, 0
.LBB7_2097:
	s_delay_alu instid0(SALU_CYCLE_1)
	s_and_not1_b32 vcc_lo, exec_lo, s13
	s_cbranch_vccnz .LBB7_2103
; %bb.2098:
	s_cmp_gt_i32 s12, 0
	s_mov_b32 s13, 0
	s_cbranch_scc0 .LBB7_2100
; %bb.2099:
	s_wait_loadcnt 0x0
	global_load_u8 v18, v[24:25], off
	s_branch .LBB7_2101
.LBB7_2100:
	s_mov_b32 s13, -1
                                        ; implicit-def: $vgpr18
.LBB7_2101:
	s_delay_alu instid0(SALU_CYCLE_1)
	s_and_not1_b32 vcc_lo, exec_lo, s13
	s_cbranch_vccnz .LBB7_2103
; %bb.2102:
	s_wait_loadcnt 0x0
	global_load_u8 v18, v[24:25], off
.LBB7_2103:
	s_mov_b32 s15, -1
.LBB7_2104:
	s_delay_alu instid0(SALU_CYCLE_1)
	s_and_not1_b32 vcc_lo, exec_lo, s15
	s_cbranch_vccnz .LBB7_3047
; %bb.2105:
	v_mov_b32_e32 v21, 0
	s_cmp_lt_i32 s11, 11
	s_wait_xcnt 0x0
	s_delay_alu instid0(VALU_DEP_1)
	v_add_nc_u64_e32 v[24:25], s[6:7], v[20:21]
	s_cbranch_scc1 .LBB7_2112
; %bb.2106:
	s_cmp_gt_i32 s11, 25
	s_mov_b32 s14, 0
	s_cbranch_scc0 .LBB7_2113
; %bb.2107:
	s_cmp_gt_i32 s11, 28
	s_cbranch_scc0 .LBB7_2114
; %bb.2108:
	s_cmp_gt_i32 s11, 43
	;; [unrolled: 3-line block ×3, first 2 shown]
	s_cbranch_scc0 .LBB7_2117
; %bb.2110:
	s_cmp_eq_u32 s11, 46
	s_mov_b32 s16, 0
	s_cbranch_scc0 .LBB7_2118
; %bb.2111:
	global_load_b32 v1, v[24:25], off
	s_mov_b32 s13, 0
	s_mov_b32 s15, -1
	s_wait_loadcnt 0x0
	v_lshlrev_b32_e32 v1, 16, v1
	s_delay_alu instid0(VALU_DEP_1) | instskip(NEXT) | instid1(VALU_DEP_1)
	v_trunc_f32_e32 v1, v1
	v_mul_f32_e64 v3, 0x2f800000, |v1|
	s_delay_alu instid0(VALU_DEP_1) | instskip(NEXT) | instid1(VALU_DEP_1)
	v_floor_f32_e32 v3, v3
	v_fma_f32 v3, 0xcf800000, v3, |v1|
	v_ashrrev_i32_e32 v1, 31, v1
	s_delay_alu instid0(VALU_DEP_2) | instskip(NEXT) | instid1(VALU_DEP_1)
	v_cvt_u32_f32_e32 v3, v3
	v_xor_b32_e32 v3, v3, v1
	s_delay_alu instid0(VALU_DEP_1)
	v_sub_nc_u32_e32 v20, v3, v1
	s_branch .LBB7_2120
.LBB7_2112:
	s_mov_b32 s13, -1
	s_mov_b32 s15, 0
                                        ; implicit-def: $vgpr20
	s_branch .LBB7_2182
.LBB7_2113:
	s_mov_b32 s16, -1
	s_mov_b32 s15, 0
	s_mov_b32 s13, 0
                                        ; implicit-def: $vgpr20
	s_branch .LBB7_2147
.LBB7_2114:
	s_mov_b32 s16, -1
	s_mov_b32 s15, 0
	s_mov_b32 s13, 0
                                        ; implicit-def: $vgpr20
	s_branch .LBB7_2130
.LBB7_2115:
	s_mov_b32 s16, -1
	s_mov_b32 s15, 0
	s_mov_b32 s13, 0
                                        ; implicit-def: $vgpr20
	s_branch .LBB7_2125
.LBB7_2116:
	s_or_b32 s10, s10, exec_lo
	s_trap 2
	s_cbranch_execz .LBB7_2053
	s_branch .LBB7_2054
.LBB7_2117:
	s_mov_b32 s16, -1
	s_mov_b32 s15, 0
	s_mov_b32 s13, 0
	s_branch .LBB7_2119
.LBB7_2118:
	s_mov_b32 s13, -1
	s_mov_b32 s15, 0
.LBB7_2119:
                                        ; implicit-def: $vgpr20
.LBB7_2120:
	s_and_b32 vcc_lo, exec_lo, s16
	s_cbranch_vccz .LBB7_2124
; %bb.2121:
	s_cmp_eq_u32 s11, 44
	s_cbranch_scc0 .LBB7_2123
; %bb.2122:
	global_load_u8 v1, v[24:25], off
	s_mov_b32 s13, 0
	s_mov_b32 s15, -1
	s_wait_loadcnt 0x0
	v_lshlrev_b32_e32 v3, 23, v1
	v_cmp_ne_u32_e32 vcc_lo, 0, v1
	s_delay_alu instid0(VALU_DEP_2) | instskip(NEXT) | instid1(VALU_DEP_1)
	v_trunc_f32_e32 v3, v3
	v_mul_f32_e64 v5, 0x2f800000, |v3|
	s_delay_alu instid0(VALU_DEP_1) | instskip(NEXT) | instid1(VALU_DEP_1)
	v_floor_f32_e32 v5, v5
	v_fma_f32 v5, 0xcf800000, v5, |v3|
	v_ashrrev_i32_e32 v3, 31, v3
	s_delay_alu instid0(VALU_DEP_2) | instskip(NEXT) | instid1(VALU_DEP_1)
	v_cvt_u32_f32_e32 v5, v5
	v_xor_b32_e32 v5, v5, v3
	s_delay_alu instid0(VALU_DEP_1) | instskip(NEXT) | instid1(VALU_DEP_1)
	v_sub_nc_u32_e32 v3, v5, v3
	v_cndmask_b32_e32 v20, 0, v3, vcc_lo
	s_branch .LBB7_2124
.LBB7_2123:
	s_mov_b32 s13, -1
                                        ; implicit-def: $vgpr20
.LBB7_2124:
	s_mov_b32 s16, 0
.LBB7_2125:
	s_delay_alu instid0(SALU_CYCLE_1)
	s_and_b32 vcc_lo, exec_lo, s16
	s_cbranch_vccz .LBB7_2129
; %bb.2126:
	s_cmp_eq_u32 s11, 29
	s_cbranch_scc0 .LBB7_2128
; %bb.2127:
	global_load_b64 v[20:21], v[24:25], off
	s_mov_b32 s13, 0
	s_mov_b32 s15, -1
	s_branch .LBB7_2129
.LBB7_2128:
	s_mov_b32 s13, -1
                                        ; implicit-def: $vgpr20
.LBB7_2129:
	s_mov_b32 s16, 0
.LBB7_2130:
	s_delay_alu instid0(SALU_CYCLE_1)
	s_and_b32 vcc_lo, exec_lo, s16
	s_cbranch_vccz .LBB7_2146
; %bb.2131:
	s_cmp_lt_i32 s11, 27
	s_cbranch_scc1 .LBB7_2134
; %bb.2132:
	s_cmp_gt_i32 s11, 27
	s_cbranch_scc0 .LBB7_2135
; %bb.2133:
	s_wait_loadcnt 0x0
	global_load_b32 v20, v[24:25], off
	s_mov_b32 s15, 0
	s_branch .LBB7_2136
.LBB7_2134:
	s_mov_b32 s15, -1
                                        ; implicit-def: $vgpr20
	s_branch .LBB7_2139
.LBB7_2135:
	s_mov_b32 s15, -1
                                        ; implicit-def: $vgpr20
.LBB7_2136:
	s_delay_alu instid0(SALU_CYCLE_1)
	s_and_not1_b32 vcc_lo, exec_lo, s15
	s_cbranch_vccnz .LBB7_2138
; %bb.2137:
	s_wait_loadcnt 0x0
	global_load_u16 v20, v[24:25], off
.LBB7_2138:
	s_mov_b32 s15, 0
.LBB7_2139:
	s_delay_alu instid0(SALU_CYCLE_1)
	s_and_not1_b32 vcc_lo, exec_lo, s15
	s_cbranch_vccnz .LBB7_2145
; %bb.2140:
	global_load_u8 v1, v[24:25], off
	s_mov_b32 s16, 0
	s_mov_b32 s15, exec_lo
	s_wait_loadcnt 0x0
	v_cmpx_lt_i16_e32 0x7f, v1
	s_xor_b32 s15, exec_lo, s15
	s_cbranch_execz .LBB7_2157
; %bb.2141:
	v_cmp_ne_u16_e32 vcc_lo, 0x80, v1
	s_and_b32 s16, vcc_lo, exec_lo
	s_and_not1_saveexec_b32 s15, s15
	s_cbranch_execnz .LBB7_2158
.LBB7_2142:
	s_or_b32 exec_lo, exec_lo, s15
	v_mov_b32_e32 v20, 0
	s_and_saveexec_b32 s15, s16
	s_cbranch_execz .LBB7_2144
.LBB7_2143:
	v_and_b32_e32 v3, 0xffff, v1
	s_delay_alu instid0(VALU_DEP_1) | instskip(SKIP_1) | instid1(VALU_DEP_2)
	v_dual_lshlrev_b32 v1, 24, v1 :: v_dual_bitop2_b32 v5, 7, v3 bitop3:0x40
	v_bfe_u32 v11, v3, 3, 4
	v_and_b32_e32 v1, 0x80000000, v1
	s_delay_alu instid0(VALU_DEP_3) | instskip(NEXT) | instid1(VALU_DEP_3)
	v_clz_i32_u32_e32 v7, v5
	v_cmp_eq_u32_e32 vcc_lo, 0, v11
	s_delay_alu instid0(VALU_DEP_2) | instskip(NEXT) | instid1(VALU_DEP_1)
	v_min_u32_e32 v7, 32, v7
	v_subrev_nc_u32_e32 v9, 28, v7
	v_sub_nc_u32_e32 v7, 29, v7
	s_delay_alu instid0(VALU_DEP_2) | instskip(NEXT) | instid1(VALU_DEP_2)
	v_lshlrev_b32_e32 v3, v9, v3
	v_cndmask_b32_e32 v7, v11, v7, vcc_lo
	s_delay_alu instid0(VALU_DEP_2) | instskip(NEXT) | instid1(VALU_DEP_1)
	v_and_b32_e32 v3, 7, v3
	v_cndmask_b32_e32 v3, v5, v3, vcc_lo
	s_delay_alu instid0(VALU_DEP_3) | instskip(NEXT) | instid1(VALU_DEP_2)
	v_lshl_add_u32 v5, v7, 23, 0x3b800000
	v_lshlrev_b32_e32 v3, 20, v3
	s_delay_alu instid0(VALU_DEP_1) | instskip(NEXT) | instid1(VALU_DEP_1)
	v_or3_b32 v1, v1, v5, v3
	v_trunc_f32_e32 v1, v1
	s_delay_alu instid0(VALU_DEP_1) | instskip(NEXT) | instid1(VALU_DEP_1)
	v_mul_f32_e64 v3, 0x2f800000, |v1|
	v_floor_f32_e32 v3, v3
	s_delay_alu instid0(VALU_DEP_1) | instskip(SKIP_1) | instid1(VALU_DEP_2)
	v_fma_f32 v3, 0xcf800000, v3, |v1|
	v_ashrrev_i32_e32 v1, 31, v1
	v_cvt_u32_f32_e32 v3, v3
	s_delay_alu instid0(VALU_DEP_1) | instskip(NEXT) | instid1(VALU_DEP_1)
	v_xor_b32_e32 v3, v3, v1
	v_sub_nc_u32_e32 v20, v3, v1
.LBB7_2144:
	s_or_b32 exec_lo, exec_lo, s15
.LBB7_2145:
	s_mov_b32 s15, -1
.LBB7_2146:
	s_mov_b32 s16, 0
.LBB7_2147:
	s_delay_alu instid0(SALU_CYCLE_1)
	s_and_b32 vcc_lo, exec_lo, s16
	s_cbranch_vccz .LBB7_2178
; %bb.2148:
	s_cmp_gt_i32 s11, 22
	s_cbranch_scc0 .LBB7_2156
; %bb.2149:
	s_cmp_lt_i32 s11, 24
	s_cbranch_scc1 .LBB7_2159
; %bb.2150:
	s_cmp_gt_i32 s11, 24
	s_cbranch_scc0 .LBB7_2160
; %bb.2151:
	global_load_u8 v1, v[24:25], off
	s_mov_b32 s15, 0
	s_mov_b32 s14, exec_lo
	s_wait_loadcnt 0x0
	v_cmpx_lt_i16_e32 0x7f, v1
	s_xor_b32 s14, exec_lo, s14
	s_cbranch_execz .LBB7_2172
; %bb.2152:
	v_cmp_ne_u16_e32 vcc_lo, 0x80, v1
	s_and_b32 s15, vcc_lo, exec_lo
	s_and_not1_saveexec_b32 s14, s14
	s_cbranch_execnz .LBB7_2173
.LBB7_2153:
	s_or_b32 exec_lo, exec_lo, s14
	v_mov_b32_e32 v20, 0
	s_and_saveexec_b32 s14, s15
	s_cbranch_execz .LBB7_2155
.LBB7_2154:
	v_and_b32_e32 v3, 0xffff, v1
	s_delay_alu instid0(VALU_DEP_1) | instskip(SKIP_1) | instid1(VALU_DEP_2)
	v_dual_lshlrev_b32 v1, 24, v1 :: v_dual_bitop2_b32 v5, 3, v3 bitop3:0x40
	v_bfe_u32 v11, v3, 2, 5
	v_and_b32_e32 v1, 0x80000000, v1
	s_delay_alu instid0(VALU_DEP_3) | instskip(NEXT) | instid1(VALU_DEP_3)
	v_clz_i32_u32_e32 v7, v5
	v_cmp_eq_u32_e32 vcc_lo, 0, v11
	s_delay_alu instid0(VALU_DEP_2) | instskip(NEXT) | instid1(VALU_DEP_1)
	v_min_u32_e32 v7, 32, v7
	v_subrev_nc_u32_e32 v9, 29, v7
	v_sub_nc_u32_e32 v7, 30, v7
	s_delay_alu instid0(VALU_DEP_2) | instskip(NEXT) | instid1(VALU_DEP_2)
	v_lshlrev_b32_e32 v3, v9, v3
	v_cndmask_b32_e32 v7, v11, v7, vcc_lo
	s_delay_alu instid0(VALU_DEP_2) | instskip(NEXT) | instid1(VALU_DEP_1)
	v_and_b32_e32 v3, 3, v3
	v_cndmask_b32_e32 v3, v5, v3, vcc_lo
	s_delay_alu instid0(VALU_DEP_3) | instskip(NEXT) | instid1(VALU_DEP_2)
	v_lshl_add_u32 v5, v7, 23, 0x37800000
	v_lshlrev_b32_e32 v3, 21, v3
	s_delay_alu instid0(VALU_DEP_1) | instskip(NEXT) | instid1(VALU_DEP_1)
	v_or3_b32 v1, v1, v5, v3
	v_trunc_f32_e32 v1, v1
	s_delay_alu instid0(VALU_DEP_1) | instskip(NEXT) | instid1(VALU_DEP_1)
	v_mul_f32_e64 v3, 0x2f800000, |v1|
	v_floor_f32_e32 v3, v3
	s_delay_alu instid0(VALU_DEP_1) | instskip(SKIP_1) | instid1(VALU_DEP_2)
	v_fma_f32 v3, 0xcf800000, v3, |v1|
	v_ashrrev_i32_e32 v1, 31, v1
	v_cvt_u32_f32_e32 v3, v3
	s_delay_alu instid0(VALU_DEP_1) | instskip(NEXT) | instid1(VALU_DEP_1)
	v_xor_b32_e32 v3, v3, v1
	v_sub_nc_u32_e32 v20, v3, v1
.LBB7_2155:
	s_or_b32 exec_lo, exec_lo, s14
	s_mov_b32 s14, 0
	s_branch .LBB7_2161
.LBB7_2156:
	s_mov_b32 s14, -1
                                        ; implicit-def: $vgpr20
	s_branch .LBB7_2167
.LBB7_2157:
	s_and_not1_saveexec_b32 s15, s15
	s_cbranch_execz .LBB7_2142
.LBB7_2158:
	v_cmp_ne_u16_e32 vcc_lo, 0, v1
	s_and_not1_b32 s16, s16, exec_lo
	s_and_b32 s17, vcc_lo, exec_lo
	s_delay_alu instid0(SALU_CYCLE_1)
	s_or_b32 s16, s16, s17
	s_or_b32 exec_lo, exec_lo, s15
	v_mov_b32_e32 v20, 0
	s_and_saveexec_b32 s15, s16
	s_cbranch_execnz .LBB7_2143
	s_branch .LBB7_2144
.LBB7_2159:
	s_mov_b32 s14, -1
                                        ; implicit-def: $vgpr20
	s_branch .LBB7_2164
.LBB7_2160:
	s_mov_b32 s14, -1
                                        ; implicit-def: $vgpr20
.LBB7_2161:
	s_delay_alu instid0(SALU_CYCLE_1)
	s_and_b32 vcc_lo, exec_lo, s14
	s_cbranch_vccz .LBB7_2163
; %bb.2162:
	global_load_u8 v1, v[24:25], off
	s_wait_loadcnt 0x0
	v_lshlrev_b32_e32 v1, 24, v1
	s_delay_alu instid0(VALU_DEP_1) | instskip(NEXT) | instid1(VALU_DEP_1)
	v_and_b32_e32 v3, 0x7f000000, v1
	v_clz_i32_u32_e32 v5, v3
	v_add_nc_u32_e32 v9, 0x1000000, v3
	v_cmp_ne_u32_e32 vcc_lo, 0, v3
	s_delay_alu instid0(VALU_DEP_3) | instskip(NEXT) | instid1(VALU_DEP_1)
	v_min_u32_e32 v5, 32, v5
	v_sub_nc_u32_e64 v5, v5, 4 clamp
	s_delay_alu instid0(VALU_DEP_1) | instskip(NEXT) | instid1(VALU_DEP_1)
	v_dual_lshlrev_b32 v7, v5, v3 :: v_dual_lshlrev_b32 v5, 23, v5
	v_lshrrev_b32_e32 v7, 4, v7
	s_delay_alu instid0(VALU_DEP_1) | instskip(SKIP_1) | instid1(VALU_DEP_2)
	v_sub_nc_u32_e32 v5, v7, v5
	v_ashrrev_i32_e32 v7, 8, v9
	v_add_nc_u32_e32 v5, 0x3c000000, v5
	s_delay_alu instid0(VALU_DEP_1) | instskip(NEXT) | instid1(VALU_DEP_1)
	v_and_or_b32 v5, 0x7f800000, v7, v5
	v_cndmask_b32_e32 v3, 0, v5, vcc_lo
	s_delay_alu instid0(VALU_DEP_1) | instskip(NEXT) | instid1(VALU_DEP_1)
	v_and_or_b32 v1, 0x80000000, v1, v3
	v_trunc_f32_e32 v1, v1
	s_delay_alu instid0(VALU_DEP_1) | instskip(NEXT) | instid1(VALU_DEP_1)
	v_mul_f32_e64 v3, 0x2f800000, |v1|
	v_floor_f32_e32 v3, v3
	s_delay_alu instid0(VALU_DEP_1) | instskip(SKIP_1) | instid1(VALU_DEP_2)
	v_fma_f32 v3, 0xcf800000, v3, |v1|
	v_ashrrev_i32_e32 v1, 31, v1
	v_cvt_u32_f32_e32 v3, v3
	s_delay_alu instid0(VALU_DEP_1) | instskip(NEXT) | instid1(VALU_DEP_1)
	v_xor_b32_e32 v3, v3, v1
	v_sub_nc_u32_e32 v20, v3, v1
.LBB7_2163:
	s_mov_b32 s14, 0
.LBB7_2164:
	s_delay_alu instid0(SALU_CYCLE_1)
	s_and_not1_b32 vcc_lo, exec_lo, s14
	s_cbranch_vccnz .LBB7_2166
; %bb.2165:
	global_load_u8 v1, v[24:25], off
	s_wait_loadcnt 0x0
	v_lshlrev_b32_e32 v3, 25, v1
	v_lshlrev_b16 v1, 8, v1
	s_delay_alu instid0(VALU_DEP_1) | instskip(SKIP_1) | instid1(VALU_DEP_2)
	v_and_or_b32 v7, 0x7f00, v1, 0.5
	v_bfe_i32 v1, v1, 0, 16
	v_add_f32_e32 v7, -0.5, v7
	v_lshrrev_b32_e32 v5, 4, v3
	v_cmp_gt_u32_e32 vcc_lo, 0x8000000, v3
	s_delay_alu instid0(VALU_DEP_2) | instskip(NEXT) | instid1(VALU_DEP_1)
	v_or_b32_e32 v5, 0x70000000, v5
	v_mul_f32_e32 v5, 0x7800000, v5
	s_delay_alu instid0(VALU_DEP_1) | instskip(NEXT) | instid1(VALU_DEP_1)
	v_cndmask_b32_e32 v3, v5, v7, vcc_lo
	v_and_or_b32 v1, 0x80000000, v1, v3
	s_delay_alu instid0(VALU_DEP_1) | instskip(NEXT) | instid1(VALU_DEP_1)
	v_trunc_f32_e32 v1, v1
	v_mul_f32_e64 v3, 0x2f800000, |v1|
	s_delay_alu instid0(VALU_DEP_1) | instskip(NEXT) | instid1(VALU_DEP_1)
	v_floor_f32_e32 v3, v3
	v_fma_f32 v3, 0xcf800000, v3, |v1|
	v_ashrrev_i32_e32 v1, 31, v1
	s_delay_alu instid0(VALU_DEP_2) | instskip(NEXT) | instid1(VALU_DEP_1)
	v_cvt_u32_f32_e32 v3, v3
	v_xor_b32_e32 v3, v3, v1
	s_delay_alu instid0(VALU_DEP_1)
	v_sub_nc_u32_e32 v20, v3, v1
.LBB7_2166:
	s_mov_b32 s14, 0
	s_mov_b32 s15, -1
.LBB7_2167:
	s_and_not1_b32 vcc_lo, exec_lo, s14
	s_mov_b32 s14, 0
	s_cbranch_vccnz .LBB7_2178
; %bb.2168:
	s_cmp_gt_i32 s11, 14
	s_cbranch_scc0 .LBB7_2171
; %bb.2169:
	s_cmp_eq_u32 s11, 15
	s_cbranch_scc0 .LBB7_2174
; %bb.2170:
	global_load_u16 v1, v[24:25], off
	s_mov_b32 s13, 0
	s_mov_b32 s15, -1
	s_wait_loadcnt 0x0
	v_lshlrev_b32_e32 v1, 16, v1
	s_delay_alu instid0(VALU_DEP_1) | instskip(NEXT) | instid1(VALU_DEP_1)
	v_trunc_f32_e32 v1, v1
	v_mul_f32_e64 v3, 0x2f800000, |v1|
	s_delay_alu instid0(VALU_DEP_1) | instskip(NEXT) | instid1(VALU_DEP_1)
	v_floor_f32_e32 v3, v3
	v_fma_f32 v3, 0xcf800000, v3, |v1|
	v_ashrrev_i32_e32 v1, 31, v1
	s_delay_alu instid0(VALU_DEP_2) | instskip(NEXT) | instid1(VALU_DEP_1)
	v_cvt_u32_f32_e32 v3, v3
	v_xor_b32_e32 v3, v3, v1
	s_delay_alu instid0(VALU_DEP_1)
	v_sub_nc_u32_e32 v20, v3, v1
	s_branch .LBB7_2176
.LBB7_2171:
	s_mov_b32 s14, -1
	s_branch .LBB7_2175
.LBB7_2172:
	s_and_not1_saveexec_b32 s14, s14
	s_cbranch_execz .LBB7_2153
.LBB7_2173:
	v_cmp_ne_u16_e32 vcc_lo, 0, v1
	s_and_not1_b32 s15, s15, exec_lo
	s_and_b32 s16, vcc_lo, exec_lo
	s_delay_alu instid0(SALU_CYCLE_1)
	s_or_b32 s15, s15, s16
	s_or_b32 exec_lo, exec_lo, s14
	v_mov_b32_e32 v20, 0
	s_and_saveexec_b32 s14, s15
	s_cbranch_execnz .LBB7_2154
	s_branch .LBB7_2155
.LBB7_2174:
	s_mov_b32 s13, -1
.LBB7_2175:
                                        ; implicit-def: $vgpr20
.LBB7_2176:
	s_and_b32 vcc_lo, exec_lo, s14
	s_mov_b32 s14, 0
	s_cbranch_vccz .LBB7_2178
; %bb.2177:
	s_cmp_lg_u32 s11, 11
	s_mov_b32 s14, -1
	s_cselect_b32 s13, -1, 0
.LBB7_2178:
	s_delay_alu instid0(SALU_CYCLE_1)
	s_and_b32 vcc_lo, exec_lo, s13
	s_cbranch_vccnz .LBB7_2243
; %bb.2179:
	s_and_not1_b32 vcc_lo, exec_lo, s14
	s_cbranch_vccnz .LBB7_2181
.LBB7_2180:
	global_load_u8 v1, v[24:25], off
	s_mov_b32 s15, -1
	s_wait_loadcnt 0x0
	v_cmp_ne_u16_e32 vcc_lo, 0, v1
	v_cndmask_b32_e64 v20, 0, 1, vcc_lo
.LBB7_2181:
	s_mov_b32 s13, 0
.LBB7_2182:
	s_delay_alu instid0(SALU_CYCLE_1)
	s_and_b32 vcc_lo, exec_lo, s13
	s_cbranch_vccz .LBB7_2231
; %bb.2183:
	s_cmp_lt_i32 s11, 5
	s_cbranch_scc1 .LBB7_2188
; %bb.2184:
	s_cmp_lt_i32 s11, 8
	s_cbranch_scc1 .LBB7_2189
	;; [unrolled: 3-line block ×3, first 2 shown]
; %bb.2186:
	s_cmp_gt_i32 s11, 9
	s_cbranch_scc0 .LBB7_2191
; %bb.2187:
	s_wait_loadcnt 0x0
	global_load_b64 v[20:21], v[24:25], off
	s_mov_b32 s13, 0
	s_wait_loadcnt 0x0
	v_trunc_f64_e32 v[20:21], v[20:21]
	s_delay_alu instid0(VALU_DEP_1) | instskip(NEXT) | instid1(VALU_DEP_1)
	v_ldexp_f64 v[26:27], v[20:21], 0xffffffe0
	v_floor_f64_e32 v[26:27], v[26:27]
	s_delay_alu instid0(VALU_DEP_1) | instskip(NEXT) | instid1(VALU_DEP_1)
	v_fmamk_f64 v[20:21], v[26:27], 0xc1f00000, v[20:21]
	v_cvt_u32_f64_e32 v20, v[20:21]
	s_branch .LBB7_2192
.LBB7_2188:
	s_mov_b32 s13, -1
                                        ; implicit-def: $vgpr20
	s_branch .LBB7_2210
.LBB7_2189:
	s_mov_b32 s13, -1
                                        ; implicit-def: $vgpr20
	s_branch .LBB7_2198
.LBB7_2190:
	s_mov_b32 s13, -1
                                        ; implicit-def: $vgpr20
	s_branch .LBB7_2195
.LBB7_2191:
	s_mov_b32 s13, -1
                                        ; implicit-def: $vgpr20
.LBB7_2192:
	s_delay_alu instid0(SALU_CYCLE_1)
	s_and_not1_b32 vcc_lo, exec_lo, s13
	s_cbranch_vccnz .LBB7_2194
; %bb.2193:
	global_load_b32 v1, v[24:25], off
	s_wait_loadcnt 0x0
	v_trunc_f32_e32 v1, v1
	s_delay_alu instid0(VALU_DEP_1) | instskip(NEXT) | instid1(VALU_DEP_1)
	v_mul_f32_e64 v3, 0x2f800000, |v1|
	v_floor_f32_e32 v3, v3
	s_delay_alu instid0(VALU_DEP_1) | instskip(SKIP_1) | instid1(VALU_DEP_2)
	v_fma_f32 v3, 0xcf800000, v3, |v1|
	v_ashrrev_i32_e32 v1, 31, v1
	v_cvt_u32_f32_e32 v3, v3
	s_delay_alu instid0(VALU_DEP_1) | instskip(NEXT) | instid1(VALU_DEP_1)
	v_xor_b32_e32 v3, v3, v1
	v_sub_nc_u32_e32 v20, v3, v1
.LBB7_2194:
	s_mov_b32 s13, 0
.LBB7_2195:
	s_delay_alu instid0(SALU_CYCLE_1)
	s_and_not1_b32 vcc_lo, exec_lo, s13
	s_cbranch_vccnz .LBB7_2197
; %bb.2196:
	global_load_b32 v1, v[24:25], off
	s_wait_loadcnt 0x0
	v_cvt_f32_f16_e32 v1, v1
	s_delay_alu instid0(VALU_DEP_1)
	v_cvt_i32_f32_e32 v20, v1
.LBB7_2197:
	s_mov_b32 s13, 0
.LBB7_2198:
	s_delay_alu instid0(SALU_CYCLE_1)
	s_and_not1_b32 vcc_lo, exec_lo, s13
	s_cbranch_vccnz .LBB7_2209
; %bb.2199:
	s_cmp_lt_i32 s11, 6
	s_cbranch_scc1 .LBB7_2202
; %bb.2200:
	s_cmp_gt_i32 s11, 6
	s_cbranch_scc0 .LBB7_2203
; %bb.2201:
	s_wait_loadcnt 0x0
	global_load_b64 v[20:21], v[24:25], off
	s_mov_b32 s13, 0
	s_wait_loadcnt 0x0
	v_trunc_f64_e32 v[20:21], v[20:21]
	s_delay_alu instid0(VALU_DEP_1) | instskip(NEXT) | instid1(VALU_DEP_1)
	v_ldexp_f64 v[26:27], v[20:21], 0xffffffe0
	v_floor_f64_e32 v[26:27], v[26:27]
	s_delay_alu instid0(VALU_DEP_1) | instskip(NEXT) | instid1(VALU_DEP_1)
	v_fmamk_f64 v[20:21], v[26:27], 0xc1f00000, v[20:21]
	v_cvt_u32_f64_e32 v20, v[20:21]
	s_branch .LBB7_2204
.LBB7_2202:
	s_mov_b32 s13, -1
                                        ; implicit-def: $vgpr20
	s_branch .LBB7_2207
.LBB7_2203:
	s_mov_b32 s13, -1
                                        ; implicit-def: $vgpr20
.LBB7_2204:
	s_delay_alu instid0(SALU_CYCLE_1)
	s_and_not1_b32 vcc_lo, exec_lo, s13
	s_cbranch_vccnz .LBB7_2206
; %bb.2205:
	global_load_b32 v1, v[24:25], off
	s_wait_loadcnt 0x0
	v_trunc_f32_e32 v1, v1
	s_delay_alu instid0(VALU_DEP_1) | instskip(NEXT) | instid1(VALU_DEP_1)
	v_mul_f32_e64 v3, 0x2f800000, |v1|
	v_floor_f32_e32 v3, v3
	s_delay_alu instid0(VALU_DEP_1) | instskip(SKIP_1) | instid1(VALU_DEP_2)
	v_fma_f32 v3, 0xcf800000, v3, |v1|
	v_ashrrev_i32_e32 v1, 31, v1
	v_cvt_u32_f32_e32 v3, v3
	s_delay_alu instid0(VALU_DEP_1) | instskip(NEXT) | instid1(VALU_DEP_1)
	v_xor_b32_e32 v3, v3, v1
	v_sub_nc_u32_e32 v20, v3, v1
.LBB7_2206:
	s_mov_b32 s13, 0
.LBB7_2207:
	s_delay_alu instid0(SALU_CYCLE_1)
	s_and_not1_b32 vcc_lo, exec_lo, s13
	s_cbranch_vccnz .LBB7_2209
; %bb.2208:
	global_load_u16 v1, v[24:25], off
	s_wait_loadcnt 0x0
	v_cvt_f32_f16_e32 v1, v1
	s_delay_alu instid0(VALU_DEP_1)
	v_cvt_i32_f32_e32 v20, v1
.LBB7_2209:
	s_mov_b32 s13, 0
.LBB7_2210:
	s_delay_alu instid0(SALU_CYCLE_1)
	s_and_not1_b32 vcc_lo, exec_lo, s13
	s_cbranch_vccnz .LBB7_2230
; %bb.2211:
	s_cmp_lt_i32 s11, 2
	s_cbranch_scc1 .LBB7_2215
; %bb.2212:
	s_cmp_lt_i32 s11, 3
	s_cbranch_scc1 .LBB7_2216
; %bb.2213:
	s_cmp_gt_i32 s11, 3
	s_cbranch_scc0 .LBB7_2217
; %bb.2214:
	s_wait_loadcnt 0x0
	global_load_b64 v[20:21], v[24:25], off
	s_mov_b32 s13, 0
	s_branch .LBB7_2218
.LBB7_2215:
	s_mov_b32 s13, -1
                                        ; implicit-def: $vgpr20
	s_branch .LBB7_2224
.LBB7_2216:
	s_mov_b32 s13, -1
                                        ; implicit-def: $vgpr20
	s_branch .LBB7_2221
.LBB7_2217:
	s_mov_b32 s13, -1
                                        ; implicit-def: $vgpr20
.LBB7_2218:
	s_delay_alu instid0(SALU_CYCLE_1)
	s_and_not1_b32 vcc_lo, exec_lo, s13
	s_cbranch_vccnz .LBB7_2220
; %bb.2219:
	s_wait_loadcnt 0x0
	global_load_b32 v20, v[24:25], off
.LBB7_2220:
	s_mov_b32 s13, 0
.LBB7_2221:
	s_delay_alu instid0(SALU_CYCLE_1)
	s_and_not1_b32 vcc_lo, exec_lo, s13
	s_cbranch_vccnz .LBB7_2223
; %bb.2222:
	s_wait_loadcnt 0x0
	global_load_u16 v20, v[24:25], off
.LBB7_2223:
	s_mov_b32 s13, 0
.LBB7_2224:
	s_delay_alu instid0(SALU_CYCLE_1)
	s_and_not1_b32 vcc_lo, exec_lo, s13
	s_cbranch_vccnz .LBB7_2230
; %bb.2225:
	s_cmp_gt_i32 s11, 0
	s_mov_b32 s13, 0
	s_cbranch_scc0 .LBB7_2227
; %bb.2226:
	s_wait_loadcnt 0x0
	global_load_u8 v20, v[24:25], off
	s_branch .LBB7_2228
.LBB7_2227:
	s_mov_b32 s13, -1
                                        ; implicit-def: $vgpr20
.LBB7_2228:
	s_delay_alu instid0(SALU_CYCLE_1)
	s_and_not1_b32 vcc_lo, exec_lo, s13
	s_cbranch_vccnz .LBB7_2230
; %bb.2229:
	s_wait_loadcnt 0x0
	global_load_u8 v20, v[24:25], off
.LBB7_2230:
	s_mov_b32 s15, -1
.LBB7_2231:
	s_delay_alu instid0(SALU_CYCLE_1)
	s_and_not1_b32 vcc_lo, exec_lo, s15
	s_cbranch_vccnz .LBB7_3047
; %bb.2232:
	v_mov_b32_e32 v23, 0
	s_cmp_lt_i32 s12, 11
	s_wait_xcnt 0x0
	s_delay_alu instid0(VALU_DEP_1)
	v_add_nc_u64_e32 v[24:25], s[0:1], v[22:23]
	s_cbranch_scc1 .LBB7_2239
; %bb.2233:
	s_cmp_gt_i32 s12, 25
	s_mov_b32 s14, 0
	s_cbranch_scc0 .LBB7_2240
; %bb.2234:
	s_cmp_gt_i32 s12, 28
	s_cbranch_scc0 .LBB7_2241
; %bb.2235:
	s_cmp_gt_i32 s12, 43
	s_cbranch_scc0 .LBB7_2242
; %bb.2236:
	s_cmp_gt_i32 s12, 45
	s_cbranch_scc0 .LBB7_2244
; %bb.2237:
	s_cmp_eq_u32 s12, 46
	s_mov_b32 s16, 0
	s_cbranch_scc0 .LBB7_2247
; %bb.2238:
	global_load_b32 v1, v[24:25], off
	s_mov_b32 s13, 0
	s_mov_b32 s15, -1
	s_wait_loadcnt 0x0
	v_lshlrev_b32_e32 v1, 16, v1
	s_delay_alu instid0(VALU_DEP_1) | instskip(NEXT) | instid1(VALU_DEP_1)
	v_trunc_f32_e32 v1, v1
	v_mul_f32_e64 v3, 0x2f800000, |v1|
	s_delay_alu instid0(VALU_DEP_1) | instskip(NEXT) | instid1(VALU_DEP_1)
	v_floor_f32_e32 v3, v3
	v_fma_f32 v3, 0xcf800000, v3, |v1|
	v_ashrrev_i32_e32 v1, 31, v1
	s_delay_alu instid0(VALU_DEP_2) | instskip(NEXT) | instid1(VALU_DEP_1)
	v_cvt_u32_f32_e32 v3, v3
	v_xor_b32_e32 v3, v3, v1
	s_delay_alu instid0(VALU_DEP_1)
	v_sub_nc_u32_e32 v22, v3, v1
	s_branch .LBB7_2249
.LBB7_2239:
	s_mov_b32 s13, -1
	s_mov_b32 s15, 0
                                        ; implicit-def: $vgpr22
	s_branch .LBB7_2311
.LBB7_2240:
	s_mov_b32 s16, -1
	s_mov_b32 s15, 0
	s_mov_b32 s13, 0
                                        ; implicit-def: $vgpr22
	s_branch .LBB7_2276
.LBB7_2241:
	s_mov_b32 s16, -1
	s_mov_b32 s15, 0
	s_mov_b32 s13, 0
                                        ; implicit-def: $vgpr22
	s_branch .LBB7_2259
.LBB7_2242:
	s_mov_b32 s16, -1
	s_mov_b32 s15, 0
	s_mov_b32 s13, 0
                                        ; implicit-def: $vgpr22
	s_branch .LBB7_2254
.LBB7_2243:
	s_or_b32 s10, s10, exec_lo
	s_trap 2
	s_cbranch_execz .LBB7_2180
	s_branch .LBB7_2181
.LBB7_2244:
	s_mov_b32 s16, -1
	s_mov_b32 s15, 0
	s_mov_b32 s13, 0
	s_branch .LBB7_2248
.LBB7_2245:
	s_and_not1_saveexec_b32 s53, s53
	s_cbranch_execz .LBB7_1097
.LBB7_2246:
	v_add_f32_e32 v1, 0x42800000, v4
	s_and_not1_b32 s52, s52, exec_lo
	s_delay_alu instid0(VALU_DEP_1) | instskip(NEXT) | instid1(VALU_DEP_1)
	v_and_b32_e32 v1, 0xff, v1
	v_cmp_ne_u32_e32 vcc_lo, 0, v1
	s_and_b32 s54, vcc_lo, exec_lo
	s_delay_alu instid0(SALU_CYCLE_1)
	s_or_b32 s52, s52, s54
	s_or_b32 exec_lo, exec_lo, s53
	v_mov_b32_e32 v5, 0
	s_and_saveexec_b32 s53, s52
	s_cbranch_execnz .LBB7_1098
	s_branch .LBB7_1099
.LBB7_2247:
	s_mov_b32 s13, -1
	s_mov_b32 s15, 0
.LBB7_2248:
                                        ; implicit-def: $vgpr22
.LBB7_2249:
	s_and_b32 vcc_lo, exec_lo, s16
	s_cbranch_vccz .LBB7_2253
; %bb.2250:
	s_cmp_eq_u32 s12, 44
	s_cbranch_scc0 .LBB7_2252
; %bb.2251:
	global_load_u8 v1, v[24:25], off
	s_mov_b32 s13, 0
	s_mov_b32 s15, -1
	s_wait_loadcnt 0x0
	v_lshlrev_b32_e32 v3, 23, v1
	v_cmp_ne_u32_e32 vcc_lo, 0, v1
	s_delay_alu instid0(VALU_DEP_2) | instskip(NEXT) | instid1(VALU_DEP_1)
	v_trunc_f32_e32 v3, v3
	v_mul_f32_e64 v5, 0x2f800000, |v3|
	s_delay_alu instid0(VALU_DEP_1) | instskip(NEXT) | instid1(VALU_DEP_1)
	v_floor_f32_e32 v5, v5
	v_fma_f32 v5, 0xcf800000, v5, |v3|
	v_ashrrev_i32_e32 v3, 31, v3
	s_delay_alu instid0(VALU_DEP_2) | instskip(NEXT) | instid1(VALU_DEP_1)
	v_cvt_u32_f32_e32 v5, v5
	v_xor_b32_e32 v5, v5, v3
	s_delay_alu instid0(VALU_DEP_1) | instskip(NEXT) | instid1(VALU_DEP_1)
	v_sub_nc_u32_e32 v3, v5, v3
	v_cndmask_b32_e32 v22, 0, v3, vcc_lo
	s_branch .LBB7_2253
.LBB7_2252:
	s_mov_b32 s13, -1
                                        ; implicit-def: $vgpr22
.LBB7_2253:
	s_mov_b32 s16, 0
.LBB7_2254:
	s_delay_alu instid0(SALU_CYCLE_1)
	s_and_b32 vcc_lo, exec_lo, s16
	s_cbranch_vccz .LBB7_2258
; %bb.2255:
	s_cmp_eq_u32 s12, 29
	s_cbranch_scc0 .LBB7_2257
; %bb.2256:
	global_load_b64 v[22:23], v[24:25], off
	s_mov_b32 s13, 0
	s_mov_b32 s15, -1
	s_branch .LBB7_2258
.LBB7_2257:
	s_mov_b32 s13, -1
                                        ; implicit-def: $vgpr22
.LBB7_2258:
	s_mov_b32 s16, 0
.LBB7_2259:
	s_delay_alu instid0(SALU_CYCLE_1)
	s_and_b32 vcc_lo, exec_lo, s16
	s_cbranch_vccz .LBB7_2275
; %bb.2260:
	s_cmp_lt_i32 s12, 27
	s_cbranch_scc1 .LBB7_2263
; %bb.2261:
	s_cmp_gt_i32 s12, 27
	s_cbranch_scc0 .LBB7_2264
; %bb.2262:
	s_wait_loadcnt 0x0
	global_load_b32 v22, v[24:25], off
	s_mov_b32 s15, 0
	s_branch .LBB7_2265
.LBB7_2263:
	s_mov_b32 s15, -1
                                        ; implicit-def: $vgpr22
	s_branch .LBB7_2268
.LBB7_2264:
	s_mov_b32 s15, -1
                                        ; implicit-def: $vgpr22
.LBB7_2265:
	s_delay_alu instid0(SALU_CYCLE_1)
	s_and_not1_b32 vcc_lo, exec_lo, s15
	s_cbranch_vccnz .LBB7_2267
; %bb.2266:
	s_wait_loadcnt 0x0
	global_load_u16 v22, v[24:25], off
.LBB7_2267:
	s_mov_b32 s15, 0
.LBB7_2268:
	s_delay_alu instid0(SALU_CYCLE_1)
	s_and_not1_b32 vcc_lo, exec_lo, s15
	s_cbranch_vccnz .LBB7_2274
; %bb.2269:
	global_load_u8 v1, v[24:25], off
	s_mov_b32 s16, 0
	s_mov_b32 s15, exec_lo
	s_wait_loadcnt 0x0
	v_cmpx_lt_i16_e32 0x7f, v1
	s_xor_b32 s15, exec_lo, s15
	s_cbranch_execz .LBB7_2286
; %bb.2270:
	v_cmp_ne_u16_e32 vcc_lo, 0x80, v1
	s_and_b32 s16, vcc_lo, exec_lo
	s_and_not1_saveexec_b32 s15, s15
	s_cbranch_execnz .LBB7_2287
.LBB7_2271:
	s_or_b32 exec_lo, exec_lo, s15
	v_mov_b32_e32 v22, 0
	s_and_saveexec_b32 s15, s16
	s_cbranch_execz .LBB7_2273
.LBB7_2272:
	v_and_b32_e32 v3, 0xffff, v1
	s_delay_alu instid0(VALU_DEP_1) | instskip(SKIP_1) | instid1(VALU_DEP_2)
	v_dual_lshlrev_b32 v1, 24, v1 :: v_dual_bitop2_b32 v5, 7, v3 bitop3:0x40
	v_bfe_u32 v11, v3, 3, 4
	v_and_b32_e32 v1, 0x80000000, v1
	s_delay_alu instid0(VALU_DEP_3) | instskip(NEXT) | instid1(VALU_DEP_3)
	v_clz_i32_u32_e32 v7, v5
	v_cmp_eq_u32_e32 vcc_lo, 0, v11
	s_delay_alu instid0(VALU_DEP_2) | instskip(NEXT) | instid1(VALU_DEP_1)
	v_min_u32_e32 v7, 32, v7
	v_subrev_nc_u32_e32 v9, 28, v7
	v_sub_nc_u32_e32 v7, 29, v7
	s_delay_alu instid0(VALU_DEP_2) | instskip(NEXT) | instid1(VALU_DEP_2)
	v_lshlrev_b32_e32 v3, v9, v3
	v_cndmask_b32_e32 v7, v11, v7, vcc_lo
	s_delay_alu instid0(VALU_DEP_2) | instskip(NEXT) | instid1(VALU_DEP_1)
	v_and_b32_e32 v3, 7, v3
	v_cndmask_b32_e32 v3, v5, v3, vcc_lo
	s_delay_alu instid0(VALU_DEP_3) | instskip(NEXT) | instid1(VALU_DEP_2)
	v_lshl_add_u32 v5, v7, 23, 0x3b800000
	v_lshlrev_b32_e32 v3, 20, v3
	s_delay_alu instid0(VALU_DEP_1) | instskip(NEXT) | instid1(VALU_DEP_1)
	v_or3_b32 v1, v1, v5, v3
	v_trunc_f32_e32 v1, v1
	s_delay_alu instid0(VALU_DEP_1) | instskip(NEXT) | instid1(VALU_DEP_1)
	v_mul_f32_e64 v3, 0x2f800000, |v1|
	v_floor_f32_e32 v3, v3
	s_delay_alu instid0(VALU_DEP_1) | instskip(SKIP_1) | instid1(VALU_DEP_2)
	v_fma_f32 v3, 0xcf800000, v3, |v1|
	v_ashrrev_i32_e32 v1, 31, v1
	v_cvt_u32_f32_e32 v3, v3
	s_delay_alu instid0(VALU_DEP_1) | instskip(NEXT) | instid1(VALU_DEP_1)
	v_xor_b32_e32 v3, v3, v1
	v_sub_nc_u32_e32 v22, v3, v1
.LBB7_2273:
	s_or_b32 exec_lo, exec_lo, s15
.LBB7_2274:
	s_mov_b32 s15, -1
.LBB7_2275:
	s_mov_b32 s16, 0
.LBB7_2276:
	s_delay_alu instid0(SALU_CYCLE_1)
	s_and_b32 vcc_lo, exec_lo, s16
	s_cbranch_vccz .LBB7_2307
; %bb.2277:
	s_cmp_gt_i32 s12, 22
	s_cbranch_scc0 .LBB7_2285
; %bb.2278:
	s_cmp_lt_i32 s12, 24
	s_cbranch_scc1 .LBB7_2288
; %bb.2279:
	s_cmp_gt_i32 s12, 24
	s_cbranch_scc0 .LBB7_2289
; %bb.2280:
	global_load_u8 v1, v[24:25], off
	s_mov_b32 s15, 0
	s_mov_b32 s14, exec_lo
	s_wait_loadcnt 0x0
	v_cmpx_lt_i16_e32 0x7f, v1
	s_xor_b32 s14, exec_lo, s14
	s_cbranch_execz .LBB7_2301
; %bb.2281:
	v_cmp_ne_u16_e32 vcc_lo, 0x80, v1
	s_and_b32 s15, vcc_lo, exec_lo
	s_and_not1_saveexec_b32 s14, s14
	s_cbranch_execnz .LBB7_2302
.LBB7_2282:
	s_or_b32 exec_lo, exec_lo, s14
	v_mov_b32_e32 v22, 0
	s_and_saveexec_b32 s14, s15
	s_cbranch_execz .LBB7_2284
.LBB7_2283:
	v_and_b32_e32 v3, 0xffff, v1
	s_delay_alu instid0(VALU_DEP_1) | instskip(SKIP_1) | instid1(VALU_DEP_2)
	v_dual_lshlrev_b32 v1, 24, v1 :: v_dual_bitop2_b32 v5, 3, v3 bitop3:0x40
	v_bfe_u32 v11, v3, 2, 5
	v_and_b32_e32 v1, 0x80000000, v1
	s_delay_alu instid0(VALU_DEP_3) | instskip(NEXT) | instid1(VALU_DEP_3)
	v_clz_i32_u32_e32 v7, v5
	v_cmp_eq_u32_e32 vcc_lo, 0, v11
	s_delay_alu instid0(VALU_DEP_2) | instskip(NEXT) | instid1(VALU_DEP_1)
	v_min_u32_e32 v7, 32, v7
	v_subrev_nc_u32_e32 v9, 29, v7
	v_sub_nc_u32_e32 v7, 30, v7
	s_delay_alu instid0(VALU_DEP_2) | instskip(NEXT) | instid1(VALU_DEP_2)
	v_lshlrev_b32_e32 v3, v9, v3
	v_cndmask_b32_e32 v7, v11, v7, vcc_lo
	s_delay_alu instid0(VALU_DEP_2) | instskip(NEXT) | instid1(VALU_DEP_1)
	v_and_b32_e32 v3, 3, v3
	v_cndmask_b32_e32 v3, v5, v3, vcc_lo
	s_delay_alu instid0(VALU_DEP_3) | instskip(NEXT) | instid1(VALU_DEP_2)
	v_lshl_add_u32 v5, v7, 23, 0x37800000
	v_lshlrev_b32_e32 v3, 21, v3
	s_delay_alu instid0(VALU_DEP_1) | instskip(NEXT) | instid1(VALU_DEP_1)
	v_or3_b32 v1, v1, v5, v3
	v_trunc_f32_e32 v1, v1
	s_delay_alu instid0(VALU_DEP_1) | instskip(NEXT) | instid1(VALU_DEP_1)
	v_mul_f32_e64 v3, 0x2f800000, |v1|
	v_floor_f32_e32 v3, v3
	s_delay_alu instid0(VALU_DEP_1) | instskip(SKIP_1) | instid1(VALU_DEP_2)
	v_fma_f32 v3, 0xcf800000, v3, |v1|
	v_ashrrev_i32_e32 v1, 31, v1
	v_cvt_u32_f32_e32 v3, v3
	s_delay_alu instid0(VALU_DEP_1) | instskip(NEXT) | instid1(VALU_DEP_1)
	v_xor_b32_e32 v3, v3, v1
	v_sub_nc_u32_e32 v22, v3, v1
.LBB7_2284:
	s_or_b32 exec_lo, exec_lo, s14
	s_mov_b32 s14, 0
	s_branch .LBB7_2290
.LBB7_2285:
	s_mov_b32 s14, -1
                                        ; implicit-def: $vgpr22
	s_branch .LBB7_2296
.LBB7_2286:
	s_and_not1_saveexec_b32 s15, s15
	s_cbranch_execz .LBB7_2271
.LBB7_2287:
	v_cmp_ne_u16_e32 vcc_lo, 0, v1
	s_and_not1_b32 s16, s16, exec_lo
	s_and_b32 s17, vcc_lo, exec_lo
	s_delay_alu instid0(SALU_CYCLE_1)
	s_or_b32 s16, s16, s17
	s_or_b32 exec_lo, exec_lo, s15
	v_mov_b32_e32 v22, 0
	s_and_saveexec_b32 s15, s16
	s_cbranch_execnz .LBB7_2272
	s_branch .LBB7_2273
.LBB7_2288:
	s_mov_b32 s14, -1
                                        ; implicit-def: $vgpr22
	s_branch .LBB7_2293
.LBB7_2289:
	s_mov_b32 s14, -1
                                        ; implicit-def: $vgpr22
.LBB7_2290:
	s_delay_alu instid0(SALU_CYCLE_1)
	s_and_b32 vcc_lo, exec_lo, s14
	s_cbranch_vccz .LBB7_2292
; %bb.2291:
	global_load_u8 v1, v[24:25], off
	s_wait_loadcnt 0x0
	v_lshlrev_b32_e32 v1, 24, v1
	s_delay_alu instid0(VALU_DEP_1) | instskip(NEXT) | instid1(VALU_DEP_1)
	v_and_b32_e32 v3, 0x7f000000, v1
	v_clz_i32_u32_e32 v5, v3
	v_add_nc_u32_e32 v9, 0x1000000, v3
	v_cmp_ne_u32_e32 vcc_lo, 0, v3
	s_delay_alu instid0(VALU_DEP_3) | instskip(NEXT) | instid1(VALU_DEP_1)
	v_min_u32_e32 v5, 32, v5
	v_sub_nc_u32_e64 v5, v5, 4 clamp
	s_delay_alu instid0(VALU_DEP_1) | instskip(NEXT) | instid1(VALU_DEP_1)
	v_dual_lshlrev_b32 v7, v5, v3 :: v_dual_lshlrev_b32 v5, 23, v5
	v_lshrrev_b32_e32 v7, 4, v7
	s_delay_alu instid0(VALU_DEP_1) | instskip(SKIP_1) | instid1(VALU_DEP_2)
	v_sub_nc_u32_e32 v5, v7, v5
	v_ashrrev_i32_e32 v7, 8, v9
	v_add_nc_u32_e32 v5, 0x3c000000, v5
	s_delay_alu instid0(VALU_DEP_1) | instskip(NEXT) | instid1(VALU_DEP_1)
	v_and_or_b32 v5, 0x7f800000, v7, v5
	v_cndmask_b32_e32 v3, 0, v5, vcc_lo
	s_delay_alu instid0(VALU_DEP_1) | instskip(NEXT) | instid1(VALU_DEP_1)
	v_and_or_b32 v1, 0x80000000, v1, v3
	v_trunc_f32_e32 v1, v1
	s_delay_alu instid0(VALU_DEP_1) | instskip(NEXT) | instid1(VALU_DEP_1)
	v_mul_f32_e64 v3, 0x2f800000, |v1|
	v_floor_f32_e32 v3, v3
	s_delay_alu instid0(VALU_DEP_1) | instskip(SKIP_1) | instid1(VALU_DEP_2)
	v_fma_f32 v3, 0xcf800000, v3, |v1|
	v_ashrrev_i32_e32 v1, 31, v1
	v_cvt_u32_f32_e32 v3, v3
	s_delay_alu instid0(VALU_DEP_1) | instskip(NEXT) | instid1(VALU_DEP_1)
	v_xor_b32_e32 v3, v3, v1
	v_sub_nc_u32_e32 v22, v3, v1
.LBB7_2292:
	s_mov_b32 s14, 0
.LBB7_2293:
	s_delay_alu instid0(SALU_CYCLE_1)
	s_and_not1_b32 vcc_lo, exec_lo, s14
	s_cbranch_vccnz .LBB7_2295
; %bb.2294:
	global_load_u8 v1, v[24:25], off
	s_wait_loadcnt 0x0
	v_lshlrev_b32_e32 v3, 25, v1
	v_lshlrev_b16 v1, 8, v1
	s_delay_alu instid0(VALU_DEP_1) | instskip(SKIP_1) | instid1(VALU_DEP_2)
	v_and_or_b32 v7, 0x7f00, v1, 0.5
	v_bfe_i32 v1, v1, 0, 16
	v_add_f32_e32 v7, -0.5, v7
	v_lshrrev_b32_e32 v5, 4, v3
	v_cmp_gt_u32_e32 vcc_lo, 0x8000000, v3
	s_delay_alu instid0(VALU_DEP_2) | instskip(NEXT) | instid1(VALU_DEP_1)
	v_or_b32_e32 v5, 0x70000000, v5
	v_mul_f32_e32 v5, 0x7800000, v5
	s_delay_alu instid0(VALU_DEP_1) | instskip(NEXT) | instid1(VALU_DEP_1)
	v_cndmask_b32_e32 v3, v5, v7, vcc_lo
	v_and_or_b32 v1, 0x80000000, v1, v3
	s_delay_alu instid0(VALU_DEP_1) | instskip(NEXT) | instid1(VALU_DEP_1)
	v_trunc_f32_e32 v1, v1
	v_mul_f32_e64 v3, 0x2f800000, |v1|
	s_delay_alu instid0(VALU_DEP_1) | instskip(NEXT) | instid1(VALU_DEP_1)
	v_floor_f32_e32 v3, v3
	v_fma_f32 v3, 0xcf800000, v3, |v1|
	v_ashrrev_i32_e32 v1, 31, v1
	s_delay_alu instid0(VALU_DEP_2) | instskip(NEXT) | instid1(VALU_DEP_1)
	v_cvt_u32_f32_e32 v3, v3
	v_xor_b32_e32 v3, v3, v1
	s_delay_alu instid0(VALU_DEP_1)
	v_sub_nc_u32_e32 v22, v3, v1
.LBB7_2295:
	s_mov_b32 s14, 0
	s_mov_b32 s15, -1
.LBB7_2296:
	s_and_not1_b32 vcc_lo, exec_lo, s14
	s_mov_b32 s14, 0
	s_cbranch_vccnz .LBB7_2307
; %bb.2297:
	s_cmp_gt_i32 s12, 14
	s_cbranch_scc0 .LBB7_2300
; %bb.2298:
	s_cmp_eq_u32 s12, 15
	s_cbranch_scc0 .LBB7_2303
; %bb.2299:
	global_load_u16 v1, v[24:25], off
	s_mov_b32 s13, 0
	s_mov_b32 s15, -1
	s_wait_loadcnt 0x0
	v_lshlrev_b32_e32 v1, 16, v1
	s_delay_alu instid0(VALU_DEP_1) | instskip(NEXT) | instid1(VALU_DEP_1)
	v_trunc_f32_e32 v1, v1
	v_mul_f32_e64 v3, 0x2f800000, |v1|
	s_delay_alu instid0(VALU_DEP_1) | instskip(NEXT) | instid1(VALU_DEP_1)
	v_floor_f32_e32 v3, v3
	v_fma_f32 v3, 0xcf800000, v3, |v1|
	v_ashrrev_i32_e32 v1, 31, v1
	s_delay_alu instid0(VALU_DEP_2) | instskip(NEXT) | instid1(VALU_DEP_1)
	v_cvt_u32_f32_e32 v3, v3
	v_xor_b32_e32 v3, v3, v1
	s_delay_alu instid0(VALU_DEP_1)
	v_sub_nc_u32_e32 v22, v3, v1
	s_branch .LBB7_2305
.LBB7_2300:
	s_mov_b32 s14, -1
	s_branch .LBB7_2304
.LBB7_2301:
	s_and_not1_saveexec_b32 s14, s14
	s_cbranch_execz .LBB7_2282
.LBB7_2302:
	v_cmp_ne_u16_e32 vcc_lo, 0, v1
	s_and_not1_b32 s15, s15, exec_lo
	s_and_b32 s16, vcc_lo, exec_lo
	s_delay_alu instid0(SALU_CYCLE_1)
	s_or_b32 s15, s15, s16
	s_or_b32 exec_lo, exec_lo, s14
	v_mov_b32_e32 v22, 0
	s_and_saveexec_b32 s14, s15
	s_cbranch_execnz .LBB7_2283
	s_branch .LBB7_2284
.LBB7_2303:
	s_mov_b32 s13, -1
.LBB7_2304:
                                        ; implicit-def: $vgpr22
.LBB7_2305:
	s_and_b32 vcc_lo, exec_lo, s14
	s_mov_b32 s14, 0
	s_cbranch_vccz .LBB7_2307
; %bb.2306:
	s_cmp_lg_u32 s12, 11
	s_mov_b32 s14, -1
	s_cselect_b32 s13, -1, 0
.LBB7_2307:
	s_delay_alu instid0(SALU_CYCLE_1)
	s_and_b32 vcc_lo, exec_lo, s13
	s_cbranch_vccnz .LBB7_2372
; %bb.2308:
	s_and_not1_b32 vcc_lo, exec_lo, s14
	s_cbranch_vccnz .LBB7_2310
.LBB7_2309:
	global_load_u8 v1, v[24:25], off
	s_mov_b32 s15, -1
	s_wait_loadcnt 0x0
	v_cmp_ne_u16_e32 vcc_lo, 0, v1
	v_cndmask_b32_e64 v22, 0, 1, vcc_lo
.LBB7_2310:
	s_mov_b32 s13, 0
.LBB7_2311:
	s_delay_alu instid0(SALU_CYCLE_1)
	s_and_b32 vcc_lo, exec_lo, s13
	s_cbranch_vccz .LBB7_2360
; %bb.2312:
	s_cmp_lt_i32 s12, 5
	s_cbranch_scc1 .LBB7_2317
; %bb.2313:
	s_cmp_lt_i32 s12, 8
	s_cbranch_scc1 .LBB7_2318
	;; [unrolled: 3-line block ×3, first 2 shown]
; %bb.2315:
	s_cmp_gt_i32 s12, 9
	s_cbranch_scc0 .LBB7_2320
; %bb.2316:
	s_wait_loadcnt 0x0
	global_load_b64 v[22:23], v[24:25], off
	s_mov_b32 s13, 0
	s_wait_loadcnt 0x0
	v_trunc_f64_e32 v[22:23], v[22:23]
	s_delay_alu instid0(VALU_DEP_1) | instskip(NEXT) | instid1(VALU_DEP_1)
	v_ldexp_f64 v[26:27], v[22:23], 0xffffffe0
	v_floor_f64_e32 v[26:27], v[26:27]
	s_delay_alu instid0(VALU_DEP_1) | instskip(NEXT) | instid1(VALU_DEP_1)
	v_fmamk_f64 v[22:23], v[26:27], 0xc1f00000, v[22:23]
	v_cvt_u32_f64_e32 v22, v[22:23]
	s_branch .LBB7_2321
.LBB7_2317:
	s_mov_b32 s13, -1
                                        ; implicit-def: $vgpr22
	s_branch .LBB7_2339
.LBB7_2318:
	s_mov_b32 s13, -1
                                        ; implicit-def: $vgpr22
	s_branch .LBB7_2327
.LBB7_2319:
	s_mov_b32 s13, -1
                                        ; implicit-def: $vgpr22
	s_branch .LBB7_2324
.LBB7_2320:
	s_mov_b32 s13, -1
                                        ; implicit-def: $vgpr22
.LBB7_2321:
	s_delay_alu instid0(SALU_CYCLE_1)
	s_and_not1_b32 vcc_lo, exec_lo, s13
	s_cbranch_vccnz .LBB7_2323
; %bb.2322:
	global_load_b32 v1, v[24:25], off
	s_wait_loadcnt 0x0
	v_trunc_f32_e32 v1, v1
	s_delay_alu instid0(VALU_DEP_1) | instskip(NEXT) | instid1(VALU_DEP_1)
	v_mul_f32_e64 v3, 0x2f800000, |v1|
	v_floor_f32_e32 v3, v3
	s_delay_alu instid0(VALU_DEP_1) | instskip(SKIP_1) | instid1(VALU_DEP_2)
	v_fma_f32 v3, 0xcf800000, v3, |v1|
	v_ashrrev_i32_e32 v1, 31, v1
	v_cvt_u32_f32_e32 v3, v3
	s_delay_alu instid0(VALU_DEP_1) | instskip(NEXT) | instid1(VALU_DEP_1)
	v_xor_b32_e32 v3, v3, v1
	v_sub_nc_u32_e32 v22, v3, v1
.LBB7_2323:
	s_mov_b32 s13, 0
.LBB7_2324:
	s_delay_alu instid0(SALU_CYCLE_1)
	s_and_not1_b32 vcc_lo, exec_lo, s13
	s_cbranch_vccnz .LBB7_2326
; %bb.2325:
	global_load_b32 v1, v[24:25], off
	s_wait_loadcnt 0x0
	v_cvt_f32_f16_e32 v1, v1
	s_delay_alu instid0(VALU_DEP_1)
	v_cvt_i32_f32_e32 v22, v1
.LBB7_2326:
	s_mov_b32 s13, 0
.LBB7_2327:
	s_delay_alu instid0(SALU_CYCLE_1)
	s_and_not1_b32 vcc_lo, exec_lo, s13
	s_cbranch_vccnz .LBB7_2338
; %bb.2328:
	s_cmp_lt_i32 s12, 6
	s_cbranch_scc1 .LBB7_2331
; %bb.2329:
	s_cmp_gt_i32 s12, 6
	s_cbranch_scc0 .LBB7_2332
; %bb.2330:
	s_wait_loadcnt 0x0
	global_load_b64 v[22:23], v[24:25], off
	s_mov_b32 s13, 0
	s_wait_loadcnt 0x0
	v_trunc_f64_e32 v[22:23], v[22:23]
	s_delay_alu instid0(VALU_DEP_1) | instskip(NEXT) | instid1(VALU_DEP_1)
	v_ldexp_f64 v[26:27], v[22:23], 0xffffffe0
	v_floor_f64_e32 v[26:27], v[26:27]
	s_delay_alu instid0(VALU_DEP_1) | instskip(NEXT) | instid1(VALU_DEP_1)
	v_fmamk_f64 v[22:23], v[26:27], 0xc1f00000, v[22:23]
	v_cvt_u32_f64_e32 v22, v[22:23]
	s_branch .LBB7_2333
.LBB7_2331:
	s_mov_b32 s13, -1
                                        ; implicit-def: $vgpr22
	s_branch .LBB7_2336
.LBB7_2332:
	s_mov_b32 s13, -1
                                        ; implicit-def: $vgpr22
.LBB7_2333:
	s_delay_alu instid0(SALU_CYCLE_1)
	s_and_not1_b32 vcc_lo, exec_lo, s13
	s_cbranch_vccnz .LBB7_2335
; %bb.2334:
	global_load_b32 v1, v[24:25], off
	s_wait_loadcnt 0x0
	v_trunc_f32_e32 v1, v1
	s_delay_alu instid0(VALU_DEP_1) | instskip(NEXT) | instid1(VALU_DEP_1)
	v_mul_f32_e64 v3, 0x2f800000, |v1|
	v_floor_f32_e32 v3, v3
	s_delay_alu instid0(VALU_DEP_1) | instskip(SKIP_1) | instid1(VALU_DEP_2)
	v_fma_f32 v3, 0xcf800000, v3, |v1|
	v_ashrrev_i32_e32 v1, 31, v1
	v_cvt_u32_f32_e32 v3, v3
	s_delay_alu instid0(VALU_DEP_1) | instskip(NEXT) | instid1(VALU_DEP_1)
	v_xor_b32_e32 v3, v3, v1
	v_sub_nc_u32_e32 v22, v3, v1
.LBB7_2335:
	s_mov_b32 s13, 0
.LBB7_2336:
	s_delay_alu instid0(SALU_CYCLE_1)
	s_and_not1_b32 vcc_lo, exec_lo, s13
	s_cbranch_vccnz .LBB7_2338
; %bb.2337:
	global_load_u16 v1, v[24:25], off
	s_wait_loadcnt 0x0
	v_cvt_f32_f16_e32 v1, v1
	s_delay_alu instid0(VALU_DEP_1)
	v_cvt_i32_f32_e32 v22, v1
.LBB7_2338:
	s_mov_b32 s13, 0
.LBB7_2339:
	s_delay_alu instid0(SALU_CYCLE_1)
	s_and_not1_b32 vcc_lo, exec_lo, s13
	s_cbranch_vccnz .LBB7_2359
; %bb.2340:
	s_cmp_lt_i32 s12, 2
	s_cbranch_scc1 .LBB7_2344
; %bb.2341:
	s_cmp_lt_i32 s12, 3
	s_cbranch_scc1 .LBB7_2345
; %bb.2342:
	s_cmp_gt_i32 s12, 3
	s_cbranch_scc0 .LBB7_2346
; %bb.2343:
	s_wait_loadcnt 0x0
	global_load_b64 v[22:23], v[24:25], off
	s_mov_b32 s13, 0
	s_branch .LBB7_2347
.LBB7_2344:
	s_mov_b32 s13, -1
                                        ; implicit-def: $vgpr22
	s_branch .LBB7_2353
.LBB7_2345:
	s_mov_b32 s13, -1
                                        ; implicit-def: $vgpr22
	s_branch .LBB7_2350
.LBB7_2346:
	s_mov_b32 s13, -1
                                        ; implicit-def: $vgpr22
.LBB7_2347:
	s_delay_alu instid0(SALU_CYCLE_1)
	s_and_not1_b32 vcc_lo, exec_lo, s13
	s_cbranch_vccnz .LBB7_2349
; %bb.2348:
	s_wait_loadcnt 0x0
	global_load_b32 v22, v[24:25], off
.LBB7_2349:
	s_mov_b32 s13, 0
.LBB7_2350:
	s_delay_alu instid0(SALU_CYCLE_1)
	s_and_not1_b32 vcc_lo, exec_lo, s13
	s_cbranch_vccnz .LBB7_2352
; %bb.2351:
	s_wait_loadcnt 0x0
	global_load_u16 v22, v[24:25], off
.LBB7_2352:
	s_mov_b32 s13, 0
.LBB7_2353:
	s_delay_alu instid0(SALU_CYCLE_1)
	s_and_not1_b32 vcc_lo, exec_lo, s13
	s_cbranch_vccnz .LBB7_2359
; %bb.2354:
	s_cmp_gt_i32 s12, 0
	s_mov_b32 s13, 0
	s_cbranch_scc0 .LBB7_2356
; %bb.2355:
	s_wait_loadcnt 0x0
	global_load_u8 v22, v[24:25], off
	s_branch .LBB7_2357
.LBB7_2356:
	s_mov_b32 s13, -1
                                        ; implicit-def: $vgpr22
.LBB7_2357:
	s_delay_alu instid0(SALU_CYCLE_1)
	s_and_not1_b32 vcc_lo, exec_lo, s13
	s_cbranch_vccnz .LBB7_2359
; %bb.2358:
	s_wait_loadcnt 0x0
	global_load_u8 v22, v[24:25], off
.LBB7_2359:
	s_mov_b32 s15, -1
.LBB7_2360:
	s_delay_alu instid0(SALU_CYCLE_1)
	s_and_not1_b32 vcc_lo, exec_lo, s15
	s_cbranch_vccnz .LBB7_3047
; %bb.2361:
	v_mov_b32_e32 v17, 0
	s_cmp_lt_i32 s11, 11
	s_wait_xcnt 0x0
	s_delay_alu instid0(VALU_DEP_1)
	v_add_nc_u64_e32 v[24:25], s[6:7], v[16:17]
	s_cbranch_scc1 .LBB7_2368
; %bb.2362:
	s_cmp_gt_i32 s11, 25
	s_mov_b32 s7, 0
	s_cbranch_scc0 .LBB7_2369
; %bb.2363:
	s_cmp_gt_i32 s11, 28
	s_cbranch_scc0 .LBB7_2370
; %bb.2364:
	s_cmp_gt_i32 s11, 43
	;; [unrolled: 3-line block ×3, first 2 shown]
	s_cbranch_scc0 .LBB7_2373
; %bb.2366:
	s_cmp_eq_u32 s11, 46
	s_mov_b32 s14, 0
	s_cbranch_scc0 .LBB7_2374
; %bb.2367:
	global_load_b32 v1, v[24:25], off
	s_mov_b32 s6, 0
	s_mov_b32 s13, -1
	s_wait_loadcnt 0x0
	v_lshlrev_b32_e32 v1, 16, v1
	s_delay_alu instid0(VALU_DEP_1) | instskip(NEXT) | instid1(VALU_DEP_1)
	v_trunc_f32_e32 v1, v1
	v_mul_f32_e64 v3, 0x2f800000, |v1|
	s_delay_alu instid0(VALU_DEP_1) | instskip(NEXT) | instid1(VALU_DEP_1)
	v_floor_f32_e32 v3, v3
	v_fma_f32 v3, 0xcf800000, v3, |v1|
	v_ashrrev_i32_e32 v1, 31, v1
	s_delay_alu instid0(VALU_DEP_2) | instskip(NEXT) | instid1(VALU_DEP_1)
	v_cvt_u32_f32_e32 v3, v3
	v_xor_b32_e32 v3, v3, v1
	s_delay_alu instid0(VALU_DEP_1)
	v_sub_nc_u32_e32 v16, v3, v1
	s_branch .LBB7_2376
.LBB7_2368:
	s_mov_b32 s6, -1
	s_mov_b32 s13, 0
                                        ; implicit-def: $vgpr16
	s_branch .LBB7_2438
.LBB7_2369:
	s_mov_b32 s14, -1
	s_mov_b32 s13, 0
	s_mov_b32 s6, 0
                                        ; implicit-def: $vgpr16
	s_branch .LBB7_2403
.LBB7_2370:
	s_mov_b32 s14, -1
	s_mov_b32 s13, 0
	s_mov_b32 s6, 0
                                        ; implicit-def: $vgpr16
	s_branch .LBB7_2386
.LBB7_2371:
	s_mov_b32 s14, -1
	s_mov_b32 s13, 0
	s_mov_b32 s6, 0
                                        ; implicit-def: $vgpr16
	s_branch .LBB7_2381
.LBB7_2372:
	s_or_b32 s10, s10, exec_lo
	s_trap 2
	s_cbranch_execz .LBB7_2309
	s_branch .LBB7_2310
.LBB7_2373:
	s_mov_b32 s14, -1
	s_mov_b32 s13, 0
	s_mov_b32 s6, 0
	s_branch .LBB7_2375
.LBB7_2374:
	s_mov_b32 s6, -1
	s_mov_b32 s13, 0
.LBB7_2375:
                                        ; implicit-def: $vgpr16
.LBB7_2376:
	s_and_b32 vcc_lo, exec_lo, s14
	s_cbranch_vccz .LBB7_2380
; %bb.2377:
	s_cmp_eq_u32 s11, 44
	s_cbranch_scc0 .LBB7_2379
; %bb.2378:
	global_load_u8 v1, v[24:25], off
	s_mov_b32 s6, 0
	s_mov_b32 s13, -1
	s_wait_loadcnt 0x0
	v_lshlrev_b32_e32 v3, 23, v1
	v_cmp_ne_u32_e32 vcc_lo, 0, v1
	s_delay_alu instid0(VALU_DEP_2) | instskip(NEXT) | instid1(VALU_DEP_1)
	v_trunc_f32_e32 v3, v3
	v_mul_f32_e64 v5, 0x2f800000, |v3|
	s_delay_alu instid0(VALU_DEP_1) | instskip(NEXT) | instid1(VALU_DEP_1)
	v_floor_f32_e32 v5, v5
	v_fma_f32 v5, 0xcf800000, v5, |v3|
	v_ashrrev_i32_e32 v3, 31, v3
	s_delay_alu instid0(VALU_DEP_2) | instskip(NEXT) | instid1(VALU_DEP_1)
	v_cvt_u32_f32_e32 v5, v5
	v_xor_b32_e32 v5, v5, v3
	s_delay_alu instid0(VALU_DEP_1) | instskip(NEXT) | instid1(VALU_DEP_1)
	v_sub_nc_u32_e32 v3, v5, v3
	v_cndmask_b32_e32 v16, 0, v3, vcc_lo
	s_branch .LBB7_2380
.LBB7_2379:
	s_mov_b32 s6, -1
                                        ; implicit-def: $vgpr16
.LBB7_2380:
	s_mov_b32 s14, 0
.LBB7_2381:
	s_delay_alu instid0(SALU_CYCLE_1)
	s_and_b32 vcc_lo, exec_lo, s14
	s_cbranch_vccz .LBB7_2385
; %bb.2382:
	s_cmp_eq_u32 s11, 29
	s_cbranch_scc0 .LBB7_2384
; %bb.2383:
	global_load_b64 v[16:17], v[24:25], off
	s_mov_b32 s6, 0
	s_mov_b32 s13, -1
	s_branch .LBB7_2385
.LBB7_2384:
	s_mov_b32 s6, -1
                                        ; implicit-def: $vgpr16
.LBB7_2385:
	s_mov_b32 s14, 0
.LBB7_2386:
	s_delay_alu instid0(SALU_CYCLE_1)
	s_and_b32 vcc_lo, exec_lo, s14
	s_cbranch_vccz .LBB7_2402
; %bb.2387:
	s_cmp_lt_i32 s11, 27
	s_cbranch_scc1 .LBB7_2390
; %bb.2388:
	s_cmp_gt_i32 s11, 27
	s_cbranch_scc0 .LBB7_2391
; %bb.2389:
	s_wait_loadcnt 0x0
	global_load_b32 v16, v[24:25], off
	s_mov_b32 s13, 0
	s_branch .LBB7_2392
.LBB7_2390:
	s_mov_b32 s13, -1
                                        ; implicit-def: $vgpr16
	s_branch .LBB7_2395
.LBB7_2391:
	s_mov_b32 s13, -1
                                        ; implicit-def: $vgpr16
.LBB7_2392:
	s_delay_alu instid0(SALU_CYCLE_1)
	s_and_not1_b32 vcc_lo, exec_lo, s13
	s_cbranch_vccnz .LBB7_2394
; %bb.2393:
	s_wait_loadcnt 0x0
	global_load_u16 v16, v[24:25], off
.LBB7_2394:
	s_mov_b32 s13, 0
.LBB7_2395:
	s_delay_alu instid0(SALU_CYCLE_1)
	s_and_not1_b32 vcc_lo, exec_lo, s13
	s_cbranch_vccnz .LBB7_2401
; %bb.2396:
	global_load_u8 v1, v[24:25], off
	s_mov_b32 s14, 0
	s_mov_b32 s13, exec_lo
	s_wait_loadcnt 0x0
	v_cmpx_lt_i16_e32 0x7f, v1
	s_xor_b32 s13, exec_lo, s13
	s_cbranch_execz .LBB7_2413
; %bb.2397:
	v_cmp_ne_u16_e32 vcc_lo, 0x80, v1
	s_and_b32 s14, vcc_lo, exec_lo
	s_and_not1_saveexec_b32 s13, s13
	s_cbranch_execnz .LBB7_2414
.LBB7_2398:
	s_or_b32 exec_lo, exec_lo, s13
	v_mov_b32_e32 v16, 0
	s_and_saveexec_b32 s13, s14
	s_cbranch_execz .LBB7_2400
.LBB7_2399:
	v_and_b32_e32 v3, 0xffff, v1
	s_delay_alu instid0(VALU_DEP_1) | instskip(SKIP_1) | instid1(VALU_DEP_2)
	v_dual_lshlrev_b32 v1, 24, v1 :: v_dual_bitop2_b32 v5, 7, v3 bitop3:0x40
	v_bfe_u32 v11, v3, 3, 4
	v_and_b32_e32 v1, 0x80000000, v1
	s_delay_alu instid0(VALU_DEP_3) | instskip(NEXT) | instid1(VALU_DEP_3)
	v_clz_i32_u32_e32 v7, v5
	v_cmp_eq_u32_e32 vcc_lo, 0, v11
	s_delay_alu instid0(VALU_DEP_2) | instskip(NEXT) | instid1(VALU_DEP_1)
	v_min_u32_e32 v7, 32, v7
	v_subrev_nc_u32_e32 v9, 28, v7
	v_sub_nc_u32_e32 v7, 29, v7
	s_delay_alu instid0(VALU_DEP_2) | instskip(NEXT) | instid1(VALU_DEP_2)
	v_lshlrev_b32_e32 v3, v9, v3
	v_cndmask_b32_e32 v7, v11, v7, vcc_lo
	s_delay_alu instid0(VALU_DEP_2) | instskip(NEXT) | instid1(VALU_DEP_1)
	v_and_b32_e32 v3, 7, v3
	v_cndmask_b32_e32 v3, v5, v3, vcc_lo
	s_delay_alu instid0(VALU_DEP_3) | instskip(NEXT) | instid1(VALU_DEP_2)
	v_lshl_add_u32 v5, v7, 23, 0x3b800000
	v_lshlrev_b32_e32 v3, 20, v3
	s_delay_alu instid0(VALU_DEP_1) | instskip(NEXT) | instid1(VALU_DEP_1)
	v_or3_b32 v1, v1, v5, v3
	v_trunc_f32_e32 v1, v1
	s_delay_alu instid0(VALU_DEP_1) | instskip(NEXT) | instid1(VALU_DEP_1)
	v_mul_f32_e64 v3, 0x2f800000, |v1|
	v_floor_f32_e32 v3, v3
	s_delay_alu instid0(VALU_DEP_1) | instskip(SKIP_1) | instid1(VALU_DEP_2)
	v_fma_f32 v3, 0xcf800000, v3, |v1|
	v_ashrrev_i32_e32 v1, 31, v1
	v_cvt_u32_f32_e32 v3, v3
	s_delay_alu instid0(VALU_DEP_1) | instskip(NEXT) | instid1(VALU_DEP_1)
	v_xor_b32_e32 v3, v3, v1
	v_sub_nc_u32_e32 v16, v3, v1
.LBB7_2400:
	s_or_b32 exec_lo, exec_lo, s13
.LBB7_2401:
	s_mov_b32 s13, -1
.LBB7_2402:
	s_mov_b32 s14, 0
.LBB7_2403:
	s_delay_alu instid0(SALU_CYCLE_1)
	s_and_b32 vcc_lo, exec_lo, s14
	s_cbranch_vccz .LBB7_2434
; %bb.2404:
	s_cmp_gt_i32 s11, 22
	s_cbranch_scc0 .LBB7_2412
; %bb.2405:
	s_cmp_lt_i32 s11, 24
	s_cbranch_scc1 .LBB7_2415
; %bb.2406:
	s_cmp_gt_i32 s11, 24
	s_cbranch_scc0 .LBB7_2416
; %bb.2407:
	global_load_u8 v1, v[24:25], off
	s_mov_b32 s13, 0
	s_mov_b32 s7, exec_lo
	s_wait_loadcnt 0x0
	v_cmpx_lt_i16_e32 0x7f, v1
	s_xor_b32 s7, exec_lo, s7
	s_cbranch_execz .LBB7_2428
; %bb.2408:
	v_cmp_ne_u16_e32 vcc_lo, 0x80, v1
	s_and_b32 s13, vcc_lo, exec_lo
	s_and_not1_saveexec_b32 s7, s7
	s_cbranch_execnz .LBB7_2429
.LBB7_2409:
	s_or_b32 exec_lo, exec_lo, s7
	v_mov_b32_e32 v16, 0
	s_and_saveexec_b32 s7, s13
	s_cbranch_execz .LBB7_2411
.LBB7_2410:
	v_and_b32_e32 v3, 0xffff, v1
	s_delay_alu instid0(VALU_DEP_1) | instskip(SKIP_1) | instid1(VALU_DEP_2)
	v_dual_lshlrev_b32 v1, 24, v1 :: v_dual_bitop2_b32 v5, 3, v3 bitop3:0x40
	v_bfe_u32 v11, v3, 2, 5
	v_and_b32_e32 v1, 0x80000000, v1
	s_delay_alu instid0(VALU_DEP_3) | instskip(NEXT) | instid1(VALU_DEP_3)
	v_clz_i32_u32_e32 v7, v5
	v_cmp_eq_u32_e32 vcc_lo, 0, v11
	s_delay_alu instid0(VALU_DEP_2) | instskip(NEXT) | instid1(VALU_DEP_1)
	v_min_u32_e32 v7, 32, v7
	v_subrev_nc_u32_e32 v9, 29, v7
	v_sub_nc_u32_e32 v7, 30, v7
	s_delay_alu instid0(VALU_DEP_2) | instskip(NEXT) | instid1(VALU_DEP_2)
	v_lshlrev_b32_e32 v3, v9, v3
	v_cndmask_b32_e32 v7, v11, v7, vcc_lo
	s_delay_alu instid0(VALU_DEP_2) | instskip(NEXT) | instid1(VALU_DEP_1)
	v_and_b32_e32 v3, 3, v3
	v_cndmask_b32_e32 v3, v5, v3, vcc_lo
	s_delay_alu instid0(VALU_DEP_3) | instskip(NEXT) | instid1(VALU_DEP_2)
	v_lshl_add_u32 v5, v7, 23, 0x37800000
	v_lshlrev_b32_e32 v3, 21, v3
	s_delay_alu instid0(VALU_DEP_1) | instskip(NEXT) | instid1(VALU_DEP_1)
	v_or3_b32 v1, v1, v5, v3
	v_trunc_f32_e32 v1, v1
	s_delay_alu instid0(VALU_DEP_1) | instskip(NEXT) | instid1(VALU_DEP_1)
	v_mul_f32_e64 v3, 0x2f800000, |v1|
	v_floor_f32_e32 v3, v3
	s_delay_alu instid0(VALU_DEP_1) | instskip(SKIP_1) | instid1(VALU_DEP_2)
	v_fma_f32 v3, 0xcf800000, v3, |v1|
	v_ashrrev_i32_e32 v1, 31, v1
	v_cvt_u32_f32_e32 v3, v3
	s_delay_alu instid0(VALU_DEP_1) | instskip(NEXT) | instid1(VALU_DEP_1)
	v_xor_b32_e32 v3, v3, v1
	v_sub_nc_u32_e32 v16, v3, v1
.LBB7_2411:
	s_or_b32 exec_lo, exec_lo, s7
	s_mov_b32 s7, 0
	s_branch .LBB7_2417
.LBB7_2412:
	s_mov_b32 s7, -1
                                        ; implicit-def: $vgpr16
	s_branch .LBB7_2423
.LBB7_2413:
	s_and_not1_saveexec_b32 s13, s13
	s_cbranch_execz .LBB7_2398
.LBB7_2414:
	v_cmp_ne_u16_e32 vcc_lo, 0, v1
	s_and_not1_b32 s14, s14, exec_lo
	s_and_b32 s15, vcc_lo, exec_lo
	s_delay_alu instid0(SALU_CYCLE_1)
	s_or_b32 s14, s14, s15
	s_or_b32 exec_lo, exec_lo, s13
	v_mov_b32_e32 v16, 0
	s_and_saveexec_b32 s13, s14
	s_cbranch_execnz .LBB7_2399
	s_branch .LBB7_2400
.LBB7_2415:
	s_mov_b32 s7, -1
                                        ; implicit-def: $vgpr16
	s_branch .LBB7_2420
.LBB7_2416:
	s_mov_b32 s7, -1
                                        ; implicit-def: $vgpr16
.LBB7_2417:
	s_delay_alu instid0(SALU_CYCLE_1)
	s_and_b32 vcc_lo, exec_lo, s7
	s_cbranch_vccz .LBB7_2419
; %bb.2418:
	global_load_u8 v1, v[24:25], off
	s_wait_loadcnt 0x0
	v_lshlrev_b32_e32 v1, 24, v1
	s_delay_alu instid0(VALU_DEP_1) | instskip(NEXT) | instid1(VALU_DEP_1)
	v_and_b32_e32 v3, 0x7f000000, v1
	v_clz_i32_u32_e32 v5, v3
	v_add_nc_u32_e32 v9, 0x1000000, v3
	v_cmp_ne_u32_e32 vcc_lo, 0, v3
	s_delay_alu instid0(VALU_DEP_3) | instskip(NEXT) | instid1(VALU_DEP_1)
	v_min_u32_e32 v5, 32, v5
	v_sub_nc_u32_e64 v5, v5, 4 clamp
	s_delay_alu instid0(VALU_DEP_1) | instskip(NEXT) | instid1(VALU_DEP_1)
	v_dual_lshlrev_b32 v7, v5, v3 :: v_dual_lshlrev_b32 v5, 23, v5
	v_lshrrev_b32_e32 v7, 4, v7
	s_delay_alu instid0(VALU_DEP_1) | instskip(SKIP_1) | instid1(VALU_DEP_2)
	v_sub_nc_u32_e32 v5, v7, v5
	v_ashrrev_i32_e32 v7, 8, v9
	v_add_nc_u32_e32 v5, 0x3c000000, v5
	s_delay_alu instid0(VALU_DEP_1) | instskip(NEXT) | instid1(VALU_DEP_1)
	v_and_or_b32 v5, 0x7f800000, v7, v5
	v_cndmask_b32_e32 v3, 0, v5, vcc_lo
	s_delay_alu instid0(VALU_DEP_1) | instskip(NEXT) | instid1(VALU_DEP_1)
	v_and_or_b32 v1, 0x80000000, v1, v3
	v_trunc_f32_e32 v1, v1
	s_delay_alu instid0(VALU_DEP_1) | instskip(NEXT) | instid1(VALU_DEP_1)
	v_mul_f32_e64 v3, 0x2f800000, |v1|
	v_floor_f32_e32 v3, v3
	s_delay_alu instid0(VALU_DEP_1) | instskip(SKIP_1) | instid1(VALU_DEP_2)
	v_fma_f32 v3, 0xcf800000, v3, |v1|
	v_ashrrev_i32_e32 v1, 31, v1
	v_cvt_u32_f32_e32 v3, v3
	s_delay_alu instid0(VALU_DEP_1) | instskip(NEXT) | instid1(VALU_DEP_1)
	v_xor_b32_e32 v3, v3, v1
	v_sub_nc_u32_e32 v16, v3, v1
.LBB7_2419:
	s_mov_b32 s7, 0
.LBB7_2420:
	s_delay_alu instid0(SALU_CYCLE_1)
	s_and_not1_b32 vcc_lo, exec_lo, s7
	s_cbranch_vccnz .LBB7_2422
; %bb.2421:
	global_load_u8 v1, v[24:25], off
	s_wait_loadcnt 0x0
	v_lshlrev_b32_e32 v3, 25, v1
	v_lshlrev_b16 v1, 8, v1
	s_delay_alu instid0(VALU_DEP_1) | instskip(SKIP_1) | instid1(VALU_DEP_2)
	v_and_or_b32 v7, 0x7f00, v1, 0.5
	v_bfe_i32 v1, v1, 0, 16
	v_add_f32_e32 v7, -0.5, v7
	v_lshrrev_b32_e32 v5, 4, v3
	v_cmp_gt_u32_e32 vcc_lo, 0x8000000, v3
	s_delay_alu instid0(VALU_DEP_2) | instskip(NEXT) | instid1(VALU_DEP_1)
	v_or_b32_e32 v5, 0x70000000, v5
	v_mul_f32_e32 v5, 0x7800000, v5
	s_delay_alu instid0(VALU_DEP_1) | instskip(NEXT) | instid1(VALU_DEP_1)
	v_cndmask_b32_e32 v3, v5, v7, vcc_lo
	v_and_or_b32 v1, 0x80000000, v1, v3
	s_delay_alu instid0(VALU_DEP_1) | instskip(NEXT) | instid1(VALU_DEP_1)
	v_trunc_f32_e32 v1, v1
	v_mul_f32_e64 v3, 0x2f800000, |v1|
	s_delay_alu instid0(VALU_DEP_1) | instskip(NEXT) | instid1(VALU_DEP_1)
	v_floor_f32_e32 v3, v3
	v_fma_f32 v3, 0xcf800000, v3, |v1|
	v_ashrrev_i32_e32 v1, 31, v1
	s_delay_alu instid0(VALU_DEP_2) | instskip(NEXT) | instid1(VALU_DEP_1)
	v_cvt_u32_f32_e32 v3, v3
	v_xor_b32_e32 v3, v3, v1
	s_delay_alu instid0(VALU_DEP_1)
	v_sub_nc_u32_e32 v16, v3, v1
.LBB7_2422:
	s_mov_b32 s7, 0
	s_mov_b32 s13, -1
.LBB7_2423:
	s_and_not1_b32 vcc_lo, exec_lo, s7
	s_mov_b32 s7, 0
	s_cbranch_vccnz .LBB7_2434
; %bb.2424:
	s_cmp_gt_i32 s11, 14
	s_cbranch_scc0 .LBB7_2427
; %bb.2425:
	s_cmp_eq_u32 s11, 15
	s_cbranch_scc0 .LBB7_2430
; %bb.2426:
	global_load_u16 v1, v[24:25], off
	s_mov_b32 s6, 0
	s_mov_b32 s13, -1
	s_wait_loadcnt 0x0
	v_lshlrev_b32_e32 v1, 16, v1
	s_delay_alu instid0(VALU_DEP_1) | instskip(NEXT) | instid1(VALU_DEP_1)
	v_trunc_f32_e32 v1, v1
	v_mul_f32_e64 v3, 0x2f800000, |v1|
	s_delay_alu instid0(VALU_DEP_1) | instskip(NEXT) | instid1(VALU_DEP_1)
	v_floor_f32_e32 v3, v3
	v_fma_f32 v3, 0xcf800000, v3, |v1|
	v_ashrrev_i32_e32 v1, 31, v1
	s_delay_alu instid0(VALU_DEP_2) | instskip(NEXT) | instid1(VALU_DEP_1)
	v_cvt_u32_f32_e32 v3, v3
	v_xor_b32_e32 v3, v3, v1
	s_delay_alu instid0(VALU_DEP_1)
	v_sub_nc_u32_e32 v16, v3, v1
	s_branch .LBB7_2432
.LBB7_2427:
	s_mov_b32 s7, -1
	s_branch .LBB7_2431
.LBB7_2428:
	s_and_not1_saveexec_b32 s7, s7
	s_cbranch_execz .LBB7_2409
.LBB7_2429:
	v_cmp_ne_u16_e32 vcc_lo, 0, v1
	s_and_not1_b32 s13, s13, exec_lo
	s_and_b32 s14, vcc_lo, exec_lo
	s_delay_alu instid0(SALU_CYCLE_1)
	s_or_b32 s13, s13, s14
	s_or_b32 exec_lo, exec_lo, s7
	v_mov_b32_e32 v16, 0
	s_and_saveexec_b32 s7, s13
	s_cbranch_execnz .LBB7_2410
	s_branch .LBB7_2411
.LBB7_2430:
	s_mov_b32 s6, -1
.LBB7_2431:
                                        ; implicit-def: $vgpr16
.LBB7_2432:
	s_and_b32 vcc_lo, exec_lo, s7
	s_mov_b32 s7, 0
	s_cbranch_vccz .LBB7_2434
; %bb.2433:
	s_cmp_lg_u32 s11, 11
	s_mov_b32 s7, -1
	s_cselect_b32 s6, -1, 0
.LBB7_2434:
	s_delay_alu instid0(SALU_CYCLE_1)
	s_and_b32 vcc_lo, exec_lo, s6
	s_cbranch_vccnz .LBB7_2499
; %bb.2435:
	s_and_not1_b32 vcc_lo, exec_lo, s7
	s_cbranch_vccnz .LBB7_2437
.LBB7_2436:
	global_load_u8 v1, v[24:25], off
	s_mov_b32 s13, -1
	s_wait_loadcnt 0x0
	v_cmp_ne_u16_e32 vcc_lo, 0, v1
	v_cndmask_b32_e64 v16, 0, 1, vcc_lo
.LBB7_2437:
	s_mov_b32 s6, 0
.LBB7_2438:
	s_delay_alu instid0(SALU_CYCLE_1)
	s_and_b32 vcc_lo, exec_lo, s6
	s_cbranch_vccz .LBB7_2487
; %bb.2439:
	s_cmp_lt_i32 s11, 5
	s_cbranch_scc1 .LBB7_2444
; %bb.2440:
	s_cmp_lt_i32 s11, 8
	s_cbranch_scc1 .LBB7_2445
	;; [unrolled: 3-line block ×3, first 2 shown]
; %bb.2442:
	s_cmp_gt_i32 s11, 9
	s_cbranch_scc0 .LBB7_2447
; %bb.2443:
	s_wait_loadcnt 0x0
	global_load_b64 v[16:17], v[24:25], off
	s_mov_b32 s6, 0
	s_wait_loadcnt 0x0
	v_trunc_f64_e32 v[16:17], v[16:17]
	s_delay_alu instid0(VALU_DEP_1) | instskip(NEXT) | instid1(VALU_DEP_1)
	v_ldexp_f64 v[26:27], v[16:17], 0xffffffe0
	v_floor_f64_e32 v[26:27], v[26:27]
	s_delay_alu instid0(VALU_DEP_1) | instskip(NEXT) | instid1(VALU_DEP_1)
	v_fmamk_f64 v[16:17], v[26:27], 0xc1f00000, v[16:17]
	v_cvt_u32_f64_e32 v16, v[16:17]
	s_branch .LBB7_2448
.LBB7_2444:
	s_mov_b32 s6, -1
                                        ; implicit-def: $vgpr16
	s_branch .LBB7_2466
.LBB7_2445:
	s_mov_b32 s6, -1
                                        ; implicit-def: $vgpr16
	s_branch .LBB7_2454
.LBB7_2446:
	s_mov_b32 s6, -1
                                        ; implicit-def: $vgpr16
	s_branch .LBB7_2451
.LBB7_2447:
	s_mov_b32 s6, -1
                                        ; implicit-def: $vgpr16
.LBB7_2448:
	s_delay_alu instid0(SALU_CYCLE_1)
	s_and_not1_b32 vcc_lo, exec_lo, s6
	s_cbranch_vccnz .LBB7_2450
; %bb.2449:
	global_load_b32 v1, v[24:25], off
	s_wait_loadcnt 0x0
	v_trunc_f32_e32 v1, v1
	s_delay_alu instid0(VALU_DEP_1) | instskip(NEXT) | instid1(VALU_DEP_1)
	v_mul_f32_e64 v3, 0x2f800000, |v1|
	v_floor_f32_e32 v3, v3
	s_delay_alu instid0(VALU_DEP_1) | instskip(SKIP_1) | instid1(VALU_DEP_2)
	v_fma_f32 v3, 0xcf800000, v3, |v1|
	v_ashrrev_i32_e32 v1, 31, v1
	v_cvt_u32_f32_e32 v3, v3
	s_delay_alu instid0(VALU_DEP_1) | instskip(NEXT) | instid1(VALU_DEP_1)
	v_xor_b32_e32 v3, v3, v1
	v_sub_nc_u32_e32 v16, v3, v1
.LBB7_2450:
	s_mov_b32 s6, 0
.LBB7_2451:
	s_delay_alu instid0(SALU_CYCLE_1)
	s_and_not1_b32 vcc_lo, exec_lo, s6
	s_cbranch_vccnz .LBB7_2453
; %bb.2452:
	global_load_b32 v1, v[24:25], off
	s_wait_loadcnt 0x0
	v_cvt_f32_f16_e32 v1, v1
	s_delay_alu instid0(VALU_DEP_1)
	v_cvt_i32_f32_e32 v16, v1
.LBB7_2453:
	s_mov_b32 s6, 0
.LBB7_2454:
	s_delay_alu instid0(SALU_CYCLE_1)
	s_and_not1_b32 vcc_lo, exec_lo, s6
	s_cbranch_vccnz .LBB7_2465
; %bb.2455:
	s_cmp_lt_i32 s11, 6
	s_cbranch_scc1 .LBB7_2458
; %bb.2456:
	s_cmp_gt_i32 s11, 6
	s_cbranch_scc0 .LBB7_2459
; %bb.2457:
	s_wait_loadcnt 0x0
	global_load_b64 v[16:17], v[24:25], off
	s_mov_b32 s6, 0
	s_wait_loadcnt 0x0
	v_trunc_f64_e32 v[16:17], v[16:17]
	s_delay_alu instid0(VALU_DEP_1) | instskip(NEXT) | instid1(VALU_DEP_1)
	v_ldexp_f64 v[26:27], v[16:17], 0xffffffe0
	v_floor_f64_e32 v[26:27], v[26:27]
	s_delay_alu instid0(VALU_DEP_1) | instskip(NEXT) | instid1(VALU_DEP_1)
	v_fmamk_f64 v[16:17], v[26:27], 0xc1f00000, v[16:17]
	v_cvt_u32_f64_e32 v16, v[16:17]
	s_branch .LBB7_2460
.LBB7_2458:
	s_mov_b32 s6, -1
                                        ; implicit-def: $vgpr16
	s_branch .LBB7_2463
.LBB7_2459:
	s_mov_b32 s6, -1
                                        ; implicit-def: $vgpr16
.LBB7_2460:
	s_delay_alu instid0(SALU_CYCLE_1)
	s_and_not1_b32 vcc_lo, exec_lo, s6
	s_cbranch_vccnz .LBB7_2462
; %bb.2461:
	global_load_b32 v1, v[24:25], off
	s_wait_loadcnt 0x0
	v_trunc_f32_e32 v1, v1
	s_delay_alu instid0(VALU_DEP_1) | instskip(NEXT) | instid1(VALU_DEP_1)
	v_mul_f32_e64 v3, 0x2f800000, |v1|
	v_floor_f32_e32 v3, v3
	s_delay_alu instid0(VALU_DEP_1) | instskip(SKIP_1) | instid1(VALU_DEP_2)
	v_fma_f32 v3, 0xcf800000, v3, |v1|
	v_ashrrev_i32_e32 v1, 31, v1
	v_cvt_u32_f32_e32 v3, v3
	s_delay_alu instid0(VALU_DEP_1) | instskip(NEXT) | instid1(VALU_DEP_1)
	v_xor_b32_e32 v3, v3, v1
	v_sub_nc_u32_e32 v16, v3, v1
.LBB7_2462:
	s_mov_b32 s6, 0
.LBB7_2463:
	s_delay_alu instid0(SALU_CYCLE_1)
	s_and_not1_b32 vcc_lo, exec_lo, s6
	s_cbranch_vccnz .LBB7_2465
; %bb.2464:
	global_load_u16 v1, v[24:25], off
	s_wait_loadcnt 0x0
	v_cvt_f32_f16_e32 v1, v1
	s_delay_alu instid0(VALU_DEP_1)
	v_cvt_i32_f32_e32 v16, v1
.LBB7_2465:
	s_mov_b32 s6, 0
.LBB7_2466:
	s_delay_alu instid0(SALU_CYCLE_1)
	s_and_not1_b32 vcc_lo, exec_lo, s6
	s_cbranch_vccnz .LBB7_2486
; %bb.2467:
	s_cmp_lt_i32 s11, 2
	s_cbranch_scc1 .LBB7_2471
; %bb.2468:
	s_cmp_lt_i32 s11, 3
	s_cbranch_scc1 .LBB7_2472
; %bb.2469:
	s_cmp_gt_i32 s11, 3
	s_cbranch_scc0 .LBB7_2473
; %bb.2470:
	s_wait_loadcnt 0x0
	global_load_b64 v[16:17], v[24:25], off
	s_mov_b32 s6, 0
	s_branch .LBB7_2474
.LBB7_2471:
	s_mov_b32 s6, -1
                                        ; implicit-def: $vgpr16
	s_branch .LBB7_2480
.LBB7_2472:
	s_mov_b32 s6, -1
                                        ; implicit-def: $vgpr16
	s_branch .LBB7_2477
.LBB7_2473:
	s_mov_b32 s6, -1
                                        ; implicit-def: $vgpr16
.LBB7_2474:
	s_delay_alu instid0(SALU_CYCLE_1)
	s_and_not1_b32 vcc_lo, exec_lo, s6
	s_cbranch_vccnz .LBB7_2476
; %bb.2475:
	s_wait_loadcnt 0x0
	global_load_b32 v16, v[24:25], off
.LBB7_2476:
	s_mov_b32 s6, 0
.LBB7_2477:
	s_delay_alu instid0(SALU_CYCLE_1)
	s_and_not1_b32 vcc_lo, exec_lo, s6
	s_cbranch_vccnz .LBB7_2479
; %bb.2478:
	s_wait_loadcnt 0x0
	global_load_u16 v16, v[24:25], off
.LBB7_2479:
	s_mov_b32 s6, 0
.LBB7_2480:
	s_delay_alu instid0(SALU_CYCLE_1)
	s_and_not1_b32 vcc_lo, exec_lo, s6
	s_cbranch_vccnz .LBB7_2486
; %bb.2481:
	s_cmp_gt_i32 s11, 0
	s_mov_b32 s6, 0
	s_cbranch_scc0 .LBB7_2483
; %bb.2482:
	s_wait_loadcnt 0x0
	global_load_u8 v16, v[24:25], off
	s_branch .LBB7_2484
.LBB7_2483:
	s_mov_b32 s6, -1
                                        ; implicit-def: $vgpr16
.LBB7_2484:
	s_delay_alu instid0(SALU_CYCLE_1)
	s_and_not1_b32 vcc_lo, exec_lo, s6
	s_cbranch_vccnz .LBB7_2486
; %bb.2485:
	s_wait_loadcnt 0x0
	global_load_u8 v16, v[24:25], off
.LBB7_2486:
	s_mov_b32 s13, -1
.LBB7_2487:
	s_delay_alu instid0(SALU_CYCLE_1)
	s_and_not1_b32 vcc_lo, exec_lo, s13
	s_cbranch_vccnz .LBB7_3047
; %bb.2488:
	v_mov_b32_e32 v11, 0
	s_cmp_lt_i32 s12, 11
	s_wait_xcnt 0x0
	s_delay_alu instid0(VALU_DEP_1)
	v_add_nc_u64_e32 v[24:25], s[0:1], v[10:11]
	s_cbranch_scc1 .LBB7_2495
; %bb.2489:
	s_cmp_gt_i32 s12, 25
	s_mov_b32 s1, 0
	s_cbranch_scc0 .LBB7_2496
; %bb.2490:
	s_cmp_gt_i32 s12, 28
	s_cbranch_scc0 .LBB7_2497
; %bb.2491:
	s_cmp_gt_i32 s12, 43
	s_cbranch_scc0 .LBB7_2498
; %bb.2492:
	s_cmp_gt_i32 s12, 45
	s_cbranch_scc0 .LBB7_2500
; %bb.2493:
	s_cmp_eq_u32 s12, 46
	s_mov_b32 s7, 0
	s_cbranch_scc0 .LBB7_2501
; %bb.2494:
	global_load_b32 v1, v[24:25], off
	s_mov_b32 s0, 0
	s_mov_b32 s6, -1
	s_wait_loadcnt 0x0
	v_lshlrev_b32_e32 v1, 16, v1
	s_delay_alu instid0(VALU_DEP_1) | instskip(NEXT) | instid1(VALU_DEP_1)
	v_trunc_f32_e32 v1, v1
	v_mul_f32_e64 v3, 0x2f800000, |v1|
	s_delay_alu instid0(VALU_DEP_1) | instskip(NEXT) | instid1(VALU_DEP_1)
	v_floor_f32_e32 v3, v3
	v_fma_f32 v3, 0xcf800000, v3, |v1|
	v_ashrrev_i32_e32 v1, 31, v1
	s_delay_alu instid0(VALU_DEP_2) | instskip(NEXT) | instid1(VALU_DEP_1)
	v_cvt_u32_f32_e32 v3, v3
	v_xor_b32_e32 v3, v3, v1
	s_delay_alu instid0(VALU_DEP_1)
	v_sub_nc_u32_e32 v10, v3, v1
	s_branch .LBB7_2503
.LBB7_2495:
	s_mov_b32 s0, -1
	s_mov_b32 s6, 0
                                        ; implicit-def: $vgpr10
	s_branch .LBB7_2565
.LBB7_2496:
	s_mov_b32 s7, -1
	s_mov_b32 s6, 0
	s_mov_b32 s0, 0
                                        ; implicit-def: $vgpr10
	s_branch .LBB7_2530
.LBB7_2497:
	s_mov_b32 s7, -1
	s_mov_b32 s6, 0
	s_mov_b32 s0, 0
                                        ; implicit-def: $vgpr10
	s_branch .LBB7_2513
.LBB7_2498:
	s_mov_b32 s7, -1
	s_mov_b32 s6, 0
	s_mov_b32 s0, 0
                                        ; implicit-def: $vgpr10
	s_branch .LBB7_2508
.LBB7_2499:
	s_or_b32 s10, s10, exec_lo
	s_trap 2
	s_cbranch_execz .LBB7_2436
	s_branch .LBB7_2437
.LBB7_2500:
	s_mov_b32 s7, -1
	s_mov_b32 s6, 0
	s_mov_b32 s0, 0
	s_branch .LBB7_2502
.LBB7_2501:
	s_mov_b32 s0, -1
	s_mov_b32 s6, 0
.LBB7_2502:
                                        ; implicit-def: $vgpr10
.LBB7_2503:
	s_and_b32 vcc_lo, exec_lo, s7
	s_cbranch_vccz .LBB7_2507
; %bb.2504:
	s_cmp_eq_u32 s12, 44
	s_cbranch_scc0 .LBB7_2506
; %bb.2505:
	global_load_u8 v1, v[24:25], off
	s_mov_b32 s0, 0
	s_mov_b32 s6, -1
	s_wait_loadcnt 0x0
	v_lshlrev_b32_e32 v3, 23, v1
	v_cmp_ne_u32_e32 vcc_lo, 0, v1
	s_delay_alu instid0(VALU_DEP_2) | instskip(NEXT) | instid1(VALU_DEP_1)
	v_trunc_f32_e32 v3, v3
	v_mul_f32_e64 v5, 0x2f800000, |v3|
	s_delay_alu instid0(VALU_DEP_1) | instskip(NEXT) | instid1(VALU_DEP_1)
	v_floor_f32_e32 v5, v5
	v_fma_f32 v5, 0xcf800000, v5, |v3|
	v_ashrrev_i32_e32 v3, 31, v3
	s_delay_alu instid0(VALU_DEP_2) | instskip(NEXT) | instid1(VALU_DEP_1)
	v_cvt_u32_f32_e32 v5, v5
	v_xor_b32_e32 v5, v5, v3
	s_delay_alu instid0(VALU_DEP_1) | instskip(NEXT) | instid1(VALU_DEP_1)
	v_sub_nc_u32_e32 v3, v5, v3
	v_cndmask_b32_e32 v10, 0, v3, vcc_lo
	s_branch .LBB7_2507
.LBB7_2506:
	s_mov_b32 s0, -1
                                        ; implicit-def: $vgpr10
.LBB7_2507:
	s_mov_b32 s7, 0
.LBB7_2508:
	s_delay_alu instid0(SALU_CYCLE_1)
	s_and_b32 vcc_lo, exec_lo, s7
	s_cbranch_vccz .LBB7_2512
; %bb.2509:
	s_cmp_eq_u32 s12, 29
	s_cbranch_scc0 .LBB7_2511
; %bb.2510:
	global_load_b64 v[10:11], v[24:25], off
	s_mov_b32 s0, 0
	s_mov_b32 s6, -1
	s_branch .LBB7_2512
.LBB7_2511:
	s_mov_b32 s0, -1
                                        ; implicit-def: $vgpr10
.LBB7_2512:
	s_mov_b32 s7, 0
.LBB7_2513:
	s_delay_alu instid0(SALU_CYCLE_1)
	s_and_b32 vcc_lo, exec_lo, s7
	s_cbranch_vccz .LBB7_2529
; %bb.2514:
	s_cmp_lt_i32 s12, 27
	s_cbranch_scc1 .LBB7_2517
; %bb.2515:
	s_cmp_gt_i32 s12, 27
	s_cbranch_scc0 .LBB7_2518
; %bb.2516:
	s_wait_loadcnt 0x0
	global_load_b32 v10, v[24:25], off
	s_mov_b32 s6, 0
	s_branch .LBB7_2519
.LBB7_2517:
	s_mov_b32 s6, -1
                                        ; implicit-def: $vgpr10
	s_branch .LBB7_2522
.LBB7_2518:
	s_mov_b32 s6, -1
                                        ; implicit-def: $vgpr10
.LBB7_2519:
	s_delay_alu instid0(SALU_CYCLE_1)
	s_and_not1_b32 vcc_lo, exec_lo, s6
	s_cbranch_vccnz .LBB7_2521
; %bb.2520:
	s_wait_loadcnt 0x0
	global_load_u16 v10, v[24:25], off
.LBB7_2521:
	s_mov_b32 s6, 0
.LBB7_2522:
	s_delay_alu instid0(SALU_CYCLE_1)
	s_and_not1_b32 vcc_lo, exec_lo, s6
	s_cbranch_vccnz .LBB7_2528
; %bb.2523:
	global_load_u8 v1, v[24:25], off
	s_mov_b32 s7, 0
	s_mov_b32 s6, exec_lo
	s_wait_loadcnt 0x0
	v_cmpx_lt_i16_e32 0x7f, v1
	s_xor_b32 s6, exec_lo, s6
	s_cbranch_execz .LBB7_2540
; %bb.2524:
	v_cmp_ne_u16_e32 vcc_lo, 0x80, v1
	s_and_b32 s7, vcc_lo, exec_lo
	s_and_not1_saveexec_b32 s6, s6
	s_cbranch_execnz .LBB7_2541
.LBB7_2525:
	s_or_b32 exec_lo, exec_lo, s6
	v_mov_b32_e32 v10, 0
	s_and_saveexec_b32 s6, s7
	s_cbranch_execz .LBB7_2527
.LBB7_2526:
	v_and_b32_e32 v3, 0xffff, v1
	s_delay_alu instid0(VALU_DEP_1) | instskip(SKIP_1) | instid1(VALU_DEP_2)
	v_dual_lshlrev_b32 v1, 24, v1 :: v_dual_bitop2_b32 v5, 7, v3 bitop3:0x40
	v_bfe_u32 v10, v3, 3, 4
	v_and_b32_e32 v1, 0x80000000, v1
	s_delay_alu instid0(VALU_DEP_3) | instskip(NEXT) | instid1(VALU_DEP_3)
	v_clz_i32_u32_e32 v7, v5
	v_cmp_eq_u32_e32 vcc_lo, 0, v10
	s_delay_alu instid0(VALU_DEP_2) | instskip(NEXT) | instid1(VALU_DEP_1)
	v_min_u32_e32 v7, 32, v7
	v_subrev_nc_u32_e32 v9, 28, v7
	v_sub_nc_u32_e32 v7, 29, v7
	s_delay_alu instid0(VALU_DEP_2) | instskip(NEXT) | instid1(VALU_DEP_2)
	v_lshlrev_b32_e32 v3, v9, v3
	v_cndmask_b32_e32 v7, v10, v7, vcc_lo
	s_delay_alu instid0(VALU_DEP_2) | instskip(NEXT) | instid1(VALU_DEP_1)
	v_and_b32_e32 v3, 7, v3
	v_cndmask_b32_e32 v3, v5, v3, vcc_lo
	s_delay_alu instid0(VALU_DEP_3) | instskip(NEXT) | instid1(VALU_DEP_2)
	v_lshl_add_u32 v5, v7, 23, 0x3b800000
	v_lshlrev_b32_e32 v3, 20, v3
	s_delay_alu instid0(VALU_DEP_1) | instskip(NEXT) | instid1(VALU_DEP_1)
	v_or3_b32 v1, v1, v5, v3
	v_trunc_f32_e32 v1, v1
	s_delay_alu instid0(VALU_DEP_1) | instskip(NEXT) | instid1(VALU_DEP_1)
	v_mul_f32_e64 v3, 0x2f800000, |v1|
	v_floor_f32_e32 v3, v3
	s_delay_alu instid0(VALU_DEP_1) | instskip(SKIP_1) | instid1(VALU_DEP_2)
	v_fma_f32 v3, 0xcf800000, v3, |v1|
	v_ashrrev_i32_e32 v1, 31, v1
	v_cvt_u32_f32_e32 v3, v3
	s_delay_alu instid0(VALU_DEP_1) | instskip(NEXT) | instid1(VALU_DEP_1)
	v_xor_b32_e32 v3, v3, v1
	v_sub_nc_u32_e32 v10, v3, v1
.LBB7_2527:
	s_or_b32 exec_lo, exec_lo, s6
.LBB7_2528:
	s_mov_b32 s6, -1
.LBB7_2529:
	s_mov_b32 s7, 0
.LBB7_2530:
	s_delay_alu instid0(SALU_CYCLE_1)
	s_and_b32 vcc_lo, exec_lo, s7
	s_cbranch_vccz .LBB7_2561
; %bb.2531:
	s_cmp_gt_i32 s12, 22
	s_cbranch_scc0 .LBB7_2539
; %bb.2532:
	s_cmp_lt_i32 s12, 24
	s_cbranch_scc1 .LBB7_2542
; %bb.2533:
	s_cmp_gt_i32 s12, 24
	s_cbranch_scc0 .LBB7_2543
; %bb.2534:
	global_load_u8 v1, v[24:25], off
	s_mov_b32 s6, 0
	s_mov_b32 s1, exec_lo
	s_wait_loadcnt 0x0
	v_cmpx_lt_i16_e32 0x7f, v1
	s_xor_b32 s1, exec_lo, s1
	s_cbranch_execz .LBB7_2555
; %bb.2535:
	v_cmp_ne_u16_e32 vcc_lo, 0x80, v1
	s_and_b32 s6, vcc_lo, exec_lo
	s_and_not1_saveexec_b32 s1, s1
	s_cbranch_execnz .LBB7_2556
.LBB7_2536:
	s_or_b32 exec_lo, exec_lo, s1
	v_mov_b32_e32 v10, 0
	s_and_saveexec_b32 s1, s6
	s_cbranch_execz .LBB7_2538
.LBB7_2537:
	v_and_b32_e32 v3, 0xffff, v1
	s_delay_alu instid0(VALU_DEP_1) | instskip(SKIP_1) | instid1(VALU_DEP_2)
	v_dual_lshlrev_b32 v1, 24, v1 :: v_dual_bitop2_b32 v5, 3, v3 bitop3:0x40
	v_bfe_u32 v10, v3, 2, 5
	v_and_b32_e32 v1, 0x80000000, v1
	s_delay_alu instid0(VALU_DEP_3) | instskip(NEXT) | instid1(VALU_DEP_3)
	v_clz_i32_u32_e32 v7, v5
	v_cmp_eq_u32_e32 vcc_lo, 0, v10
	s_delay_alu instid0(VALU_DEP_2) | instskip(NEXT) | instid1(VALU_DEP_1)
	v_min_u32_e32 v7, 32, v7
	v_subrev_nc_u32_e32 v9, 29, v7
	v_sub_nc_u32_e32 v7, 30, v7
	s_delay_alu instid0(VALU_DEP_2) | instskip(NEXT) | instid1(VALU_DEP_2)
	v_lshlrev_b32_e32 v3, v9, v3
	v_cndmask_b32_e32 v7, v10, v7, vcc_lo
	s_delay_alu instid0(VALU_DEP_2) | instskip(NEXT) | instid1(VALU_DEP_1)
	v_and_b32_e32 v3, 3, v3
	v_cndmask_b32_e32 v3, v5, v3, vcc_lo
	s_delay_alu instid0(VALU_DEP_3) | instskip(NEXT) | instid1(VALU_DEP_2)
	v_lshl_add_u32 v5, v7, 23, 0x37800000
	v_lshlrev_b32_e32 v3, 21, v3
	s_delay_alu instid0(VALU_DEP_1) | instskip(NEXT) | instid1(VALU_DEP_1)
	v_or3_b32 v1, v1, v5, v3
	v_trunc_f32_e32 v1, v1
	s_delay_alu instid0(VALU_DEP_1) | instskip(NEXT) | instid1(VALU_DEP_1)
	v_mul_f32_e64 v3, 0x2f800000, |v1|
	v_floor_f32_e32 v3, v3
	s_delay_alu instid0(VALU_DEP_1) | instskip(SKIP_1) | instid1(VALU_DEP_2)
	v_fma_f32 v3, 0xcf800000, v3, |v1|
	v_ashrrev_i32_e32 v1, 31, v1
	v_cvt_u32_f32_e32 v3, v3
	s_delay_alu instid0(VALU_DEP_1) | instskip(NEXT) | instid1(VALU_DEP_1)
	v_xor_b32_e32 v3, v3, v1
	v_sub_nc_u32_e32 v10, v3, v1
.LBB7_2538:
	s_or_b32 exec_lo, exec_lo, s1
	s_mov_b32 s1, 0
	s_branch .LBB7_2544
.LBB7_2539:
	s_mov_b32 s1, -1
                                        ; implicit-def: $vgpr10
	s_branch .LBB7_2550
.LBB7_2540:
	s_and_not1_saveexec_b32 s6, s6
	s_cbranch_execz .LBB7_2525
.LBB7_2541:
	v_cmp_ne_u16_e32 vcc_lo, 0, v1
	s_and_not1_b32 s7, s7, exec_lo
	s_and_b32 s11, vcc_lo, exec_lo
	s_delay_alu instid0(SALU_CYCLE_1)
	s_or_b32 s7, s7, s11
	s_or_b32 exec_lo, exec_lo, s6
	v_mov_b32_e32 v10, 0
	s_and_saveexec_b32 s6, s7
	s_cbranch_execnz .LBB7_2526
	s_branch .LBB7_2527
.LBB7_2542:
	s_mov_b32 s1, -1
                                        ; implicit-def: $vgpr10
	s_branch .LBB7_2547
.LBB7_2543:
	s_mov_b32 s1, -1
                                        ; implicit-def: $vgpr10
.LBB7_2544:
	s_delay_alu instid0(SALU_CYCLE_1)
	s_and_b32 vcc_lo, exec_lo, s1
	s_cbranch_vccz .LBB7_2546
; %bb.2545:
	global_load_u8 v1, v[24:25], off
	s_wait_loadcnt 0x0
	v_lshlrev_b32_e32 v1, 24, v1
	s_delay_alu instid0(VALU_DEP_1) | instskip(NEXT) | instid1(VALU_DEP_1)
	v_and_b32_e32 v3, 0x7f000000, v1
	v_clz_i32_u32_e32 v5, v3
	v_add_nc_u32_e32 v9, 0x1000000, v3
	v_cmp_ne_u32_e32 vcc_lo, 0, v3
	s_delay_alu instid0(VALU_DEP_3) | instskip(NEXT) | instid1(VALU_DEP_1)
	v_min_u32_e32 v5, 32, v5
	v_sub_nc_u32_e64 v5, v5, 4 clamp
	s_delay_alu instid0(VALU_DEP_1) | instskip(NEXT) | instid1(VALU_DEP_1)
	v_dual_lshlrev_b32 v7, v5, v3 :: v_dual_lshlrev_b32 v5, 23, v5
	v_lshrrev_b32_e32 v7, 4, v7
	s_delay_alu instid0(VALU_DEP_1) | instskip(SKIP_1) | instid1(VALU_DEP_2)
	v_sub_nc_u32_e32 v5, v7, v5
	v_ashrrev_i32_e32 v7, 8, v9
	v_add_nc_u32_e32 v5, 0x3c000000, v5
	s_delay_alu instid0(VALU_DEP_1) | instskip(NEXT) | instid1(VALU_DEP_1)
	v_and_or_b32 v5, 0x7f800000, v7, v5
	v_cndmask_b32_e32 v3, 0, v5, vcc_lo
	s_delay_alu instid0(VALU_DEP_1) | instskip(NEXT) | instid1(VALU_DEP_1)
	v_and_or_b32 v1, 0x80000000, v1, v3
	v_trunc_f32_e32 v1, v1
	s_delay_alu instid0(VALU_DEP_1) | instskip(NEXT) | instid1(VALU_DEP_1)
	v_mul_f32_e64 v3, 0x2f800000, |v1|
	v_floor_f32_e32 v3, v3
	s_delay_alu instid0(VALU_DEP_1) | instskip(SKIP_1) | instid1(VALU_DEP_2)
	v_fma_f32 v3, 0xcf800000, v3, |v1|
	v_ashrrev_i32_e32 v1, 31, v1
	v_cvt_u32_f32_e32 v3, v3
	s_delay_alu instid0(VALU_DEP_1) | instskip(NEXT) | instid1(VALU_DEP_1)
	v_xor_b32_e32 v3, v3, v1
	v_sub_nc_u32_e32 v10, v3, v1
.LBB7_2546:
	s_mov_b32 s1, 0
.LBB7_2547:
	s_delay_alu instid0(SALU_CYCLE_1)
	s_and_not1_b32 vcc_lo, exec_lo, s1
	s_cbranch_vccnz .LBB7_2549
; %bb.2548:
	global_load_u8 v1, v[24:25], off
	s_wait_loadcnt 0x0
	v_lshlrev_b32_e32 v3, 25, v1
	v_lshlrev_b16 v1, 8, v1
	s_delay_alu instid0(VALU_DEP_1) | instskip(SKIP_1) | instid1(VALU_DEP_2)
	v_and_or_b32 v7, 0x7f00, v1, 0.5
	v_bfe_i32 v1, v1, 0, 16
	v_add_f32_e32 v7, -0.5, v7
	v_lshrrev_b32_e32 v5, 4, v3
	v_cmp_gt_u32_e32 vcc_lo, 0x8000000, v3
	s_delay_alu instid0(VALU_DEP_2) | instskip(NEXT) | instid1(VALU_DEP_1)
	v_or_b32_e32 v5, 0x70000000, v5
	v_mul_f32_e32 v5, 0x7800000, v5
	s_delay_alu instid0(VALU_DEP_1) | instskip(NEXT) | instid1(VALU_DEP_1)
	v_cndmask_b32_e32 v3, v5, v7, vcc_lo
	v_and_or_b32 v1, 0x80000000, v1, v3
	s_delay_alu instid0(VALU_DEP_1) | instskip(NEXT) | instid1(VALU_DEP_1)
	v_trunc_f32_e32 v1, v1
	v_mul_f32_e64 v3, 0x2f800000, |v1|
	s_delay_alu instid0(VALU_DEP_1) | instskip(NEXT) | instid1(VALU_DEP_1)
	v_floor_f32_e32 v3, v3
	v_fma_f32 v3, 0xcf800000, v3, |v1|
	v_ashrrev_i32_e32 v1, 31, v1
	s_delay_alu instid0(VALU_DEP_2) | instskip(NEXT) | instid1(VALU_DEP_1)
	v_cvt_u32_f32_e32 v3, v3
	v_xor_b32_e32 v3, v3, v1
	s_delay_alu instid0(VALU_DEP_1)
	v_sub_nc_u32_e32 v10, v3, v1
.LBB7_2549:
	s_mov_b32 s1, 0
	s_mov_b32 s6, -1
.LBB7_2550:
	s_and_not1_b32 vcc_lo, exec_lo, s1
	s_mov_b32 s1, 0
	s_cbranch_vccnz .LBB7_2561
; %bb.2551:
	s_cmp_gt_i32 s12, 14
	s_cbranch_scc0 .LBB7_2554
; %bb.2552:
	s_cmp_eq_u32 s12, 15
	s_cbranch_scc0 .LBB7_2557
; %bb.2553:
	global_load_u16 v1, v[24:25], off
	s_mov_b32 s0, 0
	s_mov_b32 s6, -1
	s_wait_loadcnt 0x0
	v_lshlrev_b32_e32 v1, 16, v1
	s_delay_alu instid0(VALU_DEP_1) | instskip(NEXT) | instid1(VALU_DEP_1)
	v_trunc_f32_e32 v1, v1
	v_mul_f32_e64 v3, 0x2f800000, |v1|
	s_delay_alu instid0(VALU_DEP_1) | instskip(NEXT) | instid1(VALU_DEP_1)
	v_floor_f32_e32 v3, v3
	v_fma_f32 v3, 0xcf800000, v3, |v1|
	v_ashrrev_i32_e32 v1, 31, v1
	s_delay_alu instid0(VALU_DEP_2) | instskip(NEXT) | instid1(VALU_DEP_1)
	v_cvt_u32_f32_e32 v3, v3
	v_xor_b32_e32 v3, v3, v1
	s_delay_alu instid0(VALU_DEP_1)
	v_sub_nc_u32_e32 v10, v3, v1
	s_branch .LBB7_2559
.LBB7_2554:
	s_mov_b32 s1, -1
	s_branch .LBB7_2558
.LBB7_2555:
	s_and_not1_saveexec_b32 s1, s1
	s_cbranch_execz .LBB7_2536
.LBB7_2556:
	v_cmp_ne_u16_e32 vcc_lo, 0, v1
	s_and_not1_b32 s6, s6, exec_lo
	s_and_b32 s7, vcc_lo, exec_lo
	s_delay_alu instid0(SALU_CYCLE_1)
	s_or_b32 s6, s6, s7
	s_or_b32 exec_lo, exec_lo, s1
	v_mov_b32_e32 v10, 0
	s_and_saveexec_b32 s1, s6
	s_cbranch_execnz .LBB7_2537
	s_branch .LBB7_2538
.LBB7_2557:
	s_mov_b32 s0, -1
.LBB7_2558:
                                        ; implicit-def: $vgpr10
.LBB7_2559:
	s_and_b32 vcc_lo, exec_lo, s1
	s_mov_b32 s1, 0
	s_cbranch_vccz .LBB7_2561
; %bb.2560:
	s_cmp_lg_u32 s12, 11
	s_mov_b32 s1, -1
	s_cselect_b32 s0, -1, 0
.LBB7_2561:
	s_delay_alu instid0(SALU_CYCLE_1)
	s_and_b32 vcc_lo, exec_lo, s0
	s_cbranch_vccnz .LBB7_3093
; %bb.2562:
	s_and_not1_b32 vcc_lo, exec_lo, s1
	s_cbranch_vccnz .LBB7_2564
.LBB7_2563:
	global_load_u8 v1, v[24:25], off
	s_mov_b32 s6, -1
	s_wait_loadcnt 0x0
	v_cmp_ne_u16_e32 vcc_lo, 0, v1
	v_cndmask_b32_e64 v10, 0, 1, vcc_lo
.LBB7_2564:
	s_mov_b32 s0, 0
.LBB7_2565:
	s_delay_alu instid0(SALU_CYCLE_1)
	s_and_b32 vcc_lo, exec_lo, s0
	s_cbranch_vccz .LBB7_2614
; %bb.2566:
	s_cmp_lt_i32 s12, 5
	s_cbranch_scc1 .LBB7_2571
; %bb.2567:
	s_cmp_lt_i32 s12, 8
	s_cbranch_scc1 .LBB7_2572
	;; [unrolled: 3-line block ×3, first 2 shown]
; %bb.2569:
	s_cmp_gt_i32 s12, 9
	s_cbranch_scc0 .LBB7_2574
; %bb.2570:
	s_wait_loadcnt 0x0
	global_load_b64 v[10:11], v[24:25], off
	s_mov_b32 s0, 0
	s_wait_loadcnt 0x0
	v_trunc_f64_e32 v[10:11], v[10:11]
	s_delay_alu instid0(VALU_DEP_1) | instskip(NEXT) | instid1(VALU_DEP_1)
	v_ldexp_f64 v[26:27], v[10:11], 0xffffffe0
	v_floor_f64_e32 v[26:27], v[26:27]
	s_delay_alu instid0(VALU_DEP_1) | instskip(NEXT) | instid1(VALU_DEP_1)
	v_fmamk_f64 v[10:11], v[26:27], 0xc1f00000, v[10:11]
	v_cvt_u32_f64_e32 v10, v[10:11]
	s_branch .LBB7_2575
.LBB7_2571:
	s_mov_b32 s0, -1
                                        ; implicit-def: $vgpr10
	s_branch .LBB7_2593
.LBB7_2572:
	s_mov_b32 s0, -1
                                        ; implicit-def: $vgpr10
	s_branch .LBB7_2581
.LBB7_2573:
	s_mov_b32 s0, -1
                                        ; implicit-def: $vgpr10
	s_branch .LBB7_2578
.LBB7_2574:
	s_mov_b32 s0, -1
                                        ; implicit-def: $vgpr10
.LBB7_2575:
	s_delay_alu instid0(SALU_CYCLE_1)
	s_and_not1_b32 vcc_lo, exec_lo, s0
	s_cbranch_vccnz .LBB7_2577
; %bb.2576:
	global_load_b32 v1, v[24:25], off
	s_wait_loadcnt 0x0
	v_trunc_f32_e32 v1, v1
	s_delay_alu instid0(VALU_DEP_1) | instskip(NEXT) | instid1(VALU_DEP_1)
	v_mul_f32_e64 v3, 0x2f800000, |v1|
	v_floor_f32_e32 v3, v3
	s_delay_alu instid0(VALU_DEP_1) | instskip(SKIP_1) | instid1(VALU_DEP_2)
	v_fma_f32 v3, 0xcf800000, v3, |v1|
	v_ashrrev_i32_e32 v1, 31, v1
	v_cvt_u32_f32_e32 v3, v3
	s_delay_alu instid0(VALU_DEP_1) | instskip(NEXT) | instid1(VALU_DEP_1)
	v_xor_b32_e32 v3, v3, v1
	v_sub_nc_u32_e32 v10, v3, v1
.LBB7_2577:
	s_mov_b32 s0, 0
.LBB7_2578:
	s_delay_alu instid0(SALU_CYCLE_1)
	s_and_not1_b32 vcc_lo, exec_lo, s0
	s_cbranch_vccnz .LBB7_2580
; %bb.2579:
	global_load_b32 v1, v[24:25], off
	s_wait_loadcnt 0x0
	v_cvt_f32_f16_e32 v1, v1
	s_delay_alu instid0(VALU_DEP_1)
	v_cvt_i32_f32_e32 v10, v1
.LBB7_2580:
	s_mov_b32 s0, 0
.LBB7_2581:
	s_delay_alu instid0(SALU_CYCLE_1)
	s_and_not1_b32 vcc_lo, exec_lo, s0
	s_cbranch_vccnz .LBB7_2592
; %bb.2582:
	s_cmp_lt_i32 s12, 6
	s_cbranch_scc1 .LBB7_2585
; %bb.2583:
	s_cmp_gt_i32 s12, 6
	s_cbranch_scc0 .LBB7_2586
; %bb.2584:
	s_wait_loadcnt 0x0
	global_load_b64 v[10:11], v[24:25], off
	s_mov_b32 s0, 0
	s_wait_loadcnt 0x0
	v_trunc_f64_e32 v[10:11], v[10:11]
	s_delay_alu instid0(VALU_DEP_1) | instskip(NEXT) | instid1(VALU_DEP_1)
	v_ldexp_f64 v[26:27], v[10:11], 0xffffffe0
	v_floor_f64_e32 v[26:27], v[26:27]
	s_delay_alu instid0(VALU_DEP_1) | instskip(NEXT) | instid1(VALU_DEP_1)
	v_fmamk_f64 v[10:11], v[26:27], 0xc1f00000, v[10:11]
	v_cvt_u32_f64_e32 v10, v[10:11]
	s_branch .LBB7_2587
.LBB7_2585:
	s_mov_b32 s0, -1
                                        ; implicit-def: $vgpr10
	s_branch .LBB7_2590
.LBB7_2586:
	s_mov_b32 s0, -1
                                        ; implicit-def: $vgpr10
.LBB7_2587:
	s_delay_alu instid0(SALU_CYCLE_1)
	s_and_not1_b32 vcc_lo, exec_lo, s0
	s_cbranch_vccnz .LBB7_2589
; %bb.2588:
	global_load_b32 v1, v[24:25], off
	s_wait_loadcnt 0x0
	v_trunc_f32_e32 v1, v1
	s_delay_alu instid0(VALU_DEP_1) | instskip(NEXT) | instid1(VALU_DEP_1)
	v_mul_f32_e64 v3, 0x2f800000, |v1|
	v_floor_f32_e32 v3, v3
	s_delay_alu instid0(VALU_DEP_1) | instskip(SKIP_1) | instid1(VALU_DEP_2)
	v_fma_f32 v3, 0xcf800000, v3, |v1|
	v_ashrrev_i32_e32 v1, 31, v1
	v_cvt_u32_f32_e32 v3, v3
	s_delay_alu instid0(VALU_DEP_1) | instskip(NEXT) | instid1(VALU_DEP_1)
	v_xor_b32_e32 v3, v3, v1
	v_sub_nc_u32_e32 v10, v3, v1
.LBB7_2589:
	s_mov_b32 s0, 0
.LBB7_2590:
	s_delay_alu instid0(SALU_CYCLE_1)
	s_and_not1_b32 vcc_lo, exec_lo, s0
	s_cbranch_vccnz .LBB7_2592
; %bb.2591:
	global_load_u16 v1, v[24:25], off
	s_wait_loadcnt 0x0
	v_cvt_f32_f16_e32 v1, v1
	s_delay_alu instid0(VALU_DEP_1)
	v_cvt_i32_f32_e32 v10, v1
.LBB7_2592:
	s_mov_b32 s0, 0
.LBB7_2593:
	s_delay_alu instid0(SALU_CYCLE_1)
	s_and_not1_b32 vcc_lo, exec_lo, s0
	s_cbranch_vccnz .LBB7_2613
; %bb.2594:
	s_cmp_lt_i32 s12, 2
	s_cbranch_scc1 .LBB7_2598
; %bb.2595:
	s_cmp_lt_i32 s12, 3
	s_cbranch_scc1 .LBB7_2599
; %bb.2596:
	s_cmp_gt_i32 s12, 3
	s_cbranch_scc0 .LBB7_2600
; %bb.2597:
	s_wait_loadcnt 0x0
	global_load_b64 v[10:11], v[24:25], off
	s_mov_b32 s0, 0
	s_branch .LBB7_2601
.LBB7_2598:
	s_mov_b32 s0, -1
                                        ; implicit-def: $vgpr10
	s_branch .LBB7_2607
.LBB7_2599:
	s_mov_b32 s0, -1
                                        ; implicit-def: $vgpr10
	s_branch .LBB7_2604
.LBB7_2600:
	s_mov_b32 s0, -1
                                        ; implicit-def: $vgpr10
.LBB7_2601:
	s_delay_alu instid0(SALU_CYCLE_1)
	s_and_not1_b32 vcc_lo, exec_lo, s0
	s_cbranch_vccnz .LBB7_2603
; %bb.2602:
	s_wait_loadcnt 0x0
	global_load_b32 v10, v[24:25], off
.LBB7_2603:
	s_mov_b32 s0, 0
.LBB7_2604:
	s_delay_alu instid0(SALU_CYCLE_1)
	s_and_not1_b32 vcc_lo, exec_lo, s0
	s_cbranch_vccnz .LBB7_2606
; %bb.2605:
	s_wait_loadcnt 0x0
	global_load_u16 v10, v[24:25], off
.LBB7_2606:
	s_mov_b32 s0, 0
.LBB7_2607:
	s_delay_alu instid0(SALU_CYCLE_1)
	s_and_not1_b32 vcc_lo, exec_lo, s0
	s_cbranch_vccnz .LBB7_2613
; %bb.2608:
	s_cmp_gt_i32 s12, 0
	s_mov_b32 s0, 0
	s_cbranch_scc0 .LBB7_2610
; %bb.2609:
	s_wait_loadcnt 0x0
	global_load_u8 v10, v[24:25], off
	s_branch .LBB7_2611
.LBB7_2610:
	s_mov_b32 s0, -1
                                        ; implicit-def: $vgpr10
.LBB7_2611:
	s_delay_alu instid0(SALU_CYCLE_1)
	s_and_not1_b32 vcc_lo, exec_lo, s0
	s_cbranch_vccnz .LBB7_2613
; %bb.2612:
	s_wait_loadcnt 0x0
	global_load_u8 v10, v[24:25], off
.LBB7_2613:
	s_mov_b32 s6, -1
.LBB7_2614:
	s_delay_alu instid0(SALU_CYCLE_1)
	s_and_not1_b32 vcc_lo, exec_lo, s6
	s_cbranch_vccnz .LBB7_3047
; %bb.2615:
	s_load_b64 s[0:1], s[2:3], 0x1a0
	s_wait_loadcnt 0x0
	v_and_b32_e32 v1, 0xff, v12
	v_and_b32_e32 v3, 0xff, v8
	v_mov_b32_e32 v7, 0
	s_mov_b32 s11, 0
	s_delay_alu instid0(VALU_DEP_2) | instskip(NEXT) | instid1(VALU_DEP_2)
	v_cmp_ne_u16_e32 vcc_lo, v3, v1
	v_add_nc_u64_e32 v[6:7], s[4:5], v[6:7]
	s_wait_kmcnt 0x0
	s_cmp_eq_u32 s0, 0
	s_mov_b32 s0, -1
	s_cselect_b32 s2, -1, 0
	s_and_b32 s1, s1, 0xff
	s_xor_b32 s3, s2, vcc_lo
	s_cmp_lt_i32 s1, 11
	s_cbranch_scc1 .LBB7_2694
; %bb.2616:
	s_and_b32 s6, 0xffff, s1
	s_mov_b32 s12, -1
	s_mov_b32 s7, 0
	s_cmp_gt_i32 s6, 25
	s_mov_b32 s0, 0
	s_cbranch_scc0 .LBB7_2649
; %bb.2617:
	s_cmp_gt_i32 s6, 28
	s_cbranch_scc0 .LBB7_2632
; %bb.2618:
	s_cmp_gt_i32 s6, 43
	;; [unrolled: 3-line block ×3, first 2 shown]
	s_cbranch_scc0 .LBB7_2622
; %bb.2620:
	s_mov_b32 s0, -1
	s_mov_b32 s12, 0
	s_cmp_eq_u32 s6, 46
	s_cbranch_scc0 .LBB7_2622
; %bb.2621:
	v_cndmask_b32_e64 v1, 0, 1.0, s3
	s_mov_b32 s0, 0
	s_mov_b32 s11, -1
	s_delay_alu instid0(VALU_DEP_1) | instskip(NEXT) | instid1(VALU_DEP_1)
	v_bfe_u32 v3, v1, 16, 1
	v_add3_u32 v1, v1, v3, 0x7fff
	s_delay_alu instid0(VALU_DEP_1)
	v_lshrrev_b32_e32 v1, 16, v1
	global_store_b32 v[6:7], v1, off
.LBB7_2622:
	s_and_b32 vcc_lo, exec_lo, s12
	s_cbranch_vccz .LBB7_2627
; %bb.2623:
	s_cmp_eq_u32 s6, 44
	s_mov_b32 s0, -1
	s_cbranch_scc0 .LBB7_2627
; %bb.2624:
	v_cndmask_b32_e64 v5, 0, 1.0, s3
	v_mov_b32_e32 v3, 0xff
	s_mov_b32 s11, exec_lo
	s_wait_xcnt 0x0
	s_delay_alu instid0(VALU_DEP_2) | instskip(NEXT) | instid1(VALU_DEP_1)
	v_lshrrev_b32_e32 v1, 23, v5
	v_cmpx_ne_u32_e32 0xff, v1
; %bb.2625:
	v_and_b32_e32 v3, 0x400000, v5
	v_and_or_b32 v5, 0x3fffff, v5, v1
	s_delay_alu instid0(VALU_DEP_2) | instskip(NEXT) | instid1(VALU_DEP_2)
	v_cmp_ne_u32_e32 vcc_lo, 0, v3
	v_cmp_ne_u32_e64 s0, 0, v5
	s_and_b32 s0, vcc_lo, s0
	s_delay_alu instid0(SALU_CYCLE_1) | instskip(NEXT) | instid1(VALU_DEP_1)
	v_cndmask_b32_e64 v3, 0, 1, s0
	v_add_nc_u32_e32 v3, v1, v3
; %bb.2626:
	s_or_b32 exec_lo, exec_lo, s11
	s_mov_b32 s0, 0
	s_mov_b32 s11, -1
	global_store_b8 v[6:7], v3, off
.LBB7_2627:
	s_mov_b32 s12, 0
.LBB7_2628:
	s_delay_alu instid0(SALU_CYCLE_1)
	s_and_b32 vcc_lo, exec_lo, s12
	s_cbranch_vccz .LBB7_2631
; %bb.2629:
	s_cmp_eq_u32 s6, 29
	s_mov_b32 s0, -1
	s_cbranch_scc0 .LBB7_2631
; %bb.2630:
	s_mov_b32 s0, 0
	v_cndmask_b32_e64 v8, 0, 1, s3
	v_mov_b32_e32 v9, s0
	s_mov_b32 s11, -1
	global_store_b64 v[6:7], v[8:9], off
.LBB7_2631:
	s_mov_b32 s12, 0
.LBB7_2632:
	s_delay_alu instid0(SALU_CYCLE_1)
	s_and_b32 vcc_lo, exec_lo, s12
	s_cbranch_vccz .LBB7_2648
; %bb.2633:
	s_cmp_lt_i32 s6, 27
	s_mov_b32 s11, -1
	s_cbranch_scc1 .LBB7_2639
; %bb.2634:
	s_cmp_gt_i32 s6, 27
	s_cbranch_scc0 .LBB7_2636
; %bb.2635:
	s_wait_xcnt 0x0
	v_cndmask_b32_e64 v1, 0, 1, s3
	s_mov_b32 s11, 0
	global_store_b32 v[6:7], v1, off
.LBB7_2636:
	s_and_not1_b32 vcc_lo, exec_lo, s11
	s_cbranch_vccnz .LBB7_2638
; %bb.2637:
	s_wait_xcnt 0x0
	v_cndmask_b32_e64 v1, 0, 1, s3
	global_store_b16 v[6:7], v1, off
.LBB7_2638:
	s_mov_b32 s11, 0
.LBB7_2639:
	s_delay_alu instid0(SALU_CYCLE_1)
	s_and_not1_b32 vcc_lo, exec_lo, s11
	s_cbranch_vccnz .LBB7_2647
; %bb.2640:
	s_wait_xcnt 0x0
	v_cndmask_b32_e64 v3, 0, 1.0, s3
	v_mov_b32_e32 v5, 0x80
	s_mov_b32 s11, exec_lo
	s_delay_alu instid0(VALU_DEP_2)
	v_cmpx_gt_u32_e32 0x43800000, v3
	s_cbranch_execz .LBB7_2646
; %bb.2641:
	s_mov_b32 s12, 0
	s_mov_b32 s13, exec_lo
                                        ; implicit-def: $vgpr1
	v_cmpx_lt_u32_e32 0x3bffffff, v3
	s_xor_b32 s13, exec_lo, s13
	s_cbranch_execz .LBB7_3094
; %bb.2642:
	v_bfe_u32 v1, v3, 20, 1
	s_mov_b32 s12, exec_lo
	s_delay_alu instid0(VALU_DEP_1) | instskip(NEXT) | instid1(VALU_DEP_1)
	v_add3_u32 v1, v3, v1, 0x487ffff
                                        ; implicit-def: $vgpr3
	v_lshrrev_b32_e32 v1, 20, v1
	s_and_not1_saveexec_b32 s13, s13
	s_cbranch_execnz .LBB7_3095
.LBB7_2643:
	s_or_b32 exec_lo, exec_lo, s13
	v_mov_b32_e32 v5, 0
	s_and_saveexec_b32 s13, s12
.LBB7_2644:
	v_mov_b32_e32 v5, v1
.LBB7_2645:
	s_or_b32 exec_lo, exec_lo, s13
.LBB7_2646:
	s_delay_alu instid0(SALU_CYCLE_1)
	s_or_b32 exec_lo, exec_lo, s11
	global_store_b8 v[6:7], v5, off
.LBB7_2647:
	s_mov_b32 s11, -1
.LBB7_2648:
	s_mov_b32 s12, 0
.LBB7_2649:
	s_delay_alu instid0(SALU_CYCLE_1)
	s_and_b32 vcc_lo, exec_lo, s12
	s_cbranch_vccz .LBB7_2689
; %bb.2650:
	s_cmp_gt_i32 s6, 22
	s_mov_b32 s7, -1
	s_cbranch_scc0 .LBB7_2682
; %bb.2651:
	s_cmp_lt_i32 s6, 24
	s_cbranch_scc1 .LBB7_2671
; %bb.2652:
	s_cmp_gt_i32 s6, 24
	s_cbranch_scc0 .LBB7_2660
; %bb.2653:
	s_wait_xcnt 0x0
	v_cndmask_b32_e64 v3, 0, 1.0, s3
	v_mov_b32_e32 v5, 0x80
	s_mov_b32 s7, exec_lo
	s_delay_alu instid0(VALU_DEP_2)
	v_cmpx_gt_u32_e32 0x47800000, v3
	s_cbranch_execz .LBB7_2659
; %bb.2654:
	s_mov_b32 s11, 0
	s_mov_b32 s12, exec_lo
                                        ; implicit-def: $vgpr1
	v_cmpx_lt_u32_e32 0x37ffffff, v3
	s_xor_b32 s12, exec_lo, s12
	s_cbranch_execz .LBB7_3097
; %bb.2655:
	v_bfe_u32 v1, v3, 21, 1
	s_mov_b32 s11, exec_lo
	s_delay_alu instid0(VALU_DEP_1) | instskip(NEXT) | instid1(VALU_DEP_1)
	v_add3_u32 v1, v3, v1, 0x88fffff
                                        ; implicit-def: $vgpr3
	v_lshrrev_b32_e32 v1, 21, v1
	s_and_not1_saveexec_b32 s12, s12
	s_cbranch_execnz .LBB7_3098
.LBB7_2656:
	s_or_b32 exec_lo, exec_lo, s12
	v_mov_b32_e32 v5, 0
	s_and_saveexec_b32 s12, s11
.LBB7_2657:
	v_mov_b32_e32 v5, v1
.LBB7_2658:
	s_or_b32 exec_lo, exec_lo, s12
.LBB7_2659:
	s_delay_alu instid0(SALU_CYCLE_1)
	s_or_b32 exec_lo, exec_lo, s7
	s_mov_b32 s7, 0
	global_store_b8 v[6:7], v5, off
.LBB7_2660:
	s_and_b32 vcc_lo, exec_lo, s7
	s_cbranch_vccz .LBB7_2670
; %bb.2661:
	s_wait_xcnt 0x0
	v_cndmask_b32_e64 v3, 0, 1.0, s3
	s_mov_b32 s7, exec_lo
                                        ; implicit-def: $vgpr1
	s_delay_alu instid0(VALU_DEP_1)
	v_cmpx_gt_u32_e32 0x43f00000, v3
	s_xor_b32 s7, exec_lo, s7
	s_cbranch_execz .LBB7_2667
; %bb.2662:
	s_mov_b32 s11, exec_lo
                                        ; implicit-def: $vgpr1
	v_cmpx_lt_u32_e32 0x3c7fffff, v3
	s_xor_b32 s11, exec_lo, s11
; %bb.2663:
	v_bfe_u32 v1, v3, 20, 1
	s_delay_alu instid0(VALU_DEP_1) | instskip(NEXT) | instid1(VALU_DEP_1)
	v_add3_u32 v1, v3, v1, 0x407ffff
	v_and_b32_e32 v3, 0xff00000, v1
	v_lshrrev_b32_e32 v1, 20, v1
	s_delay_alu instid0(VALU_DEP_2) | instskip(NEXT) | instid1(VALU_DEP_2)
	v_cmp_ne_u32_e32 vcc_lo, 0x7f00000, v3
                                        ; implicit-def: $vgpr3
	v_cndmask_b32_e32 v1, 0x7e, v1, vcc_lo
; %bb.2664:
	s_and_not1_saveexec_b32 s11, s11
; %bb.2665:
	v_add_f32_e32 v1, 0x46800000, v3
; %bb.2666:
	s_or_b32 exec_lo, exec_lo, s11
                                        ; implicit-def: $vgpr3
.LBB7_2667:
	s_and_not1_saveexec_b32 s7, s7
; %bb.2668:
	v_mov_b32_e32 v1, 0x7f
	v_cmp_lt_u32_e32 vcc_lo, 0x7f800000, v3
	s_delay_alu instid0(VALU_DEP_2)
	v_cndmask_b32_e32 v1, 0x7e, v1, vcc_lo
; %bb.2669:
	s_or_b32 exec_lo, exec_lo, s7
	global_store_b8 v[6:7], v1, off
.LBB7_2670:
	s_mov_b32 s7, 0
.LBB7_2671:
	s_delay_alu instid0(SALU_CYCLE_1)
	s_and_not1_b32 vcc_lo, exec_lo, s7
	s_cbranch_vccnz .LBB7_2681
; %bb.2672:
	s_wait_xcnt 0x0
	v_cndmask_b32_e64 v3, 0, 1.0, s3
	s_mov_b32 s7, exec_lo
                                        ; implicit-def: $vgpr1
	s_delay_alu instid0(VALU_DEP_1)
	v_cmpx_gt_u32_e32 0x47800000, v3
	s_xor_b32 s7, exec_lo, s7
	s_cbranch_execz .LBB7_2678
; %bb.2673:
	s_mov_b32 s11, exec_lo
                                        ; implicit-def: $vgpr1
	v_cmpx_lt_u32_e32 0x387fffff, v3
	s_xor_b32 s11, exec_lo, s11
; %bb.2674:
	v_bfe_u32 v1, v3, 21, 1
	s_delay_alu instid0(VALU_DEP_1) | instskip(NEXT) | instid1(VALU_DEP_1)
	v_add3_u32 v1, v3, v1, 0x80fffff
                                        ; implicit-def: $vgpr3
	v_lshrrev_b32_e32 v1, 21, v1
; %bb.2675:
	s_and_not1_saveexec_b32 s11, s11
; %bb.2676:
	v_add_f32_e32 v1, 0x43000000, v3
; %bb.2677:
	s_or_b32 exec_lo, exec_lo, s11
                                        ; implicit-def: $vgpr3
.LBB7_2678:
	s_and_not1_saveexec_b32 s7, s7
; %bb.2679:
	v_mov_b32_e32 v1, 0x7f
	v_cmp_lt_u32_e32 vcc_lo, 0x7f800000, v3
	s_delay_alu instid0(VALU_DEP_2)
	v_cndmask_b32_e32 v1, 0x7c, v1, vcc_lo
; %bb.2680:
	s_or_b32 exec_lo, exec_lo, s7
	global_store_b8 v[6:7], v1, off
.LBB7_2681:
	s_mov_b32 s7, 0
	s_mov_b32 s11, -1
.LBB7_2682:
	s_and_not1_b32 vcc_lo, exec_lo, s7
	s_mov_b32 s7, 0
	s_cbranch_vccnz .LBB7_2689
; %bb.2683:
	s_cmp_gt_i32 s6, 14
	s_mov_b32 s7, -1
	s_cbranch_scc0 .LBB7_2687
; %bb.2684:
	s_cmp_eq_u32 s6, 15
	s_mov_b32 s0, -1
	s_cbranch_scc0 .LBB7_2686
; %bb.2685:
	s_wait_xcnt 0x0
	v_cndmask_b32_e64 v1, 0, 1.0, s3
	s_mov_b32 s0, 0
	s_mov_b32 s11, -1
	s_delay_alu instid0(VALU_DEP_1) | instskip(NEXT) | instid1(VALU_DEP_1)
	v_bfe_u32 v3, v1, 16, 1
	v_add3_u32 v1, v1, v3, 0x7fff
	global_store_d16_hi_b16 v[6:7], v1, off
.LBB7_2686:
	s_mov_b32 s7, 0
.LBB7_2687:
	s_delay_alu instid0(SALU_CYCLE_1)
	s_and_b32 vcc_lo, exec_lo, s7
	s_mov_b32 s7, 0
	s_cbranch_vccz .LBB7_2689
; %bb.2688:
	s_cmp_lg_u32 s6, 11
	s_mov_b32 s7, -1
	s_cselect_b32 s0, -1, 0
.LBB7_2689:
	s_delay_alu instid0(SALU_CYCLE_1)
	s_and_b32 vcc_lo, exec_lo, s0
	s_cbranch_vccnz .LBB7_3096
; %bb.2690:
	s_and_not1_b32 vcc_lo, exec_lo, s7
	s_cbranch_vccnz .LBB7_2692
.LBB7_2691:
	s_wait_xcnt 0x0
	v_cndmask_b32_e64 v1, 0, 1, s3
	s_mov_b32 s11, -1
	global_store_b8 v[6:7], v1, off
.LBB7_2692:
.LBB7_2693:
	s_and_not1_b32 vcc_lo, exec_lo, s11
	s_cbranch_vccnz .LBB7_3047
	s_branch .LBB7_2733
.LBB7_2694:
	s_and_b32 vcc_lo, exec_lo, s0
	s_cbranch_vccz .LBB7_2693
; %bb.2695:
	s_and_b32 s0, 0xffff, s1
	s_mov_b32 s6, -1
	s_cmp_lt_i32 s0, 5
	s_cbranch_scc1 .LBB7_2716
; %bb.2696:
	s_cmp_lt_i32 s0, 8
	s_cbranch_scc1 .LBB7_2706
; %bb.2697:
	;; [unrolled: 3-line block ×3, first 2 shown]
	s_cmp_gt_i32 s0, 9
	s_cbranch_scc0 .LBB7_2700
; %bb.2699:
	s_wait_xcnt 0x0
	v_cndmask_b32_e64 v1, 0, 1, s3
	v_mov_b32_e32 v26, 0
	s_mov_b32 s6, 0
	s_delay_alu instid0(VALU_DEP_2) | instskip(NEXT) | instid1(VALU_DEP_2)
	v_cvt_f64_u32_e32 v[24:25], v1
	v_mov_b32_e32 v27, v26
	global_store_b128 v[6:7], v[24:27], off
.LBB7_2700:
	s_and_not1_b32 vcc_lo, exec_lo, s6
	s_cbranch_vccnz .LBB7_2702
; %bb.2701:
	s_wait_xcnt 0x0
	v_cndmask_b32_e64 v8, 0, 1.0, s3
	v_mov_b32_e32 v9, 0
	global_store_b64 v[6:7], v[8:9], off
.LBB7_2702:
	s_mov_b32 s6, 0
.LBB7_2703:
	s_delay_alu instid0(SALU_CYCLE_1)
	s_and_not1_b32 vcc_lo, exec_lo, s6
	s_cbranch_vccnz .LBB7_2705
; %bb.2704:
	s_wait_xcnt 0x0
	v_cndmask_b32_e64 v1, 0, 1.0, s3
	s_delay_alu instid0(VALU_DEP_1) | instskip(NEXT) | instid1(VALU_DEP_1)
	v_cvt_f16_f32_e32 v1, v1
	v_and_b32_e32 v1, 0xffff, v1
	global_store_b32 v[6:7], v1, off
.LBB7_2705:
	s_mov_b32 s6, 0
.LBB7_2706:
	s_delay_alu instid0(SALU_CYCLE_1)
	s_and_not1_b32 vcc_lo, exec_lo, s6
	s_cbranch_vccnz .LBB7_2715
; %bb.2707:
	s_cmp_lt_i32 s0, 6
	s_mov_b32 s6, -1
	s_cbranch_scc1 .LBB7_2713
; %bb.2708:
	s_cmp_gt_i32 s0, 6
	s_cbranch_scc0 .LBB7_2710
; %bb.2709:
	s_wait_xcnt 0x0
	v_cndmask_b32_e64 v1, 0, 1, s3
	s_mov_b32 s6, 0
	s_delay_alu instid0(VALU_DEP_1)
	v_cvt_f64_u32_e32 v[8:9], v1
	global_store_b64 v[6:7], v[8:9], off
.LBB7_2710:
	s_and_not1_b32 vcc_lo, exec_lo, s6
	s_cbranch_vccnz .LBB7_2712
; %bb.2711:
	s_wait_xcnt 0x0
	v_cndmask_b32_e64 v1, 0, 1.0, s3
	global_store_b32 v[6:7], v1, off
.LBB7_2712:
	s_mov_b32 s6, 0
.LBB7_2713:
	s_delay_alu instid0(SALU_CYCLE_1)
	s_and_not1_b32 vcc_lo, exec_lo, s6
	s_cbranch_vccnz .LBB7_2715
; %bb.2714:
	s_wait_xcnt 0x0
	v_cndmask_b32_e64 v1, 0, 1.0, s3
	s_delay_alu instid0(VALU_DEP_1)
	v_cvt_f16_f32_e32 v1, v1
	global_store_b16 v[6:7], v1, off
.LBB7_2715:
	s_mov_b32 s6, 0
.LBB7_2716:
	s_delay_alu instid0(SALU_CYCLE_1)
	s_and_not1_b32 vcc_lo, exec_lo, s6
	s_cbranch_vccnz .LBB7_2732
; %bb.2717:
	s_cmp_lt_i32 s0, 2
	s_mov_b32 s6, -1
	s_cbranch_scc1 .LBB7_2727
; %bb.2718:
	s_cmp_lt_i32 s0, 3
	s_cbranch_scc1 .LBB7_2724
; %bb.2719:
	s_cmp_gt_i32 s0, 3
	s_cbranch_scc0 .LBB7_2721
; %bb.2720:
	s_mov_b32 s6, 0
	s_wait_xcnt 0x0
	v_cndmask_b32_e64 v8, 0, 1, s3
	v_mov_b32_e32 v9, s6
	global_store_b64 v[6:7], v[8:9], off
.LBB7_2721:
	s_and_not1_b32 vcc_lo, exec_lo, s6
	s_cbranch_vccnz .LBB7_2723
; %bb.2722:
	s_wait_xcnt 0x0
	v_cndmask_b32_e64 v1, 0, 1, s3
	global_store_b32 v[6:7], v1, off
.LBB7_2723:
	s_mov_b32 s6, 0
.LBB7_2724:
	s_delay_alu instid0(SALU_CYCLE_1)
	s_and_not1_b32 vcc_lo, exec_lo, s6
	s_cbranch_vccnz .LBB7_2726
; %bb.2725:
	s_wait_xcnt 0x0
	v_cndmask_b32_e64 v1, 0, 1, s3
	global_store_b16 v[6:7], v1, off
.LBB7_2726:
	s_mov_b32 s6, 0
.LBB7_2727:
	s_delay_alu instid0(SALU_CYCLE_1)
	s_and_not1_b32 vcc_lo, exec_lo, s6
	s_cbranch_vccnz .LBB7_2732
; %bb.2728:
	s_wait_xcnt 0x0
	v_cndmask_b32_e64 v1, 0, 1, s3
	s_cmp_gt_i32 s0, 0
	s_mov_b32 s0, -1
	s_cbranch_scc0 .LBB7_2730
; %bb.2729:
	s_mov_b32 s0, 0
	global_store_b8 v[6:7], v1, off
.LBB7_2730:
	s_and_not1_b32 vcc_lo, exec_lo, s0
	s_cbranch_vccnz .LBB7_2732
; %bb.2731:
	global_store_b8 v[6:7], v1, off
.LBB7_2732:
.LBB7_2733:
	s_wait_xcnt 0x0
	v_and_b32_e32 v1, 0xff, v18
	v_and_b32_e32 v3, 0xff, v14
	v_mov_b32_e32 v5, 0
	s_and_b32 s3, 0xffff, s1
	s_delay_alu instid0(VALU_DEP_2) | instskip(NEXT) | instid1(VALU_DEP_2)
	v_cmp_ne_u16_e32 vcc_lo, v3, v1
	v_add_nc_u64_e32 v[4:5], s[4:5], v[4:5]
	s_xor_b32 s6, s2, vcc_lo
	s_cmp_lt_i32 s3, 11
	s_cbranch_scc1 .LBB7_2811
; %bb.2734:
	s_mov_b32 s12, -1
	s_mov_b32 s7, 0
	s_cmp_gt_i32 s3, 25
	s_mov_b32 s11, 0
	s_mov_b32 s0, 0
	s_cbranch_scc0 .LBB7_2767
; %bb.2735:
	s_cmp_gt_i32 s3, 28
	s_cbranch_scc0 .LBB7_2750
; %bb.2736:
	s_cmp_gt_i32 s3, 43
	;; [unrolled: 3-line block ×3, first 2 shown]
	s_cbranch_scc0 .LBB7_2740
; %bb.2738:
	s_mov_b32 s0, -1
	s_mov_b32 s12, 0
	s_cmp_eq_u32 s3, 46
	s_cbranch_scc0 .LBB7_2740
; %bb.2739:
	v_cndmask_b32_e64 v1, 0, 1.0, s6
	s_mov_b32 s0, 0
	s_mov_b32 s11, -1
	s_delay_alu instid0(VALU_DEP_1) | instskip(NEXT) | instid1(VALU_DEP_1)
	v_bfe_u32 v3, v1, 16, 1
	v_add3_u32 v1, v1, v3, 0x7fff
	s_delay_alu instid0(VALU_DEP_1)
	v_lshrrev_b32_e32 v1, 16, v1
	global_store_b32 v[4:5], v1, off
.LBB7_2740:
	s_and_b32 vcc_lo, exec_lo, s12
	s_cbranch_vccz .LBB7_2745
; %bb.2741:
	s_cmp_eq_u32 s3, 44
	s_mov_b32 s0, -1
	s_cbranch_scc0 .LBB7_2745
; %bb.2742:
	v_cndmask_b32_e64 v6, 0, 1.0, s6
	v_mov_b32_e32 v3, 0xff
	s_mov_b32 s11, exec_lo
	s_wait_xcnt 0x0
	s_delay_alu instid0(VALU_DEP_2) | instskip(NEXT) | instid1(VALU_DEP_1)
	v_lshrrev_b32_e32 v1, 23, v6
	v_cmpx_ne_u32_e32 0xff, v1
; %bb.2743:
	v_and_b32_e32 v3, 0x400000, v6
	v_and_or_b32 v6, 0x3fffff, v6, v1
	s_delay_alu instid0(VALU_DEP_2) | instskip(NEXT) | instid1(VALU_DEP_2)
	v_cmp_ne_u32_e32 vcc_lo, 0, v3
	v_cmp_ne_u32_e64 s0, 0, v6
	s_and_b32 s0, vcc_lo, s0
	s_delay_alu instid0(SALU_CYCLE_1) | instskip(NEXT) | instid1(VALU_DEP_1)
	v_cndmask_b32_e64 v3, 0, 1, s0
	v_add_nc_u32_e32 v3, v1, v3
; %bb.2744:
	s_or_b32 exec_lo, exec_lo, s11
	s_mov_b32 s0, 0
	s_mov_b32 s11, -1
	global_store_b8 v[4:5], v3, off
.LBB7_2745:
	s_mov_b32 s12, 0
.LBB7_2746:
	s_delay_alu instid0(SALU_CYCLE_1)
	s_and_b32 vcc_lo, exec_lo, s12
	s_cbranch_vccz .LBB7_2749
; %bb.2747:
	s_cmp_eq_u32 s3, 29
	s_mov_b32 s0, -1
	s_cbranch_scc0 .LBB7_2749
; %bb.2748:
	s_mov_b32 s0, 0
	v_cndmask_b32_e64 v6, 0, 1, s6
	v_mov_b32_e32 v7, s0
	s_mov_b32 s11, -1
	global_store_b64 v[4:5], v[6:7], off
.LBB7_2749:
	s_mov_b32 s12, 0
.LBB7_2750:
	s_delay_alu instid0(SALU_CYCLE_1)
	s_and_b32 vcc_lo, exec_lo, s12
	s_cbranch_vccz .LBB7_2766
; %bb.2751:
	s_cmp_lt_i32 s3, 27
	s_mov_b32 s11, -1
	s_cbranch_scc1 .LBB7_2757
; %bb.2752:
	s_cmp_gt_i32 s3, 27
	s_cbranch_scc0 .LBB7_2754
; %bb.2753:
	s_wait_xcnt 0x0
	v_cndmask_b32_e64 v1, 0, 1, s6
	s_mov_b32 s11, 0
	global_store_b32 v[4:5], v1, off
.LBB7_2754:
	s_and_not1_b32 vcc_lo, exec_lo, s11
	s_cbranch_vccnz .LBB7_2756
; %bb.2755:
	s_wait_xcnt 0x0
	v_cndmask_b32_e64 v1, 0, 1, s6
	global_store_b16 v[4:5], v1, off
.LBB7_2756:
	s_mov_b32 s11, 0
.LBB7_2757:
	s_delay_alu instid0(SALU_CYCLE_1)
	s_and_not1_b32 vcc_lo, exec_lo, s11
	s_cbranch_vccnz .LBB7_2765
; %bb.2758:
	s_wait_xcnt 0x0
	v_cndmask_b32_e64 v3, 0, 1.0, s6
	v_mov_b32_e32 v6, 0x80
	s_mov_b32 s11, exec_lo
	s_delay_alu instid0(VALU_DEP_2)
	v_cmpx_gt_u32_e32 0x43800000, v3
	s_cbranch_execz .LBB7_2764
; %bb.2759:
	s_mov_b32 s12, 0
	s_mov_b32 s13, exec_lo
                                        ; implicit-def: $vgpr1
	v_cmpx_lt_u32_e32 0x3bffffff, v3
	s_xor_b32 s13, exec_lo, s13
	s_cbranch_execz .LBB7_3099
; %bb.2760:
	v_bfe_u32 v1, v3, 20, 1
	s_mov_b32 s12, exec_lo
	s_delay_alu instid0(VALU_DEP_1) | instskip(NEXT) | instid1(VALU_DEP_1)
	v_add3_u32 v1, v3, v1, 0x487ffff
                                        ; implicit-def: $vgpr3
	v_lshrrev_b32_e32 v1, 20, v1
	s_and_not1_saveexec_b32 s13, s13
	s_cbranch_execnz .LBB7_3100
.LBB7_2761:
	s_or_b32 exec_lo, exec_lo, s13
	v_mov_b32_e32 v6, 0
	s_and_saveexec_b32 s13, s12
.LBB7_2762:
	v_mov_b32_e32 v6, v1
.LBB7_2763:
	s_or_b32 exec_lo, exec_lo, s13
.LBB7_2764:
	s_delay_alu instid0(SALU_CYCLE_1)
	s_or_b32 exec_lo, exec_lo, s11
	global_store_b8 v[4:5], v6, off
.LBB7_2765:
	s_mov_b32 s11, -1
.LBB7_2766:
	s_mov_b32 s12, 0
.LBB7_2767:
	s_delay_alu instid0(SALU_CYCLE_1)
	s_and_b32 vcc_lo, exec_lo, s12
	s_cbranch_vccz .LBB7_2807
; %bb.2768:
	s_cmp_gt_i32 s3, 22
	s_mov_b32 s7, -1
	s_cbranch_scc0 .LBB7_2800
; %bb.2769:
	s_cmp_lt_i32 s3, 24
	s_cbranch_scc1 .LBB7_2789
; %bb.2770:
	s_cmp_gt_i32 s3, 24
	s_cbranch_scc0 .LBB7_2778
; %bb.2771:
	s_wait_xcnt 0x0
	v_cndmask_b32_e64 v3, 0, 1.0, s6
	v_mov_b32_e32 v6, 0x80
	s_mov_b32 s7, exec_lo
	s_delay_alu instid0(VALU_DEP_2)
	v_cmpx_gt_u32_e32 0x47800000, v3
	s_cbranch_execz .LBB7_2777
; %bb.2772:
	s_mov_b32 s11, 0
	s_mov_b32 s12, exec_lo
                                        ; implicit-def: $vgpr1
	v_cmpx_lt_u32_e32 0x37ffffff, v3
	s_xor_b32 s12, exec_lo, s12
	s_cbranch_execz .LBB7_3102
; %bb.2773:
	v_bfe_u32 v1, v3, 21, 1
	s_mov_b32 s11, exec_lo
	s_delay_alu instid0(VALU_DEP_1) | instskip(NEXT) | instid1(VALU_DEP_1)
	v_add3_u32 v1, v3, v1, 0x88fffff
                                        ; implicit-def: $vgpr3
	v_lshrrev_b32_e32 v1, 21, v1
	s_and_not1_saveexec_b32 s12, s12
	s_cbranch_execnz .LBB7_3103
.LBB7_2774:
	s_or_b32 exec_lo, exec_lo, s12
	v_mov_b32_e32 v6, 0
	s_and_saveexec_b32 s12, s11
.LBB7_2775:
	v_mov_b32_e32 v6, v1
.LBB7_2776:
	s_or_b32 exec_lo, exec_lo, s12
.LBB7_2777:
	s_delay_alu instid0(SALU_CYCLE_1)
	s_or_b32 exec_lo, exec_lo, s7
	s_mov_b32 s7, 0
	global_store_b8 v[4:5], v6, off
.LBB7_2778:
	s_and_b32 vcc_lo, exec_lo, s7
	s_cbranch_vccz .LBB7_2788
; %bb.2779:
	s_wait_xcnt 0x0
	v_cndmask_b32_e64 v3, 0, 1.0, s6
	s_mov_b32 s7, exec_lo
                                        ; implicit-def: $vgpr1
	s_delay_alu instid0(VALU_DEP_1)
	v_cmpx_gt_u32_e32 0x43f00000, v3
	s_xor_b32 s7, exec_lo, s7
	s_cbranch_execz .LBB7_2785
; %bb.2780:
	s_mov_b32 s11, exec_lo
                                        ; implicit-def: $vgpr1
	v_cmpx_lt_u32_e32 0x3c7fffff, v3
	s_xor_b32 s11, exec_lo, s11
; %bb.2781:
	v_bfe_u32 v1, v3, 20, 1
	s_delay_alu instid0(VALU_DEP_1) | instskip(NEXT) | instid1(VALU_DEP_1)
	v_add3_u32 v1, v3, v1, 0x407ffff
	v_and_b32_e32 v3, 0xff00000, v1
	v_lshrrev_b32_e32 v1, 20, v1
	s_delay_alu instid0(VALU_DEP_2) | instskip(NEXT) | instid1(VALU_DEP_2)
	v_cmp_ne_u32_e32 vcc_lo, 0x7f00000, v3
                                        ; implicit-def: $vgpr3
	v_cndmask_b32_e32 v1, 0x7e, v1, vcc_lo
; %bb.2782:
	s_and_not1_saveexec_b32 s11, s11
; %bb.2783:
	v_add_f32_e32 v1, 0x46800000, v3
; %bb.2784:
	s_or_b32 exec_lo, exec_lo, s11
                                        ; implicit-def: $vgpr3
.LBB7_2785:
	s_and_not1_saveexec_b32 s7, s7
; %bb.2786:
	v_mov_b32_e32 v1, 0x7f
	v_cmp_lt_u32_e32 vcc_lo, 0x7f800000, v3
	s_delay_alu instid0(VALU_DEP_2)
	v_cndmask_b32_e32 v1, 0x7e, v1, vcc_lo
; %bb.2787:
	s_or_b32 exec_lo, exec_lo, s7
	global_store_b8 v[4:5], v1, off
.LBB7_2788:
	s_mov_b32 s7, 0
.LBB7_2789:
	s_delay_alu instid0(SALU_CYCLE_1)
	s_and_not1_b32 vcc_lo, exec_lo, s7
	s_cbranch_vccnz .LBB7_2799
; %bb.2790:
	s_wait_xcnt 0x0
	v_cndmask_b32_e64 v3, 0, 1.0, s6
	s_mov_b32 s7, exec_lo
                                        ; implicit-def: $vgpr1
	s_delay_alu instid0(VALU_DEP_1)
	v_cmpx_gt_u32_e32 0x47800000, v3
	s_xor_b32 s7, exec_lo, s7
	s_cbranch_execz .LBB7_2796
; %bb.2791:
	s_mov_b32 s11, exec_lo
                                        ; implicit-def: $vgpr1
	v_cmpx_lt_u32_e32 0x387fffff, v3
	s_xor_b32 s11, exec_lo, s11
; %bb.2792:
	v_bfe_u32 v1, v3, 21, 1
	s_delay_alu instid0(VALU_DEP_1) | instskip(NEXT) | instid1(VALU_DEP_1)
	v_add3_u32 v1, v3, v1, 0x80fffff
                                        ; implicit-def: $vgpr3
	v_lshrrev_b32_e32 v1, 21, v1
; %bb.2793:
	s_and_not1_saveexec_b32 s11, s11
; %bb.2794:
	v_add_f32_e32 v1, 0x43000000, v3
; %bb.2795:
	s_or_b32 exec_lo, exec_lo, s11
                                        ; implicit-def: $vgpr3
.LBB7_2796:
	s_and_not1_saveexec_b32 s7, s7
; %bb.2797:
	v_mov_b32_e32 v1, 0x7f
	v_cmp_lt_u32_e32 vcc_lo, 0x7f800000, v3
	s_delay_alu instid0(VALU_DEP_2)
	v_cndmask_b32_e32 v1, 0x7c, v1, vcc_lo
; %bb.2798:
	s_or_b32 exec_lo, exec_lo, s7
	global_store_b8 v[4:5], v1, off
.LBB7_2799:
	s_mov_b32 s7, 0
	s_mov_b32 s11, -1
.LBB7_2800:
	s_and_not1_b32 vcc_lo, exec_lo, s7
	s_mov_b32 s7, 0
	s_cbranch_vccnz .LBB7_2807
; %bb.2801:
	s_cmp_gt_i32 s3, 14
	s_mov_b32 s7, -1
	s_cbranch_scc0 .LBB7_2805
; %bb.2802:
	s_cmp_eq_u32 s3, 15
	s_mov_b32 s0, -1
	s_cbranch_scc0 .LBB7_2804
; %bb.2803:
	s_wait_xcnt 0x0
	v_cndmask_b32_e64 v1, 0, 1.0, s6
	s_mov_b32 s0, 0
	s_mov_b32 s11, -1
	s_delay_alu instid0(VALU_DEP_1) | instskip(NEXT) | instid1(VALU_DEP_1)
	v_bfe_u32 v3, v1, 16, 1
	v_add3_u32 v1, v1, v3, 0x7fff
	global_store_d16_hi_b16 v[4:5], v1, off
.LBB7_2804:
	s_mov_b32 s7, 0
.LBB7_2805:
	s_delay_alu instid0(SALU_CYCLE_1)
	s_and_b32 vcc_lo, exec_lo, s7
	s_mov_b32 s7, 0
	s_cbranch_vccz .LBB7_2807
; %bb.2806:
	s_cmp_lg_u32 s3, 11
	s_mov_b32 s7, -1
	s_cselect_b32 s0, -1, 0
.LBB7_2807:
	s_delay_alu instid0(SALU_CYCLE_1)
	s_and_b32 vcc_lo, exec_lo, s0
	s_cbranch_vccnz .LBB7_3101
; %bb.2808:
	s_and_not1_b32 vcc_lo, exec_lo, s7
	s_cbranch_vccnz .LBB7_2810
.LBB7_2809:
	s_wait_xcnt 0x0
	v_cndmask_b32_e64 v1, 0, 1, s6
	s_mov_b32 s11, -1
	global_store_b8 v[4:5], v1, off
.LBB7_2810:
	s_mov_b32 s0, 0
	s_branch .LBB7_2812
.LBB7_2811:
	s_mov_b32 s0, -1
	s_mov_b32 s11, 0
.LBB7_2812:
	s_and_b32 vcc_lo, exec_lo, s0
	s_cbranch_vccz .LBB7_2851
; %bb.2813:
	s_cmp_lt_i32 s3, 5
	s_mov_b32 s0, -1
	s_cbranch_scc1 .LBB7_2834
; %bb.2814:
	s_cmp_lt_i32 s3, 8
	s_cbranch_scc1 .LBB7_2824
; %bb.2815:
	s_cmp_lt_i32 s3, 9
	s_cbranch_scc1 .LBB7_2821
; %bb.2816:
	s_cmp_gt_i32 s3, 9
	s_cbranch_scc0 .LBB7_2818
; %bb.2817:
	s_wait_xcnt 0x0
	v_cndmask_b32_e64 v1, 0, 1, s6
	v_mov_b32_e32 v8, 0
	s_mov_b32 s0, 0
	s_delay_alu instid0(VALU_DEP_2) | instskip(NEXT) | instid1(VALU_DEP_2)
	v_cvt_f64_u32_e32 v[6:7], v1
	v_mov_b32_e32 v9, v8
	global_store_b128 v[4:5], v[6:9], off
.LBB7_2818:
	s_and_not1_b32 vcc_lo, exec_lo, s0
	s_cbranch_vccnz .LBB7_2820
; %bb.2819:
	s_wait_xcnt 0x0
	v_cndmask_b32_e64 v6, 0, 1.0, s6
	v_mov_b32_e32 v7, 0
	global_store_b64 v[4:5], v[6:7], off
.LBB7_2820:
	s_mov_b32 s0, 0
.LBB7_2821:
	s_delay_alu instid0(SALU_CYCLE_1)
	s_and_not1_b32 vcc_lo, exec_lo, s0
	s_cbranch_vccnz .LBB7_2823
; %bb.2822:
	s_wait_xcnt 0x0
	v_cndmask_b32_e64 v1, 0, 1.0, s6
	s_delay_alu instid0(VALU_DEP_1) | instskip(NEXT) | instid1(VALU_DEP_1)
	v_cvt_f16_f32_e32 v1, v1
	v_and_b32_e32 v1, 0xffff, v1
	global_store_b32 v[4:5], v1, off
.LBB7_2823:
	s_mov_b32 s0, 0
.LBB7_2824:
	s_delay_alu instid0(SALU_CYCLE_1)
	s_and_not1_b32 vcc_lo, exec_lo, s0
	s_cbranch_vccnz .LBB7_2833
; %bb.2825:
	s_cmp_lt_i32 s3, 6
	s_mov_b32 s0, -1
	s_cbranch_scc1 .LBB7_2831
; %bb.2826:
	s_cmp_gt_i32 s3, 6
	s_cbranch_scc0 .LBB7_2828
; %bb.2827:
	s_wait_xcnt 0x0
	v_cndmask_b32_e64 v1, 0, 1, s6
	s_mov_b32 s0, 0
	s_delay_alu instid0(VALU_DEP_1)
	v_cvt_f64_u32_e32 v[6:7], v1
	global_store_b64 v[4:5], v[6:7], off
.LBB7_2828:
	s_and_not1_b32 vcc_lo, exec_lo, s0
	s_cbranch_vccnz .LBB7_2830
; %bb.2829:
	s_wait_xcnt 0x0
	v_cndmask_b32_e64 v1, 0, 1.0, s6
	global_store_b32 v[4:5], v1, off
.LBB7_2830:
	s_mov_b32 s0, 0
.LBB7_2831:
	s_delay_alu instid0(SALU_CYCLE_1)
	s_and_not1_b32 vcc_lo, exec_lo, s0
	s_cbranch_vccnz .LBB7_2833
; %bb.2832:
	s_wait_xcnt 0x0
	v_cndmask_b32_e64 v1, 0, 1.0, s6
	s_delay_alu instid0(VALU_DEP_1)
	v_cvt_f16_f32_e32 v1, v1
	global_store_b16 v[4:5], v1, off
.LBB7_2833:
	s_mov_b32 s0, 0
.LBB7_2834:
	s_delay_alu instid0(SALU_CYCLE_1)
	s_and_not1_b32 vcc_lo, exec_lo, s0
	s_cbranch_vccnz .LBB7_2850
; %bb.2835:
	s_cmp_lt_i32 s3, 2
	s_mov_b32 s0, -1
	s_cbranch_scc1 .LBB7_2845
; %bb.2836:
	s_cmp_lt_i32 s3, 3
	s_cbranch_scc1 .LBB7_2842
; %bb.2837:
	s_cmp_gt_i32 s3, 3
	s_cbranch_scc0 .LBB7_2839
; %bb.2838:
	s_mov_b32 s0, 0
	s_wait_xcnt 0x0
	v_cndmask_b32_e64 v6, 0, 1, s6
	v_mov_b32_e32 v7, s0
	global_store_b64 v[4:5], v[6:7], off
.LBB7_2839:
	s_and_not1_b32 vcc_lo, exec_lo, s0
	s_cbranch_vccnz .LBB7_2841
; %bb.2840:
	s_wait_xcnt 0x0
	v_cndmask_b32_e64 v1, 0, 1, s6
	global_store_b32 v[4:5], v1, off
.LBB7_2841:
	s_mov_b32 s0, 0
.LBB7_2842:
	s_delay_alu instid0(SALU_CYCLE_1)
	s_and_not1_b32 vcc_lo, exec_lo, s0
	s_cbranch_vccnz .LBB7_2844
; %bb.2843:
	s_wait_xcnt 0x0
	v_cndmask_b32_e64 v1, 0, 1, s6
	global_store_b16 v[4:5], v1, off
.LBB7_2844:
	s_mov_b32 s0, 0
.LBB7_2845:
	s_delay_alu instid0(SALU_CYCLE_1)
	s_and_not1_b32 vcc_lo, exec_lo, s0
	s_cbranch_vccnz .LBB7_2850
; %bb.2846:
	s_wait_xcnt 0x0
	v_cndmask_b32_e64 v1, 0, 1, s6
	s_cmp_gt_i32 s3, 0
	s_mov_b32 s0, -1
	s_cbranch_scc0 .LBB7_2848
; %bb.2847:
	s_mov_b32 s0, 0
	global_store_b8 v[4:5], v1, off
.LBB7_2848:
	s_and_not1_b32 vcc_lo, exec_lo, s0
	s_cbranch_vccnz .LBB7_2850
; %bb.2849:
	global_store_b8 v[4:5], v1, off
.LBB7_2850:
	s_mov_b32 s11, -1
.LBB7_2851:
	s_delay_alu instid0(SALU_CYCLE_1)
	s_and_not1_b32 vcc_lo, exec_lo, s11
	s_cbranch_vccnz .LBB7_3047
; %bb.2852:
	s_wait_xcnt 0x0
	v_and_b32_e32 v1, 0xff, v22
	v_and_b32_e32 v4, 0xff, v20
	v_mov_b32_e32 v3, 0
	s_delay_alu instid0(VALU_DEP_2) | instskip(NEXT) | instid1(VALU_DEP_2)
	v_cmp_ne_u16_e32 vcc_lo, v4, v1
	v_add_nc_u64_e32 v[2:3], s[4:5], v[2:3]
	s_xor_b32 s6, s2, vcc_lo
	s_cmp_lt_i32 s3, 11
	s_cbranch_scc1 .LBB7_2930
; %bb.2853:
	s_mov_b32 s12, -1
	s_mov_b32 s7, 0
	s_cmp_gt_i32 s3, 25
	s_mov_b32 s11, 0
	s_mov_b32 s0, 0
	s_cbranch_scc0 .LBB7_2886
; %bb.2854:
	s_cmp_gt_i32 s3, 28
	s_cbranch_scc0 .LBB7_2869
; %bb.2855:
	s_cmp_gt_i32 s3, 43
	;; [unrolled: 3-line block ×3, first 2 shown]
	s_cbranch_scc0 .LBB7_2859
; %bb.2857:
	s_mov_b32 s0, -1
	s_mov_b32 s12, 0
	s_cmp_eq_u32 s3, 46
	s_cbranch_scc0 .LBB7_2859
; %bb.2858:
	v_cndmask_b32_e64 v1, 0, 1.0, s6
	s_mov_b32 s0, 0
	s_mov_b32 s11, -1
	s_delay_alu instid0(VALU_DEP_1) | instskip(NEXT) | instid1(VALU_DEP_1)
	v_bfe_u32 v4, v1, 16, 1
	v_add3_u32 v1, v1, v4, 0x7fff
	s_delay_alu instid0(VALU_DEP_1)
	v_lshrrev_b32_e32 v1, 16, v1
	global_store_b32 v[2:3], v1, off
.LBB7_2859:
	s_and_b32 vcc_lo, exec_lo, s12
	s_cbranch_vccz .LBB7_2864
; %bb.2860:
	s_cmp_eq_u32 s3, 44
	s_mov_b32 s0, -1
	s_cbranch_scc0 .LBB7_2864
; %bb.2861:
	v_cndmask_b32_e64 v5, 0, 1.0, s6
	s_mov_b32 s11, exec_lo
	s_wait_xcnt 0x0
	s_delay_alu instid0(VALU_DEP_1) | instskip(NEXT) | instid1(VALU_DEP_1)
	v_dual_mov_b32 v4, 0xff :: v_dual_lshrrev_b32 v1, 23, v5
	v_cmpx_ne_u32_e32 0xff, v1
; %bb.2862:
	v_and_b32_e32 v4, 0x400000, v5
	v_and_or_b32 v5, 0x3fffff, v5, v1
	s_delay_alu instid0(VALU_DEP_2) | instskip(NEXT) | instid1(VALU_DEP_2)
	v_cmp_ne_u32_e32 vcc_lo, 0, v4
	v_cmp_ne_u32_e64 s0, 0, v5
	s_and_b32 s0, vcc_lo, s0
	s_delay_alu instid0(SALU_CYCLE_1) | instskip(NEXT) | instid1(VALU_DEP_1)
	v_cndmask_b32_e64 v4, 0, 1, s0
	v_add_nc_u32_e32 v4, v1, v4
; %bb.2863:
	s_or_b32 exec_lo, exec_lo, s11
	s_mov_b32 s0, 0
	s_mov_b32 s11, -1
	global_store_b8 v[2:3], v4, off
.LBB7_2864:
	s_mov_b32 s12, 0
.LBB7_2865:
	s_delay_alu instid0(SALU_CYCLE_1)
	s_and_b32 vcc_lo, exec_lo, s12
	s_cbranch_vccz .LBB7_2868
; %bb.2866:
	s_cmp_eq_u32 s3, 29
	s_mov_b32 s0, -1
	s_cbranch_scc0 .LBB7_2868
; %bb.2867:
	s_mov_b32 s0, 0
	s_wait_xcnt 0x0
	v_cndmask_b32_e64 v4, 0, 1, s6
	v_mov_b32_e32 v5, s0
	s_mov_b32 s11, -1
	global_store_b64 v[2:3], v[4:5], off
.LBB7_2868:
	s_mov_b32 s12, 0
.LBB7_2869:
	s_delay_alu instid0(SALU_CYCLE_1)
	s_and_b32 vcc_lo, exec_lo, s12
	s_cbranch_vccz .LBB7_2885
; %bb.2870:
	s_cmp_lt_i32 s3, 27
	s_mov_b32 s11, -1
	s_cbranch_scc1 .LBB7_2876
; %bb.2871:
	s_cmp_gt_i32 s3, 27
	s_cbranch_scc0 .LBB7_2873
; %bb.2872:
	s_wait_xcnt 0x0
	v_cndmask_b32_e64 v1, 0, 1, s6
	s_mov_b32 s11, 0
	global_store_b32 v[2:3], v1, off
.LBB7_2873:
	s_and_not1_b32 vcc_lo, exec_lo, s11
	s_cbranch_vccnz .LBB7_2875
; %bb.2874:
	s_wait_xcnt 0x0
	v_cndmask_b32_e64 v1, 0, 1, s6
	global_store_b16 v[2:3], v1, off
.LBB7_2875:
	s_mov_b32 s11, 0
.LBB7_2876:
	s_delay_alu instid0(SALU_CYCLE_1)
	s_and_not1_b32 vcc_lo, exec_lo, s11
	s_cbranch_vccnz .LBB7_2884
; %bb.2877:
	s_wait_xcnt 0x0
	v_cndmask_b32_e64 v4, 0, 1.0, s6
	v_mov_b32_e32 v5, 0x80
	s_mov_b32 s11, exec_lo
	s_delay_alu instid0(VALU_DEP_2)
	v_cmpx_gt_u32_e32 0x43800000, v4
	s_cbranch_execz .LBB7_2883
; %bb.2878:
	s_mov_b32 s12, 0
	s_mov_b32 s13, exec_lo
                                        ; implicit-def: $vgpr1
	v_cmpx_lt_u32_e32 0x3bffffff, v4
	s_xor_b32 s13, exec_lo, s13
	s_cbranch_execz .LBB7_3104
; %bb.2879:
	v_bfe_u32 v1, v4, 20, 1
	s_mov_b32 s12, exec_lo
	s_delay_alu instid0(VALU_DEP_1) | instskip(NEXT) | instid1(VALU_DEP_1)
	v_add3_u32 v1, v4, v1, 0x487ffff
                                        ; implicit-def: $vgpr4
	v_lshrrev_b32_e32 v1, 20, v1
	s_and_not1_saveexec_b32 s13, s13
	s_cbranch_execnz .LBB7_3105
.LBB7_2880:
	s_or_b32 exec_lo, exec_lo, s13
	v_mov_b32_e32 v5, 0
	s_and_saveexec_b32 s13, s12
.LBB7_2881:
	v_mov_b32_e32 v5, v1
.LBB7_2882:
	s_or_b32 exec_lo, exec_lo, s13
.LBB7_2883:
	s_delay_alu instid0(SALU_CYCLE_1)
	s_or_b32 exec_lo, exec_lo, s11
	global_store_b8 v[2:3], v5, off
.LBB7_2884:
	s_mov_b32 s11, -1
.LBB7_2885:
	s_mov_b32 s12, 0
.LBB7_2886:
	s_delay_alu instid0(SALU_CYCLE_1)
	s_and_b32 vcc_lo, exec_lo, s12
	s_cbranch_vccz .LBB7_2926
; %bb.2887:
	s_cmp_gt_i32 s3, 22
	s_mov_b32 s7, -1
	s_cbranch_scc0 .LBB7_2919
; %bb.2888:
	s_cmp_lt_i32 s3, 24
	s_cbranch_scc1 .LBB7_2908
; %bb.2889:
	s_cmp_gt_i32 s3, 24
	s_cbranch_scc0 .LBB7_2897
; %bb.2890:
	s_wait_xcnt 0x0
	v_cndmask_b32_e64 v4, 0, 1.0, s6
	v_mov_b32_e32 v5, 0x80
	s_mov_b32 s7, exec_lo
	s_delay_alu instid0(VALU_DEP_2)
	v_cmpx_gt_u32_e32 0x47800000, v4
	s_cbranch_execz .LBB7_2896
; %bb.2891:
	s_mov_b32 s11, 0
	s_mov_b32 s12, exec_lo
                                        ; implicit-def: $vgpr1
	v_cmpx_lt_u32_e32 0x37ffffff, v4
	s_xor_b32 s12, exec_lo, s12
	s_cbranch_execz .LBB7_3107
; %bb.2892:
	v_bfe_u32 v1, v4, 21, 1
	s_mov_b32 s11, exec_lo
	s_delay_alu instid0(VALU_DEP_1) | instskip(NEXT) | instid1(VALU_DEP_1)
	v_add3_u32 v1, v4, v1, 0x88fffff
                                        ; implicit-def: $vgpr4
	v_lshrrev_b32_e32 v1, 21, v1
	s_and_not1_saveexec_b32 s12, s12
	s_cbranch_execnz .LBB7_3108
.LBB7_2893:
	s_or_b32 exec_lo, exec_lo, s12
	v_mov_b32_e32 v5, 0
	s_and_saveexec_b32 s12, s11
.LBB7_2894:
	v_mov_b32_e32 v5, v1
.LBB7_2895:
	s_or_b32 exec_lo, exec_lo, s12
.LBB7_2896:
	s_delay_alu instid0(SALU_CYCLE_1)
	s_or_b32 exec_lo, exec_lo, s7
	s_mov_b32 s7, 0
	global_store_b8 v[2:3], v5, off
.LBB7_2897:
	s_and_b32 vcc_lo, exec_lo, s7
	s_cbranch_vccz .LBB7_2907
; %bb.2898:
	s_wait_xcnt 0x0
	v_cndmask_b32_e64 v4, 0, 1.0, s6
	s_mov_b32 s7, exec_lo
                                        ; implicit-def: $vgpr1
	s_delay_alu instid0(VALU_DEP_1)
	v_cmpx_gt_u32_e32 0x43f00000, v4
	s_xor_b32 s7, exec_lo, s7
	s_cbranch_execz .LBB7_2904
; %bb.2899:
	s_mov_b32 s11, exec_lo
                                        ; implicit-def: $vgpr1
	v_cmpx_lt_u32_e32 0x3c7fffff, v4
	s_xor_b32 s11, exec_lo, s11
; %bb.2900:
	v_bfe_u32 v1, v4, 20, 1
	s_delay_alu instid0(VALU_DEP_1) | instskip(NEXT) | instid1(VALU_DEP_1)
	v_add3_u32 v1, v4, v1, 0x407ffff
	v_and_b32_e32 v4, 0xff00000, v1
	v_lshrrev_b32_e32 v1, 20, v1
	s_delay_alu instid0(VALU_DEP_2) | instskip(NEXT) | instid1(VALU_DEP_2)
	v_cmp_ne_u32_e32 vcc_lo, 0x7f00000, v4
                                        ; implicit-def: $vgpr4
	v_cndmask_b32_e32 v1, 0x7e, v1, vcc_lo
; %bb.2901:
	s_and_not1_saveexec_b32 s11, s11
; %bb.2902:
	v_add_f32_e32 v1, 0x46800000, v4
; %bb.2903:
	s_or_b32 exec_lo, exec_lo, s11
                                        ; implicit-def: $vgpr4
.LBB7_2904:
	s_and_not1_saveexec_b32 s7, s7
; %bb.2905:
	v_mov_b32_e32 v1, 0x7f
	v_cmp_lt_u32_e32 vcc_lo, 0x7f800000, v4
	s_delay_alu instid0(VALU_DEP_2)
	v_cndmask_b32_e32 v1, 0x7e, v1, vcc_lo
; %bb.2906:
	s_or_b32 exec_lo, exec_lo, s7
	global_store_b8 v[2:3], v1, off
.LBB7_2907:
	s_mov_b32 s7, 0
.LBB7_2908:
	s_delay_alu instid0(SALU_CYCLE_1)
	s_and_not1_b32 vcc_lo, exec_lo, s7
	s_cbranch_vccnz .LBB7_2918
; %bb.2909:
	s_wait_xcnt 0x0
	v_cndmask_b32_e64 v4, 0, 1.0, s6
	s_mov_b32 s7, exec_lo
                                        ; implicit-def: $vgpr1
	s_delay_alu instid0(VALU_DEP_1)
	v_cmpx_gt_u32_e32 0x47800000, v4
	s_xor_b32 s7, exec_lo, s7
	s_cbranch_execz .LBB7_2915
; %bb.2910:
	s_mov_b32 s11, exec_lo
                                        ; implicit-def: $vgpr1
	v_cmpx_lt_u32_e32 0x387fffff, v4
	s_xor_b32 s11, exec_lo, s11
; %bb.2911:
	v_bfe_u32 v1, v4, 21, 1
	s_delay_alu instid0(VALU_DEP_1) | instskip(NEXT) | instid1(VALU_DEP_1)
	v_add3_u32 v1, v4, v1, 0x80fffff
                                        ; implicit-def: $vgpr4
	v_lshrrev_b32_e32 v1, 21, v1
; %bb.2912:
	s_and_not1_saveexec_b32 s11, s11
; %bb.2913:
	v_add_f32_e32 v1, 0x43000000, v4
; %bb.2914:
	s_or_b32 exec_lo, exec_lo, s11
                                        ; implicit-def: $vgpr4
.LBB7_2915:
	s_and_not1_saveexec_b32 s7, s7
; %bb.2916:
	v_mov_b32_e32 v1, 0x7f
	v_cmp_lt_u32_e32 vcc_lo, 0x7f800000, v4
	s_delay_alu instid0(VALU_DEP_2)
	v_cndmask_b32_e32 v1, 0x7c, v1, vcc_lo
; %bb.2917:
	s_or_b32 exec_lo, exec_lo, s7
	global_store_b8 v[2:3], v1, off
.LBB7_2918:
	s_mov_b32 s7, 0
	s_mov_b32 s11, -1
.LBB7_2919:
	s_and_not1_b32 vcc_lo, exec_lo, s7
	s_mov_b32 s7, 0
	s_cbranch_vccnz .LBB7_2926
; %bb.2920:
	s_cmp_gt_i32 s3, 14
	s_mov_b32 s7, -1
	s_cbranch_scc0 .LBB7_2924
; %bb.2921:
	s_cmp_eq_u32 s3, 15
	s_mov_b32 s0, -1
	s_cbranch_scc0 .LBB7_2923
; %bb.2922:
	s_wait_xcnt 0x0
	v_cndmask_b32_e64 v1, 0, 1.0, s6
	s_mov_b32 s0, 0
	s_mov_b32 s11, -1
	s_delay_alu instid0(VALU_DEP_1) | instskip(NEXT) | instid1(VALU_DEP_1)
	v_bfe_u32 v4, v1, 16, 1
	v_add3_u32 v1, v1, v4, 0x7fff
	global_store_d16_hi_b16 v[2:3], v1, off
.LBB7_2923:
	s_mov_b32 s7, 0
.LBB7_2924:
	s_delay_alu instid0(SALU_CYCLE_1)
	s_and_b32 vcc_lo, exec_lo, s7
	s_mov_b32 s7, 0
	s_cbranch_vccz .LBB7_2926
; %bb.2925:
	s_cmp_lg_u32 s3, 11
	s_mov_b32 s7, -1
	s_cselect_b32 s0, -1, 0
.LBB7_2926:
	s_delay_alu instid0(SALU_CYCLE_1)
	s_and_b32 vcc_lo, exec_lo, s0
	s_cbranch_vccnz .LBB7_3106
; %bb.2927:
	s_and_not1_b32 vcc_lo, exec_lo, s7
	s_cbranch_vccnz .LBB7_2929
.LBB7_2928:
	s_wait_xcnt 0x0
	v_cndmask_b32_e64 v1, 0, 1, s6
	s_mov_b32 s11, -1
	global_store_b8 v[2:3], v1, off
.LBB7_2929:
	s_mov_b32 s0, 0
	s_branch .LBB7_2931
.LBB7_2930:
	s_mov_b32 s0, -1
	s_mov_b32 s11, 0
.LBB7_2931:
	s_and_b32 vcc_lo, exec_lo, s0
	s_cbranch_vccz .LBB7_2970
; %bb.2932:
	s_cmp_lt_i32 s3, 5
	s_mov_b32 s0, -1
	s_cbranch_scc1 .LBB7_2953
; %bb.2933:
	s_cmp_lt_i32 s3, 8
	s_cbranch_scc1 .LBB7_2943
; %bb.2934:
	s_cmp_lt_i32 s3, 9
	s_cbranch_scc1 .LBB7_2940
; %bb.2935:
	s_cmp_gt_i32 s3, 9
	s_cbranch_scc0 .LBB7_2937
; %bb.2936:
	s_wait_xcnt 0x0
	v_cndmask_b32_e64 v1, 0, 1, s6
	v_mov_b32_e32 v6, 0
	s_mov_b32 s0, 0
	s_delay_alu instid0(VALU_DEP_2) | instskip(NEXT) | instid1(VALU_DEP_2)
	v_cvt_f64_u32_e32 v[4:5], v1
	v_mov_b32_e32 v7, v6
	global_store_b128 v[2:3], v[4:7], off
.LBB7_2937:
	s_and_not1_b32 vcc_lo, exec_lo, s0
	s_cbranch_vccnz .LBB7_2939
; %bb.2938:
	s_wait_xcnt 0x0
	v_cndmask_b32_e64 v4, 0, 1.0, s6
	v_mov_b32_e32 v5, 0
	global_store_b64 v[2:3], v[4:5], off
.LBB7_2939:
	s_mov_b32 s0, 0
.LBB7_2940:
	s_delay_alu instid0(SALU_CYCLE_1)
	s_and_not1_b32 vcc_lo, exec_lo, s0
	s_cbranch_vccnz .LBB7_2942
; %bb.2941:
	s_wait_xcnt 0x0
	v_cndmask_b32_e64 v1, 0, 1.0, s6
	s_delay_alu instid0(VALU_DEP_1) | instskip(NEXT) | instid1(VALU_DEP_1)
	v_cvt_f16_f32_e32 v1, v1
	v_and_b32_e32 v1, 0xffff, v1
	global_store_b32 v[2:3], v1, off
.LBB7_2942:
	s_mov_b32 s0, 0
.LBB7_2943:
	s_delay_alu instid0(SALU_CYCLE_1)
	s_and_not1_b32 vcc_lo, exec_lo, s0
	s_cbranch_vccnz .LBB7_2952
; %bb.2944:
	s_cmp_lt_i32 s3, 6
	s_mov_b32 s0, -1
	s_cbranch_scc1 .LBB7_2950
; %bb.2945:
	s_cmp_gt_i32 s3, 6
	s_cbranch_scc0 .LBB7_2947
; %bb.2946:
	s_wait_xcnt 0x0
	v_cndmask_b32_e64 v1, 0, 1, s6
	s_mov_b32 s0, 0
	s_delay_alu instid0(VALU_DEP_1)
	v_cvt_f64_u32_e32 v[4:5], v1
	global_store_b64 v[2:3], v[4:5], off
.LBB7_2947:
	s_and_not1_b32 vcc_lo, exec_lo, s0
	s_cbranch_vccnz .LBB7_2949
; %bb.2948:
	s_wait_xcnt 0x0
	v_cndmask_b32_e64 v1, 0, 1.0, s6
	global_store_b32 v[2:3], v1, off
.LBB7_2949:
	s_mov_b32 s0, 0
.LBB7_2950:
	s_delay_alu instid0(SALU_CYCLE_1)
	s_and_not1_b32 vcc_lo, exec_lo, s0
	s_cbranch_vccnz .LBB7_2952
; %bb.2951:
	s_wait_xcnt 0x0
	v_cndmask_b32_e64 v1, 0, 1.0, s6
	s_delay_alu instid0(VALU_DEP_1)
	v_cvt_f16_f32_e32 v1, v1
	global_store_b16 v[2:3], v1, off
.LBB7_2952:
	s_mov_b32 s0, 0
.LBB7_2953:
	s_delay_alu instid0(SALU_CYCLE_1)
	s_and_not1_b32 vcc_lo, exec_lo, s0
	s_cbranch_vccnz .LBB7_2969
; %bb.2954:
	s_cmp_lt_i32 s3, 2
	s_mov_b32 s0, -1
	s_cbranch_scc1 .LBB7_2964
; %bb.2955:
	s_cmp_lt_i32 s3, 3
	s_cbranch_scc1 .LBB7_2961
; %bb.2956:
	s_cmp_gt_i32 s3, 3
	s_cbranch_scc0 .LBB7_2958
; %bb.2957:
	s_mov_b32 s0, 0
	s_wait_xcnt 0x0
	v_cndmask_b32_e64 v4, 0, 1, s6
	v_mov_b32_e32 v5, s0
	global_store_b64 v[2:3], v[4:5], off
.LBB7_2958:
	s_and_not1_b32 vcc_lo, exec_lo, s0
	s_cbranch_vccnz .LBB7_2960
; %bb.2959:
	s_wait_xcnt 0x0
	v_cndmask_b32_e64 v1, 0, 1, s6
	global_store_b32 v[2:3], v1, off
.LBB7_2960:
	s_mov_b32 s0, 0
.LBB7_2961:
	s_delay_alu instid0(SALU_CYCLE_1)
	s_and_not1_b32 vcc_lo, exec_lo, s0
	s_cbranch_vccnz .LBB7_2963
; %bb.2962:
	s_wait_xcnt 0x0
	v_cndmask_b32_e64 v1, 0, 1, s6
	global_store_b16 v[2:3], v1, off
.LBB7_2963:
	s_mov_b32 s0, 0
.LBB7_2964:
	s_delay_alu instid0(SALU_CYCLE_1)
	s_and_not1_b32 vcc_lo, exec_lo, s0
	s_cbranch_vccnz .LBB7_2969
; %bb.2965:
	s_cmp_gt_i32 s3, 0
	s_mov_b32 s0, -1
	s_cbranch_scc0 .LBB7_2967
; %bb.2966:
	s_wait_xcnt 0x0
	v_cndmask_b32_e64 v1, 0, 1, s6
	s_mov_b32 s0, 0
	global_store_b8 v[2:3], v1, off
.LBB7_2967:
	s_and_not1_b32 vcc_lo, exec_lo, s0
	s_cbranch_vccnz .LBB7_2969
; %bb.2968:
	s_wait_xcnt 0x0
	v_cndmask_b32_e64 v1, 0, 1, s6
	global_store_b8 v[2:3], v1, off
.LBB7_2969:
	s_mov_b32 s11, -1
.LBB7_2970:
	s_delay_alu instid0(SALU_CYCLE_1)
	s_and_not1_b32 vcc_lo, exec_lo, s11
	s_cbranch_vccnz .LBB7_3047
; %bb.2971:
	s_wait_xcnt 0x0
	v_and_b32_e32 v2, 0xff, v10
	v_and_b32_e32 v3, 0xff, v16
	v_mov_b32_e32 v1, 0
	s_delay_alu instid0(VALU_DEP_2) | instskip(NEXT) | instid1(VALU_DEP_2)
	v_cmp_ne_u16_e32 vcc_lo, v3, v2
	v_add_nc_u64_e32 v[2:3], s[4:5], v[0:1]
	s_xor_b32 s4, s2, vcc_lo
	s_cmp_lt_i32 s3, 11
	s_cbranch_scc1 .LBB7_3092
; %bb.2972:
	s_mov_b32 s5, -1
	s_mov_b32 s2, 0
	s_cmp_gt_i32 s3, 25
	s_mov_b32 s0, 0
	s_cbranch_scc0 .LBB7_3005
; %bb.2973:
	s_cmp_gt_i32 s3, 28
	s_cbranch_scc0 .LBB7_2989
; %bb.2974:
	s_cmp_gt_i32 s3, 43
	;; [unrolled: 3-line block ×3, first 2 shown]
	s_cbranch_scc0 .LBB7_2979
; %bb.2976:
	s_cmp_eq_u32 s3, 46
	s_mov_b32 s0, -1
	s_cbranch_scc0 .LBB7_2978
; %bb.2977:
	v_cndmask_b32_e64 v0, 0, 1.0, s4
	s_mov_b32 s0, 0
	s_delay_alu instid0(VALU_DEP_1) | instskip(NEXT) | instid1(VALU_DEP_1)
	v_bfe_u32 v1, v0, 16, 1
	v_add3_u32 v0, v0, v1, 0x7fff
	s_delay_alu instid0(VALU_DEP_1)
	v_lshrrev_b32_e32 v0, 16, v0
	global_store_b32 v[2:3], v0, off
.LBB7_2978:
	s_mov_b32 s5, 0
.LBB7_2979:
	s_delay_alu instid0(SALU_CYCLE_1)
	s_and_b32 vcc_lo, exec_lo, s5
	s_cbranch_vccz .LBB7_2984
; %bb.2980:
	s_cmp_eq_u32 s3, 44
	s_mov_b32 s0, -1
	s_cbranch_scc0 .LBB7_2984
; %bb.2981:
	v_cndmask_b32_e64 v4, 0, 1.0, s4
	s_mov_b32 s5, exec_lo
	s_wait_xcnt 0x0
	s_delay_alu instid0(VALU_DEP_1) | instskip(NEXT) | instid1(VALU_DEP_1)
	v_dual_mov_b32 v1, 0xff :: v_dual_lshrrev_b32 v0, 23, v4
	v_cmpx_ne_u32_e32 0xff, v0
; %bb.2982:
	v_and_b32_e32 v1, 0x400000, v4
	v_and_or_b32 v4, 0x3fffff, v4, v0
	s_delay_alu instid0(VALU_DEP_2) | instskip(NEXT) | instid1(VALU_DEP_2)
	v_cmp_ne_u32_e32 vcc_lo, 0, v1
	v_cmp_ne_u32_e64 s0, 0, v4
	s_and_b32 s0, vcc_lo, s0
	s_delay_alu instid0(SALU_CYCLE_1) | instskip(NEXT) | instid1(VALU_DEP_1)
	v_cndmask_b32_e64 v1, 0, 1, s0
	v_add_nc_u32_e32 v1, v0, v1
; %bb.2983:
	s_or_b32 exec_lo, exec_lo, s5
	s_mov_b32 s0, 0
	global_store_b8 v[2:3], v1, off
.LBB7_2984:
	s_mov_b32 s5, 0
.LBB7_2985:
	s_delay_alu instid0(SALU_CYCLE_1)
	s_and_b32 vcc_lo, exec_lo, s5
	s_cbranch_vccz .LBB7_2988
; %bb.2986:
	s_cmp_eq_u32 s3, 29
	s_mov_b32 s0, -1
	s_cbranch_scc0 .LBB7_2988
; %bb.2987:
	s_mov_b32 s0, 0
	s_wait_xcnt 0x0
	v_cndmask_b32_e64 v0, 0, 1, s4
	v_mov_b32_e32 v1, s0
	global_store_b64 v[2:3], v[0:1], off
.LBB7_2988:
	s_mov_b32 s5, 0
.LBB7_2989:
	s_delay_alu instid0(SALU_CYCLE_1)
	s_and_b32 vcc_lo, exec_lo, s5
	s_cbranch_vccz .LBB7_3004
; %bb.2990:
	s_cmp_lt_i32 s3, 27
	s_mov_b32 s5, -1
	s_cbranch_scc1 .LBB7_2996
; %bb.2991:
	s_wait_xcnt 0x0
	v_cndmask_b32_e64 v0, 0, 1, s4
	s_cmp_gt_i32 s3, 27
	s_cbranch_scc0 .LBB7_2993
; %bb.2992:
	s_mov_b32 s5, 0
	global_store_b32 v[2:3], v0, off
.LBB7_2993:
	s_and_not1_b32 vcc_lo, exec_lo, s5
	s_cbranch_vccnz .LBB7_2995
; %bb.2994:
	global_store_b16 v[2:3], v0, off
.LBB7_2995:
	s_mov_b32 s5, 0
.LBB7_2996:
	s_delay_alu instid0(SALU_CYCLE_1)
	s_and_not1_b32 vcc_lo, exec_lo, s5
	s_cbranch_vccnz .LBB7_3004
; %bb.2997:
	s_wait_xcnt 0x0
	v_cndmask_b32_e64 v1, 0, 1.0, s4
	v_mov_b32_e32 v4, 0x80
	s_mov_b32 s5, exec_lo
	s_delay_alu instid0(VALU_DEP_2)
	v_cmpx_gt_u32_e32 0x43800000, v1
	s_cbranch_execz .LBB7_3003
; %bb.2998:
	s_mov_b32 s6, 0
	s_mov_b32 s7, exec_lo
                                        ; implicit-def: $vgpr0
	v_cmpx_lt_u32_e32 0x3bffffff, v1
	s_xor_b32 s7, exec_lo, s7
	s_cbranch_execz .LBB7_3109
; %bb.2999:
	v_bfe_u32 v0, v1, 20, 1
	s_mov_b32 s6, exec_lo
	s_delay_alu instid0(VALU_DEP_1) | instskip(NEXT) | instid1(VALU_DEP_1)
	v_add3_u32 v0, v1, v0, 0x487ffff
                                        ; implicit-def: $vgpr1
	v_lshrrev_b32_e32 v0, 20, v0
	s_and_not1_saveexec_b32 s7, s7
	s_cbranch_execnz .LBB7_3110
.LBB7_3000:
	s_or_b32 exec_lo, exec_lo, s7
	v_mov_b32_e32 v4, 0
	s_and_saveexec_b32 s7, s6
.LBB7_3001:
	v_mov_b32_e32 v4, v0
.LBB7_3002:
	s_or_b32 exec_lo, exec_lo, s7
.LBB7_3003:
	s_delay_alu instid0(SALU_CYCLE_1)
	s_or_b32 exec_lo, exec_lo, s5
	global_store_b8 v[2:3], v4, off
.LBB7_3004:
	s_mov_b32 s5, 0
.LBB7_3005:
	s_delay_alu instid0(SALU_CYCLE_1)
	s_and_b32 vcc_lo, exec_lo, s5
	s_cbranch_vccz .LBB7_3045
; %bb.3006:
	s_cmp_gt_i32 s3, 22
	s_mov_b32 s2, -1
	s_cbranch_scc0 .LBB7_3038
; %bb.3007:
	s_cmp_lt_i32 s3, 24
	s_cbranch_scc1 .LBB7_3027
; %bb.3008:
	s_cmp_gt_i32 s3, 24
	s_cbranch_scc0 .LBB7_3016
; %bb.3009:
	s_wait_xcnt 0x0
	v_cndmask_b32_e64 v1, 0, 1.0, s4
	v_mov_b32_e32 v4, 0x80
	s_mov_b32 s2, exec_lo
	s_delay_alu instid0(VALU_DEP_2)
	v_cmpx_gt_u32_e32 0x47800000, v1
	s_cbranch_execz .LBB7_3015
; %bb.3010:
	s_mov_b32 s5, 0
	s_mov_b32 s6, exec_lo
                                        ; implicit-def: $vgpr0
	v_cmpx_lt_u32_e32 0x37ffffff, v1
	s_xor_b32 s6, exec_lo, s6
	s_cbranch_execz .LBB7_3112
; %bb.3011:
	v_bfe_u32 v0, v1, 21, 1
	s_mov_b32 s5, exec_lo
	s_delay_alu instid0(VALU_DEP_1) | instskip(NEXT) | instid1(VALU_DEP_1)
	v_add3_u32 v0, v1, v0, 0x88fffff
                                        ; implicit-def: $vgpr1
	v_lshrrev_b32_e32 v0, 21, v0
	s_and_not1_saveexec_b32 s6, s6
	s_cbranch_execnz .LBB7_3113
.LBB7_3012:
	s_or_b32 exec_lo, exec_lo, s6
	v_mov_b32_e32 v4, 0
	s_and_saveexec_b32 s6, s5
.LBB7_3013:
	v_mov_b32_e32 v4, v0
.LBB7_3014:
	s_or_b32 exec_lo, exec_lo, s6
.LBB7_3015:
	s_delay_alu instid0(SALU_CYCLE_1)
	s_or_b32 exec_lo, exec_lo, s2
	s_mov_b32 s2, 0
	global_store_b8 v[2:3], v4, off
.LBB7_3016:
	s_and_b32 vcc_lo, exec_lo, s2
	s_cbranch_vccz .LBB7_3026
; %bb.3017:
	s_wait_xcnt 0x0
	v_cndmask_b32_e64 v1, 0, 1.0, s4
	s_mov_b32 s2, exec_lo
                                        ; implicit-def: $vgpr0
	s_delay_alu instid0(VALU_DEP_1)
	v_cmpx_gt_u32_e32 0x43f00000, v1
	s_xor_b32 s2, exec_lo, s2
	s_cbranch_execz .LBB7_3023
; %bb.3018:
	s_mov_b32 s5, exec_lo
                                        ; implicit-def: $vgpr0
	v_cmpx_lt_u32_e32 0x3c7fffff, v1
	s_xor_b32 s5, exec_lo, s5
; %bb.3019:
	v_bfe_u32 v0, v1, 20, 1
	s_delay_alu instid0(VALU_DEP_1) | instskip(NEXT) | instid1(VALU_DEP_1)
	v_add3_u32 v0, v1, v0, 0x407ffff
	v_and_b32_e32 v1, 0xff00000, v0
	v_lshrrev_b32_e32 v0, 20, v0
	s_delay_alu instid0(VALU_DEP_2) | instskip(NEXT) | instid1(VALU_DEP_2)
	v_cmp_ne_u32_e32 vcc_lo, 0x7f00000, v1
                                        ; implicit-def: $vgpr1
	v_cndmask_b32_e32 v0, 0x7e, v0, vcc_lo
; %bb.3020:
	s_and_not1_saveexec_b32 s5, s5
; %bb.3021:
	v_add_f32_e32 v0, 0x46800000, v1
; %bb.3022:
	s_or_b32 exec_lo, exec_lo, s5
                                        ; implicit-def: $vgpr1
.LBB7_3023:
	s_and_not1_saveexec_b32 s2, s2
; %bb.3024:
	v_mov_b32_e32 v0, 0x7f
	v_cmp_lt_u32_e32 vcc_lo, 0x7f800000, v1
	s_delay_alu instid0(VALU_DEP_2)
	v_cndmask_b32_e32 v0, 0x7e, v0, vcc_lo
; %bb.3025:
	s_or_b32 exec_lo, exec_lo, s2
	global_store_b8 v[2:3], v0, off
.LBB7_3026:
	s_mov_b32 s2, 0
.LBB7_3027:
	s_delay_alu instid0(SALU_CYCLE_1)
	s_and_not1_b32 vcc_lo, exec_lo, s2
	s_cbranch_vccnz .LBB7_3037
; %bb.3028:
	s_wait_xcnt 0x0
	v_cndmask_b32_e64 v1, 0, 1.0, s4
	s_mov_b32 s2, exec_lo
                                        ; implicit-def: $vgpr0
	s_delay_alu instid0(VALU_DEP_1)
	v_cmpx_gt_u32_e32 0x47800000, v1
	s_xor_b32 s2, exec_lo, s2
	s_cbranch_execz .LBB7_3034
; %bb.3029:
	s_mov_b32 s5, exec_lo
                                        ; implicit-def: $vgpr0
	v_cmpx_lt_u32_e32 0x387fffff, v1
	s_xor_b32 s5, exec_lo, s5
; %bb.3030:
	v_bfe_u32 v0, v1, 21, 1
	s_delay_alu instid0(VALU_DEP_1) | instskip(NEXT) | instid1(VALU_DEP_1)
	v_add3_u32 v0, v1, v0, 0x80fffff
                                        ; implicit-def: $vgpr1
	v_lshrrev_b32_e32 v0, 21, v0
; %bb.3031:
	s_and_not1_saveexec_b32 s5, s5
; %bb.3032:
	v_add_f32_e32 v0, 0x43000000, v1
; %bb.3033:
	s_or_b32 exec_lo, exec_lo, s5
                                        ; implicit-def: $vgpr1
.LBB7_3034:
	s_and_not1_saveexec_b32 s2, s2
; %bb.3035:
	v_mov_b32_e32 v0, 0x7f
	v_cmp_lt_u32_e32 vcc_lo, 0x7f800000, v1
	s_delay_alu instid0(VALU_DEP_2)
	v_cndmask_b32_e32 v0, 0x7c, v0, vcc_lo
; %bb.3036:
	s_or_b32 exec_lo, exec_lo, s2
	global_store_b8 v[2:3], v0, off
.LBB7_3037:
	s_mov_b32 s2, 0
.LBB7_3038:
	s_delay_alu instid0(SALU_CYCLE_1)
	s_and_not1_b32 vcc_lo, exec_lo, s2
	s_mov_b32 s2, 0
	s_cbranch_vccnz .LBB7_3045
; %bb.3039:
	s_cmp_gt_i32 s3, 14
	s_mov_b32 s2, -1
	s_cbranch_scc0 .LBB7_3043
; %bb.3040:
	s_cmp_eq_u32 s3, 15
	s_mov_b32 s0, -1
	s_cbranch_scc0 .LBB7_3042
; %bb.3041:
	s_wait_xcnt 0x0
	v_cndmask_b32_e64 v0, 0, 1.0, s4
	s_mov_b32 s0, 0
	s_delay_alu instid0(VALU_DEP_1) | instskip(NEXT) | instid1(VALU_DEP_1)
	v_bfe_u32 v1, v0, 16, 1
	v_add3_u32 v0, v0, v1, 0x7fff
	global_store_d16_hi_b16 v[2:3], v0, off
.LBB7_3042:
	s_mov_b32 s2, 0
.LBB7_3043:
	s_delay_alu instid0(SALU_CYCLE_1)
	s_and_b32 vcc_lo, exec_lo, s2
	s_mov_b32 s2, 0
	s_cbranch_vccz .LBB7_3045
; %bb.3044:
	s_cmp_lg_u32 s3, 11
	s_mov_b32 s2, -1
	s_cselect_b32 s0, -1, 0
.LBB7_3045:
	s_delay_alu instid0(SALU_CYCLE_1)
	s_and_b32 vcc_lo, exec_lo, s0
	s_cbranch_vccnz .LBB7_3111
.LBB7_3046:
	s_mov_b32 s0, 0
	s_branch .LBB7_3048
.LBB7_3047:
	s_mov_b32 s0, 0
	s_wait_xcnt 0x0
	s_mov_b32 s2, 0
                                        ; implicit-def: $sgpr4
                                        ; implicit-def: $vgpr2_vgpr3
                                        ; implicit-def: $sgpr1
.LBB7_3048:
	s_and_not1_b32 s3, s8, exec_lo
	s_and_b32 s5, s10, exec_lo
	s_and_b32 s0, s0, exec_lo
	;; [unrolled: 1-line block ×3, first 2 shown]
	s_or_b32 s8, s3, s5
.LBB7_3049:
	s_wait_xcnt 0x0
	s_or_b32 exec_lo, exec_lo, s9
	s_and_saveexec_b32 s2, s8
	s_cbranch_execz .LBB7_3052
; %bb.3050:
	; divergent unreachable
	s_or_b32 exec_lo, exec_lo, s2
	s_and_saveexec_b32 s2, s30
	s_delay_alu instid0(SALU_CYCLE_1)
	s_xor_b32 s2, exec_lo, s2
	s_cbranch_execnz .LBB7_3053
.LBB7_3051:
	s_or_b32 exec_lo, exec_lo, s2
	s_and_saveexec_b32 s2, s0
	s_cbranch_execnz .LBB7_3054
	s_branch .LBB7_3091
.LBB7_3052:
	s_or_b32 exec_lo, exec_lo, s2
	s_and_saveexec_b32 s2, s30
	s_delay_alu instid0(SALU_CYCLE_1)
	s_xor_b32 s2, exec_lo, s2
	s_cbranch_execz .LBB7_3051
.LBB7_3053:
	v_cndmask_b32_e64 v0, 0, 1, s4
	global_store_b8 v[2:3], v0, off
	s_wait_xcnt 0x0
	s_or_b32 exec_lo, exec_lo, s2
	s_and_saveexec_b32 s2, s0
	s_cbranch_execz .LBB7_3091
.LBB7_3054:
	s_sext_i32_i16 s2, s1
	s_mov_b32 s0, -1
	s_cmp_lt_i32 s2, 5
	s_cbranch_scc1 .LBB7_3075
; %bb.3055:
	s_cmp_lt_i32 s2, 8
	s_cbranch_scc1 .LBB7_3065
; %bb.3056:
	;; [unrolled: 3-line block ×3, first 2 shown]
	s_cmp_gt_i32 s2, 9
	s_cbranch_scc0 .LBB7_3059
; %bb.3058:
	v_cndmask_b32_e64 v0, 0, 1, s4
	v_mov_b32_e32 v6, 0
	s_mov_b32 s0, 0
	s_wait_loadcnt 0x0
	s_delay_alu instid0(VALU_DEP_2) | instskip(NEXT) | instid1(VALU_DEP_2)
	v_cvt_f64_u32_e32 v[4:5], v0
	v_mov_b32_e32 v7, v6
	global_store_b128 v[2:3], v[4:7], off
.LBB7_3059:
	s_and_not1_b32 vcc_lo, exec_lo, s0
	s_cbranch_vccnz .LBB7_3061
; %bb.3060:
	v_cndmask_b32_e64 v0, 0, 1.0, s4
	v_mov_b32_e32 v1, 0
	global_store_b64 v[2:3], v[0:1], off
.LBB7_3061:
	s_mov_b32 s0, 0
.LBB7_3062:
	s_delay_alu instid0(SALU_CYCLE_1)
	s_and_not1_b32 vcc_lo, exec_lo, s0
	s_cbranch_vccnz .LBB7_3064
; %bb.3063:
	s_wait_xcnt 0x0
	v_cndmask_b32_e64 v0, 0, 1.0, s4
	s_delay_alu instid0(VALU_DEP_1) | instskip(NEXT) | instid1(VALU_DEP_1)
	v_cvt_f16_f32_e32 v0, v0
	v_and_b32_e32 v0, 0xffff, v0
	global_store_b32 v[2:3], v0, off
.LBB7_3064:
	s_mov_b32 s0, 0
.LBB7_3065:
	s_delay_alu instid0(SALU_CYCLE_1)
	s_and_not1_b32 vcc_lo, exec_lo, s0
	s_cbranch_vccnz .LBB7_3074
; %bb.3066:
	s_sext_i32_i16 s2, s1
	s_mov_b32 s0, -1
	s_cmp_lt_i32 s2, 6
	s_cbranch_scc1 .LBB7_3072
; %bb.3067:
	s_cmp_gt_i32 s2, 6
	s_cbranch_scc0 .LBB7_3069
; %bb.3068:
	s_wait_xcnt 0x0
	v_cndmask_b32_e64 v0, 0, 1, s4
	s_mov_b32 s0, 0
	s_delay_alu instid0(VALU_DEP_1)
	v_cvt_f64_u32_e32 v[0:1], v0
	global_store_b64 v[2:3], v[0:1], off
.LBB7_3069:
	s_and_not1_b32 vcc_lo, exec_lo, s0
	s_cbranch_vccnz .LBB7_3071
; %bb.3070:
	s_wait_xcnt 0x0
	v_cndmask_b32_e64 v0, 0, 1.0, s4
	global_store_b32 v[2:3], v0, off
.LBB7_3071:
	s_mov_b32 s0, 0
.LBB7_3072:
	s_delay_alu instid0(SALU_CYCLE_1)
	s_and_not1_b32 vcc_lo, exec_lo, s0
	s_cbranch_vccnz .LBB7_3074
; %bb.3073:
	s_wait_xcnt 0x0
	v_cndmask_b32_e64 v0, 0, 1.0, s4
	s_delay_alu instid0(VALU_DEP_1)
	v_cvt_f16_f32_e32 v0, v0
	global_store_b16 v[2:3], v0, off
.LBB7_3074:
	s_mov_b32 s0, 0
.LBB7_3075:
	s_delay_alu instid0(SALU_CYCLE_1)
	s_and_not1_b32 vcc_lo, exec_lo, s0
	s_cbranch_vccnz .LBB7_3091
; %bb.3076:
	s_sext_i32_i16 s2, s1
	s_mov_b32 s0, -1
	s_cmp_lt_i32 s2, 2
	s_cbranch_scc1 .LBB7_3086
; %bb.3077:
	s_cmp_lt_i32 s2, 3
	s_cbranch_scc1 .LBB7_3083
; %bb.3078:
	s_cmp_gt_i32 s2, 3
	s_cbranch_scc0 .LBB7_3080
; %bb.3079:
	s_mov_b32 s0, 0
	s_wait_xcnt 0x0
	v_cndmask_b32_e64 v0, 0, 1, s4
	v_mov_b32_e32 v1, s0
	global_store_b64 v[2:3], v[0:1], off
.LBB7_3080:
	s_and_not1_b32 vcc_lo, exec_lo, s0
	s_cbranch_vccnz .LBB7_3082
; %bb.3081:
	s_wait_xcnt 0x0
	v_cndmask_b32_e64 v0, 0, 1, s4
	global_store_b32 v[2:3], v0, off
.LBB7_3082:
	s_mov_b32 s0, 0
.LBB7_3083:
	s_delay_alu instid0(SALU_CYCLE_1)
	s_and_not1_b32 vcc_lo, exec_lo, s0
	s_cbranch_vccnz .LBB7_3085
; %bb.3084:
	s_wait_xcnt 0x0
	v_cndmask_b32_e64 v0, 0, 1, s4
	global_store_b16 v[2:3], v0, off
.LBB7_3085:
	s_mov_b32 s0, 0
.LBB7_3086:
	s_delay_alu instid0(SALU_CYCLE_1)
	s_and_not1_b32 vcc_lo, exec_lo, s0
	s_cbranch_vccnz .LBB7_3091
; %bb.3087:
	s_sext_i32_i16 s0, s1
	s_delay_alu instid0(SALU_CYCLE_1)
	s_cmp_gt_i32 s0, 0
	s_mov_b32 s0, -1
	s_cbranch_scc0 .LBB7_3089
; %bb.3088:
	s_wait_xcnt 0x0
	v_cndmask_b32_e64 v0, 0, 1, s4
	s_mov_b32 s0, 0
	global_store_b8 v[2:3], v0, off
.LBB7_3089:
	s_and_not1_b32 vcc_lo, exec_lo, s0
	s_cbranch_vccnz .LBB7_3091
; %bb.3090:
	s_wait_xcnt 0x0
	v_cndmask_b32_e64 v0, 0, 1, s4
	global_store_b8 v[2:3], v0, off
	s_endpgm
.LBB7_3091:
	s_endpgm
.LBB7_3092:
	s_mov_b32 s2, 0
	s_mov_b32 s0, -1
	s_branch .LBB7_3048
.LBB7_3093:
	s_or_b32 s10, s10, exec_lo
	s_trap 2
	s_cbranch_execz .LBB7_2563
	s_branch .LBB7_2564
.LBB7_3094:
	s_and_not1_saveexec_b32 s13, s13
	s_cbranch_execz .LBB7_2643
.LBB7_3095:
	v_add_f32_e32 v1, 0x46000000, v3
	s_and_not1_b32 s12, s12, exec_lo
	s_delay_alu instid0(VALU_DEP_1) | instskip(NEXT) | instid1(VALU_DEP_1)
	v_and_b32_e32 v1, 0xff, v1
	v_cmp_ne_u32_e32 vcc_lo, 0, v1
	s_and_b32 s14, vcc_lo, exec_lo
	s_delay_alu instid0(SALU_CYCLE_1)
	s_or_b32 s12, s12, s14
	s_or_b32 exec_lo, exec_lo, s13
	v_mov_b32_e32 v5, 0
	s_and_saveexec_b32 s13, s12
	s_cbranch_execnz .LBB7_2644
	s_branch .LBB7_2645
.LBB7_3096:
	s_or_b32 s10, s10, exec_lo
	s_trap 2
	s_cbranch_execz .LBB7_2691
	s_branch .LBB7_2692
.LBB7_3097:
	s_and_not1_saveexec_b32 s12, s12
	s_cbranch_execz .LBB7_2656
.LBB7_3098:
	v_add_f32_e32 v1, 0x42800000, v3
	s_and_not1_b32 s11, s11, exec_lo
	s_delay_alu instid0(VALU_DEP_1) | instskip(NEXT) | instid1(VALU_DEP_1)
	v_and_b32_e32 v1, 0xff, v1
	v_cmp_ne_u32_e32 vcc_lo, 0, v1
	s_and_b32 s13, vcc_lo, exec_lo
	s_delay_alu instid0(SALU_CYCLE_1)
	s_or_b32 s11, s11, s13
	s_or_b32 exec_lo, exec_lo, s12
	v_mov_b32_e32 v5, 0
	s_and_saveexec_b32 s12, s11
	s_cbranch_execnz .LBB7_2657
	s_branch .LBB7_2658
.LBB7_3099:
	s_and_not1_saveexec_b32 s13, s13
	s_cbranch_execz .LBB7_2761
.LBB7_3100:
	v_add_f32_e32 v1, 0x46000000, v3
	s_and_not1_b32 s12, s12, exec_lo
	s_delay_alu instid0(VALU_DEP_1) | instskip(NEXT) | instid1(VALU_DEP_1)
	v_and_b32_e32 v1, 0xff, v1
	v_cmp_ne_u32_e32 vcc_lo, 0, v1
	s_and_b32 s14, vcc_lo, exec_lo
	s_delay_alu instid0(SALU_CYCLE_1)
	s_or_b32 s12, s12, s14
	s_or_b32 exec_lo, exec_lo, s13
	v_mov_b32_e32 v6, 0
	s_and_saveexec_b32 s13, s12
	s_cbranch_execnz .LBB7_2762
	s_branch .LBB7_2763
.LBB7_3101:
	s_or_b32 s10, s10, exec_lo
	s_trap 2
	s_cbranch_execz .LBB7_2809
	s_branch .LBB7_2810
.LBB7_3102:
	s_and_not1_saveexec_b32 s12, s12
	s_cbranch_execz .LBB7_2774
.LBB7_3103:
	v_add_f32_e32 v1, 0x42800000, v3
	s_and_not1_b32 s11, s11, exec_lo
	s_delay_alu instid0(VALU_DEP_1) | instskip(NEXT) | instid1(VALU_DEP_1)
	v_and_b32_e32 v1, 0xff, v1
	v_cmp_ne_u32_e32 vcc_lo, 0, v1
	s_and_b32 s13, vcc_lo, exec_lo
	s_delay_alu instid0(SALU_CYCLE_1)
	s_or_b32 s11, s11, s13
	s_or_b32 exec_lo, exec_lo, s12
	v_mov_b32_e32 v6, 0
	s_and_saveexec_b32 s12, s11
	s_cbranch_execnz .LBB7_2775
	s_branch .LBB7_2776
.LBB7_3104:
	s_and_not1_saveexec_b32 s13, s13
	s_cbranch_execz .LBB7_2880
.LBB7_3105:
	v_add_f32_e32 v1, 0x46000000, v4
	s_and_not1_b32 s12, s12, exec_lo
	s_delay_alu instid0(VALU_DEP_1) | instskip(NEXT) | instid1(VALU_DEP_1)
	v_and_b32_e32 v1, 0xff, v1
	v_cmp_ne_u32_e32 vcc_lo, 0, v1
	s_and_b32 s14, vcc_lo, exec_lo
	s_delay_alu instid0(SALU_CYCLE_1)
	s_or_b32 s12, s12, s14
	s_or_b32 exec_lo, exec_lo, s13
	v_mov_b32_e32 v5, 0
	s_and_saveexec_b32 s13, s12
	s_cbranch_execnz .LBB7_2881
	s_branch .LBB7_2882
.LBB7_3106:
	s_or_b32 s10, s10, exec_lo
	s_trap 2
	s_cbranch_execz .LBB7_2928
	s_branch .LBB7_2929
.LBB7_3107:
	s_and_not1_saveexec_b32 s12, s12
	s_cbranch_execz .LBB7_2893
.LBB7_3108:
	v_add_f32_e32 v1, 0x42800000, v4
	s_and_not1_b32 s11, s11, exec_lo
	s_delay_alu instid0(VALU_DEP_1) | instskip(NEXT) | instid1(VALU_DEP_1)
	v_and_b32_e32 v1, 0xff, v1
	v_cmp_ne_u32_e32 vcc_lo, 0, v1
	s_and_b32 s13, vcc_lo, exec_lo
	s_delay_alu instid0(SALU_CYCLE_1)
	s_or_b32 s11, s11, s13
	s_or_b32 exec_lo, exec_lo, s12
	v_mov_b32_e32 v5, 0
	s_and_saveexec_b32 s12, s11
	s_cbranch_execnz .LBB7_2894
	s_branch .LBB7_2895
.LBB7_3109:
	s_and_not1_saveexec_b32 s7, s7
	s_cbranch_execz .LBB7_3000
.LBB7_3110:
	v_add_f32_e32 v0, 0x46000000, v1
	s_and_not1_b32 s6, s6, exec_lo
	s_delay_alu instid0(VALU_DEP_1) | instskip(NEXT) | instid1(VALU_DEP_1)
	v_and_b32_e32 v0, 0xff, v0
	v_cmp_ne_u32_e32 vcc_lo, 0, v0
	s_and_b32 s11, vcc_lo, exec_lo
	s_delay_alu instid0(SALU_CYCLE_1)
	s_or_b32 s6, s6, s11
	s_or_b32 exec_lo, exec_lo, s7
	v_mov_b32_e32 v4, 0
	s_and_saveexec_b32 s7, s6
	s_cbranch_execnz .LBB7_3001
	s_branch .LBB7_3002
.LBB7_3111:
	s_mov_b32 s2, 0
	s_or_b32 s10, s10, exec_lo
	s_trap 2
	s_branch .LBB7_3046
.LBB7_3112:
	s_and_not1_saveexec_b32 s6, s6
	s_cbranch_execz .LBB7_3012
.LBB7_3113:
	v_add_f32_e32 v0, 0x42800000, v1
	s_and_not1_b32 s5, s5, exec_lo
	s_delay_alu instid0(VALU_DEP_1) | instskip(NEXT) | instid1(VALU_DEP_1)
	v_and_b32_e32 v0, 0xff, v0
	v_cmp_ne_u32_e32 vcc_lo, 0, v0
	s_and_b32 s7, vcc_lo, exec_lo
	s_delay_alu instid0(SALU_CYCLE_1)
	s_or_b32 s5, s5, s7
	s_or_b32 exec_lo, exec_lo, s6
	v_mov_b32_e32 v4, 0
	s_and_saveexec_b32 s6, s5
	s_cbranch_execnz .LBB7_3013
	s_branch .LBB7_3014
	.section	.rodata,"a",@progbits
	.p2align	6, 0x0
	.amdhsa_kernel _ZN2at6native32elementwise_kernel_manual_unrollILi128ELi4EZNS0_15gpu_kernel_implINS0_13BinaryFunctorIhhbNS0_12_GLOBAL__N_116CompareEqFunctorIhEEEEEEvRNS_18TensorIteratorBaseERKT_EUlibE0_EEviT1_
		.amdhsa_group_segment_fixed_size 0
		.amdhsa_private_segment_fixed_size 0
		.amdhsa_kernarg_size 432
		.amdhsa_user_sgpr_count 2
		.amdhsa_user_sgpr_dispatch_ptr 0
		.amdhsa_user_sgpr_queue_ptr 0
		.amdhsa_user_sgpr_kernarg_segment_ptr 1
		.amdhsa_user_sgpr_dispatch_id 0
		.amdhsa_user_sgpr_kernarg_preload_length 0
		.amdhsa_user_sgpr_kernarg_preload_offset 0
		.amdhsa_user_sgpr_private_segment_size 0
		.amdhsa_wavefront_size32 1
		.amdhsa_uses_dynamic_stack 0
		.amdhsa_enable_private_segment 0
		.amdhsa_system_sgpr_workgroup_id_x 1
		.amdhsa_system_sgpr_workgroup_id_y 0
		.amdhsa_system_sgpr_workgroup_id_z 0
		.amdhsa_system_sgpr_workgroup_info 0
		.amdhsa_system_vgpr_workitem_id 0
		.amdhsa_next_free_vgpr 28
		.amdhsa_next_free_sgpr 62
		.amdhsa_named_barrier_count 0
		.amdhsa_reserve_vcc 1
		.amdhsa_float_round_mode_32 0
		.amdhsa_float_round_mode_16_64 0
		.amdhsa_float_denorm_mode_32 3
		.amdhsa_float_denorm_mode_16_64 3
		.amdhsa_fp16_overflow 0
		.amdhsa_memory_ordered 1
		.amdhsa_forward_progress 1
		.amdhsa_inst_pref_size 255
		.amdhsa_round_robin_scheduling 0
		.amdhsa_exception_fp_ieee_invalid_op 0
		.amdhsa_exception_fp_denorm_src 0
		.amdhsa_exception_fp_ieee_div_zero 0
		.amdhsa_exception_fp_ieee_overflow 0
		.amdhsa_exception_fp_ieee_underflow 0
		.amdhsa_exception_fp_ieee_inexact 0
		.amdhsa_exception_int_div_zero 0
	.end_amdhsa_kernel
	.section	.text._ZN2at6native32elementwise_kernel_manual_unrollILi128ELi4EZNS0_15gpu_kernel_implINS0_13BinaryFunctorIhhbNS0_12_GLOBAL__N_116CompareEqFunctorIhEEEEEEvRNS_18TensorIteratorBaseERKT_EUlibE0_EEviT1_,"axG",@progbits,_ZN2at6native32elementwise_kernel_manual_unrollILi128ELi4EZNS0_15gpu_kernel_implINS0_13BinaryFunctorIhhbNS0_12_GLOBAL__N_116CompareEqFunctorIhEEEEEEvRNS_18TensorIteratorBaseERKT_EUlibE0_EEviT1_,comdat
.Lfunc_end7:
	.size	_ZN2at6native32elementwise_kernel_manual_unrollILi128ELi4EZNS0_15gpu_kernel_implINS0_13BinaryFunctorIhhbNS0_12_GLOBAL__N_116CompareEqFunctorIhEEEEEEvRNS_18TensorIteratorBaseERKT_EUlibE0_EEviT1_, .Lfunc_end7-_ZN2at6native32elementwise_kernel_manual_unrollILi128ELi4EZNS0_15gpu_kernel_implINS0_13BinaryFunctorIhhbNS0_12_GLOBAL__N_116CompareEqFunctorIhEEEEEEvRNS_18TensorIteratorBaseERKT_EUlibE0_EEviT1_
                                        ; -- End function
	.set _ZN2at6native32elementwise_kernel_manual_unrollILi128ELi4EZNS0_15gpu_kernel_implINS0_13BinaryFunctorIhhbNS0_12_GLOBAL__N_116CompareEqFunctorIhEEEEEEvRNS_18TensorIteratorBaseERKT_EUlibE0_EEviT1_.num_vgpr, 28
	.set _ZN2at6native32elementwise_kernel_manual_unrollILi128ELi4EZNS0_15gpu_kernel_implINS0_13BinaryFunctorIhhbNS0_12_GLOBAL__N_116CompareEqFunctorIhEEEEEEvRNS_18TensorIteratorBaseERKT_EUlibE0_EEviT1_.num_agpr, 0
	.set _ZN2at6native32elementwise_kernel_manual_unrollILi128ELi4EZNS0_15gpu_kernel_implINS0_13BinaryFunctorIhhbNS0_12_GLOBAL__N_116CompareEqFunctorIhEEEEEEvRNS_18TensorIteratorBaseERKT_EUlibE0_EEviT1_.numbered_sgpr, 62
	.set _ZN2at6native32elementwise_kernel_manual_unrollILi128ELi4EZNS0_15gpu_kernel_implINS0_13BinaryFunctorIhhbNS0_12_GLOBAL__N_116CompareEqFunctorIhEEEEEEvRNS_18TensorIteratorBaseERKT_EUlibE0_EEviT1_.num_named_barrier, 0
	.set _ZN2at6native32elementwise_kernel_manual_unrollILi128ELi4EZNS0_15gpu_kernel_implINS0_13BinaryFunctorIhhbNS0_12_GLOBAL__N_116CompareEqFunctorIhEEEEEEvRNS_18TensorIteratorBaseERKT_EUlibE0_EEviT1_.private_seg_size, 0
	.set _ZN2at6native32elementwise_kernel_manual_unrollILi128ELi4EZNS0_15gpu_kernel_implINS0_13BinaryFunctorIhhbNS0_12_GLOBAL__N_116CompareEqFunctorIhEEEEEEvRNS_18TensorIteratorBaseERKT_EUlibE0_EEviT1_.uses_vcc, 1
	.set _ZN2at6native32elementwise_kernel_manual_unrollILi128ELi4EZNS0_15gpu_kernel_implINS0_13BinaryFunctorIhhbNS0_12_GLOBAL__N_116CompareEqFunctorIhEEEEEEvRNS_18TensorIteratorBaseERKT_EUlibE0_EEviT1_.uses_flat_scratch, 0
	.set _ZN2at6native32elementwise_kernel_manual_unrollILi128ELi4EZNS0_15gpu_kernel_implINS0_13BinaryFunctorIhhbNS0_12_GLOBAL__N_116CompareEqFunctorIhEEEEEEvRNS_18TensorIteratorBaseERKT_EUlibE0_EEviT1_.has_dyn_sized_stack, 0
	.set _ZN2at6native32elementwise_kernel_manual_unrollILi128ELi4EZNS0_15gpu_kernel_implINS0_13BinaryFunctorIhhbNS0_12_GLOBAL__N_116CompareEqFunctorIhEEEEEEvRNS_18TensorIteratorBaseERKT_EUlibE0_EEviT1_.has_recursion, 0
	.set _ZN2at6native32elementwise_kernel_manual_unrollILi128ELi4EZNS0_15gpu_kernel_implINS0_13BinaryFunctorIhhbNS0_12_GLOBAL__N_116CompareEqFunctorIhEEEEEEvRNS_18TensorIteratorBaseERKT_EUlibE0_EEviT1_.has_indirect_call, 0
	.section	.AMDGPU.csdata,"",@progbits
; Kernel info:
; codeLenInByte = 65252
; TotalNumSgprs: 64
; NumVgprs: 28
; ScratchSize: 0
; MemoryBound: 1
; FloatMode: 240
; IeeeMode: 1
; LDSByteSize: 0 bytes/workgroup (compile time only)
; SGPRBlocks: 0
; VGPRBlocks: 1
; NumSGPRsForWavesPerEU: 64
; NumVGPRsForWavesPerEU: 28
; NamedBarCnt: 0
; Occupancy: 16
; WaveLimiterHint : 1
; COMPUTE_PGM_RSRC2:SCRATCH_EN: 0
; COMPUTE_PGM_RSRC2:USER_SGPR: 2
; COMPUTE_PGM_RSRC2:TRAP_HANDLER: 0
; COMPUTE_PGM_RSRC2:TGID_X_EN: 1
; COMPUTE_PGM_RSRC2:TGID_Y_EN: 0
; COMPUTE_PGM_RSRC2:TGID_Z_EN: 0
; COMPUTE_PGM_RSRC2:TIDIG_COMP_CNT: 0
	.section	.text._ZN2at6native29vectorized_elementwise_kernelILi16ENS0_13AUnaryFunctorIhhbNS0_12_GLOBAL__N_116CompareEqFunctorIhEEEESt5arrayIPcLm2EEEEviT0_T1_,"axG",@progbits,_ZN2at6native29vectorized_elementwise_kernelILi16ENS0_13AUnaryFunctorIhhbNS0_12_GLOBAL__N_116CompareEqFunctorIhEEEESt5arrayIPcLm2EEEEviT0_T1_,comdat
	.globl	_ZN2at6native29vectorized_elementwise_kernelILi16ENS0_13AUnaryFunctorIhhbNS0_12_GLOBAL__N_116CompareEqFunctorIhEEEESt5arrayIPcLm2EEEEviT0_T1_ ; -- Begin function _ZN2at6native29vectorized_elementwise_kernelILi16ENS0_13AUnaryFunctorIhhbNS0_12_GLOBAL__N_116CompareEqFunctorIhEEEESt5arrayIPcLm2EEEEviT0_T1_
	.p2align	8
	.type	_ZN2at6native29vectorized_elementwise_kernelILi16ENS0_13AUnaryFunctorIhhbNS0_12_GLOBAL__N_116CompareEqFunctorIhEEEESt5arrayIPcLm2EEEEviT0_T1_,@function
_ZN2at6native29vectorized_elementwise_kernelILi16ENS0_13AUnaryFunctorIhhbNS0_12_GLOBAL__N_116CompareEqFunctorIhEEEESt5arrayIPcLm2EEEEviT0_T1_: ; @_ZN2at6native29vectorized_elementwise_kernelILi16ENS0_13AUnaryFunctorIhhbNS0_12_GLOBAL__N_116CompareEqFunctorIhEEEESt5arrayIPcLm2EEEEviT0_T1_
; %bb.0:
	s_clause 0x1
	s_load_b96 s[20:22], s[0:1], 0x0
	s_load_b128 s[16:19], s[0:1], 0x10
	s_wait_xcnt 0x0
	s_bfe_u32 s0, ttmp6, 0x4000c
	s_and_b32 s1, ttmp6, 15
	s_add_co_i32 s0, s0, 1
	s_getreg_b32 s2, hwreg(HW_REG_IB_STS2, 6, 4)
	s_mul_i32 s0, ttmp9, s0
	s_delay_alu instid0(SALU_CYCLE_1) | instskip(SKIP_2) | instid1(SALU_CYCLE_1)
	s_add_co_i32 s1, s1, s0
	s_cmp_eq_u32 s2, 0
	s_cselect_b32 s0, ttmp9, s1
	s_lshl_b32 s24, s0, 12
	s_mov_b32 s0, -1
	s_wait_kmcnt 0x0
	s_sub_co_i32 s15, s20, s24
	s_delay_alu instid0(SALU_CYCLE_1)
	s_cmp_gt_i32 s15, 0xfff
	s_cbranch_scc0 .LBB8_2
; %bb.1:
	s_ashr_i32 s25, s24, 31
	s_cmp_eq_u32 s21, 0
	s_add_nc_u64 s[0:1], s[18:19], s[24:25]
	s_cselect_b32 s20, -1, 0
	global_load_b128 v[2:5], v0, s[0:1] scale_offset
	s_and_b32 s14, s22, 0xff
	s_wait_loadcnt 0x0
	v_and_b32_e32 v16, 0xff, v5
	v_dual_lshrrev_b32 v14, 16, v5 :: v_dual_lshrrev_b32 v15, 24, v5
	v_dual_lshrrev_b32 v11, 16, v4 :: v_dual_lshrrev_b32 v12, 24, v4
	v_and_b32_e32 v13, 0xff, v4
	v_lshrrev_b16 v4, 8, v4
	v_cmp_ne_u16_e64 s0, s14, v16
	v_dual_lshrrev_b32 v1, 16, v2 :: v_dual_lshrrev_b32 v6, 24, v2
	v_and_b32_e32 v7, 0xff, v2
	v_lshrrev_b16 v2, 8, v2
	v_cmp_ne_u16_e64 s1, s14, v15
	;; [unrolled: 4-line block ×3, first 2 shown]
	s_xor_b32 s0, s20, s0
	v_cmp_ne_u16_e64 s3, s14, v13
	v_cmp_ne_u16_e64 s8, s14, v2
	v_cndmask_b32_e64 v2, 0, 1, s0
	s_xor_b32 s0, s20, s1
	v_lshrrev_b16 v5, 8, v5
	v_cmp_ne_u16_e64 s4, s14, v12
	v_cmp_ne_u16_e64 s5, s14, v3
	v_cndmask_b32_e64 v3, 0, 1, s0
	s_xor_b32 s0, s20, s2
	v_cmp_ne_u16_e64 s6, s14, v10
	v_cndmask_b32_e64 v4, 0, 1, s0
	s_xor_b32 s0, s20, s3
	v_cmp_ne_u16_e32 vcc_lo, s14, v5
	v_cndmask_b32_e64 v5, 0, 1, s0
	s_xor_b32 s0, s20, s4
	v_and_b32_e32 v8, 0xff, v8
	v_cmp_ne_u16_e64 s7, s14, v9
	v_cmp_ne_u16_e64 s10, s14, v6
	v_cndmask_b32_e64 v6, 0, 1, s0
	s_xor_b32 s0, s20, s5
	v_and_b32_e32 v14, 0xff, v14
	v_cmp_ne_u16_e64 s9, s14, v7
	v_cndmask_b32_e64 v7, 0, 1, s0
	s_xor_b32 s0, s20, s6
	v_and_b32_e32 v11, 0xff, v11
	v_cmp_ne_u16_e64 s13, s14, v8
	v_cndmask_b32_e64 v8, 0, 1, s0
	s_xor_b32 s0, s20, s7
	v_cmp_ne_u16_e64 s11, s14, v14
	v_cndmask_b32_e64 v9, 0, 1, s0
	s_xor_b32 s0, s20, s8
	v_and_b32_e32 v1, 0xff, v1
	v_cndmask_b32_e64 v10, 0, 1, s0
	s_xor_b32 s0, s20, s9
	v_cmp_ne_u16_e64 s12, s14, v11
	v_cndmask_b32_e64 v11, 0, 1, s0
	s_xor_b32 s0, s20, s10
	v_cmp_ne_u16_e64 s14, s14, v1
	v_cndmask_b32_e64 v12, 0, 1, s0
	s_xor_b32 s0, s20, s11
	s_xor_b32 s23, s20, vcc_lo
	v_cndmask_b32_e64 v13, 0, 1, s0
	s_xor_b32 s0, s20, s12
	v_cndmask_b32_e64 v1, 0, 1, s23
	v_cndmask_b32_e64 v14, 0, 1, s0
	s_xor_b32 s0, s20, s13
	v_lshlrev_b16 v3, 8, v3
	v_cndmask_b32_e64 v15, 0, 1, s0
	s_xor_b32 s0, s20, s14
	v_lshlrev_b16 v1, 8, v1
	v_lshlrev_b16 v4, 8, v4
	;; [unrolled: 1-line block ×7, first 2 shown]
	v_cndmask_b32_e64 v16, 0, 1, s0
	v_or_b32_e32 v1, v2, v1
	v_or_b32_e32 v2, v13, v3
	;; [unrolled: 1-line block ×8, first 2 shown]
	v_and_b32_e32 v9, 0xffff, v5
	v_and_b32_e32 v7, 0xffff, v7
	v_lshlrev_b32_e32 v8, 16, v8
	v_dual_lshlrev_b32 v4, 16, v4 :: v_dual_lshlrev_b32 v2, 16, v2
	v_and_b32_e32 v1, 0xffff, v1
	v_lshlrev_b32_e32 v6, 16, v6
	v_and_b32_e32 v3, 0xffff, v3
	s_add_nc_u64 s[2:3], s[16:17], s[24:25]
	s_mov_b32 s0, 0
	v_or_b32_e32 v5, v1, v2
	v_or_b32_e32 v2, v7, v8
	;; [unrolled: 1-line block ×4, first 2 shown]
	global_store_b128 v0, v[2:5], s[2:3] scale_offset
.LBB8_2:
	s_and_not1_b32 vcc_lo, exec_lo, s0
	s_cbranch_vccnz .LBB8_52
; %bb.3:
	v_cmp_gt_i32_e32 vcc_lo, s15, v0
	v_or_b32_e32 v1, 0x100, v0
	v_dual_mov_b32 v10, 0 :: v_dual_bitop2_b32 v6, s24, v0 bitop3:0x54
	v_dual_mov_b32 v14, 0 :: v_dual_mov_b32 v18, 0
	v_dual_mov_b32 v16, 0 :: v_dual_mov_b32 v7, 0
	;; [unrolled: 1-line block ×5, first 2 shown]
	s_wait_xcnt 0x0
	v_dual_mov_b32 v20, 0 :: v_dual_mov_b32 v4, 0
	v_dual_mov_b32 v3, 0 :: v_dual_mov_b32 v13, 0
	v_mov_b32_e32 v15, 0
	s_and_saveexec_b32 s1, vcc_lo
	s_cbranch_execz .LBB8_35
; %bb.4:
	global_load_u8 v15, v6, s[18:19]
	v_dual_mov_b32 v13, 0 :: v_dual_mov_b32 v3, 0
	v_dual_mov_b32 v4, 0 :: v_dual_mov_b32 v20, 0
	;; [unrolled: 1-line block ×7, first 2 shown]
	v_mov_b32_e32 v10, 0
	s_mov_b32 s2, exec_lo
	s_wait_xcnt 0x0
	v_cmpx_gt_u32_e64 s15, v1
	s_cbranch_execz .LBB8_34
; %bb.5:
	v_dual_mov_b32 v3, 0 :: v_dual_add_nc_u32 v2, s24, v0
	v_or_b32_e32 v4, 0x200, v0
	v_dual_mov_b32 v19, 0 :: v_dual_mov_b32 v17, 0
	global_load_u8 v13, v2, s[18:19] offset:256
	v_mov_b32_e32 v20, 0
	v_cmp_gt_u32_e64 s0, s15, v4
	v_dual_mov_b32 v4, 0 :: v_dual_mov_b32 v12, 0
	v_dual_mov_b32 v11, 0 :: v_dual_mov_b32 v9, 0
	;; [unrolled: 1-line block ×5, first 2 shown]
	s_wait_xcnt 0x0
	s_and_saveexec_b32 s3, s0
	s_cbranch_execz .LBB8_33
; %bb.6:
	v_add_nc_u64_e32 v[4:5], s[18:19], v[2:3]
	v_or_b32_e32 v7, 0x300, v0
	v_dual_mov_b32 v20, 0 :: v_dual_mov_b32 v19, 0
	v_dual_mov_b32 v17, 0 :: v_dual_mov_b32 v12, 0
	s_delay_alu instid0(VALU_DEP_3)
	v_cmp_gt_u32_e64 s0, s15, v7
	global_load_u8 v2, v[4:5], off offset:512
	v_dual_mov_b32 v11, 0 :: v_dual_mov_b32 v9, 0
	v_dual_mov_b32 v8, 0 :: v_dual_mov_b32 v7, 0
	;; [unrolled: 1-line block ×4, first 2 shown]
	s_wait_xcnt 0x0
	s_and_saveexec_b32 s4, s0
	s_cbranch_execz .LBB8_32
; %bb.7:
	global_load_u8 v3, v[4:5], off offset:768
	v_or_b32_e32 v7, 0x400, v0
	v_dual_mov_b32 v20, 0 :: v_dual_mov_b32 v19, 0
	v_dual_mov_b32 v17, 0 :: v_dual_mov_b32 v12, 0
	s_delay_alu instid0(VALU_DEP_3)
	v_cmp_gt_u32_e64 s0, s15, v7
	v_dual_mov_b32 v11, 0 :: v_dual_mov_b32 v9, 0
	v_dual_mov_b32 v8, 0 :: v_dual_mov_b32 v7, 0
	v_dual_mov_b32 v16, 0 :: v_dual_mov_b32 v18, 0
	v_dual_mov_b32 v14, 0 :: v_dual_mov_b32 v10, 0
	s_wait_xcnt 0x0
	s_and_saveexec_b32 s5, s0
	s_cbranch_execz .LBB8_31
; %bb.8:
	global_load_u8 v20, v[4:5], off offset:1024
	v_or_b32_e32 v7, 0x500, v0
	v_dual_mov_b32 v19, 0 :: v_dual_mov_b32 v17, 0
	v_dual_mov_b32 v12, 0 :: v_dual_mov_b32 v11, 0
	s_delay_alu instid0(VALU_DEP_3)
	v_cmp_gt_u32_e64 s0, s15, v7
	v_dual_mov_b32 v9, 0 :: v_dual_mov_b32 v8, 0
	v_dual_mov_b32 v7, 0 :: v_dual_mov_b32 v16, 0
	;; [unrolled: 1-line block ×3, first 2 shown]
	v_mov_b32_e32 v10, 0
	s_wait_xcnt 0x0
	s_and_saveexec_b32 s6, s0
	s_cbranch_execz .LBB8_30
; %bb.9:
	global_load_u8 v19, v[4:5], off offset:1280
	v_or_b32_e32 v7, 0x600, v0
	v_dual_mov_b32 v17, 0 :: v_dual_mov_b32 v12, 0
	v_dual_mov_b32 v11, 0 :: v_dual_mov_b32 v9, 0
	s_delay_alu instid0(VALU_DEP_3)
	v_cmp_gt_u32_e64 s0, s15, v7
	v_dual_mov_b32 v8, 0 :: v_dual_mov_b32 v7, 0
	v_dual_mov_b32 v16, 0 :: v_dual_mov_b32 v18, 0
	;; [unrolled: 1-line block ×3, first 2 shown]
	s_wait_xcnt 0x0
	s_and_saveexec_b32 s7, s0
	s_cbranch_execz .LBB8_29
; %bb.10:
	global_load_u8 v17, v[4:5], off offset:1536
	v_or_b32_e32 v7, 0x700, v0
	v_dual_mov_b32 v12, 0 :: v_dual_mov_b32 v11, 0
	v_dual_mov_b32 v9, 0 :: v_dual_mov_b32 v8, 0
	s_delay_alu instid0(VALU_DEP_3)
	v_cmp_gt_u32_e64 s0, s15, v7
	v_dual_mov_b32 v7, 0 :: v_dual_mov_b32 v16, 0
	v_dual_mov_b32 v18, 0 :: v_dual_mov_b32 v14, 0
	v_mov_b32_e32 v10, 0
	s_wait_xcnt 0x0
	s_and_saveexec_b32 s8, s0
	s_cbranch_execz .LBB8_28
; %bb.11:
	global_load_u8 v12, v[4:5], off offset:1792
	v_or_b32_e32 v7, 0x800, v0
	v_dual_mov_b32 v11, 0 :: v_dual_mov_b32 v9, 0
	v_dual_mov_b32 v8, 0 :: v_dual_mov_b32 v16, 0
	v_mov_b32_e32 v18, 0
	s_delay_alu instid0(VALU_DEP_4)
	v_cmp_gt_u32_e64 s0, s15, v7
	v_dual_mov_b32 v7, 0 :: v_dual_mov_b32 v14, 0
	v_mov_b32_e32 v10, 0
	s_wait_xcnt 0x0
	s_and_saveexec_b32 s9, s0
	s_cbranch_execz .LBB8_27
; %bb.12:
	global_load_u8 v11, v[4:5], off offset:2048
	v_or_b32_e32 v7, 0x900, v0
	v_dual_mov_b32 v9, 0 :: v_dual_mov_b32 v8, 0
	v_dual_mov_b32 v18, 0 :: v_dual_mov_b32 v14, 0
	s_delay_alu instid0(VALU_DEP_3)
	v_cmp_gt_u32_e64 s0, s15, v7
	v_dual_mov_b32 v7, 0 :: v_dual_mov_b32 v16, 0
	v_mov_b32_e32 v10, 0
	s_wait_xcnt 0x0
	s_and_saveexec_b32 s10, s0
	s_cbranch_execz .LBB8_26
; %bb.13:
	global_load_u8 v9, v[4:5], off offset:2304
	v_or_b32_e32 v7, 0xa00, v0
	v_dual_mov_b32 v8, 0 :: v_dual_mov_b32 v16, 0
	v_dual_mov_b32 v18, 0 :: v_dual_mov_b32 v14, 0
	v_mov_b32_e32 v10, 0
	s_delay_alu instid0(VALU_DEP_4)
	v_cmp_gt_u32_e64 s0, s15, v7
	v_mov_b32_e32 v7, 0
	s_wait_xcnt 0x0
	s_and_saveexec_b32 s11, s0
	s_cbranch_execz .LBB8_25
; %bb.14:
	global_load_u8 v8, v[4:5], off offset:2560
	v_or_b32_e32 v7, 0xb00, v0
	v_dual_mov_b32 v18, 0 :: v_dual_mov_b32 v14, 0
	v_dual_mov_b32 v10, 0 :: v_dual_mov_b32 v16, 0
	s_delay_alu instid0(VALU_DEP_3)
	v_cmp_gt_u32_e64 s0, s15, v7
	v_mov_b32_e32 v7, 0
	s_wait_xcnt 0x0
	s_and_saveexec_b32 s12, s0
	s_cbranch_execz .LBB8_24
; %bb.15:
	global_load_u8 v7, v[4:5], off offset:2816
	v_or_b32_e32 v10, 0xc00, v0
	v_dual_mov_b32 v16, 0 :: v_dual_mov_b32 v18, 0
	v_mov_b32_e32 v14, 0
	s_delay_alu instid0(VALU_DEP_3)
	v_cmp_gt_u32_e64 s0, s15, v10
	v_mov_b32_e32 v10, 0
	s_wait_xcnt 0x0
	s_and_saveexec_b32 s13, s0
	s_cbranch_execz .LBB8_23
; %bb.16:
	global_load_u8 v16, v[4:5], off offset:3072
	v_or_b32_e32 v10, 0xd00, v0
	v_dual_mov_b32 v18, 0 :: v_dual_mov_b32 v14, 0
	s_delay_alu instid0(VALU_DEP_2)
	v_cmp_gt_u32_e64 s0, s15, v10
	v_mov_b32_e32 v10, 0
	s_wait_xcnt 0x0
	s_and_saveexec_b32 s14, s0
	s_cbranch_execz .LBB8_22
; %bb.17:
	global_load_u8 v18, v[4:5], off offset:3328
	v_or_b32_e32 v10, 0xe00, v0
	v_mov_b32_e32 v14, 0
	s_delay_alu instid0(VALU_DEP_2)
	v_cmp_gt_u32_e64 s0, s15, v10
	v_mov_b32_e32 v10, 0
	s_wait_xcnt 0x0
	s_and_saveexec_b32 s18, s0
	s_cbranch_execz .LBB8_21
; %bb.18:
	global_load_u8 v14, v[4:5], off offset:3584
	v_or_b32_e32 v10, 0xf00, v0
	s_delay_alu instid0(VALU_DEP_1)
	v_cmp_gt_u32_e64 s0, s15, v10
	v_mov_b32_e32 v10, 0
	s_wait_xcnt 0x0
	s_and_saveexec_b32 s19, s0
	s_cbranch_execz .LBB8_20
; %bb.19:
	global_load_u8 v10, v[4:5], off offset:3840
.LBB8_20:
	s_wait_xcnt 0x0
	s_or_b32 exec_lo, exec_lo, s19
.LBB8_21:
	s_delay_alu instid0(SALU_CYCLE_1)
	s_or_b32 exec_lo, exec_lo, s18
.LBB8_22:
	s_delay_alu instid0(SALU_CYCLE_1)
	s_or_b32 exec_lo, exec_lo, s14
.LBB8_23:
	s_delay_alu instid0(SALU_CYCLE_1)
	s_or_b32 exec_lo, exec_lo, s13
.LBB8_24:
	s_delay_alu instid0(SALU_CYCLE_1)
	s_or_b32 exec_lo, exec_lo, s12
.LBB8_25:
	s_delay_alu instid0(SALU_CYCLE_1)
	s_or_b32 exec_lo, exec_lo, s11
.LBB8_26:
	s_delay_alu instid0(SALU_CYCLE_1)
	s_or_b32 exec_lo, exec_lo, s10
.LBB8_27:
	s_delay_alu instid0(SALU_CYCLE_1)
	s_or_b32 exec_lo, exec_lo, s9
.LBB8_28:
	s_delay_alu instid0(SALU_CYCLE_1)
	s_or_b32 exec_lo, exec_lo, s8
.LBB8_29:
	s_delay_alu instid0(SALU_CYCLE_1)
	s_or_b32 exec_lo, exec_lo, s7
.LBB8_30:
	s_delay_alu instid0(SALU_CYCLE_1)
	s_or_b32 exec_lo, exec_lo, s6
.LBB8_31:
	s_delay_alu instid0(SALU_CYCLE_1)
	s_or_b32 exec_lo, exec_lo, s5
.LBB8_32:
	s_delay_alu instid0(SALU_CYCLE_1)
	s_or_b32 exec_lo, exec_lo, s4
	s_wait_loadcnt 0x0
	v_dual_mov_b32 v4, v3 :: v_dual_mov_b32 v3, v2
.LBB8_33:
	s_or_b32 exec_lo, exec_lo, s3
.LBB8_34:
	s_delay_alu instid0(SALU_CYCLE_1)
	s_or_b32 exec_lo, exec_lo, s2
.LBB8_35:
	s_delay_alu instid0(SALU_CYCLE_1)
	s_or_b32 exec_lo, exec_lo, s1
	v_and_b32_e32 v2, 0xff, v20
	s_cmp_eq_u32 s21, 0
	v_and_b32_e32 v5, 0xff, v19
	s_cselect_b32 s4, -1, 0
	s_and_b32 s5, s22, 0xff
	s_wait_loadcnt 0x0
	v_and_b32_e32 v13, 0xff, v13
	v_cmp_ne_u16_e64 s0, s5, v2
	v_and_b32_e32 v2, 0xff, v15
	v_and_b32_e32 v3, 0xff, v3
	;; [unrolled: 1-line block ×3, first 2 shown]
	v_cmp_ne_u16_e64 s2, s5, v13
	s_xor_b32 s0, s4, s0
	v_cmp_ne_u16_e64 s1, s5, v2
	v_cndmask_b32_e64 v15, 0, 1, s0
	v_cmp_ne_u16_e64 s0, s5, v5
	v_or_b32_e32 v5, 0x400, v0
	v_and_b32_e32 v4, 0xff, v4
	v_and_b32_e32 v12, 0xff, v12
	v_bitop3_b16 v2, v15, 0, 0xff00 bitop3:0xf8
	s_xor_b32 s0, s4, s0
	v_and_b32_e32 v16, 0xff, v16
	v_cndmask_b32_e64 v13, 0, 1, s0
	s_xor_b32 s0, s4, s1
	v_and_b32_e32 v2, 0xffff, v2
	v_cndmask_b32_e64 v15, 0, 1, s0
	s_xor_b32 s0, s4, s2
	v_lshlrev_b16 v13, 8, v13
	v_cndmask_b32_e64 v19, 0, 1, s0
	v_cmp_gt_i32_e64 s0, s15, v5
	v_cndmask_b32_e32 v5, 0, v15, vcc_lo
	v_cmp_ne_u16_e64 s1, s5, v17
	v_and_b32_e32 v9, 0xff, v9
	v_lshlrev_b16 v15, 8, v19
	v_cndmask_b32_e64 v2, 0, v2, s0
	v_cmp_ne_u16_e64 s0, s5, v3
	v_or_b32_e32 v3, 0x500, v0
	v_cmp_ne_u16_e64 s3, s5, v9
	v_and_b32_e32 v11, 0xff, v11
	v_bitop3_b16 v13, v2, v13, 0xff bitop3:0xec
	s_xor_b32 s0, s4, s0
	v_and_b32_e32 v8, 0xff, v8
	v_cndmask_b32_e64 v17, 0, 1, s0
	v_cmp_gt_i32_e64 s0, s15, v3
	v_and_b32_e32 v13, 0xffff, v13
	v_or_b32_e32 v15, v5, v15
	v_and_b32_e32 v14, 0xff, v14
	v_and_b32_e32 v7, 0xff, v7
	;; [unrolled: 1-line block ×3, first 2 shown]
	v_cndmask_b32_e64 v2, v2, v13, s0
	s_xor_b32 s0, s4, s1
	v_and_b32_e32 v15, 0xffff, v15
	v_cndmask_b32_e64 v3, 0, 1, s0
	v_cmp_gt_i32_e64 s0, s15, v1
	s_delay_alu instid0(VALU_DEP_1) | instskip(SKIP_2) | instid1(VALU_DEP_3)
	v_dual_lshrrev_b32 v13, 16, v2 :: v_dual_cndmask_b32 v5, v5, v15, s0
	v_cmp_ne_u16_e64 s0, s5, v4
	v_or_b32_e32 v4, 0x200, v0
	v_bitop3_b16 v3, v3, v13, 0xff00 bitop3:0xf8
	s_delay_alu instid0(VALU_DEP_4) | instskip(SKIP_4) | instid1(VALU_DEP_2)
	v_lshl_or_b32 v15, v17, 16, v5
	s_xor_b32 s0, s4, s0
	v_or_b32_e32 v17, 0xd00, v0
	v_cndmask_b32_e64 v13, 0, 1, s0
	v_cmp_gt_i32_e64 s0, s15, v4
	v_lshlrev_b16 v13, 8, v13
	s_delay_alu instid0(VALU_DEP_2) | instskip(SKIP_2) | instid1(VALU_DEP_3)
	v_cndmask_b32_e64 v4, v5, v15, s0
	v_cmp_ne_u16_e64 s0, s5, v12
	v_or_b32_e32 v5, 0x600, v0
	v_dual_lshlrev_b32 v3, 16, v3 :: v_dual_lshrrev_b32 v15, 16, v4
	s_xor_b32 s0, s4, s0
	s_delay_alu instid0(VALU_DEP_2)
	v_cmp_gt_i32_e64 s1, s15, v5
	v_cndmask_b32_e64 v5, 0, 1, s0
	v_cmp_ne_u16_e64 s0, s5, v16
	v_and_or_b32 v3, 0xffff, v2, v3
	v_bitop3_b16 v12, v15, v13, 0xff bitop3:0xec
	v_or_b32_e32 v15, 0x800, v0
	v_lshlrev_b16 v5, 8, v5
	s_xor_b32 s0, s4, s0
	s_delay_alu instid0(SALU_CYCLE_1) | instskip(SKIP_4) | instid1(VALU_DEP_3)
	v_cndmask_b32_e64 v9, 0, 1, s0
	v_cndmask_b32_e64 v2, v2, v3, s1
	v_and_b32_e32 v3, 0xff, v18
	v_cmp_ne_u16_e64 s1, s5, v11
	v_lshlrev_b32_e32 v12, 16, v12
	v_cmp_ne_u16_e64 s2, s5, v3
	v_or_b32_e32 v3, 0xc00, v0
	s_delay_alu instid0(VALU_DEP_3) | instskip(SKIP_1) | instid1(SALU_CYCLE_1)
	v_and_or_b32 v12, 0xffff, v4, v12
	s_xor_b32 s0, s4, s2
	v_cndmask_b32_e64 v11, 0, 1, s0
	s_xor_b32 s0, s4, s1
	v_cmp_gt_i32_e64 s1, s15, v17
	v_cndmask_b32_e64 v16, 0, 1, s0
	v_cmp_gt_i32_e64 s0, s15, v3
	s_delay_alu instid0(VALU_DEP_1) | instskip(SKIP_2) | instid1(SALU_CYCLE_1)
	v_cndmask_b32_e64 v3, 0, v9, s0
	v_lshlrev_b16 v9, 8, v11
	s_xor_b32 s0, s4, s3
	v_cndmask_b32_e64 v11, 0, 1, s0
	v_cmp_gt_i32_e64 s0, s15, v15
	s_delay_alu instid0(VALU_DEP_3) | instskip(SKIP_1) | instid1(VALU_DEP_4)
	v_bitop3_b16 v9, v3, v9, 0xff bitop3:0xec
	v_lshrrev_b32_e32 v13, 16, v2
	v_lshlrev_b16 v11, 8, v11
	s_delay_alu instid0(VALU_DEP_4) | instskip(NEXT) | instid1(VALU_DEP_4)
	v_cndmask_b32_e64 v15, 0, v16, s0
	v_and_b32_e32 v9, 0xffff, v9
	v_cmp_ne_u16_e64 s0, s5, v8
	v_or_b32_e32 v16, 0x900, v0
	v_bitop3_b16 v5, v13, v5, 0xff bitop3:0xec
	v_or_b32_e32 v13, 0x300, v0
	v_cndmask_b32_e64 v3, v3, v9, s1
	v_cmp_ne_u16_e64 s1, s5, v14
	s_xor_b32 s0, s4, s0
	s_delay_alu instid0(SALU_CYCLE_1) | instskip(SKIP_1) | instid1(SALU_CYCLE_1)
	v_cndmask_b32_e64 v9, 0, 1, s0
	s_xor_b32 s0, s4, s1
	v_cndmask_b32_e64 v14, 0, 1, s0
	v_cmp_gt_i32_e64 s0, s15, v16
	s_delay_alu instid0(VALU_DEP_3) | instskip(NEXT) | instid1(VALU_DEP_1)
	v_dual_lshlrev_b32 v9, 16, v9 :: v_dual_bitop2_b32 v11, v15, v11 bitop3:0x54
	v_and_b32_e32 v8, 0xffff, v11
	s_delay_alu instid0(VALU_DEP_1) | instskip(SKIP_1) | instid1(VALU_DEP_2)
	v_cndmask_b32_e64 v8, v15, v8, s0
	v_cmp_ne_u16_e64 s0, s5, v7
	v_and_or_b32 v9, 0x1ff, v8, v9
	v_lshrrev_b32_e32 v11, 16, v3
	s_xor_b32 s0, s4, s0
	s_delay_alu instid0(VALU_DEP_1) | instskip(SKIP_1) | instid1(VALU_DEP_1)
	v_bitop3_b16 v11, v14, v11, 0xff00 bitop3:0xf8
	v_or_b32_e32 v14, 0xa00, v0
	v_cmp_gt_i32_e64 s1, s15, v14
	s_delay_alu instid0(VALU_DEP_1) | instskip(SKIP_3) | instid1(VALU_DEP_3)
	v_dual_cndmask_b32 v8, v8, v9, s1 :: v_dual_lshlrev_b32 v7, 16, v11
	v_or_b32_e32 v9, 0xe00, v0
	v_cmp_ne_u16_e64 s1, s5, v10
	v_cndmask_b32_e64 v10, 0, 1, s0
	v_cmp_gt_i32_e64 s0, s15, v9
	v_lshrrev_b32_e32 v9, 16, v8
	v_and_or_b32 v7, 0xffff, v3, v7
	s_delay_alu instid0(VALU_DEP_4) | instskip(NEXT) | instid1(VALU_DEP_2)
	v_lshlrev_b16 v10, 8, v10
	v_cndmask_b32_e64 v7, v3, v7, s0
	s_xor_b32 s0, s4, s1
	s_delay_alu instid0(VALU_DEP_2)
	v_bitop3_b16 v9, v9, v10, 0xff bitop3:0xec
	v_cndmask_b32_e64 v3, 0, 1, s0
	v_lshlrev_b32_e32 v10, 16, v5
	v_cmp_gt_i32_e64 s0, s15, v13
	v_lshrrev_b32_e32 v11, 16, v7
	v_or_b32_e32 v13, 0xf00, v0
	v_lshlrev_b16 v3, 8, v3
	v_and_or_b32 v10, 0xffff, v2, v10
	v_cndmask_b32_e64 v5, v4, v12, s0
	s_delay_alu instid0(VALU_DEP_3) | instskip(SKIP_3) | instid1(VALU_DEP_4)
	v_bitop3_b16 v3, v11, v3, 0xff bitop3:0xec
	v_lshlrev_b32_e32 v4, 16, v9
	v_or_b32_e32 v9, 0x700, v0
	v_or_b32_e32 v11, 0xb00, v0
	v_lshlrev_b32_e32 v3, 16, v3
	s_delay_alu instid0(VALU_DEP_4) | instskip(NEXT) | instid1(VALU_DEP_4)
	v_and_or_b32 v12, 0xffff, v8, v4
	v_cmp_gt_i32_e64 s0, s15, v9
	s_delay_alu instid0(VALU_DEP_3) | instskip(NEXT) | instid1(VALU_DEP_2)
	v_and_or_b32 v14, 0xffff, v7, v3
	v_cndmask_b32_e64 v4, v2, v10, s0
	v_cmp_gt_i32_e64 s0, s15, v11
	s_delay_alu instid0(VALU_DEP_1) | instskip(SKIP_1) | instid1(VALU_DEP_1)
	v_cndmask_b32_e64 v3, v8, v12, s0
	v_cmp_gt_i32_e64 s0, s15, v13
	v_cndmask_b32_e64 v2, v7, v14, s0
	s_and_saveexec_b32 s0, vcc_lo
	s_cbranch_execnz .LBB8_53
; %bb.36:
	s_or_b32 exec_lo, exec_lo, s0
	s_delay_alu instid0(SALU_CYCLE_1)
	s_mov_b32 s0, exec_lo
	v_cmpx_gt_i32_e64 s15, v0
	s_cbranch_execnz .LBB8_54
.LBB8_37:
	s_or_b32 exec_lo, exec_lo, s0
	s_delay_alu instid0(SALU_CYCLE_1)
	s_mov_b32 s0, exec_lo
	v_cmpx_gt_i32_e64 s15, v0
	s_cbranch_execnz .LBB8_55
.LBB8_38:
	s_or_b32 exec_lo, exec_lo, s0
	s_delay_alu instid0(SALU_CYCLE_1)
	s_mov_b32 s0, exec_lo
	v_cmpx_gt_i32_e64 s15, v0
	s_cbranch_execnz .LBB8_56
.LBB8_39:
	s_or_b32 exec_lo, exec_lo, s0
	s_delay_alu instid0(SALU_CYCLE_1)
	s_mov_b32 s0, exec_lo
	v_cmpx_gt_i32_e64 s15, v0
	s_cbranch_execnz .LBB8_57
.LBB8_40:
	s_or_b32 exec_lo, exec_lo, s0
	s_delay_alu instid0(SALU_CYCLE_1)
	s_mov_b32 s0, exec_lo
	v_cmpx_gt_i32_e64 s15, v0
	s_cbranch_execnz .LBB8_58
.LBB8_41:
	s_or_b32 exec_lo, exec_lo, s0
	s_delay_alu instid0(SALU_CYCLE_1)
	s_mov_b32 s0, exec_lo
	v_cmpx_gt_i32_e64 s15, v0
	s_cbranch_execnz .LBB8_59
.LBB8_42:
	s_or_b32 exec_lo, exec_lo, s0
	s_delay_alu instid0(SALU_CYCLE_1)
	s_mov_b32 s0, exec_lo
	v_cmpx_gt_i32_e64 s15, v0
	s_cbranch_execnz .LBB8_60
.LBB8_43:
	s_or_b32 exec_lo, exec_lo, s0
	s_delay_alu instid0(SALU_CYCLE_1)
	s_mov_b32 s0, exec_lo
	v_cmpx_gt_i32_e64 s15, v0
	s_cbranch_execnz .LBB8_61
.LBB8_44:
	s_or_b32 exec_lo, exec_lo, s0
	s_delay_alu instid0(SALU_CYCLE_1)
	s_mov_b32 s0, exec_lo
	v_cmpx_gt_i32_e64 s15, v0
	s_cbranch_execnz .LBB8_62
.LBB8_45:
	s_or_b32 exec_lo, exec_lo, s0
	s_delay_alu instid0(SALU_CYCLE_1)
	s_mov_b32 s0, exec_lo
	v_cmpx_gt_i32_e64 s15, v0
	s_cbranch_execnz .LBB8_63
.LBB8_46:
	s_or_b32 exec_lo, exec_lo, s0
	s_delay_alu instid0(SALU_CYCLE_1)
	s_mov_b32 s0, exec_lo
	v_cmpx_gt_i32_e64 s15, v0
	s_cbranch_execnz .LBB8_64
.LBB8_47:
	s_or_b32 exec_lo, exec_lo, s0
	s_delay_alu instid0(SALU_CYCLE_1)
	s_mov_b32 s0, exec_lo
	v_cmpx_gt_i32_e64 s15, v0
	s_cbranch_execnz .LBB8_65
.LBB8_48:
	s_or_b32 exec_lo, exec_lo, s0
	s_delay_alu instid0(SALU_CYCLE_1)
	s_mov_b32 s0, exec_lo
	v_cmpx_gt_i32_e64 s15, v0
	s_cbranch_execnz .LBB8_66
.LBB8_49:
	s_or_b32 exec_lo, exec_lo, s0
	s_delay_alu instid0(SALU_CYCLE_1)
	s_mov_b32 s0, exec_lo
	v_cmpx_gt_i32_e64 s15, v0
	s_cbranch_execnz .LBB8_67
.LBB8_50:
	s_or_b32 exec_lo, exec_lo, s0
	s_delay_alu instid0(SALU_CYCLE_1)
	s_mov_b32 s0, exec_lo
	v_cmpx_gt_i32_e64 s15, v0
	s_cbranch_execz .LBB8_52
.LBB8_51:
	v_dual_lshrrev_b32 v1, 24, v2 :: v_dual_add_nc_u32 v0, s24, v0
	global_store_b8 v0, v1, s[16:17]
.LBB8_52:
	s_endpgm
.LBB8_53:
	v_mov_b32_e32 v0, v1
	global_store_b8 v6, v5, s[16:17]
	s_wait_xcnt 0x0
	s_or_b32 exec_lo, exec_lo, s0
	s_delay_alu instid0(SALU_CYCLE_1)
	s_mov_b32 s0, exec_lo
	v_cmpx_gt_i32_e64 s15, v0
	s_cbranch_execz .LBB8_37
.LBB8_54:
	v_dual_lshrrev_b32 v1, 8, v5 :: v_dual_add_nc_u32 v6, s24, v0
	v_add_nc_u32_e32 v0, 0x100, v0
	global_store_b8 v6, v1, s[16:17]
	s_wait_xcnt 0x0
	s_or_b32 exec_lo, exec_lo, s0
	s_delay_alu instid0(SALU_CYCLE_1)
	s_mov_b32 s0, exec_lo
	v_cmpx_gt_i32_e64 s15, v0
	s_cbranch_execz .LBB8_38
.LBB8_55:
	v_add_nc_u32_e32 v1, s24, v0
	v_add_nc_u32_e32 v0, 0x100, v0
	global_store_d16_hi_b8 v1, v5, s[16:17]
	s_wait_xcnt 0x0
	s_or_b32 exec_lo, exec_lo, s0
	s_delay_alu instid0(SALU_CYCLE_1)
	s_mov_b32 s0, exec_lo
	v_cmpx_gt_i32_e64 s15, v0
	s_cbranch_execz .LBB8_39
.LBB8_56:
	v_dual_lshrrev_b32 v1, 24, v5 :: v_dual_add_nc_u32 v5, s24, v0
	v_add_nc_u32_e32 v0, 0x100, v0
	global_store_b8 v5, v1, s[16:17]
	s_wait_xcnt 0x0
	s_or_b32 exec_lo, exec_lo, s0
	s_delay_alu instid0(SALU_CYCLE_1)
	s_mov_b32 s0, exec_lo
	v_cmpx_gt_i32_e64 s15, v0
	s_cbranch_execz .LBB8_40
.LBB8_57:
	v_add_nc_u32_e32 v1, s24, v0
	v_add_nc_u32_e32 v0, 0x100, v0
	global_store_b8 v1, v4, s[16:17]
	s_wait_xcnt 0x0
	s_or_b32 exec_lo, exec_lo, s0
	s_delay_alu instid0(SALU_CYCLE_1)
	s_mov_b32 s0, exec_lo
	v_cmpx_gt_i32_e64 s15, v0
	s_cbranch_execz .LBB8_41
.LBB8_58:
	v_lshrrev_b32_e32 v1, 8, v4
	v_add_nc_u32_e32 v5, s24, v0
	v_add_nc_u32_e32 v0, 0x100, v0
	global_store_b8 v5, v1, s[16:17]
	s_wait_xcnt 0x0
	s_or_b32 exec_lo, exec_lo, s0
	s_delay_alu instid0(SALU_CYCLE_1)
	s_mov_b32 s0, exec_lo
	v_cmpx_gt_i32_e64 s15, v0
	s_cbranch_execz .LBB8_42
.LBB8_59:
	v_add_nc_u32_e32 v1, s24, v0
	v_add_nc_u32_e32 v0, 0x100, v0
	global_store_d16_hi_b8 v1, v4, s[16:17]
	s_wait_xcnt 0x0
	s_or_b32 exec_lo, exec_lo, s0
	s_delay_alu instid0(SALU_CYCLE_1)
	s_mov_b32 s0, exec_lo
	v_cmpx_gt_i32_e64 s15, v0
	s_cbranch_execz .LBB8_43
.LBB8_60:
	v_lshrrev_b32_e32 v1, 24, v4
	v_add_nc_u32_e32 v4, s24, v0
	v_add_nc_u32_e32 v0, 0x100, v0
	global_store_b8 v4, v1, s[16:17]
	s_wait_xcnt 0x0
	s_or_b32 exec_lo, exec_lo, s0
	s_delay_alu instid0(SALU_CYCLE_1)
	s_mov_b32 s0, exec_lo
	v_cmpx_gt_i32_e64 s15, v0
	s_cbranch_execz .LBB8_44
.LBB8_61:
	v_add_nc_u32_e32 v1, s24, v0
	v_add_nc_u32_e32 v0, 0x100, v0
	global_store_b8 v1, v3, s[16:17]
	s_wait_xcnt 0x0
	s_or_b32 exec_lo, exec_lo, s0
	s_delay_alu instid0(SALU_CYCLE_1)
	s_mov_b32 s0, exec_lo
	v_cmpx_gt_i32_e64 s15, v0
	s_cbranch_execz .LBB8_45
.LBB8_62:
	v_dual_lshrrev_b32 v1, 8, v3 :: v_dual_add_nc_u32 v4, s24, v0
	v_add_nc_u32_e32 v0, 0x100, v0
	global_store_b8 v4, v1, s[16:17]
	s_wait_xcnt 0x0
	s_or_b32 exec_lo, exec_lo, s0
	s_delay_alu instid0(SALU_CYCLE_1)
	s_mov_b32 s0, exec_lo
	v_cmpx_gt_i32_e64 s15, v0
	s_cbranch_execz .LBB8_46
.LBB8_63:
	v_add_nc_u32_e32 v1, s24, v0
	v_add_nc_u32_e32 v0, 0x100, v0
	global_store_d16_hi_b8 v1, v3, s[16:17]
	s_wait_xcnt 0x0
	s_or_b32 exec_lo, exec_lo, s0
	s_delay_alu instid0(SALU_CYCLE_1)
	s_mov_b32 s0, exec_lo
	v_cmpx_gt_i32_e64 s15, v0
	s_cbranch_execz .LBB8_47
.LBB8_64:
	v_dual_lshrrev_b32 v1, 24, v3 :: v_dual_add_nc_u32 v3, s24, v0
	v_add_nc_u32_e32 v0, 0x100, v0
	global_store_b8 v3, v1, s[16:17]
	s_wait_xcnt 0x0
	s_or_b32 exec_lo, exec_lo, s0
	s_delay_alu instid0(SALU_CYCLE_1)
	s_mov_b32 s0, exec_lo
	v_cmpx_gt_i32_e64 s15, v0
	s_cbranch_execz .LBB8_48
.LBB8_65:
	v_add_nc_u32_e32 v1, s24, v0
	v_add_nc_u32_e32 v0, 0x100, v0
	global_store_b8 v1, v2, s[16:17]
	s_wait_xcnt 0x0
	s_or_b32 exec_lo, exec_lo, s0
	s_delay_alu instid0(SALU_CYCLE_1)
	s_mov_b32 s0, exec_lo
	v_cmpx_gt_i32_e64 s15, v0
	s_cbranch_execz .LBB8_49
.LBB8_66:
	v_dual_lshrrev_b32 v1, 8, v2 :: v_dual_add_nc_u32 v3, s24, v0
	v_add_nc_u32_e32 v0, 0x100, v0
	global_store_b8 v3, v1, s[16:17]
	s_wait_xcnt 0x0
	s_or_b32 exec_lo, exec_lo, s0
	s_delay_alu instid0(SALU_CYCLE_1)
	s_mov_b32 s0, exec_lo
	v_cmpx_gt_i32_e64 s15, v0
	s_cbranch_execz .LBB8_50
.LBB8_67:
	v_add_nc_u32_e32 v1, s24, v0
	v_add_nc_u32_e32 v0, 0x100, v0
	global_store_d16_hi_b8 v1, v2, s[16:17]
	s_wait_xcnt 0x0
	s_or_b32 exec_lo, exec_lo, s0
	s_delay_alu instid0(SALU_CYCLE_1)
	s_mov_b32 s0, exec_lo
	v_cmpx_gt_i32_e64 s15, v0
	s_cbranch_execnz .LBB8_51
	s_branch .LBB8_52
	.section	.rodata,"a",@progbits
	.p2align	6, 0x0
	.amdhsa_kernel _ZN2at6native29vectorized_elementwise_kernelILi16ENS0_13AUnaryFunctorIhhbNS0_12_GLOBAL__N_116CompareEqFunctorIhEEEESt5arrayIPcLm2EEEEviT0_T1_
		.amdhsa_group_segment_fixed_size 0
		.amdhsa_private_segment_fixed_size 0
		.amdhsa_kernarg_size 32
		.amdhsa_user_sgpr_count 2
		.amdhsa_user_sgpr_dispatch_ptr 0
		.amdhsa_user_sgpr_queue_ptr 0
		.amdhsa_user_sgpr_kernarg_segment_ptr 1
		.amdhsa_user_sgpr_dispatch_id 0
		.amdhsa_user_sgpr_kernarg_preload_length 0
		.amdhsa_user_sgpr_kernarg_preload_offset 0
		.amdhsa_user_sgpr_private_segment_size 0
		.amdhsa_wavefront_size32 1
		.amdhsa_uses_dynamic_stack 0
		.amdhsa_enable_private_segment 0
		.amdhsa_system_sgpr_workgroup_id_x 1
		.amdhsa_system_sgpr_workgroup_id_y 0
		.amdhsa_system_sgpr_workgroup_id_z 0
		.amdhsa_system_sgpr_workgroup_info 0
		.amdhsa_system_vgpr_workitem_id 0
		.amdhsa_next_free_vgpr 21
		.amdhsa_next_free_sgpr 26
		.amdhsa_named_barrier_count 0
		.amdhsa_reserve_vcc 1
		.amdhsa_float_round_mode_32 0
		.amdhsa_float_round_mode_16_64 0
		.amdhsa_float_denorm_mode_32 3
		.amdhsa_float_denorm_mode_16_64 3
		.amdhsa_fp16_overflow 0
		.amdhsa_memory_ordered 1
		.amdhsa_forward_progress 1
		.amdhsa_inst_pref_size 38
		.amdhsa_round_robin_scheduling 0
		.amdhsa_exception_fp_ieee_invalid_op 0
		.amdhsa_exception_fp_denorm_src 0
		.amdhsa_exception_fp_ieee_div_zero 0
		.amdhsa_exception_fp_ieee_overflow 0
		.amdhsa_exception_fp_ieee_underflow 0
		.amdhsa_exception_fp_ieee_inexact 0
		.amdhsa_exception_int_div_zero 0
	.end_amdhsa_kernel
	.section	.text._ZN2at6native29vectorized_elementwise_kernelILi16ENS0_13AUnaryFunctorIhhbNS0_12_GLOBAL__N_116CompareEqFunctorIhEEEESt5arrayIPcLm2EEEEviT0_T1_,"axG",@progbits,_ZN2at6native29vectorized_elementwise_kernelILi16ENS0_13AUnaryFunctorIhhbNS0_12_GLOBAL__N_116CompareEqFunctorIhEEEESt5arrayIPcLm2EEEEviT0_T1_,comdat
.Lfunc_end8:
	.size	_ZN2at6native29vectorized_elementwise_kernelILi16ENS0_13AUnaryFunctorIhhbNS0_12_GLOBAL__N_116CompareEqFunctorIhEEEESt5arrayIPcLm2EEEEviT0_T1_, .Lfunc_end8-_ZN2at6native29vectorized_elementwise_kernelILi16ENS0_13AUnaryFunctorIhhbNS0_12_GLOBAL__N_116CompareEqFunctorIhEEEESt5arrayIPcLm2EEEEviT0_T1_
                                        ; -- End function
	.set _ZN2at6native29vectorized_elementwise_kernelILi16ENS0_13AUnaryFunctorIhhbNS0_12_GLOBAL__N_116CompareEqFunctorIhEEEESt5arrayIPcLm2EEEEviT0_T1_.num_vgpr, 21
	.set _ZN2at6native29vectorized_elementwise_kernelILi16ENS0_13AUnaryFunctorIhhbNS0_12_GLOBAL__N_116CompareEqFunctorIhEEEESt5arrayIPcLm2EEEEviT0_T1_.num_agpr, 0
	.set _ZN2at6native29vectorized_elementwise_kernelILi16ENS0_13AUnaryFunctorIhhbNS0_12_GLOBAL__N_116CompareEqFunctorIhEEEESt5arrayIPcLm2EEEEviT0_T1_.numbered_sgpr, 26
	.set _ZN2at6native29vectorized_elementwise_kernelILi16ENS0_13AUnaryFunctorIhhbNS0_12_GLOBAL__N_116CompareEqFunctorIhEEEESt5arrayIPcLm2EEEEviT0_T1_.num_named_barrier, 0
	.set _ZN2at6native29vectorized_elementwise_kernelILi16ENS0_13AUnaryFunctorIhhbNS0_12_GLOBAL__N_116CompareEqFunctorIhEEEESt5arrayIPcLm2EEEEviT0_T1_.private_seg_size, 0
	.set _ZN2at6native29vectorized_elementwise_kernelILi16ENS0_13AUnaryFunctorIhhbNS0_12_GLOBAL__N_116CompareEqFunctorIhEEEESt5arrayIPcLm2EEEEviT0_T1_.uses_vcc, 1
	.set _ZN2at6native29vectorized_elementwise_kernelILi16ENS0_13AUnaryFunctorIhhbNS0_12_GLOBAL__N_116CompareEqFunctorIhEEEESt5arrayIPcLm2EEEEviT0_T1_.uses_flat_scratch, 0
	.set _ZN2at6native29vectorized_elementwise_kernelILi16ENS0_13AUnaryFunctorIhhbNS0_12_GLOBAL__N_116CompareEqFunctorIhEEEESt5arrayIPcLm2EEEEviT0_T1_.has_dyn_sized_stack, 0
	.set _ZN2at6native29vectorized_elementwise_kernelILi16ENS0_13AUnaryFunctorIhhbNS0_12_GLOBAL__N_116CompareEqFunctorIhEEEESt5arrayIPcLm2EEEEviT0_T1_.has_recursion, 0
	.set _ZN2at6native29vectorized_elementwise_kernelILi16ENS0_13AUnaryFunctorIhhbNS0_12_GLOBAL__N_116CompareEqFunctorIhEEEESt5arrayIPcLm2EEEEviT0_T1_.has_indirect_call, 0
	.section	.AMDGPU.csdata,"",@progbits
; Kernel info:
; codeLenInByte = 4792
; TotalNumSgprs: 28
; NumVgprs: 21
; ScratchSize: 0
; MemoryBound: 0
; FloatMode: 240
; IeeeMode: 1
; LDSByteSize: 0 bytes/workgroup (compile time only)
; SGPRBlocks: 0
; VGPRBlocks: 1
; NumSGPRsForWavesPerEU: 28
; NumVGPRsForWavesPerEU: 21
; NamedBarCnt: 0
; Occupancy: 16
; WaveLimiterHint : 0
; COMPUTE_PGM_RSRC2:SCRATCH_EN: 0
; COMPUTE_PGM_RSRC2:USER_SGPR: 2
; COMPUTE_PGM_RSRC2:TRAP_HANDLER: 0
; COMPUTE_PGM_RSRC2:TGID_X_EN: 1
; COMPUTE_PGM_RSRC2:TGID_Y_EN: 0
; COMPUTE_PGM_RSRC2:TGID_Z_EN: 0
; COMPUTE_PGM_RSRC2:TIDIG_COMP_CNT: 0
	.section	.text._ZN2at6native29vectorized_elementwise_kernelILi8ENS0_13AUnaryFunctorIhhbNS0_12_GLOBAL__N_116CompareEqFunctorIhEEEESt5arrayIPcLm2EEEEviT0_T1_,"axG",@progbits,_ZN2at6native29vectorized_elementwise_kernelILi8ENS0_13AUnaryFunctorIhhbNS0_12_GLOBAL__N_116CompareEqFunctorIhEEEESt5arrayIPcLm2EEEEviT0_T1_,comdat
	.globl	_ZN2at6native29vectorized_elementwise_kernelILi8ENS0_13AUnaryFunctorIhhbNS0_12_GLOBAL__N_116CompareEqFunctorIhEEEESt5arrayIPcLm2EEEEviT0_T1_ ; -- Begin function _ZN2at6native29vectorized_elementwise_kernelILi8ENS0_13AUnaryFunctorIhhbNS0_12_GLOBAL__N_116CompareEqFunctorIhEEEESt5arrayIPcLm2EEEEviT0_T1_
	.p2align	8
	.type	_ZN2at6native29vectorized_elementwise_kernelILi8ENS0_13AUnaryFunctorIhhbNS0_12_GLOBAL__N_116CompareEqFunctorIhEEEESt5arrayIPcLm2EEEEviT0_T1_,@function
_ZN2at6native29vectorized_elementwise_kernelILi8ENS0_13AUnaryFunctorIhhbNS0_12_GLOBAL__N_116CompareEqFunctorIhEEEESt5arrayIPcLm2EEEEviT0_T1_: ; @_ZN2at6native29vectorized_elementwise_kernelILi8ENS0_13AUnaryFunctorIhhbNS0_12_GLOBAL__N_116CompareEqFunctorIhEEEESt5arrayIPcLm2EEEEviT0_T1_
; %bb.0:
	s_clause 0x1
	s_load_b96 s[12:14], s[0:1], 0x0
	s_load_b128 s[8:11], s[0:1], 0x10
	s_wait_xcnt 0x0
	s_bfe_u32 s0, ttmp6, 0x4000c
	s_and_b32 s1, ttmp6, 15
	s_add_co_i32 s0, s0, 1
	s_getreg_b32 s2, hwreg(HW_REG_IB_STS2, 6, 4)
	s_mul_i32 s0, ttmp9, s0
	s_delay_alu instid0(SALU_CYCLE_1) | instskip(SKIP_2) | instid1(SALU_CYCLE_1)
	s_add_co_i32 s1, s1, s0
	s_cmp_eq_u32 s2, 0
	s_cselect_b32 s0, ttmp9, s1
	s_lshl_b32 s16, s0, 12
	s_mov_b32 s0, -1
	s_wait_kmcnt 0x0
	s_sub_co_i32 s12, s12, s16
	s_delay_alu instid0(SALU_CYCLE_1)
	s_cmp_gt_i32 s12, 0xfff
	s_cbranch_scc0 .LBB9_2
; %bb.1:
	s_ashr_i32 s17, s16, 31
	s_cmp_eq_u32 s13, 0
	s_add_nc_u64 s[0:1], s[10:11], s[16:17]
	s_cselect_b32 s15, -1, 0
	s_clause 0x1
	global_load_b64 v[2:3], v0, s[0:1] scale_offset
	global_load_b64 v[4:5], v0, s[0:1] offset:2048 scale_offset
	s_and_b32 s18, s14, 0xff
	s_wait_loadcnt 0x1
	v_and_b32_e32 v1, 0xff, v2
	v_dual_lshrrev_b32 v6, 8, v2 :: v_dual_lshrrev_b32 v7, 16, v2
	v_dual_lshrrev_b32 v2, 24, v2 :: v_dual_lshrrev_b32 v9, 8, v3
	v_and_b32_e32 v8, 0xff, v3
	v_dual_lshrrev_b32 v10, 16, v3 :: v_dual_lshrrev_b32 v3, 24, v3
	s_wait_xcnt 0x0
	s_delay_alu instid0(VALU_DEP_3)
	v_cmp_ne_u16_e64 s0, s18, v2
	s_wait_loadcnt 0x0
	v_and_b32_e32 v11, 0xff, v4
	v_cmp_ne_u16_e32 vcc_lo, s18, v1
	v_and_b32_e32 v1, 0xff, v6
	v_cmp_ne_u16_e64 s1, s18, v8
	v_dual_lshrrev_b32 v12, 8, v4 :: v_dual_lshrrev_b32 v13, 16, v4
	v_dual_lshrrev_b32 v4, 24, v4 :: v_dual_lshrrev_b32 v15, 8, v5
	v_and_b32_e32 v14, 0xff, v5
	v_dual_lshrrev_b32 v16, 16, v5 :: v_dual_lshrrev_b32 v5, 24, v5
	v_and_b32_e32 v6, 0xff, v7
	v_and_b32_e32 v2, 0xff, v9
	v_cmp_ne_u16_e64 s2, s18, v3
	s_xor_b32 s0, s15, s0
	v_and_b32_e32 v7, 0xff, v10
	v_cmp_ne_u16_e64 s3, s18, v11
	s_xor_b32 s7, s15, vcc_lo
	v_cmp_ne_u16_e32 vcc_lo, s18, v1
	v_cndmask_b32_e64 v1, 0, 1, s0
	s_xor_b32 s0, s15, s1
	v_and_b32_e32 v3, 0xff, v12
	v_cmp_ne_u16_e64 s4, s18, v4
	v_cmp_ne_u16_e64 s6, s18, v5
	v_cndmask_b32_e64 v5, 0, 1, s7
	v_cmp_ne_u16_e64 s7, s18, v6
	v_cndmask_b32_e64 v6, 0, 1, s0
	v_cmp_ne_u16_e64 s0, s18, v2
	s_xor_b32 s2, s15, s2
	v_and_b32_e32 v8, 0xff, v13
	v_cmp_ne_u16_e64 s5, s18, v14
	v_cmp_ne_u16_e64 s1, s18, v7
	v_cndmask_b32_e64 v2, 0, 1, s2
	s_xor_b32 s2, s15, s3
	v_and_b32_e32 v4, 0xff, v15
	v_cndmask_b32_e64 v7, 0, 1, s2
	v_cmp_ne_u16_e64 s2, s18, v3
	s_xor_b32 s4, s15, s4
	s_xor_b32 s0, s15, s0
	v_cmp_ne_u16_e64 s3, s18, v8
	v_cndmask_b32_e64 v3, 0, 1, s4
	s_xor_b32 s4, s15, s5
	v_cndmask_b32_e64 v11, 0, 1, s0
	s_xor_b32 s0, s15, s1
	v_and_b32_e32 v9, 0xff, v16
	v_cndmask_b32_e64 v8, 0, 1, s4
	v_cmp_ne_u16_e64 s4, s18, v4
	v_cndmask_b32_e64 v12, 0, 1, s0
	s_xor_b32 s0, s15, s2
	s_xor_b32 s6, s15, s6
	v_cndmask_b32_e64 v13, 0, 1, s0
	s_xor_b32 s0, s15, s3
	v_cmp_ne_u16_e64 s5, s18, v9
	v_cndmask_b32_e64 v4, 0, 1, s6
	s_xor_b32 s6, s15, vcc_lo
	v_cndmask_b32_e64 v14, 0, 1, s0
	s_xor_b32 s0, s15, s4
	v_cndmask_b32_e64 v9, 0, 1, s6
	v_cndmask_b32_e64 v15, 0, 1, s0
	v_lshlrev_b16 v3, 8, v3
	s_xor_b32 s6, s15, s7
	s_xor_b32 s0, s15, s5
	v_cndmask_b32_e64 v10, 0, 1, s6
	v_cndmask_b32_e64 v16, 0, 1, s0
	v_lshlrev_b16 v4, 8, v4
	v_lshlrev_b16 v2, 8, v2
	;; [unrolled: 1-line block ×4, first 2 shown]
	v_or_b32_e32 v3, v14, v3
	v_lshlrev_b16 v11, 8, v11
	v_lshlrev_b16 v9, 8, v9
	;; [unrolled: 1-line block ×3, first 2 shown]
	v_or_b32_e32 v4, v16, v4
	v_or_b32_e32 v1, v10, v1
	;; [unrolled: 1-line block ×4, first 2 shown]
	v_lshlrev_b32_e32 v10, 16, v3
	v_or_b32_e32 v3, v6, v11
	v_or_b32_e32 v5, v5, v9
	v_dual_lshlrev_b32 v4, 16, v4 :: v_dual_bitop2_b32 v7, v7, v13 bitop3:0x54
	v_dual_lshlrev_b32 v1, 16, v1 :: v_dual_lshlrev_b32 v2, 16, v2
	v_and_b32_e32 v6, 0xffff, v8
	v_and_b32_e32 v8, 0xffff, v3
	;; [unrolled: 1-line block ×4, first 2 shown]
	s_add_nc_u64 s[2:3], s[8:9], s[16:17]
	v_or_b32_e32 v3, v6, v4
	v_or_b32_e32 v5, v8, v2
	;; [unrolled: 1-line block ×4, first 2 shown]
	s_mov_b32 s0, 0
	s_clause 0x1
	global_store_b64 v0, v[4:5], s[2:3] scale_offset
	global_store_b64 v0, v[2:3], s[2:3] offset:2048 scale_offset
.LBB9_2:
	s_and_not1_b32 vcc_lo, exec_lo, s0
	s_cbranch_vccnz .LBB9_52
; %bb.3:
	v_cmp_gt_i32_e32 vcc_lo, s12, v0
	v_or_b32_e32 v1, 0x100, v0
	v_dual_mov_b32 v10, 0 :: v_dual_bitop2_b32 v6, s16, v0 bitop3:0x54
	v_dual_mov_b32 v14, 0 :: v_dual_mov_b32 v18, 0
	v_dual_mov_b32 v16, 0 :: v_dual_mov_b32 v7, 0
	v_dual_mov_b32 v8, 0 :: v_dual_mov_b32 v9, 0
	v_dual_mov_b32 v11, 0 :: v_dual_mov_b32 v12, 0
	v_dual_mov_b32 v17, 0 :: v_dual_mov_b32 v19, 0
	s_wait_xcnt 0x1
	v_dual_mov_b32 v20, 0 :: v_dual_mov_b32 v4, 0
	s_wait_xcnt 0x0
	v_dual_mov_b32 v3, 0 :: v_dual_mov_b32 v13, 0
	v_mov_b32_e32 v15, 0
	s_and_saveexec_b32 s1, vcc_lo
	s_cbranch_execz .LBB9_35
; %bb.4:
	global_load_u8 v15, v6, s[10:11]
	v_dual_mov_b32 v13, 0 :: v_dual_mov_b32 v3, 0
	v_dual_mov_b32 v4, 0 :: v_dual_mov_b32 v20, 0
	;; [unrolled: 1-line block ×7, first 2 shown]
	v_mov_b32_e32 v10, 0
	s_mov_b32 s2, exec_lo
	s_wait_xcnt 0x0
	v_cmpx_gt_u32_e64 s12, v1
	s_cbranch_execz .LBB9_34
; %bb.5:
	v_dual_mov_b32 v3, 0 :: v_dual_add_nc_u32 v2, s16, v0
	v_or_b32_e32 v4, 0x200, v0
	v_dual_mov_b32 v19, 0 :: v_dual_mov_b32 v17, 0
	global_load_u8 v13, v2, s[10:11] offset:256
	v_mov_b32_e32 v20, 0
	v_cmp_gt_u32_e64 s0, s12, v4
	v_dual_mov_b32 v4, 0 :: v_dual_mov_b32 v12, 0
	v_dual_mov_b32 v11, 0 :: v_dual_mov_b32 v9, 0
	;; [unrolled: 1-line block ×5, first 2 shown]
	s_wait_xcnt 0x0
	s_and_saveexec_b32 s3, s0
	s_cbranch_execz .LBB9_33
; %bb.6:
	v_add_nc_u64_e32 v[4:5], s[10:11], v[2:3]
	v_or_b32_e32 v7, 0x300, v0
	v_dual_mov_b32 v20, 0 :: v_dual_mov_b32 v19, 0
	v_dual_mov_b32 v17, 0 :: v_dual_mov_b32 v12, 0
	s_delay_alu instid0(VALU_DEP_3)
	v_cmp_gt_u32_e64 s0, s12, v7
	global_load_u8 v2, v[4:5], off offset:512
	v_dual_mov_b32 v11, 0 :: v_dual_mov_b32 v9, 0
	v_dual_mov_b32 v8, 0 :: v_dual_mov_b32 v7, 0
	;; [unrolled: 1-line block ×4, first 2 shown]
	s_wait_xcnt 0x0
	s_and_saveexec_b32 s4, s0
	s_cbranch_execz .LBB9_32
; %bb.7:
	global_load_u8 v3, v[4:5], off offset:768
	v_or_b32_e32 v7, 0x400, v0
	v_dual_mov_b32 v20, 0 :: v_dual_mov_b32 v19, 0
	v_dual_mov_b32 v17, 0 :: v_dual_mov_b32 v12, 0
	s_delay_alu instid0(VALU_DEP_3)
	v_cmp_gt_u32_e64 s0, s12, v7
	v_dual_mov_b32 v11, 0 :: v_dual_mov_b32 v9, 0
	v_dual_mov_b32 v8, 0 :: v_dual_mov_b32 v7, 0
	;; [unrolled: 1-line block ×4, first 2 shown]
	s_wait_xcnt 0x0
	s_and_saveexec_b32 s5, s0
	s_cbranch_execz .LBB9_31
; %bb.8:
	global_load_u8 v20, v[4:5], off offset:1024
	v_or_b32_e32 v7, 0x500, v0
	v_dual_mov_b32 v19, 0 :: v_dual_mov_b32 v17, 0
	v_dual_mov_b32 v12, 0 :: v_dual_mov_b32 v11, 0
	s_delay_alu instid0(VALU_DEP_3)
	v_cmp_gt_u32_e64 s0, s12, v7
	v_dual_mov_b32 v9, 0 :: v_dual_mov_b32 v8, 0
	v_dual_mov_b32 v7, 0 :: v_dual_mov_b32 v16, 0
	;; [unrolled: 1-line block ×3, first 2 shown]
	v_mov_b32_e32 v10, 0
	s_wait_xcnt 0x0
	s_and_saveexec_b32 s6, s0
	s_cbranch_execz .LBB9_30
; %bb.9:
	global_load_u8 v19, v[4:5], off offset:1280
	v_or_b32_e32 v7, 0x600, v0
	v_dual_mov_b32 v17, 0 :: v_dual_mov_b32 v12, 0
	v_dual_mov_b32 v11, 0 :: v_dual_mov_b32 v9, 0
	s_delay_alu instid0(VALU_DEP_3)
	v_cmp_gt_u32_e64 s0, s12, v7
	v_dual_mov_b32 v8, 0 :: v_dual_mov_b32 v7, 0
	v_dual_mov_b32 v16, 0 :: v_dual_mov_b32 v18, 0
	;; [unrolled: 1-line block ×3, first 2 shown]
	s_wait_xcnt 0x0
	s_and_saveexec_b32 s7, s0
	s_cbranch_execz .LBB9_29
; %bb.10:
	global_load_u8 v17, v[4:5], off offset:1536
	v_or_b32_e32 v7, 0x700, v0
	v_dual_mov_b32 v12, 0 :: v_dual_mov_b32 v11, 0
	v_dual_mov_b32 v9, 0 :: v_dual_mov_b32 v8, 0
	s_delay_alu instid0(VALU_DEP_3)
	v_cmp_gt_u32_e64 s0, s12, v7
	v_dual_mov_b32 v7, 0 :: v_dual_mov_b32 v16, 0
	v_dual_mov_b32 v18, 0 :: v_dual_mov_b32 v14, 0
	v_mov_b32_e32 v10, 0
	s_wait_xcnt 0x0
	s_and_saveexec_b32 s10, s0
	s_cbranch_execz .LBB9_28
; %bb.11:
	global_load_u8 v12, v[4:5], off offset:1792
	v_or_b32_e32 v7, 0x800, v0
	v_dual_mov_b32 v11, 0 :: v_dual_mov_b32 v9, 0
	v_dual_mov_b32 v8, 0 :: v_dual_mov_b32 v16, 0
	v_mov_b32_e32 v18, 0
	s_delay_alu instid0(VALU_DEP_4)
	v_cmp_gt_u32_e64 s0, s12, v7
	v_dual_mov_b32 v7, 0 :: v_dual_mov_b32 v14, 0
	v_mov_b32_e32 v10, 0
	s_wait_xcnt 0x0
	s_and_saveexec_b32 s11, s0
	s_cbranch_execz .LBB9_27
; %bb.12:
	global_load_u8 v11, v[4:5], off offset:2048
	v_or_b32_e32 v7, 0x900, v0
	v_dual_mov_b32 v9, 0 :: v_dual_mov_b32 v8, 0
	v_dual_mov_b32 v18, 0 :: v_dual_mov_b32 v14, 0
	s_delay_alu instid0(VALU_DEP_3)
	v_cmp_gt_u32_e64 s0, s12, v7
	v_dual_mov_b32 v7, 0 :: v_dual_mov_b32 v16, 0
	v_mov_b32_e32 v10, 0
	s_wait_xcnt 0x0
	s_and_saveexec_b32 s15, s0
	s_cbranch_execz .LBB9_26
; %bb.13:
	global_load_u8 v9, v[4:5], off offset:2304
	v_or_b32_e32 v7, 0xa00, v0
	v_dual_mov_b32 v8, 0 :: v_dual_mov_b32 v16, 0
	v_dual_mov_b32 v18, 0 :: v_dual_mov_b32 v14, 0
	v_mov_b32_e32 v10, 0
	s_delay_alu instid0(VALU_DEP_4)
	v_cmp_gt_u32_e64 s0, s12, v7
	v_mov_b32_e32 v7, 0
	s_wait_xcnt 0x0
	s_and_saveexec_b32 s17, s0
	s_cbranch_execz .LBB9_25
; %bb.14:
	global_load_u8 v8, v[4:5], off offset:2560
	v_or_b32_e32 v7, 0xb00, v0
	v_dual_mov_b32 v18, 0 :: v_dual_mov_b32 v14, 0
	v_dual_mov_b32 v10, 0 :: v_dual_mov_b32 v16, 0
	s_delay_alu instid0(VALU_DEP_3)
	v_cmp_gt_u32_e64 s0, s12, v7
	v_mov_b32_e32 v7, 0
	s_wait_xcnt 0x0
	s_and_saveexec_b32 s18, s0
	s_cbranch_execz .LBB9_24
; %bb.15:
	global_load_u8 v7, v[4:5], off offset:2816
	v_or_b32_e32 v10, 0xc00, v0
	v_dual_mov_b32 v16, 0 :: v_dual_mov_b32 v18, 0
	v_mov_b32_e32 v14, 0
	s_delay_alu instid0(VALU_DEP_3)
	v_cmp_gt_u32_e64 s0, s12, v10
	v_mov_b32_e32 v10, 0
	s_wait_xcnt 0x0
	s_and_saveexec_b32 s19, s0
	s_cbranch_execz .LBB9_23
; %bb.16:
	global_load_u8 v16, v[4:5], off offset:3072
	v_or_b32_e32 v10, 0xd00, v0
	v_dual_mov_b32 v18, 0 :: v_dual_mov_b32 v14, 0
	s_delay_alu instid0(VALU_DEP_2)
	v_cmp_gt_u32_e64 s0, s12, v10
	v_mov_b32_e32 v10, 0
	s_wait_xcnt 0x0
	s_and_saveexec_b32 s20, s0
	s_cbranch_execz .LBB9_22
; %bb.17:
	global_load_u8 v18, v[4:5], off offset:3328
	v_or_b32_e32 v10, 0xe00, v0
	v_mov_b32_e32 v14, 0
	s_delay_alu instid0(VALU_DEP_2)
	v_cmp_gt_u32_e64 s0, s12, v10
	v_mov_b32_e32 v10, 0
	s_wait_xcnt 0x0
	s_and_saveexec_b32 s21, s0
	s_cbranch_execz .LBB9_21
; %bb.18:
	global_load_u8 v14, v[4:5], off offset:3584
	v_or_b32_e32 v10, 0xf00, v0
	s_delay_alu instid0(VALU_DEP_1)
	v_cmp_gt_u32_e64 s0, s12, v10
	v_mov_b32_e32 v10, 0
	s_wait_xcnt 0x0
	s_and_saveexec_b32 s22, s0
	s_cbranch_execz .LBB9_20
; %bb.19:
	global_load_u8 v10, v[4:5], off offset:3840
.LBB9_20:
	s_wait_xcnt 0x0
	s_or_b32 exec_lo, exec_lo, s22
.LBB9_21:
	s_delay_alu instid0(SALU_CYCLE_1)
	s_or_b32 exec_lo, exec_lo, s21
.LBB9_22:
	s_delay_alu instid0(SALU_CYCLE_1)
	s_or_b32 exec_lo, exec_lo, s20
.LBB9_23:
	s_delay_alu instid0(SALU_CYCLE_1)
	s_or_b32 exec_lo, exec_lo, s19
.LBB9_24:
	s_delay_alu instid0(SALU_CYCLE_1)
	s_or_b32 exec_lo, exec_lo, s18
.LBB9_25:
	s_delay_alu instid0(SALU_CYCLE_1)
	s_or_b32 exec_lo, exec_lo, s17
.LBB9_26:
	s_delay_alu instid0(SALU_CYCLE_1)
	s_or_b32 exec_lo, exec_lo, s15
.LBB9_27:
	s_delay_alu instid0(SALU_CYCLE_1)
	s_or_b32 exec_lo, exec_lo, s11
.LBB9_28:
	s_delay_alu instid0(SALU_CYCLE_1)
	s_or_b32 exec_lo, exec_lo, s10
.LBB9_29:
	s_delay_alu instid0(SALU_CYCLE_1)
	s_or_b32 exec_lo, exec_lo, s7
.LBB9_30:
	s_delay_alu instid0(SALU_CYCLE_1)
	s_or_b32 exec_lo, exec_lo, s6
.LBB9_31:
	s_delay_alu instid0(SALU_CYCLE_1)
	s_or_b32 exec_lo, exec_lo, s5
.LBB9_32:
	s_delay_alu instid0(SALU_CYCLE_1)
	s_or_b32 exec_lo, exec_lo, s4
	s_wait_loadcnt 0x0
	v_dual_mov_b32 v4, v3 :: v_dual_mov_b32 v3, v2
.LBB9_33:
	s_or_b32 exec_lo, exec_lo, s3
.LBB9_34:
	s_delay_alu instid0(SALU_CYCLE_1)
	s_or_b32 exec_lo, exec_lo, s2
.LBB9_35:
	s_delay_alu instid0(SALU_CYCLE_1)
	s_or_b32 exec_lo, exec_lo, s1
	v_and_b32_e32 v2, 0xff, v20
	s_cmp_eq_u32 s13, 0
	v_and_b32_e32 v5, 0xff, v19
	s_cselect_b32 s4, -1, 0
	s_and_b32 s5, s14, 0xff
	s_wait_loadcnt 0x0
	v_and_b32_e32 v13, 0xff, v13
	v_cmp_ne_u16_e64 s0, s5, v2
	v_and_b32_e32 v2, 0xff, v15
	v_and_b32_e32 v3, 0xff, v3
	;; [unrolled: 1-line block ×3, first 2 shown]
	v_cmp_ne_u16_e64 s2, s5, v13
	s_xor_b32 s0, s4, s0
	v_cmp_ne_u16_e64 s1, s5, v2
	v_cndmask_b32_e64 v15, 0, 1, s0
	v_cmp_ne_u16_e64 s0, s5, v5
	v_or_b32_e32 v5, 0x400, v0
	v_and_b32_e32 v4, 0xff, v4
	v_and_b32_e32 v12, 0xff, v12
	v_bitop3_b16 v2, v15, 0, 0xff00 bitop3:0xf8
	s_xor_b32 s0, s4, s0
	v_and_b32_e32 v16, 0xff, v16
	v_cndmask_b32_e64 v13, 0, 1, s0
	s_xor_b32 s0, s4, s1
	v_and_b32_e32 v2, 0xffff, v2
	v_cndmask_b32_e64 v15, 0, 1, s0
	s_xor_b32 s0, s4, s2
	v_lshlrev_b16 v13, 8, v13
	v_cndmask_b32_e64 v19, 0, 1, s0
	v_cmp_gt_i32_e64 s0, s12, v5
	v_cndmask_b32_e32 v5, 0, v15, vcc_lo
	v_cmp_ne_u16_e64 s1, s5, v17
	v_and_b32_e32 v9, 0xff, v9
	v_lshlrev_b16 v15, 8, v19
	v_cndmask_b32_e64 v2, 0, v2, s0
	v_cmp_ne_u16_e64 s0, s5, v3
	v_or_b32_e32 v3, 0x500, v0
	v_cmp_ne_u16_e64 s3, s5, v9
	v_and_b32_e32 v11, 0xff, v11
	v_bitop3_b16 v13, v2, v13, 0xff bitop3:0xec
	s_xor_b32 s0, s4, s0
	v_and_b32_e32 v8, 0xff, v8
	v_cndmask_b32_e64 v17, 0, 1, s0
	v_cmp_gt_i32_e64 s0, s12, v3
	v_and_b32_e32 v13, 0xffff, v13
	v_or_b32_e32 v15, v5, v15
	v_and_b32_e32 v14, 0xff, v14
	v_and_b32_e32 v7, 0xff, v7
	;; [unrolled: 1-line block ×3, first 2 shown]
	v_cndmask_b32_e64 v2, v2, v13, s0
	s_xor_b32 s0, s4, s1
	v_and_b32_e32 v15, 0xffff, v15
	v_cndmask_b32_e64 v3, 0, 1, s0
	v_cmp_gt_i32_e64 s0, s12, v1
	s_delay_alu instid0(VALU_DEP_1) | instskip(SKIP_2) | instid1(VALU_DEP_3)
	v_dual_lshrrev_b32 v13, 16, v2 :: v_dual_cndmask_b32 v5, v5, v15, s0
	v_cmp_ne_u16_e64 s0, s5, v4
	v_or_b32_e32 v4, 0x200, v0
	v_bitop3_b16 v3, v3, v13, 0xff00 bitop3:0xf8
	s_delay_alu instid0(VALU_DEP_4) | instskip(SKIP_4) | instid1(VALU_DEP_2)
	v_lshl_or_b32 v15, v17, 16, v5
	s_xor_b32 s0, s4, s0
	v_or_b32_e32 v17, 0xd00, v0
	v_cndmask_b32_e64 v13, 0, 1, s0
	v_cmp_gt_i32_e64 s0, s12, v4
	v_lshlrev_b16 v13, 8, v13
	s_delay_alu instid0(VALU_DEP_2) | instskip(SKIP_2) | instid1(VALU_DEP_3)
	v_cndmask_b32_e64 v4, v5, v15, s0
	v_cmp_ne_u16_e64 s0, s5, v12
	v_or_b32_e32 v5, 0x600, v0
	v_dual_lshlrev_b32 v3, 16, v3 :: v_dual_lshrrev_b32 v15, 16, v4
	s_xor_b32 s0, s4, s0
	s_delay_alu instid0(VALU_DEP_2)
	v_cmp_gt_i32_e64 s1, s12, v5
	v_cndmask_b32_e64 v5, 0, 1, s0
	v_cmp_ne_u16_e64 s0, s5, v16
	v_and_or_b32 v3, 0xffff, v2, v3
	v_bitop3_b16 v12, v15, v13, 0xff bitop3:0xec
	v_or_b32_e32 v15, 0x800, v0
	v_lshlrev_b16 v5, 8, v5
	s_xor_b32 s0, s4, s0
	s_delay_alu instid0(SALU_CYCLE_1) | instskip(SKIP_4) | instid1(VALU_DEP_3)
	v_cndmask_b32_e64 v9, 0, 1, s0
	v_cndmask_b32_e64 v2, v2, v3, s1
	v_and_b32_e32 v3, 0xff, v18
	v_cmp_ne_u16_e64 s1, s5, v11
	v_lshlrev_b32_e32 v12, 16, v12
	v_cmp_ne_u16_e64 s2, s5, v3
	v_or_b32_e32 v3, 0xc00, v0
	s_delay_alu instid0(VALU_DEP_3) | instskip(SKIP_1) | instid1(SALU_CYCLE_1)
	v_and_or_b32 v12, 0xffff, v4, v12
	s_xor_b32 s0, s4, s2
	v_cndmask_b32_e64 v11, 0, 1, s0
	s_xor_b32 s0, s4, s1
	v_cmp_gt_i32_e64 s1, s12, v17
	v_cndmask_b32_e64 v16, 0, 1, s0
	v_cmp_gt_i32_e64 s0, s12, v3
	s_delay_alu instid0(VALU_DEP_1) | instskip(SKIP_2) | instid1(SALU_CYCLE_1)
	v_cndmask_b32_e64 v3, 0, v9, s0
	v_lshlrev_b16 v9, 8, v11
	s_xor_b32 s0, s4, s3
	v_cndmask_b32_e64 v11, 0, 1, s0
	v_cmp_gt_i32_e64 s0, s12, v15
	s_delay_alu instid0(VALU_DEP_3) | instskip(SKIP_1) | instid1(VALU_DEP_4)
	v_bitop3_b16 v9, v3, v9, 0xff bitop3:0xec
	v_lshrrev_b32_e32 v13, 16, v2
	v_lshlrev_b16 v11, 8, v11
	s_delay_alu instid0(VALU_DEP_4) | instskip(NEXT) | instid1(VALU_DEP_4)
	v_cndmask_b32_e64 v15, 0, v16, s0
	v_and_b32_e32 v9, 0xffff, v9
	v_cmp_ne_u16_e64 s0, s5, v8
	v_or_b32_e32 v16, 0x900, v0
	v_bitop3_b16 v5, v13, v5, 0xff bitop3:0xec
	v_or_b32_e32 v13, 0x300, v0
	v_cndmask_b32_e64 v3, v3, v9, s1
	v_cmp_ne_u16_e64 s1, s5, v14
	s_xor_b32 s0, s4, s0
	s_delay_alu instid0(SALU_CYCLE_1) | instskip(SKIP_1) | instid1(SALU_CYCLE_1)
	v_cndmask_b32_e64 v9, 0, 1, s0
	s_xor_b32 s0, s4, s1
	v_cndmask_b32_e64 v14, 0, 1, s0
	v_cmp_gt_i32_e64 s0, s12, v16
	s_delay_alu instid0(VALU_DEP_3) | instskip(NEXT) | instid1(VALU_DEP_1)
	v_dual_lshlrev_b32 v9, 16, v9 :: v_dual_bitop2_b32 v11, v15, v11 bitop3:0x54
	v_and_b32_e32 v8, 0xffff, v11
	s_delay_alu instid0(VALU_DEP_1) | instskip(SKIP_1) | instid1(VALU_DEP_2)
	v_cndmask_b32_e64 v8, v15, v8, s0
	v_cmp_ne_u16_e64 s0, s5, v7
	v_and_or_b32 v9, 0x1ff, v8, v9
	v_lshrrev_b32_e32 v11, 16, v3
	s_xor_b32 s0, s4, s0
	s_delay_alu instid0(VALU_DEP_1) | instskip(SKIP_1) | instid1(VALU_DEP_1)
	v_bitop3_b16 v11, v14, v11, 0xff00 bitop3:0xf8
	v_or_b32_e32 v14, 0xa00, v0
	v_cmp_gt_i32_e64 s1, s12, v14
	s_delay_alu instid0(VALU_DEP_1) | instskip(SKIP_3) | instid1(VALU_DEP_3)
	v_dual_cndmask_b32 v8, v8, v9, s1 :: v_dual_lshlrev_b32 v7, 16, v11
	v_or_b32_e32 v9, 0xe00, v0
	v_cmp_ne_u16_e64 s1, s5, v10
	v_cndmask_b32_e64 v10, 0, 1, s0
	v_cmp_gt_i32_e64 s0, s12, v9
	v_lshrrev_b32_e32 v9, 16, v8
	v_and_or_b32 v7, 0xffff, v3, v7
	s_delay_alu instid0(VALU_DEP_4) | instskip(NEXT) | instid1(VALU_DEP_2)
	v_lshlrev_b16 v10, 8, v10
	v_cndmask_b32_e64 v7, v3, v7, s0
	s_xor_b32 s0, s4, s1
	s_delay_alu instid0(VALU_DEP_2)
	v_bitop3_b16 v9, v9, v10, 0xff bitop3:0xec
	v_cndmask_b32_e64 v3, 0, 1, s0
	v_lshlrev_b32_e32 v10, 16, v5
	v_cmp_gt_i32_e64 s0, s12, v13
	v_lshrrev_b32_e32 v11, 16, v7
	v_or_b32_e32 v13, 0xf00, v0
	v_lshlrev_b16 v3, 8, v3
	v_and_or_b32 v10, 0xffff, v2, v10
	v_cndmask_b32_e64 v5, v4, v12, s0
	s_delay_alu instid0(VALU_DEP_3) | instskip(SKIP_3) | instid1(VALU_DEP_4)
	v_bitop3_b16 v3, v11, v3, 0xff bitop3:0xec
	v_lshlrev_b32_e32 v4, 16, v9
	v_or_b32_e32 v9, 0x700, v0
	v_or_b32_e32 v11, 0xb00, v0
	v_lshlrev_b32_e32 v3, 16, v3
	s_delay_alu instid0(VALU_DEP_4) | instskip(NEXT) | instid1(VALU_DEP_4)
	v_and_or_b32 v12, 0xffff, v8, v4
	v_cmp_gt_i32_e64 s0, s12, v9
	s_delay_alu instid0(VALU_DEP_3) | instskip(NEXT) | instid1(VALU_DEP_2)
	v_and_or_b32 v14, 0xffff, v7, v3
	v_cndmask_b32_e64 v4, v2, v10, s0
	v_cmp_gt_i32_e64 s0, s12, v11
	s_delay_alu instid0(VALU_DEP_1) | instskip(SKIP_1) | instid1(VALU_DEP_1)
	v_cndmask_b32_e64 v3, v8, v12, s0
	v_cmp_gt_i32_e64 s0, s12, v13
	v_cndmask_b32_e64 v2, v7, v14, s0
	s_and_saveexec_b32 s0, vcc_lo
	s_cbranch_execnz .LBB9_53
; %bb.36:
	s_or_b32 exec_lo, exec_lo, s0
	s_delay_alu instid0(SALU_CYCLE_1)
	s_mov_b32 s0, exec_lo
	v_cmpx_gt_i32_e64 s12, v0
	s_cbranch_execnz .LBB9_54
.LBB9_37:
	s_or_b32 exec_lo, exec_lo, s0
	s_delay_alu instid0(SALU_CYCLE_1)
	s_mov_b32 s0, exec_lo
	v_cmpx_gt_i32_e64 s12, v0
	s_cbranch_execnz .LBB9_55
.LBB9_38:
	s_or_b32 exec_lo, exec_lo, s0
	s_delay_alu instid0(SALU_CYCLE_1)
	s_mov_b32 s0, exec_lo
	v_cmpx_gt_i32_e64 s12, v0
	s_cbranch_execnz .LBB9_56
.LBB9_39:
	s_or_b32 exec_lo, exec_lo, s0
	s_delay_alu instid0(SALU_CYCLE_1)
	s_mov_b32 s0, exec_lo
	v_cmpx_gt_i32_e64 s12, v0
	s_cbranch_execnz .LBB9_57
.LBB9_40:
	s_or_b32 exec_lo, exec_lo, s0
	s_delay_alu instid0(SALU_CYCLE_1)
	s_mov_b32 s0, exec_lo
	v_cmpx_gt_i32_e64 s12, v0
	s_cbranch_execnz .LBB9_58
.LBB9_41:
	s_or_b32 exec_lo, exec_lo, s0
	s_delay_alu instid0(SALU_CYCLE_1)
	s_mov_b32 s0, exec_lo
	v_cmpx_gt_i32_e64 s12, v0
	s_cbranch_execnz .LBB9_59
.LBB9_42:
	s_or_b32 exec_lo, exec_lo, s0
	s_delay_alu instid0(SALU_CYCLE_1)
	s_mov_b32 s0, exec_lo
	v_cmpx_gt_i32_e64 s12, v0
	s_cbranch_execnz .LBB9_60
.LBB9_43:
	s_or_b32 exec_lo, exec_lo, s0
	s_delay_alu instid0(SALU_CYCLE_1)
	s_mov_b32 s0, exec_lo
	v_cmpx_gt_i32_e64 s12, v0
	s_cbranch_execnz .LBB9_61
.LBB9_44:
	s_or_b32 exec_lo, exec_lo, s0
	s_delay_alu instid0(SALU_CYCLE_1)
	s_mov_b32 s0, exec_lo
	v_cmpx_gt_i32_e64 s12, v0
	s_cbranch_execnz .LBB9_62
.LBB9_45:
	s_or_b32 exec_lo, exec_lo, s0
	s_delay_alu instid0(SALU_CYCLE_1)
	s_mov_b32 s0, exec_lo
	v_cmpx_gt_i32_e64 s12, v0
	s_cbranch_execnz .LBB9_63
.LBB9_46:
	s_or_b32 exec_lo, exec_lo, s0
	s_delay_alu instid0(SALU_CYCLE_1)
	s_mov_b32 s0, exec_lo
	v_cmpx_gt_i32_e64 s12, v0
	s_cbranch_execnz .LBB9_64
.LBB9_47:
	s_or_b32 exec_lo, exec_lo, s0
	s_delay_alu instid0(SALU_CYCLE_1)
	s_mov_b32 s0, exec_lo
	v_cmpx_gt_i32_e64 s12, v0
	s_cbranch_execnz .LBB9_65
.LBB9_48:
	s_or_b32 exec_lo, exec_lo, s0
	s_delay_alu instid0(SALU_CYCLE_1)
	s_mov_b32 s0, exec_lo
	v_cmpx_gt_i32_e64 s12, v0
	s_cbranch_execnz .LBB9_66
.LBB9_49:
	s_or_b32 exec_lo, exec_lo, s0
	s_delay_alu instid0(SALU_CYCLE_1)
	s_mov_b32 s0, exec_lo
	v_cmpx_gt_i32_e64 s12, v0
	s_cbranch_execnz .LBB9_67
.LBB9_50:
	s_or_b32 exec_lo, exec_lo, s0
	s_delay_alu instid0(SALU_CYCLE_1)
	s_mov_b32 s0, exec_lo
	v_cmpx_gt_i32_e64 s12, v0
	s_cbranch_execz .LBB9_52
.LBB9_51:
	v_dual_lshrrev_b32 v1, 24, v2 :: v_dual_add_nc_u32 v0, s16, v0
	global_store_b8 v0, v1, s[8:9]
.LBB9_52:
	s_endpgm
.LBB9_53:
	v_mov_b32_e32 v0, v1
	global_store_b8 v6, v5, s[8:9]
	s_wait_xcnt 0x0
	s_or_b32 exec_lo, exec_lo, s0
	s_delay_alu instid0(SALU_CYCLE_1)
	s_mov_b32 s0, exec_lo
	v_cmpx_gt_i32_e64 s12, v0
	s_cbranch_execz .LBB9_37
.LBB9_54:
	v_dual_lshrrev_b32 v1, 8, v5 :: v_dual_add_nc_u32 v6, s16, v0
	v_add_nc_u32_e32 v0, 0x100, v0
	global_store_b8 v6, v1, s[8:9]
	s_wait_xcnt 0x0
	s_or_b32 exec_lo, exec_lo, s0
	s_delay_alu instid0(SALU_CYCLE_1)
	s_mov_b32 s0, exec_lo
	v_cmpx_gt_i32_e64 s12, v0
	s_cbranch_execz .LBB9_38
.LBB9_55:
	v_add_nc_u32_e32 v1, s16, v0
	v_add_nc_u32_e32 v0, 0x100, v0
	global_store_d16_hi_b8 v1, v5, s[8:9]
	s_wait_xcnt 0x0
	s_or_b32 exec_lo, exec_lo, s0
	s_delay_alu instid0(SALU_CYCLE_1)
	s_mov_b32 s0, exec_lo
	v_cmpx_gt_i32_e64 s12, v0
	s_cbranch_execz .LBB9_39
.LBB9_56:
	v_dual_lshrrev_b32 v1, 24, v5 :: v_dual_add_nc_u32 v5, s16, v0
	v_add_nc_u32_e32 v0, 0x100, v0
	global_store_b8 v5, v1, s[8:9]
	s_wait_xcnt 0x0
	s_or_b32 exec_lo, exec_lo, s0
	s_delay_alu instid0(SALU_CYCLE_1)
	s_mov_b32 s0, exec_lo
	v_cmpx_gt_i32_e64 s12, v0
	s_cbranch_execz .LBB9_40
.LBB9_57:
	v_add_nc_u32_e32 v1, s16, v0
	v_add_nc_u32_e32 v0, 0x100, v0
	global_store_b8 v1, v4, s[8:9]
	s_wait_xcnt 0x0
	s_or_b32 exec_lo, exec_lo, s0
	s_delay_alu instid0(SALU_CYCLE_1)
	s_mov_b32 s0, exec_lo
	v_cmpx_gt_i32_e64 s12, v0
	s_cbranch_execz .LBB9_41
.LBB9_58:
	v_lshrrev_b32_e32 v1, 8, v4
	v_add_nc_u32_e32 v5, s16, v0
	v_add_nc_u32_e32 v0, 0x100, v0
	global_store_b8 v5, v1, s[8:9]
	s_wait_xcnt 0x0
	s_or_b32 exec_lo, exec_lo, s0
	s_delay_alu instid0(SALU_CYCLE_1)
	s_mov_b32 s0, exec_lo
	v_cmpx_gt_i32_e64 s12, v0
	s_cbranch_execz .LBB9_42
.LBB9_59:
	v_add_nc_u32_e32 v1, s16, v0
	v_add_nc_u32_e32 v0, 0x100, v0
	global_store_d16_hi_b8 v1, v4, s[8:9]
	s_wait_xcnt 0x0
	s_or_b32 exec_lo, exec_lo, s0
	s_delay_alu instid0(SALU_CYCLE_1)
	s_mov_b32 s0, exec_lo
	v_cmpx_gt_i32_e64 s12, v0
	s_cbranch_execz .LBB9_43
.LBB9_60:
	v_lshrrev_b32_e32 v1, 24, v4
	v_add_nc_u32_e32 v4, s16, v0
	v_add_nc_u32_e32 v0, 0x100, v0
	global_store_b8 v4, v1, s[8:9]
	s_wait_xcnt 0x0
	s_or_b32 exec_lo, exec_lo, s0
	s_delay_alu instid0(SALU_CYCLE_1)
	s_mov_b32 s0, exec_lo
	v_cmpx_gt_i32_e64 s12, v0
	s_cbranch_execz .LBB9_44
.LBB9_61:
	v_add_nc_u32_e32 v1, s16, v0
	v_add_nc_u32_e32 v0, 0x100, v0
	global_store_b8 v1, v3, s[8:9]
	s_wait_xcnt 0x0
	s_or_b32 exec_lo, exec_lo, s0
	s_delay_alu instid0(SALU_CYCLE_1)
	s_mov_b32 s0, exec_lo
	v_cmpx_gt_i32_e64 s12, v0
	s_cbranch_execz .LBB9_45
.LBB9_62:
	v_dual_lshrrev_b32 v1, 8, v3 :: v_dual_add_nc_u32 v4, s16, v0
	v_add_nc_u32_e32 v0, 0x100, v0
	global_store_b8 v4, v1, s[8:9]
	s_wait_xcnt 0x0
	s_or_b32 exec_lo, exec_lo, s0
	s_delay_alu instid0(SALU_CYCLE_1)
	s_mov_b32 s0, exec_lo
	v_cmpx_gt_i32_e64 s12, v0
	s_cbranch_execz .LBB9_46
.LBB9_63:
	v_add_nc_u32_e32 v1, s16, v0
	v_add_nc_u32_e32 v0, 0x100, v0
	global_store_d16_hi_b8 v1, v3, s[8:9]
	s_wait_xcnt 0x0
	s_or_b32 exec_lo, exec_lo, s0
	s_delay_alu instid0(SALU_CYCLE_1)
	s_mov_b32 s0, exec_lo
	v_cmpx_gt_i32_e64 s12, v0
	s_cbranch_execz .LBB9_47
.LBB9_64:
	v_dual_lshrrev_b32 v1, 24, v3 :: v_dual_add_nc_u32 v3, s16, v0
	v_add_nc_u32_e32 v0, 0x100, v0
	global_store_b8 v3, v1, s[8:9]
	s_wait_xcnt 0x0
	s_or_b32 exec_lo, exec_lo, s0
	s_delay_alu instid0(SALU_CYCLE_1)
	s_mov_b32 s0, exec_lo
	v_cmpx_gt_i32_e64 s12, v0
	s_cbranch_execz .LBB9_48
.LBB9_65:
	v_add_nc_u32_e32 v1, s16, v0
	v_add_nc_u32_e32 v0, 0x100, v0
	global_store_b8 v1, v2, s[8:9]
	s_wait_xcnt 0x0
	s_or_b32 exec_lo, exec_lo, s0
	s_delay_alu instid0(SALU_CYCLE_1)
	s_mov_b32 s0, exec_lo
	v_cmpx_gt_i32_e64 s12, v0
	s_cbranch_execz .LBB9_49
.LBB9_66:
	v_dual_lshrrev_b32 v1, 8, v2 :: v_dual_add_nc_u32 v3, s16, v0
	v_add_nc_u32_e32 v0, 0x100, v0
	global_store_b8 v3, v1, s[8:9]
	s_wait_xcnt 0x0
	s_or_b32 exec_lo, exec_lo, s0
	s_delay_alu instid0(SALU_CYCLE_1)
	s_mov_b32 s0, exec_lo
	v_cmpx_gt_i32_e64 s12, v0
	s_cbranch_execz .LBB9_50
.LBB9_67:
	v_add_nc_u32_e32 v1, s16, v0
	v_add_nc_u32_e32 v0, 0x100, v0
	global_store_d16_hi_b8 v1, v2, s[8:9]
	s_wait_xcnt 0x0
	s_or_b32 exec_lo, exec_lo, s0
	s_delay_alu instid0(SALU_CYCLE_1)
	s_mov_b32 s0, exec_lo
	v_cmpx_gt_i32_e64 s12, v0
	s_cbranch_execnz .LBB9_51
	s_branch .LBB9_52
	.section	.rodata,"a",@progbits
	.p2align	6, 0x0
	.amdhsa_kernel _ZN2at6native29vectorized_elementwise_kernelILi8ENS0_13AUnaryFunctorIhhbNS0_12_GLOBAL__N_116CompareEqFunctorIhEEEESt5arrayIPcLm2EEEEviT0_T1_
		.amdhsa_group_segment_fixed_size 0
		.amdhsa_private_segment_fixed_size 0
		.amdhsa_kernarg_size 32
		.amdhsa_user_sgpr_count 2
		.amdhsa_user_sgpr_dispatch_ptr 0
		.amdhsa_user_sgpr_queue_ptr 0
		.amdhsa_user_sgpr_kernarg_segment_ptr 1
		.amdhsa_user_sgpr_dispatch_id 0
		.amdhsa_user_sgpr_kernarg_preload_length 0
		.amdhsa_user_sgpr_kernarg_preload_offset 0
		.amdhsa_user_sgpr_private_segment_size 0
		.amdhsa_wavefront_size32 1
		.amdhsa_uses_dynamic_stack 0
		.amdhsa_enable_private_segment 0
		.amdhsa_system_sgpr_workgroup_id_x 1
		.amdhsa_system_sgpr_workgroup_id_y 0
		.amdhsa_system_sgpr_workgroup_id_z 0
		.amdhsa_system_sgpr_workgroup_info 0
		.amdhsa_system_vgpr_workitem_id 0
		.amdhsa_next_free_vgpr 21
		.amdhsa_next_free_sgpr 23
		.amdhsa_named_barrier_count 0
		.amdhsa_reserve_vcc 1
		.amdhsa_float_round_mode_32 0
		.amdhsa_float_round_mode_16_64 0
		.amdhsa_float_denorm_mode_32 3
		.amdhsa_float_denorm_mode_16_64 3
		.amdhsa_fp16_overflow 0
		.amdhsa_memory_ordered 1
		.amdhsa_forward_progress 1
		.amdhsa_inst_pref_size 38
		.amdhsa_round_robin_scheduling 0
		.amdhsa_exception_fp_ieee_invalid_op 0
		.amdhsa_exception_fp_denorm_src 0
		.amdhsa_exception_fp_ieee_div_zero 0
		.amdhsa_exception_fp_ieee_overflow 0
		.amdhsa_exception_fp_ieee_underflow 0
		.amdhsa_exception_fp_ieee_inexact 0
		.amdhsa_exception_int_div_zero 0
	.end_amdhsa_kernel
	.section	.text._ZN2at6native29vectorized_elementwise_kernelILi8ENS0_13AUnaryFunctorIhhbNS0_12_GLOBAL__N_116CompareEqFunctorIhEEEESt5arrayIPcLm2EEEEviT0_T1_,"axG",@progbits,_ZN2at6native29vectorized_elementwise_kernelILi8ENS0_13AUnaryFunctorIhhbNS0_12_GLOBAL__N_116CompareEqFunctorIhEEEESt5arrayIPcLm2EEEEviT0_T1_,comdat
.Lfunc_end9:
	.size	_ZN2at6native29vectorized_elementwise_kernelILi8ENS0_13AUnaryFunctorIhhbNS0_12_GLOBAL__N_116CompareEqFunctorIhEEEESt5arrayIPcLm2EEEEviT0_T1_, .Lfunc_end9-_ZN2at6native29vectorized_elementwise_kernelILi8ENS0_13AUnaryFunctorIhhbNS0_12_GLOBAL__N_116CompareEqFunctorIhEEEESt5arrayIPcLm2EEEEviT0_T1_
                                        ; -- End function
	.set _ZN2at6native29vectorized_elementwise_kernelILi8ENS0_13AUnaryFunctorIhhbNS0_12_GLOBAL__N_116CompareEqFunctorIhEEEESt5arrayIPcLm2EEEEviT0_T1_.num_vgpr, 21
	.set _ZN2at6native29vectorized_elementwise_kernelILi8ENS0_13AUnaryFunctorIhhbNS0_12_GLOBAL__N_116CompareEqFunctorIhEEEESt5arrayIPcLm2EEEEviT0_T1_.num_agpr, 0
	.set _ZN2at6native29vectorized_elementwise_kernelILi8ENS0_13AUnaryFunctorIhhbNS0_12_GLOBAL__N_116CompareEqFunctorIhEEEESt5arrayIPcLm2EEEEviT0_T1_.numbered_sgpr, 23
	.set _ZN2at6native29vectorized_elementwise_kernelILi8ENS0_13AUnaryFunctorIhhbNS0_12_GLOBAL__N_116CompareEqFunctorIhEEEESt5arrayIPcLm2EEEEviT0_T1_.num_named_barrier, 0
	.set _ZN2at6native29vectorized_elementwise_kernelILi8ENS0_13AUnaryFunctorIhhbNS0_12_GLOBAL__N_116CompareEqFunctorIhEEEESt5arrayIPcLm2EEEEviT0_T1_.private_seg_size, 0
	.set _ZN2at6native29vectorized_elementwise_kernelILi8ENS0_13AUnaryFunctorIhhbNS0_12_GLOBAL__N_116CompareEqFunctorIhEEEESt5arrayIPcLm2EEEEviT0_T1_.uses_vcc, 1
	.set _ZN2at6native29vectorized_elementwise_kernelILi8ENS0_13AUnaryFunctorIhhbNS0_12_GLOBAL__N_116CompareEqFunctorIhEEEESt5arrayIPcLm2EEEEviT0_T1_.uses_flat_scratch, 0
	.set _ZN2at6native29vectorized_elementwise_kernelILi8ENS0_13AUnaryFunctorIhhbNS0_12_GLOBAL__N_116CompareEqFunctorIhEEEESt5arrayIPcLm2EEEEviT0_T1_.has_dyn_sized_stack, 0
	.set _ZN2at6native29vectorized_elementwise_kernelILi8ENS0_13AUnaryFunctorIhhbNS0_12_GLOBAL__N_116CompareEqFunctorIhEEEESt5arrayIPcLm2EEEEviT0_T1_.has_recursion, 0
	.set _ZN2at6native29vectorized_elementwise_kernelILi8ENS0_13AUnaryFunctorIhhbNS0_12_GLOBAL__N_116CompareEqFunctorIhEEEESt5arrayIPcLm2EEEEviT0_T1_.has_indirect_call, 0
	.section	.AMDGPU.csdata,"",@progbits
; Kernel info:
; codeLenInByte = 4864
; TotalNumSgprs: 25
; NumVgprs: 21
; ScratchSize: 0
; MemoryBound: 0
; FloatMode: 240
; IeeeMode: 1
; LDSByteSize: 0 bytes/workgroup (compile time only)
; SGPRBlocks: 0
; VGPRBlocks: 1
; NumSGPRsForWavesPerEU: 25
; NumVGPRsForWavesPerEU: 21
; NamedBarCnt: 0
; Occupancy: 16
; WaveLimiterHint : 1
; COMPUTE_PGM_RSRC2:SCRATCH_EN: 0
; COMPUTE_PGM_RSRC2:USER_SGPR: 2
; COMPUTE_PGM_RSRC2:TRAP_HANDLER: 0
; COMPUTE_PGM_RSRC2:TGID_X_EN: 1
; COMPUTE_PGM_RSRC2:TGID_Y_EN: 0
; COMPUTE_PGM_RSRC2:TGID_Z_EN: 0
; COMPUTE_PGM_RSRC2:TIDIG_COMP_CNT: 0
	.section	.text._ZN2at6native29vectorized_elementwise_kernelILi4ENS0_13AUnaryFunctorIhhbNS0_12_GLOBAL__N_116CompareEqFunctorIhEEEESt5arrayIPcLm2EEEEviT0_T1_,"axG",@progbits,_ZN2at6native29vectorized_elementwise_kernelILi4ENS0_13AUnaryFunctorIhhbNS0_12_GLOBAL__N_116CompareEqFunctorIhEEEESt5arrayIPcLm2EEEEviT0_T1_,comdat
	.globl	_ZN2at6native29vectorized_elementwise_kernelILi4ENS0_13AUnaryFunctorIhhbNS0_12_GLOBAL__N_116CompareEqFunctorIhEEEESt5arrayIPcLm2EEEEviT0_T1_ ; -- Begin function _ZN2at6native29vectorized_elementwise_kernelILi4ENS0_13AUnaryFunctorIhhbNS0_12_GLOBAL__N_116CompareEqFunctorIhEEEESt5arrayIPcLm2EEEEviT0_T1_
	.p2align	8
	.type	_ZN2at6native29vectorized_elementwise_kernelILi4ENS0_13AUnaryFunctorIhhbNS0_12_GLOBAL__N_116CompareEqFunctorIhEEEESt5arrayIPcLm2EEEEviT0_T1_,@function
_ZN2at6native29vectorized_elementwise_kernelILi4ENS0_13AUnaryFunctorIhhbNS0_12_GLOBAL__N_116CompareEqFunctorIhEEEESt5arrayIPcLm2EEEEviT0_T1_: ; @_ZN2at6native29vectorized_elementwise_kernelILi4ENS0_13AUnaryFunctorIhhbNS0_12_GLOBAL__N_116CompareEqFunctorIhEEEESt5arrayIPcLm2EEEEviT0_T1_
; %bb.0:
	s_clause 0x1
	s_load_b96 s[12:14], s[0:1], 0x0
	s_load_b128 s[8:11], s[0:1], 0x10
	s_wait_xcnt 0x0
	s_bfe_u32 s0, ttmp6, 0x4000c
	s_and_b32 s1, ttmp6, 15
	s_add_co_i32 s0, s0, 1
	s_getreg_b32 s2, hwreg(HW_REG_IB_STS2, 6, 4)
	s_mul_i32 s0, ttmp9, s0
	s_delay_alu instid0(SALU_CYCLE_1) | instskip(SKIP_2) | instid1(SALU_CYCLE_1)
	s_add_co_i32 s1, s1, s0
	s_cmp_eq_u32 s2, 0
	s_cselect_b32 s0, ttmp9, s1
	s_lshl_b32 s16, s0, 12
	s_mov_b32 s0, -1
	s_wait_kmcnt 0x0
	s_sub_co_i32 s12, s12, s16
	s_delay_alu instid0(SALU_CYCLE_1)
	s_cmp_gt_i32 s12, 0xfff
	s_cbranch_scc0 .LBB10_2
; %bb.1:
	s_ashr_i32 s17, s16, 31
	s_cmp_eq_u32 s13, 0
	s_add_nc_u64 s[0:1], s[10:11], s[16:17]
	s_cselect_b32 s15, -1, 0
	s_clause 0x3
	global_load_b32 v1, v0, s[0:1] scale_offset
	global_load_b32 v2, v0, s[0:1] offset:1024 scale_offset
	global_load_b32 v3, v0, s[0:1] offset:2048 scale_offset
	global_load_b32 v4, v0, s[0:1] offset:3072 scale_offset
	s_and_b32 s18, s14, 0xff
	s_wait_loadcnt 0x3
	v_and_b32_e32 v5, 0xff, v1
	v_dual_lshrrev_b32 v6, 8, v1 :: v_dual_lshrrev_b32 v7, 16, v1
	s_wait_loadcnt 0x2
	v_dual_lshrrev_b32 v1, 24, v1 :: v_dual_lshrrev_b32 v9, 8, v2
	v_and_b32_e32 v8, 0xff, v2
	v_dual_lshrrev_b32 v10, 16, v2 :: v_dual_lshrrev_b32 v2, 24, v2
	s_wait_xcnt 0x0
	s_delay_alu instid0(VALU_DEP_3)
	v_cmp_ne_u16_e64 s0, s18, v1
	s_wait_loadcnt 0x1
	v_and_b32_e32 v11, 0xff, v3
	v_cmp_ne_u16_e32 vcc_lo, s18, v5
	v_and_b32_e32 v5, 0xff, v6
	v_cmp_ne_u16_e64 s1, s18, v8
	v_dual_lshrrev_b32 v12, 8, v3 :: v_dual_lshrrev_b32 v13, 16, v3
	s_wait_loadcnt 0x0
	v_dual_lshrrev_b32 v3, 24, v3 :: v_dual_lshrrev_b32 v15, 8, v4
	v_and_b32_e32 v14, 0xff, v4
	v_dual_lshrrev_b32 v16, 16, v4 :: v_dual_lshrrev_b32 v4, 24, v4
	v_and_b32_e32 v6, 0xff, v7
	v_and_b32_e32 v1, 0xff, v9
	v_cmp_ne_u16_e64 s2, s18, v2
	s_xor_b32 s0, s15, s0
	v_and_b32_e32 v7, 0xff, v10
	v_cmp_ne_u16_e64 s3, s18, v11
	s_xor_b32 s7, s15, vcc_lo
	v_cmp_ne_u16_e32 vcc_lo, s18, v5
	v_cndmask_b32_e64 v5, 0, 1, s0
	s_xor_b32 s0, s15, s1
	v_and_b32_e32 v2, 0xff, v12
	v_cmp_ne_u16_e64 s4, s18, v3
	v_cmp_ne_u16_e64 s6, s18, v4
	v_cndmask_b32_e64 v4, 0, 1, s7
	v_cmp_ne_u16_e64 s7, s18, v6
	v_cndmask_b32_e64 v6, 0, 1, s0
	v_cmp_ne_u16_e64 s0, s18, v1
	s_xor_b32 s2, s15, s2
	v_and_b32_e32 v8, 0xff, v13
	v_cmp_ne_u16_e64 s5, s18, v14
	v_cmp_ne_u16_e64 s1, s18, v7
	v_cndmask_b32_e64 v1, 0, 1, s2
	s_xor_b32 s2, s15, s3
	v_and_b32_e32 v3, 0xff, v15
	v_cndmask_b32_e64 v7, 0, 1, s2
	v_cmp_ne_u16_e64 s2, s18, v2
	s_xor_b32 s4, s15, s4
	s_xor_b32 s0, s15, s0
	v_cmp_ne_u16_e64 s3, s18, v8
	v_cndmask_b32_e64 v2, 0, 1, s4
	s_xor_b32 s4, s15, s5
	v_and_b32_e32 v9, 0xff, v16
	v_cndmask_b32_e64 v11, 0, 1, s0
	s_xor_b32 s0, s15, s1
	v_cndmask_b32_e64 v8, 0, 1, s4
	v_cmp_ne_u16_e64 s4, s18, v3
	s_xor_b32 s6, s15, s6
	v_cndmask_b32_e64 v12, 0, 1, s0
	s_xor_b32 s0, s15, s2
	v_cndmask_b32_e64 v3, 0, 1, s6
	s_xor_b32 s6, s15, vcc_lo
	v_cndmask_b32_e64 v13, 0, 1, s0
	s_xor_b32 s0, s15, s3
	v_cmp_ne_u16_e64 s5, s18, v9
	v_cndmask_b32_e64 v9, 0, 1, s6
	v_cndmask_b32_e64 v14, 0, 1, s0
	s_xor_b32 s0, s15, s4
	s_xor_b32 s6, s15, s7
	v_cndmask_b32_e64 v15, 0, 1, s0
	v_cndmask_b32_e64 v10, 0, 1, s6
	v_lshlrev_b16 v5, 8, v5
	v_lshlrev_b16 v9, 8, v9
	s_xor_b32 s0, s15, s5
	v_lshlrev_b16 v1, 8, v1
	v_lshlrev_b16 v11, 8, v11
	;; [unrolled: 1-line block ×4, first 2 shown]
	v_cndmask_b32_e64 v16, 0, 1, s0
	v_lshlrev_b16 v3, 8, v3
	v_lshlrev_b16 v15, 8, v15
	v_or_b32_e32 v5, v10, v5
	v_or_b32_e32 v4, v4, v9
	v_or_b32_e32 v1, v12, v1
	v_or_b32_e32 v6, v6, v11
	v_or_b32_e32 v2, v14, v2
	v_or_b32_e32 v7, v7, v13
	v_or_b32_e32 v3, v16, v3
	v_dual_lshlrev_b32 v1, 16, v1 :: v_dual_bitop2_b32 v8, v8, v15 bitop3:0x54
	v_lshlrev_b32_e32 v5, 16, v5
	v_and_b32_e32 v4, 0xffff, v4
	v_and_b32_e32 v6, 0xffff, v6
	v_lshlrev_b32_e32 v2, 16, v2
	v_and_b32_e32 v7, 0xffff, v7
	v_lshlrev_b32_e32 v3, 16, v3
	v_and_b32_e32 v8, 0xffff, v8
	v_or_b32_e32 v4, v4, v5
	v_or_b32_e32 v1, v6, v1
	;; [unrolled: 1-line block ×3, first 2 shown]
	s_add_nc_u64 s[2:3], s[8:9], s[16:17]
	v_or_b32_e32 v3, v8, v3
	s_mov_b32 s0, 0
	s_clause 0x3
	global_store_b32 v0, v4, s[2:3] scale_offset
	global_store_b32 v0, v1, s[2:3] offset:1024 scale_offset
	global_store_b32 v0, v2, s[2:3] offset:2048 scale_offset
	;; [unrolled: 1-line block ×3, first 2 shown]
.LBB10_2:
	s_and_not1_b32 vcc_lo, exec_lo, s0
	s_cbranch_vccnz .LBB10_52
; %bb.3:
	v_cmp_gt_i32_e32 vcc_lo, s12, v0
	s_wait_xcnt 0x2
	v_or_b32_e32 v1, 0x100, v0
	v_dual_mov_b32 v10, 0 :: v_dual_bitop2_b32 v6, s16, v0 bitop3:0x54
	v_dual_mov_b32 v14, 0 :: v_dual_mov_b32 v18, 0
	v_dual_mov_b32 v16, 0 :: v_dual_mov_b32 v7, 0
	;; [unrolled: 1-line block ×6, first 2 shown]
	s_wait_xcnt 0x0
	v_dual_mov_b32 v3, 0 :: v_dual_mov_b32 v13, 0
	v_mov_b32_e32 v15, 0
	s_and_saveexec_b32 s1, vcc_lo
	s_cbranch_execz .LBB10_35
; %bb.4:
	global_load_u8 v15, v6, s[10:11]
	v_dual_mov_b32 v13, 0 :: v_dual_mov_b32 v3, 0
	v_dual_mov_b32 v4, 0 :: v_dual_mov_b32 v20, 0
	;; [unrolled: 1-line block ×7, first 2 shown]
	v_mov_b32_e32 v10, 0
	s_mov_b32 s2, exec_lo
	s_wait_xcnt 0x0
	v_cmpx_gt_u32_e64 s12, v1
	s_cbranch_execz .LBB10_34
; %bb.5:
	v_dual_mov_b32 v3, 0 :: v_dual_add_nc_u32 v2, s16, v0
	v_or_b32_e32 v4, 0x200, v0
	v_dual_mov_b32 v19, 0 :: v_dual_mov_b32 v17, 0
	global_load_u8 v13, v2, s[10:11] offset:256
	v_mov_b32_e32 v20, 0
	v_cmp_gt_u32_e64 s0, s12, v4
	v_dual_mov_b32 v4, 0 :: v_dual_mov_b32 v12, 0
	v_dual_mov_b32 v11, 0 :: v_dual_mov_b32 v9, 0
	;; [unrolled: 1-line block ×5, first 2 shown]
	s_wait_xcnt 0x0
	s_and_saveexec_b32 s3, s0
	s_cbranch_execz .LBB10_33
; %bb.6:
	v_add_nc_u64_e32 v[4:5], s[10:11], v[2:3]
	v_or_b32_e32 v7, 0x300, v0
	v_dual_mov_b32 v20, 0 :: v_dual_mov_b32 v19, 0
	v_dual_mov_b32 v17, 0 :: v_dual_mov_b32 v12, 0
	s_delay_alu instid0(VALU_DEP_3)
	v_cmp_gt_u32_e64 s0, s12, v7
	global_load_u8 v2, v[4:5], off offset:512
	v_dual_mov_b32 v11, 0 :: v_dual_mov_b32 v9, 0
	v_dual_mov_b32 v8, 0 :: v_dual_mov_b32 v7, 0
	;; [unrolled: 1-line block ×4, first 2 shown]
	s_wait_xcnt 0x0
	s_and_saveexec_b32 s4, s0
	s_cbranch_execz .LBB10_32
; %bb.7:
	global_load_u8 v3, v[4:5], off offset:768
	v_or_b32_e32 v7, 0x400, v0
	v_dual_mov_b32 v20, 0 :: v_dual_mov_b32 v19, 0
	v_dual_mov_b32 v17, 0 :: v_dual_mov_b32 v12, 0
	s_delay_alu instid0(VALU_DEP_3)
	v_cmp_gt_u32_e64 s0, s12, v7
	v_dual_mov_b32 v11, 0 :: v_dual_mov_b32 v9, 0
	v_dual_mov_b32 v8, 0 :: v_dual_mov_b32 v7, 0
	;; [unrolled: 1-line block ×4, first 2 shown]
	s_wait_xcnt 0x0
	s_and_saveexec_b32 s5, s0
	s_cbranch_execz .LBB10_31
; %bb.8:
	global_load_u8 v20, v[4:5], off offset:1024
	v_or_b32_e32 v7, 0x500, v0
	v_dual_mov_b32 v19, 0 :: v_dual_mov_b32 v17, 0
	v_dual_mov_b32 v12, 0 :: v_dual_mov_b32 v11, 0
	s_delay_alu instid0(VALU_DEP_3)
	v_cmp_gt_u32_e64 s0, s12, v7
	v_dual_mov_b32 v9, 0 :: v_dual_mov_b32 v8, 0
	v_dual_mov_b32 v7, 0 :: v_dual_mov_b32 v16, 0
	;; [unrolled: 1-line block ×3, first 2 shown]
	v_mov_b32_e32 v10, 0
	s_wait_xcnt 0x0
	s_and_saveexec_b32 s6, s0
	s_cbranch_execz .LBB10_30
; %bb.9:
	global_load_u8 v19, v[4:5], off offset:1280
	v_or_b32_e32 v7, 0x600, v0
	v_dual_mov_b32 v17, 0 :: v_dual_mov_b32 v12, 0
	v_dual_mov_b32 v11, 0 :: v_dual_mov_b32 v9, 0
	s_delay_alu instid0(VALU_DEP_3)
	v_cmp_gt_u32_e64 s0, s12, v7
	v_dual_mov_b32 v8, 0 :: v_dual_mov_b32 v7, 0
	v_dual_mov_b32 v16, 0 :: v_dual_mov_b32 v18, 0
	;; [unrolled: 1-line block ×3, first 2 shown]
	s_wait_xcnt 0x0
	s_and_saveexec_b32 s7, s0
	s_cbranch_execz .LBB10_29
; %bb.10:
	global_load_u8 v17, v[4:5], off offset:1536
	v_or_b32_e32 v7, 0x700, v0
	v_dual_mov_b32 v12, 0 :: v_dual_mov_b32 v11, 0
	v_dual_mov_b32 v9, 0 :: v_dual_mov_b32 v8, 0
	s_delay_alu instid0(VALU_DEP_3)
	v_cmp_gt_u32_e64 s0, s12, v7
	v_dual_mov_b32 v7, 0 :: v_dual_mov_b32 v16, 0
	v_dual_mov_b32 v18, 0 :: v_dual_mov_b32 v14, 0
	v_mov_b32_e32 v10, 0
	s_wait_xcnt 0x0
	s_and_saveexec_b32 s10, s0
	s_cbranch_execz .LBB10_28
; %bb.11:
	global_load_u8 v12, v[4:5], off offset:1792
	v_or_b32_e32 v7, 0x800, v0
	v_dual_mov_b32 v11, 0 :: v_dual_mov_b32 v9, 0
	v_dual_mov_b32 v8, 0 :: v_dual_mov_b32 v16, 0
	v_mov_b32_e32 v18, 0
	s_delay_alu instid0(VALU_DEP_4)
	v_cmp_gt_u32_e64 s0, s12, v7
	v_dual_mov_b32 v7, 0 :: v_dual_mov_b32 v14, 0
	v_mov_b32_e32 v10, 0
	s_wait_xcnt 0x0
	s_and_saveexec_b32 s11, s0
	s_cbranch_execz .LBB10_27
; %bb.12:
	global_load_u8 v11, v[4:5], off offset:2048
	v_or_b32_e32 v7, 0x900, v0
	v_dual_mov_b32 v9, 0 :: v_dual_mov_b32 v8, 0
	v_dual_mov_b32 v18, 0 :: v_dual_mov_b32 v14, 0
	s_delay_alu instid0(VALU_DEP_3)
	v_cmp_gt_u32_e64 s0, s12, v7
	v_dual_mov_b32 v7, 0 :: v_dual_mov_b32 v16, 0
	v_mov_b32_e32 v10, 0
	s_wait_xcnt 0x0
	s_and_saveexec_b32 s15, s0
	s_cbranch_execz .LBB10_26
; %bb.13:
	global_load_u8 v9, v[4:5], off offset:2304
	v_or_b32_e32 v7, 0xa00, v0
	v_dual_mov_b32 v8, 0 :: v_dual_mov_b32 v16, 0
	v_dual_mov_b32 v18, 0 :: v_dual_mov_b32 v14, 0
	v_mov_b32_e32 v10, 0
	s_delay_alu instid0(VALU_DEP_4)
	v_cmp_gt_u32_e64 s0, s12, v7
	v_mov_b32_e32 v7, 0
	s_wait_xcnt 0x0
	s_and_saveexec_b32 s17, s0
	s_cbranch_execz .LBB10_25
; %bb.14:
	global_load_u8 v8, v[4:5], off offset:2560
	v_or_b32_e32 v7, 0xb00, v0
	v_dual_mov_b32 v18, 0 :: v_dual_mov_b32 v14, 0
	v_dual_mov_b32 v10, 0 :: v_dual_mov_b32 v16, 0
	s_delay_alu instid0(VALU_DEP_3)
	v_cmp_gt_u32_e64 s0, s12, v7
	v_mov_b32_e32 v7, 0
	s_wait_xcnt 0x0
	s_and_saveexec_b32 s18, s0
	s_cbranch_execz .LBB10_24
; %bb.15:
	global_load_u8 v7, v[4:5], off offset:2816
	v_or_b32_e32 v10, 0xc00, v0
	v_dual_mov_b32 v16, 0 :: v_dual_mov_b32 v18, 0
	v_mov_b32_e32 v14, 0
	s_delay_alu instid0(VALU_DEP_3)
	v_cmp_gt_u32_e64 s0, s12, v10
	v_mov_b32_e32 v10, 0
	s_wait_xcnt 0x0
	s_and_saveexec_b32 s19, s0
	s_cbranch_execz .LBB10_23
; %bb.16:
	global_load_u8 v16, v[4:5], off offset:3072
	v_or_b32_e32 v10, 0xd00, v0
	v_dual_mov_b32 v18, 0 :: v_dual_mov_b32 v14, 0
	s_delay_alu instid0(VALU_DEP_2)
	v_cmp_gt_u32_e64 s0, s12, v10
	v_mov_b32_e32 v10, 0
	s_wait_xcnt 0x0
	s_and_saveexec_b32 s20, s0
	s_cbranch_execz .LBB10_22
; %bb.17:
	global_load_u8 v18, v[4:5], off offset:3328
	v_or_b32_e32 v10, 0xe00, v0
	v_mov_b32_e32 v14, 0
	s_delay_alu instid0(VALU_DEP_2)
	v_cmp_gt_u32_e64 s0, s12, v10
	v_mov_b32_e32 v10, 0
	s_wait_xcnt 0x0
	s_and_saveexec_b32 s21, s0
	s_cbranch_execz .LBB10_21
; %bb.18:
	global_load_u8 v14, v[4:5], off offset:3584
	v_or_b32_e32 v10, 0xf00, v0
	s_delay_alu instid0(VALU_DEP_1)
	v_cmp_gt_u32_e64 s0, s12, v10
	v_mov_b32_e32 v10, 0
	s_wait_xcnt 0x0
	s_and_saveexec_b32 s22, s0
	s_cbranch_execz .LBB10_20
; %bb.19:
	global_load_u8 v10, v[4:5], off offset:3840
.LBB10_20:
	s_wait_xcnt 0x0
	s_or_b32 exec_lo, exec_lo, s22
.LBB10_21:
	s_delay_alu instid0(SALU_CYCLE_1)
	s_or_b32 exec_lo, exec_lo, s21
.LBB10_22:
	s_delay_alu instid0(SALU_CYCLE_1)
	s_or_b32 exec_lo, exec_lo, s20
.LBB10_23:
	s_delay_alu instid0(SALU_CYCLE_1)
	s_or_b32 exec_lo, exec_lo, s19
.LBB10_24:
	s_delay_alu instid0(SALU_CYCLE_1)
	s_or_b32 exec_lo, exec_lo, s18
.LBB10_25:
	s_delay_alu instid0(SALU_CYCLE_1)
	s_or_b32 exec_lo, exec_lo, s17
.LBB10_26:
	s_delay_alu instid0(SALU_CYCLE_1)
	s_or_b32 exec_lo, exec_lo, s15
.LBB10_27:
	s_delay_alu instid0(SALU_CYCLE_1)
	s_or_b32 exec_lo, exec_lo, s11
.LBB10_28:
	s_delay_alu instid0(SALU_CYCLE_1)
	s_or_b32 exec_lo, exec_lo, s10
.LBB10_29:
	s_delay_alu instid0(SALU_CYCLE_1)
	s_or_b32 exec_lo, exec_lo, s7
.LBB10_30:
	s_delay_alu instid0(SALU_CYCLE_1)
	s_or_b32 exec_lo, exec_lo, s6
.LBB10_31:
	s_delay_alu instid0(SALU_CYCLE_1)
	s_or_b32 exec_lo, exec_lo, s5
.LBB10_32:
	s_delay_alu instid0(SALU_CYCLE_1)
	s_or_b32 exec_lo, exec_lo, s4
	s_wait_loadcnt 0x0
	v_dual_mov_b32 v4, v3 :: v_dual_mov_b32 v3, v2
.LBB10_33:
	s_or_b32 exec_lo, exec_lo, s3
.LBB10_34:
	s_delay_alu instid0(SALU_CYCLE_1)
	s_or_b32 exec_lo, exec_lo, s2
.LBB10_35:
	s_delay_alu instid0(SALU_CYCLE_1)
	s_or_b32 exec_lo, exec_lo, s1
	v_and_b32_e32 v2, 0xff, v20
	s_cmp_eq_u32 s13, 0
	v_and_b32_e32 v5, 0xff, v19
	s_cselect_b32 s4, -1, 0
	s_and_b32 s5, s14, 0xff
	s_wait_loadcnt 0x0
	v_and_b32_e32 v13, 0xff, v13
	v_cmp_ne_u16_e64 s0, s5, v2
	v_and_b32_e32 v2, 0xff, v15
	v_and_b32_e32 v3, 0xff, v3
	;; [unrolled: 1-line block ×3, first 2 shown]
	v_cmp_ne_u16_e64 s2, s5, v13
	s_xor_b32 s0, s4, s0
	v_cmp_ne_u16_e64 s1, s5, v2
	v_cndmask_b32_e64 v15, 0, 1, s0
	v_cmp_ne_u16_e64 s0, s5, v5
	v_or_b32_e32 v5, 0x400, v0
	v_and_b32_e32 v4, 0xff, v4
	v_and_b32_e32 v12, 0xff, v12
	v_bitop3_b16 v2, v15, 0, 0xff00 bitop3:0xf8
	s_xor_b32 s0, s4, s0
	v_and_b32_e32 v16, 0xff, v16
	v_cndmask_b32_e64 v13, 0, 1, s0
	s_xor_b32 s0, s4, s1
	v_and_b32_e32 v2, 0xffff, v2
	v_cndmask_b32_e64 v15, 0, 1, s0
	s_xor_b32 s0, s4, s2
	v_lshlrev_b16 v13, 8, v13
	v_cndmask_b32_e64 v19, 0, 1, s0
	v_cmp_gt_i32_e64 s0, s12, v5
	v_cndmask_b32_e32 v5, 0, v15, vcc_lo
	v_cmp_ne_u16_e64 s1, s5, v17
	v_and_b32_e32 v9, 0xff, v9
	v_lshlrev_b16 v15, 8, v19
	v_cndmask_b32_e64 v2, 0, v2, s0
	v_cmp_ne_u16_e64 s0, s5, v3
	v_or_b32_e32 v3, 0x500, v0
	v_cmp_ne_u16_e64 s3, s5, v9
	v_and_b32_e32 v11, 0xff, v11
	v_bitop3_b16 v13, v2, v13, 0xff bitop3:0xec
	s_xor_b32 s0, s4, s0
	v_and_b32_e32 v8, 0xff, v8
	v_cndmask_b32_e64 v17, 0, 1, s0
	v_cmp_gt_i32_e64 s0, s12, v3
	v_and_b32_e32 v13, 0xffff, v13
	v_or_b32_e32 v15, v5, v15
	v_and_b32_e32 v14, 0xff, v14
	v_and_b32_e32 v7, 0xff, v7
	;; [unrolled: 1-line block ×3, first 2 shown]
	v_cndmask_b32_e64 v2, v2, v13, s0
	s_xor_b32 s0, s4, s1
	v_and_b32_e32 v15, 0xffff, v15
	v_cndmask_b32_e64 v3, 0, 1, s0
	v_cmp_gt_i32_e64 s0, s12, v1
	s_delay_alu instid0(VALU_DEP_1) | instskip(SKIP_2) | instid1(VALU_DEP_3)
	v_dual_lshrrev_b32 v13, 16, v2 :: v_dual_cndmask_b32 v5, v5, v15, s0
	v_cmp_ne_u16_e64 s0, s5, v4
	v_or_b32_e32 v4, 0x200, v0
	v_bitop3_b16 v3, v3, v13, 0xff00 bitop3:0xf8
	s_delay_alu instid0(VALU_DEP_4) | instskip(SKIP_4) | instid1(VALU_DEP_2)
	v_lshl_or_b32 v15, v17, 16, v5
	s_xor_b32 s0, s4, s0
	v_or_b32_e32 v17, 0xd00, v0
	v_cndmask_b32_e64 v13, 0, 1, s0
	v_cmp_gt_i32_e64 s0, s12, v4
	v_lshlrev_b16 v13, 8, v13
	s_delay_alu instid0(VALU_DEP_2) | instskip(SKIP_2) | instid1(VALU_DEP_3)
	v_cndmask_b32_e64 v4, v5, v15, s0
	v_cmp_ne_u16_e64 s0, s5, v12
	v_or_b32_e32 v5, 0x600, v0
	v_dual_lshlrev_b32 v3, 16, v3 :: v_dual_lshrrev_b32 v15, 16, v4
	s_xor_b32 s0, s4, s0
	s_delay_alu instid0(VALU_DEP_2)
	v_cmp_gt_i32_e64 s1, s12, v5
	v_cndmask_b32_e64 v5, 0, 1, s0
	v_cmp_ne_u16_e64 s0, s5, v16
	v_and_or_b32 v3, 0xffff, v2, v3
	v_bitop3_b16 v12, v15, v13, 0xff bitop3:0xec
	v_or_b32_e32 v15, 0x800, v0
	v_lshlrev_b16 v5, 8, v5
	s_xor_b32 s0, s4, s0
	s_delay_alu instid0(SALU_CYCLE_1) | instskip(SKIP_4) | instid1(VALU_DEP_3)
	v_cndmask_b32_e64 v9, 0, 1, s0
	v_cndmask_b32_e64 v2, v2, v3, s1
	v_and_b32_e32 v3, 0xff, v18
	v_cmp_ne_u16_e64 s1, s5, v11
	v_lshlrev_b32_e32 v12, 16, v12
	v_cmp_ne_u16_e64 s2, s5, v3
	v_or_b32_e32 v3, 0xc00, v0
	s_delay_alu instid0(VALU_DEP_3) | instskip(SKIP_1) | instid1(SALU_CYCLE_1)
	v_and_or_b32 v12, 0xffff, v4, v12
	s_xor_b32 s0, s4, s2
	v_cndmask_b32_e64 v11, 0, 1, s0
	s_xor_b32 s0, s4, s1
	v_cmp_gt_i32_e64 s1, s12, v17
	v_cndmask_b32_e64 v16, 0, 1, s0
	v_cmp_gt_i32_e64 s0, s12, v3
	s_delay_alu instid0(VALU_DEP_1) | instskip(SKIP_2) | instid1(SALU_CYCLE_1)
	v_cndmask_b32_e64 v3, 0, v9, s0
	v_lshlrev_b16 v9, 8, v11
	s_xor_b32 s0, s4, s3
	v_cndmask_b32_e64 v11, 0, 1, s0
	v_cmp_gt_i32_e64 s0, s12, v15
	s_delay_alu instid0(VALU_DEP_3) | instskip(SKIP_1) | instid1(VALU_DEP_4)
	v_bitop3_b16 v9, v3, v9, 0xff bitop3:0xec
	v_lshrrev_b32_e32 v13, 16, v2
	v_lshlrev_b16 v11, 8, v11
	s_delay_alu instid0(VALU_DEP_4) | instskip(NEXT) | instid1(VALU_DEP_4)
	v_cndmask_b32_e64 v15, 0, v16, s0
	v_and_b32_e32 v9, 0xffff, v9
	v_cmp_ne_u16_e64 s0, s5, v8
	v_or_b32_e32 v16, 0x900, v0
	v_bitop3_b16 v5, v13, v5, 0xff bitop3:0xec
	v_or_b32_e32 v13, 0x300, v0
	v_cndmask_b32_e64 v3, v3, v9, s1
	v_cmp_ne_u16_e64 s1, s5, v14
	s_xor_b32 s0, s4, s0
	s_delay_alu instid0(SALU_CYCLE_1) | instskip(SKIP_1) | instid1(SALU_CYCLE_1)
	v_cndmask_b32_e64 v9, 0, 1, s0
	s_xor_b32 s0, s4, s1
	v_cndmask_b32_e64 v14, 0, 1, s0
	v_cmp_gt_i32_e64 s0, s12, v16
	s_delay_alu instid0(VALU_DEP_3) | instskip(NEXT) | instid1(VALU_DEP_1)
	v_dual_lshlrev_b32 v9, 16, v9 :: v_dual_bitop2_b32 v11, v15, v11 bitop3:0x54
	v_and_b32_e32 v8, 0xffff, v11
	s_delay_alu instid0(VALU_DEP_1) | instskip(SKIP_1) | instid1(VALU_DEP_2)
	v_cndmask_b32_e64 v8, v15, v8, s0
	v_cmp_ne_u16_e64 s0, s5, v7
	v_and_or_b32 v9, 0x1ff, v8, v9
	v_lshrrev_b32_e32 v11, 16, v3
	s_xor_b32 s0, s4, s0
	s_delay_alu instid0(VALU_DEP_1) | instskip(SKIP_1) | instid1(VALU_DEP_1)
	v_bitop3_b16 v11, v14, v11, 0xff00 bitop3:0xf8
	v_or_b32_e32 v14, 0xa00, v0
	v_cmp_gt_i32_e64 s1, s12, v14
	s_delay_alu instid0(VALU_DEP_1) | instskip(SKIP_3) | instid1(VALU_DEP_3)
	v_dual_cndmask_b32 v8, v8, v9, s1 :: v_dual_lshlrev_b32 v7, 16, v11
	v_or_b32_e32 v9, 0xe00, v0
	v_cmp_ne_u16_e64 s1, s5, v10
	v_cndmask_b32_e64 v10, 0, 1, s0
	v_cmp_gt_i32_e64 s0, s12, v9
	v_lshrrev_b32_e32 v9, 16, v8
	v_and_or_b32 v7, 0xffff, v3, v7
	s_delay_alu instid0(VALU_DEP_4) | instskip(NEXT) | instid1(VALU_DEP_2)
	v_lshlrev_b16 v10, 8, v10
	v_cndmask_b32_e64 v7, v3, v7, s0
	s_xor_b32 s0, s4, s1
	s_delay_alu instid0(VALU_DEP_2)
	v_bitop3_b16 v9, v9, v10, 0xff bitop3:0xec
	v_cndmask_b32_e64 v3, 0, 1, s0
	v_lshlrev_b32_e32 v10, 16, v5
	v_cmp_gt_i32_e64 s0, s12, v13
	v_lshrrev_b32_e32 v11, 16, v7
	v_or_b32_e32 v13, 0xf00, v0
	v_lshlrev_b16 v3, 8, v3
	v_and_or_b32 v10, 0xffff, v2, v10
	v_cndmask_b32_e64 v5, v4, v12, s0
	s_delay_alu instid0(VALU_DEP_3) | instskip(SKIP_3) | instid1(VALU_DEP_4)
	v_bitop3_b16 v3, v11, v3, 0xff bitop3:0xec
	v_lshlrev_b32_e32 v4, 16, v9
	v_or_b32_e32 v9, 0x700, v0
	v_or_b32_e32 v11, 0xb00, v0
	v_lshlrev_b32_e32 v3, 16, v3
	s_delay_alu instid0(VALU_DEP_4) | instskip(NEXT) | instid1(VALU_DEP_4)
	v_and_or_b32 v12, 0xffff, v8, v4
	v_cmp_gt_i32_e64 s0, s12, v9
	s_delay_alu instid0(VALU_DEP_3) | instskip(NEXT) | instid1(VALU_DEP_2)
	v_and_or_b32 v14, 0xffff, v7, v3
	v_cndmask_b32_e64 v4, v2, v10, s0
	v_cmp_gt_i32_e64 s0, s12, v11
	s_delay_alu instid0(VALU_DEP_1) | instskip(SKIP_1) | instid1(VALU_DEP_1)
	v_cndmask_b32_e64 v3, v8, v12, s0
	v_cmp_gt_i32_e64 s0, s12, v13
	v_cndmask_b32_e64 v2, v7, v14, s0
	s_and_saveexec_b32 s0, vcc_lo
	s_cbranch_execnz .LBB10_53
; %bb.36:
	s_or_b32 exec_lo, exec_lo, s0
	s_delay_alu instid0(SALU_CYCLE_1)
	s_mov_b32 s0, exec_lo
	v_cmpx_gt_i32_e64 s12, v0
	s_cbranch_execnz .LBB10_54
.LBB10_37:
	s_or_b32 exec_lo, exec_lo, s0
	s_delay_alu instid0(SALU_CYCLE_1)
	s_mov_b32 s0, exec_lo
	v_cmpx_gt_i32_e64 s12, v0
	s_cbranch_execnz .LBB10_55
.LBB10_38:
	s_or_b32 exec_lo, exec_lo, s0
	s_delay_alu instid0(SALU_CYCLE_1)
	s_mov_b32 s0, exec_lo
	v_cmpx_gt_i32_e64 s12, v0
	s_cbranch_execnz .LBB10_56
.LBB10_39:
	s_or_b32 exec_lo, exec_lo, s0
	s_delay_alu instid0(SALU_CYCLE_1)
	s_mov_b32 s0, exec_lo
	v_cmpx_gt_i32_e64 s12, v0
	s_cbranch_execnz .LBB10_57
.LBB10_40:
	s_or_b32 exec_lo, exec_lo, s0
	s_delay_alu instid0(SALU_CYCLE_1)
	s_mov_b32 s0, exec_lo
	v_cmpx_gt_i32_e64 s12, v0
	s_cbranch_execnz .LBB10_58
.LBB10_41:
	s_or_b32 exec_lo, exec_lo, s0
	s_delay_alu instid0(SALU_CYCLE_1)
	s_mov_b32 s0, exec_lo
	v_cmpx_gt_i32_e64 s12, v0
	s_cbranch_execnz .LBB10_59
.LBB10_42:
	s_or_b32 exec_lo, exec_lo, s0
	s_delay_alu instid0(SALU_CYCLE_1)
	s_mov_b32 s0, exec_lo
	v_cmpx_gt_i32_e64 s12, v0
	s_cbranch_execnz .LBB10_60
.LBB10_43:
	s_or_b32 exec_lo, exec_lo, s0
	s_delay_alu instid0(SALU_CYCLE_1)
	s_mov_b32 s0, exec_lo
	v_cmpx_gt_i32_e64 s12, v0
	s_cbranch_execnz .LBB10_61
.LBB10_44:
	s_or_b32 exec_lo, exec_lo, s0
	s_delay_alu instid0(SALU_CYCLE_1)
	s_mov_b32 s0, exec_lo
	v_cmpx_gt_i32_e64 s12, v0
	s_cbranch_execnz .LBB10_62
.LBB10_45:
	s_or_b32 exec_lo, exec_lo, s0
	s_delay_alu instid0(SALU_CYCLE_1)
	s_mov_b32 s0, exec_lo
	v_cmpx_gt_i32_e64 s12, v0
	s_cbranch_execnz .LBB10_63
.LBB10_46:
	s_or_b32 exec_lo, exec_lo, s0
	s_delay_alu instid0(SALU_CYCLE_1)
	s_mov_b32 s0, exec_lo
	v_cmpx_gt_i32_e64 s12, v0
	s_cbranch_execnz .LBB10_64
.LBB10_47:
	s_or_b32 exec_lo, exec_lo, s0
	s_delay_alu instid0(SALU_CYCLE_1)
	s_mov_b32 s0, exec_lo
	v_cmpx_gt_i32_e64 s12, v0
	s_cbranch_execnz .LBB10_65
.LBB10_48:
	s_or_b32 exec_lo, exec_lo, s0
	s_delay_alu instid0(SALU_CYCLE_1)
	s_mov_b32 s0, exec_lo
	v_cmpx_gt_i32_e64 s12, v0
	s_cbranch_execnz .LBB10_66
.LBB10_49:
	s_or_b32 exec_lo, exec_lo, s0
	s_delay_alu instid0(SALU_CYCLE_1)
	s_mov_b32 s0, exec_lo
	v_cmpx_gt_i32_e64 s12, v0
	s_cbranch_execnz .LBB10_67
.LBB10_50:
	s_or_b32 exec_lo, exec_lo, s0
	s_delay_alu instid0(SALU_CYCLE_1)
	s_mov_b32 s0, exec_lo
	v_cmpx_gt_i32_e64 s12, v0
	s_cbranch_execz .LBB10_52
.LBB10_51:
	v_dual_lshrrev_b32 v1, 24, v2 :: v_dual_add_nc_u32 v0, s16, v0
	global_store_b8 v0, v1, s[8:9]
.LBB10_52:
	s_endpgm
.LBB10_53:
	v_mov_b32_e32 v0, v1
	global_store_b8 v6, v5, s[8:9]
	s_wait_xcnt 0x0
	s_or_b32 exec_lo, exec_lo, s0
	s_delay_alu instid0(SALU_CYCLE_1)
	s_mov_b32 s0, exec_lo
	v_cmpx_gt_i32_e64 s12, v0
	s_cbranch_execz .LBB10_37
.LBB10_54:
	v_dual_lshrrev_b32 v1, 8, v5 :: v_dual_add_nc_u32 v6, s16, v0
	v_add_nc_u32_e32 v0, 0x100, v0
	global_store_b8 v6, v1, s[8:9]
	s_wait_xcnt 0x0
	s_or_b32 exec_lo, exec_lo, s0
	s_delay_alu instid0(SALU_CYCLE_1)
	s_mov_b32 s0, exec_lo
	v_cmpx_gt_i32_e64 s12, v0
	s_cbranch_execz .LBB10_38
.LBB10_55:
	v_add_nc_u32_e32 v1, s16, v0
	v_add_nc_u32_e32 v0, 0x100, v0
	global_store_d16_hi_b8 v1, v5, s[8:9]
	s_wait_xcnt 0x0
	s_or_b32 exec_lo, exec_lo, s0
	s_delay_alu instid0(SALU_CYCLE_1)
	s_mov_b32 s0, exec_lo
	v_cmpx_gt_i32_e64 s12, v0
	s_cbranch_execz .LBB10_39
.LBB10_56:
	v_dual_lshrrev_b32 v1, 24, v5 :: v_dual_add_nc_u32 v5, s16, v0
	v_add_nc_u32_e32 v0, 0x100, v0
	global_store_b8 v5, v1, s[8:9]
	s_wait_xcnt 0x0
	s_or_b32 exec_lo, exec_lo, s0
	s_delay_alu instid0(SALU_CYCLE_1)
	s_mov_b32 s0, exec_lo
	v_cmpx_gt_i32_e64 s12, v0
	s_cbranch_execz .LBB10_40
.LBB10_57:
	v_add_nc_u32_e32 v1, s16, v0
	v_add_nc_u32_e32 v0, 0x100, v0
	global_store_b8 v1, v4, s[8:9]
	s_wait_xcnt 0x0
	s_or_b32 exec_lo, exec_lo, s0
	s_delay_alu instid0(SALU_CYCLE_1)
	s_mov_b32 s0, exec_lo
	v_cmpx_gt_i32_e64 s12, v0
	s_cbranch_execz .LBB10_41
.LBB10_58:
	v_lshrrev_b32_e32 v1, 8, v4
	v_add_nc_u32_e32 v5, s16, v0
	v_add_nc_u32_e32 v0, 0x100, v0
	global_store_b8 v5, v1, s[8:9]
	s_wait_xcnt 0x0
	s_or_b32 exec_lo, exec_lo, s0
	s_delay_alu instid0(SALU_CYCLE_1)
	s_mov_b32 s0, exec_lo
	v_cmpx_gt_i32_e64 s12, v0
	s_cbranch_execz .LBB10_42
.LBB10_59:
	v_add_nc_u32_e32 v1, s16, v0
	v_add_nc_u32_e32 v0, 0x100, v0
	global_store_d16_hi_b8 v1, v4, s[8:9]
	s_wait_xcnt 0x0
	s_or_b32 exec_lo, exec_lo, s0
	s_delay_alu instid0(SALU_CYCLE_1)
	s_mov_b32 s0, exec_lo
	v_cmpx_gt_i32_e64 s12, v0
	s_cbranch_execz .LBB10_43
.LBB10_60:
	v_lshrrev_b32_e32 v1, 24, v4
	v_add_nc_u32_e32 v4, s16, v0
	v_add_nc_u32_e32 v0, 0x100, v0
	global_store_b8 v4, v1, s[8:9]
	s_wait_xcnt 0x0
	s_or_b32 exec_lo, exec_lo, s0
	s_delay_alu instid0(SALU_CYCLE_1)
	s_mov_b32 s0, exec_lo
	v_cmpx_gt_i32_e64 s12, v0
	s_cbranch_execz .LBB10_44
.LBB10_61:
	v_add_nc_u32_e32 v1, s16, v0
	v_add_nc_u32_e32 v0, 0x100, v0
	global_store_b8 v1, v3, s[8:9]
	s_wait_xcnt 0x0
	s_or_b32 exec_lo, exec_lo, s0
	s_delay_alu instid0(SALU_CYCLE_1)
	s_mov_b32 s0, exec_lo
	v_cmpx_gt_i32_e64 s12, v0
	s_cbranch_execz .LBB10_45
.LBB10_62:
	v_dual_lshrrev_b32 v1, 8, v3 :: v_dual_add_nc_u32 v4, s16, v0
	v_add_nc_u32_e32 v0, 0x100, v0
	global_store_b8 v4, v1, s[8:9]
	s_wait_xcnt 0x0
	s_or_b32 exec_lo, exec_lo, s0
	s_delay_alu instid0(SALU_CYCLE_1)
	s_mov_b32 s0, exec_lo
	v_cmpx_gt_i32_e64 s12, v0
	s_cbranch_execz .LBB10_46
.LBB10_63:
	v_add_nc_u32_e32 v1, s16, v0
	v_add_nc_u32_e32 v0, 0x100, v0
	global_store_d16_hi_b8 v1, v3, s[8:9]
	s_wait_xcnt 0x0
	s_or_b32 exec_lo, exec_lo, s0
	s_delay_alu instid0(SALU_CYCLE_1)
	s_mov_b32 s0, exec_lo
	v_cmpx_gt_i32_e64 s12, v0
	s_cbranch_execz .LBB10_47
.LBB10_64:
	v_dual_lshrrev_b32 v1, 24, v3 :: v_dual_add_nc_u32 v3, s16, v0
	v_add_nc_u32_e32 v0, 0x100, v0
	global_store_b8 v3, v1, s[8:9]
	s_wait_xcnt 0x0
	s_or_b32 exec_lo, exec_lo, s0
	s_delay_alu instid0(SALU_CYCLE_1)
	s_mov_b32 s0, exec_lo
	v_cmpx_gt_i32_e64 s12, v0
	s_cbranch_execz .LBB10_48
.LBB10_65:
	v_add_nc_u32_e32 v1, s16, v0
	v_add_nc_u32_e32 v0, 0x100, v0
	global_store_b8 v1, v2, s[8:9]
	s_wait_xcnt 0x0
	s_or_b32 exec_lo, exec_lo, s0
	s_delay_alu instid0(SALU_CYCLE_1)
	s_mov_b32 s0, exec_lo
	v_cmpx_gt_i32_e64 s12, v0
	s_cbranch_execz .LBB10_49
.LBB10_66:
	v_dual_lshrrev_b32 v1, 8, v2 :: v_dual_add_nc_u32 v3, s16, v0
	v_add_nc_u32_e32 v0, 0x100, v0
	global_store_b8 v3, v1, s[8:9]
	s_wait_xcnt 0x0
	s_or_b32 exec_lo, exec_lo, s0
	s_delay_alu instid0(SALU_CYCLE_1)
	s_mov_b32 s0, exec_lo
	v_cmpx_gt_i32_e64 s12, v0
	s_cbranch_execz .LBB10_50
.LBB10_67:
	v_add_nc_u32_e32 v1, s16, v0
	v_add_nc_u32_e32 v0, 0x100, v0
	global_store_d16_hi_b8 v1, v2, s[8:9]
	s_wait_xcnt 0x0
	s_or_b32 exec_lo, exec_lo, s0
	s_delay_alu instid0(SALU_CYCLE_1)
	s_mov_b32 s0, exec_lo
	v_cmpx_gt_i32_e64 s12, v0
	s_cbranch_execnz .LBB10_51
	s_branch .LBB10_52
	.section	.rodata,"a",@progbits
	.p2align	6, 0x0
	.amdhsa_kernel _ZN2at6native29vectorized_elementwise_kernelILi4ENS0_13AUnaryFunctorIhhbNS0_12_GLOBAL__N_116CompareEqFunctorIhEEEESt5arrayIPcLm2EEEEviT0_T1_
		.amdhsa_group_segment_fixed_size 0
		.amdhsa_private_segment_fixed_size 0
		.amdhsa_kernarg_size 32
		.amdhsa_user_sgpr_count 2
		.amdhsa_user_sgpr_dispatch_ptr 0
		.amdhsa_user_sgpr_queue_ptr 0
		.amdhsa_user_sgpr_kernarg_segment_ptr 1
		.amdhsa_user_sgpr_dispatch_id 0
		.amdhsa_user_sgpr_kernarg_preload_length 0
		.amdhsa_user_sgpr_kernarg_preload_offset 0
		.amdhsa_user_sgpr_private_segment_size 0
		.amdhsa_wavefront_size32 1
		.amdhsa_uses_dynamic_stack 0
		.amdhsa_enable_private_segment 0
		.amdhsa_system_sgpr_workgroup_id_x 1
		.amdhsa_system_sgpr_workgroup_id_y 0
		.amdhsa_system_sgpr_workgroup_id_z 0
		.amdhsa_system_sgpr_workgroup_info 0
		.amdhsa_system_vgpr_workitem_id 0
		.amdhsa_next_free_vgpr 21
		.amdhsa_next_free_sgpr 23
		.amdhsa_named_barrier_count 0
		.amdhsa_reserve_vcc 1
		.amdhsa_float_round_mode_32 0
		.amdhsa_float_round_mode_16_64 0
		.amdhsa_float_denorm_mode_32 3
		.amdhsa_float_denorm_mode_16_64 3
		.amdhsa_fp16_overflow 0
		.amdhsa_memory_ordered 1
		.amdhsa_forward_progress 1
		.amdhsa_inst_pref_size 39
		.amdhsa_round_robin_scheduling 0
		.amdhsa_exception_fp_ieee_invalid_op 0
		.amdhsa_exception_fp_denorm_src 0
		.amdhsa_exception_fp_ieee_div_zero 0
		.amdhsa_exception_fp_ieee_overflow 0
		.amdhsa_exception_fp_ieee_underflow 0
		.amdhsa_exception_fp_ieee_inexact 0
		.amdhsa_exception_int_div_zero 0
	.end_amdhsa_kernel
	.section	.text._ZN2at6native29vectorized_elementwise_kernelILi4ENS0_13AUnaryFunctorIhhbNS0_12_GLOBAL__N_116CompareEqFunctorIhEEEESt5arrayIPcLm2EEEEviT0_T1_,"axG",@progbits,_ZN2at6native29vectorized_elementwise_kernelILi4ENS0_13AUnaryFunctorIhhbNS0_12_GLOBAL__N_116CompareEqFunctorIhEEEESt5arrayIPcLm2EEEEviT0_T1_,comdat
.Lfunc_end10:
	.size	_ZN2at6native29vectorized_elementwise_kernelILi4ENS0_13AUnaryFunctorIhhbNS0_12_GLOBAL__N_116CompareEqFunctorIhEEEESt5arrayIPcLm2EEEEviT0_T1_, .Lfunc_end10-_ZN2at6native29vectorized_elementwise_kernelILi4ENS0_13AUnaryFunctorIhhbNS0_12_GLOBAL__N_116CompareEqFunctorIhEEEESt5arrayIPcLm2EEEEviT0_T1_
                                        ; -- End function
	.set _ZN2at6native29vectorized_elementwise_kernelILi4ENS0_13AUnaryFunctorIhhbNS0_12_GLOBAL__N_116CompareEqFunctorIhEEEESt5arrayIPcLm2EEEEviT0_T1_.num_vgpr, 21
	.set _ZN2at6native29vectorized_elementwise_kernelILi4ENS0_13AUnaryFunctorIhhbNS0_12_GLOBAL__N_116CompareEqFunctorIhEEEESt5arrayIPcLm2EEEEviT0_T1_.num_agpr, 0
	.set _ZN2at6native29vectorized_elementwise_kernelILi4ENS0_13AUnaryFunctorIhhbNS0_12_GLOBAL__N_116CompareEqFunctorIhEEEESt5arrayIPcLm2EEEEviT0_T1_.numbered_sgpr, 23
	.set _ZN2at6native29vectorized_elementwise_kernelILi4ENS0_13AUnaryFunctorIhhbNS0_12_GLOBAL__N_116CompareEqFunctorIhEEEESt5arrayIPcLm2EEEEviT0_T1_.num_named_barrier, 0
	.set _ZN2at6native29vectorized_elementwise_kernelILi4ENS0_13AUnaryFunctorIhhbNS0_12_GLOBAL__N_116CompareEqFunctorIhEEEESt5arrayIPcLm2EEEEviT0_T1_.private_seg_size, 0
	.set _ZN2at6native29vectorized_elementwise_kernelILi4ENS0_13AUnaryFunctorIhhbNS0_12_GLOBAL__N_116CompareEqFunctorIhEEEESt5arrayIPcLm2EEEEviT0_T1_.uses_vcc, 1
	.set _ZN2at6native29vectorized_elementwise_kernelILi4ENS0_13AUnaryFunctorIhhbNS0_12_GLOBAL__N_116CompareEqFunctorIhEEEESt5arrayIPcLm2EEEEviT0_T1_.uses_flat_scratch, 0
	.set _ZN2at6native29vectorized_elementwise_kernelILi4ENS0_13AUnaryFunctorIhhbNS0_12_GLOBAL__N_116CompareEqFunctorIhEEEESt5arrayIPcLm2EEEEviT0_T1_.has_dyn_sized_stack, 0
	.set _ZN2at6native29vectorized_elementwise_kernelILi4ENS0_13AUnaryFunctorIhhbNS0_12_GLOBAL__N_116CompareEqFunctorIhEEEESt5arrayIPcLm2EEEEviT0_T1_.has_recursion, 0
	.set _ZN2at6native29vectorized_elementwise_kernelILi4ENS0_13AUnaryFunctorIhhbNS0_12_GLOBAL__N_116CompareEqFunctorIhEEEESt5arrayIPcLm2EEEEviT0_T1_.has_indirect_call, 0
	.section	.AMDGPU.csdata,"",@progbits
; Kernel info:
; codeLenInByte = 4916
; TotalNumSgprs: 25
; NumVgprs: 21
; ScratchSize: 0
; MemoryBound: 0
; FloatMode: 240
; IeeeMode: 1
; LDSByteSize: 0 bytes/workgroup (compile time only)
; SGPRBlocks: 0
; VGPRBlocks: 1
; NumSGPRsForWavesPerEU: 25
; NumVGPRsForWavesPerEU: 21
; NamedBarCnt: 0
; Occupancy: 16
; WaveLimiterHint : 1
; COMPUTE_PGM_RSRC2:SCRATCH_EN: 0
; COMPUTE_PGM_RSRC2:USER_SGPR: 2
; COMPUTE_PGM_RSRC2:TRAP_HANDLER: 0
; COMPUTE_PGM_RSRC2:TGID_X_EN: 1
; COMPUTE_PGM_RSRC2:TGID_Y_EN: 0
; COMPUTE_PGM_RSRC2:TGID_Z_EN: 0
; COMPUTE_PGM_RSRC2:TIDIG_COMP_CNT: 0
	.section	.text._ZN2at6native29vectorized_elementwise_kernelILi2ENS0_13AUnaryFunctorIhhbNS0_12_GLOBAL__N_116CompareEqFunctorIhEEEESt5arrayIPcLm2EEEEviT0_T1_,"axG",@progbits,_ZN2at6native29vectorized_elementwise_kernelILi2ENS0_13AUnaryFunctorIhhbNS0_12_GLOBAL__N_116CompareEqFunctorIhEEEESt5arrayIPcLm2EEEEviT0_T1_,comdat
	.globl	_ZN2at6native29vectorized_elementwise_kernelILi2ENS0_13AUnaryFunctorIhhbNS0_12_GLOBAL__N_116CompareEqFunctorIhEEEESt5arrayIPcLm2EEEEviT0_T1_ ; -- Begin function _ZN2at6native29vectorized_elementwise_kernelILi2ENS0_13AUnaryFunctorIhhbNS0_12_GLOBAL__N_116CompareEqFunctorIhEEEESt5arrayIPcLm2EEEEviT0_T1_
	.p2align	8
	.type	_ZN2at6native29vectorized_elementwise_kernelILi2ENS0_13AUnaryFunctorIhhbNS0_12_GLOBAL__N_116CompareEqFunctorIhEEEESt5arrayIPcLm2EEEEviT0_T1_,@function
_ZN2at6native29vectorized_elementwise_kernelILi2ENS0_13AUnaryFunctorIhhbNS0_12_GLOBAL__N_116CompareEqFunctorIhEEEESt5arrayIPcLm2EEEEviT0_T1_: ; @_ZN2at6native29vectorized_elementwise_kernelILi2ENS0_13AUnaryFunctorIhhbNS0_12_GLOBAL__N_116CompareEqFunctorIhEEEESt5arrayIPcLm2EEEEviT0_T1_
; %bb.0:
	s_clause 0x1
	s_load_b96 s[20:22], s[0:1], 0x0
	s_load_b128 s[16:19], s[0:1], 0x10
	s_wait_xcnt 0x0
	s_bfe_u32 s0, ttmp6, 0x4000c
	s_and_b32 s1, ttmp6, 15
	s_add_co_i32 s0, s0, 1
	s_getreg_b32 s2, hwreg(HW_REG_IB_STS2, 6, 4)
	s_mul_i32 s0, ttmp9, s0
	s_delay_alu instid0(SALU_CYCLE_1) | instskip(SKIP_2) | instid1(SALU_CYCLE_1)
	s_add_co_i32 s1, s1, s0
	s_cmp_eq_u32 s2, 0
	s_cselect_b32 s0, ttmp9, s1
	s_lshl_b32 s24, s0, 12
	s_wait_kmcnt 0x0
	s_sub_co_i32 s15, s20, s24
	s_mov_b32 s20, -1
	s_cmp_gt_i32 s15, 0xfff
	s_cbranch_scc0 .LBB11_2
; %bb.1:
	s_ashr_i32 s25, s24, 31
	s_cmp_eq_u32 s21, 0
	s_add_nc_u64 s[0:1], s[18:19], s[24:25]
	s_cselect_b32 s23, -1, 0
	s_clause 0x7
	global_load_u16 v1, v0, s[0:1] scale_offset
	global_load_u16 v2, v0, s[0:1] offset:512 scale_offset
	global_load_u16 v3, v0, s[0:1] offset:1024 scale_offset
	;; [unrolled: 1-line block ×7, first 2 shown]
	s_and_b32 s14, s22, 0xff
	s_add_nc_u64 s[26:27], s[16:17], s[24:25]
	s_mov_b32 s20, 0
	s_wait_loadcnt 0x7
	v_and_b32_e32 v9, 0xff, v1
	v_lshrrev_b16 v1, 8, v1
	s_wait_loadcnt 0x6
	v_and_b32_e32 v10, 0xff, v2
	v_lshrrev_b16 v2, 8, v2
	;; [unrolled: 3-line block ×3, first 2 shown]
	s_wait_xcnt 0x0
	v_cmp_ne_u16_e64 s0, s14, v1
	v_cmp_ne_u16_e64 s1, s14, v10
	;; [unrolled: 1-line block ×3, first 2 shown]
	s_wait_loadcnt 0x4
	v_and_b32_e32 v12, 0xff, v4
	v_lshrrev_b16 v4, 8, v4
	s_xor_b32 s0, s23, s0
	v_cmp_ne_u16_e64 s3, s14, v11
	v_cndmask_b32_e64 v2, 0, 1, s0
	s_xor_b32 s0, s23, s1
	s_wait_loadcnt 0x3
	v_and_b32_e32 v13, 0xff, v5
	v_lshrrev_b16 v5, 8, v5
	v_cmp_ne_u16_e64 s4, s14, v3
	v_cndmask_b32_e64 v3, 0, 1, s0
	s_xor_b32 s0, s23, s2
	s_wait_loadcnt 0x2
	v_and_b32_e32 v14, 0xff, v6
	v_lshrrev_b16 v6, 8, v6
	v_cmp_ne_u16_e64 s5, s14, v12
	v_cmp_ne_u16_e64 s6, s14, v4
	v_cndmask_b32_e64 v4, 0, 1, s0
	s_xor_b32 s0, s23, s3
	s_wait_loadcnt 0x1
	v_and_b32_e32 v15, 0xff, v7
	v_lshrrev_b16 v7, 8, v7
	v_cmp_ne_u16_e64 s8, s14, v5
	v_cndmask_b32_e64 v5, 0, 1, s0
	s_xor_b32 s0, s23, s4
	s_wait_loadcnt 0x0
	v_and_b32_e32 v16, 0xff, v8
	v_lshrrev_b16 v8, 8, v8
	v_cmp_ne_u16_e64 s7, s14, v13
	v_cmp_ne_u16_e64 s10, s14, v6
	v_cndmask_b32_e64 v6, 0, 1, s0
	s_xor_b32 s0, s23, s5
	v_cmp_ne_u16_e64 s12, s14, v7
	v_cndmask_b32_e64 v7, 0, 1, s0
	s_xor_b32 s0, s23, s6
	v_cmp_ne_u16_e64 s9, s14, v14
	v_cmp_ne_u16_e32 vcc_lo, s14, v9
	v_cmp_ne_u16_e64 s11, s14, v15
	v_cmp_ne_u16_e64 s13, s14, v16
	;; [unrolled: 1-line block ×3, first 2 shown]
	v_cndmask_b32_e64 v8, 0, 1, s0
	s_xor_b32 s0, s23, s7
	s_xor_b32 s25, s23, vcc_lo
	v_cndmask_b32_e64 v9, 0, 1, s0
	s_xor_b32 s0, s23, s8
	v_cndmask_b32_e64 v1, 0, 1, s25
	v_cndmask_b32_e64 v10, 0, 1, s0
	s_xor_b32 s0, s23, s9
	v_lshlrev_b16 v2, 8, v2
	v_cndmask_b32_e64 v11, 0, 1, s0
	s_xor_b32 s0, s23, s10
	v_lshlrev_b16 v4, 8, v4
	;; [unrolled: 3-line block ×6, first 2 shown]
	v_cndmask_b32_e64 v16, 0, 1, s0
	v_lshlrev_b16 v13, 8, v13
	v_lshlrev_b16 v12, 8, v12
	v_or_b32_e32 v1, v1, v2
	v_or_b32_e32 v2, v3, v4
	;; [unrolled: 1-line block ×8, first 2 shown]
	s_clause 0x7
	global_store_b16 v0, v1, s[26:27] scale_offset
	global_store_b16 v0, v2, s[26:27] offset:512 scale_offset
	global_store_b16 v0, v3, s[26:27] offset:1024 scale_offset
	;; [unrolled: 1-line block ×7, first 2 shown]
.LBB11_2:
	s_and_not1_b32 vcc_lo, exec_lo, s20
	s_cbranch_vccnz .LBB11_52
; %bb.3:
	v_cmp_gt_i32_e32 vcc_lo, s15, v0
	s_wait_xcnt 0x7
	v_or_b32_e32 v1, 0x100, v0
	v_dual_mov_b32 v10, 0 :: v_dual_bitop2_b32 v6, s24, v0 bitop3:0x54
	s_wait_xcnt 0x0
	v_dual_mov_b32 v14, 0 :: v_dual_mov_b32 v18, 0
	v_dual_mov_b32 v16, 0 :: v_dual_mov_b32 v7, 0
	;; [unrolled: 1-line block ×7, first 2 shown]
	v_mov_b32_e32 v15, 0
	s_and_saveexec_b32 s1, vcc_lo
	s_cbranch_execz .LBB11_35
; %bb.4:
	global_load_u8 v15, v6, s[18:19]
	v_dual_mov_b32 v13, 0 :: v_dual_mov_b32 v3, 0
	v_dual_mov_b32 v4, 0 :: v_dual_mov_b32 v20, 0
	;; [unrolled: 1-line block ×7, first 2 shown]
	v_mov_b32_e32 v10, 0
	s_mov_b32 s2, exec_lo
	s_wait_xcnt 0x0
	v_cmpx_gt_u32_e64 s15, v1
	s_cbranch_execz .LBB11_34
; %bb.5:
	v_dual_mov_b32 v3, 0 :: v_dual_add_nc_u32 v2, s24, v0
	v_or_b32_e32 v4, 0x200, v0
	v_dual_mov_b32 v19, 0 :: v_dual_mov_b32 v17, 0
	global_load_u8 v13, v2, s[18:19] offset:256
	v_mov_b32_e32 v20, 0
	v_cmp_gt_u32_e64 s0, s15, v4
	v_dual_mov_b32 v4, 0 :: v_dual_mov_b32 v12, 0
	v_dual_mov_b32 v11, 0 :: v_dual_mov_b32 v9, 0
	;; [unrolled: 1-line block ×5, first 2 shown]
	s_wait_xcnt 0x0
	s_and_saveexec_b32 s3, s0
	s_cbranch_execz .LBB11_33
; %bb.6:
	v_add_nc_u64_e32 v[4:5], s[18:19], v[2:3]
	v_or_b32_e32 v7, 0x300, v0
	v_dual_mov_b32 v20, 0 :: v_dual_mov_b32 v19, 0
	v_dual_mov_b32 v17, 0 :: v_dual_mov_b32 v12, 0
	s_delay_alu instid0(VALU_DEP_3)
	v_cmp_gt_u32_e64 s0, s15, v7
	global_load_u8 v2, v[4:5], off offset:512
	v_dual_mov_b32 v11, 0 :: v_dual_mov_b32 v9, 0
	v_dual_mov_b32 v8, 0 :: v_dual_mov_b32 v7, 0
	;; [unrolled: 1-line block ×4, first 2 shown]
	s_wait_xcnt 0x0
	s_and_saveexec_b32 s4, s0
	s_cbranch_execz .LBB11_32
; %bb.7:
	global_load_u8 v3, v[4:5], off offset:768
	v_or_b32_e32 v7, 0x400, v0
	v_dual_mov_b32 v20, 0 :: v_dual_mov_b32 v19, 0
	v_dual_mov_b32 v17, 0 :: v_dual_mov_b32 v12, 0
	s_delay_alu instid0(VALU_DEP_3)
	v_cmp_gt_u32_e64 s0, s15, v7
	v_dual_mov_b32 v11, 0 :: v_dual_mov_b32 v9, 0
	v_dual_mov_b32 v8, 0 :: v_dual_mov_b32 v7, 0
	;; [unrolled: 1-line block ×4, first 2 shown]
	s_wait_xcnt 0x0
	s_and_saveexec_b32 s5, s0
	s_cbranch_execz .LBB11_31
; %bb.8:
	global_load_u8 v20, v[4:5], off offset:1024
	v_or_b32_e32 v7, 0x500, v0
	v_dual_mov_b32 v19, 0 :: v_dual_mov_b32 v17, 0
	v_dual_mov_b32 v12, 0 :: v_dual_mov_b32 v11, 0
	s_delay_alu instid0(VALU_DEP_3)
	v_cmp_gt_u32_e64 s0, s15, v7
	v_dual_mov_b32 v9, 0 :: v_dual_mov_b32 v8, 0
	v_dual_mov_b32 v7, 0 :: v_dual_mov_b32 v16, 0
	v_dual_mov_b32 v18, 0 :: v_dual_mov_b32 v14, 0
	v_mov_b32_e32 v10, 0
	s_wait_xcnt 0x0
	s_and_saveexec_b32 s6, s0
	s_cbranch_execz .LBB11_30
; %bb.9:
	global_load_u8 v19, v[4:5], off offset:1280
	v_or_b32_e32 v7, 0x600, v0
	v_dual_mov_b32 v17, 0 :: v_dual_mov_b32 v12, 0
	v_dual_mov_b32 v11, 0 :: v_dual_mov_b32 v9, 0
	s_delay_alu instid0(VALU_DEP_3)
	v_cmp_gt_u32_e64 s0, s15, v7
	v_dual_mov_b32 v8, 0 :: v_dual_mov_b32 v7, 0
	v_dual_mov_b32 v16, 0 :: v_dual_mov_b32 v18, 0
	;; [unrolled: 1-line block ×3, first 2 shown]
	s_wait_xcnt 0x0
	s_and_saveexec_b32 s7, s0
	s_cbranch_execz .LBB11_29
; %bb.10:
	global_load_u8 v17, v[4:5], off offset:1536
	v_or_b32_e32 v7, 0x700, v0
	v_dual_mov_b32 v12, 0 :: v_dual_mov_b32 v11, 0
	v_dual_mov_b32 v9, 0 :: v_dual_mov_b32 v8, 0
	s_delay_alu instid0(VALU_DEP_3)
	v_cmp_gt_u32_e64 s0, s15, v7
	v_dual_mov_b32 v7, 0 :: v_dual_mov_b32 v16, 0
	v_dual_mov_b32 v18, 0 :: v_dual_mov_b32 v14, 0
	v_mov_b32_e32 v10, 0
	s_wait_xcnt 0x0
	s_and_saveexec_b32 s8, s0
	s_cbranch_execz .LBB11_28
; %bb.11:
	global_load_u8 v12, v[4:5], off offset:1792
	v_or_b32_e32 v7, 0x800, v0
	v_dual_mov_b32 v11, 0 :: v_dual_mov_b32 v9, 0
	v_dual_mov_b32 v8, 0 :: v_dual_mov_b32 v16, 0
	v_mov_b32_e32 v18, 0
	s_delay_alu instid0(VALU_DEP_4)
	v_cmp_gt_u32_e64 s0, s15, v7
	v_dual_mov_b32 v7, 0 :: v_dual_mov_b32 v14, 0
	v_mov_b32_e32 v10, 0
	s_wait_xcnt 0x0
	s_and_saveexec_b32 s9, s0
	s_cbranch_execz .LBB11_27
; %bb.12:
	global_load_u8 v11, v[4:5], off offset:2048
	v_or_b32_e32 v7, 0x900, v0
	v_dual_mov_b32 v9, 0 :: v_dual_mov_b32 v8, 0
	v_dual_mov_b32 v18, 0 :: v_dual_mov_b32 v14, 0
	s_delay_alu instid0(VALU_DEP_3)
	v_cmp_gt_u32_e64 s0, s15, v7
	v_dual_mov_b32 v7, 0 :: v_dual_mov_b32 v16, 0
	v_mov_b32_e32 v10, 0
	s_wait_xcnt 0x0
	s_and_saveexec_b32 s10, s0
	s_cbranch_execz .LBB11_26
; %bb.13:
	global_load_u8 v9, v[4:5], off offset:2304
	v_or_b32_e32 v7, 0xa00, v0
	v_dual_mov_b32 v8, 0 :: v_dual_mov_b32 v16, 0
	v_dual_mov_b32 v18, 0 :: v_dual_mov_b32 v14, 0
	v_mov_b32_e32 v10, 0
	s_delay_alu instid0(VALU_DEP_4)
	v_cmp_gt_u32_e64 s0, s15, v7
	v_mov_b32_e32 v7, 0
	s_wait_xcnt 0x0
	s_and_saveexec_b32 s11, s0
	s_cbranch_execz .LBB11_25
; %bb.14:
	global_load_u8 v8, v[4:5], off offset:2560
	v_or_b32_e32 v7, 0xb00, v0
	v_dual_mov_b32 v18, 0 :: v_dual_mov_b32 v14, 0
	v_dual_mov_b32 v10, 0 :: v_dual_mov_b32 v16, 0
	s_delay_alu instid0(VALU_DEP_3)
	v_cmp_gt_u32_e64 s0, s15, v7
	v_mov_b32_e32 v7, 0
	s_wait_xcnt 0x0
	s_and_saveexec_b32 s12, s0
	s_cbranch_execz .LBB11_24
; %bb.15:
	global_load_u8 v7, v[4:5], off offset:2816
	v_or_b32_e32 v10, 0xc00, v0
	v_dual_mov_b32 v16, 0 :: v_dual_mov_b32 v18, 0
	v_mov_b32_e32 v14, 0
	s_delay_alu instid0(VALU_DEP_3)
	v_cmp_gt_u32_e64 s0, s15, v10
	v_mov_b32_e32 v10, 0
	s_wait_xcnt 0x0
	s_and_saveexec_b32 s13, s0
	s_cbranch_execz .LBB11_23
; %bb.16:
	global_load_u8 v16, v[4:5], off offset:3072
	v_or_b32_e32 v10, 0xd00, v0
	v_dual_mov_b32 v18, 0 :: v_dual_mov_b32 v14, 0
	s_delay_alu instid0(VALU_DEP_2)
	v_cmp_gt_u32_e64 s0, s15, v10
	v_mov_b32_e32 v10, 0
	s_wait_xcnt 0x0
	s_and_saveexec_b32 s14, s0
	s_cbranch_execz .LBB11_22
; %bb.17:
	global_load_u8 v18, v[4:5], off offset:3328
	v_or_b32_e32 v10, 0xe00, v0
	v_mov_b32_e32 v14, 0
	s_delay_alu instid0(VALU_DEP_2)
	v_cmp_gt_u32_e64 s0, s15, v10
	v_mov_b32_e32 v10, 0
	s_wait_xcnt 0x0
	s_and_saveexec_b32 s18, s0
	s_cbranch_execz .LBB11_21
; %bb.18:
	global_load_u8 v14, v[4:5], off offset:3584
	v_or_b32_e32 v10, 0xf00, v0
	s_delay_alu instid0(VALU_DEP_1)
	v_cmp_gt_u32_e64 s0, s15, v10
	v_mov_b32_e32 v10, 0
	s_wait_xcnt 0x0
	s_and_saveexec_b32 s19, s0
	s_cbranch_execz .LBB11_20
; %bb.19:
	global_load_u8 v10, v[4:5], off offset:3840
.LBB11_20:
	s_wait_xcnt 0x0
	s_or_b32 exec_lo, exec_lo, s19
.LBB11_21:
	s_delay_alu instid0(SALU_CYCLE_1)
	s_or_b32 exec_lo, exec_lo, s18
.LBB11_22:
	s_delay_alu instid0(SALU_CYCLE_1)
	s_or_b32 exec_lo, exec_lo, s14
.LBB11_23:
	s_delay_alu instid0(SALU_CYCLE_1)
	s_or_b32 exec_lo, exec_lo, s13
.LBB11_24:
	s_delay_alu instid0(SALU_CYCLE_1)
	s_or_b32 exec_lo, exec_lo, s12
.LBB11_25:
	s_delay_alu instid0(SALU_CYCLE_1)
	s_or_b32 exec_lo, exec_lo, s11
.LBB11_26:
	s_delay_alu instid0(SALU_CYCLE_1)
	s_or_b32 exec_lo, exec_lo, s10
.LBB11_27:
	s_delay_alu instid0(SALU_CYCLE_1)
	s_or_b32 exec_lo, exec_lo, s9
.LBB11_28:
	s_delay_alu instid0(SALU_CYCLE_1)
	s_or_b32 exec_lo, exec_lo, s8
.LBB11_29:
	s_delay_alu instid0(SALU_CYCLE_1)
	s_or_b32 exec_lo, exec_lo, s7
.LBB11_30:
	s_delay_alu instid0(SALU_CYCLE_1)
	s_or_b32 exec_lo, exec_lo, s6
.LBB11_31:
	s_delay_alu instid0(SALU_CYCLE_1)
	s_or_b32 exec_lo, exec_lo, s5
.LBB11_32:
	s_delay_alu instid0(SALU_CYCLE_1)
	s_or_b32 exec_lo, exec_lo, s4
	s_wait_loadcnt 0x0
	v_dual_mov_b32 v4, v3 :: v_dual_mov_b32 v3, v2
.LBB11_33:
	s_or_b32 exec_lo, exec_lo, s3
.LBB11_34:
	s_delay_alu instid0(SALU_CYCLE_1)
	s_or_b32 exec_lo, exec_lo, s2
.LBB11_35:
	s_delay_alu instid0(SALU_CYCLE_1)
	s_or_b32 exec_lo, exec_lo, s1
	v_and_b32_e32 v2, 0xff, v20
	s_cmp_eq_u32 s21, 0
	v_and_b32_e32 v5, 0xff, v19
	s_cselect_b32 s4, -1, 0
	s_and_b32 s5, s22, 0xff
	s_wait_loadcnt 0x0
	v_and_b32_e32 v13, 0xff, v13
	v_cmp_ne_u16_e64 s0, s5, v2
	v_and_b32_e32 v2, 0xff, v15
	v_and_b32_e32 v3, 0xff, v3
	;; [unrolled: 1-line block ×3, first 2 shown]
	v_cmp_ne_u16_e64 s2, s5, v13
	s_xor_b32 s0, s4, s0
	v_cmp_ne_u16_e64 s1, s5, v2
	v_cndmask_b32_e64 v15, 0, 1, s0
	v_cmp_ne_u16_e64 s0, s5, v5
	v_or_b32_e32 v5, 0x400, v0
	v_and_b32_e32 v4, 0xff, v4
	v_and_b32_e32 v12, 0xff, v12
	v_bitop3_b16 v2, v15, 0, 0xff00 bitop3:0xf8
	s_xor_b32 s0, s4, s0
	v_and_b32_e32 v16, 0xff, v16
	v_cndmask_b32_e64 v13, 0, 1, s0
	s_xor_b32 s0, s4, s1
	v_and_b32_e32 v2, 0xffff, v2
	v_cndmask_b32_e64 v15, 0, 1, s0
	s_xor_b32 s0, s4, s2
	v_lshlrev_b16 v13, 8, v13
	v_cndmask_b32_e64 v19, 0, 1, s0
	v_cmp_gt_i32_e64 s0, s15, v5
	v_cndmask_b32_e32 v5, 0, v15, vcc_lo
	v_cmp_ne_u16_e64 s1, s5, v17
	v_and_b32_e32 v9, 0xff, v9
	v_lshlrev_b16 v15, 8, v19
	v_cndmask_b32_e64 v2, 0, v2, s0
	v_cmp_ne_u16_e64 s0, s5, v3
	v_or_b32_e32 v3, 0x500, v0
	v_cmp_ne_u16_e64 s3, s5, v9
	v_and_b32_e32 v11, 0xff, v11
	v_bitop3_b16 v13, v2, v13, 0xff bitop3:0xec
	s_xor_b32 s0, s4, s0
	v_and_b32_e32 v8, 0xff, v8
	v_cndmask_b32_e64 v17, 0, 1, s0
	v_cmp_gt_i32_e64 s0, s15, v3
	v_and_b32_e32 v13, 0xffff, v13
	v_or_b32_e32 v15, v5, v15
	v_and_b32_e32 v14, 0xff, v14
	v_and_b32_e32 v7, 0xff, v7
	;; [unrolled: 1-line block ×3, first 2 shown]
	v_cndmask_b32_e64 v2, v2, v13, s0
	s_xor_b32 s0, s4, s1
	v_and_b32_e32 v15, 0xffff, v15
	v_cndmask_b32_e64 v3, 0, 1, s0
	v_cmp_gt_i32_e64 s0, s15, v1
	s_delay_alu instid0(VALU_DEP_1) | instskip(SKIP_2) | instid1(VALU_DEP_3)
	v_dual_lshrrev_b32 v13, 16, v2 :: v_dual_cndmask_b32 v5, v5, v15, s0
	v_cmp_ne_u16_e64 s0, s5, v4
	v_or_b32_e32 v4, 0x200, v0
	v_bitop3_b16 v3, v3, v13, 0xff00 bitop3:0xf8
	s_delay_alu instid0(VALU_DEP_4) | instskip(SKIP_4) | instid1(VALU_DEP_2)
	v_lshl_or_b32 v15, v17, 16, v5
	s_xor_b32 s0, s4, s0
	v_or_b32_e32 v17, 0xd00, v0
	v_cndmask_b32_e64 v13, 0, 1, s0
	v_cmp_gt_i32_e64 s0, s15, v4
	v_lshlrev_b16 v13, 8, v13
	s_delay_alu instid0(VALU_DEP_2) | instskip(SKIP_2) | instid1(VALU_DEP_3)
	v_cndmask_b32_e64 v4, v5, v15, s0
	v_cmp_ne_u16_e64 s0, s5, v12
	v_or_b32_e32 v5, 0x600, v0
	v_dual_lshlrev_b32 v3, 16, v3 :: v_dual_lshrrev_b32 v15, 16, v4
	s_xor_b32 s0, s4, s0
	s_delay_alu instid0(VALU_DEP_2)
	v_cmp_gt_i32_e64 s1, s15, v5
	v_cndmask_b32_e64 v5, 0, 1, s0
	v_cmp_ne_u16_e64 s0, s5, v16
	v_and_or_b32 v3, 0xffff, v2, v3
	v_bitop3_b16 v12, v15, v13, 0xff bitop3:0xec
	v_or_b32_e32 v15, 0x800, v0
	v_lshlrev_b16 v5, 8, v5
	s_xor_b32 s0, s4, s0
	s_delay_alu instid0(SALU_CYCLE_1) | instskip(SKIP_4) | instid1(VALU_DEP_3)
	v_cndmask_b32_e64 v9, 0, 1, s0
	v_cndmask_b32_e64 v2, v2, v3, s1
	v_and_b32_e32 v3, 0xff, v18
	v_cmp_ne_u16_e64 s1, s5, v11
	v_lshlrev_b32_e32 v12, 16, v12
	v_cmp_ne_u16_e64 s2, s5, v3
	v_or_b32_e32 v3, 0xc00, v0
	s_delay_alu instid0(VALU_DEP_3) | instskip(SKIP_1) | instid1(SALU_CYCLE_1)
	v_and_or_b32 v12, 0xffff, v4, v12
	s_xor_b32 s0, s4, s2
	v_cndmask_b32_e64 v11, 0, 1, s0
	s_xor_b32 s0, s4, s1
	v_cmp_gt_i32_e64 s1, s15, v17
	v_cndmask_b32_e64 v16, 0, 1, s0
	v_cmp_gt_i32_e64 s0, s15, v3
	s_delay_alu instid0(VALU_DEP_1) | instskip(SKIP_2) | instid1(SALU_CYCLE_1)
	v_cndmask_b32_e64 v3, 0, v9, s0
	v_lshlrev_b16 v9, 8, v11
	s_xor_b32 s0, s4, s3
	v_cndmask_b32_e64 v11, 0, 1, s0
	v_cmp_gt_i32_e64 s0, s15, v15
	s_delay_alu instid0(VALU_DEP_3) | instskip(SKIP_1) | instid1(VALU_DEP_4)
	v_bitop3_b16 v9, v3, v9, 0xff bitop3:0xec
	v_lshrrev_b32_e32 v13, 16, v2
	v_lshlrev_b16 v11, 8, v11
	s_delay_alu instid0(VALU_DEP_4) | instskip(NEXT) | instid1(VALU_DEP_4)
	v_cndmask_b32_e64 v15, 0, v16, s0
	v_and_b32_e32 v9, 0xffff, v9
	v_cmp_ne_u16_e64 s0, s5, v8
	v_or_b32_e32 v16, 0x900, v0
	v_bitop3_b16 v5, v13, v5, 0xff bitop3:0xec
	v_or_b32_e32 v13, 0x300, v0
	v_cndmask_b32_e64 v3, v3, v9, s1
	v_cmp_ne_u16_e64 s1, s5, v14
	s_xor_b32 s0, s4, s0
	s_delay_alu instid0(SALU_CYCLE_1) | instskip(SKIP_1) | instid1(SALU_CYCLE_1)
	v_cndmask_b32_e64 v9, 0, 1, s0
	s_xor_b32 s0, s4, s1
	v_cndmask_b32_e64 v14, 0, 1, s0
	v_cmp_gt_i32_e64 s0, s15, v16
	s_delay_alu instid0(VALU_DEP_3) | instskip(NEXT) | instid1(VALU_DEP_1)
	v_dual_lshlrev_b32 v9, 16, v9 :: v_dual_bitop2_b32 v11, v15, v11 bitop3:0x54
	v_and_b32_e32 v8, 0xffff, v11
	s_delay_alu instid0(VALU_DEP_1) | instskip(SKIP_1) | instid1(VALU_DEP_2)
	v_cndmask_b32_e64 v8, v15, v8, s0
	v_cmp_ne_u16_e64 s0, s5, v7
	v_and_or_b32 v9, 0x1ff, v8, v9
	v_lshrrev_b32_e32 v11, 16, v3
	s_xor_b32 s0, s4, s0
	s_delay_alu instid0(VALU_DEP_1) | instskip(SKIP_1) | instid1(VALU_DEP_1)
	v_bitop3_b16 v11, v14, v11, 0xff00 bitop3:0xf8
	v_or_b32_e32 v14, 0xa00, v0
	v_cmp_gt_i32_e64 s1, s15, v14
	s_delay_alu instid0(VALU_DEP_1) | instskip(SKIP_3) | instid1(VALU_DEP_3)
	v_dual_cndmask_b32 v8, v8, v9, s1 :: v_dual_lshlrev_b32 v7, 16, v11
	v_or_b32_e32 v9, 0xe00, v0
	v_cmp_ne_u16_e64 s1, s5, v10
	v_cndmask_b32_e64 v10, 0, 1, s0
	v_cmp_gt_i32_e64 s0, s15, v9
	v_lshrrev_b32_e32 v9, 16, v8
	v_and_or_b32 v7, 0xffff, v3, v7
	s_delay_alu instid0(VALU_DEP_4) | instskip(NEXT) | instid1(VALU_DEP_2)
	v_lshlrev_b16 v10, 8, v10
	v_cndmask_b32_e64 v7, v3, v7, s0
	s_xor_b32 s0, s4, s1
	s_delay_alu instid0(VALU_DEP_2)
	v_bitop3_b16 v9, v9, v10, 0xff bitop3:0xec
	v_cndmask_b32_e64 v3, 0, 1, s0
	v_lshlrev_b32_e32 v10, 16, v5
	v_cmp_gt_i32_e64 s0, s15, v13
	v_lshrrev_b32_e32 v11, 16, v7
	v_or_b32_e32 v13, 0xf00, v0
	v_lshlrev_b16 v3, 8, v3
	v_and_or_b32 v10, 0xffff, v2, v10
	v_cndmask_b32_e64 v5, v4, v12, s0
	s_delay_alu instid0(VALU_DEP_3) | instskip(SKIP_3) | instid1(VALU_DEP_4)
	v_bitop3_b16 v3, v11, v3, 0xff bitop3:0xec
	v_lshlrev_b32_e32 v4, 16, v9
	v_or_b32_e32 v9, 0x700, v0
	v_or_b32_e32 v11, 0xb00, v0
	v_lshlrev_b32_e32 v3, 16, v3
	s_delay_alu instid0(VALU_DEP_4) | instskip(NEXT) | instid1(VALU_DEP_4)
	v_and_or_b32 v12, 0xffff, v8, v4
	v_cmp_gt_i32_e64 s0, s15, v9
	s_delay_alu instid0(VALU_DEP_3) | instskip(NEXT) | instid1(VALU_DEP_2)
	v_and_or_b32 v14, 0xffff, v7, v3
	v_cndmask_b32_e64 v4, v2, v10, s0
	v_cmp_gt_i32_e64 s0, s15, v11
	s_delay_alu instid0(VALU_DEP_1) | instskip(SKIP_1) | instid1(VALU_DEP_1)
	v_cndmask_b32_e64 v3, v8, v12, s0
	v_cmp_gt_i32_e64 s0, s15, v13
	v_cndmask_b32_e64 v2, v7, v14, s0
	s_and_saveexec_b32 s0, vcc_lo
	s_cbranch_execnz .LBB11_53
; %bb.36:
	s_or_b32 exec_lo, exec_lo, s0
	s_delay_alu instid0(SALU_CYCLE_1)
	s_mov_b32 s0, exec_lo
	v_cmpx_gt_i32_e64 s15, v0
	s_cbranch_execnz .LBB11_54
.LBB11_37:
	s_or_b32 exec_lo, exec_lo, s0
	s_delay_alu instid0(SALU_CYCLE_1)
	s_mov_b32 s0, exec_lo
	v_cmpx_gt_i32_e64 s15, v0
	s_cbranch_execnz .LBB11_55
.LBB11_38:
	s_or_b32 exec_lo, exec_lo, s0
	s_delay_alu instid0(SALU_CYCLE_1)
	s_mov_b32 s0, exec_lo
	v_cmpx_gt_i32_e64 s15, v0
	s_cbranch_execnz .LBB11_56
.LBB11_39:
	s_or_b32 exec_lo, exec_lo, s0
	s_delay_alu instid0(SALU_CYCLE_1)
	s_mov_b32 s0, exec_lo
	v_cmpx_gt_i32_e64 s15, v0
	s_cbranch_execnz .LBB11_57
.LBB11_40:
	s_or_b32 exec_lo, exec_lo, s0
	s_delay_alu instid0(SALU_CYCLE_1)
	s_mov_b32 s0, exec_lo
	v_cmpx_gt_i32_e64 s15, v0
	s_cbranch_execnz .LBB11_58
.LBB11_41:
	s_or_b32 exec_lo, exec_lo, s0
	s_delay_alu instid0(SALU_CYCLE_1)
	s_mov_b32 s0, exec_lo
	v_cmpx_gt_i32_e64 s15, v0
	s_cbranch_execnz .LBB11_59
.LBB11_42:
	s_or_b32 exec_lo, exec_lo, s0
	s_delay_alu instid0(SALU_CYCLE_1)
	s_mov_b32 s0, exec_lo
	v_cmpx_gt_i32_e64 s15, v0
	s_cbranch_execnz .LBB11_60
.LBB11_43:
	s_or_b32 exec_lo, exec_lo, s0
	s_delay_alu instid0(SALU_CYCLE_1)
	s_mov_b32 s0, exec_lo
	v_cmpx_gt_i32_e64 s15, v0
	s_cbranch_execnz .LBB11_61
.LBB11_44:
	s_or_b32 exec_lo, exec_lo, s0
	s_delay_alu instid0(SALU_CYCLE_1)
	s_mov_b32 s0, exec_lo
	v_cmpx_gt_i32_e64 s15, v0
	s_cbranch_execnz .LBB11_62
.LBB11_45:
	s_or_b32 exec_lo, exec_lo, s0
	s_delay_alu instid0(SALU_CYCLE_1)
	s_mov_b32 s0, exec_lo
	v_cmpx_gt_i32_e64 s15, v0
	s_cbranch_execnz .LBB11_63
.LBB11_46:
	s_or_b32 exec_lo, exec_lo, s0
	s_delay_alu instid0(SALU_CYCLE_1)
	s_mov_b32 s0, exec_lo
	v_cmpx_gt_i32_e64 s15, v0
	s_cbranch_execnz .LBB11_64
.LBB11_47:
	s_or_b32 exec_lo, exec_lo, s0
	s_delay_alu instid0(SALU_CYCLE_1)
	s_mov_b32 s0, exec_lo
	v_cmpx_gt_i32_e64 s15, v0
	s_cbranch_execnz .LBB11_65
.LBB11_48:
	s_or_b32 exec_lo, exec_lo, s0
	s_delay_alu instid0(SALU_CYCLE_1)
	s_mov_b32 s0, exec_lo
	v_cmpx_gt_i32_e64 s15, v0
	s_cbranch_execnz .LBB11_66
.LBB11_49:
	s_or_b32 exec_lo, exec_lo, s0
	s_delay_alu instid0(SALU_CYCLE_1)
	s_mov_b32 s0, exec_lo
	v_cmpx_gt_i32_e64 s15, v0
	s_cbranch_execnz .LBB11_67
.LBB11_50:
	s_or_b32 exec_lo, exec_lo, s0
	s_delay_alu instid0(SALU_CYCLE_1)
	s_mov_b32 s0, exec_lo
	v_cmpx_gt_i32_e64 s15, v0
	s_cbranch_execz .LBB11_52
.LBB11_51:
	v_dual_lshrrev_b32 v1, 24, v2 :: v_dual_add_nc_u32 v0, s24, v0
	global_store_b8 v0, v1, s[16:17]
.LBB11_52:
	s_endpgm
.LBB11_53:
	v_mov_b32_e32 v0, v1
	global_store_b8 v6, v5, s[16:17]
	s_wait_xcnt 0x0
	s_or_b32 exec_lo, exec_lo, s0
	s_delay_alu instid0(SALU_CYCLE_1)
	s_mov_b32 s0, exec_lo
	v_cmpx_gt_i32_e64 s15, v0
	s_cbranch_execz .LBB11_37
.LBB11_54:
	v_dual_lshrrev_b32 v1, 8, v5 :: v_dual_add_nc_u32 v6, s24, v0
	v_add_nc_u32_e32 v0, 0x100, v0
	global_store_b8 v6, v1, s[16:17]
	s_wait_xcnt 0x0
	s_or_b32 exec_lo, exec_lo, s0
	s_delay_alu instid0(SALU_CYCLE_1)
	s_mov_b32 s0, exec_lo
	v_cmpx_gt_i32_e64 s15, v0
	s_cbranch_execz .LBB11_38
.LBB11_55:
	v_add_nc_u32_e32 v1, s24, v0
	v_add_nc_u32_e32 v0, 0x100, v0
	global_store_d16_hi_b8 v1, v5, s[16:17]
	s_wait_xcnt 0x0
	s_or_b32 exec_lo, exec_lo, s0
	s_delay_alu instid0(SALU_CYCLE_1)
	s_mov_b32 s0, exec_lo
	v_cmpx_gt_i32_e64 s15, v0
	s_cbranch_execz .LBB11_39
.LBB11_56:
	v_dual_lshrrev_b32 v1, 24, v5 :: v_dual_add_nc_u32 v5, s24, v0
	v_add_nc_u32_e32 v0, 0x100, v0
	global_store_b8 v5, v1, s[16:17]
	s_wait_xcnt 0x0
	s_or_b32 exec_lo, exec_lo, s0
	s_delay_alu instid0(SALU_CYCLE_1)
	s_mov_b32 s0, exec_lo
	v_cmpx_gt_i32_e64 s15, v0
	s_cbranch_execz .LBB11_40
.LBB11_57:
	v_add_nc_u32_e32 v1, s24, v0
	v_add_nc_u32_e32 v0, 0x100, v0
	global_store_b8 v1, v4, s[16:17]
	s_wait_xcnt 0x0
	s_or_b32 exec_lo, exec_lo, s0
	s_delay_alu instid0(SALU_CYCLE_1)
	s_mov_b32 s0, exec_lo
	v_cmpx_gt_i32_e64 s15, v0
	s_cbranch_execz .LBB11_41
.LBB11_58:
	v_lshrrev_b32_e32 v1, 8, v4
	v_add_nc_u32_e32 v5, s24, v0
	v_add_nc_u32_e32 v0, 0x100, v0
	global_store_b8 v5, v1, s[16:17]
	s_wait_xcnt 0x0
	s_or_b32 exec_lo, exec_lo, s0
	s_delay_alu instid0(SALU_CYCLE_1)
	s_mov_b32 s0, exec_lo
	v_cmpx_gt_i32_e64 s15, v0
	s_cbranch_execz .LBB11_42
.LBB11_59:
	v_add_nc_u32_e32 v1, s24, v0
	v_add_nc_u32_e32 v0, 0x100, v0
	global_store_d16_hi_b8 v1, v4, s[16:17]
	s_wait_xcnt 0x0
	s_or_b32 exec_lo, exec_lo, s0
	s_delay_alu instid0(SALU_CYCLE_1)
	s_mov_b32 s0, exec_lo
	v_cmpx_gt_i32_e64 s15, v0
	s_cbranch_execz .LBB11_43
.LBB11_60:
	v_lshrrev_b32_e32 v1, 24, v4
	v_add_nc_u32_e32 v4, s24, v0
	v_add_nc_u32_e32 v0, 0x100, v0
	global_store_b8 v4, v1, s[16:17]
	s_wait_xcnt 0x0
	s_or_b32 exec_lo, exec_lo, s0
	s_delay_alu instid0(SALU_CYCLE_1)
	s_mov_b32 s0, exec_lo
	v_cmpx_gt_i32_e64 s15, v0
	s_cbranch_execz .LBB11_44
.LBB11_61:
	v_add_nc_u32_e32 v1, s24, v0
	v_add_nc_u32_e32 v0, 0x100, v0
	global_store_b8 v1, v3, s[16:17]
	s_wait_xcnt 0x0
	s_or_b32 exec_lo, exec_lo, s0
	s_delay_alu instid0(SALU_CYCLE_1)
	s_mov_b32 s0, exec_lo
	v_cmpx_gt_i32_e64 s15, v0
	s_cbranch_execz .LBB11_45
.LBB11_62:
	v_dual_lshrrev_b32 v1, 8, v3 :: v_dual_add_nc_u32 v4, s24, v0
	v_add_nc_u32_e32 v0, 0x100, v0
	global_store_b8 v4, v1, s[16:17]
	s_wait_xcnt 0x0
	s_or_b32 exec_lo, exec_lo, s0
	s_delay_alu instid0(SALU_CYCLE_1)
	s_mov_b32 s0, exec_lo
	v_cmpx_gt_i32_e64 s15, v0
	s_cbranch_execz .LBB11_46
.LBB11_63:
	v_add_nc_u32_e32 v1, s24, v0
	v_add_nc_u32_e32 v0, 0x100, v0
	global_store_d16_hi_b8 v1, v3, s[16:17]
	s_wait_xcnt 0x0
	s_or_b32 exec_lo, exec_lo, s0
	s_delay_alu instid0(SALU_CYCLE_1)
	s_mov_b32 s0, exec_lo
	v_cmpx_gt_i32_e64 s15, v0
	s_cbranch_execz .LBB11_47
.LBB11_64:
	v_dual_lshrrev_b32 v1, 24, v3 :: v_dual_add_nc_u32 v3, s24, v0
	v_add_nc_u32_e32 v0, 0x100, v0
	global_store_b8 v3, v1, s[16:17]
	s_wait_xcnt 0x0
	s_or_b32 exec_lo, exec_lo, s0
	s_delay_alu instid0(SALU_CYCLE_1)
	s_mov_b32 s0, exec_lo
	v_cmpx_gt_i32_e64 s15, v0
	s_cbranch_execz .LBB11_48
.LBB11_65:
	v_add_nc_u32_e32 v1, s24, v0
	v_add_nc_u32_e32 v0, 0x100, v0
	global_store_b8 v1, v2, s[16:17]
	s_wait_xcnt 0x0
	s_or_b32 exec_lo, exec_lo, s0
	s_delay_alu instid0(SALU_CYCLE_1)
	s_mov_b32 s0, exec_lo
	v_cmpx_gt_i32_e64 s15, v0
	s_cbranch_execz .LBB11_49
.LBB11_66:
	v_dual_lshrrev_b32 v1, 8, v2 :: v_dual_add_nc_u32 v3, s24, v0
	v_add_nc_u32_e32 v0, 0x100, v0
	global_store_b8 v3, v1, s[16:17]
	s_wait_xcnt 0x0
	s_or_b32 exec_lo, exec_lo, s0
	s_delay_alu instid0(SALU_CYCLE_1)
	s_mov_b32 s0, exec_lo
	v_cmpx_gt_i32_e64 s15, v0
	s_cbranch_execz .LBB11_50
.LBB11_67:
	v_add_nc_u32_e32 v1, s24, v0
	v_add_nc_u32_e32 v0, 0x100, v0
	global_store_d16_hi_b8 v1, v2, s[16:17]
	s_wait_xcnt 0x0
	s_or_b32 exec_lo, exec_lo, s0
	s_delay_alu instid0(SALU_CYCLE_1)
	s_mov_b32 s0, exec_lo
	v_cmpx_gt_i32_e64 s15, v0
	s_cbranch_execnz .LBB11_51
	s_branch .LBB11_52
	.section	.rodata,"a",@progbits
	.p2align	6, 0x0
	.amdhsa_kernel _ZN2at6native29vectorized_elementwise_kernelILi2ENS0_13AUnaryFunctorIhhbNS0_12_GLOBAL__N_116CompareEqFunctorIhEEEESt5arrayIPcLm2EEEEviT0_T1_
		.amdhsa_group_segment_fixed_size 0
		.amdhsa_private_segment_fixed_size 0
		.amdhsa_kernarg_size 32
		.amdhsa_user_sgpr_count 2
		.amdhsa_user_sgpr_dispatch_ptr 0
		.amdhsa_user_sgpr_queue_ptr 0
		.amdhsa_user_sgpr_kernarg_segment_ptr 1
		.amdhsa_user_sgpr_dispatch_id 0
		.amdhsa_user_sgpr_kernarg_preload_length 0
		.amdhsa_user_sgpr_kernarg_preload_offset 0
		.amdhsa_user_sgpr_private_segment_size 0
		.amdhsa_wavefront_size32 1
		.amdhsa_uses_dynamic_stack 0
		.amdhsa_enable_private_segment 0
		.amdhsa_system_sgpr_workgroup_id_x 1
		.amdhsa_system_sgpr_workgroup_id_y 0
		.amdhsa_system_sgpr_workgroup_id_z 0
		.amdhsa_system_sgpr_workgroup_info 0
		.amdhsa_system_vgpr_workitem_id 0
		.amdhsa_next_free_vgpr 21
		.amdhsa_next_free_sgpr 28
		.amdhsa_named_barrier_count 0
		.amdhsa_reserve_vcc 1
		.amdhsa_float_round_mode_32 0
		.amdhsa_float_round_mode_16_64 0
		.amdhsa_float_denorm_mode_32 3
		.amdhsa_float_denorm_mode_16_64 3
		.amdhsa_fp16_overflow 0
		.amdhsa_memory_ordered 1
		.amdhsa_forward_progress 1
		.amdhsa_inst_pref_size 39
		.amdhsa_round_robin_scheduling 0
		.amdhsa_exception_fp_ieee_invalid_op 0
		.amdhsa_exception_fp_denorm_src 0
		.amdhsa_exception_fp_ieee_div_zero 0
		.amdhsa_exception_fp_ieee_overflow 0
		.amdhsa_exception_fp_ieee_underflow 0
		.amdhsa_exception_fp_ieee_inexact 0
		.amdhsa_exception_int_div_zero 0
	.end_amdhsa_kernel
	.section	.text._ZN2at6native29vectorized_elementwise_kernelILi2ENS0_13AUnaryFunctorIhhbNS0_12_GLOBAL__N_116CompareEqFunctorIhEEEESt5arrayIPcLm2EEEEviT0_T1_,"axG",@progbits,_ZN2at6native29vectorized_elementwise_kernelILi2ENS0_13AUnaryFunctorIhhbNS0_12_GLOBAL__N_116CompareEqFunctorIhEEEESt5arrayIPcLm2EEEEviT0_T1_,comdat
.Lfunc_end11:
	.size	_ZN2at6native29vectorized_elementwise_kernelILi2ENS0_13AUnaryFunctorIhhbNS0_12_GLOBAL__N_116CompareEqFunctorIhEEEESt5arrayIPcLm2EEEEviT0_T1_, .Lfunc_end11-_ZN2at6native29vectorized_elementwise_kernelILi2ENS0_13AUnaryFunctorIhhbNS0_12_GLOBAL__N_116CompareEqFunctorIhEEEESt5arrayIPcLm2EEEEviT0_T1_
                                        ; -- End function
	.set _ZN2at6native29vectorized_elementwise_kernelILi2ENS0_13AUnaryFunctorIhhbNS0_12_GLOBAL__N_116CompareEqFunctorIhEEEESt5arrayIPcLm2EEEEviT0_T1_.num_vgpr, 21
	.set _ZN2at6native29vectorized_elementwise_kernelILi2ENS0_13AUnaryFunctorIhhbNS0_12_GLOBAL__N_116CompareEqFunctorIhEEEESt5arrayIPcLm2EEEEviT0_T1_.num_agpr, 0
	.set _ZN2at6native29vectorized_elementwise_kernelILi2ENS0_13AUnaryFunctorIhhbNS0_12_GLOBAL__N_116CompareEqFunctorIhEEEESt5arrayIPcLm2EEEEviT0_T1_.numbered_sgpr, 28
	.set _ZN2at6native29vectorized_elementwise_kernelILi2ENS0_13AUnaryFunctorIhhbNS0_12_GLOBAL__N_116CompareEqFunctorIhEEEESt5arrayIPcLm2EEEEviT0_T1_.num_named_barrier, 0
	.set _ZN2at6native29vectorized_elementwise_kernelILi2ENS0_13AUnaryFunctorIhhbNS0_12_GLOBAL__N_116CompareEqFunctorIhEEEESt5arrayIPcLm2EEEEviT0_T1_.private_seg_size, 0
	.set _ZN2at6native29vectorized_elementwise_kernelILi2ENS0_13AUnaryFunctorIhhbNS0_12_GLOBAL__N_116CompareEqFunctorIhEEEESt5arrayIPcLm2EEEEviT0_T1_.uses_vcc, 1
	.set _ZN2at6native29vectorized_elementwise_kernelILi2ENS0_13AUnaryFunctorIhhbNS0_12_GLOBAL__N_116CompareEqFunctorIhEEEESt5arrayIPcLm2EEEEviT0_T1_.uses_flat_scratch, 0
	.set _ZN2at6native29vectorized_elementwise_kernelILi2ENS0_13AUnaryFunctorIhhbNS0_12_GLOBAL__N_116CompareEqFunctorIhEEEESt5arrayIPcLm2EEEEviT0_T1_.has_dyn_sized_stack, 0
	.set _ZN2at6native29vectorized_elementwise_kernelILi2ENS0_13AUnaryFunctorIhhbNS0_12_GLOBAL__N_116CompareEqFunctorIhEEEESt5arrayIPcLm2EEEEviT0_T1_.has_recursion, 0
	.set _ZN2at6native29vectorized_elementwise_kernelILi2ENS0_13AUnaryFunctorIhhbNS0_12_GLOBAL__N_116CompareEqFunctorIhEEEESt5arrayIPcLm2EEEEviT0_T1_.has_indirect_call, 0
	.section	.AMDGPU.csdata,"",@progbits
; Kernel info:
; codeLenInByte = 4916
; TotalNumSgprs: 30
; NumVgprs: 21
; ScratchSize: 0
; MemoryBound: 0
; FloatMode: 240
; IeeeMode: 1
; LDSByteSize: 0 bytes/workgroup (compile time only)
; SGPRBlocks: 0
; VGPRBlocks: 1
; NumSGPRsForWavesPerEU: 30
; NumVGPRsForWavesPerEU: 21
; NamedBarCnt: 0
; Occupancy: 16
; WaveLimiterHint : 1
; COMPUTE_PGM_RSRC2:SCRATCH_EN: 0
; COMPUTE_PGM_RSRC2:USER_SGPR: 2
; COMPUTE_PGM_RSRC2:TRAP_HANDLER: 0
; COMPUTE_PGM_RSRC2:TGID_X_EN: 1
; COMPUTE_PGM_RSRC2:TGID_Y_EN: 0
; COMPUTE_PGM_RSRC2:TGID_Z_EN: 0
; COMPUTE_PGM_RSRC2:TIDIG_COMP_CNT: 0
	.section	.text._ZN2at6native27unrolled_elementwise_kernelINS0_13AUnaryFunctorIhhbNS0_12_GLOBAL__N_116CompareEqFunctorIhEEEESt5arrayIPcLm2EELi4E23TrivialOffsetCalculatorILi1EjESB_NS0_6memory15LoadWithoutCastENSC_16StoreWithoutCastEEEviT_T0_T2_T3_T4_T5_,"axG",@progbits,_ZN2at6native27unrolled_elementwise_kernelINS0_13AUnaryFunctorIhhbNS0_12_GLOBAL__N_116CompareEqFunctorIhEEEESt5arrayIPcLm2EELi4E23TrivialOffsetCalculatorILi1EjESB_NS0_6memory15LoadWithoutCastENSC_16StoreWithoutCastEEEviT_T0_T2_T3_T4_T5_,comdat
	.globl	_ZN2at6native27unrolled_elementwise_kernelINS0_13AUnaryFunctorIhhbNS0_12_GLOBAL__N_116CompareEqFunctorIhEEEESt5arrayIPcLm2EELi4E23TrivialOffsetCalculatorILi1EjESB_NS0_6memory15LoadWithoutCastENSC_16StoreWithoutCastEEEviT_T0_T2_T3_T4_T5_ ; -- Begin function _ZN2at6native27unrolled_elementwise_kernelINS0_13AUnaryFunctorIhhbNS0_12_GLOBAL__N_116CompareEqFunctorIhEEEESt5arrayIPcLm2EELi4E23TrivialOffsetCalculatorILi1EjESB_NS0_6memory15LoadWithoutCastENSC_16StoreWithoutCastEEEviT_T0_T2_T3_T4_T5_
	.p2align	8
	.type	_ZN2at6native27unrolled_elementwise_kernelINS0_13AUnaryFunctorIhhbNS0_12_GLOBAL__N_116CompareEqFunctorIhEEEESt5arrayIPcLm2EELi4E23TrivialOffsetCalculatorILi1EjESB_NS0_6memory15LoadWithoutCastENSC_16StoreWithoutCastEEEviT_T0_T2_T3_T4_T5_,@function
_ZN2at6native27unrolled_elementwise_kernelINS0_13AUnaryFunctorIhhbNS0_12_GLOBAL__N_116CompareEqFunctorIhEEEESt5arrayIPcLm2EELi4E23TrivialOffsetCalculatorILi1EjESB_NS0_6memory15LoadWithoutCastENSC_16StoreWithoutCastEEEviT_T0_T2_T3_T4_T5_: ; @_ZN2at6native27unrolled_elementwise_kernelINS0_13AUnaryFunctorIhhbNS0_12_GLOBAL__N_116CompareEqFunctorIhEEEESt5arrayIPcLm2EELi4E23TrivialOffsetCalculatorILi1EjESB_NS0_6memory15LoadWithoutCastENSC_16StoreWithoutCastEEEviT_T0_T2_T3_T4_T5_
; %bb.0:
	s_clause 0x1
	s_load_b96 s[8:10], s[0:1], 0x0
	s_load_b128 s[4:7], s[0:1], 0x10
	s_bfe_u32 s3, ttmp6, 0x4000c
	s_and_b32 s2, ttmp6, 15
	s_add_co_i32 s3, s3, 1
	s_wait_xcnt 0x0
	s_getreg_b32 s0, hwreg(HW_REG_IB_STS2, 6, 4)
	s_mul_i32 s1, ttmp9, s3
	v_dual_mov_b32 v3, 0 :: v_dual_mov_b32 v4, 0
	s_add_co_i32 s2, s2, s1
	s_cmp_eq_u32 s0, 0
	v_or_b32_e32 v1, 0x100, v0
	s_cselect_b32 s0, ttmp9, s2
	v_mov_b32_e32 v6, 0
	s_lshl_b32 s2, s0, 10
	s_delay_alu instid0(SALU_CYCLE_1) | instskip(SKIP_2) | instid1(SALU_CYCLE_1)
	v_dual_mov_b32 v5, 0 :: v_dual_bitop2_b32 v2, s2, v0 bitop3:0x54
	s_wait_kmcnt 0x0
	s_sub_co_i32 s3, s8, s2
	v_cmp_gt_i32_e32 vcc_lo, s3, v0
	s_and_saveexec_b32 s1, vcc_lo
	s_cbranch_execz .LBB12_8
; %bb.1:
	global_load_u8 v6, v2, s[6:7]
	v_dual_mov_b32 v5, 0 :: v_dual_mov_b32 v4, 0
	v_mov_b32_e32 v3, 0
	s_mov_b32 s8, exec_lo
	s_wait_xcnt 0x0
	v_cmpx_gt_u32_e64 s3, v1
	s_cbranch_execz .LBB12_7
; %bb.2:
	v_dual_mov_b32 v4, 0 :: v_dual_add_nc_u32 v3, s2, v1
	v_or_b32_e32 v7, 0x200, v0
	s_mov_b32 s11, exec_lo
	global_load_u8 v5, v3, s[6:7]
	s_wait_xcnt 0x0
	v_mov_b32_e32 v3, 0
	v_cmpx_gt_u32_e64 s3, v7
	s_cbranch_execz .LBB12_6
; %bb.3:
	v_add_nc_u32_e32 v3, s2, v7
	v_or_b32_e32 v7, 0x300, v0
	s_mov_b32 s12, exec_lo
	global_load_u8 v4, v3, s[6:7]
	s_wait_xcnt 0x0
	v_mov_b32_e32 v3, 0
	v_cmpx_gt_u32_e64 s3, v7
	s_cbranch_execz .LBB12_5
; %bb.4:
	v_add_nc_u32_e32 v3, s2, v7
	global_load_u8 v3, v3, s[6:7]
.LBB12_5:
	s_wait_xcnt 0x0
	s_or_b32 exec_lo, exec_lo, s12
.LBB12_6:
	s_delay_alu instid0(SALU_CYCLE_1)
	s_or_b32 exec_lo, exec_lo, s11
.LBB12_7:
	s_delay_alu instid0(SALU_CYCLE_1)
	s_or_b32 exec_lo, exec_lo, s8
.LBB12_8:
	s_delay_alu instid0(SALU_CYCLE_1)
	s_or_b32 exec_lo, exec_lo, s1
	s_wait_loadcnt 0x0
	v_and_b32_e32 v6, 0xff, v6
	v_and_b32_e32 v5, 0xff, v5
	s_and_b32 s6, s10, 0xff
	s_cmp_eq_u32 s9, 0
	v_and_b32_e32 v4, 0xff, v4
	v_cmp_ne_u16_e64 s0, s6, v6
	v_cmp_ne_u16_e64 s1, s6, v5
	s_cselect_b32 s7, -1, 0
	v_and_b32_e32 v3, 0xff, v3
	s_xor_b32 s0, s7, s0
	s_delay_alu instid0(SALU_CYCLE_1) | instskip(SKIP_1) | instid1(SALU_CYCLE_1)
	v_cndmask_b32_e64 v5, 0, 1, s0
	s_xor_b32 s0, s7, s1
	v_cndmask_b32_e64 v6, 0, 1, s0
	v_cmp_ne_u16_e64 s0, s6, v4
	s_delay_alu instid0(VALU_DEP_3) | instskip(NEXT) | instid1(VALU_DEP_3)
	v_cndmask_b32_e32 v5, 0, v5, vcc_lo
	v_lshlrev_b16 v6, 8, v6
	s_xor_b32 s0, s7, s0
	s_delay_alu instid0(VALU_DEP_1) | instskip(SKIP_2) | instid1(VALU_DEP_3)
	v_or_b32_e32 v4, v5, v6
	v_cndmask_b32_e64 v6, 0, 1, s0
	v_cmp_gt_i32_e64 s0, s3, v1
	v_and_b32_e32 v4, 0xffff, v4
	s_delay_alu instid0(VALU_DEP_1) | instskip(SKIP_2) | instid1(VALU_DEP_3)
	v_dual_lshlrev_b32 v6, 16, v6 :: v_dual_cndmask_b32 v4, v5, v4, s0
	v_or_b32_e32 v5, 0x200, v0
	v_cmp_ne_u16_e64 s0, s6, v3
	v_or_b32_e32 v6, v4, v6
	s_delay_alu instid0(VALU_DEP_3) | instskip(SKIP_3) | instid1(VALU_DEP_2)
	v_cmp_gt_i32_e64 s1, s3, v5
	s_xor_b32 s0, s7, s0
	v_cndmask_b32_e64 v3, v4, v6, s1
	v_cndmask_b32_e64 v4, 0, 1, s0
	v_lshrrev_b32_e32 v5, 16, v3
	s_delay_alu instid0(VALU_DEP_2) | instskip(NEXT) | instid1(VALU_DEP_1)
	v_lshlrev_b16 v4, 8, v4
	v_bitop3_b16 v4, v5, v4, 0xff bitop3:0xec
	v_or_b32_e32 v5, 0x300, v0
	s_delay_alu instid0(VALU_DEP_2) | instskip(NEXT) | instid1(VALU_DEP_2)
	v_lshlrev_b32_e32 v4, 16, v4
	v_cmp_gt_i32_e64 s0, s3, v5
	s_delay_alu instid0(VALU_DEP_2) | instskip(NEXT) | instid1(VALU_DEP_1)
	v_and_or_b32 v4, 0xffff, v3, v4
	v_cndmask_b32_e64 v3, v3, v4, s0
	s_and_saveexec_b32 s0, vcc_lo
	s_cbranch_execnz .LBB12_13
; %bb.9:
	s_or_b32 exec_lo, exec_lo, s0
	s_delay_alu instid0(SALU_CYCLE_1)
	s_mov_b32 s0, exec_lo
	v_cmpx_gt_i32_e64 s3, v0
	s_cbranch_execnz .LBB12_14
.LBB12_10:
	s_or_b32 exec_lo, exec_lo, s0
	s_delay_alu instid0(SALU_CYCLE_1)
	s_mov_b32 s0, exec_lo
	v_cmpx_gt_i32_e64 s3, v0
	s_cbranch_execnz .LBB12_15
.LBB12_11:
	s_or_b32 exec_lo, exec_lo, s0
	s_delay_alu instid0(SALU_CYCLE_1)
	s_mov_b32 s0, exec_lo
	v_cmpx_gt_i32_e64 s3, v0
	s_cbranch_execnz .LBB12_16
.LBB12_12:
	s_endpgm
.LBB12_13:
	v_mov_b32_e32 v0, v1
	global_store_b8 v2, v3, s[4:5]
	s_wait_xcnt 0x0
	s_or_b32 exec_lo, exec_lo, s0
	s_delay_alu instid0(SALU_CYCLE_1)
	s_mov_b32 s0, exec_lo
	v_cmpx_gt_i32_e64 s3, v0
	s_cbranch_execz .LBB12_10
.LBB12_14:
	v_add_nc_u32_e32 v1, 0x100, v0
	v_dual_add_nc_u32 v2, s2, v0 :: v_dual_lshrrev_b32 v4, 8, v3
	s_delay_alu instid0(VALU_DEP_2) | instskip(SKIP_3) | instid1(SALU_CYCLE_1)
	v_mov_b32_e32 v0, v1
	global_store_b8 v2, v4, s[4:5]
	s_wait_xcnt 0x0
	s_or_b32 exec_lo, exec_lo, s0
	s_mov_b32 s0, exec_lo
	v_cmpx_gt_i32_e64 s3, v0
	s_cbranch_execz .LBB12_11
.LBB12_15:
	v_add_nc_u32_e32 v1, 0x100, v0
	s_delay_alu instid0(VALU_DEP_1) | instskip(SKIP_3) | instid1(SALU_CYCLE_1)
	v_dual_add_nc_u32 v2, s2, v0 :: v_dual_mov_b32 v0, v1
	global_store_d16_hi_b8 v2, v3, s[4:5]
	s_wait_xcnt 0x0
	s_or_b32 exec_lo, exec_lo, s0
	s_mov_b32 s0, exec_lo
	v_cmpx_gt_i32_e64 s3, v0
	s_cbranch_execz .LBB12_12
.LBB12_16:
	v_dual_add_nc_u32 v0, s2, v0 :: v_dual_lshrrev_b32 v1, 24, v3
	global_store_b8 v0, v1, s[4:5]
	s_endpgm
	.section	.rodata,"a",@progbits
	.p2align	6, 0x0
	.amdhsa_kernel _ZN2at6native27unrolled_elementwise_kernelINS0_13AUnaryFunctorIhhbNS0_12_GLOBAL__N_116CompareEqFunctorIhEEEESt5arrayIPcLm2EELi4E23TrivialOffsetCalculatorILi1EjESB_NS0_6memory15LoadWithoutCastENSC_16StoreWithoutCastEEEviT_T0_T2_T3_T4_T5_
		.amdhsa_group_segment_fixed_size 0
		.amdhsa_private_segment_fixed_size 0
		.amdhsa_kernarg_size 36
		.amdhsa_user_sgpr_count 2
		.amdhsa_user_sgpr_dispatch_ptr 0
		.amdhsa_user_sgpr_queue_ptr 0
		.amdhsa_user_sgpr_kernarg_segment_ptr 1
		.amdhsa_user_sgpr_dispatch_id 0
		.amdhsa_user_sgpr_kernarg_preload_length 0
		.amdhsa_user_sgpr_kernarg_preload_offset 0
		.amdhsa_user_sgpr_private_segment_size 0
		.amdhsa_wavefront_size32 1
		.amdhsa_uses_dynamic_stack 0
		.amdhsa_enable_private_segment 0
		.amdhsa_system_sgpr_workgroup_id_x 1
		.amdhsa_system_sgpr_workgroup_id_y 0
		.amdhsa_system_sgpr_workgroup_id_z 0
		.amdhsa_system_sgpr_workgroup_info 0
		.amdhsa_system_vgpr_workitem_id 0
		.amdhsa_next_free_vgpr 8
		.amdhsa_next_free_sgpr 13
		.amdhsa_named_barrier_count 0
		.amdhsa_reserve_vcc 1
		.amdhsa_float_round_mode_32 0
		.amdhsa_float_round_mode_16_64 0
		.amdhsa_float_denorm_mode_32 3
		.amdhsa_float_denorm_mode_16_64 3
		.amdhsa_fp16_overflow 0
		.amdhsa_memory_ordered 1
		.amdhsa_forward_progress 1
		.amdhsa_inst_pref_size 7
		.amdhsa_round_robin_scheduling 0
		.amdhsa_exception_fp_ieee_invalid_op 0
		.amdhsa_exception_fp_denorm_src 0
		.amdhsa_exception_fp_ieee_div_zero 0
		.amdhsa_exception_fp_ieee_overflow 0
		.amdhsa_exception_fp_ieee_underflow 0
		.amdhsa_exception_fp_ieee_inexact 0
		.amdhsa_exception_int_div_zero 0
	.end_amdhsa_kernel
	.section	.text._ZN2at6native27unrolled_elementwise_kernelINS0_13AUnaryFunctorIhhbNS0_12_GLOBAL__N_116CompareEqFunctorIhEEEESt5arrayIPcLm2EELi4E23TrivialOffsetCalculatorILi1EjESB_NS0_6memory15LoadWithoutCastENSC_16StoreWithoutCastEEEviT_T0_T2_T3_T4_T5_,"axG",@progbits,_ZN2at6native27unrolled_elementwise_kernelINS0_13AUnaryFunctorIhhbNS0_12_GLOBAL__N_116CompareEqFunctorIhEEEESt5arrayIPcLm2EELi4E23TrivialOffsetCalculatorILi1EjESB_NS0_6memory15LoadWithoutCastENSC_16StoreWithoutCastEEEviT_T0_T2_T3_T4_T5_,comdat
.Lfunc_end12:
	.size	_ZN2at6native27unrolled_elementwise_kernelINS0_13AUnaryFunctorIhhbNS0_12_GLOBAL__N_116CompareEqFunctorIhEEEESt5arrayIPcLm2EELi4E23TrivialOffsetCalculatorILi1EjESB_NS0_6memory15LoadWithoutCastENSC_16StoreWithoutCastEEEviT_T0_T2_T3_T4_T5_, .Lfunc_end12-_ZN2at6native27unrolled_elementwise_kernelINS0_13AUnaryFunctorIhhbNS0_12_GLOBAL__N_116CompareEqFunctorIhEEEESt5arrayIPcLm2EELi4E23TrivialOffsetCalculatorILi1EjESB_NS0_6memory15LoadWithoutCastENSC_16StoreWithoutCastEEEviT_T0_T2_T3_T4_T5_
                                        ; -- End function
	.set _ZN2at6native27unrolled_elementwise_kernelINS0_13AUnaryFunctorIhhbNS0_12_GLOBAL__N_116CompareEqFunctorIhEEEESt5arrayIPcLm2EELi4E23TrivialOffsetCalculatorILi1EjESB_NS0_6memory15LoadWithoutCastENSC_16StoreWithoutCastEEEviT_T0_T2_T3_T4_T5_.num_vgpr, 8
	.set _ZN2at6native27unrolled_elementwise_kernelINS0_13AUnaryFunctorIhhbNS0_12_GLOBAL__N_116CompareEqFunctorIhEEEESt5arrayIPcLm2EELi4E23TrivialOffsetCalculatorILi1EjESB_NS0_6memory15LoadWithoutCastENSC_16StoreWithoutCastEEEviT_T0_T2_T3_T4_T5_.num_agpr, 0
	.set _ZN2at6native27unrolled_elementwise_kernelINS0_13AUnaryFunctorIhhbNS0_12_GLOBAL__N_116CompareEqFunctorIhEEEESt5arrayIPcLm2EELi4E23TrivialOffsetCalculatorILi1EjESB_NS0_6memory15LoadWithoutCastENSC_16StoreWithoutCastEEEviT_T0_T2_T3_T4_T5_.numbered_sgpr, 13
	.set _ZN2at6native27unrolled_elementwise_kernelINS0_13AUnaryFunctorIhhbNS0_12_GLOBAL__N_116CompareEqFunctorIhEEEESt5arrayIPcLm2EELi4E23TrivialOffsetCalculatorILi1EjESB_NS0_6memory15LoadWithoutCastENSC_16StoreWithoutCastEEEviT_T0_T2_T3_T4_T5_.num_named_barrier, 0
	.set _ZN2at6native27unrolled_elementwise_kernelINS0_13AUnaryFunctorIhhbNS0_12_GLOBAL__N_116CompareEqFunctorIhEEEESt5arrayIPcLm2EELi4E23TrivialOffsetCalculatorILi1EjESB_NS0_6memory15LoadWithoutCastENSC_16StoreWithoutCastEEEviT_T0_T2_T3_T4_T5_.private_seg_size, 0
	.set _ZN2at6native27unrolled_elementwise_kernelINS0_13AUnaryFunctorIhhbNS0_12_GLOBAL__N_116CompareEqFunctorIhEEEESt5arrayIPcLm2EELi4E23TrivialOffsetCalculatorILi1EjESB_NS0_6memory15LoadWithoutCastENSC_16StoreWithoutCastEEEviT_T0_T2_T3_T4_T5_.uses_vcc, 1
	.set _ZN2at6native27unrolled_elementwise_kernelINS0_13AUnaryFunctorIhhbNS0_12_GLOBAL__N_116CompareEqFunctorIhEEEESt5arrayIPcLm2EELi4E23TrivialOffsetCalculatorILi1EjESB_NS0_6memory15LoadWithoutCastENSC_16StoreWithoutCastEEEviT_T0_T2_T3_T4_T5_.uses_flat_scratch, 0
	.set _ZN2at6native27unrolled_elementwise_kernelINS0_13AUnaryFunctorIhhbNS0_12_GLOBAL__N_116CompareEqFunctorIhEEEESt5arrayIPcLm2EELi4E23TrivialOffsetCalculatorILi1EjESB_NS0_6memory15LoadWithoutCastENSC_16StoreWithoutCastEEEviT_T0_T2_T3_T4_T5_.has_dyn_sized_stack, 0
	.set _ZN2at6native27unrolled_elementwise_kernelINS0_13AUnaryFunctorIhhbNS0_12_GLOBAL__N_116CompareEqFunctorIhEEEESt5arrayIPcLm2EELi4E23TrivialOffsetCalculatorILi1EjESB_NS0_6memory15LoadWithoutCastENSC_16StoreWithoutCastEEEviT_T0_T2_T3_T4_T5_.has_recursion, 0
	.set _ZN2at6native27unrolled_elementwise_kernelINS0_13AUnaryFunctorIhhbNS0_12_GLOBAL__N_116CompareEqFunctorIhEEEESt5arrayIPcLm2EELi4E23TrivialOffsetCalculatorILi1EjESB_NS0_6memory15LoadWithoutCastENSC_16StoreWithoutCastEEEviT_T0_T2_T3_T4_T5_.has_indirect_call, 0
	.section	.AMDGPU.csdata,"",@progbits
; Kernel info:
; codeLenInByte = 892
; TotalNumSgprs: 15
; NumVgprs: 8
; ScratchSize: 0
; MemoryBound: 0
; FloatMode: 240
; IeeeMode: 1
; LDSByteSize: 0 bytes/workgroup (compile time only)
; SGPRBlocks: 0
; VGPRBlocks: 0
; NumSGPRsForWavesPerEU: 15
; NumVGPRsForWavesPerEU: 8
; NamedBarCnt: 0
; Occupancy: 16
; WaveLimiterHint : 0
; COMPUTE_PGM_RSRC2:SCRATCH_EN: 0
; COMPUTE_PGM_RSRC2:USER_SGPR: 2
; COMPUTE_PGM_RSRC2:TRAP_HANDLER: 0
; COMPUTE_PGM_RSRC2:TGID_X_EN: 1
; COMPUTE_PGM_RSRC2:TGID_Y_EN: 0
; COMPUTE_PGM_RSRC2:TGID_Z_EN: 0
; COMPUTE_PGM_RSRC2:TIDIG_COMP_CNT: 0
	.section	.text._ZN2at6native32elementwise_kernel_manual_unrollILi128ELi8EZNS0_22gpu_kernel_impl_nocastINS0_13AUnaryFunctorIhhbNS0_12_GLOBAL__N_116CompareEqFunctorIhEEEEEEvRNS_18TensorIteratorBaseERKT_EUlibE_EEviT1_,"axG",@progbits,_ZN2at6native32elementwise_kernel_manual_unrollILi128ELi8EZNS0_22gpu_kernel_impl_nocastINS0_13AUnaryFunctorIhhbNS0_12_GLOBAL__N_116CompareEqFunctorIhEEEEEEvRNS_18TensorIteratorBaseERKT_EUlibE_EEviT1_,comdat
	.globl	_ZN2at6native32elementwise_kernel_manual_unrollILi128ELi8EZNS0_22gpu_kernel_impl_nocastINS0_13AUnaryFunctorIhhbNS0_12_GLOBAL__N_116CompareEqFunctorIhEEEEEEvRNS_18TensorIteratorBaseERKT_EUlibE_EEviT1_ ; -- Begin function _ZN2at6native32elementwise_kernel_manual_unrollILi128ELi8EZNS0_22gpu_kernel_impl_nocastINS0_13AUnaryFunctorIhhbNS0_12_GLOBAL__N_116CompareEqFunctorIhEEEEEEvRNS_18TensorIteratorBaseERKT_EUlibE_EEviT1_
	.p2align	8
	.type	_ZN2at6native32elementwise_kernel_manual_unrollILi128ELi8EZNS0_22gpu_kernel_impl_nocastINS0_13AUnaryFunctorIhhbNS0_12_GLOBAL__N_116CompareEqFunctorIhEEEEEEvRNS_18TensorIteratorBaseERKT_EUlibE_EEviT1_,@function
_ZN2at6native32elementwise_kernel_manual_unrollILi128ELi8EZNS0_22gpu_kernel_impl_nocastINS0_13AUnaryFunctorIhhbNS0_12_GLOBAL__N_116CompareEqFunctorIhEEEEEEvRNS_18TensorIteratorBaseERKT_EUlibE_EEviT1_: ; @_ZN2at6native32elementwise_kernel_manual_unrollILi128ELi8EZNS0_22gpu_kernel_impl_nocastINS0_13AUnaryFunctorIhhbNS0_12_GLOBAL__N_116CompareEqFunctorIhEEEEEEvRNS_18TensorIteratorBaseERKT_EUlibE_EEviT1_
; %bb.0:
	s_clause 0x1
	s_load_b32 s30, s[0:1], 0x8
	s_load_b32 s36, s[0:1], 0x0
	s_bfe_u32 s2, ttmp6, 0x4000c
	s_and_b32 s3, ttmp6, 15
	s_add_co_i32 s2, s2, 1
	s_getreg_b32 s4, hwreg(HW_REG_IB_STS2, 6, 4)
	s_mul_i32 s2, ttmp9, s2
	s_add_nc_u64 s[12:13], s[0:1], 8
	s_add_co_i32 s3, s3, s2
	s_cmp_eq_u32 s4, 0
	s_mov_b32 s19, 0
	s_cselect_b32 s2, ttmp9, s3
	s_wait_xcnt 0x0
	s_mov_b32 s0, exec_lo
	v_lshl_or_b32 v0, s2, 10, v0
	s_delay_alu instid0(VALU_DEP_1) | instskip(SKIP_2) | instid1(SALU_CYCLE_1)
	v_or_b32_e32 v16, 0x380, v0
	s_wait_kmcnt 0x0
	s_add_co_i32 s31, s30, -1
	s_cmp_gt_u32 s31, 1
	s_cselect_b32 s33, -1, 0
	v_cmpx_le_i32_e64 s36, v16
	s_xor_b32 s34, exec_lo, s0
	s_cbranch_execz .LBB13_7
; %bb.1:
	s_clause 0x4
	s_load_b128 s[4:7], s[12:13], 0x4
	s_load_b64 s[16:17], s[12:13], 0x14
	s_load_b64 s[14:15], s[12:13], 0x158
	s_load_b128 s[8:11], s[12:13], 0xc4
	s_load_b128 s[0:3], s[12:13], 0x148
	s_cmp_lg_u32 s30, 0
	s_add_nc_u64 s[22:23], s[12:13], 0xc4
	s_cselect_b32 s38, -1, 0
	s_min_u32 s37, s31, 15
	s_cmp_gt_u32 s30, 1
	s_mov_b32 s21, s19
	s_cselect_b32 s35, -1, 0
	s_wait_kmcnt 0x0
	s_mov_b32 s18, s5
	s_mov_b32 s20, s16
	s_cmp_eq_u32 s14, 0
	s_mov_b32 s14, exec_lo
	s_cselect_b32 s5, -1, 0
	v_cmpx_gt_i32_e64 s36, v0
	s_cbranch_execz .LBB13_14
; %bb.2:
	s_and_not1_b32 vcc_lo, exec_lo, s33
	s_cbranch_vccnz .LBB13_21
; %bb.3:
	s_and_not1_b32 vcc_lo, exec_lo, s38
	s_cbranch_vccnz .LBB13_129
; %bb.4:
	s_add_co_i32 s16, s37, 1
	s_cmp_eq_u32 s31, 2
	s_cbranch_scc1 .LBB13_131
; %bb.5:
	v_dual_mov_b32 v2, 0 :: v_dual_mov_b32 v3, 0
	v_mov_b32_e32 v1, v0
	s_and_b32 s24, s16, 28
	s_mov_b32 s25, 0
	s_mov_b64 s[26:27], s[12:13]
	s_mov_b64 s[28:29], s[22:23]
.LBB13_6:                               ; =>This Inner Loop Header: Depth=1
	s_clause 0x1
	s_load_b256 s[40:47], s[26:27], 0x4
	s_load_b128 s[56:59], s[26:27], 0x24
	s_load_b256 s[48:55], s[28:29], 0x0
	s_add_co_i32 s25, s25, 4
	s_wait_xcnt 0x0
	s_add_nc_u64 s[26:27], s[26:27], 48
	s_cmp_lg_u32 s24, s25
	s_add_nc_u64 s[28:29], s[28:29], 32
	s_wait_kmcnt 0x0
	v_mul_hi_u32 v4, s41, v1
	s_delay_alu instid0(VALU_DEP_1) | instskip(NEXT) | instid1(VALU_DEP_1)
	v_add_nc_u32_e32 v4, v1, v4
	v_lshrrev_b32_e32 v4, s42, v4
	s_delay_alu instid0(VALU_DEP_1) | instskip(NEXT) | instid1(VALU_DEP_1)
	v_mul_hi_u32 v5, s44, v4
	v_add_nc_u32_e32 v5, v4, v5
	s_delay_alu instid0(VALU_DEP_1) | instskip(NEXT) | instid1(VALU_DEP_1)
	v_lshrrev_b32_e32 v5, s45, v5
	v_mul_hi_u32 v6, s47, v5
	s_delay_alu instid0(VALU_DEP_1) | instskip(SKIP_1) | instid1(VALU_DEP_1)
	v_add_nc_u32_e32 v6, v5, v6
	v_mul_lo_u32 v7, v4, s40
	v_sub_nc_u32_e32 v1, v1, v7
	v_mul_lo_u32 v7, v5, s43
	s_delay_alu instid0(VALU_DEP_4) | instskip(NEXT) | instid1(VALU_DEP_3)
	v_lshrrev_b32_e32 v6, s56, v6
	v_mad_u32 v3, v1, s49, v3
	v_mad_u32 v1, v1, s48, v2
	s_delay_alu instid0(VALU_DEP_4) | instskip(NEXT) | instid1(VALU_DEP_4)
	v_sub_nc_u32_e32 v2, v4, v7
	v_mul_hi_u32 v8, s58, v6
	v_mul_lo_u32 v4, v6, s46
	s_delay_alu instid0(VALU_DEP_3) | instskip(SKIP_1) | instid1(VALU_DEP_4)
	v_mad_u32 v3, v2, s51, v3
	v_mad_u32 v2, v2, s50, v1
	v_add_nc_u32_e32 v7, v6, v8
	s_delay_alu instid0(VALU_DEP_1) | instskip(NEXT) | instid1(VALU_DEP_1)
	v_dual_sub_nc_u32 v4, v5, v4 :: v_dual_lshrrev_b32 v1, s59, v7
	v_mad_u32 v3, v4, s53, v3
	s_delay_alu instid0(VALU_DEP_4) | instskip(NEXT) | instid1(VALU_DEP_3)
	v_mad_u32 v2, v4, s52, v2
	v_mul_lo_u32 v5, v1, s57
	s_delay_alu instid0(VALU_DEP_1) | instskip(NEXT) | instid1(VALU_DEP_1)
	v_sub_nc_u32_e32 v4, v6, v5
	v_mad_u32 v3, v4, s55, v3
	s_delay_alu instid0(VALU_DEP_4)
	v_mad_u32 v2, v4, s54, v2
	s_cbranch_scc1 .LBB13_6
	s_branch .LBB13_132
.LBB13_7:
	s_and_not1_saveexec_b32 s0, s34
	s_cbranch_execz .LBB13_221
.LBB13_8:
	v_cndmask_b32_e64 v14, 0, 1, s33
	s_and_not1_b32 vcc_lo, exec_lo, s33
	s_cbranch_vccnz .LBB13_20
; %bb.9:
	s_cmp_lg_u32 s30, 0
	s_mov_b32 s6, 0
	s_cbranch_scc0 .LBB13_23
; %bb.10:
	s_min_u32 s1, s31, 15
	s_delay_alu instid0(SALU_CYCLE_1)
	s_add_co_i32 s1, s1, 1
	s_cmp_eq_u32 s31, 2
	s_cbranch_scc1 .LBB13_24
; %bb.11:
	v_dual_mov_b32 v2, 0 :: v_dual_mov_b32 v3, 0
	v_mov_b32_e32 v1, v0
	s_and_b32 s0, s1, 28
	s_add_nc_u64 s[2:3], s[12:13], 0xc4
	s_mov_b32 s7, 0
	s_mov_b64 s[4:5], s[12:13]
.LBB13_12:                              ; =>This Inner Loop Header: Depth=1
	s_clause 0x1
	s_load_b256 s[16:23], s[4:5], 0x4
	s_load_b128 s[8:11], s[4:5], 0x24
	s_load_b256 s[36:43], s[2:3], 0x0
	s_add_co_i32 s7, s7, 4
	s_wait_xcnt 0x0
	s_add_nc_u64 s[4:5], s[4:5], 48
	s_cmp_lg_u32 s0, s7
	s_add_nc_u64 s[2:3], s[2:3], 32
	s_wait_kmcnt 0x0
	v_mul_hi_u32 v4, s17, v1
	s_delay_alu instid0(VALU_DEP_1) | instskip(NEXT) | instid1(VALU_DEP_1)
	v_add_nc_u32_e32 v4, v1, v4
	v_lshrrev_b32_e32 v4, s18, v4
	s_delay_alu instid0(VALU_DEP_1) | instskip(NEXT) | instid1(VALU_DEP_1)
	v_mul_hi_u32 v5, s20, v4
	v_add_nc_u32_e32 v5, v4, v5
	s_delay_alu instid0(VALU_DEP_1) | instskip(NEXT) | instid1(VALU_DEP_1)
	v_lshrrev_b32_e32 v5, s21, v5
	v_mul_hi_u32 v6, s23, v5
	s_delay_alu instid0(VALU_DEP_1) | instskip(SKIP_1) | instid1(VALU_DEP_1)
	v_add_nc_u32_e32 v6, v5, v6
	v_mul_lo_u32 v7, v4, s16
	v_sub_nc_u32_e32 v1, v1, v7
	v_mul_lo_u32 v7, v5, s19
	s_delay_alu instid0(VALU_DEP_4) | instskip(NEXT) | instid1(VALU_DEP_3)
	v_lshrrev_b32_e32 v6, s8, v6
	v_mad_u32 v3, v1, s37, v3
	v_mad_u32 v1, v1, s36, v2
	s_delay_alu instid0(VALU_DEP_4) | instskip(NEXT) | instid1(VALU_DEP_4)
	v_sub_nc_u32_e32 v2, v4, v7
	v_mul_hi_u32 v8, s10, v6
	v_mul_lo_u32 v4, v6, s22
	s_delay_alu instid0(VALU_DEP_3) | instskip(SKIP_1) | instid1(VALU_DEP_4)
	v_mad_u32 v3, v2, s39, v3
	v_mad_u32 v2, v2, s38, v1
	v_add_nc_u32_e32 v7, v6, v8
	s_delay_alu instid0(VALU_DEP_1) | instskip(NEXT) | instid1(VALU_DEP_1)
	v_dual_sub_nc_u32 v4, v5, v4 :: v_dual_lshrrev_b32 v1, s11, v7
	v_mad_u32 v3, v4, s41, v3
	s_delay_alu instid0(VALU_DEP_4) | instskip(NEXT) | instid1(VALU_DEP_3)
	v_mad_u32 v2, v4, s40, v2
	v_mul_lo_u32 v5, v1, s9
	s_delay_alu instid0(VALU_DEP_1) | instskip(NEXT) | instid1(VALU_DEP_1)
	v_sub_nc_u32_e32 v4, v6, v5
	v_mad_u32 v3, v4, s43, v3
	s_delay_alu instid0(VALU_DEP_4)
	v_mad_u32 v2, v4, s42, v2
	s_cbranch_scc1 .LBB13_12
; %bb.13:
	s_and_b32 s4, s1, 3
	s_mov_b32 s1, 0
	s_cmp_eq_u32 s4, 0
	s_cbranch_scc0 .LBB13_25
	s_branch .LBB13_27
.LBB13_14:
	s_or_b32 exec_lo, exec_lo, s14
	s_delay_alu instid0(SALU_CYCLE_1)
	s_mov_b32 s14, exec_lo
	v_cmpx_gt_i32_e64 s36, v0
	s_cbranch_execz .LBB13_139
.LBB13_15:
	s_and_not1_b32 vcc_lo, exec_lo, s33
	s_cbranch_vccnz .LBB13_22
; %bb.16:
	s_and_not1_b32 vcc_lo, exec_lo, s38
	s_cbranch_vccnz .LBB13_130
; %bb.17:
	s_add_co_i32 s16, s37, 1
	s_cmp_eq_u32 s31, 2
	s_cbranch_scc1 .LBB13_147
; %bb.18:
	v_dual_mov_b32 v2, 0 :: v_dual_mov_b32 v3, 0
	v_mov_b32_e32 v1, v0
	s_and_b32 s24, s16, 28
	s_mov_b32 s25, 0
	s_mov_b64 s[26:27], s[12:13]
	s_mov_b64 s[28:29], s[22:23]
.LBB13_19:                              ; =>This Inner Loop Header: Depth=1
	s_clause 0x1
	s_load_b256 s[40:47], s[26:27], 0x4
	s_load_b128 s[56:59], s[26:27], 0x24
	s_load_b256 s[48:55], s[28:29], 0x0
	s_add_co_i32 s25, s25, 4
	s_wait_xcnt 0x0
	s_add_nc_u64 s[26:27], s[26:27], 48
	s_cmp_eq_u32 s24, s25
	s_add_nc_u64 s[28:29], s[28:29], 32
	s_wait_kmcnt 0x0
	v_mul_hi_u32 v4, s41, v1
	s_delay_alu instid0(VALU_DEP_1) | instskip(NEXT) | instid1(VALU_DEP_1)
	v_add_nc_u32_e32 v4, v1, v4
	v_lshrrev_b32_e32 v4, s42, v4
	s_delay_alu instid0(VALU_DEP_1) | instskip(NEXT) | instid1(VALU_DEP_1)
	v_mul_hi_u32 v5, s44, v4
	v_add_nc_u32_e32 v5, v4, v5
	s_delay_alu instid0(VALU_DEP_1) | instskip(NEXT) | instid1(VALU_DEP_1)
	v_lshrrev_b32_e32 v5, s45, v5
	v_mul_hi_u32 v6, s47, v5
	s_delay_alu instid0(VALU_DEP_1) | instskip(SKIP_1) | instid1(VALU_DEP_1)
	v_add_nc_u32_e32 v6, v5, v6
	v_mul_lo_u32 v7, v4, s40
	v_sub_nc_u32_e32 v1, v1, v7
	v_mul_lo_u32 v7, v5, s43
	s_delay_alu instid0(VALU_DEP_4) | instskip(NEXT) | instid1(VALU_DEP_3)
	v_lshrrev_b32_e32 v6, s56, v6
	v_mad_u32 v3, v1, s49, v3
	v_mad_u32 v1, v1, s48, v2
	s_delay_alu instid0(VALU_DEP_4) | instskip(NEXT) | instid1(VALU_DEP_4)
	v_sub_nc_u32_e32 v2, v4, v7
	v_mul_hi_u32 v8, s58, v6
	v_mul_lo_u32 v4, v6, s46
	s_delay_alu instid0(VALU_DEP_3) | instskip(SKIP_1) | instid1(VALU_DEP_4)
	v_mad_u32 v3, v2, s51, v3
	v_mad_u32 v2, v2, s50, v1
	v_add_nc_u32_e32 v7, v6, v8
	s_delay_alu instid0(VALU_DEP_1) | instskip(NEXT) | instid1(VALU_DEP_1)
	v_dual_sub_nc_u32 v4, v5, v4 :: v_dual_lshrrev_b32 v1, s59, v7
	v_mad_u32 v3, v4, s53, v3
	s_delay_alu instid0(VALU_DEP_4) | instskip(NEXT) | instid1(VALU_DEP_3)
	v_mad_u32 v2, v4, s52, v2
	v_mul_lo_u32 v5, v1, s57
	s_delay_alu instid0(VALU_DEP_1) | instskip(NEXT) | instid1(VALU_DEP_1)
	v_sub_nc_u32_e32 v4, v6, v5
	v_mad_u32 v3, v4, s55, v3
	s_delay_alu instid0(VALU_DEP_4)
	v_mad_u32 v2, v4, s54, v2
	s_cbranch_scc0 .LBB13_19
	s_branch .LBB13_148
.LBB13_20:
	s_mov_b32 s6, -1
                                        ; implicit-def: $vgpr3
	s_branch .LBB13_27
.LBB13_21:
                                        ; implicit-def: $vgpr3
	s_branch .LBB13_136
.LBB13_22:
                                        ; implicit-def: $vgpr3
	s_branch .LBB13_152
.LBB13_23:
	v_dual_mov_b32 v3, 0 :: v_dual_mov_b32 v2, 0
	s_branch .LBB13_27
.LBB13_24:
	v_mov_b64_e32 v[2:3], 0
	v_mov_b32_e32 v1, v0
	s_mov_b32 s0, 0
	s_and_b32 s4, s1, 3
	s_mov_b32 s1, 0
	s_cmp_eq_u32 s4, 0
	s_cbranch_scc1 .LBB13_27
.LBB13_25:
	s_lshl_b32 s2, s0, 3
	s_mov_b32 s3, s1
	s_mul_u64 s[8:9], s[0:1], 12
	s_add_nc_u64 s[2:3], s[12:13], s[2:3]
	s_delay_alu instid0(SALU_CYCLE_1)
	s_add_nc_u64 s[0:1], s[2:3], 0xc4
	s_add_nc_u64 s[2:3], s[12:13], s[8:9]
.LBB13_26:                              ; =>This Inner Loop Header: Depth=1
	s_load_b96 s[8:10], s[2:3], 0x4
	s_add_co_i32 s4, s4, -1
	s_wait_xcnt 0x0
	s_add_nc_u64 s[2:3], s[2:3], 12
	s_cmp_lg_u32 s4, 0
	s_wait_kmcnt 0x0
	v_mul_hi_u32 v4, s9, v1
	s_delay_alu instid0(VALU_DEP_1) | instskip(NEXT) | instid1(VALU_DEP_1)
	v_add_nc_u32_e32 v4, v1, v4
	v_lshrrev_b32_e32 v4, s10, v4
	s_load_b64 s[10:11], s[0:1], 0x0
	s_wait_xcnt 0x0
	s_add_nc_u64 s[0:1], s[0:1], 8
	s_delay_alu instid0(VALU_DEP_1) | instskip(NEXT) | instid1(VALU_DEP_1)
	v_mul_lo_u32 v5, v4, s8
	v_sub_nc_u32_e32 v1, v1, v5
	s_wait_kmcnt 0x0
	s_delay_alu instid0(VALU_DEP_1)
	v_mad_u32 v3, v1, s11, v3
	v_mad_u32 v2, v1, s10, v2
	v_mov_b32_e32 v1, v4
	s_cbranch_scc1 .LBB13_26
.LBB13_27:
	s_and_not1_b32 vcc_lo, exec_lo, s6
	s_cbranch_vccnz .LBB13_30
; %bb.28:
	s_clause 0x1
	s_load_b96 s[0:2], s[12:13], 0x4
	s_load_b64 s[4:5], s[12:13], 0xc4
	s_cmp_lt_u32 s30, 2
	s_wait_kmcnt 0x0
	v_mul_hi_u32 v1, s1, v0
	s_delay_alu instid0(VALU_DEP_1) | instskip(NEXT) | instid1(VALU_DEP_1)
	v_add_nc_u32_e32 v1, v0, v1
	v_lshrrev_b32_e32 v1, s2, v1
	s_delay_alu instid0(VALU_DEP_1) | instskip(NEXT) | instid1(VALU_DEP_1)
	v_mul_lo_u32 v2, v1, s0
	v_sub_nc_u32_e32 v2, v0, v2
	s_delay_alu instid0(VALU_DEP_1)
	v_mul_lo_u32 v3, v2, s5
	v_mul_lo_u32 v2, v2, s4
	s_cbranch_scc1 .LBB13_30
; %bb.29:
	s_clause 0x1
	s_load_b96 s[0:2], s[12:13], 0x10
	s_load_b64 s[4:5], s[12:13], 0xcc
	s_wait_kmcnt 0x0
	v_mul_hi_u32 v4, s1, v1
	s_delay_alu instid0(VALU_DEP_1) | instskip(NEXT) | instid1(VALU_DEP_1)
	v_add_nc_u32_e32 v4, v1, v4
	v_lshrrev_b32_e32 v4, s2, v4
	s_delay_alu instid0(VALU_DEP_1) | instskip(NEXT) | instid1(VALU_DEP_1)
	v_mul_lo_u32 v4, v4, s0
	v_sub_nc_u32_e32 v1, v1, v4
	s_delay_alu instid0(VALU_DEP_1)
	v_mad_u32 v2, v1, s4, v2
	v_mad_u32 v3, v1, s5, v3
.LBB13_30:
	v_cmp_ne_u32_e32 vcc_lo, 1, v14
	v_add_nc_u32_e32 v1, 0x80, v0
	s_cbranch_vccnz .LBB13_36
; %bb.31:
	s_cmp_lg_u32 s30, 0
	s_mov_b32 s6, 0
	s_cbranch_scc0 .LBB13_37
; %bb.32:
	s_min_u32 s1, s31, 15
	s_delay_alu instid0(SALU_CYCLE_1)
	s_add_co_i32 s1, s1, 1
	s_cmp_eq_u32 s31, 2
	s_cbranch_scc1 .LBB13_38
; %bb.33:
	v_dual_mov_b32 v4, 0 :: v_dual_mov_b32 v5, 0
	v_mov_b32_e32 v6, v1
	s_and_b32 s0, s1, 28
	s_add_nc_u64 s[2:3], s[12:13], 0xc4
	s_mov_b32 s7, 0
	s_mov_b64 s[4:5], s[12:13]
.LBB13_34:                              ; =>This Inner Loop Header: Depth=1
	s_clause 0x1
	s_load_b256 s[16:23], s[4:5], 0x4
	s_load_b128 s[8:11], s[4:5], 0x24
	s_load_b256 s[36:43], s[2:3], 0x0
	s_add_co_i32 s7, s7, 4
	s_wait_xcnt 0x0
	s_add_nc_u64 s[4:5], s[4:5], 48
	s_cmp_lg_u32 s0, s7
	s_add_nc_u64 s[2:3], s[2:3], 32
	s_wait_kmcnt 0x0
	v_mul_hi_u32 v7, s17, v6
	s_delay_alu instid0(VALU_DEP_1) | instskip(NEXT) | instid1(VALU_DEP_1)
	v_add_nc_u32_e32 v7, v6, v7
	v_lshrrev_b32_e32 v7, s18, v7
	s_delay_alu instid0(VALU_DEP_1) | instskip(NEXT) | instid1(VALU_DEP_1)
	v_mul_hi_u32 v8, s20, v7
	v_add_nc_u32_e32 v8, v7, v8
	s_delay_alu instid0(VALU_DEP_1) | instskip(NEXT) | instid1(VALU_DEP_1)
	v_lshrrev_b32_e32 v8, s21, v8
	v_mul_hi_u32 v9, s23, v8
	s_delay_alu instid0(VALU_DEP_1) | instskip(SKIP_1) | instid1(VALU_DEP_1)
	v_add_nc_u32_e32 v9, v8, v9
	v_mul_lo_u32 v10, v7, s16
	v_sub_nc_u32_e32 v6, v6, v10
	v_mul_lo_u32 v10, v8, s19
	s_delay_alu instid0(VALU_DEP_4) | instskip(NEXT) | instid1(VALU_DEP_3)
	v_lshrrev_b32_e32 v9, s8, v9
	v_mad_u32 v5, v6, s37, v5
	v_mad_u32 v4, v6, s36, v4
	s_delay_alu instid0(VALU_DEP_4) | instskip(NEXT) | instid1(VALU_DEP_4)
	v_sub_nc_u32_e32 v6, v7, v10
	v_mul_hi_u32 v11, s10, v9
	v_mul_lo_u32 v7, v9, s22
	s_delay_alu instid0(VALU_DEP_3) | instskip(SKIP_1) | instid1(VALU_DEP_4)
	v_mad_u32 v5, v6, s39, v5
	v_mad_u32 v4, v6, s38, v4
	v_add_nc_u32_e32 v10, v9, v11
	s_delay_alu instid0(VALU_DEP_1) | instskip(NEXT) | instid1(VALU_DEP_1)
	v_dual_sub_nc_u32 v7, v8, v7 :: v_dual_lshrrev_b32 v6, s11, v10
	v_mad_u32 v5, v7, s41, v5
	s_delay_alu instid0(VALU_DEP_4) | instskip(NEXT) | instid1(VALU_DEP_3)
	v_mad_u32 v4, v7, s40, v4
	v_mul_lo_u32 v8, v6, s9
	s_delay_alu instid0(VALU_DEP_1) | instskip(NEXT) | instid1(VALU_DEP_1)
	v_sub_nc_u32_e32 v7, v9, v8
	v_mad_u32 v5, v7, s43, v5
	s_delay_alu instid0(VALU_DEP_4)
	v_mad_u32 v4, v7, s42, v4
	s_cbranch_scc1 .LBB13_34
; %bb.35:
	s_and_b32 s4, s1, 3
	s_mov_b32 s1, 0
	s_cmp_eq_u32 s4, 0
	s_cbranch_scc0 .LBB13_39
	s_branch .LBB13_41
.LBB13_36:
	s_mov_b32 s6, -1
                                        ; implicit-def: $vgpr5
	s_branch .LBB13_41
.LBB13_37:
	v_dual_mov_b32 v5, 0 :: v_dual_mov_b32 v4, 0
	s_branch .LBB13_41
.LBB13_38:
	v_mov_b64_e32 v[4:5], 0
	v_mov_b32_e32 v6, v1
	s_mov_b32 s0, 0
	s_and_b32 s4, s1, 3
	s_mov_b32 s1, 0
	s_cmp_eq_u32 s4, 0
	s_cbranch_scc1 .LBB13_41
.LBB13_39:
	s_lshl_b32 s2, s0, 3
	s_mov_b32 s3, s1
	s_mul_u64 s[8:9], s[0:1], 12
	s_add_nc_u64 s[2:3], s[12:13], s[2:3]
	s_delay_alu instid0(SALU_CYCLE_1)
	s_add_nc_u64 s[0:1], s[2:3], 0xc4
	s_add_nc_u64 s[2:3], s[12:13], s[8:9]
.LBB13_40:                              ; =>This Inner Loop Header: Depth=1
	s_load_b96 s[8:10], s[2:3], 0x4
	s_add_co_i32 s4, s4, -1
	s_wait_xcnt 0x0
	s_add_nc_u64 s[2:3], s[2:3], 12
	s_cmp_lg_u32 s4, 0
	s_wait_kmcnt 0x0
	v_mul_hi_u32 v7, s9, v6
	s_delay_alu instid0(VALU_DEP_1) | instskip(NEXT) | instid1(VALU_DEP_1)
	v_add_nc_u32_e32 v7, v6, v7
	v_lshrrev_b32_e32 v7, s10, v7
	s_load_b64 s[10:11], s[0:1], 0x0
	s_wait_xcnt 0x0
	s_add_nc_u64 s[0:1], s[0:1], 8
	s_delay_alu instid0(VALU_DEP_1) | instskip(NEXT) | instid1(VALU_DEP_1)
	v_mul_lo_u32 v8, v7, s8
	v_sub_nc_u32_e32 v6, v6, v8
	s_wait_kmcnt 0x0
	s_delay_alu instid0(VALU_DEP_1)
	v_mad_u32 v5, v6, s11, v5
	v_mad_u32 v4, v6, s10, v4
	v_mov_b32_e32 v6, v7
	s_cbranch_scc1 .LBB13_40
.LBB13_41:
	s_and_not1_b32 vcc_lo, exec_lo, s6
	s_cbranch_vccnz .LBB13_44
; %bb.42:
	s_clause 0x1
	s_load_b96 s[0:2], s[12:13], 0x4
	s_load_b64 s[4:5], s[12:13], 0xc4
	s_cmp_lt_u32 s30, 2
	s_wait_kmcnt 0x0
	v_mul_hi_u32 v4, s1, v1
	s_delay_alu instid0(VALU_DEP_1) | instskip(NEXT) | instid1(VALU_DEP_1)
	v_add_nc_u32_e32 v4, v1, v4
	v_lshrrev_b32_e32 v6, s2, v4
	s_delay_alu instid0(VALU_DEP_1) | instskip(NEXT) | instid1(VALU_DEP_1)
	v_mul_lo_u32 v4, v6, s0
	v_sub_nc_u32_e32 v1, v1, v4
	s_delay_alu instid0(VALU_DEP_1)
	v_mul_lo_u32 v5, v1, s5
	v_mul_lo_u32 v4, v1, s4
	s_cbranch_scc1 .LBB13_44
; %bb.43:
	s_clause 0x1
	s_load_b96 s[0:2], s[12:13], 0x10
	s_load_b64 s[4:5], s[12:13], 0xcc
	s_wait_kmcnt 0x0
	v_mul_hi_u32 v1, s1, v6
	s_delay_alu instid0(VALU_DEP_1) | instskip(NEXT) | instid1(VALU_DEP_1)
	v_add_nc_u32_e32 v1, v6, v1
	v_lshrrev_b32_e32 v1, s2, v1
	s_delay_alu instid0(VALU_DEP_1) | instskip(NEXT) | instid1(VALU_DEP_1)
	v_mul_lo_u32 v1, v1, s0
	v_sub_nc_u32_e32 v1, v6, v1
	s_delay_alu instid0(VALU_DEP_1)
	v_mad_u32 v4, v1, s4, v4
	v_mad_u32 v5, v1, s5, v5
.LBB13_44:
	v_cmp_ne_u32_e32 vcc_lo, 1, v14
	v_add_nc_u32_e32 v1, 0x100, v0
	s_cbranch_vccnz .LBB13_50
; %bb.45:
	s_cmp_lg_u32 s30, 0
	s_mov_b32 s6, 0
	s_cbranch_scc0 .LBB13_51
; %bb.46:
	s_min_u32 s1, s31, 15
	s_delay_alu instid0(SALU_CYCLE_1)
	s_add_co_i32 s1, s1, 1
	s_cmp_eq_u32 s31, 2
	s_cbranch_scc1 .LBB13_52
; %bb.47:
	v_dual_mov_b32 v6, 0 :: v_dual_mov_b32 v7, 0
	v_mov_b32_e32 v8, v1
	s_and_b32 s0, s1, 28
	s_add_nc_u64 s[2:3], s[12:13], 0xc4
	s_mov_b32 s7, 0
	s_mov_b64 s[4:5], s[12:13]
.LBB13_48:                              ; =>This Inner Loop Header: Depth=1
	s_clause 0x1
	s_load_b256 s[16:23], s[4:5], 0x4
	s_load_b128 s[8:11], s[4:5], 0x24
	s_load_b256 s[36:43], s[2:3], 0x0
	s_add_co_i32 s7, s7, 4
	s_wait_xcnt 0x0
	s_add_nc_u64 s[4:5], s[4:5], 48
	s_cmp_lg_u32 s0, s7
	s_add_nc_u64 s[2:3], s[2:3], 32
	s_wait_kmcnt 0x0
	v_mul_hi_u32 v9, s17, v8
	s_delay_alu instid0(VALU_DEP_1) | instskip(NEXT) | instid1(VALU_DEP_1)
	v_add_nc_u32_e32 v9, v8, v9
	v_lshrrev_b32_e32 v9, s18, v9
	s_delay_alu instid0(VALU_DEP_1) | instskip(NEXT) | instid1(VALU_DEP_1)
	v_mul_hi_u32 v10, s20, v9
	v_add_nc_u32_e32 v10, v9, v10
	s_delay_alu instid0(VALU_DEP_1) | instskip(NEXT) | instid1(VALU_DEP_1)
	v_lshrrev_b32_e32 v10, s21, v10
	v_mul_hi_u32 v11, s23, v10
	s_delay_alu instid0(VALU_DEP_1) | instskip(SKIP_1) | instid1(VALU_DEP_1)
	v_add_nc_u32_e32 v11, v10, v11
	v_mul_lo_u32 v12, v9, s16
	v_sub_nc_u32_e32 v8, v8, v12
	v_mul_lo_u32 v12, v10, s19
	s_delay_alu instid0(VALU_DEP_4) | instskip(NEXT) | instid1(VALU_DEP_3)
	v_lshrrev_b32_e32 v11, s8, v11
	v_mad_u32 v7, v8, s37, v7
	v_mad_u32 v6, v8, s36, v6
	s_delay_alu instid0(VALU_DEP_4) | instskip(NEXT) | instid1(VALU_DEP_4)
	v_sub_nc_u32_e32 v8, v9, v12
	v_mul_hi_u32 v13, s10, v11
	v_mul_lo_u32 v9, v11, s22
	s_delay_alu instid0(VALU_DEP_3) | instskip(SKIP_1) | instid1(VALU_DEP_4)
	v_mad_u32 v7, v8, s39, v7
	v_mad_u32 v6, v8, s38, v6
	v_add_nc_u32_e32 v12, v11, v13
	s_delay_alu instid0(VALU_DEP_1) | instskip(NEXT) | instid1(VALU_DEP_1)
	v_dual_sub_nc_u32 v9, v10, v9 :: v_dual_lshrrev_b32 v8, s11, v12
	v_mad_u32 v7, v9, s41, v7
	s_delay_alu instid0(VALU_DEP_4) | instskip(NEXT) | instid1(VALU_DEP_3)
	v_mad_u32 v6, v9, s40, v6
	v_mul_lo_u32 v10, v8, s9
	s_delay_alu instid0(VALU_DEP_1) | instskip(NEXT) | instid1(VALU_DEP_1)
	v_sub_nc_u32_e32 v9, v11, v10
	v_mad_u32 v7, v9, s43, v7
	s_delay_alu instid0(VALU_DEP_4)
	v_mad_u32 v6, v9, s42, v6
	s_cbranch_scc1 .LBB13_48
; %bb.49:
	s_and_b32 s4, s1, 3
	s_mov_b32 s1, 0
	s_cmp_eq_u32 s4, 0
	s_cbranch_scc0 .LBB13_53
	s_branch .LBB13_55
.LBB13_50:
	s_mov_b32 s6, -1
                                        ; implicit-def: $vgpr7
	s_branch .LBB13_55
.LBB13_51:
	v_dual_mov_b32 v7, 0 :: v_dual_mov_b32 v6, 0
	s_branch .LBB13_55
.LBB13_52:
	v_mov_b64_e32 v[6:7], 0
	v_mov_b32_e32 v8, v1
	s_mov_b32 s0, 0
	s_and_b32 s4, s1, 3
	s_mov_b32 s1, 0
	s_cmp_eq_u32 s4, 0
	s_cbranch_scc1 .LBB13_55
.LBB13_53:
	s_lshl_b32 s2, s0, 3
	s_mov_b32 s3, s1
	s_mul_u64 s[8:9], s[0:1], 12
	s_add_nc_u64 s[2:3], s[12:13], s[2:3]
	s_delay_alu instid0(SALU_CYCLE_1)
	s_add_nc_u64 s[0:1], s[2:3], 0xc4
	s_add_nc_u64 s[2:3], s[12:13], s[8:9]
.LBB13_54:                              ; =>This Inner Loop Header: Depth=1
	s_load_b96 s[8:10], s[2:3], 0x4
	s_add_co_i32 s4, s4, -1
	s_wait_xcnt 0x0
	s_add_nc_u64 s[2:3], s[2:3], 12
	s_cmp_lg_u32 s4, 0
	s_wait_kmcnt 0x0
	v_mul_hi_u32 v9, s9, v8
	s_delay_alu instid0(VALU_DEP_1) | instskip(NEXT) | instid1(VALU_DEP_1)
	v_add_nc_u32_e32 v9, v8, v9
	v_lshrrev_b32_e32 v9, s10, v9
	s_load_b64 s[10:11], s[0:1], 0x0
	s_wait_xcnt 0x0
	s_add_nc_u64 s[0:1], s[0:1], 8
	s_delay_alu instid0(VALU_DEP_1) | instskip(NEXT) | instid1(VALU_DEP_1)
	v_mul_lo_u32 v10, v9, s8
	v_sub_nc_u32_e32 v8, v8, v10
	s_wait_kmcnt 0x0
	s_delay_alu instid0(VALU_DEP_1)
	v_mad_u32 v7, v8, s11, v7
	v_mad_u32 v6, v8, s10, v6
	v_mov_b32_e32 v8, v9
	s_cbranch_scc1 .LBB13_54
.LBB13_55:
	s_and_not1_b32 vcc_lo, exec_lo, s6
	s_cbranch_vccnz .LBB13_58
; %bb.56:
	s_clause 0x1
	s_load_b96 s[0:2], s[12:13], 0x4
	s_load_b64 s[4:5], s[12:13], 0xc4
	s_cmp_lt_u32 s30, 2
	s_wait_kmcnt 0x0
	v_mul_hi_u32 v6, s1, v1
	s_delay_alu instid0(VALU_DEP_1) | instskip(NEXT) | instid1(VALU_DEP_1)
	v_add_nc_u32_e32 v6, v1, v6
	v_lshrrev_b32_e32 v8, s2, v6
	s_delay_alu instid0(VALU_DEP_1) | instskip(NEXT) | instid1(VALU_DEP_1)
	v_mul_lo_u32 v6, v8, s0
	v_sub_nc_u32_e32 v1, v1, v6
	s_delay_alu instid0(VALU_DEP_1)
	v_mul_lo_u32 v7, v1, s5
	v_mul_lo_u32 v6, v1, s4
	s_cbranch_scc1 .LBB13_58
; %bb.57:
	s_clause 0x1
	s_load_b96 s[0:2], s[12:13], 0x10
	s_load_b64 s[4:5], s[12:13], 0xcc
	s_wait_kmcnt 0x0
	v_mul_hi_u32 v1, s1, v8
	s_delay_alu instid0(VALU_DEP_1) | instskip(NEXT) | instid1(VALU_DEP_1)
	v_add_nc_u32_e32 v1, v8, v1
	v_lshrrev_b32_e32 v1, s2, v1
	s_delay_alu instid0(VALU_DEP_1) | instskip(NEXT) | instid1(VALU_DEP_1)
	v_mul_lo_u32 v1, v1, s0
	v_sub_nc_u32_e32 v1, v8, v1
	s_delay_alu instid0(VALU_DEP_1)
	v_mad_u32 v6, v1, s4, v6
	v_mad_u32 v7, v1, s5, v7
.LBB13_58:
	v_cmp_ne_u32_e32 vcc_lo, 1, v14
	v_add_nc_u32_e32 v1, 0x180, v0
	s_cbranch_vccnz .LBB13_64
; %bb.59:
	s_cmp_lg_u32 s30, 0
	s_mov_b32 s6, 0
	s_cbranch_scc0 .LBB13_65
; %bb.60:
	s_min_u32 s1, s31, 15
	s_delay_alu instid0(SALU_CYCLE_1)
	s_add_co_i32 s1, s1, 1
	s_cmp_eq_u32 s31, 2
	s_cbranch_scc1 .LBB13_66
; %bb.61:
	v_dual_mov_b32 v8, 0 :: v_dual_mov_b32 v9, 0
	v_mov_b32_e32 v10, v1
	s_and_b32 s0, s1, 28
	s_add_nc_u64 s[2:3], s[12:13], 0xc4
	s_mov_b32 s7, 0
	s_mov_b64 s[4:5], s[12:13]
.LBB13_62:                              ; =>This Inner Loop Header: Depth=1
	s_clause 0x1
	s_load_b256 s[16:23], s[4:5], 0x4
	s_load_b128 s[8:11], s[4:5], 0x24
	s_load_b256 s[36:43], s[2:3], 0x0
	s_add_co_i32 s7, s7, 4
	s_wait_xcnt 0x0
	s_add_nc_u64 s[4:5], s[4:5], 48
	s_cmp_lg_u32 s0, s7
	s_add_nc_u64 s[2:3], s[2:3], 32
	s_wait_kmcnt 0x0
	v_mul_hi_u32 v11, s17, v10
	s_delay_alu instid0(VALU_DEP_1) | instskip(NEXT) | instid1(VALU_DEP_1)
	v_add_nc_u32_e32 v11, v10, v11
	v_lshrrev_b32_e32 v11, s18, v11
	s_delay_alu instid0(VALU_DEP_1) | instskip(NEXT) | instid1(VALU_DEP_1)
	v_mul_hi_u32 v12, s20, v11
	v_add_nc_u32_e32 v12, v11, v12
	s_delay_alu instid0(VALU_DEP_1) | instskip(NEXT) | instid1(VALU_DEP_1)
	v_lshrrev_b32_e32 v12, s21, v12
	v_mul_hi_u32 v13, s23, v12
	s_delay_alu instid0(VALU_DEP_1) | instskip(SKIP_1) | instid1(VALU_DEP_1)
	v_add_nc_u32_e32 v13, v12, v13
	v_mul_lo_u32 v15, v11, s16
	v_sub_nc_u32_e32 v10, v10, v15
	v_mul_lo_u32 v15, v12, s19
	s_delay_alu instid0(VALU_DEP_4) | instskip(NEXT) | instid1(VALU_DEP_3)
	v_lshrrev_b32_e32 v13, s8, v13
	v_mad_u32 v9, v10, s37, v9
	v_mad_u32 v8, v10, s36, v8
	s_delay_alu instid0(VALU_DEP_4) | instskip(NEXT) | instid1(VALU_DEP_4)
	v_sub_nc_u32_e32 v10, v11, v15
	v_mul_hi_u32 v17, s10, v13
	v_mul_lo_u32 v11, v13, s22
	s_delay_alu instid0(VALU_DEP_3) | instskip(SKIP_1) | instid1(VALU_DEP_3)
	v_mad_u32 v9, v10, s39, v9
	v_mad_u32 v8, v10, s38, v8
	v_dual_add_nc_u32 v15, v13, v17 :: v_dual_sub_nc_u32 v11, v12, v11
	s_delay_alu instid0(VALU_DEP_1) | instskip(NEXT) | instid1(VALU_DEP_2)
	v_lshrrev_b32_e32 v10, s11, v15
	v_mad_u32 v9, v11, s41, v9
	s_delay_alu instid0(VALU_DEP_4) | instskip(NEXT) | instid1(VALU_DEP_3)
	v_mad_u32 v8, v11, s40, v8
	v_mul_lo_u32 v12, v10, s9
	s_delay_alu instid0(VALU_DEP_1) | instskip(NEXT) | instid1(VALU_DEP_1)
	v_sub_nc_u32_e32 v11, v13, v12
	v_mad_u32 v9, v11, s43, v9
	s_delay_alu instid0(VALU_DEP_4)
	v_mad_u32 v8, v11, s42, v8
	s_cbranch_scc1 .LBB13_62
; %bb.63:
	s_and_b32 s4, s1, 3
	s_mov_b32 s1, 0
	s_cmp_eq_u32 s4, 0
	s_cbranch_scc0 .LBB13_67
	s_branch .LBB13_69
.LBB13_64:
	s_mov_b32 s6, -1
                                        ; implicit-def: $vgpr9
	s_branch .LBB13_69
.LBB13_65:
	v_dual_mov_b32 v9, 0 :: v_dual_mov_b32 v8, 0
	s_branch .LBB13_69
.LBB13_66:
	v_mov_b64_e32 v[8:9], 0
	v_mov_b32_e32 v10, v1
	s_mov_b32 s0, 0
	s_and_b32 s4, s1, 3
	s_mov_b32 s1, 0
	s_cmp_eq_u32 s4, 0
	s_cbranch_scc1 .LBB13_69
.LBB13_67:
	s_lshl_b32 s2, s0, 3
	s_mov_b32 s3, s1
	s_mul_u64 s[8:9], s[0:1], 12
	s_add_nc_u64 s[2:3], s[12:13], s[2:3]
	s_delay_alu instid0(SALU_CYCLE_1)
	s_add_nc_u64 s[0:1], s[2:3], 0xc4
	s_add_nc_u64 s[2:3], s[12:13], s[8:9]
.LBB13_68:                              ; =>This Inner Loop Header: Depth=1
	s_load_b96 s[8:10], s[2:3], 0x4
	s_add_co_i32 s4, s4, -1
	s_wait_xcnt 0x0
	s_add_nc_u64 s[2:3], s[2:3], 12
	s_cmp_lg_u32 s4, 0
	s_wait_kmcnt 0x0
	v_mul_hi_u32 v11, s9, v10
	s_delay_alu instid0(VALU_DEP_1) | instskip(NEXT) | instid1(VALU_DEP_1)
	v_add_nc_u32_e32 v11, v10, v11
	v_lshrrev_b32_e32 v11, s10, v11
	s_load_b64 s[10:11], s[0:1], 0x0
	s_wait_xcnt 0x0
	s_add_nc_u64 s[0:1], s[0:1], 8
	s_delay_alu instid0(VALU_DEP_1) | instskip(NEXT) | instid1(VALU_DEP_1)
	v_mul_lo_u32 v12, v11, s8
	v_sub_nc_u32_e32 v10, v10, v12
	s_wait_kmcnt 0x0
	s_delay_alu instid0(VALU_DEP_1)
	v_mad_u32 v9, v10, s11, v9
	v_mad_u32 v8, v10, s10, v8
	v_mov_b32_e32 v10, v11
	s_cbranch_scc1 .LBB13_68
.LBB13_69:
	s_and_not1_b32 vcc_lo, exec_lo, s6
	s_cbranch_vccnz .LBB13_72
; %bb.70:
	s_clause 0x1
	s_load_b96 s[0:2], s[12:13], 0x4
	s_load_b64 s[4:5], s[12:13], 0xc4
	s_cmp_lt_u32 s30, 2
	s_wait_kmcnt 0x0
	v_mul_hi_u32 v8, s1, v1
	s_delay_alu instid0(VALU_DEP_1) | instskip(NEXT) | instid1(VALU_DEP_1)
	v_add_nc_u32_e32 v8, v1, v8
	v_lshrrev_b32_e32 v10, s2, v8
	s_delay_alu instid0(VALU_DEP_1) | instskip(NEXT) | instid1(VALU_DEP_1)
	v_mul_lo_u32 v8, v10, s0
	v_sub_nc_u32_e32 v1, v1, v8
	s_delay_alu instid0(VALU_DEP_1)
	v_mul_lo_u32 v9, v1, s5
	v_mul_lo_u32 v8, v1, s4
	s_cbranch_scc1 .LBB13_72
; %bb.71:
	s_clause 0x1
	s_load_b96 s[0:2], s[12:13], 0x10
	s_load_b64 s[4:5], s[12:13], 0xcc
	s_wait_kmcnt 0x0
	v_mul_hi_u32 v1, s1, v10
	s_delay_alu instid0(VALU_DEP_1) | instskip(NEXT) | instid1(VALU_DEP_1)
	v_add_nc_u32_e32 v1, v10, v1
	v_lshrrev_b32_e32 v1, s2, v1
	s_delay_alu instid0(VALU_DEP_1) | instskip(NEXT) | instid1(VALU_DEP_1)
	v_mul_lo_u32 v1, v1, s0
	v_sub_nc_u32_e32 v1, v10, v1
	s_delay_alu instid0(VALU_DEP_1)
	v_mad_u32 v8, v1, s4, v8
	v_mad_u32 v9, v1, s5, v9
.LBB13_72:
	v_cmp_ne_u32_e32 vcc_lo, 1, v14
	v_add_nc_u32_e32 v1, 0x200, v0
	s_cbranch_vccnz .LBB13_78
; %bb.73:
	s_cmp_lg_u32 s30, 0
	s_mov_b32 s6, 0
	s_cbranch_scc0 .LBB13_79
; %bb.74:
	s_min_u32 s1, s31, 15
	s_delay_alu instid0(SALU_CYCLE_1)
	s_add_co_i32 s1, s1, 1
	s_cmp_eq_u32 s31, 2
	s_cbranch_scc1 .LBB13_80
; %bb.75:
	v_dual_mov_b32 v10, 0 :: v_dual_mov_b32 v11, 0
	v_mov_b32_e32 v12, v1
	s_and_b32 s0, s1, 28
	s_add_nc_u64 s[2:3], s[12:13], 0xc4
	s_mov_b32 s7, 0
	s_mov_b64 s[4:5], s[12:13]
.LBB13_76:                              ; =>This Inner Loop Header: Depth=1
	s_clause 0x1
	s_load_b256 s[16:23], s[4:5], 0x4
	s_load_b128 s[8:11], s[4:5], 0x24
	s_load_b256 s[36:43], s[2:3], 0x0
	s_add_co_i32 s7, s7, 4
	s_wait_xcnt 0x0
	s_add_nc_u64 s[4:5], s[4:5], 48
	s_cmp_lg_u32 s0, s7
	s_add_nc_u64 s[2:3], s[2:3], 32
	s_wait_kmcnt 0x0
	v_mul_hi_u32 v13, s17, v12
	s_delay_alu instid0(VALU_DEP_1) | instskip(NEXT) | instid1(VALU_DEP_1)
	v_add_nc_u32_e32 v13, v12, v13
	v_lshrrev_b32_e32 v13, s18, v13
	s_delay_alu instid0(VALU_DEP_1) | instskip(NEXT) | instid1(VALU_DEP_1)
	v_mul_lo_u32 v18, v13, s16
	v_sub_nc_u32_e32 v12, v12, v18
	v_mul_hi_u32 v15, s20, v13
	s_delay_alu instid0(VALU_DEP_2) | instskip(SKIP_1) | instid1(VALU_DEP_3)
	v_mad_u32 v11, v12, s37, v11
	v_mad_u32 v10, v12, s36, v10
	v_add_nc_u32_e32 v15, v13, v15
	s_delay_alu instid0(VALU_DEP_1) | instskip(NEXT) | instid1(VALU_DEP_1)
	v_lshrrev_b32_e32 v15, s21, v15
	v_mul_hi_u32 v17, s23, v15
	v_mul_lo_u32 v18, v15, s19
	s_delay_alu instid0(VALU_DEP_1) | instskip(NEXT) | instid1(VALU_DEP_1)
	v_dual_add_nc_u32 v17, v15, v17 :: v_dual_sub_nc_u32 v12, v13, v18
	v_lshrrev_b32_e32 v17, s8, v17
	s_delay_alu instid0(VALU_DEP_2) | instskip(SKIP_1) | instid1(VALU_DEP_3)
	v_mad_u32 v11, v12, s39, v11
	v_mad_u32 v10, v12, s38, v10
	v_mul_hi_u32 v19, s10, v17
	v_mul_lo_u32 v13, v17, s22
	s_delay_alu instid0(VALU_DEP_1) | instskip(NEXT) | instid1(VALU_DEP_1)
	v_dual_add_nc_u32 v18, v17, v19 :: v_dual_sub_nc_u32 v13, v15, v13
	v_lshrrev_b32_e32 v12, s11, v18
	s_delay_alu instid0(VALU_DEP_2) | instskip(SKIP_1) | instid1(VALU_DEP_3)
	v_mad_u32 v11, v13, s41, v11
	v_mad_u32 v10, v13, s40, v10
	v_mul_lo_u32 v15, v12, s9
	s_delay_alu instid0(VALU_DEP_1) | instskip(NEXT) | instid1(VALU_DEP_1)
	v_sub_nc_u32_e32 v13, v17, v15
	v_mad_u32 v11, v13, s43, v11
	s_delay_alu instid0(VALU_DEP_4)
	v_mad_u32 v10, v13, s42, v10
	s_cbranch_scc1 .LBB13_76
; %bb.77:
	s_and_b32 s4, s1, 3
	s_mov_b32 s1, 0
	s_cmp_eq_u32 s4, 0
	s_cbranch_scc0 .LBB13_81
	s_branch .LBB13_83
.LBB13_78:
	s_mov_b32 s6, -1
                                        ; implicit-def: $vgpr11
	s_branch .LBB13_83
.LBB13_79:
	v_dual_mov_b32 v11, 0 :: v_dual_mov_b32 v10, 0
	s_branch .LBB13_83
.LBB13_80:
	v_mov_b64_e32 v[10:11], 0
	v_mov_b32_e32 v12, v1
	s_mov_b32 s0, 0
	s_and_b32 s4, s1, 3
	s_mov_b32 s1, 0
	s_cmp_eq_u32 s4, 0
	s_cbranch_scc1 .LBB13_83
.LBB13_81:
	s_lshl_b32 s2, s0, 3
	s_mov_b32 s3, s1
	s_mul_u64 s[8:9], s[0:1], 12
	s_add_nc_u64 s[2:3], s[12:13], s[2:3]
	s_delay_alu instid0(SALU_CYCLE_1)
	s_add_nc_u64 s[0:1], s[2:3], 0xc4
	s_add_nc_u64 s[2:3], s[12:13], s[8:9]
.LBB13_82:                              ; =>This Inner Loop Header: Depth=1
	s_load_b96 s[8:10], s[2:3], 0x4
	s_add_co_i32 s4, s4, -1
	s_wait_xcnt 0x0
	s_add_nc_u64 s[2:3], s[2:3], 12
	s_cmp_lg_u32 s4, 0
	s_wait_kmcnt 0x0
	v_mul_hi_u32 v13, s9, v12
	s_delay_alu instid0(VALU_DEP_1) | instskip(NEXT) | instid1(VALU_DEP_1)
	v_add_nc_u32_e32 v13, v12, v13
	v_lshrrev_b32_e32 v13, s10, v13
	s_load_b64 s[10:11], s[0:1], 0x0
	s_wait_xcnt 0x0
	s_add_nc_u64 s[0:1], s[0:1], 8
	s_delay_alu instid0(VALU_DEP_1) | instskip(NEXT) | instid1(VALU_DEP_1)
	v_mul_lo_u32 v15, v13, s8
	v_sub_nc_u32_e32 v12, v12, v15
	s_wait_kmcnt 0x0
	s_delay_alu instid0(VALU_DEP_1)
	v_mad_u32 v11, v12, s11, v11
	v_mad_u32 v10, v12, s10, v10
	v_mov_b32_e32 v12, v13
	s_cbranch_scc1 .LBB13_82
.LBB13_83:
	s_and_not1_b32 vcc_lo, exec_lo, s6
	s_cbranch_vccnz .LBB13_86
; %bb.84:
	s_clause 0x1
	s_load_b96 s[0:2], s[12:13], 0x4
	s_load_b64 s[4:5], s[12:13], 0xc4
	s_cmp_lt_u32 s30, 2
	s_wait_kmcnt 0x0
	v_mul_hi_u32 v10, s1, v1
	s_delay_alu instid0(VALU_DEP_1) | instskip(NEXT) | instid1(VALU_DEP_1)
	v_add_nc_u32_e32 v10, v1, v10
	v_lshrrev_b32_e32 v12, s2, v10
	s_delay_alu instid0(VALU_DEP_1) | instskip(NEXT) | instid1(VALU_DEP_1)
	v_mul_lo_u32 v10, v12, s0
	v_sub_nc_u32_e32 v1, v1, v10
	s_delay_alu instid0(VALU_DEP_1)
	v_mul_lo_u32 v11, v1, s5
	v_mul_lo_u32 v10, v1, s4
	s_cbranch_scc1 .LBB13_86
; %bb.85:
	s_clause 0x1
	s_load_b96 s[0:2], s[12:13], 0x10
	s_load_b64 s[4:5], s[12:13], 0xcc
	s_wait_kmcnt 0x0
	v_mul_hi_u32 v1, s1, v12
	s_delay_alu instid0(VALU_DEP_1) | instskip(NEXT) | instid1(VALU_DEP_1)
	v_add_nc_u32_e32 v1, v12, v1
	v_lshrrev_b32_e32 v1, s2, v1
	s_delay_alu instid0(VALU_DEP_1) | instskip(NEXT) | instid1(VALU_DEP_1)
	v_mul_lo_u32 v1, v1, s0
	v_sub_nc_u32_e32 v1, v12, v1
	s_delay_alu instid0(VALU_DEP_1)
	v_mad_u32 v10, v1, s4, v10
	v_mad_u32 v11, v1, s5, v11
.LBB13_86:
	v_cmp_ne_u32_e32 vcc_lo, 1, v14
	v_add_nc_u32_e32 v1, 0x280, v0
	s_cbranch_vccnz .LBB13_92
; %bb.87:
	s_cmp_lg_u32 s30, 0
	s_mov_b32 s6, 0
	s_cbranch_scc0 .LBB13_93
; %bb.88:
	s_min_u32 s1, s31, 15
	s_delay_alu instid0(SALU_CYCLE_1)
	s_add_co_i32 s1, s1, 1
	s_cmp_eq_u32 s31, 2
	s_cbranch_scc1 .LBB13_94
; %bb.89:
	v_dual_mov_b32 v12, 0 :: v_dual_mov_b32 v13, 0
	v_mov_b32_e32 v15, v1
	s_and_b32 s0, s1, 28
	s_add_nc_u64 s[2:3], s[12:13], 0xc4
	s_mov_b32 s7, 0
	s_mov_b64 s[4:5], s[12:13]
.LBB13_90:                              ; =>This Inner Loop Header: Depth=1
	s_clause 0x1
	s_load_b256 s[16:23], s[4:5], 0x4
	s_load_b128 s[8:11], s[4:5], 0x24
	s_load_b256 s[36:43], s[2:3], 0x0
	s_add_co_i32 s7, s7, 4
	s_wait_xcnt 0x0
	s_add_nc_u64 s[4:5], s[4:5], 48
	s_cmp_lg_u32 s0, s7
	s_add_nc_u64 s[2:3], s[2:3], 32
	s_wait_kmcnt 0x0
	v_mul_hi_u32 v17, s17, v15
	s_delay_alu instid0(VALU_DEP_1) | instskip(NEXT) | instid1(VALU_DEP_1)
	v_add_nc_u32_e32 v17, v15, v17
	v_lshrrev_b32_e32 v17, s18, v17
	s_delay_alu instid0(VALU_DEP_1) | instskip(NEXT) | instid1(VALU_DEP_1)
	v_mul_hi_u32 v18, s20, v17
	v_add_nc_u32_e32 v18, v17, v18
	s_delay_alu instid0(VALU_DEP_1) | instskip(NEXT) | instid1(VALU_DEP_1)
	v_lshrrev_b32_e32 v18, s21, v18
	v_mul_hi_u32 v19, s23, v18
	s_delay_alu instid0(VALU_DEP_1) | instskip(SKIP_1) | instid1(VALU_DEP_1)
	v_add_nc_u32_e32 v19, v18, v19
	v_mul_lo_u32 v20, v17, s16
	v_sub_nc_u32_e32 v15, v15, v20
	v_mul_lo_u32 v20, v18, s19
	s_delay_alu instid0(VALU_DEP_4) | instskip(NEXT) | instid1(VALU_DEP_3)
	v_lshrrev_b32_e32 v19, s8, v19
	v_mad_u32 v13, v15, s37, v13
	v_mad_u32 v12, v15, s36, v12
	s_delay_alu instid0(VALU_DEP_4) | instskip(NEXT) | instid1(VALU_DEP_4)
	v_sub_nc_u32_e32 v15, v17, v20
	v_mul_hi_u32 v21, s10, v19
	v_mul_lo_u32 v17, v19, s22
	s_delay_alu instid0(VALU_DEP_3) | instskip(SKIP_1) | instid1(VALU_DEP_4)
	v_mad_u32 v13, v15, s39, v13
	v_mad_u32 v12, v15, s38, v12
	v_add_nc_u32_e32 v20, v19, v21
	s_delay_alu instid0(VALU_DEP_1) | instskip(NEXT) | instid1(VALU_DEP_1)
	v_dual_sub_nc_u32 v17, v18, v17 :: v_dual_lshrrev_b32 v15, s11, v20
	v_mad_u32 v13, v17, s41, v13
	s_delay_alu instid0(VALU_DEP_4) | instskip(NEXT) | instid1(VALU_DEP_3)
	v_mad_u32 v12, v17, s40, v12
	v_mul_lo_u32 v18, v15, s9
	s_delay_alu instid0(VALU_DEP_1) | instskip(NEXT) | instid1(VALU_DEP_1)
	v_sub_nc_u32_e32 v17, v19, v18
	v_mad_u32 v13, v17, s43, v13
	s_delay_alu instid0(VALU_DEP_4)
	v_mad_u32 v12, v17, s42, v12
	s_cbranch_scc1 .LBB13_90
; %bb.91:
	s_and_b32 s4, s1, 3
	s_mov_b32 s1, 0
	s_cmp_eq_u32 s4, 0
	s_cbranch_scc0 .LBB13_95
	s_branch .LBB13_97
.LBB13_92:
	s_mov_b32 s6, -1
                                        ; implicit-def: $vgpr13
	s_branch .LBB13_97
.LBB13_93:
	v_dual_mov_b32 v13, 0 :: v_dual_mov_b32 v12, 0
	s_branch .LBB13_97
.LBB13_94:
	v_mov_b64_e32 v[12:13], 0
	v_mov_b32_e32 v15, v1
	s_mov_b32 s0, 0
	s_and_b32 s4, s1, 3
	s_mov_b32 s1, 0
	s_cmp_eq_u32 s4, 0
	s_cbranch_scc1 .LBB13_97
.LBB13_95:
	s_lshl_b32 s2, s0, 3
	s_mov_b32 s3, s1
	s_mul_u64 s[8:9], s[0:1], 12
	s_add_nc_u64 s[2:3], s[12:13], s[2:3]
	s_delay_alu instid0(SALU_CYCLE_1)
	s_add_nc_u64 s[0:1], s[2:3], 0xc4
	s_add_nc_u64 s[2:3], s[12:13], s[8:9]
.LBB13_96:                              ; =>This Inner Loop Header: Depth=1
	s_load_b96 s[8:10], s[2:3], 0x4
	s_add_co_i32 s4, s4, -1
	s_wait_xcnt 0x0
	s_add_nc_u64 s[2:3], s[2:3], 12
	s_cmp_lg_u32 s4, 0
	s_wait_kmcnt 0x0
	v_mul_hi_u32 v17, s9, v15
	s_delay_alu instid0(VALU_DEP_1) | instskip(NEXT) | instid1(VALU_DEP_1)
	v_add_nc_u32_e32 v17, v15, v17
	v_lshrrev_b32_e32 v17, s10, v17
	s_load_b64 s[10:11], s[0:1], 0x0
	s_wait_xcnt 0x0
	s_add_nc_u64 s[0:1], s[0:1], 8
	s_delay_alu instid0(VALU_DEP_1) | instskip(NEXT) | instid1(VALU_DEP_1)
	v_mul_lo_u32 v18, v17, s8
	v_sub_nc_u32_e32 v15, v15, v18
	s_wait_kmcnt 0x0
	s_delay_alu instid0(VALU_DEP_1)
	v_mad_u32 v13, v15, s11, v13
	v_mad_u32 v12, v15, s10, v12
	v_mov_b32_e32 v15, v17
	s_cbranch_scc1 .LBB13_96
.LBB13_97:
	s_and_not1_b32 vcc_lo, exec_lo, s6
	s_cbranch_vccnz .LBB13_100
; %bb.98:
	s_clause 0x1
	s_load_b96 s[0:2], s[12:13], 0x4
	s_load_b64 s[4:5], s[12:13], 0xc4
	s_cmp_lt_u32 s30, 2
	s_wait_kmcnt 0x0
	v_mul_hi_u32 v12, s1, v1
	s_delay_alu instid0(VALU_DEP_1) | instskip(NEXT) | instid1(VALU_DEP_1)
	v_add_nc_u32_e32 v12, v1, v12
	v_lshrrev_b32_e32 v15, s2, v12
	s_delay_alu instid0(VALU_DEP_1) | instskip(NEXT) | instid1(VALU_DEP_1)
	v_mul_lo_u32 v12, v15, s0
	v_sub_nc_u32_e32 v1, v1, v12
	s_delay_alu instid0(VALU_DEP_1)
	v_mul_lo_u32 v13, v1, s5
	v_mul_lo_u32 v12, v1, s4
	s_cbranch_scc1 .LBB13_100
; %bb.99:
	s_clause 0x1
	s_load_b96 s[0:2], s[12:13], 0x10
	s_load_b64 s[4:5], s[12:13], 0xcc
	s_wait_kmcnt 0x0
	v_mul_hi_u32 v1, s1, v15
	s_delay_alu instid0(VALU_DEP_1) | instskip(NEXT) | instid1(VALU_DEP_1)
	v_add_nc_u32_e32 v1, v15, v1
	v_lshrrev_b32_e32 v1, s2, v1
	s_delay_alu instid0(VALU_DEP_1) | instskip(NEXT) | instid1(VALU_DEP_1)
	v_mul_lo_u32 v1, v1, s0
	v_sub_nc_u32_e32 v1, v15, v1
	s_delay_alu instid0(VALU_DEP_1)
	v_mad_u32 v12, v1, s4, v12
	v_mad_u32 v13, v1, s5, v13
.LBB13_100:
	v_cmp_ne_u32_e32 vcc_lo, 1, v14
	v_add_nc_u32_e32 v15, 0x300, v0
	s_cbranch_vccnz .LBB13_106
; %bb.101:
	s_cmp_lg_u32 s30, 0
	s_mov_b32 s6, 0
	s_cbranch_scc0 .LBB13_107
; %bb.102:
	s_min_u32 s1, s31, 15
	s_delay_alu instid0(SALU_CYCLE_1)
	s_add_co_i32 s1, s1, 1
	s_cmp_eq_u32 s31, 2
	s_cbranch_scc1 .LBB13_108
; %bb.103:
	v_dual_mov_b32 v0, 0 :: v_dual_mov_b32 v1, 0
	v_mov_b32_e32 v17, v15
	s_and_b32 s0, s1, 28
	s_add_nc_u64 s[2:3], s[12:13], 0xc4
	s_mov_b32 s7, 0
	s_mov_b64 s[4:5], s[12:13]
.LBB13_104:                             ; =>This Inner Loop Header: Depth=1
	s_clause 0x1
	s_load_b256 s[16:23], s[4:5], 0x4
	s_load_b128 s[8:11], s[4:5], 0x24
	s_load_b256 s[36:43], s[2:3], 0x0
	s_add_co_i32 s7, s7, 4
	s_wait_xcnt 0x0
	s_add_nc_u64 s[4:5], s[4:5], 48
	s_cmp_lg_u32 s0, s7
	s_add_nc_u64 s[2:3], s[2:3], 32
	s_wait_kmcnt 0x0
	v_mul_hi_u32 v18, s17, v17
	s_delay_alu instid0(VALU_DEP_1) | instskip(NEXT) | instid1(VALU_DEP_1)
	v_add_nc_u32_e32 v18, v17, v18
	v_lshrrev_b32_e32 v18, s18, v18
	s_delay_alu instid0(VALU_DEP_1) | instskip(NEXT) | instid1(VALU_DEP_1)
	v_mul_hi_u32 v19, s20, v18
	v_add_nc_u32_e32 v19, v18, v19
	s_delay_alu instid0(VALU_DEP_1) | instskip(NEXT) | instid1(VALU_DEP_1)
	v_lshrrev_b32_e32 v19, s21, v19
	v_mul_hi_u32 v20, s23, v19
	s_delay_alu instid0(VALU_DEP_1) | instskip(SKIP_1) | instid1(VALU_DEP_1)
	v_add_nc_u32_e32 v20, v19, v20
	v_mul_lo_u32 v21, v18, s16
	v_sub_nc_u32_e32 v17, v17, v21
	v_mul_lo_u32 v21, v19, s19
	s_delay_alu instid0(VALU_DEP_4) | instskip(NEXT) | instid1(VALU_DEP_3)
	v_lshrrev_b32_e32 v20, s8, v20
	v_mad_u32 v1, v17, s37, v1
	v_mad_u32 v0, v17, s36, v0
	s_delay_alu instid0(VALU_DEP_4) | instskip(NEXT) | instid1(VALU_DEP_4)
	v_sub_nc_u32_e32 v17, v18, v21
	v_mul_hi_u32 v22, s10, v20
	v_mul_lo_u32 v18, v20, s22
	s_delay_alu instid0(VALU_DEP_3) | instskip(SKIP_1) | instid1(VALU_DEP_4)
	v_mad_u32 v1, v17, s39, v1
	v_mad_u32 v0, v17, s38, v0
	v_add_nc_u32_e32 v21, v20, v22
	s_delay_alu instid0(VALU_DEP_1) | instskip(NEXT) | instid1(VALU_DEP_1)
	v_dual_sub_nc_u32 v18, v19, v18 :: v_dual_lshrrev_b32 v17, s11, v21
	v_mad_u32 v1, v18, s41, v1
	s_delay_alu instid0(VALU_DEP_4) | instskip(NEXT) | instid1(VALU_DEP_3)
	v_mad_u32 v0, v18, s40, v0
	v_mul_lo_u32 v19, v17, s9
	s_delay_alu instid0(VALU_DEP_1) | instskip(NEXT) | instid1(VALU_DEP_1)
	v_sub_nc_u32_e32 v18, v20, v19
	v_mad_u32 v1, v18, s43, v1
	s_delay_alu instid0(VALU_DEP_4)
	v_mad_u32 v0, v18, s42, v0
	s_cbranch_scc1 .LBB13_104
; %bb.105:
	s_and_b32 s4, s1, 3
	s_mov_b32 s1, 0
	s_cmp_eq_u32 s4, 0
	s_cbranch_scc0 .LBB13_109
	s_branch .LBB13_111
.LBB13_106:
	s_mov_b32 s6, -1
                                        ; implicit-def: $vgpr1
	s_branch .LBB13_111
.LBB13_107:
	v_dual_mov_b32 v1, 0 :: v_dual_mov_b32 v0, 0
	s_branch .LBB13_111
.LBB13_108:
	v_mov_b64_e32 v[0:1], 0
	v_mov_b32_e32 v17, v15
	s_mov_b32 s0, 0
	s_and_b32 s4, s1, 3
	s_mov_b32 s1, 0
	s_cmp_eq_u32 s4, 0
	s_cbranch_scc1 .LBB13_111
.LBB13_109:
	s_lshl_b32 s2, s0, 3
	s_mov_b32 s3, s1
	s_mul_u64 s[8:9], s[0:1], 12
	s_add_nc_u64 s[2:3], s[12:13], s[2:3]
	s_delay_alu instid0(SALU_CYCLE_1)
	s_add_nc_u64 s[0:1], s[2:3], 0xc4
	s_add_nc_u64 s[2:3], s[12:13], s[8:9]
.LBB13_110:                             ; =>This Inner Loop Header: Depth=1
	s_load_b96 s[8:10], s[2:3], 0x4
	s_add_co_i32 s4, s4, -1
	s_wait_xcnt 0x0
	s_add_nc_u64 s[2:3], s[2:3], 12
	s_cmp_lg_u32 s4, 0
	s_wait_kmcnt 0x0
	v_mul_hi_u32 v18, s9, v17
	s_delay_alu instid0(VALU_DEP_1) | instskip(NEXT) | instid1(VALU_DEP_1)
	v_add_nc_u32_e32 v18, v17, v18
	v_lshrrev_b32_e32 v18, s10, v18
	s_load_b64 s[10:11], s[0:1], 0x0
	s_wait_xcnt 0x0
	s_add_nc_u64 s[0:1], s[0:1], 8
	s_delay_alu instid0(VALU_DEP_1) | instskip(NEXT) | instid1(VALU_DEP_1)
	v_mul_lo_u32 v19, v18, s8
	v_sub_nc_u32_e32 v17, v17, v19
	s_wait_kmcnt 0x0
	s_delay_alu instid0(VALU_DEP_1)
	v_mad_u32 v1, v17, s11, v1
	v_mad_u32 v0, v17, s10, v0
	v_mov_b32_e32 v17, v18
	s_cbranch_scc1 .LBB13_110
.LBB13_111:
	s_and_not1_b32 vcc_lo, exec_lo, s6
	s_cbranch_vccnz .LBB13_114
; %bb.112:
	s_clause 0x1
	s_load_b96 s[0:2], s[12:13], 0x4
	s_load_b64 s[4:5], s[12:13], 0xc4
	s_cmp_lt_u32 s30, 2
	s_wait_kmcnt 0x0
	v_mul_hi_u32 v0, s1, v15
	s_delay_alu instid0(VALU_DEP_1) | instskip(NEXT) | instid1(VALU_DEP_1)
	v_add_nc_u32_e32 v0, v15, v0
	v_lshrrev_b32_e32 v17, s2, v0
	s_delay_alu instid0(VALU_DEP_1) | instskip(NEXT) | instid1(VALU_DEP_1)
	v_mul_lo_u32 v0, v17, s0
	v_sub_nc_u32_e32 v0, v15, v0
	s_delay_alu instid0(VALU_DEP_1)
	v_mul_lo_u32 v1, v0, s5
	v_mul_lo_u32 v0, v0, s4
	s_cbranch_scc1 .LBB13_114
; %bb.113:
	s_clause 0x1
	s_load_b96 s[0:2], s[12:13], 0x10
	s_load_b64 s[4:5], s[12:13], 0xcc
	s_wait_kmcnt 0x0
	v_mul_hi_u32 v15, s1, v17
	s_delay_alu instid0(VALU_DEP_1) | instskip(NEXT) | instid1(VALU_DEP_1)
	v_add_nc_u32_e32 v15, v17, v15
	v_lshrrev_b32_e32 v15, s2, v15
	s_delay_alu instid0(VALU_DEP_1) | instskip(NEXT) | instid1(VALU_DEP_1)
	v_mul_lo_u32 v15, v15, s0
	v_sub_nc_u32_e32 v15, v17, v15
	s_delay_alu instid0(VALU_DEP_1)
	v_mad_u32 v0, v15, s4, v0
	v_mad_u32 v1, v15, s5, v1
.LBB13_114:
	v_cmp_ne_u32_e32 vcc_lo, 1, v14
	s_cbranch_vccnz .LBB13_120
; %bb.115:
	s_cmp_lg_u32 s30, 0
	s_mov_b32 s6, 0
	s_cbranch_scc0 .LBB13_121
; %bb.116:
	s_min_u32 s1, s31, 15
	s_delay_alu instid0(SALU_CYCLE_1)
	s_add_co_i32 s1, s1, 1
	s_cmp_eq_u32 s31, 2
	s_cbranch_scc1 .LBB13_122
; %bb.117:
	v_dual_mov_b32 v14, 0 :: v_dual_mov_b32 v15, 0
	v_mov_b32_e32 v17, v16
	s_and_b32 s0, s1, 28
	s_add_nc_u64 s[2:3], s[12:13], 0xc4
	s_mov_b32 s7, 0
	s_mov_b64 s[4:5], s[12:13]
.LBB13_118:                             ; =>This Inner Loop Header: Depth=1
	s_clause 0x1
	s_load_b256 s[16:23], s[4:5], 0x4
	s_load_b128 s[8:11], s[4:5], 0x24
	s_load_b256 s[36:43], s[2:3], 0x0
	s_add_co_i32 s7, s7, 4
	s_wait_xcnt 0x0
	s_add_nc_u64 s[4:5], s[4:5], 48
	s_cmp_lg_u32 s0, s7
	s_add_nc_u64 s[2:3], s[2:3], 32
	s_wait_kmcnt 0x0
	v_mul_hi_u32 v18, s17, v17
	s_delay_alu instid0(VALU_DEP_1) | instskip(NEXT) | instid1(VALU_DEP_1)
	v_add_nc_u32_e32 v18, v17, v18
	v_lshrrev_b32_e32 v18, s18, v18
	s_delay_alu instid0(VALU_DEP_1) | instskip(NEXT) | instid1(VALU_DEP_1)
	v_mul_hi_u32 v19, s20, v18
	v_add_nc_u32_e32 v19, v18, v19
	s_delay_alu instid0(VALU_DEP_1) | instskip(NEXT) | instid1(VALU_DEP_1)
	v_lshrrev_b32_e32 v19, s21, v19
	v_mul_hi_u32 v20, s23, v19
	s_delay_alu instid0(VALU_DEP_1) | instskip(SKIP_1) | instid1(VALU_DEP_1)
	v_add_nc_u32_e32 v20, v19, v20
	v_mul_lo_u32 v21, v18, s16
	v_sub_nc_u32_e32 v17, v17, v21
	v_mul_lo_u32 v21, v19, s19
	s_delay_alu instid0(VALU_DEP_4) | instskip(NEXT) | instid1(VALU_DEP_3)
	v_lshrrev_b32_e32 v20, s8, v20
	v_mad_u32 v15, v17, s37, v15
	v_mad_u32 v14, v17, s36, v14
	s_delay_alu instid0(VALU_DEP_4) | instskip(NEXT) | instid1(VALU_DEP_4)
	v_sub_nc_u32_e32 v17, v18, v21
	v_mul_hi_u32 v22, s10, v20
	v_mul_lo_u32 v18, v20, s22
	s_delay_alu instid0(VALU_DEP_3) | instskip(SKIP_1) | instid1(VALU_DEP_4)
	v_mad_u32 v15, v17, s39, v15
	v_mad_u32 v14, v17, s38, v14
	v_add_nc_u32_e32 v21, v20, v22
	s_delay_alu instid0(VALU_DEP_1) | instskip(NEXT) | instid1(VALU_DEP_1)
	v_dual_sub_nc_u32 v18, v19, v18 :: v_dual_lshrrev_b32 v17, s11, v21
	v_mad_u32 v15, v18, s41, v15
	s_delay_alu instid0(VALU_DEP_4) | instskip(NEXT) | instid1(VALU_DEP_3)
	v_mad_u32 v14, v18, s40, v14
	v_mul_lo_u32 v19, v17, s9
	s_delay_alu instid0(VALU_DEP_1) | instskip(NEXT) | instid1(VALU_DEP_1)
	v_sub_nc_u32_e32 v18, v20, v19
	v_mad_u32 v15, v18, s43, v15
	s_delay_alu instid0(VALU_DEP_4)
	v_mad_u32 v14, v18, s42, v14
	s_cbranch_scc1 .LBB13_118
; %bb.119:
	s_and_b32 s4, s1, 3
	s_mov_b32 s1, 0
	s_cmp_eq_u32 s4, 0
	s_cbranch_scc0 .LBB13_123
	s_branch .LBB13_125
.LBB13_120:
	s_mov_b32 s6, -1
                                        ; implicit-def: $vgpr15
	s_branch .LBB13_125
.LBB13_121:
	v_dual_mov_b32 v15, 0 :: v_dual_mov_b32 v14, 0
	s_branch .LBB13_125
.LBB13_122:
	v_mov_b64_e32 v[14:15], 0
	v_mov_b32_e32 v17, v16
	s_mov_b32 s0, 0
	s_and_b32 s4, s1, 3
	s_mov_b32 s1, 0
	s_cmp_eq_u32 s4, 0
	s_cbranch_scc1 .LBB13_125
.LBB13_123:
	s_lshl_b32 s2, s0, 3
	s_mov_b32 s3, s1
	s_mul_u64 s[8:9], s[0:1], 12
	s_add_nc_u64 s[2:3], s[12:13], s[2:3]
	s_delay_alu instid0(SALU_CYCLE_1)
	s_add_nc_u64 s[0:1], s[2:3], 0xc4
	s_add_nc_u64 s[2:3], s[12:13], s[8:9]
.LBB13_124:                             ; =>This Inner Loop Header: Depth=1
	s_load_b96 s[8:10], s[2:3], 0x4
	s_add_co_i32 s4, s4, -1
	s_wait_xcnt 0x0
	s_add_nc_u64 s[2:3], s[2:3], 12
	s_cmp_lg_u32 s4, 0
	s_wait_kmcnt 0x0
	v_mul_hi_u32 v18, s9, v17
	s_delay_alu instid0(VALU_DEP_1) | instskip(NEXT) | instid1(VALU_DEP_1)
	v_add_nc_u32_e32 v18, v17, v18
	v_lshrrev_b32_e32 v18, s10, v18
	s_load_b64 s[10:11], s[0:1], 0x0
	s_wait_xcnt 0x0
	s_add_nc_u64 s[0:1], s[0:1], 8
	s_delay_alu instid0(VALU_DEP_1) | instskip(NEXT) | instid1(VALU_DEP_1)
	v_mul_lo_u32 v19, v18, s8
	v_sub_nc_u32_e32 v17, v17, v19
	s_wait_kmcnt 0x0
	s_delay_alu instid0(VALU_DEP_1)
	v_mad_u32 v15, v17, s11, v15
	v_mad_u32 v14, v17, s10, v14
	v_mov_b32_e32 v17, v18
	s_cbranch_scc1 .LBB13_124
.LBB13_125:
	s_and_not1_b32 vcc_lo, exec_lo, s6
	s_cbranch_vccnz .LBB13_128
; %bb.126:
	s_clause 0x1
	s_load_b96 s[0:2], s[12:13], 0x4
	s_load_b64 s[4:5], s[12:13], 0xc4
	s_cmp_lt_u32 s30, 2
	s_wait_kmcnt 0x0
	v_mul_hi_u32 v14, s1, v16
	s_delay_alu instid0(VALU_DEP_1) | instskip(NEXT) | instid1(VALU_DEP_1)
	v_add_nc_u32_e32 v14, v16, v14
	v_lshrrev_b32_e32 v17, s2, v14
	s_delay_alu instid0(VALU_DEP_1) | instskip(NEXT) | instid1(VALU_DEP_1)
	v_mul_lo_u32 v14, v17, s0
	v_sub_nc_u32_e32 v14, v16, v14
	s_delay_alu instid0(VALU_DEP_1)
	v_mul_lo_u32 v15, v14, s5
	v_mul_lo_u32 v14, v14, s4
	s_cbranch_scc1 .LBB13_128
; %bb.127:
	s_clause 0x1
	s_load_b96 s[0:2], s[12:13], 0x10
	s_load_b64 s[4:5], s[12:13], 0xcc
	s_wait_kmcnt 0x0
	v_mul_hi_u32 v16, s1, v17
	s_delay_alu instid0(VALU_DEP_1) | instskip(NEXT) | instid1(VALU_DEP_1)
	v_add_nc_u32_e32 v16, v17, v16
	v_lshrrev_b32_e32 v16, s2, v16
	s_delay_alu instid0(VALU_DEP_1) | instskip(NEXT) | instid1(VALU_DEP_1)
	v_mul_lo_u32 v16, v16, s0
	v_sub_nc_u32_e32 v16, v17, v16
	s_delay_alu instid0(VALU_DEP_1)
	v_mad_u32 v14, v16, s4, v14
	v_mad_u32 v15, v16, s5, v15
.LBB13_128:
	s_clause 0x1
	s_load_b128 s[8:11], s[12:13], 0x148
	s_load_b64 s[0:1], s[12:13], 0x158
	s_wait_kmcnt 0x0
	s_clause 0x7
	global_load_u8 v16, v3, s[10:11]
	global_load_u8 v17, v5, s[10:11]
	;; [unrolled: 1-line block ×8, first 2 shown]
	s_and_b32 s6, s1, 0xff
	s_cmp_eq_u32 s0, 0
	s_cselect_b32 s7, -1, 0
	s_wait_loadcnt 0x7
	v_cmp_ne_u16_e32 vcc_lo, s6, v16
	s_wait_loadcnt 0x6
	v_cmp_ne_u16_e64 s0, s6, v17
	s_wait_loadcnt 0x5
	v_cmp_ne_u16_e64 s1, s6, v18
	;; [unrolled: 2-line block ×5, first 2 shown]
	s_xor_b32 s0, s7, s0
	s_wait_loadcnt 0x1
	v_cmp_ne_u16_e64 s5, s6, v22
	s_wait_xcnt 0x7
	v_cndmask_b32_e64 v3, 0, 1, s0
	s_xor_b32 s0, s7, s1
	s_wait_loadcnt 0x0
	v_cmp_ne_u16_e64 s6, s6, v23
	s_wait_xcnt 0x6
	v_cndmask_b32_e64 v5, 0, 1, s0
	s_xor_b32 s0, s7, s2
	s_wait_xcnt 0x0
	s_xor_b32 s10, s7, vcc_lo
	v_cndmask_b32_e64 v7, 0, 1, s0
	s_xor_b32 s0, s7, s3
	v_cndmask_b32_e64 v1, 0, 1, s10
	v_cndmask_b32_e64 v9, 0, 1, s0
	s_xor_b32 s0, s7, s4
	s_delay_alu instid0(SALU_CYCLE_1) | instskip(SKIP_1) | instid1(SALU_CYCLE_1)
	v_cndmask_b32_e64 v11, 0, 1, s0
	s_xor_b32 s0, s7, s5
	v_cndmask_b32_e64 v13, 0, 1, s0
	s_xor_b32 s0, s7, s6
	s_delay_alu instid0(SALU_CYCLE_1)
	v_cndmask_b32_e64 v15, 0, 1, s0
	s_clause 0x7
	global_store_b8 v2, v1, s[8:9]
	global_store_b8 v4, v3, s[8:9]
	;; [unrolled: 1-line block ×8, first 2 shown]
	s_endpgm
.LBB13_129:
	v_dual_mov_b32 v3, 0 :: v_dual_mov_b32 v2, 0
	s_branch .LBB13_135
.LBB13_130:
	v_dual_mov_b32 v3, 0 :: v_dual_mov_b32 v2, 0
	s_branch .LBB13_151
.LBB13_131:
	v_mov_b64_e32 v[2:3], 0
	v_mov_b32_e32 v1, v0
	s_mov_b32 s24, 0
.LBB13_132:
	s_and_b32 s16, s16, 3
	s_mov_b32 s25, 0
	s_cmp_eq_u32 s16, 0
	s_cbranch_scc1 .LBB13_135
; %bb.133:
	s_lshl_b32 s26, s24, 3
	s_mov_b32 s27, s25
	s_mul_u64 s[28:29], s[24:25], 12
	s_add_nc_u64 s[26:27], s[12:13], s[26:27]
	s_delay_alu instid0(SALU_CYCLE_1)
	s_add_nc_u64 s[24:25], s[26:27], 0xc4
	s_add_nc_u64 s[26:27], s[12:13], s[28:29]
.LBB13_134:                             ; =>This Inner Loop Header: Depth=1
	s_load_b96 s[40:42], s[26:27], 0x4
	s_load_b64 s[28:29], s[24:25], 0x0
	s_add_co_i32 s16, s16, -1
	s_wait_xcnt 0x0
	s_add_nc_u64 s[26:27], s[26:27], 12
	s_cmp_lg_u32 s16, 0
	s_add_nc_u64 s[24:25], s[24:25], 8
	s_wait_kmcnt 0x0
	v_mul_hi_u32 v4, s41, v1
	s_delay_alu instid0(VALU_DEP_1) | instskip(NEXT) | instid1(VALU_DEP_1)
	v_add_nc_u32_e32 v4, v1, v4
	v_lshrrev_b32_e32 v4, s42, v4
	s_delay_alu instid0(VALU_DEP_1) | instskip(NEXT) | instid1(VALU_DEP_1)
	v_mul_lo_u32 v5, v4, s40
	v_sub_nc_u32_e32 v1, v1, v5
	s_delay_alu instid0(VALU_DEP_1)
	v_mad_u32 v3, v1, s29, v3
	v_mad_u32 v2, v1, s28, v2
	v_mov_b32_e32 v1, v4
	s_cbranch_scc1 .LBB13_134
.LBB13_135:
	s_cbranch_execnz .LBB13_138
.LBB13_136:
	v_mov_b32_e32 v1, 0
	s_and_not1_b32 vcc_lo, exec_lo, s35
	s_delay_alu instid0(VALU_DEP_1) | instskip(NEXT) | instid1(VALU_DEP_1)
	v_mul_u64_e32 v[2:3], s[18:19], v[0:1]
	v_add_nc_u32_e32 v2, v0, v3
	s_delay_alu instid0(VALU_DEP_1) | instskip(NEXT) | instid1(VALU_DEP_1)
	v_lshrrev_b32_e32 v4, s6, v2
	v_mul_lo_u32 v2, v4, s4
	s_delay_alu instid0(VALU_DEP_1) | instskip(NEXT) | instid1(VALU_DEP_1)
	v_sub_nc_u32_e32 v2, v0, v2
	v_mul_lo_u32 v3, v2, s9
	v_mul_lo_u32 v2, v2, s8
	s_cbranch_vccnz .LBB13_138
; %bb.137:
	v_mov_b32_e32 v5, v1
	s_delay_alu instid0(VALU_DEP_1) | instskip(NEXT) | instid1(VALU_DEP_1)
	v_mul_u64_e32 v[6:7], s[20:21], v[4:5]
	v_add_nc_u32_e32 v1, v4, v7
	s_delay_alu instid0(VALU_DEP_1) | instskip(NEXT) | instid1(VALU_DEP_1)
	v_lshrrev_b32_e32 v1, s17, v1
	v_mul_lo_u32 v1, v1, s7
	s_delay_alu instid0(VALU_DEP_1) | instskip(NEXT) | instid1(VALU_DEP_1)
	v_sub_nc_u32_e32 v1, v4, v1
	v_mad_u32 v2, v1, s10, v2
	v_mad_u32 v3, v1, s11, v3
.LBB13_138:
	global_load_u8 v1, v3, s[2:3]
	s_and_b32 s16, s15, 0xff
	v_add_nc_u32_e32 v0, 0x80, v0
	s_wait_loadcnt 0x0
	v_cmp_ne_u16_e32 vcc_lo, s16, v1
	s_xor_b32 s16, s5, vcc_lo
	s_delay_alu instid0(SALU_CYCLE_1) | instskip(SKIP_3) | instid1(SALU_CYCLE_1)
	v_cndmask_b32_e64 v1, 0, 1, s16
	global_store_b8 v2, v1, s[0:1]
	s_wait_xcnt 0x0
	s_or_b32 exec_lo, exec_lo, s14
	s_mov_b32 s14, exec_lo
	v_cmpx_gt_i32_e64 s36, v0
	s_cbranch_execnz .LBB13_15
.LBB13_139:
	s_or_b32 exec_lo, exec_lo, s14
	s_delay_alu instid0(SALU_CYCLE_1)
	s_mov_b32 s14, exec_lo
	v_cmpx_gt_i32_e64 s36, v0
	s_cbranch_execz .LBB13_155
.LBB13_140:
	s_and_not1_b32 vcc_lo, exec_lo, s33
	s_cbranch_vccnz .LBB13_145
; %bb.141:
	s_and_not1_b32 vcc_lo, exec_lo, s38
	s_cbranch_vccnz .LBB13_146
; %bb.142:
	s_add_co_i32 s16, s37, 1
	s_cmp_eq_u32 s31, 2
	s_cbranch_scc1 .LBB13_163
; %bb.143:
	v_dual_mov_b32 v2, 0 :: v_dual_mov_b32 v3, 0
	v_mov_b32_e32 v1, v0
	s_and_b32 s24, s16, 28
	s_mov_b32 s25, 0
	s_mov_b64 s[26:27], s[12:13]
	s_mov_b64 s[28:29], s[22:23]
.LBB13_144:                             ; =>This Inner Loop Header: Depth=1
	s_clause 0x1
	s_load_b256 s[40:47], s[26:27], 0x4
	s_load_b128 s[56:59], s[26:27], 0x24
	s_load_b256 s[48:55], s[28:29], 0x0
	s_add_co_i32 s25, s25, 4
	s_wait_xcnt 0x0
	s_add_nc_u64 s[26:27], s[26:27], 48
	s_cmp_eq_u32 s24, s25
	s_add_nc_u64 s[28:29], s[28:29], 32
	s_wait_kmcnt 0x0
	v_mul_hi_u32 v4, s41, v1
	s_delay_alu instid0(VALU_DEP_1) | instskip(NEXT) | instid1(VALU_DEP_1)
	v_add_nc_u32_e32 v4, v1, v4
	v_lshrrev_b32_e32 v4, s42, v4
	s_delay_alu instid0(VALU_DEP_1) | instskip(NEXT) | instid1(VALU_DEP_1)
	v_mul_hi_u32 v5, s44, v4
	v_add_nc_u32_e32 v5, v4, v5
	s_delay_alu instid0(VALU_DEP_1) | instskip(NEXT) | instid1(VALU_DEP_1)
	v_lshrrev_b32_e32 v5, s45, v5
	v_mul_hi_u32 v6, s47, v5
	s_delay_alu instid0(VALU_DEP_1) | instskip(SKIP_1) | instid1(VALU_DEP_1)
	v_add_nc_u32_e32 v6, v5, v6
	v_mul_lo_u32 v7, v4, s40
	v_sub_nc_u32_e32 v1, v1, v7
	v_mul_lo_u32 v7, v5, s43
	s_delay_alu instid0(VALU_DEP_4) | instskip(NEXT) | instid1(VALU_DEP_3)
	v_lshrrev_b32_e32 v6, s56, v6
	v_mad_u32 v3, v1, s49, v3
	v_mad_u32 v1, v1, s48, v2
	s_delay_alu instid0(VALU_DEP_4) | instskip(NEXT) | instid1(VALU_DEP_4)
	v_sub_nc_u32_e32 v2, v4, v7
	v_mul_hi_u32 v8, s58, v6
	v_mul_lo_u32 v4, v6, s46
	s_delay_alu instid0(VALU_DEP_3) | instskip(SKIP_1) | instid1(VALU_DEP_4)
	v_mad_u32 v3, v2, s51, v3
	v_mad_u32 v2, v2, s50, v1
	v_add_nc_u32_e32 v7, v6, v8
	s_delay_alu instid0(VALU_DEP_1) | instskip(NEXT) | instid1(VALU_DEP_1)
	v_dual_sub_nc_u32 v4, v5, v4 :: v_dual_lshrrev_b32 v1, s59, v7
	v_mad_u32 v3, v4, s53, v3
	s_delay_alu instid0(VALU_DEP_4) | instskip(NEXT) | instid1(VALU_DEP_3)
	v_mad_u32 v2, v4, s52, v2
	v_mul_lo_u32 v5, v1, s57
	s_delay_alu instid0(VALU_DEP_1) | instskip(NEXT) | instid1(VALU_DEP_1)
	v_sub_nc_u32_e32 v4, v6, v5
	v_mad_u32 v3, v4, s55, v3
	s_delay_alu instid0(VALU_DEP_4)
	v_mad_u32 v2, v4, s54, v2
	s_cbranch_scc0 .LBB13_144
	s_branch .LBB13_164
.LBB13_145:
                                        ; implicit-def: $vgpr3
	s_branch .LBB13_168
.LBB13_146:
	v_dual_mov_b32 v3, 0 :: v_dual_mov_b32 v2, 0
	s_branch .LBB13_167
.LBB13_147:
	v_mov_b64_e32 v[2:3], 0
	v_mov_b32_e32 v1, v0
	s_mov_b32 s24, 0
.LBB13_148:
	s_and_b32 s16, s16, 3
	s_mov_b32 s25, 0
	s_cmp_eq_u32 s16, 0
	s_cbranch_scc1 .LBB13_151
; %bb.149:
	s_lshl_b32 s26, s24, 3
	s_mov_b32 s27, s25
	s_mul_u64 s[28:29], s[24:25], 12
	s_add_nc_u64 s[26:27], s[12:13], s[26:27]
	s_delay_alu instid0(SALU_CYCLE_1)
	s_add_nc_u64 s[24:25], s[26:27], 0xc4
	s_add_nc_u64 s[26:27], s[12:13], s[28:29]
.LBB13_150:                             ; =>This Inner Loop Header: Depth=1
	s_load_b96 s[40:42], s[26:27], 0x4
	s_load_b64 s[28:29], s[24:25], 0x0
	s_add_co_i32 s16, s16, -1
	s_wait_xcnt 0x0
	s_add_nc_u64 s[26:27], s[26:27], 12
	s_cmp_lg_u32 s16, 0
	s_add_nc_u64 s[24:25], s[24:25], 8
	s_wait_kmcnt 0x0
	v_mul_hi_u32 v4, s41, v1
	s_delay_alu instid0(VALU_DEP_1) | instskip(NEXT) | instid1(VALU_DEP_1)
	v_add_nc_u32_e32 v4, v1, v4
	v_lshrrev_b32_e32 v4, s42, v4
	s_delay_alu instid0(VALU_DEP_1) | instskip(NEXT) | instid1(VALU_DEP_1)
	v_mul_lo_u32 v5, v4, s40
	v_sub_nc_u32_e32 v1, v1, v5
	s_delay_alu instid0(VALU_DEP_1)
	v_mad_u32 v3, v1, s29, v3
	v_mad_u32 v2, v1, s28, v2
	v_mov_b32_e32 v1, v4
	s_cbranch_scc1 .LBB13_150
.LBB13_151:
	s_cbranch_execnz .LBB13_154
.LBB13_152:
	v_mov_b32_e32 v1, 0
	s_and_not1_b32 vcc_lo, exec_lo, s35
	s_delay_alu instid0(VALU_DEP_1) | instskip(NEXT) | instid1(VALU_DEP_1)
	v_mul_u64_e32 v[2:3], s[18:19], v[0:1]
	v_add_nc_u32_e32 v2, v0, v3
	s_delay_alu instid0(VALU_DEP_1) | instskip(NEXT) | instid1(VALU_DEP_1)
	v_lshrrev_b32_e32 v4, s6, v2
	v_mul_lo_u32 v2, v4, s4
	s_delay_alu instid0(VALU_DEP_1) | instskip(NEXT) | instid1(VALU_DEP_1)
	v_sub_nc_u32_e32 v2, v0, v2
	v_mul_lo_u32 v3, v2, s9
	v_mul_lo_u32 v2, v2, s8
	s_cbranch_vccnz .LBB13_154
; %bb.153:
	v_mov_b32_e32 v5, v1
	s_delay_alu instid0(VALU_DEP_1) | instskip(NEXT) | instid1(VALU_DEP_1)
	v_mul_u64_e32 v[6:7], s[20:21], v[4:5]
	v_add_nc_u32_e32 v1, v4, v7
	s_delay_alu instid0(VALU_DEP_1) | instskip(NEXT) | instid1(VALU_DEP_1)
	v_lshrrev_b32_e32 v1, s17, v1
	v_mul_lo_u32 v1, v1, s7
	s_delay_alu instid0(VALU_DEP_1) | instskip(NEXT) | instid1(VALU_DEP_1)
	v_sub_nc_u32_e32 v1, v4, v1
	v_mad_u32 v2, v1, s10, v2
	v_mad_u32 v3, v1, s11, v3
.LBB13_154:
	global_load_u8 v1, v3, s[2:3]
	s_and_b32 s16, s15, 0xff
	v_add_nc_u32_e32 v0, 0x80, v0
	s_wait_loadcnt 0x0
	v_cmp_ne_u16_e32 vcc_lo, s16, v1
	s_xor_b32 s16, s5, vcc_lo
	s_delay_alu instid0(SALU_CYCLE_1) | instskip(SKIP_3) | instid1(SALU_CYCLE_1)
	v_cndmask_b32_e64 v1, 0, 1, s16
	global_store_b8 v2, v1, s[0:1]
	s_wait_xcnt 0x0
	s_or_b32 exec_lo, exec_lo, s14
	s_mov_b32 s14, exec_lo
	v_cmpx_gt_i32_e64 s36, v0
	s_cbranch_execnz .LBB13_140
.LBB13_155:
	s_or_b32 exec_lo, exec_lo, s14
	s_delay_alu instid0(SALU_CYCLE_1)
	s_mov_b32 s14, exec_lo
	v_cmpx_gt_i32_e64 s36, v0
	s_cbranch_execz .LBB13_171
.LBB13_156:
	s_and_not1_b32 vcc_lo, exec_lo, s33
	s_cbranch_vccnz .LBB13_161
; %bb.157:
	s_and_not1_b32 vcc_lo, exec_lo, s38
	s_cbranch_vccnz .LBB13_162
; %bb.158:
	s_add_co_i32 s16, s37, 1
	s_cmp_eq_u32 s31, 2
	s_cbranch_scc1 .LBB13_179
; %bb.159:
	v_dual_mov_b32 v2, 0 :: v_dual_mov_b32 v3, 0
	v_mov_b32_e32 v1, v0
	s_and_b32 s24, s16, 28
	s_mov_b32 s25, 0
	s_mov_b64 s[26:27], s[12:13]
	s_mov_b64 s[28:29], s[22:23]
.LBB13_160:                             ; =>This Inner Loop Header: Depth=1
	s_clause 0x1
	s_load_b256 s[40:47], s[26:27], 0x4
	s_load_b128 s[56:59], s[26:27], 0x24
	s_load_b256 s[48:55], s[28:29], 0x0
	s_add_co_i32 s25, s25, 4
	s_wait_xcnt 0x0
	s_add_nc_u64 s[26:27], s[26:27], 48
	s_cmp_eq_u32 s24, s25
	s_add_nc_u64 s[28:29], s[28:29], 32
	s_wait_kmcnt 0x0
	v_mul_hi_u32 v4, s41, v1
	s_delay_alu instid0(VALU_DEP_1) | instskip(NEXT) | instid1(VALU_DEP_1)
	v_add_nc_u32_e32 v4, v1, v4
	v_lshrrev_b32_e32 v4, s42, v4
	s_delay_alu instid0(VALU_DEP_1) | instskip(NEXT) | instid1(VALU_DEP_1)
	v_mul_hi_u32 v5, s44, v4
	v_add_nc_u32_e32 v5, v4, v5
	s_delay_alu instid0(VALU_DEP_1) | instskip(NEXT) | instid1(VALU_DEP_1)
	v_lshrrev_b32_e32 v5, s45, v5
	v_mul_hi_u32 v6, s47, v5
	s_delay_alu instid0(VALU_DEP_1) | instskip(SKIP_1) | instid1(VALU_DEP_1)
	v_add_nc_u32_e32 v6, v5, v6
	v_mul_lo_u32 v7, v4, s40
	v_sub_nc_u32_e32 v1, v1, v7
	v_mul_lo_u32 v7, v5, s43
	s_delay_alu instid0(VALU_DEP_4) | instskip(NEXT) | instid1(VALU_DEP_3)
	v_lshrrev_b32_e32 v6, s56, v6
	v_mad_u32 v3, v1, s49, v3
	v_mad_u32 v1, v1, s48, v2
	s_delay_alu instid0(VALU_DEP_4) | instskip(NEXT) | instid1(VALU_DEP_4)
	v_sub_nc_u32_e32 v2, v4, v7
	v_mul_hi_u32 v8, s58, v6
	v_mul_lo_u32 v4, v6, s46
	s_delay_alu instid0(VALU_DEP_3) | instskip(SKIP_1) | instid1(VALU_DEP_4)
	v_mad_u32 v3, v2, s51, v3
	v_mad_u32 v2, v2, s50, v1
	v_add_nc_u32_e32 v7, v6, v8
	s_delay_alu instid0(VALU_DEP_1) | instskip(NEXT) | instid1(VALU_DEP_1)
	v_dual_sub_nc_u32 v4, v5, v4 :: v_dual_lshrrev_b32 v1, s59, v7
	v_mad_u32 v3, v4, s53, v3
	s_delay_alu instid0(VALU_DEP_4) | instskip(NEXT) | instid1(VALU_DEP_3)
	v_mad_u32 v2, v4, s52, v2
	v_mul_lo_u32 v5, v1, s57
	s_delay_alu instid0(VALU_DEP_1) | instskip(NEXT) | instid1(VALU_DEP_1)
	v_sub_nc_u32_e32 v4, v6, v5
	v_mad_u32 v3, v4, s55, v3
	s_delay_alu instid0(VALU_DEP_4)
	v_mad_u32 v2, v4, s54, v2
	s_cbranch_scc0 .LBB13_160
	s_branch .LBB13_180
.LBB13_161:
                                        ; implicit-def: $vgpr3
	s_branch .LBB13_184
.LBB13_162:
	v_dual_mov_b32 v3, 0 :: v_dual_mov_b32 v2, 0
	s_branch .LBB13_183
.LBB13_163:
	v_mov_b64_e32 v[2:3], 0
	v_mov_b32_e32 v1, v0
	s_mov_b32 s24, 0
.LBB13_164:
	s_and_b32 s16, s16, 3
	s_mov_b32 s25, 0
	s_cmp_eq_u32 s16, 0
	s_cbranch_scc1 .LBB13_167
; %bb.165:
	s_lshl_b32 s26, s24, 3
	s_mov_b32 s27, s25
	s_mul_u64 s[28:29], s[24:25], 12
	s_add_nc_u64 s[26:27], s[12:13], s[26:27]
	s_delay_alu instid0(SALU_CYCLE_1)
	s_add_nc_u64 s[24:25], s[26:27], 0xc4
	s_add_nc_u64 s[26:27], s[12:13], s[28:29]
.LBB13_166:                             ; =>This Inner Loop Header: Depth=1
	s_load_b96 s[40:42], s[26:27], 0x4
	s_load_b64 s[28:29], s[24:25], 0x0
	s_add_co_i32 s16, s16, -1
	s_wait_xcnt 0x0
	s_add_nc_u64 s[26:27], s[26:27], 12
	s_cmp_lg_u32 s16, 0
	s_add_nc_u64 s[24:25], s[24:25], 8
	s_wait_kmcnt 0x0
	v_mul_hi_u32 v4, s41, v1
	s_delay_alu instid0(VALU_DEP_1) | instskip(NEXT) | instid1(VALU_DEP_1)
	v_add_nc_u32_e32 v4, v1, v4
	v_lshrrev_b32_e32 v4, s42, v4
	s_delay_alu instid0(VALU_DEP_1) | instskip(NEXT) | instid1(VALU_DEP_1)
	v_mul_lo_u32 v5, v4, s40
	v_sub_nc_u32_e32 v1, v1, v5
	s_delay_alu instid0(VALU_DEP_1)
	v_mad_u32 v3, v1, s29, v3
	v_mad_u32 v2, v1, s28, v2
	v_mov_b32_e32 v1, v4
	s_cbranch_scc1 .LBB13_166
.LBB13_167:
	s_cbranch_execnz .LBB13_170
.LBB13_168:
	v_mov_b32_e32 v1, 0
	s_and_not1_b32 vcc_lo, exec_lo, s35
	s_delay_alu instid0(VALU_DEP_1) | instskip(NEXT) | instid1(VALU_DEP_1)
	v_mul_u64_e32 v[2:3], s[18:19], v[0:1]
	v_add_nc_u32_e32 v2, v0, v3
	s_delay_alu instid0(VALU_DEP_1) | instskip(NEXT) | instid1(VALU_DEP_1)
	v_lshrrev_b32_e32 v4, s6, v2
	v_mul_lo_u32 v2, v4, s4
	s_delay_alu instid0(VALU_DEP_1) | instskip(NEXT) | instid1(VALU_DEP_1)
	v_sub_nc_u32_e32 v2, v0, v2
	v_mul_lo_u32 v3, v2, s9
	v_mul_lo_u32 v2, v2, s8
	s_cbranch_vccnz .LBB13_170
; %bb.169:
	v_mov_b32_e32 v5, v1
	s_delay_alu instid0(VALU_DEP_1) | instskip(NEXT) | instid1(VALU_DEP_1)
	v_mul_u64_e32 v[6:7], s[20:21], v[4:5]
	v_add_nc_u32_e32 v1, v4, v7
	s_delay_alu instid0(VALU_DEP_1) | instskip(NEXT) | instid1(VALU_DEP_1)
	v_lshrrev_b32_e32 v1, s17, v1
	v_mul_lo_u32 v1, v1, s7
	s_delay_alu instid0(VALU_DEP_1) | instskip(NEXT) | instid1(VALU_DEP_1)
	v_sub_nc_u32_e32 v1, v4, v1
	v_mad_u32 v2, v1, s10, v2
	v_mad_u32 v3, v1, s11, v3
.LBB13_170:
	global_load_u8 v1, v3, s[2:3]
	s_and_b32 s16, s15, 0xff
	v_add_nc_u32_e32 v0, 0x80, v0
	s_wait_loadcnt 0x0
	v_cmp_ne_u16_e32 vcc_lo, s16, v1
	s_xor_b32 s16, s5, vcc_lo
	s_delay_alu instid0(SALU_CYCLE_1) | instskip(SKIP_3) | instid1(SALU_CYCLE_1)
	v_cndmask_b32_e64 v1, 0, 1, s16
	global_store_b8 v2, v1, s[0:1]
	s_wait_xcnt 0x0
	s_or_b32 exec_lo, exec_lo, s14
	s_mov_b32 s14, exec_lo
	v_cmpx_gt_i32_e64 s36, v0
	s_cbranch_execnz .LBB13_156
.LBB13_171:
	s_or_b32 exec_lo, exec_lo, s14
	s_delay_alu instid0(SALU_CYCLE_1)
	s_mov_b32 s14, exec_lo
	v_cmpx_gt_i32_e64 s36, v0
	s_cbranch_execz .LBB13_187
.LBB13_172:
	s_and_not1_b32 vcc_lo, exec_lo, s33
	s_cbranch_vccnz .LBB13_177
; %bb.173:
	s_and_not1_b32 vcc_lo, exec_lo, s38
	s_cbranch_vccnz .LBB13_178
; %bb.174:
	s_add_co_i32 s16, s37, 1
	s_cmp_eq_u32 s31, 2
	s_cbranch_scc1 .LBB13_195
; %bb.175:
	v_dual_mov_b32 v2, 0 :: v_dual_mov_b32 v3, 0
	v_mov_b32_e32 v1, v0
	s_and_b32 s24, s16, 28
	s_mov_b32 s25, 0
	s_mov_b64 s[26:27], s[12:13]
	s_mov_b64 s[28:29], s[22:23]
.LBB13_176:                             ; =>This Inner Loop Header: Depth=1
	s_clause 0x1
	s_load_b256 s[40:47], s[26:27], 0x4
	s_load_b128 s[56:59], s[26:27], 0x24
	s_load_b256 s[48:55], s[28:29], 0x0
	s_add_co_i32 s25, s25, 4
	s_wait_xcnt 0x0
	s_add_nc_u64 s[26:27], s[26:27], 48
	s_cmp_eq_u32 s24, s25
	s_add_nc_u64 s[28:29], s[28:29], 32
	s_wait_kmcnt 0x0
	v_mul_hi_u32 v4, s41, v1
	s_delay_alu instid0(VALU_DEP_1) | instskip(NEXT) | instid1(VALU_DEP_1)
	v_add_nc_u32_e32 v4, v1, v4
	v_lshrrev_b32_e32 v4, s42, v4
	s_delay_alu instid0(VALU_DEP_1) | instskip(NEXT) | instid1(VALU_DEP_1)
	v_mul_hi_u32 v5, s44, v4
	v_add_nc_u32_e32 v5, v4, v5
	s_delay_alu instid0(VALU_DEP_1) | instskip(NEXT) | instid1(VALU_DEP_1)
	v_lshrrev_b32_e32 v5, s45, v5
	v_mul_hi_u32 v6, s47, v5
	s_delay_alu instid0(VALU_DEP_1) | instskip(SKIP_1) | instid1(VALU_DEP_1)
	v_add_nc_u32_e32 v6, v5, v6
	v_mul_lo_u32 v7, v4, s40
	v_sub_nc_u32_e32 v1, v1, v7
	v_mul_lo_u32 v7, v5, s43
	s_delay_alu instid0(VALU_DEP_4) | instskip(NEXT) | instid1(VALU_DEP_3)
	v_lshrrev_b32_e32 v6, s56, v6
	v_mad_u32 v3, v1, s49, v3
	v_mad_u32 v1, v1, s48, v2
	s_delay_alu instid0(VALU_DEP_4) | instskip(NEXT) | instid1(VALU_DEP_4)
	v_sub_nc_u32_e32 v2, v4, v7
	v_mul_hi_u32 v8, s58, v6
	v_mul_lo_u32 v4, v6, s46
	s_delay_alu instid0(VALU_DEP_3) | instskip(SKIP_1) | instid1(VALU_DEP_4)
	v_mad_u32 v3, v2, s51, v3
	v_mad_u32 v2, v2, s50, v1
	v_add_nc_u32_e32 v7, v6, v8
	s_delay_alu instid0(VALU_DEP_1) | instskip(NEXT) | instid1(VALU_DEP_1)
	v_dual_sub_nc_u32 v4, v5, v4 :: v_dual_lshrrev_b32 v1, s59, v7
	v_mad_u32 v3, v4, s53, v3
	s_delay_alu instid0(VALU_DEP_4) | instskip(NEXT) | instid1(VALU_DEP_3)
	v_mad_u32 v2, v4, s52, v2
	v_mul_lo_u32 v5, v1, s57
	s_delay_alu instid0(VALU_DEP_1) | instskip(NEXT) | instid1(VALU_DEP_1)
	v_sub_nc_u32_e32 v4, v6, v5
	v_mad_u32 v3, v4, s55, v3
	s_delay_alu instid0(VALU_DEP_4)
	v_mad_u32 v2, v4, s54, v2
	s_cbranch_scc0 .LBB13_176
	s_branch .LBB13_196
.LBB13_177:
                                        ; implicit-def: $vgpr3
	s_branch .LBB13_200
.LBB13_178:
	v_dual_mov_b32 v3, 0 :: v_dual_mov_b32 v2, 0
	s_branch .LBB13_199
.LBB13_179:
	v_mov_b64_e32 v[2:3], 0
	v_mov_b32_e32 v1, v0
	s_mov_b32 s24, 0
.LBB13_180:
	s_and_b32 s16, s16, 3
	s_mov_b32 s25, 0
	s_cmp_eq_u32 s16, 0
	s_cbranch_scc1 .LBB13_183
; %bb.181:
	s_lshl_b32 s26, s24, 3
	s_mov_b32 s27, s25
	s_mul_u64 s[28:29], s[24:25], 12
	s_add_nc_u64 s[26:27], s[12:13], s[26:27]
	s_delay_alu instid0(SALU_CYCLE_1)
	s_add_nc_u64 s[24:25], s[26:27], 0xc4
	s_add_nc_u64 s[26:27], s[12:13], s[28:29]
.LBB13_182:                             ; =>This Inner Loop Header: Depth=1
	s_load_b96 s[40:42], s[26:27], 0x4
	s_load_b64 s[28:29], s[24:25], 0x0
	s_add_co_i32 s16, s16, -1
	s_wait_xcnt 0x0
	s_add_nc_u64 s[26:27], s[26:27], 12
	s_cmp_lg_u32 s16, 0
	s_add_nc_u64 s[24:25], s[24:25], 8
	s_wait_kmcnt 0x0
	v_mul_hi_u32 v4, s41, v1
	s_delay_alu instid0(VALU_DEP_1) | instskip(NEXT) | instid1(VALU_DEP_1)
	v_add_nc_u32_e32 v4, v1, v4
	v_lshrrev_b32_e32 v4, s42, v4
	s_delay_alu instid0(VALU_DEP_1) | instskip(NEXT) | instid1(VALU_DEP_1)
	v_mul_lo_u32 v5, v4, s40
	v_sub_nc_u32_e32 v1, v1, v5
	s_delay_alu instid0(VALU_DEP_1)
	v_mad_u32 v3, v1, s29, v3
	v_mad_u32 v2, v1, s28, v2
	v_mov_b32_e32 v1, v4
	s_cbranch_scc1 .LBB13_182
.LBB13_183:
	s_cbranch_execnz .LBB13_186
.LBB13_184:
	v_mov_b32_e32 v1, 0
	s_and_not1_b32 vcc_lo, exec_lo, s35
	s_delay_alu instid0(VALU_DEP_1) | instskip(NEXT) | instid1(VALU_DEP_1)
	v_mul_u64_e32 v[2:3], s[18:19], v[0:1]
	v_add_nc_u32_e32 v2, v0, v3
	s_delay_alu instid0(VALU_DEP_1) | instskip(NEXT) | instid1(VALU_DEP_1)
	v_lshrrev_b32_e32 v4, s6, v2
	v_mul_lo_u32 v2, v4, s4
	s_delay_alu instid0(VALU_DEP_1) | instskip(NEXT) | instid1(VALU_DEP_1)
	v_sub_nc_u32_e32 v2, v0, v2
	v_mul_lo_u32 v3, v2, s9
	v_mul_lo_u32 v2, v2, s8
	s_cbranch_vccnz .LBB13_186
; %bb.185:
	v_mov_b32_e32 v5, v1
	s_delay_alu instid0(VALU_DEP_1) | instskip(NEXT) | instid1(VALU_DEP_1)
	v_mul_u64_e32 v[6:7], s[20:21], v[4:5]
	v_add_nc_u32_e32 v1, v4, v7
	s_delay_alu instid0(VALU_DEP_1) | instskip(NEXT) | instid1(VALU_DEP_1)
	v_lshrrev_b32_e32 v1, s17, v1
	v_mul_lo_u32 v1, v1, s7
	s_delay_alu instid0(VALU_DEP_1) | instskip(NEXT) | instid1(VALU_DEP_1)
	v_sub_nc_u32_e32 v1, v4, v1
	v_mad_u32 v2, v1, s10, v2
	v_mad_u32 v3, v1, s11, v3
.LBB13_186:
	global_load_u8 v1, v3, s[2:3]
	s_and_b32 s16, s15, 0xff
	v_add_nc_u32_e32 v0, 0x80, v0
	s_wait_loadcnt 0x0
	v_cmp_ne_u16_e32 vcc_lo, s16, v1
	s_xor_b32 s16, s5, vcc_lo
	s_delay_alu instid0(SALU_CYCLE_1) | instskip(SKIP_3) | instid1(SALU_CYCLE_1)
	v_cndmask_b32_e64 v1, 0, 1, s16
	global_store_b8 v2, v1, s[0:1]
	s_wait_xcnt 0x0
	s_or_b32 exec_lo, exec_lo, s14
	s_mov_b32 s14, exec_lo
	v_cmpx_gt_i32_e64 s36, v0
	s_cbranch_execnz .LBB13_172
.LBB13_187:
	s_or_b32 exec_lo, exec_lo, s14
	s_delay_alu instid0(SALU_CYCLE_1)
	s_mov_b32 s14, exec_lo
	v_cmpx_gt_i32_e64 s36, v0
	s_cbranch_execz .LBB13_203
.LBB13_188:
	s_and_not1_b32 vcc_lo, exec_lo, s33
	s_cbranch_vccnz .LBB13_193
; %bb.189:
	s_and_not1_b32 vcc_lo, exec_lo, s38
	s_cbranch_vccnz .LBB13_194
; %bb.190:
	s_add_co_i32 s16, s37, 1
	s_cmp_eq_u32 s31, 2
	s_cbranch_scc1 .LBB13_211
; %bb.191:
	v_dual_mov_b32 v2, 0 :: v_dual_mov_b32 v3, 0
	v_mov_b32_e32 v1, v0
	s_and_b32 s24, s16, 28
	s_mov_b32 s25, 0
	s_mov_b64 s[26:27], s[12:13]
	s_mov_b64 s[28:29], s[22:23]
.LBB13_192:                             ; =>This Inner Loop Header: Depth=1
	s_clause 0x1
	s_load_b256 s[40:47], s[26:27], 0x4
	s_load_b128 s[56:59], s[26:27], 0x24
	s_load_b256 s[48:55], s[28:29], 0x0
	s_add_co_i32 s25, s25, 4
	s_wait_xcnt 0x0
	s_add_nc_u64 s[26:27], s[26:27], 48
	s_cmp_eq_u32 s24, s25
	s_add_nc_u64 s[28:29], s[28:29], 32
	s_wait_kmcnt 0x0
	v_mul_hi_u32 v4, s41, v1
	s_delay_alu instid0(VALU_DEP_1) | instskip(NEXT) | instid1(VALU_DEP_1)
	v_add_nc_u32_e32 v4, v1, v4
	v_lshrrev_b32_e32 v4, s42, v4
	s_delay_alu instid0(VALU_DEP_1) | instskip(NEXT) | instid1(VALU_DEP_1)
	v_mul_hi_u32 v5, s44, v4
	v_add_nc_u32_e32 v5, v4, v5
	s_delay_alu instid0(VALU_DEP_1) | instskip(NEXT) | instid1(VALU_DEP_1)
	v_lshrrev_b32_e32 v5, s45, v5
	v_mul_hi_u32 v6, s47, v5
	s_delay_alu instid0(VALU_DEP_1) | instskip(SKIP_1) | instid1(VALU_DEP_1)
	v_add_nc_u32_e32 v6, v5, v6
	v_mul_lo_u32 v7, v4, s40
	v_sub_nc_u32_e32 v1, v1, v7
	v_mul_lo_u32 v7, v5, s43
	s_delay_alu instid0(VALU_DEP_4) | instskip(NEXT) | instid1(VALU_DEP_3)
	v_lshrrev_b32_e32 v6, s56, v6
	v_mad_u32 v3, v1, s49, v3
	v_mad_u32 v1, v1, s48, v2
	s_delay_alu instid0(VALU_DEP_4) | instskip(NEXT) | instid1(VALU_DEP_4)
	v_sub_nc_u32_e32 v2, v4, v7
	v_mul_hi_u32 v8, s58, v6
	v_mul_lo_u32 v4, v6, s46
	s_delay_alu instid0(VALU_DEP_3) | instskip(SKIP_1) | instid1(VALU_DEP_4)
	v_mad_u32 v3, v2, s51, v3
	v_mad_u32 v2, v2, s50, v1
	v_add_nc_u32_e32 v7, v6, v8
	s_delay_alu instid0(VALU_DEP_1) | instskip(NEXT) | instid1(VALU_DEP_1)
	v_dual_sub_nc_u32 v4, v5, v4 :: v_dual_lshrrev_b32 v1, s59, v7
	v_mad_u32 v3, v4, s53, v3
	s_delay_alu instid0(VALU_DEP_4) | instskip(NEXT) | instid1(VALU_DEP_3)
	v_mad_u32 v2, v4, s52, v2
	v_mul_lo_u32 v5, v1, s57
	s_delay_alu instid0(VALU_DEP_1) | instskip(NEXT) | instid1(VALU_DEP_1)
	v_sub_nc_u32_e32 v4, v6, v5
	v_mad_u32 v3, v4, s55, v3
	s_delay_alu instid0(VALU_DEP_4)
	v_mad_u32 v2, v4, s54, v2
	s_cbranch_scc0 .LBB13_192
	s_branch .LBB13_212
.LBB13_193:
                                        ; implicit-def: $vgpr3
	s_branch .LBB13_216
.LBB13_194:
	v_dual_mov_b32 v3, 0 :: v_dual_mov_b32 v2, 0
	s_branch .LBB13_215
.LBB13_195:
	v_mov_b64_e32 v[2:3], 0
	v_mov_b32_e32 v1, v0
	s_mov_b32 s24, 0
.LBB13_196:
	s_and_b32 s16, s16, 3
	s_mov_b32 s25, 0
	s_cmp_eq_u32 s16, 0
	s_cbranch_scc1 .LBB13_199
; %bb.197:
	s_lshl_b32 s26, s24, 3
	s_mov_b32 s27, s25
	s_mul_u64 s[28:29], s[24:25], 12
	s_add_nc_u64 s[26:27], s[12:13], s[26:27]
	s_delay_alu instid0(SALU_CYCLE_1)
	s_add_nc_u64 s[24:25], s[26:27], 0xc4
	s_add_nc_u64 s[26:27], s[12:13], s[28:29]
.LBB13_198:                             ; =>This Inner Loop Header: Depth=1
	s_load_b96 s[40:42], s[26:27], 0x4
	s_load_b64 s[28:29], s[24:25], 0x0
	s_add_co_i32 s16, s16, -1
	s_wait_xcnt 0x0
	s_add_nc_u64 s[26:27], s[26:27], 12
	s_cmp_lg_u32 s16, 0
	s_add_nc_u64 s[24:25], s[24:25], 8
	s_wait_kmcnt 0x0
	v_mul_hi_u32 v4, s41, v1
	s_delay_alu instid0(VALU_DEP_1) | instskip(NEXT) | instid1(VALU_DEP_1)
	v_add_nc_u32_e32 v4, v1, v4
	v_lshrrev_b32_e32 v4, s42, v4
	s_delay_alu instid0(VALU_DEP_1) | instskip(NEXT) | instid1(VALU_DEP_1)
	v_mul_lo_u32 v5, v4, s40
	v_sub_nc_u32_e32 v1, v1, v5
	s_delay_alu instid0(VALU_DEP_1)
	v_mad_u32 v3, v1, s29, v3
	v_mad_u32 v2, v1, s28, v2
	v_mov_b32_e32 v1, v4
	s_cbranch_scc1 .LBB13_198
.LBB13_199:
	s_cbranch_execnz .LBB13_202
.LBB13_200:
	v_mov_b32_e32 v1, 0
	s_and_not1_b32 vcc_lo, exec_lo, s35
	s_delay_alu instid0(VALU_DEP_1) | instskip(NEXT) | instid1(VALU_DEP_1)
	v_mul_u64_e32 v[2:3], s[18:19], v[0:1]
	v_add_nc_u32_e32 v2, v0, v3
	s_delay_alu instid0(VALU_DEP_1) | instskip(NEXT) | instid1(VALU_DEP_1)
	v_lshrrev_b32_e32 v4, s6, v2
	v_mul_lo_u32 v2, v4, s4
	s_delay_alu instid0(VALU_DEP_1) | instskip(NEXT) | instid1(VALU_DEP_1)
	v_sub_nc_u32_e32 v2, v0, v2
	v_mul_lo_u32 v3, v2, s9
	v_mul_lo_u32 v2, v2, s8
	s_cbranch_vccnz .LBB13_202
; %bb.201:
	v_mov_b32_e32 v5, v1
	s_delay_alu instid0(VALU_DEP_1) | instskip(NEXT) | instid1(VALU_DEP_1)
	v_mul_u64_e32 v[6:7], s[20:21], v[4:5]
	v_add_nc_u32_e32 v1, v4, v7
	s_delay_alu instid0(VALU_DEP_1) | instskip(NEXT) | instid1(VALU_DEP_1)
	v_lshrrev_b32_e32 v1, s17, v1
	v_mul_lo_u32 v1, v1, s7
	s_delay_alu instid0(VALU_DEP_1) | instskip(NEXT) | instid1(VALU_DEP_1)
	v_sub_nc_u32_e32 v1, v4, v1
	v_mad_u32 v2, v1, s10, v2
	v_mad_u32 v3, v1, s11, v3
.LBB13_202:
	global_load_u8 v1, v3, s[2:3]
	s_and_b32 s16, s15, 0xff
	v_add_nc_u32_e32 v0, 0x80, v0
	s_wait_loadcnt 0x0
	v_cmp_ne_u16_e32 vcc_lo, s16, v1
	s_xor_b32 s16, s5, vcc_lo
	s_delay_alu instid0(SALU_CYCLE_1) | instskip(SKIP_3) | instid1(SALU_CYCLE_1)
	v_cndmask_b32_e64 v1, 0, 1, s16
	global_store_b8 v2, v1, s[0:1]
	s_wait_xcnt 0x0
	s_or_b32 exec_lo, exec_lo, s14
	s_mov_b32 s14, exec_lo
	v_cmpx_gt_i32_e64 s36, v0
	s_cbranch_execnz .LBB13_188
.LBB13_203:
	s_or_b32 exec_lo, exec_lo, s14
	s_delay_alu instid0(SALU_CYCLE_1)
	s_mov_b32 s14, exec_lo
	v_cmpx_gt_i32_e64 s36, v0
	s_cbranch_execz .LBB13_219
.LBB13_204:
	s_and_not1_b32 vcc_lo, exec_lo, s33
	s_cbranch_vccnz .LBB13_209
; %bb.205:
	s_and_not1_b32 vcc_lo, exec_lo, s38
	s_cbranch_vccnz .LBB13_210
; %bb.206:
	s_add_co_i32 s16, s37, 1
	s_cmp_eq_u32 s31, 2
	s_cbranch_scc1 .LBB13_222
; %bb.207:
	v_dual_mov_b32 v2, 0 :: v_dual_mov_b32 v3, 0
	v_mov_b32_e32 v1, v0
	s_and_b32 s24, s16, 28
	s_mov_b32 s25, 0
	s_mov_b64 s[26:27], s[12:13]
	s_mov_b64 s[28:29], s[22:23]
.LBB13_208:                             ; =>This Inner Loop Header: Depth=1
	s_clause 0x1
	s_load_b256 s[40:47], s[26:27], 0x4
	s_load_b128 s[56:59], s[26:27], 0x24
	s_load_b256 s[48:55], s[28:29], 0x0
	s_add_co_i32 s25, s25, 4
	s_wait_xcnt 0x0
	s_add_nc_u64 s[26:27], s[26:27], 48
	s_cmp_eq_u32 s24, s25
	s_add_nc_u64 s[28:29], s[28:29], 32
	s_wait_kmcnt 0x0
	v_mul_hi_u32 v4, s41, v1
	s_delay_alu instid0(VALU_DEP_1) | instskip(NEXT) | instid1(VALU_DEP_1)
	v_add_nc_u32_e32 v4, v1, v4
	v_lshrrev_b32_e32 v4, s42, v4
	s_delay_alu instid0(VALU_DEP_1) | instskip(NEXT) | instid1(VALU_DEP_1)
	v_mul_hi_u32 v5, s44, v4
	v_add_nc_u32_e32 v5, v4, v5
	s_delay_alu instid0(VALU_DEP_1) | instskip(NEXT) | instid1(VALU_DEP_1)
	v_lshrrev_b32_e32 v5, s45, v5
	v_mul_hi_u32 v6, s47, v5
	s_delay_alu instid0(VALU_DEP_1) | instskip(SKIP_1) | instid1(VALU_DEP_1)
	v_add_nc_u32_e32 v6, v5, v6
	v_mul_lo_u32 v7, v4, s40
	v_sub_nc_u32_e32 v1, v1, v7
	v_mul_lo_u32 v7, v5, s43
	s_delay_alu instid0(VALU_DEP_4) | instskip(NEXT) | instid1(VALU_DEP_3)
	v_lshrrev_b32_e32 v6, s56, v6
	v_mad_u32 v3, v1, s49, v3
	v_mad_u32 v1, v1, s48, v2
	s_delay_alu instid0(VALU_DEP_4) | instskip(NEXT) | instid1(VALU_DEP_4)
	v_sub_nc_u32_e32 v2, v4, v7
	v_mul_hi_u32 v8, s58, v6
	v_mul_lo_u32 v4, v6, s46
	s_delay_alu instid0(VALU_DEP_3) | instskip(SKIP_1) | instid1(VALU_DEP_4)
	v_mad_u32 v3, v2, s51, v3
	v_mad_u32 v2, v2, s50, v1
	v_add_nc_u32_e32 v7, v6, v8
	s_delay_alu instid0(VALU_DEP_1) | instskip(NEXT) | instid1(VALU_DEP_1)
	v_dual_sub_nc_u32 v4, v5, v4 :: v_dual_lshrrev_b32 v1, s59, v7
	v_mad_u32 v3, v4, s53, v3
	s_delay_alu instid0(VALU_DEP_4) | instskip(NEXT) | instid1(VALU_DEP_3)
	v_mad_u32 v2, v4, s52, v2
	v_mul_lo_u32 v5, v1, s57
	s_delay_alu instid0(VALU_DEP_1) | instskip(NEXT) | instid1(VALU_DEP_1)
	v_sub_nc_u32_e32 v4, v6, v5
	v_mad_u32 v3, v4, s55, v3
	s_delay_alu instid0(VALU_DEP_4)
	v_mad_u32 v2, v4, s54, v2
	s_cbranch_scc0 .LBB13_208
	s_branch .LBB13_223
.LBB13_209:
                                        ; implicit-def: $vgpr3
	s_branch .LBB13_227
.LBB13_210:
	v_dual_mov_b32 v3, 0 :: v_dual_mov_b32 v2, 0
	s_branch .LBB13_226
.LBB13_211:
	v_mov_b64_e32 v[2:3], 0
	v_mov_b32_e32 v1, v0
	s_mov_b32 s24, 0
.LBB13_212:
	s_and_b32 s16, s16, 3
	s_mov_b32 s25, 0
	s_cmp_eq_u32 s16, 0
	s_cbranch_scc1 .LBB13_215
; %bb.213:
	s_lshl_b32 s26, s24, 3
	s_mov_b32 s27, s25
	s_mul_u64 s[28:29], s[24:25], 12
	s_add_nc_u64 s[26:27], s[12:13], s[26:27]
	s_delay_alu instid0(SALU_CYCLE_1)
	s_add_nc_u64 s[24:25], s[26:27], 0xc4
	s_add_nc_u64 s[26:27], s[12:13], s[28:29]
.LBB13_214:                             ; =>This Inner Loop Header: Depth=1
	s_load_b96 s[40:42], s[26:27], 0x4
	s_load_b64 s[28:29], s[24:25], 0x0
	s_add_co_i32 s16, s16, -1
	s_wait_xcnt 0x0
	s_add_nc_u64 s[26:27], s[26:27], 12
	s_cmp_lg_u32 s16, 0
	s_add_nc_u64 s[24:25], s[24:25], 8
	s_wait_kmcnt 0x0
	v_mul_hi_u32 v4, s41, v1
	s_delay_alu instid0(VALU_DEP_1) | instskip(NEXT) | instid1(VALU_DEP_1)
	v_add_nc_u32_e32 v4, v1, v4
	v_lshrrev_b32_e32 v4, s42, v4
	s_delay_alu instid0(VALU_DEP_1) | instskip(NEXT) | instid1(VALU_DEP_1)
	v_mul_lo_u32 v5, v4, s40
	v_sub_nc_u32_e32 v1, v1, v5
	s_delay_alu instid0(VALU_DEP_1)
	v_mad_u32 v3, v1, s29, v3
	v_mad_u32 v2, v1, s28, v2
	v_mov_b32_e32 v1, v4
	s_cbranch_scc1 .LBB13_214
.LBB13_215:
	s_cbranch_execnz .LBB13_218
.LBB13_216:
	v_mov_b32_e32 v1, 0
	s_and_not1_b32 vcc_lo, exec_lo, s35
	s_delay_alu instid0(VALU_DEP_1) | instskip(NEXT) | instid1(VALU_DEP_1)
	v_mul_u64_e32 v[2:3], s[18:19], v[0:1]
	v_add_nc_u32_e32 v2, v0, v3
	s_delay_alu instid0(VALU_DEP_1) | instskip(NEXT) | instid1(VALU_DEP_1)
	v_lshrrev_b32_e32 v4, s6, v2
	v_mul_lo_u32 v2, v4, s4
	s_delay_alu instid0(VALU_DEP_1) | instskip(NEXT) | instid1(VALU_DEP_1)
	v_sub_nc_u32_e32 v2, v0, v2
	v_mul_lo_u32 v3, v2, s9
	v_mul_lo_u32 v2, v2, s8
	s_cbranch_vccnz .LBB13_218
; %bb.217:
	v_mov_b32_e32 v5, v1
	s_delay_alu instid0(VALU_DEP_1) | instskip(NEXT) | instid1(VALU_DEP_1)
	v_mul_u64_e32 v[6:7], s[20:21], v[4:5]
	v_add_nc_u32_e32 v1, v4, v7
	s_delay_alu instid0(VALU_DEP_1) | instskip(NEXT) | instid1(VALU_DEP_1)
	v_lshrrev_b32_e32 v1, s17, v1
	v_mul_lo_u32 v1, v1, s7
	s_delay_alu instid0(VALU_DEP_1) | instskip(NEXT) | instid1(VALU_DEP_1)
	v_sub_nc_u32_e32 v1, v4, v1
	v_mad_u32 v2, v1, s10, v2
	v_mad_u32 v3, v1, s11, v3
.LBB13_218:
	global_load_u8 v1, v3, s[2:3]
	s_and_b32 s16, s15, 0xff
	v_add_nc_u32_e32 v0, 0x80, v0
	s_wait_loadcnt 0x0
	v_cmp_ne_u16_e32 vcc_lo, s16, v1
	s_xor_b32 s16, s5, vcc_lo
	s_delay_alu instid0(SALU_CYCLE_1) | instskip(SKIP_3) | instid1(SALU_CYCLE_1)
	v_cndmask_b32_e64 v1, 0, 1, s16
	global_store_b8 v2, v1, s[0:1]
	s_wait_xcnt 0x0
	s_or_b32 exec_lo, exec_lo, s14
	s_mov_b32 s14, exec_lo
	v_cmpx_gt_i32_e64 s36, v0
	s_cbranch_execnz .LBB13_204
.LBB13_219:
	s_or_b32 exec_lo, exec_lo, s14
	s_delay_alu instid0(SALU_CYCLE_1)
	s_mov_b32 s14, exec_lo
	v_cmpx_gt_i32_e64 s36, v0
	s_cbranch_execnz .LBB13_230
.LBB13_220:
	s_or_b32 exec_lo, exec_lo, s14
                                        ; implicit-def: $vgpr16
                                        ; implicit-def: $vgpr0
	s_and_not1_saveexec_b32 s0, s34
	s_cbranch_execnz .LBB13_8
.LBB13_221:
	s_endpgm
.LBB13_222:
	v_mov_b64_e32 v[2:3], 0
	v_mov_b32_e32 v1, v0
	s_mov_b32 s24, 0
.LBB13_223:
	s_and_b32 s16, s16, 3
	s_mov_b32 s25, 0
	s_cmp_eq_u32 s16, 0
	s_cbranch_scc1 .LBB13_226
; %bb.224:
	s_lshl_b32 s26, s24, 3
	s_mov_b32 s27, s25
	s_mul_u64 s[28:29], s[24:25], 12
	s_add_nc_u64 s[26:27], s[12:13], s[26:27]
	s_delay_alu instid0(SALU_CYCLE_1)
	s_add_nc_u64 s[24:25], s[26:27], 0xc4
	s_add_nc_u64 s[26:27], s[12:13], s[28:29]
.LBB13_225:                             ; =>This Inner Loop Header: Depth=1
	s_load_b96 s[40:42], s[26:27], 0x4
	s_load_b64 s[28:29], s[24:25], 0x0
	s_add_co_i32 s16, s16, -1
	s_wait_xcnt 0x0
	s_add_nc_u64 s[26:27], s[26:27], 12
	s_cmp_lg_u32 s16, 0
	s_add_nc_u64 s[24:25], s[24:25], 8
	s_wait_kmcnt 0x0
	v_mul_hi_u32 v4, s41, v1
	s_delay_alu instid0(VALU_DEP_1) | instskip(NEXT) | instid1(VALU_DEP_1)
	v_add_nc_u32_e32 v4, v1, v4
	v_lshrrev_b32_e32 v4, s42, v4
	s_delay_alu instid0(VALU_DEP_1) | instskip(NEXT) | instid1(VALU_DEP_1)
	v_mul_lo_u32 v5, v4, s40
	v_sub_nc_u32_e32 v1, v1, v5
	s_delay_alu instid0(VALU_DEP_1)
	v_mad_u32 v3, v1, s29, v3
	v_mad_u32 v2, v1, s28, v2
	v_mov_b32_e32 v1, v4
	s_cbranch_scc1 .LBB13_225
.LBB13_226:
	s_cbranch_execnz .LBB13_229
.LBB13_227:
	v_mov_b32_e32 v1, 0
	s_and_not1_b32 vcc_lo, exec_lo, s35
	s_delay_alu instid0(VALU_DEP_1) | instskip(NEXT) | instid1(VALU_DEP_1)
	v_mul_u64_e32 v[2:3], s[18:19], v[0:1]
	v_add_nc_u32_e32 v2, v0, v3
	s_delay_alu instid0(VALU_DEP_1) | instskip(NEXT) | instid1(VALU_DEP_1)
	v_lshrrev_b32_e32 v4, s6, v2
	v_mul_lo_u32 v2, v4, s4
	s_delay_alu instid0(VALU_DEP_1) | instskip(NEXT) | instid1(VALU_DEP_1)
	v_sub_nc_u32_e32 v2, v0, v2
	v_mul_lo_u32 v3, v2, s9
	v_mul_lo_u32 v2, v2, s8
	s_cbranch_vccnz .LBB13_229
; %bb.228:
	v_mov_b32_e32 v5, v1
	s_delay_alu instid0(VALU_DEP_1) | instskip(NEXT) | instid1(VALU_DEP_1)
	v_mul_u64_e32 v[6:7], s[20:21], v[4:5]
	v_add_nc_u32_e32 v1, v4, v7
	s_delay_alu instid0(VALU_DEP_1) | instskip(NEXT) | instid1(VALU_DEP_1)
	v_lshrrev_b32_e32 v1, s17, v1
	v_mul_lo_u32 v1, v1, s7
	s_delay_alu instid0(VALU_DEP_1) | instskip(NEXT) | instid1(VALU_DEP_1)
	v_sub_nc_u32_e32 v1, v4, v1
	v_mad_u32 v2, v1, s10, v2
	v_mad_u32 v3, v1, s11, v3
.LBB13_229:
	global_load_u8 v1, v3, s[2:3]
	s_and_b32 s16, s15, 0xff
	v_add_nc_u32_e32 v0, 0x80, v0
	s_wait_loadcnt 0x0
	v_cmp_ne_u16_e32 vcc_lo, s16, v1
	s_xor_b32 s16, s5, vcc_lo
	s_delay_alu instid0(SALU_CYCLE_1) | instskip(SKIP_3) | instid1(SALU_CYCLE_1)
	v_cndmask_b32_e64 v1, 0, 1, s16
	global_store_b8 v2, v1, s[0:1]
	s_wait_xcnt 0x0
	s_or_b32 exec_lo, exec_lo, s14
	s_mov_b32 s14, exec_lo
	v_cmpx_gt_i32_e64 s36, v0
	s_cbranch_execz .LBB13_220
.LBB13_230:
	s_and_not1_b32 vcc_lo, exec_lo, s33
	s_cbranch_vccnz .LBB13_235
; %bb.231:
	s_and_not1_b32 vcc_lo, exec_lo, s38
	s_cbranch_vccnz .LBB13_236
; %bb.232:
	s_add_co_i32 s37, s37, 1
	s_cmp_eq_u32 s31, 2
	s_cbranch_scc1 .LBB13_237
; %bb.233:
	v_dual_mov_b32 v2, 0 :: v_dual_mov_b32 v3, 0
	v_mov_b32_e32 v1, v0
	s_and_b32 s24, s37, 28
	s_mov_b32 s16, 0
	s_mov_b64 s[26:27], s[12:13]
.LBB13_234:                             ; =>This Inner Loop Header: Depth=1
	s_clause 0x1
	s_load_b256 s[40:47], s[26:27], 0x4
	s_load_b128 s[56:59], s[26:27], 0x24
	s_load_b256 s[48:55], s[22:23], 0x0
	s_add_co_i32 s16, s16, 4
	s_wait_xcnt 0x0
	s_add_nc_u64 s[26:27], s[26:27], 48
	s_cmp_eq_u32 s24, s16
	s_add_nc_u64 s[22:23], s[22:23], 32
	s_wait_kmcnt 0x0
	v_mul_hi_u32 v4, s41, v1
	s_delay_alu instid0(VALU_DEP_1) | instskip(NEXT) | instid1(VALU_DEP_1)
	v_add_nc_u32_e32 v4, v1, v4
	v_lshrrev_b32_e32 v4, s42, v4
	s_delay_alu instid0(VALU_DEP_1) | instskip(NEXT) | instid1(VALU_DEP_1)
	v_mul_hi_u32 v5, s44, v4
	v_add_nc_u32_e32 v5, v4, v5
	s_delay_alu instid0(VALU_DEP_1) | instskip(NEXT) | instid1(VALU_DEP_1)
	v_lshrrev_b32_e32 v5, s45, v5
	v_mul_hi_u32 v6, s47, v5
	s_delay_alu instid0(VALU_DEP_1) | instskip(SKIP_1) | instid1(VALU_DEP_1)
	v_add_nc_u32_e32 v6, v5, v6
	v_mul_lo_u32 v7, v4, s40
	v_sub_nc_u32_e32 v1, v1, v7
	v_mul_lo_u32 v7, v5, s43
	s_delay_alu instid0(VALU_DEP_4) | instskip(NEXT) | instid1(VALU_DEP_3)
	v_lshrrev_b32_e32 v6, s56, v6
	v_mad_u32 v3, v1, s49, v3
	v_mad_u32 v1, v1, s48, v2
	s_delay_alu instid0(VALU_DEP_4) | instskip(NEXT) | instid1(VALU_DEP_4)
	v_sub_nc_u32_e32 v2, v4, v7
	v_mul_hi_u32 v8, s58, v6
	v_mul_lo_u32 v4, v6, s46
	s_delay_alu instid0(VALU_DEP_3) | instskip(SKIP_1) | instid1(VALU_DEP_4)
	v_mad_u32 v3, v2, s51, v3
	v_mad_u32 v2, v2, s50, v1
	v_add_nc_u32_e32 v7, v6, v8
	s_delay_alu instid0(VALU_DEP_1) | instskip(NEXT) | instid1(VALU_DEP_1)
	v_dual_sub_nc_u32 v4, v5, v4 :: v_dual_lshrrev_b32 v1, s59, v7
	v_mad_u32 v3, v4, s53, v3
	s_delay_alu instid0(VALU_DEP_4) | instskip(NEXT) | instid1(VALU_DEP_3)
	v_mad_u32 v2, v4, s52, v2
	v_mul_lo_u32 v5, v1, s57
	s_delay_alu instid0(VALU_DEP_1) | instskip(NEXT) | instid1(VALU_DEP_1)
	v_sub_nc_u32_e32 v4, v6, v5
	v_mad_u32 v3, v4, s55, v3
	s_delay_alu instid0(VALU_DEP_4)
	v_mad_u32 v2, v4, s54, v2
	s_cbranch_scc0 .LBB13_234
	s_branch .LBB13_238
.LBB13_235:
                                        ; implicit-def: $vgpr3
	s_branch .LBB13_242
.LBB13_236:
	v_dual_mov_b32 v3, 0 :: v_dual_mov_b32 v2, 0
	s_branch .LBB13_241
.LBB13_237:
	v_mov_b64_e32 v[2:3], 0
	v_mov_b32_e32 v1, v0
	s_mov_b32 s24, 0
.LBB13_238:
	s_and_b32 s16, s37, 3
	s_mov_b32 s25, 0
	s_cmp_eq_u32 s16, 0
	s_cbranch_scc1 .LBB13_241
; %bb.239:
	s_lshl_b32 s22, s24, 3
	s_mov_b32 s23, s25
	s_mul_u64 s[24:25], s[24:25], 12
	s_add_nc_u64 s[22:23], s[12:13], s[22:23]
	s_add_nc_u64 s[24:25], s[12:13], s[24:25]
	;; [unrolled: 1-line block ×3, first 2 shown]
.LBB13_240:                             ; =>This Inner Loop Header: Depth=1
	s_load_b96 s[36:38], s[24:25], 0x4
	s_load_b64 s[26:27], s[22:23], 0x0
	s_add_co_i32 s16, s16, -1
	s_wait_xcnt 0x0
	s_add_nc_u64 s[24:25], s[24:25], 12
	s_cmp_lg_u32 s16, 0
	s_add_nc_u64 s[22:23], s[22:23], 8
	s_wait_kmcnt 0x0
	v_mul_hi_u32 v4, s37, v1
	s_delay_alu instid0(VALU_DEP_1) | instskip(NEXT) | instid1(VALU_DEP_1)
	v_add_nc_u32_e32 v4, v1, v4
	v_lshrrev_b32_e32 v4, s38, v4
	s_delay_alu instid0(VALU_DEP_1) | instskip(NEXT) | instid1(VALU_DEP_1)
	v_mul_lo_u32 v5, v4, s36
	v_sub_nc_u32_e32 v1, v1, v5
	s_delay_alu instid0(VALU_DEP_1)
	v_mad_u32 v3, v1, s27, v3
	v_mad_u32 v2, v1, s26, v2
	v_mov_b32_e32 v1, v4
	s_cbranch_scc1 .LBB13_240
.LBB13_241:
	s_cbranch_execnz .LBB13_244
.LBB13_242:
	v_mov_b32_e32 v1, 0
	s_and_not1_b32 vcc_lo, exec_lo, s35
	s_delay_alu instid0(VALU_DEP_1) | instskip(NEXT) | instid1(VALU_DEP_1)
	v_mul_u64_e32 v[2:3], s[18:19], v[0:1]
	v_add_nc_u32_e32 v2, v0, v3
	s_delay_alu instid0(VALU_DEP_1) | instskip(NEXT) | instid1(VALU_DEP_1)
	v_lshrrev_b32_e32 v4, s6, v2
	v_mul_lo_u32 v2, v4, s4
	s_delay_alu instid0(VALU_DEP_1) | instskip(NEXT) | instid1(VALU_DEP_1)
	v_sub_nc_u32_e32 v0, v0, v2
	v_mul_lo_u32 v3, v0, s9
	v_mul_lo_u32 v2, v0, s8
	s_cbranch_vccnz .LBB13_244
; %bb.243:
	v_mov_b32_e32 v5, v1
	s_delay_alu instid0(VALU_DEP_1) | instskip(NEXT) | instid1(VALU_DEP_1)
	v_mul_u64_e32 v[0:1], s[20:21], v[4:5]
	v_add_nc_u32_e32 v0, v4, v1
	s_delay_alu instid0(VALU_DEP_1) | instskip(NEXT) | instid1(VALU_DEP_1)
	v_lshrrev_b32_e32 v0, s17, v0
	v_mul_lo_u32 v0, v0, s7
	s_delay_alu instid0(VALU_DEP_1) | instskip(NEXT) | instid1(VALU_DEP_1)
	v_sub_nc_u32_e32 v0, v4, v0
	v_mad_u32 v2, v0, s10, v2
	v_mad_u32 v3, v0, s11, v3
.LBB13_244:
	global_load_u8 v0, v3, s[2:3]
	s_wait_xcnt 0x0
	s_and_b32 s2, s15, 0xff
	s_wait_loadcnt 0x0
	v_cmp_ne_u16_e32 vcc_lo, s2, v0
	s_xor_b32 s2, s5, vcc_lo
	s_delay_alu instid0(SALU_CYCLE_1)
	v_cndmask_b32_e64 v0, 0, 1, s2
	global_store_b8 v2, v0, s[0:1]
	s_wait_xcnt 0x0
	s_or_b32 exec_lo, exec_lo, s14
                                        ; implicit-def: $vgpr16
                                        ; implicit-def: $vgpr0
	s_and_not1_saveexec_b32 s0, s34
	s_cbranch_execz .LBB13_221
	s_branch .LBB13_8
	.section	.rodata,"a",@progbits
	.p2align	6, 0x0
	.amdhsa_kernel _ZN2at6native32elementwise_kernel_manual_unrollILi128ELi8EZNS0_22gpu_kernel_impl_nocastINS0_13AUnaryFunctorIhhbNS0_12_GLOBAL__N_116CompareEqFunctorIhEEEEEEvRNS_18TensorIteratorBaseERKT_EUlibE_EEviT1_
		.amdhsa_group_segment_fixed_size 0
		.amdhsa_private_segment_fixed_size 0
		.amdhsa_kernarg_size 360
		.amdhsa_user_sgpr_count 2
		.amdhsa_user_sgpr_dispatch_ptr 0
		.amdhsa_user_sgpr_queue_ptr 0
		.amdhsa_user_sgpr_kernarg_segment_ptr 1
		.amdhsa_user_sgpr_dispatch_id 0
		.amdhsa_user_sgpr_kernarg_preload_length 0
		.amdhsa_user_sgpr_kernarg_preload_offset 0
		.amdhsa_user_sgpr_private_segment_size 0
		.amdhsa_wavefront_size32 1
		.amdhsa_uses_dynamic_stack 0
		.amdhsa_enable_private_segment 0
		.amdhsa_system_sgpr_workgroup_id_x 1
		.amdhsa_system_sgpr_workgroup_id_y 0
		.amdhsa_system_sgpr_workgroup_id_z 0
		.amdhsa_system_sgpr_workgroup_info 0
		.amdhsa_system_vgpr_workitem_id 0
		.amdhsa_next_free_vgpr 24
		.amdhsa_next_free_sgpr 60
		.amdhsa_named_barrier_count 0
		.amdhsa_reserve_vcc 1
		.amdhsa_float_round_mode_32 0
		.amdhsa_float_round_mode_16_64 0
		.amdhsa_float_denorm_mode_32 3
		.amdhsa_float_denorm_mode_16_64 3
		.amdhsa_fp16_overflow 0
		.amdhsa_memory_ordered 1
		.amdhsa_forward_progress 1
		.amdhsa_inst_pref_size 100
		.amdhsa_round_robin_scheduling 0
		.amdhsa_exception_fp_ieee_invalid_op 0
		.amdhsa_exception_fp_denorm_src 0
		.amdhsa_exception_fp_ieee_div_zero 0
		.amdhsa_exception_fp_ieee_overflow 0
		.amdhsa_exception_fp_ieee_underflow 0
		.amdhsa_exception_fp_ieee_inexact 0
		.amdhsa_exception_int_div_zero 0
	.end_amdhsa_kernel
	.section	.text._ZN2at6native32elementwise_kernel_manual_unrollILi128ELi8EZNS0_22gpu_kernel_impl_nocastINS0_13AUnaryFunctorIhhbNS0_12_GLOBAL__N_116CompareEqFunctorIhEEEEEEvRNS_18TensorIteratorBaseERKT_EUlibE_EEviT1_,"axG",@progbits,_ZN2at6native32elementwise_kernel_manual_unrollILi128ELi8EZNS0_22gpu_kernel_impl_nocastINS0_13AUnaryFunctorIhhbNS0_12_GLOBAL__N_116CompareEqFunctorIhEEEEEEvRNS_18TensorIteratorBaseERKT_EUlibE_EEviT1_,comdat
.Lfunc_end13:
	.size	_ZN2at6native32elementwise_kernel_manual_unrollILi128ELi8EZNS0_22gpu_kernel_impl_nocastINS0_13AUnaryFunctorIhhbNS0_12_GLOBAL__N_116CompareEqFunctorIhEEEEEEvRNS_18TensorIteratorBaseERKT_EUlibE_EEviT1_, .Lfunc_end13-_ZN2at6native32elementwise_kernel_manual_unrollILi128ELi8EZNS0_22gpu_kernel_impl_nocastINS0_13AUnaryFunctorIhhbNS0_12_GLOBAL__N_116CompareEqFunctorIhEEEEEEvRNS_18TensorIteratorBaseERKT_EUlibE_EEviT1_
                                        ; -- End function
	.set _ZN2at6native32elementwise_kernel_manual_unrollILi128ELi8EZNS0_22gpu_kernel_impl_nocastINS0_13AUnaryFunctorIhhbNS0_12_GLOBAL__N_116CompareEqFunctorIhEEEEEEvRNS_18TensorIteratorBaseERKT_EUlibE_EEviT1_.num_vgpr, 24
	.set _ZN2at6native32elementwise_kernel_manual_unrollILi128ELi8EZNS0_22gpu_kernel_impl_nocastINS0_13AUnaryFunctorIhhbNS0_12_GLOBAL__N_116CompareEqFunctorIhEEEEEEvRNS_18TensorIteratorBaseERKT_EUlibE_EEviT1_.num_agpr, 0
	.set _ZN2at6native32elementwise_kernel_manual_unrollILi128ELi8EZNS0_22gpu_kernel_impl_nocastINS0_13AUnaryFunctorIhhbNS0_12_GLOBAL__N_116CompareEqFunctorIhEEEEEEvRNS_18TensorIteratorBaseERKT_EUlibE_EEviT1_.numbered_sgpr, 60
	.set _ZN2at6native32elementwise_kernel_manual_unrollILi128ELi8EZNS0_22gpu_kernel_impl_nocastINS0_13AUnaryFunctorIhhbNS0_12_GLOBAL__N_116CompareEqFunctorIhEEEEEEvRNS_18TensorIteratorBaseERKT_EUlibE_EEviT1_.num_named_barrier, 0
	.set _ZN2at6native32elementwise_kernel_manual_unrollILi128ELi8EZNS0_22gpu_kernel_impl_nocastINS0_13AUnaryFunctorIhhbNS0_12_GLOBAL__N_116CompareEqFunctorIhEEEEEEvRNS_18TensorIteratorBaseERKT_EUlibE_EEviT1_.private_seg_size, 0
	.set _ZN2at6native32elementwise_kernel_manual_unrollILi128ELi8EZNS0_22gpu_kernel_impl_nocastINS0_13AUnaryFunctorIhhbNS0_12_GLOBAL__N_116CompareEqFunctorIhEEEEEEvRNS_18TensorIteratorBaseERKT_EUlibE_EEviT1_.uses_vcc, 1
	.set _ZN2at6native32elementwise_kernel_manual_unrollILi128ELi8EZNS0_22gpu_kernel_impl_nocastINS0_13AUnaryFunctorIhhbNS0_12_GLOBAL__N_116CompareEqFunctorIhEEEEEEvRNS_18TensorIteratorBaseERKT_EUlibE_EEviT1_.uses_flat_scratch, 0
	.set _ZN2at6native32elementwise_kernel_manual_unrollILi128ELi8EZNS0_22gpu_kernel_impl_nocastINS0_13AUnaryFunctorIhhbNS0_12_GLOBAL__N_116CompareEqFunctorIhEEEEEEvRNS_18TensorIteratorBaseERKT_EUlibE_EEviT1_.has_dyn_sized_stack, 0
	.set _ZN2at6native32elementwise_kernel_manual_unrollILi128ELi8EZNS0_22gpu_kernel_impl_nocastINS0_13AUnaryFunctorIhhbNS0_12_GLOBAL__N_116CompareEqFunctorIhEEEEEEvRNS_18TensorIteratorBaseERKT_EUlibE_EEviT1_.has_recursion, 0
	.set _ZN2at6native32elementwise_kernel_manual_unrollILi128ELi8EZNS0_22gpu_kernel_impl_nocastINS0_13AUnaryFunctorIhhbNS0_12_GLOBAL__N_116CompareEqFunctorIhEEEEEEvRNS_18TensorIteratorBaseERKT_EUlibE_EEviT1_.has_indirect_call, 0
	.section	.AMDGPU.csdata,"",@progbits
; Kernel info:
; codeLenInByte = 12696
; TotalNumSgprs: 62
; NumVgprs: 24
; ScratchSize: 0
; MemoryBound: 0
; FloatMode: 240
; IeeeMode: 1
; LDSByteSize: 0 bytes/workgroup (compile time only)
; SGPRBlocks: 0
; VGPRBlocks: 1
; NumSGPRsForWavesPerEU: 62
; NumVGPRsForWavesPerEU: 24
; NamedBarCnt: 0
; Occupancy: 16
; WaveLimiterHint : 1
; COMPUTE_PGM_RSRC2:SCRATCH_EN: 0
; COMPUTE_PGM_RSRC2:USER_SGPR: 2
; COMPUTE_PGM_RSRC2:TRAP_HANDLER: 0
; COMPUTE_PGM_RSRC2:TGID_X_EN: 1
; COMPUTE_PGM_RSRC2:TGID_Y_EN: 0
; COMPUTE_PGM_RSRC2:TGID_Z_EN: 0
; COMPUTE_PGM_RSRC2:TIDIG_COMP_CNT: 0
	.section	.text._ZN2at6native32elementwise_kernel_manual_unrollILi128ELi4EZNS0_15gpu_kernel_implINS0_13AUnaryFunctorIhhbNS0_12_GLOBAL__N_116CompareEqFunctorIhEEEEEEvRNS_18TensorIteratorBaseERKT_EUlibE_EEviT1_,"axG",@progbits,_ZN2at6native32elementwise_kernel_manual_unrollILi128ELi4EZNS0_15gpu_kernel_implINS0_13AUnaryFunctorIhhbNS0_12_GLOBAL__N_116CompareEqFunctorIhEEEEEEvRNS_18TensorIteratorBaseERKT_EUlibE_EEviT1_,comdat
	.globl	_ZN2at6native32elementwise_kernel_manual_unrollILi128ELi4EZNS0_15gpu_kernel_implINS0_13AUnaryFunctorIhhbNS0_12_GLOBAL__N_116CompareEqFunctorIhEEEEEEvRNS_18TensorIteratorBaseERKT_EUlibE_EEviT1_ ; -- Begin function _ZN2at6native32elementwise_kernel_manual_unrollILi128ELi4EZNS0_15gpu_kernel_implINS0_13AUnaryFunctorIhhbNS0_12_GLOBAL__N_116CompareEqFunctorIhEEEEEEvRNS_18TensorIteratorBaseERKT_EUlibE_EEviT1_
	.p2align	8
	.type	_ZN2at6native32elementwise_kernel_manual_unrollILi128ELi4EZNS0_15gpu_kernel_implINS0_13AUnaryFunctorIhhbNS0_12_GLOBAL__N_116CompareEqFunctorIhEEEEEEvRNS_18TensorIteratorBaseERKT_EUlibE_EEviT1_,@function
_ZN2at6native32elementwise_kernel_manual_unrollILi128ELi4EZNS0_15gpu_kernel_implINS0_13AUnaryFunctorIhhbNS0_12_GLOBAL__N_116CompareEqFunctorIhEEEEEEvRNS_18TensorIteratorBaseERKT_EUlibE_EEviT1_: ; @_ZN2at6native32elementwise_kernel_manual_unrollILi128ELi4EZNS0_15gpu_kernel_implINS0_13AUnaryFunctorIhhbNS0_12_GLOBAL__N_116CompareEqFunctorIhEEEEEEvRNS_18TensorIteratorBaseERKT_EUlibE_EEviT1_
; %bb.0:
	s_load_b32 s2, s[0:1], 0x28
	s_bfe_u32 s3, ttmp6, 0x4000c
	s_clause 0x1
	s_load_b32 s14, s[0:1], 0x0
	s_load_b256 s[4:11], s[0:1], 0x8
	s_add_co_i32 s3, s3, 1
	s_and_b32 s12, ttmp6, 15
	s_wait_xcnt 0x0
	s_mul_i32 s0, ttmp9, s3
	s_getreg_b32 s13, hwreg(HW_REG_IB_STS2, 6, 4)
	s_add_co_i32 s12, s12, s0
	s_mov_b32 s1, 0
	s_wait_kmcnt 0x0
	s_bfe_u32 s3, s2, 0x80008
	s_cmp_eq_u32 s13, 0
	s_mov_b32 s13, 0
	s_cselect_b32 s0, ttmp9, s12
	s_delay_alu instid0(SALU_CYCLE_1) | instskip(SKIP_1) | instid1(VALU_DEP_1)
	v_lshl_or_b32 v10, s0, 9, v0
	s_mov_b32 s0, exec_lo
	v_or_b32_e32 v0, 0x180, v10
	s_delay_alu instid0(VALU_DEP_1)
	v_cmpx_le_i32_e64 s14, v0
	s_xor_b32 s12, exec_lo, s0
	s_cbranch_execz .LBB14_1015
; %bb.1:
	s_cmp_eq_u32 s10, 0
	s_mov_b32 s18, 0
	s_cselect_b32 s13, -1, 0
	s_mov_b32 s20, -1
	s_mov_b32 s16, 0
	s_mov_b32 s15, 0
	s_mov_b32 s17, exec_lo
	v_cmpx_gt_i32_e64 s14, v10
	s_cbranch_execz .LBB14_248
; %bb.2:
	v_mul_lo_u32 v0, v10, s9
	s_and_b32 s0, 0xffff, s3
	s_delay_alu instid0(SALU_CYCLE_1) | instskip(NEXT) | instid1(VALU_DEP_1)
	s_cmp_lt_i32 s0, 11
	v_ashrrev_i32_e32 v1, 31, v0
	s_delay_alu instid0(VALU_DEP_1)
	v_add_nc_u64_e32 v[0:1], s[6:7], v[0:1]
	s_cbranch_scc1 .LBB14_9
; %bb.3:
	s_cmp_gt_i32 s0, 25
	s_cbranch_scc0 .LBB14_18
; %bb.4:
	s_cmp_gt_i32 s0, 28
	s_cbranch_scc0 .LBB14_21
; %bb.5:
	s_cmp_gt_i32 s0, 43
	s_cbranch_scc0 .LBB14_23
; %bb.6:
	s_cmp_gt_i32 s0, 45
	s_cbranch_scc0 .LBB14_25
; %bb.7:
	s_cmp_eq_u32 s0, 46
	s_mov_b32 s19, 0
	s_cbranch_scc0 .LBB14_27
; %bb.8:
	global_load_b32 v2, v[0:1], off
	s_mov_b32 s15, -1
	s_wait_loadcnt 0x0
	v_lshlrev_b32_e32 v2, 16, v2
	s_delay_alu instid0(VALU_DEP_1) | instskip(NEXT) | instid1(VALU_DEP_1)
	v_trunc_f32_e32 v2, v2
	v_mul_f32_e64 v3, 0x2f800000, |v2|
	s_delay_alu instid0(VALU_DEP_1) | instskip(NEXT) | instid1(VALU_DEP_1)
	v_floor_f32_e32 v3, v3
	v_fma_f32 v3, 0xcf800000, v3, |v2|
	v_ashrrev_i32_e32 v2, 31, v2
	s_delay_alu instid0(VALU_DEP_2) | instskip(NEXT) | instid1(VALU_DEP_1)
	v_cvt_u32_f32_e32 v3, v3
	v_xor_b32_e32 v3, v3, v2
	s_delay_alu instid0(VALU_DEP_1)
	v_sub_nc_u32_e32 v2, v3, v2
	s_branch .LBB14_29
.LBB14_9:
                                        ; implicit-def: $vgpr2
	s_cbranch_execnz .LBB14_198
.LBB14_10:
	s_and_not1_b32 vcc_lo, exec_lo, s15
	s_cbranch_vccnz .LBB14_245
.LBB14_11:
	s_wait_xcnt 0x0
	v_mul_lo_u32 v0, v10, s8
	s_wait_loadcnt 0x0
	s_delay_alu instid0(VALU_DEP_2) | instskip(SKIP_2) | instid1(VALU_DEP_1)
	v_and_b32_e32 v2, 0xff, v2
	s_and_b32 s0, s11, 0xff
	s_and_b32 s19, s2, 0xff
	v_cmp_ne_u16_e32 vcc_lo, s0, v2
	s_xor_b32 s15, s13, vcc_lo
	s_delay_alu instid0(VALU_DEP_3) | instskip(SKIP_1) | instid1(VALU_DEP_1)
	v_ashrrev_i32_e32 v1, 31, v0
	s_cmp_lt_i32 s19, 11
	v_add_nc_u64_e32 v[0:1], s[4:5], v[0:1]
	s_cbranch_scc1 .LBB14_19
; %bb.12:
	s_and_b32 s20, 0xffff, s19
	s_delay_alu instid0(SALU_CYCLE_1)
	s_cmp_gt_i32 s20, 25
	s_cbranch_scc0 .LBB14_22
; %bb.13:
	s_cmp_gt_i32 s20, 28
	s_cbranch_scc0 .LBB14_24
; %bb.14:
	s_cmp_gt_i32 s20, 43
	s_cbranch_scc0 .LBB14_26
; %bb.15:
	s_cmp_gt_i32 s20, 45
	s_cbranch_scc0 .LBB14_32
; %bb.16:
	s_mov_b32 s22, 0
	s_mov_b32 s0, -1
	s_cmp_eq_u32 s20, 46
	s_mov_b32 s21, 0
	s_cbranch_scc0 .LBB14_33
; %bb.17:
	v_cndmask_b32_e64 v2, 0, 1.0, s15
	s_mov_b32 s21, -1
	s_mov_b32 s0, 0
	s_delay_alu instid0(VALU_DEP_1) | instskip(NEXT) | instid1(VALU_DEP_1)
	v_bfe_u32 v3, v2, 16, 1
	v_add3_u32 v2, v2, v3, 0x7fff
	s_delay_alu instid0(VALU_DEP_1)
	v_lshrrev_b32_e32 v2, 16, v2
	global_store_b32 v[0:1], v2, off
	s_branch .LBB14_33
.LBB14_18:
                                        ; implicit-def: $vgpr2
	s_cbranch_execnz .LBB14_165
	s_branch .LBB14_197
.LBB14_19:
	s_mov_b32 s0, 0
	s_mov_b32 s21, 0
	s_cbranch_execnz .LBB14_102
.LBB14_20:
	s_and_not1_b32 vcc_lo, exec_lo, s21
	s_cbranch_vccnz .LBB14_246
	s_branch .LBB14_140
.LBB14_21:
	s_mov_b32 s19, -1
                                        ; implicit-def: $vgpr2
	s_branch .LBB14_148
.LBB14_22:
	s_mov_b32 s22, -1
	s_mov_b32 s0, 0
	s_mov_b32 s21, 0
	s_branch .LBB14_60
.LBB14_23:
	s_mov_b32 s19, -1
                                        ; implicit-def: $vgpr2
	s_branch .LBB14_143
.LBB14_24:
	s_mov_b32 s22, -1
	s_mov_b32 s0, 0
	s_mov_b32 s21, 0
	s_branch .LBB14_43
.LBB14_25:
	s_mov_b32 s19, -1
	s_branch .LBB14_28
.LBB14_26:
	s_mov_b32 s22, -1
	s_mov_b32 s0, 0
	s_mov_b32 s21, 0
	s_branch .LBB14_39
.LBB14_27:
	s_mov_b32 s16, -1
.LBB14_28:
                                        ; implicit-def: $vgpr2
.LBB14_29:
	s_and_b32 vcc_lo, exec_lo, s19
	s_cbranch_vccz .LBB14_142
; %bb.30:
	s_cmp_eq_u32 s0, 44
	s_cbranch_scc0 .LBB14_141
; %bb.31:
	global_load_u8 v2, v[0:1], off
	s_mov_b32 s16, 0
	s_mov_b32 s15, -1
	s_wait_loadcnt 0x0
	v_lshlrev_b32_e32 v3, 23, v2
	v_cmp_ne_u32_e32 vcc_lo, 0, v2
	s_delay_alu instid0(VALU_DEP_2) | instskip(NEXT) | instid1(VALU_DEP_1)
	v_trunc_f32_e32 v3, v3
	v_mul_f32_e64 v4, 0x2f800000, |v3|
	s_delay_alu instid0(VALU_DEP_1) | instskip(NEXT) | instid1(VALU_DEP_1)
	v_floor_f32_e32 v4, v4
	v_fma_f32 v4, 0xcf800000, v4, |v3|
	v_ashrrev_i32_e32 v3, 31, v3
	s_delay_alu instid0(VALU_DEP_2) | instskip(NEXT) | instid1(VALU_DEP_1)
	v_cvt_u32_f32_e32 v4, v4
	v_xor_b32_e32 v4, v4, v3
	s_delay_alu instid0(VALU_DEP_1) | instskip(NEXT) | instid1(VALU_DEP_1)
	v_sub_nc_u32_e32 v3, v4, v3
	v_cndmask_b32_e32 v2, 0, v3, vcc_lo
	s_branch .LBB14_142
.LBB14_32:
	s_mov_b32 s22, -1
	s_mov_b32 s0, 0
	s_mov_b32 s21, 0
.LBB14_33:
	s_and_b32 vcc_lo, exec_lo, s22
	s_cbranch_vccz .LBB14_38
; %bb.34:
	s_cmp_eq_u32 s20, 44
	s_mov_b32 s0, -1
	s_cbranch_scc0 .LBB14_38
; %bb.35:
	v_cndmask_b32_e64 v4, 0, 1.0, s15
	s_mov_b32 s21, exec_lo
	s_wait_xcnt 0x0
	s_delay_alu instid0(VALU_DEP_1) | instskip(NEXT) | instid1(VALU_DEP_1)
	v_dual_mov_b32 v3, 0xff :: v_dual_lshrrev_b32 v2, 23, v4
	v_cmpx_ne_u32_e32 0xff, v2
; %bb.36:
	v_and_b32_e32 v3, 0x400000, v4
	v_and_or_b32 v4, 0x3fffff, v4, v2
	s_delay_alu instid0(VALU_DEP_2) | instskip(NEXT) | instid1(VALU_DEP_2)
	v_cmp_ne_u32_e32 vcc_lo, 0, v3
	v_cmp_ne_u32_e64 s0, 0, v4
	s_and_b32 s0, vcc_lo, s0
	s_delay_alu instid0(SALU_CYCLE_1) | instskip(NEXT) | instid1(VALU_DEP_1)
	v_cndmask_b32_e64 v3, 0, 1, s0
	v_add_nc_u32_e32 v3, v2, v3
; %bb.37:
	s_or_b32 exec_lo, exec_lo, s21
	s_mov_b32 s21, -1
	s_mov_b32 s0, 0
	global_store_b8 v[0:1], v3, off
.LBB14_38:
	s_mov_b32 s22, 0
.LBB14_39:
	s_delay_alu instid0(SALU_CYCLE_1)
	s_and_b32 vcc_lo, exec_lo, s22
	s_cbranch_vccz .LBB14_42
; %bb.40:
	s_cmp_eq_u32 s20, 29
	s_mov_b32 s0, -1
	s_cbranch_scc0 .LBB14_42
; %bb.41:
	s_mov_b32 s0, 0
	s_wait_xcnt 0x0
	v_cndmask_b32_e64 v2, 0, 1, s15
	v_mov_b32_e32 v3, s0
	s_mov_b32 s21, -1
	s_mov_b32 s22, 0
	global_store_b64 v[0:1], v[2:3], off
	s_branch .LBB14_43
.LBB14_42:
	s_mov_b32 s22, 0
.LBB14_43:
	s_delay_alu instid0(SALU_CYCLE_1)
	s_and_b32 vcc_lo, exec_lo, s22
	s_cbranch_vccz .LBB14_59
; %bb.44:
	s_cmp_lt_i32 s20, 27
	s_mov_b32 s21, -1
	s_cbranch_scc1 .LBB14_50
; %bb.45:
	s_cmp_gt_i32 s20, 27
	s_cbranch_scc0 .LBB14_47
; %bb.46:
	s_wait_xcnt 0x0
	v_cndmask_b32_e64 v2, 0, 1, s15
	s_mov_b32 s21, 0
	global_store_b32 v[0:1], v2, off
.LBB14_47:
	s_and_not1_b32 vcc_lo, exec_lo, s21
	s_cbranch_vccnz .LBB14_49
; %bb.48:
	s_wait_xcnt 0x0
	v_cndmask_b32_e64 v2, 0, 1, s15
	global_store_b16 v[0:1], v2, off
.LBB14_49:
	s_mov_b32 s21, 0
.LBB14_50:
	s_delay_alu instid0(SALU_CYCLE_1)
	s_and_not1_b32 vcc_lo, exec_lo, s21
	s_cbranch_vccnz .LBB14_58
; %bb.51:
	s_wait_xcnt 0x0
	v_cndmask_b32_e64 v3, 0, 1.0, s15
	v_mov_b32_e32 v4, 0x80
	s_mov_b32 s21, exec_lo
	s_delay_alu instid0(VALU_DEP_2)
	v_cmpx_gt_u32_e32 0x43800000, v3
	s_cbranch_execz .LBB14_57
; %bb.52:
	s_mov_b32 s22, 0
	s_mov_b32 s23, exec_lo
                                        ; implicit-def: $vgpr2
	v_cmpx_lt_u32_e32 0x3bffffff, v3
	s_xor_b32 s23, exec_lo, s23
	s_cbranch_execz .LBB14_275
; %bb.53:
	v_bfe_u32 v2, v3, 20, 1
	s_mov_b32 s22, exec_lo
	s_delay_alu instid0(VALU_DEP_1) | instskip(NEXT) | instid1(VALU_DEP_1)
	v_add3_u32 v2, v3, v2, 0x487ffff
                                        ; implicit-def: $vgpr3
	v_lshrrev_b32_e32 v2, 20, v2
	s_and_not1_saveexec_b32 s23, s23
	s_cbranch_execnz .LBB14_276
.LBB14_54:
	s_or_b32 exec_lo, exec_lo, s23
	v_mov_b32_e32 v4, 0
	s_and_saveexec_b32 s23, s22
.LBB14_55:
	v_mov_b32_e32 v4, v2
.LBB14_56:
	s_or_b32 exec_lo, exec_lo, s23
.LBB14_57:
	s_delay_alu instid0(SALU_CYCLE_1)
	s_or_b32 exec_lo, exec_lo, s21
	global_store_b8 v[0:1], v4, off
.LBB14_58:
	s_mov_b32 s21, -1
.LBB14_59:
	s_mov_b32 s22, 0
.LBB14_60:
	s_delay_alu instid0(SALU_CYCLE_1)
	s_and_b32 vcc_lo, exec_lo, s22
	s_cbranch_vccz .LBB14_101
; %bb.61:
	s_cmp_gt_i32 s20, 22
	s_mov_b32 s22, -1
	s_cbranch_scc0 .LBB14_93
; %bb.62:
	s_cmp_lt_i32 s20, 24
	s_mov_b32 s21, -1
	s_cbranch_scc1 .LBB14_82
; %bb.63:
	s_cmp_gt_i32 s20, 24
	s_cbranch_scc0 .LBB14_71
; %bb.64:
	s_wait_xcnt 0x0
	v_cndmask_b32_e64 v3, 0, 1.0, s15
	v_mov_b32_e32 v4, 0x80
	s_mov_b32 s21, exec_lo
	s_delay_alu instid0(VALU_DEP_2)
	v_cmpx_gt_u32_e32 0x47800000, v3
	s_cbranch_execz .LBB14_70
; %bb.65:
	s_mov_b32 s22, 0
	s_mov_b32 s23, exec_lo
                                        ; implicit-def: $vgpr2
	v_cmpx_lt_u32_e32 0x37ffffff, v3
	s_xor_b32 s23, exec_lo, s23
	s_cbranch_execz .LBB14_279
; %bb.66:
	v_bfe_u32 v2, v3, 21, 1
	s_mov_b32 s22, exec_lo
	s_delay_alu instid0(VALU_DEP_1) | instskip(NEXT) | instid1(VALU_DEP_1)
	v_add3_u32 v2, v3, v2, 0x88fffff
                                        ; implicit-def: $vgpr3
	v_lshrrev_b32_e32 v2, 21, v2
	s_and_not1_saveexec_b32 s23, s23
	s_cbranch_execnz .LBB14_280
.LBB14_67:
	s_or_b32 exec_lo, exec_lo, s23
	v_mov_b32_e32 v4, 0
	s_and_saveexec_b32 s23, s22
.LBB14_68:
	v_mov_b32_e32 v4, v2
.LBB14_69:
	s_or_b32 exec_lo, exec_lo, s23
.LBB14_70:
	s_delay_alu instid0(SALU_CYCLE_1)
	s_or_b32 exec_lo, exec_lo, s21
	s_mov_b32 s21, 0
	global_store_b8 v[0:1], v4, off
.LBB14_71:
	s_and_b32 vcc_lo, exec_lo, s21
	s_cbranch_vccz .LBB14_81
; %bb.72:
	s_wait_xcnt 0x0
	v_cndmask_b32_e64 v3, 0, 1.0, s15
	s_mov_b32 s21, exec_lo
                                        ; implicit-def: $vgpr2
	s_delay_alu instid0(VALU_DEP_1)
	v_cmpx_gt_u32_e32 0x43f00000, v3
	s_xor_b32 s21, exec_lo, s21
	s_cbranch_execz .LBB14_78
; %bb.73:
	s_mov_b32 s22, exec_lo
                                        ; implicit-def: $vgpr2
	v_cmpx_lt_u32_e32 0x3c7fffff, v3
	s_xor_b32 s22, exec_lo, s22
; %bb.74:
	v_bfe_u32 v2, v3, 20, 1
	s_delay_alu instid0(VALU_DEP_1) | instskip(NEXT) | instid1(VALU_DEP_1)
	v_add3_u32 v2, v3, v2, 0x407ffff
	v_and_b32_e32 v3, 0xff00000, v2
	v_lshrrev_b32_e32 v2, 20, v2
	s_delay_alu instid0(VALU_DEP_2) | instskip(NEXT) | instid1(VALU_DEP_2)
	v_cmp_ne_u32_e32 vcc_lo, 0x7f00000, v3
                                        ; implicit-def: $vgpr3
	v_cndmask_b32_e32 v2, 0x7e, v2, vcc_lo
; %bb.75:
	s_and_not1_saveexec_b32 s22, s22
; %bb.76:
	v_add_f32_e32 v2, 0x46800000, v3
; %bb.77:
	s_or_b32 exec_lo, exec_lo, s22
                                        ; implicit-def: $vgpr3
.LBB14_78:
	s_and_not1_saveexec_b32 s21, s21
; %bb.79:
	v_mov_b32_e32 v2, 0x7f
	v_cmp_lt_u32_e32 vcc_lo, 0x7f800000, v3
	s_delay_alu instid0(VALU_DEP_2)
	v_cndmask_b32_e32 v2, 0x7e, v2, vcc_lo
; %bb.80:
	s_or_b32 exec_lo, exec_lo, s21
	global_store_b8 v[0:1], v2, off
.LBB14_81:
	s_mov_b32 s21, 0
.LBB14_82:
	s_delay_alu instid0(SALU_CYCLE_1)
	s_and_not1_b32 vcc_lo, exec_lo, s21
	s_cbranch_vccnz .LBB14_92
; %bb.83:
	s_wait_xcnt 0x0
	v_cndmask_b32_e64 v3, 0, 1.0, s15
	s_mov_b32 s21, exec_lo
                                        ; implicit-def: $vgpr2
	s_delay_alu instid0(VALU_DEP_1)
	v_cmpx_gt_u32_e32 0x47800000, v3
	s_xor_b32 s21, exec_lo, s21
	s_cbranch_execz .LBB14_89
; %bb.84:
	s_mov_b32 s22, exec_lo
                                        ; implicit-def: $vgpr2
	v_cmpx_lt_u32_e32 0x387fffff, v3
	s_xor_b32 s22, exec_lo, s22
; %bb.85:
	v_bfe_u32 v2, v3, 21, 1
	s_delay_alu instid0(VALU_DEP_1) | instskip(NEXT) | instid1(VALU_DEP_1)
	v_add3_u32 v2, v3, v2, 0x80fffff
                                        ; implicit-def: $vgpr3
	v_lshrrev_b32_e32 v2, 21, v2
; %bb.86:
	s_and_not1_saveexec_b32 s22, s22
; %bb.87:
	v_add_f32_e32 v2, 0x43000000, v3
; %bb.88:
	s_or_b32 exec_lo, exec_lo, s22
                                        ; implicit-def: $vgpr3
.LBB14_89:
	s_and_not1_saveexec_b32 s21, s21
; %bb.90:
	v_mov_b32_e32 v2, 0x7f
	v_cmp_lt_u32_e32 vcc_lo, 0x7f800000, v3
	s_delay_alu instid0(VALU_DEP_2)
	v_cndmask_b32_e32 v2, 0x7c, v2, vcc_lo
; %bb.91:
	s_or_b32 exec_lo, exec_lo, s21
	global_store_b8 v[0:1], v2, off
.LBB14_92:
	s_mov_b32 s22, 0
	s_mov_b32 s21, -1
.LBB14_93:
	s_and_not1_b32 vcc_lo, exec_lo, s22
	s_cbranch_vccnz .LBB14_101
; %bb.94:
	s_cmp_gt_i32 s20, 14
	s_mov_b32 s22, -1
	s_cbranch_scc0 .LBB14_98
; %bb.95:
	s_cmp_eq_u32 s20, 15
	s_mov_b32 s0, -1
	s_cbranch_scc0 .LBB14_97
; %bb.96:
	s_wait_xcnt 0x0
	v_cndmask_b32_e64 v2, 0, 1.0, s15
	s_mov_b32 s21, -1
	s_mov_b32 s0, 0
	s_delay_alu instid0(VALU_DEP_1) | instskip(NEXT) | instid1(VALU_DEP_1)
	v_bfe_u32 v3, v2, 16, 1
	v_add3_u32 v2, v2, v3, 0x7fff
	global_store_d16_hi_b16 v[0:1], v2, off
.LBB14_97:
	s_mov_b32 s22, 0
.LBB14_98:
	s_delay_alu instid0(SALU_CYCLE_1)
	s_and_b32 vcc_lo, exec_lo, s22
	s_cbranch_vccz .LBB14_101
; %bb.99:
	s_cmp_eq_u32 s20, 11
	s_mov_b32 s0, -1
	s_cbranch_scc0 .LBB14_101
; %bb.100:
	s_wait_xcnt 0x0
	v_cndmask_b32_e64 v2, 0, 1, s15
	s_mov_b32 s21, -1
	s_mov_b32 s0, 0
	global_store_b8 v[0:1], v2, off
.LBB14_101:
	s_branch .LBB14_20
.LBB14_102:
	s_and_b32 s19, 0xffff, s19
	s_mov_b32 s20, -1
	s_cmp_lt_i32 s19, 5
	s_cbranch_scc1 .LBB14_123
; %bb.103:
	s_cmp_lt_i32 s19, 8
	s_cbranch_scc1 .LBB14_113
; %bb.104:
	;; [unrolled: 3-line block ×3, first 2 shown]
	s_cmp_gt_i32 s19, 9
	s_cbranch_scc0 .LBB14_107
; %bb.106:
	s_wait_xcnt 0x0
	v_cndmask_b32_e64 v2, 0, 1, s15
	v_mov_b32_e32 v4, 0
	s_mov_b32 s20, 0
	s_delay_alu instid0(VALU_DEP_2) | instskip(NEXT) | instid1(VALU_DEP_2)
	v_cvt_f64_u32_e32 v[2:3], v2
	v_mov_b32_e32 v5, v4
	global_store_b128 v[0:1], v[2:5], off
.LBB14_107:
	s_and_not1_b32 vcc_lo, exec_lo, s20
	s_cbranch_vccnz .LBB14_109
; %bb.108:
	s_wait_xcnt 0x0
	v_cndmask_b32_e64 v2, 0, 1.0, s15
	v_mov_b32_e32 v3, 0
	global_store_b64 v[0:1], v[2:3], off
.LBB14_109:
	s_mov_b32 s20, 0
.LBB14_110:
	s_delay_alu instid0(SALU_CYCLE_1)
	s_and_not1_b32 vcc_lo, exec_lo, s20
	s_cbranch_vccnz .LBB14_112
; %bb.111:
	s_wait_xcnt 0x0
	v_cndmask_b32_e64 v2, 0, 1.0, s15
	s_delay_alu instid0(VALU_DEP_1) | instskip(NEXT) | instid1(VALU_DEP_1)
	v_cvt_f16_f32_e32 v2, v2
	v_and_b32_e32 v2, 0xffff, v2
	global_store_b32 v[0:1], v2, off
.LBB14_112:
	s_mov_b32 s20, 0
.LBB14_113:
	s_delay_alu instid0(SALU_CYCLE_1)
	s_and_not1_b32 vcc_lo, exec_lo, s20
	s_cbranch_vccnz .LBB14_122
; %bb.114:
	s_cmp_lt_i32 s19, 6
	s_mov_b32 s20, -1
	s_cbranch_scc1 .LBB14_120
; %bb.115:
	s_cmp_gt_i32 s19, 6
	s_cbranch_scc0 .LBB14_117
; %bb.116:
	s_wait_xcnt 0x0
	v_cndmask_b32_e64 v2, 0, 1, s15
	s_mov_b32 s20, 0
	s_delay_alu instid0(VALU_DEP_1)
	v_cvt_f64_u32_e32 v[2:3], v2
	global_store_b64 v[0:1], v[2:3], off
.LBB14_117:
	s_and_not1_b32 vcc_lo, exec_lo, s20
	s_cbranch_vccnz .LBB14_119
; %bb.118:
	s_wait_xcnt 0x0
	v_cndmask_b32_e64 v2, 0, 1.0, s15
	global_store_b32 v[0:1], v2, off
.LBB14_119:
	s_mov_b32 s20, 0
.LBB14_120:
	s_delay_alu instid0(SALU_CYCLE_1)
	s_and_not1_b32 vcc_lo, exec_lo, s20
	s_cbranch_vccnz .LBB14_122
; %bb.121:
	s_wait_xcnt 0x0
	v_cndmask_b32_e64 v2, 0, 1.0, s15
	s_delay_alu instid0(VALU_DEP_1)
	v_cvt_f16_f32_e32 v2, v2
	global_store_b16 v[0:1], v2, off
.LBB14_122:
	s_mov_b32 s20, 0
.LBB14_123:
	s_delay_alu instid0(SALU_CYCLE_1)
	s_and_not1_b32 vcc_lo, exec_lo, s20
	s_cbranch_vccnz .LBB14_139
; %bb.124:
	s_cmp_lt_i32 s19, 2
	s_mov_b32 s20, -1
	s_cbranch_scc1 .LBB14_134
; %bb.125:
	s_cmp_lt_i32 s19, 3
	s_cbranch_scc1 .LBB14_131
; %bb.126:
	s_cmp_gt_i32 s19, 3
	s_cbranch_scc0 .LBB14_128
; %bb.127:
	s_mov_b32 s20, 0
	s_wait_xcnt 0x0
	v_cndmask_b32_e64 v2, 0, 1, s15
	v_mov_b32_e32 v3, s20
	global_store_b64 v[0:1], v[2:3], off
.LBB14_128:
	s_and_not1_b32 vcc_lo, exec_lo, s20
	s_cbranch_vccnz .LBB14_130
; %bb.129:
	s_wait_xcnt 0x0
	v_cndmask_b32_e64 v2, 0, 1, s15
	global_store_b32 v[0:1], v2, off
.LBB14_130:
	s_mov_b32 s20, 0
.LBB14_131:
	s_delay_alu instid0(SALU_CYCLE_1)
	s_and_not1_b32 vcc_lo, exec_lo, s20
	s_cbranch_vccnz .LBB14_133
; %bb.132:
	s_wait_xcnt 0x0
	v_cndmask_b32_e64 v2, 0, 1, s15
	global_store_b16 v[0:1], v2, off
.LBB14_133:
	s_mov_b32 s20, 0
.LBB14_134:
	s_delay_alu instid0(SALU_CYCLE_1)
	s_and_not1_b32 vcc_lo, exec_lo, s20
	s_cbranch_vccnz .LBB14_139
; %bb.135:
	s_wait_xcnt 0x0
	v_cndmask_b32_e64 v2, 0, 1, s15
	s_cmp_gt_i32 s19, 0
	s_mov_b32 s15, -1
	s_cbranch_scc0 .LBB14_137
; %bb.136:
	s_mov_b32 s15, 0
	global_store_b8 v[0:1], v2, off
.LBB14_137:
	s_and_not1_b32 vcc_lo, exec_lo, s15
	s_cbranch_vccnz .LBB14_139
; %bb.138:
	global_store_b8 v[0:1], v2, off
.LBB14_139:
.LBB14_140:
	v_add_nc_u32_e32 v10, 0x80, v10
	s_mov_b32 s19, -1
	s_branch .LBB14_247
.LBB14_141:
	s_mov_b32 s16, -1
                                        ; implicit-def: $vgpr2
.LBB14_142:
	s_mov_b32 s19, 0
.LBB14_143:
	s_delay_alu instid0(SALU_CYCLE_1)
	s_and_b32 vcc_lo, exec_lo, s19
	s_cbranch_vccz .LBB14_147
; %bb.144:
	s_cmp_eq_u32 s0, 29
	s_cbranch_scc0 .LBB14_146
; %bb.145:
	global_load_b64 v[2:3], v[0:1], off
	s_mov_b32 s15, -1
	s_mov_b32 s16, 0
	s_branch .LBB14_147
.LBB14_146:
	s_mov_b32 s16, -1
                                        ; implicit-def: $vgpr2
.LBB14_147:
	s_mov_b32 s19, 0
.LBB14_148:
	s_delay_alu instid0(SALU_CYCLE_1)
	s_and_b32 vcc_lo, exec_lo, s19
	s_cbranch_vccz .LBB14_164
; %bb.149:
	s_cmp_lt_i32 s0, 27
	s_cbranch_scc1 .LBB14_152
; %bb.150:
	s_cmp_gt_i32 s0, 27
	s_cbranch_scc0 .LBB14_153
; %bb.151:
	s_wait_loadcnt 0x0
	global_load_b32 v2, v[0:1], off
	s_mov_b32 s15, 0
	s_branch .LBB14_154
.LBB14_152:
	s_mov_b32 s15, -1
                                        ; implicit-def: $vgpr2
	s_branch .LBB14_157
.LBB14_153:
	s_mov_b32 s15, -1
                                        ; implicit-def: $vgpr2
.LBB14_154:
	s_delay_alu instid0(SALU_CYCLE_1)
	s_and_not1_b32 vcc_lo, exec_lo, s15
	s_cbranch_vccnz .LBB14_156
; %bb.155:
	s_wait_loadcnt 0x0
	global_load_u16 v2, v[0:1], off
.LBB14_156:
	s_mov_b32 s15, 0
.LBB14_157:
	s_delay_alu instid0(SALU_CYCLE_1)
	s_and_not1_b32 vcc_lo, exec_lo, s15
	s_cbranch_vccnz .LBB14_163
; %bb.158:
	s_wait_loadcnt 0x0
	global_load_u8 v3, v[0:1], off
	s_mov_b32 s19, 0
	s_mov_b32 s15, exec_lo
	s_wait_loadcnt 0x0
	v_cmpx_lt_i16_e32 0x7f, v3
	s_xor_b32 s15, exec_lo, s15
	s_cbranch_execz .LBB14_174
; %bb.159:
	v_cmp_ne_u16_e32 vcc_lo, 0x80, v3
	s_and_b32 s19, vcc_lo, exec_lo
	s_and_not1_saveexec_b32 s15, s15
	s_cbranch_execnz .LBB14_175
.LBB14_160:
	s_or_b32 exec_lo, exec_lo, s15
	v_mov_b32_e32 v2, 0
	s_and_saveexec_b32 s15, s19
	s_cbranch_execz .LBB14_162
.LBB14_161:
	v_and_b32_e32 v2, 0xffff, v3
	s_delay_alu instid0(VALU_DEP_1) | instskip(SKIP_1) | instid1(VALU_DEP_2)
	v_and_b32_e32 v4, 7, v2
	v_bfe_u32 v7, v2, 3, 4
	v_clz_i32_u32_e32 v5, v4
	s_delay_alu instid0(VALU_DEP_2) | instskip(NEXT) | instid1(VALU_DEP_2)
	v_cmp_eq_u32_e32 vcc_lo, 0, v7
	v_min_u32_e32 v5, 32, v5
	s_delay_alu instid0(VALU_DEP_1) | instskip(NEXT) | instid1(VALU_DEP_1)
	v_subrev_nc_u32_e32 v6, 28, v5
	v_dual_lshlrev_b32 v2, v6, v2 :: v_dual_sub_nc_u32 v5, 29, v5
	s_delay_alu instid0(VALU_DEP_1) | instskip(NEXT) | instid1(VALU_DEP_1)
	v_dual_lshlrev_b32 v3, 24, v3 :: v_dual_bitop2_b32 v2, 7, v2 bitop3:0x40
	v_dual_cndmask_b32 v5, v7, v5 :: v_dual_cndmask_b32 v2, v4, v2
	s_delay_alu instid0(VALU_DEP_2) | instskip(NEXT) | instid1(VALU_DEP_2)
	v_and_b32_e32 v3, 0x80000000, v3
	v_lshl_add_u32 v4, v5, 23, 0x3b800000
	s_delay_alu instid0(VALU_DEP_3) | instskip(NEXT) | instid1(VALU_DEP_1)
	v_lshlrev_b32_e32 v2, 20, v2
	v_or3_b32 v2, v3, v4, v2
	s_delay_alu instid0(VALU_DEP_1) | instskip(NEXT) | instid1(VALU_DEP_1)
	v_trunc_f32_e32 v2, v2
	v_mul_f32_e64 v3, 0x2f800000, |v2|
	s_delay_alu instid0(VALU_DEP_1) | instskip(NEXT) | instid1(VALU_DEP_1)
	v_floor_f32_e32 v3, v3
	v_fma_f32 v3, 0xcf800000, v3, |v2|
	v_ashrrev_i32_e32 v2, 31, v2
	s_delay_alu instid0(VALU_DEP_2) | instskip(NEXT) | instid1(VALU_DEP_1)
	v_cvt_u32_f32_e32 v3, v3
	v_xor_b32_e32 v3, v3, v2
	s_delay_alu instid0(VALU_DEP_1)
	v_sub_nc_u32_e32 v2, v3, v2
.LBB14_162:
	s_or_b32 exec_lo, exec_lo, s15
.LBB14_163:
	s_mov_b32 s15, -1
.LBB14_164:
	s_branch .LBB14_197
.LBB14_165:
	s_cmp_gt_i32 s0, 22
	s_cbranch_scc0 .LBB14_173
; %bb.166:
	s_cmp_lt_i32 s0, 24
	s_cbranch_scc1 .LBB14_176
; %bb.167:
	s_cmp_gt_i32 s0, 24
	s_cbranch_scc0 .LBB14_177
; %bb.168:
	s_wait_loadcnt 0x0
	global_load_u8 v3, v[0:1], off
	s_mov_b32 s19, 0
	s_mov_b32 s15, exec_lo
	s_wait_loadcnt 0x0
	v_cmpx_lt_i16_e32 0x7f, v3
	s_xor_b32 s15, exec_lo, s15
	s_cbranch_execz .LBB14_189
; %bb.169:
	v_cmp_ne_u16_e32 vcc_lo, 0x80, v3
	s_and_b32 s19, vcc_lo, exec_lo
	s_and_not1_saveexec_b32 s15, s15
	s_cbranch_execnz .LBB14_190
.LBB14_170:
	s_or_b32 exec_lo, exec_lo, s15
	v_mov_b32_e32 v2, 0
	s_and_saveexec_b32 s15, s19
	s_cbranch_execz .LBB14_172
.LBB14_171:
	v_and_b32_e32 v2, 0xffff, v3
	s_delay_alu instid0(VALU_DEP_1) | instskip(SKIP_1) | instid1(VALU_DEP_2)
	v_and_b32_e32 v4, 3, v2
	v_bfe_u32 v7, v2, 2, 5
	v_clz_i32_u32_e32 v5, v4
	s_delay_alu instid0(VALU_DEP_2) | instskip(NEXT) | instid1(VALU_DEP_2)
	v_cmp_eq_u32_e32 vcc_lo, 0, v7
	v_min_u32_e32 v5, 32, v5
	s_delay_alu instid0(VALU_DEP_1) | instskip(NEXT) | instid1(VALU_DEP_1)
	v_subrev_nc_u32_e32 v6, 29, v5
	v_dual_lshlrev_b32 v2, v6, v2 :: v_dual_sub_nc_u32 v5, 30, v5
	s_delay_alu instid0(VALU_DEP_1) | instskip(NEXT) | instid1(VALU_DEP_1)
	v_dual_lshlrev_b32 v3, 24, v3 :: v_dual_bitop2_b32 v2, 3, v2 bitop3:0x40
	v_dual_cndmask_b32 v5, v7, v5 :: v_dual_cndmask_b32 v2, v4, v2
	s_delay_alu instid0(VALU_DEP_2) | instskip(NEXT) | instid1(VALU_DEP_2)
	v_and_b32_e32 v3, 0x80000000, v3
	v_lshl_add_u32 v4, v5, 23, 0x37800000
	s_delay_alu instid0(VALU_DEP_3) | instskip(NEXT) | instid1(VALU_DEP_1)
	v_lshlrev_b32_e32 v2, 21, v2
	v_or3_b32 v2, v3, v4, v2
	s_delay_alu instid0(VALU_DEP_1) | instskip(NEXT) | instid1(VALU_DEP_1)
	v_trunc_f32_e32 v2, v2
	v_mul_f32_e64 v3, 0x2f800000, |v2|
	s_delay_alu instid0(VALU_DEP_1) | instskip(NEXT) | instid1(VALU_DEP_1)
	v_floor_f32_e32 v3, v3
	v_fma_f32 v3, 0xcf800000, v3, |v2|
	v_ashrrev_i32_e32 v2, 31, v2
	s_delay_alu instid0(VALU_DEP_2) | instskip(NEXT) | instid1(VALU_DEP_1)
	v_cvt_u32_f32_e32 v3, v3
	v_xor_b32_e32 v3, v3, v2
	s_delay_alu instid0(VALU_DEP_1)
	v_sub_nc_u32_e32 v2, v3, v2
.LBB14_172:
	s_or_b32 exec_lo, exec_lo, s15
	s_mov_b32 s15, 0
	s_branch .LBB14_178
.LBB14_173:
	s_mov_b32 s19, -1
                                        ; implicit-def: $vgpr2
	s_branch .LBB14_184
.LBB14_174:
	s_and_not1_saveexec_b32 s15, s15
	s_cbranch_execz .LBB14_160
.LBB14_175:
	v_cmp_ne_u16_e32 vcc_lo, 0, v3
	s_and_not1_b32 s19, s19, exec_lo
	s_and_b32 s20, vcc_lo, exec_lo
	s_delay_alu instid0(SALU_CYCLE_1)
	s_or_b32 s19, s19, s20
	s_or_b32 exec_lo, exec_lo, s15
	v_mov_b32_e32 v2, 0
	s_and_saveexec_b32 s15, s19
	s_cbranch_execnz .LBB14_161
	s_branch .LBB14_162
.LBB14_176:
	s_mov_b32 s15, -1
                                        ; implicit-def: $vgpr2
	s_branch .LBB14_181
.LBB14_177:
	s_mov_b32 s15, -1
                                        ; implicit-def: $vgpr2
.LBB14_178:
	s_delay_alu instid0(SALU_CYCLE_1)
	s_and_b32 vcc_lo, exec_lo, s15
	s_cbranch_vccz .LBB14_180
; %bb.179:
	s_wait_loadcnt 0x0
	global_load_u8 v2, v[0:1], off
	s_wait_loadcnt 0x0
	v_lshlrev_b32_e32 v2, 24, v2
	s_delay_alu instid0(VALU_DEP_1) | instskip(NEXT) | instid1(VALU_DEP_1)
	v_and_b32_e32 v3, 0x7f000000, v2
	v_clz_i32_u32_e32 v4, v3
	v_cmp_ne_u32_e32 vcc_lo, 0, v3
	v_add_nc_u32_e32 v6, 0x1000000, v3
	s_delay_alu instid0(VALU_DEP_3) | instskip(NEXT) | instid1(VALU_DEP_1)
	v_min_u32_e32 v4, 32, v4
	v_sub_nc_u32_e64 v4, v4, 4 clamp
	s_delay_alu instid0(VALU_DEP_1) | instskip(NEXT) | instid1(VALU_DEP_1)
	v_dual_lshlrev_b32 v5, v4, v3 :: v_dual_lshlrev_b32 v4, 23, v4
	v_lshrrev_b32_e32 v5, 4, v5
	s_delay_alu instid0(VALU_DEP_1) | instskip(NEXT) | instid1(VALU_DEP_1)
	v_dual_sub_nc_u32 v4, v5, v4 :: v_dual_ashrrev_i32 v5, 8, v6
	v_add_nc_u32_e32 v4, 0x3c000000, v4
	s_delay_alu instid0(VALU_DEP_1) | instskip(NEXT) | instid1(VALU_DEP_1)
	v_and_or_b32 v4, 0x7f800000, v5, v4
	v_cndmask_b32_e32 v3, 0, v4, vcc_lo
	s_delay_alu instid0(VALU_DEP_1) | instskip(NEXT) | instid1(VALU_DEP_1)
	v_and_or_b32 v2, 0x80000000, v2, v3
	v_trunc_f32_e32 v2, v2
	s_delay_alu instid0(VALU_DEP_1) | instskip(NEXT) | instid1(VALU_DEP_1)
	v_mul_f32_e64 v3, 0x2f800000, |v2|
	v_floor_f32_e32 v3, v3
	s_delay_alu instid0(VALU_DEP_1) | instskip(SKIP_1) | instid1(VALU_DEP_2)
	v_fma_f32 v3, 0xcf800000, v3, |v2|
	v_ashrrev_i32_e32 v2, 31, v2
	v_cvt_u32_f32_e32 v3, v3
	s_delay_alu instid0(VALU_DEP_1) | instskip(NEXT) | instid1(VALU_DEP_1)
	v_xor_b32_e32 v3, v3, v2
	v_sub_nc_u32_e32 v2, v3, v2
.LBB14_180:
	s_mov_b32 s15, 0
.LBB14_181:
	s_delay_alu instid0(SALU_CYCLE_1)
	s_and_not1_b32 vcc_lo, exec_lo, s15
	s_cbranch_vccnz .LBB14_183
; %bb.182:
	s_wait_loadcnt 0x0
	global_load_u8 v2, v[0:1], off
	s_wait_loadcnt 0x0
	v_lshlrev_b32_e32 v3, 25, v2
	v_lshlrev_b16 v2, 8, v2
	s_delay_alu instid0(VALU_DEP_1) | instskip(SKIP_1) | instid1(VALU_DEP_2)
	v_and_or_b32 v5, 0x7f00, v2, 0.5
	v_bfe_i32 v2, v2, 0, 16
	v_dual_add_f32 v5, -0.5, v5 :: v_dual_lshrrev_b32 v4, 4, v3
	v_cmp_gt_u32_e32 vcc_lo, 0x8000000, v3
	s_delay_alu instid0(VALU_DEP_2) | instskip(NEXT) | instid1(VALU_DEP_1)
	v_or_b32_e32 v4, 0x70000000, v4
	v_mul_f32_e32 v4, 0x7800000, v4
	s_delay_alu instid0(VALU_DEP_1) | instskip(NEXT) | instid1(VALU_DEP_1)
	v_cndmask_b32_e32 v3, v4, v5, vcc_lo
	v_and_or_b32 v2, 0x80000000, v2, v3
	s_delay_alu instid0(VALU_DEP_1) | instskip(NEXT) | instid1(VALU_DEP_1)
	v_trunc_f32_e32 v2, v2
	v_mul_f32_e64 v3, 0x2f800000, |v2|
	s_delay_alu instid0(VALU_DEP_1) | instskip(NEXT) | instid1(VALU_DEP_1)
	v_floor_f32_e32 v3, v3
	v_fma_f32 v3, 0xcf800000, v3, |v2|
	v_ashrrev_i32_e32 v2, 31, v2
	s_delay_alu instid0(VALU_DEP_2) | instskip(NEXT) | instid1(VALU_DEP_1)
	v_cvt_u32_f32_e32 v3, v3
	v_xor_b32_e32 v3, v3, v2
	s_delay_alu instid0(VALU_DEP_1)
	v_sub_nc_u32_e32 v2, v3, v2
.LBB14_183:
	s_mov_b32 s19, 0
	s_mov_b32 s15, -1
.LBB14_184:
	s_and_not1_b32 vcc_lo, exec_lo, s19
	s_cbranch_vccnz .LBB14_197
; %bb.185:
	s_cmp_gt_i32 s0, 14
	s_cbranch_scc0 .LBB14_188
; %bb.186:
	s_cmp_eq_u32 s0, 15
	s_cbranch_scc0 .LBB14_191
; %bb.187:
	s_wait_loadcnt 0x0
	global_load_u16 v2, v[0:1], off
	s_mov_b32 s15, -1
	s_mov_b32 s16, 0
	s_wait_loadcnt 0x0
	v_lshlrev_b32_e32 v2, 16, v2
	s_delay_alu instid0(VALU_DEP_1) | instskip(NEXT) | instid1(VALU_DEP_1)
	v_trunc_f32_e32 v2, v2
	v_mul_f32_e64 v3, 0x2f800000, |v2|
	s_delay_alu instid0(VALU_DEP_1) | instskip(NEXT) | instid1(VALU_DEP_1)
	v_floor_f32_e32 v3, v3
	v_fma_f32 v3, 0xcf800000, v3, |v2|
	v_ashrrev_i32_e32 v2, 31, v2
	s_delay_alu instid0(VALU_DEP_2) | instskip(NEXT) | instid1(VALU_DEP_1)
	v_cvt_u32_f32_e32 v3, v3
	v_xor_b32_e32 v3, v3, v2
	s_delay_alu instid0(VALU_DEP_1)
	v_sub_nc_u32_e32 v2, v3, v2
	s_branch .LBB14_192
.LBB14_188:
	s_mov_b32 s19, -1
                                        ; implicit-def: $vgpr2
	s_branch .LBB14_193
.LBB14_189:
	s_and_not1_saveexec_b32 s15, s15
	s_cbranch_execz .LBB14_170
.LBB14_190:
	v_cmp_ne_u16_e32 vcc_lo, 0, v3
	s_and_not1_b32 s19, s19, exec_lo
	s_and_b32 s20, vcc_lo, exec_lo
	s_delay_alu instid0(SALU_CYCLE_1)
	s_or_b32 s19, s19, s20
	s_or_b32 exec_lo, exec_lo, s15
	v_mov_b32_e32 v2, 0
	s_and_saveexec_b32 s15, s19
	s_cbranch_execnz .LBB14_171
	s_branch .LBB14_172
.LBB14_191:
	s_mov_b32 s16, -1
                                        ; implicit-def: $vgpr2
.LBB14_192:
	s_mov_b32 s19, 0
.LBB14_193:
	s_delay_alu instid0(SALU_CYCLE_1)
	s_and_b32 vcc_lo, exec_lo, s19
	s_cbranch_vccz .LBB14_197
; %bb.194:
	s_cmp_eq_u32 s0, 11
	s_cbranch_scc0 .LBB14_196
; %bb.195:
	s_wait_loadcnt 0x0
	global_load_u8 v2, v[0:1], off
	s_mov_b32 s16, 0
	s_mov_b32 s15, -1
	s_wait_loadcnt 0x0
	v_cmp_ne_u16_e32 vcc_lo, 0, v2
	v_cndmask_b32_e64 v2, 0, 1, vcc_lo
	s_branch .LBB14_197
.LBB14_196:
	s_mov_b32 s16, -1
                                        ; implicit-def: $vgpr2
.LBB14_197:
	s_branch .LBB14_10
.LBB14_198:
	s_cmp_lt_i32 s0, 5
	s_cbranch_scc1 .LBB14_203
; %bb.199:
	s_cmp_lt_i32 s0, 8
	s_cbranch_scc1 .LBB14_204
; %bb.200:
	;; [unrolled: 3-line block ×3, first 2 shown]
	s_cmp_gt_i32 s0, 9
	s_cbranch_scc0 .LBB14_206
; %bb.202:
	s_wait_loadcnt 0x0
	global_load_b64 v[2:3], v[0:1], off
	s_mov_b32 s15, 0
	s_wait_loadcnt 0x0
	v_trunc_f64_e32 v[2:3], v[2:3]
	s_delay_alu instid0(VALU_DEP_1) | instskip(NEXT) | instid1(VALU_DEP_1)
	v_ldexp_f64 v[4:5], v[2:3], 0xffffffe0
	v_floor_f64_e32 v[4:5], v[4:5]
	s_delay_alu instid0(VALU_DEP_1) | instskip(NEXT) | instid1(VALU_DEP_1)
	v_fmamk_f64 v[2:3], v[4:5], 0xc1f00000, v[2:3]
	v_cvt_u32_f64_e32 v2, v[2:3]
	s_branch .LBB14_207
.LBB14_203:
                                        ; implicit-def: $vgpr2
	s_branch .LBB14_225
.LBB14_204:
	s_mov_b32 s15, -1
                                        ; implicit-def: $vgpr2
	s_branch .LBB14_213
.LBB14_205:
	s_mov_b32 s15, -1
                                        ; implicit-def: $vgpr2
	s_branch .LBB14_210
.LBB14_206:
	s_mov_b32 s15, -1
                                        ; implicit-def: $vgpr2
.LBB14_207:
	s_delay_alu instid0(SALU_CYCLE_1)
	s_and_not1_b32 vcc_lo, exec_lo, s15
	s_cbranch_vccnz .LBB14_209
; %bb.208:
	s_wait_loadcnt 0x0
	global_load_b32 v2, v[0:1], off
	s_wait_loadcnt 0x0
	v_trunc_f32_e32 v2, v2
	s_delay_alu instid0(VALU_DEP_1) | instskip(NEXT) | instid1(VALU_DEP_1)
	v_mul_f32_e64 v3, 0x2f800000, |v2|
	v_floor_f32_e32 v3, v3
	s_delay_alu instid0(VALU_DEP_1) | instskip(SKIP_1) | instid1(VALU_DEP_2)
	v_fma_f32 v3, 0xcf800000, v3, |v2|
	v_ashrrev_i32_e32 v2, 31, v2
	v_cvt_u32_f32_e32 v3, v3
	s_delay_alu instid0(VALU_DEP_1) | instskip(NEXT) | instid1(VALU_DEP_1)
	v_xor_b32_e32 v3, v3, v2
	v_sub_nc_u32_e32 v2, v3, v2
.LBB14_209:
	s_mov_b32 s15, 0
.LBB14_210:
	s_delay_alu instid0(SALU_CYCLE_1)
	s_and_not1_b32 vcc_lo, exec_lo, s15
	s_cbranch_vccnz .LBB14_212
; %bb.211:
	s_wait_loadcnt 0x0
	global_load_b32 v2, v[0:1], off
	s_wait_loadcnt 0x0
	v_cvt_f32_f16_e32 v2, v2
	s_delay_alu instid0(VALU_DEP_1)
	v_cvt_i32_f32_e32 v2, v2
.LBB14_212:
	s_mov_b32 s15, 0
.LBB14_213:
	s_delay_alu instid0(SALU_CYCLE_1)
	s_and_not1_b32 vcc_lo, exec_lo, s15
	s_cbranch_vccnz .LBB14_224
; %bb.214:
	s_cmp_lt_i32 s0, 6
	s_cbranch_scc1 .LBB14_217
; %bb.215:
	s_cmp_gt_i32 s0, 6
	s_cbranch_scc0 .LBB14_218
; %bb.216:
	s_wait_loadcnt 0x0
	global_load_b64 v[2:3], v[0:1], off
	s_mov_b32 s15, 0
	s_wait_loadcnt 0x0
	v_trunc_f64_e32 v[2:3], v[2:3]
	s_delay_alu instid0(VALU_DEP_1) | instskip(NEXT) | instid1(VALU_DEP_1)
	v_ldexp_f64 v[4:5], v[2:3], 0xffffffe0
	v_floor_f64_e32 v[4:5], v[4:5]
	s_delay_alu instid0(VALU_DEP_1) | instskip(NEXT) | instid1(VALU_DEP_1)
	v_fmamk_f64 v[2:3], v[4:5], 0xc1f00000, v[2:3]
	v_cvt_u32_f64_e32 v2, v[2:3]
	s_branch .LBB14_219
.LBB14_217:
	s_mov_b32 s15, -1
                                        ; implicit-def: $vgpr2
	s_branch .LBB14_222
.LBB14_218:
	s_mov_b32 s15, -1
                                        ; implicit-def: $vgpr2
.LBB14_219:
	s_delay_alu instid0(SALU_CYCLE_1)
	s_and_not1_b32 vcc_lo, exec_lo, s15
	s_cbranch_vccnz .LBB14_221
; %bb.220:
	s_wait_loadcnt 0x0
	global_load_b32 v2, v[0:1], off
	s_wait_loadcnt 0x0
	v_trunc_f32_e32 v2, v2
	s_delay_alu instid0(VALU_DEP_1) | instskip(NEXT) | instid1(VALU_DEP_1)
	v_mul_f32_e64 v3, 0x2f800000, |v2|
	v_floor_f32_e32 v3, v3
	s_delay_alu instid0(VALU_DEP_1) | instskip(SKIP_1) | instid1(VALU_DEP_2)
	v_fma_f32 v3, 0xcf800000, v3, |v2|
	v_ashrrev_i32_e32 v2, 31, v2
	v_cvt_u32_f32_e32 v3, v3
	s_delay_alu instid0(VALU_DEP_1) | instskip(NEXT) | instid1(VALU_DEP_1)
	v_xor_b32_e32 v3, v3, v2
	v_sub_nc_u32_e32 v2, v3, v2
.LBB14_221:
	s_mov_b32 s15, 0
.LBB14_222:
	s_delay_alu instid0(SALU_CYCLE_1)
	s_and_not1_b32 vcc_lo, exec_lo, s15
	s_cbranch_vccnz .LBB14_224
; %bb.223:
	s_wait_loadcnt 0x0
	global_load_u16 v2, v[0:1], off
	s_wait_loadcnt 0x0
	v_cvt_f32_f16_e32 v2, v2
	s_delay_alu instid0(VALU_DEP_1)
	v_cvt_i32_f32_e32 v2, v2
.LBB14_224:
	s_cbranch_execnz .LBB14_244
.LBB14_225:
	s_cmp_lt_i32 s0, 2
	s_cbranch_scc1 .LBB14_229
; %bb.226:
	s_cmp_lt_i32 s0, 3
	s_cbranch_scc1 .LBB14_230
; %bb.227:
	s_cmp_gt_i32 s0, 3
	s_cbranch_scc0 .LBB14_231
; %bb.228:
	s_wait_loadcnt 0x0
	global_load_b64 v[2:3], v[0:1], off
	s_mov_b32 s15, 0
	s_branch .LBB14_232
.LBB14_229:
	s_mov_b32 s15, -1
                                        ; implicit-def: $vgpr2
	s_branch .LBB14_238
.LBB14_230:
	s_mov_b32 s15, -1
                                        ; implicit-def: $vgpr2
	s_branch .LBB14_235
.LBB14_231:
	s_mov_b32 s15, -1
                                        ; implicit-def: $vgpr2
.LBB14_232:
	s_delay_alu instid0(SALU_CYCLE_1)
	s_and_not1_b32 vcc_lo, exec_lo, s15
	s_cbranch_vccnz .LBB14_234
; %bb.233:
	s_wait_loadcnt 0x0
	global_load_b32 v2, v[0:1], off
.LBB14_234:
	s_mov_b32 s15, 0
.LBB14_235:
	s_delay_alu instid0(SALU_CYCLE_1)
	s_and_not1_b32 vcc_lo, exec_lo, s15
	s_cbranch_vccnz .LBB14_237
; %bb.236:
	s_wait_loadcnt 0x0
	global_load_u16 v2, v[0:1], off
.LBB14_237:
	s_mov_b32 s15, 0
.LBB14_238:
	s_delay_alu instid0(SALU_CYCLE_1)
	s_and_not1_b32 vcc_lo, exec_lo, s15
	s_cbranch_vccnz .LBB14_244
; %bb.239:
	s_cmp_gt_i32 s0, 0
	s_mov_b32 s0, 0
	s_cbranch_scc0 .LBB14_241
; %bb.240:
	s_wait_loadcnt 0x0
	global_load_u8 v2, v[0:1], off
	s_branch .LBB14_242
.LBB14_241:
	s_mov_b32 s0, -1
                                        ; implicit-def: $vgpr2
.LBB14_242:
	s_delay_alu instid0(SALU_CYCLE_1)
	s_and_not1_b32 vcc_lo, exec_lo, s0
	s_cbranch_vccnz .LBB14_244
; %bb.243:
	s_wait_loadcnt 0x0
	global_load_u8 v2, v[0:1], off
.LBB14_244:
	s_branch .LBB14_11
.LBB14_245:
	s_mov_b32 s0, 0
.LBB14_246:
	s_mov_b32 s19, 0
                                        ; implicit-def: $vgpr10
.LBB14_247:
	s_and_b32 s15, s0, exec_lo
	s_and_b32 s16, s16, exec_lo
	s_or_not1_b32 s20, s19, exec_lo
.LBB14_248:
	s_wait_xcnt 0x0
	s_or_b32 exec_lo, exec_lo, s17
	s_mov_b32 s19, 0
	s_mov_b32 s0, 0
                                        ; implicit-def: $vgpr0_vgpr1
                                        ; implicit-def: $vgpr2
	s_and_saveexec_b32 s17, s20
	s_cbranch_execz .LBB14_257
; %bb.249:
	s_mov_b32 s0, -1
	s_mov_b32 s18, s16
	s_mov_b32 s19, s15
	s_mov_b32 s20, exec_lo
	v_cmpx_gt_i32_e64 s14, v10
	s_cbranch_execz .LBB14_507
; %bb.250:
	v_mul_lo_u32 v0, v10, s9
	s_and_b32 s0, 0xffff, s3
	s_delay_alu instid0(SALU_CYCLE_1) | instskip(NEXT) | instid1(VALU_DEP_1)
	s_cmp_lt_i32 s0, 11
	v_ashrrev_i32_e32 v1, 31, v0
	s_delay_alu instid0(VALU_DEP_1)
	v_add_nc_u64_e32 v[0:1], s[6:7], v[0:1]
	s_cbranch_scc1 .LBB14_260
; %bb.251:
	s_cmp_gt_i32 s0, 25
	s_cbranch_scc0 .LBB14_269
; %bb.252:
	s_cmp_gt_i32 s0, 28
	s_cbranch_scc0 .LBB14_271
	;; [unrolled: 3-line block ×4, first 2 shown]
; %bb.255:
	s_cmp_eq_u32 s0, 46
	s_mov_b32 s21, 0
	s_cbranch_scc0 .LBB14_281
; %bb.256:
	s_wait_loadcnt 0x0
	global_load_b32 v2, v[0:1], off
	s_mov_b32 s19, -1
	s_mov_b32 s18, 0
	s_wait_loadcnt 0x0
	v_lshlrev_b32_e32 v2, 16, v2
	s_delay_alu instid0(VALU_DEP_1) | instskip(NEXT) | instid1(VALU_DEP_1)
	v_trunc_f32_e32 v2, v2
	v_mul_f32_e64 v3, 0x2f800000, |v2|
	s_delay_alu instid0(VALU_DEP_1) | instskip(NEXT) | instid1(VALU_DEP_1)
	v_floor_f32_e32 v3, v3
	v_fma_f32 v3, 0xcf800000, v3, |v2|
	v_ashrrev_i32_e32 v2, 31, v2
	s_delay_alu instid0(VALU_DEP_2) | instskip(NEXT) | instid1(VALU_DEP_1)
	v_cvt_u32_f32_e32 v3, v3
	v_xor_b32_e32 v3, v3, v2
	s_delay_alu instid0(VALU_DEP_1)
	v_sub_nc_u32_e32 v2, v3, v2
	s_branch .LBB14_283
.LBB14_257:
	s_or_b32 exec_lo, exec_lo, s17
	s_mov_b32 s14, 0
	s_and_saveexec_b32 s17, s16
	s_cbranch_execnz .LBB14_847
.LBB14_258:
	s_or_b32 exec_lo, exec_lo, s17
	s_and_saveexec_b32 s16, s18
	s_delay_alu instid0(SALU_CYCLE_1)
	s_xor_b32 s16, exec_lo, s16
	s_cbranch_execz .LBB14_848
.LBB14_259:
	s_wait_loadcnt 0x0
	global_load_u8 v2, v[0:1], off
	s_or_b32 s0, s0, exec_lo
	s_wait_loadcnt 0x0
	v_cmp_ne_u16_e32 vcc_lo, 0, v2
	v_cndmask_b32_e64 v2, 0, 1, vcc_lo
	s_wait_xcnt 0x0
	s_or_b32 exec_lo, exec_lo, s16
	s_and_saveexec_b32 s16, s19
	s_cbranch_execz .LBB14_894
	s_branch .LBB14_849
.LBB14_260:
	s_mov_b32 s19, 0
	s_mov_b32 s18, s16
                                        ; implicit-def: $vgpr2
	s_cbranch_execnz .LBB14_456
.LBB14_261:
	s_and_not1_b32 vcc_lo, exec_lo, s19
	s_cbranch_vccnz .LBB14_504
.LBB14_262:
	s_wait_xcnt 0x0
	v_mul_lo_u32 v0, v10, s8
	s_wait_loadcnt 0x0
	s_delay_alu instid0(VALU_DEP_2) | instskip(SKIP_2) | instid1(VALU_DEP_1)
	v_and_b32_e32 v2, 0xff, v2
	s_and_b32 s0, s11, 0xff
	s_and_b32 s21, s2, 0xff
	v_cmp_ne_u16_e32 vcc_lo, s0, v2
	s_xor_b32 s19, s13, vcc_lo
	s_delay_alu instid0(VALU_DEP_3) | instskip(SKIP_1) | instid1(VALU_DEP_1)
	v_ashrrev_i32_e32 v1, 31, v0
	s_cmp_lt_i32 s21, 11
	v_add_nc_u64_e32 v[0:1], s[4:5], v[0:1]
	s_cbranch_scc1 .LBB14_270
; %bb.263:
	s_and_b32 s22, 0xffff, s21
	s_delay_alu instid0(SALU_CYCLE_1)
	s_cmp_gt_i32 s22, 25
	s_cbranch_scc0 .LBB14_272
; %bb.264:
	s_cmp_gt_i32 s22, 28
	s_cbranch_scc0 .LBB14_274
; %bb.265:
	;; [unrolled: 3-line block ×4, first 2 shown]
	s_mov_b32 s24, 0
	s_mov_b32 s0, -1
	s_cmp_eq_u32 s22, 46
	s_mov_b32 s23, 0
	s_cbranch_scc0 .LBB14_287
; %bb.268:
	v_cndmask_b32_e64 v2, 0, 1.0, s19
	s_mov_b32 s23, -1
	s_mov_b32 s0, 0
	s_delay_alu instid0(VALU_DEP_1) | instskip(NEXT) | instid1(VALU_DEP_1)
	v_bfe_u32 v3, v2, 16, 1
	v_add3_u32 v2, v2, v3, 0x7fff
	s_delay_alu instid0(VALU_DEP_1)
	v_lshrrev_b32_e32 v2, 16, v2
	global_store_b32 v[0:1], v2, off
	s_branch .LBB14_287
.LBB14_269:
	s_mov_b32 s21, -1
	s_mov_b32 s19, 0
	s_mov_b32 s18, s16
                                        ; implicit-def: $vgpr2
	s_branch .LBB14_422
.LBB14_270:
	s_mov_b32 s22, -1
	s_mov_b32 s23, 0
	s_mov_b32 s0, s15
	s_branch .LBB14_356
.LBB14_271:
	s_mov_b32 s21, -1
	s_mov_b32 s19, 0
	s_mov_b32 s18, s16
                                        ; implicit-def: $vgpr2
	s_branch .LBB14_405
.LBB14_272:
	s_mov_b32 s24, -1
	s_mov_b32 s23, 0
	s_mov_b32 s0, s15
	s_branch .LBB14_314
.LBB14_273:
	s_mov_b32 s21, -1
	s_mov_b32 s19, 0
	s_mov_b32 s18, s16
                                        ; implicit-def: $vgpr2
	s_branch .LBB14_400
.LBB14_274:
	s_mov_b32 s24, -1
	s_mov_b32 s23, 0
	s_mov_b32 s0, s15
	s_branch .LBB14_297
.LBB14_275:
	s_and_not1_saveexec_b32 s23, s23
	s_cbranch_execz .LBB14_54
.LBB14_276:
	v_add_f32_e32 v2, 0x46000000, v3
	s_and_not1_b32 s22, s22, exec_lo
	s_delay_alu instid0(VALU_DEP_1) | instskip(NEXT) | instid1(VALU_DEP_1)
	v_and_b32_e32 v2, 0xff, v2
	v_cmp_ne_u32_e32 vcc_lo, 0, v2
	s_and_b32 s24, vcc_lo, exec_lo
	s_delay_alu instid0(SALU_CYCLE_1)
	s_or_b32 s22, s22, s24
	s_or_b32 exec_lo, exec_lo, s23
	v_mov_b32_e32 v4, 0
	s_and_saveexec_b32 s23, s22
	s_cbranch_execnz .LBB14_55
	s_branch .LBB14_56
.LBB14_277:
	s_mov_b32 s21, -1
	s_mov_b32 s19, 0
	s_mov_b32 s18, s16
	s_branch .LBB14_282
.LBB14_278:
	s_mov_b32 s24, -1
	s_mov_b32 s23, 0
	s_mov_b32 s0, s15
	s_branch .LBB14_293
.LBB14_279:
	s_and_not1_saveexec_b32 s23, s23
	s_cbranch_execz .LBB14_67
.LBB14_280:
	v_add_f32_e32 v2, 0x42800000, v3
	s_and_not1_b32 s22, s22, exec_lo
	s_delay_alu instid0(VALU_DEP_1) | instskip(NEXT) | instid1(VALU_DEP_1)
	v_and_b32_e32 v2, 0xff, v2
	v_cmp_ne_u32_e32 vcc_lo, 0, v2
	s_and_b32 s24, vcc_lo, exec_lo
	s_delay_alu instid0(SALU_CYCLE_1)
	s_or_b32 s22, s22, s24
	s_or_b32 exec_lo, exec_lo, s23
	v_mov_b32_e32 v4, 0
	s_and_saveexec_b32 s23, s22
	s_cbranch_execnz .LBB14_68
	s_branch .LBB14_69
.LBB14_281:
	s_mov_b32 s18, -1
	s_mov_b32 s19, 0
.LBB14_282:
                                        ; implicit-def: $vgpr2
.LBB14_283:
	s_and_b32 vcc_lo, exec_lo, s21
	s_cbranch_vccz .LBB14_399
; %bb.284:
	s_cmp_eq_u32 s0, 44
	s_cbranch_scc0 .LBB14_398
; %bb.285:
	s_wait_loadcnt 0x0
	global_load_u8 v2, v[0:1], off
	s_mov_b32 s18, 0
	s_mov_b32 s19, -1
	s_wait_loadcnt 0x0
	v_lshlrev_b32_e32 v3, 23, v2
	v_cmp_ne_u32_e32 vcc_lo, 0, v2
	s_delay_alu instid0(VALU_DEP_2) | instskip(NEXT) | instid1(VALU_DEP_1)
	v_trunc_f32_e32 v3, v3
	v_mul_f32_e64 v4, 0x2f800000, |v3|
	s_delay_alu instid0(VALU_DEP_1) | instskip(NEXT) | instid1(VALU_DEP_1)
	v_floor_f32_e32 v4, v4
	v_fma_f32 v4, 0xcf800000, v4, |v3|
	v_ashrrev_i32_e32 v3, 31, v3
	s_delay_alu instid0(VALU_DEP_2) | instskip(NEXT) | instid1(VALU_DEP_1)
	v_cvt_u32_f32_e32 v4, v4
	v_xor_b32_e32 v4, v4, v3
	s_delay_alu instid0(VALU_DEP_1) | instskip(NEXT) | instid1(VALU_DEP_1)
	v_sub_nc_u32_e32 v3, v4, v3
	v_cndmask_b32_e32 v2, 0, v3, vcc_lo
	s_branch .LBB14_399
.LBB14_286:
	s_mov_b32 s24, -1
	s_mov_b32 s23, 0
	s_mov_b32 s0, s15
.LBB14_287:
	s_and_b32 vcc_lo, exec_lo, s24
	s_cbranch_vccz .LBB14_292
; %bb.288:
	s_cmp_eq_u32 s22, 44
	s_mov_b32 s0, -1
	s_cbranch_scc0 .LBB14_292
; %bb.289:
	v_cndmask_b32_e64 v4, 0, 1.0, s19
	s_mov_b32 s23, exec_lo
	s_wait_xcnt 0x0
	s_delay_alu instid0(VALU_DEP_1) | instskip(NEXT) | instid1(VALU_DEP_1)
	v_dual_mov_b32 v3, 0xff :: v_dual_lshrrev_b32 v2, 23, v4
	v_cmpx_ne_u32_e32 0xff, v2
; %bb.290:
	v_and_b32_e32 v3, 0x400000, v4
	v_and_or_b32 v4, 0x3fffff, v4, v2
	s_delay_alu instid0(VALU_DEP_2) | instskip(NEXT) | instid1(VALU_DEP_2)
	v_cmp_ne_u32_e32 vcc_lo, 0, v3
	v_cmp_ne_u32_e64 s0, 0, v4
	s_and_b32 s0, vcc_lo, s0
	s_delay_alu instid0(SALU_CYCLE_1) | instskip(NEXT) | instid1(VALU_DEP_1)
	v_cndmask_b32_e64 v3, 0, 1, s0
	v_add_nc_u32_e32 v3, v2, v3
; %bb.291:
	s_or_b32 exec_lo, exec_lo, s23
	s_mov_b32 s23, -1
	s_mov_b32 s0, 0
	global_store_b8 v[0:1], v3, off
.LBB14_292:
	s_mov_b32 s24, 0
.LBB14_293:
	s_delay_alu instid0(SALU_CYCLE_1)
	s_and_b32 vcc_lo, exec_lo, s24
	s_cbranch_vccz .LBB14_296
; %bb.294:
	s_cmp_eq_u32 s22, 29
	s_mov_b32 s0, -1
	s_cbranch_scc0 .LBB14_296
; %bb.295:
	s_mov_b32 s0, 0
	s_wait_xcnt 0x0
	v_cndmask_b32_e64 v2, 0, 1, s19
	v_mov_b32_e32 v3, s0
	s_mov_b32 s23, -1
	s_mov_b32 s24, 0
	global_store_b64 v[0:1], v[2:3], off
	s_branch .LBB14_297
.LBB14_296:
	s_mov_b32 s24, 0
.LBB14_297:
	s_delay_alu instid0(SALU_CYCLE_1)
	s_and_b32 vcc_lo, exec_lo, s24
	s_cbranch_vccz .LBB14_313
; %bb.298:
	s_cmp_lt_i32 s22, 27
	s_mov_b32 s23, -1
	s_cbranch_scc1 .LBB14_304
; %bb.299:
	s_cmp_gt_i32 s22, 27
	s_cbranch_scc0 .LBB14_301
; %bb.300:
	s_wait_xcnt 0x0
	v_cndmask_b32_e64 v2, 0, 1, s19
	s_mov_b32 s23, 0
	global_store_b32 v[0:1], v2, off
.LBB14_301:
	s_and_not1_b32 vcc_lo, exec_lo, s23
	s_cbranch_vccnz .LBB14_303
; %bb.302:
	s_wait_xcnt 0x0
	v_cndmask_b32_e64 v2, 0, 1, s19
	global_store_b16 v[0:1], v2, off
.LBB14_303:
	s_mov_b32 s23, 0
.LBB14_304:
	s_delay_alu instid0(SALU_CYCLE_1)
	s_and_not1_b32 vcc_lo, exec_lo, s23
	s_cbranch_vccnz .LBB14_312
; %bb.305:
	s_wait_xcnt 0x0
	v_cndmask_b32_e64 v3, 0, 1.0, s19
	v_mov_b32_e32 v4, 0x80
	s_mov_b32 s23, exec_lo
	s_delay_alu instid0(VALU_DEP_2)
	v_cmpx_gt_u32_e32 0x43800000, v3
	s_cbranch_execz .LBB14_311
; %bb.306:
	s_mov_b32 s24, 0
	s_mov_b32 s25, exec_lo
                                        ; implicit-def: $vgpr2
	v_cmpx_lt_u32_e32 0x3bffffff, v3
	s_xor_b32 s25, exec_lo, s25
	s_cbranch_execz .LBB14_520
; %bb.307:
	v_bfe_u32 v2, v3, 20, 1
	s_mov_b32 s24, exec_lo
	s_delay_alu instid0(VALU_DEP_1) | instskip(NEXT) | instid1(VALU_DEP_1)
	v_add3_u32 v2, v3, v2, 0x487ffff
                                        ; implicit-def: $vgpr3
	v_lshrrev_b32_e32 v2, 20, v2
	s_and_not1_saveexec_b32 s25, s25
	s_cbranch_execnz .LBB14_521
.LBB14_308:
	s_or_b32 exec_lo, exec_lo, s25
	v_mov_b32_e32 v4, 0
	s_and_saveexec_b32 s25, s24
.LBB14_309:
	v_mov_b32_e32 v4, v2
.LBB14_310:
	s_or_b32 exec_lo, exec_lo, s25
.LBB14_311:
	s_delay_alu instid0(SALU_CYCLE_1)
	s_or_b32 exec_lo, exec_lo, s23
	global_store_b8 v[0:1], v4, off
.LBB14_312:
	s_mov_b32 s23, -1
.LBB14_313:
	s_mov_b32 s24, 0
.LBB14_314:
	s_delay_alu instid0(SALU_CYCLE_1)
	s_and_b32 vcc_lo, exec_lo, s24
	s_cbranch_vccz .LBB14_355
; %bb.315:
	s_cmp_gt_i32 s22, 22
	s_mov_b32 s24, -1
	s_cbranch_scc0 .LBB14_347
; %bb.316:
	s_cmp_lt_i32 s22, 24
	s_mov_b32 s23, -1
	s_cbranch_scc1 .LBB14_336
; %bb.317:
	s_cmp_gt_i32 s22, 24
	s_cbranch_scc0 .LBB14_325
; %bb.318:
	s_wait_xcnt 0x0
	v_cndmask_b32_e64 v3, 0, 1.0, s19
	v_mov_b32_e32 v4, 0x80
	s_mov_b32 s23, exec_lo
	s_delay_alu instid0(VALU_DEP_2)
	v_cmpx_gt_u32_e32 0x47800000, v3
	s_cbranch_execz .LBB14_324
; %bb.319:
	s_mov_b32 s24, 0
	s_mov_b32 s25, exec_lo
                                        ; implicit-def: $vgpr2
	v_cmpx_lt_u32_e32 0x37ffffff, v3
	s_xor_b32 s25, exec_lo, s25
	s_cbranch_execz .LBB14_523
; %bb.320:
	v_bfe_u32 v2, v3, 21, 1
	s_mov_b32 s24, exec_lo
	s_delay_alu instid0(VALU_DEP_1) | instskip(NEXT) | instid1(VALU_DEP_1)
	v_add3_u32 v2, v3, v2, 0x88fffff
                                        ; implicit-def: $vgpr3
	v_lshrrev_b32_e32 v2, 21, v2
	s_and_not1_saveexec_b32 s25, s25
	s_cbranch_execnz .LBB14_524
.LBB14_321:
	s_or_b32 exec_lo, exec_lo, s25
	v_mov_b32_e32 v4, 0
	s_and_saveexec_b32 s25, s24
.LBB14_322:
	v_mov_b32_e32 v4, v2
.LBB14_323:
	s_or_b32 exec_lo, exec_lo, s25
.LBB14_324:
	s_delay_alu instid0(SALU_CYCLE_1)
	s_or_b32 exec_lo, exec_lo, s23
	s_mov_b32 s23, 0
	global_store_b8 v[0:1], v4, off
.LBB14_325:
	s_and_b32 vcc_lo, exec_lo, s23
	s_cbranch_vccz .LBB14_335
; %bb.326:
	s_wait_xcnt 0x0
	v_cndmask_b32_e64 v3, 0, 1.0, s19
	s_mov_b32 s23, exec_lo
                                        ; implicit-def: $vgpr2
	s_delay_alu instid0(VALU_DEP_1)
	v_cmpx_gt_u32_e32 0x43f00000, v3
	s_xor_b32 s23, exec_lo, s23
	s_cbranch_execz .LBB14_332
; %bb.327:
	s_mov_b32 s24, exec_lo
                                        ; implicit-def: $vgpr2
	v_cmpx_lt_u32_e32 0x3c7fffff, v3
	s_xor_b32 s24, exec_lo, s24
; %bb.328:
	v_bfe_u32 v2, v3, 20, 1
	s_delay_alu instid0(VALU_DEP_1) | instskip(NEXT) | instid1(VALU_DEP_1)
	v_add3_u32 v2, v3, v2, 0x407ffff
	v_and_b32_e32 v3, 0xff00000, v2
	v_lshrrev_b32_e32 v2, 20, v2
	s_delay_alu instid0(VALU_DEP_2) | instskip(NEXT) | instid1(VALU_DEP_2)
	v_cmp_ne_u32_e32 vcc_lo, 0x7f00000, v3
                                        ; implicit-def: $vgpr3
	v_cndmask_b32_e32 v2, 0x7e, v2, vcc_lo
; %bb.329:
	s_and_not1_saveexec_b32 s24, s24
; %bb.330:
	v_add_f32_e32 v2, 0x46800000, v3
; %bb.331:
	s_or_b32 exec_lo, exec_lo, s24
                                        ; implicit-def: $vgpr3
.LBB14_332:
	s_and_not1_saveexec_b32 s23, s23
; %bb.333:
	v_mov_b32_e32 v2, 0x7f
	v_cmp_lt_u32_e32 vcc_lo, 0x7f800000, v3
	s_delay_alu instid0(VALU_DEP_2)
	v_cndmask_b32_e32 v2, 0x7e, v2, vcc_lo
; %bb.334:
	s_or_b32 exec_lo, exec_lo, s23
	global_store_b8 v[0:1], v2, off
.LBB14_335:
	s_mov_b32 s23, 0
.LBB14_336:
	s_delay_alu instid0(SALU_CYCLE_1)
	s_and_not1_b32 vcc_lo, exec_lo, s23
	s_cbranch_vccnz .LBB14_346
; %bb.337:
	s_wait_xcnt 0x0
	v_cndmask_b32_e64 v3, 0, 1.0, s19
	s_mov_b32 s23, exec_lo
                                        ; implicit-def: $vgpr2
	s_delay_alu instid0(VALU_DEP_1)
	v_cmpx_gt_u32_e32 0x47800000, v3
	s_xor_b32 s23, exec_lo, s23
	s_cbranch_execz .LBB14_343
; %bb.338:
	s_mov_b32 s24, exec_lo
                                        ; implicit-def: $vgpr2
	v_cmpx_lt_u32_e32 0x387fffff, v3
	s_xor_b32 s24, exec_lo, s24
; %bb.339:
	v_bfe_u32 v2, v3, 21, 1
	s_delay_alu instid0(VALU_DEP_1) | instskip(NEXT) | instid1(VALU_DEP_1)
	v_add3_u32 v2, v3, v2, 0x80fffff
                                        ; implicit-def: $vgpr3
	v_lshrrev_b32_e32 v2, 21, v2
; %bb.340:
	s_and_not1_saveexec_b32 s24, s24
; %bb.341:
	v_add_f32_e32 v2, 0x43000000, v3
; %bb.342:
	s_or_b32 exec_lo, exec_lo, s24
                                        ; implicit-def: $vgpr3
.LBB14_343:
	s_and_not1_saveexec_b32 s23, s23
; %bb.344:
	v_mov_b32_e32 v2, 0x7f
	v_cmp_lt_u32_e32 vcc_lo, 0x7f800000, v3
	s_delay_alu instid0(VALU_DEP_2)
	v_cndmask_b32_e32 v2, 0x7c, v2, vcc_lo
; %bb.345:
	s_or_b32 exec_lo, exec_lo, s23
	global_store_b8 v[0:1], v2, off
.LBB14_346:
	s_mov_b32 s24, 0
	s_mov_b32 s23, -1
.LBB14_347:
	s_and_not1_b32 vcc_lo, exec_lo, s24
	s_cbranch_vccnz .LBB14_355
; %bb.348:
	s_cmp_gt_i32 s22, 14
	s_mov_b32 s24, -1
	s_cbranch_scc0 .LBB14_352
; %bb.349:
	s_cmp_eq_u32 s22, 15
	s_mov_b32 s0, -1
	s_cbranch_scc0 .LBB14_351
; %bb.350:
	s_wait_xcnt 0x0
	v_cndmask_b32_e64 v2, 0, 1.0, s19
	s_mov_b32 s23, -1
	s_mov_b32 s0, 0
	s_delay_alu instid0(VALU_DEP_1) | instskip(NEXT) | instid1(VALU_DEP_1)
	v_bfe_u32 v3, v2, 16, 1
	v_add3_u32 v2, v2, v3, 0x7fff
	global_store_d16_hi_b16 v[0:1], v2, off
.LBB14_351:
	s_mov_b32 s24, 0
.LBB14_352:
	s_delay_alu instid0(SALU_CYCLE_1)
	s_and_b32 vcc_lo, exec_lo, s24
	s_cbranch_vccz .LBB14_355
; %bb.353:
	s_cmp_eq_u32 s22, 11
	s_mov_b32 s0, -1
	s_cbranch_scc0 .LBB14_355
; %bb.354:
	s_wait_xcnt 0x0
	v_cndmask_b32_e64 v2, 0, 1, s19
	s_mov_b32 s23, -1
	s_mov_b32 s0, 0
	global_store_b8 v[0:1], v2, off
.LBB14_355:
	s_mov_b32 s22, 0
.LBB14_356:
	s_delay_alu instid0(SALU_CYCLE_1)
	s_and_b32 vcc_lo, exec_lo, s22
	s_cbranch_vccz .LBB14_395
; %bb.357:
	s_and_b32 s21, 0xffff, s21
	s_mov_b32 s22, -1
	s_cmp_lt_i32 s21, 5
	s_cbranch_scc1 .LBB14_378
; %bb.358:
	s_cmp_lt_i32 s21, 8
	s_cbranch_scc1 .LBB14_368
; %bb.359:
	;; [unrolled: 3-line block ×3, first 2 shown]
	s_cmp_gt_i32 s21, 9
	s_cbranch_scc0 .LBB14_362
; %bb.361:
	s_wait_xcnt 0x0
	v_cndmask_b32_e64 v2, 0, 1, s19
	v_mov_b32_e32 v4, 0
	s_mov_b32 s22, 0
	s_delay_alu instid0(VALU_DEP_2) | instskip(NEXT) | instid1(VALU_DEP_2)
	v_cvt_f64_u32_e32 v[2:3], v2
	v_mov_b32_e32 v5, v4
	global_store_b128 v[0:1], v[2:5], off
.LBB14_362:
	s_and_not1_b32 vcc_lo, exec_lo, s22
	s_cbranch_vccnz .LBB14_364
; %bb.363:
	s_wait_xcnt 0x0
	v_cndmask_b32_e64 v2, 0, 1.0, s19
	v_mov_b32_e32 v3, 0
	global_store_b64 v[0:1], v[2:3], off
.LBB14_364:
	s_mov_b32 s22, 0
.LBB14_365:
	s_delay_alu instid0(SALU_CYCLE_1)
	s_and_not1_b32 vcc_lo, exec_lo, s22
	s_cbranch_vccnz .LBB14_367
; %bb.366:
	s_wait_xcnt 0x0
	v_cndmask_b32_e64 v2, 0, 1.0, s19
	s_delay_alu instid0(VALU_DEP_1) | instskip(NEXT) | instid1(VALU_DEP_1)
	v_cvt_f16_f32_e32 v2, v2
	v_and_b32_e32 v2, 0xffff, v2
	global_store_b32 v[0:1], v2, off
.LBB14_367:
	s_mov_b32 s22, 0
.LBB14_368:
	s_delay_alu instid0(SALU_CYCLE_1)
	s_and_not1_b32 vcc_lo, exec_lo, s22
	s_cbranch_vccnz .LBB14_377
; %bb.369:
	s_cmp_lt_i32 s21, 6
	s_mov_b32 s22, -1
	s_cbranch_scc1 .LBB14_375
; %bb.370:
	s_cmp_gt_i32 s21, 6
	s_cbranch_scc0 .LBB14_372
; %bb.371:
	s_wait_xcnt 0x0
	v_cndmask_b32_e64 v2, 0, 1, s19
	s_mov_b32 s22, 0
	s_delay_alu instid0(VALU_DEP_1)
	v_cvt_f64_u32_e32 v[2:3], v2
	global_store_b64 v[0:1], v[2:3], off
.LBB14_372:
	s_and_not1_b32 vcc_lo, exec_lo, s22
	s_cbranch_vccnz .LBB14_374
; %bb.373:
	s_wait_xcnt 0x0
	v_cndmask_b32_e64 v2, 0, 1.0, s19
	global_store_b32 v[0:1], v2, off
.LBB14_374:
	s_mov_b32 s22, 0
.LBB14_375:
	s_delay_alu instid0(SALU_CYCLE_1)
	s_and_not1_b32 vcc_lo, exec_lo, s22
	s_cbranch_vccnz .LBB14_377
; %bb.376:
	s_wait_xcnt 0x0
	v_cndmask_b32_e64 v2, 0, 1.0, s19
	s_delay_alu instid0(VALU_DEP_1)
	v_cvt_f16_f32_e32 v2, v2
	global_store_b16 v[0:1], v2, off
.LBB14_377:
	s_mov_b32 s22, 0
.LBB14_378:
	s_delay_alu instid0(SALU_CYCLE_1)
	s_and_not1_b32 vcc_lo, exec_lo, s22
	s_cbranch_vccnz .LBB14_394
; %bb.379:
	s_cmp_lt_i32 s21, 2
	s_mov_b32 s22, -1
	s_cbranch_scc1 .LBB14_389
; %bb.380:
	s_cmp_lt_i32 s21, 3
	s_cbranch_scc1 .LBB14_386
; %bb.381:
	s_cmp_gt_i32 s21, 3
	s_cbranch_scc0 .LBB14_383
; %bb.382:
	s_mov_b32 s22, 0
	s_wait_xcnt 0x0
	v_cndmask_b32_e64 v2, 0, 1, s19
	v_mov_b32_e32 v3, s22
	global_store_b64 v[0:1], v[2:3], off
.LBB14_383:
	s_and_not1_b32 vcc_lo, exec_lo, s22
	s_cbranch_vccnz .LBB14_385
; %bb.384:
	s_wait_xcnt 0x0
	v_cndmask_b32_e64 v2, 0, 1, s19
	global_store_b32 v[0:1], v2, off
.LBB14_385:
	s_mov_b32 s22, 0
.LBB14_386:
	s_delay_alu instid0(SALU_CYCLE_1)
	s_and_not1_b32 vcc_lo, exec_lo, s22
	s_cbranch_vccnz .LBB14_388
; %bb.387:
	s_wait_xcnt 0x0
	v_cndmask_b32_e64 v2, 0, 1, s19
	global_store_b16 v[0:1], v2, off
.LBB14_388:
	s_mov_b32 s22, 0
.LBB14_389:
	s_delay_alu instid0(SALU_CYCLE_1)
	s_and_not1_b32 vcc_lo, exec_lo, s22
	s_cbranch_vccnz .LBB14_394
; %bb.390:
	s_wait_xcnt 0x0
	v_cndmask_b32_e64 v2, 0, 1, s19
	s_cmp_gt_i32 s21, 0
	s_mov_b32 s19, -1
	s_cbranch_scc0 .LBB14_392
; %bb.391:
	s_mov_b32 s19, 0
	global_store_b8 v[0:1], v2, off
.LBB14_392:
	s_and_not1_b32 vcc_lo, exec_lo, s19
	s_cbranch_vccnz .LBB14_394
; %bb.393:
	global_store_b8 v[0:1], v2, off
.LBB14_394:
	s_mov_b32 s23, -1
.LBB14_395:
	s_delay_alu instid0(SALU_CYCLE_1)
	s_and_not1_b32 vcc_lo, exec_lo, s23
	s_cbranch_vccnz .LBB14_397
; %bb.396:
	v_add_nc_u32_e32 v10, 0x80, v10
	s_mov_b32 s21, -1
	s_branch .LBB14_506
.LBB14_397:
	s_mov_b32 s21, 0
	s_branch .LBB14_505
.LBB14_398:
	s_mov_b32 s18, -1
                                        ; implicit-def: $vgpr2
.LBB14_399:
	s_mov_b32 s21, 0
.LBB14_400:
	s_delay_alu instid0(SALU_CYCLE_1)
	s_and_b32 vcc_lo, exec_lo, s21
	s_cbranch_vccz .LBB14_404
; %bb.401:
	s_cmp_eq_u32 s0, 29
	s_cbranch_scc0 .LBB14_403
; %bb.402:
	s_wait_loadcnt 0x0
	global_load_b64 v[2:3], v[0:1], off
	s_mov_b32 s19, -1
	s_mov_b32 s18, 0
	s_branch .LBB14_404
.LBB14_403:
	s_mov_b32 s18, -1
                                        ; implicit-def: $vgpr2
.LBB14_404:
	s_mov_b32 s21, 0
.LBB14_405:
	s_delay_alu instid0(SALU_CYCLE_1)
	s_and_b32 vcc_lo, exec_lo, s21
	s_cbranch_vccz .LBB14_421
; %bb.406:
	s_cmp_lt_i32 s0, 27
	s_cbranch_scc1 .LBB14_409
; %bb.407:
	s_cmp_gt_i32 s0, 27
	s_cbranch_scc0 .LBB14_410
; %bb.408:
	s_wait_loadcnt 0x0
	global_load_b32 v2, v[0:1], off
	s_mov_b32 s19, 0
	s_branch .LBB14_411
.LBB14_409:
	s_mov_b32 s19, -1
                                        ; implicit-def: $vgpr2
	s_branch .LBB14_414
.LBB14_410:
	s_mov_b32 s19, -1
                                        ; implicit-def: $vgpr2
.LBB14_411:
	s_delay_alu instid0(SALU_CYCLE_1)
	s_and_not1_b32 vcc_lo, exec_lo, s19
	s_cbranch_vccnz .LBB14_413
; %bb.412:
	s_wait_loadcnt 0x0
	global_load_u16 v2, v[0:1], off
.LBB14_413:
	s_mov_b32 s19, 0
.LBB14_414:
	s_delay_alu instid0(SALU_CYCLE_1)
	s_and_not1_b32 vcc_lo, exec_lo, s19
	s_cbranch_vccnz .LBB14_420
; %bb.415:
	s_wait_loadcnt 0x0
	global_load_u8 v3, v[0:1], off
	s_mov_b32 s21, 0
	s_mov_b32 s19, exec_lo
	s_wait_loadcnt 0x0
	v_cmpx_lt_i16_e32 0x7f, v3
	s_xor_b32 s19, exec_lo, s19
	s_cbranch_execz .LBB14_432
; %bb.416:
	v_cmp_ne_u16_e32 vcc_lo, 0x80, v3
	s_and_b32 s21, vcc_lo, exec_lo
	s_and_not1_saveexec_b32 s19, s19
	s_cbranch_execnz .LBB14_433
.LBB14_417:
	s_or_b32 exec_lo, exec_lo, s19
	v_mov_b32_e32 v2, 0
	s_and_saveexec_b32 s19, s21
	s_cbranch_execz .LBB14_419
.LBB14_418:
	v_and_b32_e32 v2, 0xffff, v3
	s_delay_alu instid0(VALU_DEP_1) | instskip(SKIP_1) | instid1(VALU_DEP_2)
	v_and_b32_e32 v4, 7, v2
	v_bfe_u32 v7, v2, 3, 4
	v_clz_i32_u32_e32 v5, v4
	s_delay_alu instid0(VALU_DEP_2) | instskip(NEXT) | instid1(VALU_DEP_2)
	v_cmp_eq_u32_e32 vcc_lo, 0, v7
	v_min_u32_e32 v5, 32, v5
	s_delay_alu instid0(VALU_DEP_1) | instskip(NEXT) | instid1(VALU_DEP_1)
	v_subrev_nc_u32_e32 v6, 28, v5
	v_dual_lshlrev_b32 v2, v6, v2 :: v_dual_sub_nc_u32 v5, 29, v5
	s_delay_alu instid0(VALU_DEP_1) | instskip(NEXT) | instid1(VALU_DEP_1)
	v_dual_lshlrev_b32 v3, 24, v3 :: v_dual_bitop2_b32 v2, 7, v2 bitop3:0x40
	v_dual_cndmask_b32 v5, v7, v5 :: v_dual_cndmask_b32 v2, v4, v2
	s_delay_alu instid0(VALU_DEP_2) | instskip(NEXT) | instid1(VALU_DEP_2)
	v_and_b32_e32 v3, 0x80000000, v3
	v_lshl_add_u32 v4, v5, 23, 0x3b800000
	s_delay_alu instid0(VALU_DEP_3) | instskip(NEXT) | instid1(VALU_DEP_1)
	v_lshlrev_b32_e32 v2, 20, v2
	v_or3_b32 v2, v3, v4, v2
	s_delay_alu instid0(VALU_DEP_1) | instskip(NEXT) | instid1(VALU_DEP_1)
	v_trunc_f32_e32 v2, v2
	v_mul_f32_e64 v3, 0x2f800000, |v2|
	s_delay_alu instid0(VALU_DEP_1) | instskip(NEXT) | instid1(VALU_DEP_1)
	v_floor_f32_e32 v3, v3
	v_fma_f32 v3, 0xcf800000, v3, |v2|
	v_ashrrev_i32_e32 v2, 31, v2
	s_delay_alu instid0(VALU_DEP_2) | instskip(NEXT) | instid1(VALU_DEP_1)
	v_cvt_u32_f32_e32 v3, v3
	v_xor_b32_e32 v3, v3, v2
	s_delay_alu instid0(VALU_DEP_1)
	v_sub_nc_u32_e32 v2, v3, v2
.LBB14_419:
	s_or_b32 exec_lo, exec_lo, s19
.LBB14_420:
	s_mov_b32 s19, -1
.LBB14_421:
	s_mov_b32 s21, 0
.LBB14_422:
	s_delay_alu instid0(SALU_CYCLE_1)
	s_and_b32 vcc_lo, exec_lo, s21
	s_cbranch_vccz .LBB14_455
; %bb.423:
	s_cmp_gt_i32 s0, 22
	s_cbranch_scc0 .LBB14_431
; %bb.424:
	s_cmp_lt_i32 s0, 24
	s_cbranch_scc1 .LBB14_434
; %bb.425:
	s_cmp_gt_i32 s0, 24
	s_cbranch_scc0 .LBB14_435
; %bb.426:
	s_wait_loadcnt 0x0
	global_load_u8 v3, v[0:1], off
	s_mov_b32 s21, 0
	s_mov_b32 s19, exec_lo
	s_wait_loadcnt 0x0
	v_cmpx_lt_i16_e32 0x7f, v3
	s_xor_b32 s19, exec_lo, s19
	s_cbranch_execz .LBB14_447
; %bb.427:
	v_cmp_ne_u16_e32 vcc_lo, 0x80, v3
	s_and_b32 s21, vcc_lo, exec_lo
	s_and_not1_saveexec_b32 s19, s19
	s_cbranch_execnz .LBB14_448
.LBB14_428:
	s_or_b32 exec_lo, exec_lo, s19
	v_mov_b32_e32 v2, 0
	s_and_saveexec_b32 s19, s21
	s_cbranch_execz .LBB14_430
.LBB14_429:
	v_and_b32_e32 v2, 0xffff, v3
	s_delay_alu instid0(VALU_DEP_1) | instskip(SKIP_1) | instid1(VALU_DEP_2)
	v_and_b32_e32 v4, 3, v2
	v_bfe_u32 v7, v2, 2, 5
	v_clz_i32_u32_e32 v5, v4
	s_delay_alu instid0(VALU_DEP_2) | instskip(NEXT) | instid1(VALU_DEP_2)
	v_cmp_eq_u32_e32 vcc_lo, 0, v7
	v_min_u32_e32 v5, 32, v5
	s_delay_alu instid0(VALU_DEP_1) | instskip(NEXT) | instid1(VALU_DEP_1)
	v_subrev_nc_u32_e32 v6, 29, v5
	v_dual_lshlrev_b32 v2, v6, v2 :: v_dual_sub_nc_u32 v5, 30, v5
	s_delay_alu instid0(VALU_DEP_1) | instskip(NEXT) | instid1(VALU_DEP_1)
	v_dual_lshlrev_b32 v3, 24, v3 :: v_dual_bitop2_b32 v2, 3, v2 bitop3:0x40
	v_dual_cndmask_b32 v5, v7, v5 :: v_dual_cndmask_b32 v2, v4, v2
	s_delay_alu instid0(VALU_DEP_2) | instskip(NEXT) | instid1(VALU_DEP_2)
	v_and_b32_e32 v3, 0x80000000, v3
	v_lshl_add_u32 v4, v5, 23, 0x37800000
	s_delay_alu instid0(VALU_DEP_3) | instskip(NEXT) | instid1(VALU_DEP_1)
	v_lshlrev_b32_e32 v2, 21, v2
	v_or3_b32 v2, v3, v4, v2
	s_delay_alu instid0(VALU_DEP_1) | instskip(NEXT) | instid1(VALU_DEP_1)
	v_trunc_f32_e32 v2, v2
	v_mul_f32_e64 v3, 0x2f800000, |v2|
	s_delay_alu instid0(VALU_DEP_1) | instskip(NEXT) | instid1(VALU_DEP_1)
	v_floor_f32_e32 v3, v3
	v_fma_f32 v3, 0xcf800000, v3, |v2|
	v_ashrrev_i32_e32 v2, 31, v2
	s_delay_alu instid0(VALU_DEP_2) | instskip(NEXT) | instid1(VALU_DEP_1)
	v_cvt_u32_f32_e32 v3, v3
	v_xor_b32_e32 v3, v3, v2
	s_delay_alu instid0(VALU_DEP_1)
	v_sub_nc_u32_e32 v2, v3, v2
.LBB14_430:
	s_or_b32 exec_lo, exec_lo, s19
	s_mov_b32 s19, 0
	s_branch .LBB14_436
.LBB14_431:
	s_mov_b32 s21, -1
                                        ; implicit-def: $vgpr2
	s_branch .LBB14_442
.LBB14_432:
	s_and_not1_saveexec_b32 s19, s19
	s_cbranch_execz .LBB14_417
.LBB14_433:
	v_cmp_ne_u16_e32 vcc_lo, 0, v3
	s_and_not1_b32 s21, s21, exec_lo
	s_and_b32 s22, vcc_lo, exec_lo
	s_delay_alu instid0(SALU_CYCLE_1)
	s_or_b32 s21, s21, s22
	s_or_b32 exec_lo, exec_lo, s19
	v_mov_b32_e32 v2, 0
	s_and_saveexec_b32 s19, s21
	s_cbranch_execnz .LBB14_418
	s_branch .LBB14_419
.LBB14_434:
	s_mov_b32 s19, -1
                                        ; implicit-def: $vgpr2
	s_branch .LBB14_439
.LBB14_435:
	s_mov_b32 s19, -1
                                        ; implicit-def: $vgpr2
.LBB14_436:
	s_delay_alu instid0(SALU_CYCLE_1)
	s_and_b32 vcc_lo, exec_lo, s19
	s_cbranch_vccz .LBB14_438
; %bb.437:
	s_wait_loadcnt 0x0
	global_load_u8 v2, v[0:1], off
	s_wait_loadcnt 0x0
	v_lshlrev_b32_e32 v2, 24, v2
	s_delay_alu instid0(VALU_DEP_1) | instskip(NEXT) | instid1(VALU_DEP_1)
	v_and_b32_e32 v3, 0x7f000000, v2
	v_clz_i32_u32_e32 v4, v3
	v_cmp_ne_u32_e32 vcc_lo, 0, v3
	v_add_nc_u32_e32 v6, 0x1000000, v3
	s_delay_alu instid0(VALU_DEP_3) | instskip(NEXT) | instid1(VALU_DEP_1)
	v_min_u32_e32 v4, 32, v4
	v_sub_nc_u32_e64 v4, v4, 4 clamp
	s_delay_alu instid0(VALU_DEP_1) | instskip(NEXT) | instid1(VALU_DEP_1)
	v_dual_lshlrev_b32 v5, v4, v3 :: v_dual_lshlrev_b32 v4, 23, v4
	v_lshrrev_b32_e32 v5, 4, v5
	s_delay_alu instid0(VALU_DEP_1) | instskip(NEXT) | instid1(VALU_DEP_1)
	v_dual_sub_nc_u32 v4, v5, v4 :: v_dual_ashrrev_i32 v5, 8, v6
	v_add_nc_u32_e32 v4, 0x3c000000, v4
	s_delay_alu instid0(VALU_DEP_1) | instskip(NEXT) | instid1(VALU_DEP_1)
	v_and_or_b32 v4, 0x7f800000, v5, v4
	v_cndmask_b32_e32 v3, 0, v4, vcc_lo
	s_delay_alu instid0(VALU_DEP_1) | instskip(NEXT) | instid1(VALU_DEP_1)
	v_and_or_b32 v2, 0x80000000, v2, v3
	v_trunc_f32_e32 v2, v2
	s_delay_alu instid0(VALU_DEP_1) | instskip(NEXT) | instid1(VALU_DEP_1)
	v_mul_f32_e64 v3, 0x2f800000, |v2|
	v_floor_f32_e32 v3, v3
	s_delay_alu instid0(VALU_DEP_1) | instskip(SKIP_1) | instid1(VALU_DEP_2)
	v_fma_f32 v3, 0xcf800000, v3, |v2|
	v_ashrrev_i32_e32 v2, 31, v2
	v_cvt_u32_f32_e32 v3, v3
	s_delay_alu instid0(VALU_DEP_1) | instskip(NEXT) | instid1(VALU_DEP_1)
	v_xor_b32_e32 v3, v3, v2
	v_sub_nc_u32_e32 v2, v3, v2
.LBB14_438:
	s_mov_b32 s19, 0
.LBB14_439:
	s_delay_alu instid0(SALU_CYCLE_1)
	s_and_not1_b32 vcc_lo, exec_lo, s19
	s_cbranch_vccnz .LBB14_441
; %bb.440:
	s_wait_loadcnt 0x0
	global_load_u8 v2, v[0:1], off
	s_wait_loadcnt 0x0
	v_lshlrev_b32_e32 v3, 25, v2
	v_lshlrev_b16 v2, 8, v2
	s_delay_alu instid0(VALU_DEP_1) | instskip(SKIP_1) | instid1(VALU_DEP_2)
	v_and_or_b32 v5, 0x7f00, v2, 0.5
	v_bfe_i32 v2, v2, 0, 16
	v_dual_add_f32 v5, -0.5, v5 :: v_dual_lshrrev_b32 v4, 4, v3
	v_cmp_gt_u32_e32 vcc_lo, 0x8000000, v3
	s_delay_alu instid0(VALU_DEP_2) | instskip(NEXT) | instid1(VALU_DEP_1)
	v_or_b32_e32 v4, 0x70000000, v4
	v_mul_f32_e32 v4, 0x7800000, v4
	s_delay_alu instid0(VALU_DEP_1) | instskip(NEXT) | instid1(VALU_DEP_1)
	v_cndmask_b32_e32 v3, v4, v5, vcc_lo
	v_and_or_b32 v2, 0x80000000, v2, v3
	s_delay_alu instid0(VALU_DEP_1) | instskip(NEXT) | instid1(VALU_DEP_1)
	v_trunc_f32_e32 v2, v2
	v_mul_f32_e64 v3, 0x2f800000, |v2|
	s_delay_alu instid0(VALU_DEP_1) | instskip(NEXT) | instid1(VALU_DEP_1)
	v_floor_f32_e32 v3, v3
	v_fma_f32 v3, 0xcf800000, v3, |v2|
	v_ashrrev_i32_e32 v2, 31, v2
	s_delay_alu instid0(VALU_DEP_2) | instskip(NEXT) | instid1(VALU_DEP_1)
	v_cvt_u32_f32_e32 v3, v3
	v_xor_b32_e32 v3, v3, v2
	s_delay_alu instid0(VALU_DEP_1)
	v_sub_nc_u32_e32 v2, v3, v2
.LBB14_441:
	s_mov_b32 s21, 0
	s_mov_b32 s19, -1
.LBB14_442:
	s_and_not1_b32 vcc_lo, exec_lo, s21
	s_cbranch_vccnz .LBB14_455
; %bb.443:
	s_cmp_gt_i32 s0, 14
	s_cbranch_scc0 .LBB14_446
; %bb.444:
	s_cmp_eq_u32 s0, 15
	s_cbranch_scc0 .LBB14_449
; %bb.445:
	s_wait_loadcnt 0x0
	global_load_u16 v2, v[0:1], off
	s_mov_b32 s19, -1
	s_mov_b32 s18, 0
	s_wait_loadcnt 0x0
	v_lshlrev_b32_e32 v2, 16, v2
	s_delay_alu instid0(VALU_DEP_1) | instskip(NEXT) | instid1(VALU_DEP_1)
	v_trunc_f32_e32 v2, v2
	v_mul_f32_e64 v3, 0x2f800000, |v2|
	s_delay_alu instid0(VALU_DEP_1) | instskip(NEXT) | instid1(VALU_DEP_1)
	v_floor_f32_e32 v3, v3
	v_fma_f32 v3, 0xcf800000, v3, |v2|
	v_ashrrev_i32_e32 v2, 31, v2
	s_delay_alu instid0(VALU_DEP_2) | instskip(NEXT) | instid1(VALU_DEP_1)
	v_cvt_u32_f32_e32 v3, v3
	v_xor_b32_e32 v3, v3, v2
	s_delay_alu instid0(VALU_DEP_1)
	v_sub_nc_u32_e32 v2, v3, v2
	s_branch .LBB14_450
.LBB14_446:
	s_mov_b32 s21, -1
                                        ; implicit-def: $vgpr2
	s_branch .LBB14_451
.LBB14_447:
	s_and_not1_saveexec_b32 s19, s19
	s_cbranch_execz .LBB14_428
.LBB14_448:
	v_cmp_ne_u16_e32 vcc_lo, 0, v3
	s_and_not1_b32 s21, s21, exec_lo
	s_and_b32 s22, vcc_lo, exec_lo
	s_delay_alu instid0(SALU_CYCLE_1)
	s_or_b32 s21, s21, s22
	s_or_b32 exec_lo, exec_lo, s19
	v_mov_b32_e32 v2, 0
	s_and_saveexec_b32 s19, s21
	s_cbranch_execnz .LBB14_429
	s_branch .LBB14_430
.LBB14_449:
	s_mov_b32 s18, -1
                                        ; implicit-def: $vgpr2
.LBB14_450:
	s_mov_b32 s21, 0
.LBB14_451:
	s_delay_alu instid0(SALU_CYCLE_1)
	s_and_b32 vcc_lo, exec_lo, s21
	s_cbranch_vccz .LBB14_455
; %bb.452:
	s_cmp_eq_u32 s0, 11
	s_cbranch_scc0 .LBB14_454
; %bb.453:
	s_wait_loadcnt 0x0
	global_load_u8 v2, v[0:1], off
	s_mov_b32 s18, 0
	s_mov_b32 s19, -1
	s_wait_loadcnt 0x0
	v_cmp_ne_u16_e32 vcc_lo, 0, v2
	v_cndmask_b32_e64 v2, 0, 1, vcc_lo
	s_branch .LBB14_455
.LBB14_454:
	s_mov_b32 s18, -1
                                        ; implicit-def: $vgpr2
.LBB14_455:
	s_branch .LBB14_261
.LBB14_456:
	s_cmp_lt_i32 s0, 5
	s_cbranch_scc1 .LBB14_461
; %bb.457:
	s_cmp_lt_i32 s0, 8
	s_cbranch_scc1 .LBB14_462
; %bb.458:
	;; [unrolled: 3-line block ×3, first 2 shown]
	s_cmp_gt_i32 s0, 9
	s_cbranch_scc0 .LBB14_464
; %bb.460:
	s_wait_loadcnt 0x0
	global_load_b64 v[2:3], v[0:1], off
	s_mov_b32 s19, 0
	s_wait_loadcnt 0x0
	v_trunc_f64_e32 v[2:3], v[2:3]
	s_delay_alu instid0(VALU_DEP_1) | instskip(NEXT) | instid1(VALU_DEP_1)
	v_ldexp_f64 v[4:5], v[2:3], 0xffffffe0
	v_floor_f64_e32 v[4:5], v[4:5]
	s_delay_alu instid0(VALU_DEP_1) | instskip(NEXT) | instid1(VALU_DEP_1)
	v_fmamk_f64 v[2:3], v[4:5], 0xc1f00000, v[2:3]
	v_cvt_u32_f64_e32 v2, v[2:3]
	s_branch .LBB14_465
.LBB14_461:
	s_mov_b32 s19, -1
                                        ; implicit-def: $vgpr2
	s_branch .LBB14_483
.LBB14_462:
	s_mov_b32 s19, -1
                                        ; implicit-def: $vgpr2
	s_branch .LBB14_471
.LBB14_463:
	s_mov_b32 s19, -1
                                        ; implicit-def: $vgpr2
	s_branch .LBB14_468
.LBB14_464:
	s_mov_b32 s19, -1
                                        ; implicit-def: $vgpr2
.LBB14_465:
	s_delay_alu instid0(SALU_CYCLE_1)
	s_and_not1_b32 vcc_lo, exec_lo, s19
	s_cbranch_vccnz .LBB14_467
; %bb.466:
	s_wait_loadcnt 0x0
	global_load_b32 v2, v[0:1], off
	s_wait_loadcnt 0x0
	v_trunc_f32_e32 v2, v2
	s_delay_alu instid0(VALU_DEP_1) | instskip(NEXT) | instid1(VALU_DEP_1)
	v_mul_f32_e64 v3, 0x2f800000, |v2|
	v_floor_f32_e32 v3, v3
	s_delay_alu instid0(VALU_DEP_1) | instskip(SKIP_1) | instid1(VALU_DEP_2)
	v_fma_f32 v3, 0xcf800000, v3, |v2|
	v_ashrrev_i32_e32 v2, 31, v2
	v_cvt_u32_f32_e32 v3, v3
	s_delay_alu instid0(VALU_DEP_1) | instskip(NEXT) | instid1(VALU_DEP_1)
	v_xor_b32_e32 v3, v3, v2
	v_sub_nc_u32_e32 v2, v3, v2
.LBB14_467:
	s_mov_b32 s19, 0
.LBB14_468:
	s_delay_alu instid0(SALU_CYCLE_1)
	s_and_not1_b32 vcc_lo, exec_lo, s19
	s_cbranch_vccnz .LBB14_470
; %bb.469:
	s_wait_loadcnt 0x0
	global_load_b32 v2, v[0:1], off
	s_wait_loadcnt 0x0
	v_cvt_f32_f16_e32 v2, v2
	s_delay_alu instid0(VALU_DEP_1)
	v_cvt_i32_f32_e32 v2, v2
.LBB14_470:
	s_mov_b32 s19, 0
.LBB14_471:
	s_delay_alu instid0(SALU_CYCLE_1)
	s_and_not1_b32 vcc_lo, exec_lo, s19
	s_cbranch_vccnz .LBB14_482
; %bb.472:
	s_cmp_lt_i32 s0, 6
	s_cbranch_scc1 .LBB14_475
; %bb.473:
	s_cmp_gt_i32 s0, 6
	s_cbranch_scc0 .LBB14_476
; %bb.474:
	s_wait_loadcnt 0x0
	global_load_b64 v[2:3], v[0:1], off
	s_mov_b32 s19, 0
	s_wait_loadcnt 0x0
	v_trunc_f64_e32 v[2:3], v[2:3]
	s_delay_alu instid0(VALU_DEP_1) | instskip(NEXT) | instid1(VALU_DEP_1)
	v_ldexp_f64 v[4:5], v[2:3], 0xffffffe0
	v_floor_f64_e32 v[4:5], v[4:5]
	s_delay_alu instid0(VALU_DEP_1) | instskip(NEXT) | instid1(VALU_DEP_1)
	v_fmamk_f64 v[2:3], v[4:5], 0xc1f00000, v[2:3]
	v_cvt_u32_f64_e32 v2, v[2:3]
	s_branch .LBB14_477
.LBB14_475:
	s_mov_b32 s19, -1
                                        ; implicit-def: $vgpr2
	s_branch .LBB14_480
.LBB14_476:
	s_mov_b32 s19, -1
                                        ; implicit-def: $vgpr2
.LBB14_477:
	s_delay_alu instid0(SALU_CYCLE_1)
	s_and_not1_b32 vcc_lo, exec_lo, s19
	s_cbranch_vccnz .LBB14_479
; %bb.478:
	s_wait_loadcnt 0x0
	global_load_b32 v2, v[0:1], off
	s_wait_loadcnt 0x0
	v_trunc_f32_e32 v2, v2
	s_delay_alu instid0(VALU_DEP_1) | instskip(NEXT) | instid1(VALU_DEP_1)
	v_mul_f32_e64 v3, 0x2f800000, |v2|
	v_floor_f32_e32 v3, v3
	s_delay_alu instid0(VALU_DEP_1) | instskip(SKIP_1) | instid1(VALU_DEP_2)
	v_fma_f32 v3, 0xcf800000, v3, |v2|
	v_ashrrev_i32_e32 v2, 31, v2
	v_cvt_u32_f32_e32 v3, v3
	s_delay_alu instid0(VALU_DEP_1) | instskip(NEXT) | instid1(VALU_DEP_1)
	v_xor_b32_e32 v3, v3, v2
	v_sub_nc_u32_e32 v2, v3, v2
.LBB14_479:
	s_mov_b32 s19, 0
.LBB14_480:
	s_delay_alu instid0(SALU_CYCLE_1)
	s_and_not1_b32 vcc_lo, exec_lo, s19
	s_cbranch_vccnz .LBB14_482
; %bb.481:
	s_wait_loadcnt 0x0
	global_load_u16 v2, v[0:1], off
	s_wait_loadcnt 0x0
	v_cvt_f32_f16_e32 v2, v2
	s_delay_alu instid0(VALU_DEP_1)
	v_cvt_i32_f32_e32 v2, v2
.LBB14_482:
	s_mov_b32 s19, 0
.LBB14_483:
	s_delay_alu instid0(SALU_CYCLE_1)
	s_and_not1_b32 vcc_lo, exec_lo, s19
	s_cbranch_vccnz .LBB14_503
; %bb.484:
	s_cmp_lt_i32 s0, 2
	s_cbranch_scc1 .LBB14_488
; %bb.485:
	s_cmp_lt_i32 s0, 3
	s_cbranch_scc1 .LBB14_489
; %bb.486:
	s_cmp_gt_i32 s0, 3
	s_cbranch_scc0 .LBB14_490
; %bb.487:
	s_wait_loadcnt 0x0
	global_load_b64 v[2:3], v[0:1], off
	s_mov_b32 s19, 0
	s_branch .LBB14_491
.LBB14_488:
	s_mov_b32 s19, -1
                                        ; implicit-def: $vgpr2
	s_branch .LBB14_497
.LBB14_489:
	s_mov_b32 s19, -1
                                        ; implicit-def: $vgpr2
	s_branch .LBB14_494
.LBB14_490:
	s_mov_b32 s19, -1
                                        ; implicit-def: $vgpr2
.LBB14_491:
	s_delay_alu instid0(SALU_CYCLE_1)
	s_and_not1_b32 vcc_lo, exec_lo, s19
	s_cbranch_vccnz .LBB14_493
; %bb.492:
	s_wait_loadcnt 0x0
	global_load_b32 v2, v[0:1], off
.LBB14_493:
	s_mov_b32 s19, 0
.LBB14_494:
	s_delay_alu instid0(SALU_CYCLE_1)
	s_and_not1_b32 vcc_lo, exec_lo, s19
	s_cbranch_vccnz .LBB14_496
; %bb.495:
	s_wait_loadcnt 0x0
	global_load_u16 v2, v[0:1], off
.LBB14_496:
	s_mov_b32 s19, 0
.LBB14_497:
	s_delay_alu instid0(SALU_CYCLE_1)
	s_and_not1_b32 vcc_lo, exec_lo, s19
	s_cbranch_vccnz .LBB14_503
; %bb.498:
	s_cmp_gt_i32 s0, 0
	s_mov_b32 s0, 0
	s_cbranch_scc0 .LBB14_500
; %bb.499:
	s_wait_loadcnt 0x0
	global_load_u8 v2, v[0:1], off
	s_branch .LBB14_501
.LBB14_500:
	s_mov_b32 s0, -1
                                        ; implicit-def: $vgpr2
.LBB14_501:
	s_delay_alu instid0(SALU_CYCLE_1)
	s_and_not1_b32 vcc_lo, exec_lo, s0
	s_cbranch_vccnz .LBB14_503
; %bb.502:
	s_wait_loadcnt 0x0
	global_load_u8 v2, v[0:1], off
.LBB14_503:
	s_branch .LBB14_262
.LBB14_504:
	s_mov_b32 s21, 0
	s_mov_b32 s0, s15
.LBB14_505:
                                        ; implicit-def: $vgpr10
.LBB14_506:
	s_and_not1_b32 s19, s15, exec_lo
	s_and_b32 s0, s0, exec_lo
	s_and_not1_b32 s22, s16, exec_lo
	s_and_b32 s18, s18, exec_lo
	s_or_b32 s19, s19, s0
	s_or_b32 s18, s22, s18
	s_or_not1_b32 s0, s21, exec_lo
.LBB14_507:
	s_wait_xcnt 0x0
	s_or_b32 exec_lo, exec_lo, s20
	s_mov_b32 s21, 0
	s_mov_b32 s22, 0
	s_mov_b32 s23, 0
                                        ; implicit-def: $vgpr0_vgpr1
                                        ; implicit-def: $vgpr2
	s_and_saveexec_b32 s20, s0
	s_cbranch_execz .LBB14_846
; %bb.508:
	s_mov_b32 s23, -1
	s_mov_b32 s0, s18
	s_mov_b32 s22, s19
	s_mov_b32 s21, exec_lo
	v_cmpx_gt_i32_e64 s14, v10
	s_cbranch_execz .LBB14_764
; %bb.509:
	v_mul_lo_u32 v0, v10, s9
	s_and_b32 s0, 0xffff, s3
	s_delay_alu instid0(SALU_CYCLE_1) | instskip(NEXT) | instid1(VALU_DEP_1)
	s_cmp_lt_i32 s0, 11
	v_ashrrev_i32_e32 v1, 31, v0
	s_delay_alu instid0(VALU_DEP_1)
	v_add_nc_u64_e32 v[0:1], s[6:7], v[0:1]
	s_cbranch_scc1 .LBB14_516
; %bb.510:
	s_cmp_gt_i32 s0, 25
	s_cbranch_scc0 .LBB14_517
; %bb.511:
	s_cmp_gt_i32 s0, 28
	s_cbranch_scc0 .LBB14_518
	;; [unrolled: 3-line block ×4, first 2 shown]
; %bb.514:
	s_cmp_eq_u32 s0, 46
	s_mov_b32 s24, 0
	s_cbranch_scc0 .LBB14_525
; %bb.515:
	s_wait_loadcnt 0x0
	global_load_b32 v2, v[0:1], off
	s_mov_b32 s22, 0
	s_wait_loadcnt 0x0
	v_lshlrev_b32_e32 v2, 16, v2
	s_delay_alu instid0(VALU_DEP_1) | instskip(NEXT) | instid1(VALU_DEP_1)
	v_trunc_f32_e32 v2, v2
	v_mul_f32_e64 v3, 0x2f800000, |v2|
	s_delay_alu instid0(VALU_DEP_1) | instskip(NEXT) | instid1(VALU_DEP_1)
	v_floor_f32_e32 v3, v3
	v_fma_f32 v3, 0xcf800000, v3, |v2|
	v_ashrrev_i32_e32 v2, 31, v2
	s_delay_alu instid0(VALU_DEP_2) | instskip(NEXT) | instid1(VALU_DEP_1)
	v_cvt_u32_f32_e32 v3, v3
	v_xor_b32_e32 v3, v3, v2
	s_delay_alu instid0(VALU_DEP_1)
	v_sub_nc_u32_e32 v2, v3, v2
	s_branch .LBB14_527
.LBB14_516:
	s_mov_b32 s24, -1
	s_mov_b32 s23, 0
	s_mov_b32 s22, s18
                                        ; implicit-def: $vgpr2
	s_branch .LBB14_588
.LBB14_517:
	s_mov_b32 s24, -1
	s_mov_b32 s23, 0
	s_mov_b32 s22, s18
                                        ; implicit-def: $vgpr2
	s_branch .LBB14_554
.LBB14_518:
	s_mov_b32 s24, -1
	s_mov_b32 s23, 0
	s_mov_b32 s22, s18
                                        ; implicit-def: $vgpr2
	s_branch .LBB14_537
.LBB14_519:
	s_mov_b32 s24, -1
	s_mov_b32 s23, 0
	s_mov_b32 s22, s18
                                        ; implicit-def: $vgpr2
	s_branch .LBB14_532
.LBB14_520:
	s_and_not1_saveexec_b32 s25, s25
	s_cbranch_execz .LBB14_308
.LBB14_521:
	v_add_f32_e32 v2, 0x46000000, v3
	s_and_not1_b32 s24, s24, exec_lo
	s_delay_alu instid0(VALU_DEP_1) | instskip(NEXT) | instid1(VALU_DEP_1)
	v_and_b32_e32 v2, 0xff, v2
	v_cmp_ne_u32_e32 vcc_lo, 0, v2
	s_and_b32 s26, vcc_lo, exec_lo
	s_delay_alu instid0(SALU_CYCLE_1)
	s_or_b32 s24, s24, s26
	s_or_b32 exec_lo, exec_lo, s25
	v_mov_b32_e32 v4, 0
	s_and_saveexec_b32 s25, s24
	s_cbranch_execnz .LBB14_309
	s_branch .LBB14_310
.LBB14_522:
	s_mov_b32 s24, -1
	s_mov_b32 s23, 0
	s_mov_b32 s22, s18
	s_branch .LBB14_526
.LBB14_523:
	s_and_not1_saveexec_b32 s25, s25
	s_cbranch_execz .LBB14_321
.LBB14_524:
	v_add_f32_e32 v2, 0x42800000, v3
	s_and_not1_b32 s24, s24, exec_lo
	s_delay_alu instid0(VALU_DEP_1) | instskip(NEXT) | instid1(VALU_DEP_1)
	v_and_b32_e32 v2, 0xff, v2
	v_cmp_ne_u32_e32 vcc_lo, 0, v2
	s_and_b32 s26, vcc_lo, exec_lo
	s_delay_alu instid0(SALU_CYCLE_1)
	s_or_b32 s24, s24, s26
	s_or_b32 exec_lo, exec_lo, s25
	v_mov_b32_e32 v4, 0
	s_and_saveexec_b32 s25, s24
	s_cbranch_execnz .LBB14_322
	s_branch .LBB14_323
.LBB14_525:
	s_mov_b32 s22, -1
	s_mov_b32 s23, 0
.LBB14_526:
                                        ; implicit-def: $vgpr2
.LBB14_527:
	s_and_b32 vcc_lo, exec_lo, s24
	s_cbranch_vccz .LBB14_531
; %bb.528:
	s_cmp_eq_u32 s0, 44
	s_cbranch_scc0 .LBB14_530
; %bb.529:
	s_wait_loadcnt 0x0
	global_load_u8 v2, v[0:1], off
	s_mov_b32 s22, 0
	s_mov_b32 s23, -1
	s_wait_loadcnt 0x0
	v_lshlrev_b32_e32 v3, 23, v2
	v_cmp_ne_u32_e32 vcc_lo, 0, v2
	s_delay_alu instid0(VALU_DEP_2) | instskip(NEXT) | instid1(VALU_DEP_1)
	v_trunc_f32_e32 v3, v3
	v_mul_f32_e64 v4, 0x2f800000, |v3|
	s_delay_alu instid0(VALU_DEP_1) | instskip(NEXT) | instid1(VALU_DEP_1)
	v_floor_f32_e32 v4, v4
	v_fma_f32 v4, 0xcf800000, v4, |v3|
	v_ashrrev_i32_e32 v3, 31, v3
	s_delay_alu instid0(VALU_DEP_2) | instskip(NEXT) | instid1(VALU_DEP_1)
	v_cvt_u32_f32_e32 v4, v4
	v_xor_b32_e32 v4, v4, v3
	s_delay_alu instid0(VALU_DEP_1) | instskip(NEXT) | instid1(VALU_DEP_1)
	v_sub_nc_u32_e32 v3, v4, v3
	v_cndmask_b32_e32 v2, 0, v3, vcc_lo
	s_branch .LBB14_531
.LBB14_530:
	s_mov_b32 s22, -1
                                        ; implicit-def: $vgpr2
.LBB14_531:
	s_mov_b32 s24, 0
.LBB14_532:
	s_delay_alu instid0(SALU_CYCLE_1)
	s_and_b32 vcc_lo, exec_lo, s24
	s_cbranch_vccz .LBB14_536
; %bb.533:
	s_cmp_eq_u32 s0, 29
	s_cbranch_scc0 .LBB14_535
; %bb.534:
	s_wait_loadcnt 0x0
	global_load_b64 v[2:3], v[0:1], off
	s_mov_b32 s23, -1
	s_mov_b32 s22, 0
	s_branch .LBB14_536
.LBB14_535:
	s_mov_b32 s22, -1
                                        ; implicit-def: $vgpr2
.LBB14_536:
	s_mov_b32 s24, 0
.LBB14_537:
	s_delay_alu instid0(SALU_CYCLE_1)
	s_and_b32 vcc_lo, exec_lo, s24
	s_cbranch_vccz .LBB14_553
; %bb.538:
	s_cmp_lt_i32 s0, 27
	s_cbranch_scc1 .LBB14_541
; %bb.539:
	s_cmp_gt_i32 s0, 27
	s_cbranch_scc0 .LBB14_542
; %bb.540:
	s_wait_loadcnt 0x0
	global_load_b32 v2, v[0:1], off
	s_mov_b32 s23, 0
	s_branch .LBB14_543
.LBB14_541:
	s_mov_b32 s23, -1
                                        ; implicit-def: $vgpr2
	s_branch .LBB14_546
.LBB14_542:
	s_mov_b32 s23, -1
                                        ; implicit-def: $vgpr2
.LBB14_543:
	s_delay_alu instid0(SALU_CYCLE_1)
	s_and_not1_b32 vcc_lo, exec_lo, s23
	s_cbranch_vccnz .LBB14_545
; %bb.544:
	s_wait_loadcnt 0x0
	global_load_u16 v2, v[0:1], off
.LBB14_545:
	s_mov_b32 s23, 0
.LBB14_546:
	s_delay_alu instid0(SALU_CYCLE_1)
	s_and_not1_b32 vcc_lo, exec_lo, s23
	s_cbranch_vccnz .LBB14_552
; %bb.547:
	s_wait_loadcnt 0x0
	global_load_u8 v3, v[0:1], off
	s_mov_b32 s24, 0
	s_mov_b32 s23, exec_lo
	s_wait_loadcnt 0x0
	v_cmpx_lt_i16_e32 0x7f, v3
	s_xor_b32 s23, exec_lo, s23
	s_cbranch_execz .LBB14_564
; %bb.548:
	v_cmp_ne_u16_e32 vcc_lo, 0x80, v3
	s_and_b32 s24, vcc_lo, exec_lo
	s_and_not1_saveexec_b32 s23, s23
	s_cbranch_execnz .LBB14_565
.LBB14_549:
	s_or_b32 exec_lo, exec_lo, s23
	v_mov_b32_e32 v2, 0
	s_and_saveexec_b32 s23, s24
	s_cbranch_execz .LBB14_551
.LBB14_550:
	v_and_b32_e32 v2, 0xffff, v3
	s_delay_alu instid0(VALU_DEP_1) | instskip(SKIP_1) | instid1(VALU_DEP_2)
	v_and_b32_e32 v4, 7, v2
	v_bfe_u32 v7, v2, 3, 4
	v_clz_i32_u32_e32 v5, v4
	s_delay_alu instid0(VALU_DEP_2) | instskip(NEXT) | instid1(VALU_DEP_2)
	v_cmp_eq_u32_e32 vcc_lo, 0, v7
	v_min_u32_e32 v5, 32, v5
	s_delay_alu instid0(VALU_DEP_1) | instskip(NEXT) | instid1(VALU_DEP_1)
	v_subrev_nc_u32_e32 v6, 28, v5
	v_dual_lshlrev_b32 v2, v6, v2 :: v_dual_sub_nc_u32 v5, 29, v5
	s_delay_alu instid0(VALU_DEP_1) | instskip(NEXT) | instid1(VALU_DEP_1)
	v_dual_lshlrev_b32 v3, 24, v3 :: v_dual_bitop2_b32 v2, 7, v2 bitop3:0x40
	v_dual_cndmask_b32 v5, v7, v5 :: v_dual_cndmask_b32 v2, v4, v2
	s_delay_alu instid0(VALU_DEP_2) | instskip(NEXT) | instid1(VALU_DEP_2)
	v_and_b32_e32 v3, 0x80000000, v3
	v_lshl_add_u32 v4, v5, 23, 0x3b800000
	s_delay_alu instid0(VALU_DEP_3) | instskip(NEXT) | instid1(VALU_DEP_1)
	v_lshlrev_b32_e32 v2, 20, v2
	v_or3_b32 v2, v3, v4, v2
	s_delay_alu instid0(VALU_DEP_1) | instskip(NEXT) | instid1(VALU_DEP_1)
	v_trunc_f32_e32 v2, v2
	v_mul_f32_e64 v3, 0x2f800000, |v2|
	s_delay_alu instid0(VALU_DEP_1) | instskip(NEXT) | instid1(VALU_DEP_1)
	v_floor_f32_e32 v3, v3
	v_fma_f32 v3, 0xcf800000, v3, |v2|
	v_ashrrev_i32_e32 v2, 31, v2
	s_delay_alu instid0(VALU_DEP_2) | instskip(NEXT) | instid1(VALU_DEP_1)
	v_cvt_u32_f32_e32 v3, v3
	v_xor_b32_e32 v3, v3, v2
	s_delay_alu instid0(VALU_DEP_1)
	v_sub_nc_u32_e32 v2, v3, v2
.LBB14_551:
	s_or_b32 exec_lo, exec_lo, s23
.LBB14_552:
	s_mov_b32 s23, -1
.LBB14_553:
	s_mov_b32 s24, 0
.LBB14_554:
	s_delay_alu instid0(SALU_CYCLE_1)
	s_and_b32 vcc_lo, exec_lo, s24
	s_cbranch_vccz .LBB14_587
; %bb.555:
	s_cmp_gt_i32 s0, 22
	s_cbranch_scc0 .LBB14_563
; %bb.556:
	s_cmp_lt_i32 s0, 24
	s_cbranch_scc1 .LBB14_566
; %bb.557:
	s_cmp_gt_i32 s0, 24
	s_cbranch_scc0 .LBB14_567
; %bb.558:
	s_wait_loadcnt 0x0
	global_load_u8 v3, v[0:1], off
	s_mov_b32 s24, 0
	s_mov_b32 s23, exec_lo
	s_wait_loadcnt 0x0
	v_cmpx_lt_i16_e32 0x7f, v3
	s_xor_b32 s23, exec_lo, s23
	s_cbranch_execz .LBB14_579
; %bb.559:
	v_cmp_ne_u16_e32 vcc_lo, 0x80, v3
	s_and_b32 s24, vcc_lo, exec_lo
	s_and_not1_saveexec_b32 s23, s23
	s_cbranch_execnz .LBB14_580
.LBB14_560:
	s_or_b32 exec_lo, exec_lo, s23
	v_mov_b32_e32 v2, 0
	s_and_saveexec_b32 s23, s24
	s_cbranch_execz .LBB14_562
.LBB14_561:
	v_and_b32_e32 v2, 0xffff, v3
	s_delay_alu instid0(VALU_DEP_1) | instskip(SKIP_1) | instid1(VALU_DEP_2)
	v_and_b32_e32 v4, 3, v2
	v_bfe_u32 v7, v2, 2, 5
	v_clz_i32_u32_e32 v5, v4
	s_delay_alu instid0(VALU_DEP_2) | instskip(NEXT) | instid1(VALU_DEP_2)
	v_cmp_eq_u32_e32 vcc_lo, 0, v7
	v_min_u32_e32 v5, 32, v5
	s_delay_alu instid0(VALU_DEP_1) | instskip(NEXT) | instid1(VALU_DEP_1)
	v_subrev_nc_u32_e32 v6, 29, v5
	v_dual_lshlrev_b32 v2, v6, v2 :: v_dual_sub_nc_u32 v5, 30, v5
	s_delay_alu instid0(VALU_DEP_1) | instskip(NEXT) | instid1(VALU_DEP_1)
	v_dual_lshlrev_b32 v3, 24, v3 :: v_dual_bitop2_b32 v2, 3, v2 bitop3:0x40
	v_dual_cndmask_b32 v5, v7, v5 :: v_dual_cndmask_b32 v2, v4, v2
	s_delay_alu instid0(VALU_DEP_2) | instskip(NEXT) | instid1(VALU_DEP_2)
	v_and_b32_e32 v3, 0x80000000, v3
	v_lshl_add_u32 v4, v5, 23, 0x37800000
	s_delay_alu instid0(VALU_DEP_3) | instskip(NEXT) | instid1(VALU_DEP_1)
	v_lshlrev_b32_e32 v2, 21, v2
	v_or3_b32 v2, v3, v4, v2
	s_delay_alu instid0(VALU_DEP_1) | instskip(NEXT) | instid1(VALU_DEP_1)
	v_trunc_f32_e32 v2, v2
	v_mul_f32_e64 v3, 0x2f800000, |v2|
	s_delay_alu instid0(VALU_DEP_1) | instskip(NEXT) | instid1(VALU_DEP_1)
	v_floor_f32_e32 v3, v3
	v_fma_f32 v3, 0xcf800000, v3, |v2|
	v_ashrrev_i32_e32 v2, 31, v2
	s_delay_alu instid0(VALU_DEP_2) | instskip(NEXT) | instid1(VALU_DEP_1)
	v_cvt_u32_f32_e32 v3, v3
	v_xor_b32_e32 v3, v3, v2
	s_delay_alu instid0(VALU_DEP_1)
	v_sub_nc_u32_e32 v2, v3, v2
.LBB14_562:
	s_or_b32 exec_lo, exec_lo, s23
	s_mov_b32 s23, 0
	s_branch .LBB14_568
.LBB14_563:
	s_mov_b32 s24, -1
                                        ; implicit-def: $vgpr2
	s_branch .LBB14_574
.LBB14_564:
	s_and_not1_saveexec_b32 s23, s23
	s_cbranch_execz .LBB14_549
.LBB14_565:
	v_cmp_ne_u16_e32 vcc_lo, 0, v3
	s_and_not1_b32 s24, s24, exec_lo
	s_and_b32 s25, vcc_lo, exec_lo
	s_delay_alu instid0(SALU_CYCLE_1)
	s_or_b32 s24, s24, s25
	s_or_b32 exec_lo, exec_lo, s23
	v_mov_b32_e32 v2, 0
	s_and_saveexec_b32 s23, s24
	s_cbranch_execnz .LBB14_550
	s_branch .LBB14_551
.LBB14_566:
	s_mov_b32 s23, -1
                                        ; implicit-def: $vgpr2
	s_branch .LBB14_571
.LBB14_567:
	s_mov_b32 s23, -1
                                        ; implicit-def: $vgpr2
.LBB14_568:
	s_delay_alu instid0(SALU_CYCLE_1)
	s_and_b32 vcc_lo, exec_lo, s23
	s_cbranch_vccz .LBB14_570
; %bb.569:
	s_wait_loadcnt 0x0
	global_load_u8 v2, v[0:1], off
	s_wait_loadcnt 0x0
	v_lshlrev_b32_e32 v2, 24, v2
	s_delay_alu instid0(VALU_DEP_1) | instskip(NEXT) | instid1(VALU_DEP_1)
	v_and_b32_e32 v3, 0x7f000000, v2
	v_clz_i32_u32_e32 v4, v3
	v_cmp_ne_u32_e32 vcc_lo, 0, v3
	v_add_nc_u32_e32 v6, 0x1000000, v3
	s_delay_alu instid0(VALU_DEP_3) | instskip(NEXT) | instid1(VALU_DEP_1)
	v_min_u32_e32 v4, 32, v4
	v_sub_nc_u32_e64 v4, v4, 4 clamp
	s_delay_alu instid0(VALU_DEP_1) | instskip(NEXT) | instid1(VALU_DEP_1)
	v_dual_lshlrev_b32 v5, v4, v3 :: v_dual_lshlrev_b32 v4, 23, v4
	v_lshrrev_b32_e32 v5, 4, v5
	s_delay_alu instid0(VALU_DEP_1) | instskip(NEXT) | instid1(VALU_DEP_1)
	v_dual_sub_nc_u32 v4, v5, v4 :: v_dual_ashrrev_i32 v5, 8, v6
	v_add_nc_u32_e32 v4, 0x3c000000, v4
	s_delay_alu instid0(VALU_DEP_1) | instskip(NEXT) | instid1(VALU_DEP_1)
	v_and_or_b32 v4, 0x7f800000, v5, v4
	v_cndmask_b32_e32 v3, 0, v4, vcc_lo
	s_delay_alu instid0(VALU_DEP_1) | instskip(NEXT) | instid1(VALU_DEP_1)
	v_and_or_b32 v2, 0x80000000, v2, v3
	v_trunc_f32_e32 v2, v2
	s_delay_alu instid0(VALU_DEP_1) | instskip(NEXT) | instid1(VALU_DEP_1)
	v_mul_f32_e64 v3, 0x2f800000, |v2|
	v_floor_f32_e32 v3, v3
	s_delay_alu instid0(VALU_DEP_1) | instskip(SKIP_1) | instid1(VALU_DEP_2)
	v_fma_f32 v3, 0xcf800000, v3, |v2|
	v_ashrrev_i32_e32 v2, 31, v2
	v_cvt_u32_f32_e32 v3, v3
	s_delay_alu instid0(VALU_DEP_1) | instskip(NEXT) | instid1(VALU_DEP_1)
	v_xor_b32_e32 v3, v3, v2
	v_sub_nc_u32_e32 v2, v3, v2
.LBB14_570:
	s_mov_b32 s23, 0
.LBB14_571:
	s_delay_alu instid0(SALU_CYCLE_1)
	s_and_not1_b32 vcc_lo, exec_lo, s23
	s_cbranch_vccnz .LBB14_573
; %bb.572:
	s_wait_loadcnt 0x0
	global_load_u8 v2, v[0:1], off
	s_wait_loadcnt 0x0
	v_lshlrev_b32_e32 v3, 25, v2
	v_lshlrev_b16 v2, 8, v2
	s_delay_alu instid0(VALU_DEP_1) | instskip(SKIP_1) | instid1(VALU_DEP_2)
	v_and_or_b32 v5, 0x7f00, v2, 0.5
	v_bfe_i32 v2, v2, 0, 16
	v_dual_add_f32 v5, -0.5, v5 :: v_dual_lshrrev_b32 v4, 4, v3
	v_cmp_gt_u32_e32 vcc_lo, 0x8000000, v3
	s_delay_alu instid0(VALU_DEP_2) | instskip(NEXT) | instid1(VALU_DEP_1)
	v_or_b32_e32 v4, 0x70000000, v4
	v_mul_f32_e32 v4, 0x7800000, v4
	s_delay_alu instid0(VALU_DEP_1) | instskip(NEXT) | instid1(VALU_DEP_1)
	v_cndmask_b32_e32 v3, v4, v5, vcc_lo
	v_and_or_b32 v2, 0x80000000, v2, v3
	s_delay_alu instid0(VALU_DEP_1) | instskip(NEXT) | instid1(VALU_DEP_1)
	v_trunc_f32_e32 v2, v2
	v_mul_f32_e64 v3, 0x2f800000, |v2|
	s_delay_alu instid0(VALU_DEP_1) | instskip(NEXT) | instid1(VALU_DEP_1)
	v_floor_f32_e32 v3, v3
	v_fma_f32 v3, 0xcf800000, v3, |v2|
	v_ashrrev_i32_e32 v2, 31, v2
	s_delay_alu instid0(VALU_DEP_2) | instskip(NEXT) | instid1(VALU_DEP_1)
	v_cvt_u32_f32_e32 v3, v3
	v_xor_b32_e32 v3, v3, v2
	s_delay_alu instid0(VALU_DEP_1)
	v_sub_nc_u32_e32 v2, v3, v2
.LBB14_573:
	s_mov_b32 s24, 0
	s_mov_b32 s23, -1
.LBB14_574:
	s_and_not1_b32 vcc_lo, exec_lo, s24
	s_cbranch_vccnz .LBB14_587
; %bb.575:
	s_cmp_gt_i32 s0, 14
	s_cbranch_scc0 .LBB14_578
; %bb.576:
	s_cmp_eq_u32 s0, 15
	s_cbranch_scc0 .LBB14_581
; %bb.577:
	s_wait_loadcnt 0x0
	global_load_u16 v2, v[0:1], off
	s_mov_b32 s23, -1
	s_mov_b32 s22, 0
	s_wait_loadcnt 0x0
	v_lshlrev_b32_e32 v2, 16, v2
	s_delay_alu instid0(VALU_DEP_1) | instskip(NEXT) | instid1(VALU_DEP_1)
	v_trunc_f32_e32 v2, v2
	v_mul_f32_e64 v3, 0x2f800000, |v2|
	s_delay_alu instid0(VALU_DEP_1) | instskip(NEXT) | instid1(VALU_DEP_1)
	v_floor_f32_e32 v3, v3
	v_fma_f32 v3, 0xcf800000, v3, |v2|
	v_ashrrev_i32_e32 v2, 31, v2
	s_delay_alu instid0(VALU_DEP_2) | instskip(NEXT) | instid1(VALU_DEP_1)
	v_cvt_u32_f32_e32 v3, v3
	v_xor_b32_e32 v3, v3, v2
	s_delay_alu instid0(VALU_DEP_1)
	v_sub_nc_u32_e32 v2, v3, v2
	s_branch .LBB14_582
.LBB14_578:
	s_mov_b32 s24, -1
                                        ; implicit-def: $vgpr2
	s_branch .LBB14_583
.LBB14_579:
	s_and_not1_saveexec_b32 s23, s23
	s_cbranch_execz .LBB14_560
.LBB14_580:
	v_cmp_ne_u16_e32 vcc_lo, 0, v3
	s_and_not1_b32 s24, s24, exec_lo
	s_and_b32 s25, vcc_lo, exec_lo
	s_delay_alu instid0(SALU_CYCLE_1)
	s_or_b32 s24, s24, s25
	s_or_b32 exec_lo, exec_lo, s23
	v_mov_b32_e32 v2, 0
	s_and_saveexec_b32 s23, s24
	s_cbranch_execnz .LBB14_561
	s_branch .LBB14_562
.LBB14_581:
	s_mov_b32 s22, -1
                                        ; implicit-def: $vgpr2
.LBB14_582:
	s_mov_b32 s24, 0
.LBB14_583:
	s_delay_alu instid0(SALU_CYCLE_1)
	s_and_b32 vcc_lo, exec_lo, s24
	s_cbranch_vccz .LBB14_587
; %bb.584:
	s_cmp_eq_u32 s0, 11
	s_cbranch_scc0 .LBB14_586
; %bb.585:
	s_wait_loadcnt 0x0
	global_load_u8 v2, v[0:1], off
	s_mov_b32 s22, 0
	s_mov_b32 s23, -1
	s_wait_loadcnt 0x0
	v_cmp_ne_u16_e32 vcc_lo, 0, v2
	v_cndmask_b32_e64 v2, 0, 1, vcc_lo
	s_branch .LBB14_587
.LBB14_586:
	s_mov_b32 s22, -1
                                        ; implicit-def: $vgpr2
.LBB14_587:
	s_mov_b32 s24, 0
.LBB14_588:
	s_delay_alu instid0(SALU_CYCLE_1)
	s_and_b32 vcc_lo, exec_lo, s24
	s_cbranch_vccz .LBB14_637
; %bb.589:
	s_cmp_lt_i32 s0, 5
	s_cbranch_scc1 .LBB14_594
; %bb.590:
	s_cmp_lt_i32 s0, 8
	s_cbranch_scc1 .LBB14_595
	;; [unrolled: 3-line block ×3, first 2 shown]
; %bb.592:
	s_cmp_gt_i32 s0, 9
	s_cbranch_scc0 .LBB14_597
; %bb.593:
	s_wait_loadcnt 0x0
	global_load_b64 v[2:3], v[0:1], off
	s_mov_b32 s23, 0
	s_wait_loadcnt 0x0
	v_trunc_f64_e32 v[2:3], v[2:3]
	s_delay_alu instid0(VALU_DEP_1) | instskip(NEXT) | instid1(VALU_DEP_1)
	v_ldexp_f64 v[4:5], v[2:3], 0xffffffe0
	v_floor_f64_e32 v[4:5], v[4:5]
	s_delay_alu instid0(VALU_DEP_1) | instskip(NEXT) | instid1(VALU_DEP_1)
	v_fmamk_f64 v[2:3], v[4:5], 0xc1f00000, v[2:3]
	v_cvt_u32_f64_e32 v2, v[2:3]
	s_branch .LBB14_598
.LBB14_594:
	s_mov_b32 s23, -1
                                        ; implicit-def: $vgpr2
	s_branch .LBB14_616
.LBB14_595:
	s_mov_b32 s23, -1
                                        ; implicit-def: $vgpr2
	s_branch .LBB14_604
.LBB14_596:
	s_mov_b32 s23, -1
                                        ; implicit-def: $vgpr2
	s_branch .LBB14_601
.LBB14_597:
	s_mov_b32 s23, -1
                                        ; implicit-def: $vgpr2
.LBB14_598:
	s_delay_alu instid0(SALU_CYCLE_1)
	s_and_not1_b32 vcc_lo, exec_lo, s23
	s_cbranch_vccnz .LBB14_600
; %bb.599:
	s_wait_loadcnt 0x0
	global_load_b32 v2, v[0:1], off
	s_wait_loadcnt 0x0
	v_trunc_f32_e32 v2, v2
	s_delay_alu instid0(VALU_DEP_1) | instskip(NEXT) | instid1(VALU_DEP_1)
	v_mul_f32_e64 v3, 0x2f800000, |v2|
	v_floor_f32_e32 v3, v3
	s_delay_alu instid0(VALU_DEP_1) | instskip(SKIP_1) | instid1(VALU_DEP_2)
	v_fma_f32 v3, 0xcf800000, v3, |v2|
	v_ashrrev_i32_e32 v2, 31, v2
	v_cvt_u32_f32_e32 v3, v3
	s_delay_alu instid0(VALU_DEP_1) | instskip(NEXT) | instid1(VALU_DEP_1)
	v_xor_b32_e32 v3, v3, v2
	v_sub_nc_u32_e32 v2, v3, v2
.LBB14_600:
	s_mov_b32 s23, 0
.LBB14_601:
	s_delay_alu instid0(SALU_CYCLE_1)
	s_and_not1_b32 vcc_lo, exec_lo, s23
	s_cbranch_vccnz .LBB14_603
; %bb.602:
	s_wait_loadcnt 0x0
	global_load_b32 v2, v[0:1], off
	s_wait_loadcnt 0x0
	v_cvt_f32_f16_e32 v2, v2
	s_delay_alu instid0(VALU_DEP_1)
	v_cvt_i32_f32_e32 v2, v2
.LBB14_603:
	s_mov_b32 s23, 0
.LBB14_604:
	s_delay_alu instid0(SALU_CYCLE_1)
	s_and_not1_b32 vcc_lo, exec_lo, s23
	s_cbranch_vccnz .LBB14_615
; %bb.605:
	s_cmp_lt_i32 s0, 6
	s_cbranch_scc1 .LBB14_608
; %bb.606:
	s_cmp_gt_i32 s0, 6
	s_cbranch_scc0 .LBB14_609
; %bb.607:
	s_wait_loadcnt 0x0
	global_load_b64 v[2:3], v[0:1], off
	s_mov_b32 s23, 0
	s_wait_loadcnt 0x0
	v_trunc_f64_e32 v[2:3], v[2:3]
	s_delay_alu instid0(VALU_DEP_1) | instskip(NEXT) | instid1(VALU_DEP_1)
	v_ldexp_f64 v[4:5], v[2:3], 0xffffffe0
	v_floor_f64_e32 v[4:5], v[4:5]
	s_delay_alu instid0(VALU_DEP_1) | instskip(NEXT) | instid1(VALU_DEP_1)
	v_fmamk_f64 v[2:3], v[4:5], 0xc1f00000, v[2:3]
	v_cvt_u32_f64_e32 v2, v[2:3]
	s_branch .LBB14_610
.LBB14_608:
	s_mov_b32 s23, -1
                                        ; implicit-def: $vgpr2
	s_branch .LBB14_613
.LBB14_609:
	s_mov_b32 s23, -1
                                        ; implicit-def: $vgpr2
.LBB14_610:
	s_delay_alu instid0(SALU_CYCLE_1)
	s_and_not1_b32 vcc_lo, exec_lo, s23
	s_cbranch_vccnz .LBB14_612
; %bb.611:
	s_wait_loadcnt 0x0
	global_load_b32 v2, v[0:1], off
	s_wait_loadcnt 0x0
	v_trunc_f32_e32 v2, v2
	s_delay_alu instid0(VALU_DEP_1) | instskip(NEXT) | instid1(VALU_DEP_1)
	v_mul_f32_e64 v3, 0x2f800000, |v2|
	v_floor_f32_e32 v3, v3
	s_delay_alu instid0(VALU_DEP_1) | instskip(SKIP_1) | instid1(VALU_DEP_2)
	v_fma_f32 v3, 0xcf800000, v3, |v2|
	v_ashrrev_i32_e32 v2, 31, v2
	v_cvt_u32_f32_e32 v3, v3
	s_delay_alu instid0(VALU_DEP_1) | instskip(NEXT) | instid1(VALU_DEP_1)
	v_xor_b32_e32 v3, v3, v2
	v_sub_nc_u32_e32 v2, v3, v2
.LBB14_612:
	s_mov_b32 s23, 0
.LBB14_613:
	s_delay_alu instid0(SALU_CYCLE_1)
	s_and_not1_b32 vcc_lo, exec_lo, s23
	s_cbranch_vccnz .LBB14_615
; %bb.614:
	s_wait_loadcnt 0x0
	global_load_u16 v2, v[0:1], off
	s_wait_loadcnt 0x0
	v_cvt_f32_f16_e32 v2, v2
	s_delay_alu instid0(VALU_DEP_1)
	v_cvt_i32_f32_e32 v2, v2
.LBB14_615:
	s_mov_b32 s23, 0
.LBB14_616:
	s_delay_alu instid0(SALU_CYCLE_1)
	s_and_not1_b32 vcc_lo, exec_lo, s23
	s_cbranch_vccnz .LBB14_636
; %bb.617:
	s_cmp_lt_i32 s0, 2
	s_cbranch_scc1 .LBB14_621
; %bb.618:
	s_cmp_lt_i32 s0, 3
	s_cbranch_scc1 .LBB14_622
; %bb.619:
	s_cmp_gt_i32 s0, 3
	s_cbranch_scc0 .LBB14_623
; %bb.620:
	s_wait_loadcnt 0x0
	global_load_b64 v[2:3], v[0:1], off
	s_mov_b32 s23, 0
	s_branch .LBB14_624
.LBB14_621:
	s_mov_b32 s23, -1
                                        ; implicit-def: $vgpr2
	s_branch .LBB14_630
.LBB14_622:
	s_mov_b32 s23, -1
                                        ; implicit-def: $vgpr2
	s_branch .LBB14_627
.LBB14_623:
	s_mov_b32 s23, -1
                                        ; implicit-def: $vgpr2
.LBB14_624:
	s_delay_alu instid0(SALU_CYCLE_1)
	s_and_not1_b32 vcc_lo, exec_lo, s23
	s_cbranch_vccnz .LBB14_626
; %bb.625:
	s_wait_loadcnt 0x0
	global_load_b32 v2, v[0:1], off
.LBB14_626:
	s_mov_b32 s23, 0
.LBB14_627:
	s_delay_alu instid0(SALU_CYCLE_1)
	s_and_not1_b32 vcc_lo, exec_lo, s23
	s_cbranch_vccnz .LBB14_629
; %bb.628:
	s_wait_loadcnt 0x0
	global_load_u16 v2, v[0:1], off
.LBB14_629:
	s_mov_b32 s23, 0
.LBB14_630:
	s_delay_alu instid0(SALU_CYCLE_1)
	s_and_not1_b32 vcc_lo, exec_lo, s23
	s_cbranch_vccnz .LBB14_636
; %bb.631:
	s_cmp_gt_i32 s0, 0
	s_mov_b32 s0, 0
	s_cbranch_scc0 .LBB14_633
; %bb.632:
	s_wait_loadcnt 0x0
	global_load_u8 v2, v[0:1], off
	s_branch .LBB14_634
.LBB14_633:
	s_mov_b32 s0, -1
                                        ; implicit-def: $vgpr2
.LBB14_634:
	s_delay_alu instid0(SALU_CYCLE_1)
	s_and_not1_b32 vcc_lo, exec_lo, s0
	s_cbranch_vccnz .LBB14_636
; %bb.635:
	s_wait_loadcnt 0x0
	global_load_u8 v2, v[0:1], off
.LBB14_636:
	s_mov_b32 s23, -1
.LBB14_637:
	s_delay_alu instid0(SALU_CYCLE_1)
	s_and_not1_b32 vcc_lo, exec_lo, s23
	s_cbranch_vccnz .LBB14_645
; %bb.638:
	s_wait_xcnt 0x0
	v_mul_lo_u32 v0, v10, s8
	s_wait_loadcnt 0x0
	s_delay_alu instid0(VALU_DEP_2) | instskip(SKIP_2) | instid1(VALU_DEP_1)
	v_and_b32_e32 v2, 0xff, v2
	s_and_b32 s0, s11, 0xff
	s_and_b32 s24, s2, 0xff
	v_cmp_ne_u16_e32 vcc_lo, s0, v2
	s_xor_b32 s23, s13, vcc_lo
	s_delay_alu instid0(VALU_DEP_3) | instskip(SKIP_1) | instid1(VALU_DEP_1)
	v_ashrrev_i32_e32 v1, 31, v0
	s_cmp_lt_i32 s24, 11
	v_add_nc_u64_e32 v[0:1], s[4:5], v[0:1]
	s_cbranch_scc1 .LBB14_646
; %bb.639:
	s_and_b32 s25, 0xffff, s24
	s_delay_alu instid0(SALU_CYCLE_1)
	s_cmp_gt_i32 s25, 25
	s_cbranch_scc0 .LBB14_647
; %bb.640:
	s_cmp_gt_i32 s25, 28
	s_cbranch_scc0 .LBB14_648
; %bb.641:
	;; [unrolled: 3-line block ×4, first 2 shown]
	s_mov_b32 s27, 0
	s_mov_b32 s0, -1
	s_cmp_eq_u32 s25, 46
	s_mov_b32 s26, 0
	s_cbranch_scc0 .LBB14_651
; %bb.644:
	v_cndmask_b32_e64 v2, 0, 1.0, s23
	s_mov_b32 s26, -1
	s_mov_b32 s0, 0
	s_delay_alu instid0(VALU_DEP_1) | instskip(NEXT) | instid1(VALU_DEP_1)
	v_bfe_u32 v3, v2, 16, 1
	v_add3_u32 v2, v2, v3, 0x7fff
	s_delay_alu instid0(VALU_DEP_1)
	v_lshrrev_b32_e32 v2, 16, v2
	global_store_b32 v[0:1], v2, off
	s_branch .LBB14_651
.LBB14_645:
	s_mov_b32 s23, 0
	s_mov_b32 s0, s19
	s_branch .LBB14_762
.LBB14_646:
	s_mov_b32 s25, -1
	s_mov_b32 s26, 0
	s_mov_b32 s0, s19
	s_branch .LBB14_720
.LBB14_647:
	s_mov_b32 s27, -1
	s_mov_b32 s26, 0
	s_mov_b32 s0, s19
	s_branch .LBB14_678
.LBB14_648:
	s_mov_b32 s27, -1
	s_mov_b32 s26, 0
	s_mov_b32 s0, s19
	s_branch .LBB14_661
.LBB14_649:
	s_mov_b32 s27, -1
	s_mov_b32 s26, 0
	s_mov_b32 s0, s19
	s_branch .LBB14_657
.LBB14_650:
	s_mov_b32 s27, -1
	s_mov_b32 s26, 0
	s_mov_b32 s0, s19
.LBB14_651:
	s_and_b32 vcc_lo, exec_lo, s27
	s_cbranch_vccz .LBB14_656
; %bb.652:
	s_cmp_eq_u32 s25, 44
	s_mov_b32 s0, -1
	s_cbranch_scc0 .LBB14_656
; %bb.653:
	v_cndmask_b32_e64 v4, 0, 1.0, s23
	s_mov_b32 s26, exec_lo
	s_wait_xcnt 0x0
	s_delay_alu instid0(VALU_DEP_1) | instskip(NEXT) | instid1(VALU_DEP_1)
	v_dual_mov_b32 v3, 0xff :: v_dual_lshrrev_b32 v2, 23, v4
	v_cmpx_ne_u32_e32 0xff, v2
; %bb.654:
	v_and_b32_e32 v3, 0x400000, v4
	v_and_or_b32 v4, 0x3fffff, v4, v2
	s_delay_alu instid0(VALU_DEP_2) | instskip(NEXT) | instid1(VALU_DEP_2)
	v_cmp_ne_u32_e32 vcc_lo, 0, v3
	v_cmp_ne_u32_e64 s0, 0, v4
	s_and_b32 s0, vcc_lo, s0
	s_delay_alu instid0(SALU_CYCLE_1) | instskip(NEXT) | instid1(VALU_DEP_1)
	v_cndmask_b32_e64 v3, 0, 1, s0
	v_add_nc_u32_e32 v3, v2, v3
; %bb.655:
	s_or_b32 exec_lo, exec_lo, s26
	s_mov_b32 s26, -1
	s_mov_b32 s0, 0
	global_store_b8 v[0:1], v3, off
.LBB14_656:
	s_mov_b32 s27, 0
.LBB14_657:
	s_delay_alu instid0(SALU_CYCLE_1)
	s_and_b32 vcc_lo, exec_lo, s27
	s_cbranch_vccz .LBB14_660
; %bb.658:
	s_cmp_eq_u32 s25, 29
	s_mov_b32 s0, -1
	s_cbranch_scc0 .LBB14_660
; %bb.659:
	s_mov_b32 s0, 0
	s_wait_xcnt 0x0
	v_cndmask_b32_e64 v2, 0, 1, s23
	v_mov_b32_e32 v3, s0
	s_mov_b32 s26, -1
	s_mov_b32 s27, 0
	global_store_b64 v[0:1], v[2:3], off
	s_branch .LBB14_661
.LBB14_660:
	s_mov_b32 s27, 0
.LBB14_661:
	s_delay_alu instid0(SALU_CYCLE_1)
	s_and_b32 vcc_lo, exec_lo, s27
	s_cbranch_vccz .LBB14_677
; %bb.662:
	s_cmp_lt_i32 s25, 27
	s_mov_b32 s26, -1
	s_cbranch_scc1 .LBB14_668
; %bb.663:
	s_cmp_gt_i32 s25, 27
	s_cbranch_scc0 .LBB14_665
; %bb.664:
	s_wait_xcnt 0x0
	v_cndmask_b32_e64 v2, 0, 1, s23
	s_mov_b32 s26, 0
	global_store_b32 v[0:1], v2, off
.LBB14_665:
	s_and_not1_b32 vcc_lo, exec_lo, s26
	s_cbranch_vccnz .LBB14_667
; %bb.666:
	s_wait_xcnt 0x0
	v_cndmask_b32_e64 v2, 0, 1, s23
	global_store_b16 v[0:1], v2, off
.LBB14_667:
	s_mov_b32 s26, 0
.LBB14_668:
	s_delay_alu instid0(SALU_CYCLE_1)
	s_and_not1_b32 vcc_lo, exec_lo, s26
	s_cbranch_vccnz .LBB14_676
; %bb.669:
	s_wait_xcnt 0x0
	v_cndmask_b32_e64 v3, 0, 1.0, s23
	v_mov_b32_e32 v4, 0x80
	s_mov_b32 s26, exec_lo
	s_delay_alu instid0(VALU_DEP_2)
	v_cmpx_gt_u32_e32 0x43800000, v3
	s_cbranch_execz .LBB14_675
; %bb.670:
	s_mov_b32 s27, 0
	s_mov_b32 s28, exec_lo
                                        ; implicit-def: $vgpr2
	v_cmpx_lt_u32_e32 0x3bffffff, v3
	s_xor_b32 s28, exec_lo, s28
	s_cbranch_execz .LBB14_777
; %bb.671:
	v_bfe_u32 v2, v3, 20, 1
	s_mov_b32 s27, exec_lo
	s_delay_alu instid0(VALU_DEP_1) | instskip(NEXT) | instid1(VALU_DEP_1)
	v_add3_u32 v2, v3, v2, 0x487ffff
                                        ; implicit-def: $vgpr3
	v_lshrrev_b32_e32 v2, 20, v2
	s_and_not1_saveexec_b32 s28, s28
	s_cbranch_execnz .LBB14_778
.LBB14_672:
	s_or_b32 exec_lo, exec_lo, s28
	v_mov_b32_e32 v4, 0
	s_and_saveexec_b32 s28, s27
.LBB14_673:
	v_mov_b32_e32 v4, v2
.LBB14_674:
	s_or_b32 exec_lo, exec_lo, s28
.LBB14_675:
	s_delay_alu instid0(SALU_CYCLE_1)
	s_or_b32 exec_lo, exec_lo, s26
	global_store_b8 v[0:1], v4, off
.LBB14_676:
	s_mov_b32 s26, -1
.LBB14_677:
	s_mov_b32 s27, 0
.LBB14_678:
	s_delay_alu instid0(SALU_CYCLE_1)
	s_and_b32 vcc_lo, exec_lo, s27
	s_cbranch_vccz .LBB14_719
; %bb.679:
	s_cmp_gt_i32 s25, 22
	s_mov_b32 s27, -1
	s_cbranch_scc0 .LBB14_711
; %bb.680:
	s_cmp_lt_i32 s25, 24
	s_mov_b32 s26, -1
	s_cbranch_scc1 .LBB14_700
; %bb.681:
	s_cmp_gt_i32 s25, 24
	s_cbranch_scc0 .LBB14_689
; %bb.682:
	s_wait_xcnt 0x0
	v_cndmask_b32_e64 v3, 0, 1.0, s23
	v_mov_b32_e32 v4, 0x80
	s_mov_b32 s26, exec_lo
	s_delay_alu instid0(VALU_DEP_2)
	v_cmpx_gt_u32_e32 0x47800000, v3
	s_cbranch_execz .LBB14_688
; %bb.683:
	s_mov_b32 s27, 0
	s_mov_b32 s28, exec_lo
                                        ; implicit-def: $vgpr2
	v_cmpx_lt_u32_e32 0x37ffffff, v3
	s_xor_b32 s28, exec_lo, s28
	s_cbranch_execz .LBB14_780
; %bb.684:
	v_bfe_u32 v2, v3, 21, 1
	s_mov_b32 s27, exec_lo
	s_delay_alu instid0(VALU_DEP_1) | instskip(NEXT) | instid1(VALU_DEP_1)
	v_add3_u32 v2, v3, v2, 0x88fffff
                                        ; implicit-def: $vgpr3
	v_lshrrev_b32_e32 v2, 21, v2
	s_and_not1_saveexec_b32 s28, s28
	s_cbranch_execnz .LBB14_781
.LBB14_685:
	s_or_b32 exec_lo, exec_lo, s28
	v_mov_b32_e32 v4, 0
	s_and_saveexec_b32 s28, s27
.LBB14_686:
	v_mov_b32_e32 v4, v2
.LBB14_687:
	s_or_b32 exec_lo, exec_lo, s28
.LBB14_688:
	s_delay_alu instid0(SALU_CYCLE_1)
	s_or_b32 exec_lo, exec_lo, s26
	s_mov_b32 s26, 0
	global_store_b8 v[0:1], v4, off
.LBB14_689:
	s_and_b32 vcc_lo, exec_lo, s26
	s_cbranch_vccz .LBB14_699
; %bb.690:
	s_wait_xcnt 0x0
	v_cndmask_b32_e64 v3, 0, 1.0, s23
	s_mov_b32 s26, exec_lo
                                        ; implicit-def: $vgpr2
	s_delay_alu instid0(VALU_DEP_1)
	v_cmpx_gt_u32_e32 0x43f00000, v3
	s_xor_b32 s26, exec_lo, s26
	s_cbranch_execz .LBB14_696
; %bb.691:
	s_mov_b32 s27, exec_lo
                                        ; implicit-def: $vgpr2
	v_cmpx_lt_u32_e32 0x3c7fffff, v3
	s_xor_b32 s27, exec_lo, s27
; %bb.692:
	v_bfe_u32 v2, v3, 20, 1
	s_delay_alu instid0(VALU_DEP_1) | instskip(NEXT) | instid1(VALU_DEP_1)
	v_add3_u32 v2, v3, v2, 0x407ffff
	v_and_b32_e32 v3, 0xff00000, v2
	v_lshrrev_b32_e32 v2, 20, v2
	s_delay_alu instid0(VALU_DEP_2) | instskip(NEXT) | instid1(VALU_DEP_2)
	v_cmp_ne_u32_e32 vcc_lo, 0x7f00000, v3
                                        ; implicit-def: $vgpr3
	v_cndmask_b32_e32 v2, 0x7e, v2, vcc_lo
; %bb.693:
	s_and_not1_saveexec_b32 s27, s27
; %bb.694:
	v_add_f32_e32 v2, 0x46800000, v3
; %bb.695:
	s_or_b32 exec_lo, exec_lo, s27
                                        ; implicit-def: $vgpr3
.LBB14_696:
	s_and_not1_saveexec_b32 s26, s26
; %bb.697:
	v_mov_b32_e32 v2, 0x7f
	v_cmp_lt_u32_e32 vcc_lo, 0x7f800000, v3
	s_delay_alu instid0(VALU_DEP_2)
	v_cndmask_b32_e32 v2, 0x7e, v2, vcc_lo
; %bb.698:
	s_or_b32 exec_lo, exec_lo, s26
	global_store_b8 v[0:1], v2, off
.LBB14_699:
	s_mov_b32 s26, 0
.LBB14_700:
	s_delay_alu instid0(SALU_CYCLE_1)
	s_and_not1_b32 vcc_lo, exec_lo, s26
	s_cbranch_vccnz .LBB14_710
; %bb.701:
	s_wait_xcnt 0x0
	v_cndmask_b32_e64 v3, 0, 1.0, s23
	s_mov_b32 s26, exec_lo
                                        ; implicit-def: $vgpr2
	s_delay_alu instid0(VALU_DEP_1)
	v_cmpx_gt_u32_e32 0x47800000, v3
	s_xor_b32 s26, exec_lo, s26
	s_cbranch_execz .LBB14_707
; %bb.702:
	s_mov_b32 s27, exec_lo
                                        ; implicit-def: $vgpr2
	v_cmpx_lt_u32_e32 0x387fffff, v3
	s_xor_b32 s27, exec_lo, s27
; %bb.703:
	v_bfe_u32 v2, v3, 21, 1
	s_delay_alu instid0(VALU_DEP_1) | instskip(NEXT) | instid1(VALU_DEP_1)
	v_add3_u32 v2, v3, v2, 0x80fffff
                                        ; implicit-def: $vgpr3
	v_lshrrev_b32_e32 v2, 21, v2
; %bb.704:
	s_and_not1_saveexec_b32 s27, s27
; %bb.705:
	v_add_f32_e32 v2, 0x43000000, v3
; %bb.706:
	s_or_b32 exec_lo, exec_lo, s27
                                        ; implicit-def: $vgpr3
.LBB14_707:
	s_and_not1_saveexec_b32 s26, s26
; %bb.708:
	v_mov_b32_e32 v2, 0x7f
	v_cmp_lt_u32_e32 vcc_lo, 0x7f800000, v3
	s_delay_alu instid0(VALU_DEP_2)
	v_cndmask_b32_e32 v2, 0x7c, v2, vcc_lo
; %bb.709:
	s_or_b32 exec_lo, exec_lo, s26
	global_store_b8 v[0:1], v2, off
.LBB14_710:
	s_mov_b32 s27, 0
	s_mov_b32 s26, -1
.LBB14_711:
	s_and_not1_b32 vcc_lo, exec_lo, s27
	s_cbranch_vccnz .LBB14_719
; %bb.712:
	s_cmp_gt_i32 s25, 14
	s_mov_b32 s27, -1
	s_cbranch_scc0 .LBB14_716
; %bb.713:
	s_cmp_eq_u32 s25, 15
	s_mov_b32 s0, -1
	s_cbranch_scc0 .LBB14_715
; %bb.714:
	s_wait_xcnt 0x0
	v_cndmask_b32_e64 v2, 0, 1.0, s23
	s_mov_b32 s26, -1
	s_mov_b32 s0, 0
	s_delay_alu instid0(VALU_DEP_1) | instskip(NEXT) | instid1(VALU_DEP_1)
	v_bfe_u32 v3, v2, 16, 1
	v_add3_u32 v2, v2, v3, 0x7fff
	global_store_d16_hi_b16 v[0:1], v2, off
.LBB14_715:
	s_mov_b32 s27, 0
.LBB14_716:
	s_delay_alu instid0(SALU_CYCLE_1)
	s_and_b32 vcc_lo, exec_lo, s27
	s_cbranch_vccz .LBB14_719
; %bb.717:
	s_cmp_eq_u32 s25, 11
	s_mov_b32 s0, -1
	s_cbranch_scc0 .LBB14_719
; %bb.718:
	s_wait_xcnt 0x0
	v_cndmask_b32_e64 v2, 0, 1, s23
	s_mov_b32 s26, -1
	s_mov_b32 s0, 0
	global_store_b8 v[0:1], v2, off
.LBB14_719:
	s_mov_b32 s25, 0
.LBB14_720:
	s_delay_alu instid0(SALU_CYCLE_1)
	s_and_b32 vcc_lo, exec_lo, s25
	s_cbranch_vccz .LBB14_759
; %bb.721:
	s_and_b32 s24, 0xffff, s24
	s_mov_b32 s25, -1
	s_cmp_lt_i32 s24, 5
	s_cbranch_scc1 .LBB14_742
; %bb.722:
	s_cmp_lt_i32 s24, 8
	s_cbranch_scc1 .LBB14_732
; %bb.723:
	;; [unrolled: 3-line block ×3, first 2 shown]
	s_cmp_gt_i32 s24, 9
	s_cbranch_scc0 .LBB14_726
; %bb.725:
	s_wait_xcnt 0x0
	v_cndmask_b32_e64 v2, 0, 1, s23
	v_mov_b32_e32 v4, 0
	s_mov_b32 s25, 0
	s_delay_alu instid0(VALU_DEP_2) | instskip(NEXT) | instid1(VALU_DEP_2)
	v_cvt_f64_u32_e32 v[2:3], v2
	v_mov_b32_e32 v5, v4
	global_store_b128 v[0:1], v[2:5], off
.LBB14_726:
	s_and_not1_b32 vcc_lo, exec_lo, s25
	s_cbranch_vccnz .LBB14_728
; %bb.727:
	s_wait_xcnt 0x0
	v_cndmask_b32_e64 v2, 0, 1.0, s23
	v_mov_b32_e32 v3, 0
	global_store_b64 v[0:1], v[2:3], off
.LBB14_728:
	s_mov_b32 s25, 0
.LBB14_729:
	s_delay_alu instid0(SALU_CYCLE_1)
	s_and_not1_b32 vcc_lo, exec_lo, s25
	s_cbranch_vccnz .LBB14_731
; %bb.730:
	s_wait_xcnt 0x0
	v_cndmask_b32_e64 v2, 0, 1.0, s23
	s_delay_alu instid0(VALU_DEP_1) | instskip(NEXT) | instid1(VALU_DEP_1)
	v_cvt_f16_f32_e32 v2, v2
	v_and_b32_e32 v2, 0xffff, v2
	global_store_b32 v[0:1], v2, off
.LBB14_731:
	s_mov_b32 s25, 0
.LBB14_732:
	s_delay_alu instid0(SALU_CYCLE_1)
	s_and_not1_b32 vcc_lo, exec_lo, s25
	s_cbranch_vccnz .LBB14_741
; %bb.733:
	s_cmp_lt_i32 s24, 6
	s_mov_b32 s25, -1
	s_cbranch_scc1 .LBB14_739
; %bb.734:
	s_cmp_gt_i32 s24, 6
	s_cbranch_scc0 .LBB14_736
; %bb.735:
	s_wait_xcnt 0x0
	v_cndmask_b32_e64 v2, 0, 1, s23
	s_mov_b32 s25, 0
	s_delay_alu instid0(VALU_DEP_1)
	v_cvt_f64_u32_e32 v[2:3], v2
	global_store_b64 v[0:1], v[2:3], off
.LBB14_736:
	s_and_not1_b32 vcc_lo, exec_lo, s25
	s_cbranch_vccnz .LBB14_738
; %bb.737:
	s_wait_xcnt 0x0
	v_cndmask_b32_e64 v2, 0, 1.0, s23
	global_store_b32 v[0:1], v2, off
.LBB14_738:
	s_mov_b32 s25, 0
.LBB14_739:
	s_delay_alu instid0(SALU_CYCLE_1)
	s_and_not1_b32 vcc_lo, exec_lo, s25
	s_cbranch_vccnz .LBB14_741
; %bb.740:
	s_wait_xcnt 0x0
	v_cndmask_b32_e64 v2, 0, 1.0, s23
	s_delay_alu instid0(VALU_DEP_1)
	v_cvt_f16_f32_e32 v2, v2
	global_store_b16 v[0:1], v2, off
.LBB14_741:
	s_mov_b32 s25, 0
.LBB14_742:
	s_delay_alu instid0(SALU_CYCLE_1)
	s_and_not1_b32 vcc_lo, exec_lo, s25
	s_cbranch_vccnz .LBB14_758
; %bb.743:
	s_cmp_lt_i32 s24, 2
	s_mov_b32 s25, -1
	s_cbranch_scc1 .LBB14_753
; %bb.744:
	s_cmp_lt_i32 s24, 3
	s_cbranch_scc1 .LBB14_750
; %bb.745:
	s_cmp_gt_i32 s24, 3
	s_cbranch_scc0 .LBB14_747
; %bb.746:
	s_mov_b32 s25, 0
	s_wait_xcnt 0x0
	v_cndmask_b32_e64 v2, 0, 1, s23
	v_mov_b32_e32 v3, s25
	global_store_b64 v[0:1], v[2:3], off
.LBB14_747:
	s_and_not1_b32 vcc_lo, exec_lo, s25
	s_cbranch_vccnz .LBB14_749
; %bb.748:
	s_wait_xcnt 0x0
	v_cndmask_b32_e64 v2, 0, 1, s23
	global_store_b32 v[0:1], v2, off
.LBB14_749:
	s_mov_b32 s25, 0
.LBB14_750:
	s_delay_alu instid0(SALU_CYCLE_1)
	s_and_not1_b32 vcc_lo, exec_lo, s25
	s_cbranch_vccnz .LBB14_752
; %bb.751:
	s_wait_xcnt 0x0
	v_cndmask_b32_e64 v2, 0, 1, s23
	global_store_b16 v[0:1], v2, off
.LBB14_752:
	s_mov_b32 s25, 0
.LBB14_753:
	s_delay_alu instid0(SALU_CYCLE_1)
	s_and_not1_b32 vcc_lo, exec_lo, s25
	s_cbranch_vccnz .LBB14_758
; %bb.754:
	s_wait_xcnt 0x0
	v_cndmask_b32_e64 v2, 0, 1, s23
	s_cmp_gt_i32 s24, 0
	s_mov_b32 s23, -1
	s_cbranch_scc0 .LBB14_756
; %bb.755:
	s_mov_b32 s23, 0
	global_store_b8 v[0:1], v2, off
.LBB14_756:
	s_and_not1_b32 vcc_lo, exec_lo, s23
	s_cbranch_vccnz .LBB14_758
; %bb.757:
	global_store_b8 v[0:1], v2, off
.LBB14_758:
	s_mov_b32 s26, -1
.LBB14_759:
	s_delay_alu instid0(SALU_CYCLE_1)
	s_and_not1_b32 vcc_lo, exec_lo, s26
	s_cbranch_vccnz .LBB14_761
; %bb.760:
	v_add_nc_u32_e32 v10, 0x80, v10
	s_mov_b32 s23, -1
	s_branch .LBB14_763
.LBB14_761:
	s_mov_b32 s23, 0
.LBB14_762:
                                        ; implicit-def: $vgpr10
.LBB14_763:
	s_and_not1_b32 s24, s19, exec_lo
	s_and_b32 s0, s0, exec_lo
	s_and_not1_b32 s25, s18, exec_lo
	s_and_b32 s26, s22, exec_lo
	s_or_b32 s22, s24, s0
	s_or_b32 s0, s25, s26
	s_or_not1_b32 s23, s23, exec_lo
.LBB14_764:
	s_wait_xcnt 0x0
	s_or_b32 exec_lo, exec_lo, s21
	s_mov_b32 s24, 0
	s_mov_b32 s25, 0
	;; [unrolled: 1-line block ×3, first 2 shown]
                                        ; implicit-def: $vgpr0_vgpr1
                                        ; implicit-def: $vgpr2
	s_and_saveexec_b32 s21, s23
	s_cbranch_execz .LBB14_845
; %bb.765:
	v_cmp_gt_i32_e32 vcc_lo, s14, v10
	s_mov_b32 s23, 0
	s_mov_b32 s24, s0
	;; [unrolled: 1-line block ×3, first 2 shown]
                                        ; implicit-def: $vgpr0_vgpr1
                                        ; implicit-def: $vgpr2
	s_and_saveexec_b32 s14, vcc_lo
	s_cbranch_execz .LBB14_844
; %bb.766:
	v_mul_lo_u32 v0, v10, s9
	s_and_b32 s23, 0xffff, s3
	s_delay_alu instid0(SALU_CYCLE_1) | instskip(NEXT) | instid1(VALU_DEP_1)
	s_cmp_lt_i32 s23, 11
	v_ashrrev_i32_e32 v1, 31, v0
	s_delay_alu instid0(VALU_DEP_1)
	v_add_nc_u64_e32 v[0:1], s[6:7], v[0:1]
	s_cbranch_scc1 .LBB14_773
; %bb.767:
	s_cmp_gt_i32 s23, 25
	s_cbranch_scc0 .LBB14_774
; %bb.768:
	s_cmp_gt_i32 s23, 28
	s_cbranch_scc0 .LBB14_775
	;; [unrolled: 3-line block ×4, first 2 shown]
; %bb.771:
	s_cmp_eq_u32 s23, 46
	s_cbranch_scc0 .LBB14_782
; %bb.772:
	s_wait_loadcnt 0x0
	global_load_b32 v2, v[0:1], off
	s_mov_b32 s24, 0
	s_mov_b32 s26, -1
	s_wait_loadcnt 0x0
	v_lshlrev_b32_e32 v2, 16, v2
	s_delay_alu instid0(VALU_DEP_1) | instskip(NEXT) | instid1(VALU_DEP_1)
	v_trunc_f32_e32 v2, v2
	v_mul_f32_e64 v3, 0x2f800000, |v2|
	s_delay_alu instid0(VALU_DEP_1) | instskip(NEXT) | instid1(VALU_DEP_1)
	v_floor_f32_e32 v3, v3
	v_fma_f32 v3, 0xcf800000, v3, |v2|
	v_ashrrev_i32_e32 v2, 31, v2
	s_delay_alu instid0(VALU_DEP_2) | instskip(NEXT) | instid1(VALU_DEP_1)
	v_cvt_u32_f32_e32 v3, v3
	v_xor_b32_e32 v3, v3, v2
	s_delay_alu instid0(VALU_DEP_1)
	v_sub_nc_u32_e32 v2, v3, v2
	s_branch .LBB14_784
.LBB14_773:
	s_mov_b32 s23, -1
	s_mov_b32 s24, s0
                                        ; implicit-def: $vgpr2
	s_branch .LBB14_843
.LBB14_774:
	s_mov_b32 s27, -1
	s_mov_b32 s24, s0
                                        ; implicit-def: $vgpr2
	s_branch .LBB14_811
.LBB14_775:
	s_mov_b32 s27, -1
	s_mov_b32 s24, s0
                                        ; implicit-def: $vgpr2
	s_branch .LBB14_794
.LBB14_776:
	s_mov_b32 s27, -1
	s_mov_b32 s24, s0
                                        ; implicit-def: $vgpr2
	s_branch .LBB14_789
.LBB14_777:
	s_and_not1_saveexec_b32 s28, s28
	s_cbranch_execz .LBB14_672
.LBB14_778:
	v_add_f32_e32 v2, 0x46000000, v3
	s_and_not1_b32 s27, s27, exec_lo
	s_delay_alu instid0(VALU_DEP_1) | instskip(NEXT) | instid1(VALU_DEP_1)
	v_and_b32_e32 v2, 0xff, v2
	v_cmp_ne_u32_e32 vcc_lo, 0, v2
	s_and_b32 s29, vcc_lo, exec_lo
	s_delay_alu instid0(SALU_CYCLE_1)
	s_or_b32 s27, s27, s29
	s_or_b32 exec_lo, exec_lo, s28
	v_mov_b32_e32 v4, 0
	s_and_saveexec_b32 s28, s27
	s_cbranch_execnz .LBB14_673
	s_branch .LBB14_674
.LBB14_779:
	s_mov_b32 s27, -1
	s_mov_b32 s24, s0
	s_branch .LBB14_783
.LBB14_780:
	s_and_not1_saveexec_b32 s28, s28
	s_cbranch_execz .LBB14_685
.LBB14_781:
	v_add_f32_e32 v2, 0x42800000, v3
	s_and_not1_b32 s27, s27, exec_lo
	s_delay_alu instid0(VALU_DEP_1) | instskip(NEXT) | instid1(VALU_DEP_1)
	v_and_b32_e32 v2, 0xff, v2
	v_cmp_ne_u32_e32 vcc_lo, 0, v2
	s_and_b32 s29, vcc_lo, exec_lo
	s_delay_alu instid0(SALU_CYCLE_1)
	s_or_b32 s27, s27, s29
	s_or_b32 exec_lo, exec_lo, s28
	v_mov_b32_e32 v4, 0
	s_and_saveexec_b32 s28, s27
	s_cbranch_execnz .LBB14_686
	s_branch .LBB14_687
.LBB14_782:
	s_mov_b32 s24, -1
.LBB14_783:
                                        ; implicit-def: $vgpr2
.LBB14_784:
	s_and_b32 vcc_lo, exec_lo, s27
	s_cbranch_vccz .LBB14_788
; %bb.785:
	s_cmp_eq_u32 s23, 44
	s_cbranch_scc0 .LBB14_787
; %bb.786:
	s_wait_loadcnt 0x0
	global_load_u8 v2, v[0:1], off
	s_mov_b32 s24, 0
	s_mov_b32 s26, -1
	s_wait_loadcnt 0x0
	v_lshlrev_b32_e32 v3, 23, v2
	v_cmp_ne_u32_e32 vcc_lo, 0, v2
	s_delay_alu instid0(VALU_DEP_2) | instskip(NEXT) | instid1(VALU_DEP_1)
	v_trunc_f32_e32 v3, v3
	v_mul_f32_e64 v4, 0x2f800000, |v3|
	s_delay_alu instid0(VALU_DEP_1) | instskip(NEXT) | instid1(VALU_DEP_1)
	v_floor_f32_e32 v4, v4
	v_fma_f32 v4, 0xcf800000, v4, |v3|
	v_ashrrev_i32_e32 v3, 31, v3
	s_delay_alu instid0(VALU_DEP_2) | instskip(NEXT) | instid1(VALU_DEP_1)
	v_cvt_u32_f32_e32 v4, v4
	v_xor_b32_e32 v4, v4, v3
	s_delay_alu instid0(VALU_DEP_1) | instskip(NEXT) | instid1(VALU_DEP_1)
	v_sub_nc_u32_e32 v3, v4, v3
	v_cndmask_b32_e32 v2, 0, v3, vcc_lo
	s_branch .LBB14_788
.LBB14_787:
	s_mov_b32 s24, -1
                                        ; implicit-def: $vgpr2
.LBB14_788:
	s_mov_b32 s27, 0
.LBB14_789:
	s_delay_alu instid0(SALU_CYCLE_1)
	s_and_b32 vcc_lo, exec_lo, s27
	s_cbranch_vccz .LBB14_793
; %bb.790:
	s_cmp_eq_u32 s23, 29
	s_cbranch_scc0 .LBB14_792
; %bb.791:
	s_wait_loadcnt 0x0
	global_load_b64 v[2:3], v[0:1], off
	s_mov_b32 s24, 0
	s_mov_b32 s26, -1
	s_branch .LBB14_793
.LBB14_792:
	s_mov_b32 s24, -1
                                        ; implicit-def: $vgpr2
.LBB14_793:
	s_mov_b32 s27, 0
.LBB14_794:
	s_delay_alu instid0(SALU_CYCLE_1)
	s_and_b32 vcc_lo, exec_lo, s27
	s_cbranch_vccz .LBB14_810
; %bb.795:
	s_cmp_lt_i32 s23, 27
	s_cbranch_scc1 .LBB14_798
; %bb.796:
	s_cmp_gt_i32 s23, 27
	s_cbranch_scc0 .LBB14_799
; %bb.797:
	s_wait_loadcnt 0x0
	global_load_b32 v2, v[0:1], off
	s_mov_b32 s26, 0
	s_branch .LBB14_800
.LBB14_798:
	s_mov_b32 s26, -1
                                        ; implicit-def: $vgpr2
	s_branch .LBB14_803
.LBB14_799:
	s_mov_b32 s26, -1
                                        ; implicit-def: $vgpr2
.LBB14_800:
	s_delay_alu instid0(SALU_CYCLE_1)
	s_and_not1_b32 vcc_lo, exec_lo, s26
	s_cbranch_vccnz .LBB14_802
; %bb.801:
	s_wait_loadcnt 0x0
	global_load_u16 v2, v[0:1], off
.LBB14_802:
	s_mov_b32 s26, 0
.LBB14_803:
	s_delay_alu instid0(SALU_CYCLE_1)
	s_and_not1_b32 vcc_lo, exec_lo, s26
	s_cbranch_vccnz .LBB14_809
; %bb.804:
	s_wait_loadcnt 0x0
	global_load_u8 v3, v[0:1], off
	s_mov_b32 s27, 0
	s_mov_b32 s26, exec_lo
	s_wait_loadcnt 0x0
	v_cmpx_lt_i16_e32 0x7f, v3
	s_xor_b32 s26, exec_lo, s26
	s_cbranch_execz .LBB14_821
; %bb.805:
	v_cmp_ne_u16_e32 vcc_lo, 0x80, v3
	s_and_b32 s27, vcc_lo, exec_lo
	s_and_not1_saveexec_b32 s26, s26
	s_cbranch_execnz .LBB14_822
.LBB14_806:
	s_or_b32 exec_lo, exec_lo, s26
	v_mov_b32_e32 v2, 0
	s_and_saveexec_b32 s26, s27
	s_cbranch_execz .LBB14_808
.LBB14_807:
	v_and_b32_e32 v2, 0xffff, v3
	s_delay_alu instid0(VALU_DEP_1) | instskip(SKIP_1) | instid1(VALU_DEP_2)
	v_and_b32_e32 v4, 7, v2
	v_bfe_u32 v7, v2, 3, 4
	v_clz_i32_u32_e32 v5, v4
	s_delay_alu instid0(VALU_DEP_2) | instskip(NEXT) | instid1(VALU_DEP_2)
	v_cmp_eq_u32_e32 vcc_lo, 0, v7
	v_min_u32_e32 v5, 32, v5
	s_delay_alu instid0(VALU_DEP_1) | instskip(NEXT) | instid1(VALU_DEP_1)
	v_subrev_nc_u32_e32 v6, 28, v5
	v_dual_lshlrev_b32 v2, v6, v2 :: v_dual_sub_nc_u32 v5, 29, v5
	s_delay_alu instid0(VALU_DEP_1) | instskip(NEXT) | instid1(VALU_DEP_1)
	v_dual_lshlrev_b32 v3, 24, v3 :: v_dual_bitop2_b32 v2, 7, v2 bitop3:0x40
	v_dual_cndmask_b32 v5, v7, v5 :: v_dual_cndmask_b32 v2, v4, v2
	s_delay_alu instid0(VALU_DEP_2) | instskip(NEXT) | instid1(VALU_DEP_2)
	v_and_b32_e32 v3, 0x80000000, v3
	v_lshl_add_u32 v4, v5, 23, 0x3b800000
	s_delay_alu instid0(VALU_DEP_3) | instskip(NEXT) | instid1(VALU_DEP_1)
	v_lshlrev_b32_e32 v2, 20, v2
	v_or3_b32 v2, v3, v4, v2
	s_delay_alu instid0(VALU_DEP_1) | instskip(NEXT) | instid1(VALU_DEP_1)
	v_trunc_f32_e32 v2, v2
	v_mul_f32_e64 v3, 0x2f800000, |v2|
	s_delay_alu instid0(VALU_DEP_1) | instskip(NEXT) | instid1(VALU_DEP_1)
	v_floor_f32_e32 v3, v3
	v_fma_f32 v3, 0xcf800000, v3, |v2|
	v_ashrrev_i32_e32 v2, 31, v2
	s_delay_alu instid0(VALU_DEP_2) | instskip(NEXT) | instid1(VALU_DEP_1)
	v_cvt_u32_f32_e32 v3, v3
	v_xor_b32_e32 v3, v3, v2
	s_delay_alu instid0(VALU_DEP_1)
	v_sub_nc_u32_e32 v2, v3, v2
.LBB14_808:
	s_or_b32 exec_lo, exec_lo, s26
.LBB14_809:
	s_mov_b32 s26, -1
.LBB14_810:
	s_mov_b32 s27, 0
.LBB14_811:
	s_delay_alu instid0(SALU_CYCLE_1)
	s_and_b32 vcc_lo, exec_lo, s27
	s_cbranch_vccz .LBB14_842
; %bb.812:
	s_cmp_gt_i32 s23, 22
	s_cbranch_scc0 .LBB14_820
; %bb.813:
	s_cmp_lt_i32 s23, 24
	s_cbranch_scc1 .LBB14_823
; %bb.814:
	s_cmp_gt_i32 s23, 24
	s_cbranch_scc0 .LBB14_824
; %bb.815:
	s_wait_loadcnt 0x0
	global_load_u8 v3, v[0:1], off
	s_mov_b32 s26, 0
	s_mov_b32 s25, exec_lo
	s_wait_loadcnt 0x0
	v_cmpx_lt_i16_e32 0x7f, v3
	s_xor_b32 s25, exec_lo, s25
	s_cbranch_execz .LBB14_836
; %bb.816:
	v_cmp_ne_u16_e32 vcc_lo, 0x80, v3
	s_and_b32 s26, vcc_lo, exec_lo
	s_and_not1_saveexec_b32 s25, s25
	s_cbranch_execnz .LBB14_837
.LBB14_817:
	s_or_b32 exec_lo, exec_lo, s25
	v_mov_b32_e32 v2, 0
	s_and_saveexec_b32 s25, s26
	s_cbranch_execz .LBB14_819
.LBB14_818:
	v_and_b32_e32 v2, 0xffff, v3
	s_delay_alu instid0(VALU_DEP_1) | instskip(SKIP_1) | instid1(VALU_DEP_2)
	v_and_b32_e32 v4, 3, v2
	v_bfe_u32 v7, v2, 2, 5
	v_clz_i32_u32_e32 v5, v4
	s_delay_alu instid0(VALU_DEP_2) | instskip(NEXT) | instid1(VALU_DEP_2)
	v_cmp_eq_u32_e32 vcc_lo, 0, v7
	v_min_u32_e32 v5, 32, v5
	s_delay_alu instid0(VALU_DEP_1) | instskip(NEXT) | instid1(VALU_DEP_1)
	v_subrev_nc_u32_e32 v6, 29, v5
	v_dual_lshlrev_b32 v2, v6, v2 :: v_dual_sub_nc_u32 v5, 30, v5
	s_delay_alu instid0(VALU_DEP_1) | instskip(NEXT) | instid1(VALU_DEP_1)
	v_dual_lshlrev_b32 v3, 24, v3 :: v_dual_bitop2_b32 v2, 3, v2 bitop3:0x40
	v_dual_cndmask_b32 v5, v7, v5 :: v_dual_cndmask_b32 v2, v4, v2
	s_delay_alu instid0(VALU_DEP_2) | instskip(NEXT) | instid1(VALU_DEP_2)
	v_and_b32_e32 v3, 0x80000000, v3
	v_lshl_add_u32 v4, v5, 23, 0x37800000
	s_delay_alu instid0(VALU_DEP_3) | instskip(NEXT) | instid1(VALU_DEP_1)
	v_lshlrev_b32_e32 v2, 21, v2
	v_or3_b32 v2, v3, v4, v2
	s_delay_alu instid0(VALU_DEP_1) | instskip(NEXT) | instid1(VALU_DEP_1)
	v_trunc_f32_e32 v2, v2
	v_mul_f32_e64 v3, 0x2f800000, |v2|
	s_delay_alu instid0(VALU_DEP_1) | instskip(NEXT) | instid1(VALU_DEP_1)
	v_floor_f32_e32 v3, v3
	v_fma_f32 v3, 0xcf800000, v3, |v2|
	v_ashrrev_i32_e32 v2, 31, v2
	s_delay_alu instid0(VALU_DEP_2) | instskip(NEXT) | instid1(VALU_DEP_1)
	v_cvt_u32_f32_e32 v3, v3
	v_xor_b32_e32 v3, v3, v2
	s_delay_alu instid0(VALU_DEP_1)
	v_sub_nc_u32_e32 v2, v3, v2
.LBB14_819:
	s_or_b32 exec_lo, exec_lo, s25
	s_mov_b32 s25, 0
	s_branch .LBB14_825
.LBB14_820:
	s_mov_b32 s25, -1
                                        ; implicit-def: $vgpr2
	s_branch .LBB14_831
.LBB14_821:
	s_and_not1_saveexec_b32 s26, s26
	s_cbranch_execz .LBB14_806
.LBB14_822:
	v_cmp_ne_u16_e32 vcc_lo, 0, v3
	s_and_not1_b32 s27, s27, exec_lo
	s_and_b32 s28, vcc_lo, exec_lo
	s_delay_alu instid0(SALU_CYCLE_1)
	s_or_b32 s27, s27, s28
	s_or_b32 exec_lo, exec_lo, s26
	v_mov_b32_e32 v2, 0
	s_and_saveexec_b32 s26, s27
	s_cbranch_execnz .LBB14_807
	s_branch .LBB14_808
.LBB14_823:
	s_mov_b32 s25, -1
                                        ; implicit-def: $vgpr2
	s_branch .LBB14_828
.LBB14_824:
	s_mov_b32 s25, -1
                                        ; implicit-def: $vgpr2
.LBB14_825:
	s_delay_alu instid0(SALU_CYCLE_1)
	s_and_b32 vcc_lo, exec_lo, s25
	s_cbranch_vccz .LBB14_827
; %bb.826:
	s_wait_loadcnt 0x0
	global_load_u8 v2, v[0:1], off
	s_wait_loadcnt 0x0
	v_lshlrev_b32_e32 v2, 24, v2
	s_delay_alu instid0(VALU_DEP_1) | instskip(NEXT) | instid1(VALU_DEP_1)
	v_and_b32_e32 v3, 0x7f000000, v2
	v_clz_i32_u32_e32 v4, v3
	v_cmp_ne_u32_e32 vcc_lo, 0, v3
	v_add_nc_u32_e32 v6, 0x1000000, v3
	s_delay_alu instid0(VALU_DEP_3) | instskip(NEXT) | instid1(VALU_DEP_1)
	v_min_u32_e32 v4, 32, v4
	v_sub_nc_u32_e64 v4, v4, 4 clamp
	s_delay_alu instid0(VALU_DEP_1) | instskip(NEXT) | instid1(VALU_DEP_1)
	v_dual_lshlrev_b32 v5, v4, v3 :: v_dual_lshlrev_b32 v4, 23, v4
	v_lshrrev_b32_e32 v5, 4, v5
	s_delay_alu instid0(VALU_DEP_1) | instskip(NEXT) | instid1(VALU_DEP_1)
	v_dual_sub_nc_u32 v4, v5, v4 :: v_dual_ashrrev_i32 v5, 8, v6
	v_add_nc_u32_e32 v4, 0x3c000000, v4
	s_delay_alu instid0(VALU_DEP_1) | instskip(NEXT) | instid1(VALU_DEP_1)
	v_and_or_b32 v4, 0x7f800000, v5, v4
	v_cndmask_b32_e32 v3, 0, v4, vcc_lo
	s_delay_alu instid0(VALU_DEP_1) | instskip(NEXT) | instid1(VALU_DEP_1)
	v_and_or_b32 v2, 0x80000000, v2, v3
	v_trunc_f32_e32 v2, v2
	s_delay_alu instid0(VALU_DEP_1) | instskip(NEXT) | instid1(VALU_DEP_1)
	v_mul_f32_e64 v3, 0x2f800000, |v2|
	v_floor_f32_e32 v3, v3
	s_delay_alu instid0(VALU_DEP_1) | instskip(SKIP_1) | instid1(VALU_DEP_2)
	v_fma_f32 v3, 0xcf800000, v3, |v2|
	v_ashrrev_i32_e32 v2, 31, v2
	v_cvt_u32_f32_e32 v3, v3
	s_delay_alu instid0(VALU_DEP_1) | instskip(NEXT) | instid1(VALU_DEP_1)
	v_xor_b32_e32 v3, v3, v2
	v_sub_nc_u32_e32 v2, v3, v2
.LBB14_827:
	s_mov_b32 s25, 0
.LBB14_828:
	s_delay_alu instid0(SALU_CYCLE_1)
	s_and_not1_b32 vcc_lo, exec_lo, s25
	s_cbranch_vccnz .LBB14_830
; %bb.829:
	s_wait_loadcnt 0x0
	global_load_u8 v2, v[0:1], off
	s_wait_loadcnt 0x0
	v_lshlrev_b32_e32 v3, 25, v2
	v_lshlrev_b16 v2, 8, v2
	s_delay_alu instid0(VALU_DEP_1) | instskip(SKIP_1) | instid1(VALU_DEP_2)
	v_and_or_b32 v5, 0x7f00, v2, 0.5
	v_bfe_i32 v2, v2, 0, 16
	v_dual_add_f32 v5, -0.5, v5 :: v_dual_lshrrev_b32 v4, 4, v3
	v_cmp_gt_u32_e32 vcc_lo, 0x8000000, v3
	s_delay_alu instid0(VALU_DEP_2) | instskip(NEXT) | instid1(VALU_DEP_1)
	v_or_b32_e32 v4, 0x70000000, v4
	v_mul_f32_e32 v4, 0x7800000, v4
	s_delay_alu instid0(VALU_DEP_1) | instskip(NEXT) | instid1(VALU_DEP_1)
	v_cndmask_b32_e32 v3, v4, v5, vcc_lo
	v_and_or_b32 v2, 0x80000000, v2, v3
	s_delay_alu instid0(VALU_DEP_1) | instskip(NEXT) | instid1(VALU_DEP_1)
	v_trunc_f32_e32 v2, v2
	v_mul_f32_e64 v3, 0x2f800000, |v2|
	s_delay_alu instid0(VALU_DEP_1) | instskip(NEXT) | instid1(VALU_DEP_1)
	v_floor_f32_e32 v3, v3
	v_fma_f32 v3, 0xcf800000, v3, |v2|
	v_ashrrev_i32_e32 v2, 31, v2
	s_delay_alu instid0(VALU_DEP_2) | instskip(NEXT) | instid1(VALU_DEP_1)
	v_cvt_u32_f32_e32 v3, v3
	v_xor_b32_e32 v3, v3, v2
	s_delay_alu instid0(VALU_DEP_1)
	v_sub_nc_u32_e32 v2, v3, v2
.LBB14_830:
	s_mov_b32 s25, 0
	s_mov_b32 s26, -1
.LBB14_831:
	s_and_not1_b32 vcc_lo, exec_lo, s25
	s_mov_b32 s25, 0
	s_cbranch_vccnz .LBB14_842
; %bb.832:
	s_cmp_gt_i32 s23, 14
	s_cbranch_scc0 .LBB14_835
; %bb.833:
	s_cmp_eq_u32 s23, 15
	s_cbranch_scc0 .LBB14_838
; %bb.834:
	s_wait_loadcnt 0x0
	global_load_u16 v2, v[0:1], off
	s_mov_b32 s24, 0
	s_mov_b32 s26, -1
	s_wait_loadcnt 0x0
	v_lshlrev_b32_e32 v2, 16, v2
	s_delay_alu instid0(VALU_DEP_1) | instskip(NEXT) | instid1(VALU_DEP_1)
	v_trunc_f32_e32 v2, v2
	v_mul_f32_e64 v3, 0x2f800000, |v2|
	s_delay_alu instid0(VALU_DEP_1) | instskip(NEXT) | instid1(VALU_DEP_1)
	v_floor_f32_e32 v3, v3
	v_fma_f32 v3, 0xcf800000, v3, |v2|
	v_ashrrev_i32_e32 v2, 31, v2
	s_delay_alu instid0(VALU_DEP_2) | instskip(NEXT) | instid1(VALU_DEP_1)
	v_cvt_u32_f32_e32 v3, v3
	v_xor_b32_e32 v3, v3, v2
	s_delay_alu instid0(VALU_DEP_1)
	v_sub_nc_u32_e32 v2, v3, v2
	s_branch .LBB14_840
.LBB14_835:
	s_mov_b32 s25, -1
	s_branch .LBB14_839
.LBB14_836:
	s_and_not1_saveexec_b32 s25, s25
	s_cbranch_execz .LBB14_817
.LBB14_837:
	v_cmp_ne_u16_e32 vcc_lo, 0, v3
	s_and_not1_b32 s26, s26, exec_lo
	s_and_b32 s27, vcc_lo, exec_lo
	s_delay_alu instid0(SALU_CYCLE_1)
	s_or_b32 s26, s26, s27
	s_or_b32 exec_lo, exec_lo, s25
	v_mov_b32_e32 v2, 0
	s_and_saveexec_b32 s25, s26
	s_cbranch_execnz .LBB14_818
	s_branch .LBB14_819
.LBB14_838:
	s_mov_b32 s24, -1
.LBB14_839:
                                        ; implicit-def: $vgpr2
.LBB14_840:
	s_and_b32 vcc_lo, exec_lo, s25
	s_mov_b32 s25, 0
	s_cbranch_vccz .LBB14_842
; %bb.841:
	s_cmp_lg_u32 s23, 11
	s_mov_b32 s25, -1
	s_cselect_b32 s23, -1, 0
	s_and_not1_b32 s24, s24, exec_lo
	s_and_b32 s23, s23, exec_lo
	s_delay_alu instid0(SALU_CYCLE_1)
	s_or_b32 s24, s24, s23
.LBB14_842:
	s_mov_b32 s23, 0
.LBB14_843:
	s_and_not1_b32 s28, s0, exec_lo
	s_and_b32 s24, s24, exec_lo
	s_and_b32 s26, s26, exec_lo
	;; [unrolled: 1-line block ×4, first 2 shown]
	s_or_b32 s24, s28, s24
.LBB14_844:
	s_wait_xcnt 0x0
	s_or_b32 exec_lo, exec_lo, s14
	s_delay_alu instid0(SALU_CYCLE_1)
	s_and_not1_b32 s0, s0, exec_lo
	s_and_b32 s14, s24, exec_lo
	s_and_b32 s26, s26, exec_lo
	;; [unrolled: 1-line block ×4, first 2 shown]
	s_or_b32 s0, s0, s14
.LBB14_845:
	s_or_b32 exec_lo, exec_lo, s21
	s_delay_alu instid0(SALU_CYCLE_1)
	s_and_not1_b32 s14, s19, exec_lo
	s_and_b32 s19, s22, exec_lo
	s_and_b32 s0, s0, exec_lo
	s_or_b32 s19, s14, s19
	s_and_not1_b32 s14, s18, exec_lo
	s_and_b32 s23, s26, exec_lo
	s_and_b32 s22, s25, exec_lo
	;; [unrolled: 1-line block ×3, first 2 shown]
	s_or_b32 s18, s14, s0
.LBB14_846:
	s_or_b32 exec_lo, exec_lo, s20
	s_delay_alu instid0(SALU_CYCLE_1)
	s_and_not1_b32 s0, s15, exec_lo
	s_and_b32 s14, s19, exec_lo
	s_and_b32 s19, s22, exec_lo
	s_or_b32 s15, s0, s14
	s_and_not1_b32 s14, s16, exec_lo
	s_and_b32 s16, s18, exec_lo
	s_and_b32 s0, s23, exec_lo
	s_and_b32 s18, s21, exec_lo
	s_or_b32 s16, s14, s16
	s_or_b32 exec_lo, exec_lo, s17
	s_mov_b32 s14, 0
	s_and_saveexec_b32 s17, s16
	s_cbranch_execz .LBB14_258
.LBB14_847:
	s_mov_b32 s14, exec_lo
	s_and_not1_b32 s18, s18, exec_lo
	s_trap 2
	s_or_b32 exec_lo, exec_lo, s17
	s_and_saveexec_b32 s16, s18
	s_delay_alu instid0(SALU_CYCLE_1)
	s_xor_b32 s16, exec_lo, s16
	s_cbranch_execnz .LBB14_259
.LBB14_848:
	s_or_b32 exec_lo, exec_lo, s16
	s_and_saveexec_b32 s16, s19
	s_cbranch_execz .LBB14_894
.LBB14_849:
	s_sext_i32_i16 s17, s3
	s_delay_alu instid0(SALU_CYCLE_1)
	s_cmp_lt_i32 s17, 5
	s_cbranch_scc1 .LBB14_854
; %bb.850:
	s_cmp_lt_i32 s17, 8
	s_cbranch_scc1 .LBB14_855
; %bb.851:
	;; [unrolled: 3-line block ×3, first 2 shown]
	s_cmp_gt_i32 s17, 9
	s_cbranch_scc0 .LBB14_857
; %bb.853:
	s_wait_loadcnt 0x0
	global_load_b64 v[2:3], v[0:1], off
	s_mov_b32 s17, 0
	s_wait_loadcnt 0x0
	v_trunc_f64_e32 v[2:3], v[2:3]
	s_delay_alu instid0(VALU_DEP_1) | instskip(NEXT) | instid1(VALU_DEP_1)
	v_ldexp_f64 v[4:5], v[2:3], 0xffffffe0
	v_floor_f64_e32 v[4:5], v[4:5]
	s_delay_alu instid0(VALU_DEP_1) | instskip(NEXT) | instid1(VALU_DEP_1)
	v_fmamk_f64 v[2:3], v[4:5], 0xc1f00000, v[2:3]
	v_cvt_u32_f64_e32 v2, v[2:3]
	s_branch .LBB14_858
.LBB14_854:
                                        ; implicit-def: $vgpr2
	s_branch .LBB14_875
.LBB14_855:
                                        ; implicit-def: $vgpr2
	s_branch .LBB14_864
.LBB14_856:
	s_mov_b32 s17, -1
                                        ; implicit-def: $vgpr2
	s_branch .LBB14_861
.LBB14_857:
	s_mov_b32 s17, -1
                                        ; implicit-def: $vgpr2
.LBB14_858:
	s_delay_alu instid0(SALU_CYCLE_1)
	s_and_not1_b32 vcc_lo, exec_lo, s17
	s_cbranch_vccnz .LBB14_860
; %bb.859:
	s_wait_loadcnt 0x0
	global_load_b32 v2, v[0:1], off
	s_wait_loadcnt 0x0
	v_trunc_f32_e32 v2, v2
	s_delay_alu instid0(VALU_DEP_1) | instskip(NEXT) | instid1(VALU_DEP_1)
	v_mul_f32_e64 v3, 0x2f800000, |v2|
	v_floor_f32_e32 v3, v3
	s_delay_alu instid0(VALU_DEP_1) | instskip(SKIP_1) | instid1(VALU_DEP_2)
	v_fma_f32 v3, 0xcf800000, v3, |v2|
	v_ashrrev_i32_e32 v2, 31, v2
	v_cvt_u32_f32_e32 v3, v3
	s_delay_alu instid0(VALU_DEP_1) | instskip(NEXT) | instid1(VALU_DEP_1)
	v_xor_b32_e32 v3, v3, v2
	v_sub_nc_u32_e32 v2, v3, v2
.LBB14_860:
	s_mov_b32 s17, 0
.LBB14_861:
	s_delay_alu instid0(SALU_CYCLE_1)
	s_and_not1_b32 vcc_lo, exec_lo, s17
	s_cbranch_vccnz .LBB14_863
; %bb.862:
	s_wait_loadcnt 0x0
	global_load_b32 v2, v[0:1], off
	s_wait_loadcnt 0x0
	v_cvt_f32_f16_e32 v2, v2
	s_delay_alu instid0(VALU_DEP_1)
	v_cvt_i32_f32_e32 v2, v2
.LBB14_863:
	s_cbranch_execnz .LBB14_874
.LBB14_864:
	s_sext_i32_i16 s17, s3
	s_delay_alu instid0(SALU_CYCLE_1)
	s_cmp_lt_i32 s17, 6
	s_cbranch_scc1 .LBB14_867
; %bb.865:
	s_cmp_gt_i32 s17, 6
	s_cbranch_scc0 .LBB14_868
; %bb.866:
	s_wait_loadcnt 0x0
	global_load_b64 v[2:3], v[0:1], off
	s_mov_b32 s17, 0
	s_wait_loadcnt 0x0
	v_trunc_f64_e32 v[2:3], v[2:3]
	s_delay_alu instid0(VALU_DEP_1) | instskip(NEXT) | instid1(VALU_DEP_1)
	v_ldexp_f64 v[4:5], v[2:3], 0xffffffe0
	v_floor_f64_e32 v[4:5], v[4:5]
	s_delay_alu instid0(VALU_DEP_1) | instskip(NEXT) | instid1(VALU_DEP_1)
	v_fmamk_f64 v[2:3], v[4:5], 0xc1f00000, v[2:3]
	v_cvt_u32_f64_e32 v2, v[2:3]
	s_branch .LBB14_869
.LBB14_867:
	s_mov_b32 s17, -1
                                        ; implicit-def: $vgpr2
	s_branch .LBB14_872
.LBB14_868:
	s_mov_b32 s17, -1
                                        ; implicit-def: $vgpr2
.LBB14_869:
	s_delay_alu instid0(SALU_CYCLE_1)
	s_and_not1_b32 vcc_lo, exec_lo, s17
	s_cbranch_vccnz .LBB14_871
; %bb.870:
	s_wait_loadcnt 0x0
	global_load_b32 v2, v[0:1], off
	s_wait_loadcnt 0x0
	v_trunc_f32_e32 v2, v2
	s_delay_alu instid0(VALU_DEP_1) | instskip(NEXT) | instid1(VALU_DEP_1)
	v_mul_f32_e64 v3, 0x2f800000, |v2|
	v_floor_f32_e32 v3, v3
	s_delay_alu instid0(VALU_DEP_1) | instskip(SKIP_1) | instid1(VALU_DEP_2)
	v_fma_f32 v3, 0xcf800000, v3, |v2|
	v_ashrrev_i32_e32 v2, 31, v2
	v_cvt_u32_f32_e32 v3, v3
	s_delay_alu instid0(VALU_DEP_1) | instskip(NEXT) | instid1(VALU_DEP_1)
	v_xor_b32_e32 v3, v3, v2
	v_sub_nc_u32_e32 v2, v3, v2
.LBB14_871:
	s_mov_b32 s17, 0
.LBB14_872:
	s_delay_alu instid0(SALU_CYCLE_1)
	s_and_not1_b32 vcc_lo, exec_lo, s17
	s_cbranch_vccnz .LBB14_874
; %bb.873:
	s_wait_loadcnt 0x0
	global_load_u16 v2, v[0:1], off
	s_wait_loadcnt 0x0
	v_cvt_f32_f16_e32 v2, v2
	s_delay_alu instid0(VALU_DEP_1)
	v_cvt_i32_f32_e32 v2, v2
.LBB14_874:
	s_cbranch_execnz .LBB14_893
.LBB14_875:
	s_sext_i32_i16 s17, s3
	s_delay_alu instid0(SALU_CYCLE_1)
	s_cmp_lt_i32 s17, 2
	s_cbranch_scc1 .LBB14_879
; %bb.876:
	s_cmp_lt_i32 s17, 3
	s_cbranch_scc1 .LBB14_880
; %bb.877:
	s_cmp_gt_i32 s17, 3
	s_cbranch_scc0 .LBB14_881
; %bb.878:
	s_wait_loadcnt 0x0
	global_load_b64 v[2:3], v[0:1], off
	s_mov_b32 s17, 0
	s_branch .LBB14_882
.LBB14_879:
                                        ; implicit-def: $vgpr2
	s_branch .LBB14_888
.LBB14_880:
	s_mov_b32 s17, -1
                                        ; implicit-def: $vgpr2
	s_branch .LBB14_885
.LBB14_881:
	s_mov_b32 s17, -1
                                        ; implicit-def: $vgpr2
.LBB14_882:
	s_delay_alu instid0(SALU_CYCLE_1)
	s_and_not1_b32 vcc_lo, exec_lo, s17
	s_cbranch_vccnz .LBB14_884
; %bb.883:
	s_wait_loadcnt 0x0
	global_load_b32 v2, v[0:1], off
.LBB14_884:
	s_mov_b32 s17, 0
.LBB14_885:
	s_delay_alu instid0(SALU_CYCLE_1)
	s_and_not1_b32 vcc_lo, exec_lo, s17
	s_cbranch_vccnz .LBB14_887
; %bb.886:
	s_wait_loadcnt 0x0
	global_load_u16 v2, v[0:1], off
.LBB14_887:
	s_cbranch_execnz .LBB14_893
.LBB14_888:
	s_sext_i32_i16 s17, s3
	s_delay_alu instid0(SALU_CYCLE_1)
	s_cmp_gt_i32 s17, 0
	s_mov_b32 s17, 0
	s_cbranch_scc0 .LBB14_890
; %bb.889:
	s_wait_loadcnt 0x0
	global_load_u8 v2, v[0:1], off
	s_branch .LBB14_891
.LBB14_890:
	s_mov_b32 s17, -1
                                        ; implicit-def: $vgpr2
.LBB14_891:
	s_delay_alu instid0(SALU_CYCLE_1)
	s_and_not1_b32 vcc_lo, exec_lo, s17
	s_cbranch_vccnz .LBB14_893
; %bb.892:
	s_wait_loadcnt 0x0
	global_load_u8 v2, v[0:1], off
.LBB14_893:
	s_or_b32 s0, s0, exec_lo
.LBB14_894:
	s_wait_xcnt 0x0
	s_or_b32 exec_lo, exec_lo, s16
	s_mov_b32 s20, 0
	s_mov_b32 s19, 0
                                        ; implicit-def: $sgpr16
                                        ; implicit-def: $sgpr17
                                        ; implicit-def: $vgpr0_vgpr1
	s_and_saveexec_b32 s18, s0
	s_cbranch_execz .LBB14_902
; %bb.895:
	v_mul_lo_u32 v0, v10, s8
	s_wait_loadcnt 0x0
	s_delay_alu instid0(VALU_DEP_2) | instskip(SKIP_2) | instid1(VALU_DEP_1)
	v_and_b32_e32 v2, 0xff, v2
	s_and_b32 s0, s11, 0xff
	s_and_b32 s17, s2, 0xff
	v_cmp_ne_u16_e32 vcc_lo, s0, v2
	s_xor_b32 s16, s13, vcc_lo
	s_delay_alu instid0(VALU_DEP_3) | instskip(SKIP_1) | instid1(VALU_DEP_1)
	v_ashrrev_i32_e32 v1, 31, v0
	s_cmp_lt_i32 s17, 11
	v_add_nc_u64_e32 v[0:1], s[4:5], v[0:1]
	s_cbranch_scc1 .LBB14_905
; %bb.896:
	s_and_b32 s13, 0xffff, s17
	s_mov_b32 s19, -1
	s_cmp_gt_i32 s13, 25
	s_mov_b32 s0, s15
	s_cbranch_scc0 .LBB14_933
; %bb.897:
	s_cmp_gt_i32 s13, 28
	s_mov_b32 s0, s15
	s_cbranch_scc0 .LBB14_917
; %bb.898:
	;; [unrolled: 4-line block ×4, first 2 shown]
	s_cmp_eq_u32 s13, 46
	s_mov_b32 s0, -1
	s_cbranch_scc0 .LBB14_906
; %bb.901:
	v_cndmask_b32_e64 v2, 0, 1.0, s16
	s_mov_b32 s0, 0
	s_mov_b32 s19, 0
	s_delay_alu instid0(VALU_DEP_1) | instskip(NEXT) | instid1(VALU_DEP_1)
	v_bfe_u32 v3, v2, 16, 1
	v_add3_u32 v2, v2, v3, 0x7fff
	s_delay_alu instid0(VALU_DEP_1)
	v_lshrrev_b32_e32 v2, 16, v2
	global_store_b32 v[0:1], v2, off
	s_branch .LBB14_907
.LBB14_902:
	s_or_b32 exec_lo, exec_lo, s18
	s_and_saveexec_b32 s0, s15
	s_cbranch_execnz .LBB14_975
.LBB14_903:
	s_or_b32 exec_lo, exec_lo, s0
	s_and_saveexec_b32 s0, s20
	s_delay_alu instid0(SALU_CYCLE_1)
	s_xor_b32 s0, exec_lo, s0
	s_cbranch_execz .LBB14_976
.LBB14_904:
	s_wait_loadcnt 0x0
	v_cndmask_b32_e64 v2, 0, 1, s16
	global_store_b8 v[0:1], v2, off
	s_wait_xcnt 0x0
	s_or_b32 exec_lo, exec_lo, s0
	s_and_saveexec_b32 s0, s19
	s_delay_alu instid0(SALU_CYCLE_1)
	s_xor_b32 s0, exec_lo, s0
	s_cbranch_execz .LBB14_1014
	s_branch .LBB14_977
.LBB14_905:
	s_mov_b32 s19, -1
	s_mov_b32 s0, s15
	s_branch .LBB14_974
.LBB14_906:
	s_mov_b32 s19, 0
.LBB14_907:
	s_delay_alu instid0(SALU_CYCLE_1)
	s_and_b32 vcc_lo, exec_lo, s19
	s_cbranch_vccz .LBB14_912
; %bb.908:
	s_cmp_eq_u32 s13, 44
	s_mov_b32 s0, -1
	s_cbranch_scc0 .LBB14_912
; %bb.909:
	v_cndmask_b32_e64 v4, 0, 1.0, s16
	s_mov_b32 s19, exec_lo
	s_wait_xcnt 0x0
	s_delay_alu instid0(VALU_DEP_1) | instskip(NEXT) | instid1(VALU_DEP_1)
	v_dual_mov_b32 v3, 0xff :: v_dual_lshrrev_b32 v2, 23, v4
	v_cmpx_ne_u32_e32 0xff, v2
; %bb.910:
	v_and_b32_e32 v3, 0x400000, v4
	v_and_or_b32 v4, 0x3fffff, v4, v2
	s_delay_alu instid0(VALU_DEP_2) | instskip(NEXT) | instid1(VALU_DEP_2)
	v_cmp_ne_u32_e32 vcc_lo, 0, v3
	v_cmp_ne_u32_e64 s0, 0, v4
	s_and_b32 s0, vcc_lo, s0
	s_delay_alu instid0(SALU_CYCLE_1) | instskip(NEXT) | instid1(VALU_DEP_1)
	v_cndmask_b32_e64 v3, 0, 1, s0
	v_add_nc_u32_e32 v3, v2, v3
; %bb.911:
	s_or_b32 exec_lo, exec_lo, s19
	s_mov_b32 s0, 0
	global_store_b8 v[0:1], v3, off
.LBB14_912:
	s_mov_b32 s19, 0
.LBB14_913:
	s_delay_alu instid0(SALU_CYCLE_1)
	s_and_b32 vcc_lo, exec_lo, s19
	s_cbranch_vccz .LBB14_916
; %bb.914:
	s_cmp_eq_u32 s13, 29
	s_mov_b32 s0, -1
	s_cbranch_scc0 .LBB14_916
; %bb.915:
	s_mov_b32 s0, 0
	s_wait_xcnt 0x0
	v_cndmask_b32_e64 v2, 0, 1, s16
	v_mov_b32_e32 v3, s0
	s_mov_b32 s19, 0
	global_store_b64 v[0:1], v[2:3], off
	s_branch .LBB14_917
.LBB14_916:
	s_mov_b32 s19, 0
.LBB14_917:
	s_delay_alu instid0(SALU_CYCLE_1)
	s_and_b32 vcc_lo, exec_lo, s19
	s_cbranch_vccz .LBB14_932
; %bb.918:
	s_cmp_lt_i32 s13, 27
	s_mov_b32 s19, -1
	s_cbranch_scc1 .LBB14_924
; %bb.919:
	s_wait_xcnt 0x0
	v_cndmask_b32_e64 v2, 0, 1, s16
	s_cmp_gt_i32 s13, 27
	s_cbranch_scc0 .LBB14_921
; %bb.920:
	s_mov_b32 s19, 0
	global_store_b32 v[0:1], v2, off
.LBB14_921:
	s_and_not1_b32 vcc_lo, exec_lo, s19
	s_cbranch_vccnz .LBB14_923
; %bb.922:
	global_store_b16 v[0:1], v2, off
.LBB14_923:
	s_mov_b32 s19, 0
.LBB14_924:
	s_delay_alu instid0(SALU_CYCLE_1)
	s_and_not1_b32 vcc_lo, exec_lo, s19
	s_cbranch_vccnz .LBB14_932
; %bb.925:
	s_wait_xcnt 0x0
	v_cndmask_b32_e64 v3, 0, 1.0, s16
	v_mov_b32_e32 v4, 0x80
	s_mov_b32 s19, exec_lo
	s_delay_alu instid0(VALU_DEP_2)
	v_cmpx_gt_u32_e32 0x43800000, v3
	s_cbranch_execz .LBB14_931
; %bb.926:
	s_mov_b32 s21, exec_lo
                                        ; implicit-def: $vgpr2
	v_cmpx_lt_u32_e32 0x3bffffff, v3
	s_xor_b32 s21, exec_lo, s21
	s_cbranch_execz .LBB14_1029
; %bb.927:
	v_bfe_u32 v2, v3, 20, 1
	s_mov_b32 s20, exec_lo
	s_delay_alu instid0(VALU_DEP_1) | instskip(NEXT) | instid1(VALU_DEP_1)
	v_add3_u32 v2, v3, v2, 0x487ffff
                                        ; implicit-def: $vgpr3
	v_lshrrev_b32_e32 v2, 20, v2
	s_and_not1_saveexec_b32 s21, s21
	s_cbranch_execnz .LBB14_1030
.LBB14_928:
	s_or_b32 exec_lo, exec_lo, s21
	v_mov_b32_e32 v4, 0
	s_and_saveexec_b32 s21, s20
.LBB14_929:
	v_mov_b32_e32 v4, v2
.LBB14_930:
	s_or_b32 exec_lo, exec_lo, s21
.LBB14_931:
	s_delay_alu instid0(SALU_CYCLE_1)
	s_or_b32 exec_lo, exec_lo, s19
	global_store_b8 v[0:1], v4, off
.LBB14_932:
	s_mov_b32 s19, 0
.LBB14_933:
	s_delay_alu instid0(SALU_CYCLE_1)
	s_and_b32 vcc_lo, exec_lo, s19
	s_mov_b32 s19, 0
	s_cbranch_vccz .LBB14_973
; %bb.934:
	s_cmp_gt_i32 s13, 22
	s_mov_b32 s20, -1
	s_cbranch_scc0 .LBB14_966
; %bb.935:
	s_cmp_lt_i32 s13, 24
	s_cbranch_scc1 .LBB14_955
; %bb.936:
	s_cmp_gt_i32 s13, 24
	s_cbranch_scc0 .LBB14_944
; %bb.937:
	s_wait_xcnt 0x0
	v_cndmask_b32_e64 v3, 0, 1.0, s16
	v_mov_b32_e32 v4, 0x80
	s_mov_b32 s20, exec_lo
	s_delay_alu instid0(VALU_DEP_2)
	v_cmpx_gt_u32_e32 0x47800000, v3
	s_cbranch_execz .LBB14_943
; %bb.938:
	s_mov_b32 s21, 0
	s_mov_b32 s22, exec_lo
                                        ; implicit-def: $vgpr2
	v_cmpx_lt_u32_e32 0x37ffffff, v3
	s_xor_b32 s22, exec_lo, s22
	s_cbranch_execz .LBB14_1150
; %bb.939:
	v_bfe_u32 v2, v3, 21, 1
	s_mov_b32 s21, exec_lo
	s_delay_alu instid0(VALU_DEP_1) | instskip(NEXT) | instid1(VALU_DEP_1)
	v_add3_u32 v2, v3, v2, 0x88fffff
                                        ; implicit-def: $vgpr3
	v_lshrrev_b32_e32 v2, 21, v2
	s_and_not1_saveexec_b32 s22, s22
	s_cbranch_execnz .LBB14_1151
.LBB14_940:
	s_or_b32 exec_lo, exec_lo, s22
	v_mov_b32_e32 v4, 0
	s_and_saveexec_b32 s22, s21
.LBB14_941:
	v_mov_b32_e32 v4, v2
.LBB14_942:
	s_or_b32 exec_lo, exec_lo, s22
.LBB14_943:
	s_delay_alu instid0(SALU_CYCLE_1)
	s_or_b32 exec_lo, exec_lo, s20
	s_mov_b32 s20, 0
	global_store_b8 v[0:1], v4, off
.LBB14_944:
	s_and_b32 vcc_lo, exec_lo, s20
	s_cbranch_vccz .LBB14_954
; %bb.945:
	s_wait_xcnt 0x0
	v_cndmask_b32_e64 v3, 0, 1.0, s16
	s_mov_b32 s20, exec_lo
                                        ; implicit-def: $vgpr2
	s_delay_alu instid0(VALU_DEP_1)
	v_cmpx_gt_u32_e32 0x43f00000, v3
	s_xor_b32 s20, exec_lo, s20
	s_cbranch_execz .LBB14_951
; %bb.946:
	s_mov_b32 s21, exec_lo
                                        ; implicit-def: $vgpr2
	v_cmpx_lt_u32_e32 0x3c7fffff, v3
	s_xor_b32 s21, exec_lo, s21
; %bb.947:
	v_bfe_u32 v2, v3, 20, 1
	s_delay_alu instid0(VALU_DEP_1) | instskip(NEXT) | instid1(VALU_DEP_1)
	v_add3_u32 v2, v3, v2, 0x407ffff
	v_and_b32_e32 v3, 0xff00000, v2
	v_lshrrev_b32_e32 v2, 20, v2
	s_delay_alu instid0(VALU_DEP_2) | instskip(NEXT) | instid1(VALU_DEP_2)
	v_cmp_ne_u32_e32 vcc_lo, 0x7f00000, v3
                                        ; implicit-def: $vgpr3
	v_cndmask_b32_e32 v2, 0x7e, v2, vcc_lo
; %bb.948:
	s_and_not1_saveexec_b32 s21, s21
; %bb.949:
	v_add_f32_e32 v2, 0x46800000, v3
; %bb.950:
	s_or_b32 exec_lo, exec_lo, s21
                                        ; implicit-def: $vgpr3
.LBB14_951:
	s_and_not1_saveexec_b32 s20, s20
; %bb.952:
	v_mov_b32_e32 v2, 0x7f
	v_cmp_lt_u32_e32 vcc_lo, 0x7f800000, v3
	s_delay_alu instid0(VALU_DEP_2)
	v_cndmask_b32_e32 v2, 0x7e, v2, vcc_lo
; %bb.953:
	s_or_b32 exec_lo, exec_lo, s20
	global_store_b8 v[0:1], v2, off
.LBB14_954:
	s_mov_b32 s20, 0
.LBB14_955:
	s_delay_alu instid0(SALU_CYCLE_1)
	s_and_not1_b32 vcc_lo, exec_lo, s20
	s_cbranch_vccnz .LBB14_965
; %bb.956:
	s_wait_xcnt 0x0
	v_cndmask_b32_e64 v3, 0, 1.0, s16
	s_mov_b32 s20, exec_lo
                                        ; implicit-def: $vgpr2
	s_delay_alu instid0(VALU_DEP_1)
	v_cmpx_gt_u32_e32 0x47800000, v3
	s_xor_b32 s20, exec_lo, s20
	s_cbranch_execz .LBB14_962
; %bb.957:
	s_mov_b32 s21, exec_lo
                                        ; implicit-def: $vgpr2
	v_cmpx_lt_u32_e32 0x387fffff, v3
	s_xor_b32 s21, exec_lo, s21
; %bb.958:
	v_bfe_u32 v2, v3, 21, 1
	s_delay_alu instid0(VALU_DEP_1) | instskip(NEXT) | instid1(VALU_DEP_1)
	v_add3_u32 v2, v3, v2, 0x80fffff
                                        ; implicit-def: $vgpr3
	v_lshrrev_b32_e32 v2, 21, v2
; %bb.959:
	s_and_not1_saveexec_b32 s21, s21
; %bb.960:
	v_add_f32_e32 v2, 0x43000000, v3
; %bb.961:
	s_or_b32 exec_lo, exec_lo, s21
                                        ; implicit-def: $vgpr3
.LBB14_962:
	s_and_not1_saveexec_b32 s20, s20
; %bb.963:
	v_mov_b32_e32 v2, 0x7f
	v_cmp_lt_u32_e32 vcc_lo, 0x7f800000, v3
	s_delay_alu instid0(VALU_DEP_2)
	v_cndmask_b32_e32 v2, 0x7c, v2, vcc_lo
; %bb.964:
	s_or_b32 exec_lo, exec_lo, s20
	global_store_b8 v[0:1], v2, off
.LBB14_965:
	s_mov_b32 s20, 0
.LBB14_966:
	s_delay_alu instid0(SALU_CYCLE_1)
	s_and_not1_b32 vcc_lo, exec_lo, s20
	s_mov_b32 s20, 0
	s_cbranch_vccnz .LBB14_974
; %bb.967:
	s_cmp_gt_i32 s13, 14
	s_mov_b32 s20, -1
	s_cbranch_scc0 .LBB14_971
; %bb.968:
	s_cmp_eq_u32 s13, 15
	s_mov_b32 s0, -1
	s_cbranch_scc0 .LBB14_970
; %bb.969:
	s_wait_xcnt 0x0
	v_cndmask_b32_e64 v2, 0, 1.0, s16
	s_mov_b32 s0, 0
	s_delay_alu instid0(VALU_DEP_1) | instskip(NEXT) | instid1(VALU_DEP_1)
	v_bfe_u32 v3, v2, 16, 1
	v_add3_u32 v2, v2, v3, 0x7fff
	global_store_d16_hi_b16 v[0:1], v2, off
.LBB14_970:
	s_mov_b32 s20, 0
.LBB14_971:
	s_delay_alu instid0(SALU_CYCLE_1)
	s_and_b32 vcc_lo, exec_lo, s20
	s_mov_b32 s20, 0
	s_cbranch_vccz .LBB14_974
; %bb.972:
	s_cmp_lg_u32 s13, 11
	s_mov_b32 s20, -1
	s_cselect_b32 s13, -1, 0
	s_and_not1_b32 s0, s0, exec_lo
	s_and_b32 s13, s13, exec_lo
	s_delay_alu instid0(SALU_CYCLE_1)
	s_or_b32 s0, s0, s13
	s_branch .LBB14_974
.LBB14_973:
	s_mov_b32 s20, 0
.LBB14_974:
	s_and_not1_b32 s13, s15, exec_lo
	s_and_b32 s0, s0, exec_lo
	s_and_b32 s19, s19, exec_lo
	;; [unrolled: 1-line block ×3, first 2 shown]
	s_or_b32 s15, s13, s0
	s_wait_xcnt 0x0
	s_or_b32 exec_lo, exec_lo, s18
	s_and_saveexec_b32 s0, s15
	s_cbranch_execz .LBB14_903
.LBB14_975:
	s_or_b32 s14, s14, exec_lo
	s_and_not1_b32 s20, s20, exec_lo
	s_trap 2
	s_or_b32 exec_lo, exec_lo, s0
	s_and_saveexec_b32 s0, s20
	s_delay_alu instid0(SALU_CYCLE_1)
	s_xor_b32 s0, exec_lo, s0
	s_cbranch_execnz .LBB14_904
.LBB14_976:
	s_or_b32 exec_lo, exec_lo, s0
	s_and_saveexec_b32 s0, s19
	s_delay_alu instid0(SALU_CYCLE_1)
	s_xor_b32 s0, exec_lo, s0
	s_cbranch_execz .LBB14_1014
.LBB14_977:
	s_sext_i32_i16 s15, s17
	s_mov_b32 s13, -1
	s_cmp_lt_i32 s15, 5
	s_cbranch_scc1 .LBB14_998
; %bb.978:
	s_cmp_lt_i32 s15, 8
	s_cbranch_scc1 .LBB14_988
; %bb.979:
	s_cmp_lt_i32 s15, 9
	s_cbranch_scc1 .LBB14_985
; %bb.980:
	s_cmp_gt_i32 s15, 9
	s_cbranch_scc0 .LBB14_982
; %bb.981:
	s_wait_loadcnt 0x0
	v_cndmask_b32_e64 v2, 0, 1, s16
	v_mov_b32_e32 v4, 0
	s_mov_b32 s13, 0
	s_delay_alu instid0(VALU_DEP_2) | instskip(NEXT) | instid1(VALU_DEP_2)
	v_cvt_f64_u32_e32 v[2:3], v2
	v_mov_b32_e32 v5, v4
	global_store_b128 v[0:1], v[2:5], off
.LBB14_982:
	s_and_not1_b32 vcc_lo, exec_lo, s13
	s_cbranch_vccnz .LBB14_984
; %bb.983:
	s_wait_loadcnt 0x0
	v_cndmask_b32_e64 v2, 0, 1.0, s16
	v_mov_b32_e32 v3, 0
	global_store_b64 v[0:1], v[2:3], off
.LBB14_984:
	s_mov_b32 s13, 0
.LBB14_985:
	s_delay_alu instid0(SALU_CYCLE_1)
	s_and_not1_b32 vcc_lo, exec_lo, s13
	s_cbranch_vccnz .LBB14_987
; %bb.986:
	s_wait_loadcnt 0x0
	v_cndmask_b32_e64 v2, 0, 1.0, s16
	s_delay_alu instid0(VALU_DEP_1) | instskip(NEXT) | instid1(VALU_DEP_1)
	v_cvt_f16_f32_e32 v2, v2
	v_and_b32_e32 v2, 0xffff, v2
	global_store_b32 v[0:1], v2, off
.LBB14_987:
	s_mov_b32 s13, 0
.LBB14_988:
	s_delay_alu instid0(SALU_CYCLE_1)
	s_and_not1_b32 vcc_lo, exec_lo, s13
	s_cbranch_vccnz .LBB14_997
; %bb.989:
	s_sext_i32_i16 s15, s17
	s_mov_b32 s13, -1
	s_cmp_lt_i32 s15, 6
	s_cbranch_scc1 .LBB14_995
; %bb.990:
	s_cmp_gt_i32 s15, 6
	s_cbranch_scc0 .LBB14_992
; %bb.991:
	s_wait_loadcnt 0x0
	v_cndmask_b32_e64 v2, 0, 1, s16
	s_mov_b32 s13, 0
	s_delay_alu instid0(VALU_DEP_1)
	v_cvt_f64_u32_e32 v[2:3], v2
	global_store_b64 v[0:1], v[2:3], off
.LBB14_992:
	s_and_not1_b32 vcc_lo, exec_lo, s13
	s_cbranch_vccnz .LBB14_994
; %bb.993:
	s_wait_loadcnt 0x0
	v_cndmask_b32_e64 v2, 0, 1.0, s16
	global_store_b32 v[0:1], v2, off
.LBB14_994:
	s_mov_b32 s13, 0
.LBB14_995:
	s_delay_alu instid0(SALU_CYCLE_1)
	s_and_not1_b32 vcc_lo, exec_lo, s13
	s_cbranch_vccnz .LBB14_997
; %bb.996:
	s_wait_loadcnt 0x0
	v_cndmask_b32_e64 v2, 0, 1.0, s16
	s_delay_alu instid0(VALU_DEP_1)
	v_cvt_f16_f32_e32 v2, v2
	global_store_b16 v[0:1], v2, off
.LBB14_997:
	s_mov_b32 s13, 0
.LBB14_998:
	s_delay_alu instid0(SALU_CYCLE_1)
	s_and_not1_b32 vcc_lo, exec_lo, s13
	s_cbranch_vccnz .LBB14_1014
; %bb.999:
	s_sext_i32_i16 s15, s17
	s_mov_b32 s13, -1
	s_cmp_lt_i32 s15, 2
	s_cbranch_scc1 .LBB14_1009
; %bb.1000:
	s_cmp_lt_i32 s15, 3
	s_cbranch_scc1 .LBB14_1006
; %bb.1001:
	s_cmp_gt_i32 s15, 3
	s_cbranch_scc0 .LBB14_1003
; %bb.1002:
	s_mov_b32 s13, 0
	s_wait_loadcnt 0x0
	v_cndmask_b32_e64 v2, 0, 1, s16
	v_mov_b32_e32 v3, s13
	global_store_b64 v[0:1], v[2:3], off
.LBB14_1003:
	s_and_not1_b32 vcc_lo, exec_lo, s13
	s_cbranch_vccnz .LBB14_1005
; %bb.1004:
	s_wait_loadcnt 0x0
	v_cndmask_b32_e64 v2, 0, 1, s16
	global_store_b32 v[0:1], v2, off
.LBB14_1005:
	s_mov_b32 s13, 0
.LBB14_1006:
	s_delay_alu instid0(SALU_CYCLE_1)
	s_and_not1_b32 vcc_lo, exec_lo, s13
	s_cbranch_vccnz .LBB14_1008
; %bb.1007:
	s_wait_loadcnt 0x0
	v_cndmask_b32_e64 v2, 0, 1, s16
	global_store_b16 v[0:1], v2, off
.LBB14_1008:
	s_mov_b32 s13, 0
.LBB14_1009:
	s_delay_alu instid0(SALU_CYCLE_1)
	s_and_not1_b32 vcc_lo, exec_lo, s13
	s_cbranch_vccnz .LBB14_1014
; %bb.1010:
	s_wait_loadcnt 0x0
	v_cndmask_b32_e64 v2, 0, 1, s16
	s_sext_i32_i16 s13, s17
	s_delay_alu instid0(SALU_CYCLE_1)
	s_cmp_gt_i32 s13, 0
	s_mov_b32 s13, -1
	s_cbranch_scc0 .LBB14_1012
; %bb.1011:
	s_mov_b32 s13, 0
	global_store_b8 v[0:1], v2, off
.LBB14_1012:
	s_and_not1_b32 vcc_lo, exec_lo, s13
	s_cbranch_vccnz .LBB14_1014
; %bb.1013:
	global_store_b8 v[0:1], v2, off
.LBB14_1014:
	s_wait_xcnt 0x0
	s_or_b32 exec_lo, exec_lo, s0
	s_delay_alu instid0(SALU_CYCLE_1)
	s_and_b32 s13, s14, exec_lo
                                        ; implicit-def: $vgpr10
.LBB14_1015:
	s_or_saveexec_b32 s12, s12
	s_mov_b32 s0, 0
                                        ; implicit-def: $sgpr15
                                        ; implicit-def: $sgpr14
                                        ; implicit-def: $vgpr0_vgpr1
	s_xor_b32 exec_lo, exec_lo, s12
	s_cbranch_execz .LBB14_1949
; %bb.1016:
	s_wait_loadcnt 0x0
	v_mul_lo_u32 v2, s9, v10
	s_and_b32 s0, 0xffff, s3
	s_delay_alu instid0(SALU_CYCLE_1) | instskip(NEXT) | instid1(VALU_DEP_1)
	s_cmp_lt_i32 s0, 11
	v_ashrrev_i32_e32 v3, 31, v2
	s_delay_alu instid0(VALU_DEP_1)
	v_add_nc_u64_e32 v[4:5], s[6:7], v[2:3]
	s_cbranch_scc1 .LBB14_1023
; %bb.1017:
	s_cmp_gt_i32 s0, 25
	s_mov_b32 s3, 0
	s_cbranch_scc0 .LBB14_1025
; %bb.1018:
	s_cmp_gt_i32 s0, 28
	s_cbranch_scc0 .LBB14_1026
; %bb.1019:
	s_cmp_gt_i32 s0, 43
	s_cbranch_scc0 .LBB14_1027
; %bb.1020:
	s_cmp_gt_i32 s0, 45
	s_cbranch_scc0 .LBB14_1028
; %bb.1021:
	s_cmp_eq_u32 s0, 46
	s_mov_b32 s15, 0
	s_cbranch_scc0 .LBB14_1031
; %bb.1022:
	global_load_b32 v0, v[4:5], off
	s_mov_b32 s14, -1
	s_wait_loadcnt 0x0
	v_lshlrev_b32_e32 v0, 16, v0
	s_delay_alu instid0(VALU_DEP_1) | instskip(NEXT) | instid1(VALU_DEP_1)
	v_trunc_f32_e32 v0, v0
	v_mul_f32_e64 v1, 0x2f800000, |v0|
	s_delay_alu instid0(VALU_DEP_1) | instskip(NEXT) | instid1(VALU_DEP_1)
	v_floor_f32_e32 v1, v1
	v_fma_f32 v1, 0xcf800000, v1, |v0|
	v_ashrrev_i32_e32 v0, 31, v0
	s_delay_alu instid0(VALU_DEP_2) | instskip(NEXT) | instid1(VALU_DEP_1)
	v_cvt_u32_f32_e32 v1, v1
	v_xor_b32_e32 v1, v1, v0
	s_delay_alu instid0(VALU_DEP_1)
	v_sub_nc_u32_e32 v0, v1, v0
	s_branch .LBB14_1033
.LBB14_1023:
	s_mov_b32 s14, 0
	s_mov_b32 s1, s13
                                        ; implicit-def: $vgpr0
	s_cbranch_execnz .LBB14_1091
.LBB14_1024:
	s_and_not1_b32 vcc_lo, exec_lo, s14
	s_cbranch_vccz .LBB14_1136
	s_branch .LBB14_1947
.LBB14_1025:
	s_mov_b32 s14, 0
                                        ; implicit-def: $vgpr0
	s_cbranch_execnz .LBB14_1058
	s_branch .LBB14_1087
.LBB14_1026:
	s_mov_b32 s14, 0
                                        ; implicit-def: $vgpr0
	s_cbranch_execz .LBB14_1057
	s_branch .LBB14_1042
.LBB14_1027:
	s_mov_b32 s14, 0
                                        ; implicit-def: $vgpr0
	s_cbranch_execnz .LBB14_1038
	s_branch .LBB14_1041
.LBB14_1028:
	s_mov_b32 s15, -1
	s_branch .LBB14_1032
.LBB14_1029:
	s_and_not1_saveexec_b32 s21, s21
	s_cbranch_execz .LBB14_928
.LBB14_1030:
	v_add_f32_e32 v2, 0x46000000, v3
	s_and_not1_b32 s20, s20, exec_lo
	s_delay_alu instid0(VALU_DEP_1) | instskip(NEXT) | instid1(VALU_DEP_1)
	v_and_b32_e32 v2, 0xff, v2
	v_cmp_ne_u32_e32 vcc_lo, 0, v2
	s_and_b32 s22, vcc_lo, exec_lo
	s_delay_alu instid0(SALU_CYCLE_1)
	s_or_b32 s20, s20, s22
	s_or_b32 exec_lo, exec_lo, s21
	v_mov_b32_e32 v4, 0
	s_and_saveexec_b32 s21, s20
	s_cbranch_execnz .LBB14_929
	s_branch .LBB14_930
.LBB14_1031:
	s_mov_b32 s1, -1
.LBB14_1032:
	s_mov_b32 s14, 0
                                        ; implicit-def: $vgpr0
.LBB14_1033:
	s_and_b32 vcc_lo, exec_lo, s15
	s_cbranch_vccz .LBB14_1036
; %bb.1034:
	s_cmp_eq_u32 s0, 44
	s_cbranch_scc0 .LBB14_1037
; %bb.1035:
	global_load_u8 v0, v[4:5], off
	s_mov_b32 s1, 0
	s_mov_b32 s14, -1
	s_wait_loadcnt 0x0
	v_lshlrev_b32_e32 v1, 23, v0
	v_cmp_ne_u32_e32 vcc_lo, 0, v0
	s_delay_alu instid0(VALU_DEP_2) | instskip(NEXT) | instid1(VALU_DEP_1)
	v_trunc_f32_e32 v1, v1
	v_mul_f32_e64 v3, 0x2f800000, |v1|
	s_delay_alu instid0(VALU_DEP_1) | instskip(NEXT) | instid1(VALU_DEP_1)
	v_floor_f32_e32 v3, v3
	v_fma_f32 v3, 0xcf800000, v3, |v1|
	v_ashrrev_i32_e32 v1, 31, v1
	s_delay_alu instid0(VALU_DEP_2) | instskip(NEXT) | instid1(VALU_DEP_1)
	v_cvt_u32_f32_e32 v3, v3
	v_xor_b32_e32 v3, v3, v1
	s_delay_alu instid0(VALU_DEP_1) | instskip(NEXT) | instid1(VALU_DEP_1)
	v_sub_nc_u32_e32 v1, v3, v1
	v_cndmask_b32_e32 v0, 0, v1, vcc_lo
.LBB14_1036:
	s_branch .LBB14_1041
.LBB14_1037:
	s_mov_b32 s1, -1
                                        ; implicit-def: $vgpr0
	s_branch .LBB14_1041
.LBB14_1038:
	s_cmp_eq_u32 s0, 29
	s_cbranch_scc0 .LBB14_1040
; %bb.1039:
	global_load_b64 v[0:1], v[4:5], off
	s_mov_b32 s1, 0
	s_mov_b32 s14, -1
	s_branch .LBB14_1041
.LBB14_1040:
	s_mov_b32 s1, -1
                                        ; implicit-def: $vgpr0
.LBB14_1041:
	s_branch .LBB14_1057
.LBB14_1042:
	s_cmp_lt_i32 s0, 27
	s_cbranch_scc1 .LBB14_1045
; %bb.1043:
	s_cmp_gt_i32 s0, 27
	s_cbranch_scc0 .LBB14_1046
; %bb.1044:
	s_wait_loadcnt 0x0
	global_load_b32 v0, v[4:5], off
	s_mov_b32 s14, 0
	s_branch .LBB14_1047
.LBB14_1045:
	s_mov_b32 s14, -1
                                        ; implicit-def: $vgpr0
	s_branch .LBB14_1050
.LBB14_1046:
	s_mov_b32 s14, -1
                                        ; implicit-def: $vgpr0
.LBB14_1047:
	s_delay_alu instid0(SALU_CYCLE_1)
	s_and_not1_b32 vcc_lo, exec_lo, s14
	s_cbranch_vccnz .LBB14_1049
; %bb.1048:
	s_wait_loadcnt 0x0
	global_load_u16 v0, v[4:5], off
.LBB14_1049:
	s_mov_b32 s14, 0
.LBB14_1050:
	s_delay_alu instid0(SALU_CYCLE_1)
	s_and_not1_b32 vcc_lo, exec_lo, s14
	s_cbranch_vccnz .LBB14_1056
; %bb.1051:
	s_wait_loadcnt 0x0
	global_load_u8 v1, v[4:5], off
	s_mov_b32 s15, 0
	s_mov_b32 s14, exec_lo
	s_wait_loadcnt 0x0
	v_cmpx_lt_i16_e32 0x7f, v1
	s_xor_b32 s14, exec_lo, s14
	s_cbranch_execz .LBB14_1067
; %bb.1052:
	v_cmp_ne_u16_e32 vcc_lo, 0x80, v1
	s_and_b32 s15, vcc_lo, exec_lo
	s_and_not1_saveexec_b32 s14, s14
	s_cbranch_execnz .LBB14_1068
.LBB14_1053:
	s_or_b32 exec_lo, exec_lo, s14
	v_mov_b32_e32 v0, 0
	s_and_saveexec_b32 s14, s15
	s_cbranch_execz .LBB14_1055
.LBB14_1054:
	v_and_b32_e32 v0, 0xffff, v1
	s_delay_alu instid0(VALU_DEP_1) | instskip(SKIP_1) | instid1(VALU_DEP_2)
	v_and_b32_e32 v3, 7, v0
	v_bfe_u32 v8, v0, 3, 4
	v_clz_i32_u32_e32 v6, v3
	s_delay_alu instid0(VALU_DEP_2) | instskip(NEXT) | instid1(VALU_DEP_2)
	v_cmp_eq_u32_e32 vcc_lo, 0, v8
	v_min_u32_e32 v6, 32, v6
	s_delay_alu instid0(VALU_DEP_1) | instskip(NEXT) | instid1(VALU_DEP_1)
	v_subrev_nc_u32_e32 v7, 28, v6
	v_dual_lshlrev_b32 v0, v7, v0 :: v_dual_sub_nc_u32 v6, 29, v6
	s_delay_alu instid0(VALU_DEP_1) | instskip(NEXT) | instid1(VALU_DEP_1)
	v_dual_lshlrev_b32 v1, 24, v1 :: v_dual_bitop2_b32 v0, 7, v0 bitop3:0x40
	v_dual_cndmask_b32 v6, v8, v6, vcc_lo :: v_dual_cndmask_b32 v0, v3, v0, vcc_lo
	s_delay_alu instid0(VALU_DEP_2) | instskip(NEXT) | instid1(VALU_DEP_2)
	v_and_b32_e32 v1, 0x80000000, v1
	v_lshl_add_u32 v3, v6, 23, 0x3b800000
	s_delay_alu instid0(VALU_DEP_3) | instskip(NEXT) | instid1(VALU_DEP_1)
	v_lshlrev_b32_e32 v0, 20, v0
	v_or3_b32 v0, v1, v3, v0
	s_delay_alu instid0(VALU_DEP_1) | instskip(NEXT) | instid1(VALU_DEP_1)
	v_trunc_f32_e32 v0, v0
	v_mul_f32_e64 v1, 0x2f800000, |v0|
	s_delay_alu instid0(VALU_DEP_1) | instskip(NEXT) | instid1(VALU_DEP_1)
	v_floor_f32_e32 v1, v1
	v_fma_f32 v1, 0xcf800000, v1, |v0|
	v_ashrrev_i32_e32 v0, 31, v0
	s_delay_alu instid0(VALU_DEP_2) | instskip(NEXT) | instid1(VALU_DEP_1)
	v_cvt_u32_f32_e32 v1, v1
	v_xor_b32_e32 v1, v1, v0
	s_delay_alu instid0(VALU_DEP_1)
	v_sub_nc_u32_e32 v0, v1, v0
.LBB14_1055:
	s_or_b32 exec_lo, exec_lo, s14
.LBB14_1056:
	s_mov_b32 s14, -1
.LBB14_1057:
	s_branch .LBB14_1087
.LBB14_1058:
	s_cmp_gt_i32 s0, 22
	s_cbranch_scc0 .LBB14_1066
; %bb.1059:
	s_cmp_lt_i32 s0, 24
	s_cbranch_scc1 .LBB14_1069
; %bb.1060:
	s_cmp_gt_i32 s0, 24
	s_cbranch_scc0 .LBB14_1070
; %bb.1061:
	s_wait_loadcnt 0x0
	global_load_u8 v1, v[4:5], off
	s_mov_b32 s14, 0
	s_mov_b32 s3, exec_lo
	s_wait_loadcnt 0x0
	v_cmpx_lt_i16_e32 0x7f, v1
	s_xor_b32 s3, exec_lo, s3
	s_cbranch_execz .LBB14_1081
; %bb.1062:
	v_cmp_ne_u16_e32 vcc_lo, 0x80, v1
	s_and_b32 s14, vcc_lo, exec_lo
	s_and_not1_saveexec_b32 s3, s3
	s_cbranch_execnz .LBB14_1082
.LBB14_1063:
	s_or_b32 exec_lo, exec_lo, s3
	v_mov_b32_e32 v0, 0
	s_and_saveexec_b32 s3, s14
	s_cbranch_execz .LBB14_1065
.LBB14_1064:
	v_and_b32_e32 v0, 0xffff, v1
	s_delay_alu instid0(VALU_DEP_1) | instskip(SKIP_1) | instid1(VALU_DEP_2)
	v_and_b32_e32 v3, 3, v0
	v_bfe_u32 v8, v0, 2, 5
	v_clz_i32_u32_e32 v6, v3
	s_delay_alu instid0(VALU_DEP_2) | instskip(NEXT) | instid1(VALU_DEP_2)
	v_cmp_eq_u32_e32 vcc_lo, 0, v8
	v_min_u32_e32 v6, 32, v6
	s_delay_alu instid0(VALU_DEP_1) | instskip(NEXT) | instid1(VALU_DEP_1)
	v_subrev_nc_u32_e32 v7, 29, v6
	v_dual_lshlrev_b32 v0, v7, v0 :: v_dual_sub_nc_u32 v6, 30, v6
	s_delay_alu instid0(VALU_DEP_1) | instskip(NEXT) | instid1(VALU_DEP_1)
	v_dual_lshlrev_b32 v1, 24, v1 :: v_dual_bitop2_b32 v0, 3, v0 bitop3:0x40
	v_dual_cndmask_b32 v6, v8, v6, vcc_lo :: v_dual_cndmask_b32 v0, v3, v0, vcc_lo
	s_delay_alu instid0(VALU_DEP_2) | instskip(NEXT) | instid1(VALU_DEP_2)
	v_and_b32_e32 v1, 0x80000000, v1
	v_lshl_add_u32 v3, v6, 23, 0x37800000
	s_delay_alu instid0(VALU_DEP_3) | instskip(NEXT) | instid1(VALU_DEP_1)
	v_lshlrev_b32_e32 v0, 21, v0
	v_or3_b32 v0, v1, v3, v0
	s_delay_alu instid0(VALU_DEP_1) | instskip(NEXT) | instid1(VALU_DEP_1)
	v_trunc_f32_e32 v0, v0
	v_mul_f32_e64 v1, 0x2f800000, |v0|
	s_delay_alu instid0(VALU_DEP_1) | instskip(NEXT) | instid1(VALU_DEP_1)
	v_floor_f32_e32 v1, v1
	v_fma_f32 v1, 0xcf800000, v1, |v0|
	v_ashrrev_i32_e32 v0, 31, v0
	s_delay_alu instid0(VALU_DEP_2) | instskip(NEXT) | instid1(VALU_DEP_1)
	v_cvt_u32_f32_e32 v1, v1
	v_xor_b32_e32 v1, v1, v0
	s_delay_alu instid0(VALU_DEP_1)
	v_sub_nc_u32_e32 v0, v1, v0
.LBB14_1065:
	s_or_b32 exec_lo, exec_lo, s3
	s_mov_b32 s3, 0
	s_branch .LBB14_1071
.LBB14_1066:
                                        ; implicit-def: $vgpr0
	s_mov_b32 s3, 0
	s_branch .LBB14_1077
.LBB14_1067:
	s_and_not1_saveexec_b32 s14, s14
	s_cbranch_execz .LBB14_1053
.LBB14_1068:
	v_cmp_ne_u16_e32 vcc_lo, 0, v1
	s_and_not1_b32 s15, s15, exec_lo
	s_and_b32 s16, vcc_lo, exec_lo
	s_delay_alu instid0(SALU_CYCLE_1)
	s_or_b32 s15, s15, s16
	s_or_b32 exec_lo, exec_lo, s14
	v_mov_b32_e32 v0, 0
	s_and_saveexec_b32 s14, s15
	s_cbranch_execnz .LBB14_1054
	s_branch .LBB14_1055
.LBB14_1069:
	s_mov_b32 s3, -1
                                        ; implicit-def: $vgpr0
	s_branch .LBB14_1074
.LBB14_1070:
	s_mov_b32 s3, -1
                                        ; implicit-def: $vgpr0
.LBB14_1071:
	s_delay_alu instid0(SALU_CYCLE_1)
	s_and_b32 vcc_lo, exec_lo, s3
	s_cbranch_vccz .LBB14_1073
; %bb.1072:
	s_wait_loadcnt 0x0
	global_load_u8 v0, v[4:5], off
	s_wait_loadcnt 0x0
	v_lshlrev_b32_e32 v0, 24, v0
	s_delay_alu instid0(VALU_DEP_1) | instskip(NEXT) | instid1(VALU_DEP_1)
	v_and_b32_e32 v1, 0x7f000000, v0
	v_clz_i32_u32_e32 v3, v1
	v_add_nc_u32_e32 v7, 0x1000000, v1
	v_cmp_ne_u32_e32 vcc_lo, 0, v1
	s_delay_alu instid0(VALU_DEP_3) | instskip(NEXT) | instid1(VALU_DEP_1)
	v_min_u32_e32 v3, 32, v3
	v_sub_nc_u32_e64 v3, v3, 4 clamp
	s_delay_alu instid0(VALU_DEP_1) | instskip(NEXT) | instid1(VALU_DEP_1)
	v_dual_lshlrev_b32 v6, v3, v1 :: v_dual_lshlrev_b32 v3, 23, v3
	v_lshrrev_b32_e32 v6, 4, v6
	s_delay_alu instid0(VALU_DEP_1) | instskip(SKIP_1) | instid1(VALU_DEP_2)
	v_sub_nc_u32_e32 v3, v6, v3
	v_ashrrev_i32_e32 v6, 8, v7
	v_add_nc_u32_e32 v3, 0x3c000000, v3
	s_delay_alu instid0(VALU_DEP_1) | instskip(NEXT) | instid1(VALU_DEP_1)
	v_and_or_b32 v3, 0x7f800000, v6, v3
	v_cndmask_b32_e32 v1, 0, v3, vcc_lo
	s_delay_alu instid0(VALU_DEP_1) | instskip(NEXT) | instid1(VALU_DEP_1)
	v_and_or_b32 v0, 0x80000000, v0, v1
	v_trunc_f32_e32 v0, v0
	s_delay_alu instid0(VALU_DEP_1) | instskip(NEXT) | instid1(VALU_DEP_1)
	v_mul_f32_e64 v1, 0x2f800000, |v0|
	v_floor_f32_e32 v1, v1
	s_delay_alu instid0(VALU_DEP_1) | instskip(SKIP_1) | instid1(VALU_DEP_2)
	v_fma_f32 v1, 0xcf800000, v1, |v0|
	v_ashrrev_i32_e32 v0, 31, v0
	v_cvt_u32_f32_e32 v1, v1
	s_delay_alu instid0(VALU_DEP_1) | instskip(NEXT) | instid1(VALU_DEP_1)
	v_xor_b32_e32 v1, v1, v0
	v_sub_nc_u32_e32 v0, v1, v0
.LBB14_1073:
	s_mov_b32 s3, 0
.LBB14_1074:
	s_delay_alu instid0(SALU_CYCLE_1)
	s_and_not1_b32 vcc_lo, exec_lo, s3
	s_cbranch_vccnz .LBB14_1076
; %bb.1075:
	s_wait_loadcnt 0x0
	global_load_u8 v0, v[4:5], off
	s_wait_loadcnt 0x0
	v_lshlrev_b32_e32 v1, 25, v0
	v_lshlrev_b16 v0, 8, v0
	s_delay_alu instid0(VALU_DEP_1) | instskip(SKIP_1) | instid1(VALU_DEP_2)
	v_and_or_b32 v6, 0x7f00, v0, 0.5
	v_bfe_i32 v0, v0, 0, 16
	v_dual_add_f32 v6, -0.5, v6 :: v_dual_lshrrev_b32 v3, 4, v1
	v_cmp_gt_u32_e32 vcc_lo, 0x8000000, v1
	s_delay_alu instid0(VALU_DEP_2) | instskip(NEXT) | instid1(VALU_DEP_1)
	v_or_b32_e32 v3, 0x70000000, v3
	v_mul_f32_e32 v3, 0x7800000, v3
	s_delay_alu instid0(VALU_DEP_1) | instskip(NEXT) | instid1(VALU_DEP_1)
	v_cndmask_b32_e32 v1, v3, v6, vcc_lo
	v_and_or_b32 v0, 0x80000000, v0, v1
	s_delay_alu instid0(VALU_DEP_1) | instskip(NEXT) | instid1(VALU_DEP_1)
	v_trunc_f32_e32 v0, v0
	v_mul_f32_e64 v1, 0x2f800000, |v0|
	s_delay_alu instid0(VALU_DEP_1) | instskip(NEXT) | instid1(VALU_DEP_1)
	v_floor_f32_e32 v1, v1
	v_fma_f32 v1, 0xcf800000, v1, |v0|
	v_ashrrev_i32_e32 v0, 31, v0
	s_delay_alu instid0(VALU_DEP_2) | instskip(NEXT) | instid1(VALU_DEP_1)
	v_cvt_u32_f32_e32 v1, v1
	v_xor_b32_e32 v1, v1, v0
	s_delay_alu instid0(VALU_DEP_1)
	v_sub_nc_u32_e32 v0, v1, v0
.LBB14_1076:
	s_mov_b32 s14, -1
	s_mov_b32 s3, 0
	s_cbranch_execnz .LBB14_1087
.LBB14_1077:
	s_cmp_gt_i32 s0, 14
	s_cbranch_scc0 .LBB14_1080
; %bb.1078:
	s_cmp_eq_u32 s0, 15
	s_cbranch_scc0 .LBB14_1083
; %bb.1079:
	s_wait_loadcnt 0x0
	global_load_u16 v0, v[4:5], off
	s_mov_b32 s1, 0
	s_mov_b32 s14, -1
	s_wait_loadcnt 0x0
	v_lshlrev_b32_e32 v0, 16, v0
	s_delay_alu instid0(VALU_DEP_1) | instskip(NEXT) | instid1(VALU_DEP_1)
	v_trunc_f32_e32 v0, v0
	v_mul_f32_e64 v1, 0x2f800000, |v0|
	s_delay_alu instid0(VALU_DEP_1) | instskip(NEXT) | instid1(VALU_DEP_1)
	v_floor_f32_e32 v1, v1
	v_fma_f32 v1, 0xcf800000, v1, |v0|
	v_ashrrev_i32_e32 v0, 31, v0
	s_delay_alu instid0(VALU_DEP_2) | instskip(NEXT) | instid1(VALU_DEP_1)
	v_cvt_u32_f32_e32 v1, v1
	v_xor_b32_e32 v1, v1, v0
	s_delay_alu instid0(VALU_DEP_1)
	v_sub_nc_u32_e32 v0, v1, v0
	s_branch .LBB14_1085
.LBB14_1080:
	s_mov_b32 s3, -1
	s_branch .LBB14_1084
.LBB14_1081:
	s_and_not1_saveexec_b32 s3, s3
	s_cbranch_execz .LBB14_1063
.LBB14_1082:
	v_cmp_ne_u16_e32 vcc_lo, 0, v1
	s_and_not1_b32 s14, s14, exec_lo
	s_and_b32 s15, vcc_lo, exec_lo
	s_delay_alu instid0(SALU_CYCLE_1)
	s_or_b32 s14, s14, s15
	s_or_b32 exec_lo, exec_lo, s3
	v_mov_b32_e32 v0, 0
	s_and_saveexec_b32 s3, s14
	s_cbranch_execnz .LBB14_1064
	s_branch .LBB14_1065
.LBB14_1083:
	s_mov_b32 s1, -1
.LBB14_1084:
                                        ; implicit-def: $vgpr0
.LBB14_1085:
	s_and_b32 vcc_lo, exec_lo, s3
	s_mov_b32 s3, 0
	s_cbranch_vccz .LBB14_1087
; %bb.1086:
	s_cmp_lg_u32 s0, 11
	s_mov_b32 s3, -1
	s_cselect_b32 s1, -1, 0
.LBB14_1087:
	s_delay_alu instid0(SALU_CYCLE_1)
	s_and_b32 vcc_lo, exec_lo, s1
	s_mov_b32 s1, s13
	s_cbranch_vccnz .LBB14_1148
; %bb.1088:
	s_and_not1_b32 vcc_lo, exec_lo, s3
	s_cbranch_vccnz .LBB14_1090
.LBB14_1089:
	s_wait_loadcnt 0x0
	global_load_u8 v0, v[4:5], off
	s_mov_b32 s14, -1
	s_wait_loadcnt 0x0
	v_cmp_ne_u16_e32 vcc_lo, 0, v0
	v_cndmask_b32_e64 v0, 0, 1, vcc_lo
.LBB14_1090:
	s_branch .LBB14_1024
.LBB14_1091:
	s_cmp_lt_i32 s0, 5
	s_cbranch_scc1 .LBB14_1096
; %bb.1092:
	s_cmp_lt_i32 s0, 8
	s_cbranch_scc1 .LBB14_1097
; %bb.1093:
	;; [unrolled: 3-line block ×3, first 2 shown]
	s_cmp_gt_i32 s0, 9
	s_cbranch_scc0 .LBB14_1099
; %bb.1095:
	s_wait_loadcnt 0x0
	global_load_b64 v[0:1], v[4:5], off
	s_mov_b32 s3, 0
	s_wait_loadcnt 0x0
	v_trunc_f64_e32 v[0:1], v[0:1]
	s_delay_alu instid0(VALU_DEP_1) | instskip(NEXT) | instid1(VALU_DEP_1)
	v_ldexp_f64 v[6:7], v[0:1], 0xffffffe0
	v_floor_f64_e32 v[6:7], v[6:7]
	s_delay_alu instid0(VALU_DEP_1) | instskip(NEXT) | instid1(VALU_DEP_1)
	v_fmamk_f64 v[0:1], v[6:7], 0xc1f00000, v[0:1]
	v_cvt_u32_f64_e32 v0, v[0:1]
	s_branch .LBB14_1100
.LBB14_1096:
                                        ; implicit-def: $vgpr0
	s_branch .LBB14_1117
.LBB14_1097:
                                        ; implicit-def: $vgpr0
	s_branch .LBB14_1106
.LBB14_1098:
	s_mov_b32 s3, -1
                                        ; implicit-def: $vgpr0
	s_branch .LBB14_1103
.LBB14_1099:
	s_mov_b32 s3, -1
                                        ; implicit-def: $vgpr0
.LBB14_1100:
	s_delay_alu instid0(SALU_CYCLE_1)
	s_and_not1_b32 vcc_lo, exec_lo, s3
	s_cbranch_vccnz .LBB14_1102
; %bb.1101:
	s_wait_loadcnt 0x0
	global_load_b32 v0, v[4:5], off
	s_wait_loadcnt 0x0
	v_trunc_f32_e32 v0, v0
	s_delay_alu instid0(VALU_DEP_1) | instskip(NEXT) | instid1(VALU_DEP_1)
	v_mul_f32_e64 v1, 0x2f800000, |v0|
	v_floor_f32_e32 v1, v1
	s_delay_alu instid0(VALU_DEP_1) | instskip(SKIP_1) | instid1(VALU_DEP_2)
	v_fma_f32 v1, 0xcf800000, v1, |v0|
	v_ashrrev_i32_e32 v0, 31, v0
	v_cvt_u32_f32_e32 v1, v1
	s_delay_alu instid0(VALU_DEP_1) | instskip(NEXT) | instid1(VALU_DEP_1)
	v_xor_b32_e32 v1, v1, v0
	v_sub_nc_u32_e32 v0, v1, v0
.LBB14_1102:
	s_mov_b32 s3, 0
.LBB14_1103:
	s_delay_alu instid0(SALU_CYCLE_1)
	s_and_not1_b32 vcc_lo, exec_lo, s3
	s_cbranch_vccnz .LBB14_1105
; %bb.1104:
	s_wait_loadcnt 0x0
	global_load_b32 v0, v[4:5], off
	s_wait_loadcnt 0x0
	v_cvt_f32_f16_e32 v0, v0
	s_delay_alu instid0(VALU_DEP_1)
	v_cvt_i32_f32_e32 v0, v0
.LBB14_1105:
	s_cbranch_execnz .LBB14_1116
.LBB14_1106:
	s_cmp_lt_i32 s0, 6
	s_cbranch_scc1 .LBB14_1109
; %bb.1107:
	s_cmp_gt_i32 s0, 6
	s_cbranch_scc0 .LBB14_1110
; %bb.1108:
	s_wait_loadcnt 0x0
	global_load_b64 v[0:1], v[4:5], off
	s_mov_b32 s3, 0
	s_wait_loadcnt 0x0
	v_trunc_f64_e32 v[0:1], v[0:1]
	s_delay_alu instid0(VALU_DEP_1) | instskip(NEXT) | instid1(VALU_DEP_1)
	v_ldexp_f64 v[6:7], v[0:1], 0xffffffe0
	v_floor_f64_e32 v[6:7], v[6:7]
	s_delay_alu instid0(VALU_DEP_1) | instskip(NEXT) | instid1(VALU_DEP_1)
	v_fmamk_f64 v[0:1], v[6:7], 0xc1f00000, v[0:1]
	v_cvt_u32_f64_e32 v0, v[0:1]
	s_branch .LBB14_1111
.LBB14_1109:
	s_mov_b32 s3, -1
                                        ; implicit-def: $vgpr0
	s_branch .LBB14_1114
.LBB14_1110:
	s_mov_b32 s3, -1
                                        ; implicit-def: $vgpr0
.LBB14_1111:
	s_delay_alu instid0(SALU_CYCLE_1)
	s_and_not1_b32 vcc_lo, exec_lo, s3
	s_cbranch_vccnz .LBB14_1113
; %bb.1112:
	s_wait_loadcnt 0x0
	global_load_b32 v0, v[4:5], off
	s_wait_loadcnt 0x0
	v_trunc_f32_e32 v0, v0
	s_delay_alu instid0(VALU_DEP_1) | instskip(NEXT) | instid1(VALU_DEP_1)
	v_mul_f32_e64 v1, 0x2f800000, |v0|
	v_floor_f32_e32 v1, v1
	s_delay_alu instid0(VALU_DEP_1) | instskip(SKIP_1) | instid1(VALU_DEP_2)
	v_fma_f32 v1, 0xcf800000, v1, |v0|
	v_ashrrev_i32_e32 v0, 31, v0
	v_cvt_u32_f32_e32 v1, v1
	s_delay_alu instid0(VALU_DEP_1) | instskip(NEXT) | instid1(VALU_DEP_1)
	v_xor_b32_e32 v1, v1, v0
	v_sub_nc_u32_e32 v0, v1, v0
.LBB14_1113:
	s_mov_b32 s3, 0
.LBB14_1114:
	s_delay_alu instid0(SALU_CYCLE_1)
	s_and_not1_b32 vcc_lo, exec_lo, s3
	s_cbranch_vccnz .LBB14_1116
; %bb.1115:
	s_wait_loadcnt 0x0
	global_load_u16 v0, v[4:5], off
	s_wait_loadcnt 0x0
	v_cvt_f32_f16_e32 v0, v0
	s_delay_alu instid0(VALU_DEP_1)
	v_cvt_i32_f32_e32 v0, v0
.LBB14_1116:
	s_cbranch_execnz .LBB14_1135
.LBB14_1117:
	s_cmp_lt_i32 s0, 2
	s_cbranch_scc1 .LBB14_1121
; %bb.1118:
	s_cmp_lt_i32 s0, 3
	s_cbranch_scc1 .LBB14_1122
; %bb.1119:
	s_cmp_gt_i32 s0, 3
	s_cbranch_scc0 .LBB14_1123
; %bb.1120:
	s_wait_loadcnt 0x0
	global_load_b64 v[0:1], v[4:5], off
	s_mov_b32 s3, 0
	s_branch .LBB14_1124
.LBB14_1121:
                                        ; implicit-def: $vgpr0
	s_branch .LBB14_1130
.LBB14_1122:
	s_mov_b32 s3, -1
                                        ; implicit-def: $vgpr0
	s_branch .LBB14_1127
.LBB14_1123:
	s_mov_b32 s3, -1
                                        ; implicit-def: $vgpr0
.LBB14_1124:
	s_delay_alu instid0(SALU_CYCLE_1)
	s_and_not1_b32 vcc_lo, exec_lo, s3
	s_cbranch_vccnz .LBB14_1126
; %bb.1125:
	s_wait_loadcnt 0x0
	global_load_b32 v0, v[4:5], off
.LBB14_1126:
	s_mov_b32 s3, 0
.LBB14_1127:
	s_delay_alu instid0(SALU_CYCLE_1)
	s_and_not1_b32 vcc_lo, exec_lo, s3
	s_cbranch_vccnz .LBB14_1129
; %bb.1128:
	s_wait_loadcnt 0x0
	global_load_u16 v0, v[4:5], off
.LBB14_1129:
	s_cbranch_execnz .LBB14_1135
.LBB14_1130:
	s_cmp_gt_i32 s0, 0
	s_mov_b32 s3, 0
	s_cbranch_scc0 .LBB14_1132
; %bb.1131:
	s_wait_loadcnt 0x0
	global_load_u8 v0, v[4:5], off
	s_branch .LBB14_1133
.LBB14_1132:
	s_mov_b32 s3, -1
                                        ; implicit-def: $vgpr0
.LBB14_1133:
	s_delay_alu instid0(SALU_CYCLE_1)
	s_and_not1_b32 vcc_lo, exec_lo, s3
	s_cbranch_vccnz .LBB14_1135
; %bb.1134:
	s_wait_loadcnt 0x0
	global_load_u8 v0, v[4:5], off
.LBB14_1135:
.LBB14_1136:
	s_lshl_b32 s3, s9, 7
	s_cmp_lt_i32 s0, 11
	s_wait_xcnt 0x0
	v_add_nc_u32_e32 v4, s3, v2
	s_delay_alu instid0(VALU_DEP_1) | instskip(NEXT) | instid1(VALU_DEP_1)
	v_ashrrev_i32_e32 v5, 31, v4
	v_add_nc_u64_e32 v[6:7], s[6:7], v[4:5]
	s_cbranch_scc1 .LBB14_1143
; %bb.1137:
	s_cmp_gt_i32 s0, 25
	s_mov_b32 s14, 0
	s_cbranch_scc0 .LBB14_1145
; %bb.1138:
	s_cmp_gt_i32 s0, 28
	s_cbranch_scc0 .LBB14_1146
; %bb.1139:
	s_cmp_gt_i32 s0, 43
	;; [unrolled: 3-line block ×3, first 2 shown]
	s_cbranch_scc0 .LBB14_1149
; %bb.1141:
	s_cmp_eq_u32 s0, 46
	s_mov_b32 s16, 0
	s_cbranch_scc0 .LBB14_1152
; %bb.1142:
	s_wait_loadcnt 0x0
	global_load_b32 v1, v[6:7], off
	s_mov_b32 s9, 0
	s_mov_b32 s15, -1
	s_wait_loadcnt 0x0
	v_lshlrev_b32_e32 v1, 16, v1
	s_delay_alu instid0(VALU_DEP_1) | instskip(NEXT) | instid1(VALU_DEP_1)
	v_trunc_f32_e32 v1, v1
	v_mul_f32_e64 v2, 0x2f800000, |v1|
	s_delay_alu instid0(VALU_DEP_1) | instskip(NEXT) | instid1(VALU_DEP_1)
	v_floor_f32_e32 v2, v2
	v_fma_f32 v2, 0xcf800000, v2, |v1|
	v_ashrrev_i32_e32 v1, 31, v1
	s_delay_alu instid0(VALU_DEP_2) | instskip(NEXT) | instid1(VALU_DEP_1)
	v_cvt_u32_f32_e32 v2, v2
	v_xor_b32_e32 v2, v2, v1
	s_delay_alu instid0(VALU_DEP_1)
	v_sub_nc_u32_e32 v2, v2, v1
	s_branch .LBB14_1154
.LBB14_1143:
	s_mov_b32 s15, 0
                                        ; implicit-def: $vgpr2
	s_cbranch_execnz .LBB14_1215
.LBB14_1144:
	s_and_not1_b32 vcc_lo, exec_lo, s15
	s_cbranch_vccnz .LBB14_1947
	s_branch .LBB14_1262
.LBB14_1145:
	s_mov_b32 s15, 0
	s_mov_b32 s9, 0
                                        ; implicit-def: $vgpr2
	s_cbranch_execnz .LBB14_1181
	s_branch .LBB14_1211
.LBB14_1146:
	s_mov_b32 s16, -1
	s_mov_b32 s15, 0
	s_mov_b32 s9, 0
                                        ; implicit-def: $vgpr2
	s_branch .LBB14_1164
.LBB14_1147:
	s_mov_b32 s16, -1
	s_mov_b32 s15, 0
	s_mov_b32 s9, 0
                                        ; implicit-def: $vgpr2
	s_branch .LBB14_1159
.LBB14_1148:
	s_or_b32 s1, s13, exec_lo
	s_trap 2
	s_cbranch_execz .LBB14_1089
	s_branch .LBB14_1090
.LBB14_1149:
	s_mov_b32 s16, -1
	s_mov_b32 s15, 0
	s_mov_b32 s9, 0
	s_branch .LBB14_1153
.LBB14_1150:
	s_and_not1_saveexec_b32 s22, s22
	s_cbranch_execz .LBB14_940
.LBB14_1151:
	v_add_f32_e32 v2, 0x42800000, v3
	s_and_not1_b32 s21, s21, exec_lo
	s_delay_alu instid0(VALU_DEP_1) | instskip(NEXT) | instid1(VALU_DEP_1)
	v_and_b32_e32 v2, 0xff, v2
	v_cmp_ne_u32_e32 vcc_lo, 0, v2
	s_and_b32 s23, vcc_lo, exec_lo
	s_delay_alu instid0(SALU_CYCLE_1)
	s_or_b32 s21, s21, s23
	s_or_b32 exec_lo, exec_lo, s22
	v_mov_b32_e32 v4, 0
	s_and_saveexec_b32 s22, s21
	s_cbranch_execnz .LBB14_941
	s_branch .LBB14_942
.LBB14_1152:
	s_mov_b32 s9, -1
	s_mov_b32 s15, 0
.LBB14_1153:
                                        ; implicit-def: $vgpr2
.LBB14_1154:
	s_and_b32 vcc_lo, exec_lo, s16
	s_cbranch_vccz .LBB14_1158
; %bb.1155:
	s_cmp_eq_u32 s0, 44
	s_cbranch_scc0 .LBB14_1157
; %bb.1156:
	s_wait_loadcnt 0x0
	global_load_u8 v1, v[6:7], off
	s_mov_b32 s9, 0
	s_mov_b32 s15, -1
	s_wait_loadcnt 0x0
	v_lshlrev_b32_e32 v2, 23, v1
	v_cmp_ne_u32_e32 vcc_lo, 0, v1
	s_delay_alu instid0(VALU_DEP_2) | instskip(NEXT) | instid1(VALU_DEP_1)
	v_trunc_f32_e32 v2, v2
	v_mul_f32_e64 v3, 0x2f800000, |v2|
	s_delay_alu instid0(VALU_DEP_1) | instskip(NEXT) | instid1(VALU_DEP_1)
	v_floor_f32_e32 v3, v3
	v_fma_f32 v3, 0xcf800000, v3, |v2|
	v_ashrrev_i32_e32 v2, 31, v2
	s_delay_alu instid0(VALU_DEP_2) | instskip(NEXT) | instid1(VALU_DEP_1)
	v_cvt_u32_f32_e32 v3, v3
	v_xor_b32_e32 v3, v3, v2
	s_delay_alu instid0(VALU_DEP_1) | instskip(NEXT) | instid1(VALU_DEP_1)
	v_sub_nc_u32_e32 v2, v3, v2
	v_cndmask_b32_e32 v2, 0, v2, vcc_lo
	s_branch .LBB14_1158
.LBB14_1157:
	s_mov_b32 s9, -1
                                        ; implicit-def: $vgpr2
.LBB14_1158:
	s_mov_b32 s16, 0
.LBB14_1159:
	s_delay_alu instid0(SALU_CYCLE_1)
	s_and_b32 vcc_lo, exec_lo, s16
	s_cbranch_vccz .LBB14_1163
; %bb.1160:
	s_cmp_eq_u32 s0, 29
	s_cbranch_scc0 .LBB14_1162
; %bb.1161:
	global_load_b64 v[2:3], v[6:7], off
	s_mov_b32 s9, 0
	s_mov_b32 s15, -1
	s_branch .LBB14_1163
.LBB14_1162:
	s_mov_b32 s9, -1
                                        ; implicit-def: $vgpr2
.LBB14_1163:
	s_mov_b32 s16, 0
.LBB14_1164:
	s_delay_alu instid0(SALU_CYCLE_1)
	s_and_b32 vcc_lo, exec_lo, s16
	s_cbranch_vccz .LBB14_1180
; %bb.1165:
	s_cmp_lt_i32 s0, 27
	s_cbranch_scc1 .LBB14_1168
; %bb.1166:
	s_cmp_gt_i32 s0, 27
	s_cbranch_scc0 .LBB14_1169
; %bb.1167:
	s_wait_loadcnt 0x0
	global_load_b32 v2, v[6:7], off
	s_mov_b32 s15, 0
	s_branch .LBB14_1170
.LBB14_1168:
	s_mov_b32 s15, -1
                                        ; implicit-def: $vgpr2
	s_branch .LBB14_1173
.LBB14_1169:
	s_mov_b32 s15, -1
                                        ; implicit-def: $vgpr2
.LBB14_1170:
	s_delay_alu instid0(SALU_CYCLE_1)
	s_and_not1_b32 vcc_lo, exec_lo, s15
	s_cbranch_vccnz .LBB14_1172
; %bb.1171:
	s_wait_loadcnt 0x0
	global_load_u16 v2, v[6:7], off
.LBB14_1172:
	s_mov_b32 s15, 0
.LBB14_1173:
	s_delay_alu instid0(SALU_CYCLE_1)
	s_and_not1_b32 vcc_lo, exec_lo, s15
	s_cbranch_vccnz .LBB14_1179
; %bb.1174:
	s_wait_loadcnt 0x0
	global_load_u8 v1, v[6:7], off
	s_mov_b32 s16, 0
	s_mov_b32 s15, exec_lo
	s_wait_loadcnt 0x0
	v_cmpx_lt_i16_e32 0x7f, v1
	s_xor_b32 s15, exec_lo, s15
	s_cbranch_execz .LBB14_1190
; %bb.1175:
	v_cmp_ne_u16_e32 vcc_lo, 0x80, v1
	s_and_b32 s16, vcc_lo, exec_lo
	s_and_not1_saveexec_b32 s15, s15
	s_cbranch_execnz .LBB14_1191
.LBB14_1176:
	s_or_b32 exec_lo, exec_lo, s15
	v_mov_b32_e32 v2, 0
	s_and_saveexec_b32 s15, s16
	s_cbranch_execz .LBB14_1178
.LBB14_1177:
	v_and_b32_e32 v2, 0xffff, v1
	s_delay_alu instid0(VALU_DEP_1) | instskip(SKIP_1) | instid1(VALU_DEP_2)
	v_and_b32_e32 v3, 7, v2
	v_bfe_u32 v9, v2, 3, 4
	v_clz_i32_u32_e32 v5, v3
	s_delay_alu instid0(VALU_DEP_2) | instskip(NEXT) | instid1(VALU_DEP_2)
	v_cmp_eq_u32_e32 vcc_lo, 0, v9
	v_min_u32_e32 v5, 32, v5
	s_delay_alu instid0(VALU_DEP_1) | instskip(NEXT) | instid1(VALU_DEP_1)
	v_subrev_nc_u32_e32 v8, 28, v5
	v_dual_lshlrev_b32 v2, v8, v2 :: v_dual_sub_nc_u32 v5, 29, v5
	s_delay_alu instid0(VALU_DEP_1) | instskip(NEXT) | instid1(VALU_DEP_1)
	v_dual_lshlrev_b32 v1, 24, v1 :: v_dual_bitop2_b32 v2, 7, v2 bitop3:0x40
	v_dual_cndmask_b32 v2, v3, v2 :: v_dual_cndmask_b32 v5, v9, v5
	s_delay_alu instid0(VALU_DEP_2) | instskip(NEXT) | instid1(VALU_DEP_2)
	v_and_b32_e32 v1, 0x80000000, v1
	v_lshlrev_b32_e32 v2, 20, v2
	s_delay_alu instid0(VALU_DEP_3) | instskip(NEXT) | instid1(VALU_DEP_1)
	v_lshl_add_u32 v3, v5, 23, 0x3b800000
	v_or3_b32 v1, v1, v3, v2
	s_delay_alu instid0(VALU_DEP_1) | instskip(NEXT) | instid1(VALU_DEP_1)
	v_trunc_f32_e32 v1, v1
	v_mul_f32_e64 v2, 0x2f800000, |v1|
	s_delay_alu instid0(VALU_DEP_1) | instskip(NEXT) | instid1(VALU_DEP_1)
	v_floor_f32_e32 v2, v2
	v_fma_f32 v2, 0xcf800000, v2, |v1|
	v_ashrrev_i32_e32 v1, 31, v1
	s_delay_alu instid0(VALU_DEP_2) | instskip(NEXT) | instid1(VALU_DEP_1)
	v_cvt_u32_f32_e32 v2, v2
	v_xor_b32_e32 v2, v2, v1
	s_delay_alu instid0(VALU_DEP_1)
	v_sub_nc_u32_e32 v2, v2, v1
.LBB14_1178:
	s_or_b32 exec_lo, exec_lo, s15
.LBB14_1179:
	s_mov_b32 s15, -1
.LBB14_1180:
	s_branch .LBB14_1211
.LBB14_1181:
	s_cmp_gt_i32 s0, 22
	s_cbranch_scc0 .LBB14_1189
; %bb.1182:
	s_cmp_lt_i32 s0, 24
	s_cbranch_scc1 .LBB14_1192
; %bb.1183:
	s_cmp_gt_i32 s0, 24
	s_cbranch_scc0 .LBB14_1193
; %bb.1184:
	s_wait_loadcnt 0x0
	global_load_u8 v1, v[6:7], off
	s_mov_b32 s15, 0
	s_mov_b32 s14, exec_lo
	s_wait_loadcnt 0x0
	v_cmpx_lt_i16_e32 0x7f, v1
	s_xor_b32 s14, exec_lo, s14
	s_cbranch_execz .LBB14_1205
; %bb.1185:
	v_cmp_ne_u16_e32 vcc_lo, 0x80, v1
	s_and_b32 s15, vcc_lo, exec_lo
	s_and_not1_saveexec_b32 s14, s14
	s_cbranch_execnz .LBB14_1206
.LBB14_1186:
	s_or_b32 exec_lo, exec_lo, s14
	v_mov_b32_e32 v2, 0
	s_and_saveexec_b32 s14, s15
	s_cbranch_execz .LBB14_1188
.LBB14_1187:
	v_and_b32_e32 v2, 0xffff, v1
	s_delay_alu instid0(VALU_DEP_1) | instskip(SKIP_1) | instid1(VALU_DEP_2)
	v_and_b32_e32 v3, 3, v2
	v_bfe_u32 v9, v2, 2, 5
	v_clz_i32_u32_e32 v5, v3
	s_delay_alu instid0(VALU_DEP_2) | instskip(NEXT) | instid1(VALU_DEP_2)
	v_cmp_eq_u32_e32 vcc_lo, 0, v9
	v_min_u32_e32 v5, 32, v5
	s_delay_alu instid0(VALU_DEP_1) | instskip(NEXT) | instid1(VALU_DEP_1)
	v_subrev_nc_u32_e32 v8, 29, v5
	v_dual_lshlrev_b32 v2, v8, v2 :: v_dual_sub_nc_u32 v5, 30, v5
	s_delay_alu instid0(VALU_DEP_1) | instskip(NEXT) | instid1(VALU_DEP_1)
	v_dual_lshlrev_b32 v1, 24, v1 :: v_dual_bitop2_b32 v2, 3, v2 bitop3:0x40
	v_dual_cndmask_b32 v2, v3, v2 :: v_dual_cndmask_b32 v5, v9, v5
	s_delay_alu instid0(VALU_DEP_2) | instskip(NEXT) | instid1(VALU_DEP_2)
	v_and_b32_e32 v1, 0x80000000, v1
	v_lshlrev_b32_e32 v2, 21, v2
	s_delay_alu instid0(VALU_DEP_3) | instskip(NEXT) | instid1(VALU_DEP_1)
	v_lshl_add_u32 v3, v5, 23, 0x37800000
	v_or3_b32 v1, v1, v3, v2
	s_delay_alu instid0(VALU_DEP_1) | instskip(NEXT) | instid1(VALU_DEP_1)
	v_trunc_f32_e32 v1, v1
	v_mul_f32_e64 v2, 0x2f800000, |v1|
	s_delay_alu instid0(VALU_DEP_1) | instskip(NEXT) | instid1(VALU_DEP_1)
	v_floor_f32_e32 v2, v2
	v_fma_f32 v2, 0xcf800000, v2, |v1|
	v_ashrrev_i32_e32 v1, 31, v1
	s_delay_alu instid0(VALU_DEP_2) | instskip(NEXT) | instid1(VALU_DEP_1)
	v_cvt_u32_f32_e32 v2, v2
	v_xor_b32_e32 v2, v2, v1
	s_delay_alu instid0(VALU_DEP_1)
	v_sub_nc_u32_e32 v2, v2, v1
.LBB14_1188:
	s_or_b32 exec_lo, exec_lo, s14
	s_mov_b32 s14, 0
	s_branch .LBB14_1194
.LBB14_1189:
	s_mov_b32 s14, -1
                                        ; implicit-def: $vgpr2
	s_branch .LBB14_1200
.LBB14_1190:
	s_and_not1_saveexec_b32 s15, s15
	s_cbranch_execz .LBB14_1176
.LBB14_1191:
	v_cmp_ne_u16_e32 vcc_lo, 0, v1
	s_and_not1_b32 s16, s16, exec_lo
	s_and_b32 s17, vcc_lo, exec_lo
	s_delay_alu instid0(SALU_CYCLE_1)
	s_or_b32 s16, s16, s17
	s_or_b32 exec_lo, exec_lo, s15
	v_mov_b32_e32 v2, 0
	s_and_saveexec_b32 s15, s16
	s_cbranch_execnz .LBB14_1177
	s_branch .LBB14_1178
.LBB14_1192:
	s_mov_b32 s14, -1
                                        ; implicit-def: $vgpr2
	s_branch .LBB14_1197
.LBB14_1193:
	s_mov_b32 s14, -1
                                        ; implicit-def: $vgpr2
.LBB14_1194:
	s_delay_alu instid0(SALU_CYCLE_1)
	s_and_b32 vcc_lo, exec_lo, s14
	s_cbranch_vccz .LBB14_1196
; %bb.1195:
	s_wait_loadcnt 0x0
	global_load_u8 v1, v[6:7], off
	s_wait_loadcnt 0x0
	v_lshlrev_b32_e32 v1, 24, v1
	s_delay_alu instid0(VALU_DEP_1) | instskip(NEXT) | instid1(VALU_DEP_1)
	v_and_b32_e32 v2, 0x7f000000, v1
	v_clz_i32_u32_e32 v3, v2
	v_add_nc_u32_e32 v8, 0x1000000, v2
	v_cmp_ne_u32_e32 vcc_lo, 0, v2
	s_delay_alu instid0(VALU_DEP_3) | instskip(NEXT) | instid1(VALU_DEP_1)
	v_min_u32_e32 v3, 32, v3
	v_sub_nc_u32_e64 v3, v3, 4 clamp
	s_delay_alu instid0(VALU_DEP_1) | instskip(NEXT) | instid1(VALU_DEP_1)
	v_dual_lshlrev_b32 v5, v3, v2 :: v_dual_lshlrev_b32 v3, 23, v3
	v_lshrrev_b32_e32 v5, 4, v5
	s_delay_alu instid0(VALU_DEP_1) | instskip(NEXT) | instid1(VALU_DEP_1)
	v_dual_sub_nc_u32 v3, v5, v3 :: v_dual_ashrrev_i32 v5, 8, v8
	v_add_nc_u32_e32 v3, 0x3c000000, v3
	s_delay_alu instid0(VALU_DEP_1) | instskip(NEXT) | instid1(VALU_DEP_1)
	v_and_or_b32 v3, 0x7f800000, v5, v3
	v_cndmask_b32_e32 v2, 0, v3, vcc_lo
	s_delay_alu instid0(VALU_DEP_1) | instskip(NEXT) | instid1(VALU_DEP_1)
	v_and_or_b32 v1, 0x80000000, v1, v2
	v_trunc_f32_e32 v1, v1
	s_delay_alu instid0(VALU_DEP_1) | instskip(NEXT) | instid1(VALU_DEP_1)
	v_mul_f32_e64 v2, 0x2f800000, |v1|
	v_floor_f32_e32 v2, v2
	s_delay_alu instid0(VALU_DEP_1) | instskip(SKIP_1) | instid1(VALU_DEP_2)
	v_fma_f32 v2, 0xcf800000, v2, |v1|
	v_ashrrev_i32_e32 v1, 31, v1
	v_cvt_u32_f32_e32 v2, v2
	s_delay_alu instid0(VALU_DEP_1) | instskip(NEXT) | instid1(VALU_DEP_1)
	v_xor_b32_e32 v2, v2, v1
	v_sub_nc_u32_e32 v2, v2, v1
.LBB14_1196:
	s_mov_b32 s14, 0
.LBB14_1197:
	s_delay_alu instid0(SALU_CYCLE_1)
	s_and_not1_b32 vcc_lo, exec_lo, s14
	s_cbranch_vccnz .LBB14_1199
; %bb.1198:
	s_wait_loadcnt 0x0
	global_load_u8 v1, v[6:7], off
	s_wait_loadcnt 0x0
	v_lshlrev_b32_e32 v2, 25, v1
	v_lshlrev_b16 v1, 8, v1
	s_delay_alu instid0(VALU_DEP_1) | instskip(NEXT) | instid1(VALU_DEP_3)
	v_and_or_b32 v5, 0x7f00, v1, 0.5
	v_lshrrev_b32_e32 v3, 4, v2
	v_bfe_i32 v1, v1, 0, 16
	s_delay_alu instid0(VALU_DEP_3) | instskip(NEXT) | instid1(VALU_DEP_3)
	v_add_f32_e32 v5, -0.5, v5
	v_or_b32_e32 v3, 0x70000000, v3
	s_delay_alu instid0(VALU_DEP_1) | instskip(SKIP_1) | instid1(VALU_DEP_2)
	v_mul_f32_e32 v3, 0x7800000, v3
	v_cmp_gt_u32_e32 vcc_lo, 0x8000000, v2
	v_cndmask_b32_e32 v2, v3, v5, vcc_lo
	s_delay_alu instid0(VALU_DEP_1) | instskip(NEXT) | instid1(VALU_DEP_1)
	v_and_or_b32 v1, 0x80000000, v1, v2
	v_trunc_f32_e32 v1, v1
	s_delay_alu instid0(VALU_DEP_1) | instskip(NEXT) | instid1(VALU_DEP_1)
	v_mul_f32_e64 v2, 0x2f800000, |v1|
	v_floor_f32_e32 v2, v2
	s_delay_alu instid0(VALU_DEP_1) | instskip(SKIP_1) | instid1(VALU_DEP_2)
	v_fma_f32 v2, 0xcf800000, v2, |v1|
	v_ashrrev_i32_e32 v1, 31, v1
	v_cvt_u32_f32_e32 v2, v2
	s_delay_alu instid0(VALU_DEP_1) | instskip(NEXT) | instid1(VALU_DEP_1)
	v_xor_b32_e32 v2, v2, v1
	v_sub_nc_u32_e32 v2, v2, v1
.LBB14_1199:
	s_mov_b32 s14, 0
	s_mov_b32 s15, -1
.LBB14_1200:
	s_and_not1_b32 vcc_lo, exec_lo, s14
	s_mov_b32 s14, 0
	s_cbranch_vccnz .LBB14_1211
; %bb.1201:
	s_cmp_gt_i32 s0, 14
	s_cbranch_scc0 .LBB14_1204
; %bb.1202:
	s_cmp_eq_u32 s0, 15
	s_cbranch_scc0 .LBB14_1207
; %bb.1203:
	s_wait_loadcnt 0x0
	global_load_u16 v1, v[6:7], off
	s_mov_b32 s9, 0
	s_mov_b32 s15, -1
	s_wait_loadcnt 0x0
	v_lshlrev_b32_e32 v1, 16, v1
	s_delay_alu instid0(VALU_DEP_1) | instskip(NEXT) | instid1(VALU_DEP_1)
	v_trunc_f32_e32 v1, v1
	v_mul_f32_e64 v2, 0x2f800000, |v1|
	s_delay_alu instid0(VALU_DEP_1) | instskip(NEXT) | instid1(VALU_DEP_1)
	v_floor_f32_e32 v2, v2
	v_fma_f32 v2, 0xcf800000, v2, |v1|
	v_ashrrev_i32_e32 v1, 31, v1
	s_delay_alu instid0(VALU_DEP_2) | instskip(NEXT) | instid1(VALU_DEP_1)
	v_cvt_u32_f32_e32 v2, v2
	v_xor_b32_e32 v2, v2, v1
	s_delay_alu instid0(VALU_DEP_1)
	v_sub_nc_u32_e32 v2, v2, v1
	s_branch .LBB14_1209
.LBB14_1204:
	s_mov_b32 s14, -1
	s_branch .LBB14_1208
.LBB14_1205:
	s_and_not1_saveexec_b32 s14, s14
	s_cbranch_execz .LBB14_1186
.LBB14_1206:
	v_cmp_ne_u16_e32 vcc_lo, 0, v1
	s_and_not1_b32 s15, s15, exec_lo
	s_and_b32 s16, vcc_lo, exec_lo
	s_delay_alu instid0(SALU_CYCLE_1)
	s_or_b32 s15, s15, s16
	s_or_b32 exec_lo, exec_lo, s14
	v_mov_b32_e32 v2, 0
	s_and_saveexec_b32 s14, s15
	s_cbranch_execnz .LBB14_1187
	s_branch .LBB14_1188
.LBB14_1207:
	s_mov_b32 s9, -1
.LBB14_1208:
                                        ; implicit-def: $vgpr2
.LBB14_1209:
	s_and_b32 vcc_lo, exec_lo, s14
	s_mov_b32 s14, 0
	s_cbranch_vccz .LBB14_1211
; %bb.1210:
	s_cmp_lg_u32 s0, 11
	s_mov_b32 s14, -1
	s_cselect_b32 s9, -1, 0
.LBB14_1211:
	s_delay_alu instid0(SALU_CYCLE_1)
	s_and_b32 vcc_lo, exec_lo, s9
	s_cbranch_vccnz .LBB14_1274
; %bb.1212:
	s_and_not1_b32 vcc_lo, exec_lo, s14
	s_cbranch_vccnz .LBB14_1214
.LBB14_1213:
	s_wait_loadcnt 0x0
	global_load_u8 v1, v[6:7], off
	s_mov_b32 s15, -1
	s_wait_loadcnt 0x0
	v_cmp_ne_u16_e32 vcc_lo, 0, v1
	v_cndmask_b32_e64 v2, 0, 1, vcc_lo
.LBB14_1214:
	s_branch .LBB14_1144
.LBB14_1215:
	s_cmp_lt_i32 s0, 5
	s_cbranch_scc1 .LBB14_1220
; %bb.1216:
	s_cmp_lt_i32 s0, 8
	s_cbranch_scc1 .LBB14_1221
; %bb.1217:
	;; [unrolled: 3-line block ×3, first 2 shown]
	s_cmp_gt_i32 s0, 9
	s_cbranch_scc0 .LBB14_1223
; %bb.1219:
	s_wait_loadcnt 0x0
	global_load_b64 v[2:3], v[6:7], off
	s_mov_b32 s9, 0
	s_wait_loadcnt 0x0
	v_trunc_f64_e32 v[2:3], v[2:3]
	s_delay_alu instid0(VALU_DEP_1) | instskip(NEXT) | instid1(VALU_DEP_1)
	v_ldexp_f64 v[8:9], v[2:3], 0xffffffe0
	v_floor_f64_e32 v[8:9], v[8:9]
	s_delay_alu instid0(VALU_DEP_1) | instskip(NEXT) | instid1(VALU_DEP_1)
	v_fmamk_f64 v[2:3], v[8:9], 0xc1f00000, v[2:3]
	v_cvt_u32_f64_e32 v2, v[2:3]
	s_branch .LBB14_1224
.LBB14_1220:
                                        ; implicit-def: $vgpr2
	s_branch .LBB14_1242
.LBB14_1221:
	s_mov_b32 s9, -1
                                        ; implicit-def: $vgpr2
	s_branch .LBB14_1230
.LBB14_1222:
	s_mov_b32 s9, -1
                                        ; implicit-def: $vgpr2
	s_branch .LBB14_1227
.LBB14_1223:
	s_mov_b32 s9, -1
                                        ; implicit-def: $vgpr2
.LBB14_1224:
	s_delay_alu instid0(SALU_CYCLE_1)
	s_and_not1_b32 vcc_lo, exec_lo, s9
	s_cbranch_vccnz .LBB14_1226
; %bb.1225:
	s_wait_loadcnt 0x0
	global_load_b32 v1, v[6:7], off
	s_wait_loadcnt 0x0
	v_trunc_f32_e32 v1, v1
	s_delay_alu instid0(VALU_DEP_1) | instskip(NEXT) | instid1(VALU_DEP_1)
	v_mul_f32_e64 v2, 0x2f800000, |v1|
	v_floor_f32_e32 v2, v2
	s_delay_alu instid0(VALU_DEP_1) | instskip(SKIP_1) | instid1(VALU_DEP_2)
	v_fma_f32 v2, 0xcf800000, v2, |v1|
	v_ashrrev_i32_e32 v1, 31, v1
	v_cvt_u32_f32_e32 v2, v2
	s_delay_alu instid0(VALU_DEP_1) | instskip(NEXT) | instid1(VALU_DEP_1)
	v_xor_b32_e32 v2, v2, v1
	v_sub_nc_u32_e32 v2, v2, v1
.LBB14_1226:
	s_mov_b32 s9, 0
.LBB14_1227:
	s_delay_alu instid0(SALU_CYCLE_1)
	s_and_not1_b32 vcc_lo, exec_lo, s9
	s_cbranch_vccnz .LBB14_1229
; %bb.1228:
	s_wait_loadcnt 0x0
	global_load_b32 v1, v[6:7], off
	s_wait_loadcnt 0x0
	v_cvt_f32_f16_e32 v1, v1
	s_delay_alu instid0(VALU_DEP_1)
	v_cvt_i32_f32_e32 v2, v1
.LBB14_1229:
	s_mov_b32 s9, 0
.LBB14_1230:
	s_delay_alu instid0(SALU_CYCLE_1)
	s_and_not1_b32 vcc_lo, exec_lo, s9
	s_cbranch_vccnz .LBB14_1241
; %bb.1231:
	s_cmp_lt_i32 s0, 6
	s_cbranch_scc1 .LBB14_1234
; %bb.1232:
	s_cmp_gt_i32 s0, 6
	s_cbranch_scc0 .LBB14_1235
; %bb.1233:
	s_wait_loadcnt 0x0
	global_load_b64 v[2:3], v[6:7], off
	s_mov_b32 s9, 0
	s_wait_loadcnt 0x0
	v_trunc_f64_e32 v[2:3], v[2:3]
	s_delay_alu instid0(VALU_DEP_1) | instskip(NEXT) | instid1(VALU_DEP_1)
	v_ldexp_f64 v[8:9], v[2:3], 0xffffffe0
	v_floor_f64_e32 v[8:9], v[8:9]
	s_delay_alu instid0(VALU_DEP_1) | instskip(NEXT) | instid1(VALU_DEP_1)
	v_fmamk_f64 v[2:3], v[8:9], 0xc1f00000, v[2:3]
	v_cvt_u32_f64_e32 v2, v[2:3]
	s_branch .LBB14_1236
.LBB14_1234:
	s_mov_b32 s9, -1
                                        ; implicit-def: $vgpr2
	s_branch .LBB14_1239
.LBB14_1235:
	s_mov_b32 s9, -1
                                        ; implicit-def: $vgpr2
.LBB14_1236:
	s_delay_alu instid0(SALU_CYCLE_1)
	s_and_not1_b32 vcc_lo, exec_lo, s9
	s_cbranch_vccnz .LBB14_1238
; %bb.1237:
	s_wait_loadcnt 0x0
	global_load_b32 v1, v[6:7], off
	s_wait_loadcnt 0x0
	v_trunc_f32_e32 v1, v1
	s_delay_alu instid0(VALU_DEP_1) | instskip(NEXT) | instid1(VALU_DEP_1)
	v_mul_f32_e64 v2, 0x2f800000, |v1|
	v_floor_f32_e32 v2, v2
	s_delay_alu instid0(VALU_DEP_1) | instskip(SKIP_1) | instid1(VALU_DEP_2)
	v_fma_f32 v2, 0xcf800000, v2, |v1|
	v_ashrrev_i32_e32 v1, 31, v1
	v_cvt_u32_f32_e32 v2, v2
	s_delay_alu instid0(VALU_DEP_1) | instskip(NEXT) | instid1(VALU_DEP_1)
	v_xor_b32_e32 v2, v2, v1
	v_sub_nc_u32_e32 v2, v2, v1
.LBB14_1238:
	s_mov_b32 s9, 0
.LBB14_1239:
	s_delay_alu instid0(SALU_CYCLE_1)
	s_and_not1_b32 vcc_lo, exec_lo, s9
	s_cbranch_vccnz .LBB14_1241
; %bb.1240:
	s_wait_loadcnt 0x0
	global_load_u16 v1, v[6:7], off
	s_wait_loadcnt 0x0
	v_cvt_f32_f16_e32 v1, v1
	s_delay_alu instid0(VALU_DEP_1)
	v_cvt_i32_f32_e32 v2, v1
.LBB14_1241:
	s_cbranch_execnz .LBB14_1261
.LBB14_1242:
	s_cmp_lt_i32 s0, 2
	s_cbranch_scc1 .LBB14_1246
; %bb.1243:
	s_cmp_lt_i32 s0, 3
	s_cbranch_scc1 .LBB14_1247
; %bb.1244:
	s_cmp_gt_i32 s0, 3
	s_cbranch_scc0 .LBB14_1248
; %bb.1245:
	s_wait_loadcnt 0x0
	global_load_b64 v[2:3], v[6:7], off
	s_mov_b32 s9, 0
	s_branch .LBB14_1249
.LBB14_1246:
	s_mov_b32 s9, -1
                                        ; implicit-def: $vgpr2
	s_branch .LBB14_1255
.LBB14_1247:
	s_mov_b32 s9, -1
                                        ; implicit-def: $vgpr2
	s_branch .LBB14_1252
.LBB14_1248:
	s_mov_b32 s9, -1
                                        ; implicit-def: $vgpr2
.LBB14_1249:
	s_delay_alu instid0(SALU_CYCLE_1)
	s_and_not1_b32 vcc_lo, exec_lo, s9
	s_cbranch_vccnz .LBB14_1251
; %bb.1250:
	s_wait_loadcnt 0x0
	global_load_b32 v2, v[6:7], off
.LBB14_1251:
	s_mov_b32 s9, 0
.LBB14_1252:
	s_delay_alu instid0(SALU_CYCLE_1)
	s_and_not1_b32 vcc_lo, exec_lo, s9
	s_cbranch_vccnz .LBB14_1254
; %bb.1253:
	s_wait_loadcnt 0x0
	global_load_u16 v2, v[6:7], off
.LBB14_1254:
	s_mov_b32 s9, 0
.LBB14_1255:
	s_delay_alu instid0(SALU_CYCLE_1)
	s_and_not1_b32 vcc_lo, exec_lo, s9
	s_cbranch_vccnz .LBB14_1261
; %bb.1256:
	s_cmp_gt_i32 s0, 0
	s_mov_b32 s9, 0
	s_cbranch_scc0 .LBB14_1258
; %bb.1257:
	s_wait_loadcnt 0x0
	global_load_u8 v2, v[6:7], off
	s_branch .LBB14_1259
.LBB14_1258:
	s_mov_b32 s9, -1
                                        ; implicit-def: $vgpr2
.LBB14_1259:
	s_delay_alu instid0(SALU_CYCLE_1)
	s_and_not1_b32 vcc_lo, exec_lo, s9
	s_cbranch_vccnz .LBB14_1261
; %bb.1260:
	s_wait_loadcnt 0x0
	global_load_u8 v2, v[6:7], off
.LBB14_1261:
.LBB14_1262:
	s_wait_xcnt 0x0
	v_add_nc_u32_e32 v6, s3, v4
	s_cmp_lt_i32 s0, 11
	s_delay_alu instid0(VALU_DEP_1) | instskip(NEXT) | instid1(VALU_DEP_1)
	v_ashrrev_i32_e32 v7, 31, v6
	v_add_nc_u64_e32 v[8:9], s[6:7], v[6:7]
	s_cbranch_scc1 .LBB14_1269
; %bb.1263:
	s_cmp_gt_i32 s0, 25
	s_mov_b32 s14, 0
	s_cbranch_scc0 .LBB14_1271
; %bb.1264:
	s_cmp_gt_i32 s0, 28
	s_cbranch_scc0 .LBB14_1272
; %bb.1265:
	s_cmp_gt_i32 s0, 43
	;; [unrolled: 3-line block ×3, first 2 shown]
	s_cbranch_scc0 .LBB14_1275
; %bb.1267:
	s_cmp_eq_u32 s0, 46
	s_mov_b32 s16, 0
	s_cbranch_scc0 .LBB14_1276
; %bb.1268:
	s_wait_loadcnt 0x0
	global_load_b32 v1, v[8:9], off
	s_mov_b32 s9, 0
	s_mov_b32 s15, -1
	s_wait_loadcnt 0x0
	v_lshlrev_b32_e32 v1, 16, v1
	s_delay_alu instid0(VALU_DEP_1) | instskip(NEXT) | instid1(VALU_DEP_1)
	v_trunc_f32_e32 v1, v1
	v_mul_f32_e64 v3, 0x2f800000, |v1|
	s_delay_alu instid0(VALU_DEP_1) | instskip(NEXT) | instid1(VALU_DEP_1)
	v_floor_f32_e32 v3, v3
	v_fma_f32 v3, 0xcf800000, v3, |v1|
	v_ashrrev_i32_e32 v1, 31, v1
	s_delay_alu instid0(VALU_DEP_2) | instskip(NEXT) | instid1(VALU_DEP_1)
	v_cvt_u32_f32_e32 v3, v3
	v_xor_b32_e32 v3, v3, v1
	s_delay_alu instid0(VALU_DEP_1)
	v_sub_nc_u32_e32 v4, v3, v1
	s_branch .LBB14_1278
.LBB14_1269:
	s_mov_b32 s15, 0
                                        ; implicit-def: $vgpr4
	s_cbranch_execnz .LBB14_1340
.LBB14_1270:
	s_and_not1_b32 vcc_lo, exec_lo, s15
	s_cbranch_vccnz .LBB14_1947
	s_branch .LBB14_1388
.LBB14_1271:
	s_mov_b32 s16, -1
	s_mov_b32 s15, 0
	s_mov_b32 s9, 0
                                        ; implicit-def: $vgpr4
	s_branch .LBB14_1305
.LBB14_1272:
	s_mov_b32 s16, -1
	s_mov_b32 s15, 0
	s_mov_b32 s9, 0
                                        ; implicit-def: $vgpr4
	s_branch .LBB14_1288
.LBB14_1273:
	s_mov_b32 s16, -1
	s_mov_b32 s15, 0
	s_mov_b32 s9, 0
                                        ; implicit-def: $vgpr4
	s_branch .LBB14_1283
.LBB14_1274:
	s_or_b32 s1, s1, exec_lo
	s_trap 2
	s_cbranch_execz .LBB14_1213
	s_branch .LBB14_1214
.LBB14_1275:
	s_mov_b32 s16, -1
	s_mov_b32 s15, 0
	s_mov_b32 s9, 0
	s_branch .LBB14_1277
.LBB14_1276:
	s_mov_b32 s9, -1
	s_mov_b32 s15, 0
.LBB14_1277:
                                        ; implicit-def: $vgpr4
.LBB14_1278:
	s_and_b32 vcc_lo, exec_lo, s16
	s_cbranch_vccz .LBB14_1282
; %bb.1279:
	s_cmp_eq_u32 s0, 44
	s_cbranch_scc0 .LBB14_1281
; %bb.1280:
	s_wait_loadcnt 0x0
	global_load_u8 v1, v[8:9], off
	s_mov_b32 s9, 0
	s_mov_b32 s15, -1
	s_wait_loadcnt 0x0
	v_lshlrev_b32_e32 v3, 23, v1
	v_cmp_ne_u32_e32 vcc_lo, 0, v1
	s_delay_alu instid0(VALU_DEP_2) | instskip(NEXT) | instid1(VALU_DEP_1)
	v_trunc_f32_e32 v3, v3
	v_mul_f32_e64 v4, 0x2f800000, |v3|
	s_delay_alu instid0(VALU_DEP_1) | instskip(NEXT) | instid1(VALU_DEP_1)
	v_floor_f32_e32 v4, v4
	v_fma_f32 v4, 0xcf800000, v4, |v3|
	v_ashrrev_i32_e32 v3, 31, v3
	s_delay_alu instid0(VALU_DEP_2) | instskip(NEXT) | instid1(VALU_DEP_1)
	v_cvt_u32_f32_e32 v4, v4
	v_xor_b32_e32 v4, v4, v3
	s_delay_alu instid0(VALU_DEP_1) | instskip(NEXT) | instid1(VALU_DEP_1)
	v_sub_nc_u32_e32 v3, v4, v3
	v_cndmask_b32_e32 v4, 0, v3, vcc_lo
	s_branch .LBB14_1282
.LBB14_1281:
	s_mov_b32 s9, -1
                                        ; implicit-def: $vgpr4
.LBB14_1282:
	s_mov_b32 s16, 0
.LBB14_1283:
	s_delay_alu instid0(SALU_CYCLE_1)
	s_and_b32 vcc_lo, exec_lo, s16
	s_cbranch_vccz .LBB14_1287
; %bb.1284:
	s_cmp_eq_u32 s0, 29
	s_cbranch_scc0 .LBB14_1286
; %bb.1285:
	global_load_b64 v[4:5], v[8:9], off
	s_mov_b32 s9, 0
	s_mov_b32 s15, -1
	s_branch .LBB14_1287
.LBB14_1286:
	s_mov_b32 s9, -1
                                        ; implicit-def: $vgpr4
.LBB14_1287:
	s_mov_b32 s16, 0
.LBB14_1288:
	s_delay_alu instid0(SALU_CYCLE_1)
	s_and_b32 vcc_lo, exec_lo, s16
	s_cbranch_vccz .LBB14_1304
; %bb.1289:
	s_cmp_lt_i32 s0, 27
	s_cbranch_scc1 .LBB14_1292
; %bb.1290:
	s_cmp_gt_i32 s0, 27
	s_cbranch_scc0 .LBB14_1293
; %bb.1291:
	s_wait_loadcnt 0x0
	global_load_b32 v4, v[8:9], off
	s_mov_b32 s15, 0
	s_branch .LBB14_1294
.LBB14_1292:
	s_mov_b32 s15, -1
                                        ; implicit-def: $vgpr4
	s_branch .LBB14_1297
.LBB14_1293:
	s_mov_b32 s15, -1
                                        ; implicit-def: $vgpr4
.LBB14_1294:
	s_delay_alu instid0(SALU_CYCLE_1)
	s_and_not1_b32 vcc_lo, exec_lo, s15
	s_cbranch_vccnz .LBB14_1296
; %bb.1295:
	s_wait_loadcnt 0x0
	global_load_u16 v4, v[8:9], off
.LBB14_1296:
	s_mov_b32 s15, 0
.LBB14_1297:
	s_delay_alu instid0(SALU_CYCLE_1)
	s_and_not1_b32 vcc_lo, exec_lo, s15
	s_cbranch_vccnz .LBB14_1303
; %bb.1298:
	s_wait_loadcnt 0x0
	global_load_u8 v1, v[8:9], off
	s_mov_b32 s16, 0
	s_mov_b32 s15, exec_lo
	s_wait_loadcnt 0x0
	v_cmpx_lt_i16_e32 0x7f, v1
	s_xor_b32 s15, exec_lo, s15
	s_cbranch_execz .LBB14_1315
; %bb.1299:
	v_cmp_ne_u16_e32 vcc_lo, 0x80, v1
	s_and_b32 s16, vcc_lo, exec_lo
	s_and_not1_saveexec_b32 s15, s15
	s_cbranch_execnz .LBB14_1316
.LBB14_1300:
	s_or_b32 exec_lo, exec_lo, s15
	v_mov_b32_e32 v4, 0
	s_and_saveexec_b32 s15, s16
	s_cbranch_execz .LBB14_1302
.LBB14_1301:
	v_and_b32_e32 v3, 0xffff, v1
	s_delay_alu instid0(VALU_DEP_1) | instskip(SKIP_1) | instid1(VALU_DEP_2)
	v_and_b32_e32 v4, 7, v3
	v_bfe_u32 v11, v3, 3, 4
	v_clz_i32_u32_e32 v5, v4
	s_delay_alu instid0(VALU_DEP_2) | instskip(NEXT) | instid1(VALU_DEP_2)
	v_cmp_eq_u32_e32 vcc_lo, 0, v11
	v_min_u32_e32 v5, 32, v5
	s_delay_alu instid0(VALU_DEP_1) | instskip(NEXT) | instid1(VALU_DEP_1)
	v_subrev_nc_u32_e32 v7, 28, v5
	v_dual_lshlrev_b32 v3, v7, v3 :: v_dual_sub_nc_u32 v5, 29, v5
	s_delay_alu instid0(VALU_DEP_1) | instskip(NEXT) | instid1(VALU_DEP_1)
	v_dual_lshlrev_b32 v1, 24, v1 :: v_dual_bitop2_b32 v3, 7, v3 bitop3:0x40
	v_dual_cndmask_b32 v3, v4, v3, vcc_lo :: v_dual_cndmask_b32 v5, v11, v5, vcc_lo
	s_delay_alu instid0(VALU_DEP_2) | instskip(NEXT) | instid1(VALU_DEP_2)
	v_and_b32_e32 v1, 0x80000000, v1
	v_lshlrev_b32_e32 v3, 20, v3
	s_delay_alu instid0(VALU_DEP_3) | instskip(NEXT) | instid1(VALU_DEP_1)
	v_lshl_add_u32 v4, v5, 23, 0x3b800000
	v_or3_b32 v1, v1, v4, v3
	s_delay_alu instid0(VALU_DEP_1) | instskip(NEXT) | instid1(VALU_DEP_1)
	v_trunc_f32_e32 v1, v1
	v_mul_f32_e64 v3, 0x2f800000, |v1|
	s_delay_alu instid0(VALU_DEP_1) | instskip(NEXT) | instid1(VALU_DEP_1)
	v_floor_f32_e32 v3, v3
	v_fma_f32 v3, 0xcf800000, v3, |v1|
	v_ashrrev_i32_e32 v1, 31, v1
	s_delay_alu instid0(VALU_DEP_2) | instskip(NEXT) | instid1(VALU_DEP_1)
	v_cvt_u32_f32_e32 v3, v3
	v_xor_b32_e32 v3, v3, v1
	s_delay_alu instid0(VALU_DEP_1)
	v_sub_nc_u32_e32 v4, v3, v1
.LBB14_1302:
	s_or_b32 exec_lo, exec_lo, s15
.LBB14_1303:
	s_mov_b32 s15, -1
.LBB14_1304:
	s_mov_b32 s16, 0
.LBB14_1305:
	s_delay_alu instid0(SALU_CYCLE_1)
	s_and_b32 vcc_lo, exec_lo, s16
	s_cbranch_vccz .LBB14_1336
; %bb.1306:
	s_cmp_gt_i32 s0, 22
	s_cbranch_scc0 .LBB14_1314
; %bb.1307:
	s_cmp_lt_i32 s0, 24
	s_cbranch_scc1 .LBB14_1317
; %bb.1308:
	s_cmp_gt_i32 s0, 24
	s_cbranch_scc0 .LBB14_1318
; %bb.1309:
	s_wait_loadcnt 0x0
	global_load_u8 v1, v[8:9], off
	s_mov_b32 s15, 0
	s_mov_b32 s14, exec_lo
	s_wait_loadcnt 0x0
	v_cmpx_lt_i16_e32 0x7f, v1
	s_xor_b32 s14, exec_lo, s14
	s_cbranch_execz .LBB14_1330
; %bb.1310:
	v_cmp_ne_u16_e32 vcc_lo, 0x80, v1
	s_and_b32 s15, vcc_lo, exec_lo
	s_and_not1_saveexec_b32 s14, s14
	s_cbranch_execnz .LBB14_1331
.LBB14_1311:
	s_or_b32 exec_lo, exec_lo, s14
	v_mov_b32_e32 v4, 0
	s_and_saveexec_b32 s14, s15
	s_cbranch_execz .LBB14_1313
.LBB14_1312:
	v_and_b32_e32 v3, 0xffff, v1
	s_delay_alu instid0(VALU_DEP_1) | instskip(SKIP_1) | instid1(VALU_DEP_2)
	v_and_b32_e32 v4, 3, v3
	v_bfe_u32 v11, v3, 2, 5
	v_clz_i32_u32_e32 v5, v4
	s_delay_alu instid0(VALU_DEP_2) | instskip(NEXT) | instid1(VALU_DEP_2)
	v_cmp_eq_u32_e32 vcc_lo, 0, v11
	v_min_u32_e32 v5, 32, v5
	s_delay_alu instid0(VALU_DEP_1) | instskip(NEXT) | instid1(VALU_DEP_1)
	v_subrev_nc_u32_e32 v7, 29, v5
	v_dual_lshlrev_b32 v3, v7, v3 :: v_dual_sub_nc_u32 v5, 30, v5
	s_delay_alu instid0(VALU_DEP_1) | instskip(NEXT) | instid1(VALU_DEP_1)
	v_dual_lshlrev_b32 v1, 24, v1 :: v_dual_bitop2_b32 v3, 3, v3 bitop3:0x40
	v_dual_cndmask_b32 v3, v4, v3, vcc_lo :: v_dual_cndmask_b32 v5, v11, v5, vcc_lo
	s_delay_alu instid0(VALU_DEP_2) | instskip(NEXT) | instid1(VALU_DEP_2)
	v_and_b32_e32 v1, 0x80000000, v1
	v_lshlrev_b32_e32 v3, 21, v3
	s_delay_alu instid0(VALU_DEP_3) | instskip(NEXT) | instid1(VALU_DEP_1)
	v_lshl_add_u32 v4, v5, 23, 0x37800000
	v_or3_b32 v1, v1, v4, v3
	s_delay_alu instid0(VALU_DEP_1) | instskip(NEXT) | instid1(VALU_DEP_1)
	v_trunc_f32_e32 v1, v1
	v_mul_f32_e64 v3, 0x2f800000, |v1|
	s_delay_alu instid0(VALU_DEP_1) | instskip(NEXT) | instid1(VALU_DEP_1)
	v_floor_f32_e32 v3, v3
	v_fma_f32 v3, 0xcf800000, v3, |v1|
	v_ashrrev_i32_e32 v1, 31, v1
	s_delay_alu instid0(VALU_DEP_2) | instskip(NEXT) | instid1(VALU_DEP_1)
	v_cvt_u32_f32_e32 v3, v3
	v_xor_b32_e32 v3, v3, v1
	s_delay_alu instid0(VALU_DEP_1)
	v_sub_nc_u32_e32 v4, v3, v1
.LBB14_1313:
	s_or_b32 exec_lo, exec_lo, s14
	s_mov_b32 s14, 0
	s_branch .LBB14_1319
.LBB14_1314:
	s_mov_b32 s14, -1
                                        ; implicit-def: $vgpr4
	s_branch .LBB14_1325
.LBB14_1315:
	s_and_not1_saveexec_b32 s15, s15
	s_cbranch_execz .LBB14_1300
.LBB14_1316:
	v_cmp_ne_u16_e32 vcc_lo, 0, v1
	s_and_not1_b32 s16, s16, exec_lo
	s_and_b32 s17, vcc_lo, exec_lo
	s_delay_alu instid0(SALU_CYCLE_1)
	s_or_b32 s16, s16, s17
	s_or_b32 exec_lo, exec_lo, s15
	v_mov_b32_e32 v4, 0
	s_and_saveexec_b32 s15, s16
	s_cbranch_execnz .LBB14_1301
	s_branch .LBB14_1302
.LBB14_1317:
	s_mov_b32 s14, -1
                                        ; implicit-def: $vgpr4
	s_branch .LBB14_1322
.LBB14_1318:
	s_mov_b32 s14, -1
                                        ; implicit-def: $vgpr4
.LBB14_1319:
	s_delay_alu instid0(SALU_CYCLE_1)
	s_and_b32 vcc_lo, exec_lo, s14
	s_cbranch_vccz .LBB14_1321
; %bb.1320:
	s_wait_loadcnt 0x0
	global_load_u8 v1, v[8:9], off
	s_wait_loadcnt 0x0
	v_lshlrev_b32_e32 v1, 24, v1
	s_delay_alu instid0(VALU_DEP_1) | instskip(NEXT) | instid1(VALU_DEP_1)
	v_and_b32_e32 v3, 0x7f000000, v1
	v_clz_i32_u32_e32 v4, v3
	v_add_nc_u32_e32 v7, 0x1000000, v3
	v_cmp_ne_u32_e32 vcc_lo, 0, v3
	s_delay_alu instid0(VALU_DEP_3) | instskip(NEXT) | instid1(VALU_DEP_1)
	v_min_u32_e32 v4, 32, v4
	v_sub_nc_u32_e64 v4, v4, 4 clamp
	s_delay_alu instid0(VALU_DEP_1) | instskip(NEXT) | instid1(VALU_DEP_1)
	v_dual_lshlrev_b32 v5, v4, v3 :: v_dual_lshlrev_b32 v4, 23, v4
	v_lshrrev_b32_e32 v5, 4, v5
	s_delay_alu instid0(VALU_DEP_1) | instskip(NEXT) | instid1(VALU_DEP_1)
	v_dual_sub_nc_u32 v4, v5, v4 :: v_dual_ashrrev_i32 v5, 8, v7
	v_add_nc_u32_e32 v4, 0x3c000000, v4
	s_delay_alu instid0(VALU_DEP_1) | instskip(NEXT) | instid1(VALU_DEP_1)
	v_and_or_b32 v4, 0x7f800000, v5, v4
	v_cndmask_b32_e32 v3, 0, v4, vcc_lo
	s_delay_alu instid0(VALU_DEP_1) | instskip(NEXT) | instid1(VALU_DEP_1)
	v_and_or_b32 v1, 0x80000000, v1, v3
	v_trunc_f32_e32 v1, v1
	s_delay_alu instid0(VALU_DEP_1) | instskip(NEXT) | instid1(VALU_DEP_1)
	v_mul_f32_e64 v3, 0x2f800000, |v1|
	v_floor_f32_e32 v3, v3
	s_delay_alu instid0(VALU_DEP_1) | instskip(SKIP_1) | instid1(VALU_DEP_2)
	v_fma_f32 v3, 0xcf800000, v3, |v1|
	v_ashrrev_i32_e32 v1, 31, v1
	v_cvt_u32_f32_e32 v3, v3
	s_delay_alu instid0(VALU_DEP_1) | instskip(NEXT) | instid1(VALU_DEP_1)
	v_xor_b32_e32 v3, v3, v1
	v_sub_nc_u32_e32 v4, v3, v1
.LBB14_1321:
	s_mov_b32 s14, 0
.LBB14_1322:
	s_delay_alu instid0(SALU_CYCLE_1)
	s_and_not1_b32 vcc_lo, exec_lo, s14
	s_cbranch_vccnz .LBB14_1324
; %bb.1323:
	s_wait_loadcnt 0x0
	global_load_u8 v1, v[8:9], off
	s_wait_loadcnt 0x0
	v_lshlrev_b32_e32 v3, 25, v1
	v_lshlrev_b16 v1, 8, v1
	s_delay_alu instid0(VALU_DEP_1) | instskip(NEXT) | instid1(VALU_DEP_3)
	v_and_or_b32 v5, 0x7f00, v1, 0.5
	v_lshrrev_b32_e32 v4, 4, v3
	v_bfe_i32 v1, v1, 0, 16
	s_delay_alu instid0(VALU_DEP_3) | instskip(NEXT) | instid1(VALU_DEP_3)
	v_add_f32_e32 v5, -0.5, v5
	v_or_b32_e32 v4, 0x70000000, v4
	s_delay_alu instid0(VALU_DEP_1) | instskip(SKIP_1) | instid1(VALU_DEP_2)
	v_mul_f32_e32 v4, 0x7800000, v4
	v_cmp_gt_u32_e32 vcc_lo, 0x8000000, v3
	v_cndmask_b32_e32 v3, v4, v5, vcc_lo
	s_delay_alu instid0(VALU_DEP_1) | instskip(NEXT) | instid1(VALU_DEP_1)
	v_and_or_b32 v1, 0x80000000, v1, v3
	v_trunc_f32_e32 v1, v1
	s_delay_alu instid0(VALU_DEP_1) | instskip(NEXT) | instid1(VALU_DEP_1)
	v_mul_f32_e64 v3, 0x2f800000, |v1|
	v_floor_f32_e32 v3, v3
	s_delay_alu instid0(VALU_DEP_1) | instskip(SKIP_1) | instid1(VALU_DEP_2)
	v_fma_f32 v3, 0xcf800000, v3, |v1|
	v_ashrrev_i32_e32 v1, 31, v1
	v_cvt_u32_f32_e32 v3, v3
	s_delay_alu instid0(VALU_DEP_1) | instskip(NEXT) | instid1(VALU_DEP_1)
	v_xor_b32_e32 v3, v3, v1
	v_sub_nc_u32_e32 v4, v3, v1
.LBB14_1324:
	s_mov_b32 s14, 0
	s_mov_b32 s15, -1
.LBB14_1325:
	s_and_not1_b32 vcc_lo, exec_lo, s14
	s_mov_b32 s14, 0
	s_cbranch_vccnz .LBB14_1336
; %bb.1326:
	s_cmp_gt_i32 s0, 14
	s_cbranch_scc0 .LBB14_1329
; %bb.1327:
	s_cmp_eq_u32 s0, 15
	s_cbranch_scc0 .LBB14_1332
; %bb.1328:
	s_wait_loadcnt 0x0
	global_load_u16 v1, v[8:9], off
	s_mov_b32 s9, 0
	s_mov_b32 s15, -1
	s_wait_loadcnt 0x0
	v_lshlrev_b32_e32 v1, 16, v1
	s_delay_alu instid0(VALU_DEP_1) | instskip(NEXT) | instid1(VALU_DEP_1)
	v_trunc_f32_e32 v1, v1
	v_mul_f32_e64 v3, 0x2f800000, |v1|
	s_delay_alu instid0(VALU_DEP_1) | instskip(NEXT) | instid1(VALU_DEP_1)
	v_floor_f32_e32 v3, v3
	v_fma_f32 v3, 0xcf800000, v3, |v1|
	v_ashrrev_i32_e32 v1, 31, v1
	s_delay_alu instid0(VALU_DEP_2) | instskip(NEXT) | instid1(VALU_DEP_1)
	v_cvt_u32_f32_e32 v3, v3
	v_xor_b32_e32 v3, v3, v1
	s_delay_alu instid0(VALU_DEP_1)
	v_sub_nc_u32_e32 v4, v3, v1
	s_branch .LBB14_1334
.LBB14_1329:
	s_mov_b32 s14, -1
	s_branch .LBB14_1333
.LBB14_1330:
	s_and_not1_saveexec_b32 s14, s14
	s_cbranch_execz .LBB14_1311
.LBB14_1331:
	v_cmp_ne_u16_e32 vcc_lo, 0, v1
	s_and_not1_b32 s15, s15, exec_lo
	s_and_b32 s16, vcc_lo, exec_lo
	s_delay_alu instid0(SALU_CYCLE_1)
	s_or_b32 s15, s15, s16
	s_or_b32 exec_lo, exec_lo, s14
	v_mov_b32_e32 v4, 0
	s_and_saveexec_b32 s14, s15
	s_cbranch_execnz .LBB14_1312
	s_branch .LBB14_1313
.LBB14_1332:
	s_mov_b32 s9, -1
.LBB14_1333:
                                        ; implicit-def: $vgpr4
.LBB14_1334:
	s_and_b32 vcc_lo, exec_lo, s14
	s_mov_b32 s14, 0
	s_cbranch_vccz .LBB14_1336
; %bb.1335:
	s_cmp_lg_u32 s0, 11
	s_mov_b32 s14, -1
	s_cselect_b32 s9, -1, 0
.LBB14_1336:
	s_delay_alu instid0(SALU_CYCLE_1)
	s_and_b32 vcc_lo, exec_lo, s9
	s_cbranch_vccnz .LBB14_1399
; %bb.1337:
	s_and_not1_b32 vcc_lo, exec_lo, s14
	s_cbranch_vccnz .LBB14_1339
.LBB14_1338:
	s_wait_loadcnt 0x0
	global_load_u8 v1, v[8:9], off
	s_mov_b32 s15, -1
	s_wait_loadcnt 0x0
	v_cmp_ne_u16_e32 vcc_lo, 0, v1
	v_cndmask_b32_e64 v4, 0, 1, vcc_lo
.LBB14_1339:
	s_branch .LBB14_1270
.LBB14_1340:
	s_cmp_lt_i32 s0, 5
	s_cbranch_scc1 .LBB14_1345
; %bb.1341:
	s_cmp_lt_i32 s0, 8
	s_cbranch_scc1 .LBB14_1346
; %bb.1342:
	s_cmp_lt_i32 s0, 9
	s_cbranch_scc1 .LBB14_1347
; %bb.1343:
	s_cmp_gt_i32 s0, 9
	s_cbranch_scc0 .LBB14_1348
; %bb.1344:
	s_wait_loadcnt 0x0
	global_load_b64 v[4:5], v[8:9], off
	s_mov_b32 s9, 0
	s_wait_loadcnt 0x0
	v_trunc_f64_e32 v[4:5], v[4:5]
	s_delay_alu instid0(VALU_DEP_1) | instskip(NEXT) | instid1(VALU_DEP_1)
	v_ldexp_f64 v[12:13], v[4:5], 0xffffffe0
	v_floor_f64_e32 v[12:13], v[12:13]
	s_delay_alu instid0(VALU_DEP_1) | instskip(NEXT) | instid1(VALU_DEP_1)
	v_fmamk_f64 v[4:5], v[12:13], 0xc1f00000, v[4:5]
	v_cvt_u32_f64_e32 v4, v[4:5]
	s_branch .LBB14_1349
.LBB14_1345:
	s_mov_b32 s9, -1
                                        ; implicit-def: $vgpr4
	s_branch .LBB14_1367
.LBB14_1346:
	s_mov_b32 s9, -1
                                        ; implicit-def: $vgpr4
	s_branch .LBB14_1355
.LBB14_1347:
	s_mov_b32 s9, -1
                                        ; implicit-def: $vgpr4
	s_branch .LBB14_1352
.LBB14_1348:
	s_mov_b32 s9, -1
                                        ; implicit-def: $vgpr4
.LBB14_1349:
	s_delay_alu instid0(SALU_CYCLE_1)
	s_and_not1_b32 vcc_lo, exec_lo, s9
	s_cbranch_vccnz .LBB14_1351
; %bb.1350:
	s_wait_loadcnt 0x0
	global_load_b32 v1, v[8:9], off
	s_wait_loadcnt 0x0
	v_trunc_f32_e32 v1, v1
	s_delay_alu instid0(VALU_DEP_1) | instskip(NEXT) | instid1(VALU_DEP_1)
	v_mul_f32_e64 v3, 0x2f800000, |v1|
	v_floor_f32_e32 v3, v3
	s_delay_alu instid0(VALU_DEP_1) | instskip(SKIP_1) | instid1(VALU_DEP_2)
	v_fma_f32 v3, 0xcf800000, v3, |v1|
	v_ashrrev_i32_e32 v1, 31, v1
	v_cvt_u32_f32_e32 v3, v3
	s_delay_alu instid0(VALU_DEP_1) | instskip(NEXT) | instid1(VALU_DEP_1)
	v_xor_b32_e32 v3, v3, v1
	v_sub_nc_u32_e32 v4, v3, v1
.LBB14_1351:
	s_mov_b32 s9, 0
.LBB14_1352:
	s_delay_alu instid0(SALU_CYCLE_1)
	s_and_not1_b32 vcc_lo, exec_lo, s9
	s_cbranch_vccnz .LBB14_1354
; %bb.1353:
	s_wait_loadcnt 0x0
	global_load_b32 v1, v[8:9], off
	s_wait_loadcnt 0x0
	v_cvt_f32_f16_e32 v1, v1
	s_delay_alu instid0(VALU_DEP_1)
	v_cvt_i32_f32_e32 v4, v1
.LBB14_1354:
	s_mov_b32 s9, 0
.LBB14_1355:
	s_delay_alu instid0(SALU_CYCLE_1)
	s_and_not1_b32 vcc_lo, exec_lo, s9
	s_cbranch_vccnz .LBB14_1366
; %bb.1356:
	s_cmp_lt_i32 s0, 6
	s_cbranch_scc1 .LBB14_1359
; %bb.1357:
	s_cmp_gt_i32 s0, 6
	s_cbranch_scc0 .LBB14_1360
; %bb.1358:
	s_wait_loadcnt 0x0
	global_load_b64 v[4:5], v[8:9], off
	s_mov_b32 s9, 0
	s_wait_loadcnt 0x0
	v_trunc_f64_e32 v[4:5], v[4:5]
	s_delay_alu instid0(VALU_DEP_1) | instskip(NEXT) | instid1(VALU_DEP_1)
	v_ldexp_f64 v[12:13], v[4:5], 0xffffffe0
	v_floor_f64_e32 v[12:13], v[12:13]
	s_delay_alu instid0(VALU_DEP_1) | instskip(NEXT) | instid1(VALU_DEP_1)
	v_fmamk_f64 v[4:5], v[12:13], 0xc1f00000, v[4:5]
	v_cvt_u32_f64_e32 v4, v[4:5]
	s_branch .LBB14_1361
.LBB14_1359:
	s_mov_b32 s9, -1
                                        ; implicit-def: $vgpr4
	s_branch .LBB14_1364
.LBB14_1360:
	s_mov_b32 s9, -1
                                        ; implicit-def: $vgpr4
.LBB14_1361:
	s_delay_alu instid0(SALU_CYCLE_1)
	s_and_not1_b32 vcc_lo, exec_lo, s9
	s_cbranch_vccnz .LBB14_1363
; %bb.1362:
	s_wait_loadcnt 0x0
	global_load_b32 v1, v[8:9], off
	s_wait_loadcnt 0x0
	v_trunc_f32_e32 v1, v1
	s_delay_alu instid0(VALU_DEP_1) | instskip(NEXT) | instid1(VALU_DEP_1)
	v_mul_f32_e64 v3, 0x2f800000, |v1|
	v_floor_f32_e32 v3, v3
	s_delay_alu instid0(VALU_DEP_1) | instskip(SKIP_1) | instid1(VALU_DEP_2)
	v_fma_f32 v3, 0xcf800000, v3, |v1|
	v_ashrrev_i32_e32 v1, 31, v1
	v_cvt_u32_f32_e32 v3, v3
	s_delay_alu instid0(VALU_DEP_1) | instskip(NEXT) | instid1(VALU_DEP_1)
	v_xor_b32_e32 v3, v3, v1
	v_sub_nc_u32_e32 v4, v3, v1
.LBB14_1363:
	s_mov_b32 s9, 0
.LBB14_1364:
	s_delay_alu instid0(SALU_CYCLE_1)
	s_and_not1_b32 vcc_lo, exec_lo, s9
	s_cbranch_vccnz .LBB14_1366
; %bb.1365:
	s_wait_loadcnt 0x0
	global_load_u16 v1, v[8:9], off
	s_wait_loadcnt 0x0
	v_cvt_f32_f16_e32 v1, v1
	s_delay_alu instid0(VALU_DEP_1)
	v_cvt_i32_f32_e32 v4, v1
.LBB14_1366:
	s_mov_b32 s9, 0
.LBB14_1367:
	s_delay_alu instid0(SALU_CYCLE_1)
	s_and_not1_b32 vcc_lo, exec_lo, s9
	s_cbranch_vccnz .LBB14_1387
; %bb.1368:
	s_cmp_lt_i32 s0, 2
	s_cbranch_scc1 .LBB14_1372
; %bb.1369:
	s_cmp_lt_i32 s0, 3
	s_cbranch_scc1 .LBB14_1373
; %bb.1370:
	s_cmp_gt_i32 s0, 3
	s_cbranch_scc0 .LBB14_1374
; %bb.1371:
	s_wait_loadcnt 0x0
	global_load_b64 v[4:5], v[8:9], off
	s_mov_b32 s9, 0
	s_branch .LBB14_1375
.LBB14_1372:
	s_mov_b32 s9, -1
                                        ; implicit-def: $vgpr4
	s_branch .LBB14_1381
.LBB14_1373:
	s_mov_b32 s9, -1
                                        ; implicit-def: $vgpr4
	s_branch .LBB14_1378
.LBB14_1374:
	s_mov_b32 s9, -1
                                        ; implicit-def: $vgpr4
.LBB14_1375:
	s_delay_alu instid0(SALU_CYCLE_1)
	s_and_not1_b32 vcc_lo, exec_lo, s9
	s_cbranch_vccnz .LBB14_1377
; %bb.1376:
	s_wait_loadcnt 0x0
	global_load_b32 v4, v[8:9], off
.LBB14_1377:
	s_mov_b32 s9, 0
.LBB14_1378:
	s_delay_alu instid0(SALU_CYCLE_1)
	s_and_not1_b32 vcc_lo, exec_lo, s9
	s_cbranch_vccnz .LBB14_1380
; %bb.1379:
	s_wait_loadcnt 0x0
	global_load_u16 v4, v[8:9], off
.LBB14_1380:
	s_mov_b32 s9, 0
.LBB14_1381:
	s_delay_alu instid0(SALU_CYCLE_1)
	s_and_not1_b32 vcc_lo, exec_lo, s9
	s_cbranch_vccnz .LBB14_1387
; %bb.1382:
	s_cmp_gt_i32 s0, 0
	s_mov_b32 s9, 0
	s_cbranch_scc0 .LBB14_1384
; %bb.1383:
	s_wait_loadcnt 0x0
	global_load_u8 v4, v[8:9], off
	s_branch .LBB14_1385
.LBB14_1384:
	s_mov_b32 s9, -1
                                        ; implicit-def: $vgpr4
.LBB14_1385:
	s_delay_alu instid0(SALU_CYCLE_1)
	s_and_not1_b32 vcc_lo, exec_lo, s9
	s_cbranch_vccnz .LBB14_1387
; %bb.1386:
	s_wait_loadcnt 0x0
	global_load_u8 v4, v[8:9], off
.LBB14_1387:
.LBB14_1388:
	v_add_nc_u32_e32 v6, s3, v6
	s_cmp_lt_i32 s0, 11
	s_delay_alu instid0(VALU_DEP_1) | instskip(SKIP_1) | instid1(VALU_DEP_1)
	v_ashrrev_i32_e32 v7, 31, v6
	s_wait_xcnt 0x0
	v_add_nc_u64_e32 v[8:9], s[6:7], v[6:7]
	s_cbranch_scc1 .LBB14_1395
; %bb.1389:
	s_cmp_gt_i32 s0, 25
	s_mov_b32 s6, 0
	s_cbranch_scc0 .LBB14_1396
; %bb.1390:
	s_cmp_gt_i32 s0, 28
	s_cbranch_scc0 .LBB14_1397
; %bb.1391:
	s_cmp_gt_i32 s0, 43
	;; [unrolled: 3-line block ×3, first 2 shown]
	s_cbranch_scc0 .LBB14_1400
; %bb.1393:
	s_cmp_eq_u32 s0, 46
	s_mov_b32 s9, 0
	s_cbranch_scc0 .LBB14_1401
; %bb.1394:
	s_wait_loadcnt 0x0
	global_load_b32 v1, v[8:9], off
	s_mov_b32 s3, 0
	s_mov_b32 s7, -1
	s_wait_loadcnt 0x0
	v_lshlrev_b32_e32 v1, 16, v1
	s_delay_alu instid0(VALU_DEP_1) | instskip(NEXT) | instid1(VALU_DEP_1)
	v_trunc_f32_e32 v1, v1
	v_mul_f32_e64 v3, 0x2f800000, |v1|
	s_delay_alu instid0(VALU_DEP_1) | instskip(NEXT) | instid1(VALU_DEP_1)
	v_floor_f32_e32 v3, v3
	v_fma_f32 v3, 0xcf800000, v3, |v1|
	v_ashrrev_i32_e32 v1, 31, v1
	s_delay_alu instid0(VALU_DEP_2) | instskip(NEXT) | instid1(VALU_DEP_1)
	v_cvt_u32_f32_e32 v3, v3
	v_xor_b32_e32 v3, v3, v1
	s_delay_alu instid0(VALU_DEP_1)
	v_sub_nc_u32_e32 v6, v3, v1
	s_branch .LBB14_1403
.LBB14_1395:
	s_mov_b32 s3, -1
	s_mov_b32 s7, 0
                                        ; implicit-def: $vgpr6
	s_branch .LBB14_1465
.LBB14_1396:
	s_mov_b32 s9, -1
	s_mov_b32 s7, 0
	s_mov_b32 s3, 0
                                        ; implicit-def: $vgpr6
	s_branch .LBB14_1430
.LBB14_1397:
	s_mov_b32 s9, -1
	s_mov_b32 s7, 0
	s_mov_b32 s3, 0
                                        ; implicit-def: $vgpr6
	s_branch .LBB14_1413
.LBB14_1398:
	s_mov_b32 s9, -1
	s_mov_b32 s7, 0
	s_mov_b32 s3, 0
                                        ; implicit-def: $vgpr6
	s_branch .LBB14_1408
.LBB14_1399:
	s_or_b32 s1, s1, exec_lo
	s_trap 2
	s_cbranch_execz .LBB14_1338
	s_branch .LBB14_1339
.LBB14_1400:
	s_mov_b32 s9, -1
	s_mov_b32 s7, 0
	s_mov_b32 s3, 0
	s_branch .LBB14_1402
.LBB14_1401:
	s_mov_b32 s3, -1
	s_mov_b32 s7, 0
.LBB14_1402:
                                        ; implicit-def: $vgpr6
.LBB14_1403:
	s_and_b32 vcc_lo, exec_lo, s9
	s_cbranch_vccz .LBB14_1407
; %bb.1404:
	s_cmp_eq_u32 s0, 44
	s_cbranch_scc0 .LBB14_1406
; %bb.1405:
	s_wait_loadcnt 0x0
	global_load_u8 v1, v[8:9], off
	s_mov_b32 s3, 0
	s_mov_b32 s7, -1
	s_wait_loadcnt 0x0
	v_lshlrev_b32_e32 v3, 23, v1
	v_cmp_ne_u32_e32 vcc_lo, 0, v1
	s_delay_alu instid0(VALU_DEP_2) | instskip(NEXT) | instid1(VALU_DEP_1)
	v_trunc_f32_e32 v3, v3
	v_mul_f32_e64 v5, 0x2f800000, |v3|
	s_delay_alu instid0(VALU_DEP_1) | instskip(NEXT) | instid1(VALU_DEP_1)
	v_floor_f32_e32 v5, v5
	v_fma_f32 v5, 0xcf800000, v5, |v3|
	v_ashrrev_i32_e32 v3, 31, v3
	s_delay_alu instid0(VALU_DEP_2) | instskip(NEXT) | instid1(VALU_DEP_1)
	v_cvt_u32_f32_e32 v5, v5
	v_xor_b32_e32 v5, v5, v3
	s_delay_alu instid0(VALU_DEP_1) | instskip(NEXT) | instid1(VALU_DEP_1)
	v_sub_nc_u32_e32 v3, v5, v3
	v_cndmask_b32_e32 v6, 0, v3, vcc_lo
	s_branch .LBB14_1407
.LBB14_1406:
	s_mov_b32 s3, -1
                                        ; implicit-def: $vgpr6
.LBB14_1407:
	s_mov_b32 s9, 0
.LBB14_1408:
	s_delay_alu instid0(SALU_CYCLE_1)
	s_and_b32 vcc_lo, exec_lo, s9
	s_cbranch_vccz .LBB14_1412
; %bb.1409:
	s_cmp_eq_u32 s0, 29
	s_cbranch_scc0 .LBB14_1411
; %bb.1410:
	global_load_b64 v[6:7], v[8:9], off
	s_mov_b32 s3, 0
	s_mov_b32 s7, -1
	s_branch .LBB14_1412
.LBB14_1411:
	s_mov_b32 s3, -1
                                        ; implicit-def: $vgpr6
.LBB14_1412:
	s_mov_b32 s9, 0
.LBB14_1413:
	s_delay_alu instid0(SALU_CYCLE_1)
	s_and_b32 vcc_lo, exec_lo, s9
	s_cbranch_vccz .LBB14_1429
; %bb.1414:
	s_cmp_lt_i32 s0, 27
	s_cbranch_scc1 .LBB14_1417
; %bb.1415:
	s_cmp_gt_i32 s0, 27
	s_cbranch_scc0 .LBB14_1418
; %bb.1416:
	s_wait_loadcnt 0x0
	global_load_b32 v6, v[8:9], off
	s_mov_b32 s7, 0
	s_branch .LBB14_1419
.LBB14_1417:
	s_mov_b32 s7, -1
                                        ; implicit-def: $vgpr6
	s_branch .LBB14_1422
.LBB14_1418:
	s_mov_b32 s7, -1
                                        ; implicit-def: $vgpr6
.LBB14_1419:
	s_delay_alu instid0(SALU_CYCLE_1)
	s_and_not1_b32 vcc_lo, exec_lo, s7
	s_cbranch_vccnz .LBB14_1421
; %bb.1420:
	s_wait_loadcnt 0x0
	global_load_u16 v6, v[8:9], off
.LBB14_1421:
	s_mov_b32 s7, 0
.LBB14_1422:
	s_delay_alu instid0(SALU_CYCLE_1)
	s_and_not1_b32 vcc_lo, exec_lo, s7
	s_cbranch_vccnz .LBB14_1428
; %bb.1423:
	s_wait_loadcnt 0x0
	global_load_u8 v1, v[8:9], off
	s_mov_b32 s9, 0
	s_mov_b32 s7, exec_lo
	s_wait_loadcnt 0x0
	v_cmpx_lt_i16_e32 0x7f, v1
	s_xor_b32 s7, exec_lo, s7
	s_cbranch_execz .LBB14_1440
; %bb.1424:
	v_cmp_ne_u16_e32 vcc_lo, 0x80, v1
	s_and_b32 s9, vcc_lo, exec_lo
	s_and_not1_saveexec_b32 s7, s7
	s_cbranch_execnz .LBB14_1441
.LBB14_1425:
	s_or_b32 exec_lo, exec_lo, s7
	v_mov_b32_e32 v6, 0
	s_and_saveexec_b32 s7, s9
	s_cbranch_execz .LBB14_1427
.LBB14_1426:
	v_and_b32_e32 v3, 0xffff, v1
	s_delay_alu instid0(VALU_DEP_1) | instskip(SKIP_1) | instid1(VALU_DEP_2)
	v_and_b32_e32 v5, 7, v3
	v_bfe_u32 v11, v3, 3, 4
	v_clz_i32_u32_e32 v6, v5
	s_delay_alu instid0(VALU_DEP_2) | instskip(NEXT) | instid1(VALU_DEP_2)
	v_cmp_eq_u32_e32 vcc_lo, 0, v11
	v_min_u32_e32 v6, 32, v6
	s_delay_alu instid0(VALU_DEP_1) | instskip(NEXT) | instid1(VALU_DEP_1)
	v_subrev_nc_u32_e32 v7, 28, v6
	v_dual_lshlrev_b32 v3, v7, v3 :: v_dual_sub_nc_u32 v6, 29, v6
	s_delay_alu instid0(VALU_DEP_1) | instskip(NEXT) | instid1(VALU_DEP_1)
	v_dual_lshlrev_b32 v1, 24, v1 :: v_dual_bitop2_b32 v3, 7, v3 bitop3:0x40
	v_dual_cndmask_b32 v6, v11, v6 :: v_dual_cndmask_b32 v3, v5, v3
	s_delay_alu instid0(VALU_DEP_2) | instskip(NEXT) | instid1(VALU_DEP_2)
	v_and_b32_e32 v1, 0x80000000, v1
	v_lshl_add_u32 v5, v6, 23, 0x3b800000
	s_delay_alu instid0(VALU_DEP_3) | instskip(NEXT) | instid1(VALU_DEP_1)
	v_lshlrev_b32_e32 v3, 20, v3
	v_or3_b32 v1, v1, v5, v3
	s_delay_alu instid0(VALU_DEP_1) | instskip(NEXT) | instid1(VALU_DEP_1)
	v_trunc_f32_e32 v1, v1
	v_mul_f32_e64 v3, 0x2f800000, |v1|
	s_delay_alu instid0(VALU_DEP_1) | instskip(NEXT) | instid1(VALU_DEP_1)
	v_floor_f32_e32 v3, v3
	v_fma_f32 v3, 0xcf800000, v3, |v1|
	v_ashrrev_i32_e32 v1, 31, v1
	s_delay_alu instid0(VALU_DEP_2) | instskip(NEXT) | instid1(VALU_DEP_1)
	v_cvt_u32_f32_e32 v3, v3
	v_xor_b32_e32 v3, v3, v1
	s_delay_alu instid0(VALU_DEP_1)
	v_sub_nc_u32_e32 v6, v3, v1
.LBB14_1427:
	s_or_b32 exec_lo, exec_lo, s7
.LBB14_1428:
	s_mov_b32 s7, -1
.LBB14_1429:
	s_mov_b32 s9, 0
.LBB14_1430:
	s_delay_alu instid0(SALU_CYCLE_1)
	s_and_b32 vcc_lo, exec_lo, s9
	s_cbranch_vccz .LBB14_1461
; %bb.1431:
	s_cmp_gt_i32 s0, 22
	s_cbranch_scc0 .LBB14_1439
; %bb.1432:
	s_cmp_lt_i32 s0, 24
	s_cbranch_scc1 .LBB14_1442
; %bb.1433:
	s_cmp_gt_i32 s0, 24
	s_cbranch_scc0 .LBB14_1443
; %bb.1434:
	s_wait_loadcnt 0x0
	global_load_u8 v1, v[8:9], off
	s_mov_b32 s7, 0
	s_mov_b32 s6, exec_lo
	s_wait_loadcnt 0x0
	v_cmpx_lt_i16_e32 0x7f, v1
	s_xor_b32 s6, exec_lo, s6
	s_cbranch_execz .LBB14_1455
; %bb.1435:
	v_cmp_ne_u16_e32 vcc_lo, 0x80, v1
	s_and_b32 s7, vcc_lo, exec_lo
	s_and_not1_saveexec_b32 s6, s6
	s_cbranch_execnz .LBB14_1456
.LBB14_1436:
	s_or_b32 exec_lo, exec_lo, s6
	v_mov_b32_e32 v6, 0
	s_and_saveexec_b32 s6, s7
	s_cbranch_execz .LBB14_1438
.LBB14_1437:
	v_and_b32_e32 v3, 0xffff, v1
	s_delay_alu instid0(VALU_DEP_1) | instskip(SKIP_1) | instid1(VALU_DEP_2)
	v_and_b32_e32 v5, 3, v3
	v_bfe_u32 v11, v3, 2, 5
	v_clz_i32_u32_e32 v6, v5
	s_delay_alu instid0(VALU_DEP_2) | instskip(NEXT) | instid1(VALU_DEP_2)
	v_cmp_eq_u32_e32 vcc_lo, 0, v11
	v_min_u32_e32 v6, 32, v6
	s_delay_alu instid0(VALU_DEP_1) | instskip(NEXT) | instid1(VALU_DEP_1)
	v_subrev_nc_u32_e32 v7, 29, v6
	v_dual_lshlrev_b32 v3, v7, v3 :: v_dual_sub_nc_u32 v6, 30, v6
	s_delay_alu instid0(VALU_DEP_1) | instskip(NEXT) | instid1(VALU_DEP_1)
	v_dual_lshlrev_b32 v1, 24, v1 :: v_dual_bitop2_b32 v3, 3, v3 bitop3:0x40
	v_dual_cndmask_b32 v6, v11, v6 :: v_dual_cndmask_b32 v3, v5, v3
	s_delay_alu instid0(VALU_DEP_2) | instskip(NEXT) | instid1(VALU_DEP_2)
	v_and_b32_e32 v1, 0x80000000, v1
	v_lshl_add_u32 v5, v6, 23, 0x37800000
	s_delay_alu instid0(VALU_DEP_3) | instskip(NEXT) | instid1(VALU_DEP_1)
	v_lshlrev_b32_e32 v3, 21, v3
	v_or3_b32 v1, v1, v5, v3
	s_delay_alu instid0(VALU_DEP_1) | instskip(NEXT) | instid1(VALU_DEP_1)
	v_trunc_f32_e32 v1, v1
	v_mul_f32_e64 v3, 0x2f800000, |v1|
	s_delay_alu instid0(VALU_DEP_1) | instskip(NEXT) | instid1(VALU_DEP_1)
	v_floor_f32_e32 v3, v3
	v_fma_f32 v3, 0xcf800000, v3, |v1|
	v_ashrrev_i32_e32 v1, 31, v1
	s_delay_alu instid0(VALU_DEP_2) | instskip(NEXT) | instid1(VALU_DEP_1)
	v_cvt_u32_f32_e32 v3, v3
	v_xor_b32_e32 v3, v3, v1
	s_delay_alu instid0(VALU_DEP_1)
	v_sub_nc_u32_e32 v6, v3, v1
.LBB14_1438:
	s_or_b32 exec_lo, exec_lo, s6
	s_mov_b32 s6, 0
	s_branch .LBB14_1444
.LBB14_1439:
	s_mov_b32 s6, -1
                                        ; implicit-def: $vgpr6
	s_branch .LBB14_1450
.LBB14_1440:
	s_and_not1_saveexec_b32 s7, s7
	s_cbranch_execz .LBB14_1425
.LBB14_1441:
	v_cmp_ne_u16_e32 vcc_lo, 0, v1
	s_and_not1_b32 s9, s9, exec_lo
	s_and_b32 s14, vcc_lo, exec_lo
	s_delay_alu instid0(SALU_CYCLE_1)
	s_or_b32 s9, s9, s14
	s_or_b32 exec_lo, exec_lo, s7
	v_mov_b32_e32 v6, 0
	s_and_saveexec_b32 s7, s9
	s_cbranch_execnz .LBB14_1426
	s_branch .LBB14_1427
.LBB14_1442:
	s_mov_b32 s6, -1
                                        ; implicit-def: $vgpr6
	s_branch .LBB14_1447
.LBB14_1443:
	s_mov_b32 s6, -1
                                        ; implicit-def: $vgpr6
.LBB14_1444:
	s_delay_alu instid0(SALU_CYCLE_1)
	s_and_b32 vcc_lo, exec_lo, s6
	s_cbranch_vccz .LBB14_1446
; %bb.1445:
	s_wait_loadcnt 0x0
	global_load_u8 v1, v[8:9], off
	s_wait_loadcnt 0x0
	v_lshlrev_b32_e32 v1, 24, v1
	s_delay_alu instid0(VALU_DEP_1) | instskip(NEXT) | instid1(VALU_DEP_1)
	v_and_b32_e32 v3, 0x7f000000, v1
	v_clz_i32_u32_e32 v5, v3
	v_add_nc_u32_e32 v7, 0x1000000, v3
	v_cmp_ne_u32_e32 vcc_lo, 0, v3
	s_delay_alu instid0(VALU_DEP_3) | instskip(NEXT) | instid1(VALU_DEP_1)
	v_min_u32_e32 v5, 32, v5
	v_sub_nc_u32_e64 v5, v5, 4 clamp
	s_delay_alu instid0(VALU_DEP_1) | instskip(NEXT) | instid1(VALU_DEP_1)
	v_dual_lshlrev_b32 v6, v5, v3 :: v_dual_lshlrev_b32 v5, 23, v5
	v_lshrrev_b32_e32 v6, 4, v6
	s_delay_alu instid0(VALU_DEP_1) | instskip(NEXT) | instid1(VALU_DEP_1)
	v_dual_sub_nc_u32 v5, v6, v5 :: v_dual_ashrrev_i32 v6, 8, v7
	v_add_nc_u32_e32 v5, 0x3c000000, v5
	s_delay_alu instid0(VALU_DEP_1) | instskip(NEXT) | instid1(VALU_DEP_1)
	v_and_or_b32 v5, 0x7f800000, v6, v5
	v_cndmask_b32_e32 v3, 0, v5, vcc_lo
	s_delay_alu instid0(VALU_DEP_1) | instskip(NEXT) | instid1(VALU_DEP_1)
	v_and_or_b32 v1, 0x80000000, v1, v3
	v_trunc_f32_e32 v1, v1
	s_delay_alu instid0(VALU_DEP_1) | instskip(NEXT) | instid1(VALU_DEP_1)
	v_mul_f32_e64 v3, 0x2f800000, |v1|
	v_floor_f32_e32 v3, v3
	s_delay_alu instid0(VALU_DEP_1) | instskip(SKIP_1) | instid1(VALU_DEP_2)
	v_fma_f32 v3, 0xcf800000, v3, |v1|
	v_ashrrev_i32_e32 v1, 31, v1
	v_cvt_u32_f32_e32 v3, v3
	s_delay_alu instid0(VALU_DEP_1) | instskip(NEXT) | instid1(VALU_DEP_1)
	v_xor_b32_e32 v3, v3, v1
	v_sub_nc_u32_e32 v6, v3, v1
.LBB14_1446:
	s_mov_b32 s6, 0
.LBB14_1447:
	s_delay_alu instid0(SALU_CYCLE_1)
	s_and_not1_b32 vcc_lo, exec_lo, s6
	s_cbranch_vccnz .LBB14_1449
; %bb.1448:
	s_wait_loadcnt 0x0
	global_load_u8 v1, v[8:9], off
	s_wait_loadcnt 0x0
	v_lshlrev_b32_e32 v3, 25, v1
	v_lshlrev_b16 v1, 8, v1
	s_delay_alu instid0(VALU_DEP_1) | instskip(SKIP_1) | instid1(VALU_DEP_2)
	v_and_or_b32 v6, 0x7f00, v1, 0.5
	v_bfe_i32 v1, v1, 0, 16
	v_dual_add_f32 v6, -0.5, v6 :: v_dual_lshrrev_b32 v5, 4, v3
	v_cmp_gt_u32_e32 vcc_lo, 0x8000000, v3
	s_delay_alu instid0(VALU_DEP_2) | instskip(NEXT) | instid1(VALU_DEP_1)
	v_or_b32_e32 v5, 0x70000000, v5
	v_mul_f32_e32 v5, 0x7800000, v5
	s_delay_alu instid0(VALU_DEP_1) | instskip(NEXT) | instid1(VALU_DEP_1)
	v_cndmask_b32_e32 v3, v5, v6, vcc_lo
	v_and_or_b32 v1, 0x80000000, v1, v3
	s_delay_alu instid0(VALU_DEP_1) | instskip(NEXT) | instid1(VALU_DEP_1)
	v_trunc_f32_e32 v1, v1
	v_mul_f32_e64 v3, 0x2f800000, |v1|
	s_delay_alu instid0(VALU_DEP_1) | instskip(NEXT) | instid1(VALU_DEP_1)
	v_floor_f32_e32 v3, v3
	v_fma_f32 v3, 0xcf800000, v3, |v1|
	v_ashrrev_i32_e32 v1, 31, v1
	s_delay_alu instid0(VALU_DEP_2) | instskip(NEXT) | instid1(VALU_DEP_1)
	v_cvt_u32_f32_e32 v3, v3
	v_xor_b32_e32 v3, v3, v1
	s_delay_alu instid0(VALU_DEP_1)
	v_sub_nc_u32_e32 v6, v3, v1
.LBB14_1449:
	s_mov_b32 s6, 0
	s_mov_b32 s7, -1
.LBB14_1450:
	s_and_not1_b32 vcc_lo, exec_lo, s6
	s_mov_b32 s6, 0
	s_cbranch_vccnz .LBB14_1461
; %bb.1451:
	s_cmp_gt_i32 s0, 14
	s_cbranch_scc0 .LBB14_1454
; %bb.1452:
	s_cmp_eq_u32 s0, 15
	s_cbranch_scc0 .LBB14_1457
; %bb.1453:
	s_wait_loadcnt 0x0
	global_load_u16 v1, v[8:9], off
	s_mov_b32 s3, 0
	s_mov_b32 s7, -1
	s_wait_loadcnt 0x0
	v_lshlrev_b32_e32 v1, 16, v1
	s_delay_alu instid0(VALU_DEP_1) | instskip(NEXT) | instid1(VALU_DEP_1)
	v_trunc_f32_e32 v1, v1
	v_mul_f32_e64 v3, 0x2f800000, |v1|
	s_delay_alu instid0(VALU_DEP_1) | instskip(NEXT) | instid1(VALU_DEP_1)
	v_floor_f32_e32 v3, v3
	v_fma_f32 v3, 0xcf800000, v3, |v1|
	v_ashrrev_i32_e32 v1, 31, v1
	s_delay_alu instid0(VALU_DEP_2) | instskip(NEXT) | instid1(VALU_DEP_1)
	v_cvt_u32_f32_e32 v3, v3
	v_xor_b32_e32 v3, v3, v1
	s_delay_alu instid0(VALU_DEP_1)
	v_sub_nc_u32_e32 v6, v3, v1
	s_branch .LBB14_1459
.LBB14_1454:
	s_mov_b32 s6, -1
	s_branch .LBB14_1458
.LBB14_1455:
	s_and_not1_saveexec_b32 s6, s6
	s_cbranch_execz .LBB14_1436
.LBB14_1456:
	v_cmp_ne_u16_e32 vcc_lo, 0, v1
	s_and_not1_b32 s7, s7, exec_lo
	s_and_b32 s9, vcc_lo, exec_lo
	s_delay_alu instid0(SALU_CYCLE_1)
	s_or_b32 s7, s7, s9
	s_or_b32 exec_lo, exec_lo, s6
	v_mov_b32_e32 v6, 0
	s_and_saveexec_b32 s6, s7
	s_cbranch_execnz .LBB14_1437
	s_branch .LBB14_1438
.LBB14_1457:
	s_mov_b32 s3, -1
.LBB14_1458:
                                        ; implicit-def: $vgpr6
.LBB14_1459:
	s_and_b32 vcc_lo, exec_lo, s6
	s_mov_b32 s6, 0
	s_cbranch_vccz .LBB14_1461
; %bb.1460:
	s_cmp_lg_u32 s0, 11
	s_mov_b32 s6, -1
	s_cselect_b32 s3, -1, 0
.LBB14_1461:
	s_delay_alu instid0(SALU_CYCLE_1)
	s_and_b32 vcc_lo, exec_lo, s3
	s_cbranch_vccnz .LBB14_1993
; %bb.1462:
	s_and_not1_b32 vcc_lo, exec_lo, s6
	s_cbranch_vccnz .LBB14_1464
.LBB14_1463:
	s_wait_loadcnt 0x0
	global_load_u8 v1, v[8:9], off
	s_mov_b32 s7, -1
	s_wait_loadcnt 0x0
	v_cmp_ne_u16_e32 vcc_lo, 0, v1
	v_cndmask_b32_e64 v6, 0, 1, vcc_lo
.LBB14_1464:
	s_mov_b32 s3, 0
.LBB14_1465:
	s_delay_alu instid0(SALU_CYCLE_1)
	s_and_b32 vcc_lo, exec_lo, s3
	s_cbranch_vccz .LBB14_1514
; %bb.1466:
	s_cmp_lt_i32 s0, 5
	s_cbranch_scc1 .LBB14_1471
; %bb.1467:
	s_cmp_lt_i32 s0, 8
	s_cbranch_scc1 .LBB14_1472
	;; [unrolled: 3-line block ×3, first 2 shown]
; %bb.1469:
	s_cmp_gt_i32 s0, 9
	s_cbranch_scc0 .LBB14_1474
; %bb.1470:
	s_wait_loadcnt 0x0
	global_load_b64 v[6:7], v[8:9], off
	s_mov_b32 s3, 0
	s_wait_loadcnt 0x0
	v_trunc_f64_e32 v[6:7], v[6:7]
	s_delay_alu instid0(VALU_DEP_1) | instskip(NEXT) | instid1(VALU_DEP_1)
	v_ldexp_f64 v[12:13], v[6:7], 0xffffffe0
	v_floor_f64_e32 v[12:13], v[12:13]
	s_delay_alu instid0(VALU_DEP_1) | instskip(NEXT) | instid1(VALU_DEP_1)
	v_fmamk_f64 v[6:7], v[12:13], 0xc1f00000, v[6:7]
	v_cvt_u32_f64_e32 v6, v[6:7]
	s_branch .LBB14_1475
.LBB14_1471:
	s_mov_b32 s3, -1
                                        ; implicit-def: $vgpr6
	s_branch .LBB14_1493
.LBB14_1472:
	s_mov_b32 s3, -1
                                        ; implicit-def: $vgpr6
	s_branch .LBB14_1481
.LBB14_1473:
	s_mov_b32 s3, -1
                                        ; implicit-def: $vgpr6
	s_branch .LBB14_1478
.LBB14_1474:
	s_mov_b32 s3, -1
                                        ; implicit-def: $vgpr6
.LBB14_1475:
	s_delay_alu instid0(SALU_CYCLE_1)
	s_and_not1_b32 vcc_lo, exec_lo, s3
	s_cbranch_vccnz .LBB14_1477
; %bb.1476:
	s_wait_loadcnt 0x0
	global_load_b32 v1, v[8:9], off
	s_wait_loadcnt 0x0
	v_trunc_f32_e32 v1, v1
	s_delay_alu instid0(VALU_DEP_1) | instskip(NEXT) | instid1(VALU_DEP_1)
	v_mul_f32_e64 v3, 0x2f800000, |v1|
	v_floor_f32_e32 v3, v3
	s_delay_alu instid0(VALU_DEP_1) | instskip(SKIP_1) | instid1(VALU_DEP_2)
	v_fma_f32 v3, 0xcf800000, v3, |v1|
	v_ashrrev_i32_e32 v1, 31, v1
	v_cvt_u32_f32_e32 v3, v3
	s_delay_alu instid0(VALU_DEP_1) | instskip(NEXT) | instid1(VALU_DEP_1)
	v_xor_b32_e32 v3, v3, v1
	v_sub_nc_u32_e32 v6, v3, v1
.LBB14_1477:
	s_mov_b32 s3, 0
.LBB14_1478:
	s_delay_alu instid0(SALU_CYCLE_1)
	s_and_not1_b32 vcc_lo, exec_lo, s3
	s_cbranch_vccnz .LBB14_1480
; %bb.1479:
	s_wait_loadcnt 0x0
	global_load_b32 v1, v[8:9], off
	s_wait_loadcnt 0x0
	v_cvt_f32_f16_e32 v1, v1
	s_delay_alu instid0(VALU_DEP_1)
	v_cvt_i32_f32_e32 v6, v1
.LBB14_1480:
	s_mov_b32 s3, 0
.LBB14_1481:
	s_delay_alu instid0(SALU_CYCLE_1)
	s_and_not1_b32 vcc_lo, exec_lo, s3
	s_cbranch_vccnz .LBB14_1492
; %bb.1482:
	s_cmp_lt_i32 s0, 6
	s_cbranch_scc1 .LBB14_1485
; %bb.1483:
	s_cmp_gt_i32 s0, 6
	s_cbranch_scc0 .LBB14_1486
; %bb.1484:
	s_wait_loadcnt 0x0
	global_load_b64 v[6:7], v[8:9], off
	s_mov_b32 s3, 0
	s_wait_loadcnt 0x0
	v_trunc_f64_e32 v[6:7], v[6:7]
	s_delay_alu instid0(VALU_DEP_1) | instskip(NEXT) | instid1(VALU_DEP_1)
	v_ldexp_f64 v[12:13], v[6:7], 0xffffffe0
	v_floor_f64_e32 v[12:13], v[12:13]
	s_delay_alu instid0(VALU_DEP_1) | instskip(NEXT) | instid1(VALU_DEP_1)
	v_fmamk_f64 v[6:7], v[12:13], 0xc1f00000, v[6:7]
	v_cvt_u32_f64_e32 v6, v[6:7]
	s_branch .LBB14_1487
.LBB14_1485:
	s_mov_b32 s3, -1
                                        ; implicit-def: $vgpr6
	s_branch .LBB14_1490
.LBB14_1486:
	s_mov_b32 s3, -1
                                        ; implicit-def: $vgpr6
.LBB14_1487:
	s_delay_alu instid0(SALU_CYCLE_1)
	s_and_not1_b32 vcc_lo, exec_lo, s3
	s_cbranch_vccnz .LBB14_1489
; %bb.1488:
	s_wait_loadcnt 0x0
	global_load_b32 v1, v[8:9], off
	s_wait_loadcnt 0x0
	v_trunc_f32_e32 v1, v1
	s_delay_alu instid0(VALU_DEP_1) | instskip(NEXT) | instid1(VALU_DEP_1)
	v_mul_f32_e64 v3, 0x2f800000, |v1|
	v_floor_f32_e32 v3, v3
	s_delay_alu instid0(VALU_DEP_1) | instskip(SKIP_1) | instid1(VALU_DEP_2)
	v_fma_f32 v3, 0xcf800000, v3, |v1|
	v_ashrrev_i32_e32 v1, 31, v1
	v_cvt_u32_f32_e32 v3, v3
	s_delay_alu instid0(VALU_DEP_1) | instskip(NEXT) | instid1(VALU_DEP_1)
	v_xor_b32_e32 v3, v3, v1
	v_sub_nc_u32_e32 v6, v3, v1
.LBB14_1489:
	s_mov_b32 s3, 0
.LBB14_1490:
	s_delay_alu instid0(SALU_CYCLE_1)
	s_and_not1_b32 vcc_lo, exec_lo, s3
	s_cbranch_vccnz .LBB14_1492
; %bb.1491:
	s_wait_loadcnt 0x0
	global_load_u16 v1, v[8:9], off
	s_wait_loadcnt 0x0
	v_cvt_f32_f16_e32 v1, v1
	s_delay_alu instid0(VALU_DEP_1)
	v_cvt_i32_f32_e32 v6, v1
.LBB14_1492:
	s_mov_b32 s3, 0
.LBB14_1493:
	s_delay_alu instid0(SALU_CYCLE_1)
	s_and_not1_b32 vcc_lo, exec_lo, s3
	s_cbranch_vccnz .LBB14_1513
; %bb.1494:
	s_cmp_lt_i32 s0, 2
	s_cbranch_scc1 .LBB14_1498
; %bb.1495:
	s_cmp_lt_i32 s0, 3
	s_cbranch_scc1 .LBB14_1499
; %bb.1496:
	s_cmp_gt_i32 s0, 3
	s_cbranch_scc0 .LBB14_1500
; %bb.1497:
	s_wait_loadcnt 0x0
	global_load_b64 v[6:7], v[8:9], off
	s_mov_b32 s3, 0
	s_branch .LBB14_1501
.LBB14_1498:
	s_mov_b32 s3, -1
                                        ; implicit-def: $vgpr6
	s_branch .LBB14_1507
.LBB14_1499:
	s_mov_b32 s3, -1
                                        ; implicit-def: $vgpr6
	s_branch .LBB14_1504
.LBB14_1500:
	s_mov_b32 s3, -1
                                        ; implicit-def: $vgpr6
.LBB14_1501:
	s_delay_alu instid0(SALU_CYCLE_1)
	s_and_not1_b32 vcc_lo, exec_lo, s3
	s_cbranch_vccnz .LBB14_1503
; %bb.1502:
	s_wait_loadcnt 0x0
	global_load_b32 v6, v[8:9], off
.LBB14_1503:
	s_mov_b32 s3, 0
.LBB14_1504:
	s_delay_alu instid0(SALU_CYCLE_1)
	s_and_not1_b32 vcc_lo, exec_lo, s3
	s_cbranch_vccnz .LBB14_1506
; %bb.1505:
	s_wait_loadcnt 0x0
	global_load_u16 v6, v[8:9], off
.LBB14_1506:
	s_mov_b32 s3, 0
.LBB14_1507:
	s_delay_alu instid0(SALU_CYCLE_1)
	s_and_not1_b32 vcc_lo, exec_lo, s3
	s_cbranch_vccnz .LBB14_1513
; %bb.1508:
	s_cmp_gt_i32 s0, 0
	s_mov_b32 s0, 0
	s_cbranch_scc0 .LBB14_1510
; %bb.1509:
	s_wait_loadcnt 0x0
	global_load_u8 v6, v[8:9], off
	s_branch .LBB14_1511
.LBB14_1510:
	s_mov_b32 s0, -1
                                        ; implicit-def: $vgpr6
.LBB14_1511:
	s_delay_alu instid0(SALU_CYCLE_1)
	s_and_not1_b32 vcc_lo, exec_lo, s0
	s_cbranch_vccnz .LBB14_1513
; %bb.1512:
	s_wait_loadcnt 0x0
	global_load_u8 v6, v[8:9], off
.LBB14_1513:
	s_mov_b32 s7, -1
.LBB14_1514:
	s_delay_alu instid0(SALU_CYCLE_1)
	s_and_not1_b32 vcc_lo, exec_lo, s7
	s_cbranch_vccnz .LBB14_1947
; %bb.1515:
	s_wait_xcnt 0x0
	v_mul_lo_u32 v8, s8, v10
	s_wait_loadcnt 0x0
	v_and_b32_e32 v0, 0xff, v0
	s_cmp_eq_u32 s10, 0
	s_mov_b32 s10, 0
	s_cselect_b32 s3, -1, 0
	s_and_b32 s6, s11, 0xff
	s_and_b32 s14, s2, 0xff
	v_cmp_ne_u16_e32 vcc_lo, s6, v0
	s_mov_b32 s0, -1
	s_delay_alu instid0(VALU_DEP_3) | instskip(SKIP_2) | instid1(VALU_DEP_1)
	v_ashrrev_i32_e32 v9, 31, v8
	s_xor_b32 s2, s3, vcc_lo
	s_cmp_lt_i32 s14, 11
	v_add_nc_u64_e32 v[0:1], s[4:5], v[8:9]
	s_cbranch_scc1 .LBB14_1594
; %bb.1516:
	s_and_b32 s7, 0xffff, s14
	s_mov_b32 s11, -1
	s_mov_b32 s9, 0
	s_cmp_gt_i32 s7, 25
	s_mov_b32 s0, 0
	s_cbranch_scc0 .LBB14_1549
; %bb.1517:
	s_cmp_gt_i32 s7, 28
	s_cbranch_scc0 .LBB14_1532
; %bb.1518:
	s_cmp_gt_i32 s7, 43
	s_cbranch_scc0 .LBB14_1528
; %bb.1519:
	s_cmp_gt_i32 s7, 45
	s_cbranch_scc0 .LBB14_1522
; %bb.1520:
	s_mov_b32 s0, -1
	s_mov_b32 s11, 0
	s_cmp_eq_u32 s7, 46
	s_cbranch_scc0 .LBB14_1522
; %bb.1521:
	v_cndmask_b32_e64 v3, 0, 1.0, s2
	s_mov_b32 s0, 0
	s_mov_b32 s10, -1
	s_delay_alu instid0(VALU_DEP_1) | instskip(NEXT) | instid1(VALU_DEP_1)
	v_bfe_u32 v5, v3, 16, 1
	v_add3_u32 v3, v3, v5, 0x7fff
	s_delay_alu instid0(VALU_DEP_1)
	v_lshrrev_b32_e32 v3, 16, v3
	global_store_b32 v[0:1], v3, off
.LBB14_1522:
	s_and_b32 vcc_lo, exec_lo, s11
	s_cbranch_vccz .LBB14_1527
; %bb.1523:
	s_cmp_eq_u32 s7, 44
	s_mov_b32 s0, -1
	s_cbranch_scc0 .LBB14_1527
; %bb.1524:
	v_cndmask_b32_e64 v7, 0, 1.0, s2
	v_mov_b32_e32 v5, 0xff
	s_mov_b32 s10, exec_lo
	s_wait_xcnt 0x0
	s_delay_alu instid0(VALU_DEP_2) | instskip(NEXT) | instid1(VALU_DEP_1)
	v_lshrrev_b32_e32 v3, 23, v7
	v_cmpx_ne_u32_e32 0xff, v3
; %bb.1525:
	v_and_b32_e32 v5, 0x400000, v7
	v_and_or_b32 v7, 0x3fffff, v7, v3
	s_delay_alu instid0(VALU_DEP_2) | instskip(NEXT) | instid1(VALU_DEP_2)
	v_cmp_ne_u32_e32 vcc_lo, 0, v5
	v_cmp_ne_u32_e64 s0, 0, v7
	s_and_b32 s0, vcc_lo, s0
	s_delay_alu instid0(SALU_CYCLE_1) | instskip(NEXT) | instid1(VALU_DEP_1)
	v_cndmask_b32_e64 v5, 0, 1, s0
	v_add_nc_u32_e32 v5, v3, v5
; %bb.1526:
	s_or_b32 exec_lo, exec_lo, s10
	s_mov_b32 s0, 0
	s_mov_b32 s10, -1
	global_store_b8 v[0:1], v5, off
.LBB14_1527:
	s_mov_b32 s11, 0
.LBB14_1528:
	s_delay_alu instid0(SALU_CYCLE_1)
	s_and_b32 vcc_lo, exec_lo, s11
	s_cbranch_vccz .LBB14_1531
; %bb.1529:
	s_cmp_eq_u32 s7, 29
	s_mov_b32 s0, -1
	s_cbranch_scc0 .LBB14_1531
; %bb.1530:
	s_mov_b32 s0, 0
	v_cndmask_b32_e64 v10, 0, 1, s2
	v_mov_b32_e32 v11, s0
	s_mov_b32 s10, -1
	global_store_b64 v[0:1], v[10:11], off
.LBB14_1531:
	s_mov_b32 s11, 0
.LBB14_1532:
	s_delay_alu instid0(SALU_CYCLE_1)
	s_and_b32 vcc_lo, exec_lo, s11
	s_cbranch_vccz .LBB14_1548
; %bb.1533:
	s_cmp_lt_i32 s7, 27
	s_mov_b32 s10, -1
	s_cbranch_scc1 .LBB14_1539
; %bb.1534:
	s_cmp_gt_i32 s7, 27
	s_cbranch_scc0 .LBB14_1536
; %bb.1535:
	s_wait_xcnt 0x0
	v_cndmask_b32_e64 v3, 0, 1, s2
	s_mov_b32 s10, 0
	global_store_b32 v[0:1], v3, off
.LBB14_1536:
	s_and_not1_b32 vcc_lo, exec_lo, s10
	s_cbranch_vccnz .LBB14_1538
; %bb.1537:
	s_wait_xcnt 0x0
	v_cndmask_b32_e64 v3, 0, 1, s2
	global_store_b16 v[0:1], v3, off
.LBB14_1538:
	s_mov_b32 s10, 0
.LBB14_1539:
	s_delay_alu instid0(SALU_CYCLE_1)
	s_and_not1_b32 vcc_lo, exec_lo, s10
	s_cbranch_vccnz .LBB14_1547
; %bb.1540:
	s_wait_xcnt 0x0
	v_cndmask_b32_e64 v5, 0, 1.0, s2
	v_mov_b32_e32 v7, 0x80
	s_mov_b32 s10, exec_lo
	s_delay_alu instid0(VALU_DEP_2)
	v_cmpx_gt_u32_e32 0x43800000, v5
	s_cbranch_execz .LBB14_1546
; %bb.1541:
	s_mov_b32 s11, 0
	s_mov_b32 s15, exec_lo
                                        ; implicit-def: $vgpr3
	v_cmpx_lt_u32_e32 0x3bffffff, v5
	s_xor_b32 s15, exec_lo, s15
	s_cbranch_execz .LBB14_1994
; %bb.1542:
	v_bfe_u32 v3, v5, 20, 1
	s_mov_b32 s11, exec_lo
	s_delay_alu instid0(VALU_DEP_1) | instskip(NEXT) | instid1(VALU_DEP_1)
	v_add3_u32 v3, v5, v3, 0x487ffff
                                        ; implicit-def: $vgpr5
	v_lshrrev_b32_e32 v3, 20, v3
	s_and_not1_saveexec_b32 s15, s15
	s_cbranch_execnz .LBB14_1995
.LBB14_1543:
	s_or_b32 exec_lo, exec_lo, s15
	v_mov_b32_e32 v7, 0
	s_and_saveexec_b32 s15, s11
.LBB14_1544:
	v_mov_b32_e32 v7, v3
.LBB14_1545:
	s_or_b32 exec_lo, exec_lo, s15
.LBB14_1546:
	s_delay_alu instid0(SALU_CYCLE_1)
	s_or_b32 exec_lo, exec_lo, s10
	global_store_b8 v[0:1], v7, off
.LBB14_1547:
	s_mov_b32 s10, -1
.LBB14_1548:
	s_mov_b32 s11, 0
.LBB14_1549:
	s_delay_alu instid0(SALU_CYCLE_1)
	s_and_b32 vcc_lo, exec_lo, s11
	s_cbranch_vccz .LBB14_1589
; %bb.1550:
	s_cmp_gt_i32 s7, 22
	s_mov_b32 s9, -1
	s_cbranch_scc0 .LBB14_1582
; %bb.1551:
	s_cmp_lt_i32 s7, 24
	s_cbranch_scc1 .LBB14_1571
; %bb.1552:
	s_cmp_gt_i32 s7, 24
	s_cbranch_scc0 .LBB14_1560
; %bb.1553:
	s_wait_xcnt 0x0
	v_cndmask_b32_e64 v5, 0, 1.0, s2
	v_mov_b32_e32 v7, 0x80
	s_mov_b32 s9, exec_lo
	s_delay_alu instid0(VALU_DEP_2)
	v_cmpx_gt_u32_e32 0x47800000, v5
	s_cbranch_execz .LBB14_1559
; %bb.1554:
	s_mov_b32 s10, 0
	s_mov_b32 s11, exec_lo
                                        ; implicit-def: $vgpr3
	v_cmpx_lt_u32_e32 0x37ffffff, v5
	s_xor_b32 s11, exec_lo, s11
	s_cbranch_execz .LBB14_1997
; %bb.1555:
	v_bfe_u32 v3, v5, 21, 1
	s_mov_b32 s10, exec_lo
	s_delay_alu instid0(VALU_DEP_1) | instskip(NEXT) | instid1(VALU_DEP_1)
	v_add3_u32 v3, v5, v3, 0x88fffff
                                        ; implicit-def: $vgpr5
	v_lshrrev_b32_e32 v3, 21, v3
	s_and_not1_saveexec_b32 s11, s11
	s_cbranch_execnz .LBB14_1998
.LBB14_1556:
	s_or_b32 exec_lo, exec_lo, s11
	v_mov_b32_e32 v7, 0
	s_and_saveexec_b32 s11, s10
.LBB14_1557:
	v_mov_b32_e32 v7, v3
.LBB14_1558:
	s_or_b32 exec_lo, exec_lo, s11
.LBB14_1559:
	s_delay_alu instid0(SALU_CYCLE_1)
	s_or_b32 exec_lo, exec_lo, s9
	s_mov_b32 s9, 0
	global_store_b8 v[0:1], v7, off
.LBB14_1560:
	s_and_b32 vcc_lo, exec_lo, s9
	s_cbranch_vccz .LBB14_1570
; %bb.1561:
	s_wait_xcnt 0x0
	v_cndmask_b32_e64 v5, 0, 1.0, s2
	s_mov_b32 s9, exec_lo
                                        ; implicit-def: $vgpr3
	s_delay_alu instid0(VALU_DEP_1)
	v_cmpx_gt_u32_e32 0x43f00000, v5
	s_xor_b32 s9, exec_lo, s9
	s_cbranch_execz .LBB14_1567
; %bb.1562:
	s_mov_b32 s10, exec_lo
                                        ; implicit-def: $vgpr3
	v_cmpx_lt_u32_e32 0x3c7fffff, v5
	s_xor_b32 s10, exec_lo, s10
; %bb.1563:
	v_bfe_u32 v3, v5, 20, 1
	s_delay_alu instid0(VALU_DEP_1) | instskip(NEXT) | instid1(VALU_DEP_1)
	v_add3_u32 v3, v5, v3, 0x407ffff
	v_and_b32_e32 v5, 0xff00000, v3
	v_lshrrev_b32_e32 v3, 20, v3
	s_delay_alu instid0(VALU_DEP_2) | instskip(NEXT) | instid1(VALU_DEP_2)
	v_cmp_ne_u32_e32 vcc_lo, 0x7f00000, v5
                                        ; implicit-def: $vgpr5
	v_cndmask_b32_e32 v3, 0x7e, v3, vcc_lo
; %bb.1564:
	s_and_not1_saveexec_b32 s10, s10
; %bb.1565:
	v_add_f32_e32 v3, 0x46800000, v5
; %bb.1566:
	s_or_b32 exec_lo, exec_lo, s10
                                        ; implicit-def: $vgpr5
.LBB14_1567:
	s_and_not1_saveexec_b32 s9, s9
; %bb.1568:
	v_mov_b32_e32 v3, 0x7f
	v_cmp_lt_u32_e32 vcc_lo, 0x7f800000, v5
	s_delay_alu instid0(VALU_DEP_2)
	v_cndmask_b32_e32 v3, 0x7e, v3, vcc_lo
; %bb.1569:
	s_or_b32 exec_lo, exec_lo, s9
	global_store_b8 v[0:1], v3, off
.LBB14_1570:
	s_mov_b32 s9, 0
.LBB14_1571:
	s_delay_alu instid0(SALU_CYCLE_1)
	s_and_not1_b32 vcc_lo, exec_lo, s9
	s_cbranch_vccnz .LBB14_1581
; %bb.1572:
	s_wait_xcnt 0x0
	v_cndmask_b32_e64 v5, 0, 1.0, s2
	s_mov_b32 s9, exec_lo
                                        ; implicit-def: $vgpr3
	s_delay_alu instid0(VALU_DEP_1)
	v_cmpx_gt_u32_e32 0x47800000, v5
	s_xor_b32 s9, exec_lo, s9
	s_cbranch_execz .LBB14_1578
; %bb.1573:
	s_mov_b32 s10, exec_lo
                                        ; implicit-def: $vgpr3
	v_cmpx_lt_u32_e32 0x387fffff, v5
	s_xor_b32 s10, exec_lo, s10
; %bb.1574:
	v_bfe_u32 v3, v5, 21, 1
	s_delay_alu instid0(VALU_DEP_1) | instskip(NEXT) | instid1(VALU_DEP_1)
	v_add3_u32 v3, v5, v3, 0x80fffff
                                        ; implicit-def: $vgpr5
	v_lshrrev_b32_e32 v3, 21, v3
; %bb.1575:
	s_and_not1_saveexec_b32 s10, s10
; %bb.1576:
	v_add_f32_e32 v3, 0x43000000, v5
; %bb.1577:
	s_or_b32 exec_lo, exec_lo, s10
                                        ; implicit-def: $vgpr5
.LBB14_1578:
	s_and_not1_saveexec_b32 s9, s9
; %bb.1579:
	v_mov_b32_e32 v3, 0x7f
	v_cmp_lt_u32_e32 vcc_lo, 0x7f800000, v5
	s_delay_alu instid0(VALU_DEP_2)
	v_cndmask_b32_e32 v3, 0x7c, v3, vcc_lo
; %bb.1580:
	s_or_b32 exec_lo, exec_lo, s9
	global_store_b8 v[0:1], v3, off
.LBB14_1581:
	s_mov_b32 s9, 0
	s_mov_b32 s10, -1
.LBB14_1582:
	s_and_not1_b32 vcc_lo, exec_lo, s9
	s_mov_b32 s9, 0
	s_cbranch_vccnz .LBB14_1589
; %bb.1583:
	s_cmp_gt_i32 s7, 14
	s_mov_b32 s9, -1
	s_cbranch_scc0 .LBB14_1587
; %bb.1584:
	s_cmp_eq_u32 s7, 15
	s_mov_b32 s0, -1
	s_cbranch_scc0 .LBB14_1586
; %bb.1585:
	s_wait_xcnt 0x0
	v_cndmask_b32_e64 v3, 0, 1.0, s2
	s_mov_b32 s0, 0
	s_mov_b32 s10, -1
	s_delay_alu instid0(VALU_DEP_1) | instskip(NEXT) | instid1(VALU_DEP_1)
	v_bfe_u32 v5, v3, 16, 1
	v_add3_u32 v3, v3, v5, 0x7fff
	global_store_d16_hi_b16 v[0:1], v3, off
.LBB14_1586:
	s_mov_b32 s9, 0
.LBB14_1587:
	s_delay_alu instid0(SALU_CYCLE_1)
	s_and_b32 vcc_lo, exec_lo, s9
	s_mov_b32 s9, 0
	s_cbranch_vccz .LBB14_1589
; %bb.1588:
	s_cmp_lg_u32 s7, 11
	s_mov_b32 s9, -1
	s_cselect_b32 s0, -1, 0
.LBB14_1589:
	s_delay_alu instid0(SALU_CYCLE_1)
	s_and_b32 vcc_lo, exec_lo, s0
	s_cbranch_vccnz .LBB14_1996
; %bb.1590:
	s_and_not1_b32 vcc_lo, exec_lo, s9
	s_cbranch_vccnz .LBB14_1592
.LBB14_1591:
	s_wait_xcnt 0x0
	v_cndmask_b32_e64 v3, 0, 1, s2
	s_mov_b32 s10, -1
	global_store_b8 v[0:1], v3, off
.LBB14_1592:
.LBB14_1593:
	s_and_not1_b32 vcc_lo, exec_lo, s10
	s_cbranch_vccnz .LBB14_1947
	s_branch .LBB14_1633
.LBB14_1594:
	s_and_b32 vcc_lo, exec_lo, s0
	s_cbranch_vccz .LBB14_1593
; %bb.1595:
	s_and_b32 s0, 0xffff, s14
	s_mov_b32 s7, -1
	s_cmp_lt_i32 s0, 5
	s_cbranch_scc1 .LBB14_1616
; %bb.1596:
	s_cmp_lt_i32 s0, 8
	s_cbranch_scc1 .LBB14_1606
; %bb.1597:
	;; [unrolled: 3-line block ×3, first 2 shown]
	s_cmp_gt_i32 s0, 9
	s_cbranch_scc0 .LBB14_1600
; %bb.1599:
	s_wait_xcnt 0x0
	v_cndmask_b32_e64 v3, 0, 1, s2
	v_mov_b32_e32 v12, 0
	s_mov_b32 s7, 0
	s_delay_alu instid0(VALU_DEP_2) | instskip(NEXT) | instid1(VALU_DEP_2)
	v_cvt_f64_u32_e32 v[10:11], v3
	v_mov_b32_e32 v13, v12
	global_store_b128 v[0:1], v[10:13], off
.LBB14_1600:
	s_and_not1_b32 vcc_lo, exec_lo, s7
	s_cbranch_vccnz .LBB14_1602
; %bb.1601:
	s_wait_xcnt 0x0
	v_cndmask_b32_e64 v10, 0, 1.0, s2
	v_mov_b32_e32 v11, 0
	global_store_b64 v[0:1], v[10:11], off
.LBB14_1602:
	s_mov_b32 s7, 0
.LBB14_1603:
	s_delay_alu instid0(SALU_CYCLE_1)
	s_and_not1_b32 vcc_lo, exec_lo, s7
	s_cbranch_vccnz .LBB14_1605
; %bb.1604:
	s_wait_xcnt 0x0
	v_cndmask_b32_e64 v3, 0, 1.0, s2
	s_delay_alu instid0(VALU_DEP_1) | instskip(NEXT) | instid1(VALU_DEP_1)
	v_cvt_f16_f32_e32 v3, v3
	v_and_b32_e32 v3, 0xffff, v3
	global_store_b32 v[0:1], v3, off
.LBB14_1605:
	s_mov_b32 s7, 0
.LBB14_1606:
	s_delay_alu instid0(SALU_CYCLE_1)
	s_and_not1_b32 vcc_lo, exec_lo, s7
	s_cbranch_vccnz .LBB14_1615
; %bb.1607:
	s_cmp_lt_i32 s0, 6
	s_mov_b32 s7, -1
	s_cbranch_scc1 .LBB14_1613
; %bb.1608:
	s_cmp_gt_i32 s0, 6
	s_cbranch_scc0 .LBB14_1610
; %bb.1609:
	s_wait_xcnt 0x0
	v_cndmask_b32_e64 v3, 0, 1, s2
	s_mov_b32 s7, 0
	s_delay_alu instid0(VALU_DEP_1)
	v_cvt_f64_u32_e32 v[10:11], v3
	global_store_b64 v[0:1], v[10:11], off
.LBB14_1610:
	s_and_not1_b32 vcc_lo, exec_lo, s7
	s_cbranch_vccnz .LBB14_1612
; %bb.1611:
	s_wait_xcnt 0x0
	v_cndmask_b32_e64 v3, 0, 1.0, s2
	global_store_b32 v[0:1], v3, off
.LBB14_1612:
	s_mov_b32 s7, 0
.LBB14_1613:
	s_delay_alu instid0(SALU_CYCLE_1)
	s_and_not1_b32 vcc_lo, exec_lo, s7
	s_cbranch_vccnz .LBB14_1615
; %bb.1614:
	s_wait_xcnt 0x0
	v_cndmask_b32_e64 v3, 0, 1.0, s2
	s_delay_alu instid0(VALU_DEP_1)
	v_cvt_f16_f32_e32 v3, v3
	global_store_b16 v[0:1], v3, off
.LBB14_1615:
	s_mov_b32 s7, 0
.LBB14_1616:
	s_delay_alu instid0(SALU_CYCLE_1)
	s_and_not1_b32 vcc_lo, exec_lo, s7
	s_cbranch_vccnz .LBB14_1632
; %bb.1617:
	s_cmp_lt_i32 s0, 2
	s_mov_b32 s7, -1
	s_cbranch_scc1 .LBB14_1627
; %bb.1618:
	s_cmp_lt_i32 s0, 3
	s_cbranch_scc1 .LBB14_1624
; %bb.1619:
	s_cmp_gt_i32 s0, 3
	s_cbranch_scc0 .LBB14_1621
; %bb.1620:
	s_mov_b32 s7, 0
	s_wait_xcnt 0x0
	v_cndmask_b32_e64 v10, 0, 1, s2
	v_mov_b32_e32 v11, s7
	global_store_b64 v[0:1], v[10:11], off
.LBB14_1621:
	s_and_not1_b32 vcc_lo, exec_lo, s7
	s_cbranch_vccnz .LBB14_1623
; %bb.1622:
	s_wait_xcnt 0x0
	v_cndmask_b32_e64 v3, 0, 1, s2
	global_store_b32 v[0:1], v3, off
.LBB14_1623:
	s_mov_b32 s7, 0
.LBB14_1624:
	s_delay_alu instid0(SALU_CYCLE_1)
	s_and_not1_b32 vcc_lo, exec_lo, s7
	s_cbranch_vccnz .LBB14_1626
; %bb.1625:
	s_wait_xcnt 0x0
	v_cndmask_b32_e64 v3, 0, 1, s2
	global_store_b16 v[0:1], v3, off
.LBB14_1626:
	s_mov_b32 s7, 0
.LBB14_1627:
	s_delay_alu instid0(SALU_CYCLE_1)
	s_and_not1_b32 vcc_lo, exec_lo, s7
	s_cbranch_vccnz .LBB14_1632
; %bb.1628:
	s_wait_xcnt 0x0
	v_cndmask_b32_e64 v3, 0, 1, s2
	s_cmp_gt_i32 s0, 0
	s_mov_b32 s0, -1
	s_cbranch_scc0 .LBB14_1630
; %bb.1629:
	s_mov_b32 s0, 0
	global_store_b8 v[0:1], v3, off
.LBB14_1630:
	s_and_not1_b32 vcc_lo, exec_lo, s0
	s_cbranch_vccnz .LBB14_1632
; %bb.1631:
	global_store_b8 v[0:1], v3, off
.LBB14_1632:
.LBB14_1633:
	s_lshl_b32 s2, s8, 7
	v_and_b32_e32 v2, 0xff, v2
	s_wait_xcnt 0x0
	v_add_nc_u32_e32 v0, s2, v8
	s_delay_alu instid0(VALU_DEP_2) | instskip(NEXT) | instid1(VALU_DEP_2)
	v_cmp_ne_u16_e32 vcc_lo, s6, v2
	v_ashrrev_i32_e32 v1, 31, v0
	s_xor_b32 s7, s3, vcc_lo
	s_delay_alu instid0(VALU_DEP_1)
	v_add_nc_u64_e32 v[2:3], s[4:5], v[0:1]
	s_cmp_lt_i32 s14, 11
	s_cbranch_scc1 .LBB14_1711
; %bb.1634:
	s_and_b32 s8, 0xffff, s14
	s_mov_b32 s11, -1
	s_mov_b32 s9, 0
	s_cmp_gt_i32 s8, 25
	s_mov_b32 s10, 0
	s_mov_b32 s0, 0
	s_cbranch_scc0 .LBB14_1667
; %bb.1635:
	s_cmp_gt_i32 s8, 28
	s_cbranch_scc0 .LBB14_1650
; %bb.1636:
	s_cmp_gt_i32 s8, 43
	;; [unrolled: 3-line block ×3, first 2 shown]
	s_cbranch_scc0 .LBB14_1640
; %bb.1638:
	s_mov_b32 s0, -1
	s_mov_b32 s11, 0
	s_cmp_eq_u32 s8, 46
	s_cbranch_scc0 .LBB14_1640
; %bb.1639:
	v_cndmask_b32_e64 v1, 0, 1.0, s7
	s_mov_b32 s0, 0
	s_mov_b32 s10, -1
	s_delay_alu instid0(VALU_DEP_1) | instskip(NEXT) | instid1(VALU_DEP_1)
	v_bfe_u32 v5, v1, 16, 1
	v_add3_u32 v1, v1, v5, 0x7fff
	s_delay_alu instid0(VALU_DEP_1)
	v_lshrrev_b32_e32 v1, 16, v1
	global_store_b32 v[2:3], v1, off
.LBB14_1640:
	s_and_b32 vcc_lo, exec_lo, s11
	s_cbranch_vccz .LBB14_1645
; %bb.1641:
	s_cmp_eq_u32 s8, 44
	s_mov_b32 s0, -1
	s_cbranch_scc0 .LBB14_1645
; %bb.1642:
	v_cndmask_b32_e64 v7, 0, 1.0, s7
	v_mov_b32_e32 v5, 0xff
	s_mov_b32 s10, exec_lo
	s_wait_xcnt 0x0
	s_delay_alu instid0(VALU_DEP_2) | instskip(NEXT) | instid1(VALU_DEP_1)
	v_lshrrev_b32_e32 v1, 23, v7
	v_cmpx_ne_u32_e32 0xff, v1
; %bb.1643:
	v_and_b32_e32 v5, 0x400000, v7
	v_and_or_b32 v7, 0x3fffff, v7, v1
	s_delay_alu instid0(VALU_DEP_2) | instskip(NEXT) | instid1(VALU_DEP_2)
	v_cmp_ne_u32_e32 vcc_lo, 0, v5
	v_cmp_ne_u32_e64 s0, 0, v7
	s_and_b32 s0, vcc_lo, s0
	s_delay_alu instid0(SALU_CYCLE_1) | instskip(NEXT) | instid1(VALU_DEP_1)
	v_cndmask_b32_e64 v5, 0, 1, s0
	v_add_nc_u32_e32 v5, v1, v5
; %bb.1644:
	s_or_b32 exec_lo, exec_lo, s10
	s_mov_b32 s0, 0
	s_mov_b32 s10, -1
	global_store_b8 v[2:3], v5, off
.LBB14_1645:
	s_mov_b32 s11, 0
.LBB14_1646:
	s_delay_alu instid0(SALU_CYCLE_1)
	s_and_b32 vcc_lo, exec_lo, s11
	s_cbranch_vccz .LBB14_1649
; %bb.1647:
	s_cmp_eq_u32 s8, 29
	s_mov_b32 s0, -1
	s_cbranch_scc0 .LBB14_1649
; %bb.1648:
	s_mov_b32 s0, 0
	v_cndmask_b32_e64 v8, 0, 1, s7
	v_mov_b32_e32 v9, s0
	s_mov_b32 s10, -1
	global_store_b64 v[2:3], v[8:9], off
.LBB14_1649:
	s_mov_b32 s11, 0
.LBB14_1650:
	s_delay_alu instid0(SALU_CYCLE_1)
	s_and_b32 vcc_lo, exec_lo, s11
	s_cbranch_vccz .LBB14_1666
; %bb.1651:
	s_cmp_lt_i32 s8, 27
	s_mov_b32 s10, -1
	s_cbranch_scc1 .LBB14_1657
; %bb.1652:
	s_cmp_gt_i32 s8, 27
	s_cbranch_scc0 .LBB14_1654
; %bb.1653:
	s_wait_xcnt 0x0
	v_cndmask_b32_e64 v1, 0, 1, s7
	s_mov_b32 s10, 0
	global_store_b32 v[2:3], v1, off
.LBB14_1654:
	s_and_not1_b32 vcc_lo, exec_lo, s10
	s_cbranch_vccnz .LBB14_1656
; %bb.1655:
	s_wait_xcnt 0x0
	v_cndmask_b32_e64 v1, 0, 1, s7
	global_store_b16 v[2:3], v1, off
.LBB14_1656:
	s_mov_b32 s10, 0
.LBB14_1657:
	s_delay_alu instid0(SALU_CYCLE_1)
	s_and_not1_b32 vcc_lo, exec_lo, s10
	s_cbranch_vccnz .LBB14_1665
; %bb.1658:
	s_wait_xcnt 0x0
	v_cndmask_b32_e64 v5, 0, 1.0, s7
	v_mov_b32_e32 v7, 0x80
	s_mov_b32 s10, exec_lo
	s_delay_alu instid0(VALU_DEP_2)
	v_cmpx_gt_u32_e32 0x43800000, v5
	s_cbranch_execz .LBB14_1664
; %bb.1659:
	s_mov_b32 s11, 0
	s_mov_b32 s15, exec_lo
                                        ; implicit-def: $vgpr1
	v_cmpx_lt_u32_e32 0x3bffffff, v5
	s_xor_b32 s15, exec_lo, s15
	s_cbranch_execz .LBB14_1999
; %bb.1660:
	v_bfe_u32 v1, v5, 20, 1
	s_mov_b32 s11, exec_lo
	s_delay_alu instid0(VALU_DEP_1) | instskip(NEXT) | instid1(VALU_DEP_1)
	v_add3_u32 v1, v5, v1, 0x487ffff
                                        ; implicit-def: $vgpr5
	v_lshrrev_b32_e32 v1, 20, v1
	s_and_not1_saveexec_b32 s15, s15
	s_cbranch_execnz .LBB14_2000
.LBB14_1661:
	s_or_b32 exec_lo, exec_lo, s15
	v_mov_b32_e32 v7, 0
	s_and_saveexec_b32 s15, s11
.LBB14_1662:
	v_mov_b32_e32 v7, v1
.LBB14_1663:
	s_or_b32 exec_lo, exec_lo, s15
.LBB14_1664:
	s_delay_alu instid0(SALU_CYCLE_1)
	s_or_b32 exec_lo, exec_lo, s10
	global_store_b8 v[2:3], v7, off
.LBB14_1665:
	s_mov_b32 s10, -1
.LBB14_1666:
	s_mov_b32 s11, 0
.LBB14_1667:
	s_delay_alu instid0(SALU_CYCLE_1)
	s_and_b32 vcc_lo, exec_lo, s11
	s_cbranch_vccz .LBB14_1707
; %bb.1668:
	s_cmp_gt_i32 s8, 22
	s_mov_b32 s9, -1
	s_cbranch_scc0 .LBB14_1700
; %bb.1669:
	s_cmp_lt_i32 s8, 24
	s_cbranch_scc1 .LBB14_1689
; %bb.1670:
	s_cmp_gt_i32 s8, 24
	s_cbranch_scc0 .LBB14_1678
; %bb.1671:
	s_wait_xcnt 0x0
	v_cndmask_b32_e64 v5, 0, 1.0, s7
	v_mov_b32_e32 v7, 0x80
	s_mov_b32 s9, exec_lo
	s_delay_alu instid0(VALU_DEP_2)
	v_cmpx_gt_u32_e32 0x47800000, v5
	s_cbranch_execz .LBB14_1677
; %bb.1672:
	s_mov_b32 s10, 0
	s_mov_b32 s11, exec_lo
                                        ; implicit-def: $vgpr1
	v_cmpx_lt_u32_e32 0x37ffffff, v5
	s_xor_b32 s11, exec_lo, s11
	s_cbranch_execz .LBB14_2002
; %bb.1673:
	v_bfe_u32 v1, v5, 21, 1
	s_mov_b32 s10, exec_lo
	s_delay_alu instid0(VALU_DEP_1) | instskip(NEXT) | instid1(VALU_DEP_1)
	v_add3_u32 v1, v5, v1, 0x88fffff
                                        ; implicit-def: $vgpr5
	v_lshrrev_b32_e32 v1, 21, v1
	s_and_not1_saveexec_b32 s11, s11
	s_cbranch_execnz .LBB14_2003
.LBB14_1674:
	s_or_b32 exec_lo, exec_lo, s11
	v_mov_b32_e32 v7, 0
	s_and_saveexec_b32 s11, s10
.LBB14_1675:
	v_mov_b32_e32 v7, v1
.LBB14_1676:
	s_or_b32 exec_lo, exec_lo, s11
.LBB14_1677:
	s_delay_alu instid0(SALU_CYCLE_1)
	s_or_b32 exec_lo, exec_lo, s9
	s_mov_b32 s9, 0
	global_store_b8 v[2:3], v7, off
.LBB14_1678:
	s_and_b32 vcc_lo, exec_lo, s9
	s_cbranch_vccz .LBB14_1688
; %bb.1679:
	s_wait_xcnt 0x0
	v_cndmask_b32_e64 v5, 0, 1.0, s7
	s_mov_b32 s9, exec_lo
                                        ; implicit-def: $vgpr1
	s_delay_alu instid0(VALU_DEP_1)
	v_cmpx_gt_u32_e32 0x43f00000, v5
	s_xor_b32 s9, exec_lo, s9
	s_cbranch_execz .LBB14_1685
; %bb.1680:
	s_mov_b32 s10, exec_lo
                                        ; implicit-def: $vgpr1
	v_cmpx_lt_u32_e32 0x3c7fffff, v5
	s_xor_b32 s10, exec_lo, s10
; %bb.1681:
	v_bfe_u32 v1, v5, 20, 1
	s_delay_alu instid0(VALU_DEP_1) | instskip(NEXT) | instid1(VALU_DEP_1)
	v_add3_u32 v1, v5, v1, 0x407ffff
	v_and_b32_e32 v5, 0xff00000, v1
	v_lshrrev_b32_e32 v1, 20, v1
	s_delay_alu instid0(VALU_DEP_2) | instskip(NEXT) | instid1(VALU_DEP_2)
	v_cmp_ne_u32_e32 vcc_lo, 0x7f00000, v5
                                        ; implicit-def: $vgpr5
	v_cndmask_b32_e32 v1, 0x7e, v1, vcc_lo
; %bb.1682:
	s_and_not1_saveexec_b32 s10, s10
; %bb.1683:
	v_add_f32_e32 v1, 0x46800000, v5
; %bb.1684:
	s_or_b32 exec_lo, exec_lo, s10
                                        ; implicit-def: $vgpr5
.LBB14_1685:
	s_and_not1_saveexec_b32 s9, s9
; %bb.1686:
	v_mov_b32_e32 v1, 0x7f
	v_cmp_lt_u32_e32 vcc_lo, 0x7f800000, v5
	s_delay_alu instid0(VALU_DEP_2)
	v_cndmask_b32_e32 v1, 0x7e, v1, vcc_lo
; %bb.1687:
	s_or_b32 exec_lo, exec_lo, s9
	global_store_b8 v[2:3], v1, off
.LBB14_1688:
	s_mov_b32 s9, 0
.LBB14_1689:
	s_delay_alu instid0(SALU_CYCLE_1)
	s_and_not1_b32 vcc_lo, exec_lo, s9
	s_cbranch_vccnz .LBB14_1699
; %bb.1690:
	s_wait_xcnt 0x0
	v_cndmask_b32_e64 v5, 0, 1.0, s7
	s_mov_b32 s9, exec_lo
                                        ; implicit-def: $vgpr1
	s_delay_alu instid0(VALU_DEP_1)
	v_cmpx_gt_u32_e32 0x47800000, v5
	s_xor_b32 s9, exec_lo, s9
	s_cbranch_execz .LBB14_1696
; %bb.1691:
	s_mov_b32 s10, exec_lo
                                        ; implicit-def: $vgpr1
	v_cmpx_lt_u32_e32 0x387fffff, v5
	s_xor_b32 s10, exec_lo, s10
; %bb.1692:
	v_bfe_u32 v1, v5, 21, 1
	s_delay_alu instid0(VALU_DEP_1) | instskip(NEXT) | instid1(VALU_DEP_1)
	v_add3_u32 v1, v5, v1, 0x80fffff
                                        ; implicit-def: $vgpr5
	v_lshrrev_b32_e32 v1, 21, v1
; %bb.1693:
	s_and_not1_saveexec_b32 s10, s10
; %bb.1694:
	v_add_f32_e32 v1, 0x43000000, v5
; %bb.1695:
	s_or_b32 exec_lo, exec_lo, s10
                                        ; implicit-def: $vgpr5
.LBB14_1696:
	s_and_not1_saveexec_b32 s9, s9
; %bb.1697:
	v_mov_b32_e32 v1, 0x7f
	v_cmp_lt_u32_e32 vcc_lo, 0x7f800000, v5
	s_delay_alu instid0(VALU_DEP_2)
	v_cndmask_b32_e32 v1, 0x7c, v1, vcc_lo
; %bb.1698:
	s_or_b32 exec_lo, exec_lo, s9
	global_store_b8 v[2:3], v1, off
.LBB14_1699:
	s_mov_b32 s9, 0
	s_mov_b32 s10, -1
.LBB14_1700:
	s_and_not1_b32 vcc_lo, exec_lo, s9
	s_mov_b32 s9, 0
	s_cbranch_vccnz .LBB14_1707
; %bb.1701:
	s_cmp_gt_i32 s8, 14
	s_mov_b32 s9, -1
	s_cbranch_scc0 .LBB14_1705
; %bb.1702:
	s_cmp_eq_u32 s8, 15
	s_mov_b32 s0, -1
	s_cbranch_scc0 .LBB14_1704
; %bb.1703:
	s_wait_xcnt 0x0
	v_cndmask_b32_e64 v1, 0, 1.0, s7
	s_mov_b32 s0, 0
	s_mov_b32 s10, -1
	s_delay_alu instid0(VALU_DEP_1) | instskip(NEXT) | instid1(VALU_DEP_1)
	v_bfe_u32 v5, v1, 16, 1
	v_add3_u32 v1, v1, v5, 0x7fff
	global_store_d16_hi_b16 v[2:3], v1, off
.LBB14_1704:
	s_mov_b32 s9, 0
.LBB14_1705:
	s_delay_alu instid0(SALU_CYCLE_1)
	s_and_b32 vcc_lo, exec_lo, s9
	s_mov_b32 s9, 0
	s_cbranch_vccz .LBB14_1707
; %bb.1706:
	s_cmp_lg_u32 s8, 11
	s_mov_b32 s9, -1
	s_cselect_b32 s0, -1, 0
.LBB14_1707:
	s_delay_alu instid0(SALU_CYCLE_1)
	s_and_b32 vcc_lo, exec_lo, s0
	s_cbranch_vccnz .LBB14_2001
; %bb.1708:
	s_and_not1_b32 vcc_lo, exec_lo, s9
	s_cbranch_vccnz .LBB14_1710
.LBB14_1709:
	s_wait_xcnt 0x0
	v_cndmask_b32_e64 v1, 0, 1, s7
	s_mov_b32 s10, -1
	global_store_b8 v[2:3], v1, off
.LBB14_1710:
	s_mov_b32 s0, 0
	s_branch .LBB14_1712
.LBB14_1711:
	s_mov_b32 s0, -1
	s_mov_b32 s10, 0
.LBB14_1712:
	s_and_b32 vcc_lo, exec_lo, s0
	s_cbranch_vccz .LBB14_1751
; %bb.1713:
	s_and_b32 s0, 0xffff, s14
	s_mov_b32 s8, -1
	s_cmp_lt_i32 s0, 5
	s_cbranch_scc1 .LBB14_1734
; %bb.1714:
	s_cmp_lt_i32 s0, 8
	s_cbranch_scc1 .LBB14_1724
; %bb.1715:
	;; [unrolled: 3-line block ×3, first 2 shown]
	s_cmp_gt_i32 s0, 9
	s_cbranch_scc0 .LBB14_1718
; %bb.1717:
	s_wait_xcnt 0x0
	v_cndmask_b32_e64 v1, 0, 1, s7
	v_mov_b32_e32 v10, 0
	s_mov_b32 s8, 0
	s_delay_alu instid0(VALU_DEP_2) | instskip(NEXT) | instid1(VALU_DEP_2)
	v_cvt_f64_u32_e32 v[8:9], v1
	v_mov_b32_e32 v11, v10
	global_store_b128 v[2:3], v[8:11], off
.LBB14_1718:
	s_and_not1_b32 vcc_lo, exec_lo, s8
	s_cbranch_vccnz .LBB14_1720
; %bb.1719:
	s_wait_xcnt 0x0
	v_cndmask_b32_e64 v8, 0, 1.0, s7
	v_mov_b32_e32 v9, 0
	global_store_b64 v[2:3], v[8:9], off
.LBB14_1720:
	s_mov_b32 s8, 0
.LBB14_1721:
	s_delay_alu instid0(SALU_CYCLE_1)
	s_and_not1_b32 vcc_lo, exec_lo, s8
	s_cbranch_vccnz .LBB14_1723
; %bb.1722:
	s_wait_xcnt 0x0
	v_cndmask_b32_e64 v1, 0, 1.0, s7
	s_delay_alu instid0(VALU_DEP_1) | instskip(NEXT) | instid1(VALU_DEP_1)
	v_cvt_f16_f32_e32 v1, v1
	v_and_b32_e32 v1, 0xffff, v1
	global_store_b32 v[2:3], v1, off
.LBB14_1723:
	s_mov_b32 s8, 0
.LBB14_1724:
	s_delay_alu instid0(SALU_CYCLE_1)
	s_and_not1_b32 vcc_lo, exec_lo, s8
	s_cbranch_vccnz .LBB14_1733
; %bb.1725:
	s_cmp_lt_i32 s0, 6
	s_mov_b32 s8, -1
	s_cbranch_scc1 .LBB14_1731
; %bb.1726:
	s_cmp_gt_i32 s0, 6
	s_cbranch_scc0 .LBB14_1728
; %bb.1727:
	s_wait_xcnt 0x0
	v_cndmask_b32_e64 v1, 0, 1, s7
	s_mov_b32 s8, 0
	s_delay_alu instid0(VALU_DEP_1)
	v_cvt_f64_u32_e32 v[8:9], v1
	global_store_b64 v[2:3], v[8:9], off
.LBB14_1728:
	s_and_not1_b32 vcc_lo, exec_lo, s8
	s_cbranch_vccnz .LBB14_1730
; %bb.1729:
	s_wait_xcnt 0x0
	v_cndmask_b32_e64 v1, 0, 1.0, s7
	global_store_b32 v[2:3], v1, off
.LBB14_1730:
	s_mov_b32 s8, 0
.LBB14_1731:
	s_delay_alu instid0(SALU_CYCLE_1)
	s_and_not1_b32 vcc_lo, exec_lo, s8
	s_cbranch_vccnz .LBB14_1733
; %bb.1732:
	s_wait_xcnt 0x0
	v_cndmask_b32_e64 v1, 0, 1.0, s7
	s_delay_alu instid0(VALU_DEP_1)
	v_cvt_f16_f32_e32 v1, v1
	global_store_b16 v[2:3], v1, off
.LBB14_1733:
	s_mov_b32 s8, 0
.LBB14_1734:
	s_delay_alu instid0(SALU_CYCLE_1)
	s_and_not1_b32 vcc_lo, exec_lo, s8
	s_cbranch_vccnz .LBB14_1750
; %bb.1735:
	s_cmp_lt_i32 s0, 2
	s_mov_b32 s8, -1
	s_cbranch_scc1 .LBB14_1745
; %bb.1736:
	s_cmp_lt_i32 s0, 3
	s_cbranch_scc1 .LBB14_1742
; %bb.1737:
	s_cmp_gt_i32 s0, 3
	s_cbranch_scc0 .LBB14_1739
; %bb.1738:
	s_mov_b32 s8, 0
	s_wait_xcnt 0x0
	v_cndmask_b32_e64 v8, 0, 1, s7
	v_mov_b32_e32 v9, s8
	global_store_b64 v[2:3], v[8:9], off
.LBB14_1739:
	s_and_not1_b32 vcc_lo, exec_lo, s8
	s_cbranch_vccnz .LBB14_1741
; %bb.1740:
	s_wait_xcnt 0x0
	v_cndmask_b32_e64 v1, 0, 1, s7
	global_store_b32 v[2:3], v1, off
.LBB14_1741:
	s_mov_b32 s8, 0
.LBB14_1742:
	s_delay_alu instid0(SALU_CYCLE_1)
	s_and_not1_b32 vcc_lo, exec_lo, s8
	s_cbranch_vccnz .LBB14_1744
; %bb.1743:
	s_wait_xcnt 0x0
	v_cndmask_b32_e64 v1, 0, 1, s7
	global_store_b16 v[2:3], v1, off
.LBB14_1744:
	s_mov_b32 s8, 0
.LBB14_1745:
	s_delay_alu instid0(SALU_CYCLE_1)
	s_and_not1_b32 vcc_lo, exec_lo, s8
	s_cbranch_vccnz .LBB14_1750
; %bb.1746:
	s_wait_xcnt 0x0
	v_cndmask_b32_e64 v1, 0, 1, s7
	s_cmp_gt_i32 s0, 0
	s_mov_b32 s0, -1
	s_cbranch_scc0 .LBB14_1748
; %bb.1747:
	s_mov_b32 s0, 0
	global_store_b8 v[2:3], v1, off
.LBB14_1748:
	s_and_not1_b32 vcc_lo, exec_lo, s0
	s_cbranch_vccnz .LBB14_1750
; %bb.1749:
	global_store_b8 v[2:3], v1, off
.LBB14_1750:
	s_mov_b32 s10, -1
.LBB14_1751:
	s_delay_alu instid0(SALU_CYCLE_1)
	s_and_not1_b32 vcc_lo, exec_lo, s10
	s_cbranch_vccnz .LBB14_1947
; %bb.1752:
	v_add_nc_u32_e32 v0, s2, v0
	s_wait_xcnt 0x0
	v_and_b32_e32 v2, 0xff, v4
	s_delay_alu instid0(VALU_DEP_2) | instskip(NEXT) | instid1(VALU_DEP_2)
	v_ashrrev_i32_e32 v1, 31, v0
	v_cmp_ne_u16_e32 vcc_lo, s6, v2
	s_delay_alu instid0(VALU_DEP_2)
	v_add_nc_u64_e32 v[2:3], s[4:5], v[0:1]
	s_xor_b32 s7, s3, vcc_lo
	s_cmp_lt_i32 s14, 11
	s_cbranch_scc1 .LBB14_1830
; %bb.1753:
	s_and_b32 s8, 0xffff, s14
	s_mov_b32 s11, -1
	s_mov_b32 s9, 0
	s_cmp_gt_i32 s8, 25
	s_mov_b32 s10, 0
	s_mov_b32 s0, 0
	s_cbranch_scc0 .LBB14_1786
; %bb.1754:
	s_cmp_gt_i32 s8, 28
	s_cbranch_scc0 .LBB14_1769
; %bb.1755:
	s_cmp_gt_i32 s8, 43
	s_cbranch_scc0 .LBB14_1765
; %bb.1756:
	s_cmp_gt_i32 s8, 45
	s_cbranch_scc0 .LBB14_1759
; %bb.1757:
	s_mov_b32 s0, -1
	s_mov_b32 s11, 0
	s_cmp_eq_u32 s8, 46
	s_cbranch_scc0 .LBB14_1759
; %bb.1758:
	v_cndmask_b32_e64 v1, 0, 1.0, s7
	s_mov_b32 s0, 0
	s_mov_b32 s10, -1
	s_delay_alu instid0(VALU_DEP_1) | instskip(NEXT) | instid1(VALU_DEP_1)
	v_bfe_u32 v4, v1, 16, 1
	v_add3_u32 v1, v1, v4, 0x7fff
	s_delay_alu instid0(VALU_DEP_1)
	v_lshrrev_b32_e32 v1, 16, v1
	global_store_b32 v[2:3], v1, off
.LBB14_1759:
	s_and_b32 vcc_lo, exec_lo, s11
	s_cbranch_vccz .LBB14_1764
; %bb.1760:
	s_cmp_eq_u32 s8, 44
	s_mov_b32 s0, -1
	s_cbranch_scc0 .LBB14_1764
; %bb.1761:
	v_cndmask_b32_e64 v5, 0, 1.0, s7
	s_mov_b32 s10, exec_lo
	s_wait_xcnt 0x0
	s_delay_alu instid0(VALU_DEP_1) | instskip(NEXT) | instid1(VALU_DEP_1)
	v_dual_mov_b32 v4, 0xff :: v_dual_lshrrev_b32 v1, 23, v5
	v_cmpx_ne_u32_e32 0xff, v1
; %bb.1762:
	v_and_b32_e32 v4, 0x400000, v5
	v_and_or_b32 v5, 0x3fffff, v5, v1
	s_delay_alu instid0(VALU_DEP_2) | instskip(NEXT) | instid1(VALU_DEP_2)
	v_cmp_ne_u32_e32 vcc_lo, 0, v4
	v_cmp_ne_u32_e64 s0, 0, v5
	s_and_b32 s0, vcc_lo, s0
	s_delay_alu instid0(SALU_CYCLE_1) | instskip(NEXT) | instid1(VALU_DEP_1)
	v_cndmask_b32_e64 v4, 0, 1, s0
	v_add_nc_u32_e32 v4, v1, v4
; %bb.1763:
	s_or_b32 exec_lo, exec_lo, s10
	s_mov_b32 s0, 0
	s_mov_b32 s10, -1
	global_store_b8 v[2:3], v4, off
.LBB14_1764:
	s_mov_b32 s11, 0
.LBB14_1765:
	s_delay_alu instid0(SALU_CYCLE_1)
	s_and_b32 vcc_lo, exec_lo, s11
	s_cbranch_vccz .LBB14_1768
; %bb.1766:
	s_cmp_eq_u32 s8, 29
	s_mov_b32 s0, -1
	s_cbranch_scc0 .LBB14_1768
; %bb.1767:
	s_mov_b32 s0, 0
	s_wait_xcnt 0x0
	v_cndmask_b32_e64 v4, 0, 1, s7
	v_mov_b32_e32 v5, s0
	s_mov_b32 s10, -1
	global_store_b64 v[2:3], v[4:5], off
.LBB14_1768:
	s_mov_b32 s11, 0
.LBB14_1769:
	s_delay_alu instid0(SALU_CYCLE_1)
	s_and_b32 vcc_lo, exec_lo, s11
	s_cbranch_vccz .LBB14_1785
; %bb.1770:
	s_cmp_lt_i32 s8, 27
	s_mov_b32 s10, -1
	s_cbranch_scc1 .LBB14_1776
; %bb.1771:
	s_cmp_gt_i32 s8, 27
	s_cbranch_scc0 .LBB14_1773
; %bb.1772:
	s_wait_xcnt 0x0
	v_cndmask_b32_e64 v1, 0, 1, s7
	s_mov_b32 s10, 0
	global_store_b32 v[2:3], v1, off
.LBB14_1773:
	s_and_not1_b32 vcc_lo, exec_lo, s10
	s_cbranch_vccnz .LBB14_1775
; %bb.1774:
	s_wait_xcnt 0x0
	v_cndmask_b32_e64 v1, 0, 1, s7
	global_store_b16 v[2:3], v1, off
.LBB14_1775:
	s_mov_b32 s10, 0
.LBB14_1776:
	s_delay_alu instid0(SALU_CYCLE_1)
	s_and_not1_b32 vcc_lo, exec_lo, s10
	s_cbranch_vccnz .LBB14_1784
; %bb.1777:
	s_wait_xcnt 0x0
	v_cndmask_b32_e64 v4, 0, 1.0, s7
	v_mov_b32_e32 v5, 0x80
	s_mov_b32 s10, exec_lo
	s_delay_alu instid0(VALU_DEP_2)
	v_cmpx_gt_u32_e32 0x43800000, v4
	s_cbranch_execz .LBB14_1783
; %bb.1778:
	s_mov_b32 s11, 0
	s_mov_b32 s15, exec_lo
                                        ; implicit-def: $vgpr1
	v_cmpx_lt_u32_e32 0x3bffffff, v4
	s_xor_b32 s15, exec_lo, s15
	s_cbranch_execz .LBB14_2004
; %bb.1779:
	v_bfe_u32 v1, v4, 20, 1
	s_mov_b32 s11, exec_lo
	s_delay_alu instid0(VALU_DEP_1) | instskip(NEXT) | instid1(VALU_DEP_1)
	v_add3_u32 v1, v4, v1, 0x487ffff
                                        ; implicit-def: $vgpr4
	v_lshrrev_b32_e32 v1, 20, v1
	s_and_not1_saveexec_b32 s15, s15
	s_cbranch_execnz .LBB14_2005
.LBB14_1780:
	s_or_b32 exec_lo, exec_lo, s15
	v_mov_b32_e32 v5, 0
	s_and_saveexec_b32 s15, s11
.LBB14_1781:
	v_mov_b32_e32 v5, v1
.LBB14_1782:
	s_or_b32 exec_lo, exec_lo, s15
.LBB14_1783:
	s_delay_alu instid0(SALU_CYCLE_1)
	s_or_b32 exec_lo, exec_lo, s10
	global_store_b8 v[2:3], v5, off
.LBB14_1784:
	s_mov_b32 s10, -1
.LBB14_1785:
	s_mov_b32 s11, 0
.LBB14_1786:
	s_delay_alu instid0(SALU_CYCLE_1)
	s_and_b32 vcc_lo, exec_lo, s11
	s_cbranch_vccz .LBB14_1826
; %bb.1787:
	s_cmp_gt_i32 s8, 22
	s_mov_b32 s9, -1
	s_cbranch_scc0 .LBB14_1819
; %bb.1788:
	s_cmp_lt_i32 s8, 24
	s_cbranch_scc1 .LBB14_1808
; %bb.1789:
	s_cmp_gt_i32 s8, 24
	s_cbranch_scc0 .LBB14_1797
; %bb.1790:
	s_wait_xcnt 0x0
	v_cndmask_b32_e64 v4, 0, 1.0, s7
	v_mov_b32_e32 v5, 0x80
	s_mov_b32 s9, exec_lo
	s_delay_alu instid0(VALU_DEP_2)
	v_cmpx_gt_u32_e32 0x47800000, v4
	s_cbranch_execz .LBB14_1796
; %bb.1791:
	s_mov_b32 s10, 0
	s_mov_b32 s11, exec_lo
                                        ; implicit-def: $vgpr1
	v_cmpx_lt_u32_e32 0x37ffffff, v4
	s_xor_b32 s11, exec_lo, s11
	s_cbranch_execz .LBB14_2007
; %bb.1792:
	v_bfe_u32 v1, v4, 21, 1
	s_mov_b32 s10, exec_lo
	s_delay_alu instid0(VALU_DEP_1) | instskip(NEXT) | instid1(VALU_DEP_1)
	v_add3_u32 v1, v4, v1, 0x88fffff
                                        ; implicit-def: $vgpr4
	v_lshrrev_b32_e32 v1, 21, v1
	s_and_not1_saveexec_b32 s11, s11
	s_cbranch_execnz .LBB14_2008
.LBB14_1793:
	s_or_b32 exec_lo, exec_lo, s11
	v_mov_b32_e32 v5, 0
	s_and_saveexec_b32 s11, s10
.LBB14_1794:
	v_mov_b32_e32 v5, v1
.LBB14_1795:
	s_or_b32 exec_lo, exec_lo, s11
.LBB14_1796:
	s_delay_alu instid0(SALU_CYCLE_1)
	s_or_b32 exec_lo, exec_lo, s9
	s_mov_b32 s9, 0
	global_store_b8 v[2:3], v5, off
.LBB14_1797:
	s_and_b32 vcc_lo, exec_lo, s9
	s_cbranch_vccz .LBB14_1807
; %bb.1798:
	s_wait_xcnt 0x0
	v_cndmask_b32_e64 v4, 0, 1.0, s7
	s_mov_b32 s9, exec_lo
                                        ; implicit-def: $vgpr1
	s_delay_alu instid0(VALU_DEP_1)
	v_cmpx_gt_u32_e32 0x43f00000, v4
	s_xor_b32 s9, exec_lo, s9
	s_cbranch_execz .LBB14_1804
; %bb.1799:
	s_mov_b32 s10, exec_lo
                                        ; implicit-def: $vgpr1
	v_cmpx_lt_u32_e32 0x3c7fffff, v4
	s_xor_b32 s10, exec_lo, s10
; %bb.1800:
	v_bfe_u32 v1, v4, 20, 1
	s_delay_alu instid0(VALU_DEP_1) | instskip(NEXT) | instid1(VALU_DEP_1)
	v_add3_u32 v1, v4, v1, 0x407ffff
	v_and_b32_e32 v4, 0xff00000, v1
	v_lshrrev_b32_e32 v1, 20, v1
	s_delay_alu instid0(VALU_DEP_2) | instskip(NEXT) | instid1(VALU_DEP_2)
	v_cmp_ne_u32_e32 vcc_lo, 0x7f00000, v4
                                        ; implicit-def: $vgpr4
	v_cndmask_b32_e32 v1, 0x7e, v1, vcc_lo
; %bb.1801:
	s_and_not1_saveexec_b32 s10, s10
; %bb.1802:
	v_add_f32_e32 v1, 0x46800000, v4
; %bb.1803:
	s_or_b32 exec_lo, exec_lo, s10
                                        ; implicit-def: $vgpr4
.LBB14_1804:
	s_and_not1_saveexec_b32 s9, s9
; %bb.1805:
	v_mov_b32_e32 v1, 0x7f
	v_cmp_lt_u32_e32 vcc_lo, 0x7f800000, v4
	s_delay_alu instid0(VALU_DEP_2)
	v_cndmask_b32_e32 v1, 0x7e, v1, vcc_lo
; %bb.1806:
	s_or_b32 exec_lo, exec_lo, s9
	global_store_b8 v[2:3], v1, off
.LBB14_1807:
	s_mov_b32 s9, 0
.LBB14_1808:
	s_delay_alu instid0(SALU_CYCLE_1)
	s_and_not1_b32 vcc_lo, exec_lo, s9
	s_cbranch_vccnz .LBB14_1818
; %bb.1809:
	s_wait_xcnt 0x0
	v_cndmask_b32_e64 v4, 0, 1.0, s7
	s_mov_b32 s9, exec_lo
                                        ; implicit-def: $vgpr1
	s_delay_alu instid0(VALU_DEP_1)
	v_cmpx_gt_u32_e32 0x47800000, v4
	s_xor_b32 s9, exec_lo, s9
	s_cbranch_execz .LBB14_1815
; %bb.1810:
	s_mov_b32 s10, exec_lo
                                        ; implicit-def: $vgpr1
	v_cmpx_lt_u32_e32 0x387fffff, v4
	s_xor_b32 s10, exec_lo, s10
; %bb.1811:
	v_bfe_u32 v1, v4, 21, 1
	s_delay_alu instid0(VALU_DEP_1) | instskip(NEXT) | instid1(VALU_DEP_1)
	v_add3_u32 v1, v4, v1, 0x80fffff
                                        ; implicit-def: $vgpr4
	v_lshrrev_b32_e32 v1, 21, v1
; %bb.1812:
	s_and_not1_saveexec_b32 s10, s10
; %bb.1813:
	v_add_f32_e32 v1, 0x43000000, v4
; %bb.1814:
	s_or_b32 exec_lo, exec_lo, s10
                                        ; implicit-def: $vgpr4
.LBB14_1815:
	s_and_not1_saveexec_b32 s9, s9
; %bb.1816:
	v_mov_b32_e32 v1, 0x7f
	v_cmp_lt_u32_e32 vcc_lo, 0x7f800000, v4
	s_delay_alu instid0(VALU_DEP_2)
	v_cndmask_b32_e32 v1, 0x7c, v1, vcc_lo
; %bb.1817:
	s_or_b32 exec_lo, exec_lo, s9
	global_store_b8 v[2:3], v1, off
.LBB14_1818:
	s_mov_b32 s9, 0
	s_mov_b32 s10, -1
.LBB14_1819:
	s_and_not1_b32 vcc_lo, exec_lo, s9
	s_mov_b32 s9, 0
	s_cbranch_vccnz .LBB14_1826
; %bb.1820:
	s_cmp_gt_i32 s8, 14
	s_mov_b32 s9, -1
	s_cbranch_scc0 .LBB14_1824
; %bb.1821:
	s_cmp_eq_u32 s8, 15
	s_mov_b32 s0, -1
	s_cbranch_scc0 .LBB14_1823
; %bb.1822:
	s_wait_xcnt 0x0
	v_cndmask_b32_e64 v1, 0, 1.0, s7
	s_mov_b32 s0, 0
	s_mov_b32 s10, -1
	s_delay_alu instid0(VALU_DEP_1) | instskip(NEXT) | instid1(VALU_DEP_1)
	v_bfe_u32 v4, v1, 16, 1
	v_add3_u32 v1, v1, v4, 0x7fff
	global_store_d16_hi_b16 v[2:3], v1, off
.LBB14_1823:
	s_mov_b32 s9, 0
.LBB14_1824:
	s_delay_alu instid0(SALU_CYCLE_1)
	s_and_b32 vcc_lo, exec_lo, s9
	s_mov_b32 s9, 0
	s_cbranch_vccz .LBB14_1826
; %bb.1825:
	s_cmp_lg_u32 s8, 11
	s_mov_b32 s9, -1
	s_cselect_b32 s0, -1, 0
.LBB14_1826:
	s_delay_alu instid0(SALU_CYCLE_1)
	s_and_b32 vcc_lo, exec_lo, s0
	s_cbranch_vccnz .LBB14_2006
; %bb.1827:
	s_and_not1_b32 vcc_lo, exec_lo, s9
	s_cbranch_vccnz .LBB14_1829
.LBB14_1828:
	s_wait_xcnt 0x0
	v_cndmask_b32_e64 v1, 0, 1, s7
	s_mov_b32 s10, -1
	global_store_b8 v[2:3], v1, off
.LBB14_1829:
	s_mov_b32 s0, 0
	s_branch .LBB14_1831
.LBB14_1830:
	s_mov_b32 s0, -1
	s_mov_b32 s10, 0
.LBB14_1831:
	s_and_b32 vcc_lo, exec_lo, s0
	s_cbranch_vccz .LBB14_1870
; %bb.1832:
	s_and_b32 s0, 0xffff, s14
	s_mov_b32 s8, -1
	s_cmp_lt_i32 s0, 5
	s_cbranch_scc1 .LBB14_1853
; %bb.1833:
	s_cmp_lt_i32 s0, 8
	s_cbranch_scc1 .LBB14_1843
; %bb.1834:
	;; [unrolled: 3-line block ×3, first 2 shown]
	s_cmp_gt_i32 s0, 9
	s_cbranch_scc0 .LBB14_1837
; %bb.1836:
	s_wait_xcnt 0x0
	v_cndmask_b32_e64 v1, 0, 1, s7
	v_mov_b32_e32 v10, 0
	s_mov_b32 s8, 0
	s_delay_alu instid0(VALU_DEP_2) | instskip(NEXT) | instid1(VALU_DEP_2)
	v_cvt_f64_u32_e32 v[8:9], v1
	v_mov_b32_e32 v11, v10
	global_store_b128 v[2:3], v[8:11], off
.LBB14_1837:
	s_and_not1_b32 vcc_lo, exec_lo, s8
	s_cbranch_vccnz .LBB14_1839
; %bb.1838:
	s_wait_xcnt 0x0
	v_cndmask_b32_e64 v4, 0, 1.0, s7
	v_mov_b32_e32 v5, 0
	global_store_b64 v[2:3], v[4:5], off
.LBB14_1839:
	s_mov_b32 s8, 0
.LBB14_1840:
	s_delay_alu instid0(SALU_CYCLE_1)
	s_and_not1_b32 vcc_lo, exec_lo, s8
	s_cbranch_vccnz .LBB14_1842
; %bb.1841:
	s_wait_xcnt 0x0
	v_cndmask_b32_e64 v1, 0, 1.0, s7
	s_delay_alu instid0(VALU_DEP_1) | instskip(NEXT) | instid1(VALU_DEP_1)
	v_cvt_f16_f32_e32 v1, v1
	v_and_b32_e32 v1, 0xffff, v1
	global_store_b32 v[2:3], v1, off
.LBB14_1842:
	s_mov_b32 s8, 0
.LBB14_1843:
	s_delay_alu instid0(SALU_CYCLE_1)
	s_and_not1_b32 vcc_lo, exec_lo, s8
	s_cbranch_vccnz .LBB14_1852
; %bb.1844:
	s_cmp_lt_i32 s0, 6
	s_mov_b32 s8, -1
	s_cbranch_scc1 .LBB14_1850
; %bb.1845:
	s_cmp_gt_i32 s0, 6
	s_cbranch_scc0 .LBB14_1847
; %bb.1846:
	s_wait_xcnt 0x0
	v_cndmask_b32_e64 v1, 0, 1, s7
	s_mov_b32 s8, 0
	s_delay_alu instid0(VALU_DEP_1)
	v_cvt_f64_u32_e32 v[4:5], v1
	global_store_b64 v[2:3], v[4:5], off
.LBB14_1847:
	s_and_not1_b32 vcc_lo, exec_lo, s8
	s_cbranch_vccnz .LBB14_1849
; %bb.1848:
	s_wait_xcnt 0x0
	v_cndmask_b32_e64 v1, 0, 1.0, s7
	global_store_b32 v[2:3], v1, off
.LBB14_1849:
	s_mov_b32 s8, 0
.LBB14_1850:
	s_delay_alu instid0(SALU_CYCLE_1)
	s_and_not1_b32 vcc_lo, exec_lo, s8
	s_cbranch_vccnz .LBB14_1852
; %bb.1851:
	s_wait_xcnt 0x0
	v_cndmask_b32_e64 v1, 0, 1.0, s7
	s_delay_alu instid0(VALU_DEP_1)
	v_cvt_f16_f32_e32 v1, v1
	global_store_b16 v[2:3], v1, off
.LBB14_1852:
	s_mov_b32 s8, 0
.LBB14_1853:
	s_delay_alu instid0(SALU_CYCLE_1)
	s_and_not1_b32 vcc_lo, exec_lo, s8
	s_cbranch_vccnz .LBB14_1869
; %bb.1854:
	s_cmp_lt_i32 s0, 2
	s_mov_b32 s8, -1
	s_cbranch_scc1 .LBB14_1864
; %bb.1855:
	s_cmp_lt_i32 s0, 3
	s_cbranch_scc1 .LBB14_1861
; %bb.1856:
	s_cmp_gt_i32 s0, 3
	s_cbranch_scc0 .LBB14_1858
; %bb.1857:
	s_mov_b32 s8, 0
	s_wait_xcnt 0x0
	v_cndmask_b32_e64 v4, 0, 1, s7
	v_mov_b32_e32 v5, s8
	global_store_b64 v[2:3], v[4:5], off
.LBB14_1858:
	s_and_not1_b32 vcc_lo, exec_lo, s8
	s_cbranch_vccnz .LBB14_1860
; %bb.1859:
	s_wait_xcnt 0x0
	v_cndmask_b32_e64 v1, 0, 1, s7
	global_store_b32 v[2:3], v1, off
.LBB14_1860:
	s_mov_b32 s8, 0
.LBB14_1861:
	s_delay_alu instid0(SALU_CYCLE_1)
	s_and_not1_b32 vcc_lo, exec_lo, s8
	s_cbranch_vccnz .LBB14_1863
; %bb.1862:
	s_wait_xcnt 0x0
	v_cndmask_b32_e64 v1, 0, 1, s7
	global_store_b16 v[2:3], v1, off
.LBB14_1863:
	s_mov_b32 s8, 0
.LBB14_1864:
	s_delay_alu instid0(SALU_CYCLE_1)
	s_and_not1_b32 vcc_lo, exec_lo, s8
	s_cbranch_vccnz .LBB14_1869
; %bb.1865:
	s_wait_xcnt 0x0
	v_cndmask_b32_e64 v1, 0, 1, s7
	s_cmp_gt_i32 s0, 0
	s_mov_b32 s0, -1
	s_cbranch_scc0 .LBB14_1867
; %bb.1866:
	s_mov_b32 s0, 0
	global_store_b8 v[2:3], v1, off
.LBB14_1867:
	s_and_not1_b32 vcc_lo, exec_lo, s0
	s_cbranch_vccnz .LBB14_1869
; %bb.1868:
	global_store_b8 v[2:3], v1, off
.LBB14_1869:
	s_mov_b32 s10, -1
.LBB14_1870:
	s_delay_alu instid0(SALU_CYCLE_1)
	s_and_not1_b32 vcc_lo, exec_lo, s10
	s_cbranch_vccnz .LBB14_1947
; %bb.1871:
	v_add_nc_u32_e32 v0, s2, v0
	s_wait_xcnt 0x0
	v_and_b32_e32 v2, 0xff, v6
	s_delay_alu instid0(VALU_DEP_2) | instskip(NEXT) | instid1(VALU_DEP_2)
	v_ashrrev_i32_e32 v1, 31, v0
	v_cmp_ne_u16_e32 vcc_lo, s6, v2
	s_delay_alu instid0(VALU_DEP_2)
	v_add_nc_u64_e32 v[0:1], s[4:5], v[0:1]
	s_xor_b32 s15, s3, vcc_lo
	s_cmp_lt_i32 s14, 11
	s_cbranch_scc1 .LBB14_1992
; %bb.1872:
	s_and_b32 s2, 0xffff, s14
	s_mov_b32 s4, -1
	s_mov_b32 s3, 0
	s_cmp_gt_i32 s2, 25
	s_mov_b32 s0, 0
	s_cbranch_scc0 .LBB14_1905
; %bb.1873:
	s_cmp_gt_i32 s2, 28
	s_cbranch_scc0 .LBB14_1889
; %bb.1874:
	s_cmp_gt_i32 s2, 43
	;; [unrolled: 3-line block ×3, first 2 shown]
	s_cbranch_scc0 .LBB14_1879
; %bb.1876:
	s_cmp_eq_u32 s2, 46
	s_mov_b32 s0, -1
	s_cbranch_scc0 .LBB14_1878
; %bb.1877:
	v_cndmask_b32_e64 v2, 0, 1.0, s15
	s_mov_b32 s0, 0
	s_delay_alu instid0(VALU_DEP_1) | instskip(NEXT) | instid1(VALU_DEP_1)
	v_bfe_u32 v3, v2, 16, 1
	v_add3_u32 v2, v2, v3, 0x7fff
	s_delay_alu instid0(VALU_DEP_1)
	v_lshrrev_b32_e32 v2, 16, v2
	global_store_b32 v[0:1], v2, off
.LBB14_1878:
	s_mov_b32 s4, 0
.LBB14_1879:
	s_delay_alu instid0(SALU_CYCLE_1)
	s_and_b32 vcc_lo, exec_lo, s4
	s_cbranch_vccz .LBB14_1884
; %bb.1880:
	s_cmp_eq_u32 s2, 44
	s_mov_b32 s0, -1
	s_cbranch_scc0 .LBB14_1884
; %bb.1881:
	v_cndmask_b32_e64 v4, 0, 1.0, s15
	s_mov_b32 s4, exec_lo
	s_wait_xcnt 0x0
	s_delay_alu instid0(VALU_DEP_1) | instskip(NEXT) | instid1(VALU_DEP_1)
	v_dual_mov_b32 v3, 0xff :: v_dual_lshrrev_b32 v2, 23, v4
	v_cmpx_ne_u32_e32 0xff, v2
; %bb.1882:
	v_and_b32_e32 v3, 0x400000, v4
	v_and_or_b32 v4, 0x3fffff, v4, v2
	s_delay_alu instid0(VALU_DEP_2) | instskip(NEXT) | instid1(VALU_DEP_2)
	v_cmp_ne_u32_e32 vcc_lo, 0, v3
	v_cmp_ne_u32_e64 s0, 0, v4
	s_and_b32 s0, vcc_lo, s0
	s_delay_alu instid0(SALU_CYCLE_1) | instskip(NEXT) | instid1(VALU_DEP_1)
	v_cndmask_b32_e64 v3, 0, 1, s0
	v_add_nc_u32_e32 v3, v2, v3
; %bb.1883:
	s_or_b32 exec_lo, exec_lo, s4
	s_mov_b32 s0, 0
	global_store_b8 v[0:1], v3, off
.LBB14_1884:
	s_mov_b32 s4, 0
.LBB14_1885:
	s_delay_alu instid0(SALU_CYCLE_1)
	s_and_b32 vcc_lo, exec_lo, s4
	s_cbranch_vccz .LBB14_1888
; %bb.1886:
	s_cmp_eq_u32 s2, 29
	s_mov_b32 s0, -1
	s_cbranch_scc0 .LBB14_1888
; %bb.1887:
	s_mov_b32 s0, 0
	s_wait_xcnt 0x0
	v_cndmask_b32_e64 v2, 0, 1, s15
	v_mov_b32_e32 v3, s0
	global_store_b64 v[0:1], v[2:3], off
.LBB14_1888:
	s_mov_b32 s4, 0
.LBB14_1889:
	s_delay_alu instid0(SALU_CYCLE_1)
	s_and_b32 vcc_lo, exec_lo, s4
	s_cbranch_vccz .LBB14_1904
; %bb.1890:
	s_cmp_lt_i32 s2, 27
	s_mov_b32 s4, -1
	s_cbranch_scc1 .LBB14_1896
; %bb.1891:
	s_wait_xcnt 0x0
	v_cndmask_b32_e64 v2, 0, 1, s15
	s_cmp_gt_i32 s2, 27
	s_cbranch_scc0 .LBB14_1893
; %bb.1892:
	s_mov_b32 s4, 0
	global_store_b32 v[0:1], v2, off
.LBB14_1893:
	s_and_not1_b32 vcc_lo, exec_lo, s4
	s_cbranch_vccnz .LBB14_1895
; %bb.1894:
	global_store_b16 v[0:1], v2, off
.LBB14_1895:
	s_mov_b32 s4, 0
.LBB14_1896:
	s_delay_alu instid0(SALU_CYCLE_1)
	s_and_not1_b32 vcc_lo, exec_lo, s4
	s_cbranch_vccnz .LBB14_1904
; %bb.1897:
	s_wait_xcnt 0x0
	v_cndmask_b32_e64 v3, 0, 1.0, s15
	v_mov_b32_e32 v4, 0x80
	s_mov_b32 s4, exec_lo
	s_delay_alu instid0(VALU_DEP_2)
	v_cmpx_gt_u32_e32 0x43800000, v3
	s_cbranch_execz .LBB14_1903
; %bb.1898:
	s_mov_b32 s5, 0
	s_mov_b32 s6, exec_lo
                                        ; implicit-def: $vgpr2
	v_cmpx_lt_u32_e32 0x3bffffff, v3
	s_xor_b32 s6, exec_lo, s6
	s_cbranch_execz .LBB14_2009
; %bb.1899:
	v_bfe_u32 v2, v3, 20, 1
	s_mov_b32 s5, exec_lo
	s_delay_alu instid0(VALU_DEP_1) | instskip(NEXT) | instid1(VALU_DEP_1)
	v_add3_u32 v2, v3, v2, 0x487ffff
                                        ; implicit-def: $vgpr3
	v_lshrrev_b32_e32 v2, 20, v2
	s_and_not1_saveexec_b32 s6, s6
	s_cbranch_execnz .LBB14_2010
.LBB14_1900:
	s_or_b32 exec_lo, exec_lo, s6
	v_mov_b32_e32 v4, 0
	s_and_saveexec_b32 s6, s5
.LBB14_1901:
	v_mov_b32_e32 v4, v2
.LBB14_1902:
	s_or_b32 exec_lo, exec_lo, s6
.LBB14_1903:
	s_delay_alu instid0(SALU_CYCLE_1)
	s_or_b32 exec_lo, exec_lo, s4
	global_store_b8 v[0:1], v4, off
.LBB14_1904:
	s_mov_b32 s4, 0
.LBB14_1905:
	s_delay_alu instid0(SALU_CYCLE_1)
	s_and_b32 vcc_lo, exec_lo, s4
	s_cbranch_vccz .LBB14_1945
; %bb.1906:
	s_cmp_gt_i32 s2, 22
	s_mov_b32 s3, -1
	s_cbranch_scc0 .LBB14_1938
; %bb.1907:
	s_cmp_lt_i32 s2, 24
	s_cbranch_scc1 .LBB14_1927
; %bb.1908:
	s_cmp_gt_i32 s2, 24
	s_cbranch_scc0 .LBB14_1916
; %bb.1909:
	s_wait_xcnt 0x0
	v_cndmask_b32_e64 v3, 0, 1.0, s15
	v_mov_b32_e32 v4, 0x80
	s_mov_b32 s3, exec_lo
	s_delay_alu instid0(VALU_DEP_2)
	v_cmpx_gt_u32_e32 0x47800000, v3
	s_cbranch_execz .LBB14_1915
; %bb.1910:
	s_mov_b32 s4, 0
	s_mov_b32 s5, exec_lo
                                        ; implicit-def: $vgpr2
	v_cmpx_lt_u32_e32 0x37ffffff, v3
	s_xor_b32 s5, exec_lo, s5
	s_cbranch_execz .LBB14_2012
; %bb.1911:
	v_bfe_u32 v2, v3, 21, 1
	s_mov_b32 s4, exec_lo
	s_delay_alu instid0(VALU_DEP_1) | instskip(NEXT) | instid1(VALU_DEP_1)
	v_add3_u32 v2, v3, v2, 0x88fffff
                                        ; implicit-def: $vgpr3
	v_lshrrev_b32_e32 v2, 21, v2
	s_and_not1_saveexec_b32 s5, s5
	s_cbranch_execnz .LBB14_2013
.LBB14_1912:
	s_or_b32 exec_lo, exec_lo, s5
	v_mov_b32_e32 v4, 0
	s_and_saveexec_b32 s5, s4
.LBB14_1913:
	v_mov_b32_e32 v4, v2
.LBB14_1914:
	s_or_b32 exec_lo, exec_lo, s5
.LBB14_1915:
	s_delay_alu instid0(SALU_CYCLE_1)
	s_or_b32 exec_lo, exec_lo, s3
	s_mov_b32 s3, 0
	global_store_b8 v[0:1], v4, off
.LBB14_1916:
	s_and_b32 vcc_lo, exec_lo, s3
	s_cbranch_vccz .LBB14_1926
; %bb.1917:
	s_wait_xcnt 0x0
	v_cndmask_b32_e64 v3, 0, 1.0, s15
	s_mov_b32 s3, exec_lo
                                        ; implicit-def: $vgpr2
	s_delay_alu instid0(VALU_DEP_1)
	v_cmpx_gt_u32_e32 0x43f00000, v3
	s_xor_b32 s3, exec_lo, s3
	s_cbranch_execz .LBB14_1923
; %bb.1918:
	s_mov_b32 s4, exec_lo
                                        ; implicit-def: $vgpr2
	v_cmpx_lt_u32_e32 0x3c7fffff, v3
	s_xor_b32 s4, exec_lo, s4
; %bb.1919:
	v_bfe_u32 v2, v3, 20, 1
	s_delay_alu instid0(VALU_DEP_1) | instskip(NEXT) | instid1(VALU_DEP_1)
	v_add3_u32 v2, v3, v2, 0x407ffff
	v_and_b32_e32 v3, 0xff00000, v2
	v_lshrrev_b32_e32 v2, 20, v2
	s_delay_alu instid0(VALU_DEP_2) | instskip(NEXT) | instid1(VALU_DEP_2)
	v_cmp_ne_u32_e32 vcc_lo, 0x7f00000, v3
                                        ; implicit-def: $vgpr3
	v_cndmask_b32_e32 v2, 0x7e, v2, vcc_lo
; %bb.1920:
	s_and_not1_saveexec_b32 s4, s4
; %bb.1921:
	v_add_f32_e32 v2, 0x46800000, v3
; %bb.1922:
	s_or_b32 exec_lo, exec_lo, s4
                                        ; implicit-def: $vgpr3
.LBB14_1923:
	s_and_not1_saveexec_b32 s3, s3
; %bb.1924:
	v_mov_b32_e32 v2, 0x7f
	v_cmp_lt_u32_e32 vcc_lo, 0x7f800000, v3
	s_delay_alu instid0(VALU_DEP_2)
	v_cndmask_b32_e32 v2, 0x7e, v2, vcc_lo
; %bb.1925:
	s_or_b32 exec_lo, exec_lo, s3
	global_store_b8 v[0:1], v2, off
.LBB14_1926:
	s_mov_b32 s3, 0
.LBB14_1927:
	s_delay_alu instid0(SALU_CYCLE_1)
	s_and_not1_b32 vcc_lo, exec_lo, s3
	s_cbranch_vccnz .LBB14_1937
; %bb.1928:
	s_wait_xcnt 0x0
	v_cndmask_b32_e64 v3, 0, 1.0, s15
	s_mov_b32 s3, exec_lo
                                        ; implicit-def: $vgpr2
	s_delay_alu instid0(VALU_DEP_1)
	v_cmpx_gt_u32_e32 0x47800000, v3
	s_xor_b32 s3, exec_lo, s3
	s_cbranch_execz .LBB14_1934
; %bb.1929:
	s_mov_b32 s4, exec_lo
                                        ; implicit-def: $vgpr2
	v_cmpx_lt_u32_e32 0x387fffff, v3
	s_xor_b32 s4, exec_lo, s4
; %bb.1930:
	v_bfe_u32 v2, v3, 21, 1
	s_delay_alu instid0(VALU_DEP_1) | instskip(NEXT) | instid1(VALU_DEP_1)
	v_add3_u32 v2, v3, v2, 0x80fffff
                                        ; implicit-def: $vgpr3
	v_lshrrev_b32_e32 v2, 21, v2
; %bb.1931:
	s_and_not1_saveexec_b32 s4, s4
; %bb.1932:
	v_add_f32_e32 v2, 0x43000000, v3
; %bb.1933:
	s_or_b32 exec_lo, exec_lo, s4
                                        ; implicit-def: $vgpr3
.LBB14_1934:
	s_and_not1_saveexec_b32 s3, s3
; %bb.1935:
	v_mov_b32_e32 v2, 0x7f
	v_cmp_lt_u32_e32 vcc_lo, 0x7f800000, v3
	s_delay_alu instid0(VALU_DEP_2)
	v_cndmask_b32_e32 v2, 0x7c, v2, vcc_lo
; %bb.1936:
	s_or_b32 exec_lo, exec_lo, s3
	global_store_b8 v[0:1], v2, off
.LBB14_1937:
	s_mov_b32 s3, 0
.LBB14_1938:
	s_delay_alu instid0(SALU_CYCLE_1)
	s_and_not1_b32 vcc_lo, exec_lo, s3
	s_mov_b32 s3, 0
	s_cbranch_vccnz .LBB14_1945
; %bb.1939:
	s_cmp_gt_i32 s2, 14
	s_mov_b32 s3, -1
	s_cbranch_scc0 .LBB14_1943
; %bb.1940:
	s_cmp_eq_u32 s2, 15
	s_mov_b32 s0, -1
	s_cbranch_scc0 .LBB14_1942
; %bb.1941:
	s_wait_xcnt 0x0
	v_cndmask_b32_e64 v2, 0, 1.0, s15
	s_mov_b32 s0, 0
	s_delay_alu instid0(VALU_DEP_1) | instskip(NEXT) | instid1(VALU_DEP_1)
	v_bfe_u32 v3, v2, 16, 1
	v_add3_u32 v2, v2, v3, 0x7fff
	global_store_d16_hi_b16 v[0:1], v2, off
.LBB14_1942:
	s_mov_b32 s3, 0
.LBB14_1943:
	s_delay_alu instid0(SALU_CYCLE_1)
	s_and_b32 vcc_lo, exec_lo, s3
	s_mov_b32 s3, 0
	s_cbranch_vccz .LBB14_1945
; %bb.1944:
	s_cmp_lg_u32 s2, 11
	s_mov_b32 s3, -1
	s_cselect_b32 s0, -1, 0
.LBB14_1945:
	s_delay_alu instid0(SALU_CYCLE_1)
	s_and_b32 vcc_lo, exec_lo, s0
	s_cbranch_vccnz .LBB14_2011
.LBB14_1946:
	s_mov_b32 s0, 0
	s_branch .LBB14_1948
.LBB14_1947:
	s_mov_b32 s0, 0
	s_mov_b32 s3, 0
                                        ; implicit-def: $sgpr15
                                        ; implicit-def: $sgpr14
                                        ; implicit-def: $vgpr0_vgpr1
.LBB14_1948:
	s_and_not1_b32 s2, s13, exec_lo
	s_and_b32 s4, s1, exec_lo
	s_and_b32 s0, s0, exec_lo
	;; [unrolled: 1-line block ×3, first 2 shown]
	s_or_b32 s13, s2, s4
.LBB14_1949:
	s_wait_xcnt 0x0
	s_or_b32 exec_lo, exec_lo, s12
	s_and_saveexec_b32 s2, s13
	s_cbranch_execz .LBB14_1952
; %bb.1950:
	; divergent unreachable
	s_or_b32 exec_lo, exec_lo, s2
	s_and_saveexec_b32 s2, s1
	s_delay_alu instid0(SALU_CYCLE_1)
	s_xor_b32 s1, exec_lo, s2
	s_cbranch_execnz .LBB14_1953
.LBB14_1951:
	s_or_b32 exec_lo, exec_lo, s1
	s_and_saveexec_b32 s1, s0
	s_cbranch_execnz .LBB14_1954
	s_branch .LBB14_1991
.LBB14_1952:
	s_or_b32 exec_lo, exec_lo, s2
	s_and_saveexec_b32 s2, s1
	s_delay_alu instid0(SALU_CYCLE_1)
	s_xor_b32 s1, exec_lo, s2
	s_cbranch_execz .LBB14_1951
.LBB14_1953:
	s_wait_loadcnt 0x0
	v_cndmask_b32_e64 v2, 0, 1, s15
	global_store_b8 v[0:1], v2, off
	s_wait_xcnt 0x0
	s_or_b32 exec_lo, exec_lo, s1
	s_and_saveexec_b32 s1, s0
	s_cbranch_execz .LBB14_1991
.LBB14_1954:
	s_sext_i32_i16 s1, s14
	s_mov_b32 s0, -1
	s_cmp_lt_i32 s1, 5
	s_cbranch_scc1 .LBB14_1975
; %bb.1955:
	s_cmp_lt_i32 s1, 8
	s_cbranch_scc1 .LBB14_1965
; %bb.1956:
	;; [unrolled: 3-line block ×3, first 2 shown]
	s_cmp_gt_i32 s1, 9
	s_cbranch_scc0 .LBB14_1959
; %bb.1958:
	s_wait_loadcnt 0x0
	v_cndmask_b32_e64 v2, 0, 1, s15
	v_mov_b32_e32 v4, 0
	s_mov_b32 s0, 0
	s_delay_alu instid0(VALU_DEP_2) | instskip(NEXT) | instid1(VALU_DEP_2)
	v_cvt_f64_u32_e32 v[2:3], v2
	v_mov_b32_e32 v5, v4
	global_store_b128 v[0:1], v[2:5], off
.LBB14_1959:
	s_and_not1_b32 vcc_lo, exec_lo, s0
	s_cbranch_vccnz .LBB14_1961
; %bb.1960:
	s_wait_loadcnt 0x0
	v_cndmask_b32_e64 v2, 0, 1.0, s15
	v_mov_b32_e32 v3, 0
	global_store_b64 v[0:1], v[2:3], off
.LBB14_1961:
	s_mov_b32 s0, 0
.LBB14_1962:
	s_delay_alu instid0(SALU_CYCLE_1)
	s_and_not1_b32 vcc_lo, exec_lo, s0
	s_cbranch_vccnz .LBB14_1964
; %bb.1963:
	s_wait_loadcnt 0x0
	v_cndmask_b32_e64 v2, 0, 1.0, s15
	s_delay_alu instid0(VALU_DEP_1) | instskip(NEXT) | instid1(VALU_DEP_1)
	v_cvt_f16_f32_e32 v2, v2
	v_and_b32_e32 v2, 0xffff, v2
	global_store_b32 v[0:1], v2, off
.LBB14_1964:
	s_mov_b32 s0, 0
.LBB14_1965:
	s_delay_alu instid0(SALU_CYCLE_1)
	s_and_not1_b32 vcc_lo, exec_lo, s0
	s_cbranch_vccnz .LBB14_1974
; %bb.1966:
	s_sext_i32_i16 s1, s14
	s_mov_b32 s0, -1
	s_cmp_lt_i32 s1, 6
	s_cbranch_scc1 .LBB14_1972
; %bb.1967:
	s_cmp_gt_i32 s1, 6
	s_cbranch_scc0 .LBB14_1969
; %bb.1968:
	s_wait_loadcnt 0x0
	v_cndmask_b32_e64 v2, 0, 1, s15
	s_mov_b32 s0, 0
	s_delay_alu instid0(VALU_DEP_1)
	v_cvt_f64_u32_e32 v[2:3], v2
	global_store_b64 v[0:1], v[2:3], off
.LBB14_1969:
	s_and_not1_b32 vcc_lo, exec_lo, s0
	s_cbranch_vccnz .LBB14_1971
; %bb.1970:
	s_wait_loadcnt 0x0
	v_cndmask_b32_e64 v2, 0, 1.0, s15
	global_store_b32 v[0:1], v2, off
.LBB14_1971:
	s_mov_b32 s0, 0
.LBB14_1972:
	s_delay_alu instid0(SALU_CYCLE_1)
	s_and_not1_b32 vcc_lo, exec_lo, s0
	s_cbranch_vccnz .LBB14_1974
; %bb.1973:
	s_wait_loadcnt 0x0
	v_cndmask_b32_e64 v2, 0, 1.0, s15
	s_delay_alu instid0(VALU_DEP_1)
	v_cvt_f16_f32_e32 v2, v2
	global_store_b16 v[0:1], v2, off
.LBB14_1974:
	s_mov_b32 s0, 0
.LBB14_1975:
	s_delay_alu instid0(SALU_CYCLE_1)
	s_and_not1_b32 vcc_lo, exec_lo, s0
	s_cbranch_vccnz .LBB14_1991
; %bb.1976:
	s_sext_i32_i16 s1, s14
	s_mov_b32 s0, -1
	s_cmp_lt_i32 s1, 2
	s_cbranch_scc1 .LBB14_1986
; %bb.1977:
	s_cmp_lt_i32 s1, 3
	s_cbranch_scc1 .LBB14_1983
; %bb.1978:
	s_cmp_gt_i32 s1, 3
	s_cbranch_scc0 .LBB14_1980
; %bb.1979:
	s_mov_b32 s0, 0
	s_wait_loadcnt 0x0
	v_cndmask_b32_e64 v2, 0, 1, s15
	v_mov_b32_e32 v3, s0
	global_store_b64 v[0:1], v[2:3], off
.LBB14_1980:
	s_and_not1_b32 vcc_lo, exec_lo, s0
	s_cbranch_vccnz .LBB14_1982
; %bb.1981:
	s_wait_loadcnt 0x0
	v_cndmask_b32_e64 v2, 0, 1, s15
	global_store_b32 v[0:1], v2, off
.LBB14_1982:
	s_mov_b32 s0, 0
.LBB14_1983:
	s_delay_alu instid0(SALU_CYCLE_1)
	s_and_not1_b32 vcc_lo, exec_lo, s0
	s_cbranch_vccnz .LBB14_1985
; %bb.1984:
	s_wait_loadcnt 0x0
	v_cndmask_b32_e64 v2, 0, 1, s15
	global_store_b16 v[0:1], v2, off
.LBB14_1985:
	s_mov_b32 s0, 0
.LBB14_1986:
	s_delay_alu instid0(SALU_CYCLE_1)
	s_and_not1_b32 vcc_lo, exec_lo, s0
	s_cbranch_vccnz .LBB14_1991
; %bb.1987:
	s_wait_loadcnt 0x0
	v_cndmask_b32_e64 v2, 0, 1, s15
	s_sext_i32_i16 s0, s14
	s_delay_alu instid0(SALU_CYCLE_1)
	s_cmp_gt_i32 s0, 0
	s_mov_b32 s0, -1
	s_cbranch_scc0 .LBB14_1989
; %bb.1988:
	s_mov_b32 s0, 0
	global_store_b8 v[0:1], v2, off
.LBB14_1989:
	s_and_not1_b32 vcc_lo, exec_lo, s0
	s_cbranch_vccnz .LBB14_1991
; %bb.1990:
	global_store_b8 v[0:1], v2, off
	s_endpgm
.LBB14_1991:
	s_endpgm
.LBB14_1992:
	s_mov_b32 s3, 0
	s_mov_b32 s0, -1
	s_branch .LBB14_1948
.LBB14_1993:
	s_or_b32 s1, s1, exec_lo
	s_trap 2
	s_cbranch_execz .LBB14_1463
	s_branch .LBB14_1464
.LBB14_1994:
	s_and_not1_saveexec_b32 s15, s15
	s_cbranch_execz .LBB14_1543
.LBB14_1995:
	v_add_f32_e32 v3, 0x46000000, v5
	s_and_not1_b32 s11, s11, exec_lo
	s_delay_alu instid0(VALU_DEP_1) | instskip(NEXT) | instid1(VALU_DEP_1)
	v_and_b32_e32 v3, 0xff, v3
	v_cmp_ne_u32_e32 vcc_lo, 0, v3
	s_and_b32 s16, vcc_lo, exec_lo
	s_delay_alu instid0(SALU_CYCLE_1)
	s_or_b32 s11, s11, s16
	s_or_b32 exec_lo, exec_lo, s15
	v_mov_b32_e32 v7, 0
	s_and_saveexec_b32 s15, s11
	s_cbranch_execnz .LBB14_1544
	s_branch .LBB14_1545
.LBB14_1996:
	s_or_b32 s1, s1, exec_lo
	s_trap 2
	s_cbranch_execz .LBB14_1591
	s_branch .LBB14_1592
.LBB14_1997:
	s_and_not1_saveexec_b32 s11, s11
	s_cbranch_execz .LBB14_1556
.LBB14_1998:
	v_add_f32_e32 v3, 0x42800000, v5
	s_and_not1_b32 s10, s10, exec_lo
	s_delay_alu instid0(VALU_DEP_1) | instskip(NEXT) | instid1(VALU_DEP_1)
	v_and_b32_e32 v3, 0xff, v3
	v_cmp_ne_u32_e32 vcc_lo, 0, v3
	s_and_b32 s15, vcc_lo, exec_lo
	s_delay_alu instid0(SALU_CYCLE_1)
	s_or_b32 s10, s10, s15
	s_or_b32 exec_lo, exec_lo, s11
	v_mov_b32_e32 v7, 0
	s_and_saveexec_b32 s11, s10
	s_cbranch_execnz .LBB14_1557
	s_branch .LBB14_1558
.LBB14_1999:
	s_and_not1_saveexec_b32 s15, s15
	s_cbranch_execz .LBB14_1661
.LBB14_2000:
	v_add_f32_e32 v1, 0x46000000, v5
	s_and_not1_b32 s11, s11, exec_lo
	s_delay_alu instid0(VALU_DEP_1) | instskip(NEXT) | instid1(VALU_DEP_1)
	v_and_b32_e32 v1, 0xff, v1
	v_cmp_ne_u32_e32 vcc_lo, 0, v1
	s_and_b32 s16, vcc_lo, exec_lo
	s_delay_alu instid0(SALU_CYCLE_1)
	s_or_b32 s11, s11, s16
	s_or_b32 exec_lo, exec_lo, s15
	v_mov_b32_e32 v7, 0
	s_and_saveexec_b32 s15, s11
	s_cbranch_execnz .LBB14_1662
	s_branch .LBB14_1663
.LBB14_2001:
	s_or_b32 s1, s1, exec_lo
	s_trap 2
	s_cbranch_execz .LBB14_1709
	s_branch .LBB14_1710
.LBB14_2002:
	s_and_not1_saveexec_b32 s11, s11
	s_cbranch_execz .LBB14_1674
.LBB14_2003:
	v_add_f32_e32 v1, 0x42800000, v5
	s_and_not1_b32 s10, s10, exec_lo
	s_delay_alu instid0(VALU_DEP_1) | instskip(NEXT) | instid1(VALU_DEP_1)
	v_and_b32_e32 v1, 0xff, v1
	v_cmp_ne_u32_e32 vcc_lo, 0, v1
	s_and_b32 s15, vcc_lo, exec_lo
	s_delay_alu instid0(SALU_CYCLE_1)
	s_or_b32 s10, s10, s15
	s_or_b32 exec_lo, exec_lo, s11
	v_mov_b32_e32 v7, 0
	s_and_saveexec_b32 s11, s10
	s_cbranch_execnz .LBB14_1675
	s_branch .LBB14_1676
.LBB14_2004:
	s_and_not1_saveexec_b32 s15, s15
	s_cbranch_execz .LBB14_1780
.LBB14_2005:
	v_add_f32_e32 v1, 0x46000000, v4
	s_and_not1_b32 s11, s11, exec_lo
	s_delay_alu instid0(VALU_DEP_1) | instskip(NEXT) | instid1(VALU_DEP_1)
	v_and_b32_e32 v1, 0xff, v1
	v_cmp_ne_u32_e32 vcc_lo, 0, v1
	s_and_b32 s16, vcc_lo, exec_lo
	s_delay_alu instid0(SALU_CYCLE_1)
	s_or_b32 s11, s11, s16
	s_or_b32 exec_lo, exec_lo, s15
	v_mov_b32_e32 v5, 0
	s_and_saveexec_b32 s15, s11
	s_cbranch_execnz .LBB14_1781
	s_branch .LBB14_1782
.LBB14_2006:
	s_or_b32 s1, s1, exec_lo
	s_trap 2
	s_cbranch_execz .LBB14_1828
	s_branch .LBB14_1829
.LBB14_2007:
	s_and_not1_saveexec_b32 s11, s11
	s_cbranch_execz .LBB14_1793
.LBB14_2008:
	v_add_f32_e32 v1, 0x42800000, v4
	s_and_not1_b32 s10, s10, exec_lo
	s_delay_alu instid0(VALU_DEP_1) | instskip(NEXT) | instid1(VALU_DEP_1)
	v_and_b32_e32 v1, 0xff, v1
	v_cmp_ne_u32_e32 vcc_lo, 0, v1
	s_and_b32 s15, vcc_lo, exec_lo
	s_delay_alu instid0(SALU_CYCLE_1)
	s_or_b32 s10, s10, s15
	s_or_b32 exec_lo, exec_lo, s11
	v_mov_b32_e32 v5, 0
	s_and_saveexec_b32 s11, s10
	s_cbranch_execnz .LBB14_1794
	s_branch .LBB14_1795
.LBB14_2009:
	s_and_not1_saveexec_b32 s6, s6
	s_cbranch_execz .LBB14_1900
.LBB14_2010:
	v_add_f32_e32 v2, 0x46000000, v3
	s_and_not1_b32 s5, s5, exec_lo
	s_delay_alu instid0(VALU_DEP_1) | instskip(NEXT) | instid1(VALU_DEP_1)
	v_and_b32_e32 v2, 0xff, v2
	v_cmp_ne_u32_e32 vcc_lo, 0, v2
	s_and_b32 s7, vcc_lo, exec_lo
	s_delay_alu instid0(SALU_CYCLE_1)
	s_or_b32 s5, s5, s7
	s_or_b32 exec_lo, exec_lo, s6
	v_mov_b32_e32 v4, 0
	s_and_saveexec_b32 s6, s5
	s_cbranch_execnz .LBB14_1901
	s_branch .LBB14_1902
.LBB14_2011:
	s_mov_b32 s3, 0
	s_or_b32 s1, s1, exec_lo
	s_trap 2
	s_branch .LBB14_1946
.LBB14_2012:
	s_and_not1_saveexec_b32 s5, s5
	s_cbranch_execz .LBB14_1912
.LBB14_2013:
	v_add_f32_e32 v2, 0x42800000, v3
	s_and_not1_b32 s4, s4, exec_lo
	s_delay_alu instid0(VALU_DEP_1) | instskip(NEXT) | instid1(VALU_DEP_1)
	v_and_b32_e32 v2, 0xff, v2
	v_cmp_ne_u32_e32 vcc_lo, 0, v2
	s_and_b32 s6, vcc_lo, exec_lo
	s_delay_alu instid0(SALU_CYCLE_1)
	s_or_b32 s4, s4, s6
	s_or_b32 exec_lo, exec_lo, s5
	v_mov_b32_e32 v4, 0
	s_and_saveexec_b32 s5, s4
	s_cbranch_execnz .LBB14_1913
	s_branch .LBB14_1914
	.section	.rodata,"a",@progbits
	.p2align	6, 0x0
	.amdhsa_kernel _ZN2at6native32elementwise_kernel_manual_unrollILi128ELi4EZNS0_15gpu_kernel_implINS0_13AUnaryFunctorIhhbNS0_12_GLOBAL__N_116CompareEqFunctorIhEEEEEEvRNS_18TensorIteratorBaseERKT_EUlibE_EEviT1_
		.amdhsa_group_segment_fixed_size 0
		.amdhsa_private_segment_fixed_size 0
		.amdhsa_kernarg_size 48
		.amdhsa_user_sgpr_count 2
		.amdhsa_user_sgpr_dispatch_ptr 0
		.amdhsa_user_sgpr_queue_ptr 0
		.amdhsa_user_sgpr_kernarg_segment_ptr 1
		.amdhsa_user_sgpr_dispatch_id 0
		.amdhsa_user_sgpr_kernarg_preload_length 0
		.amdhsa_user_sgpr_kernarg_preload_offset 0
		.amdhsa_user_sgpr_private_segment_size 0
		.amdhsa_wavefront_size32 1
		.amdhsa_uses_dynamic_stack 0
		.amdhsa_enable_private_segment 0
		.amdhsa_system_sgpr_workgroup_id_x 1
		.amdhsa_system_sgpr_workgroup_id_y 0
		.amdhsa_system_sgpr_workgroup_id_z 0
		.amdhsa_system_sgpr_workgroup_info 0
		.amdhsa_system_vgpr_workitem_id 0
		.amdhsa_next_free_vgpr 14
		.amdhsa_next_free_sgpr 30
		.amdhsa_named_barrier_count 0
		.amdhsa_reserve_vcc 1
		.amdhsa_float_round_mode_32 0
		.amdhsa_float_round_mode_16_64 0
		.amdhsa_float_denorm_mode_32 3
		.amdhsa_float_denorm_mode_16_64 3
		.amdhsa_fp16_overflow 0
		.amdhsa_memory_ordered 1
		.amdhsa_forward_progress 1
		.amdhsa_inst_pref_size 255
		.amdhsa_round_robin_scheduling 0
		.amdhsa_exception_fp_ieee_invalid_op 0
		.amdhsa_exception_fp_denorm_src 0
		.amdhsa_exception_fp_ieee_div_zero 0
		.amdhsa_exception_fp_ieee_overflow 0
		.amdhsa_exception_fp_ieee_underflow 0
		.amdhsa_exception_fp_ieee_inexact 0
		.amdhsa_exception_int_div_zero 0
	.end_amdhsa_kernel
	.section	.text._ZN2at6native32elementwise_kernel_manual_unrollILi128ELi4EZNS0_15gpu_kernel_implINS0_13AUnaryFunctorIhhbNS0_12_GLOBAL__N_116CompareEqFunctorIhEEEEEEvRNS_18TensorIteratorBaseERKT_EUlibE_EEviT1_,"axG",@progbits,_ZN2at6native32elementwise_kernel_manual_unrollILi128ELi4EZNS0_15gpu_kernel_implINS0_13AUnaryFunctorIhhbNS0_12_GLOBAL__N_116CompareEqFunctorIhEEEEEEvRNS_18TensorIteratorBaseERKT_EUlibE_EEviT1_,comdat
.Lfunc_end14:
	.size	_ZN2at6native32elementwise_kernel_manual_unrollILi128ELi4EZNS0_15gpu_kernel_implINS0_13AUnaryFunctorIhhbNS0_12_GLOBAL__N_116CompareEqFunctorIhEEEEEEvRNS_18TensorIteratorBaseERKT_EUlibE_EEviT1_, .Lfunc_end14-_ZN2at6native32elementwise_kernel_manual_unrollILi128ELi4EZNS0_15gpu_kernel_implINS0_13AUnaryFunctorIhhbNS0_12_GLOBAL__N_116CompareEqFunctorIhEEEEEEvRNS_18TensorIteratorBaseERKT_EUlibE_EEviT1_
                                        ; -- End function
	.set _ZN2at6native32elementwise_kernel_manual_unrollILi128ELi4EZNS0_15gpu_kernel_implINS0_13AUnaryFunctorIhhbNS0_12_GLOBAL__N_116CompareEqFunctorIhEEEEEEvRNS_18TensorIteratorBaseERKT_EUlibE_EEviT1_.num_vgpr, 14
	.set _ZN2at6native32elementwise_kernel_manual_unrollILi128ELi4EZNS0_15gpu_kernel_implINS0_13AUnaryFunctorIhhbNS0_12_GLOBAL__N_116CompareEqFunctorIhEEEEEEvRNS_18TensorIteratorBaseERKT_EUlibE_EEviT1_.num_agpr, 0
	.set _ZN2at6native32elementwise_kernel_manual_unrollILi128ELi4EZNS0_15gpu_kernel_implINS0_13AUnaryFunctorIhhbNS0_12_GLOBAL__N_116CompareEqFunctorIhEEEEEEvRNS_18TensorIteratorBaseERKT_EUlibE_EEviT1_.numbered_sgpr, 30
	.set _ZN2at6native32elementwise_kernel_manual_unrollILi128ELi4EZNS0_15gpu_kernel_implINS0_13AUnaryFunctorIhhbNS0_12_GLOBAL__N_116CompareEqFunctorIhEEEEEEvRNS_18TensorIteratorBaseERKT_EUlibE_EEviT1_.num_named_barrier, 0
	.set _ZN2at6native32elementwise_kernel_manual_unrollILi128ELi4EZNS0_15gpu_kernel_implINS0_13AUnaryFunctorIhhbNS0_12_GLOBAL__N_116CompareEqFunctorIhEEEEEEvRNS_18TensorIteratorBaseERKT_EUlibE_EEviT1_.private_seg_size, 0
	.set _ZN2at6native32elementwise_kernel_manual_unrollILi128ELi4EZNS0_15gpu_kernel_implINS0_13AUnaryFunctorIhhbNS0_12_GLOBAL__N_116CompareEqFunctorIhEEEEEEvRNS_18TensorIteratorBaseERKT_EUlibE_EEviT1_.uses_vcc, 1
	.set _ZN2at6native32elementwise_kernel_manual_unrollILi128ELi4EZNS0_15gpu_kernel_implINS0_13AUnaryFunctorIhhbNS0_12_GLOBAL__N_116CompareEqFunctorIhEEEEEEvRNS_18TensorIteratorBaseERKT_EUlibE_EEviT1_.uses_flat_scratch, 0
	.set _ZN2at6native32elementwise_kernel_manual_unrollILi128ELi4EZNS0_15gpu_kernel_implINS0_13AUnaryFunctorIhhbNS0_12_GLOBAL__N_116CompareEqFunctorIhEEEEEEvRNS_18TensorIteratorBaseERKT_EUlibE_EEviT1_.has_dyn_sized_stack, 0
	.set _ZN2at6native32elementwise_kernel_manual_unrollILi128ELi4EZNS0_15gpu_kernel_implINS0_13AUnaryFunctorIhhbNS0_12_GLOBAL__N_116CompareEqFunctorIhEEEEEEvRNS_18TensorIteratorBaseERKT_EUlibE_EEviT1_.has_recursion, 0
	.set _ZN2at6native32elementwise_kernel_manual_unrollILi128ELi4EZNS0_15gpu_kernel_implINS0_13AUnaryFunctorIhhbNS0_12_GLOBAL__N_116CompareEqFunctorIhEEEEEEvRNS_18TensorIteratorBaseERKT_EUlibE_EEviT1_.has_indirect_call, 0
	.section	.AMDGPU.csdata,"",@progbits
; Kernel info:
; codeLenInByte = 39228
; TotalNumSgprs: 32
; NumVgprs: 14
; ScratchSize: 0
; MemoryBound: 1
; FloatMode: 240
; IeeeMode: 1
; LDSByteSize: 0 bytes/workgroup (compile time only)
; SGPRBlocks: 0
; VGPRBlocks: 0
; NumSGPRsForWavesPerEU: 32
; NumVGPRsForWavesPerEU: 14
; NamedBarCnt: 0
; Occupancy: 16
; WaveLimiterHint : 0
; COMPUTE_PGM_RSRC2:SCRATCH_EN: 0
; COMPUTE_PGM_RSRC2:USER_SGPR: 2
; COMPUTE_PGM_RSRC2:TRAP_HANDLER: 0
; COMPUTE_PGM_RSRC2:TGID_X_EN: 1
; COMPUTE_PGM_RSRC2:TGID_Y_EN: 0
; COMPUTE_PGM_RSRC2:TGID_Z_EN: 0
; COMPUTE_PGM_RSRC2:TIDIG_COMP_CNT: 0
	.section	.text._ZN2at6native32elementwise_kernel_manual_unrollILi128ELi4EZNS0_15gpu_kernel_implINS0_13AUnaryFunctorIhhbNS0_12_GLOBAL__N_116CompareEqFunctorIhEEEEEEvRNS_18TensorIteratorBaseERKT_EUlibE0_EEviT1_,"axG",@progbits,_ZN2at6native32elementwise_kernel_manual_unrollILi128ELi4EZNS0_15gpu_kernel_implINS0_13AUnaryFunctorIhhbNS0_12_GLOBAL__N_116CompareEqFunctorIhEEEEEEvRNS_18TensorIteratorBaseERKT_EUlibE0_EEviT1_,comdat
	.globl	_ZN2at6native32elementwise_kernel_manual_unrollILi128ELi4EZNS0_15gpu_kernel_implINS0_13AUnaryFunctorIhhbNS0_12_GLOBAL__N_116CompareEqFunctorIhEEEEEEvRNS_18TensorIteratorBaseERKT_EUlibE0_EEviT1_ ; -- Begin function _ZN2at6native32elementwise_kernel_manual_unrollILi128ELi4EZNS0_15gpu_kernel_implINS0_13AUnaryFunctorIhhbNS0_12_GLOBAL__N_116CompareEqFunctorIhEEEEEEvRNS_18TensorIteratorBaseERKT_EUlibE0_EEviT1_
	.p2align	8
	.type	_ZN2at6native32elementwise_kernel_manual_unrollILi128ELi4EZNS0_15gpu_kernel_implINS0_13AUnaryFunctorIhhbNS0_12_GLOBAL__N_116CompareEqFunctorIhEEEEEEvRNS_18TensorIteratorBaseERKT_EUlibE0_EEviT1_,@function
_ZN2at6native32elementwise_kernel_manual_unrollILi128ELi4EZNS0_15gpu_kernel_implINS0_13AUnaryFunctorIhhbNS0_12_GLOBAL__N_116CompareEqFunctorIhEEEEEEvRNS_18TensorIteratorBaseERKT_EUlibE0_EEviT1_: ; @_ZN2at6native32elementwise_kernel_manual_unrollILi128ELi4EZNS0_15gpu_kernel_implINS0_13AUnaryFunctorIhhbNS0_12_GLOBAL__N_116CompareEqFunctorIhEEEEEEvRNS_18TensorIteratorBaseERKT_EUlibE0_EEviT1_
; %bb.0:
	s_clause 0x1
	s_load_b32 s33, s[0:1], 0x8
	s_load_b32 s39, s[0:1], 0x0
	s_bfe_u32 s2, ttmp6, 0x4000c
	s_and_b32 s3, ttmp6, 15
	s_add_co_i32 s2, s2, 1
	s_getreg_b32 s4, hwreg(HW_REG_IB_STS2, 6, 4)
	s_mul_i32 s2, ttmp9, s2
	s_mov_b32 s26, -1
	s_add_co_i32 s3, s3, s2
	s_cmp_eq_u32 s4, 0
	s_add_nc_u64 s[16:17], s[0:1], 8
	s_cselect_b32 s2, ttmp9, s3
	s_mov_b32 s3, 0
	v_lshl_or_b32 v0, s2, 9, v0
	s_mov_b32 s8, 0
	s_wait_xcnt 0x0
	s_mov_b32 s0, exec_lo
	s_delay_alu instid0(VALU_DEP_1) | instskip(SKIP_2) | instid1(SALU_CYCLE_1)
	v_or_b32_e32 v9, 0x180, v0
	s_wait_kmcnt 0x0
	s_add_co_i32 s34, s33, -1
	s_cmp_gt_u32 s34, 1
	s_cselect_b32 s35, -1, 0
	v_cmpx_le_i32_e64 s39, v9
	s_xor_b32 s36, exec_lo, s0
	s_cbranch_execz .LBB15_1080
; %bb.1:
	s_clause 0x4
	s_load_b128 s[8:11], s[16:17], 0x4
	s_load_b96 s[0:2], s[16:17], 0x158
	s_load_b64 s[20:21], s[16:17], 0x14
	s_load_b128 s[12:15], s[16:17], 0xc4
	s_load_b128 s[4:7], s[16:17], 0x148
	s_cmp_lg_u32 s33, 0
	s_mov_b32 s19, 0
	s_cselect_b32 s41, -1, 0
	s_min_u32 s40, s34, 15
	s_cmp_gt_u32 s33, 1
	s_add_nc_u64 s[24:25], s[16:17], 0xc4
	s_cselect_b32 s38, -1, 0
	s_mov_b32 s23, s19
	s_mov_b32 s42, s19
	s_mov_b32 s43, exec_lo
	s_wait_kmcnt 0x0
	s_mov_b32 s18, s9
	s_bfe_u32 s37, s2, 0x80008
	s_cmp_eq_u32 s0, 0
	s_mov_b32 s22, s20
	s_cselect_b32 s9, -1, 0
	s_mov_b32 s20, s19
	v_cmpx_gt_i32_e64 s39, v0
	s_cbranch_execz .LBB15_263
; %bb.2:
	s_and_not1_b32 vcc_lo, exec_lo, s35
	s_cbranch_vccnz .LBB15_8
; %bb.3:
	s_and_not1_b32 vcc_lo, exec_lo, s41
	s_cbranch_vccnz .LBB15_9
; %bb.4:
	s_add_co_i32 s0, s40, 1
	s_cmp_eq_u32 s34, 2
	s_cbranch_scc1 .LBB15_10
; %bb.5:
	v_dual_mov_b32 v2, 0 :: v_dual_mov_b32 v4, 0
	v_mov_b32_e32 v1, v0
	s_and_b32 s26, s0, 28
	s_mov_b32 s20, 0
	s_mov_b64 s[28:29], s[16:17]
	s_mov_b64 s[30:31], s[24:25]
.LBB15_6:                               ; =>This Inner Loop Header: Depth=1
	s_clause 0x1
	s_load_b256 s[44:51], s[28:29], 0x4
	s_load_b128 s[60:63], s[28:29], 0x24
	s_load_b256 s[52:59], s[30:31], 0x0
	s_add_co_i32 s20, s20, 4
	s_wait_xcnt 0x0
	s_add_nc_u64 s[28:29], s[28:29], 48
	s_cmp_lg_u32 s26, s20
	s_add_nc_u64 s[30:31], s[30:31], 32
	s_wait_kmcnt 0x0
	v_mul_hi_u32 v3, s45, v1
	s_delay_alu instid0(VALU_DEP_1) | instskip(NEXT) | instid1(VALU_DEP_1)
	v_add_nc_u32_e32 v3, v1, v3
	v_lshrrev_b32_e32 v3, s46, v3
	s_delay_alu instid0(VALU_DEP_1) | instskip(NEXT) | instid1(VALU_DEP_1)
	v_mul_hi_u32 v5, s48, v3
	v_add_nc_u32_e32 v5, v3, v5
	s_delay_alu instid0(VALU_DEP_1) | instskip(NEXT) | instid1(VALU_DEP_1)
	v_lshrrev_b32_e32 v5, s49, v5
	v_mul_hi_u32 v6, s51, v5
	s_delay_alu instid0(VALU_DEP_1) | instskip(SKIP_1) | instid1(VALU_DEP_1)
	v_add_nc_u32_e32 v6, v5, v6
	v_mul_lo_u32 v7, v3, s44
	v_sub_nc_u32_e32 v1, v1, v7
	v_mul_lo_u32 v7, v5, s47
	s_delay_alu instid0(VALU_DEP_4) | instskip(NEXT) | instid1(VALU_DEP_3)
	v_lshrrev_b32_e32 v6, s60, v6
	v_mad_u32 v4, v1, s53, v4
	v_mad_u32 v1, v1, s52, v2
	s_delay_alu instid0(VALU_DEP_4) | instskip(NEXT) | instid1(VALU_DEP_4)
	v_sub_nc_u32_e32 v2, v3, v7
	v_mul_hi_u32 v8, s62, v6
	v_mul_lo_u32 v3, v6, s50
	s_delay_alu instid0(VALU_DEP_3) | instskip(SKIP_1) | instid1(VALU_DEP_3)
	v_mad_u32 v4, v2, s55, v4
	v_mad_u32 v2, v2, s54, v1
	v_dual_add_nc_u32 v7, v6, v8 :: v_dual_sub_nc_u32 v3, v5, v3
	s_delay_alu instid0(VALU_DEP_1) | instskip(NEXT) | instid1(VALU_DEP_2)
	v_lshrrev_b32_e32 v1, s63, v7
	v_mad_u32 v4, v3, s57, v4
	s_delay_alu instid0(VALU_DEP_4) | instskip(NEXT) | instid1(VALU_DEP_3)
	v_mad_u32 v2, v3, s56, v2
	v_mul_lo_u32 v5, v1, s61
	s_delay_alu instid0(VALU_DEP_1) | instskip(NEXT) | instid1(VALU_DEP_1)
	v_sub_nc_u32_e32 v3, v6, v5
	v_mad_u32 v4, v3, s59, v4
	s_delay_alu instid0(VALU_DEP_4)
	v_mad_u32 v2, v3, s58, v2
	s_cbranch_scc1 .LBB15_6
; %bb.7:
	s_delay_alu instid0(VALU_DEP_2)
	v_mov_b32_e32 v3, v4
	s_and_b32 s0, s0, 3
	s_mov_b32 s27, 0
	s_cmp_eq_u32 s0, 0
	s_cbranch_scc0 .LBB15_11
	s_branch .LBB15_14
.LBB15_8:
                                        ; implicit-def: $vgpr4
                                        ; implicit-def: $vgpr2
	s_branch .LBB15_15
.LBB15_9:
	v_dual_mov_b32 v4, 0 :: v_dual_mov_b32 v2, 0
	s_branch .LBB15_14
.LBB15_10:
	v_mov_b64_e32 v[2:3], 0
	v_mov_b32_e32 v1, v0
	s_mov_b32 s26, 0
                                        ; implicit-def: $vgpr4
	s_and_b32 s0, s0, 3
	s_mov_b32 s27, 0
	s_cmp_eq_u32 s0, 0
	s_cbranch_scc1 .LBB15_14
.LBB15_11:
	s_lshl_b32 s28, s26, 3
	s_mov_b32 s29, s27
	s_mul_u64 s[30:31], s[26:27], 12
	s_add_nc_u64 s[28:29], s[16:17], s[28:29]
	s_delay_alu instid0(SALU_CYCLE_1)
	s_add_nc_u64 s[26:27], s[28:29], 0xc4
	s_add_nc_u64 s[28:29], s[16:17], s[30:31]
.LBB15_12:                              ; =>This Inner Loop Header: Depth=1
	s_load_b96 s[44:46], s[28:29], 0x4
	s_load_b64 s[30:31], s[26:27], 0x0
	s_add_co_i32 s0, s0, -1
	s_wait_xcnt 0x0
	s_add_nc_u64 s[28:29], s[28:29], 12
	s_cmp_lg_u32 s0, 0
	s_add_nc_u64 s[26:27], s[26:27], 8
	s_wait_kmcnt 0x0
	v_mul_hi_u32 v4, s45, v1
	s_delay_alu instid0(VALU_DEP_1) | instskip(NEXT) | instid1(VALU_DEP_1)
	v_add_nc_u32_e32 v4, v1, v4
	v_lshrrev_b32_e32 v4, s46, v4
	s_delay_alu instid0(VALU_DEP_1) | instskip(NEXT) | instid1(VALU_DEP_1)
	v_mul_lo_u32 v5, v4, s44
	v_sub_nc_u32_e32 v1, v1, v5
	s_delay_alu instid0(VALU_DEP_1)
	v_mad_u32 v3, v1, s31, v3
	v_mad_u32 v2, v1, s30, v2
	v_mov_b32_e32 v1, v4
	s_cbranch_scc1 .LBB15_12
; %bb.13:
	s_delay_alu instid0(VALU_DEP_3)
	v_mov_b32_e32 v4, v3
.LBB15_14:
	s_cbranch_execnz .LBB15_17
.LBB15_15:
	v_mov_b32_e32 v1, 0
	s_and_not1_b32 vcc_lo, exec_lo, s38
	s_delay_alu instid0(VALU_DEP_1) | instskip(NEXT) | instid1(VALU_DEP_1)
	v_mul_u64_e32 v[2:3], s[18:19], v[0:1]
	v_add_nc_u32_e32 v2, v0, v3
	s_delay_alu instid0(VALU_DEP_1) | instskip(NEXT) | instid1(VALU_DEP_1)
	v_lshrrev_b32_e32 v6, s10, v2
	v_mul_lo_u32 v2, v6, s8
	s_delay_alu instid0(VALU_DEP_1) | instskip(NEXT) | instid1(VALU_DEP_1)
	v_sub_nc_u32_e32 v2, v0, v2
	v_mul_lo_u32 v4, v2, s13
	v_mul_lo_u32 v2, v2, s12
	s_cbranch_vccnz .LBB15_17
; %bb.16:
	v_mov_b32_e32 v7, v1
	s_delay_alu instid0(VALU_DEP_1) | instskip(NEXT) | instid1(VALU_DEP_1)
	v_mul_u64_e32 v[8:9], s[22:23], v[6:7]
	v_add_nc_u32_e32 v1, v6, v9
	s_delay_alu instid0(VALU_DEP_1) | instskip(NEXT) | instid1(VALU_DEP_1)
	v_lshrrev_b32_e32 v1, s21, v1
	v_mul_lo_u32 v1, v1, s11
	s_delay_alu instid0(VALU_DEP_1) | instskip(NEXT) | instid1(VALU_DEP_1)
	v_sub_nc_u32_e32 v1, v6, v1
	v_mad_u32 v2, v1, s14, v2
	v_mad_u32 v4, v1, s15, v4
.LBB15_17:
	v_mov_b32_e32 v5, 0
	s_and_b32 s0, 0xffff, s37
	s_delay_alu instid0(SALU_CYCLE_1) | instskip(NEXT) | instid1(VALU_DEP_1)
	s_cmp_lt_i32 s0, 11
	v_add_nc_u64_e32 v[4:5], s[6:7], v[4:5]
	s_cbranch_scc1 .LBB15_24
; %bb.18:
	s_cmp_gt_i32 s0, 25
	s_cbranch_scc0 .LBB15_33
; %bb.19:
	s_cmp_gt_i32 s0, 28
	s_cbranch_scc0 .LBB15_36
; %bb.20:
	s_cmp_gt_i32 s0, 43
	s_cbranch_scc0 .LBB15_38
; %bb.21:
	s_cmp_gt_i32 s0, 45
	s_cbranch_scc0 .LBB15_40
; %bb.22:
	s_cmp_eq_u32 s0, 46
	s_mov_b32 s27, 0
	s_cbranch_scc0 .LBB15_42
; %bb.23:
	global_load_b32 v1, v[4:5], off
	s_mov_b32 s20, -1
	s_mov_b32 s26, 0
	s_wait_loadcnt 0x0
	v_lshlrev_b32_e32 v1, 16, v1
	s_delay_alu instid0(VALU_DEP_1) | instskip(NEXT) | instid1(VALU_DEP_1)
	v_trunc_f32_e32 v1, v1
	v_mul_f32_e64 v3, 0x2f800000, |v1|
	s_delay_alu instid0(VALU_DEP_1) | instskip(NEXT) | instid1(VALU_DEP_1)
	v_floor_f32_e32 v3, v3
	v_fma_f32 v3, 0xcf800000, v3, |v1|
	v_ashrrev_i32_e32 v1, 31, v1
	s_delay_alu instid0(VALU_DEP_2) | instskip(NEXT) | instid1(VALU_DEP_1)
	v_cvt_u32_f32_e32 v3, v3
	v_xor_b32_e32 v3, v3, v1
	s_delay_alu instid0(VALU_DEP_1)
	v_sub_nc_u32_e32 v6, v3, v1
	s_branch .LBB15_44
.LBB15_24:
	s_mov_b32 s26, 0
	s_mov_b32 s20, 0
                                        ; implicit-def: $vgpr6
	s_cbranch_execnz .LBB15_213
.LBB15_25:
	s_and_not1_b32 vcc_lo, exec_lo, s20
	s_cbranch_vccnz .LBB15_260
.LBB15_26:
	s_wait_loadcnt 0x0
	s_delay_alu instid0(VALU_DEP_1) | instskip(SKIP_3) | instid1(VALU_DEP_2)
	v_and_b32_e32 v1, 0xff, v6
	v_mov_b32_e32 v3, 0
	s_and_b32 s0, s1, 0xff
	s_and_b32 s27, s2, 0xff
	v_cmp_ne_u16_e32 vcc_lo, s0, v1
	s_delay_alu instid0(VALU_DEP_2)
	v_add_nc_u64_e32 v[2:3], s[4:5], v[2:3]
	s_xor_b32 s20, s9, vcc_lo
	s_cmp_lt_i32 s27, 11
	s_cbranch_scc1 .LBB15_34
; %bb.27:
	s_and_b32 s28, 0xffff, s27
	s_delay_alu instid0(SALU_CYCLE_1)
	s_cmp_gt_i32 s28, 25
	s_cbranch_scc0 .LBB15_37
; %bb.28:
	s_cmp_gt_i32 s28, 28
	s_cbranch_scc0 .LBB15_39
; %bb.29:
	;; [unrolled: 3-line block ×4, first 2 shown]
	s_mov_b32 s30, 0
	s_mov_b32 s0, -1
	s_cmp_eq_u32 s28, 46
	s_mov_b32 s29, 0
	s_cbranch_scc0 .LBB15_48
; %bb.32:
	v_cndmask_b32_e64 v1, 0, 1.0, s20
	s_mov_b32 s29, -1
	s_mov_b32 s0, 0
	s_delay_alu instid0(VALU_DEP_1) | instskip(NEXT) | instid1(VALU_DEP_1)
	v_bfe_u32 v4, v1, 16, 1
	v_add3_u32 v1, v1, v4, 0x7fff
	s_delay_alu instid0(VALU_DEP_1)
	v_lshrrev_b32_e32 v1, 16, v1
	global_store_b32 v[2:3], v1, off
	s_branch .LBB15_48
.LBB15_33:
	s_mov_b32 s26, 0
	s_mov_b32 s20, 0
                                        ; implicit-def: $vgpr6
	s_cbranch_execnz .LBB15_180
	s_branch .LBB15_212
.LBB15_34:
	s_mov_b32 s0, 0
	s_mov_b32 s29, 0
	s_cbranch_execnz .LBB15_117
.LBB15_35:
	s_and_not1_b32 vcc_lo, exec_lo, s29
	s_cbranch_vccz .LBB15_155
	s_branch .LBB15_261
.LBB15_36:
	s_mov_b32 s27, -1
	s_mov_b32 s26, 0
	s_mov_b32 s20, 0
                                        ; implicit-def: $vgpr6
	s_branch .LBB15_163
.LBB15_37:
	s_mov_b32 s30, -1
	s_mov_b32 s0, 0
	s_mov_b32 s29, 0
	s_branch .LBB15_75
.LBB15_38:
	s_mov_b32 s27, -1
	s_mov_b32 s26, 0
	s_mov_b32 s20, 0
                                        ; implicit-def: $vgpr6
	s_branch .LBB15_158
.LBB15_39:
	s_mov_b32 s30, -1
	s_mov_b32 s0, 0
	s_mov_b32 s29, 0
	s_branch .LBB15_58
.LBB15_40:
	s_mov_b32 s27, -1
	s_mov_b32 s26, 0
	s_branch .LBB15_43
.LBB15_41:
	s_mov_b32 s30, -1
	s_mov_b32 s0, 0
	s_mov_b32 s29, 0
	s_branch .LBB15_54
.LBB15_42:
	s_mov_b32 s26, -1
.LBB15_43:
	s_mov_b32 s20, 0
                                        ; implicit-def: $vgpr6
.LBB15_44:
	s_and_b32 vcc_lo, exec_lo, s27
	s_cbranch_vccz .LBB15_157
; %bb.45:
	s_cmp_eq_u32 s0, 44
	s_cbranch_scc0 .LBB15_156
; %bb.46:
	global_load_u8 v1, v[4:5], off
	s_mov_b32 s26, 0
	s_mov_b32 s20, -1
	s_wait_loadcnt 0x0
	v_lshlrev_b32_e32 v3, 23, v1
	v_cmp_ne_u32_e32 vcc_lo, 0, v1
	s_delay_alu instid0(VALU_DEP_2) | instskip(NEXT) | instid1(VALU_DEP_1)
	v_trunc_f32_e32 v3, v3
	v_mul_f32_e64 v6, 0x2f800000, |v3|
	s_delay_alu instid0(VALU_DEP_1) | instskip(NEXT) | instid1(VALU_DEP_1)
	v_floor_f32_e32 v6, v6
	v_fma_f32 v6, 0xcf800000, v6, |v3|
	v_ashrrev_i32_e32 v3, 31, v3
	s_delay_alu instid0(VALU_DEP_2) | instskip(NEXT) | instid1(VALU_DEP_1)
	v_cvt_u32_f32_e32 v6, v6
	v_xor_b32_e32 v6, v6, v3
	s_delay_alu instid0(VALU_DEP_1) | instskip(NEXT) | instid1(VALU_DEP_1)
	v_sub_nc_u32_e32 v3, v6, v3
	v_cndmask_b32_e32 v6, 0, v3, vcc_lo
	s_branch .LBB15_157
.LBB15_47:
	s_mov_b32 s30, -1
	s_mov_b32 s0, 0
	s_mov_b32 s29, 0
.LBB15_48:
	s_and_b32 vcc_lo, exec_lo, s30
	s_cbranch_vccz .LBB15_53
; %bb.49:
	s_cmp_eq_u32 s28, 44
	s_mov_b32 s0, -1
	s_cbranch_scc0 .LBB15_53
; %bb.50:
	v_cndmask_b32_e64 v5, 0, 1.0, s20
	s_mov_b32 s29, exec_lo
	s_wait_xcnt 0x0
	s_delay_alu instid0(VALU_DEP_1) | instskip(NEXT) | instid1(VALU_DEP_1)
	v_dual_mov_b32 v4, 0xff :: v_dual_lshrrev_b32 v1, 23, v5
	v_cmpx_ne_u32_e32 0xff, v1
; %bb.51:
	v_and_b32_e32 v4, 0x400000, v5
	v_and_or_b32 v5, 0x3fffff, v5, v1
	s_delay_alu instid0(VALU_DEP_2) | instskip(NEXT) | instid1(VALU_DEP_2)
	v_cmp_ne_u32_e32 vcc_lo, 0, v4
	v_cmp_ne_u32_e64 s0, 0, v5
	s_and_b32 s0, vcc_lo, s0
	s_delay_alu instid0(SALU_CYCLE_1) | instskip(NEXT) | instid1(VALU_DEP_1)
	v_cndmask_b32_e64 v4, 0, 1, s0
	v_add_nc_u32_e32 v4, v1, v4
; %bb.52:
	s_or_b32 exec_lo, exec_lo, s29
	s_mov_b32 s29, -1
	s_mov_b32 s0, 0
	global_store_b8 v[2:3], v4, off
.LBB15_53:
	s_mov_b32 s30, 0
.LBB15_54:
	s_delay_alu instid0(SALU_CYCLE_1)
	s_and_b32 vcc_lo, exec_lo, s30
	s_cbranch_vccz .LBB15_57
; %bb.55:
	s_cmp_eq_u32 s28, 29
	s_mov_b32 s0, -1
	s_cbranch_scc0 .LBB15_57
; %bb.56:
	s_mov_b32 s0, 0
	s_wait_xcnt 0x0
	v_cndmask_b32_e64 v4, 0, 1, s20
	v_mov_b32_e32 v5, s0
	s_mov_b32 s29, -1
	s_mov_b32 s30, 0
	global_store_b64 v[2:3], v[4:5], off
	s_branch .LBB15_58
.LBB15_57:
	s_mov_b32 s30, 0
.LBB15_58:
	s_delay_alu instid0(SALU_CYCLE_1)
	s_and_b32 vcc_lo, exec_lo, s30
	s_cbranch_vccz .LBB15_74
; %bb.59:
	s_cmp_lt_i32 s28, 27
	s_mov_b32 s29, -1
	s_cbranch_scc1 .LBB15_65
; %bb.60:
	s_cmp_gt_i32 s28, 27
	s_cbranch_scc0 .LBB15_62
; %bb.61:
	s_wait_xcnt 0x0
	v_cndmask_b32_e64 v1, 0, 1, s20
	s_mov_b32 s29, 0
	global_store_b32 v[2:3], v1, off
.LBB15_62:
	s_and_not1_b32 vcc_lo, exec_lo, s29
	s_cbranch_vccnz .LBB15_64
; %bb.63:
	s_wait_xcnt 0x0
	v_cndmask_b32_e64 v1, 0, 1, s20
	global_store_b16 v[2:3], v1, off
.LBB15_64:
	s_mov_b32 s29, 0
.LBB15_65:
	s_delay_alu instid0(SALU_CYCLE_1)
	s_and_not1_b32 vcc_lo, exec_lo, s29
	s_cbranch_vccnz .LBB15_73
; %bb.66:
	s_wait_xcnt 0x0
	v_cndmask_b32_e64 v4, 0, 1.0, s20
	v_mov_b32_e32 v5, 0x80
	s_mov_b32 s29, exec_lo
	s_delay_alu instid0(VALU_DEP_2)
	v_cmpx_gt_u32_e32 0x43800000, v4
	s_cbranch_execz .LBB15_72
; %bb.67:
	s_mov_b32 s30, 0
	s_mov_b32 s31, exec_lo
                                        ; implicit-def: $vgpr1
	v_cmpx_lt_u32_e32 0x3bffffff, v4
	s_xor_b32 s31, exec_lo, s31
	s_cbranch_execz .LBB15_306
; %bb.68:
	v_bfe_u32 v1, v4, 20, 1
	s_mov_b32 s30, exec_lo
	s_delay_alu instid0(VALU_DEP_1) | instskip(NEXT) | instid1(VALU_DEP_1)
	v_add3_u32 v1, v4, v1, 0x487ffff
                                        ; implicit-def: $vgpr4
	v_lshrrev_b32_e32 v1, 20, v1
	s_and_not1_saveexec_b32 s31, s31
	s_cbranch_execnz .LBB15_307
.LBB15_69:
	s_or_b32 exec_lo, exec_lo, s31
	v_mov_b32_e32 v5, 0
	s_and_saveexec_b32 s31, s30
.LBB15_70:
	v_mov_b32_e32 v5, v1
.LBB15_71:
	s_or_b32 exec_lo, exec_lo, s31
.LBB15_72:
	s_delay_alu instid0(SALU_CYCLE_1)
	s_or_b32 exec_lo, exec_lo, s29
	global_store_b8 v[2:3], v5, off
.LBB15_73:
	s_mov_b32 s29, -1
.LBB15_74:
	s_mov_b32 s30, 0
.LBB15_75:
	s_delay_alu instid0(SALU_CYCLE_1)
	s_and_b32 vcc_lo, exec_lo, s30
	s_cbranch_vccz .LBB15_116
; %bb.76:
	s_cmp_gt_i32 s28, 22
	s_mov_b32 s30, -1
	s_cbranch_scc0 .LBB15_108
; %bb.77:
	s_cmp_lt_i32 s28, 24
	s_mov_b32 s29, -1
	s_cbranch_scc1 .LBB15_97
; %bb.78:
	s_cmp_gt_i32 s28, 24
	s_cbranch_scc0 .LBB15_86
; %bb.79:
	s_wait_xcnt 0x0
	v_cndmask_b32_e64 v4, 0, 1.0, s20
	v_mov_b32_e32 v5, 0x80
	s_mov_b32 s29, exec_lo
	s_delay_alu instid0(VALU_DEP_2)
	v_cmpx_gt_u32_e32 0x47800000, v4
	s_cbranch_execz .LBB15_85
; %bb.80:
	s_mov_b32 s30, 0
	s_mov_b32 s31, exec_lo
                                        ; implicit-def: $vgpr1
	v_cmpx_lt_u32_e32 0x37ffffff, v4
	s_xor_b32 s31, exec_lo, s31
	s_cbranch_execz .LBB15_310
; %bb.81:
	v_bfe_u32 v1, v4, 21, 1
	s_mov_b32 s30, exec_lo
	s_delay_alu instid0(VALU_DEP_1) | instskip(NEXT) | instid1(VALU_DEP_1)
	v_add3_u32 v1, v4, v1, 0x88fffff
                                        ; implicit-def: $vgpr4
	v_lshrrev_b32_e32 v1, 21, v1
	s_and_not1_saveexec_b32 s31, s31
	s_cbranch_execnz .LBB15_311
.LBB15_82:
	s_or_b32 exec_lo, exec_lo, s31
	v_mov_b32_e32 v5, 0
	s_and_saveexec_b32 s31, s30
.LBB15_83:
	v_mov_b32_e32 v5, v1
.LBB15_84:
	s_or_b32 exec_lo, exec_lo, s31
.LBB15_85:
	s_delay_alu instid0(SALU_CYCLE_1)
	s_or_b32 exec_lo, exec_lo, s29
	s_mov_b32 s29, 0
	global_store_b8 v[2:3], v5, off
.LBB15_86:
	s_and_b32 vcc_lo, exec_lo, s29
	s_cbranch_vccz .LBB15_96
; %bb.87:
	s_wait_xcnt 0x0
	v_cndmask_b32_e64 v4, 0, 1.0, s20
	s_mov_b32 s29, exec_lo
                                        ; implicit-def: $vgpr1
	s_delay_alu instid0(VALU_DEP_1)
	v_cmpx_gt_u32_e32 0x43f00000, v4
	s_xor_b32 s29, exec_lo, s29
	s_cbranch_execz .LBB15_93
; %bb.88:
	s_mov_b32 s30, exec_lo
                                        ; implicit-def: $vgpr1
	v_cmpx_lt_u32_e32 0x3c7fffff, v4
	s_xor_b32 s30, exec_lo, s30
; %bb.89:
	v_bfe_u32 v1, v4, 20, 1
	s_delay_alu instid0(VALU_DEP_1) | instskip(NEXT) | instid1(VALU_DEP_1)
	v_add3_u32 v1, v4, v1, 0x407ffff
	v_and_b32_e32 v4, 0xff00000, v1
	v_lshrrev_b32_e32 v1, 20, v1
	s_delay_alu instid0(VALU_DEP_2) | instskip(NEXT) | instid1(VALU_DEP_2)
	v_cmp_ne_u32_e32 vcc_lo, 0x7f00000, v4
                                        ; implicit-def: $vgpr4
	v_cndmask_b32_e32 v1, 0x7e, v1, vcc_lo
; %bb.90:
	s_and_not1_saveexec_b32 s30, s30
; %bb.91:
	v_add_f32_e32 v1, 0x46800000, v4
; %bb.92:
	s_or_b32 exec_lo, exec_lo, s30
                                        ; implicit-def: $vgpr4
.LBB15_93:
	s_and_not1_saveexec_b32 s29, s29
; %bb.94:
	v_mov_b32_e32 v1, 0x7f
	v_cmp_lt_u32_e32 vcc_lo, 0x7f800000, v4
	s_delay_alu instid0(VALU_DEP_2)
	v_cndmask_b32_e32 v1, 0x7e, v1, vcc_lo
; %bb.95:
	s_or_b32 exec_lo, exec_lo, s29
	global_store_b8 v[2:3], v1, off
.LBB15_96:
	s_mov_b32 s29, 0
.LBB15_97:
	s_delay_alu instid0(SALU_CYCLE_1)
	s_and_not1_b32 vcc_lo, exec_lo, s29
	s_cbranch_vccnz .LBB15_107
; %bb.98:
	s_wait_xcnt 0x0
	v_cndmask_b32_e64 v4, 0, 1.0, s20
	s_mov_b32 s29, exec_lo
                                        ; implicit-def: $vgpr1
	s_delay_alu instid0(VALU_DEP_1)
	v_cmpx_gt_u32_e32 0x47800000, v4
	s_xor_b32 s29, exec_lo, s29
	s_cbranch_execz .LBB15_104
; %bb.99:
	s_mov_b32 s30, exec_lo
                                        ; implicit-def: $vgpr1
	v_cmpx_lt_u32_e32 0x387fffff, v4
	s_xor_b32 s30, exec_lo, s30
; %bb.100:
	v_bfe_u32 v1, v4, 21, 1
	s_delay_alu instid0(VALU_DEP_1) | instskip(NEXT) | instid1(VALU_DEP_1)
	v_add3_u32 v1, v4, v1, 0x80fffff
                                        ; implicit-def: $vgpr4
	v_lshrrev_b32_e32 v1, 21, v1
; %bb.101:
	s_and_not1_saveexec_b32 s30, s30
; %bb.102:
	v_add_f32_e32 v1, 0x43000000, v4
; %bb.103:
	s_or_b32 exec_lo, exec_lo, s30
                                        ; implicit-def: $vgpr4
.LBB15_104:
	s_and_not1_saveexec_b32 s29, s29
; %bb.105:
	v_mov_b32_e32 v1, 0x7f
	v_cmp_lt_u32_e32 vcc_lo, 0x7f800000, v4
	s_delay_alu instid0(VALU_DEP_2)
	v_cndmask_b32_e32 v1, 0x7c, v1, vcc_lo
; %bb.106:
	s_or_b32 exec_lo, exec_lo, s29
	global_store_b8 v[2:3], v1, off
.LBB15_107:
	s_mov_b32 s30, 0
	s_mov_b32 s29, -1
.LBB15_108:
	s_and_not1_b32 vcc_lo, exec_lo, s30
	s_cbranch_vccnz .LBB15_116
; %bb.109:
	s_cmp_gt_i32 s28, 14
	s_mov_b32 s30, -1
	s_cbranch_scc0 .LBB15_113
; %bb.110:
	s_cmp_eq_u32 s28, 15
	s_mov_b32 s0, -1
	s_cbranch_scc0 .LBB15_112
; %bb.111:
	s_wait_xcnt 0x0
	v_cndmask_b32_e64 v1, 0, 1.0, s20
	s_mov_b32 s29, -1
	s_mov_b32 s0, 0
	s_delay_alu instid0(VALU_DEP_1) | instskip(NEXT) | instid1(VALU_DEP_1)
	v_bfe_u32 v4, v1, 16, 1
	v_add3_u32 v1, v1, v4, 0x7fff
	global_store_d16_hi_b16 v[2:3], v1, off
.LBB15_112:
	s_mov_b32 s30, 0
.LBB15_113:
	s_delay_alu instid0(SALU_CYCLE_1)
	s_and_b32 vcc_lo, exec_lo, s30
	s_cbranch_vccz .LBB15_116
; %bb.114:
	s_cmp_eq_u32 s28, 11
	s_mov_b32 s0, -1
	s_cbranch_scc0 .LBB15_116
; %bb.115:
	s_wait_xcnt 0x0
	v_cndmask_b32_e64 v1, 0, 1, s20
	s_mov_b32 s29, -1
	s_mov_b32 s0, 0
	global_store_b8 v[2:3], v1, off
.LBB15_116:
	s_branch .LBB15_35
.LBB15_117:
	s_and_b32 s27, 0xffff, s27
	s_mov_b32 s28, -1
	s_cmp_lt_i32 s27, 5
	s_cbranch_scc1 .LBB15_138
; %bb.118:
	s_cmp_lt_i32 s27, 8
	s_cbranch_scc1 .LBB15_128
; %bb.119:
	;; [unrolled: 3-line block ×3, first 2 shown]
	s_cmp_gt_i32 s27, 9
	s_cbranch_scc0 .LBB15_122
; %bb.121:
	s_wait_xcnt 0x0
	v_cndmask_b32_e64 v1, 0, 1, s20
	v_mov_b32_e32 v6, 0
	s_mov_b32 s28, 0
	s_delay_alu instid0(VALU_DEP_2) | instskip(NEXT) | instid1(VALU_DEP_2)
	v_cvt_f64_u32_e32 v[4:5], v1
	v_mov_b32_e32 v7, v6
	global_store_b128 v[2:3], v[4:7], off
.LBB15_122:
	s_and_not1_b32 vcc_lo, exec_lo, s28
	s_cbranch_vccnz .LBB15_124
; %bb.123:
	s_wait_xcnt 0x0
	v_cndmask_b32_e64 v4, 0, 1.0, s20
	v_mov_b32_e32 v5, 0
	global_store_b64 v[2:3], v[4:5], off
.LBB15_124:
	s_mov_b32 s28, 0
.LBB15_125:
	s_delay_alu instid0(SALU_CYCLE_1)
	s_and_not1_b32 vcc_lo, exec_lo, s28
	s_cbranch_vccnz .LBB15_127
; %bb.126:
	s_wait_xcnt 0x0
	v_cndmask_b32_e64 v1, 0, 1.0, s20
	s_delay_alu instid0(VALU_DEP_1) | instskip(NEXT) | instid1(VALU_DEP_1)
	v_cvt_f16_f32_e32 v1, v1
	v_and_b32_e32 v1, 0xffff, v1
	global_store_b32 v[2:3], v1, off
.LBB15_127:
	s_mov_b32 s28, 0
.LBB15_128:
	s_delay_alu instid0(SALU_CYCLE_1)
	s_and_not1_b32 vcc_lo, exec_lo, s28
	s_cbranch_vccnz .LBB15_137
; %bb.129:
	s_cmp_lt_i32 s27, 6
	s_mov_b32 s28, -1
	s_cbranch_scc1 .LBB15_135
; %bb.130:
	s_cmp_gt_i32 s27, 6
	s_cbranch_scc0 .LBB15_132
; %bb.131:
	s_wait_xcnt 0x0
	v_cndmask_b32_e64 v1, 0, 1, s20
	s_mov_b32 s28, 0
	s_delay_alu instid0(VALU_DEP_1)
	v_cvt_f64_u32_e32 v[4:5], v1
	global_store_b64 v[2:3], v[4:5], off
.LBB15_132:
	s_and_not1_b32 vcc_lo, exec_lo, s28
	s_cbranch_vccnz .LBB15_134
; %bb.133:
	s_wait_xcnt 0x0
	v_cndmask_b32_e64 v1, 0, 1.0, s20
	global_store_b32 v[2:3], v1, off
.LBB15_134:
	s_mov_b32 s28, 0
.LBB15_135:
	s_delay_alu instid0(SALU_CYCLE_1)
	s_and_not1_b32 vcc_lo, exec_lo, s28
	s_cbranch_vccnz .LBB15_137
; %bb.136:
	s_wait_xcnt 0x0
	v_cndmask_b32_e64 v1, 0, 1.0, s20
	s_delay_alu instid0(VALU_DEP_1)
	v_cvt_f16_f32_e32 v1, v1
	global_store_b16 v[2:3], v1, off
.LBB15_137:
	s_mov_b32 s28, 0
.LBB15_138:
	s_delay_alu instid0(SALU_CYCLE_1)
	s_and_not1_b32 vcc_lo, exec_lo, s28
	s_cbranch_vccnz .LBB15_154
; %bb.139:
	s_cmp_lt_i32 s27, 2
	s_mov_b32 s28, -1
	s_cbranch_scc1 .LBB15_149
; %bb.140:
	s_cmp_lt_i32 s27, 3
	s_cbranch_scc1 .LBB15_146
; %bb.141:
	s_cmp_gt_i32 s27, 3
	s_cbranch_scc0 .LBB15_143
; %bb.142:
	s_mov_b32 s28, 0
	s_wait_xcnt 0x0
	v_cndmask_b32_e64 v4, 0, 1, s20
	v_mov_b32_e32 v5, s28
	global_store_b64 v[2:3], v[4:5], off
.LBB15_143:
	s_and_not1_b32 vcc_lo, exec_lo, s28
	s_cbranch_vccnz .LBB15_145
; %bb.144:
	s_wait_xcnt 0x0
	v_cndmask_b32_e64 v1, 0, 1, s20
	global_store_b32 v[2:3], v1, off
.LBB15_145:
	s_mov_b32 s28, 0
.LBB15_146:
	s_delay_alu instid0(SALU_CYCLE_1)
	s_and_not1_b32 vcc_lo, exec_lo, s28
	s_cbranch_vccnz .LBB15_148
; %bb.147:
	s_wait_xcnt 0x0
	v_cndmask_b32_e64 v1, 0, 1, s20
	global_store_b16 v[2:3], v1, off
.LBB15_148:
	s_mov_b32 s28, 0
.LBB15_149:
	s_delay_alu instid0(SALU_CYCLE_1)
	s_and_not1_b32 vcc_lo, exec_lo, s28
	s_cbranch_vccnz .LBB15_154
; %bb.150:
	s_cmp_gt_i32 s27, 0
	s_mov_b32 s27, -1
	s_cbranch_scc0 .LBB15_152
; %bb.151:
	s_wait_xcnt 0x0
	v_cndmask_b32_e64 v1, 0, 1, s20
	s_mov_b32 s27, 0
	global_store_b8 v[2:3], v1, off
.LBB15_152:
	s_and_not1_b32 vcc_lo, exec_lo, s27
	s_cbranch_vccnz .LBB15_154
; %bb.153:
	s_wait_xcnt 0x0
	v_cndmask_b32_e64 v1, 0, 1, s20
	global_store_b8 v[2:3], v1, off
.LBB15_154:
.LBB15_155:
	v_add_nc_u32_e32 v0, 0x80, v0
	s_mov_b32 s27, -1
	s_branch .LBB15_262
.LBB15_156:
	s_mov_b32 s26, -1
                                        ; implicit-def: $vgpr6
.LBB15_157:
	s_mov_b32 s27, 0
.LBB15_158:
	s_delay_alu instid0(SALU_CYCLE_1)
	s_and_b32 vcc_lo, exec_lo, s27
	s_cbranch_vccz .LBB15_162
; %bb.159:
	s_cmp_eq_u32 s0, 29
	s_cbranch_scc0 .LBB15_161
; %bb.160:
	global_load_b64 v[6:7], v[4:5], off
	s_mov_b32 s20, -1
	s_mov_b32 s26, 0
	s_branch .LBB15_162
.LBB15_161:
	s_mov_b32 s26, -1
                                        ; implicit-def: $vgpr6
.LBB15_162:
	s_mov_b32 s27, 0
.LBB15_163:
	s_delay_alu instid0(SALU_CYCLE_1)
	s_and_b32 vcc_lo, exec_lo, s27
	s_cbranch_vccz .LBB15_179
; %bb.164:
	s_cmp_lt_i32 s0, 27
	s_cbranch_scc1 .LBB15_167
; %bb.165:
	s_cmp_gt_i32 s0, 27
	s_cbranch_scc0 .LBB15_168
; %bb.166:
	s_wait_loadcnt 0x0
	global_load_b32 v6, v[4:5], off
	s_mov_b32 s20, 0
	s_branch .LBB15_169
.LBB15_167:
	s_mov_b32 s20, -1
                                        ; implicit-def: $vgpr6
	s_branch .LBB15_172
.LBB15_168:
	s_mov_b32 s20, -1
                                        ; implicit-def: $vgpr6
.LBB15_169:
	s_delay_alu instid0(SALU_CYCLE_1)
	s_and_not1_b32 vcc_lo, exec_lo, s20
	s_cbranch_vccnz .LBB15_171
; %bb.170:
	s_wait_loadcnt 0x0
	global_load_u16 v6, v[4:5], off
.LBB15_171:
	s_mov_b32 s20, 0
.LBB15_172:
	s_delay_alu instid0(SALU_CYCLE_1)
	s_and_not1_b32 vcc_lo, exec_lo, s20
	s_cbranch_vccnz .LBB15_178
; %bb.173:
	global_load_u8 v1, v[4:5], off
	s_mov_b32 s27, 0
	s_mov_b32 s20, exec_lo
	s_wait_loadcnt 0x0
	v_cmpx_lt_i16_e32 0x7f, v1
	s_xor_b32 s20, exec_lo, s20
	s_cbranch_execz .LBB15_189
; %bb.174:
	v_cmp_ne_u16_e32 vcc_lo, 0x80, v1
	s_and_b32 s27, vcc_lo, exec_lo
	s_and_not1_saveexec_b32 s20, s20
	s_cbranch_execnz .LBB15_190
.LBB15_175:
	s_or_b32 exec_lo, exec_lo, s20
	v_mov_b32_e32 v6, 0
	s_and_saveexec_b32 s20, s27
	s_cbranch_execz .LBB15_177
.LBB15_176:
	v_and_b32_e32 v3, 0xffff, v1
	s_delay_alu instid0(VALU_DEP_1) | instskip(SKIP_1) | instid1(VALU_DEP_2)
	v_dual_lshlrev_b32 v1, 24, v1 :: v_dual_bitop2_b32 v6, 7, v3 bitop3:0x40
	v_bfe_u32 v9, v3, 3, 4
	v_and_b32_e32 v1, 0x80000000, v1
	s_delay_alu instid0(VALU_DEP_3) | instskip(NEXT) | instid1(VALU_DEP_3)
	v_clz_i32_u32_e32 v7, v6
	v_cmp_eq_u32_e32 vcc_lo, 0, v9
	s_delay_alu instid0(VALU_DEP_2) | instskip(NEXT) | instid1(VALU_DEP_1)
	v_min_u32_e32 v7, 32, v7
	v_subrev_nc_u32_e32 v8, 28, v7
	v_sub_nc_u32_e32 v7, 29, v7
	s_delay_alu instid0(VALU_DEP_2) | instskip(NEXT) | instid1(VALU_DEP_2)
	v_lshlrev_b32_e32 v3, v8, v3
	v_cndmask_b32_e32 v7, v9, v7, vcc_lo
	s_delay_alu instid0(VALU_DEP_2) | instskip(NEXT) | instid1(VALU_DEP_1)
	v_and_b32_e32 v3, 7, v3
	v_cndmask_b32_e32 v3, v6, v3, vcc_lo
	s_delay_alu instid0(VALU_DEP_3) | instskip(NEXT) | instid1(VALU_DEP_2)
	v_lshl_add_u32 v6, v7, 23, 0x3b800000
	v_lshlrev_b32_e32 v3, 20, v3
	s_delay_alu instid0(VALU_DEP_1) | instskip(NEXT) | instid1(VALU_DEP_1)
	v_or3_b32 v1, v1, v6, v3
	v_trunc_f32_e32 v1, v1
	s_delay_alu instid0(VALU_DEP_1) | instskip(NEXT) | instid1(VALU_DEP_1)
	v_mul_f32_e64 v3, 0x2f800000, |v1|
	v_floor_f32_e32 v3, v3
	s_delay_alu instid0(VALU_DEP_1) | instskip(SKIP_1) | instid1(VALU_DEP_2)
	v_fma_f32 v3, 0xcf800000, v3, |v1|
	v_ashrrev_i32_e32 v1, 31, v1
	v_cvt_u32_f32_e32 v3, v3
	s_delay_alu instid0(VALU_DEP_1) | instskip(NEXT) | instid1(VALU_DEP_1)
	v_xor_b32_e32 v3, v3, v1
	v_sub_nc_u32_e32 v6, v3, v1
.LBB15_177:
	s_or_b32 exec_lo, exec_lo, s20
.LBB15_178:
	s_mov_b32 s20, -1
.LBB15_179:
	s_branch .LBB15_212
.LBB15_180:
	s_cmp_gt_i32 s0, 22
	s_cbranch_scc0 .LBB15_188
; %bb.181:
	s_cmp_lt_i32 s0, 24
	s_cbranch_scc1 .LBB15_191
; %bb.182:
	s_cmp_gt_i32 s0, 24
	s_cbranch_scc0 .LBB15_192
; %bb.183:
	global_load_u8 v1, v[4:5], off
	s_mov_b32 s27, 0
	s_mov_b32 s20, exec_lo
	s_wait_loadcnt 0x0
	v_cmpx_lt_i16_e32 0x7f, v1
	s_xor_b32 s20, exec_lo, s20
	s_cbranch_execz .LBB15_204
; %bb.184:
	v_cmp_ne_u16_e32 vcc_lo, 0x80, v1
	s_and_b32 s27, vcc_lo, exec_lo
	s_and_not1_saveexec_b32 s20, s20
	s_cbranch_execnz .LBB15_205
.LBB15_185:
	s_or_b32 exec_lo, exec_lo, s20
	v_mov_b32_e32 v6, 0
	s_and_saveexec_b32 s20, s27
	s_cbranch_execz .LBB15_187
.LBB15_186:
	v_and_b32_e32 v3, 0xffff, v1
	s_delay_alu instid0(VALU_DEP_1) | instskip(SKIP_1) | instid1(VALU_DEP_2)
	v_dual_lshlrev_b32 v1, 24, v1 :: v_dual_bitop2_b32 v6, 3, v3 bitop3:0x40
	v_bfe_u32 v9, v3, 2, 5
	v_and_b32_e32 v1, 0x80000000, v1
	s_delay_alu instid0(VALU_DEP_3) | instskip(NEXT) | instid1(VALU_DEP_3)
	v_clz_i32_u32_e32 v7, v6
	v_cmp_eq_u32_e32 vcc_lo, 0, v9
	s_delay_alu instid0(VALU_DEP_2) | instskip(NEXT) | instid1(VALU_DEP_1)
	v_min_u32_e32 v7, 32, v7
	v_subrev_nc_u32_e32 v8, 29, v7
	v_sub_nc_u32_e32 v7, 30, v7
	s_delay_alu instid0(VALU_DEP_2) | instskip(NEXT) | instid1(VALU_DEP_2)
	v_lshlrev_b32_e32 v3, v8, v3
	v_cndmask_b32_e32 v7, v9, v7, vcc_lo
	s_delay_alu instid0(VALU_DEP_2) | instskip(NEXT) | instid1(VALU_DEP_1)
	v_and_b32_e32 v3, 3, v3
	v_cndmask_b32_e32 v3, v6, v3, vcc_lo
	s_delay_alu instid0(VALU_DEP_3) | instskip(NEXT) | instid1(VALU_DEP_2)
	v_lshl_add_u32 v6, v7, 23, 0x37800000
	v_lshlrev_b32_e32 v3, 21, v3
	s_delay_alu instid0(VALU_DEP_1) | instskip(NEXT) | instid1(VALU_DEP_1)
	v_or3_b32 v1, v1, v6, v3
	v_trunc_f32_e32 v1, v1
	s_delay_alu instid0(VALU_DEP_1) | instskip(NEXT) | instid1(VALU_DEP_1)
	v_mul_f32_e64 v3, 0x2f800000, |v1|
	v_floor_f32_e32 v3, v3
	s_delay_alu instid0(VALU_DEP_1) | instskip(SKIP_1) | instid1(VALU_DEP_2)
	v_fma_f32 v3, 0xcf800000, v3, |v1|
	v_ashrrev_i32_e32 v1, 31, v1
	v_cvt_u32_f32_e32 v3, v3
	s_delay_alu instid0(VALU_DEP_1) | instskip(NEXT) | instid1(VALU_DEP_1)
	v_xor_b32_e32 v3, v3, v1
	v_sub_nc_u32_e32 v6, v3, v1
.LBB15_187:
	s_or_b32 exec_lo, exec_lo, s20
	s_mov_b32 s20, 0
	s_branch .LBB15_193
.LBB15_188:
	s_mov_b32 s27, -1
                                        ; implicit-def: $vgpr6
	s_branch .LBB15_199
.LBB15_189:
	s_and_not1_saveexec_b32 s20, s20
	s_cbranch_execz .LBB15_175
.LBB15_190:
	v_cmp_ne_u16_e32 vcc_lo, 0, v1
	s_and_not1_b32 s27, s27, exec_lo
	s_and_b32 s28, vcc_lo, exec_lo
	s_delay_alu instid0(SALU_CYCLE_1)
	s_or_b32 s27, s27, s28
	s_or_b32 exec_lo, exec_lo, s20
	v_mov_b32_e32 v6, 0
	s_and_saveexec_b32 s20, s27
	s_cbranch_execnz .LBB15_176
	s_branch .LBB15_177
.LBB15_191:
	s_mov_b32 s20, -1
                                        ; implicit-def: $vgpr6
	s_branch .LBB15_196
.LBB15_192:
	s_mov_b32 s20, -1
                                        ; implicit-def: $vgpr6
.LBB15_193:
	s_delay_alu instid0(SALU_CYCLE_1)
	s_and_b32 vcc_lo, exec_lo, s20
	s_cbranch_vccz .LBB15_195
; %bb.194:
	global_load_u8 v1, v[4:5], off
	s_wait_loadcnt 0x0
	v_lshlrev_b32_e32 v1, 24, v1
	s_delay_alu instid0(VALU_DEP_1) | instskip(NEXT) | instid1(VALU_DEP_1)
	v_and_b32_e32 v3, 0x7f000000, v1
	v_clz_i32_u32_e32 v6, v3
	v_cmp_ne_u32_e32 vcc_lo, 0, v3
	v_add_nc_u32_e32 v8, 0x1000000, v3
	s_delay_alu instid0(VALU_DEP_3) | instskip(NEXT) | instid1(VALU_DEP_1)
	v_min_u32_e32 v6, 32, v6
	v_sub_nc_u32_e64 v6, v6, 4 clamp
	s_delay_alu instid0(VALU_DEP_1) | instskip(NEXT) | instid1(VALU_DEP_1)
	v_dual_lshlrev_b32 v7, v6, v3 :: v_dual_lshlrev_b32 v6, 23, v6
	v_lshrrev_b32_e32 v7, 4, v7
	s_delay_alu instid0(VALU_DEP_1) | instskip(NEXT) | instid1(VALU_DEP_1)
	v_dual_sub_nc_u32 v6, v7, v6 :: v_dual_ashrrev_i32 v7, 8, v8
	v_add_nc_u32_e32 v6, 0x3c000000, v6
	s_delay_alu instid0(VALU_DEP_1) | instskip(NEXT) | instid1(VALU_DEP_1)
	v_and_or_b32 v6, 0x7f800000, v7, v6
	v_cndmask_b32_e32 v3, 0, v6, vcc_lo
	s_delay_alu instid0(VALU_DEP_1) | instskip(NEXT) | instid1(VALU_DEP_1)
	v_and_or_b32 v1, 0x80000000, v1, v3
	v_trunc_f32_e32 v1, v1
	s_delay_alu instid0(VALU_DEP_1) | instskip(NEXT) | instid1(VALU_DEP_1)
	v_mul_f32_e64 v3, 0x2f800000, |v1|
	v_floor_f32_e32 v3, v3
	s_delay_alu instid0(VALU_DEP_1) | instskip(SKIP_1) | instid1(VALU_DEP_2)
	v_fma_f32 v3, 0xcf800000, v3, |v1|
	v_ashrrev_i32_e32 v1, 31, v1
	v_cvt_u32_f32_e32 v3, v3
	s_delay_alu instid0(VALU_DEP_1) | instskip(NEXT) | instid1(VALU_DEP_1)
	v_xor_b32_e32 v3, v3, v1
	v_sub_nc_u32_e32 v6, v3, v1
.LBB15_195:
	s_mov_b32 s20, 0
.LBB15_196:
	s_delay_alu instid0(SALU_CYCLE_1)
	s_and_not1_b32 vcc_lo, exec_lo, s20
	s_cbranch_vccnz .LBB15_198
; %bb.197:
	global_load_u8 v1, v[4:5], off
	s_wait_loadcnt 0x0
	v_lshlrev_b32_e32 v3, 25, v1
	v_lshlrev_b16 v1, 8, v1
	s_delay_alu instid0(VALU_DEP_1) | instskip(SKIP_1) | instid1(VALU_DEP_2)
	v_and_or_b32 v7, 0x7f00, v1, 0.5
	v_bfe_i32 v1, v1, 0, 16
	v_add_f32_e32 v7, -0.5, v7
	v_lshrrev_b32_e32 v6, 4, v3
	v_cmp_gt_u32_e32 vcc_lo, 0x8000000, v3
	s_delay_alu instid0(VALU_DEP_2) | instskip(NEXT) | instid1(VALU_DEP_1)
	v_or_b32_e32 v6, 0x70000000, v6
	v_mul_f32_e32 v6, 0x7800000, v6
	s_delay_alu instid0(VALU_DEP_1) | instskip(NEXT) | instid1(VALU_DEP_1)
	v_cndmask_b32_e32 v3, v6, v7, vcc_lo
	v_and_or_b32 v1, 0x80000000, v1, v3
	s_delay_alu instid0(VALU_DEP_1) | instskip(NEXT) | instid1(VALU_DEP_1)
	v_trunc_f32_e32 v1, v1
	v_mul_f32_e64 v3, 0x2f800000, |v1|
	s_delay_alu instid0(VALU_DEP_1) | instskip(NEXT) | instid1(VALU_DEP_1)
	v_floor_f32_e32 v3, v3
	v_fma_f32 v3, 0xcf800000, v3, |v1|
	v_ashrrev_i32_e32 v1, 31, v1
	s_delay_alu instid0(VALU_DEP_2) | instskip(NEXT) | instid1(VALU_DEP_1)
	v_cvt_u32_f32_e32 v3, v3
	v_xor_b32_e32 v3, v3, v1
	s_delay_alu instid0(VALU_DEP_1)
	v_sub_nc_u32_e32 v6, v3, v1
.LBB15_198:
	s_mov_b32 s27, 0
	s_mov_b32 s20, -1
.LBB15_199:
	s_and_not1_b32 vcc_lo, exec_lo, s27
	s_cbranch_vccnz .LBB15_212
; %bb.200:
	s_cmp_gt_i32 s0, 14
	s_cbranch_scc0 .LBB15_203
; %bb.201:
	s_cmp_eq_u32 s0, 15
	s_cbranch_scc0 .LBB15_206
; %bb.202:
	global_load_u16 v1, v[4:5], off
	s_mov_b32 s20, -1
	s_mov_b32 s26, 0
	s_wait_loadcnt 0x0
	v_lshlrev_b32_e32 v1, 16, v1
	s_delay_alu instid0(VALU_DEP_1) | instskip(NEXT) | instid1(VALU_DEP_1)
	v_trunc_f32_e32 v1, v1
	v_mul_f32_e64 v3, 0x2f800000, |v1|
	s_delay_alu instid0(VALU_DEP_1) | instskip(NEXT) | instid1(VALU_DEP_1)
	v_floor_f32_e32 v3, v3
	v_fma_f32 v3, 0xcf800000, v3, |v1|
	v_ashrrev_i32_e32 v1, 31, v1
	s_delay_alu instid0(VALU_DEP_2) | instskip(NEXT) | instid1(VALU_DEP_1)
	v_cvt_u32_f32_e32 v3, v3
	v_xor_b32_e32 v3, v3, v1
	s_delay_alu instid0(VALU_DEP_1)
	v_sub_nc_u32_e32 v6, v3, v1
	s_branch .LBB15_207
.LBB15_203:
	s_mov_b32 s27, -1
                                        ; implicit-def: $vgpr6
	s_branch .LBB15_208
.LBB15_204:
	s_and_not1_saveexec_b32 s20, s20
	s_cbranch_execz .LBB15_185
.LBB15_205:
	v_cmp_ne_u16_e32 vcc_lo, 0, v1
	s_and_not1_b32 s27, s27, exec_lo
	s_and_b32 s28, vcc_lo, exec_lo
	s_delay_alu instid0(SALU_CYCLE_1)
	s_or_b32 s27, s27, s28
	s_or_b32 exec_lo, exec_lo, s20
	v_mov_b32_e32 v6, 0
	s_and_saveexec_b32 s20, s27
	s_cbranch_execnz .LBB15_186
	s_branch .LBB15_187
.LBB15_206:
	s_mov_b32 s26, -1
                                        ; implicit-def: $vgpr6
.LBB15_207:
	s_mov_b32 s27, 0
.LBB15_208:
	s_delay_alu instid0(SALU_CYCLE_1)
	s_and_b32 vcc_lo, exec_lo, s27
	s_cbranch_vccz .LBB15_212
; %bb.209:
	s_cmp_eq_u32 s0, 11
	s_cbranch_scc0 .LBB15_211
; %bb.210:
	global_load_u8 v1, v[4:5], off
	s_mov_b32 s26, 0
	s_mov_b32 s20, -1
	s_wait_loadcnt 0x0
	v_cmp_ne_u16_e32 vcc_lo, 0, v1
	v_cndmask_b32_e64 v6, 0, 1, vcc_lo
	s_branch .LBB15_212
.LBB15_211:
	s_mov_b32 s26, -1
                                        ; implicit-def: $vgpr6
.LBB15_212:
	s_branch .LBB15_25
.LBB15_213:
	s_cmp_lt_i32 s0, 5
	s_cbranch_scc1 .LBB15_218
; %bb.214:
	s_cmp_lt_i32 s0, 8
	s_cbranch_scc1 .LBB15_219
; %bb.215:
	s_cmp_lt_i32 s0, 9
	s_cbranch_scc1 .LBB15_220
; %bb.216:
	s_cmp_gt_i32 s0, 9
	s_cbranch_scc0 .LBB15_221
; %bb.217:
	s_wait_loadcnt 0x0
	global_load_b64 v[6:7], v[4:5], off
	s_mov_b32 s20, 0
	s_wait_loadcnt 0x0
	v_trunc_f64_e32 v[6:7], v[6:7]
	s_delay_alu instid0(VALU_DEP_1) | instskip(NEXT) | instid1(VALU_DEP_1)
	v_ldexp_f64 v[8:9], v[6:7], 0xffffffe0
	v_floor_f64_e32 v[8:9], v[8:9]
	s_delay_alu instid0(VALU_DEP_1) | instskip(NEXT) | instid1(VALU_DEP_1)
	v_fmamk_f64 v[6:7], v[8:9], 0xc1f00000, v[6:7]
	v_cvt_u32_f64_e32 v6, v[6:7]
	s_branch .LBB15_222
.LBB15_218:
                                        ; implicit-def: $vgpr6
	s_branch .LBB15_240
.LBB15_219:
	s_mov_b32 s20, -1
                                        ; implicit-def: $vgpr6
	s_branch .LBB15_228
.LBB15_220:
	s_mov_b32 s20, -1
                                        ; implicit-def: $vgpr6
	s_branch .LBB15_225
.LBB15_221:
	s_mov_b32 s20, -1
                                        ; implicit-def: $vgpr6
.LBB15_222:
	s_delay_alu instid0(SALU_CYCLE_1)
	s_and_not1_b32 vcc_lo, exec_lo, s20
	s_cbranch_vccnz .LBB15_224
; %bb.223:
	global_load_b32 v1, v[4:5], off
	s_wait_loadcnt 0x0
	v_trunc_f32_e32 v1, v1
	s_delay_alu instid0(VALU_DEP_1) | instskip(NEXT) | instid1(VALU_DEP_1)
	v_mul_f32_e64 v3, 0x2f800000, |v1|
	v_floor_f32_e32 v3, v3
	s_delay_alu instid0(VALU_DEP_1) | instskip(SKIP_1) | instid1(VALU_DEP_2)
	v_fma_f32 v3, 0xcf800000, v3, |v1|
	v_ashrrev_i32_e32 v1, 31, v1
	v_cvt_u32_f32_e32 v3, v3
	s_delay_alu instid0(VALU_DEP_1) | instskip(NEXT) | instid1(VALU_DEP_1)
	v_xor_b32_e32 v3, v3, v1
	v_sub_nc_u32_e32 v6, v3, v1
.LBB15_224:
	s_mov_b32 s20, 0
.LBB15_225:
	s_delay_alu instid0(SALU_CYCLE_1)
	s_and_not1_b32 vcc_lo, exec_lo, s20
	s_cbranch_vccnz .LBB15_227
; %bb.226:
	global_load_b32 v1, v[4:5], off
	s_wait_loadcnt 0x0
	v_cvt_f32_f16_e32 v1, v1
	s_delay_alu instid0(VALU_DEP_1)
	v_cvt_i32_f32_e32 v6, v1
.LBB15_227:
	s_mov_b32 s20, 0
.LBB15_228:
	s_delay_alu instid0(SALU_CYCLE_1)
	s_and_not1_b32 vcc_lo, exec_lo, s20
	s_cbranch_vccnz .LBB15_239
; %bb.229:
	s_cmp_lt_i32 s0, 6
	s_cbranch_scc1 .LBB15_232
; %bb.230:
	s_cmp_gt_i32 s0, 6
	s_cbranch_scc0 .LBB15_233
; %bb.231:
	s_wait_loadcnt 0x0
	global_load_b64 v[6:7], v[4:5], off
	s_mov_b32 s20, 0
	s_wait_loadcnt 0x0
	v_trunc_f64_e32 v[6:7], v[6:7]
	s_delay_alu instid0(VALU_DEP_1) | instskip(NEXT) | instid1(VALU_DEP_1)
	v_ldexp_f64 v[8:9], v[6:7], 0xffffffe0
	v_floor_f64_e32 v[8:9], v[8:9]
	s_delay_alu instid0(VALU_DEP_1) | instskip(NEXT) | instid1(VALU_DEP_1)
	v_fmamk_f64 v[6:7], v[8:9], 0xc1f00000, v[6:7]
	v_cvt_u32_f64_e32 v6, v[6:7]
	s_branch .LBB15_234
.LBB15_232:
	s_mov_b32 s20, -1
                                        ; implicit-def: $vgpr6
	s_branch .LBB15_237
.LBB15_233:
	s_mov_b32 s20, -1
                                        ; implicit-def: $vgpr6
.LBB15_234:
	s_delay_alu instid0(SALU_CYCLE_1)
	s_and_not1_b32 vcc_lo, exec_lo, s20
	s_cbranch_vccnz .LBB15_236
; %bb.235:
	global_load_b32 v1, v[4:5], off
	s_wait_loadcnt 0x0
	v_trunc_f32_e32 v1, v1
	s_delay_alu instid0(VALU_DEP_1) | instskip(NEXT) | instid1(VALU_DEP_1)
	v_mul_f32_e64 v3, 0x2f800000, |v1|
	v_floor_f32_e32 v3, v3
	s_delay_alu instid0(VALU_DEP_1) | instskip(SKIP_1) | instid1(VALU_DEP_2)
	v_fma_f32 v3, 0xcf800000, v3, |v1|
	v_ashrrev_i32_e32 v1, 31, v1
	v_cvt_u32_f32_e32 v3, v3
	s_delay_alu instid0(VALU_DEP_1) | instskip(NEXT) | instid1(VALU_DEP_1)
	v_xor_b32_e32 v3, v3, v1
	v_sub_nc_u32_e32 v6, v3, v1
.LBB15_236:
	s_mov_b32 s20, 0
.LBB15_237:
	s_delay_alu instid0(SALU_CYCLE_1)
	s_and_not1_b32 vcc_lo, exec_lo, s20
	s_cbranch_vccnz .LBB15_239
; %bb.238:
	global_load_u16 v1, v[4:5], off
	s_wait_loadcnt 0x0
	v_cvt_f32_f16_e32 v1, v1
	s_delay_alu instid0(VALU_DEP_1)
	v_cvt_i32_f32_e32 v6, v1
.LBB15_239:
	s_cbranch_execnz .LBB15_259
.LBB15_240:
	s_cmp_lt_i32 s0, 2
	s_cbranch_scc1 .LBB15_244
; %bb.241:
	s_cmp_lt_i32 s0, 3
	s_cbranch_scc1 .LBB15_245
; %bb.242:
	s_cmp_gt_i32 s0, 3
	s_cbranch_scc0 .LBB15_246
; %bb.243:
	s_wait_loadcnt 0x0
	global_load_b64 v[6:7], v[4:5], off
	s_mov_b32 s20, 0
	s_branch .LBB15_247
.LBB15_244:
	s_mov_b32 s20, -1
                                        ; implicit-def: $vgpr6
	s_branch .LBB15_253
.LBB15_245:
	s_mov_b32 s20, -1
                                        ; implicit-def: $vgpr6
	s_branch .LBB15_250
.LBB15_246:
	s_mov_b32 s20, -1
                                        ; implicit-def: $vgpr6
.LBB15_247:
	s_delay_alu instid0(SALU_CYCLE_1)
	s_and_not1_b32 vcc_lo, exec_lo, s20
	s_cbranch_vccnz .LBB15_249
; %bb.248:
	s_wait_loadcnt 0x0
	global_load_b32 v6, v[4:5], off
.LBB15_249:
	s_mov_b32 s20, 0
.LBB15_250:
	s_delay_alu instid0(SALU_CYCLE_1)
	s_and_not1_b32 vcc_lo, exec_lo, s20
	s_cbranch_vccnz .LBB15_252
; %bb.251:
	s_wait_loadcnt 0x0
	global_load_u16 v6, v[4:5], off
.LBB15_252:
	s_mov_b32 s20, 0
.LBB15_253:
	s_delay_alu instid0(SALU_CYCLE_1)
	s_and_not1_b32 vcc_lo, exec_lo, s20
	s_cbranch_vccnz .LBB15_259
; %bb.254:
	s_cmp_gt_i32 s0, 0
	s_mov_b32 s0, 0
	s_cbranch_scc0 .LBB15_256
; %bb.255:
	s_wait_loadcnt 0x0
	global_load_u8 v6, v[4:5], off
	s_branch .LBB15_257
.LBB15_256:
	s_mov_b32 s0, -1
                                        ; implicit-def: $vgpr6
.LBB15_257:
	s_delay_alu instid0(SALU_CYCLE_1)
	s_and_not1_b32 vcc_lo, exec_lo, s0
	s_cbranch_vccnz .LBB15_259
; %bb.258:
	s_wait_loadcnt 0x0
	global_load_u8 v6, v[4:5], off
.LBB15_259:
	s_branch .LBB15_26
.LBB15_260:
	s_mov_b32 s0, 0
.LBB15_261:
	s_mov_b32 s27, 0
                                        ; implicit-def: $vgpr0
.LBB15_262:
	s_and_b32 s20, s0, exec_lo
	s_and_b32 s42, s26, exec_lo
	s_or_not1_b32 s26, s27, exec_lo
.LBB15_263:
	s_wait_xcnt 0x0
	s_or_b32 exec_lo, exec_lo, s43
	s_mov_b32 s27, 0
	s_mov_b32 s0, 0
                                        ; implicit-def: $vgpr4_vgpr5
                                        ; implicit-def: $vgpr2
                                        ; implicit-def: $vgpr6
	s_and_saveexec_b32 s43, s26
	s_cbranch_execz .LBB15_271
; %bb.264:
	s_mov_b32 s0, -1
	s_mov_b32 s44, s42
	s_mov_b32 s45, s20
	s_mov_b32 s46, exec_lo
	v_cmpx_gt_i32_e64 s39, v0
	s_cbranch_execz .LBB15_538
; %bb.265:
	s_and_not1_b32 vcc_lo, exec_lo, s35
	s_cbranch_vccnz .LBB15_274
; %bb.266:
	s_and_not1_b32 vcc_lo, exec_lo, s41
	s_cbranch_vccnz .LBB15_275
; %bb.267:
	s_add_co_i32 s0, s40, 1
	s_cmp_eq_u32 s34, 2
	s_cbranch_scc1 .LBB15_276
; %bb.268:
	v_dual_mov_b32 v2, 0 :: v_dual_mov_b32 v4, 0
	v_mov_b32_e32 v1, v0
	s_and_b32 s26, s0, 28
	s_mov_b64 s[28:29], s[16:17]
	s_mov_b64 s[30:31], s[24:25]
.LBB15_269:                             ; =>This Inner Loop Header: Depth=1
	s_clause 0x1
	s_load_b256 s[48:55], s[28:29], 0x4
	s_load_b128 s[64:67], s[28:29], 0x24
	s_load_b256 s[56:63], s[30:31], 0x0
	s_add_co_i32 s27, s27, 4
	s_wait_xcnt 0x0
	s_add_nc_u64 s[28:29], s[28:29], 48
	s_cmp_eq_u32 s26, s27
	s_add_nc_u64 s[30:31], s[30:31], 32
	s_wait_kmcnt 0x0
	v_mul_hi_u32 v3, s49, v1
	s_delay_alu instid0(VALU_DEP_1) | instskip(NEXT) | instid1(VALU_DEP_1)
	v_add_nc_u32_e32 v3, v1, v3
	v_lshrrev_b32_e32 v3, s50, v3
	s_delay_alu instid0(VALU_DEP_1) | instskip(NEXT) | instid1(VALU_DEP_1)
	v_mul_hi_u32 v5, s52, v3
	v_add_nc_u32_e32 v5, v3, v5
	s_delay_alu instid0(VALU_DEP_1) | instskip(SKIP_1) | instid1(VALU_DEP_1)
	v_lshrrev_b32_e32 v5, s53, v5
	s_wait_loadcnt 0x0
	v_mul_hi_u32 v6, s55, v5
	s_delay_alu instid0(VALU_DEP_1) | instskip(SKIP_1) | instid1(VALU_DEP_1)
	v_add_nc_u32_e32 v6, v5, v6
	v_mul_lo_u32 v7, v3, s48
	v_sub_nc_u32_e32 v1, v1, v7
	v_mul_lo_u32 v7, v5, s51
	s_delay_alu instid0(VALU_DEP_4) | instskip(NEXT) | instid1(VALU_DEP_3)
	v_lshrrev_b32_e32 v6, s64, v6
	v_mad_u32 v4, v1, s57, v4
	v_mad_u32 v1, v1, s56, v2
	s_delay_alu instid0(VALU_DEP_4) | instskip(NEXT) | instid1(VALU_DEP_4)
	v_sub_nc_u32_e32 v2, v3, v7
	v_mul_hi_u32 v8, s66, v6
	v_mul_lo_u32 v3, v6, s54
	s_delay_alu instid0(VALU_DEP_3) | instskip(SKIP_1) | instid1(VALU_DEP_3)
	v_mad_u32 v4, v2, s59, v4
	v_mad_u32 v2, v2, s58, v1
	v_dual_add_nc_u32 v7, v6, v8 :: v_dual_sub_nc_u32 v3, v5, v3
	s_delay_alu instid0(VALU_DEP_1) | instskip(NEXT) | instid1(VALU_DEP_2)
	v_lshrrev_b32_e32 v1, s67, v7
	v_mad_u32 v4, v3, s61, v4
	s_delay_alu instid0(VALU_DEP_4) | instskip(NEXT) | instid1(VALU_DEP_3)
	v_mad_u32 v2, v3, s60, v2
	v_mul_lo_u32 v5, v1, s65
	s_delay_alu instid0(VALU_DEP_1) | instskip(NEXT) | instid1(VALU_DEP_1)
	v_sub_nc_u32_e32 v3, v6, v5
	v_mad_u32 v4, v3, s63, v4
	s_delay_alu instid0(VALU_DEP_4)
	v_mad_u32 v2, v3, s62, v2
	s_cbranch_scc0 .LBB15_269
; %bb.270:
	s_delay_alu instid0(VALU_DEP_2)
	v_mov_b32_e32 v3, v4
	s_branch .LBB15_277
.LBB15_271:
	s_or_b32 exec_lo, exec_lo, s43
	s_mov_b32 s6, 0
	s_and_saveexec_b32 s7, s42
	s_cbranch_execnz .LBB15_912
.LBB15_272:
	s_or_b32 exec_lo, exec_lo, s7
	s_and_saveexec_b32 s7, s19
	s_delay_alu instid0(SALU_CYCLE_1)
	s_xor_b32 s7, exec_lo, s7
	s_cbranch_execz .LBB15_913
.LBB15_273:
	global_load_u8 v0, v[4:5], off
	s_or_b32 s0, s0, exec_lo
	s_wait_loadcnt 0x0
	v_cmp_ne_u16_e32 vcc_lo, 0, v0
	v_cndmask_b32_e64 v6, 0, 1, vcc_lo
	s_wait_xcnt 0x0
	s_or_b32 exec_lo, exec_lo, s7
	s_and_saveexec_b32 s7, s27
	s_cbranch_execz .LBB15_959
	s_branch .LBB15_914
.LBB15_274:
                                        ; implicit-def: $vgpr4
                                        ; implicit-def: $vgpr2
	s_and_not1_b32 vcc_lo, exec_lo, s0
	s_cbranch_vccnz .LBB15_284
	s_branch .LBB15_282
.LBB15_275:
	v_dual_mov_b32 v4, 0 :: v_dual_mov_b32 v2, 0
	s_branch .LBB15_281
.LBB15_276:
	v_mov_b64_e32 v[2:3], 0
	v_mov_b32_e32 v1, v0
	s_mov_b32 s26, 0
                                        ; implicit-def: $vgpr4
.LBB15_277:
	s_and_b32 s0, s0, 3
	s_mov_b32 s27, 0
	s_cmp_eq_u32 s0, 0
	s_cbranch_scc1 .LBB15_281
; %bb.278:
	s_lshl_b32 s28, s26, 3
	s_mov_b32 s29, s27
	s_mul_u64 s[30:31], s[26:27], 12
	s_add_nc_u64 s[28:29], s[16:17], s[28:29]
	s_delay_alu instid0(SALU_CYCLE_1)
	s_add_nc_u64 s[26:27], s[28:29], 0xc4
	s_add_nc_u64 s[28:29], s[16:17], s[30:31]
.LBB15_279:                             ; =>This Inner Loop Header: Depth=1
	s_load_b96 s[48:50], s[28:29], 0x4
	s_load_b64 s[30:31], s[26:27], 0x0
	s_add_co_i32 s0, s0, -1
	s_wait_xcnt 0x0
	s_add_nc_u64 s[28:29], s[28:29], 12
	s_cmp_lg_u32 s0, 0
	s_add_nc_u64 s[26:27], s[26:27], 8
	s_wait_kmcnt 0x0
	v_mul_hi_u32 v4, s49, v1
	s_delay_alu instid0(VALU_DEP_1) | instskip(NEXT) | instid1(VALU_DEP_1)
	v_add_nc_u32_e32 v4, v1, v4
	v_lshrrev_b32_e32 v4, s50, v4
	s_delay_alu instid0(VALU_DEP_1) | instskip(NEXT) | instid1(VALU_DEP_1)
	v_mul_lo_u32 v5, v4, s48
	v_sub_nc_u32_e32 v1, v1, v5
	s_delay_alu instid0(VALU_DEP_1)
	v_mad_u32 v3, v1, s31, v3
	v_mad_u32 v2, v1, s30, v2
	v_mov_b32_e32 v1, v4
	s_cbranch_scc1 .LBB15_279
; %bb.280:
	s_delay_alu instid0(VALU_DEP_3)
	v_mov_b32_e32 v4, v3
.LBB15_281:
	s_cbranch_execnz .LBB15_284
.LBB15_282:
	v_mov_b32_e32 v1, 0
	s_and_not1_b32 vcc_lo, exec_lo, s38
	s_delay_alu instid0(VALU_DEP_1) | instskip(NEXT) | instid1(VALU_DEP_1)
	v_mul_u64_e32 v[2:3], s[18:19], v[0:1]
	v_add_nc_u32_e32 v2, v0, v3
	s_wait_loadcnt 0x0
	s_delay_alu instid0(VALU_DEP_1) | instskip(NEXT) | instid1(VALU_DEP_1)
	v_lshrrev_b32_e32 v6, s10, v2
	v_mul_lo_u32 v2, v6, s8
	s_delay_alu instid0(VALU_DEP_1) | instskip(NEXT) | instid1(VALU_DEP_1)
	v_sub_nc_u32_e32 v2, v0, v2
	v_mul_lo_u32 v4, v2, s13
	v_mul_lo_u32 v2, v2, s12
	s_cbranch_vccnz .LBB15_284
; %bb.283:
	v_mov_b32_e32 v7, v1
	s_delay_alu instid0(VALU_DEP_1) | instskip(NEXT) | instid1(VALU_DEP_1)
	v_mul_u64_e32 v[8:9], s[22:23], v[6:7]
	v_add_nc_u32_e32 v1, v6, v9
	s_delay_alu instid0(VALU_DEP_1) | instskip(NEXT) | instid1(VALU_DEP_1)
	v_lshrrev_b32_e32 v1, s21, v1
	v_mul_lo_u32 v1, v1, s11
	s_delay_alu instid0(VALU_DEP_1) | instskip(NEXT) | instid1(VALU_DEP_1)
	v_sub_nc_u32_e32 v1, v6, v1
	v_mad_u32 v2, v1, s14, v2
	v_mad_u32 v4, v1, s15, v4
.LBB15_284:
	v_mov_b32_e32 v5, 0
	s_and_b32 s0, 0xffff, s37
	s_delay_alu instid0(SALU_CYCLE_1) | instskip(NEXT) | instid1(VALU_DEP_1)
	s_cmp_lt_i32 s0, 11
	v_add_nc_u64_e32 v[4:5], s[6:7], v[4:5]
	s_cbranch_scc1 .LBB15_291
; %bb.285:
	s_cmp_gt_i32 s0, 25
	s_cbranch_scc0 .LBB15_300
; %bb.286:
	s_cmp_gt_i32 s0, 28
	s_cbranch_scc0 .LBB15_302
	;; [unrolled: 3-line block ×4, first 2 shown]
; %bb.289:
	s_cmp_eq_u32 s0, 46
	s_mov_b32 s28, 0
	s_cbranch_scc0 .LBB15_312
; %bb.290:
	global_load_b32 v1, v[4:5], off
	s_mov_b32 s27, -1
	s_mov_b32 s26, 0
	s_wait_loadcnt 0x0
	v_lshlrev_b32_e32 v1, 16, v1
	s_delay_alu instid0(VALU_DEP_1) | instskip(NEXT) | instid1(VALU_DEP_1)
	v_trunc_f32_e32 v1, v1
	v_mul_f32_e64 v3, 0x2f800000, |v1|
	s_delay_alu instid0(VALU_DEP_1) | instskip(NEXT) | instid1(VALU_DEP_1)
	v_floor_f32_e32 v3, v3
	v_fma_f32 v3, 0xcf800000, v3, |v1|
	v_ashrrev_i32_e32 v1, 31, v1
	s_delay_alu instid0(VALU_DEP_2) | instskip(NEXT) | instid1(VALU_DEP_1)
	v_cvt_u32_f32_e32 v3, v3
	v_xor_b32_e32 v3, v3, v1
	s_delay_alu instid0(VALU_DEP_1)
	v_sub_nc_u32_e32 v6, v3, v1
	s_branch .LBB15_314
.LBB15_291:
	s_mov_b32 s27, 0
	s_mov_b32 s26, s42
                                        ; implicit-def: $vgpr6
	s_cbranch_execnz .LBB15_487
.LBB15_292:
	s_and_not1_b32 vcc_lo, exec_lo, s27
	s_cbranch_vccnz .LBB15_535
.LBB15_293:
	s_wait_loadcnt 0x0
	s_delay_alu instid0(VALU_DEP_1) | instskip(SKIP_3) | instid1(VALU_DEP_2)
	v_and_b32_e32 v1, 0xff, v6
	v_mov_b32_e32 v3, 0
	s_and_b32 s0, s1, 0xff
	s_and_b32 s28, s2, 0xff
	v_cmp_ne_u16_e32 vcc_lo, s0, v1
	s_delay_alu instid0(VALU_DEP_2)
	v_add_nc_u64_e32 v[2:3], s[4:5], v[2:3]
	s_xor_b32 s27, s9, vcc_lo
	s_cmp_lt_i32 s28, 11
	s_cbranch_scc1 .LBB15_301
; %bb.294:
	s_and_b32 s29, 0xffff, s28
	s_delay_alu instid0(SALU_CYCLE_1)
	s_cmp_gt_i32 s29, 25
	s_cbranch_scc0 .LBB15_303
; %bb.295:
	s_cmp_gt_i32 s29, 28
	s_cbranch_scc0 .LBB15_305
; %bb.296:
	;; [unrolled: 3-line block ×4, first 2 shown]
	s_mov_b32 s31, 0
	s_mov_b32 s0, -1
	s_cmp_eq_u32 s29, 46
	s_mov_b32 s30, 0
	s_cbranch_scc0 .LBB15_318
; %bb.299:
	v_cndmask_b32_e64 v1, 0, 1.0, s27
	s_mov_b32 s30, -1
	s_mov_b32 s0, 0
	s_wait_xcnt 0x0
	s_delay_alu instid0(VALU_DEP_1) | instskip(NEXT) | instid1(VALU_DEP_1)
	v_bfe_u32 v4, v1, 16, 1
	v_add3_u32 v1, v1, v4, 0x7fff
	s_delay_alu instid0(VALU_DEP_1)
	v_lshrrev_b32_e32 v1, 16, v1
	global_store_b32 v[2:3], v1, off
	s_branch .LBB15_318
.LBB15_300:
	s_mov_b32 s28, -1
	s_mov_b32 s27, 0
	s_mov_b32 s26, s42
                                        ; implicit-def: $vgpr6
	s_branch .LBB15_453
.LBB15_301:
	s_mov_b32 s29, -1
	s_mov_b32 s30, 0
	s_mov_b32 s0, s20
	s_branch .LBB15_387
.LBB15_302:
	s_mov_b32 s28, -1
	s_mov_b32 s27, 0
	s_mov_b32 s26, s42
                                        ; implicit-def: $vgpr6
	s_branch .LBB15_436
.LBB15_303:
	s_mov_b32 s31, -1
	s_mov_b32 s30, 0
	s_mov_b32 s0, s20
	s_branch .LBB15_345
.LBB15_304:
	s_mov_b32 s28, -1
	s_mov_b32 s27, 0
	s_mov_b32 s26, s42
                                        ; implicit-def: $vgpr6
	s_branch .LBB15_431
.LBB15_305:
	s_mov_b32 s31, -1
	s_mov_b32 s30, 0
	s_mov_b32 s0, s20
	s_branch .LBB15_328
.LBB15_306:
	s_and_not1_saveexec_b32 s31, s31
	s_cbranch_execz .LBB15_69
.LBB15_307:
	v_add_f32_e32 v1, 0x46000000, v4
	s_and_not1_b32 s30, s30, exec_lo
	s_delay_alu instid0(VALU_DEP_1) | instskip(NEXT) | instid1(VALU_DEP_1)
	v_and_b32_e32 v1, 0xff, v1
	v_cmp_ne_u32_e32 vcc_lo, 0, v1
	s_and_b32 s42, vcc_lo, exec_lo
	s_delay_alu instid0(SALU_CYCLE_1)
	s_or_b32 s30, s30, s42
	s_or_b32 exec_lo, exec_lo, s31
	v_mov_b32_e32 v5, 0
	s_and_saveexec_b32 s31, s30
	s_cbranch_execnz .LBB15_70
	s_branch .LBB15_71
.LBB15_308:
	s_mov_b32 s28, -1
	s_mov_b32 s27, 0
	s_mov_b32 s26, s42
	s_branch .LBB15_313
.LBB15_309:
	s_mov_b32 s31, -1
	s_mov_b32 s30, 0
	s_mov_b32 s0, s20
	s_branch .LBB15_324
.LBB15_310:
	s_and_not1_saveexec_b32 s31, s31
	s_cbranch_execz .LBB15_82
.LBB15_311:
	v_add_f32_e32 v1, 0x42800000, v4
	s_and_not1_b32 s30, s30, exec_lo
	s_delay_alu instid0(VALU_DEP_1) | instskip(NEXT) | instid1(VALU_DEP_1)
	v_and_b32_e32 v1, 0xff, v1
	v_cmp_ne_u32_e32 vcc_lo, 0, v1
	s_and_b32 s42, vcc_lo, exec_lo
	s_delay_alu instid0(SALU_CYCLE_1)
	s_or_b32 s30, s30, s42
	s_or_b32 exec_lo, exec_lo, s31
	v_mov_b32_e32 v5, 0
	s_and_saveexec_b32 s31, s30
	s_cbranch_execnz .LBB15_83
	s_branch .LBB15_84
.LBB15_312:
	s_mov_b32 s26, -1
	s_mov_b32 s27, 0
.LBB15_313:
                                        ; implicit-def: $vgpr6
.LBB15_314:
	s_and_b32 vcc_lo, exec_lo, s28
	s_cbranch_vccz .LBB15_430
; %bb.315:
	s_cmp_eq_u32 s0, 44
	s_cbranch_scc0 .LBB15_429
; %bb.316:
	global_load_u8 v1, v[4:5], off
	s_mov_b32 s26, 0
	s_mov_b32 s27, -1
	s_wait_loadcnt 0x0
	v_lshlrev_b32_e32 v3, 23, v1
	v_cmp_ne_u32_e32 vcc_lo, 0, v1
	s_delay_alu instid0(VALU_DEP_2) | instskip(NEXT) | instid1(VALU_DEP_1)
	v_trunc_f32_e32 v3, v3
	v_mul_f32_e64 v6, 0x2f800000, |v3|
	s_delay_alu instid0(VALU_DEP_1) | instskip(NEXT) | instid1(VALU_DEP_1)
	v_floor_f32_e32 v6, v6
	v_fma_f32 v6, 0xcf800000, v6, |v3|
	v_ashrrev_i32_e32 v3, 31, v3
	s_delay_alu instid0(VALU_DEP_2) | instskip(NEXT) | instid1(VALU_DEP_1)
	v_cvt_u32_f32_e32 v6, v6
	v_xor_b32_e32 v6, v6, v3
	s_delay_alu instid0(VALU_DEP_1) | instskip(NEXT) | instid1(VALU_DEP_1)
	v_sub_nc_u32_e32 v3, v6, v3
	v_cndmask_b32_e32 v6, 0, v3, vcc_lo
	s_branch .LBB15_430
.LBB15_317:
	s_mov_b32 s31, -1
	s_mov_b32 s30, 0
	s_mov_b32 s0, s20
.LBB15_318:
	s_and_b32 vcc_lo, exec_lo, s31
	s_cbranch_vccz .LBB15_323
; %bb.319:
	s_cmp_eq_u32 s29, 44
	s_mov_b32 s0, -1
	s_cbranch_scc0 .LBB15_323
; %bb.320:
	s_wait_xcnt 0x0
	v_cndmask_b32_e64 v5, 0, 1.0, s27
	s_mov_b32 s30, exec_lo
	s_delay_alu instid0(VALU_DEP_1) | instskip(NEXT) | instid1(VALU_DEP_1)
	v_dual_mov_b32 v4, 0xff :: v_dual_lshrrev_b32 v1, 23, v5
	v_cmpx_ne_u32_e32 0xff, v1
; %bb.321:
	v_and_b32_e32 v4, 0x400000, v5
	v_and_or_b32 v5, 0x3fffff, v5, v1
	s_delay_alu instid0(VALU_DEP_2) | instskip(NEXT) | instid1(VALU_DEP_2)
	v_cmp_ne_u32_e32 vcc_lo, 0, v4
	v_cmp_ne_u32_e64 s0, 0, v5
	s_and_b32 s0, vcc_lo, s0
	s_delay_alu instid0(SALU_CYCLE_1) | instskip(NEXT) | instid1(VALU_DEP_1)
	v_cndmask_b32_e64 v4, 0, 1, s0
	v_add_nc_u32_e32 v4, v1, v4
; %bb.322:
	s_or_b32 exec_lo, exec_lo, s30
	s_mov_b32 s30, -1
	s_mov_b32 s0, 0
	global_store_b8 v[2:3], v4, off
.LBB15_323:
	s_mov_b32 s31, 0
.LBB15_324:
	s_delay_alu instid0(SALU_CYCLE_1)
	s_and_b32 vcc_lo, exec_lo, s31
	s_cbranch_vccz .LBB15_327
; %bb.325:
	s_cmp_eq_u32 s29, 29
	s_mov_b32 s0, -1
	s_cbranch_scc0 .LBB15_327
; %bb.326:
	s_mov_b32 s0, 0
	s_wait_xcnt 0x0
	v_cndmask_b32_e64 v4, 0, 1, s27
	v_mov_b32_e32 v5, s0
	s_mov_b32 s30, -1
	s_mov_b32 s31, 0
	global_store_b64 v[2:3], v[4:5], off
	s_branch .LBB15_328
.LBB15_327:
	s_mov_b32 s31, 0
.LBB15_328:
	s_delay_alu instid0(SALU_CYCLE_1)
	s_and_b32 vcc_lo, exec_lo, s31
	s_cbranch_vccz .LBB15_344
; %bb.329:
	s_cmp_lt_i32 s29, 27
	s_mov_b32 s30, -1
	s_cbranch_scc1 .LBB15_335
; %bb.330:
	s_cmp_gt_i32 s29, 27
	s_cbranch_scc0 .LBB15_332
; %bb.331:
	s_wait_xcnt 0x0
	v_cndmask_b32_e64 v1, 0, 1, s27
	s_mov_b32 s30, 0
	global_store_b32 v[2:3], v1, off
.LBB15_332:
	s_and_not1_b32 vcc_lo, exec_lo, s30
	s_cbranch_vccnz .LBB15_334
; %bb.333:
	s_wait_xcnt 0x0
	v_cndmask_b32_e64 v1, 0, 1, s27
	global_store_b16 v[2:3], v1, off
.LBB15_334:
	s_mov_b32 s30, 0
.LBB15_335:
	s_delay_alu instid0(SALU_CYCLE_1)
	s_and_not1_b32 vcc_lo, exec_lo, s30
	s_cbranch_vccnz .LBB15_343
; %bb.336:
	s_wait_xcnt 0x0
	v_cndmask_b32_e64 v4, 0, 1.0, s27
	v_mov_b32_e32 v5, 0x80
	s_mov_b32 s30, exec_lo
	s_delay_alu instid0(VALU_DEP_2)
	v_cmpx_gt_u32_e32 0x43800000, v4
	s_cbranch_execz .LBB15_342
; %bb.337:
	s_mov_b32 s31, 0
	s_mov_b32 s44, exec_lo
                                        ; implicit-def: $vgpr1
	v_cmpx_lt_u32_e32 0x3bffffff, v4
	s_xor_b32 s44, exec_lo, s44
	s_cbranch_execz .LBB15_568
; %bb.338:
	v_bfe_u32 v1, v4, 20, 1
	s_mov_b32 s31, exec_lo
	s_delay_alu instid0(VALU_DEP_1) | instskip(NEXT) | instid1(VALU_DEP_1)
	v_add3_u32 v1, v4, v1, 0x487ffff
                                        ; implicit-def: $vgpr4
	v_lshrrev_b32_e32 v1, 20, v1
	s_and_not1_saveexec_b32 s44, s44
	s_cbranch_execnz .LBB15_569
.LBB15_339:
	s_or_b32 exec_lo, exec_lo, s44
	v_mov_b32_e32 v5, 0
	s_and_saveexec_b32 s44, s31
.LBB15_340:
	v_mov_b32_e32 v5, v1
.LBB15_341:
	s_or_b32 exec_lo, exec_lo, s44
.LBB15_342:
	s_delay_alu instid0(SALU_CYCLE_1)
	s_or_b32 exec_lo, exec_lo, s30
	global_store_b8 v[2:3], v5, off
.LBB15_343:
	s_mov_b32 s30, -1
.LBB15_344:
	s_mov_b32 s31, 0
.LBB15_345:
	s_delay_alu instid0(SALU_CYCLE_1)
	s_and_b32 vcc_lo, exec_lo, s31
	s_cbranch_vccz .LBB15_386
; %bb.346:
	s_cmp_gt_i32 s29, 22
	s_mov_b32 s31, -1
	s_cbranch_scc0 .LBB15_378
; %bb.347:
	s_cmp_lt_i32 s29, 24
	s_mov_b32 s30, -1
	s_cbranch_scc1 .LBB15_367
; %bb.348:
	s_cmp_gt_i32 s29, 24
	s_cbranch_scc0 .LBB15_356
; %bb.349:
	s_wait_xcnt 0x0
	v_cndmask_b32_e64 v4, 0, 1.0, s27
	v_mov_b32_e32 v5, 0x80
	s_mov_b32 s30, exec_lo
	s_delay_alu instid0(VALU_DEP_2)
	v_cmpx_gt_u32_e32 0x47800000, v4
	s_cbranch_execz .LBB15_355
; %bb.350:
	s_mov_b32 s31, 0
	s_mov_b32 s44, exec_lo
                                        ; implicit-def: $vgpr1
	v_cmpx_lt_u32_e32 0x37ffffff, v4
	s_xor_b32 s44, exec_lo, s44
	s_cbranch_execz .LBB15_571
; %bb.351:
	v_bfe_u32 v1, v4, 21, 1
	s_mov_b32 s31, exec_lo
	s_delay_alu instid0(VALU_DEP_1) | instskip(NEXT) | instid1(VALU_DEP_1)
	v_add3_u32 v1, v4, v1, 0x88fffff
                                        ; implicit-def: $vgpr4
	v_lshrrev_b32_e32 v1, 21, v1
	s_and_not1_saveexec_b32 s44, s44
	s_cbranch_execnz .LBB15_572
.LBB15_352:
	s_or_b32 exec_lo, exec_lo, s44
	v_mov_b32_e32 v5, 0
	s_and_saveexec_b32 s44, s31
.LBB15_353:
	v_mov_b32_e32 v5, v1
.LBB15_354:
	s_or_b32 exec_lo, exec_lo, s44
.LBB15_355:
	s_delay_alu instid0(SALU_CYCLE_1)
	s_or_b32 exec_lo, exec_lo, s30
	s_mov_b32 s30, 0
	global_store_b8 v[2:3], v5, off
.LBB15_356:
	s_and_b32 vcc_lo, exec_lo, s30
	s_cbranch_vccz .LBB15_366
; %bb.357:
	s_wait_xcnt 0x0
	v_cndmask_b32_e64 v4, 0, 1.0, s27
	s_mov_b32 s30, exec_lo
                                        ; implicit-def: $vgpr1
	s_delay_alu instid0(VALU_DEP_1)
	v_cmpx_gt_u32_e32 0x43f00000, v4
	s_xor_b32 s30, exec_lo, s30
	s_cbranch_execz .LBB15_363
; %bb.358:
	s_mov_b32 s31, exec_lo
                                        ; implicit-def: $vgpr1
	v_cmpx_lt_u32_e32 0x3c7fffff, v4
	s_xor_b32 s31, exec_lo, s31
; %bb.359:
	v_bfe_u32 v1, v4, 20, 1
	s_delay_alu instid0(VALU_DEP_1) | instskip(NEXT) | instid1(VALU_DEP_1)
	v_add3_u32 v1, v4, v1, 0x407ffff
	v_and_b32_e32 v4, 0xff00000, v1
	v_lshrrev_b32_e32 v1, 20, v1
	s_delay_alu instid0(VALU_DEP_2) | instskip(NEXT) | instid1(VALU_DEP_2)
	v_cmp_ne_u32_e32 vcc_lo, 0x7f00000, v4
                                        ; implicit-def: $vgpr4
	v_cndmask_b32_e32 v1, 0x7e, v1, vcc_lo
; %bb.360:
	s_and_not1_saveexec_b32 s31, s31
; %bb.361:
	v_add_f32_e32 v1, 0x46800000, v4
; %bb.362:
	s_or_b32 exec_lo, exec_lo, s31
                                        ; implicit-def: $vgpr4
.LBB15_363:
	s_and_not1_saveexec_b32 s30, s30
; %bb.364:
	v_mov_b32_e32 v1, 0x7f
	v_cmp_lt_u32_e32 vcc_lo, 0x7f800000, v4
	s_delay_alu instid0(VALU_DEP_2)
	v_cndmask_b32_e32 v1, 0x7e, v1, vcc_lo
; %bb.365:
	s_or_b32 exec_lo, exec_lo, s30
	global_store_b8 v[2:3], v1, off
.LBB15_366:
	s_mov_b32 s30, 0
.LBB15_367:
	s_delay_alu instid0(SALU_CYCLE_1)
	s_and_not1_b32 vcc_lo, exec_lo, s30
	s_cbranch_vccnz .LBB15_377
; %bb.368:
	s_wait_xcnt 0x0
	v_cndmask_b32_e64 v4, 0, 1.0, s27
	s_mov_b32 s30, exec_lo
                                        ; implicit-def: $vgpr1
	s_delay_alu instid0(VALU_DEP_1)
	v_cmpx_gt_u32_e32 0x47800000, v4
	s_xor_b32 s30, exec_lo, s30
	s_cbranch_execz .LBB15_374
; %bb.369:
	s_mov_b32 s31, exec_lo
                                        ; implicit-def: $vgpr1
	v_cmpx_lt_u32_e32 0x387fffff, v4
	s_xor_b32 s31, exec_lo, s31
; %bb.370:
	v_bfe_u32 v1, v4, 21, 1
	s_delay_alu instid0(VALU_DEP_1) | instskip(NEXT) | instid1(VALU_DEP_1)
	v_add3_u32 v1, v4, v1, 0x80fffff
                                        ; implicit-def: $vgpr4
	v_lshrrev_b32_e32 v1, 21, v1
; %bb.371:
	s_and_not1_saveexec_b32 s31, s31
; %bb.372:
	v_add_f32_e32 v1, 0x43000000, v4
; %bb.373:
	s_or_b32 exec_lo, exec_lo, s31
                                        ; implicit-def: $vgpr4
.LBB15_374:
	s_and_not1_saveexec_b32 s30, s30
; %bb.375:
	v_mov_b32_e32 v1, 0x7f
	v_cmp_lt_u32_e32 vcc_lo, 0x7f800000, v4
	s_delay_alu instid0(VALU_DEP_2)
	v_cndmask_b32_e32 v1, 0x7c, v1, vcc_lo
; %bb.376:
	s_or_b32 exec_lo, exec_lo, s30
	global_store_b8 v[2:3], v1, off
.LBB15_377:
	s_mov_b32 s31, 0
	s_mov_b32 s30, -1
.LBB15_378:
	s_and_not1_b32 vcc_lo, exec_lo, s31
	s_cbranch_vccnz .LBB15_386
; %bb.379:
	s_cmp_gt_i32 s29, 14
	s_mov_b32 s31, -1
	s_cbranch_scc0 .LBB15_383
; %bb.380:
	s_cmp_eq_u32 s29, 15
	s_mov_b32 s0, -1
	s_cbranch_scc0 .LBB15_382
; %bb.381:
	s_wait_xcnt 0x0
	v_cndmask_b32_e64 v1, 0, 1.0, s27
	s_mov_b32 s30, -1
	s_mov_b32 s0, 0
	s_delay_alu instid0(VALU_DEP_1) | instskip(NEXT) | instid1(VALU_DEP_1)
	v_bfe_u32 v4, v1, 16, 1
	v_add3_u32 v1, v1, v4, 0x7fff
	global_store_d16_hi_b16 v[2:3], v1, off
.LBB15_382:
	s_mov_b32 s31, 0
.LBB15_383:
	s_delay_alu instid0(SALU_CYCLE_1)
	s_and_b32 vcc_lo, exec_lo, s31
	s_cbranch_vccz .LBB15_386
; %bb.384:
	s_cmp_eq_u32 s29, 11
	s_mov_b32 s0, -1
	s_cbranch_scc0 .LBB15_386
; %bb.385:
	s_wait_xcnt 0x0
	v_cndmask_b32_e64 v1, 0, 1, s27
	s_mov_b32 s30, -1
	s_mov_b32 s0, 0
	global_store_b8 v[2:3], v1, off
.LBB15_386:
	s_mov_b32 s29, 0
.LBB15_387:
	s_delay_alu instid0(SALU_CYCLE_1)
	s_and_b32 vcc_lo, exec_lo, s29
	s_cbranch_vccz .LBB15_426
; %bb.388:
	s_and_b32 s28, 0xffff, s28
	s_mov_b32 s29, -1
	s_cmp_lt_i32 s28, 5
	s_cbranch_scc1 .LBB15_409
; %bb.389:
	s_cmp_lt_i32 s28, 8
	s_cbranch_scc1 .LBB15_399
; %bb.390:
	;; [unrolled: 3-line block ×3, first 2 shown]
	s_cmp_gt_i32 s28, 9
	s_cbranch_scc0 .LBB15_393
; %bb.392:
	s_wait_xcnt 0x0
	v_cndmask_b32_e64 v1, 0, 1, s27
	v_mov_b32_e32 v6, 0
	s_mov_b32 s29, 0
	s_delay_alu instid0(VALU_DEP_2) | instskip(NEXT) | instid1(VALU_DEP_2)
	v_cvt_f64_u32_e32 v[4:5], v1
	v_mov_b32_e32 v7, v6
	global_store_b128 v[2:3], v[4:7], off
.LBB15_393:
	s_and_not1_b32 vcc_lo, exec_lo, s29
	s_cbranch_vccnz .LBB15_395
; %bb.394:
	s_wait_xcnt 0x0
	v_cndmask_b32_e64 v4, 0, 1.0, s27
	v_mov_b32_e32 v5, 0
	global_store_b64 v[2:3], v[4:5], off
.LBB15_395:
	s_mov_b32 s29, 0
.LBB15_396:
	s_delay_alu instid0(SALU_CYCLE_1)
	s_and_not1_b32 vcc_lo, exec_lo, s29
	s_cbranch_vccnz .LBB15_398
; %bb.397:
	s_wait_xcnt 0x0
	v_cndmask_b32_e64 v1, 0, 1.0, s27
	s_delay_alu instid0(VALU_DEP_1) | instskip(NEXT) | instid1(VALU_DEP_1)
	v_cvt_f16_f32_e32 v1, v1
	v_and_b32_e32 v1, 0xffff, v1
	global_store_b32 v[2:3], v1, off
.LBB15_398:
	s_mov_b32 s29, 0
.LBB15_399:
	s_delay_alu instid0(SALU_CYCLE_1)
	s_and_not1_b32 vcc_lo, exec_lo, s29
	s_cbranch_vccnz .LBB15_408
; %bb.400:
	s_cmp_lt_i32 s28, 6
	s_mov_b32 s29, -1
	s_cbranch_scc1 .LBB15_406
; %bb.401:
	s_cmp_gt_i32 s28, 6
	s_cbranch_scc0 .LBB15_403
; %bb.402:
	s_wait_xcnt 0x0
	v_cndmask_b32_e64 v1, 0, 1, s27
	s_mov_b32 s29, 0
	s_delay_alu instid0(VALU_DEP_1)
	v_cvt_f64_u32_e32 v[4:5], v1
	global_store_b64 v[2:3], v[4:5], off
.LBB15_403:
	s_and_not1_b32 vcc_lo, exec_lo, s29
	s_cbranch_vccnz .LBB15_405
; %bb.404:
	s_wait_xcnt 0x0
	v_cndmask_b32_e64 v1, 0, 1.0, s27
	global_store_b32 v[2:3], v1, off
.LBB15_405:
	s_mov_b32 s29, 0
.LBB15_406:
	s_delay_alu instid0(SALU_CYCLE_1)
	s_and_not1_b32 vcc_lo, exec_lo, s29
	s_cbranch_vccnz .LBB15_408
; %bb.407:
	s_wait_xcnt 0x0
	v_cndmask_b32_e64 v1, 0, 1.0, s27
	s_delay_alu instid0(VALU_DEP_1)
	v_cvt_f16_f32_e32 v1, v1
	global_store_b16 v[2:3], v1, off
.LBB15_408:
	s_mov_b32 s29, 0
.LBB15_409:
	s_delay_alu instid0(SALU_CYCLE_1)
	s_and_not1_b32 vcc_lo, exec_lo, s29
	s_cbranch_vccnz .LBB15_425
; %bb.410:
	s_cmp_lt_i32 s28, 2
	s_mov_b32 s29, -1
	s_cbranch_scc1 .LBB15_420
; %bb.411:
	s_cmp_lt_i32 s28, 3
	s_cbranch_scc1 .LBB15_417
; %bb.412:
	s_cmp_gt_i32 s28, 3
	s_cbranch_scc0 .LBB15_414
; %bb.413:
	s_mov_b32 s29, 0
	s_wait_xcnt 0x0
	v_cndmask_b32_e64 v4, 0, 1, s27
	v_mov_b32_e32 v5, s29
	global_store_b64 v[2:3], v[4:5], off
.LBB15_414:
	s_and_not1_b32 vcc_lo, exec_lo, s29
	s_cbranch_vccnz .LBB15_416
; %bb.415:
	s_wait_xcnt 0x0
	v_cndmask_b32_e64 v1, 0, 1, s27
	global_store_b32 v[2:3], v1, off
.LBB15_416:
	s_mov_b32 s29, 0
.LBB15_417:
	s_delay_alu instid0(SALU_CYCLE_1)
	s_and_not1_b32 vcc_lo, exec_lo, s29
	s_cbranch_vccnz .LBB15_419
; %bb.418:
	s_wait_xcnt 0x0
	v_cndmask_b32_e64 v1, 0, 1, s27
	global_store_b16 v[2:3], v1, off
.LBB15_419:
	s_mov_b32 s29, 0
.LBB15_420:
	s_delay_alu instid0(SALU_CYCLE_1)
	s_and_not1_b32 vcc_lo, exec_lo, s29
	s_cbranch_vccnz .LBB15_425
; %bb.421:
	s_wait_xcnt 0x0
	v_cndmask_b32_e64 v1, 0, 1, s27
	s_cmp_gt_i32 s28, 0
	s_mov_b32 s27, -1
	s_cbranch_scc0 .LBB15_423
; %bb.422:
	s_mov_b32 s27, 0
	global_store_b8 v[2:3], v1, off
.LBB15_423:
	s_and_not1_b32 vcc_lo, exec_lo, s27
	s_cbranch_vccnz .LBB15_425
; %bb.424:
	global_store_b8 v[2:3], v1, off
.LBB15_425:
	s_mov_b32 s30, -1
.LBB15_426:
	s_delay_alu instid0(SALU_CYCLE_1)
	s_and_not1_b32 vcc_lo, exec_lo, s30
	s_cbranch_vccnz .LBB15_428
; %bb.427:
	v_add_nc_u32_e32 v0, 0x80, v0
	s_mov_b32 s27, -1
	s_branch .LBB15_537
.LBB15_428:
	s_mov_b32 s27, 0
	s_branch .LBB15_536
.LBB15_429:
	s_mov_b32 s26, -1
                                        ; implicit-def: $vgpr6
.LBB15_430:
	s_mov_b32 s28, 0
.LBB15_431:
	s_delay_alu instid0(SALU_CYCLE_1)
	s_and_b32 vcc_lo, exec_lo, s28
	s_cbranch_vccz .LBB15_435
; %bb.432:
	s_cmp_eq_u32 s0, 29
	s_cbranch_scc0 .LBB15_434
; %bb.433:
	s_wait_loadcnt 0x0
	global_load_b64 v[6:7], v[4:5], off
	s_mov_b32 s27, -1
	s_mov_b32 s26, 0
	s_branch .LBB15_435
.LBB15_434:
	s_mov_b32 s26, -1
                                        ; implicit-def: $vgpr6
.LBB15_435:
	s_mov_b32 s28, 0
.LBB15_436:
	s_delay_alu instid0(SALU_CYCLE_1)
	s_and_b32 vcc_lo, exec_lo, s28
	s_cbranch_vccz .LBB15_452
; %bb.437:
	s_cmp_lt_i32 s0, 27
	s_cbranch_scc1 .LBB15_440
; %bb.438:
	s_cmp_gt_i32 s0, 27
	s_cbranch_scc0 .LBB15_441
; %bb.439:
	s_wait_loadcnt 0x0
	global_load_b32 v6, v[4:5], off
	s_mov_b32 s27, 0
	s_branch .LBB15_442
.LBB15_440:
	s_mov_b32 s27, -1
                                        ; implicit-def: $vgpr6
	s_branch .LBB15_445
.LBB15_441:
	s_mov_b32 s27, -1
                                        ; implicit-def: $vgpr6
.LBB15_442:
	s_delay_alu instid0(SALU_CYCLE_1)
	s_and_not1_b32 vcc_lo, exec_lo, s27
	s_cbranch_vccnz .LBB15_444
; %bb.443:
	s_wait_loadcnt 0x0
	global_load_u16 v6, v[4:5], off
.LBB15_444:
	s_mov_b32 s27, 0
.LBB15_445:
	s_delay_alu instid0(SALU_CYCLE_1)
	s_and_not1_b32 vcc_lo, exec_lo, s27
	s_cbranch_vccnz .LBB15_451
; %bb.446:
	global_load_u8 v1, v[4:5], off
	s_mov_b32 s28, 0
	s_mov_b32 s27, exec_lo
	s_wait_loadcnt 0x0
	v_cmpx_lt_i16_e32 0x7f, v1
	s_xor_b32 s27, exec_lo, s27
	s_cbranch_execz .LBB15_463
; %bb.447:
	v_cmp_ne_u16_e32 vcc_lo, 0x80, v1
	s_and_b32 s28, vcc_lo, exec_lo
	s_and_not1_saveexec_b32 s27, s27
	s_cbranch_execnz .LBB15_464
.LBB15_448:
	s_or_b32 exec_lo, exec_lo, s27
	v_mov_b32_e32 v6, 0
	s_and_saveexec_b32 s27, s28
	s_cbranch_execz .LBB15_450
.LBB15_449:
	v_and_b32_e32 v3, 0xffff, v1
	s_delay_alu instid0(VALU_DEP_1) | instskip(SKIP_1) | instid1(VALU_DEP_2)
	v_dual_lshlrev_b32 v1, 24, v1 :: v_dual_bitop2_b32 v6, 7, v3 bitop3:0x40
	v_bfe_u32 v9, v3, 3, 4
	v_and_b32_e32 v1, 0x80000000, v1
	s_delay_alu instid0(VALU_DEP_3) | instskip(NEXT) | instid1(VALU_DEP_3)
	v_clz_i32_u32_e32 v7, v6
	v_cmp_eq_u32_e32 vcc_lo, 0, v9
	s_delay_alu instid0(VALU_DEP_2) | instskip(NEXT) | instid1(VALU_DEP_1)
	v_min_u32_e32 v7, 32, v7
	v_subrev_nc_u32_e32 v8, 28, v7
	v_sub_nc_u32_e32 v7, 29, v7
	s_delay_alu instid0(VALU_DEP_2) | instskip(NEXT) | instid1(VALU_DEP_2)
	v_lshlrev_b32_e32 v3, v8, v3
	v_cndmask_b32_e32 v7, v9, v7, vcc_lo
	s_delay_alu instid0(VALU_DEP_2) | instskip(NEXT) | instid1(VALU_DEP_1)
	v_and_b32_e32 v3, 7, v3
	v_cndmask_b32_e32 v3, v6, v3, vcc_lo
	s_delay_alu instid0(VALU_DEP_3) | instskip(NEXT) | instid1(VALU_DEP_2)
	v_lshl_add_u32 v6, v7, 23, 0x3b800000
	v_lshlrev_b32_e32 v3, 20, v3
	s_delay_alu instid0(VALU_DEP_1) | instskip(NEXT) | instid1(VALU_DEP_1)
	v_or3_b32 v1, v1, v6, v3
	v_trunc_f32_e32 v1, v1
	s_delay_alu instid0(VALU_DEP_1) | instskip(NEXT) | instid1(VALU_DEP_1)
	v_mul_f32_e64 v3, 0x2f800000, |v1|
	v_floor_f32_e32 v3, v3
	s_delay_alu instid0(VALU_DEP_1) | instskip(SKIP_1) | instid1(VALU_DEP_2)
	v_fma_f32 v3, 0xcf800000, v3, |v1|
	v_ashrrev_i32_e32 v1, 31, v1
	v_cvt_u32_f32_e32 v3, v3
	s_delay_alu instid0(VALU_DEP_1) | instskip(NEXT) | instid1(VALU_DEP_1)
	v_xor_b32_e32 v3, v3, v1
	v_sub_nc_u32_e32 v6, v3, v1
.LBB15_450:
	s_or_b32 exec_lo, exec_lo, s27
.LBB15_451:
	s_mov_b32 s27, -1
.LBB15_452:
	s_mov_b32 s28, 0
.LBB15_453:
	s_delay_alu instid0(SALU_CYCLE_1)
	s_and_b32 vcc_lo, exec_lo, s28
	s_cbranch_vccz .LBB15_486
; %bb.454:
	s_cmp_gt_i32 s0, 22
	s_cbranch_scc0 .LBB15_462
; %bb.455:
	s_cmp_lt_i32 s0, 24
	s_cbranch_scc1 .LBB15_465
; %bb.456:
	s_cmp_gt_i32 s0, 24
	s_cbranch_scc0 .LBB15_466
; %bb.457:
	global_load_u8 v1, v[4:5], off
	s_mov_b32 s28, 0
	s_mov_b32 s27, exec_lo
	s_wait_loadcnt 0x0
	v_cmpx_lt_i16_e32 0x7f, v1
	s_xor_b32 s27, exec_lo, s27
	s_cbranch_execz .LBB15_478
; %bb.458:
	v_cmp_ne_u16_e32 vcc_lo, 0x80, v1
	s_and_b32 s28, vcc_lo, exec_lo
	s_and_not1_saveexec_b32 s27, s27
	s_cbranch_execnz .LBB15_479
.LBB15_459:
	s_or_b32 exec_lo, exec_lo, s27
	v_mov_b32_e32 v6, 0
	s_and_saveexec_b32 s27, s28
	s_cbranch_execz .LBB15_461
.LBB15_460:
	v_and_b32_e32 v3, 0xffff, v1
	s_delay_alu instid0(VALU_DEP_1) | instskip(SKIP_1) | instid1(VALU_DEP_2)
	v_dual_lshlrev_b32 v1, 24, v1 :: v_dual_bitop2_b32 v6, 3, v3 bitop3:0x40
	v_bfe_u32 v9, v3, 2, 5
	v_and_b32_e32 v1, 0x80000000, v1
	s_delay_alu instid0(VALU_DEP_3) | instskip(NEXT) | instid1(VALU_DEP_3)
	v_clz_i32_u32_e32 v7, v6
	v_cmp_eq_u32_e32 vcc_lo, 0, v9
	s_delay_alu instid0(VALU_DEP_2) | instskip(NEXT) | instid1(VALU_DEP_1)
	v_min_u32_e32 v7, 32, v7
	v_subrev_nc_u32_e32 v8, 29, v7
	v_sub_nc_u32_e32 v7, 30, v7
	s_delay_alu instid0(VALU_DEP_2) | instskip(NEXT) | instid1(VALU_DEP_2)
	v_lshlrev_b32_e32 v3, v8, v3
	v_cndmask_b32_e32 v7, v9, v7, vcc_lo
	s_delay_alu instid0(VALU_DEP_2) | instskip(NEXT) | instid1(VALU_DEP_1)
	v_and_b32_e32 v3, 3, v3
	v_cndmask_b32_e32 v3, v6, v3, vcc_lo
	s_delay_alu instid0(VALU_DEP_3) | instskip(NEXT) | instid1(VALU_DEP_2)
	v_lshl_add_u32 v6, v7, 23, 0x37800000
	v_lshlrev_b32_e32 v3, 21, v3
	s_delay_alu instid0(VALU_DEP_1) | instskip(NEXT) | instid1(VALU_DEP_1)
	v_or3_b32 v1, v1, v6, v3
	v_trunc_f32_e32 v1, v1
	s_delay_alu instid0(VALU_DEP_1) | instskip(NEXT) | instid1(VALU_DEP_1)
	v_mul_f32_e64 v3, 0x2f800000, |v1|
	v_floor_f32_e32 v3, v3
	s_delay_alu instid0(VALU_DEP_1) | instskip(SKIP_1) | instid1(VALU_DEP_2)
	v_fma_f32 v3, 0xcf800000, v3, |v1|
	v_ashrrev_i32_e32 v1, 31, v1
	v_cvt_u32_f32_e32 v3, v3
	s_delay_alu instid0(VALU_DEP_1) | instskip(NEXT) | instid1(VALU_DEP_1)
	v_xor_b32_e32 v3, v3, v1
	v_sub_nc_u32_e32 v6, v3, v1
.LBB15_461:
	s_or_b32 exec_lo, exec_lo, s27
	s_mov_b32 s27, 0
	s_branch .LBB15_467
.LBB15_462:
	s_mov_b32 s28, -1
                                        ; implicit-def: $vgpr6
	s_branch .LBB15_473
.LBB15_463:
	s_and_not1_saveexec_b32 s27, s27
	s_cbranch_execz .LBB15_448
.LBB15_464:
	v_cmp_ne_u16_e32 vcc_lo, 0, v1
	s_and_not1_b32 s28, s28, exec_lo
	s_and_b32 s29, vcc_lo, exec_lo
	s_delay_alu instid0(SALU_CYCLE_1)
	s_or_b32 s28, s28, s29
	s_or_b32 exec_lo, exec_lo, s27
	v_mov_b32_e32 v6, 0
	s_and_saveexec_b32 s27, s28
	s_cbranch_execnz .LBB15_449
	s_branch .LBB15_450
.LBB15_465:
	s_mov_b32 s27, -1
                                        ; implicit-def: $vgpr6
	s_branch .LBB15_470
.LBB15_466:
	s_mov_b32 s27, -1
                                        ; implicit-def: $vgpr6
.LBB15_467:
	s_delay_alu instid0(SALU_CYCLE_1)
	s_and_b32 vcc_lo, exec_lo, s27
	s_cbranch_vccz .LBB15_469
; %bb.468:
	global_load_u8 v1, v[4:5], off
	s_wait_loadcnt 0x0
	v_lshlrev_b32_e32 v1, 24, v1
	s_delay_alu instid0(VALU_DEP_1) | instskip(NEXT) | instid1(VALU_DEP_1)
	v_and_b32_e32 v3, 0x7f000000, v1
	v_clz_i32_u32_e32 v6, v3
	v_cmp_ne_u32_e32 vcc_lo, 0, v3
	v_add_nc_u32_e32 v8, 0x1000000, v3
	s_delay_alu instid0(VALU_DEP_3) | instskip(NEXT) | instid1(VALU_DEP_1)
	v_min_u32_e32 v6, 32, v6
	v_sub_nc_u32_e64 v6, v6, 4 clamp
	s_delay_alu instid0(VALU_DEP_1) | instskip(NEXT) | instid1(VALU_DEP_1)
	v_dual_lshlrev_b32 v7, v6, v3 :: v_dual_lshlrev_b32 v6, 23, v6
	v_lshrrev_b32_e32 v7, 4, v7
	s_delay_alu instid0(VALU_DEP_1) | instskip(NEXT) | instid1(VALU_DEP_1)
	v_dual_sub_nc_u32 v6, v7, v6 :: v_dual_ashrrev_i32 v7, 8, v8
	v_add_nc_u32_e32 v6, 0x3c000000, v6
	s_delay_alu instid0(VALU_DEP_1) | instskip(NEXT) | instid1(VALU_DEP_1)
	v_and_or_b32 v6, 0x7f800000, v7, v6
	v_cndmask_b32_e32 v3, 0, v6, vcc_lo
	s_delay_alu instid0(VALU_DEP_1) | instskip(NEXT) | instid1(VALU_DEP_1)
	v_and_or_b32 v1, 0x80000000, v1, v3
	v_trunc_f32_e32 v1, v1
	s_delay_alu instid0(VALU_DEP_1) | instskip(NEXT) | instid1(VALU_DEP_1)
	v_mul_f32_e64 v3, 0x2f800000, |v1|
	v_floor_f32_e32 v3, v3
	s_delay_alu instid0(VALU_DEP_1) | instskip(SKIP_1) | instid1(VALU_DEP_2)
	v_fma_f32 v3, 0xcf800000, v3, |v1|
	v_ashrrev_i32_e32 v1, 31, v1
	v_cvt_u32_f32_e32 v3, v3
	s_delay_alu instid0(VALU_DEP_1) | instskip(NEXT) | instid1(VALU_DEP_1)
	v_xor_b32_e32 v3, v3, v1
	v_sub_nc_u32_e32 v6, v3, v1
.LBB15_469:
	s_mov_b32 s27, 0
.LBB15_470:
	s_delay_alu instid0(SALU_CYCLE_1)
	s_and_not1_b32 vcc_lo, exec_lo, s27
	s_cbranch_vccnz .LBB15_472
; %bb.471:
	global_load_u8 v1, v[4:5], off
	s_wait_loadcnt 0x0
	v_lshlrev_b32_e32 v3, 25, v1
	v_lshlrev_b16 v1, 8, v1
	s_delay_alu instid0(VALU_DEP_1) | instskip(SKIP_1) | instid1(VALU_DEP_2)
	v_and_or_b32 v7, 0x7f00, v1, 0.5
	v_bfe_i32 v1, v1, 0, 16
	v_add_f32_e32 v7, -0.5, v7
	v_lshrrev_b32_e32 v6, 4, v3
	v_cmp_gt_u32_e32 vcc_lo, 0x8000000, v3
	s_delay_alu instid0(VALU_DEP_2) | instskip(NEXT) | instid1(VALU_DEP_1)
	v_or_b32_e32 v6, 0x70000000, v6
	v_mul_f32_e32 v6, 0x7800000, v6
	s_delay_alu instid0(VALU_DEP_1) | instskip(NEXT) | instid1(VALU_DEP_1)
	v_cndmask_b32_e32 v3, v6, v7, vcc_lo
	v_and_or_b32 v1, 0x80000000, v1, v3
	s_delay_alu instid0(VALU_DEP_1) | instskip(NEXT) | instid1(VALU_DEP_1)
	v_trunc_f32_e32 v1, v1
	v_mul_f32_e64 v3, 0x2f800000, |v1|
	s_delay_alu instid0(VALU_DEP_1) | instskip(NEXT) | instid1(VALU_DEP_1)
	v_floor_f32_e32 v3, v3
	v_fma_f32 v3, 0xcf800000, v3, |v1|
	v_ashrrev_i32_e32 v1, 31, v1
	s_delay_alu instid0(VALU_DEP_2) | instskip(NEXT) | instid1(VALU_DEP_1)
	v_cvt_u32_f32_e32 v3, v3
	v_xor_b32_e32 v3, v3, v1
	s_delay_alu instid0(VALU_DEP_1)
	v_sub_nc_u32_e32 v6, v3, v1
.LBB15_472:
	s_mov_b32 s28, 0
	s_mov_b32 s27, -1
.LBB15_473:
	s_and_not1_b32 vcc_lo, exec_lo, s28
	s_cbranch_vccnz .LBB15_486
; %bb.474:
	s_cmp_gt_i32 s0, 14
	s_cbranch_scc0 .LBB15_477
; %bb.475:
	s_cmp_eq_u32 s0, 15
	s_cbranch_scc0 .LBB15_480
; %bb.476:
	global_load_u16 v1, v[4:5], off
	s_mov_b32 s27, -1
	s_mov_b32 s26, 0
	s_wait_loadcnt 0x0
	v_lshlrev_b32_e32 v1, 16, v1
	s_delay_alu instid0(VALU_DEP_1) | instskip(NEXT) | instid1(VALU_DEP_1)
	v_trunc_f32_e32 v1, v1
	v_mul_f32_e64 v3, 0x2f800000, |v1|
	s_delay_alu instid0(VALU_DEP_1) | instskip(NEXT) | instid1(VALU_DEP_1)
	v_floor_f32_e32 v3, v3
	v_fma_f32 v3, 0xcf800000, v3, |v1|
	v_ashrrev_i32_e32 v1, 31, v1
	s_delay_alu instid0(VALU_DEP_2) | instskip(NEXT) | instid1(VALU_DEP_1)
	v_cvt_u32_f32_e32 v3, v3
	v_xor_b32_e32 v3, v3, v1
	s_delay_alu instid0(VALU_DEP_1)
	v_sub_nc_u32_e32 v6, v3, v1
	s_branch .LBB15_481
.LBB15_477:
	s_mov_b32 s28, -1
                                        ; implicit-def: $vgpr6
	s_branch .LBB15_482
.LBB15_478:
	s_and_not1_saveexec_b32 s27, s27
	s_cbranch_execz .LBB15_459
.LBB15_479:
	v_cmp_ne_u16_e32 vcc_lo, 0, v1
	s_and_not1_b32 s28, s28, exec_lo
	s_and_b32 s29, vcc_lo, exec_lo
	s_delay_alu instid0(SALU_CYCLE_1)
	s_or_b32 s28, s28, s29
	s_or_b32 exec_lo, exec_lo, s27
	v_mov_b32_e32 v6, 0
	s_and_saveexec_b32 s27, s28
	s_cbranch_execnz .LBB15_460
	s_branch .LBB15_461
.LBB15_480:
	s_mov_b32 s26, -1
                                        ; implicit-def: $vgpr6
.LBB15_481:
	s_mov_b32 s28, 0
.LBB15_482:
	s_delay_alu instid0(SALU_CYCLE_1)
	s_and_b32 vcc_lo, exec_lo, s28
	s_cbranch_vccz .LBB15_486
; %bb.483:
	s_cmp_eq_u32 s0, 11
	s_cbranch_scc0 .LBB15_485
; %bb.484:
	global_load_u8 v1, v[4:5], off
	s_mov_b32 s26, 0
	s_mov_b32 s27, -1
	s_wait_loadcnt 0x0
	v_cmp_ne_u16_e32 vcc_lo, 0, v1
	v_cndmask_b32_e64 v6, 0, 1, vcc_lo
	s_branch .LBB15_486
.LBB15_485:
	s_mov_b32 s26, -1
                                        ; implicit-def: $vgpr6
.LBB15_486:
	s_branch .LBB15_292
.LBB15_487:
	s_cmp_lt_i32 s0, 5
	s_cbranch_scc1 .LBB15_492
; %bb.488:
	s_cmp_lt_i32 s0, 8
	s_cbranch_scc1 .LBB15_493
; %bb.489:
	s_cmp_lt_i32 s0, 9
	s_cbranch_scc1 .LBB15_494
; %bb.490:
	s_cmp_gt_i32 s0, 9
	s_cbranch_scc0 .LBB15_495
; %bb.491:
	s_wait_loadcnt 0x0
	global_load_b64 v[6:7], v[4:5], off
	s_mov_b32 s27, 0
	s_wait_loadcnt 0x0
	v_trunc_f64_e32 v[6:7], v[6:7]
	s_delay_alu instid0(VALU_DEP_1) | instskip(NEXT) | instid1(VALU_DEP_1)
	v_ldexp_f64 v[8:9], v[6:7], 0xffffffe0
	v_floor_f64_e32 v[8:9], v[8:9]
	s_delay_alu instid0(VALU_DEP_1) | instskip(NEXT) | instid1(VALU_DEP_1)
	v_fmamk_f64 v[6:7], v[8:9], 0xc1f00000, v[6:7]
	v_cvt_u32_f64_e32 v6, v[6:7]
	s_branch .LBB15_496
.LBB15_492:
	s_mov_b32 s27, -1
                                        ; implicit-def: $vgpr6
	s_branch .LBB15_514
.LBB15_493:
	s_mov_b32 s27, -1
                                        ; implicit-def: $vgpr6
	s_branch .LBB15_502
.LBB15_494:
	s_mov_b32 s27, -1
                                        ; implicit-def: $vgpr6
	s_branch .LBB15_499
.LBB15_495:
	s_mov_b32 s27, -1
                                        ; implicit-def: $vgpr6
.LBB15_496:
	s_delay_alu instid0(SALU_CYCLE_1)
	s_and_not1_b32 vcc_lo, exec_lo, s27
	s_cbranch_vccnz .LBB15_498
; %bb.497:
	global_load_b32 v1, v[4:5], off
	s_wait_loadcnt 0x0
	v_trunc_f32_e32 v1, v1
	s_delay_alu instid0(VALU_DEP_1) | instskip(NEXT) | instid1(VALU_DEP_1)
	v_mul_f32_e64 v3, 0x2f800000, |v1|
	v_floor_f32_e32 v3, v3
	s_delay_alu instid0(VALU_DEP_1) | instskip(SKIP_1) | instid1(VALU_DEP_2)
	v_fma_f32 v3, 0xcf800000, v3, |v1|
	v_ashrrev_i32_e32 v1, 31, v1
	v_cvt_u32_f32_e32 v3, v3
	s_delay_alu instid0(VALU_DEP_1) | instskip(NEXT) | instid1(VALU_DEP_1)
	v_xor_b32_e32 v3, v3, v1
	v_sub_nc_u32_e32 v6, v3, v1
.LBB15_498:
	s_mov_b32 s27, 0
.LBB15_499:
	s_delay_alu instid0(SALU_CYCLE_1)
	s_and_not1_b32 vcc_lo, exec_lo, s27
	s_cbranch_vccnz .LBB15_501
; %bb.500:
	global_load_b32 v1, v[4:5], off
	s_wait_loadcnt 0x0
	v_cvt_f32_f16_e32 v1, v1
	s_delay_alu instid0(VALU_DEP_1)
	v_cvt_i32_f32_e32 v6, v1
.LBB15_501:
	s_mov_b32 s27, 0
.LBB15_502:
	s_delay_alu instid0(SALU_CYCLE_1)
	s_and_not1_b32 vcc_lo, exec_lo, s27
	s_cbranch_vccnz .LBB15_513
; %bb.503:
	s_cmp_lt_i32 s0, 6
	s_cbranch_scc1 .LBB15_506
; %bb.504:
	s_cmp_gt_i32 s0, 6
	s_cbranch_scc0 .LBB15_507
; %bb.505:
	s_wait_loadcnt 0x0
	global_load_b64 v[6:7], v[4:5], off
	s_mov_b32 s27, 0
	s_wait_loadcnt 0x0
	v_trunc_f64_e32 v[6:7], v[6:7]
	s_delay_alu instid0(VALU_DEP_1) | instskip(NEXT) | instid1(VALU_DEP_1)
	v_ldexp_f64 v[8:9], v[6:7], 0xffffffe0
	v_floor_f64_e32 v[8:9], v[8:9]
	s_delay_alu instid0(VALU_DEP_1) | instskip(NEXT) | instid1(VALU_DEP_1)
	v_fmamk_f64 v[6:7], v[8:9], 0xc1f00000, v[6:7]
	v_cvt_u32_f64_e32 v6, v[6:7]
	s_branch .LBB15_508
.LBB15_506:
	s_mov_b32 s27, -1
                                        ; implicit-def: $vgpr6
	s_branch .LBB15_511
.LBB15_507:
	s_mov_b32 s27, -1
                                        ; implicit-def: $vgpr6
.LBB15_508:
	s_delay_alu instid0(SALU_CYCLE_1)
	s_and_not1_b32 vcc_lo, exec_lo, s27
	s_cbranch_vccnz .LBB15_510
; %bb.509:
	global_load_b32 v1, v[4:5], off
	s_wait_loadcnt 0x0
	v_trunc_f32_e32 v1, v1
	s_delay_alu instid0(VALU_DEP_1) | instskip(NEXT) | instid1(VALU_DEP_1)
	v_mul_f32_e64 v3, 0x2f800000, |v1|
	v_floor_f32_e32 v3, v3
	s_delay_alu instid0(VALU_DEP_1) | instskip(SKIP_1) | instid1(VALU_DEP_2)
	v_fma_f32 v3, 0xcf800000, v3, |v1|
	v_ashrrev_i32_e32 v1, 31, v1
	v_cvt_u32_f32_e32 v3, v3
	s_delay_alu instid0(VALU_DEP_1) | instskip(NEXT) | instid1(VALU_DEP_1)
	v_xor_b32_e32 v3, v3, v1
	v_sub_nc_u32_e32 v6, v3, v1
.LBB15_510:
	s_mov_b32 s27, 0
.LBB15_511:
	s_delay_alu instid0(SALU_CYCLE_1)
	s_and_not1_b32 vcc_lo, exec_lo, s27
	s_cbranch_vccnz .LBB15_513
; %bb.512:
	global_load_u16 v1, v[4:5], off
	s_wait_loadcnt 0x0
	v_cvt_f32_f16_e32 v1, v1
	s_delay_alu instid0(VALU_DEP_1)
	v_cvt_i32_f32_e32 v6, v1
.LBB15_513:
	s_mov_b32 s27, 0
.LBB15_514:
	s_delay_alu instid0(SALU_CYCLE_1)
	s_and_not1_b32 vcc_lo, exec_lo, s27
	s_cbranch_vccnz .LBB15_534
; %bb.515:
	s_cmp_lt_i32 s0, 2
	s_cbranch_scc1 .LBB15_519
; %bb.516:
	s_cmp_lt_i32 s0, 3
	s_cbranch_scc1 .LBB15_520
; %bb.517:
	s_cmp_gt_i32 s0, 3
	s_cbranch_scc0 .LBB15_521
; %bb.518:
	s_wait_loadcnt 0x0
	global_load_b64 v[6:7], v[4:5], off
	s_mov_b32 s27, 0
	s_branch .LBB15_522
.LBB15_519:
	s_mov_b32 s27, -1
                                        ; implicit-def: $vgpr6
	s_branch .LBB15_528
.LBB15_520:
	s_mov_b32 s27, -1
                                        ; implicit-def: $vgpr6
	s_branch .LBB15_525
.LBB15_521:
	s_mov_b32 s27, -1
                                        ; implicit-def: $vgpr6
.LBB15_522:
	s_delay_alu instid0(SALU_CYCLE_1)
	s_and_not1_b32 vcc_lo, exec_lo, s27
	s_cbranch_vccnz .LBB15_524
; %bb.523:
	s_wait_loadcnt 0x0
	global_load_b32 v6, v[4:5], off
.LBB15_524:
	s_mov_b32 s27, 0
.LBB15_525:
	s_delay_alu instid0(SALU_CYCLE_1)
	s_and_not1_b32 vcc_lo, exec_lo, s27
	s_cbranch_vccnz .LBB15_527
; %bb.526:
	s_wait_loadcnt 0x0
	global_load_u16 v6, v[4:5], off
.LBB15_527:
	s_mov_b32 s27, 0
.LBB15_528:
	s_delay_alu instid0(SALU_CYCLE_1)
	s_and_not1_b32 vcc_lo, exec_lo, s27
	s_cbranch_vccnz .LBB15_534
; %bb.529:
	s_cmp_gt_i32 s0, 0
	s_mov_b32 s0, 0
	s_cbranch_scc0 .LBB15_531
; %bb.530:
	s_wait_loadcnt 0x0
	global_load_u8 v6, v[4:5], off
	s_branch .LBB15_532
.LBB15_531:
	s_mov_b32 s0, -1
                                        ; implicit-def: $vgpr6
.LBB15_532:
	s_delay_alu instid0(SALU_CYCLE_1)
	s_and_not1_b32 vcc_lo, exec_lo, s0
	s_cbranch_vccnz .LBB15_534
; %bb.533:
	s_wait_loadcnt 0x0
	global_load_u8 v6, v[4:5], off
.LBB15_534:
	s_branch .LBB15_293
.LBB15_535:
	s_mov_b32 s27, 0
	s_mov_b32 s0, s20
.LBB15_536:
                                        ; implicit-def: $vgpr0
.LBB15_537:
	s_and_not1_b32 s28, s20, exec_lo
	s_and_b32 s0, s0, exec_lo
	s_and_not1_b32 s29, s42, exec_lo
	s_and_b32 s26, s26, exec_lo
	s_or_b32 s45, s28, s0
	s_or_b32 s44, s29, s26
	s_or_not1_b32 s0, s27, exec_lo
.LBB15_538:
	s_wait_xcnt 0x0
	s_or_b32 exec_lo, exec_lo, s46
	s_mov_b32 s26, 0
	s_mov_b32 s27, 0
	;; [unrolled: 1-line block ×3, first 2 shown]
                                        ; implicit-def: $vgpr4_vgpr5
                                        ; implicit-def: $vgpr2
                                        ; implicit-def: $vgpr6
	s_and_saveexec_b32 s46, s0
	s_cbranch_execz .LBB15_911
; %bb.539:
	s_mov_b32 s29, -1
	s_mov_b32 s0, s44
	s_mov_b32 s30, s45
	s_mov_b32 s47, exec_lo
	v_cmpx_gt_i32_e64 s39, v0
	s_cbranch_execz .LBB15_812
; %bb.540:
	s_and_not1_b32 vcc_lo, exec_lo, s35
	s_cbranch_vccnz .LBB15_546
; %bb.541:
	s_and_not1_b32 vcc_lo, exec_lo, s41
	s_cbranch_vccnz .LBB15_547
; %bb.542:
	s_add_co_i32 s0, s40, 1
	s_cmp_eq_u32 s34, 2
	s_cbranch_scc1 .LBB15_548
; %bb.543:
	v_dual_mov_b32 v2, 0 :: v_dual_mov_b32 v4, 0
	v_mov_b32_e32 v1, v0
	s_and_b32 s26, s0, 28
	s_mov_b64 s[28:29], s[16:17]
	s_mov_b64 s[30:31], s[24:25]
.LBB15_544:                             ; =>This Inner Loop Header: Depth=1
	s_clause 0x1
	s_load_b256 s[48:55], s[28:29], 0x4
	s_load_b128 s[64:67], s[28:29], 0x24
	s_load_b256 s[56:63], s[30:31], 0x0
	s_add_co_i32 s27, s27, 4
	s_wait_xcnt 0x0
	s_add_nc_u64 s[28:29], s[28:29], 48
	s_cmp_eq_u32 s26, s27
	s_add_nc_u64 s[30:31], s[30:31], 32
	s_wait_kmcnt 0x0
	v_mul_hi_u32 v3, s49, v1
	s_delay_alu instid0(VALU_DEP_1) | instskip(NEXT) | instid1(VALU_DEP_1)
	v_add_nc_u32_e32 v3, v1, v3
	v_lshrrev_b32_e32 v3, s50, v3
	s_delay_alu instid0(VALU_DEP_1) | instskip(NEXT) | instid1(VALU_DEP_1)
	v_mul_hi_u32 v5, s52, v3
	v_add_nc_u32_e32 v5, v3, v5
	s_delay_alu instid0(VALU_DEP_1) | instskip(SKIP_1) | instid1(VALU_DEP_1)
	v_lshrrev_b32_e32 v5, s53, v5
	s_wait_loadcnt 0x0
	v_mul_hi_u32 v6, s55, v5
	s_delay_alu instid0(VALU_DEP_1) | instskip(SKIP_1) | instid1(VALU_DEP_1)
	v_add_nc_u32_e32 v6, v5, v6
	v_mul_lo_u32 v7, v3, s48
	v_sub_nc_u32_e32 v1, v1, v7
	v_mul_lo_u32 v7, v5, s51
	s_delay_alu instid0(VALU_DEP_4) | instskip(NEXT) | instid1(VALU_DEP_3)
	v_lshrrev_b32_e32 v6, s64, v6
	v_mad_u32 v4, v1, s57, v4
	v_mad_u32 v1, v1, s56, v2
	s_delay_alu instid0(VALU_DEP_4) | instskip(NEXT) | instid1(VALU_DEP_4)
	v_sub_nc_u32_e32 v2, v3, v7
	v_mul_hi_u32 v8, s66, v6
	v_mul_lo_u32 v3, v6, s54
	s_delay_alu instid0(VALU_DEP_3) | instskip(SKIP_1) | instid1(VALU_DEP_3)
	v_mad_u32 v4, v2, s59, v4
	v_mad_u32 v2, v2, s58, v1
	v_dual_add_nc_u32 v7, v6, v8 :: v_dual_sub_nc_u32 v3, v5, v3
	s_delay_alu instid0(VALU_DEP_1) | instskip(NEXT) | instid1(VALU_DEP_2)
	v_lshrrev_b32_e32 v1, s67, v7
	v_mad_u32 v4, v3, s61, v4
	s_delay_alu instid0(VALU_DEP_4) | instskip(NEXT) | instid1(VALU_DEP_3)
	v_mad_u32 v2, v3, s60, v2
	v_mul_lo_u32 v5, v1, s65
	s_delay_alu instid0(VALU_DEP_1) | instskip(NEXT) | instid1(VALU_DEP_1)
	v_sub_nc_u32_e32 v3, v6, v5
	v_mad_u32 v4, v3, s63, v4
	s_delay_alu instid0(VALU_DEP_4)
	v_mad_u32 v2, v3, s62, v2
	s_cbranch_scc0 .LBB15_544
; %bb.545:
	s_delay_alu instid0(VALU_DEP_2)
	v_mov_b32_e32 v3, v4
	s_branch .LBB15_549
.LBB15_546:
	s_mov_b32 s0, -1
                                        ; implicit-def: $vgpr4
                                        ; implicit-def: $vgpr2
	s_branch .LBB15_554
.LBB15_547:
	v_dual_mov_b32 v4, 0 :: v_dual_mov_b32 v2, 0
	s_branch .LBB15_553
.LBB15_548:
	v_mov_b64_e32 v[2:3], 0
	v_mov_b32_e32 v1, v0
                                        ; implicit-def: $vgpr4
.LBB15_549:
	s_and_b32 s0, s0, 3
	s_mov_b32 s27, 0
	s_cmp_eq_u32 s0, 0
	s_cbranch_scc1 .LBB15_553
; %bb.550:
	s_lshl_b32 s28, s26, 3
	s_mov_b32 s29, s27
	s_mul_u64 s[30:31], s[26:27], 12
	s_add_nc_u64 s[28:29], s[16:17], s[28:29]
	s_delay_alu instid0(SALU_CYCLE_1)
	s_add_nc_u64 s[26:27], s[28:29], 0xc4
	s_add_nc_u64 s[28:29], s[16:17], s[30:31]
.LBB15_551:                             ; =>This Inner Loop Header: Depth=1
	s_load_b96 s[48:50], s[28:29], 0x4
	s_load_b64 s[30:31], s[26:27], 0x0
	s_add_co_i32 s0, s0, -1
	s_wait_xcnt 0x0
	s_add_nc_u64 s[28:29], s[28:29], 12
	s_cmp_lg_u32 s0, 0
	s_add_nc_u64 s[26:27], s[26:27], 8
	s_wait_kmcnt 0x0
	v_mul_hi_u32 v4, s49, v1
	s_delay_alu instid0(VALU_DEP_1) | instskip(NEXT) | instid1(VALU_DEP_1)
	v_add_nc_u32_e32 v4, v1, v4
	v_lshrrev_b32_e32 v4, s50, v4
	s_delay_alu instid0(VALU_DEP_1) | instskip(NEXT) | instid1(VALU_DEP_1)
	v_mul_lo_u32 v5, v4, s48
	v_sub_nc_u32_e32 v1, v1, v5
	s_delay_alu instid0(VALU_DEP_1)
	v_mad_u32 v3, v1, s31, v3
	v_mad_u32 v2, v1, s30, v2
	v_mov_b32_e32 v1, v4
	s_cbranch_scc1 .LBB15_551
; %bb.552:
	s_delay_alu instid0(VALU_DEP_3)
	v_mov_b32_e32 v4, v3
.LBB15_553:
	s_mov_b32 s0, 0
.LBB15_554:
	s_delay_alu instid0(SALU_CYCLE_1)
	s_and_not1_b32 vcc_lo, exec_lo, s0
	s_cbranch_vccnz .LBB15_557
; %bb.555:
	v_mov_b32_e32 v1, 0
	s_and_not1_b32 vcc_lo, exec_lo, s38
	s_delay_alu instid0(VALU_DEP_1) | instskip(NEXT) | instid1(VALU_DEP_1)
	v_mul_u64_e32 v[2:3], s[18:19], v[0:1]
	v_add_nc_u32_e32 v2, v0, v3
	s_wait_loadcnt 0x0
	s_delay_alu instid0(VALU_DEP_1) | instskip(NEXT) | instid1(VALU_DEP_1)
	v_lshrrev_b32_e32 v6, s10, v2
	v_mul_lo_u32 v2, v6, s8
	s_delay_alu instid0(VALU_DEP_1) | instskip(NEXT) | instid1(VALU_DEP_1)
	v_sub_nc_u32_e32 v2, v0, v2
	v_mul_lo_u32 v4, v2, s13
	v_mul_lo_u32 v2, v2, s12
	s_cbranch_vccnz .LBB15_557
; %bb.556:
	v_mov_b32_e32 v7, v1
	s_delay_alu instid0(VALU_DEP_1) | instskip(NEXT) | instid1(VALU_DEP_1)
	v_mul_u64_e32 v[8:9], s[22:23], v[6:7]
	v_add_nc_u32_e32 v1, v6, v9
	s_delay_alu instid0(VALU_DEP_1) | instskip(NEXT) | instid1(VALU_DEP_1)
	v_lshrrev_b32_e32 v1, s21, v1
	v_mul_lo_u32 v1, v1, s11
	s_delay_alu instid0(VALU_DEP_1) | instskip(NEXT) | instid1(VALU_DEP_1)
	v_sub_nc_u32_e32 v1, v6, v1
	v_mad_u32 v2, v1, s14, v2
	v_mad_u32 v4, v1, s15, v4
.LBB15_557:
	v_mov_b32_e32 v5, 0
	s_and_b32 s0, 0xffff, s37
	s_delay_alu instid0(SALU_CYCLE_1) | instskip(NEXT) | instid1(VALU_DEP_1)
	s_cmp_lt_i32 s0, 11
	v_add_nc_u64_e32 v[4:5], s[6:7], v[4:5]
	s_cbranch_scc1 .LBB15_564
; %bb.558:
	s_cmp_gt_i32 s0, 25
	s_cbranch_scc0 .LBB15_565
; %bb.559:
	s_cmp_gt_i32 s0, 28
	s_cbranch_scc0 .LBB15_566
	;; [unrolled: 3-line block ×4, first 2 shown]
; %bb.562:
	s_cmp_eq_u32 s0, 46
	s_mov_b32 s28, 0
	s_cbranch_scc0 .LBB15_573
; %bb.563:
	global_load_b32 v1, v[4:5], off
	s_mov_b32 s27, -1
	s_mov_b32 s26, 0
	s_wait_loadcnt 0x0
	v_lshlrev_b32_e32 v1, 16, v1
	s_delay_alu instid0(VALU_DEP_1) | instskip(NEXT) | instid1(VALU_DEP_1)
	v_trunc_f32_e32 v1, v1
	v_mul_f32_e64 v3, 0x2f800000, |v1|
	s_delay_alu instid0(VALU_DEP_1) | instskip(NEXT) | instid1(VALU_DEP_1)
	v_floor_f32_e32 v3, v3
	v_fma_f32 v3, 0xcf800000, v3, |v1|
	v_ashrrev_i32_e32 v1, 31, v1
	s_delay_alu instid0(VALU_DEP_2) | instskip(NEXT) | instid1(VALU_DEP_1)
	v_cvt_u32_f32_e32 v3, v3
	v_xor_b32_e32 v3, v3, v1
	s_delay_alu instid0(VALU_DEP_1)
	v_sub_nc_u32_e32 v6, v3, v1
	s_branch .LBB15_575
.LBB15_564:
	s_mov_b32 s28, -1
	s_mov_b32 s27, 0
	s_mov_b32 s26, s44
                                        ; implicit-def: $vgpr6
	s_branch .LBB15_636
.LBB15_565:
	s_mov_b32 s28, -1
	s_mov_b32 s27, 0
	s_mov_b32 s26, s44
                                        ; implicit-def: $vgpr6
	s_branch .LBB15_602
.LBB15_566:
	s_mov_b32 s28, -1
	s_mov_b32 s27, 0
	s_mov_b32 s26, s44
                                        ; implicit-def: $vgpr6
	s_branch .LBB15_585
.LBB15_567:
	s_mov_b32 s28, -1
	s_mov_b32 s27, 0
	s_mov_b32 s26, s44
                                        ; implicit-def: $vgpr6
	s_branch .LBB15_580
.LBB15_568:
	s_and_not1_saveexec_b32 s44, s44
	s_cbranch_execz .LBB15_339
.LBB15_569:
	v_add_f32_e32 v1, 0x46000000, v4
	s_and_not1_b32 s31, s31, exec_lo
	s_delay_alu instid0(VALU_DEP_1) | instskip(NEXT) | instid1(VALU_DEP_1)
	v_and_b32_e32 v1, 0xff, v1
	v_cmp_ne_u32_e32 vcc_lo, 0, v1
	s_and_b32 s45, vcc_lo, exec_lo
	s_delay_alu instid0(SALU_CYCLE_1)
	s_or_b32 s31, s31, s45
	s_or_b32 exec_lo, exec_lo, s44
	v_mov_b32_e32 v5, 0
	s_and_saveexec_b32 s44, s31
	s_cbranch_execnz .LBB15_340
	s_branch .LBB15_341
.LBB15_570:
	s_mov_b32 s28, -1
	s_mov_b32 s27, 0
	s_mov_b32 s26, s44
	s_branch .LBB15_574
.LBB15_571:
	s_and_not1_saveexec_b32 s44, s44
	s_cbranch_execz .LBB15_352
.LBB15_572:
	v_add_f32_e32 v1, 0x42800000, v4
	s_and_not1_b32 s31, s31, exec_lo
	s_delay_alu instid0(VALU_DEP_1) | instskip(NEXT) | instid1(VALU_DEP_1)
	v_and_b32_e32 v1, 0xff, v1
	v_cmp_ne_u32_e32 vcc_lo, 0, v1
	s_and_b32 s45, vcc_lo, exec_lo
	s_delay_alu instid0(SALU_CYCLE_1)
	s_or_b32 s31, s31, s45
	s_or_b32 exec_lo, exec_lo, s44
	v_mov_b32_e32 v5, 0
	s_and_saveexec_b32 s44, s31
	s_cbranch_execnz .LBB15_353
	s_branch .LBB15_354
.LBB15_573:
	s_mov_b32 s26, -1
	s_mov_b32 s27, 0
.LBB15_574:
                                        ; implicit-def: $vgpr6
.LBB15_575:
	s_and_b32 vcc_lo, exec_lo, s28
	s_cbranch_vccz .LBB15_579
; %bb.576:
	s_cmp_eq_u32 s0, 44
	s_cbranch_scc0 .LBB15_578
; %bb.577:
	global_load_u8 v1, v[4:5], off
	s_mov_b32 s26, 0
	s_mov_b32 s27, -1
	s_wait_loadcnt 0x0
	v_lshlrev_b32_e32 v3, 23, v1
	v_cmp_ne_u32_e32 vcc_lo, 0, v1
	s_delay_alu instid0(VALU_DEP_2) | instskip(NEXT) | instid1(VALU_DEP_1)
	v_trunc_f32_e32 v3, v3
	v_mul_f32_e64 v6, 0x2f800000, |v3|
	s_delay_alu instid0(VALU_DEP_1) | instskip(NEXT) | instid1(VALU_DEP_1)
	v_floor_f32_e32 v6, v6
	v_fma_f32 v6, 0xcf800000, v6, |v3|
	v_ashrrev_i32_e32 v3, 31, v3
	s_delay_alu instid0(VALU_DEP_2) | instskip(NEXT) | instid1(VALU_DEP_1)
	v_cvt_u32_f32_e32 v6, v6
	v_xor_b32_e32 v6, v6, v3
	s_delay_alu instid0(VALU_DEP_1) | instskip(NEXT) | instid1(VALU_DEP_1)
	v_sub_nc_u32_e32 v3, v6, v3
	v_cndmask_b32_e32 v6, 0, v3, vcc_lo
	s_branch .LBB15_579
.LBB15_578:
	s_mov_b32 s26, -1
                                        ; implicit-def: $vgpr6
.LBB15_579:
	s_mov_b32 s28, 0
.LBB15_580:
	s_delay_alu instid0(SALU_CYCLE_1)
	s_and_b32 vcc_lo, exec_lo, s28
	s_cbranch_vccz .LBB15_584
; %bb.581:
	s_cmp_eq_u32 s0, 29
	s_cbranch_scc0 .LBB15_583
; %bb.582:
	s_wait_loadcnt 0x0
	global_load_b64 v[6:7], v[4:5], off
	s_mov_b32 s27, -1
	s_mov_b32 s26, 0
	s_branch .LBB15_584
.LBB15_583:
	s_mov_b32 s26, -1
                                        ; implicit-def: $vgpr6
.LBB15_584:
	s_mov_b32 s28, 0
.LBB15_585:
	s_delay_alu instid0(SALU_CYCLE_1)
	s_and_b32 vcc_lo, exec_lo, s28
	s_cbranch_vccz .LBB15_601
; %bb.586:
	s_cmp_lt_i32 s0, 27
	s_cbranch_scc1 .LBB15_589
; %bb.587:
	s_cmp_gt_i32 s0, 27
	s_cbranch_scc0 .LBB15_590
; %bb.588:
	s_wait_loadcnt 0x0
	global_load_b32 v6, v[4:5], off
	s_mov_b32 s27, 0
	s_branch .LBB15_591
.LBB15_589:
	s_mov_b32 s27, -1
                                        ; implicit-def: $vgpr6
	s_branch .LBB15_594
.LBB15_590:
	s_mov_b32 s27, -1
                                        ; implicit-def: $vgpr6
.LBB15_591:
	s_delay_alu instid0(SALU_CYCLE_1)
	s_and_not1_b32 vcc_lo, exec_lo, s27
	s_cbranch_vccnz .LBB15_593
; %bb.592:
	s_wait_loadcnt 0x0
	global_load_u16 v6, v[4:5], off
.LBB15_593:
	s_mov_b32 s27, 0
.LBB15_594:
	s_delay_alu instid0(SALU_CYCLE_1)
	s_and_not1_b32 vcc_lo, exec_lo, s27
	s_cbranch_vccnz .LBB15_600
; %bb.595:
	global_load_u8 v1, v[4:5], off
	s_mov_b32 s28, 0
	s_mov_b32 s27, exec_lo
	s_wait_loadcnt 0x0
	v_cmpx_lt_i16_e32 0x7f, v1
	s_xor_b32 s27, exec_lo, s27
	s_cbranch_execz .LBB15_612
; %bb.596:
	v_cmp_ne_u16_e32 vcc_lo, 0x80, v1
	s_and_b32 s28, vcc_lo, exec_lo
	s_and_not1_saveexec_b32 s27, s27
	s_cbranch_execnz .LBB15_613
.LBB15_597:
	s_or_b32 exec_lo, exec_lo, s27
	v_mov_b32_e32 v6, 0
	s_and_saveexec_b32 s27, s28
	s_cbranch_execz .LBB15_599
.LBB15_598:
	v_and_b32_e32 v3, 0xffff, v1
	s_delay_alu instid0(VALU_DEP_1) | instskip(SKIP_1) | instid1(VALU_DEP_2)
	v_dual_lshlrev_b32 v1, 24, v1 :: v_dual_bitop2_b32 v6, 7, v3 bitop3:0x40
	v_bfe_u32 v9, v3, 3, 4
	v_and_b32_e32 v1, 0x80000000, v1
	s_delay_alu instid0(VALU_DEP_3) | instskip(NEXT) | instid1(VALU_DEP_3)
	v_clz_i32_u32_e32 v7, v6
	v_cmp_eq_u32_e32 vcc_lo, 0, v9
	s_delay_alu instid0(VALU_DEP_2) | instskip(NEXT) | instid1(VALU_DEP_1)
	v_min_u32_e32 v7, 32, v7
	v_subrev_nc_u32_e32 v8, 28, v7
	v_sub_nc_u32_e32 v7, 29, v7
	s_delay_alu instid0(VALU_DEP_2) | instskip(NEXT) | instid1(VALU_DEP_2)
	v_lshlrev_b32_e32 v3, v8, v3
	v_cndmask_b32_e32 v7, v9, v7, vcc_lo
	s_delay_alu instid0(VALU_DEP_2) | instskip(NEXT) | instid1(VALU_DEP_1)
	v_and_b32_e32 v3, 7, v3
	v_cndmask_b32_e32 v3, v6, v3, vcc_lo
	s_delay_alu instid0(VALU_DEP_3) | instskip(NEXT) | instid1(VALU_DEP_2)
	v_lshl_add_u32 v6, v7, 23, 0x3b800000
	v_lshlrev_b32_e32 v3, 20, v3
	s_delay_alu instid0(VALU_DEP_1) | instskip(NEXT) | instid1(VALU_DEP_1)
	v_or3_b32 v1, v1, v6, v3
	v_trunc_f32_e32 v1, v1
	s_delay_alu instid0(VALU_DEP_1) | instskip(NEXT) | instid1(VALU_DEP_1)
	v_mul_f32_e64 v3, 0x2f800000, |v1|
	v_floor_f32_e32 v3, v3
	s_delay_alu instid0(VALU_DEP_1) | instskip(SKIP_1) | instid1(VALU_DEP_2)
	v_fma_f32 v3, 0xcf800000, v3, |v1|
	v_ashrrev_i32_e32 v1, 31, v1
	v_cvt_u32_f32_e32 v3, v3
	s_delay_alu instid0(VALU_DEP_1) | instskip(NEXT) | instid1(VALU_DEP_1)
	v_xor_b32_e32 v3, v3, v1
	v_sub_nc_u32_e32 v6, v3, v1
.LBB15_599:
	s_or_b32 exec_lo, exec_lo, s27
.LBB15_600:
	s_mov_b32 s27, -1
.LBB15_601:
	s_mov_b32 s28, 0
.LBB15_602:
	s_delay_alu instid0(SALU_CYCLE_1)
	s_and_b32 vcc_lo, exec_lo, s28
	s_cbranch_vccz .LBB15_635
; %bb.603:
	s_cmp_gt_i32 s0, 22
	s_cbranch_scc0 .LBB15_611
; %bb.604:
	s_cmp_lt_i32 s0, 24
	s_cbranch_scc1 .LBB15_614
; %bb.605:
	s_cmp_gt_i32 s0, 24
	s_cbranch_scc0 .LBB15_615
; %bb.606:
	global_load_u8 v1, v[4:5], off
	s_mov_b32 s28, 0
	s_mov_b32 s27, exec_lo
	s_wait_loadcnt 0x0
	v_cmpx_lt_i16_e32 0x7f, v1
	s_xor_b32 s27, exec_lo, s27
	s_cbranch_execz .LBB15_627
; %bb.607:
	v_cmp_ne_u16_e32 vcc_lo, 0x80, v1
	s_and_b32 s28, vcc_lo, exec_lo
	s_and_not1_saveexec_b32 s27, s27
	s_cbranch_execnz .LBB15_628
.LBB15_608:
	s_or_b32 exec_lo, exec_lo, s27
	v_mov_b32_e32 v6, 0
	s_and_saveexec_b32 s27, s28
	s_cbranch_execz .LBB15_610
.LBB15_609:
	v_and_b32_e32 v3, 0xffff, v1
	s_delay_alu instid0(VALU_DEP_1) | instskip(SKIP_1) | instid1(VALU_DEP_2)
	v_dual_lshlrev_b32 v1, 24, v1 :: v_dual_bitop2_b32 v6, 3, v3 bitop3:0x40
	v_bfe_u32 v9, v3, 2, 5
	v_and_b32_e32 v1, 0x80000000, v1
	s_delay_alu instid0(VALU_DEP_3) | instskip(NEXT) | instid1(VALU_DEP_3)
	v_clz_i32_u32_e32 v7, v6
	v_cmp_eq_u32_e32 vcc_lo, 0, v9
	s_delay_alu instid0(VALU_DEP_2) | instskip(NEXT) | instid1(VALU_DEP_1)
	v_min_u32_e32 v7, 32, v7
	v_subrev_nc_u32_e32 v8, 29, v7
	v_sub_nc_u32_e32 v7, 30, v7
	s_delay_alu instid0(VALU_DEP_2) | instskip(NEXT) | instid1(VALU_DEP_2)
	v_lshlrev_b32_e32 v3, v8, v3
	v_cndmask_b32_e32 v7, v9, v7, vcc_lo
	s_delay_alu instid0(VALU_DEP_2) | instskip(NEXT) | instid1(VALU_DEP_1)
	v_and_b32_e32 v3, 3, v3
	v_cndmask_b32_e32 v3, v6, v3, vcc_lo
	s_delay_alu instid0(VALU_DEP_3) | instskip(NEXT) | instid1(VALU_DEP_2)
	v_lshl_add_u32 v6, v7, 23, 0x37800000
	v_lshlrev_b32_e32 v3, 21, v3
	s_delay_alu instid0(VALU_DEP_1) | instskip(NEXT) | instid1(VALU_DEP_1)
	v_or3_b32 v1, v1, v6, v3
	v_trunc_f32_e32 v1, v1
	s_delay_alu instid0(VALU_DEP_1) | instskip(NEXT) | instid1(VALU_DEP_1)
	v_mul_f32_e64 v3, 0x2f800000, |v1|
	v_floor_f32_e32 v3, v3
	s_delay_alu instid0(VALU_DEP_1) | instskip(SKIP_1) | instid1(VALU_DEP_2)
	v_fma_f32 v3, 0xcf800000, v3, |v1|
	v_ashrrev_i32_e32 v1, 31, v1
	v_cvt_u32_f32_e32 v3, v3
	s_delay_alu instid0(VALU_DEP_1) | instskip(NEXT) | instid1(VALU_DEP_1)
	v_xor_b32_e32 v3, v3, v1
	v_sub_nc_u32_e32 v6, v3, v1
.LBB15_610:
	s_or_b32 exec_lo, exec_lo, s27
	s_mov_b32 s27, 0
	s_branch .LBB15_616
.LBB15_611:
	s_mov_b32 s28, -1
                                        ; implicit-def: $vgpr6
	s_branch .LBB15_622
.LBB15_612:
	s_and_not1_saveexec_b32 s27, s27
	s_cbranch_execz .LBB15_597
.LBB15_613:
	v_cmp_ne_u16_e32 vcc_lo, 0, v1
	s_and_not1_b32 s28, s28, exec_lo
	s_and_b32 s29, vcc_lo, exec_lo
	s_delay_alu instid0(SALU_CYCLE_1)
	s_or_b32 s28, s28, s29
	s_or_b32 exec_lo, exec_lo, s27
	v_mov_b32_e32 v6, 0
	s_and_saveexec_b32 s27, s28
	s_cbranch_execnz .LBB15_598
	s_branch .LBB15_599
.LBB15_614:
	s_mov_b32 s27, -1
                                        ; implicit-def: $vgpr6
	s_branch .LBB15_619
.LBB15_615:
	s_mov_b32 s27, -1
                                        ; implicit-def: $vgpr6
.LBB15_616:
	s_delay_alu instid0(SALU_CYCLE_1)
	s_and_b32 vcc_lo, exec_lo, s27
	s_cbranch_vccz .LBB15_618
; %bb.617:
	global_load_u8 v1, v[4:5], off
	s_wait_loadcnt 0x0
	v_lshlrev_b32_e32 v1, 24, v1
	s_delay_alu instid0(VALU_DEP_1) | instskip(NEXT) | instid1(VALU_DEP_1)
	v_and_b32_e32 v3, 0x7f000000, v1
	v_clz_i32_u32_e32 v6, v3
	v_cmp_ne_u32_e32 vcc_lo, 0, v3
	v_add_nc_u32_e32 v8, 0x1000000, v3
	s_delay_alu instid0(VALU_DEP_3) | instskip(NEXT) | instid1(VALU_DEP_1)
	v_min_u32_e32 v6, 32, v6
	v_sub_nc_u32_e64 v6, v6, 4 clamp
	s_delay_alu instid0(VALU_DEP_1) | instskip(NEXT) | instid1(VALU_DEP_1)
	v_dual_lshlrev_b32 v7, v6, v3 :: v_dual_lshlrev_b32 v6, 23, v6
	v_lshrrev_b32_e32 v7, 4, v7
	s_delay_alu instid0(VALU_DEP_1) | instskip(NEXT) | instid1(VALU_DEP_1)
	v_dual_sub_nc_u32 v6, v7, v6 :: v_dual_ashrrev_i32 v7, 8, v8
	v_add_nc_u32_e32 v6, 0x3c000000, v6
	s_delay_alu instid0(VALU_DEP_1) | instskip(NEXT) | instid1(VALU_DEP_1)
	v_and_or_b32 v6, 0x7f800000, v7, v6
	v_cndmask_b32_e32 v3, 0, v6, vcc_lo
	s_delay_alu instid0(VALU_DEP_1) | instskip(NEXT) | instid1(VALU_DEP_1)
	v_and_or_b32 v1, 0x80000000, v1, v3
	v_trunc_f32_e32 v1, v1
	s_delay_alu instid0(VALU_DEP_1) | instskip(NEXT) | instid1(VALU_DEP_1)
	v_mul_f32_e64 v3, 0x2f800000, |v1|
	v_floor_f32_e32 v3, v3
	s_delay_alu instid0(VALU_DEP_1) | instskip(SKIP_1) | instid1(VALU_DEP_2)
	v_fma_f32 v3, 0xcf800000, v3, |v1|
	v_ashrrev_i32_e32 v1, 31, v1
	v_cvt_u32_f32_e32 v3, v3
	s_delay_alu instid0(VALU_DEP_1) | instskip(NEXT) | instid1(VALU_DEP_1)
	v_xor_b32_e32 v3, v3, v1
	v_sub_nc_u32_e32 v6, v3, v1
.LBB15_618:
	s_mov_b32 s27, 0
.LBB15_619:
	s_delay_alu instid0(SALU_CYCLE_1)
	s_and_not1_b32 vcc_lo, exec_lo, s27
	s_cbranch_vccnz .LBB15_621
; %bb.620:
	global_load_u8 v1, v[4:5], off
	s_wait_loadcnt 0x0
	v_lshlrev_b32_e32 v3, 25, v1
	v_lshlrev_b16 v1, 8, v1
	s_delay_alu instid0(VALU_DEP_1) | instskip(SKIP_1) | instid1(VALU_DEP_2)
	v_and_or_b32 v7, 0x7f00, v1, 0.5
	v_bfe_i32 v1, v1, 0, 16
	v_add_f32_e32 v7, -0.5, v7
	v_lshrrev_b32_e32 v6, 4, v3
	v_cmp_gt_u32_e32 vcc_lo, 0x8000000, v3
	s_delay_alu instid0(VALU_DEP_2) | instskip(NEXT) | instid1(VALU_DEP_1)
	v_or_b32_e32 v6, 0x70000000, v6
	v_mul_f32_e32 v6, 0x7800000, v6
	s_delay_alu instid0(VALU_DEP_1) | instskip(NEXT) | instid1(VALU_DEP_1)
	v_cndmask_b32_e32 v3, v6, v7, vcc_lo
	v_and_or_b32 v1, 0x80000000, v1, v3
	s_delay_alu instid0(VALU_DEP_1) | instskip(NEXT) | instid1(VALU_DEP_1)
	v_trunc_f32_e32 v1, v1
	v_mul_f32_e64 v3, 0x2f800000, |v1|
	s_delay_alu instid0(VALU_DEP_1) | instskip(NEXT) | instid1(VALU_DEP_1)
	v_floor_f32_e32 v3, v3
	v_fma_f32 v3, 0xcf800000, v3, |v1|
	v_ashrrev_i32_e32 v1, 31, v1
	s_delay_alu instid0(VALU_DEP_2) | instskip(NEXT) | instid1(VALU_DEP_1)
	v_cvt_u32_f32_e32 v3, v3
	v_xor_b32_e32 v3, v3, v1
	s_delay_alu instid0(VALU_DEP_1)
	v_sub_nc_u32_e32 v6, v3, v1
.LBB15_621:
	s_mov_b32 s28, 0
	s_mov_b32 s27, -1
.LBB15_622:
	s_and_not1_b32 vcc_lo, exec_lo, s28
	s_cbranch_vccnz .LBB15_635
; %bb.623:
	s_cmp_gt_i32 s0, 14
	s_cbranch_scc0 .LBB15_626
; %bb.624:
	s_cmp_eq_u32 s0, 15
	s_cbranch_scc0 .LBB15_629
; %bb.625:
	global_load_u16 v1, v[4:5], off
	s_mov_b32 s27, -1
	s_mov_b32 s26, 0
	s_wait_loadcnt 0x0
	v_lshlrev_b32_e32 v1, 16, v1
	s_delay_alu instid0(VALU_DEP_1) | instskip(NEXT) | instid1(VALU_DEP_1)
	v_trunc_f32_e32 v1, v1
	v_mul_f32_e64 v3, 0x2f800000, |v1|
	s_delay_alu instid0(VALU_DEP_1) | instskip(NEXT) | instid1(VALU_DEP_1)
	v_floor_f32_e32 v3, v3
	v_fma_f32 v3, 0xcf800000, v3, |v1|
	v_ashrrev_i32_e32 v1, 31, v1
	s_delay_alu instid0(VALU_DEP_2) | instskip(NEXT) | instid1(VALU_DEP_1)
	v_cvt_u32_f32_e32 v3, v3
	v_xor_b32_e32 v3, v3, v1
	s_delay_alu instid0(VALU_DEP_1)
	v_sub_nc_u32_e32 v6, v3, v1
	s_branch .LBB15_630
.LBB15_626:
	s_mov_b32 s28, -1
                                        ; implicit-def: $vgpr6
	s_branch .LBB15_631
.LBB15_627:
	s_and_not1_saveexec_b32 s27, s27
	s_cbranch_execz .LBB15_608
.LBB15_628:
	v_cmp_ne_u16_e32 vcc_lo, 0, v1
	s_and_not1_b32 s28, s28, exec_lo
	s_and_b32 s29, vcc_lo, exec_lo
	s_delay_alu instid0(SALU_CYCLE_1)
	s_or_b32 s28, s28, s29
	s_or_b32 exec_lo, exec_lo, s27
	v_mov_b32_e32 v6, 0
	s_and_saveexec_b32 s27, s28
	s_cbranch_execnz .LBB15_609
	s_branch .LBB15_610
.LBB15_629:
	s_mov_b32 s26, -1
                                        ; implicit-def: $vgpr6
.LBB15_630:
	s_mov_b32 s28, 0
.LBB15_631:
	s_delay_alu instid0(SALU_CYCLE_1)
	s_and_b32 vcc_lo, exec_lo, s28
	s_cbranch_vccz .LBB15_635
; %bb.632:
	s_cmp_eq_u32 s0, 11
	s_cbranch_scc0 .LBB15_634
; %bb.633:
	global_load_u8 v1, v[4:5], off
	s_mov_b32 s26, 0
	s_mov_b32 s27, -1
	s_wait_loadcnt 0x0
	v_cmp_ne_u16_e32 vcc_lo, 0, v1
	v_cndmask_b32_e64 v6, 0, 1, vcc_lo
	s_branch .LBB15_635
.LBB15_634:
	s_mov_b32 s26, -1
                                        ; implicit-def: $vgpr6
.LBB15_635:
	s_mov_b32 s28, 0
.LBB15_636:
	s_delay_alu instid0(SALU_CYCLE_1)
	s_and_b32 vcc_lo, exec_lo, s28
	s_cbranch_vccz .LBB15_685
; %bb.637:
	s_cmp_lt_i32 s0, 5
	s_cbranch_scc1 .LBB15_642
; %bb.638:
	s_cmp_lt_i32 s0, 8
	s_cbranch_scc1 .LBB15_643
	;; [unrolled: 3-line block ×3, first 2 shown]
; %bb.640:
	s_cmp_gt_i32 s0, 9
	s_cbranch_scc0 .LBB15_645
; %bb.641:
	s_wait_loadcnt 0x0
	global_load_b64 v[6:7], v[4:5], off
	s_mov_b32 s27, 0
	s_wait_loadcnt 0x0
	v_trunc_f64_e32 v[6:7], v[6:7]
	s_delay_alu instid0(VALU_DEP_1) | instskip(NEXT) | instid1(VALU_DEP_1)
	v_ldexp_f64 v[8:9], v[6:7], 0xffffffe0
	v_floor_f64_e32 v[8:9], v[8:9]
	s_delay_alu instid0(VALU_DEP_1) | instskip(NEXT) | instid1(VALU_DEP_1)
	v_fmamk_f64 v[6:7], v[8:9], 0xc1f00000, v[6:7]
	v_cvt_u32_f64_e32 v6, v[6:7]
	s_branch .LBB15_646
.LBB15_642:
	s_mov_b32 s27, -1
                                        ; implicit-def: $vgpr6
	s_branch .LBB15_664
.LBB15_643:
	s_mov_b32 s27, -1
                                        ; implicit-def: $vgpr6
	s_branch .LBB15_652
.LBB15_644:
	s_mov_b32 s27, -1
                                        ; implicit-def: $vgpr6
	s_branch .LBB15_649
.LBB15_645:
	s_mov_b32 s27, -1
                                        ; implicit-def: $vgpr6
.LBB15_646:
	s_delay_alu instid0(SALU_CYCLE_1)
	s_and_not1_b32 vcc_lo, exec_lo, s27
	s_cbranch_vccnz .LBB15_648
; %bb.647:
	global_load_b32 v1, v[4:5], off
	s_wait_loadcnt 0x0
	v_trunc_f32_e32 v1, v1
	s_delay_alu instid0(VALU_DEP_1) | instskip(NEXT) | instid1(VALU_DEP_1)
	v_mul_f32_e64 v3, 0x2f800000, |v1|
	v_floor_f32_e32 v3, v3
	s_delay_alu instid0(VALU_DEP_1) | instskip(SKIP_1) | instid1(VALU_DEP_2)
	v_fma_f32 v3, 0xcf800000, v3, |v1|
	v_ashrrev_i32_e32 v1, 31, v1
	v_cvt_u32_f32_e32 v3, v3
	s_delay_alu instid0(VALU_DEP_1) | instskip(NEXT) | instid1(VALU_DEP_1)
	v_xor_b32_e32 v3, v3, v1
	v_sub_nc_u32_e32 v6, v3, v1
.LBB15_648:
	s_mov_b32 s27, 0
.LBB15_649:
	s_delay_alu instid0(SALU_CYCLE_1)
	s_and_not1_b32 vcc_lo, exec_lo, s27
	s_cbranch_vccnz .LBB15_651
; %bb.650:
	global_load_b32 v1, v[4:5], off
	s_wait_loadcnt 0x0
	v_cvt_f32_f16_e32 v1, v1
	s_delay_alu instid0(VALU_DEP_1)
	v_cvt_i32_f32_e32 v6, v1
.LBB15_651:
	s_mov_b32 s27, 0
.LBB15_652:
	s_delay_alu instid0(SALU_CYCLE_1)
	s_and_not1_b32 vcc_lo, exec_lo, s27
	s_cbranch_vccnz .LBB15_663
; %bb.653:
	s_cmp_lt_i32 s0, 6
	s_cbranch_scc1 .LBB15_656
; %bb.654:
	s_cmp_gt_i32 s0, 6
	s_cbranch_scc0 .LBB15_657
; %bb.655:
	s_wait_loadcnt 0x0
	global_load_b64 v[6:7], v[4:5], off
	s_mov_b32 s27, 0
	s_wait_loadcnt 0x0
	v_trunc_f64_e32 v[6:7], v[6:7]
	s_delay_alu instid0(VALU_DEP_1) | instskip(NEXT) | instid1(VALU_DEP_1)
	v_ldexp_f64 v[8:9], v[6:7], 0xffffffe0
	v_floor_f64_e32 v[8:9], v[8:9]
	s_delay_alu instid0(VALU_DEP_1) | instskip(NEXT) | instid1(VALU_DEP_1)
	v_fmamk_f64 v[6:7], v[8:9], 0xc1f00000, v[6:7]
	v_cvt_u32_f64_e32 v6, v[6:7]
	s_branch .LBB15_658
.LBB15_656:
	s_mov_b32 s27, -1
                                        ; implicit-def: $vgpr6
	s_branch .LBB15_661
.LBB15_657:
	s_mov_b32 s27, -1
                                        ; implicit-def: $vgpr6
.LBB15_658:
	s_delay_alu instid0(SALU_CYCLE_1)
	s_and_not1_b32 vcc_lo, exec_lo, s27
	s_cbranch_vccnz .LBB15_660
; %bb.659:
	global_load_b32 v1, v[4:5], off
	s_wait_loadcnt 0x0
	v_trunc_f32_e32 v1, v1
	s_delay_alu instid0(VALU_DEP_1) | instskip(NEXT) | instid1(VALU_DEP_1)
	v_mul_f32_e64 v3, 0x2f800000, |v1|
	v_floor_f32_e32 v3, v3
	s_delay_alu instid0(VALU_DEP_1) | instskip(SKIP_1) | instid1(VALU_DEP_2)
	v_fma_f32 v3, 0xcf800000, v3, |v1|
	v_ashrrev_i32_e32 v1, 31, v1
	v_cvt_u32_f32_e32 v3, v3
	s_delay_alu instid0(VALU_DEP_1) | instskip(NEXT) | instid1(VALU_DEP_1)
	v_xor_b32_e32 v3, v3, v1
	v_sub_nc_u32_e32 v6, v3, v1
.LBB15_660:
	s_mov_b32 s27, 0
.LBB15_661:
	s_delay_alu instid0(SALU_CYCLE_1)
	s_and_not1_b32 vcc_lo, exec_lo, s27
	s_cbranch_vccnz .LBB15_663
; %bb.662:
	global_load_u16 v1, v[4:5], off
	s_wait_loadcnt 0x0
	v_cvt_f32_f16_e32 v1, v1
	s_delay_alu instid0(VALU_DEP_1)
	v_cvt_i32_f32_e32 v6, v1
.LBB15_663:
	s_mov_b32 s27, 0
.LBB15_664:
	s_delay_alu instid0(SALU_CYCLE_1)
	s_and_not1_b32 vcc_lo, exec_lo, s27
	s_cbranch_vccnz .LBB15_684
; %bb.665:
	s_cmp_lt_i32 s0, 2
	s_cbranch_scc1 .LBB15_669
; %bb.666:
	s_cmp_lt_i32 s0, 3
	s_cbranch_scc1 .LBB15_670
; %bb.667:
	s_cmp_gt_i32 s0, 3
	s_cbranch_scc0 .LBB15_671
; %bb.668:
	s_wait_loadcnt 0x0
	global_load_b64 v[6:7], v[4:5], off
	s_mov_b32 s27, 0
	s_branch .LBB15_672
.LBB15_669:
	s_mov_b32 s27, -1
                                        ; implicit-def: $vgpr6
	s_branch .LBB15_678
.LBB15_670:
	s_mov_b32 s27, -1
                                        ; implicit-def: $vgpr6
	s_branch .LBB15_675
.LBB15_671:
	s_mov_b32 s27, -1
                                        ; implicit-def: $vgpr6
.LBB15_672:
	s_delay_alu instid0(SALU_CYCLE_1)
	s_and_not1_b32 vcc_lo, exec_lo, s27
	s_cbranch_vccnz .LBB15_674
; %bb.673:
	s_wait_loadcnt 0x0
	global_load_b32 v6, v[4:5], off
.LBB15_674:
	s_mov_b32 s27, 0
.LBB15_675:
	s_delay_alu instid0(SALU_CYCLE_1)
	s_and_not1_b32 vcc_lo, exec_lo, s27
	s_cbranch_vccnz .LBB15_677
; %bb.676:
	s_wait_loadcnt 0x0
	global_load_u16 v6, v[4:5], off
.LBB15_677:
	s_mov_b32 s27, 0
.LBB15_678:
	s_delay_alu instid0(SALU_CYCLE_1)
	s_and_not1_b32 vcc_lo, exec_lo, s27
	s_cbranch_vccnz .LBB15_684
; %bb.679:
	s_cmp_gt_i32 s0, 0
	s_mov_b32 s0, 0
	s_cbranch_scc0 .LBB15_681
; %bb.680:
	s_wait_loadcnt 0x0
	global_load_u8 v6, v[4:5], off
	s_branch .LBB15_682
.LBB15_681:
	s_mov_b32 s0, -1
                                        ; implicit-def: $vgpr6
.LBB15_682:
	s_delay_alu instid0(SALU_CYCLE_1)
	s_and_not1_b32 vcc_lo, exec_lo, s0
	s_cbranch_vccnz .LBB15_684
; %bb.683:
	s_wait_loadcnt 0x0
	global_load_u8 v6, v[4:5], off
.LBB15_684:
	s_mov_b32 s27, -1
.LBB15_685:
	s_delay_alu instid0(SALU_CYCLE_1)
	s_and_not1_b32 vcc_lo, exec_lo, s27
	s_cbranch_vccnz .LBB15_693
; %bb.686:
	s_wait_loadcnt 0x0
	s_delay_alu instid0(VALU_DEP_1) | instskip(SKIP_3) | instid1(VALU_DEP_2)
	v_and_b32_e32 v1, 0xff, v6
	v_mov_b32_e32 v3, 0
	s_and_b32 s0, s1, 0xff
	s_and_b32 s28, s2, 0xff
	v_cmp_ne_u16_e32 vcc_lo, s0, v1
	s_delay_alu instid0(VALU_DEP_2)
	v_add_nc_u64_e32 v[2:3], s[4:5], v[2:3]
	s_xor_b32 s27, s9, vcc_lo
	s_cmp_lt_i32 s28, 11
	s_cbranch_scc1 .LBB15_694
; %bb.687:
	s_and_b32 s29, 0xffff, s28
	s_delay_alu instid0(SALU_CYCLE_1)
	s_cmp_gt_i32 s29, 25
	s_cbranch_scc0 .LBB15_695
; %bb.688:
	s_cmp_gt_i32 s29, 28
	s_cbranch_scc0 .LBB15_696
; %bb.689:
	;; [unrolled: 3-line block ×4, first 2 shown]
	s_mov_b32 s31, 0
	s_mov_b32 s0, -1
	s_cmp_eq_u32 s29, 46
	s_mov_b32 s30, 0
	s_cbranch_scc0 .LBB15_699
; %bb.692:
	v_cndmask_b32_e64 v1, 0, 1.0, s27
	s_mov_b32 s30, -1
	s_mov_b32 s0, 0
	s_wait_xcnt 0x0
	s_delay_alu instid0(VALU_DEP_1) | instskip(NEXT) | instid1(VALU_DEP_1)
	v_bfe_u32 v4, v1, 16, 1
	v_add3_u32 v1, v1, v4, 0x7fff
	s_delay_alu instid0(VALU_DEP_1)
	v_lshrrev_b32_e32 v1, 16, v1
	global_store_b32 v[2:3], v1, off
	s_branch .LBB15_699
.LBB15_693:
	s_mov_b32 s27, 0
	s_mov_b32 s0, s45
	s_branch .LBB15_810
.LBB15_694:
	s_mov_b32 s29, -1
	s_mov_b32 s30, 0
	s_mov_b32 s0, s45
	s_branch .LBB15_768
.LBB15_695:
	s_mov_b32 s31, -1
	s_mov_b32 s30, 0
	s_mov_b32 s0, s45
	s_branch .LBB15_726
.LBB15_696:
	s_mov_b32 s31, -1
	s_mov_b32 s30, 0
	s_mov_b32 s0, s45
	s_branch .LBB15_709
.LBB15_697:
	s_mov_b32 s31, -1
	s_mov_b32 s30, 0
	s_mov_b32 s0, s45
	s_branch .LBB15_705
.LBB15_698:
	s_mov_b32 s31, -1
	s_mov_b32 s30, 0
	s_mov_b32 s0, s45
.LBB15_699:
	s_and_b32 vcc_lo, exec_lo, s31
	s_cbranch_vccz .LBB15_704
; %bb.700:
	s_cmp_eq_u32 s29, 44
	s_mov_b32 s0, -1
	s_cbranch_scc0 .LBB15_704
; %bb.701:
	s_wait_xcnt 0x0
	v_cndmask_b32_e64 v5, 0, 1.0, s27
	s_mov_b32 s30, exec_lo
	s_delay_alu instid0(VALU_DEP_1) | instskip(NEXT) | instid1(VALU_DEP_1)
	v_dual_mov_b32 v4, 0xff :: v_dual_lshrrev_b32 v1, 23, v5
	v_cmpx_ne_u32_e32 0xff, v1
; %bb.702:
	v_and_b32_e32 v4, 0x400000, v5
	v_and_or_b32 v5, 0x3fffff, v5, v1
	s_delay_alu instid0(VALU_DEP_2) | instskip(NEXT) | instid1(VALU_DEP_2)
	v_cmp_ne_u32_e32 vcc_lo, 0, v4
	v_cmp_ne_u32_e64 s0, 0, v5
	s_and_b32 s0, vcc_lo, s0
	s_delay_alu instid0(SALU_CYCLE_1) | instskip(NEXT) | instid1(VALU_DEP_1)
	v_cndmask_b32_e64 v4, 0, 1, s0
	v_add_nc_u32_e32 v4, v1, v4
; %bb.703:
	s_or_b32 exec_lo, exec_lo, s30
	s_mov_b32 s30, -1
	s_mov_b32 s0, 0
	global_store_b8 v[2:3], v4, off
.LBB15_704:
	s_mov_b32 s31, 0
.LBB15_705:
	s_delay_alu instid0(SALU_CYCLE_1)
	s_and_b32 vcc_lo, exec_lo, s31
	s_cbranch_vccz .LBB15_708
; %bb.706:
	s_cmp_eq_u32 s29, 29
	s_mov_b32 s0, -1
	s_cbranch_scc0 .LBB15_708
; %bb.707:
	s_mov_b32 s0, 0
	s_wait_xcnt 0x0
	v_cndmask_b32_e64 v4, 0, 1, s27
	v_mov_b32_e32 v5, s0
	s_mov_b32 s30, -1
	s_mov_b32 s31, 0
	global_store_b64 v[2:3], v[4:5], off
	s_branch .LBB15_709
.LBB15_708:
	s_mov_b32 s31, 0
.LBB15_709:
	s_delay_alu instid0(SALU_CYCLE_1)
	s_and_b32 vcc_lo, exec_lo, s31
	s_cbranch_vccz .LBB15_725
; %bb.710:
	s_cmp_lt_i32 s29, 27
	s_mov_b32 s30, -1
	s_cbranch_scc1 .LBB15_716
; %bb.711:
	s_cmp_gt_i32 s29, 27
	s_cbranch_scc0 .LBB15_713
; %bb.712:
	s_wait_xcnt 0x0
	v_cndmask_b32_e64 v1, 0, 1, s27
	s_mov_b32 s30, 0
	global_store_b32 v[2:3], v1, off
.LBB15_713:
	s_and_not1_b32 vcc_lo, exec_lo, s30
	s_cbranch_vccnz .LBB15_715
; %bb.714:
	s_wait_xcnt 0x0
	v_cndmask_b32_e64 v1, 0, 1, s27
	global_store_b16 v[2:3], v1, off
.LBB15_715:
	s_mov_b32 s30, 0
.LBB15_716:
	s_delay_alu instid0(SALU_CYCLE_1)
	s_and_not1_b32 vcc_lo, exec_lo, s30
	s_cbranch_vccnz .LBB15_724
; %bb.717:
	s_wait_xcnt 0x0
	v_cndmask_b32_e64 v4, 0, 1.0, s27
	v_mov_b32_e32 v5, 0x80
	s_mov_b32 s30, exec_lo
	s_delay_alu instid0(VALU_DEP_2)
	v_cmpx_gt_u32_e32 0x43800000, v4
	s_cbranch_execz .LBB15_723
; %bb.718:
	s_mov_b32 s31, 0
	s_mov_b32 s48, exec_lo
                                        ; implicit-def: $vgpr1
	v_cmpx_lt_u32_e32 0x3bffffff, v4
	s_xor_b32 s48, exec_lo, s48
	s_cbranch_execz .LBB15_842
; %bb.719:
	v_bfe_u32 v1, v4, 20, 1
	s_mov_b32 s31, exec_lo
	s_delay_alu instid0(VALU_DEP_1) | instskip(NEXT) | instid1(VALU_DEP_1)
	v_add3_u32 v1, v4, v1, 0x487ffff
                                        ; implicit-def: $vgpr4
	v_lshrrev_b32_e32 v1, 20, v1
	s_and_not1_saveexec_b32 s48, s48
	s_cbranch_execnz .LBB15_843
.LBB15_720:
	s_or_b32 exec_lo, exec_lo, s48
	v_mov_b32_e32 v5, 0
	s_and_saveexec_b32 s48, s31
.LBB15_721:
	v_mov_b32_e32 v5, v1
.LBB15_722:
	s_or_b32 exec_lo, exec_lo, s48
.LBB15_723:
	s_delay_alu instid0(SALU_CYCLE_1)
	s_or_b32 exec_lo, exec_lo, s30
	global_store_b8 v[2:3], v5, off
.LBB15_724:
	s_mov_b32 s30, -1
.LBB15_725:
	s_mov_b32 s31, 0
.LBB15_726:
	s_delay_alu instid0(SALU_CYCLE_1)
	s_and_b32 vcc_lo, exec_lo, s31
	s_cbranch_vccz .LBB15_767
; %bb.727:
	s_cmp_gt_i32 s29, 22
	s_mov_b32 s31, -1
	s_cbranch_scc0 .LBB15_759
; %bb.728:
	s_cmp_lt_i32 s29, 24
	s_mov_b32 s30, -1
	s_cbranch_scc1 .LBB15_748
; %bb.729:
	s_cmp_gt_i32 s29, 24
	s_cbranch_scc0 .LBB15_737
; %bb.730:
	s_wait_xcnt 0x0
	v_cndmask_b32_e64 v4, 0, 1.0, s27
	v_mov_b32_e32 v5, 0x80
	s_mov_b32 s30, exec_lo
	s_delay_alu instid0(VALU_DEP_2)
	v_cmpx_gt_u32_e32 0x47800000, v4
	s_cbranch_execz .LBB15_736
; %bb.731:
	s_mov_b32 s31, 0
	s_mov_b32 s48, exec_lo
                                        ; implicit-def: $vgpr1
	v_cmpx_lt_u32_e32 0x37ffffff, v4
	s_xor_b32 s48, exec_lo, s48
	s_cbranch_execz .LBB15_845
; %bb.732:
	v_bfe_u32 v1, v4, 21, 1
	s_mov_b32 s31, exec_lo
	s_delay_alu instid0(VALU_DEP_1) | instskip(NEXT) | instid1(VALU_DEP_1)
	v_add3_u32 v1, v4, v1, 0x88fffff
                                        ; implicit-def: $vgpr4
	v_lshrrev_b32_e32 v1, 21, v1
	s_and_not1_saveexec_b32 s48, s48
	s_cbranch_execnz .LBB15_846
.LBB15_733:
	s_or_b32 exec_lo, exec_lo, s48
	v_mov_b32_e32 v5, 0
	s_and_saveexec_b32 s48, s31
.LBB15_734:
	v_mov_b32_e32 v5, v1
.LBB15_735:
	s_or_b32 exec_lo, exec_lo, s48
.LBB15_736:
	s_delay_alu instid0(SALU_CYCLE_1)
	s_or_b32 exec_lo, exec_lo, s30
	s_mov_b32 s30, 0
	global_store_b8 v[2:3], v5, off
.LBB15_737:
	s_and_b32 vcc_lo, exec_lo, s30
	s_cbranch_vccz .LBB15_747
; %bb.738:
	s_wait_xcnt 0x0
	v_cndmask_b32_e64 v4, 0, 1.0, s27
	s_mov_b32 s30, exec_lo
                                        ; implicit-def: $vgpr1
	s_delay_alu instid0(VALU_DEP_1)
	v_cmpx_gt_u32_e32 0x43f00000, v4
	s_xor_b32 s30, exec_lo, s30
	s_cbranch_execz .LBB15_744
; %bb.739:
	s_mov_b32 s31, exec_lo
                                        ; implicit-def: $vgpr1
	v_cmpx_lt_u32_e32 0x3c7fffff, v4
	s_xor_b32 s31, exec_lo, s31
; %bb.740:
	v_bfe_u32 v1, v4, 20, 1
	s_delay_alu instid0(VALU_DEP_1) | instskip(NEXT) | instid1(VALU_DEP_1)
	v_add3_u32 v1, v4, v1, 0x407ffff
	v_and_b32_e32 v4, 0xff00000, v1
	v_lshrrev_b32_e32 v1, 20, v1
	s_delay_alu instid0(VALU_DEP_2) | instskip(NEXT) | instid1(VALU_DEP_2)
	v_cmp_ne_u32_e32 vcc_lo, 0x7f00000, v4
                                        ; implicit-def: $vgpr4
	v_cndmask_b32_e32 v1, 0x7e, v1, vcc_lo
; %bb.741:
	s_and_not1_saveexec_b32 s31, s31
; %bb.742:
	v_add_f32_e32 v1, 0x46800000, v4
; %bb.743:
	s_or_b32 exec_lo, exec_lo, s31
                                        ; implicit-def: $vgpr4
.LBB15_744:
	s_and_not1_saveexec_b32 s30, s30
; %bb.745:
	v_mov_b32_e32 v1, 0x7f
	v_cmp_lt_u32_e32 vcc_lo, 0x7f800000, v4
	s_delay_alu instid0(VALU_DEP_2)
	v_cndmask_b32_e32 v1, 0x7e, v1, vcc_lo
; %bb.746:
	s_or_b32 exec_lo, exec_lo, s30
	global_store_b8 v[2:3], v1, off
.LBB15_747:
	s_mov_b32 s30, 0
.LBB15_748:
	s_delay_alu instid0(SALU_CYCLE_1)
	s_and_not1_b32 vcc_lo, exec_lo, s30
	s_cbranch_vccnz .LBB15_758
; %bb.749:
	s_wait_xcnt 0x0
	v_cndmask_b32_e64 v4, 0, 1.0, s27
	s_mov_b32 s30, exec_lo
                                        ; implicit-def: $vgpr1
	s_delay_alu instid0(VALU_DEP_1)
	v_cmpx_gt_u32_e32 0x47800000, v4
	s_xor_b32 s30, exec_lo, s30
	s_cbranch_execz .LBB15_755
; %bb.750:
	s_mov_b32 s31, exec_lo
                                        ; implicit-def: $vgpr1
	v_cmpx_lt_u32_e32 0x387fffff, v4
	s_xor_b32 s31, exec_lo, s31
; %bb.751:
	v_bfe_u32 v1, v4, 21, 1
	s_delay_alu instid0(VALU_DEP_1) | instskip(NEXT) | instid1(VALU_DEP_1)
	v_add3_u32 v1, v4, v1, 0x80fffff
                                        ; implicit-def: $vgpr4
	v_lshrrev_b32_e32 v1, 21, v1
; %bb.752:
	s_and_not1_saveexec_b32 s31, s31
; %bb.753:
	v_add_f32_e32 v1, 0x43000000, v4
; %bb.754:
	s_or_b32 exec_lo, exec_lo, s31
                                        ; implicit-def: $vgpr4
.LBB15_755:
	s_and_not1_saveexec_b32 s30, s30
; %bb.756:
	v_mov_b32_e32 v1, 0x7f
	v_cmp_lt_u32_e32 vcc_lo, 0x7f800000, v4
	s_delay_alu instid0(VALU_DEP_2)
	v_cndmask_b32_e32 v1, 0x7c, v1, vcc_lo
; %bb.757:
	s_or_b32 exec_lo, exec_lo, s30
	global_store_b8 v[2:3], v1, off
.LBB15_758:
	s_mov_b32 s31, 0
	s_mov_b32 s30, -1
.LBB15_759:
	s_and_not1_b32 vcc_lo, exec_lo, s31
	s_cbranch_vccnz .LBB15_767
; %bb.760:
	s_cmp_gt_i32 s29, 14
	s_mov_b32 s31, -1
	s_cbranch_scc0 .LBB15_764
; %bb.761:
	s_cmp_eq_u32 s29, 15
	s_mov_b32 s0, -1
	s_cbranch_scc0 .LBB15_763
; %bb.762:
	s_wait_xcnt 0x0
	v_cndmask_b32_e64 v1, 0, 1.0, s27
	s_mov_b32 s30, -1
	s_mov_b32 s0, 0
	s_delay_alu instid0(VALU_DEP_1) | instskip(NEXT) | instid1(VALU_DEP_1)
	v_bfe_u32 v4, v1, 16, 1
	v_add3_u32 v1, v1, v4, 0x7fff
	global_store_d16_hi_b16 v[2:3], v1, off
.LBB15_763:
	s_mov_b32 s31, 0
.LBB15_764:
	s_delay_alu instid0(SALU_CYCLE_1)
	s_and_b32 vcc_lo, exec_lo, s31
	s_cbranch_vccz .LBB15_767
; %bb.765:
	s_cmp_eq_u32 s29, 11
	s_mov_b32 s0, -1
	s_cbranch_scc0 .LBB15_767
; %bb.766:
	s_wait_xcnt 0x0
	v_cndmask_b32_e64 v1, 0, 1, s27
	s_mov_b32 s30, -1
	s_mov_b32 s0, 0
	global_store_b8 v[2:3], v1, off
.LBB15_767:
	s_mov_b32 s29, 0
.LBB15_768:
	s_delay_alu instid0(SALU_CYCLE_1)
	s_and_b32 vcc_lo, exec_lo, s29
	s_cbranch_vccz .LBB15_807
; %bb.769:
	s_and_b32 s28, 0xffff, s28
	s_mov_b32 s29, -1
	s_cmp_lt_i32 s28, 5
	s_cbranch_scc1 .LBB15_790
; %bb.770:
	s_cmp_lt_i32 s28, 8
	s_cbranch_scc1 .LBB15_780
; %bb.771:
	;; [unrolled: 3-line block ×3, first 2 shown]
	s_cmp_gt_i32 s28, 9
	s_cbranch_scc0 .LBB15_774
; %bb.773:
	s_wait_xcnt 0x0
	v_cndmask_b32_e64 v1, 0, 1, s27
	v_mov_b32_e32 v6, 0
	s_mov_b32 s29, 0
	s_delay_alu instid0(VALU_DEP_2) | instskip(NEXT) | instid1(VALU_DEP_2)
	v_cvt_f64_u32_e32 v[4:5], v1
	v_mov_b32_e32 v7, v6
	global_store_b128 v[2:3], v[4:7], off
.LBB15_774:
	s_and_not1_b32 vcc_lo, exec_lo, s29
	s_cbranch_vccnz .LBB15_776
; %bb.775:
	s_wait_xcnt 0x0
	v_cndmask_b32_e64 v4, 0, 1.0, s27
	v_mov_b32_e32 v5, 0
	global_store_b64 v[2:3], v[4:5], off
.LBB15_776:
	s_mov_b32 s29, 0
.LBB15_777:
	s_delay_alu instid0(SALU_CYCLE_1)
	s_and_not1_b32 vcc_lo, exec_lo, s29
	s_cbranch_vccnz .LBB15_779
; %bb.778:
	s_wait_xcnt 0x0
	v_cndmask_b32_e64 v1, 0, 1.0, s27
	s_delay_alu instid0(VALU_DEP_1) | instskip(NEXT) | instid1(VALU_DEP_1)
	v_cvt_f16_f32_e32 v1, v1
	v_and_b32_e32 v1, 0xffff, v1
	global_store_b32 v[2:3], v1, off
.LBB15_779:
	s_mov_b32 s29, 0
.LBB15_780:
	s_delay_alu instid0(SALU_CYCLE_1)
	s_and_not1_b32 vcc_lo, exec_lo, s29
	s_cbranch_vccnz .LBB15_789
; %bb.781:
	s_cmp_lt_i32 s28, 6
	s_mov_b32 s29, -1
	s_cbranch_scc1 .LBB15_787
; %bb.782:
	s_cmp_gt_i32 s28, 6
	s_cbranch_scc0 .LBB15_784
; %bb.783:
	s_wait_xcnt 0x0
	v_cndmask_b32_e64 v1, 0, 1, s27
	s_mov_b32 s29, 0
	s_delay_alu instid0(VALU_DEP_1)
	v_cvt_f64_u32_e32 v[4:5], v1
	global_store_b64 v[2:3], v[4:5], off
.LBB15_784:
	s_and_not1_b32 vcc_lo, exec_lo, s29
	s_cbranch_vccnz .LBB15_786
; %bb.785:
	s_wait_xcnt 0x0
	v_cndmask_b32_e64 v1, 0, 1.0, s27
	global_store_b32 v[2:3], v1, off
.LBB15_786:
	s_mov_b32 s29, 0
.LBB15_787:
	s_delay_alu instid0(SALU_CYCLE_1)
	s_and_not1_b32 vcc_lo, exec_lo, s29
	s_cbranch_vccnz .LBB15_789
; %bb.788:
	s_wait_xcnt 0x0
	v_cndmask_b32_e64 v1, 0, 1.0, s27
	s_delay_alu instid0(VALU_DEP_1)
	v_cvt_f16_f32_e32 v1, v1
	global_store_b16 v[2:3], v1, off
.LBB15_789:
	s_mov_b32 s29, 0
.LBB15_790:
	s_delay_alu instid0(SALU_CYCLE_1)
	s_and_not1_b32 vcc_lo, exec_lo, s29
	s_cbranch_vccnz .LBB15_806
; %bb.791:
	s_cmp_lt_i32 s28, 2
	s_mov_b32 s29, -1
	s_cbranch_scc1 .LBB15_801
; %bb.792:
	s_cmp_lt_i32 s28, 3
	s_cbranch_scc1 .LBB15_798
; %bb.793:
	s_cmp_gt_i32 s28, 3
	s_cbranch_scc0 .LBB15_795
; %bb.794:
	s_mov_b32 s29, 0
	s_wait_xcnt 0x0
	v_cndmask_b32_e64 v4, 0, 1, s27
	v_mov_b32_e32 v5, s29
	global_store_b64 v[2:3], v[4:5], off
.LBB15_795:
	s_and_not1_b32 vcc_lo, exec_lo, s29
	s_cbranch_vccnz .LBB15_797
; %bb.796:
	s_wait_xcnt 0x0
	v_cndmask_b32_e64 v1, 0, 1, s27
	global_store_b32 v[2:3], v1, off
.LBB15_797:
	s_mov_b32 s29, 0
.LBB15_798:
	s_delay_alu instid0(SALU_CYCLE_1)
	s_and_not1_b32 vcc_lo, exec_lo, s29
	s_cbranch_vccnz .LBB15_800
; %bb.799:
	s_wait_xcnt 0x0
	v_cndmask_b32_e64 v1, 0, 1, s27
	global_store_b16 v[2:3], v1, off
.LBB15_800:
	s_mov_b32 s29, 0
.LBB15_801:
	s_delay_alu instid0(SALU_CYCLE_1)
	s_and_not1_b32 vcc_lo, exec_lo, s29
	s_cbranch_vccnz .LBB15_806
; %bb.802:
	s_wait_xcnt 0x0
	v_cndmask_b32_e64 v1, 0, 1, s27
	s_cmp_gt_i32 s28, 0
	s_mov_b32 s27, -1
	s_cbranch_scc0 .LBB15_804
; %bb.803:
	s_mov_b32 s27, 0
	global_store_b8 v[2:3], v1, off
.LBB15_804:
	s_and_not1_b32 vcc_lo, exec_lo, s27
	s_cbranch_vccnz .LBB15_806
; %bb.805:
	global_store_b8 v[2:3], v1, off
.LBB15_806:
	s_mov_b32 s30, -1
.LBB15_807:
	s_delay_alu instid0(SALU_CYCLE_1)
	s_and_not1_b32 vcc_lo, exec_lo, s30
	s_cbranch_vccnz .LBB15_809
; %bb.808:
	v_add_nc_u32_e32 v0, 0x80, v0
	s_mov_b32 s27, -1
	s_branch .LBB15_811
.LBB15_809:
	s_mov_b32 s27, 0
.LBB15_810:
                                        ; implicit-def: $vgpr0
.LBB15_811:
	s_and_not1_b32 s28, s45, exec_lo
	s_and_b32 s0, s0, exec_lo
	s_and_not1_b32 s29, s44, exec_lo
	s_and_b32 s26, s26, exec_lo
	s_or_b32 s30, s28, s0
	s_or_b32 s0, s29, s26
	s_or_not1_b32 s29, s27, exec_lo
.LBB15_812:
	s_wait_xcnt 0x0
	s_or_b32 exec_lo, exec_lo, s47
	s_mov_b32 s26, 0
	s_mov_b32 s27, 0
	;; [unrolled: 1-line block ×3, first 2 shown]
                                        ; implicit-def: $vgpr4_vgpr5
                                        ; implicit-def: $vgpr2
                                        ; implicit-def: $vgpr6
	s_and_saveexec_b32 s31, s29
	s_cbranch_execz .LBB15_910
; %bb.813:
	v_cmp_gt_i32_e32 vcc_lo, s39, v0
	s_mov_b32 s29, s0
                                        ; implicit-def: $vgpr4_vgpr5
                                        ; implicit-def: $vgpr2
                                        ; implicit-def: $vgpr6
	s_and_saveexec_b32 s39, vcc_lo
	s_cbranch_execz .LBB15_909
; %bb.814:
	s_and_not1_b32 vcc_lo, exec_lo, s35
	s_cbranch_vccnz .LBB15_820
; %bb.815:
	s_and_not1_b32 vcc_lo, exec_lo, s41
	s_cbranch_vccnz .LBB15_821
; %bb.816:
	s_add_co_i32 s40, s40, 1
	s_cmp_eq_u32 s34, 2
	s_cbranch_scc1 .LBB15_822
; %bb.817:
	v_dual_mov_b32 v2, 0 :: v_dual_mov_b32 v4, 0
	v_mov_b32_e32 v1, v0
	s_and_b32 s26, s40, 28
	s_mov_b64 s[28:29], s[16:17]
.LBB15_818:                             ; =>This Inner Loop Header: Depth=1
	s_clause 0x1
	s_load_b256 s[48:55], s[28:29], 0x4
	s_load_b128 s[64:67], s[28:29], 0x24
	s_load_b256 s[56:63], s[24:25], 0x0
	s_add_co_i32 s27, s27, 4
	s_wait_xcnt 0x0
	s_add_nc_u64 s[28:29], s[28:29], 48
	s_cmp_eq_u32 s26, s27
	s_add_nc_u64 s[24:25], s[24:25], 32
	s_wait_kmcnt 0x0
	v_mul_hi_u32 v3, s49, v1
	s_delay_alu instid0(VALU_DEP_1) | instskip(NEXT) | instid1(VALU_DEP_1)
	v_add_nc_u32_e32 v3, v1, v3
	v_lshrrev_b32_e32 v3, s50, v3
	s_delay_alu instid0(VALU_DEP_1) | instskip(NEXT) | instid1(VALU_DEP_1)
	v_mul_hi_u32 v5, s52, v3
	v_add_nc_u32_e32 v5, v3, v5
	s_delay_alu instid0(VALU_DEP_1) | instskip(SKIP_1) | instid1(VALU_DEP_1)
	v_lshrrev_b32_e32 v5, s53, v5
	s_wait_loadcnt 0x0
	v_mul_hi_u32 v6, s55, v5
	s_delay_alu instid0(VALU_DEP_1) | instskip(SKIP_1) | instid1(VALU_DEP_1)
	v_add_nc_u32_e32 v6, v5, v6
	v_mul_lo_u32 v7, v3, s48
	v_sub_nc_u32_e32 v1, v1, v7
	v_mul_lo_u32 v7, v5, s51
	s_delay_alu instid0(VALU_DEP_4) | instskip(NEXT) | instid1(VALU_DEP_3)
	v_lshrrev_b32_e32 v6, s64, v6
	v_mad_u32 v4, v1, s57, v4
	v_mad_u32 v1, v1, s56, v2
	s_delay_alu instid0(VALU_DEP_4) | instskip(NEXT) | instid1(VALU_DEP_4)
	v_sub_nc_u32_e32 v2, v3, v7
	v_mul_hi_u32 v8, s66, v6
	v_mul_lo_u32 v3, v6, s54
	s_delay_alu instid0(VALU_DEP_3) | instskip(SKIP_1) | instid1(VALU_DEP_3)
	v_mad_u32 v4, v2, s59, v4
	v_mad_u32 v2, v2, s58, v1
	v_dual_add_nc_u32 v7, v6, v8 :: v_dual_sub_nc_u32 v3, v5, v3
	s_delay_alu instid0(VALU_DEP_1) | instskip(NEXT) | instid1(VALU_DEP_2)
	v_lshrrev_b32_e32 v1, s67, v7
	v_mad_u32 v4, v3, s61, v4
	s_delay_alu instid0(VALU_DEP_4) | instskip(NEXT) | instid1(VALU_DEP_3)
	v_mad_u32 v2, v3, s60, v2
	v_mul_lo_u32 v5, v1, s65
	s_delay_alu instid0(VALU_DEP_1) | instskip(NEXT) | instid1(VALU_DEP_1)
	v_sub_nc_u32_e32 v3, v6, v5
	v_mad_u32 v4, v3, s63, v4
	s_delay_alu instid0(VALU_DEP_4)
	v_mad_u32 v2, v3, s62, v2
	s_cbranch_scc0 .LBB15_818
; %bb.819:
	s_delay_alu instid0(VALU_DEP_2)
	v_mov_b32_e32 v3, v4
	s_branch .LBB15_823
.LBB15_820:
	s_mov_b32 s24, -1
                                        ; implicit-def: $vgpr4
                                        ; implicit-def: $vgpr2
	s_branch .LBB15_828
.LBB15_821:
	v_dual_mov_b32 v4, 0 :: v_dual_mov_b32 v2, 0
	s_branch .LBB15_827
.LBB15_822:
	v_mov_b64_e32 v[2:3], 0
	v_mov_b32_e32 v1, v0
                                        ; implicit-def: $vgpr4
.LBB15_823:
	s_and_b32 s28, s40, 3
	s_mov_b32 s27, 0
	s_cmp_eq_u32 s28, 0
	s_cbranch_scc1 .LBB15_827
; %bb.824:
	s_lshl_b32 s24, s26, 3
	s_mov_b32 s25, s27
	s_mul_u64 s[26:27], s[26:27], 12
	s_add_nc_u64 s[24:25], s[16:17], s[24:25]
	s_add_nc_u64 s[26:27], s[16:17], s[26:27]
	;; [unrolled: 1-line block ×3, first 2 shown]
.LBB15_825:                             ; =>This Inner Loop Header: Depth=1
	s_load_b96 s[48:50], s[26:27], 0x4
	s_load_b64 s[40:41], s[24:25], 0x0
	s_add_co_i32 s28, s28, -1
	s_wait_xcnt 0x0
	s_add_nc_u64 s[26:27], s[26:27], 12
	s_cmp_lg_u32 s28, 0
	s_add_nc_u64 s[24:25], s[24:25], 8
	s_wait_kmcnt 0x0
	v_mul_hi_u32 v4, s49, v1
	s_delay_alu instid0(VALU_DEP_1) | instskip(NEXT) | instid1(VALU_DEP_1)
	v_add_nc_u32_e32 v4, v1, v4
	v_lshrrev_b32_e32 v4, s50, v4
	s_delay_alu instid0(VALU_DEP_1) | instskip(NEXT) | instid1(VALU_DEP_1)
	v_mul_lo_u32 v5, v4, s48
	v_sub_nc_u32_e32 v1, v1, v5
	s_delay_alu instid0(VALU_DEP_1)
	v_mad_u32 v3, v1, s41, v3
	v_mad_u32 v2, v1, s40, v2
	v_mov_b32_e32 v1, v4
	s_cbranch_scc1 .LBB15_825
; %bb.826:
	s_delay_alu instid0(VALU_DEP_3)
	v_mov_b32_e32 v4, v3
.LBB15_827:
	s_mov_b32 s24, 0
.LBB15_828:
	s_delay_alu instid0(SALU_CYCLE_1)
	s_and_not1_b32 vcc_lo, exec_lo, s24
	s_cbranch_vccnz .LBB15_831
; %bb.829:
	v_mov_b32_e32 v1, 0
	s_and_not1_b32 vcc_lo, exec_lo, s38
	s_delay_alu instid0(VALU_DEP_1) | instskip(NEXT) | instid1(VALU_DEP_1)
	v_mul_u64_e32 v[2:3], s[18:19], v[0:1]
	v_add_nc_u32_e32 v2, v0, v3
	s_wait_loadcnt 0x0
	s_delay_alu instid0(VALU_DEP_1) | instskip(NEXT) | instid1(VALU_DEP_1)
	v_lshrrev_b32_e32 v6, s10, v2
	v_mul_lo_u32 v2, v6, s8
	s_delay_alu instid0(VALU_DEP_1) | instskip(NEXT) | instid1(VALU_DEP_1)
	v_sub_nc_u32_e32 v0, v0, v2
	v_mul_lo_u32 v4, v0, s13
	v_mul_lo_u32 v2, v0, s12
	s_cbranch_vccnz .LBB15_831
; %bb.830:
	v_mov_b32_e32 v7, v1
	s_delay_alu instid0(VALU_DEP_1) | instskip(NEXT) | instid1(VALU_DEP_1)
	v_mul_u64_e32 v[0:1], s[22:23], v[6:7]
	v_add_nc_u32_e32 v0, v6, v1
	s_delay_alu instid0(VALU_DEP_1) | instskip(NEXT) | instid1(VALU_DEP_1)
	v_lshrrev_b32_e32 v0, s21, v0
	v_mul_lo_u32 v0, v0, s11
	s_delay_alu instid0(VALU_DEP_1) | instskip(NEXT) | instid1(VALU_DEP_1)
	v_sub_nc_u32_e32 v0, v6, v0
	v_mad_u32 v2, v0, s14, v2
	v_mad_u32 v4, v0, s15, v4
.LBB15_831:
	v_mov_b32_e32 v5, 0
	s_delay_alu instid0(VALU_DEP_1) | instskip(SKIP_1) | instid1(SALU_CYCLE_1)
	v_add_nc_u64_e32 v[4:5], s[6:7], v[4:5]
	s_and_b32 s6, 0xffff, s37
	s_cmp_lt_i32 s6, 11
	s_cbranch_scc1 .LBB15_838
; %bb.832:
	s_cmp_gt_i32 s6, 25
	s_mov_b32 s8, 0
	s_cbranch_scc0 .LBB15_839
; %bb.833:
	s_cmp_gt_i32 s6, 28
	s_cbranch_scc0 .LBB15_840
; %bb.834:
	s_cmp_gt_i32 s6, 43
	;; [unrolled: 3-line block ×3, first 2 shown]
	s_cbranch_scc0 .LBB15_844
; %bb.836:
	s_cmp_eq_u32 s6, 46
	s_mov_b32 s11, 0
	s_cbranch_scc0 .LBB15_847
; %bb.837:
	global_load_b32 v0, v[4:5], off
	s_mov_b32 s7, 0
	s_mov_b32 s10, -1
	s_wait_loadcnt 0x0
	v_lshlrev_b32_e32 v0, 16, v0
	s_delay_alu instid0(VALU_DEP_1) | instskip(NEXT) | instid1(VALU_DEP_1)
	v_trunc_f32_e32 v0, v0
	v_mul_f32_e64 v1, 0x2f800000, |v0|
	s_delay_alu instid0(VALU_DEP_1) | instskip(NEXT) | instid1(VALU_DEP_1)
	v_floor_f32_e32 v1, v1
	v_fma_f32 v1, 0xcf800000, v1, |v0|
	v_ashrrev_i32_e32 v0, 31, v0
	s_delay_alu instid0(VALU_DEP_2) | instskip(NEXT) | instid1(VALU_DEP_1)
	v_cvt_u32_f32_e32 v1, v1
	v_xor_b32_e32 v1, v1, v0
	s_delay_alu instid0(VALU_DEP_1)
	v_sub_nc_u32_e32 v6, v1, v0
	s_branch .LBB15_849
.LBB15_838:
	s_mov_b32 s6, -1
	s_mov_b32 s10, 0
	s_mov_b32 s8, 0
	;; [unrolled: 1-line block ×3, first 2 shown]
                                        ; implicit-def: $vgpr6
	s_branch .LBB15_908
.LBB15_839:
	s_mov_b32 s11, -1
	s_mov_b32 s10, 0
	s_mov_b32 s7, s0
                                        ; implicit-def: $vgpr6
	s_branch .LBB15_876
.LBB15_840:
	s_mov_b32 s11, -1
	s_mov_b32 s10, 0
	s_mov_b32 s7, s0
                                        ; implicit-def: $vgpr6
	s_branch .LBB15_859
.LBB15_841:
	s_mov_b32 s11, -1
	s_mov_b32 s10, 0
	s_mov_b32 s7, s0
                                        ; implicit-def: $vgpr6
	s_branch .LBB15_854
.LBB15_842:
	s_and_not1_saveexec_b32 s48, s48
	s_cbranch_execz .LBB15_720
.LBB15_843:
	v_add_f32_e32 v1, 0x46000000, v4
	s_and_not1_b32 s31, s31, exec_lo
	s_delay_alu instid0(VALU_DEP_1) | instskip(NEXT) | instid1(VALU_DEP_1)
	v_and_b32_e32 v1, 0xff, v1
	v_cmp_ne_u32_e32 vcc_lo, 0, v1
	s_and_b32 s49, vcc_lo, exec_lo
	s_delay_alu instid0(SALU_CYCLE_1)
	s_or_b32 s31, s31, s49
	s_or_b32 exec_lo, exec_lo, s48
	v_mov_b32_e32 v5, 0
	s_and_saveexec_b32 s48, s31
	s_cbranch_execnz .LBB15_721
	s_branch .LBB15_722
.LBB15_844:
	s_mov_b32 s11, -1
	s_mov_b32 s10, 0
	s_mov_b32 s7, s0
	s_branch .LBB15_848
.LBB15_845:
	s_and_not1_saveexec_b32 s48, s48
	s_cbranch_execz .LBB15_733
.LBB15_846:
	v_add_f32_e32 v1, 0x42800000, v4
	s_and_not1_b32 s31, s31, exec_lo
	s_delay_alu instid0(VALU_DEP_1) | instskip(NEXT) | instid1(VALU_DEP_1)
	v_and_b32_e32 v1, 0xff, v1
	v_cmp_ne_u32_e32 vcc_lo, 0, v1
	s_and_b32 s49, vcc_lo, exec_lo
	s_delay_alu instid0(SALU_CYCLE_1)
	s_or_b32 s31, s31, s49
	s_or_b32 exec_lo, exec_lo, s48
	v_mov_b32_e32 v5, 0
	s_and_saveexec_b32 s48, s31
	s_cbranch_execnz .LBB15_734
	s_branch .LBB15_735
.LBB15_847:
	s_mov_b32 s7, -1
	s_mov_b32 s10, 0
.LBB15_848:
                                        ; implicit-def: $vgpr6
.LBB15_849:
	s_and_b32 vcc_lo, exec_lo, s11
	s_cbranch_vccz .LBB15_853
; %bb.850:
	s_cmp_eq_u32 s6, 44
	s_cbranch_scc0 .LBB15_852
; %bb.851:
	global_load_u8 v0, v[4:5], off
	s_mov_b32 s7, 0
	s_mov_b32 s10, -1
	s_wait_loadcnt 0x0
	v_lshlrev_b32_e32 v1, 23, v0
	v_cmp_ne_u32_e32 vcc_lo, 0, v0
	s_delay_alu instid0(VALU_DEP_2) | instskip(NEXT) | instid1(VALU_DEP_1)
	v_trunc_f32_e32 v1, v1
	v_mul_f32_e64 v3, 0x2f800000, |v1|
	s_delay_alu instid0(VALU_DEP_1) | instskip(NEXT) | instid1(VALU_DEP_1)
	v_floor_f32_e32 v3, v3
	v_fma_f32 v3, 0xcf800000, v3, |v1|
	v_ashrrev_i32_e32 v1, 31, v1
	s_delay_alu instid0(VALU_DEP_2) | instskip(NEXT) | instid1(VALU_DEP_1)
	v_cvt_u32_f32_e32 v3, v3
	v_xor_b32_e32 v3, v3, v1
	s_delay_alu instid0(VALU_DEP_1) | instskip(NEXT) | instid1(VALU_DEP_1)
	v_sub_nc_u32_e32 v1, v3, v1
	v_cndmask_b32_e32 v6, 0, v1, vcc_lo
	s_branch .LBB15_853
.LBB15_852:
	s_mov_b32 s7, -1
                                        ; implicit-def: $vgpr6
.LBB15_853:
	s_mov_b32 s11, 0
.LBB15_854:
	s_delay_alu instid0(SALU_CYCLE_1)
	s_and_b32 vcc_lo, exec_lo, s11
	s_cbranch_vccz .LBB15_858
; %bb.855:
	s_cmp_eq_u32 s6, 29
	s_cbranch_scc0 .LBB15_857
; %bb.856:
	s_wait_loadcnt 0x0
	global_load_b64 v[6:7], v[4:5], off
	s_mov_b32 s7, 0
	s_mov_b32 s10, -1
	s_branch .LBB15_858
.LBB15_857:
	s_mov_b32 s7, -1
                                        ; implicit-def: $vgpr6
.LBB15_858:
	s_mov_b32 s11, 0
.LBB15_859:
	s_delay_alu instid0(SALU_CYCLE_1)
	s_and_b32 vcc_lo, exec_lo, s11
	s_cbranch_vccz .LBB15_875
; %bb.860:
	s_cmp_lt_i32 s6, 27
	s_cbranch_scc1 .LBB15_863
; %bb.861:
	s_cmp_gt_i32 s6, 27
	s_cbranch_scc0 .LBB15_864
; %bb.862:
	s_wait_loadcnt 0x0
	global_load_b32 v6, v[4:5], off
	s_mov_b32 s10, 0
	s_branch .LBB15_865
.LBB15_863:
	s_mov_b32 s10, -1
                                        ; implicit-def: $vgpr6
	s_branch .LBB15_868
.LBB15_864:
	s_mov_b32 s10, -1
                                        ; implicit-def: $vgpr6
.LBB15_865:
	s_delay_alu instid0(SALU_CYCLE_1)
	s_and_not1_b32 vcc_lo, exec_lo, s10
	s_cbranch_vccnz .LBB15_867
; %bb.866:
	s_wait_loadcnt 0x0
	global_load_u16 v6, v[4:5], off
.LBB15_867:
	s_mov_b32 s10, 0
.LBB15_868:
	s_delay_alu instid0(SALU_CYCLE_1)
	s_and_not1_b32 vcc_lo, exec_lo, s10
	s_cbranch_vccnz .LBB15_874
; %bb.869:
	global_load_u8 v0, v[4:5], off
	s_mov_b32 s11, 0
	s_mov_b32 s10, exec_lo
	s_wait_loadcnt 0x0
	v_cmpx_lt_i16_e32 0x7f, v0
	s_xor_b32 s10, exec_lo, s10
	s_cbranch_execz .LBB15_886
; %bb.870:
	v_cmp_ne_u16_e32 vcc_lo, 0x80, v0
	s_and_b32 s11, vcc_lo, exec_lo
	s_and_not1_saveexec_b32 s10, s10
	s_cbranch_execnz .LBB15_887
.LBB15_871:
	s_or_b32 exec_lo, exec_lo, s10
	v_mov_b32_e32 v6, 0
	s_and_saveexec_b32 s10, s11
	s_cbranch_execz .LBB15_873
.LBB15_872:
	v_and_b32_e32 v1, 0xffff, v0
	s_delay_alu instid0(VALU_DEP_1) | instskip(SKIP_1) | instid1(VALU_DEP_2)
	v_and_b32_e32 v3, 7, v1
	v_bfe_u32 v8, v1, 3, 4
	v_clz_i32_u32_e32 v6, v3
	s_delay_alu instid0(VALU_DEP_2) | instskip(NEXT) | instid1(VALU_DEP_2)
	v_cmp_eq_u32_e32 vcc_lo, 0, v8
	v_min_u32_e32 v6, 32, v6
	s_delay_alu instid0(VALU_DEP_1) | instskip(NEXT) | instid1(VALU_DEP_1)
	v_subrev_nc_u32_e32 v7, 28, v6
	v_dual_lshlrev_b32 v1, v7, v1 :: v_dual_sub_nc_u32 v6, 29, v6
	s_delay_alu instid0(VALU_DEP_1) | instskip(NEXT) | instid1(VALU_DEP_1)
	v_dual_lshlrev_b32 v0, 24, v0 :: v_dual_bitop2_b32 v1, 7, v1 bitop3:0x40
	v_dual_cndmask_b32 v6, v8, v6 :: v_dual_cndmask_b32 v1, v3, v1
	s_delay_alu instid0(VALU_DEP_2) | instskip(NEXT) | instid1(VALU_DEP_2)
	v_and_b32_e32 v0, 0x80000000, v0
	v_lshl_add_u32 v3, v6, 23, 0x3b800000
	s_delay_alu instid0(VALU_DEP_3) | instskip(NEXT) | instid1(VALU_DEP_1)
	v_lshlrev_b32_e32 v1, 20, v1
	v_or3_b32 v0, v0, v3, v1
	s_delay_alu instid0(VALU_DEP_1) | instskip(NEXT) | instid1(VALU_DEP_1)
	v_trunc_f32_e32 v0, v0
	v_mul_f32_e64 v1, 0x2f800000, |v0|
	s_delay_alu instid0(VALU_DEP_1) | instskip(NEXT) | instid1(VALU_DEP_1)
	v_floor_f32_e32 v1, v1
	v_fma_f32 v1, 0xcf800000, v1, |v0|
	v_ashrrev_i32_e32 v0, 31, v0
	s_delay_alu instid0(VALU_DEP_2) | instskip(NEXT) | instid1(VALU_DEP_1)
	v_cvt_u32_f32_e32 v1, v1
	v_xor_b32_e32 v1, v1, v0
	s_delay_alu instid0(VALU_DEP_1)
	v_sub_nc_u32_e32 v6, v1, v0
.LBB15_873:
	s_or_b32 exec_lo, exec_lo, s10
.LBB15_874:
	s_mov_b32 s10, -1
.LBB15_875:
	s_mov_b32 s11, 0
.LBB15_876:
	s_delay_alu instid0(SALU_CYCLE_1)
	s_and_b32 vcc_lo, exec_lo, s11
	s_cbranch_vccz .LBB15_907
; %bb.877:
	s_cmp_gt_i32 s6, 22
	s_cbranch_scc0 .LBB15_885
; %bb.878:
	s_cmp_lt_i32 s6, 24
	s_cbranch_scc1 .LBB15_888
; %bb.879:
	s_cmp_gt_i32 s6, 24
	s_cbranch_scc0 .LBB15_889
; %bb.880:
	global_load_u8 v0, v[4:5], off
	s_mov_b32 s10, 0
	s_mov_b32 s8, exec_lo
	s_wait_loadcnt 0x0
	v_cmpx_lt_i16_e32 0x7f, v0
	s_xor_b32 s8, exec_lo, s8
	s_cbranch_execz .LBB15_901
; %bb.881:
	v_cmp_ne_u16_e32 vcc_lo, 0x80, v0
	s_and_b32 s10, vcc_lo, exec_lo
	s_and_not1_saveexec_b32 s8, s8
	s_cbranch_execnz .LBB15_902
.LBB15_882:
	s_or_b32 exec_lo, exec_lo, s8
	v_mov_b32_e32 v6, 0
	s_and_saveexec_b32 s8, s10
	s_cbranch_execz .LBB15_884
.LBB15_883:
	v_and_b32_e32 v1, 0xffff, v0
	s_delay_alu instid0(VALU_DEP_1) | instskip(SKIP_1) | instid1(VALU_DEP_2)
	v_and_b32_e32 v3, 3, v1
	v_bfe_u32 v8, v1, 2, 5
	v_clz_i32_u32_e32 v6, v3
	s_delay_alu instid0(VALU_DEP_2) | instskip(NEXT) | instid1(VALU_DEP_2)
	v_cmp_eq_u32_e32 vcc_lo, 0, v8
	v_min_u32_e32 v6, 32, v6
	s_delay_alu instid0(VALU_DEP_1) | instskip(NEXT) | instid1(VALU_DEP_1)
	v_subrev_nc_u32_e32 v7, 29, v6
	v_dual_lshlrev_b32 v1, v7, v1 :: v_dual_sub_nc_u32 v6, 30, v6
	s_delay_alu instid0(VALU_DEP_1) | instskip(NEXT) | instid1(VALU_DEP_1)
	v_dual_lshlrev_b32 v0, 24, v0 :: v_dual_bitop2_b32 v1, 3, v1 bitop3:0x40
	v_dual_cndmask_b32 v6, v8, v6 :: v_dual_cndmask_b32 v1, v3, v1
	s_delay_alu instid0(VALU_DEP_2) | instskip(NEXT) | instid1(VALU_DEP_2)
	v_and_b32_e32 v0, 0x80000000, v0
	v_lshl_add_u32 v3, v6, 23, 0x37800000
	s_delay_alu instid0(VALU_DEP_3) | instskip(NEXT) | instid1(VALU_DEP_1)
	v_lshlrev_b32_e32 v1, 21, v1
	v_or3_b32 v0, v0, v3, v1
	s_delay_alu instid0(VALU_DEP_1) | instskip(NEXT) | instid1(VALU_DEP_1)
	v_trunc_f32_e32 v0, v0
	v_mul_f32_e64 v1, 0x2f800000, |v0|
	s_delay_alu instid0(VALU_DEP_1) | instskip(NEXT) | instid1(VALU_DEP_1)
	v_floor_f32_e32 v1, v1
	v_fma_f32 v1, 0xcf800000, v1, |v0|
	v_ashrrev_i32_e32 v0, 31, v0
	s_delay_alu instid0(VALU_DEP_2) | instskip(NEXT) | instid1(VALU_DEP_1)
	v_cvt_u32_f32_e32 v1, v1
	v_xor_b32_e32 v1, v1, v0
	s_delay_alu instid0(VALU_DEP_1)
	v_sub_nc_u32_e32 v6, v1, v0
.LBB15_884:
	s_or_b32 exec_lo, exec_lo, s8
	s_mov_b32 s8, 0
	s_branch .LBB15_890
.LBB15_885:
	s_mov_b32 s8, -1
                                        ; implicit-def: $vgpr6
	s_branch .LBB15_896
.LBB15_886:
	s_and_not1_saveexec_b32 s10, s10
	s_cbranch_execz .LBB15_871
.LBB15_887:
	v_cmp_ne_u16_e32 vcc_lo, 0, v0
	s_and_not1_b32 s11, s11, exec_lo
	s_and_b32 s12, vcc_lo, exec_lo
	s_delay_alu instid0(SALU_CYCLE_1)
	s_or_b32 s11, s11, s12
	s_or_b32 exec_lo, exec_lo, s10
	v_mov_b32_e32 v6, 0
	s_and_saveexec_b32 s10, s11
	s_cbranch_execnz .LBB15_872
	s_branch .LBB15_873
.LBB15_888:
	s_mov_b32 s8, -1
                                        ; implicit-def: $vgpr6
	s_branch .LBB15_893
.LBB15_889:
	s_mov_b32 s8, -1
                                        ; implicit-def: $vgpr6
.LBB15_890:
	s_delay_alu instid0(SALU_CYCLE_1)
	s_and_b32 vcc_lo, exec_lo, s8
	s_cbranch_vccz .LBB15_892
; %bb.891:
	global_load_u8 v0, v[4:5], off
	s_wait_loadcnt 0x0
	v_lshlrev_b32_e32 v0, 24, v0
	s_delay_alu instid0(VALU_DEP_1) | instskip(NEXT) | instid1(VALU_DEP_1)
	v_and_b32_e32 v1, 0x7f000000, v0
	v_clz_i32_u32_e32 v3, v1
	v_add_nc_u32_e32 v7, 0x1000000, v1
	v_cmp_ne_u32_e32 vcc_lo, 0, v1
	s_delay_alu instid0(VALU_DEP_3) | instskip(NEXT) | instid1(VALU_DEP_1)
	v_min_u32_e32 v3, 32, v3
	v_sub_nc_u32_e64 v3, v3, 4 clamp
	s_delay_alu instid0(VALU_DEP_1) | instskip(NEXT) | instid1(VALU_DEP_1)
	v_dual_lshlrev_b32 v6, v3, v1 :: v_dual_lshlrev_b32 v3, 23, v3
	v_lshrrev_b32_e32 v6, 4, v6
	s_delay_alu instid0(VALU_DEP_1) | instskip(SKIP_1) | instid1(VALU_DEP_2)
	v_sub_nc_u32_e32 v3, v6, v3
	v_ashrrev_i32_e32 v6, 8, v7
	v_add_nc_u32_e32 v3, 0x3c000000, v3
	s_delay_alu instid0(VALU_DEP_1) | instskip(NEXT) | instid1(VALU_DEP_1)
	v_and_or_b32 v3, 0x7f800000, v6, v3
	v_cndmask_b32_e32 v1, 0, v3, vcc_lo
	s_delay_alu instid0(VALU_DEP_1) | instskip(NEXT) | instid1(VALU_DEP_1)
	v_and_or_b32 v0, 0x80000000, v0, v1
	v_trunc_f32_e32 v0, v0
	s_delay_alu instid0(VALU_DEP_1) | instskip(NEXT) | instid1(VALU_DEP_1)
	v_mul_f32_e64 v1, 0x2f800000, |v0|
	v_floor_f32_e32 v1, v1
	s_delay_alu instid0(VALU_DEP_1) | instskip(SKIP_1) | instid1(VALU_DEP_2)
	v_fma_f32 v1, 0xcf800000, v1, |v0|
	v_ashrrev_i32_e32 v0, 31, v0
	v_cvt_u32_f32_e32 v1, v1
	s_delay_alu instid0(VALU_DEP_1) | instskip(NEXT) | instid1(VALU_DEP_1)
	v_xor_b32_e32 v1, v1, v0
	v_sub_nc_u32_e32 v6, v1, v0
.LBB15_892:
	s_mov_b32 s8, 0
.LBB15_893:
	s_delay_alu instid0(SALU_CYCLE_1)
	s_and_not1_b32 vcc_lo, exec_lo, s8
	s_cbranch_vccnz .LBB15_895
; %bb.894:
	global_load_u8 v0, v[4:5], off
	s_wait_loadcnt 0x0
	v_lshlrev_b32_e32 v1, 25, v0
	v_lshlrev_b16 v0, 8, v0
	s_delay_alu instid0(VALU_DEP_1) | instskip(SKIP_1) | instid1(VALU_DEP_2)
	v_and_or_b32 v6, 0x7f00, v0, 0.5
	v_bfe_i32 v0, v0, 0, 16
	v_dual_add_f32 v6, -0.5, v6 :: v_dual_lshrrev_b32 v3, 4, v1
	v_cmp_gt_u32_e32 vcc_lo, 0x8000000, v1
	s_delay_alu instid0(VALU_DEP_2) | instskip(NEXT) | instid1(VALU_DEP_1)
	v_or_b32_e32 v3, 0x70000000, v3
	v_mul_f32_e32 v3, 0x7800000, v3
	s_delay_alu instid0(VALU_DEP_1) | instskip(NEXT) | instid1(VALU_DEP_1)
	v_cndmask_b32_e32 v1, v3, v6, vcc_lo
	v_and_or_b32 v0, 0x80000000, v0, v1
	s_delay_alu instid0(VALU_DEP_1) | instskip(NEXT) | instid1(VALU_DEP_1)
	v_trunc_f32_e32 v0, v0
	v_mul_f32_e64 v1, 0x2f800000, |v0|
	s_delay_alu instid0(VALU_DEP_1) | instskip(NEXT) | instid1(VALU_DEP_1)
	v_floor_f32_e32 v1, v1
	v_fma_f32 v1, 0xcf800000, v1, |v0|
	v_ashrrev_i32_e32 v0, 31, v0
	s_delay_alu instid0(VALU_DEP_2) | instskip(NEXT) | instid1(VALU_DEP_1)
	v_cvt_u32_f32_e32 v1, v1
	v_xor_b32_e32 v1, v1, v0
	s_delay_alu instid0(VALU_DEP_1)
	v_sub_nc_u32_e32 v6, v1, v0
.LBB15_895:
	s_mov_b32 s8, 0
	s_mov_b32 s10, -1
.LBB15_896:
	s_and_not1_b32 vcc_lo, exec_lo, s8
	s_mov_b32 s8, 0
	s_cbranch_vccnz .LBB15_907
; %bb.897:
	s_cmp_gt_i32 s6, 14
	s_cbranch_scc0 .LBB15_900
; %bb.898:
	s_cmp_eq_u32 s6, 15
	s_cbranch_scc0 .LBB15_903
; %bb.899:
	global_load_u16 v0, v[4:5], off
	s_mov_b32 s7, 0
	s_mov_b32 s10, -1
	s_wait_loadcnt 0x0
	v_lshlrev_b32_e32 v0, 16, v0
	s_delay_alu instid0(VALU_DEP_1) | instskip(NEXT) | instid1(VALU_DEP_1)
	v_trunc_f32_e32 v0, v0
	v_mul_f32_e64 v1, 0x2f800000, |v0|
	s_delay_alu instid0(VALU_DEP_1) | instskip(NEXT) | instid1(VALU_DEP_1)
	v_floor_f32_e32 v1, v1
	v_fma_f32 v1, 0xcf800000, v1, |v0|
	v_ashrrev_i32_e32 v0, 31, v0
	s_delay_alu instid0(VALU_DEP_2) | instskip(NEXT) | instid1(VALU_DEP_1)
	v_cvt_u32_f32_e32 v1, v1
	v_xor_b32_e32 v1, v1, v0
	s_delay_alu instid0(VALU_DEP_1)
	v_sub_nc_u32_e32 v6, v1, v0
	s_branch .LBB15_905
.LBB15_900:
	s_mov_b32 s8, -1
	s_branch .LBB15_904
.LBB15_901:
	s_and_not1_saveexec_b32 s8, s8
	s_cbranch_execz .LBB15_882
.LBB15_902:
	v_cmp_ne_u16_e32 vcc_lo, 0, v0
	s_and_not1_b32 s10, s10, exec_lo
	s_and_b32 s11, vcc_lo, exec_lo
	s_delay_alu instid0(SALU_CYCLE_1)
	s_or_b32 s10, s10, s11
	s_or_b32 exec_lo, exec_lo, s8
	v_mov_b32_e32 v6, 0
	s_and_saveexec_b32 s8, s10
	s_cbranch_execnz .LBB15_883
	s_branch .LBB15_884
.LBB15_903:
	s_mov_b32 s7, -1
.LBB15_904:
                                        ; implicit-def: $vgpr6
.LBB15_905:
	s_and_b32 vcc_lo, exec_lo, s8
	s_mov_b32 s8, 0
	s_cbranch_vccz .LBB15_907
; %bb.906:
	s_cmp_lg_u32 s6, 11
	s_mov_b32 s8, -1
	s_cselect_b32 s6, -1, 0
	s_and_not1_b32 s7, s7, exec_lo
	s_and_b32 s6, s6, exec_lo
	s_delay_alu instid0(SALU_CYCLE_1)
	s_or_b32 s7, s7, s6
.LBB15_907:
	s_mov_b32 s6, 0
.LBB15_908:
	s_delay_alu instid0(SALU_CYCLE_1)
	s_and_b32 s27, s6, exec_lo
	s_and_not1_b32 s6, s0, exec_lo
	s_and_b32 s7, s7, exec_lo
	s_and_b32 s28, s10, exec_lo
	;; [unrolled: 1-line block ×3, first 2 shown]
	s_or_b32 s29, s6, s7
.LBB15_909:
	s_wait_xcnt 0x0
	s_or_b32 exec_lo, exec_lo, s39
	s_delay_alu instid0(SALU_CYCLE_1)
	s_and_not1_b32 s0, s0, exec_lo
	s_and_b32 s6, s29, exec_lo
	s_and_b32 s28, s28, exec_lo
	;; [unrolled: 1-line block ×4, first 2 shown]
	s_or_b32 s0, s0, s6
.LBB15_910:
	s_or_b32 exec_lo, exec_lo, s31
	s_delay_alu instid0(SALU_CYCLE_1)
	s_and_not1_b32 s6, s45, exec_lo
	s_and_b32 s7, s30, exec_lo
	s_and_b32 s0, s0, exec_lo
	s_or_b32 s45, s6, s7
	s_and_not1_b32 s6, s44, exec_lo
	s_and_b32 s28, s28, exec_lo
	s_and_b32 s27, s27, exec_lo
	;; [unrolled: 1-line block ×3, first 2 shown]
	s_or_b32 s44, s6, s0
.LBB15_911:
	s_or_b32 exec_lo, exec_lo, s46
	s_delay_alu instid0(SALU_CYCLE_1)
	s_and_not1_b32 s0, s20, exec_lo
	s_and_b32 s6, s45, exec_lo
	s_and_b32 s7, s44, exec_lo
	s_or_b32 s20, s0, s6
	s_and_not1_b32 s6, s42, exec_lo
	s_and_b32 s0, s28, exec_lo
	s_and_b32 s27, s27, exec_lo
	;; [unrolled: 1-line block ×3, first 2 shown]
	s_or_b32 s42, s6, s7
	s_or_b32 exec_lo, exec_lo, s43
	s_mov_b32 s6, 0
	s_and_saveexec_b32 s7, s42
	s_cbranch_execz .LBB15_272
.LBB15_912:
	s_mov_b32 s6, exec_lo
	s_and_not1_b32 s19, s19, exec_lo
	s_trap 2
	s_or_b32 exec_lo, exec_lo, s7
	s_and_saveexec_b32 s7, s19
	s_delay_alu instid0(SALU_CYCLE_1)
	s_xor_b32 s7, exec_lo, s7
	s_cbranch_execnz .LBB15_273
.LBB15_913:
	s_or_b32 exec_lo, exec_lo, s7
	s_and_saveexec_b32 s7, s27
	s_cbranch_execz .LBB15_959
.LBB15_914:
	s_sext_i32_i16 s8, s37
	s_delay_alu instid0(SALU_CYCLE_1)
	s_cmp_lt_i32 s8, 5
	s_cbranch_scc1 .LBB15_919
; %bb.915:
	s_cmp_lt_i32 s8, 8
	s_cbranch_scc1 .LBB15_920
; %bb.916:
	s_cmp_lt_i32 s8, 9
	s_cbranch_scc1 .LBB15_921
; %bb.917:
	s_cmp_gt_i32 s8, 9
	s_cbranch_scc0 .LBB15_922
; %bb.918:
	global_load_b64 v[0:1], v[4:5], off
	s_mov_b32 s8, 0
	s_wait_loadcnt 0x0
	v_trunc_f64_e32 v[0:1], v[0:1]
	s_delay_alu instid0(VALU_DEP_1) | instskip(NEXT) | instid1(VALU_DEP_1)
	v_ldexp_f64 v[6:7], v[0:1], 0xffffffe0
	v_floor_f64_e32 v[6:7], v[6:7]
	s_delay_alu instid0(VALU_DEP_1) | instskip(NEXT) | instid1(VALU_DEP_1)
	v_fmamk_f64 v[0:1], v[6:7], 0xc1f00000, v[0:1]
	v_cvt_u32_f64_e32 v6, v[0:1]
	s_branch .LBB15_923
.LBB15_919:
                                        ; implicit-def: $vgpr6
	s_branch .LBB15_940
.LBB15_920:
                                        ; implicit-def: $vgpr6
	s_branch .LBB15_929
.LBB15_921:
	s_mov_b32 s8, -1
                                        ; implicit-def: $vgpr6
	s_branch .LBB15_926
.LBB15_922:
	s_mov_b32 s8, -1
                                        ; implicit-def: $vgpr6
.LBB15_923:
	s_delay_alu instid0(SALU_CYCLE_1)
	s_and_not1_b32 vcc_lo, exec_lo, s8
	s_cbranch_vccnz .LBB15_925
; %bb.924:
	global_load_b32 v0, v[4:5], off
	s_wait_loadcnt 0x0
	v_trunc_f32_e32 v0, v0
	s_delay_alu instid0(VALU_DEP_1) | instskip(NEXT) | instid1(VALU_DEP_1)
	v_mul_f32_e64 v1, 0x2f800000, |v0|
	v_floor_f32_e32 v1, v1
	s_delay_alu instid0(VALU_DEP_1) | instskip(SKIP_1) | instid1(VALU_DEP_2)
	v_fma_f32 v1, 0xcf800000, v1, |v0|
	v_ashrrev_i32_e32 v0, 31, v0
	v_cvt_u32_f32_e32 v1, v1
	s_delay_alu instid0(VALU_DEP_1) | instskip(NEXT) | instid1(VALU_DEP_1)
	v_xor_b32_e32 v1, v1, v0
	v_sub_nc_u32_e32 v6, v1, v0
.LBB15_925:
	s_mov_b32 s8, 0
.LBB15_926:
	s_delay_alu instid0(SALU_CYCLE_1)
	s_and_not1_b32 vcc_lo, exec_lo, s8
	s_cbranch_vccnz .LBB15_928
; %bb.927:
	global_load_b32 v0, v[4:5], off
	s_wait_loadcnt 0x0
	v_cvt_f32_f16_e32 v0, v0
	s_delay_alu instid0(VALU_DEP_1)
	v_cvt_i32_f32_e32 v6, v0
.LBB15_928:
	s_cbranch_execnz .LBB15_939
.LBB15_929:
	s_sext_i32_i16 s8, s37
	s_delay_alu instid0(SALU_CYCLE_1)
	s_cmp_lt_i32 s8, 6
	s_cbranch_scc1 .LBB15_932
; %bb.930:
	s_cmp_gt_i32 s8, 6
	s_cbranch_scc0 .LBB15_933
; %bb.931:
	global_load_b64 v[0:1], v[4:5], off
	s_mov_b32 s8, 0
	s_wait_loadcnt 0x0
	v_trunc_f64_e32 v[0:1], v[0:1]
	s_delay_alu instid0(VALU_DEP_1) | instskip(NEXT) | instid1(VALU_DEP_1)
	v_ldexp_f64 v[6:7], v[0:1], 0xffffffe0
	v_floor_f64_e32 v[6:7], v[6:7]
	s_delay_alu instid0(VALU_DEP_1) | instskip(NEXT) | instid1(VALU_DEP_1)
	v_fmamk_f64 v[0:1], v[6:7], 0xc1f00000, v[0:1]
	v_cvt_u32_f64_e32 v6, v[0:1]
	s_branch .LBB15_934
.LBB15_932:
	s_mov_b32 s8, -1
                                        ; implicit-def: $vgpr6
	s_branch .LBB15_937
.LBB15_933:
	s_mov_b32 s8, -1
                                        ; implicit-def: $vgpr6
.LBB15_934:
	s_delay_alu instid0(SALU_CYCLE_1)
	s_and_not1_b32 vcc_lo, exec_lo, s8
	s_cbranch_vccnz .LBB15_936
; %bb.935:
	global_load_b32 v0, v[4:5], off
	s_wait_loadcnt 0x0
	v_trunc_f32_e32 v0, v0
	s_delay_alu instid0(VALU_DEP_1) | instskip(NEXT) | instid1(VALU_DEP_1)
	v_mul_f32_e64 v1, 0x2f800000, |v0|
	v_floor_f32_e32 v1, v1
	s_delay_alu instid0(VALU_DEP_1) | instskip(SKIP_1) | instid1(VALU_DEP_2)
	v_fma_f32 v1, 0xcf800000, v1, |v0|
	v_ashrrev_i32_e32 v0, 31, v0
	v_cvt_u32_f32_e32 v1, v1
	s_delay_alu instid0(VALU_DEP_1) | instskip(NEXT) | instid1(VALU_DEP_1)
	v_xor_b32_e32 v1, v1, v0
	v_sub_nc_u32_e32 v6, v1, v0
.LBB15_936:
	s_mov_b32 s8, 0
.LBB15_937:
	s_delay_alu instid0(SALU_CYCLE_1)
	s_and_not1_b32 vcc_lo, exec_lo, s8
	s_cbranch_vccnz .LBB15_939
; %bb.938:
	global_load_u16 v0, v[4:5], off
	s_wait_loadcnt 0x0
	v_cvt_f32_f16_e32 v0, v0
	s_delay_alu instid0(VALU_DEP_1)
	v_cvt_i32_f32_e32 v6, v0
.LBB15_939:
	s_cbranch_execnz .LBB15_958
.LBB15_940:
	s_sext_i32_i16 s8, s37
	s_delay_alu instid0(SALU_CYCLE_1)
	s_cmp_lt_i32 s8, 2
	s_cbranch_scc1 .LBB15_944
; %bb.941:
	s_cmp_lt_i32 s8, 3
	s_cbranch_scc1 .LBB15_945
; %bb.942:
	s_cmp_gt_i32 s8, 3
	s_cbranch_scc0 .LBB15_946
; %bb.943:
	s_wait_loadcnt 0x0
	global_load_b64 v[6:7], v[4:5], off
	s_mov_b32 s8, 0
	s_branch .LBB15_947
.LBB15_944:
                                        ; implicit-def: $vgpr6
	s_branch .LBB15_953
.LBB15_945:
	s_mov_b32 s8, -1
                                        ; implicit-def: $vgpr6
	s_branch .LBB15_950
.LBB15_946:
	s_mov_b32 s8, -1
                                        ; implicit-def: $vgpr6
.LBB15_947:
	s_delay_alu instid0(SALU_CYCLE_1)
	s_and_not1_b32 vcc_lo, exec_lo, s8
	s_cbranch_vccnz .LBB15_949
; %bb.948:
	s_wait_loadcnt 0x0
	global_load_b32 v6, v[4:5], off
.LBB15_949:
	s_mov_b32 s8, 0
.LBB15_950:
	s_delay_alu instid0(SALU_CYCLE_1)
	s_and_not1_b32 vcc_lo, exec_lo, s8
	s_cbranch_vccnz .LBB15_952
; %bb.951:
	s_wait_loadcnt 0x0
	global_load_u16 v6, v[4:5], off
.LBB15_952:
	s_cbranch_execnz .LBB15_958
.LBB15_953:
	s_sext_i32_i16 s8, s37
	s_delay_alu instid0(SALU_CYCLE_1)
	s_cmp_gt_i32 s8, 0
	s_mov_b32 s8, 0
	s_cbranch_scc0 .LBB15_955
; %bb.954:
	s_wait_loadcnt 0x0
	global_load_u8 v6, v[4:5], off
	s_branch .LBB15_956
.LBB15_955:
	s_mov_b32 s8, -1
                                        ; implicit-def: $vgpr6
.LBB15_956:
	s_delay_alu instid0(SALU_CYCLE_1)
	s_and_not1_b32 vcc_lo, exec_lo, s8
	s_cbranch_vccnz .LBB15_958
; %bb.957:
	s_wait_loadcnt 0x0
	global_load_u8 v6, v[4:5], off
.LBB15_958:
	s_or_b32 s0, s0, exec_lo
.LBB15_959:
	s_wait_xcnt 0x0
	s_or_b32 exec_lo, exec_lo, s7
	s_mov_b32 s12, 0
	s_mov_b32 s11, 0
                                        ; implicit-def: $sgpr7
                                        ; implicit-def: $sgpr8
                                        ; implicit-def: $vgpr0_vgpr1
	s_and_saveexec_b32 s10, s0
	s_cbranch_execz .LBB15_967
; %bb.960:
	s_wait_loadcnt 0x0
	s_delay_alu instid0(VALU_DEP_1) | instskip(SKIP_3) | instid1(VALU_DEP_2)
	v_and_b32_e32 v0, 0xff, v6
	v_mov_b32_e32 v3, 0
	s_and_b32 s0, s1, 0xff
	s_and_b32 s8, s2, 0xff
	v_cmp_ne_u16_e32 vcc_lo, s0, v0
	s_delay_alu instid0(VALU_DEP_2)
	v_add_nc_u64_e32 v[0:1], s[4:5], v[2:3]
	s_xor_b32 s7, s9, vcc_lo
	s_cmp_lt_i32 s8, 11
	s_cbranch_scc1 .LBB15_970
; %bb.961:
	s_and_b32 s1, 0xffff, s8
	s_mov_b32 s2, -1
	s_cmp_gt_i32 s1, 25
	s_mov_b32 s0, s20
	s_cbranch_scc0 .LBB15_998
; %bb.962:
	s_cmp_gt_i32 s1, 28
	s_mov_b32 s0, s20
	s_cbranch_scc0 .LBB15_982
; %bb.963:
	s_cmp_gt_i32 s1, 43
	s_mov_b32 s0, s20
	s_cbranch_scc0 .LBB15_978
; %bb.964:
	s_cmp_gt_i32 s1, 45
	s_mov_b32 s0, s20
	s_cbranch_scc0 .LBB15_972
; %bb.965:
	s_cmp_eq_u32 s1, 46
	s_mov_b32 s0, -1
	s_cbranch_scc0 .LBB15_971
; %bb.966:
	v_cndmask_b32_e64 v2, 0, 1.0, s7
	s_mov_b32 s0, 0
	s_mov_b32 s2, 0
	s_delay_alu instid0(VALU_DEP_1) | instskip(NEXT) | instid1(VALU_DEP_1)
	v_bfe_u32 v3, v2, 16, 1
	v_add3_u32 v2, v2, v3, 0x7fff
	s_delay_alu instid0(VALU_DEP_1)
	v_lshrrev_b32_e32 v2, 16, v2
	global_store_b32 v[0:1], v2, off
	s_branch .LBB15_972
.LBB15_967:
	s_or_b32 exec_lo, exec_lo, s10
	s_and_saveexec_b32 s0, s20
	s_cbranch_execnz .LBB15_1040
.LBB15_968:
	s_or_b32 exec_lo, exec_lo, s0
	s_and_saveexec_b32 s0, s12
	s_delay_alu instid0(SALU_CYCLE_1)
	s_xor_b32 s0, exec_lo, s0
	s_cbranch_execz .LBB15_1041
.LBB15_969:
	v_cndmask_b32_e64 v2, 0, 1, s7
	global_store_b8 v[0:1], v2, off
	s_wait_xcnt 0x0
	s_or_b32 exec_lo, exec_lo, s0
	s_and_saveexec_b32 s0, s11
	s_delay_alu instid0(SALU_CYCLE_1)
	s_xor_b32 s0, exec_lo, s0
	s_cbranch_execz .LBB15_1079
	s_branch .LBB15_1042
.LBB15_970:
	s_mov_b32 s4, 0
	s_mov_b32 s2, -1
	s_mov_b32 s0, s20
	s_branch .LBB15_1039
.LBB15_971:
	s_mov_b32 s2, 0
.LBB15_972:
	s_delay_alu instid0(SALU_CYCLE_1)
	s_and_b32 vcc_lo, exec_lo, s2
	s_cbranch_vccz .LBB15_977
; %bb.973:
	s_cmp_eq_u32 s1, 44
	s_mov_b32 s0, -1
	s_cbranch_scc0 .LBB15_977
; %bb.974:
	v_cndmask_b32_e64 v4, 0, 1.0, s7
	s_mov_b32 s2, exec_lo
	s_wait_xcnt 0x0
	s_delay_alu instid0(VALU_DEP_1) | instskip(NEXT) | instid1(VALU_DEP_1)
	v_dual_mov_b32 v3, 0xff :: v_dual_lshrrev_b32 v2, 23, v4
	v_cmpx_ne_u32_e32 0xff, v2
; %bb.975:
	v_and_b32_e32 v3, 0x400000, v4
	v_and_or_b32 v4, 0x3fffff, v4, v2
	s_delay_alu instid0(VALU_DEP_2) | instskip(NEXT) | instid1(VALU_DEP_2)
	v_cmp_ne_u32_e32 vcc_lo, 0, v3
	v_cmp_ne_u32_e64 s0, 0, v4
	s_and_b32 s0, vcc_lo, s0
	s_delay_alu instid0(SALU_CYCLE_1) | instskip(NEXT) | instid1(VALU_DEP_1)
	v_cndmask_b32_e64 v3, 0, 1, s0
	v_add_nc_u32_e32 v3, v2, v3
; %bb.976:
	s_or_b32 exec_lo, exec_lo, s2
	s_mov_b32 s0, 0
	global_store_b8 v[0:1], v3, off
.LBB15_977:
	s_mov_b32 s2, 0
.LBB15_978:
	s_delay_alu instid0(SALU_CYCLE_1)
	s_and_b32 vcc_lo, exec_lo, s2
	s_cbranch_vccz .LBB15_981
; %bb.979:
	s_cmp_eq_u32 s1, 29
	s_mov_b32 s0, -1
	s_cbranch_scc0 .LBB15_981
; %bb.980:
	s_mov_b32 s0, 0
	s_wait_xcnt 0x0
	v_cndmask_b32_e64 v2, 0, 1, s7
	v_mov_b32_e32 v3, s0
	s_mov_b32 s2, 0
	global_store_b64 v[0:1], v[2:3], off
	s_branch .LBB15_982
.LBB15_981:
	s_mov_b32 s2, 0
.LBB15_982:
	s_delay_alu instid0(SALU_CYCLE_1)
	s_and_b32 vcc_lo, exec_lo, s2
	s_cbranch_vccz .LBB15_997
; %bb.983:
	s_cmp_lt_i32 s1, 27
	s_mov_b32 s2, -1
	s_cbranch_scc1 .LBB15_989
; %bb.984:
	s_cmp_gt_i32 s1, 27
	s_cbranch_scc0 .LBB15_986
; %bb.985:
	s_wait_xcnt 0x0
	v_cndmask_b32_e64 v2, 0, 1, s7
	s_mov_b32 s2, 0
	global_store_b32 v[0:1], v2, off
.LBB15_986:
	s_and_not1_b32 vcc_lo, exec_lo, s2
	s_cbranch_vccnz .LBB15_988
; %bb.987:
	s_wait_xcnt 0x0
	v_cndmask_b32_e64 v2, 0, 1, s7
	global_store_b16 v[0:1], v2, off
.LBB15_988:
	s_mov_b32 s2, 0
.LBB15_989:
	s_delay_alu instid0(SALU_CYCLE_1)
	s_and_not1_b32 vcc_lo, exec_lo, s2
	s_cbranch_vccnz .LBB15_997
; %bb.990:
	s_wait_xcnt 0x0
	v_cndmask_b32_e64 v3, 0, 1.0, s7
	v_mov_b32_e32 v4, 0x80
	s_mov_b32 s2, exec_lo
	s_delay_alu instid0(VALU_DEP_2)
	v_cmpx_gt_u32_e32 0x43800000, v3
	s_cbranch_execz .LBB15_996
; %bb.991:
	s_mov_b32 s4, 0
	s_mov_b32 s5, exec_lo
                                        ; implicit-def: $vgpr2
	v_cmpx_lt_u32_e32 0x3bffffff, v3
	s_xor_b32 s5, exec_lo, s5
	s_cbranch_execz .LBB15_1154
; %bb.992:
	v_bfe_u32 v2, v3, 20, 1
	s_mov_b32 s4, exec_lo
	s_delay_alu instid0(VALU_DEP_1) | instskip(NEXT) | instid1(VALU_DEP_1)
	v_add3_u32 v2, v3, v2, 0x487ffff
                                        ; implicit-def: $vgpr3
	v_lshrrev_b32_e32 v2, 20, v2
	s_and_not1_saveexec_b32 s5, s5
	s_cbranch_execnz .LBB15_1155
.LBB15_993:
	s_or_b32 exec_lo, exec_lo, s5
	v_mov_b32_e32 v4, 0
	s_and_saveexec_b32 s5, s4
.LBB15_994:
	v_mov_b32_e32 v4, v2
.LBB15_995:
	s_or_b32 exec_lo, exec_lo, s5
.LBB15_996:
	s_delay_alu instid0(SALU_CYCLE_1)
	s_or_b32 exec_lo, exec_lo, s2
	global_store_b8 v[0:1], v4, off
.LBB15_997:
	s_mov_b32 s2, 0
.LBB15_998:
	s_delay_alu instid0(SALU_CYCLE_1)
	s_and_b32 vcc_lo, exec_lo, s2
	s_mov_b32 s2, 0
	s_cbranch_vccz .LBB15_1038
; %bb.999:
	s_cmp_gt_i32 s1, 22
	s_mov_b32 s4, -1
	s_cbranch_scc0 .LBB15_1031
; %bb.1000:
	s_cmp_lt_i32 s1, 24
	s_cbranch_scc1 .LBB15_1020
; %bb.1001:
	s_cmp_gt_i32 s1, 24
	s_cbranch_scc0 .LBB15_1009
; %bb.1002:
	s_wait_xcnt 0x0
	v_cndmask_b32_e64 v3, 0, 1.0, s7
	v_mov_b32_e32 v4, 0x80
	s_mov_b32 s4, exec_lo
	s_delay_alu instid0(VALU_DEP_2)
	v_cmpx_gt_u32_e32 0x47800000, v3
	s_cbranch_execz .LBB15_1008
; %bb.1003:
	s_mov_b32 s5, 0
	s_mov_b32 s9, exec_lo
                                        ; implicit-def: $vgpr2
	v_cmpx_lt_u32_e32 0x37ffffff, v3
	s_xor_b32 s9, exec_lo, s9
	s_cbranch_execz .LBB15_1275
; %bb.1004:
	v_bfe_u32 v2, v3, 21, 1
	s_mov_b32 s5, exec_lo
	s_delay_alu instid0(VALU_DEP_1) | instskip(NEXT) | instid1(VALU_DEP_1)
	v_add3_u32 v2, v3, v2, 0x88fffff
                                        ; implicit-def: $vgpr3
	v_lshrrev_b32_e32 v2, 21, v2
	s_and_not1_saveexec_b32 s9, s9
	s_cbranch_execnz .LBB15_1276
.LBB15_1005:
	s_or_b32 exec_lo, exec_lo, s9
	v_mov_b32_e32 v4, 0
	s_and_saveexec_b32 s9, s5
.LBB15_1006:
	v_mov_b32_e32 v4, v2
.LBB15_1007:
	s_or_b32 exec_lo, exec_lo, s9
.LBB15_1008:
	s_delay_alu instid0(SALU_CYCLE_1)
	s_or_b32 exec_lo, exec_lo, s4
	s_mov_b32 s4, 0
	global_store_b8 v[0:1], v4, off
.LBB15_1009:
	s_and_b32 vcc_lo, exec_lo, s4
	s_cbranch_vccz .LBB15_1019
; %bb.1010:
	s_wait_xcnt 0x0
	v_cndmask_b32_e64 v3, 0, 1.0, s7
	s_mov_b32 s4, exec_lo
                                        ; implicit-def: $vgpr2
	s_delay_alu instid0(VALU_DEP_1)
	v_cmpx_gt_u32_e32 0x43f00000, v3
	s_xor_b32 s4, exec_lo, s4
	s_cbranch_execz .LBB15_1016
; %bb.1011:
	s_mov_b32 s5, exec_lo
                                        ; implicit-def: $vgpr2
	v_cmpx_lt_u32_e32 0x3c7fffff, v3
	s_xor_b32 s5, exec_lo, s5
; %bb.1012:
	v_bfe_u32 v2, v3, 20, 1
	s_delay_alu instid0(VALU_DEP_1) | instskip(NEXT) | instid1(VALU_DEP_1)
	v_add3_u32 v2, v3, v2, 0x407ffff
	v_and_b32_e32 v3, 0xff00000, v2
	v_lshrrev_b32_e32 v2, 20, v2
	s_delay_alu instid0(VALU_DEP_2) | instskip(NEXT) | instid1(VALU_DEP_2)
	v_cmp_ne_u32_e32 vcc_lo, 0x7f00000, v3
                                        ; implicit-def: $vgpr3
	v_cndmask_b32_e32 v2, 0x7e, v2, vcc_lo
; %bb.1013:
	s_and_not1_saveexec_b32 s5, s5
; %bb.1014:
	v_add_f32_e32 v2, 0x46800000, v3
; %bb.1015:
	s_or_b32 exec_lo, exec_lo, s5
                                        ; implicit-def: $vgpr3
.LBB15_1016:
	s_and_not1_saveexec_b32 s4, s4
; %bb.1017:
	v_mov_b32_e32 v2, 0x7f
	v_cmp_lt_u32_e32 vcc_lo, 0x7f800000, v3
	s_delay_alu instid0(VALU_DEP_2)
	v_cndmask_b32_e32 v2, 0x7e, v2, vcc_lo
; %bb.1018:
	s_or_b32 exec_lo, exec_lo, s4
	global_store_b8 v[0:1], v2, off
.LBB15_1019:
	s_mov_b32 s4, 0
.LBB15_1020:
	s_delay_alu instid0(SALU_CYCLE_1)
	s_and_not1_b32 vcc_lo, exec_lo, s4
	s_cbranch_vccnz .LBB15_1030
; %bb.1021:
	s_wait_xcnt 0x0
	v_cndmask_b32_e64 v3, 0, 1.0, s7
	s_mov_b32 s4, exec_lo
                                        ; implicit-def: $vgpr2
	s_delay_alu instid0(VALU_DEP_1)
	v_cmpx_gt_u32_e32 0x47800000, v3
	s_xor_b32 s4, exec_lo, s4
	s_cbranch_execz .LBB15_1027
; %bb.1022:
	s_mov_b32 s5, exec_lo
                                        ; implicit-def: $vgpr2
	v_cmpx_lt_u32_e32 0x387fffff, v3
	s_xor_b32 s5, exec_lo, s5
; %bb.1023:
	v_bfe_u32 v2, v3, 21, 1
	s_delay_alu instid0(VALU_DEP_1) | instskip(NEXT) | instid1(VALU_DEP_1)
	v_add3_u32 v2, v3, v2, 0x80fffff
                                        ; implicit-def: $vgpr3
	v_lshrrev_b32_e32 v2, 21, v2
; %bb.1024:
	s_and_not1_saveexec_b32 s5, s5
; %bb.1025:
	v_add_f32_e32 v2, 0x43000000, v3
; %bb.1026:
	s_or_b32 exec_lo, exec_lo, s5
                                        ; implicit-def: $vgpr3
.LBB15_1027:
	s_and_not1_saveexec_b32 s4, s4
; %bb.1028:
	v_mov_b32_e32 v2, 0x7f
	v_cmp_lt_u32_e32 vcc_lo, 0x7f800000, v3
	s_delay_alu instid0(VALU_DEP_2)
	v_cndmask_b32_e32 v2, 0x7c, v2, vcc_lo
; %bb.1029:
	s_or_b32 exec_lo, exec_lo, s4
	global_store_b8 v[0:1], v2, off
.LBB15_1030:
	s_mov_b32 s4, 0
.LBB15_1031:
	s_delay_alu instid0(SALU_CYCLE_1)
	s_and_not1_b32 vcc_lo, exec_lo, s4
	s_mov_b32 s4, 0
	s_cbranch_vccnz .LBB15_1039
; %bb.1032:
	s_cmp_gt_i32 s1, 14
	s_mov_b32 s4, -1
	s_cbranch_scc0 .LBB15_1036
; %bb.1033:
	s_cmp_eq_u32 s1, 15
	s_mov_b32 s0, -1
	s_cbranch_scc0 .LBB15_1035
; %bb.1034:
	s_wait_xcnt 0x0
	v_cndmask_b32_e64 v2, 0, 1.0, s7
	s_mov_b32 s0, 0
	s_delay_alu instid0(VALU_DEP_1) | instskip(NEXT) | instid1(VALU_DEP_1)
	v_bfe_u32 v3, v2, 16, 1
	v_add3_u32 v2, v2, v3, 0x7fff
	global_store_d16_hi_b16 v[0:1], v2, off
.LBB15_1035:
	s_mov_b32 s4, 0
.LBB15_1036:
	s_delay_alu instid0(SALU_CYCLE_1)
	s_and_b32 vcc_lo, exec_lo, s4
	s_mov_b32 s4, 0
	s_cbranch_vccz .LBB15_1039
; %bb.1037:
	s_cmp_lg_u32 s1, 11
	s_mov_b32 s4, -1
	s_cselect_b32 s1, -1, 0
	s_and_not1_b32 s0, s0, exec_lo
	s_and_b32 s1, s1, exec_lo
	s_delay_alu instid0(SALU_CYCLE_1)
	s_or_b32 s0, s0, s1
	s_branch .LBB15_1039
.LBB15_1038:
	s_mov_b32 s4, 0
.LBB15_1039:
	s_and_not1_b32 s1, s20, exec_lo
	s_and_b32 s0, s0, exec_lo
	s_and_b32 s11, s2, exec_lo
	;; [unrolled: 1-line block ×3, first 2 shown]
	s_or_b32 s20, s1, s0
	s_wait_xcnt 0x0
	s_or_b32 exec_lo, exec_lo, s10
	s_and_saveexec_b32 s0, s20
	s_cbranch_execz .LBB15_968
.LBB15_1040:
	s_or_b32 s6, s6, exec_lo
	s_and_not1_b32 s12, s12, exec_lo
	s_trap 2
	s_or_b32 exec_lo, exec_lo, s0
	s_and_saveexec_b32 s0, s12
	s_delay_alu instid0(SALU_CYCLE_1)
	s_xor_b32 s0, exec_lo, s0
	s_cbranch_execnz .LBB15_969
.LBB15_1041:
	s_or_b32 exec_lo, exec_lo, s0
	s_and_saveexec_b32 s0, s11
	s_delay_alu instid0(SALU_CYCLE_1)
	s_xor_b32 s0, exec_lo, s0
	s_cbranch_execz .LBB15_1079
.LBB15_1042:
	s_sext_i32_i16 s2, s8
	s_mov_b32 s1, -1
	s_cmp_lt_i32 s2, 5
	s_cbranch_scc1 .LBB15_1063
; %bb.1043:
	s_cmp_lt_i32 s2, 8
	s_cbranch_scc1 .LBB15_1053
; %bb.1044:
	;; [unrolled: 3-line block ×3, first 2 shown]
	s_cmp_gt_i32 s2, 9
	s_cbranch_scc0 .LBB15_1047
; %bb.1046:
	v_cndmask_b32_e64 v2, 0, 1, s7
	v_mov_b32_e32 v4, 0
	s_mov_b32 s1, 0
	s_delay_alu instid0(VALU_DEP_2) | instskip(NEXT) | instid1(VALU_DEP_2)
	v_cvt_f64_u32_e32 v[2:3], v2
	v_mov_b32_e32 v5, v4
	global_store_b128 v[0:1], v[2:5], off
.LBB15_1047:
	s_and_not1_b32 vcc_lo, exec_lo, s1
	s_cbranch_vccnz .LBB15_1049
; %bb.1048:
	s_wait_xcnt 0x0
	v_cndmask_b32_e64 v2, 0, 1.0, s7
	v_mov_b32_e32 v3, 0
	global_store_b64 v[0:1], v[2:3], off
.LBB15_1049:
	s_mov_b32 s1, 0
.LBB15_1050:
	s_delay_alu instid0(SALU_CYCLE_1)
	s_and_not1_b32 vcc_lo, exec_lo, s1
	s_cbranch_vccnz .LBB15_1052
; %bb.1051:
	s_wait_xcnt 0x0
	v_cndmask_b32_e64 v2, 0, 1.0, s7
	s_delay_alu instid0(VALU_DEP_1) | instskip(NEXT) | instid1(VALU_DEP_1)
	v_cvt_f16_f32_e32 v2, v2
	v_and_b32_e32 v2, 0xffff, v2
	global_store_b32 v[0:1], v2, off
.LBB15_1052:
	s_mov_b32 s1, 0
.LBB15_1053:
	s_delay_alu instid0(SALU_CYCLE_1)
	s_and_not1_b32 vcc_lo, exec_lo, s1
	s_cbranch_vccnz .LBB15_1062
; %bb.1054:
	s_sext_i32_i16 s2, s8
	s_mov_b32 s1, -1
	s_cmp_lt_i32 s2, 6
	s_cbranch_scc1 .LBB15_1060
; %bb.1055:
	s_cmp_gt_i32 s2, 6
	s_cbranch_scc0 .LBB15_1057
; %bb.1056:
	s_wait_xcnt 0x0
	v_cndmask_b32_e64 v2, 0, 1, s7
	s_mov_b32 s1, 0
	s_delay_alu instid0(VALU_DEP_1)
	v_cvt_f64_u32_e32 v[2:3], v2
	global_store_b64 v[0:1], v[2:3], off
.LBB15_1057:
	s_and_not1_b32 vcc_lo, exec_lo, s1
	s_cbranch_vccnz .LBB15_1059
; %bb.1058:
	s_wait_xcnt 0x0
	v_cndmask_b32_e64 v2, 0, 1.0, s7
	global_store_b32 v[0:1], v2, off
.LBB15_1059:
	s_mov_b32 s1, 0
.LBB15_1060:
	s_delay_alu instid0(SALU_CYCLE_1)
	s_and_not1_b32 vcc_lo, exec_lo, s1
	s_cbranch_vccnz .LBB15_1062
; %bb.1061:
	s_wait_xcnt 0x0
	v_cndmask_b32_e64 v2, 0, 1.0, s7
	s_delay_alu instid0(VALU_DEP_1)
	v_cvt_f16_f32_e32 v2, v2
	global_store_b16 v[0:1], v2, off
.LBB15_1062:
	s_mov_b32 s1, 0
.LBB15_1063:
	s_delay_alu instid0(SALU_CYCLE_1)
	s_and_not1_b32 vcc_lo, exec_lo, s1
	s_cbranch_vccnz .LBB15_1079
; %bb.1064:
	s_sext_i32_i16 s2, s8
	s_mov_b32 s1, -1
	s_cmp_lt_i32 s2, 2
	s_cbranch_scc1 .LBB15_1074
; %bb.1065:
	s_cmp_lt_i32 s2, 3
	s_cbranch_scc1 .LBB15_1071
; %bb.1066:
	s_cmp_gt_i32 s2, 3
	s_cbranch_scc0 .LBB15_1068
; %bb.1067:
	s_mov_b32 s1, 0
	s_wait_xcnt 0x0
	v_cndmask_b32_e64 v2, 0, 1, s7
	v_mov_b32_e32 v3, s1
	global_store_b64 v[0:1], v[2:3], off
.LBB15_1068:
	s_and_not1_b32 vcc_lo, exec_lo, s1
	s_cbranch_vccnz .LBB15_1070
; %bb.1069:
	s_wait_xcnt 0x0
	v_cndmask_b32_e64 v2, 0, 1, s7
	global_store_b32 v[0:1], v2, off
.LBB15_1070:
	s_mov_b32 s1, 0
.LBB15_1071:
	s_delay_alu instid0(SALU_CYCLE_1)
	s_and_not1_b32 vcc_lo, exec_lo, s1
	s_cbranch_vccnz .LBB15_1073
; %bb.1072:
	s_wait_xcnt 0x0
	v_cndmask_b32_e64 v2, 0, 1, s7
	global_store_b16 v[0:1], v2, off
.LBB15_1073:
	s_mov_b32 s1, 0
.LBB15_1074:
	s_delay_alu instid0(SALU_CYCLE_1)
	s_and_not1_b32 vcc_lo, exec_lo, s1
	s_cbranch_vccnz .LBB15_1079
; %bb.1075:
	s_sext_i32_i16 s1, s8
	s_delay_alu instid0(SALU_CYCLE_1)
	s_cmp_gt_i32 s1, 0
	s_mov_b32 s1, -1
	s_cbranch_scc0 .LBB15_1077
; %bb.1076:
	s_wait_xcnt 0x0
	v_cndmask_b32_e64 v2, 0, 1, s7
	s_mov_b32 s1, 0
	global_store_b8 v[0:1], v2, off
.LBB15_1077:
	s_and_not1_b32 vcc_lo, exec_lo, s1
	s_cbranch_vccnz .LBB15_1079
; %bb.1078:
	s_wait_xcnt 0x0
	v_cndmask_b32_e64 v2, 0, 1, s7
	global_store_b8 v[0:1], v2, off
.LBB15_1079:
	s_wait_xcnt 0x0
	s_or_b32 exec_lo, exec_lo, s0
	s_delay_alu instid0(SALU_CYCLE_1)
	s_and_b32 s8, s6, exec_lo
                                        ; implicit-def: $vgpr9
                                        ; implicit-def: $vgpr0
.LBB15_1080:
	s_or_saveexec_b32 s9, s36
	s_mov_b32 s0, 0
                                        ; implicit-def: $sgpr4
                                        ; implicit-def: $vgpr2_vgpr3
                                        ; implicit-def: $sgpr2
	s_xor_b32 exec_lo, exec_lo, s9
	s_cbranch_execz .LBB15_2074
; %bb.1081:
	v_cndmask_b32_e64 v1, 0, 1, s35
	s_and_not1_b32 vcc_lo, exec_lo, s35
	s_cbranch_vccnz .LBB15_1087
; %bb.1082:
	s_cmp_lg_u32 s33, 0
	s_mov_b32 s6, 0
	s_cbranch_scc0 .LBB15_1088
; %bb.1083:
	s_min_u32 s1, s34, 15
	s_delay_alu instid0(SALU_CYCLE_1)
	s_add_co_i32 s1, s1, 1
	s_cmp_eq_u32 s34, 2
	s_cbranch_scc1 .LBB15_1089
; %bb.1084:
	s_wait_loadcnt 0x0
	v_dual_mov_b32 v6, 0 :: v_dual_mov_b32 v8, 0
	v_mov_b32_e32 v2, v0
	s_and_b32 s0, s1, 28
	s_add_nc_u64 s[2:3], s[16:17], 0xc4
	s_mov_b32 s7, 0
	s_mov_b64 s[4:5], s[16:17]
.LBB15_1085:                            ; =>This Inner Loop Header: Depth=1
	s_clause 0x1
	s_load_b256 s[20:27], s[4:5], 0x4
	s_load_b128 s[12:15], s[4:5], 0x24
	s_load_b256 s[36:43], s[2:3], 0x0
	s_add_co_i32 s7, s7, 4
	s_wait_xcnt 0x0
	s_add_nc_u64 s[4:5], s[4:5], 48
	s_cmp_lg_u32 s0, s7
	s_add_nc_u64 s[2:3], s[2:3], 32
	s_wait_kmcnt 0x0
	v_mul_hi_u32 v3, s21, v2
	s_delay_alu instid0(VALU_DEP_1) | instskip(NEXT) | instid1(VALU_DEP_1)
	v_add_nc_u32_e32 v3, v2, v3
	v_lshrrev_b32_e32 v3, s22, v3
	s_delay_alu instid0(VALU_DEP_1) | instskip(NEXT) | instid1(VALU_DEP_1)
	v_mul_hi_u32 v4, s24, v3
	v_add_nc_u32_e32 v4, v3, v4
	s_delay_alu instid0(VALU_DEP_1) | instskip(NEXT) | instid1(VALU_DEP_1)
	v_lshrrev_b32_e32 v4, s25, v4
	v_mul_hi_u32 v5, s27, v4
	s_delay_alu instid0(VALU_DEP_1) | instskip(SKIP_1) | instid1(VALU_DEP_1)
	v_add_nc_u32_e32 v5, v4, v5
	v_mul_lo_u32 v7, v3, s20
	v_sub_nc_u32_e32 v2, v2, v7
	v_mul_lo_u32 v7, v4, s23
	s_delay_alu instid0(VALU_DEP_4) | instskip(NEXT) | instid1(VALU_DEP_3)
	v_lshrrev_b32_e32 v5, s12, v5
	v_mad_u32 v8, v2, s37, v8
	v_mad_u32 v2, v2, s36, v6
	s_delay_alu instid0(VALU_DEP_4) | instskip(NEXT) | instid1(VALU_DEP_4)
	v_sub_nc_u32_e32 v3, v3, v7
	v_mul_hi_u32 v10, s14, v5
	v_mul_lo_u32 v6, v5, s26
	s_delay_alu instid0(VALU_DEP_3) | instskip(SKIP_1) | instid1(VALU_DEP_4)
	v_mad_u32 v8, v3, s39, v8
	v_mad_u32 v3, v3, s38, v2
	v_add_nc_u32_e32 v7, v5, v10
	s_delay_alu instid0(VALU_DEP_1) | instskip(NEXT) | instid1(VALU_DEP_1)
	v_dual_sub_nc_u32 v4, v4, v6 :: v_dual_lshrrev_b32 v2, s15, v7
	v_mad_u32 v7, v4, s41, v8
	s_delay_alu instid0(VALU_DEP_4) | instskip(NEXT) | instid1(VALU_DEP_3)
	v_mad_u32 v3, v4, s40, v3
	v_mul_lo_u32 v6, v2, s13
	s_delay_alu instid0(VALU_DEP_1) | instskip(NEXT) | instid1(VALU_DEP_1)
	v_sub_nc_u32_e32 v4, v5, v6
	v_mad_u32 v8, v4, s43, v7
	s_delay_alu instid0(VALU_DEP_4)
	v_mad_u32 v6, v4, s42, v3
	s_cbranch_scc1 .LBB15_1085
; %bb.1086:
	s_delay_alu instid0(VALU_DEP_2)
	v_mov_b32_e32 v7, v8
	s_and_b32 s4, s1, 3
	s_mov_b32 s1, 0
	s_cmp_eq_u32 s4, 0
	s_cbranch_scc0 .LBB15_1090
	s_branch .LBB15_1093
.LBB15_1087:
	s_mov_b32 s6, -1
                                        ; implicit-def: $vgpr8
                                        ; implicit-def: $vgpr6
	s_branch .LBB15_1093
.LBB15_1088:
	s_wait_loadcnt 0x0
	v_dual_mov_b32 v8, 0 :: v_dual_mov_b32 v6, 0
	s_branch .LBB15_1093
.LBB15_1089:
	s_wait_loadcnt 0x0
	v_mov_b64_e32 v[6:7], 0
	v_mov_b32_e32 v2, v0
                                        ; implicit-def: $vgpr8
	s_and_b32 s4, s1, 3
	s_mov_b32 s1, 0
	s_cmp_eq_u32 s4, 0
	s_cbranch_scc1 .LBB15_1093
.LBB15_1090:
	s_lshl_b32 s2, s0, 3
	s_mov_b32 s3, s1
	s_mul_u64 s[10:11], s[0:1], 12
	s_add_nc_u64 s[2:3], s[16:17], s[2:3]
	s_delay_alu instid0(SALU_CYCLE_1)
	s_add_nc_u64 s[0:1], s[2:3], 0xc4
	s_add_nc_u64 s[2:3], s[16:17], s[10:11]
.LBB15_1091:                            ; =>This Inner Loop Header: Depth=1
	s_load_b96 s[12:14], s[2:3], 0x4
	s_load_b64 s[10:11], s[0:1], 0x0
	s_add_co_i32 s4, s4, -1
	s_wait_xcnt 0x0
	s_add_nc_u64 s[2:3], s[2:3], 12
	s_cmp_lg_u32 s4, 0
	s_add_nc_u64 s[0:1], s[0:1], 8
	s_wait_kmcnt 0x0
	v_mul_hi_u32 v3, s13, v2
	s_delay_alu instid0(VALU_DEP_1) | instskip(NEXT) | instid1(VALU_DEP_1)
	v_add_nc_u32_e32 v3, v2, v3
	v_lshrrev_b32_e32 v3, s14, v3
	s_delay_alu instid0(VALU_DEP_1) | instskip(NEXT) | instid1(VALU_DEP_1)
	v_mul_lo_u32 v4, v3, s12
	v_sub_nc_u32_e32 v2, v2, v4
	s_delay_alu instid0(VALU_DEP_1)
	v_mad_u32 v7, v2, s11, v7
	v_mad_u32 v6, v2, s10, v6
	v_mov_b32_e32 v2, v3
	s_cbranch_scc1 .LBB15_1091
; %bb.1092:
	s_delay_alu instid0(VALU_DEP_3)
	v_mov_b32_e32 v8, v7
.LBB15_1093:
	s_and_not1_b32 vcc_lo, exec_lo, s6
	s_cbranch_vccnz .LBB15_1096
; %bb.1094:
	s_clause 0x1
	s_load_b96 s[0:2], s[16:17], 0x4
	s_load_b64 s[4:5], s[16:17], 0xc4
	s_cmp_lt_u32 s33, 2
	s_wait_kmcnt 0x0
	v_mul_hi_u32 v2, s1, v0
	s_delay_alu instid0(VALU_DEP_1) | instskip(NEXT) | instid1(VALU_DEP_1)
	v_add_nc_u32_e32 v2, v0, v2
	v_lshrrev_b32_e32 v2, s2, v2
	s_delay_alu instid0(VALU_DEP_1) | instskip(NEXT) | instid1(VALU_DEP_1)
	v_mul_lo_u32 v3, v2, s0
	v_sub_nc_u32_e32 v3, v0, v3
	s_delay_alu instid0(VALU_DEP_1)
	v_mul_lo_u32 v8, v3, s5
	s_wait_loadcnt 0x0
	v_mul_lo_u32 v6, v3, s4
	s_cbranch_scc1 .LBB15_1096
; %bb.1095:
	s_clause 0x1
	s_load_b96 s[0:2], s[16:17], 0x10
	s_load_b64 s[4:5], s[16:17], 0xcc
	s_wait_kmcnt 0x0
	v_mul_hi_u32 v3, s1, v2
	s_delay_alu instid0(VALU_DEP_1) | instskip(NEXT) | instid1(VALU_DEP_1)
	v_add_nc_u32_e32 v3, v2, v3
	v_lshrrev_b32_e32 v3, s2, v3
	s_delay_alu instid0(VALU_DEP_1) | instskip(NEXT) | instid1(VALU_DEP_1)
	v_mul_lo_u32 v3, v3, s0
	v_sub_nc_u32_e32 v2, v2, v3
	s_delay_alu instid0(VALU_DEP_1)
	v_mad_u32 v6, v2, s4, v6
	v_mad_u32 v8, v2, s5, v8
.LBB15_1096:
	v_cmp_ne_u32_e32 vcc_lo, 1, v1
	v_add_nc_u32_e32 v2, 0x80, v0
	s_cbranch_vccnz .LBB15_1102
; %bb.1097:
	s_cmp_lg_u32 s33, 0
	s_mov_b32 s6, 0
	s_cbranch_scc0 .LBB15_1103
; %bb.1098:
	s_min_u32 s1, s34, 15
	s_delay_alu instid0(SALU_CYCLE_1)
	s_add_co_i32 s1, s1, 1
	s_cmp_eq_u32 s34, 2
	s_cbranch_scc1 .LBB15_1104
; %bb.1099:
	v_dual_mov_b32 v4, 0 :: v_dual_mov_b32 v10, 0
	v_mov_b32_e32 v3, v2
	s_and_b32 s0, s1, 28
	s_add_nc_u64 s[2:3], s[16:17], 0xc4
	s_mov_b32 s7, 0
	s_mov_b64 s[4:5], s[16:17]
.LBB15_1100:                            ; =>This Inner Loop Header: Depth=1
	s_clause 0x1
	s_load_b256 s[20:27], s[4:5], 0x4
	s_load_b128 s[12:15], s[4:5], 0x24
	s_load_b256 s[36:43], s[2:3], 0x0
	s_add_co_i32 s7, s7, 4
	s_wait_xcnt 0x0
	s_add_nc_u64 s[4:5], s[4:5], 48
	s_cmp_lg_u32 s0, s7
	s_add_nc_u64 s[2:3], s[2:3], 32
	s_wait_kmcnt 0x0
	v_mul_hi_u32 v5, s21, v3
	s_delay_alu instid0(VALU_DEP_1) | instskip(NEXT) | instid1(VALU_DEP_1)
	v_add_nc_u32_e32 v5, v3, v5
	v_lshrrev_b32_e32 v5, s22, v5
	s_wait_loadcnt 0x0
	s_delay_alu instid0(VALU_DEP_1) | instskip(NEXT) | instid1(VALU_DEP_1)
	v_mul_hi_u32 v7, s24, v5
	v_add_nc_u32_e32 v7, v5, v7
	s_delay_alu instid0(VALU_DEP_1) | instskip(NEXT) | instid1(VALU_DEP_1)
	v_lshrrev_b32_e32 v7, s25, v7
	v_mul_hi_u32 v11, s27, v7
	s_delay_alu instid0(VALU_DEP_1) | instskip(SKIP_1) | instid1(VALU_DEP_1)
	v_add_nc_u32_e32 v11, v7, v11
	v_mul_lo_u32 v12, v5, s20
	v_sub_nc_u32_e32 v3, v3, v12
	v_mul_lo_u32 v12, v7, s23
	s_delay_alu instid0(VALU_DEP_4) | instskip(NEXT) | instid1(VALU_DEP_3)
	v_lshrrev_b32_e32 v11, s12, v11
	v_mad_u32 v10, v3, s37, v10
	v_mad_u32 v3, v3, s36, v4
	s_delay_alu instid0(VALU_DEP_4) | instskip(NEXT) | instid1(VALU_DEP_4)
	v_sub_nc_u32_e32 v4, v5, v12
	v_mul_hi_u32 v13, s14, v11
	v_mul_lo_u32 v5, v11, s26
	s_delay_alu instid0(VALU_DEP_3) | instskip(SKIP_1) | instid1(VALU_DEP_4)
	v_mad_u32 v10, v4, s39, v10
	v_mad_u32 v4, v4, s38, v3
	v_add_nc_u32_e32 v12, v11, v13
	s_delay_alu instid0(VALU_DEP_1) | instskip(NEXT) | instid1(VALU_DEP_1)
	v_dual_sub_nc_u32 v5, v7, v5 :: v_dual_lshrrev_b32 v3, s15, v12
	v_mad_u32 v10, v5, s41, v10
	s_delay_alu instid0(VALU_DEP_4) | instskip(NEXT) | instid1(VALU_DEP_3)
	v_mad_u32 v4, v5, s40, v4
	v_mul_lo_u32 v7, v3, s13
	s_delay_alu instid0(VALU_DEP_1) | instskip(NEXT) | instid1(VALU_DEP_1)
	v_sub_nc_u32_e32 v5, v11, v7
	v_mad_u32 v10, v5, s43, v10
	s_delay_alu instid0(VALU_DEP_4)
	v_mad_u32 v4, v5, s42, v4
	s_cbranch_scc1 .LBB15_1100
; %bb.1101:
	s_delay_alu instid0(VALU_DEP_2)
	v_mov_b32_e32 v5, v10
	s_and_b32 s4, s1, 3
	s_mov_b32 s1, 0
	s_cmp_eq_u32 s4, 0
	s_cbranch_scc0 .LBB15_1105
	s_branch .LBB15_1108
.LBB15_1102:
	s_mov_b32 s6, -1
                                        ; implicit-def: $vgpr10
                                        ; implicit-def: $vgpr4
	s_branch .LBB15_1108
.LBB15_1103:
	v_dual_mov_b32 v10, 0 :: v_dual_mov_b32 v4, 0
	s_branch .LBB15_1108
.LBB15_1104:
	v_mov_b64_e32 v[4:5], 0
	v_mov_b32_e32 v3, v2
	s_mov_b32 s0, 0
                                        ; implicit-def: $vgpr10
	s_and_b32 s4, s1, 3
	s_mov_b32 s1, 0
	s_cmp_eq_u32 s4, 0
	s_cbranch_scc1 .LBB15_1108
.LBB15_1105:
	s_lshl_b32 s2, s0, 3
	s_mov_b32 s3, s1
	s_mul_u64 s[10:11], s[0:1], 12
	s_add_nc_u64 s[2:3], s[16:17], s[2:3]
	s_delay_alu instid0(SALU_CYCLE_1)
	s_add_nc_u64 s[0:1], s[2:3], 0xc4
	s_add_nc_u64 s[2:3], s[16:17], s[10:11]
.LBB15_1106:                            ; =>This Inner Loop Header: Depth=1
	s_load_b96 s[12:14], s[2:3], 0x4
	s_load_b64 s[10:11], s[0:1], 0x0
	s_add_co_i32 s4, s4, -1
	s_wait_xcnt 0x0
	s_add_nc_u64 s[2:3], s[2:3], 12
	s_cmp_lg_u32 s4, 0
	s_add_nc_u64 s[0:1], s[0:1], 8
	s_wait_loadcnt 0x0
	s_wait_kmcnt 0x0
	v_mul_hi_u32 v7, s13, v3
	s_delay_alu instid0(VALU_DEP_1) | instskip(NEXT) | instid1(VALU_DEP_1)
	v_add_nc_u32_e32 v7, v3, v7
	v_lshrrev_b32_e32 v7, s14, v7
	s_delay_alu instid0(VALU_DEP_1) | instskip(NEXT) | instid1(VALU_DEP_1)
	v_mul_lo_u32 v10, v7, s12
	v_sub_nc_u32_e32 v3, v3, v10
	s_delay_alu instid0(VALU_DEP_1)
	v_mad_u32 v5, v3, s11, v5
	v_mad_u32 v4, v3, s10, v4
	v_mov_b32_e32 v3, v7
	s_cbranch_scc1 .LBB15_1106
; %bb.1107:
	s_delay_alu instid0(VALU_DEP_3)
	v_mov_b32_e32 v10, v5
.LBB15_1108:
	s_and_not1_b32 vcc_lo, exec_lo, s6
	s_cbranch_vccnz .LBB15_1111
; %bb.1109:
	s_clause 0x1
	s_load_b96 s[0:2], s[16:17], 0x4
	s_load_b64 s[4:5], s[16:17], 0xc4
	s_cmp_lt_u32 s33, 2
	s_wait_kmcnt 0x0
	v_mul_hi_u32 v3, s1, v2
	s_delay_alu instid0(VALU_DEP_1) | instskip(NEXT) | instid1(VALU_DEP_1)
	v_add_nc_u32_e32 v3, v2, v3
	v_lshrrev_b32_e32 v3, s2, v3
	s_delay_alu instid0(VALU_DEP_1) | instskip(NEXT) | instid1(VALU_DEP_1)
	v_mul_lo_u32 v4, v3, s0
	v_sub_nc_u32_e32 v2, v2, v4
	s_delay_alu instid0(VALU_DEP_1)
	v_mul_lo_u32 v10, v2, s5
	v_mul_lo_u32 v4, v2, s4
	s_cbranch_scc1 .LBB15_1111
; %bb.1110:
	s_clause 0x1
	s_load_b96 s[0:2], s[16:17], 0x10
	s_load_b64 s[4:5], s[16:17], 0xcc
	s_wait_kmcnt 0x0
	v_mul_hi_u32 v2, s1, v3
	s_delay_alu instid0(VALU_DEP_1) | instskip(NEXT) | instid1(VALU_DEP_1)
	v_add_nc_u32_e32 v2, v3, v2
	v_lshrrev_b32_e32 v2, s2, v2
	s_delay_alu instid0(VALU_DEP_1) | instskip(NEXT) | instid1(VALU_DEP_1)
	v_mul_lo_u32 v2, v2, s0
	v_sub_nc_u32_e32 v2, v3, v2
	s_delay_alu instid0(VALU_DEP_1)
	v_mad_u32 v4, v2, s4, v4
	v_mad_u32 v10, v2, s5, v10
.LBB15_1111:
	v_cmp_ne_u32_e32 vcc_lo, 1, v1
	v_add_nc_u32_e32 v0, 0x100, v0
	s_cbranch_vccnz .LBB15_1117
; %bb.1112:
	s_cmp_lg_u32 s33, 0
	s_mov_b32 s6, 0
	s_cbranch_scc0 .LBB15_1118
; %bb.1113:
	s_min_u32 s1, s34, 15
	s_delay_alu instid0(SALU_CYCLE_1)
	s_add_co_i32 s1, s1, 1
	s_cmp_eq_u32 s34, 2
	s_cbranch_scc1 .LBB15_1119
; %bb.1114:
	v_dual_mov_b32 v2, 0 :: v_dual_mov_b32 v12, 0
	v_mov_b32_e32 v5, v0
	s_and_b32 s0, s1, 28
	s_add_nc_u64 s[2:3], s[16:17], 0xc4
	s_mov_b32 s7, 0
	s_mov_b64 s[4:5], s[16:17]
.LBB15_1115:                            ; =>This Inner Loop Header: Depth=1
	s_clause 0x1
	s_load_b256 s[20:27], s[4:5], 0x4
	s_load_b128 s[12:15], s[4:5], 0x24
	s_load_b256 s[36:43], s[2:3], 0x0
	s_add_co_i32 s7, s7, 4
	s_wait_xcnt 0x0
	s_add_nc_u64 s[4:5], s[4:5], 48
	s_cmp_lg_u32 s0, s7
	s_add_nc_u64 s[2:3], s[2:3], 32
	s_wait_kmcnt 0x0
	v_mul_hi_u32 v3, s21, v5
	s_delay_alu instid0(VALU_DEP_1) | instskip(NEXT) | instid1(VALU_DEP_1)
	v_add_nc_u32_e32 v3, v5, v3
	v_lshrrev_b32_e32 v3, s22, v3
	s_wait_loadcnt 0x0
	s_delay_alu instid0(VALU_DEP_1) | instskip(SKIP_1) | instid1(VALU_DEP_1)
	v_mul_hi_u32 v7, s24, v3
	v_mul_lo_u32 v13, v3, s20
	v_dual_add_nc_u32 v7, v3, v7 :: v_dual_sub_nc_u32 v5, v5, v13
	s_delay_alu instid0(VALU_DEP_1) | instskip(NEXT) | instid1(VALU_DEP_2)
	v_lshrrev_b32_e32 v7, s25, v7
	v_mad_u32 v12, v5, s37, v12
	v_mad_u32 v2, v5, s36, v2
	s_delay_alu instid0(VALU_DEP_3) | instskip(NEXT) | instid1(VALU_DEP_1)
	v_mul_hi_u32 v11, s27, v7
	v_add_nc_u32_e32 v11, v7, v11
	s_delay_alu instid0(VALU_DEP_1) | instskip(NEXT) | instid1(VALU_DEP_1)
	v_lshrrev_b32_e32 v11, s12, v11
	v_mul_hi_u32 v14, s14, v11
	s_delay_alu instid0(VALU_DEP_1) | instskip(NEXT) | instid1(VALU_DEP_1)
	v_add_nc_u32_e32 v5, v11, v14
	v_lshrrev_b32_e32 v5, s15, v5
	v_mul_lo_u32 v13, v7, s23
	s_delay_alu instid0(VALU_DEP_1) | instskip(SKIP_1) | instid1(VALU_DEP_2)
	v_sub_nc_u32_e32 v3, v3, v13
	v_mul_lo_u32 v13, v11, s26
	v_mad_u32 v12, v3, s39, v12
	v_mad_u32 v2, v3, s38, v2
	s_delay_alu instid0(VALU_DEP_3) | instskip(SKIP_1) | instid1(VALU_DEP_2)
	v_sub_nc_u32_e32 v3, v7, v13
	v_mul_lo_u32 v7, v5, s13
	v_mad_u32 v12, v3, s41, v12
	s_delay_alu instid0(VALU_DEP_4) | instskip(NEXT) | instid1(VALU_DEP_3)
	v_mad_u32 v2, v3, s40, v2
	v_sub_nc_u32_e32 v3, v11, v7
	s_delay_alu instid0(VALU_DEP_1) | instskip(NEXT) | instid1(VALU_DEP_3)
	v_mad_u32 v12, v3, s43, v12
	v_mad_u32 v2, v3, s42, v2
	s_cbranch_scc1 .LBB15_1115
; %bb.1116:
	s_delay_alu instid0(VALU_DEP_2)
	v_mov_b32_e32 v3, v12
	s_and_b32 s4, s1, 3
	s_mov_b32 s1, 0
	s_cmp_eq_u32 s4, 0
	s_cbranch_scc0 .LBB15_1120
	s_branch .LBB15_1123
.LBB15_1117:
	s_mov_b32 s6, -1
                                        ; implicit-def: $vgpr12
                                        ; implicit-def: $vgpr2
	s_branch .LBB15_1123
.LBB15_1118:
	v_dual_mov_b32 v12, 0 :: v_dual_mov_b32 v2, 0
	s_branch .LBB15_1123
.LBB15_1119:
	v_mov_b64_e32 v[2:3], 0
	v_mov_b32_e32 v5, v0
	s_mov_b32 s0, 0
                                        ; implicit-def: $vgpr12
	s_and_b32 s4, s1, 3
	s_mov_b32 s1, 0
	s_cmp_eq_u32 s4, 0
	s_cbranch_scc1 .LBB15_1123
.LBB15_1120:
	s_lshl_b32 s2, s0, 3
	s_mov_b32 s3, s1
	s_mul_u64 s[10:11], s[0:1], 12
	s_add_nc_u64 s[2:3], s[16:17], s[2:3]
	s_delay_alu instid0(SALU_CYCLE_1)
	s_add_nc_u64 s[0:1], s[2:3], 0xc4
	s_add_nc_u64 s[2:3], s[16:17], s[10:11]
.LBB15_1121:                            ; =>This Inner Loop Header: Depth=1
	s_load_b96 s[12:14], s[2:3], 0x4
	s_load_b64 s[10:11], s[0:1], 0x0
	s_add_co_i32 s4, s4, -1
	s_wait_xcnt 0x0
	s_add_nc_u64 s[2:3], s[2:3], 12
	s_cmp_lg_u32 s4, 0
	s_add_nc_u64 s[0:1], s[0:1], 8
	s_wait_loadcnt 0x0
	s_wait_kmcnt 0x0
	v_mul_hi_u32 v7, s13, v5
	s_delay_alu instid0(VALU_DEP_1) | instskip(NEXT) | instid1(VALU_DEP_1)
	v_add_nc_u32_e32 v7, v5, v7
	v_lshrrev_b32_e32 v7, s14, v7
	s_delay_alu instid0(VALU_DEP_1) | instskip(NEXT) | instid1(VALU_DEP_1)
	v_mul_lo_u32 v11, v7, s12
	v_sub_nc_u32_e32 v5, v5, v11
	s_delay_alu instid0(VALU_DEP_1)
	v_mad_u32 v3, v5, s11, v3
	v_mad_u32 v2, v5, s10, v2
	v_mov_b32_e32 v5, v7
	s_cbranch_scc1 .LBB15_1121
; %bb.1122:
	s_delay_alu instid0(VALU_DEP_3)
	v_mov_b32_e32 v12, v3
.LBB15_1123:
	s_and_not1_b32 vcc_lo, exec_lo, s6
	s_cbranch_vccnz .LBB15_1126
; %bb.1124:
	s_clause 0x1
	s_load_b96 s[0:2], s[16:17], 0x4
	s_load_b64 s[4:5], s[16:17], 0xc4
	s_cmp_lt_u32 s33, 2
	s_wait_kmcnt 0x0
	v_mul_hi_u32 v2, s1, v0
	s_delay_alu instid0(VALU_DEP_1) | instskip(NEXT) | instid1(VALU_DEP_1)
	v_add_nc_u32_e32 v2, v0, v2
	v_lshrrev_b32_e32 v3, s2, v2
	s_delay_alu instid0(VALU_DEP_1) | instskip(NEXT) | instid1(VALU_DEP_1)
	v_mul_lo_u32 v2, v3, s0
	v_sub_nc_u32_e32 v0, v0, v2
	s_delay_alu instid0(VALU_DEP_1)
	v_mul_lo_u32 v12, v0, s5
	v_mul_lo_u32 v2, v0, s4
	s_cbranch_scc1 .LBB15_1126
; %bb.1125:
	s_clause 0x1
	s_load_b96 s[0:2], s[16:17], 0x10
	s_load_b64 s[4:5], s[16:17], 0xcc
	s_wait_kmcnt 0x0
	v_mul_hi_u32 v0, s1, v3
	s_delay_alu instid0(VALU_DEP_1) | instskip(NEXT) | instid1(VALU_DEP_1)
	v_add_nc_u32_e32 v0, v3, v0
	v_lshrrev_b32_e32 v0, s2, v0
	s_delay_alu instid0(VALU_DEP_1) | instskip(NEXT) | instid1(VALU_DEP_1)
	v_mul_lo_u32 v0, v0, s0
	v_sub_nc_u32_e32 v0, v3, v0
	s_delay_alu instid0(VALU_DEP_1)
	v_mad_u32 v2, v0, s4, v2
	v_mad_u32 v12, v0, s5, v12
.LBB15_1126:
	v_cmp_ne_u32_e32 vcc_lo, 1, v1
	s_cbranch_vccnz .LBB15_1132
; %bb.1127:
	s_cmp_lg_u32 s33, 0
	s_mov_b32 s6, 0
	s_cbranch_scc0 .LBB15_1133
; %bb.1128:
	s_min_u32 s1, s34, 15
	s_delay_alu instid0(SALU_CYCLE_1)
	s_add_co_i32 s1, s1, 1
	s_cmp_eq_u32 s34, 2
	s_cbranch_scc1 .LBB15_1134
; %bb.1129:
	v_dual_mov_b32 v0, 0 :: v_dual_mov_b32 v14, 0
	v_mov_b32_e32 v3, v9
	s_and_b32 s0, s1, 28
	s_add_nc_u64 s[2:3], s[16:17], 0xc4
	s_mov_b32 s7, 0
	s_mov_b64 s[4:5], s[16:17]
.LBB15_1130:                            ; =>This Inner Loop Header: Depth=1
	s_clause 0x1
	s_load_b256 s[20:27], s[4:5], 0x4
	s_load_b128 s[12:15], s[4:5], 0x24
	s_load_b256 s[36:43], s[2:3], 0x0
	s_add_co_i32 s7, s7, 4
	s_wait_xcnt 0x0
	s_add_nc_u64 s[4:5], s[4:5], 48
	s_cmp_lg_u32 s0, s7
	s_add_nc_u64 s[2:3], s[2:3], 32
	s_wait_kmcnt 0x0
	v_mul_hi_u32 v1, s21, v3
	s_delay_alu instid0(VALU_DEP_1) | instskip(NEXT) | instid1(VALU_DEP_1)
	v_add_nc_u32_e32 v1, v3, v1
	v_lshrrev_b32_e32 v1, s22, v1
	s_delay_alu instid0(VALU_DEP_1) | instskip(NEXT) | instid1(VALU_DEP_1)
	v_mul_lo_u32 v11, v1, s20
	v_sub_nc_u32_e32 v3, v3, v11
	v_mul_hi_u32 v5, s24, v1
	s_delay_alu instid0(VALU_DEP_2) | instskip(SKIP_1) | instid1(VALU_DEP_3)
	v_mad_u32 v14, v3, s37, v14
	v_mad_u32 v0, v3, s36, v0
	v_add_nc_u32_e32 v5, v1, v5
	s_delay_alu instid0(VALU_DEP_1) | instskip(NEXT) | instid1(VALU_DEP_1)
	v_lshrrev_b32_e32 v5, s25, v5
	v_mul_lo_u32 v11, v5, s23
	s_delay_alu instid0(VALU_DEP_1) | instskip(SKIP_2) | instid1(VALU_DEP_2)
	v_sub_nc_u32_e32 v1, v1, v11
	s_wait_loadcnt 0x0
	v_mul_hi_u32 v7, s27, v5
	v_mad_u32 v0, v1, s38, v0
	s_delay_alu instid0(VALU_DEP_2) | instskip(NEXT) | instid1(VALU_DEP_1)
	v_add_nc_u32_e32 v7, v5, v7
	v_lshrrev_b32_e32 v7, s12, v7
	s_delay_alu instid0(VALU_DEP_1) | instskip(SKIP_1) | instid1(VALU_DEP_2)
	v_mul_hi_u32 v13, s14, v7
	v_mul_lo_u32 v11, v7, s26
	v_add_nc_u32_e32 v3, v7, v13
	v_mad_u32 v13, v1, s39, v14
	s_delay_alu instid0(VALU_DEP_3) | instskip(NEXT) | instid1(VALU_DEP_3)
	v_sub_nc_u32_e32 v1, v5, v11
	v_lshrrev_b32_e32 v3, s15, v3
	s_delay_alu instid0(VALU_DEP_2) | instskip(NEXT) | instid1(VALU_DEP_2)
	v_mad_u32 v0, v1, s40, v0
	v_mul_lo_u32 v5, v3, s13
	v_mad_u32 v11, v1, s41, v13
	s_delay_alu instid0(VALU_DEP_2) | instskip(NEXT) | instid1(VALU_DEP_1)
	v_sub_nc_u32_e32 v1, v7, v5
	v_mad_u32 v14, v1, s43, v11
	v_mad_u32 v0, v1, s42, v0
	s_cbranch_scc1 .LBB15_1130
; %bb.1131:
	s_delay_alu instid0(VALU_DEP_2)
	v_mov_b32_e32 v1, v14
	s_and_b32 s4, s1, 3
	s_mov_b32 s1, 0
	s_cmp_eq_u32 s4, 0
	s_cbranch_scc0 .LBB15_1135
	s_branch .LBB15_1138
.LBB15_1132:
	s_mov_b32 s6, -1
                                        ; implicit-def: $vgpr14
                                        ; implicit-def: $vgpr0
	s_branch .LBB15_1138
.LBB15_1133:
	v_dual_mov_b32 v14, 0 :: v_dual_mov_b32 v0, 0
	s_branch .LBB15_1138
.LBB15_1134:
	v_mov_b64_e32 v[0:1], 0
	v_mov_b32_e32 v3, v9
	s_mov_b32 s0, 0
                                        ; implicit-def: $vgpr14
	s_and_b32 s4, s1, 3
	s_mov_b32 s1, 0
	s_cmp_eq_u32 s4, 0
	s_cbranch_scc1 .LBB15_1138
.LBB15_1135:
	s_lshl_b32 s2, s0, 3
	s_mov_b32 s3, s1
	s_mul_u64 s[10:11], s[0:1], 12
	s_add_nc_u64 s[2:3], s[16:17], s[2:3]
	s_delay_alu instid0(SALU_CYCLE_1)
	s_add_nc_u64 s[0:1], s[2:3], 0xc4
	s_add_nc_u64 s[2:3], s[16:17], s[10:11]
.LBB15_1136:                            ; =>This Inner Loop Header: Depth=1
	s_load_b96 s[12:14], s[2:3], 0x4
	s_load_b64 s[10:11], s[0:1], 0x0
	s_add_co_i32 s4, s4, -1
	s_wait_xcnt 0x0
	s_add_nc_u64 s[2:3], s[2:3], 12
	s_cmp_lg_u32 s4, 0
	s_add_nc_u64 s[0:1], s[0:1], 8
	s_wait_kmcnt 0x0
	v_mul_hi_u32 v5, s13, v3
	s_delay_alu instid0(VALU_DEP_1) | instskip(NEXT) | instid1(VALU_DEP_1)
	v_add_nc_u32_e32 v5, v3, v5
	v_lshrrev_b32_e32 v5, s14, v5
	s_wait_loadcnt 0x0
	s_delay_alu instid0(VALU_DEP_1) | instskip(NEXT) | instid1(VALU_DEP_1)
	v_mul_lo_u32 v7, v5, s12
	v_sub_nc_u32_e32 v3, v3, v7
	s_delay_alu instid0(VALU_DEP_1)
	v_mad_u32 v1, v3, s11, v1
	v_mad_u32 v0, v3, s10, v0
	v_mov_b32_e32 v3, v5
	s_cbranch_scc1 .LBB15_1136
; %bb.1137:
	s_delay_alu instid0(VALU_DEP_3)
	v_mov_b32_e32 v14, v1
.LBB15_1138:
	s_and_not1_b32 vcc_lo, exec_lo, s6
	s_cbranch_vccnz .LBB15_1141
; %bb.1139:
	s_clause 0x1
	s_load_b96 s[0:2], s[16:17], 0x4
	s_load_b64 s[4:5], s[16:17], 0xc4
	s_cmp_lt_u32 s33, 2
	s_wait_kmcnt 0x0
	v_mul_hi_u32 v0, s1, v9
	s_delay_alu instid0(VALU_DEP_1) | instskip(NEXT) | instid1(VALU_DEP_1)
	v_add_nc_u32_e32 v0, v9, v0
	v_lshrrev_b32_e32 v1, s2, v0
	s_delay_alu instid0(VALU_DEP_1) | instskip(NEXT) | instid1(VALU_DEP_1)
	v_mul_lo_u32 v0, v1, s0
	v_sub_nc_u32_e32 v0, v9, v0
	s_delay_alu instid0(VALU_DEP_1)
	v_mul_lo_u32 v14, v0, s5
	v_mul_lo_u32 v0, v0, s4
	s_cbranch_scc1 .LBB15_1141
; %bb.1140:
	s_clause 0x1
	s_load_b96 s[0:2], s[16:17], 0x10
	s_load_b64 s[4:5], s[16:17], 0xcc
	s_wait_kmcnt 0x0
	v_mul_hi_u32 v3, s1, v1
	s_delay_alu instid0(VALU_DEP_1) | instskip(NEXT) | instid1(VALU_DEP_1)
	v_add_nc_u32_e32 v3, v1, v3
	v_lshrrev_b32_e32 v3, s2, v3
	s_delay_alu instid0(VALU_DEP_1) | instskip(NEXT) | instid1(VALU_DEP_1)
	v_mul_lo_u32 v3, v3, s0
	v_sub_nc_u32_e32 v1, v1, v3
	s_delay_alu instid0(VALU_DEP_1)
	v_mad_u32 v0, v1, s4, v0
	v_mad_u32 v14, v1, s5, v14
.LBB15_1141:
	v_mov_b32_e32 v9, 0
	s_load_b128 s[4:7], s[16:17], 0x148
	global_load_u8 v1, v9, s[16:17] offset:353
	s_wait_kmcnt 0x0
	v_add_nc_u64_e32 v[16:17], s[6:7], v[8:9]
	s_wait_loadcnt 0x0
	v_and_b32_e32 v3, 0xffff, v1
	v_readfirstlane_b32 s0, v1
	s_delay_alu instid0(VALU_DEP_2)
	v_cmp_gt_i32_e32 vcc_lo, 11, v3
	s_cbranch_vccnz .LBB15_1148
; %bb.1142:
	s_and_b32 s1, 0xffff, s0
	s_mov_b32 s3, 0
	s_cmp_gt_i32 s1, 25
	s_cbranch_scc0 .LBB15_1150
; %bb.1143:
	s_cmp_gt_i32 s1, 28
	s_cbranch_scc0 .LBB15_1151
; %bb.1144:
	;; [unrolled: 3-line block ×4, first 2 shown]
	s_cmp_eq_u32 s1, 46
	s_mov_b32 s11, 0
	s_cbranch_scc0 .LBB15_1156
; %bb.1147:
	global_load_b32 v1, v[16:17], off
	s_mov_b32 s2, 0
	s_mov_b32 s10, -1
	s_wait_loadcnt 0x0
	v_lshlrev_b32_e32 v1, 16, v1
	s_delay_alu instid0(VALU_DEP_1) | instskip(NEXT) | instid1(VALU_DEP_1)
	v_trunc_f32_e32 v1, v1
	v_mul_f32_e64 v3, 0x2f800000, |v1|
	s_delay_alu instid0(VALU_DEP_1) | instskip(NEXT) | instid1(VALU_DEP_1)
	v_floor_f32_e32 v3, v3
	v_fma_f32 v3, 0xcf800000, v3, |v1|
	v_ashrrev_i32_e32 v1, 31, v1
	s_delay_alu instid0(VALU_DEP_2) | instskip(NEXT) | instid1(VALU_DEP_1)
	v_cvt_u32_f32_e32 v3, v3
	v_xor_b32_e32 v3, v3, v1
	s_delay_alu instid0(VALU_DEP_1)
	v_sub_nc_u32_e32 v8, v3, v1
	s_branch .LBB15_1158
.LBB15_1148:
	s_mov_b32 s10, 0
	s_mov_b32 s1, s8
                                        ; implicit-def: $vgpr8
	s_cbranch_execnz .LBB15_1216
.LBB15_1149:
	s_and_not1_b32 vcc_lo, exec_lo, s10
	s_cbranch_vccz .LBB15_1261
	s_branch .LBB15_2072
.LBB15_1150:
	s_mov_b32 s10, 0
	s_mov_b32 s2, 0
                                        ; implicit-def: $vgpr8
	s_cbranch_execnz .LBB15_1183
	s_branch .LBB15_1212
.LBB15_1151:
	s_mov_b32 s10, 0
	s_mov_b32 s2, 0
                                        ; implicit-def: $vgpr8
	s_cbranch_execz .LBB15_1182
	s_branch .LBB15_1167
.LBB15_1152:
	s_mov_b32 s10, 0
	s_mov_b32 s2, 0
                                        ; implicit-def: $vgpr8
	s_cbranch_execnz .LBB15_1163
	s_branch .LBB15_1166
.LBB15_1153:
	s_mov_b32 s11, -1
	s_mov_b32 s10, 0
	s_mov_b32 s2, 0
	s_branch .LBB15_1157
.LBB15_1154:
	s_and_not1_saveexec_b32 s5, s5
	s_cbranch_execz .LBB15_993
.LBB15_1155:
	v_add_f32_e32 v2, 0x46000000, v3
	s_and_not1_b32 s4, s4, exec_lo
	s_delay_alu instid0(VALU_DEP_1) | instskip(NEXT) | instid1(VALU_DEP_1)
	v_and_b32_e32 v2, 0xff, v2
	v_cmp_ne_u32_e32 vcc_lo, 0, v2
	s_and_b32 s9, vcc_lo, exec_lo
	s_delay_alu instid0(SALU_CYCLE_1)
	s_or_b32 s4, s4, s9
	s_or_b32 exec_lo, exec_lo, s5
	v_mov_b32_e32 v4, 0
	s_and_saveexec_b32 s5, s4
	s_cbranch_execnz .LBB15_994
	s_branch .LBB15_995
.LBB15_1156:
	s_mov_b32 s2, -1
	s_mov_b32 s10, 0
.LBB15_1157:
                                        ; implicit-def: $vgpr8
.LBB15_1158:
	s_and_b32 vcc_lo, exec_lo, s11
	s_cbranch_vccz .LBB15_1161
; %bb.1159:
	s_cmp_eq_u32 s1, 44
	s_cbranch_scc0 .LBB15_1162
; %bb.1160:
	global_load_u8 v1, v[16:17], off
	s_mov_b32 s2, 0
	s_mov_b32 s10, -1
	s_wait_loadcnt 0x0
	v_lshlrev_b32_e32 v3, 23, v1
	v_cmp_ne_u32_e32 vcc_lo, 0, v1
	s_delay_alu instid0(VALU_DEP_2) | instskip(NEXT) | instid1(VALU_DEP_1)
	v_trunc_f32_e32 v3, v3
	v_mul_f32_e64 v5, 0x2f800000, |v3|
	s_delay_alu instid0(VALU_DEP_1) | instskip(NEXT) | instid1(VALU_DEP_1)
	v_floor_f32_e32 v5, v5
	v_fma_f32 v5, 0xcf800000, v5, |v3|
	v_ashrrev_i32_e32 v3, 31, v3
	s_delay_alu instid0(VALU_DEP_2) | instskip(NEXT) | instid1(VALU_DEP_1)
	v_cvt_u32_f32_e32 v5, v5
	v_xor_b32_e32 v5, v5, v3
	s_delay_alu instid0(VALU_DEP_1) | instskip(NEXT) | instid1(VALU_DEP_1)
	v_sub_nc_u32_e32 v3, v5, v3
	v_cndmask_b32_e32 v8, 0, v3, vcc_lo
.LBB15_1161:
	s_branch .LBB15_1166
.LBB15_1162:
	s_mov_b32 s2, -1
                                        ; implicit-def: $vgpr8
	s_branch .LBB15_1166
.LBB15_1163:
	s_cmp_eq_u32 s1, 29
	s_cbranch_scc0 .LBB15_1165
; %bb.1164:
	global_load_b64 v[8:9], v[16:17], off
	s_mov_b32 s2, 0
	s_mov_b32 s10, -1
	s_branch .LBB15_1166
.LBB15_1165:
	s_mov_b32 s2, -1
                                        ; implicit-def: $vgpr8
.LBB15_1166:
	s_branch .LBB15_1182
.LBB15_1167:
	s_cmp_lt_i32 s1, 27
	s_cbranch_scc1 .LBB15_1170
; %bb.1168:
	s_cmp_gt_i32 s1, 27
	s_cbranch_scc0 .LBB15_1171
; %bb.1169:
	s_wait_loadcnt 0x0
	global_load_b32 v8, v[16:17], off
	s_mov_b32 s10, 0
	s_branch .LBB15_1172
.LBB15_1170:
	s_mov_b32 s10, -1
                                        ; implicit-def: $vgpr8
	s_branch .LBB15_1175
.LBB15_1171:
	s_mov_b32 s10, -1
                                        ; implicit-def: $vgpr8
.LBB15_1172:
	s_delay_alu instid0(SALU_CYCLE_1)
	s_and_not1_b32 vcc_lo, exec_lo, s10
	s_cbranch_vccnz .LBB15_1174
; %bb.1173:
	s_wait_loadcnt 0x0
	global_load_u16 v8, v[16:17], off
.LBB15_1174:
	s_mov_b32 s10, 0
.LBB15_1175:
	s_delay_alu instid0(SALU_CYCLE_1)
	s_and_not1_b32 vcc_lo, exec_lo, s10
	s_cbranch_vccnz .LBB15_1181
; %bb.1176:
	global_load_u8 v1, v[16:17], off
	s_mov_b32 s11, 0
	s_mov_b32 s10, exec_lo
	s_wait_loadcnt 0x0
	v_cmpx_lt_i16_e32 0x7f, v1
	s_xor_b32 s10, exec_lo, s10
	s_cbranch_execz .LBB15_1192
; %bb.1177:
	v_cmp_ne_u16_e32 vcc_lo, 0x80, v1
	s_and_b32 s11, vcc_lo, exec_lo
	s_and_not1_saveexec_b32 s10, s10
	s_cbranch_execnz .LBB15_1193
.LBB15_1178:
	s_or_b32 exec_lo, exec_lo, s10
	v_mov_b32_e32 v8, 0
	s_and_saveexec_b32 s10, s11
	s_cbranch_execz .LBB15_1180
.LBB15_1179:
	v_and_b32_e32 v3, 0xffff, v1
	s_delay_alu instid0(VALU_DEP_1) | instskip(SKIP_1) | instid1(VALU_DEP_2)
	v_dual_lshlrev_b32 v1, 24, v1 :: v_dual_bitop2_b32 v5, 7, v3 bitop3:0x40
	v_bfe_u32 v9, v3, 3, 4
	v_and_b32_e32 v1, 0x80000000, v1
	s_delay_alu instid0(VALU_DEP_3) | instskip(NEXT) | instid1(VALU_DEP_3)
	v_clz_i32_u32_e32 v7, v5
	v_cmp_eq_u32_e32 vcc_lo, 0, v9
	s_delay_alu instid0(VALU_DEP_2) | instskip(NEXT) | instid1(VALU_DEP_1)
	v_min_u32_e32 v7, 32, v7
	v_subrev_nc_u32_e32 v8, 28, v7
	v_sub_nc_u32_e32 v7, 29, v7
	s_delay_alu instid0(VALU_DEP_2) | instskip(NEXT) | instid1(VALU_DEP_2)
	v_lshlrev_b32_e32 v3, v8, v3
	v_cndmask_b32_e32 v7, v9, v7, vcc_lo
	s_delay_alu instid0(VALU_DEP_2) | instskip(NEXT) | instid1(VALU_DEP_1)
	v_and_b32_e32 v3, 7, v3
	v_cndmask_b32_e32 v3, v5, v3, vcc_lo
	s_delay_alu instid0(VALU_DEP_3) | instskip(NEXT) | instid1(VALU_DEP_2)
	v_lshl_add_u32 v5, v7, 23, 0x3b800000
	v_lshlrev_b32_e32 v3, 20, v3
	s_delay_alu instid0(VALU_DEP_1) | instskip(NEXT) | instid1(VALU_DEP_1)
	v_or3_b32 v1, v1, v5, v3
	v_trunc_f32_e32 v1, v1
	s_delay_alu instid0(VALU_DEP_1) | instskip(NEXT) | instid1(VALU_DEP_1)
	v_mul_f32_e64 v3, 0x2f800000, |v1|
	v_floor_f32_e32 v3, v3
	s_delay_alu instid0(VALU_DEP_1) | instskip(SKIP_1) | instid1(VALU_DEP_2)
	v_fma_f32 v3, 0xcf800000, v3, |v1|
	v_ashrrev_i32_e32 v1, 31, v1
	v_cvt_u32_f32_e32 v3, v3
	s_delay_alu instid0(VALU_DEP_1) | instskip(NEXT) | instid1(VALU_DEP_1)
	v_xor_b32_e32 v3, v3, v1
	v_sub_nc_u32_e32 v8, v3, v1
.LBB15_1180:
	s_or_b32 exec_lo, exec_lo, s10
.LBB15_1181:
	s_mov_b32 s10, -1
.LBB15_1182:
	s_branch .LBB15_1212
.LBB15_1183:
	s_cmp_gt_i32 s1, 22
	s_cbranch_scc0 .LBB15_1191
; %bb.1184:
	s_cmp_lt_i32 s1, 24
	s_cbranch_scc1 .LBB15_1194
; %bb.1185:
	s_cmp_gt_i32 s1, 24
	s_cbranch_scc0 .LBB15_1195
; %bb.1186:
	global_load_u8 v1, v[16:17], off
	s_mov_b32 s10, 0
	s_mov_b32 s3, exec_lo
	s_wait_loadcnt 0x0
	v_cmpx_lt_i16_e32 0x7f, v1
	s_xor_b32 s3, exec_lo, s3
	s_cbranch_execz .LBB15_1206
; %bb.1187:
	v_cmp_ne_u16_e32 vcc_lo, 0x80, v1
	s_and_b32 s10, vcc_lo, exec_lo
	s_and_not1_saveexec_b32 s3, s3
	s_cbranch_execnz .LBB15_1207
.LBB15_1188:
	s_or_b32 exec_lo, exec_lo, s3
	v_mov_b32_e32 v8, 0
	s_and_saveexec_b32 s3, s10
	s_cbranch_execz .LBB15_1190
.LBB15_1189:
	v_and_b32_e32 v3, 0xffff, v1
	s_delay_alu instid0(VALU_DEP_1) | instskip(SKIP_1) | instid1(VALU_DEP_2)
	v_dual_lshlrev_b32 v1, 24, v1 :: v_dual_bitop2_b32 v5, 3, v3 bitop3:0x40
	v_bfe_u32 v9, v3, 2, 5
	v_and_b32_e32 v1, 0x80000000, v1
	s_delay_alu instid0(VALU_DEP_3) | instskip(NEXT) | instid1(VALU_DEP_3)
	v_clz_i32_u32_e32 v7, v5
	v_cmp_eq_u32_e32 vcc_lo, 0, v9
	s_delay_alu instid0(VALU_DEP_2) | instskip(NEXT) | instid1(VALU_DEP_1)
	v_min_u32_e32 v7, 32, v7
	v_subrev_nc_u32_e32 v8, 29, v7
	v_sub_nc_u32_e32 v7, 30, v7
	s_delay_alu instid0(VALU_DEP_2) | instskip(NEXT) | instid1(VALU_DEP_2)
	v_lshlrev_b32_e32 v3, v8, v3
	v_cndmask_b32_e32 v7, v9, v7, vcc_lo
	s_delay_alu instid0(VALU_DEP_2) | instskip(NEXT) | instid1(VALU_DEP_1)
	v_and_b32_e32 v3, 3, v3
	v_cndmask_b32_e32 v3, v5, v3, vcc_lo
	s_delay_alu instid0(VALU_DEP_3) | instskip(NEXT) | instid1(VALU_DEP_2)
	v_lshl_add_u32 v5, v7, 23, 0x37800000
	v_lshlrev_b32_e32 v3, 21, v3
	s_delay_alu instid0(VALU_DEP_1) | instskip(NEXT) | instid1(VALU_DEP_1)
	v_or3_b32 v1, v1, v5, v3
	v_trunc_f32_e32 v1, v1
	s_delay_alu instid0(VALU_DEP_1) | instskip(NEXT) | instid1(VALU_DEP_1)
	v_mul_f32_e64 v3, 0x2f800000, |v1|
	v_floor_f32_e32 v3, v3
	s_delay_alu instid0(VALU_DEP_1) | instskip(SKIP_1) | instid1(VALU_DEP_2)
	v_fma_f32 v3, 0xcf800000, v3, |v1|
	v_ashrrev_i32_e32 v1, 31, v1
	v_cvt_u32_f32_e32 v3, v3
	s_delay_alu instid0(VALU_DEP_1) | instskip(NEXT) | instid1(VALU_DEP_1)
	v_xor_b32_e32 v3, v3, v1
	v_sub_nc_u32_e32 v8, v3, v1
.LBB15_1190:
	s_or_b32 exec_lo, exec_lo, s3
	s_mov_b32 s3, 0
	s_branch .LBB15_1196
.LBB15_1191:
                                        ; implicit-def: $vgpr8
	s_mov_b32 s3, 0
	s_branch .LBB15_1202
.LBB15_1192:
	s_and_not1_saveexec_b32 s10, s10
	s_cbranch_execz .LBB15_1178
.LBB15_1193:
	v_cmp_ne_u16_e32 vcc_lo, 0, v1
	s_and_not1_b32 s11, s11, exec_lo
	s_and_b32 s12, vcc_lo, exec_lo
	s_delay_alu instid0(SALU_CYCLE_1)
	s_or_b32 s11, s11, s12
	s_or_b32 exec_lo, exec_lo, s10
	v_mov_b32_e32 v8, 0
	s_and_saveexec_b32 s10, s11
	s_cbranch_execnz .LBB15_1179
	s_branch .LBB15_1180
.LBB15_1194:
	s_mov_b32 s3, -1
                                        ; implicit-def: $vgpr8
	s_branch .LBB15_1199
.LBB15_1195:
	s_mov_b32 s3, -1
                                        ; implicit-def: $vgpr8
.LBB15_1196:
	s_delay_alu instid0(SALU_CYCLE_1)
	s_and_b32 vcc_lo, exec_lo, s3
	s_cbranch_vccz .LBB15_1198
; %bb.1197:
	global_load_u8 v1, v[16:17], off
	s_wait_loadcnt 0x0
	v_lshlrev_b32_e32 v1, 24, v1
	s_delay_alu instid0(VALU_DEP_1) | instskip(NEXT) | instid1(VALU_DEP_1)
	v_and_b32_e32 v3, 0x7f000000, v1
	v_clz_i32_u32_e32 v5, v3
	v_cmp_ne_u32_e32 vcc_lo, 0, v3
	v_add_nc_u32_e32 v8, 0x1000000, v3
	s_delay_alu instid0(VALU_DEP_3) | instskip(NEXT) | instid1(VALU_DEP_1)
	v_min_u32_e32 v5, 32, v5
	v_sub_nc_u32_e64 v5, v5, 4 clamp
	s_delay_alu instid0(VALU_DEP_1) | instskip(NEXT) | instid1(VALU_DEP_1)
	v_dual_lshlrev_b32 v7, v5, v3 :: v_dual_lshlrev_b32 v5, 23, v5
	v_lshrrev_b32_e32 v7, 4, v7
	s_delay_alu instid0(VALU_DEP_1) | instskip(NEXT) | instid1(VALU_DEP_1)
	v_dual_sub_nc_u32 v5, v7, v5 :: v_dual_ashrrev_i32 v7, 8, v8
	v_add_nc_u32_e32 v5, 0x3c000000, v5
	s_delay_alu instid0(VALU_DEP_1) | instskip(NEXT) | instid1(VALU_DEP_1)
	v_and_or_b32 v5, 0x7f800000, v7, v5
	v_cndmask_b32_e32 v3, 0, v5, vcc_lo
	s_delay_alu instid0(VALU_DEP_1) | instskip(NEXT) | instid1(VALU_DEP_1)
	v_and_or_b32 v1, 0x80000000, v1, v3
	v_trunc_f32_e32 v1, v1
	s_delay_alu instid0(VALU_DEP_1) | instskip(NEXT) | instid1(VALU_DEP_1)
	v_mul_f32_e64 v3, 0x2f800000, |v1|
	v_floor_f32_e32 v3, v3
	s_delay_alu instid0(VALU_DEP_1) | instskip(SKIP_1) | instid1(VALU_DEP_2)
	v_fma_f32 v3, 0xcf800000, v3, |v1|
	v_ashrrev_i32_e32 v1, 31, v1
	v_cvt_u32_f32_e32 v3, v3
	s_delay_alu instid0(VALU_DEP_1) | instskip(NEXT) | instid1(VALU_DEP_1)
	v_xor_b32_e32 v3, v3, v1
	v_sub_nc_u32_e32 v8, v3, v1
.LBB15_1198:
	s_mov_b32 s3, 0
.LBB15_1199:
	s_delay_alu instid0(SALU_CYCLE_1)
	s_and_not1_b32 vcc_lo, exec_lo, s3
	s_cbranch_vccnz .LBB15_1201
; %bb.1200:
	global_load_u8 v1, v[16:17], off
	s_wait_loadcnt 0x0
	v_lshlrev_b32_e32 v3, 25, v1
	v_lshlrev_b16 v1, 8, v1
	s_delay_alu instid0(VALU_DEP_1) | instskip(SKIP_1) | instid1(VALU_DEP_2)
	v_and_or_b32 v7, 0x7f00, v1, 0.5
	v_bfe_i32 v1, v1, 0, 16
	v_add_f32_e32 v7, -0.5, v7
	v_lshrrev_b32_e32 v5, 4, v3
	v_cmp_gt_u32_e32 vcc_lo, 0x8000000, v3
	s_delay_alu instid0(VALU_DEP_2) | instskip(NEXT) | instid1(VALU_DEP_1)
	v_or_b32_e32 v5, 0x70000000, v5
	v_mul_f32_e32 v5, 0x7800000, v5
	s_delay_alu instid0(VALU_DEP_1) | instskip(NEXT) | instid1(VALU_DEP_1)
	v_cndmask_b32_e32 v3, v5, v7, vcc_lo
	v_and_or_b32 v1, 0x80000000, v1, v3
	s_delay_alu instid0(VALU_DEP_1) | instskip(NEXT) | instid1(VALU_DEP_1)
	v_trunc_f32_e32 v1, v1
	v_mul_f32_e64 v3, 0x2f800000, |v1|
	s_delay_alu instid0(VALU_DEP_1) | instskip(NEXT) | instid1(VALU_DEP_1)
	v_floor_f32_e32 v3, v3
	v_fma_f32 v3, 0xcf800000, v3, |v1|
	v_ashrrev_i32_e32 v1, 31, v1
	s_delay_alu instid0(VALU_DEP_2) | instskip(NEXT) | instid1(VALU_DEP_1)
	v_cvt_u32_f32_e32 v3, v3
	v_xor_b32_e32 v3, v3, v1
	s_delay_alu instid0(VALU_DEP_1)
	v_sub_nc_u32_e32 v8, v3, v1
.LBB15_1201:
	s_mov_b32 s10, -1
	s_mov_b32 s3, 0
	s_cbranch_execnz .LBB15_1212
.LBB15_1202:
	s_cmp_gt_i32 s1, 14
	s_cbranch_scc0 .LBB15_1205
; %bb.1203:
	s_cmp_eq_u32 s1, 15
	s_cbranch_scc0 .LBB15_1208
; %bb.1204:
	global_load_u16 v1, v[16:17], off
	s_mov_b32 s2, 0
	s_mov_b32 s10, -1
	s_wait_loadcnt 0x0
	v_lshlrev_b32_e32 v1, 16, v1
	s_delay_alu instid0(VALU_DEP_1) | instskip(NEXT) | instid1(VALU_DEP_1)
	v_trunc_f32_e32 v1, v1
	v_mul_f32_e64 v3, 0x2f800000, |v1|
	s_delay_alu instid0(VALU_DEP_1) | instskip(NEXT) | instid1(VALU_DEP_1)
	v_floor_f32_e32 v3, v3
	v_fma_f32 v3, 0xcf800000, v3, |v1|
	v_ashrrev_i32_e32 v1, 31, v1
	s_delay_alu instid0(VALU_DEP_2) | instskip(NEXT) | instid1(VALU_DEP_1)
	v_cvt_u32_f32_e32 v3, v3
	v_xor_b32_e32 v3, v3, v1
	s_delay_alu instid0(VALU_DEP_1)
	v_sub_nc_u32_e32 v8, v3, v1
	s_branch .LBB15_1210
.LBB15_1205:
	s_mov_b32 s3, -1
	s_branch .LBB15_1209
.LBB15_1206:
	s_and_not1_saveexec_b32 s3, s3
	s_cbranch_execz .LBB15_1188
.LBB15_1207:
	v_cmp_ne_u16_e32 vcc_lo, 0, v1
	s_and_not1_b32 s10, s10, exec_lo
	s_and_b32 s11, vcc_lo, exec_lo
	s_delay_alu instid0(SALU_CYCLE_1)
	s_or_b32 s10, s10, s11
	s_or_b32 exec_lo, exec_lo, s3
	v_mov_b32_e32 v8, 0
	s_and_saveexec_b32 s3, s10
	s_cbranch_execnz .LBB15_1189
	s_branch .LBB15_1190
.LBB15_1208:
	s_mov_b32 s2, -1
.LBB15_1209:
                                        ; implicit-def: $vgpr8
.LBB15_1210:
	s_and_b32 vcc_lo, exec_lo, s3
	s_mov_b32 s3, 0
	s_cbranch_vccz .LBB15_1212
; %bb.1211:
	s_cmp_lg_u32 s1, 11
	s_mov_b32 s3, -1
	s_cselect_b32 s2, -1, 0
.LBB15_1212:
	s_delay_alu instid0(SALU_CYCLE_1)
	s_and_b32 vcc_lo, exec_lo, s2
	s_mov_b32 s1, s8
	s_cbranch_vccnz .LBB15_1273
; %bb.1213:
	s_and_not1_b32 vcc_lo, exec_lo, s3
	s_cbranch_vccnz .LBB15_1215
.LBB15_1214:
	global_load_u8 v1, v[16:17], off
	s_mov_b32 s10, -1
	s_wait_loadcnt 0x0
	v_cmp_ne_u16_e32 vcc_lo, 0, v1
	v_cndmask_b32_e64 v8, 0, 1, vcc_lo
.LBB15_1215:
	s_branch .LBB15_1149
.LBB15_1216:
	s_and_b32 s2, 0xffff, s0
	s_delay_alu instid0(SALU_CYCLE_1)
	s_cmp_lt_i32 s2, 5
	s_cbranch_scc1 .LBB15_1221
; %bb.1217:
	s_cmp_lt_i32 s2, 8
	s_cbranch_scc1 .LBB15_1222
; %bb.1218:
	;; [unrolled: 3-line block ×3, first 2 shown]
	s_cmp_gt_i32 s2, 9
	s_cbranch_scc0 .LBB15_1224
; %bb.1220:
	s_wait_loadcnt 0x0
	global_load_b64 v[8:9], v[16:17], off
	s_mov_b32 s3, 0
	s_wait_loadcnt 0x0
	v_trunc_f64_e32 v[8:9], v[8:9]
	s_delay_alu instid0(VALU_DEP_1) | instskip(NEXT) | instid1(VALU_DEP_1)
	v_ldexp_f64 v[18:19], v[8:9], 0xffffffe0
	v_floor_f64_e32 v[18:19], v[18:19]
	s_delay_alu instid0(VALU_DEP_1) | instskip(NEXT) | instid1(VALU_DEP_1)
	v_fmamk_f64 v[8:9], v[18:19], 0xc1f00000, v[8:9]
	v_cvt_u32_f64_e32 v8, v[8:9]
	s_branch .LBB15_1225
.LBB15_1221:
                                        ; implicit-def: $vgpr8
	s_branch .LBB15_1242
.LBB15_1222:
                                        ; implicit-def: $vgpr8
	s_branch .LBB15_1231
.LBB15_1223:
	s_mov_b32 s3, -1
                                        ; implicit-def: $vgpr8
	s_branch .LBB15_1228
.LBB15_1224:
	s_mov_b32 s3, -1
                                        ; implicit-def: $vgpr8
.LBB15_1225:
	s_delay_alu instid0(SALU_CYCLE_1)
	s_and_not1_b32 vcc_lo, exec_lo, s3
	s_cbranch_vccnz .LBB15_1227
; %bb.1226:
	global_load_b32 v1, v[16:17], off
	s_wait_loadcnt 0x0
	v_trunc_f32_e32 v1, v1
	s_delay_alu instid0(VALU_DEP_1) | instskip(NEXT) | instid1(VALU_DEP_1)
	v_mul_f32_e64 v3, 0x2f800000, |v1|
	v_floor_f32_e32 v3, v3
	s_delay_alu instid0(VALU_DEP_1) | instskip(SKIP_1) | instid1(VALU_DEP_2)
	v_fma_f32 v3, 0xcf800000, v3, |v1|
	v_ashrrev_i32_e32 v1, 31, v1
	v_cvt_u32_f32_e32 v3, v3
	s_delay_alu instid0(VALU_DEP_1) | instskip(NEXT) | instid1(VALU_DEP_1)
	v_xor_b32_e32 v3, v3, v1
	v_sub_nc_u32_e32 v8, v3, v1
.LBB15_1227:
	s_mov_b32 s3, 0
.LBB15_1228:
	s_delay_alu instid0(SALU_CYCLE_1)
	s_and_not1_b32 vcc_lo, exec_lo, s3
	s_cbranch_vccnz .LBB15_1230
; %bb.1229:
	global_load_b32 v1, v[16:17], off
	s_wait_loadcnt 0x0
	v_cvt_f32_f16_e32 v1, v1
	s_delay_alu instid0(VALU_DEP_1)
	v_cvt_i32_f32_e32 v8, v1
.LBB15_1230:
	s_cbranch_execnz .LBB15_1241
.LBB15_1231:
	s_cmp_lt_i32 s2, 6
	s_cbranch_scc1 .LBB15_1234
; %bb.1232:
	s_cmp_gt_i32 s2, 6
	s_cbranch_scc0 .LBB15_1235
; %bb.1233:
	s_wait_loadcnt 0x0
	global_load_b64 v[8:9], v[16:17], off
	s_mov_b32 s3, 0
	s_wait_loadcnt 0x0
	v_trunc_f64_e32 v[8:9], v[8:9]
	s_delay_alu instid0(VALU_DEP_1) | instskip(NEXT) | instid1(VALU_DEP_1)
	v_ldexp_f64 v[18:19], v[8:9], 0xffffffe0
	v_floor_f64_e32 v[18:19], v[18:19]
	s_delay_alu instid0(VALU_DEP_1) | instskip(NEXT) | instid1(VALU_DEP_1)
	v_fmamk_f64 v[8:9], v[18:19], 0xc1f00000, v[8:9]
	v_cvt_u32_f64_e32 v8, v[8:9]
	s_branch .LBB15_1236
.LBB15_1234:
	s_mov_b32 s3, -1
                                        ; implicit-def: $vgpr8
	s_branch .LBB15_1239
.LBB15_1235:
	s_mov_b32 s3, -1
                                        ; implicit-def: $vgpr8
.LBB15_1236:
	s_delay_alu instid0(SALU_CYCLE_1)
	s_and_not1_b32 vcc_lo, exec_lo, s3
	s_cbranch_vccnz .LBB15_1238
; %bb.1237:
	global_load_b32 v1, v[16:17], off
	s_wait_loadcnt 0x0
	v_trunc_f32_e32 v1, v1
	s_delay_alu instid0(VALU_DEP_1) | instskip(NEXT) | instid1(VALU_DEP_1)
	v_mul_f32_e64 v3, 0x2f800000, |v1|
	v_floor_f32_e32 v3, v3
	s_delay_alu instid0(VALU_DEP_1) | instskip(SKIP_1) | instid1(VALU_DEP_2)
	v_fma_f32 v3, 0xcf800000, v3, |v1|
	v_ashrrev_i32_e32 v1, 31, v1
	v_cvt_u32_f32_e32 v3, v3
	s_delay_alu instid0(VALU_DEP_1) | instskip(NEXT) | instid1(VALU_DEP_1)
	v_xor_b32_e32 v3, v3, v1
	v_sub_nc_u32_e32 v8, v3, v1
.LBB15_1238:
	s_mov_b32 s3, 0
.LBB15_1239:
	s_delay_alu instid0(SALU_CYCLE_1)
	s_and_not1_b32 vcc_lo, exec_lo, s3
	s_cbranch_vccnz .LBB15_1241
; %bb.1240:
	global_load_u16 v1, v[16:17], off
	s_wait_loadcnt 0x0
	v_cvt_f32_f16_e32 v1, v1
	s_delay_alu instid0(VALU_DEP_1)
	v_cvt_i32_f32_e32 v8, v1
.LBB15_1241:
	s_cbranch_execnz .LBB15_1260
.LBB15_1242:
	s_cmp_lt_i32 s2, 2
	s_cbranch_scc1 .LBB15_1246
; %bb.1243:
	s_cmp_lt_i32 s2, 3
	s_cbranch_scc1 .LBB15_1247
; %bb.1244:
	s_cmp_gt_i32 s2, 3
	s_cbranch_scc0 .LBB15_1248
; %bb.1245:
	s_wait_loadcnt 0x0
	global_load_b64 v[8:9], v[16:17], off
	s_mov_b32 s3, 0
	s_branch .LBB15_1249
.LBB15_1246:
                                        ; implicit-def: $vgpr8
	s_branch .LBB15_1255
.LBB15_1247:
	s_mov_b32 s3, -1
                                        ; implicit-def: $vgpr8
	s_branch .LBB15_1252
.LBB15_1248:
	s_mov_b32 s3, -1
                                        ; implicit-def: $vgpr8
.LBB15_1249:
	s_delay_alu instid0(SALU_CYCLE_1)
	s_and_not1_b32 vcc_lo, exec_lo, s3
	s_cbranch_vccnz .LBB15_1251
; %bb.1250:
	s_wait_loadcnt 0x0
	global_load_b32 v8, v[16:17], off
.LBB15_1251:
	s_mov_b32 s3, 0
.LBB15_1252:
	s_delay_alu instid0(SALU_CYCLE_1)
	s_and_not1_b32 vcc_lo, exec_lo, s3
	s_cbranch_vccnz .LBB15_1254
; %bb.1253:
	s_wait_loadcnt 0x0
	global_load_u16 v8, v[16:17], off
.LBB15_1254:
	s_cbranch_execnz .LBB15_1260
.LBB15_1255:
	s_cmp_gt_i32 s2, 0
	s_mov_b32 s2, 0
	s_cbranch_scc0 .LBB15_1257
; %bb.1256:
	s_wait_loadcnt 0x0
	global_load_u8 v8, v[16:17], off
	s_branch .LBB15_1258
.LBB15_1257:
	s_mov_b32 s2, -1
                                        ; implicit-def: $vgpr8
.LBB15_1258:
	s_delay_alu instid0(SALU_CYCLE_1)
	s_and_not1_b32 vcc_lo, exec_lo, s2
	s_cbranch_vccnz .LBB15_1260
; %bb.1259:
	s_wait_loadcnt 0x0
	global_load_u8 v8, v[16:17], off
.LBB15_1260:
.LBB15_1261:
	v_mov_b32_e32 v11, 0
	s_and_b32 s0, 0xffff, s0
	s_delay_alu instid0(SALU_CYCLE_1) | instskip(SKIP_1) | instid1(VALU_DEP_1)
	s_cmp_lt_i32 s0, 11
	s_wait_xcnt 0x0
	v_add_nc_u64_e32 v[16:17], s[6:7], v[10:11]
	s_cbranch_scc1 .LBB15_1268
; %bb.1262:
	s_cmp_gt_i32 s0, 25
	s_mov_b32 s3, 0
	s_cbranch_scc0 .LBB15_1270
; %bb.1263:
	s_cmp_gt_i32 s0, 28
	s_cbranch_scc0 .LBB15_1271
; %bb.1264:
	s_cmp_gt_i32 s0, 43
	;; [unrolled: 3-line block ×3, first 2 shown]
	s_cbranch_scc0 .LBB15_1274
; %bb.1266:
	s_cmp_eq_u32 s0, 46
	s_mov_b32 s11, 0
	s_cbranch_scc0 .LBB15_1277
; %bb.1267:
	global_load_b32 v1, v[16:17], off
	s_mov_b32 s2, 0
	s_mov_b32 s10, -1
	s_wait_loadcnt 0x0
	v_lshlrev_b32_e32 v1, 16, v1
	s_delay_alu instid0(VALU_DEP_1) | instskip(NEXT) | instid1(VALU_DEP_1)
	v_trunc_f32_e32 v1, v1
	v_mul_f32_e64 v3, 0x2f800000, |v1|
	s_delay_alu instid0(VALU_DEP_1) | instskip(NEXT) | instid1(VALU_DEP_1)
	v_floor_f32_e32 v3, v3
	v_fma_f32 v3, 0xcf800000, v3, |v1|
	v_ashrrev_i32_e32 v1, 31, v1
	s_delay_alu instid0(VALU_DEP_2) | instskip(NEXT) | instid1(VALU_DEP_1)
	v_cvt_u32_f32_e32 v3, v3
	v_xor_b32_e32 v3, v3, v1
	s_delay_alu instid0(VALU_DEP_1)
	v_sub_nc_u32_e32 v10, v3, v1
	s_branch .LBB15_1279
.LBB15_1268:
	s_mov_b32 s10, 0
                                        ; implicit-def: $vgpr10
	s_cbranch_execnz .LBB15_1340
.LBB15_1269:
	s_and_not1_b32 vcc_lo, exec_lo, s10
	s_cbranch_vccnz .LBB15_2072
	s_branch .LBB15_1387
.LBB15_1270:
	s_mov_b32 s10, 0
	s_mov_b32 s2, 0
                                        ; implicit-def: $vgpr10
	s_cbranch_execnz .LBB15_1306
	s_branch .LBB15_1336
.LBB15_1271:
	s_mov_b32 s11, -1
	s_mov_b32 s10, 0
	s_mov_b32 s2, 0
                                        ; implicit-def: $vgpr10
	s_branch .LBB15_1289
.LBB15_1272:
	s_mov_b32 s11, -1
	s_mov_b32 s10, 0
	s_mov_b32 s2, 0
                                        ; implicit-def: $vgpr10
	s_branch .LBB15_1284
.LBB15_1273:
	s_or_b32 s1, s8, exec_lo
	s_trap 2
	s_cbranch_execz .LBB15_1214
	s_branch .LBB15_1215
.LBB15_1274:
	s_mov_b32 s11, -1
	s_mov_b32 s10, 0
	s_mov_b32 s2, 0
	s_branch .LBB15_1278
.LBB15_1275:
	s_and_not1_saveexec_b32 s9, s9
	s_cbranch_execz .LBB15_1005
.LBB15_1276:
	v_add_f32_e32 v2, 0x42800000, v3
	s_and_not1_b32 s5, s5, exec_lo
	s_delay_alu instid0(VALU_DEP_1) | instskip(NEXT) | instid1(VALU_DEP_1)
	v_and_b32_e32 v2, 0xff, v2
	v_cmp_ne_u32_e32 vcc_lo, 0, v2
	s_and_b32 s11, vcc_lo, exec_lo
	s_delay_alu instid0(SALU_CYCLE_1)
	s_or_b32 s5, s5, s11
	s_or_b32 exec_lo, exec_lo, s9
	v_mov_b32_e32 v4, 0
	s_and_saveexec_b32 s9, s5
	s_cbranch_execnz .LBB15_1006
	s_branch .LBB15_1007
.LBB15_1277:
	s_mov_b32 s2, -1
	s_mov_b32 s10, 0
.LBB15_1278:
                                        ; implicit-def: $vgpr10
.LBB15_1279:
	s_and_b32 vcc_lo, exec_lo, s11
	s_cbranch_vccz .LBB15_1283
; %bb.1280:
	s_cmp_eq_u32 s0, 44
	s_cbranch_scc0 .LBB15_1282
; %bb.1281:
	global_load_u8 v1, v[16:17], off
	s_mov_b32 s2, 0
	s_mov_b32 s10, -1
	s_wait_loadcnt 0x0
	v_lshlrev_b32_e32 v3, 23, v1
	v_cmp_ne_u32_e32 vcc_lo, 0, v1
	s_delay_alu instid0(VALU_DEP_2) | instskip(NEXT) | instid1(VALU_DEP_1)
	v_trunc_f32_e32 v3, v3
	v_mul_f32_e64 v5, 0x2f800000, |v3|
	s_delay_alu instid0(VALU_DEP_1) | instskip(NEXT) | instid1(VALU_DEP_1)
	v_floor_f32_e32 v5, v5
	v_fma_f32 v5, 0xcf800000, v5, |v3|
	v_ashrrev_i32_e32 v3, 31, v3
	s_delay_alu instid0(VALU_DEP_2) | instskip(NEXT) | instid1(VALU_DEP_1)
	v_cvt_u32_f32_e32 v5, v5
	v_xor_b32_e32 v5, v5, v3
	s_delay_alu instid0(VALU_DEP_1) | instskip(NEXT) | instid1(VALU_DEP_1)
	v_sub_nc_u32_e32 v3, v5, v3
	v_cndmask_b32_e32 v10, 0, v3, vcc_lo
	s_branch .LBB15_1283
.LBB15_1282:
	s_mov_b32 s2, -1
                                        ; implicit-def: $vgpr10
.LBB15_1283:
	s_mov_b32 s11, 0
.LBB15_1284:
	s_delay_alu instid0(SALU_CYCLE_1)
	s_and_b32 vcc_lo, exec_lo, s11
	s_cbranch_vccz .LBB15_1288
; %bb.1285:
	s_cmp_eq_u32 s0, 29
	s_cbranch_scc0 .LBB15_1287
; %bb.1286:
	global_load_b64 v[10:11], v[16:17], off
	s_mov_b32 s2, 0
	s_mov_b32 s10, -1
	s_branch .LBB15_1288
.LBB15_1287:
	s_mov_b32 s2, -1
                                        ; implicit-def: $vgpr10
.LBB15_1288:
	s_mov_b32 s11, 0
.LBB15_1289:
	s_delay_alu instid0(SALU_CYCLE_1)
	s_and_b32 vcc_lo, exec_lo, s11
	s_cbranch_vccz .LBB15_1305
; %bb.1290:
	s_cmp_lt_i32 s0, 27
	s_cbranch_scc1 .LBB15_1293
; %bb.1291:
	s_cmp_gt_i32 s0, 27
	s_cbranch_scc0 .LBB15_1294
; %bb.1292:
	s_wait_loadcnt 0x0
	global_load_b32 v10, v[16:17], off
	s_mov_b32 s10, 0
	s_branch .LBB15_1295
.LBB15_1293:
	s_mov_b32 s10, -1
                                        ; implicit-def: $vgpr10
	s_branch .LBB15_1298
.LBB15_1294:
	s_mov_b32 s10, -1
                                        ; implicit-def: $vgpr10
.LBB15_1295:
	s_delay_alu instid0(SALU_CYCLE_1)
	s_and_not1_b32 vcc_lo, exec_lo, s10
	s_cbranch_vccnz .LBB15_1297
; %bb.1296:
	s_wait_loadcnt 0x0
	global_load_u16 v10, v[16:17], off
.LBB15_1297:
	s_mov_b32 s10, 0
.LBB15_1298:
	s_delay_alu instid0(SALU_CYCLE_1)
	s_and_not1_b32 vcc_lo, exec_lo, s10
	s_cbranch_vccnz .LBB15_1304
; %bb.1299:
	global_load_u8 v1, v[16:17], off
	s_mov_b32 s11, 0
	s_mov_b32 s10, exec_lo
	s_wait_loadcnt 0x0
	v_cmpx_lt_i16_e32 0x7f, v1
	s_xor_b32 s10, exec_lo, s10
	s_cbranch_execz .LBB15_1315
; %bb.1300:
	v_cmp_ne_u16_e32 vcc_lo, 0x80, v1
	s_and_b32 s11, vcc_lo, exec_lo
	s_and_not1_saveexec_b32 s10, s10
	s_cbranch_execnz .LBB15_1316
.LBB15_1301:
	s_or_b32 exec_lo, exec_lo, s10
	v_mov_b32_e32 v10, 0
	s_and_saveexec_b32 s10, s11
	s_cbranch_execz .LBB15_1303
.LBB15_1302:
	v_and_b32_e32 v3, 0xffff, v1
	s_delay_alu instid0(VALU_DEP_1) | instskip(SKIP_1) | instid1(VALU_DEP_2)
	v_dual_lshlrev_b32 v1, 24, v1 :: v_dual_bitop2_b32 v5, 7, v3 bitop3:0x40
	v_bfe_u32 v10, v3, 3, 4
	v_and_b32_e32 v1, 0x80000000, v1
	s_delay_alu instid0(VALU_DEP_3) | instskip(NEXT) | instid1(VALU_DEP_3)
	v_clz_i32_u32_e32 v7, v5
	v_cmp_eq_u32_e32 vcc_lo, 0, v10
	s_delay_alu instid0(VALU_DEP_2) | instskip(NEXT) | instid1(VALU_DEP_1)
	v_min_u32_e32 v7, 32, v7
	v_subrev_nc_u32_e32 v9, 28, v7
	v_sub_nc_u32_e32 v7, 29, v7
	s_delay_alu instid0(VALU_DEP_2) | instskip(NEXT) | instid1(VALU_DEP_2)
	v_lshlrev_b32_e32 v3, v9, v3
	v_cndmask_b32_e32 v7, v10, v7, vcc_lo
	s_delay_alu instid0(VALU_DEP_2) | instskip(NEXT) | instid1(VALU_DEP_1)
	v_and_b32_e32 v3, 7, v3
	v_cndmask_b32_e32 v3, v5, v3, vcc_lo
	s_delay_alu instid0(VALU_DEP_3) | instskip(NEXT) | instid1(VALU_DEP_2)
	v_lshl_add_u32 v5, v7, 23, 0x3b800000
	v_lshlrev_b32_e32 v3, 20, v3
	s_delay_alu instid0(VALU_DEP_1) | instskip(NEXT) | instid1(VALU_DEP_1)
	v_or3_b32 v1, v1, v5, v3
	v_trunc_f32_e32 v1, v1
	s_delay_alu instid0(VALU_DEP_1) | instskip(NEXT) | instid1(VALU_DEP_1)
	v_mul_f32_e64 v3, 0x2f800000, |v1|
	v_floor_f32_e32 v3, v3
	s_delay_alu instid0(VALU_DEP_1) | instskip(SKIP_1) | instid1(VALU_DEP_2)
	v_fma_f32 v3, 0xcf800000, v3, |v1|
	v_ashrrev_i32_e32 v1, 31, v1
	v_cvt_u32_f32_e32 v3, v3
	s_delay_alu instid0(VALU_DEP_1) | instskip(NEXT) | instid1(VALU_DEP_1)
	v_xor_b32_e32 v3, v3, v1
	v_sub_nc_u32_e32 v10, v3, v1
.LBB15_1303:
	s_or_b32 exec_lo, exec_lo, s10
.LBB15_1304:
	s_mov_b32 s10, -1
.LBB15_1305:
	s_branch .LBB15_1336
.LBB15_1306:
	s_cmp_gt_i32 s0, 22
	s_cbranch_scc0 .LBB15_1314
; %bb.1307:
	s_cmp_lt_i32 s0, 24
	s_cbranch_scc1 .LBB15_1317
; %bb.1308:
	s_cmp_gt_i32 s0, 24
	s_cbranch_scc0 .LBB15_1318
; %bb.1309:
	global_load_u8 v1, v[16:17], off
	s_mov_b32 s10, 0
	s_mov_b32 s3, exec_lo
	s_wait_loadcnt 0x0
	v_cmpx_lt_i16_e32 0x7f, v1
	s_xor_b32 s3, exec_lo, s3
	s_cbranch_execz .LBB15_1330
; %bb.1310:
	v_cmp_ne_u16_e32 vcc_lo, 0x80, v1
	s_and_b32 s10, vcc_lo, exec_lo
	s_and_not1_saveexec_b32 s3, s3
	s_cbranch_execnz .LBB15_1331
.LBB15_1311:
	s_or_b32 exec_lo, exec_lo, s3
	v_mov_b32_e32 v10, 0
	s_and_saveexec_b32 s3, s10
	s_cbranch_execz .LBB15_1313
.LBB15_1312:
	v_and_b32_e32 v3, 0xffff, v1
	s_delay_alu instid0(VALU_DEP_1) | instskip(SKIP_1) | instid1(VALU_DEP_2)
	v_dual_lshlrev_b32 v1, 24, v1 :: v_dual_bitop2_b32 v5, 3, v3 bitop3:0x40
	v_bfe_u32 v10, v3, 2, 5
	v_and_b32_e32 v1, 0x80000000, v1
	s_delay_alu instid0(VALU_DEP_3) | instskip(NEXT) | instid1(VALU_DEP_3)
	v_clz_i32_u32_e32 v7, v5
	v_cmp_eq_u32_e32 vcc_lo, 0, v10
	s_delay_alu instid0(VALU_DEP_2) | instskip(NEXT) | instid1(VALU_DEP_1)
	v_min_u32_e32 v7, 32, v7
	v_subrev_nc_u32_e32 v9, 29, v7
	v_sub_nc_u32_e32 v7, 30, v7
	s_delay_alu instid0(VALU_DEP_2) | instskip(NEXT) | instid1(VALU_DEP_2)
	v_lshlrev_b32_e32 v3, v9, v3
	v_cndmask_b32_e32 v7, v10, v7, vcc_lo
	s_delay_alu instid0(VALU_DEP_2) | instskip(NEXT) | instid1(VALU_DEP_1)
	v_and_b32_e32 v3, 3, v3
	v_cndmask_b32_e32 v3, v5, v3, vcc_lo
	s_delay_alu instid0(VALU_DEP_3) | instskip(NEXT) | instid1(VALU_DEP_2)
	v_lshl_add_u32 v5, v7, 23, 0x37800000
	v_lshlrev_b32_e32 v3, 21, v3
	s_delay_alu instid0(VALU_DEP_1) | instskip(NEXT) | instid1(VALU_DEP_1)
	v_or3_b32 v1, v1, v5, v3
	v_trunc_f32_e32 v1, v1
	s_delay_alu instid0(VALU_DEP_1) | instskip(NEXT) | instid1(VALU_DEP_1)
	v_mul_f32_e64 v3, 0x2f800000, |v1|
	v_floor_f32_e32 v3, v3
	s_delay_alu instid0(VALU_DEP_1) | instskip(SKIP_1) | instid1(VALU_DEP_2)
	v_fma_f32 v3, 0xcf800000, v3, |v1|
	v_ashrrev_i32_e32 v1, 31, v1
	v_cvt_u32_f32_e32 v3, v3
	s_delay_alu instid0(VALU_DEP_1) | instskip(NEXT) | instid1(VALU_DEP_1)
	v_xor_b32_e32 v3, v3, v1
	v_sub_nc_u32_e32 v10, v3, v1
.LBB15_1313:
	s_or_b32 exec_lo, exec_lo, s3
	s_mov_b32 s3, 0
	s_branch .LBB15_1319
.LBB15_1314:
	s_mov_b32 s3, -1
                                        ; implicit-def: $vgpr10
	s_branch .LBB15_1325
.LBB15_1315:
	s_and_not1_saveexec_b32 s10, s10
	s_cbranch_execz .LBB15_1301
.LBB15_1316:
	v_cmp_ne_u16_e32 vcc_lo, 0, v1
	s_and_not1_b32 s11, s11, exec_lo
	s_and_b32 s12, vcc_lo, exec_lo
	s_delay_alu instid0(SALU_CYCLE_1)
	s_or_b32 s11, s11, s12
	s_or_b32 exec_lo, exec_lo, s10
	v_mov_b32_e32 v10, 0
	s_and_saveexec_b32 s10, s11
	s_cbranch_execnz .LBB15_1302
	s_branch .LBB15_1303
.LBB15_1317:
	s_mov_b32 s3, -1
                                        ; implicit-def: $vgpr10
	s_branch .LBB15_1322
.LBB15_1318:
	s_mov_b32 s3, -1
                                        ; implicit-def: $vgpr10
.LBB15_1319:
	s_delay_alu instid0(SALU_CYCLE_1)
	s_and_b32 vcc_lo, exec_lo, s3
	s_cbranch_vccz .LBB15_1321
; %bb.1320:
	global_load_u8 v1, v[16:17], off
	s_wait_loadcnt 0x0
	v_lshlrev_b32_e32 v1, 24, v1
	s_delay_alu instid0(VALU_DEP_1) | instskip(NEXT) | instid1(VALU_DEP_1)
	v_and_b32_e32 v3, 0x7f000000, v1
	v_clz_i32_u32_e32 v5, v3
	v_add_nc_u32_e32 v9, 0x1000000, v3
	v_cmp_ne_u32_e32 vcc_lo, 0, v3
	s_delay_alu instid0(VALU_DEP_3) | instskip(NEXT) | instid1(VALU_DEP_1)
	v_min_u32_e32 v5, 32, v5
	v_sub_nc_u32_e64 v5, v5, 4 clamp
	s_delay_alu instid0(VALU_DEP_1) | instskip(NEXT) | instid1(VALU_DEP_1)
	v_dual_lshlrev_b32 v7, v5, v3 :: v_dual_lshlrev_b32 v5, 23, v5
	v_lshrrev_b32_e32 v7, 4, v7
	s_delay_alu instid0(VALU_DEP_1) | instskip(SKIP_1) | instid1(VALU_DEP_2)
	v_sub_nc_u32_e32 v5, v7, v5
	v_ashrrev_i32_e32 v7, 8, v9
	v_add_nc_u32_e32 v5, 0x3c000000, v5
	s_delay_alu instid0(VALU_DEP_1) | instskip(NEXT) | instid1(VALU_DEP_1)
	v_and_or_b32 v5, 0x7f800000, v7, v5
	v_cndmask_b32_e32 v3, 0, v5, vcc_lo
	s_delay_alu instid0(VALU_DEP_1) | instskip(NEXT) | instid1(VALU_DEP_1)
	v_and_or_b32 v1, 0x80000000, v1, v3
	v_trunc_f32_e32 v1, v1
	s_delay_alu instid0(VALU_DEP_1) | instskip(NEXT) | instid1(VALU_DEP_1)
	v_mul_f32_e64 v3, 0x2f800000, |v1|
	v_floor_f32_e32 v3, v3
	s_delay_alu instid0(VALU_DEP_1) | instskip(SKIP_1) | instid1(VALU_DEP_2)
	v_fma_f32 v3, 0xcf800000, v3, |v1|
	v_ashrrev_i32_e32 v1, 31, v1
	v_cvt_u32_f32_e32 v3, v3
	s_delay_alu instid0(VALU_DEP_1) | instskip(NEXT) | instid1(VALU_DEP_1)
	v_xor_b32_e32 v3, v3, v1
	v_sub_nc_u32_e32 v10, v3, v1
.LBB15_1321:
	s_mov_b32 s3, 0
.LBB15_1322:
	s_delay_alu instid0(SALU_CYCLE_1)
	s_and_not1_b32 vcc_lo, exec_lo, s3
	s_cbranch_vccnz .LBB15_1324
; %bb.1323:
	global_load_u8 v1, v[16:17], off
	s_wait_loadcnt 0x0
	v_lshlrev_b32_e32 v3, 25, v1
	v_lshlrev_b16 v1, 8, v1
	s_delay_alu instid0(VALU_DEP_1) | instskip(SKIP_1) | instid1(VALU_DEP_2)
	v_and_or_b32 v7, 0x7f00, v1, 0.5
	v_bfe_i32 v1, v1, 0, 16
	v_add_f32_e32 v7, -0.5, v7
	v_lshrrev_b32_e32 v5, 4, v3
	v_cmp_gt_u32_e32 vcc_lo, 0x8000000, v3
	s_delay_alu instid0(VALU_DEP_2) | instskip(NEXT) | instid1(VALU_DEP_1)
	v_or_b32_e32 v5, 0x70000000, v5
	v_mul_f32_e32 v5, 0x7800000, v5
	s_delay_alu instid0(VALU_DEP_1) | instskip(NEXT) | instid1(VALU_DEP_1)
	v_cndmask_b32_e32 v3, v5, v7, vcc_lo
	v_and_or_b32 v1, 0x80000000, v1, v3
	s_delay_alu instid0(VALU_DEP_1) | instskip(NEXT) | instid1(VALU_DEP_1)
	v_trunc_f32_e32 v1, v1
	v_mul_f32_e64 v3, 0x2f800000, |v1|
	s_delay_alu instid0(VALU_DEP_1) | instskip(NEXT) | instid1(VALU_DEP_1)
	v_floor_f32_e32 v3, v3
	v_fma_f32 v3, 0xcf800000, v3, |v1|
	v_ashrrev_i32_e32 v1, 31, v1
	s_delay_alu instid0(VALU_DEP_2) | instskip(NEXT) | instid1(VALU_DEP_1)
	v_cvt_u32_f32_e32 v3, v3
	v_xor_b32_e32 v3, v3, v1
	s_delay_alu instid0(VALU_DEP_1)
	v_sub_nc_u32_e32 v10, v3, v1
.LBB15_1324:
	s_mov_b32 s3, 0
	s_mov_b32 s10, -1
.LBB15_1325:
	s_and_not1_b32 vcc_lo, exec_lo, s3
	s_mov_b32 s3, 0
	s_cbranch_vccnz .LBB15_1336
; %bb.1326:
	s_cmp_gt_i32 s0, 14
	s_cbranch_scc0 .LBB15_1329
; %bb.1327:
	s_cmp_eq_u32 s0, 15
	s_cbranch_scc0 .LBB15_1332
; %bb.1328:
	global_load_u16 v1, v[16:17], off
	s_mov_b32 s2, 0
	s_mov_b32 s10, -1
	s_wait_loadcnt 0x0
	v_lshlrev_b32_e32 v1, 16, v1
	s_delay_alu instid0(VALU_DEP_1) | instskip(NEXT) | instid1(VALU_DEP_1)
	v_trunc_f32_e32 v1, v1
	v_mul_f32_e64 v3, 0x2f800000, |v1|
	s_delay_alu instid0(VALU_DEP_1) | instskip(NEXT) | instid1(VALU_DEP_1)
	v_floor_f32_e32 v3, v3
	v_fma_f32 v3, 0xcf800000, v3, |v1|
	v_ashrrev_i32_e32 v1, 31, v1
	s_delay_alu instid0(VALU_DEP_2) | instskip(NEXT) | instid1(VALU_DEP_1)
	v_cvt_u32_f32_e32 v3, v3
	v_xor_b32_e32 v3, v3, v1
	s_delay_alu instid0(VALU_DEP_1)
	v_sub_nc_u32_e32 v10, v3, v1
	s_branch .LBB15_1334
.LBB15_1329:
	s_mov_b32 s3, -1
	s_branch .LBB15_1333
.LBB15_1330:
	s_and_not1_saveexec_b32 s3, s3
	s_cbranch_execz .LBB15_1311
.LBB15_1331:
	v_cmp_ne_u16_e32 vcc_lo, 0, v1
	s_and_not1_b32 s10, s10, exec_lo
	s_and_b32 s11, vcc_lo, exec_lo
	s_delay_alu instid0(SALU_CYCLE_1)
	s_or_b32 s10, s10, s11
	s_or_b32 exec_lo, exec_lo, s3
	v_mov_b32_e32 v10, 0
	s_and_saveexec_b32 s3, s10
	s_cbranch_execnz .LBB15_1312
	s_branch .LBB15_1313
.LBB15_1332:
	s_mov_b32 s2, -1
.LBB15_1333:
                                        ; implicit-def: $vgpr10
.LBB15_1334:
	s_and_b32 vcc_lo, exec_lo, s3
	s_mov_b32 s3, 0
	s_cbranch_vccz .LBB15_1336
; %bb.1335:
	s_cmp_lg_u32 s0, 11
	s_mov_b32 s3, -1
	s_cselect_b32 s2, -1, 0
.LBB15_1336:
	s_delay_alu instid0(SALU_CYCLE_1)
	s_and_b32 vcc_lo, exec_lo, s2
	s_cbranch_vccnz .LBB15_1399
; %bb.1337:
	s_and_not1_b32 vcc_lo, exec_lo, s3
	s_cbranch_vccnz .LBB15_1339
.LBB15_1338:
	global_load_u8 v1, v[16:17], off
	s_mov_b32 s10, -1
	s_wait_loadcnt 0x0
	v_cmp_ne_u16_e32 vcc_lo, 0, v1
	v_cndmask_b32_e64 v10, 0, 1, vcc_lo
.LBB15_1339:
	s_branch .LBB15_1269
.LBB15_1340:
	s_cmp_lt_i32 s0, 5
	s_cbranch_scc1 .LBB15_1345
; %bb.1341:
	s_cmp_lt_i32 s0, 8
	s_cbranch_scc1 .LBB15_1346
; %bb.1342:
	;; [unrolled: 3-line block ×3, first 2 shown]
	s_cmp_gt_i32 s0, 9
	s_cbranch_scc0 .LBB15_1348
; %bb.1344:
	s_wait_loadcnt 0x0
	global_load_b64 v[10:11], v[16:17], off
	s_mov_b32 s2, 0
	s_wait_loadcnt 0x0
	v_trunc_f64_e32 v[10:11], v[10:11]
	s_delay_alu instid0(VALU_DEP_1) | instskip(NEXT) | instid1(VALU_DEP_1)
	v_ldexp_f64 v[18:19], v[10:11], 0xffffffe0
	v_floor_f64_e32 v[18:19], v[18:19]
	s_delay_alu instid0(VALU_DEP_1) | instskip(NEXT) | instid1(VALU_DEP_1)
	v_fmamk_f64 v[10:11], v[18:19], 0xc1f00000, v[10:11]
	v_cvt_u32_f64_e32 v10, v[10:11]
	s_branch .LBB15_1349
.LBB15_1345:
                                        ; implicit-def: $vgpr10
	s_branch .LBB15_1367
.LBB15_1346:
	s_mov_b32 s2, -1
                                        ; implicit-def: $vgpr10
	s_branch .LBB15_1355
.LBB15_1347:
	s_mov_b32 s2, -1
                                        ; implicit-def: $vgpr10
	s_branch .LBB15_1352
.LBB15_1348:
	s_mov_b32 s2, -1
                                        ; implicit-def: $vgpr10
.LBB15_1349:
	s_delay_alu instid0(SALU_CYCLE_1)
	s_and_not1_b32 vcc_lo, exec_lo, s2
	s_cbranch_vccnz .LBB15_1351
; %bb.1350:
	global_load_b32 v1, v[16:17], off
	s_wait_loadcnt 0x0
	v_trunc_f32_e32 v1, v1
	s_delay_alu instid0(VALU_DEP_1) | instskip(NEXT) | instid1(VALU_DEP_1)
	v_mul_f32_e64 v3, 0x2f800000, |v1|
	v_floor_f32_e32 v3, v3
	s_delay_alu instid0(VALU_DEP_1) | instskip(SKIP_1) | instid1(VALU_DEP_2)
	v_fma_f32 v3, 0xcf800000, v3, |v1|
	v_ashrrev_i32_e32 v1, 31, v1
	v_cvt_u32_f32_e32 v3, v3
	s_delay_alu instid0(VALU_DEP_1) | instskip(NEXT) | instid1(VALU_DEP_1)
	v_xor_b32_e32 v3, v3, v1
	v_sub_nc_u32_e32 v10, v3, v1
.LBB15_1351:
	s_mov_b32 s2, 0
.LBB15_1352:
	s_delay_alu instid0(SALU_CYCLE_1)
	s_and_not1_b32 vcc_lo, exec_lo, s2
	s_cbranch_vccnz .LBB15_1354
; %bb.1353:
	global_load_b32 v1, v[16:17], off
	s_wait_loadcnt 0x0
	v_cvt_f32_f16_e32 v1, v1
	s_delay_alu instid0(VALU_DEP_1)
	v_cvt_i32_f32_e32 v10, v1
.LBB15_1354:
	s_mov_b32 s2, 0
.LBB15_1355:
	s_delay_alu instid0(SALU_CYCLE_1)
	s_and_not1_b32 vcc_lo, exec_lo, s2
	s_cbranch_vccnz .LBB15_1366
; %bb.1356:
	s_cmp_lt_i32 s0, 6
	s_cbranch_scc1 .LBB15_1359
; %bb.1357:
	s_cmp_gt_i32 s0, 6
	s_cbranch_scc0 .LBB15_1360
; %bb.1358:
	s_wait_loadcnt 0x0
	global_load_b64 v[10:11], v[16:17], off
	s_mov_b32 s2, 0
	s_wait_loadcnt 0x0
	v_trunc_f64_e32 v[10:11], v[10:11]
	s_delay_alu instid0(VALU_DEP_1) | instskip(NEXT) | instid1(VALU_DEP_1)
	v_ldexp_f64 v[18:19], v[10:11], 0xffffffe0
	v_floor_f64_e32 v[18:19], v[18:19]
	s_delay_alu instid0(VALU_DEP_1) | instskip(NEXT) | instid1(VALU_DEP_1)
	v_fmamk_f64 v[10:11], v[18:19], 0xc1f00000, v[10:11]
	v_cvt_u32_f64_e32 v10, v[10:11]
	s_branch .LBB15_1361
.LBB15_1359:
	s_mov_b32 s2, -1
                                        ; implicit-def: $vgpr10
	s_branch .LBB15_1364
.LBB15_1360:
	s_mov_b32 s2, -1
                                        ; implicit-def: $vgpr10
.LBB15_1361:
	s_delay_alu instid0(SALU_CYCLE_1)
	s_and_not1_b32 vcc_lo, exec_lo, s2
	s_cbranch_vccnz .LBB15_1363
; %bb.1362:
	global_load_b32 v1, v[16:17], off
	s_wait_loadcnt 0x0
	v_trunc_f32_e32 v1, v1
	s_delay_alu instid0(VALU_DEP_1) | instskip(NEXT) | instid1(VALU_DEP_1)
	v_mul_f32_e64 v3, 0x2f800000, |v1|
	v_floor_f32_e32 v3, v3
	s_delay_alu instid0(VALU_DEP_1) | instskip(SKIP_1) | instid1(VALU_DEP_2)
	v_fma_f32 v3, 0xcf800000, v3, |v1|
	v_ashrrev_i32_e32 v1, 31, v1
	v_cvt_u32_f32_e32 v3, v3
	s_delay_alu instid0(VALU_DEP_1) | instskip(NEXT) | instid1(VALU_DEP_1)
	v_xor_b32_e32 v3, v3, v1
	v_sub_nc_u32_e32 v10, v3, v1
.LBB15_1363:
	s_mov_b32 s2, 0
.LBB15_1364:
	s_delay_alu instid0(SALU_CYCLE_1)
	s_and_not1_b32 vcc_lo, exec_lo, s2
	s_cbranch_vccnz .LBB15_1366
; %bb.1365:
	global_load_u16 v1, v[16:17], off
	s_wait_loadcnt 0x0
	v_cvt_f32_f16_e32 v1, v1
	s_delay_alu instid0(VALU_DEP_1)
	v_cvt_i32_f32_e32 v10, v1
.LBB15_1366:
	s_cbranch_execnz .LBB15_1386
.LBB15_1367:
	s_cmp_lt_i32 s0, 2
	s_cbranch_scc1 .LBB15_1371
; %bb.1368:
	s_cmp_lt_i32 s0, 3
	s_cbranch_scc1 .LBB15_1372
; %bb.1369:
	s_cmp_gt_i32 s0, 3
	s_cbranch_scc0 .LBB15_1373
; %bb.1370:
	s_wait_loadcnt 0x0
	global_load_b64 v[10:11], v[16:17], off
	s_mov_b32 s2, 0
	s_branch .LBB15_1374
.LBB15_1371:
	s_mov_b32 s2, -1
                                        ; implicit-def: $vgpr10
	s_branch .LBB15_1380
.LBB15_1372:
	s_mov_b32 s2, -1
                                        ; implicit-def: $vgpr10
	s_branch .LBB15_1377
.LBB15_1373:
	s_mov_b32 s2, -1
                                        ; implicit-def: $vgpr10
.LBB15_1374:
	s_delay_alu instid0(SALU_CYCLE_1)
	s_and_not1_b32 vcc_lo, exec_lo, s2
	s_cbranch_vccnz .LBB15_1376
; %bb.1375:
	s_wait_loadcnt 0x0
	global_load_b32 v10, v[16:17], off
.LBB15_1376:
	s_mov_b32 s2, 0
.LBB15_1377:
	s_delay_alu instid0(SALU_CYCLE_1)
	s_and_not1_b32 vcc_lo, exec_lo, s2
	s_cbranch_vccnz .LBB15_1379
; %bb.1378:
	s_wait_loadcnt 0x0
	global_load_u16 v10, v[16:17], off
.LBB15_1379:
	s_mov_b32 s2, 0
.LBB15_1380:
	s_delay_alu instid0(SALU_CYCLE_1)
	s_and_not1_b32 vcc_lo, exec_lo, s2
	s_cbranch_vccnz .LBB15_1386
; %bb.1381:
	s_cmp_gt_i32 s0, 0
	s_mov_b32 s2, 0
	s_cbranch_scc0 .LBB15_1383
; %bb.1382:
	s_wait_loadcnt 0x0
	global_load_u8 v10, v[16:17], off
	s_branch .LBB15_1384
.LBB15_1383:
	s_mov_b32 s2, -1
                                        ; implicit-def: $vgpr10
.LBB15_1384:
	s_delay_alu instid0(SALU_CYCLE_1)
	s_and_not1_b32 vcc_lo, exec_lo, s2
	s_cbranch_vccnz .LBB15_1386
; %bb.1385:
	s_wait_loadcnt 0x0
	global_load_u8 v10, v[16:17], off
.LBB15_1386:
.LBB15_1387:
	v_mov_b32_e32 v13, 0
	s_cmp_lt_i32 s0, 11
	s_wait_xcnt 0x0
	s_delay_alu instid0(VALU_DEP_1)
	v_add_nc_u64_e32 v[16:17], s[6:7], v[12:13]
	s_cbranch_scc1 .LBB15_1394
; %bb.1388:
	s_cmp_gt_i32 s0, 25
	s_mov_b32 s3, 0
	s_cbranch_scc0 .LBB15_1396
; %bb.1389:
	s_cmp_gt_i32 s0, 28
	s_cbranch_scc0 .LBB15_1397
; %bb.1390:
	s_cmp_gt_i32 s0, 43
	s_cbranch_scc0 .LBB15_1398
; %bb.1391:
	s_cmp_gt_i32 s0, 45
	s_cbranch_scc0 .LBB15_1400
; %bb.1392:
	s_cmp_eq_u32 s0, 46
	s_mov_b32 s11, 0
	s_cbranch_scc0 .LBB15_1401
; %bb.1393:
	global_load_b32 v1, v[16:17], off
	s_mov_b32 s2, 0
	s_mov_b32 s10, -1
	s_wait_loadcnt 0x0
	v_lshlrev_b32_e32 v1, 16, v1
	s_delay_alu instid0(VALU_DEP_1) | instskip(NEXT) | instid1(VALU_DEP_1)
	v_trunc_f32_e32 v1, v1
	v_mul_f32_e64 v3, 0x2f800000, |v1|
	s_delay_alu instid0(VALU_DEP_1) | instskip(NEXT) | instid1(VALU_DEP_1)
	v_floor_f32_e32 v3, v3
	v_fma_f32 v3, 0xcf800000, v3, |v1|
	v_ashrrev_i32_e32 v1, 31, v1
	s_delay_alu instid0(VALU_DEP_2) | instskip(NEXT) | instid1(VALU_DEP_1)
	v_cvt_u32_f32_e32 v3, v3
	v_xor_b32_e32 v3, v3, v1
	s_delay_alu instid0(VALU_DEP_1)
	v_sub_nc_u32_e32 v12, v3, v1
	s_branch .LBB15_1403
.LBB15_1394:
	s_mov_b32 s10, 0
                                        ; implicit-def: $vgpr12
	s_cbranch_execnz .LBB15_1465
.LBB15_1395:
	s_and_not1_b32 vcc_lo, exec_lo, s10
	s_cbranch_vccnz .LBB15_2072
	s_branch .LBB15_1513
.LBB15_1396:
	s_mov_b32 s11, -1
	s_mov_b32 s10, 0
	s_mov_b32 s2, 0
                                        ; implicit-def: $vgpr12
	s_branch .LBB15_1430
.LBB15_1397:
	s_mov_b32 s11, -1
	s_mov_b32 s10, 0
	s_mov_b32 s2, 0
                                        ; implicit-def: $vgpr12
	s_branch .LBB15_1413
.LBB15_1398:
	s_mov_b32 s11, -1
	s_mov_b32 s10, 0
	s_mov_b32 s2, 0
                                        ; implicit-def: $vgpr12
	s_branch .LBB15_1408
.LBB15_1399:
	s_or_b32 s1, s1, exec_lo
	s_trap 2
	s_cbranch_execz .LBB15_1338
	s_branch .LBB15_1339
.LBB15_1400:
	s_mov_b32 s11, -1
	s_mov_b32 s10, 0
	s_mov_b32 s2, 0
	s_branch .LBB15_1402
.LBB15_1401:
	s_mov_b32 s2, -1
	s_mov_b32 s10, 0
.LBB15_1402:
                                        ; implicit-def: $vgpr12
.LBB15_1403:
	s_and_b32 vcc_lo, exec_lo, s11
	s_cbranch_vccz .LBB15_1407
; %bb.1404:
	s_cmp_eq_u32 s0, 44
	s_cbranch_scc0 .LBB15_1406
; %bb.1405:
	global_load_u8 v1, v[16:17], off
	s_mov_b32 s2, 0
	s_mov_b32 s10, -1
	s_wait_loadcnt 0x0
	v_lshlrev_b32_e32 v3, 23, v1
	v_cmp_ne_u32_e32 vcc_lo, 0, v1
	s_delay_alu instid0(VALU_DEP_2) | instskip(NEXT) | instid1(VALU_DEP_1)
	v_trunc_f32_e32 v3, v3
	v_mul_f32_e64 v5, 0x2f800000, |v3|
	s_delay_alu instid0(VALU_DEP_1) | instskip(NEXT) | instid1(VALU_DEP_1)
	v_floor_f32_e32 v5, v5
	v_fma_f32 v5, 0xcf800000, v5, |v3|
	v_ashrrev_i32_e32 v3, 31, v3
	s_delay_alu instid0(VALU_DEP_2) | instskip(NEXT) | instid1(VALU_DEP_1)
	v_cvt_u32_f32_e32 v5, v5
	v_xor_b32_e32 v5, v5, v3
	s_delay_alu instid0(VALU_DEP_1) | instskip(NEXT) | instid1(VALU_DEP_1)
	v_sub_nc_u32_e32 v3, v5, v3
	v_cndmask_b32_e32 v12, 0, v3, vcc_lo
	s_branch .LBB15_1407
.LBB15_1406:
	s_mov_b32 s2, -1
                                        ; implicit-def: $vgpr12
.LBB15_1407:
	s_mov_b32 s11, 0
.LBB15_1408:
	s_delay_alu instid0(SALU_CYCLE_1)
	s_and_b32 vcc_lo, exec_lo, s11
	s_cbranch_vccz .LBB15_1412
; %bb.1409:
	s_cmp_eq_u32 s0, 29
	s_cbranch_scc0 .LBB15_1411
; %bb.1410:
	global_load_b64 v[12:13], v[16:17], off
	s_mov_b32 s2, 0
	s_mov_b32 s10, -1
	s_branch .LBB15_1412
.LBB15_1411:
	s_mov_b32 s2, -1
                                        ; implicit-def: $vgpr12
.LBB15_1412:
	s_mov_b32 s11, 0
.LBB15_1413:
	s_delay_alu instid0(SALU_CYCLE_1)
	s_and_b32 vcc_lo, exec_lo, s11
	s_cbranch_vccz .LBB15_1429
; %bb.1414:
	s_cmp_lt_i32 s0, 27
	s_cbranch_scc1 .LBB15_1417
; %bb.1415:
	s_cmp_gt_i32 s0, 27
	s_cbranch_scc0 .LBB15_1418
; %bb.1416:
	s_wait_loadcnt 0x0
	global_load_b32 v12, v[16:17], off
	s_mov_b32 s10, 0
	s_branch .LBB15_1419
.LBB15_1417:
	s_mov_b32 s10, -1
                                        ; implicit-def: $vgpr12
	s_branch .LBB15_1422
.LBB15_1418:
	s_mov_b32 s10, -1
                                        ; implicit-def: $vgpr12
.LBB15_1419:
	s_delay_alu instid0(SALU_CYCLE_1)
	s_and_not1_b32 vcc_lo, exec_lo, s10
	s_cbranch_vccnz .LBB15_1421
; %bb.1420:
	s_wait_loadcnt 0x0
	global_load_u16 v12, v[16:17], off
.LBB15_1421:
	s_mov_b32 s10, 0
.LBB15_1422:
	s_delay_alu instid0(SALU_CYCLE_1)
	s_and_not1_b32 vcc_lo, exec_lo, s10
	s_cbranch_vccnz .LBB15_1428
; %bb.1423:
	global_load_u8 v1, v[16:17], off
	s_mov_b32 s11, 0
	s_mov_b32 s10, exec_lo
	s_wait_loadcnt 0x0
	v_cmpx_lt_i16_e32 0x7f, v1
	s_xor_b32 s10, exec_lo, s10
	s_cbranch_execz .LBB15_1440
; %bb.1424:
	v_cmp_ne_u16_e32 vcc_lo, 0x80, v1
	s_and_b32 s11, vcc_lo, exec_lo
	s_and_not1_saveexec_b32 s10, s10
	s_cbranch_execnz .LBB15_1441
.LBB15_1425:
	s_or_b32 exec_lo, exec_lo, s10
	v_mov_b32_e32 v12, 0
	s_and_saveexec_b32 s10, s11
	s_cbranch_execz .LBB15_1427
.LBB15_1426:
	v_and_b32_e32 v3, 0xffff, v1
	s_delay_alu instid0(VALU_DEP_1) | instskip(SKIP_1) | instid1(VALU_DEP_2)
	v_dual_lshlrev_b32 v1, 24, v1 :: v_dual_bitop2_b32 v5, 7, v3 bitop3:0x40
	v_bfe_u32 v11, v3, 3, 4
	v_and_b32_e32 v1, 0x80000000, v1
	s_delay_alu instid0(VALU_DEP_3) | instskip(NEXT) | instid1(VALU_DEP_3)
	v_clz_i32_u32_e32 v7, v5
	v_cmp_eq_u32_e32 vcc_lo, 0, v11
	s_delay_alu instid0(VALU_DEP_2) | instskip(NEXT) | instid1(VALU_DEP_1)
	v_min_u32_e32 v7, 32, v7
	v_subrev_nc_u32_e32 v9, 28, v7
	v_sub_nc_u32_e32 v7, 29, v7
	s_delay_alu instid0(VALU_DEP_2) | instskip(NEXT) | instid1(VALU_DEP_2)
	v_lshlrev_b32_e32 v3, v9, v3
	v_cndmask_b32_e32 v7, v11, v7, vcc_lo
	s_delay_alu instid0(VALU_DEP_2) | instskip(NEXT) | instid1(VALU_DEP_1)
	v_and_b32_e32 v3, 7, v3
	v_cndmask_b32_e32 v3, v5, v3, vcc_lo
	s_delay_alu instid0(VALU_DEP_3) | instskip(NEXT) | instid1(VALU_DEP_2)
	v_lshl_add_u32 v5, v7, 23, 0x3b800000
	v_lshlrev_b32_e32 v3, 20, v3
	s_delay_alu instid0(VALU_DEP_1) | instskip(NEXT) | instid1(VALU_DEP_1)
	v_or3_b32 v1, v1, v5, v3
	v_trunc_f32_e32 v1, v1
	s_delay_alu instid0(VALU_DEP_1) | instskip(NEXT) | instid1(VALU_DEP_1)
	v_mul_f32_e64 v3, 0x2f800000, |v1|
	v_floor_f32_e32 v3, v3
	s_delay_alu instid0(VALU_DEP_1) | instskip(SKIP_1) | instid1(VALU_DEP_2)
	v_fma_f32 v3, 0xcf800000, v3, |v1|
	v_ashrrev_i32_e32 v1, 31, v1
	v_cvt_u32_f32_e32 v3, v3
	s_delay_alu instid0(VALU_DEP_1) | instskip(NEXT) | instid1(VALU_DEP_1)
	v_xor_b32_e32 v3, v3, v1
	v_sub_nc_u32_e32 v12, v3, v1
.LBB15_1427:
	s_or_b32 exec_lo, exec_lo, s10
.LBB15_1428:
	s_mov_b32 s10, -1
.LBB15_1429:
	s_mov_b32 s11, 0
.LBB15_1430:
	s_delay_alu instid0(SALU_CYCLE_1)
	s_and_b32 vcc_lo, exec_lo, s11
	s_cbranch_vccz .LBB15_1461
; %bb.1431:
	s_cmp_gt_i32 s0, 22
	s_cbranch_scc0 .LBB15_1439
; %bb.1432:
	s_cmp_lt_i32 s0, 24
	s_cbranch_scc1 .LBB15_1442
; %bb.1433:
	s_cmp_gt_i32 s0, 24
	s_cbranch_scc0 .LBB15_1443
; %bb.1434:
	global_load_u8 v1, v[16:17], off
	s_mov_b32 s10, 0
	s_mov_b32 s3, exec_lo
	s_wait_loadcnt 0x0
	v_cmpx_lt_i16_e32 0x7f, v1
	s_xor_b32 s3, exec_lo, s3
	s_cbranch_execz .LBB15_1455
; %bb.1435:
	v_cmp_ne_u16_e32 vcc_lo, 0x80, v1
	s_and_b32 s10, vcc_lo, exec_lo
	s_and_not1_saveexec_b32 s3, s3
	s_cbranch_execnz .LBB15_1456
.LBB15_1436:
	s_or_b32 exec_lo, exec_lo, s3
	v_mov_b32_e32 v12, 0
	s_and_saveexec_b32 s3, s10
	s_cbranch_execz .LBB15_1438
.LBB15_1437:
	v_and_b32_e32 v3, 0xffff, v1
	s_delay_alu instid0(VALU_DEP_1) | instskip(SKIP_1) | instid1(VALU_DEP_2)
	v_dual_lshlrev_b32 v1, 24, v1 :: v_dual_bitop2_b32 v5, 3, v3 bitop3:0x40
	v_bfe_u32 v11, v3, 2, 5
	v_and_b32_e32 v1, 0x80000000, v1
	s_delay_alu instid0(VALU_DEP_3) | instskip(NEXT) | instid1(VALU_DEP_3)
	v_clz_i32_u32_e32 v7, v5
	v_cmp_eq_u32_e32 vcc_lo, 0, v11
	s_delay_alu instid0(VALU_DEP_2) | instskip(NEXT) | instid1(VALU_DEP_1)
	v_min_u32_e32 v7, 32, v7
	v_subrev_nc_u32_e32 v9, 29, v7
	v_sub_nc_u32_e32 v7, 30, v7
	s_delay_alu instid0(VALU_DEP_2) | instskip(NEXT) | instid1(VALU_DEP_2)
	v_lshlrev_b32_e32 v3, v9, v3
	v_cndmask_b32_e32 v7, v11, v7, vcc_lo
	s_delay_alu instid0(VALU_DEP_2) | instskip(NEXT) | instid1(VALU_DEP_1)
	v_and_b32_e32 v3, 3, v3
	v_cndmask_b32_e32 v3, v5, v3, vcc_lo
	s_delay_alu instid0(VALU_DEP_3) | instskip(NEXT) | instid1(VALU_DEP_2)
	v_lshl_add_u32 v5, v7, 23, 0x37800000
	v_lshlrev_b32_e32 v3, 21, v3
	s_delay_alu instid0(VALU_DEP_1) | instskip(NEXT) | instid1(VALU_DEP_1)
	v_or3_b32 v1, v1, v5, v3
	v_trunc_f32_e32 v1, v1
	s_delay_alu instid0(VALU_DEP_1) | instskip(NEXT) | instid1(VALU_DEP_1)
	v_mul_f32_e64 v3, 0x2f800000, |v1|
	v_floor_f32_e32 v3, v3
	s_delay_alu instid0(VALU_DEP_1) | instskip(SKIP_1) | instid1(VALU_DEP_2)
	v_fma_f32 v3, 0xcf800000, v3, |v1|
	v_ashrrev_i32_e32 v1, 31, v1
	v_cvt_u32_f32_e32 v3, v3
	s_delay_alu instid0(VALU_DEP_1) | instskip(NEXT) | instid1(VALU_DEP_1)
	v_xor_b32_e32 v3, v3, v1
	v_sub_nc_u32_e32 v12, v3, v1
.LBB15_1438:
	s_or_b32 exec_lo, exec_lo, s3
	s_mov_b32 s3, 0
	s_branch .LBB15_1444
.LBB15_1439:
	s_mov_b32 s3, -1
                                        ; implicit-def: $vgpr12
	s_branch .LBB15_1450
.LBB15_1440:
	s_and_not1_saveexec_b32 s10, s10
	s_cbranch_execz .LBB15_1425
.LBB15_1441:
	v_cmp_ne_u16_e32 vcc_lo, 0, v1
	s_and_not1_b32 s11, s11, exec_lo
	s_and_b32 s12, vcc_lo, exec_lo
	s_delay_alu instid0(SALU_CYCLE_1)
	s_or_b32 s11, s11, s12
	s_or_b32 exec_lo, exec_lo, s10
	v_mov_b32_e32 v12, 0
	s_and_saveexec_b32 s10, s11
	s_cbranch_execnz .LBB15_1426
	s_branch .LBB15_1427
.LBB15_1442:
	s_mov_b32 s3, -1
                                        ; implicit-def: $vgpr12
	s_branch .LBB15_1447
.LBB15_1443:
	s_mov_b32 s3, -1
                                        ; implicit-def: $vgpr12
.LBB15_1444:
	s_delay_alu instid0(SALU_CYCLE_1)
	s_and_b32 vcc_lo, exec_lo, s3
	s_cbranch_vccz .LBB15_1446
; %bb.1445:
	global_load_u8 v1, v[16:17], off
	s_wait_loadcnt 0x0
	v_lshlrev_b32_e32 v1, 24, v1
	s_delay_alu instid0(VALU_DEP_1) | instskip(NEXT) | instid1(VALU_DEP_1)
	v_and_b32_e32 v3, 0x7f000000, v1
	v_clz_i32_u32_e32 v5, v3
	v_add_nc_u32_e32 v9, 0x1000000, v3
	v_cmp_ne_u32_e32 vcc_lo, 0, v3
	s_delay_alu instid0(VALU_DEP_3) | instskip(NEXT) | instid1(VALU_DEP_1)
	v_min_u32_e32 v5, 32, v5
	v_sub_nc_u32_e64 v5, v5, 4 clamp
	s_delay_alu instid0(VALU_DEP_1) | instskip(NEXT) | instid1(VALU_DEP_1)
	v_dual_lshlrev_b32 v7, v5, v3 :: v_dual_lshlrev_b32 v5, 23, v5
	v_lshrrev_b32_e32 v7, 4, v7
	s_delay_alu instid0(VALU_DEP_1) | instskip(SKIP_1) | instid1(VALU_DEP_2)
	v_sub_nc_u32_e32 v5, v7, v5
	v_ashrrev_i32_e32 v7, 8, v9
	v_add_nc_u32_e32 v5, 0x3c000000, v5
	s_delay_alu instid0(VALU_DEP_1) | instskip(NEXT) | instid1(VALU_DEP_1)
	v_and_or_b32 v5, 0x7f800000, v7, v5
	v_cndmask_b32_e32 v3, 0, v5, vcc_lo
	s_delay_alu instid0(VALU_DEP_1) | instskip(NEXT) | instid1(VALU_DEP_1)
	v_and_or_b32 v1, 0x80000000, v1, v3
	v_trunc_f32_e32 v1, v1
	s_delay_alu instid0(VALU_DEP_1) | instskip(NEXT) | instid1(VALU_DEP_1)
	v_mul_f32_e64 v3, 0x2f800000, |v1|
	v_floor_f32_e32 v3, v3
	s_delay_alu instid0(VALU_DEP_1) | instskip(SKIP_1) | instid1(VALU_DEP_2)
	v_fma_f32 v3, 0xcf800000, v3, |v1|
	v_ashrrev_i32_e32 v1, 31, v1
	v_cvt_u32_f32_e32 v3, v3
	s_delay_alu instid0(VALU_DEP_1) | instskip(NEXT) | instid1(VALU_DEP_1)
	v_xor_b32_e32 v3, v3, v1
	v_sub_nc_u32_e32 v12, v3, v1
.LBB15_1446:
	s_mov_b32 s3, 0
.LBB15_1447:
	s_delay_alu instid0(SALU_CYCLE_1)
	s_and_not1_b32 vcc_lo, exec_lo, s3
	s_cbranch_vccnz .LBB15_1449
; %bb.1448:
	global_load_u8 v1, v[16:17], off
	s_wait_loadcnt 0x0
	v_lshlrev_b32_e32 v3, 25, v1
	v_lshlrev_b16 v1, 8, v1
	s_delay_alu instid0(VALU_DEP_1) | instskip(SKIP_1) | instid1(VALU_DEP_2)
	v_and_or_b32 v7, 0x7f00, v1, 0.5
	v_bfe_i32 v1, v1, 0, 16
	v_add_f32_e32 v7, -0.5, v7
	v_lshrrev_b32_e32 v5, 4, v3
	v_cmp_gt_u32_e32 vcc_lo, 0x8000000, v3
	s_delay_alu instid0(VALU_DEP_2) | instskip(NEXT) | instid1(VALU_DEP_1)
	v_or_b32_e32 v5, 0x70000000, v5
	v_mul_f32_e32 v5, 0x7800000, v5
	s_delay_alu instid0(VALU_DEP_1) | instskip(NEXT) | instid1(VALU_DEP_1)
	v_cndmask_b32_e32 v3, v5, v7, vcc_lo
	v_and_or_b32 v1, 0x80000000, v1, v3
	s_delay_alu instid0(VALU_DEP_1) | instskip(NEXT) | instid1(VALU_DEP_1)
	v_trunc_f32_e32 v1, v1
	v_mul_f32_e64 v3, 0x2f800000, |v1|
	s_delay_alu instid0(VALU_DEP_1) | instskip(NEXT) | instid1(VALU_DEP_1)
	v_floor_f32_e32 v3, v3
	v_fma_f32 v3, 0xcf800000, v3, |v1|
	v_ashrrev_i32_e32 v1, 31, v1
	s_delay_alu instid0(VALU_DEP_2) | instskip(NEXT) | instid1(VALU_DEP_1)
	v_cvt_u32_f32_e32 v3, v3
	v_xor_b32_e32 v3, v3, v1
	s_delay_alu instid0(VALU_DEP_1)
	v_sub_nc_u32_e32 v12, v3, v1
.LBB15_1449:
	s_mov_b32 s3, 0
	s_mov_b32 s10, -1
.LBB15_1450:
	s_and_not1_b32 vcc_lo, exec_lo, s3
	s_mov_b32 s3, 0
	s_cbranch_vccnz .LBB15_1461
; %bb.1451:
	s_cmp_gt_i32 s0, 14
	s_cbranch_scc0 .LBB15_1454
; %bb.1452:
	s_cmp_eq_u32 s0, 15
	s_cbranch_scc0 .LBB15_1457
; %bb.1453:
	global_load_u16 v1, v[16:17], off
	s_mov_b32 s2, 0
	s_mov_b32 s10, -1
	s_wait_loadcnt 0x0
	v_lshlrev_b32_e32 v1, 16, v1
	s_delay_alu instid0(VALU_DEP_1) | instskip(NEXT) | instid1(VALU_DEP_1)
	v_trunc_f32_e32 v1, v1
	v_mul_f32_e64 v3, 0x2f800000, |v1|
	s_delay_alu instid0(VALU_DEP_1) | instskip(NEXT) | instid1(VALU_DEP_1)
	v_floor_f32_e32 v3, v3
	v_fma_f32 v3, 0xcf800000, v3, |v1|
	v_ashrrev_i32_e32 v1, 31, v1
	s_delay_alu instid0(VALU_DEP_2) | instskip(NEXT) | instid1(VALU_DEP_1)
	v_cvt_u32_f32_e32 v3, v3
	v_xor_b32_e32 v3, v3, v1
	s_delay_alu instid0(VALU_DEP_1)
	v_sub_nc_u32_e32 v12, v3, v1
	s_branch .LBB15_1459
.LBB15_1454:
	s_mov_b32 s3, -1
	s_branch .LBB15_1458
.LBB15_1455:
	s_and_not1_saveexec_b32 s3, s3
	s_cbranch_execz .LBB15_1436
.LBB15_1456:
	v_cmp_ne_u16_e32 vcc_lo, 0, v1
	s_and_not1_b32 s10, s10, exec_lo
	s_and_b32 s11, vcc_lo, exec_lo
	s_delay_alu instid0(SALU_CYCLE_1)
	s_or_b32 s10, s10, s11
	s_or_b32 exec_lo, exec_lo, s3
	v_mov_b32_e32 v12, 0
	s_and_saveexec_b32 s3, s10
	s_cbranch_execnz .LBB15_1437
	s_branch .LBB15_1438
.LBB15_1457:
	s_mov_b32 s2, -1
.LBB15_1458:
                                        ; implicit-def: $vgpr12
.LBB15_1459:
	s_and_b32 vcc_lo, exec_lo, s3
	s_mov_b32 s3, 0
	s_cbranch_vccz .LBB15_1461
; %bb.1460:
	s_cmp_lg_u32 s0, 11
	s_mov_b32 s3, -1
	s_cselect_b32 s2, -1, 0
.LBB15_1461:
	s_delay_alu instid0(SALU_CYCLE_1)
	s_and_b32 vcc_lo, exec_lo, s2
	s_cbranch_vccnz .LBB15_1524
; %bb.1462:
	s_and_not1_b32 vcc_lo, exec_lo, s3
	s_cbranch_vccnz .LBB15_1464
.LBB15_1463:
	global_load_u8 v1, v[16:17], off
	s_mov_b32 s10, -1
	s_wait_loadcnt 0x0
	v_cmp_ne_u16_e32 vcc_lo, 0, v1
	v_cndmask_b32_e64 v12, 0, 1, vcc_lo
.LBB15_1464:
	s_branch .LBB15_1395
.LBB15_1465:
	s_cmp_lt_i32 s0, 5
	s_cbranch_scc1 .LBB15_1470
; %bb.1466:
	s_cmp_lt_i32 s0, 8
	s_cbranch_scc1 .LBB15_1471
; %bb.1467:
	;; [unrolled: 3-line block ×3, first 2 shown]
	s_cmp_gt_i32 s0, 9
	s_cbranch_scc0 .LBB15_1473
; %bb.1469:
	s_wait_loadcnt 0x0
	global_load_b64 v[12:13], v[16:17], off
	s_mov_b32 s2, 0
	s_wait_loadcnt 0x0
	v_trunc_f64_e32 v[12:13], v[12:13]
	s_delay_alu instid0(VALU_DEP_1) | instskip(NEXT) | instid1(VALU_DEP_1)
	v_ldexp_f64 v[18:19], v[12:13], 0xffffffe0
	v_floor_f64_e32 v[18:19], v[18:19]
	s_delay_alu instid0(VALU_DEP_1) | instskip(NEXT) | instid1(VALU_DEP_1)
	v_fmamk_f64 v[12:13], v[18:19], 0xc1f00000, v[12:13]
	v_cvt_u32_f64_e32 v12, v[12:13]
	s_branch .LBB15_1474
.LBB15_1470:
	s_mov_b32 s2, -1
                                        ; implicit-def: $vgpr12
	s_branch .LBB15_1492
.LBB15_1471:
	s_mov_b32 s2, -1
                                        ; implicit-def: $vgpr12
	s_branch .LBB15_1480
.LBB15_1472:
	s_mov_b32 s2, -1
                                        ; implicit-def: $vgpr12
	s_branch .LBB15_1477
.LBB15_1473:
	s_mov_b32 s2, -1
                                        ; implicit-def: $vgpr12
.LBB15_1474:
	s_delay_alu instid0(SALU_CYCLE_1)
	s_and_not1_b32 vcc_lo, exec_lo, s2
	s_cbranch_vccnz .LBB15_1476
; %bb.1475:
	global_load_b32 v1, v[16:17], off
	s_wait_loadcnt 0x0
	v_trunc_f32_e32 v1, v1
	s_delay_alu instid0(VALU_DEP_1) | instskip(NEXT) | instid1(VALU_DEP_1)
	v_mul_f32_e64 v3, 0x2f800000, |v1|
	v_floor_f32_e32 v3, v3
	s_delay_alu instid0(VALU_DEP_1) | instskip(SKIP_1) | instid1(VALU_DEP_2)
	v_fma_f32 v3, 0xcf800000, v3, |v1|
	v_ashrrev_i32_e32 v1, 31, v1
	v_cvt_u32_f32_e32 v3, v3
	s_delay_alu instid0(VALU_DEP_1) | instskip(NEXT) | instid1(VALU_DEP_1)
	v_xor_b32_e32 v3, v3, v1
	v_sub_nc_u32_e32 v12, v3, v1
.LBB15_1476:
	s_mov_b32 s2, 0
.LBB15_1477:
	s_delay_alu instid0(SALU_CYCLE_1)
	s_and_not1_b32 vcc_lo, exec_lo, s2
	s_cbranch_vccnz .LBB15_1479
; %bb.1478:
	global_load_b32 v1, v[16:17], off
	s_wait_loadcnt 0x0
	v_cvt_f32_f16_e32 v1, v1
	s_delay_alu instid0(VALU_DEP_1)
	v_cvt_i32_f32_e32 v12, v1
.LBB15_1479:
	s_mov_b32 s2, 0
.LBB15_1480:
	s_delay_alu instid0(SALU_CYCLE_1)
	s_and_not1_b32 vcc_lo, exec_lo, s2
	s_cbranch_vccnz .LBB15_1491
; %bb.1481:
	s_cmp_lt_i32 s0, 6
	s_cbranch_scc1 .LBB15_1484
; %bb.1482:
	s_cmp_gt_i32 s0, 6
	s_cbranch_scc0 .LBB15_1485
; %bb.1483:
	s_wait_loadcnt 0x0
	global_load_b64 v[12:13], v[16:17], off
	s_mov_b32 s2, 0
	s_wait_loadcnt 0x0
	v_trunc_f64_e32 v[12:13], v[12:13]
	s_delay_alu instid0(VALU_DEP_1) | instskip(NEXT) | instid1(VALU_DEP_1)
	v_ldexp_f64 v[18:19], v[12:13], 0xffffffe0
	v_floor_f64_e32 v[18:19], v[18:19]
	s_delay_alu instid0(VALU_DEP_1) | instskip(NEXT) | instid1(VALU_DEP_1)
	v_fmamk_f64 v[12:13], v[18:19], 0xc1f00000, v[12:13]
	v_cvt_u32_f64_e32 v12, v[12:13]
	s_branch .LBB15_1486
.LBB15_1484:
	s_mov_b32 s2, -1
                                        ; implicit-def: $vgpr12
	s_branch .LBB15_1489
.LBB15_1485:
	s_mov_b32 s2, -1
                                        ; implicit-def: $vgpr12
.LBB15_1486:
	s_delay_alu instid0(SALU_CYCLE_1)
	s_and_not1_b32 vcc_lo, exec_lo, s2
	s_cbranch_vccnz .LBB15_1488
; %bb.1487:
	global_load_b32 v1, v[16:17], off
	s_wait_loadcnt 0x0
	v_trunc_f32_e32 v1, v1
	s_delay_alu instid0(VALU_DEP_1) | instskip(NEXT) | instid1(VALU_DEP_1)
	v_mul_f32_e64 v3, 0x2f800000, |v1|
	v_floor_f32_e32 v3, v3
	s_delay_alu instid0(VALU_DEP_1) | instskip(SKIP_1) | instid1(VALU_DEP_2)
	v_fma_f32 v3, 0xcf800000, v3, |v1|
	v_ashrrev_i32_e32 v1, 31, v1
	v_cvt_u32_f32_e32 v3, v3
	s_delay_alu instid0(VALU_DEP_1) | instskip(NEXT) | instid1(VALU_DEP_1)
	v_xor_b32_e32 v3, v3, v1
	v_sub_nc_u32_e32 v12, v3, v1
.LBB15_1488:
	s_mov_b32 s2, 0
.LBB15_1489:
	s_delay_alu instid0(SALU_CYCLE_1)
	s_and_not1_b32 vcc_lo, exec_lo, s2
	s_cbranch_vccnz .LBB15_1491
; %bb.1490:
	global_load_u16 v1, v[16:17], off
	s_wait_loadcnt 0x0
	v_cvt_f32_f16_e32 v1, v1
	s_delay_alu instid0(VALU_DEP_1)
	v_cvt_i32_f32_e32 v12, v1
.LBB15_1491:
	s_mov_b32 s2, 0
.LBB15_1492:
	s_delay_alu instid0(SALU_CYCLE_1)
	s_and_not1_b32 vcc_lo, exec_lo, s2
	s_cbranch_vccnz .LBB15_1512
; %bb.1493:
	s_cmp_lt_i32 s0, 2
	s_cbranch_scc1 .LBB15_1497
; %bb.1494:
	s_cmp_lt_i32 s0, 3
	s_cbranch_scc1 .LBB15_1498
; %bb.1495:
	s_cmp_gt_i32 s0, 3
	s_cbranch_scc0 .LBB15_1499
; %bb.1496:
	s_wait_loadcnt 0x0
	global_load_b64 v[12:13], v[16:17], off
	s_mov_b32 s2, 0
	s_branch .LBB15_1500
.LBB15_1497:
	s_mov_b32 s2, -1
                                        ; implicit-def: $vgpr12
	s_branch .LBB15_1506
.LBB15_1498:
	s_mov_b32 s2, -1
                                        ; implicit-def: $vgpr12
	s_branch .LBB15_1503
.LBB15_1499:
	s_mov_b32 s2, -1
                                        ; implicit-def: $vgpr12
.LBB15_1500:
	s_delay_alu instid0(SALU_CYCLE_1)
	s_and_not1_b32 vcc_lo, exec_lo, s2
	s_cbranch_vccnz .LBB15_1502
; %bb.1501:
	s_wait_loadcnt 0x0
	global_load_b32 v12, v[16:17], off
.LBB15_1502:
	s_mov_b32 s2, 0
.LBB15_1503:
	s_delay_alu instid0(SALU_CYCLE_1)
	s_and_not1_b32 vcc_lo, exec_lo, s2
	s_cbranch_vccnz .LBB15_1505
; %bb.1504:
	s_wait_loadcnt 0x0
	global_load_u16 v12, v[16:17], off
.LBB15_1505:
	s_mov_b32 s2, 0
.LBB15_1506:
	s_delay_alu instid0(SALU_CYCLE_1)
	s_and_not1_b32 vcc_lo, exec_lo, s2
	s_cbranch_vccnz .LBB15_1512
; %bb.1507:
	s_cmp_gt_i32 s0, 0
	s_mov_b32 s2, 0
	s_cbranch_scc0 .LBB15_1509
; %bb.1508:
	s_wait_loadcnt 0x0
	global_load_u8 v12, v[16:17], off
	s_branch .LBB15_1510
.LBB15_1509:
	s_mov_b32 s2, -1
                                        ; implicit-def: $vgpr12
.LBB15_1510:
	s_delay_alu instid0(SALU_CYCLE_1)
	s_and_not1_b32 vcc_lo, exec_lo, s2
	s_cbranch_vccnz .LBB15_1512
; %bb.1511:
	s_wait_loadcnt 0x0
	global_load_u8 v12, v[16:17], off
.LBB15_1512:
.LBB15_1513:
	v_mov_b32_e32 v15, 0
	s_cmp_lt_i32 s0, 11
	s_wait_xcnt 0x0
	s_delay_alu instid0(VALU_DEP_1)
	v_add_nc_u64_e32 v[16:17], s[6:7], v[14:15]
	s_cbranch_scc1 .LBB15_1520
; %bb.1514:
	s_cmp_gt_i32 s0, 25
	s_mov_b32 s3, 0
	s_cbranch_scc0 .LBB15_1521
; %bb.1515:
	s_cmp_gt_i32 s0, 28
	s_cbranch_scc0 .LBB15_1522
; %bb.1516:
	s_cmp_gt_i32 s0, 43
	;; [unrolled: 3-line block ×3, first 2 shown]
	s_cbranch_scc0 .LBB15_1525
; %bb.1518:
	s_cmp_eq_u32 s0, 46
	s_mov_b32 s7, 0
	s_cbranch_scc0 .LBB15_1526
; %bb.1519:
	global_load_b32 v1, v[16:17], off
	s_mov_b32 s2, 0
	s_mov_b32 s6, -1
	s_wait_loadcnt 0x0
	v_lshlrev_b32_e32 v1, 16, v1
	s_delay_alu instid0(VALU_DEP_1) | instskip(NEXT) | instid1(VALU_DEP_1)
	v_trunc_f32_e32 v1, v1
	v_mul_f32_e64 v3, 0x2f800000, |v1|
	s_delay_alu instid0(VALU_DEP_1) | instskip(NEXT) | instid1(VALU_DEP_1)
	v_floor_f32_e32 v3, v3
	v_fma_f32 v3, 0xcf800000, v3, |v1|
	v_ashrrev_i32_e32 v1, 31, v1
	s_delay_alu instid0(VALU_DEP_2) | instskip(NEXT) | instid1(VALU_DEP_1)
	v_cvt_u32_f32_e32 v3, v3
	v_xor_b32_e32 v3, v3, v1
	s_delay_alu instid0(VALU_DEP_1)
	v_sub_nc_u32_e32 v14, v3, v1
	s_branch .LBB15_1528
.LBB15_1520:
	s_mov_b32 s2, -1
	s_mov_b32 s6, 0
                                        ; implicit-def: $vgpr14
	s_branch .LBB15_1590
.LBB15_1521:
	s_mov_b32 s7, -1
	s_mov_b32 s6, 0
	s_mov_b32 s2, 0
                                        ; implicit-def: $vgpr14
	s_branch .LBB15_1555
.LBB15_1522:
	s_mov_b32 s7, -1
	s_mov_b32 s6, 0
	s_mov_b32 s2, 0
                                        ; implicit-def: $vgpr14
	s_branch .LBB15_1538
.LBB15_1523:
	s_mov_b32 s7, -1
	s_mov_b32 s6, 0
	s_mov_b32 s2, 0
                                        ; implicit-def: $vgpr14
	s_branch .LBB15_1533
.LBB15_1524:
	s_or_b32 s1, s1, exec_lo
	s_trap 2
	s_cbranch_execz .LBB15_1463
	s_branch .LBB15_1464
.LBB15_1525:
	s_mov_b32 s7, -1
	s_mov_b32 s6, 0
	s_mov_b32 s2, 0
	s_branch .LBB15_1527
.LBB15_1526:
	s_mov_b32 s2, -1
	s_mov_b32 s6, 0
.LBB15_1527:
                                        ; implicit-def: $vgpr14
.LBB15_1528:
	s_and_b32 vcc_lo, exec_lo, s7
	s_cbranch_vccz .LBB15_1532
; %bb.1529:
	s_cmp_eq_u32 s0, 44
	s_cbranch_scc0 .LBB15_1531
; %bb.1530:
	global_load_u8 v1, v[16:17], off
	s_mov_b32 s2, 0
	s_mov_b32 s6, -1
	s_wait_loadcnt 0x0
	v_lshlrev_b32_e32 v3, 23, v1
	v_cmp_ne_u32_e32 vcc_lo, 0, v1
	s_delay_alu instid0(VALU_DEP_2) | instskip(NEXT) | instid1(VALU_DEP_1)
	v_trunc_f32_e32 v3, v3
	v_mul_f32_e64 v5, 0x2f800000, |v3|
	s_delay_alu instid0(VALU_DEP_1) | instskip(NEXT) | instid1(VALU_DEP_1)
	v_floor_f32_e32 v5, v5
	v_fma_f32 v5, 0xcf800000, v5, |v3|
	v_ashrrev_i32_e32 v3, 31, v3
	s_delay_alu instid0(VALU_DEP_2) | instskip(NEXT) | instid1(VALU_DEP_1)
	v_cvt_u32_f32_e32 v5, v5
	v_xor_b32_e32 v5, v5, v3
	s_delay_alu instid0(VALU_DEP_1) | instskip(NEXT) | instid1(VALU_DEP_1)
	v_sub_nc_u32_e32 v3, v5, v3
	v_cndmask_b32_e32 v14, 0, v3, vcc_lo
	s_branch .LBB15_1532
.LBB15_1531:
	s_mov_b32 s2, -1
                                        ; implicit-def: $vgpr14
.LBB15_1532:
	s_mov_b32 s7, 0
.LBB15_1533:
	s_delay_alu instid0(SALU_CYCLE_1)
	s_and_b32 vcc_lo, exec_lo, s7
	s_cbranch_vccz .LBB15_1537
; %bb.1534:
	s_cmp_eq_u32 s0, 29
	s_cbranch_scc0 .LBB15_1536
; %bb.1535:
	global_load_b64 v[14:15], v[16:17], off
	s_mov_b32 s2, 0
	s_mov_b32 s6, -1
	s_branch .LBB15_1537
.LBB15_1536:
	s_mov_b32 s2, -1
                                        ; implicit-def: $vgpr14
.LBB15_1537:
	s_mov_b32 s7, 0
.LBB15_1538:
	s_delay_alu instid0(SALU_CYCLE_1)
	s_and_b32 vcc_lo, exec_lo, s7
	s_cbranch_vccz .LBB15_1554
; %bb.1539:
	s_cmp_lt_i32 s0, 27
	s_cbranch_scc1 .LBB15_1542
; %bb.1540:
	s_cmp_gt_i32 s0, 27
	s_cbranch_scc0 .LBB15_1543
; %bb.1541:
	s_wait_loadcnt 0x0
	global_load_b32 v14, v[16:17], off
	s_mov_b32 s6, 0
	s_branch .LBB15_1544
.LBB15_1542:
	s_mov_b32 s6, -1
                                        ; implicit-def: $vgpr14
	s_branch .LBB15_1547
.LBB15_1543:
	s_mov_b32 s6, -1
                                        ; implicit-def: $vgpr14
.LBB15_1544:
	s_delay_alu instid0(SALU_CYCLE_1)
	s_and_not1_b32 vcc_lo, exec_lo, s6
	s_cbranch_vccnz .LBB15_1546
; %bb.1545:
	s_wait_loadcnt 0x0
	global_load_u16 v14, v[16:17], off
.LBB15_1546:
	s_mov_b32 s6, 0
.LBB15_1547:
	s_delay_alu instid0(SALU_CYCLE_1)
	s_and_not1_b32 vcc_lo, exec_lo, s6
	s_cbranch_vccnz .LBB15_1553
; %bb.1548:
	global_load_u8 v1, v[16:17], off
	s_mov_b32 s7, 0
	s_mov_b32 s6, exec_lo
	s_wait_loadcnt 0x0
	v_cmpx_lt_i16_e32 0x7f, v1
	s_xor_b32 s6, exec_lo, s6
	s_cbranch_execz .LBB15_1565
; %bb.1549:
	v_cmp_ne_u16_e32 vcc_lo, 0x80, v1
	s_and_b32 s7, vcc_lo, exec_lo
	s_and_not1_saveexec_b32 s6, s6
	s_cbranch_execnz .LBB15_1566
.LBB15_1550:
	s_or_b32 exec_lo, exec_lo, s6
	v_mov_b32_e32 v14, 0
	s_and_saveexec_b32 s6, s7
	s_cbranch_execz .LBB15_1552
.LBB15_1551:
	v_and_b32_e32 v3, 0xffff, v1
	s_delay_alu instid0(VALU_DEP_1) | instskip(SKIP_1) | instid1(VALU_DEP_2)
	v_dual_lshlrev_b32 v1, 24, v1 :: v_dual_bitop2_b32 v5, 7, v3 bitop3:0x40
	v_bfe_u32 v11, v3, 3, 4
	v_and_b32_e32 v1, 0x80000000, v1
	s_delay_alu instid0(VALU_DEP_3) | instskip(NEXT) | instid1(VALU_DEP_3)
	v_clz_i32_u32_e32 v7, v5
	v_cmp_eq_u32_e32 vcc_lo, 0, v11
	s_delay_alu instid0(VALU_DEP_2) | instskip(NEXT) | instid1(VALU_DEP_1)
	v_min_u32_e32 v7, 32, v7
	v_subrev_nc_u32_e32 v9, 28, v7
	v_sub_nc_u32_e32 v7, 29, v7
	s_delay_alu instid0(VALU_DEP_2) | instskip(NEXT) | instid1(VALU_DEP_2)
	v_lshlrev_b32_e32 v3, v9, v3
	v_cndmask_b32_e32 v7, v11, v7, vcc_lo
	s_delay_alu instid0(VALU_DEP_2) | instskip(NEXT) | instid1(VALU_DEP_1)
	v_and_b32_e32 v3, 7, v3
	v_cndmask_b32_e32 v3, v5, v3, vcc_lo
	s_delay_alu instid0(VALU_DEP_3) | instskip(NEXT) | instid1(VALU_DEP_2)
	v_lshl_add_u32 v5, v7, 23, 0x3b800000
	v_lshlrev_b32_e32 v3, 20, v3
	s_delay_alu instid0(VALU_DEP_1) | instskip(NEXT) | instid1(VALU_DEP_1)
	v_or3_b32 v1, v1, v5, v3
	v_trunc_f32_e32 v1, v1
	s_delay_alu instid0(VALU_DEP_1) | instskip(NEXT) | instid1(VALU_DEP_1)
	v_mul_f32_e64 v3, 0x2f800000, |v1|
	v_floor_f32_e32 v3, v3
	s_delay_alu instid0(VALU_DEP_1) | instskip(SKIP_1) | instid1(VALU_DEP_2)
	v_fma_f32 v3, 0xcf800000, v3, |v1|
	v_ashrrev_i32_e32 v1, 31, v1
	v_cvt_u32_f32_e32 v3, v3
	s_delay_alu instid0(VALU_DEP_1) | instskip(NEXT) | instid1(VALU_DEP_1)
	v_xor_b32_e32 v3, v3, v1
	v_sub_nc_u32_e32 v14, v3, v1
.LBB15_1552:
	s_or_b32 exec_lo, exec_lo, s6
.LBB15_1553:
	s_mov_b32 s6, -1
.LBB15_1554:
	s_mov_b32 s7, 0
.LBB15_1555:
	s_delay_alu instid0(SALU_CYCLE_1)
	s_and_b32 vcc_lo, exec_lo, s7
	s_cbranch_vccz .LBB15_1586
; %bb.1556:
	s_cmp_gt_i32 s0, 22
	s_cbranch_scc0 .LBB15_1564
; %bb.1557:
	s_cmp_lt_i32 s0, 24
	s_cbranch_scc1 .LBB15_1567
; %bb.1558:
	s_cmp_gt_i32 s0, 24
	s_cbranch_scc0 .LBB15_1568
; %bb.1559:
	global_load_u8 v1, v[16:17], off
	s_mov_b32 s6, 0
	s_mov_b32 s3, exec_lo
	s_wait_loadcnt 0x0
	v_cmpx_lt_i16_e32 0x7f, v1
	s_xor_b32 s3, exec_lo, s3
	s_cbranch_execz .LBB15_1580
; %bb.1560:
	v_cmp_ne_u16_e32 vcc_lo, 0x80, v1
	s_and_b32 s6, vcc_lo, exec_lo
	s_and_not1_saveexec_b32 s3, s3
	s_cbranch_execnz .LBB15_1581
.LBB15_1561:
	s_or_b32 exec_lo, exec_lo, s3
	v_mov_b32_e32 v14, 0
	s_and_saveexec_b32 s3, s6
	s_cbranch_execz .LBB15_1563
.LBB15_1562:
	v_and_b32_e32 v3, 0xffff, v1
	s_delay_alu instid0(VALU_DEP_1) | instskip(SKIP_1) | instid1(VALU_DEP_2)
	v_dual_lshlrev_b32 v1, 24, v1 :: v_dual_bitop2_b32 v5, 3, v3 bitop3:0x40
	v_bfe_u32 v11, v3, 2, 5
	v_and_b32_e32 v1, 0x80000000, v1
	s_delay_alu instid0(VALU_DEP_3) | instskip(NEXT) | instid1(VALU_DEP_3)
	v_clz_i32_u32_e32 v7, v5
	v_cmp_eq_u32_e32 vcc_lo, 0, v11
	s_delay_alu instid0(VALU_DEP_2) | instskip(NEXT) | instid1(VALU_DEP_1)
	v_min_u32_e32 v7, 32, v7
	v_subrev_nc_u32_e32 v9, 29, v7
	v_sub_nc_u32_e32 v7, 30, v7
	s_delay_alu instid0(VALU_DEP_2) | instskip(NEXT) | instid1(VALU_DEP_2)
	v_lshlrev_b32_e32 v3, v9, v3
	v_cndmask_b32_e32 v7, v11, v7, vcc_lo
	s_delay_alu instid0(VALU_DEP_2) | instskip(NEXT) | instid1(VALU_DEP_1)
	v_and_b32_e32 v3, 3, v3
	v_cndmask_b32_e32 v3, v5, v3, vcc_lo
	s_delay_alu instid0(VALU_DEP_3) | instskip(NEXT) | instid1(VALU_DEP_2)
	v_lshl_add_u32 v5, v7, 23, 0x37800000
	v_lshlrev_b32_e32 v3, 21, v3
	s_delay_alu instid0(VALU_DEP_1) | instskip(NEXT) | instid1(VALU_DEP_1)
	v_or3_b32 v1, v1, v5, v3
	v_trunc_f32_e32 v1, v1
	s_delay_alu instid0(VALU_DEP_1) | instskip(NEXT) | instid1(VALU_DEP_1)
	v_mul_f32_e64 v3, 0x2f800000, |v1|
	v_floor_f32_e32 v3, v3
	s_delay_alu instid0(VALU_DEP_1) | instskip(SKIP_1) | instid1(VALU_DEP_2)
	v_fma_f32 v3, 0xcf800000, v3, |v1|
	v_ashrrev_i32_e32 v1, 31, v1
	v_cvt_u32_f32_e32 v3, v3
	s_delay_alu instid0(VALU_DEP_1) | instskip(NEXT) | instid1(VALU_DEP_1)
	v_xor_b32_e32 v3, v3, v1
	v_sub_nc_u32_e32 v14, v3, v1
.LBB15_1563:
	s_or_b32 exec_lo, exec_lo, s3
	s_mov_b32 s3, 0
	s_branch .LBB15_1569
.LBB15_1564:
	s_mov_b32 s3, -1
                                        ; implicit-def: $vgpr14
	s_branch .LBB15_1575
.LBB15_1565:
	s_and_not1_saveexec_b32 s6, s6
	s_cbranch_execz .LBB15_1550
.LBB15_1566:
	v_cmp_ne_u16_e32 vcc_lo, 0, v1
	s_and_not1_b32 s7, s7, exec_lo
	s_and_b32 s10, vcc_lo, exec_lo
	s_delay_alu instid0(SALU_CYCLE_1)
	s_or_b32 s7, s7, s10
	s_or_b32 exec_lo, exec_lo, s6
	v_mov_b32_e32 v14, 0
	s_and_saveexec_b32 s6, s7
	s_cbranch_execnz .LBB15_1551
	s_branch .LBB15_1552
.LBB15_1567:
	s_mov_b32 s3, -1
                                        ; implicit-def: $vgpr14
	s_branch .LBB15_1572
.LBB15_1568:
	s_mov_b32 s3, -1
                                        ; implicit-def: $vgpr14
.LBB15_1569:
	s_delay_alu instid0(SALU_CYCLE_1)
	s_and_b32 vcc_lo, exec_lo, s3
	s_cbranch_vccz .LBB15_1571
; %bb.1570:
	global_load_u8 v1, v[16:17], off
	s_wait_loadcnt 0x0
	v_lshlrev_b32_e32 v1, 24, v1
	s_delay_alu instid0(VALU_DEP_1) | instskip(NEXT) | instid1(VALU_DEP_1)
	v_and_b32_e32 v3, 0x7f000000, v1
	v_clz_i32_u32_e32 v5, v3
	v_add_nc_u32_e32 v9, 0x1000000, v3
	v_cmp_ne_u32_e32 vcc_lo, 0, v3
	s_delay_alu instid0(VALU_DEP_3) | instskip(NEXT) | instid1(VALU_DEP_1)
	v_min_u32_e32 v5, 32, v5
	v_sub_nc_u32_e64 v5, v5, 4 clamp
	s_delay_alu instid0(VALU_DEP_1) | instskip(NEXT) | instid1(VALU_DEP_1)
	v_dual_lshlrev_b32 v7, v5, v3 :: v_dual_lshlrev_b32 v5, 23, v5
	v_lshrrev_b32_e32 v7, 4, v7
	s_delay_alu instid0(VALU_DEP_1) | instskip(SKIP_1) | instid1(VALU_DEP_2)
	v_sub_nc_u32_e32 v5, v7, v5
	v_ashrrev_i32_e32 v7, 8, v9
	v_add_nc_u32_e32 v5, 0x3c000000, v5
	s_delay_alu instid0(VALU_DEP_1) | instskip(NEXT) | instid1(VALU_DEP_1)
	v_and_or_b32 v5, 0x7f800000, v7, v5
	v_cndmask_b32_e32 v3, 0, v5, vcc_lo
	s_delay_alu instid0(VALU_DEP_1) | instskip(NEXT) | instid1(VALU_DEP_1)
	v_and_or_b32 v1, 0x80000000, v1, v3
	v_trunc_f32_e32 v1, v1
	s_delay_alu instid0(VALU_DEP_1) | instskip(NEXT) | instid1(VALU_DEP_1)
	v_mul_f32_e64 v3, 0x2f800000, |v1|
	v_floor_f32_e32 v3, v3
	s_delay_alu instid0(VALU_DEP_1) | instskip(SKIP_1) | instid1(VALU_DEP_2)
	v_fma_f32 v3, 0xcf800000, v3, |v1|
	v_ashrrev_i32_e32 v1, 31, v1
	v_cvt_u32_f32_e32 v3, v3
	s_delay_alu instid0(VALU_DEP_1) | instskip(NEXT) | instid1(VALU_DEP_1)
	v_xor_b32_e32 v3, v3, v1
	v_sub_nc_u32_e32 v14, v3, v1
.LBB15_1571:
	s_mov_b32 s3, 0
.LBB15_1572:
	s_delay_alu instid0(SALU_CYCLE_1)
	s_and_not1_b32 vcc_lo, exec_lo, s3
	s_cbranch_vccnz .LBB15_1574
; %bb.1573:
	global_load_u8 v1, v[16:17], off
	s_wait_loadcnt 0x0
	v_lshlrev_b32_e32 v3, 25, v1
	v_lshlrev_b16 v1, 8, v1
	s_delay_alu instid0(VALU_DEP_1) | instskip(SKIP_1) | instid1(VALU_DEP_2)
	v_and_or_b32 v7, 0x7f00, v1, 0.5
	v_bfe_i32 v1, v1, 0, 16
	v_add_f32_e32 v7, -0.5, v7
	v_lshrrev_b32_e32 v5, 4, v3
	v_cmp_gt_u32_e32 vcc_lo, 0x8000000, v3
	s_delay_alu instid0(VALU_DEP_2) | instskip(NEXT) | instid1(VALU_DEP_1)
	v_or_b32_e32 v5, 0x70000000, v5
	v_mul_f32_e32 v5, 0x7800000, v5
	s_delay_alu instid0(VALU_DEP_1) | instskip(NEXT) | instid1(VALU_DEP_1)
	v_cndmask_b32_e32 v3, v5, v7, vcc_lo
	v_and_or_b32 v1, 0x80000000, v1, v3
	s_delay_alu instid0(VALU_DEP_1) | instskip(NEXT) | instid1(VALU_DEP_1)
	v_trunc_f32_e32 v1, v1
	v_mul_f32_e64 v3, 0x2f800000, |v1|
	s_delay_alu instid0(VALU_DEP_1) | instskip(NEXT) | instid1(VALU_DEP_1)
	v_floor_f32_e32 v3, v3
	v_fma_f32 v3, 0xcf800000, v3, |v1|
	v_ashrrev_i32_e32 v1, 31, v1
	s_delay_alu instid0(VALU_DEP_2) | instskip(NEXT) | instid1(VALU_DEP_1)
	v_cvt_u32_f32_e32 v3, v3
	v_xor_b32_e32 v3, v3, v1
	s_delay_alu instid0(VALU_DEP_1)
	v_sub_nc_u32_e32 v14, v3, v1
.LBB15_1574:
	s_mov_b32 s3, 0
	s_mov_b32 s6, -1
.LBB15_1575:
	s_and_not1_b32 vcc_lo, exec_lo, s3
	s_mov_b32 s3, 0
	s_cbranch_vccnz .LBB15_1586
; %bb.1576:
	s_cmp_gt_i32 s0, 14
	s_cbranch_scc0 .LBB15_1579
; %bb.1577:
	s_cmp_eq_u32 s0, 15
	s_cbranch_scc0 .LBB15_1582
; %bb.1578:
	global_load_u16 v1, v[16:17], off
	s_mov_b32 s2, 0
	s_mov_b32 s6, -1
	s_wait_loadcnt 0x0
	v_lshlrev_b32_e32 v1, 16, v1
	s_delay_alu instid0(VALU_DEP_1) | instskip(NEXT) | instid1(VALU_DEP_1)
	v_trunc_f32_e32 v1, v1
	v_mul_f32_e64 v3, 0x2f800000, |v1|
	s_delay_alu instid0(VALU_DEP_1) | instskip(NEXT) | instid1(VALU_DEP_1)
	v_floor_f32_e32 v3, v3
	v_fma_f32 v3, 0xcf800000, v3, |v1|
	v_ashrrev_i32_e32 v1, 31, v1
	s_delay_alu instid0(VALU_DEP_2) | instskip(NEXT) | instid1(VALU_DEP_1)
	v_cvt_u32_f32_e32 v3, v3
	v_xor_b32_e32 v3, v3, v1
	s_delay_alu instid0(VALU_DEP_1)
	v_sub_nc_u32_e32 v14, v3, v1
	s_branch .LBB15_1584
.LBB15_1579:
	s_mov_b32 s3, -1
	s_branch .LBB15_1583
.LBB15_1580:
	s_and_not1_saveexec_b32 s3, s3
	s_cbranch_execz .LBB15_1561
.LBB15_1581:
	v_cmp_ne_u16_e32 vcc_lo, 0, v1
	s_and_not1_b32 s6, s6, exec_lo
	s_and_b32 s7, vcc_lo, exec_lo
	s_delay_alu instid0(SALU_CYCLE_1)
	s_or_b32 s6, s6, s7
	s_or_b32 exec_lo, exec_lo, s3
	v_mov_b32_e32 v14, 0
	s_and_saveexec_b32 s3, s6
	s_cbranch_execnz .LBB15_1562
	s_branch .LBB15_1563
.LBB15_1582:
	s_mov_b32 s2, -1
.LBB15_1583:
                                        ; implicit-def: $vgpr14
.LBB15_1584:
	s_and_b32 vcc_lo, exec_lo, s3
	s_mov_b32 s3, 0
	s_cbranch_vccz .LBB15_1586
; %bb.1585:
	s_cmp_lg_u32 s0, 11
	s_mov_b32 s3, -1
	s_cselect_b32 s2, -1, 0
.LBB15_1586:
	s_delay_alu instid0(SALU_CYCLE_1)
	s_and_b32 vcc_lo, exec_lo, s2
	s_cbranch_vccnz .LBB15_2118
; %bb.1587:
	s_and_not1_b32 vcc_lo, exec_lo, s3
	s_cbranch_vccnz .LBB15_1589
.LBB15_1588:
	global_load_u8 v1, v[16:17], off
	s_mov_b32 s6, -1
	s_wait_loadcnt 0x0
	v_cmp_ne_u16_e32 vcc_lo, 0, v1
	v_cndmask_b32_e64 v14, 0, 1, vcc_lo
.LBB15_1589:
	s_mov_b32 s2, 0
.LBB15_1590:
	s_delay_alu instid0(SALU_CYCLE_1)
	s_and_b32 vcc_lo, exec_lo, s2
	s_cbranch_vccz .LBB15_1639
; %bb.1591:
	s_cmp_lt_i32 s0, 5
	s_cbranch_scc1 .LBB15_1596
; %bb.1592:
	s_cmp_lt_i32 s0, 8
	s_cbranch_scc1 .LBB15_1597
	;; [unrolled: 3-line block ×3, first 2 shown]
; %bb.1594:
	s_cmp_gt_i32 s0, 9
	s_cbranch_scc0 .LBB15_1599
; %bb.1595:
	s_wait_loadcnt 0x0
	global_load_b64 v[14:15], v[16:17], off
	s_mov_b32 s2, 0
	s_wait_loadcnt 0x0
	v_trunc_f64_e32 v[14:15], v[14:15]
	s_delay_alu instid0(VALU_DEP_1) | instskip(NEXT) | instid1(VALU_DEP_1)
	v_ldexp_f64 v[18:19], v[14:15], 0xffffffe0
	v_floor_f64_e32 v[18:19], v[18:19]
	s_delay_alu instid0(VALU_DEP_1) | instskip(NEXT) | instid1(VALU_DEP_1)
	v_fmamk_f64 v[14:15], v[18:19], 0xc1f00000, v[14:15]
	v_cvt_u32_f64_e32 v14, v[14:15]
	s_branch .LBB15_1600
.LBB15_1596:
	s_mov_b32 s2, -1
                                        ; implicit-def: $vgpr14
	s_branch .LBB15_1618
.LBB15_1597:
	s_mov_b32 s2, -1
                                        ; implicit-def: $vgpr14
	s_branch .LBB15_1606
.LBB15_1598:
	s_mov_b32 s2, -1
                                        ; implicit-def: $vgpr14
	s_branch .LBB15_1603
.LBB15_1599:
	s_mov_b32 s2, -1
                                        ; implicit-def: $vgpr14
.LBB15_1600:
	s_delay_alu instid0(SALU_CYCLE_1)
	s_and_not1_b32 vcc_lo, exec_lo, s2
	s_cbranch_vccnz .LBB15_1602
; %bb.1601:
	global_load_b32 v1, v[16:17], off
	s_wait_loadcnt 0x0
	v_trunc_f32_e32 v1, v1
	s_delay_alu instid0(VALU_DEP_1) | instskip(NEXT) | instid1(VALU_DEP_1)
	v_mul_f32_e64 v3, 0x2f800000, |v1|
	v_floor_f32_e32 v3, v3
	s_delay_alu instid0(VALU_DEP_1) | instskip(SKIP_1) | instid1(VALU_DEP_2)
	v_fma_f32 v3, 0xcf800000, v3, |v1|
	v_ashrrev_i32_e32 v1, 31, v1
	v_cvt_u32_f32_e32 v3, v3
	s_delay_alu instid0(VALU_DEP_1) | instskip(NEXT) | instid1(VALU_DEP_1)
	v_xor_b32_e32 v3, v3, v1
	v_sub_nc_u32_e32 v14, v3, v1
.LBB15_1602:
	s_mov_b32 s2, 0
.LBB15_1603:
	s_delay_alu instid0(SALU_CYCLE_1)
	s_and_not1_b32 vcc_lo, exec_lo, s2
	s_cbranch_vccnz .LBB15_1605
; %bb.1604:
	global_load_b32 v1, v[16:17], off
	s_wait_loadcnt 0x0
	v_cvt_f32_f16_e32 v1, v1
	s_delay_alu instid0(VALU_DEP_1)
	v_cvt_i32_f32_e32 v14, v1
.LBB15_1605:
	s_mov_b32 s2, 0
.LBB15_1606:
	s_delay_alu instid0(SALU_CYCLE_1)
	s_and_not1_b32 vcc_lo, exec_lo, s2
	s_cbranch_vccnz .LBB15_1617
; %bb.1607:
	s_cmp_lt_i32 s0, 6
	s_cbranch_scc1 .LBB15_1610
; %bb.1608:
	s_cmp_gt_i32 s0, 6
	s_cbranch_scc0 .LBB15_1611
; %bb.1609:
	s_wait_loadcnt 0x0
	global_load_b64 v[14:15], v[16:17], off
	s_mov_b32 s2, 0
	s_wait_loadcnt 0x0
	v_trunc_f64_e32 v[14:15], v[14:15]
	s_delay_alu instid0(VALU_DEP_1) | instskip(NEXT) | instid1(VALU_DEP_1)
	v_ldexp_f64 v[18:19], v[14:15], 0xffffffe0
	v_floor_f64_e32 v[18:19], v[18:19]
	s_delay_alu instid0(VALU_DEP_1) | instskip(NEXT) | instid1(VALU_DEP_1)
	v_fmamk_f64 v[14:15], v[18:19], 0xc1f00000, v[14:15]
	v_cvt_u32_f64_e32 v14, v[14:15]
	s_branch .LBB15_1612
.LBB15_1610:
	s_mov_b32 s2, -1
                                        ; implicit-def: $vgpr14
	s_branch .LBB15_1615
.LBB15_1611:
	s_mov_b32 s2, -1
                                        ; implicit-def: $vgpr14
.LBB15_1612:
	s_delay_alu instid0(SALU_CYCLE_1)
	s_and_not1_b32 vcc_lo, exec_lo, s2
	s_cbranch_vccnz .LBB15_1614
; %bb.1613:
	global_load_b32 v1, v[16:17], off
	s_wait_loadcnt 0x0
	v_trunc_f32_e32 v1, v1
	s_delay_alu instid0(VALU_DEP_1) | instskip(NEXT) | instid1(VALU_DEP_1)
	v_mul_f32_e64 v3, 0x2f800000, |v1|
	v_floor_f32_e32 v3, v3
	s_delay_alu instid0(VALU_DEP_1) | instskip(SKIP_1) | instid1(VALU_DEP_2)
	v_fma_f32 v3, 0xcf800000, v3, |v1|
	v_ashrrev_i32_e32 v1, 31, v1
	v_cvt_u32_f32_e32 v3, v3
	s_delay_alu instid0(VALU_DEP_1) | instskip(NEXT) | instid1(VALU_DEP_1)
	v_xor_b32_e32 v3, v3, v1
	v_sub_nc_u32_e32 v14, v3, v1
.LBB15_1614:
	s_mov_b32 s2, 0
.LBB15_1615:
	s_delay_alu instid0(SALU_CYCLE_1)
	s_and_not1_b32 vcc_lo, exec_lo, s2
	s_cbranch_vccnz .LBB15_1617
; %bb.1616:
	global_load_u16 v1, v[16:17], off
	s_wait_loadcnt 0x0
	v_cvt_f32_f16_e32 v1, v1
	s_delay_alu instid0(VALU_DEP_1)
	v_cvt_i32_f32_e32 v14, v1
.LBB15_1617:
	s_mov_b32 s2, 0
.LBB15_1618:
	s_delay_alu instid0(SALU_CYCLE_1)
	s_and_not1_b32 vcc_lo, exec_lo, s2
	s_cbranch_vccnz .LBB15_1638
; %bb.1619:
	s_cmp_lt_i32 s0, 2
	s_cbranch_scc1 .LBB15_1623
; %bb.1620:
	s_cmp_lt_i32 s0, 3
	s_cbranch_scc1 .LBB15_1624
; %bb.1621:
	s_cmp_gt_i32 s0, 3
	s_cbranch_scc0 .LBB15_1625
; %bb.1622:
	s_wait_loadcnt 0x0
	global_load_b64 v[14:15], v[16:17], off
	s_mov_b32 s2, 0
	s_branch .LBB15_1626
.LBB15_1623:
	s_mov_b32 s2, -1
                                        ; implicit-def: $vgpr14
	s_branch .LBB15_1632
.LBB15_1624:
	s_mov_b32 s2, -1
                                        ; implicit-def: $vgpr14
	s_branch .LBB15_1629
.LBB15_1625:
	s_mov_b32 s2, -1
                                        ; implicit-def: $vgpr14
.LBB15_1626:
	s_delay_alu instid0(SALU_CYCLE_1)
	s_and_not1_b32 vcc_lo, exec_lo, s2
	s_cbranch_vccnz .LBB15_1628
; %bb.1627:
	s_wait_loadcnt 0x0
	global_load_b32 v14, v[16:17], off
.LBB15_1628:
	s_mov_b32 s2, 0
.LBB15_1629:
	s_delay_alu instid0(SALU_CYCLE_1)
	s_and_not1_b32 vcc_lo, exec_lo, s2
	s_cbranch_vccnz .LBB15_1631
; %bb.1630:
	s_wait_loadcnt 0x0
	global_load_u16 v14, v[16:17], off
.LBB15_1631:
	s_mov_b32 s2, 0
.LBB15_1632:
	s_delay_alu instid0(SALU_CYCLE_1)
	s_and_not1_b32 vcc_lo, exec_lo, s2
	s_cbranch_vccnz .LBB15_1638
; %bb.1633:
	s_cmp_gt_i32 s0, 0
	s_mov_b32 s0, 0
	s_cbranch_scc0 .LBB15_1635
; %bb.1634:
	s_wait_loadcnt 0x0
	global_load_u8 v14, v[16:17], off
	s_branch .LBB15_1636
.LBB15_1635:
	s_mov_b32 s0, -1
                                        ; implicit-def: $vgpr14
.LBB15_1636:
	s_delay_alu instid0(SALU_CYCLE_1)
	s_and_not1_b32 vcc_lo, exec_lo, s0
	s_cbranch_vccnz .LBB15_1638
; %bb.1637:
	s_wait_loadcnt 0x0
	global_load_u8 v14, v[16:17], off
.LBB15_1638:
	s_mov_b32 s6, -1
.LBB15_1639:
	s_delay_alu instid0(SALU_CYCLE_1)
	s_and_not1_b32 vcc_lo, exec_lo, s6
	s_cbranch_vccnz .LBB15_2072
; %bb.1640:
	s_load_b96 s[12:14], s[16:17], 0x158
	s_wait_loadcnt 0x0
	v_and_b32_e32 v1, 0xff, v8
	v_mov_b32_e32 v7, 0
	s_mov_b32 s0, -1
	s_delay_alu instid0(VALU_DEP_1)
	v_add_nc_u64_e32 v[6:7], s[4:5], v[6:7]
	s_wait_kmcnt 0x0
	s_cmp_eq_u32 s12, 0
	s_mov_b32 s12, 0
	s_cselect_b32 s3, -1, 0
	s_and_b32 s6, s13, 0xff
	s_and_b32 s2, s14, 0xff
	v_cmp_ne_u16_e32 vcc_lo, s6, v1
	s_xor_b32 s7, s3, vcc_lo
	s_cmp_lt_i32 s2, 11
	s_cbranch_scc1 .LBB15_1719
; %bb.1641:
	s_and_b32 s10, 0xffff, s2
	s_mov_b32 s13, -1
	s_mov_b32 s11, 0
	s_cmp_gt_i32 s10, 25
	s_mov_b32 s0, 0
	s_cbranch_scc0 .LBB15_1674
; %bb.1642:
	s_cmp_gt_i32 s10, 28
	s_cbranch_scc0 .LBB15_1657
; %bb.1643:
	s_cmp_gt_i32 s10, 43
	;; [unrolled: 3-line block ×3, first 2 shown]
	s_cbranch_scc0 .LBB15_1647
; %bb.1645:
	s_mov_b32 s0, -1
	s_mov_b32 s13, 0
	s_cmp_eq_u32 s10, 46
	s_cbranch_scc0 .LBB15_1647
; %bb.1646:
	v_cndmask_b32_e64 v1, 0, 1.0, s7
	s_mov_b32 s0, 0
	s_mov_b32 s12, -1
	s_delay_alu instid0(VALU_DEP_1) | instskip(NEXT) | instid1(VALU_DEP_1)
	v_bfe_u32 v3, v1, 16, 1
	v_add3_u32 v1, v1, v3, 0x7fff
	s_delay_alu instid0(VALU_DEP_1)
	v_lshrrev_b32_e32 v1, 16, v1
	global_store_b32 v[6:7], v1, off
.LBB15_1647:
	s_and_b32 vcc_lo, exec_lo, s13
	s_cbranch_vccz .LBB15_1652
; %bb.1648:
	s_cmp_eq_u32 s10, 44
	s_mov_b32 s0, -1
	s_cbranch_scc0 .LBB15_1652
; %bb.1649:
	v_cndmask_b32_e64 v5, 0, 1.0, s7
	v_mov_b32_e32 v3, 0xff
	s_mov_b32 s12, exec_lo
	s_wait_xcnt 0x0
	s_delay_alu instid0(VALU_DEP_2) | instskip(NEXT) | instid1(VALU_DEP_1)
	v_lshrrev_b32_e32 v1, 23, v5
	v_cmpx_ne_u32_e32 0xff, v1
; %bb.1650:
	v_and_b32_e32 v3, 0x400000, v5
	v_and_or_b32 v5, 0x3fffff, v5, v1
	s_delay_alu instid0(VALU_DEP_2) | instskip(NEXT) | instid1(VALU_DEP_2)
	v_cmp_ne_u32_e32 vcc_lo, 0, v3
	v_cmp_ne_u32_e64 s0, 0, v5
	s_and_b32 s0, vcc_lo, s0
	s_delay_alu instid0(SALU_CYCLE_1) | instskip(NEXT) | instid1(VALU_DEP_1)
	v_cndmask_b32_e64 v3, 0, 1, s0
	v_add_nc_u32_e32 v3, v1, v3
; %bb.1651:
	s_or_b32 exec_lo, exec_lo, s12
	s_mov_b32 s0, 0
	s_mov_b32 s12, -1
	global_store_b8 v[6:7], v3, off
.LBB15_1652:
	s_mov_b32 s13, 0
.LBB15_1653:
	s_delay_alu instid0(SALU_CYCLE_1)
	s_and_b32 vcc_lo, exec_lo, s13
	s_cbranch_vccz .LBB15_1656
; %bb.1654:
	s_cmp_eq_u32 s10, 29
	s_mov_b32 s0, -1
	s_cbranch_scc0 .LBB15_1656
; %bb.1655:
	s_mov_b32 s0, 0
	v_cndmask_b32_e64 v8, 0, 1, s7
	v_mov_b32_e32 v9, s0
	s_mov_b32 s12, -1
	global_store_b64 v[6:7], v[8:9], off
.LBB15_1656:
	s_mov_b32 s13, 0
.LBB15_1657:
	s_delay_alu instid0(SALU_CYCLE_1)
	s_and_b32 vcc_lo, exec_lo, s13
	s_cbranch_vccz .LBB15_1673
; %bb.1658:
	s_cmp_lt_i32 s10, 27
	s_mov_b32 s12, -1
	s_cbranch_scc1 .LBB15_1664
; %bb.1659:
	s_cmp_gt_i32 s10, 27
	s_cbranch_scc0 .LBB15_1661
; %bb.1660:
	s_wait_xcnt 0x0
	v_cndmask_b32_e64 v1, 0, 1, s7
	s_mov_b32 s12, 0
	global_store_b32 v[6:7], v1, off
.LBB15_1661:
	s_and_not1_b32 vcc_lo, exec_lo, s12
	s_cbranch_vccnz .LBB15_1663
; %bb.1662:
	s_wait_xcnt 0x0
	v_cndmask_b32_e64 v1, 0, 1, s7
	global_store_b16 v[6:7], v1, off
.LBB15_1663:
	s_mov_b32 s12, 0
.LBB15_1664:
	s_delay_alu instid0(SALU_CYCLE_1)
	s_and_not1_b32 vcc_lo, exec_lo, s12
	s_cbranch_vccnz .LBB15_1672
; %bb.1665:
	s_wait_xcnt 0x0
	v_cndmask_b32_e64 v3, 0, 1.0, s7
	v_mov_b32_e32 v5, 0x80
	s_mov_b32 s12, exec_lo
	s_delay_alu instid0(VALU_DEP_2)
	v_cmpx_gt_u32_e32 0x43800000, v3
	s_cbranch_execz .LBB15_1671
; %bb.1666:
	s_mov_b32 s13, 0
	s_mov_b32 s14, exec_lo
                                        ; implicit-def: $vgpr1
	v_cmpx_lt_u32_e32 0x3bffffff, v3
	s_xor_b32 s14, exec_lo, s14
	s_cbranch_execz .LBB15_2119
; %bb.1667:
	v_bfe_u32 v1, v3, 20, 1
	s_mov_b32 s13, exec_lo
	s_delay_alu instid0(VALU_DEP_1) | instskip(NEXT) | instid1(VALU_DEP_1)
	v_add3_u32 v1, v3, v1, 0x487ffff
                                        ; implicit-def: $vgpr3
	v_lshrrev_b32_e32 v1, 20, v1
	s_and_not1_saveexec_b32 s14, s14
	s_cbranch_execnz .LBB15_2120
.LBB15_1668:
	s_or_b32 exec_lo, exec_lo, s14
	v_mov_b32_e32 v5, 0
	s_and_saveexec_b32 s14, s13
.LBB15_1669:
	v_mov_b32_e32 v5, v1
.LBB15_1670:
	s_or_b32 exec_lo, exec_lo, s14
.LBB15_1671:
	s_delay_alu instid0(SALU_CYCLE_1)
	s_or_b32 exec_lo, exec_lo, s12
	global_store_b8 v[6:7], v5, off
.LBB15_1672:
	s_mov_b32 s12, -1
.LBB15_1673:
	s_mov_b32 s13, 0
.LBB15_1674:
	s_delay_alu instid0(SALU_CYCLE_1)
	s_and_b32 vcc_lo, exec_lo, s13
	s_cbranch_vccz .LBB15_1714
; %bb.1675:
	s_cmp_gt_i32 s10, 22
	s_mov_b32 s11, -1
	s_cbranch_scc0 .LBB15_1707
; %bb.1676:
	s_cmp_lt_i32 s10, 24
	s_cbranch_scc1 .LBB15_1696
; %bb.1677:
	s_cmp_gt_i32 s10, 24
	s_cbranch_scc0 .LBB15_1685
; %bb.1678:
	s_wait_xcnt 0x0
	v_cndmask_b32_e64 v3, 0, 1.0, s7
	v_mov_b32_e32 v5, 0x80
	s_mov_b32 s11, exec_lo
	s_delay_alu instid0(VALU_DEP_2)
	v_cmpx_gt_u32_e32 0x47800000, v3
	s_cbranch_execz .LBB15_1684
; %bb.1679:
	s_mov_b32 s12, 0
	s_mov_b32 s13, exec_lo
                                        ; implicit-def: $vgpr1
	v_cmpx_lt_u32_e32 0x37ffffff, v3
	s_xor_b32 s13, exec_lo, s13
	s_cbranch_execz .LBB15_2122
; %bb.1680:
	v_bfe_u32 v1, v3, 21, 1
	s_mov_b32 s12, exec_lo
	s_delay_alu instid0(VALU_DEP_1) | instskip(NEXT) | instid1(VALU_DEP_1)
	v_add3_u32 v1, v3, v1, 0x88fffff
                                        ; implicit-def: $vgpr3
	v_lshrrev_b32_e32 v1, 21, v1
	s_and_not1_saveexec_b32 s13, s13
	s_cbranch_execnz .LBB15_2123
.LBB15_1681:
	s_or_b32 exec_lo, exec_lo, s13
	v_mov_b32_e32 v5, 0
	s_and_saveexec_b32 s13, s12
.LBB15_1682:
	v_mov_b32_e32 v5, v1
.LBB15_1683:
	s_or_b32 exec_lo, exec_lo, s13
.LBB15_1684:
	s_delay_alu instid0(SALU_CYCLE_1)
	s_or_b32 exec_lo, exec_lo, s11
	s_mov_b32 s11, 0
	global_store_b8 v[6:7], v5, off
.LBB15_1685:
	s_and_b32 vcc_lo, exec_lo, s11
	s_cbranch_vccz .LBB15_1695
; %bb.1686:
	s_wait_xcnt 0x0
	v_cndmask_b32_e64 v3, 0, 1.0, s7
	s_mov_b32 s11, exec_lo
                                        ; implicit-def: $vgpr1
	s_delay_alu instid0(VALU_DEP_1)
	v_cmpx_gt_u32_e32 0x43f00000, v3
	s_xor_b32 s11, exec_lo, s11
	s_cbranch_execz .LBB15_1692
; %bb.1687:
	s_mov_b32 s12, exec_lo
                                        ; implicit-def: $vgpr1
	v_cmpx_lt_u32_e32 0x3c7fffff, v3
	s_xor_b32 s12, exec_lo, s12
; %bb.1688:
	v_bfe_u32 v1, v3, 20, 1
	s_delay_alu instid0(VALU_DEP_1) | instskip(NEXT) | instid1(VALU_DEP_1)
	v_add3_u32 v1, v3, v1, 0x407ffff
	v_and_b32_e32 v3, 0xff00000, v1
	v_lshrrev_b32_e32 v1, 20, v1
	s_delay_alu instid0(VALU_DEP_2) | instskip(NEXT) | instid1(VALU_DEP_2)
	v_cmp_ne_u32_e32 vcc_lo, 0x7f00000, v3
                                        ; implicit-def: $vgpr3
	v_cndmask_b32_e32 v1, 0x7e, v1, vcc_lo
; %bb.1689:
	s_and_not1_saveexec_b32 s12, s12
; %bb.1690:
	v_add_f32_e32 v1, 0x46800000, v3
; %bb.1691:
	s_or_b32 exec_lo, exec_lo, s12
                                        ; implicit-def: $vgpr3
.LBB15_1692:
	s_and_not1_saveexec_b32 s11, s11
; %bb.1693:
	v_mov_b32_e32 v1, 0x7f
	v_cmp_lt_u32_e32 vcc_lo, 0x7f800000, v3
	s_delay_alu instid0(VALU_DEP_2)
	v_cndmask_b32_e32 v1, 0x7e, v1, vcc_lo
; %bb.1694:
	s_or_b32 exec_lo, exec_lo, s11
	global_store_b8 v[6:7], v1, off
.LBB15_1695:
	s_mov_b32 s11, 0
.LBB15_1696:
	s_delay_alu instid0(SALU_CYCLE_1)
	s_and_not1_b32 vcc_lo, exec_lo, s11
	s_cbranch_vccnz .LBB15_1706
; %bb.1697:
	s_wait_xcnt 0x0
	v_cndmask_b32_e64 v3, 0, 1.0, s7
	s_mov_b32 s11, exec_lo
                                        ; implicit-def: $vgpr1
	s_delay_alu instid0(VALU_DEP_1)
	v_cmpx_gt_u32_e32 0x47800000, v3
	s_xor_b32 s11, exec_lo, s11
	s_cbranch_execz .LBB15_1703
; %bb.1698:
	s_mov_b32 s12, exec_lo
                                        ; implicit-def: $vgpr1
	v_cmpx_lt_u32_e32 0x387fffff, v3
	s_xor_b32 s12, exec_lo, s12
; %bb.1699:
	v_bfe_u32 v1, v3, 21, 1
	s_delay_alu instid0(VALU_DEP_1) | instskip(NEXT) | instid1(VALU_DEP_1)
	v_add3_u32 v1, v3, v1, 0x80fffff
                                        ; implicit-def: $vgpr3
	v_lshrrev_b32_e32 v1, 21, v1
; %bb.1700:
	s_and_not1_saveexec_b32 s12, s12
; %bb.1701:
	v_add_f32_e32 v1, 0x43000000, v3
; %bb.1702:
	s_or_b32 exec_lo, exec_lo, s12
                                        ; implicit-def: $vgpr3
.LBB15_1703:
	s_and_not1_saveexec_b32 s11, s11
; %bb.1704:
	v_mov_b32_e32 v1, 0x7f
	v_cmp_lt_u32_e32 vcc_lo, 0x7f800000, v3
	s_delay_alu instid0(VALU_DEP_2)
	v_cndmask_b32_e32 v1, 0x7c, v1, vcc_lo
; %bb.1705:
	s_or_b32 exec_lo, exec_lo, s11
	global_store_b8 v[6:7], v1, off
.LBB15_1706:
	s_mov_b32 s11, 0
	s_mov_b32 s12, -1
.LBB15_1707:
	s_and_not1_b32 vcc_lo, exec_lo, s11
	s_mov_b32 s11, 0
	s_cbranch_vccnz .LBB15_1714
; %bb.1708:
	s_cmp_gt_i32 s10, 14
	s_mov_b32 s11, -1
	s_cbranch_scc0 .LBB15_1712
; %bb.1709:
	s_cmp_eq_u32 s10, 15
	s_mov_b32 s0, -1
	s_cbranch_scc0 .LBB15_1711
; %bb.1710:
	s_wait_xcnt 0x0
	v_cndmask_b32_e64 v1, 0, 1.0, s7
	s_mov_b32 s0, 0
	s_mov_b32 s12, -1
	s_delay_alu instid0(VALU_DEP_1) | instskip(NEXT) | instid1(VALU_DEP_1)
	v_bfe_u32 v3, v1, 16, 1
	v_add3_u32 v1, v1, v3, 0x7fff
	global_store_d16_hi_b16 v[6:7], v1, off
.LBB15_1711:
	s_mov_b32 s11, 0
.LBB15_1712:
	s_delay_alu instid0(SALU_CYCLE_1)
	s_and_b32 vcc_lo, exec_lo, s11
	s_mov_b32 s11, 0
	s_cbranch_vccz .LBB15_1714
; %bb.1713:
	s_cmp_lg_u32 s10, 11
	s_mov_b32 s11, -1
	s_cselect_b32 s0, -1, 0
.LBB15_1714:
	s_delay_alu instid0(SALU_CYCLE_1)
	s_and_b32 vcc_lo, exec_lo, s0
	s_cbranch_vccnz .LBB15_2121
; %bb.1715:
	s_and_not1_b32 vcc_lo, exec_lo, s11
	s_cbranch_vccnz .LBB15_1717
.LBB15_1716:
	s_wait_xcnt 0x0
	v_cndmask_b32_e64 v1, 0, 1, s7
	s_mov_b32 s12, -1
	global_store_b8 v[6:7], v1, off
.LBB15_1717:
.LBB15_1718:
	s_and_not1_b32 vcc_lo, exec_lo, s12
	s_cbranch_vccnz .LBB15_2072
	s_branch .LBB15_1758
.LBB15_1719:
	s_and_b32 vcc_lo, exec_lo, s0
	s_cbranch_vccz .LBB15_1718
; %bb.1720:
	s_and_b32 s0, 0xffff, s2
	s_mov_b32 s10, -1
	s_cmp_lt_i32 s0, 5
	s_cbranch_scc1 .LBB15_1741
; %bb.1721:
	s_cmp_lt_i32 s0, 8
	s_cbranch_scc1 .LBB15_1731
; %bb.1722:
	;; [unrolled: 3-line block ×3, first 2 shown]
	s_cmp_gt_i32 s0, 9
	s_cbranch_scc0 .LBB15_1725
; %bb.1724:
	s_wait_xcnt 0x0
	v_cndmask_b32_e64 v1, 0, 1, s7
	v_mov_b32_e32 v18, 0
	s_mov_b32 s10, 0
	s_delay_alu instid0(VALU_DEP_2) | instskip(NEXT) | instid1(VALU_DEP_2)
	v_cvt_f64_u32_e32 v[16:17], v1
	v_mov_b32_e32 v19, v18
	global_store_b128 v[6:7], v[16:19], off
.LBB15_1725:
	s_and_not1_b32 vcc_lo, exec_lo, s10
	s_cbranch_vccnz .LBB15_1727
; %bb.1726:
	s_wait_xcnt 0x0
	v_cndmask_b32_e64 v8, 0, 1.0, s7
	v_mov_b32_e32 v9, 0
	global_store_b64 v[6:7], v[8:9], off
.LBB15_1727:
	s_mov_b32 s10, 0
.LBB15_1728:
	s_delay_alu instid0(SALU_CYCLE_1)
	s_and_not1_b32 vcc_lo, exec_lo, s10
	s_cbranch_vccnz .LBB15_1730
; %bb.1729:
	s_wait_xcnt 0x0
	v_cndmask_b32_e64 v1, 0, 1.0, s7
	s_delay_alu instid0(VALU_DEP_1) | instskip(NEXT) | instid1(VALU_DEP_1)
	v_cvt_f16_f32_e32 v1, v1
	v_and_b32_e32 v1, 0xffff, v1
	global_store_b32 v[6:7], v1, off
.LBB15_1730:
	s_mov_b32 s10, 0
.LBB15_1731:
	s_delay_alu instid0(SALU_CYCLE_1)
	s_and_not1_b32 vcc_lo, exec_lo, s10
	s_cbranch_vccnz .LBB15_1740
; %bb.1732:
	s_cmp_lt_i32 s0, 6
	s_mov_b32 s10, -1
	s_cbranch_scc1 .LBB15_1738
; %bb.1733:
	s_cmp_gt_i32 s0, 6
	s_cbranch_scc0 .LBB15_1735
; %bb.1734:
	s_wait_xcnt 0x0
	v_cndmask_b32_e64 v1, 0, 1, s7
	s_mov_b32 s10, 0
	s_delay_alu instid0(VALU_DEP_1)
	v_cvt_f64_u32_e32 v[8:9], v1
	global_store_b64 v[6:7], v[8:9], off
.LBB15_1735:
	s_and_not1_b32 vcc_lo, exec_lo, s10
	s_cbranch_vccnz .LBB15_1737
; %bb.1736:
	s_wait_xcnt 0x0
	v_cndmask_b32_e64 v1, 0, 1.0, s7
	global_store_b32 v[6:7], v1, off
.LBB15_1737:
	s_mov_b32 s10, 0
.LBB15_1738:
	s_delay_alu instid0(SALU_CYCLE_1)
	s_and_not1_b32 vcc_lo, exec_lo, s10
	s_cbranch_vccnz .LBB15_1740
; %bb.1739:
	s_wait_xcnt 0x0
	v_cndmask_b32_e64 v1, 0, 1.0, s7
	s_delay_alu instid0(VALU_DEP_1)
	v_cvt_f16_f32_e32 v1, v1
	global_store_b16 v[6:7], v1, off
.LBB15_1740:
	s_mov_b32 s10, 0
.LBB15_1741:
	s_delay_alu instid0(SALU_CYCLE_1)
	s_and_not1_b32 vcc_lo, exec_lo, s10
	s_cbranch_vccnz .LBB15_1757
; %bb.1742:
	s_cmp_lt_i32 s0, 2
	s_mov_b32 s10, -1
	s_cbranch_scc1 .LBB15_1752
; %bb.1743:
	s_cmp_lt_i32 s0, 3
	s_cbranch_scc1 .LBB15_1749
; %bb.1744:
	s_cmp_gt_i32 s0, 3
	s_cbranch_scc0 .LBB15_1746
; %bb.1745:
	s_mov_b32 s10, 0
	s_wait_xcnt 0x0
	v_cndmask_b32_e64 v8, 0, 1, s7
	v_mov_b32_e32 v9, s10
	global_store_b64 v[6:7], v[8:9], off
.LBB15_1746:
	s_and_not1_b32 vcc_lo, exec_lo, s10
	s_cbranch_vccnz .LBB15_1748
; %bb.1747:
	s_wait_xcnt 0x0
	v_cndmask_b32_e64 v1, 0, 1, s7
	global_store_b32 v[6:7], v1, off
.LBB15_1748:
	s_mov_b32 s10, 0
.LBB15_1749:
	s_delay_alu instid0(SALU_CYCLE_1)
	s_and_not1_b32 vcc_lo, exec_lo, s10
	s_cbranch_vccnz .LBB15_1751
; %bb.1750:
	s_wait_xcnt 0x0
	v_cndmask_b32_e64 v1, 0, 1, s7
	global_store_b16 v[6:7], v1, off
.LBB15_1751:
	s_mov_b32 s10, 0
.LBB15_1752:
	s_delay_alu instid0(SALU_CYCLE_1)
	s_and_not1_b32 vcc_lo, exec_lo, s10
	s_cbranch_vccnz .LBB15_1757
; %bb.1753:
	s_wait_xcnt 0x0
	v_cndmask_b32_e64 v1, 0, 1, s7
	s_cmp_gt_i32 s0, 0
	s_mov_b32 s0, -1
	s_cbranch_scc0 .LBB15_1755
; %bb.1754:
	s_mov_b32 s0, 0
	global_store_b8 v[6:7], v1, off
.LBB15_1755:
	s_and_not1_b32 vcc_lo, exec_lo, s0
	s_cbranch_vccnz .LBB15_1757
; %bb.1756:
	global_store_b8 v[6:7], v1, off
.LBB15_1757:
.LBB15_1758:
	s_wait_xcnt 0x0
	v_and_b32_e32 v1, 0xff, v10
	v_mov_b32_e32 v5, 0
	s_and_b32 s7, 0xffff, s2
	s_delay_alu instid0(VALU_DEP_2) | instskip(NEXT) | instid1(VALU_DEP_2)
	v_cmp_ne_u16_e32 vcc_lo, s6, v1
	v_add_nc_u64_e32 v[4:5], s[4:5], v[4:5]
	s_xor_b32 s10, s3, vcc_lo
	s_cmp_lt_i32 s7, 11
	s_cbranch_scc1 .LBB15_1836
; %bb.1759:
	s_mov_b32 s13, -1
	s_mov_b32 s11, 0
	s_cmp_gt_i32 s7, 25
	s_mov_b32 s12, 0
	s_mov_b32 s0, 0
	s_cbranch_scc0 .LBB15_1792
; %bb.1760:
	s_cmp_gt_i32 s7, 28
	s_cbranch_scc0 .LBB15_1775
; %bb.1761:
	s_cmp_gt_i32 s7, 43
	;; [unrolled: 3-line block ×3, first 2 shown]
	s_cbranch_scc0 .LBB15_1765
; %bb.1763:
	s_mov_b32 s0, -1
	s_mov_b32 s13, 0
	s_cmp_eq_u32 s7, 46
	s_cbranch_scc0 .LBB15_1765
; %bb.1764:
	v_cndmask_b32_e64 v1, 0, 1.0, s10
	s_mov_b32 s0, 0
	s_mov_b32 s12, -1
	s_delay_alu instid0(VALU_DEP_1) | instskip(NEXT) | instid1(VALU_DEP_1)
	v_bfe_u32 v3, v1, 16, 1
	v_add3_u32 v1, v1, v3, 0x7fff
	s_delay_alu instid0(VALU_DEP_1)
	v_lshrrev_b32_e32 v1, 16, v1
	global_store_b32 v[4:5], v1, off
.LBB15_1765:
	s_and_b32 vcc_lo, exec_lo, s13
	s_cbranch_vccz .LBB15_1770
; %bb.1766:
	s_cmp_eq_u32 s7, 44
	s_mov_b32 s0, -1
	s_cbranch_scc0 .LBB15_1770
; %bb.1767:
	v_cndmask_b32_e64 v6, 0, 1.0, s10
	v_mov_b32_e32 v3, 0xff
	s_mov_b32 s12, exec_lo
	s_wait_xcnt 0x0
	s_delay_alu instid0(VALU_DEP_2) | instskip(NEXT) | instid1(VALU_DEP_1)
	v_lshrrev_b32_e32 v1, 23, v6
	v_cmpx_ne_u32_e32 0xff, v1
; %bb.1768:
	v_and_b32_e32 v3, 0x400000, v6
	v_and_or_b32 v6, 0x3fffff, v6, v1
	s_delay_alu instid0(VALU_DEP_2) | instskip(NEXT) | instid1(VALU_DEP_2)
	v_cmp_ne_u32_e32 vcc_lo, 0, v3
	v_cmp_ne_u32_e64 s0, 0, v6
	s_and_b32 s0, vcc_lo, s0
	s_delay_alu instid0(SALU_CYCLE_1) | instskip(NEXT) | instid1(VALU_DEP_1)
	v_cndmask_b32_e64 v3, 0, 1, s0
	v_add_nc_u32_e32 v3, v1, v3
; %bb.1769:
	s_or_b32 exec_lo, exec_lo, s12
	s_mov_b32 s0, 0
	s_mov_b32 s12, -1
	global_store_b8 v[4:5], v3, off
.LBB15_1770:
	s_mov_b32 s13, 0
.LBB15_1771:
	s_delay_alu instid0(SALU_CYCLE_1)
	s_and_b32 vcc_lo, exec_lo, s13
	s_cbranch_vccz .LBB15_1774
; %bb.1772:
	s_cmp_eq_u32 s7, 29
	s_mov_b32 s0, -1
	s_cbranch_scc0 .LBB15_1774
; %bb.1773:
	s_mov_b32 s0, 0
	v_cndmask_b32_e64 v6, 0, 1, s10
	v_mov_b32_e32 v7, s0
	s_mov_b32 s12, -1
	global_store_b64 v[4:5], v[6:7], off
.LBB15_1774:
	s_mov_b32 s13, 0
.LBB15_1775:
	s_delay_alu instid0(SALU_CYCLE_1)
	s_and_b32 vcc_lo, exec_lo, s13
	s_cbranch_vccz .LBB15_1791
; %bb.1776:
	s_cmp_lt_i32 s7, 27
	s_mov_b32 s12, -1
	s_cbranch_scc1 .LBB15_1782
; %bb.1777:
	s_cmp_gt_i32 s7, 27
	s_cbranch_scc0 .LBB15_1779
; %bb.1778:
	s_wait_xcnt 0x0
	v_cndmask_b32_e64 v1, 0, 1, s10
	s_mov_b32 s12, 0
	global_store_b32 v[4:5], v1, off
.LBB15_1779:
	s_and_not1_b32 vcc_lo, exec_lo, s12
	s_cbranch_vccnz .LBB15_1781
; %bb.1780:
	s_wait_xcnt 0x0
	v_cndmask_b32_e64 v1, 0, 1, s10
	global_store_b16 v[4:5], v1, off
.LBB15_1781:
	s_mov_b32 s12, 0
.LBB15_1782:
	s_delay_alu instid0(SALU_CYCLE_1)
	s_and_not1_b32 vcc_lo, exec_lo, s12
	s_cbranch_vccnz .LBB15_1790
; %bb.1783:
	s_wait_xcnt 0x0
	v_cndmask_b32_e64 v3, 0, 1.0, s10
	v_mov_b32_e32 v6, 0x80
	s_mov_b32 s12, exec_lo
	s_delay_alu instid0(VALU_DEP_2)
	v_cmpx_gt_u32_e32 0x43800000, v3
	s_cbranch_execz .LBB15_1789
; %bb.1784:
	s_mov_b32 s13, 0
	s_mov_b32 s14, exec_lo
                                        ; implicit-def: $vgpr1
	v_cmpx_lt_u32_e32 0x3bffffff, v3
	s_xor_b32 s14, exec_lo, s14
	s_cbranch_execz .LBB15_2124
; %bb.1785:
	v_bfe_u32 v1, v3, 20, 1
	s_mov_b32 s13, exec_lo
	s_delay_alu instid0(VALU_DEP_1) | instskip(NEXT) | instid1(VALU_DEP_1)
	v_add3_u32 v1, v3, v1, 0x487ffff
                                        ; implicit-def: $vgpr3
	v_lshrrev_b32_e32 v1, 20, v1
	s_and_not1_saveexec_b32 s14, s14
	s_cbranch_execnz .LBB15_2125
.LBB15_1786:
	s_or_b32 exec_lo, exec_lo, s14
	v_mov_b32_e32 v6, 0
	s_and_saveexec_b32 s14, s13
.LBB15_1787:
	v_mov_b32_e32 v6, v1
.LBB15_1788:
	s_or_b32 exec_lo, exec_lo, s14
.LBB15_1789:
	s_delay_alu instid0(SALU_CYCLE_1)
	s_or_b32 exec_lo, exec_lo, s12
	global_store_b8 v[4:5], v6, off
.LBB15_1790:
	s_mov_b32 s12, -1
.LBB15_1791:
	s_mov_b32 s13, 0
.LBB15_1792:
	s_delay_alu instid0(SALU_CYCLE_1)
	s_and_b32 vcc_lo, exec_lo, s13
	s_cbranch_vccz .LBB15_1832
; %bb.1793:
	s_cmp_gt_i32 s7, 22
	s_mov_b32 s11, -1
	s_cbranch_scc0 .LBB15_1825
; %bb.1794:
	s_cmp_lt_i32 s7, 24
	s_cbranch_scc1 .LBB15_1814
; %bb.1795:
	s_cmp_gt_i32 s7, 24
	s_cbranch_scc0 .LBB15_1803
; %bb.1796:
	s_wait_xcnt 0x0
	v_cndmask_b32_e64 v3, 0, 1.0, s10
	v_mov_b32_e32 v6, 0x80
	s_mov_b32 s11, exec_lo
	s_delay_alu instid0(VALU_DEP_2)
	v_cmpx_gt_u32_e32 0x47800000, v3
	s_cbranch_execz .LBB15_1802
; %bb.1797:
	s_mov_b32 s12, 0
	s_mov_b32 s13, exec_lo
                                        ; implicit-def: $vgpr1
	v_cmpx_lt_u32_e32 0x37ffffff, v3
	s_xor_b32 s13, exec_lo, s13
	s_cbranch_execz .LBB15_2127
; %bb.1798:
	v_bfe_u32 v1, v3, 21, 1
	s_mov_b32 s12, exec_lo
	s_delay_alu instid0(VALU_DEP_1) | instskip(NEXT) | instid1(VALU_DEP_1)
	v_add3_u32 v1, v3, v1, 0x88fffff
                                        ; implicit-def: $vgpr3
	v_lshrrev_b32_e32 v1, 21, v1
	s_and_not1_saveexec_b32 s13, s13
	s_cbranch_execnz .LBB15_2128
.LBB15_1799:
	s_or_b32 exec_lo, exec_lo, s13
	v_mov_b32_e32 v6, 0
	s_and_saveexec_b32 s13, s12
.LBB15_1800:
	v_mov_b32_e32 v6, v1
.LBB15_1801:
	s_or_b32 exec_lo, exec_lo, s13
.LBB15_1802:
	s_delay_alu instid0(SALU_CYCLE_1)
	s_or_b32 exec_lo, exec_lo, s11
	s_mov_b32 s11, 0
	global_store_b8 v[4:5], v6, off
.LBB15_1803:
	s_and_b32 vcc_lo, exec_lo, s11
	s_cbranch_vccz .LBB15_1813
; %bb.1804:
	s_wait_xcnt 0x0
	v_cndmask_b32_e64 v3, 0, 1.0, s10
	s_mov_b32 s11, exec_lo
                                        ; implicit-def: $vgpr1
	s_delay_alu instid0(VALU_DEP_1)
	v_cmpx_gt_u32_e32 0x43f00000, v3
	s_xor_b32 s11, exec_lo, s11
	s_cbranch_execz .LBB15_1810
; %bb.1805:
	s_mov_b32 s12, exec_lo
                                        ; implicit-def: $vgpr1
	v_cmpx_lt_u32_e32 0x3c7fffff, v3
	s_xor_b32 s12, exec_lo, s12
; %bb.1806:
	v_bfe_u32 v1, v3, 20, 1
	s_delay_alu instid0(VALU_DEP_1) | instskip(NEXT) | instid1(VALU_DEP_1)
	v_add3_u32 v1, v3, v1, 0x407ffff
	v_and_b32_e32 v3, 0xff00000, v1
	v_lshrrev_b32_e32 v1, 20, v1
	s_delay_alu instid0(VALU_DEP_2) | instskip(NEXT) | instid1(VALU_DEP_2)
	v_cmp_ne_u32_e32 vcc_lo, 0x7f00000, v3
                                        ; implicit-def: $vgpr3
	v_cndmask_b32_e32 v1, 0x7e, v1, vcc_lo
; %bb.1807:
	s_and_not1_saveexec_b32 s12, s12
; %bb.1808:
	v_add_f32_e32 v1, 0x46800000, v3
; %bb.1809:
	s_or_b32 exec_lo, exec_lo, s12
                                        ; implicit-def: $vgpr3
.LBB15_1810:
	s_and_not1_saveexec_b32 s11, s11
; %bb.1811:
	v_mov_b32_e32 v1, 0x7f
	v_cmp_lt_u32_e32 vcc_lo, 0x7f800000, v3
	s_delay_alu instid0(VALU_DEP_2)
	v_cndmask_b32_e32 v1, 0x7e, v1, vcc_lo
; %bb.1812:
	s_or_b32 exec_lo, exec_lo, s11
	global_store_b8 v[4:5], v1, off
.LBB15_1813:
	s_mov_b32 s11, 0
.LBB15_1814:
	s_delay_alu instid0(SALU_CYCLE_1)
	s_and_not1_b32 vcc_lo, exec_lo, s11
	s_cbranch_vccnz .LBB15_1824
; %bb.1815:
	s_wait_xcnt 0x0
	v_cndmask_b32_e64 v3, 0, 1.0, s10
	s_mov_b32 s11, exec_lo
                                        ; implicit-def: $vgpr1
	s_delay_alu instid0(VALU_DEP_1)
	v_cmpx_gt_u32_e32 0x47800000, v3
	s_xor_b32 s11, exec_lo, s11
	s_cbranch_execz .LBB15_1821
; %bb.1816:
	s_mov_b32 s12, exec_lo
                                        ; implicit-def: $vgpr1
	v_cmpx_lt_u32_e32 0x387fffff, v3
	s_xor_b32 s12, exec_lo, s12
; %bb.1817:
	v_bfe_u32 v1, v3, 21, 1
	s_delay_alu instid0(VALU_DEP_1) | instskip(NEXT) | instid1(VALU_DEP_1)
	v_add3_u32 v1, v3, v1, 0x80fffff
                                        ; implicit-def: $vgpr3
	v_lshrrev_b32_e32 v1, 21, v1
; %bb.1818:
	s_and_not1_saveexec_b32 s12, s12
; %bb.1819:
	v_add_f32_e32 v1, 0x43000000, v3
; %bb.1820:
	s_or_b32 exec_lo, exec_lo, s12
                                        ; implicit-def: $vgpr3
.LBB15_1821:
	s_and_not1_saveexec_b32 s11, s11
; %bb.1822:
	v_mov_b32_e32 v1, 0x7f
	v_cmp_lt_u32_e32 vcc_lo, 0x7f800000, v3
	s_delay_alu instid0(VALU_DEP_2)
	v_cndmask_b32_e32 v1, 0x7c, v1, vcc_lo
; %bb.1823:
	s_or_b32 exec_lo, exec_lo, s11
	global_store_b8 v[4:5], v1, off
.LBB15_1824:
	s_mov_b32 s11, 0
	s_mov_b32 s12, -1
.LBB15_1825:
	s_and_not1_b32 vcc_lo, exec_lo, s11
	s_mov_b32 s11, 0
	s_cbranch_vccnz .LBB15_1832
; %bb.1826:
	s_cmp_gt_i32 s7, 14
	s_mov_b32 s11, -1
	s_cbranch_scc0 .LBB15_1830
; %bb.1827:
	s_cmp_eq_u32 s7, 15
	s_mov_b32 s0, -1
	s_cbranch_scc0 .LBB15_1829
; %bb.1828:
	s_wait_xcnt 0x0
	v_cndmask_b32_e64 v1, 0, 1.0, s10
	s_mov_b32 s0, 0
	s_mov_b32 s12, -1
	s_delay_alu instid0(VALU_DEP_1) | instskip(NEXT) | instid1(VALU_DEP_1)
	v_bfe_u32 v3, v1, 16, 1
	v_add3_u32 v1, v1, v3, 0x7fff
	global_store_d16_hi_b16 v[4:5], v1, off
.LBB15_1829:
	s_mov_b32 s11, 0
.LBB15_1830:
	s_delay_alu instid0(SALU_CYCLE_1)
	s_and_b32 vcc_lo, exec_lo, s11
	s_mov_b32 s11, 0
	s_cbranch_vccz .LBB15_1832
; %bb.1831:
	s_cmp_lg_u32 s7, 11
	s_mov_b32 s11, -1
	s_cselect_b32 s0, -1, 0
.LBB15_1832:
	s_delay_alu instid0(SALU_CYCLE_1)
	s_and_b32 vcc_lo, exec_lo, s0
	s_cbranch_vccnz .LBB15_2126
; %bb.1833:
	s_and_not1_b32 vcc_lo, exec_lo, s11
	s_cbranch_vccnz .LBB15_1835
.LBB15_1834:
	s_wait_xcnt 0x0
	v_cndmask_b32_e64 v1, 0, 1, s10
	s_mov_b32 s12, -1
	global_store_b8 v[4:5], v1, off
.LBB15_1835:
	s_mov_b32 s0, 0
	s_branch .LBB15_1837
.LBB15_1836:
	s_mov_b32 s0, -1
	s_mov_b32 s12, 0
.LBB15_1837:
	s_and_b32 vcc_lo, exec_lo, s0
	s_cbranch_vccz .LBB15_1876
; %bb.1838:
	s_cmp_lt_i32 s7, 5
	s_mov_b32 s0, -1
	s_cbranch_scc1 .LBB15_1859
; %bb.1839:
	s_cmp_lt_i32 s7, 8
	s_cbranch_scc1 .LBB15_1849
; %bb.1840:
	s_cmp_lt_i32 s7, 9
	s_cbranch_scc1 .LBB15_1846
; %bb.1841:
	s_cmp_gt_i32 s7, 9
	s_cbranch_scc0 .LBB15_1843
; %bb.1842:
	s_wait_xcnt 0x0
	v_cndmask_b32_e64 v1, 0, 1, s10
	v_mov_b32_e32 v8, 0
	s_mov_b32 s0, 0
	s_delay_alu instid0(VALU_DEP_2) | instskip(NEXT) | instid1(VALU_DEP_2)
	v_cvt_f64_u32_e32 v[6:7], v1
	v_mov_b32_e32 v9, v8
	global_store_b128 v[4:5], v[6:9], off
.LBB15_1843:
	s_and_not1_b32 vcc_lo, exec_lo, s0
	s_cbranch_vccnz .LBB15_1845
; %bb.1844:
	s_wait_xcnt 0x0
	v_cndmask_b32_e64 v6, 0, 1.0, s10
	v_mov_b32_e32 v7, 0
	global_store_b64 v[4:5], v[6:7], off
.LBB15_1845:
	s_mov_b32 s0, 0
.LBB15_1846:
	s_delay_alu instid0(SALU_CYCLE_1)
	s_and_not1_b32 vcc_lo, exec_lo, s0
	s_cbranch_vccnz .LBB15_1848
; %bb.1847:
	s_wait_xcnt 0x0
	v_cndmask_b32_e64 v1, 0, 1.0, s10
	s_delay_alu instid0(VALU_DEP_1) | instskip(NEXT) | instid1(VALU_DEP_1)
	v_cvt_f16_f32_e32 v1, v1
	v_and_b32_e32 v1, 0xffff, v1
	global_store_b32 v[4:5], v1, off
.LBB15_1848:
	s_mov_b32 s0, 0
.LBB15_1849:
	s_delay_alu instid0(SALU_CYCLE_1)
	s_and_not1_b32 vcc_lo, exec_lo, s0
	s_cbranch_vccnz .LBB15_1858
; %bb.1850:
	s_cmp_lt_i32 s7, 6
	s_mov_b32 s0, -1
	s_cbranch_scc1 .LBB15_1856
; %bb.1851:
	s_cmp_gt_i32 s7, 6
	s_cbranch_scc0 .LBB15_1853
; %bb.1852:
	s_wait_xcnt 0x0
	v_cndmask_b32_e64 v1, 0, 1, s10
	s_mov_b32 s0, 0
	s_delay_alu instid0(VALU_DEP_1)
	v_cvt_f64_u32_e32 v[6:7], v1
	global_store_b64 v[4:5], v[6:7], off
.LBB15_1853:
	s_and_not1_b32 vcc_lo, exec_lo, s0
	s_cbranch_vccnz .LBB15_1855
; %bb.1854:
	s_wait_xcnt 0x0
	v_cndmask_b32_e64 v1, 0, 1.0, s10
	global_store_b32 v[4:5], v1, off
.LBB15_1855:
	s_mov_b32 s0, 0
.LBB15_1856:
	s_delay_alu instid0(SALU_CYCLE_1)
	s_and_not1_b32 vcc_lo, exec_lo, s0
	s_cbranch_vccnz .LBB15_1858
; %bb.1857:
	s_wait_xcnt 0x0
	v_cndmask_b32_e64 v1, 0, 1.0, s10
	s_delay_alu instid0(VALU_DEP_1)
	v_cvt_f16_f32_e32 v1, v1
	global_store_b16 v[4:5], v1, off
.LBB15_1858:
	s_mov_b32 s0, 0
.LBB15_1859:
	s_delay_alu instid0(SALU_CYCLE_1)
	s_and_not1_b32 vcc_lo, exec_lo, s0
	s_cbranch_vccnz .LBB15_1875
; %bb.1860:
	s_cmp_lt_i32 s7, 2
	s_mov_b32 s0, -1
	s_cbranch_scc1 .LBB15_1870
; %bb.1861:
	s_cmp_lt_i32 s7, 3
	s_cbranch_scc1 .LBB15_1867
; %bb.1862:
	s_cmp_gt_i32 s7, 3
	s_cbranch_scc0 .LBB15_1864
; %bb.1863:
	s_mov_b32 s0, 0
	s_wait_xcnt 0x0
	v_cndmask_b32_e64 v6, 0, 1, s10
	v_mov_b32_e32 v7, s0
	global_store_b64 v[4:5], v[6:7], off
.LBB15_1864:
	s_and_not1_b32 vcc_lo, exec_lo, s0
	s_cbranch_vccnz .LBB15_1866
; %bb.1865:
	s_wait_xcnt 0x0
	v_cndmask_b32_e64 v1, 0, 1, s10
	global_store_b32 v[4:5], v1, off
.LBB15_1866:
	s_mov_b32 s0, 0
.LBB15_1867:
	s_delay_alu instid0(SALU_CYCLE_1)
	s_and_not1_b32 vcc_lo, exec_lo, s0
	s_cbranch_vccnz .LBB15_1869
; %bb.1868:
	s_wait_xcnt 0x0
	v_cndmask_b32_e64 v1, 0, 1, s10
	global_store_b16 v[4:5], v1, off
.LBB15_1869:
	s_mov_b32 s0, 0
.LBB15_1870:
	s_delay_alu instid0(SALU_CYCLE_1)
	s_and_not1_b32 vcc_lo, exec_lo, s0
	s_cbranch_vccnz .LBB15_1875
; %bb.1871:
	s_wait_xcnt 0x0
	v_cndmask_b32_e64 v1, 0, 1, s10
	s_cmp_gt_i32 s7, 0
	s_mov_b32 s0, -1
	s_cbranch_scc0 .LBB15_1873
; %bb.1872:
	s_mov_b32 s0, 0
	global_store_b8 v[4:5], v1, off
.LBB15_1873:
	s_and_not1_b32 vcc_lo, exec_lo, s0
	s_cbranch_vccnz .LBB15_1875
; %bb.1874:
	global_store_b8 v[4:5], v1, off
.LBB15_1875:
	s_mov_b32 s12, -1
.LBB15_1876:
	s_delay_alu instid0(SALU_CYCLE_1)
	s_and_not1_b32 vcc_lo, exec_lo, s12
	s_cbranch_vccnz .LBB15_2072
; %bb.1877:
	s_wait_xcnt 0x0
	v_and_b32_e32 v1, 0xff, v12
	v_mov_b32_e32 v3, 0
	s_delay_alu instid0(VALU_DEP_2) | instskip(NEXT) | instid1(VALU_DEP_2)
	v_cmp_ne_u16_e32 vcc_lo, s6, v1
	v_add_nc_u64_e32 v[2:3], s[4:5], v[2:3]
	s_xor_b32 s10, s3, vcc_lo
	s_cmp_lt_i32 s7, 11
	s_cbranch_scc1 .LBB15_1955
; %bb.1878:
	s_mov_b32 s13, -1
	s_mov_b32 s11, 0
	s_cmp_gt_i32 s7, 25
	s_mov_b32 s12, 0
	s_mov_b32 s0, 0
	s_cbranch_scc0 .LBB15_1911
; %bb.1879:
	s_cmp_gt_i32 s7, 28
	s_cbranch_scc0 .LBB15_1894
; %bb.1880:
	s_cmp_gt_i32 s7, 43
	;; [unrolled: 3-line block ×3, first 2 shown]
	s_cbranch_scc0 .LBB15_1884
; %bb.1882:
	s_mov_b32 s0, -1
	s_mov_b32 s13, 0
	s_cmp_eq_u32 s7, 46
	s_cbranch_scc0 .LBB15_1884
; %bb.1883:
	v_cndmask_b32_e64 v1, 0, 1.0, s10
	s_mov_b32 s0, 0
	s_mov_b32 s12, -1
	s_delay_alu instid0(VALU_DEP_1) | instskip(NEXT) | instid1(VALU_DEP_1)
	v_bfe_u32 v4, v1, 16, 1
	v_add3_u32 v1, v1, v4, 0x7fff
	s_delay_alu instid0(VALU_DEP_1)
	v_lshrrev_b32_e32 v1, 16, v1
	global_store_b32 v[2:3], v1, off
.LBB15_1884:
	s_and_b32 vcc_lo, exec_lo, s13
	s_cbranch_vccz .LBB15_1889
; %bb.1885:
	s_cmp_eq_u32 s7, 44
	s_mov_b32 s0, -1
	s_cbranch_scc0 .LBB15_1889
; %bb.1886:
	v_cndmask_b32_e64 v5, 0, 1.0, s10
	s_mov_b32 s12, exec_lo
	s_wait_xcnt 0x0
	s_delay_alu instid0(VALU_DEP_1) | instskip(NEXT) | instid1(VALU_DEP_1)
	v_dual_mov_b32 v4, 0xff :: v_dual_lshrrev_b32 v1, 23, v5
	v_cmpx_ne_u32_e32 0xff, v1
; %bb.1887:
	v_and_b32_e32 v4, 0x400000, v5
	v_and_or_b32 v5, 0x3fffff, v5, v1
	s_delay_alu instid0(VALU_DEP_2) | instskip(NEXT) | instid1(VALU_DEP_2)
	v_cmp_ne_u32_e32 vcc_lo, 0, v4
	v_cmp_ne_u32_e64 s0, 0, v5
	s_and_b32 s0, vcc_lo, s0
	s_delay_alu instid0(SALU_CYCLE_1) | instskip(NEXT) | instid1(VALU_DEP_1)
	v_cndmask_b32_e64 v4, 0, 1, s0
	v_add_nc_u32_e32 v4, v1, v4
; %bb.1888:
	s_or_b32 exec_lo, exec_lo, s12
	s_mov_b32 s0, 0
	s_mov_b32 s12, -1
	global_store_b8 v[2:3], v4, off
.LBB15_1889:
	s_mov_b32 s13, 0
.LBB15_1890:
	s_delay_alu instid0(SALU_CYCLE_1)
	s_and_b32 vcc_lo, exec_lo, s13
	s_cbranch_vccz .LBB15_1893
; %bb.1891:
	s_cmp_eq_u32 s7, 29
	s_mov_b32 s0, -1
	s_cbranch_scc0 .LBB15_1893
; %bb.1892:
	s_mov_b32 s0, 0
	s_wait_xcnt 0x0
	v_cndmask_b32_e64 v4, 0, 1, s10
	v_mov_b32_e32 v5, s0
	s_mov_b32 s12, -1
	global_store_b64 v[2:3], v[4:5], off
.LBB15_1893:
	s_mov_b32 s13, 0
.LBB15_1894:
	s_delay_alu instid0(SALU_CYCLE_1)
	s_and_b32 vcc_lo, exec_lo, s13
	s_cbranch_vccz .LBB15_1910
; %bb.1895:
	s_cmp_lt_i32 s7, 27
	s_mov_b32 s12, -1
	s_cbranch_scc1 .LBB15_1901
; %bb.1896:
	s_cmp_gt_i32 s7, 27
	s_cbranch_scc0 .LBB15_1898
; %bb.1897:
	s_wait_xcnt 0x0
	v_cndmask_b32_e64 v1, 0, 1, s10
	s_mov_b32 s12, 0
	global_store_b32 v[2:3], v1, off
.LBB15_1898:
	s_and_not1_b32 vcc_lo, exec_lo, s12
	s_cbranch_vccnz .LBB15_1900
; %bb.1899:
	s_wait_xcnt 0x0
	v_cndmask_b32_e64 v1, 0, 1, s10
	global_store_b16 v[2:3], v1, off
.LBB15_1900:
	s_mov_b32 s12, 0
.LBB15_1901:
	s_delay_alu instid0(SALU_CYCLE_1)
	s_and_not1_b32 vcc_lo, exec_lo, s12
	s_cbranch_vccnz .LBB15_1909
; %bb.1902:
	s_wait_xcnt 0x0
	v_cndmask_b32_e64 v4, 0, 1.0, s10
	v_mov_b32_e32 v5, 0x80
	s_mov_b32 s12, exec_lo
	s_delay_alu instid0(VALU_DEP_2)
	v_cmpx_gt_u32_e32 0x43800000, v4
	s_cbranch_execz .LBB15_1908
; %bb.1903:
	s_mov_b32 s13, 0
	s_mov_b32 s14, exec_lo
                                        ; implicit-def: $vgpr1
	v_cmpx_lt_u32_e32 0x3bffffff, v4
	s_xor_b32 s14, exec_lo, s14
	s_cbranch_execz .LBB15_2129
; %bb.1904:
	v_bfe_u32 v1, v4, 20, 1
	s_mov_b32 s13, exec_lo
	s_delay_alu instid0(VALU_DEP_1) | instskip(NEXT) | instid1(VALU_DEP_1)
	v_add3_u32 v1, v4, v1, 0x487ffff
                                        ; implicit-def: $vgpr4
	v_lshrrev_b32_e32 v1, 20, v1
	s_and_not1_saveexec_b32 s14, s14
	s_cbranch_execnz .LBB15_2130
.LBB15_1905:
	s_or_b32 exec_lo, exec_lo, s14
	v_mov_b32_e32 v5, 0
	s_and_saveexec_b32 s14, s13
.LBB15_1906:
	v_mov_b32_e32 v5, v1
.LBB15_1907:
	s_or_b32 exec_lo, exec_lo, s14
.LBB15_1908:
	s_delay_alu instid0(SALU_CYCLE_1)
	s_or_b32 exec_lo, exec_lo, s12
	global_store_b8 v[2:3], v5, off
.LBB15_1909:
	s_mov_b32 s12, -1
.LBB15_1910:
	s_mov_b32 s13, 0
.LBB15_1911:
	s_delay_alu instid0(SALU_CYCLE_1)
	s_and_b32 vcc_lo, exec_lo, s13
	s_cbranch_vccz .LBB15_1951
; %bb.1912:
	s_cmp_gt_i32 s7, 22
	s_mov_b32 s11, -1
	s_cbranch_scc0 .LBB15_1944
; %bb.1913:
	s_cmp_lt_i32 s7, 24
	s_cbranch_scc1 .LBB15_1933
; %bb.1914:
	s_cmp_gt_i32 s7, 24
	s_cbranch_scc0 .LBB15_1922
; %bb.1915:
	s_wait_xcnt 0x0
	v_cndmask_b32_e64 v4, 0, 1.0, s10
	v_mov_b32_e32 v5, 0x80
	s_mov_b32 s11, exec_lo
	s_delay_alu instid0(VALU_DEP_2)
	v_cmpx_gt_u32_e32 0x47800000, v4
	s_cbranch_execz .LBB15_1921
; %bb.1916:
	s_mov_b32 s12, 0
	s_mov_b32 s13, exec_lo
                                        ; implicit-def: $vgpr1
	v_cmpx_lt_u32_e32 0x37ffffff, v4
	s_xor_b32 s13, exec_lo, s13
	s_cbranch_execz .LBB15_2132
; %bb.1917:
	v_bfe_u32 v1, v4, 21, 1
	s_mov_b32 s12, exec_lo
	s_delay_alu instid0(VALU_DEP_1) | instskip(NEXT) | instid1(VALU_DEP_1)
	v_add3_u32 v1, v4, v1, 0x88fffff
                                        ; implicit-def: $vgpr4
	v_lshrrev_b32_e32 v1, 21, v1
	s_and_not1_saveexec_b32 s13, s13
	s_cbranch_execnz .LBB15_2133
.LBB15_1918:
	s_or_b32 exec_lo, exec_lo, s13
	v_mov_b32_e32 v5, 0
	s_and_saveexec_b32 s13, s12
.LBB15_1919:
	v_mov_b32_e32 v5, v1
.LBB15_1920:
	s_or_b32 exec_lo, exec_lo, s13
.LBB15_1921:
	s_delay_alu instid0(SALU_CYCLE_1)
	s_or_b32 exec_lo, exec_lo, s11
	s_mov_b32 s11, 0
	global_store_b8 v[2:3], v5, off
.LBB15_1922:
	s_and_b32 vcc_lo, exec_lo, s11
	s_cbranch_vccz .LBB15_1932
; %bb.1923:
	s_wait_xcnt 0x0
	v_cndmask_b32_e64 v4, 0, 1.0, s10
	s_mov_b32 s11, exec_lo
                                        ; implicit-def: $vgpr1
	s_delay_alu instid0(VALU_DEP_1)
	v_cmpx_gt_u32_e32 0x43f00000, v4
	s_xor_b32 s11, exec_lo, s11
	s_cbranch_execz .LBB15_1929
; %bb.1924:
	s_mov_b32 s12, exec_lo
                                        ; implicit-def: $vgpr1
	v_cmpx_lt_u32_e32 0x3c7fffff, v4
	s_xor_b32 s12, exec_lo, s12
; %bb.1925:
	v_bfe_u32 v1, v4, 20, 1
	s_delay_alu instid0(VALU_DEP_1) | instskip(NEXT) | instid1(VALU_DEP_1)
	v_add3_u32 v1, v4, v1, 0x407ffff
	v_and_b32_e32 v4, 0xff00000, v1
	v_lshrrev_b32_e32 v1, 20, v1
	s_delay_alu instid0(VALU_DEP_2) | instskip(NEXT) | instid1(VALU_DEP_2)
	v_cmp_ne_u32_e32 vcc_lo, 0x7f00000, v4
                                        ; implicit-def: $vgpr4
	v_cndmask_b32_e32 v1, 0x7e, v1, vcc_lo
; %bb.1926:
	s_and_not1_saveexec_b32 s12, s12
; %bb.1927:
	v_add_f32_e32 v1, 0x46800000, v4
; %bb.1928:
	s_or_b32 exec_lo, exec_lo, s12
                                        ; implicit-def: $vgpr4
.LBB15_1929:
	s_and_not1_saveexec_b32 s11, s11
; %bb.1930:
	v_mov_b32_e32 v1, 0x7f
	v_cmp_lt_u32_e32 vcc_lo, 0x7f800000, v4
	s_delay_alu instid0(VALU_DEP_2)
	v_cndmask_b32_e32 v1, 0x7e, v1, vcc_lo
; %bb.1931:
	s_or_b32 exec_lo, exec_lo, s11
	global_store_b8 v[2:3], v1, off
.LBB15_1932:
	s_mov_b32 s11, 0
.LBB15_1933:
	s_delay_alu instid0(SALU_CYCLE_1)
	s_and_not1_b32 vcc_lo, exec_lo, s11
	s_cbranch_vccnz .LBB15_1943
; %bb.1934:
	s_wait_xcnt 0x0
	v_cndmask_b32_e64 v4, 0, 1.0, s10
	s_mov_b32 s11, exec_lo
                                        ; implicit-def: $vgpr1
	s_delay_alu instid0(VALU_DEP_1)
	v_cmpx_gt_u32_e32 0x47800000, v4
	s_xor_b32 s11, exec_lo, s11
	s_cbranch_execz .LBB15_1940
; %bb.1935:
	s_mov_b32 s12, exec_lo
                                        ; implicit-def: $vgpr1
	v_cmpx_lt_u32_e32 0x387fffff, v4
	s_xor_b32 s12, exec_lo, s12
; %bb.1936:
	v_bfe_u32 v1, v4, 21, 1
	s_delay_alu instid0(VALU_DEP_1) | instskip(NEXT) | instid1(VALU_DEP_1)
	v_add3_u32 v1, v4, v1, 0x80fffff
                                        ; implicit-def: $vgpr4
	v_lshrrev_b32_e32 v1, 21, v1
; %bb.1937:
	s_and_not1_saveexec_b32 s12, s12
; %bb.1938:
	v_add_f32_e32 v1, 0x43000000, v4
; %bb.1939:
	s_or_b32 exec_lo, exec_lo, s12
                                        ; implicit-def: $vgpr4
.LBB15_1940:
	s_and_not1_saveexec_b32 s11, s11
; %bb.1941:
	v_mov_b32_e32 v1, 0x7f
	v_cmp_lt_u32_e32 vcc_lo, 0x7f800000, v4
	s_delay_alu instid0(VALU_DEP_2)
	v_cndmask_b32_e32 v1, 0x7c, v1, vcc_lo
; %bb.1942:
	s_or_b32 exec_lo, exec_lo, s11
	global_store_b8 v[2:3], v1, off
.LBB15_1943:
	s_mov_b32 s11, 0
	s_mov_b32 s12, -1
.LBB15_1944:
	s_and_not1_b32 vcc_lo, exec_lo, s11
	s_mov_b32 s11, 0
	s_cbranch_vccnz .LBB15_1951
; %bb.1945:
	s_cmp_gt_i32 s7, 14
	s_mov_b32 s11, -1
	s_cbranch_scc0 .LBB15_1949
; %bb.1946:
	s_cmp_eq_u32 s7, 15
	s_mov_b32 s0, -1
	s_cbranch_scc0 .LBB15_1948
; %bb.1947:
	s_wait_xcnt 0x0
	v_cndmask_b32_e64 v1, 0, 1.0, s10
	s_mov_b32 s0, 0
	s_mov_b32 s12, -1
	s_delay_alu instid0(VALU_DEP_1) | instskip(NEXT) | instid1(VALU_DEP_1)
	v_bfe_u32 v4, v1, 16, 1
	v_add3_u32 v1, v1, v4, 0x7fff
	global_store_d16_hi_b16 v[2:3], v1, off
.LBB15_1948:
	s_mov_b32 s11, 0
.LBB15_1949:
	s_delay_alu instid0(SALU_CYCLE_1)
	s_and_b32 vcc_lo, exec_lo, s11
	s_mov_b32 s11, 0
	s_cbranch_vccz .LBB15_1951
; %bb.1950:
	s_cmp_lg_u32 s7, 11
	s_mov_b32 s11, -1
	s_cselect_b32 s0, -1, 0
.LBB15_1951:
	s_delay_alu instid0(SALU_CYCLE_1)
	s_and_b32 vcc_lo, exec_lo, s0
	s_cbranch_vccnz .LBB15_2131
; %bb.1952:
	s_and_not1_b32 vcc_lo, exec_lo, s11
	s_cbranch_vccnz .LBB15_1954
.LBB15_1953:
	s_wait_xcnt 0x0
	v_cndmask_b32_e64 v1, 0, 1, s10
	s_mov_b32 s12, -1
	global_store_b8 v[2:3], v1, off
.LBB15_1954:
	s_mov_b32 s0, 0
	s_branch .LBB15_1956
.LBB15_1955:
	s_mov_b32 s0, -1
	s_mov_b32 s12, 0
.LBB15_1956:
	s_and_b32 vcc_lo, exec_lo, s0
	s_cbranch_vccz .LBB15_1995
; %bb.1957:
	s_cmp_lt_i32 s7, 5
	s_mov_b32 s0, -1
	s_cbranch_scc1 .LBB15_1978
; %bb.1958:
	s_cmp_lt_i32 s7, 8
	s_cbranch_scc1 .LBB15_1968
; %bb.1959:
	s_cmp_lt_i32 s7, 9
	s_cbranch_scc1 .LBB15_1965
; %bb.1960:
	s_cmp_gt_i32 s7, 9
	s_cbranch_scc0 .LBB15_1962
; %bb.1961:
	s_wait_xcnt 0x0
	v_cndmask_b32_e64 v1, 0, 1, s10
	v_mov_b32_e32 v6, 0
	s_mov_b32 s0, 0
	s_delay_alu instid0(VALU_DEP_2) | instskip(NEXT) | instid1(VALU_DEP_2)
	v_cvt_f64_u32_e32 v[4:5], v1
	v_mov_b32_e32 v7, v6
	global_store_b128 v[2:3], v[4:7], off
.LBB15_1962:
	s_and_not1_b32 vcc_lo, exec_lo, s0
	s_cbranch_vccnz .LBB15_1964
; %bb.1963:
	s_wait_xcnt 0x0
	v_cndmask_b32_e64 v4, 0, 1.0, s10
	v_mov_b32_e32 v5, 0
	global_store_b64 v[2:3], v[4:5], off
.LBB15_1964:
	s_mov_b32 s0, 0
.LBB15_1965:
	s_delay_alu instid0(SALU_CYCLE_1)
	s_and_not1_b32 vcc_lo, exec_lo, s0
	s_cbranch_vccnz .LBB15_1967
; %bb.1966:
	s_wait_xcnt 0x0
	v_cndmask_b32_e64 v1, 0, 1.0, s10
	s_delay_alu instid0(VALU_DEP_1) | instskip(NEXT) | instid1(VALU_DEP_1)
	v_cvt_f16_f32_e32 v1, v1
	v_and_b32_e32 v1, 0xffff, v1
	global_store_b32 v[2:3], v1, off
.LBB15_1967:
	s_mov_b32 s0, 0
.LBB15_1968:
	s_delay_alu instid0(SALU_CYCLE_1)
	s_and_not1_b32 vcc_lo, exec_lo, s0
	s_cbranch_vccnz .LBB15_1977
; %bb.1969:
	s_cmp_lt_i32 s7, 6
	s_mov_b32 s0, -1
	s_cbranch_scc1 .LBB15_1975
; %bb.1970:
	s_cmp_gt_i32 s7, 6
	s_cbranch_scc0 .LBB15_1972
; %bb.1971:
	s_wait_xcnt 0x0
	v_cndmask_b32_e64 v1, 0, 1, s10
	s_mov_b32 s0, 0
	s_delay_alu instid0(VALU_DEP_1)
	v_cvt_f64_u32_e32 v[4:5], v1
	global_store_b64 v[2:3], v[4:5], off
.LBB15_1972:
	s_and_not1_b32 vcc_lo, exec_lo, s0
	s_cbranch_vccnz .LBB15_1974
; %bb.1973:
	s_wait_xcnt 0x0
	v_cndmask_b32_e64 v1, 0, 1.0, s10
	global_store_b32 v[2:3], v1, off
.LBB15_1974:
	s_mov_b32 s0, 0
.LBB15_1975:
	s_delay_alu instid0(SALU_CYCLE_1)
	s_and_not1_b32 vcc_lo, exec_lo, s0
	s_cbranch_vccnz .LBB15_1977
; %bb.1976:
	s_wait_xcnt 0x0
	v_cndmask_b32_e64 v1, 0, 1.0, s10
	s_delay_alu instid0(VALU_DEP_1)
	v_cvt_f16_f32_e32 v1, v1
	global_store_b16 v[2:3], v1, off
.LBB15_1977:
	s_mov_b32 s0, 0
.LBB15_1978:
	s_delay_alu instid0(SALU_CYCLE_1)
	s_and_not1_b32 vcc_lo, exec_lo, s0
	s_cbranch_vccnz .LBB15_1994
; %bb.1979:
	s_cmp_lt_i32 s7, 2
	s_mov_b32 s0, -1
	s_cbranch_scc1 .LBB15_1989
; %bb.1980:
	s_cmp_lt_i32 s7, 3
	s_cbranch_scc1 .LBB15_1986
; %bb.1981:
	s_cmp_gt_i32 s7, 3
	s_cbranch_scc0 .LBB15_1983
; %bb.1982:
	s_mov_b32 s0, 0
	s_wait_xcnt 0x0
	v_cndmask_b32_e64 v4, 0, 1, s10
	v_mov_b32_e32 v5, s0
	global_store_b64 v[2:3], v[4:5], off
.LBB15_1983:
	s_and_not1_b32 vcc_lo, exec_lo, s0
	s_cbranch_vccnz .LBB15_1985
; %bb.1984:
	s_wait_xcnt 0x0
	v_cndmask_b32_e64 v1, 0, 1, s10
	global_store_b32 v[2:3], v1, off
.LBB15_1985:
	s_mov_b32 s0, 0
.LBB15_1986:
	s_delay_alu instid0(SALU_CYCLE_1)
	s_and_not1_b32 vcc_lo, exec_lo, s0
	s_cbranch_vccnz .LBB15_1988
; %bb.1987:
	s_wait_xcnt 0x0
	v_cndmask_b32_e64 v1, 0, 1, s10
	global_store_b16 v[2:3], v1, off
.LBB15_1988:
	s_mov_b32 s0, 0
.LBB15_1989:
	s_delay_alu instid0(SALU_CYCLE_1)
	s_and_not1_b32 vcc_lo, exec_lo, s0
	s_cbranch_vccnz .LBB15_1994
; %bb.1990:
	s_cmp_gt_i32 s7, 0
	s_mov_b32 s0, -1
	s_cbranch_scc0 .LBB15_1992
; %bb.1991:
	s_wait_xcnt 0x0
	v_cndmask_b32_e64 v1, 0, 1, s10
	s_mov_b32 s0, 0
	global_store_b8 v[2:3], v1, off
.LBB15_1992:
	s_and_not1_b32 vcc_lo, exec_lo, s0
	s_cbranch_vccnz .LBB15_1994
; %bb.1993:
	s_wait_xcnt 0x0
	v_cndmask_b32_e64 v1, 0, 1, s10
	global_store_b8 v[2:3], v1, off
.LBB15_1994:
	s_mov_b32 s12, -1
.LBB15_1995:
	s_delay_alu instid0(SALU_CYCLE_1)
	s_and_not1_b32 vcc_lo, exec_lo, s12
	s_cbranch_vccnz .LBB15_2072
; %bb.1996:
	s_wait_xcnt 0x0
	v_and_b32_e32 v2, 0xff, v14
	v_mov_b32_e32 v1, 0
	s_delay_alu instid0(VALU_DEP_2) | instskip(NEXT) | instid1(VALU_DEP_2)
	v_cmp_ne_u16_e32 vcc_lo, s6, v2
	v_add_nc_u64_e32 v[2:3], s[4:5], v[0:1]
	s_xor_b32 s4, s3, vcc_lo
	s_cmp_lt_i32 s7, 11
	s_cbranch_scc1 .LBB15_2117
; %bb.1997:
	s_mov_b32 s5, -1
	s_mov_b32 s3, 0
	s_cmp_gt_i32 s7, 25
	s_mov_b32 s0, 0
	s_cbranch_scc0 .LBB15_2030
; %bb.1998:
	s_cmp_gt_i32 s7, 28
	s_cbranch_scc0 .LBB15_2014
; %bb.1999:
	s_cmp_gt_i32 s7, 43
	;; [unrolled: 3-line block ×3, first 2 shown]
	s_cbranch_scc0 .LBB15_2004
; %bb.2001:
	s_cmp_eq_u32 s7, 46
	s_mov_b32 s0, -1
	s_cbranch_scc0 .LBB15_2003
; %bb.2002:
	v_cndmask_b32_e64 v0, 0, 1.0, s4
	s_mov_b32 s0, 0
	s_delay_alu instid0(VALU_DEP_1) | instskip(NEXT) | instid1(VALU_DEP_1)
	v_bfe_u32 v1, v0, 16, 1
	v_add3_u32 v0, v0, v1, 0x7fff
	s_delay_alu instid0(VALU_DEP_1)
	v_lshrrev_b32_e32 v0, 16, v0
	global_store_b32 v[2:3], v0, off
.LBB15_2003:
	s_mov_b32 s5, 0
.LBB15_2004:
	s_delay_alu instid0(SALU_CYCLE_1)
	s_and_b32 vcc_lo, exec_lo, s5
	s_cbranch_vccz .LBB15_2009
; %bb.2005:
	s_cmp_eq_u32 s7, 44
	s_mov_b32 s0, -1
	s_cbranch_scc0 .LBB15_2009
; %bb.2006:
	v_cndmask_b32_e64 v4, 0, 1.0, s4
	s_mov_b32 s5, exec_lo
	s_wait_xcnt 0x0
	s_delay_alu instid0(VALU_DEP_1) | instskip(NEXT) | instid1(VALU_DEP_1)
	v_dual_mov_b32 v1, 0xff :: v_dual_lshrrev_b32 v0, 23, v4
	v_cmpx_ne_u32_e32 0xff, v0
; %bb.2007:
	v_and_b32_e32 v1, 0x400000, v4
	v_and_or_b32 v4, 0x3fffff, v4, v0
	s_delay_alu instid0(VALU_DEP_2) | instskip(NEXT) | instid1(VALU_DEP_2)
	v_cmp_ne_u32_e32 vcc_lo, 0, v1
	v_cmp_ne_u32_e64 s0, 0, v4
	s_and_b32 s0, vcc_lo, s0
	s_delay_alu instid0(SALU_CYCLE_1) | instskip(NEXT) | instid1(VALU_DEP_1)
	v_cndmask_b32_e64 v1, 0, 1, s0
	v_add_nc_u32_e32 v1, v0, v1
; %bb.2008:
	s_or_b32 exec_lo, exec_lo, s5
	s_mov_b32 s0, 0
	global_store_b8 v[2:3], v1, off
.LBB15_2009:
	s_mov_b32 s5, 0
.LBB15_2010:
	s_delay_alu instid0(SALU_CYCLE_1)
	s_and_b32 vcc_lo, exec_lo, s5
	s_cbranch_vccz .LBB15_2013
; %bb.2011:
	s_cmp_eq_u32 s7, 29
	s_mov_b32 s0, -1
	s_cbranch_scc0 .LBB15_2013
; %bb.2012:
	s_mov_b32 s0, 0
	s_wait_xcnt 0x0
	v_cndmask_b32_e64 v0, 0, 1, s4
	v_mov_b32_e32 v1, s0
	global_store_b64 v[2:3], v[0:1], off
.LBB15_2013:
	s_mov_b32 s5, 0
.LBB15_2014:
	s_delay_alu instid0(SALU_CYCLE_1)
	s_and_b32 vcc_lo, exec_lo, s5
	s_cbranch_vccz .LBB15_2029
; %bb.2015:
	s_cmp_lt_i32 s7, 27
	s_mov_b32 s5, -1
	s_cbranch_scc1 .LBB15_2021
; %bb.2016:
	s_cmp_gt_i32 s7, 27
	s_cbranch_scc0 .LBB15_2018
; %bb.2017:
	s_wait_xcnt 0x0
	v_cndmask_b32_e64 v0, 0, 1, s4
	s_mov_b32 s5, 0
	global_store_b32 v[2:3], v0, off
.LBB15_2018:
	s_and_not1_b32 vcc_lo, exec_lo, s5
	s_cbranch_vccnz .LBB15_2020
; %bb.2019:
	s_wait_xcnt 0x0
	v_cndmask_b32_e64 v0, 0, 1, s4
	global_store_b16 v[2:3], v0, off
.LBB15_2020:
	s_mov_b32 s5, 0
.LBB15_2021:
	s_delay_alu instid0(SALU_CYCLE_1)
	s_and_not1_b32 vcc_lo, exec_lo, s5
	s_cbranch_vccnz .LBB15_2029
; %bb.2022:
	s_wait_xcnt 0x0
	v_cndmask_b32_e64 v1, 0, 1.0, s4
	v_mov_b32_e32 v4, 0x80
	s_mov_b32 s5, exec_lo
	s_delay_alu instid0(VALU_DEP_2)
	v_cmpx_gt_u32_e32 0x43800000, v1
	s_cbranch_execz .LBB15_2028
; %bb.2023:
	s_mov_b32 s6, 0
	s_mov_b32 s10, exec_lo
                                        ; implicit-def: $vgpr0
	v_cmpx_lt_u32_e32 0x3bffffff, v1
	s_xor_b32 s10, exec_lo, s10
	s_cbranch_execz .LBB15_2134
; %bb.2024:
	v_bfe_u32 v0, v1, 20, 1
	s_mov_b32 s6, exec_lo
	s_delay_alu instid0(VALU_DEP_1) | instskip(NEXT) | instid1(VALU_DEP_1)
	v_add3_u32 v0, v1, v0, 0x487ffff
                                        ; implicit-def: $vgpr1
	v_lshrrev_b32_e32 v0, 20, v0
	s_and_not1_saveexec_b32 s10, s10
	s_cbranch_execnz .LBB15_2135
.LBB15_2025:
	s_or_b32 exec_lo, exec_lo, s10
	v_mov_b32_e32 v4, 0
	s_and_saveexec_b32 s10, s6
.LBB15_2026:
	v_mov_b32_e32 v4, v0
.LBB15_2027:
	s_or_b32 exec_lo, exec_lo, s10
.LBB15_2028:
	s_delay_alu instid0(SALU_CYCLE_1)
	s_or_b32 exec_lo, exec_lo, s5
	global_store_b8 v[2:3], v4, off
.LBB15_2029:
	s_mov_b32 s5, 0
.LBB15_2030:
	s_delay_alu instid0(SALU_CYCLE_1)
	s_and_b32 vcc_lo, exec_lo, s5
	s_cbranch_vccz .LBB15_2070
; %bb.2031:
	s_cmp_gt_i32 s7, 22
	s_mov_b32 s3, -1
	s_cbranch_scc0 .LBB15_2063
; %bb.2032:
	s_cmp_lt_i32 s7, 24
	s_cbranch_scc1 .LBB15_2052
; %bb.2033:
	s_cmp_gt_i32 s7, 24
	s_cbranch_scc0 .LBB15_2041
; %bb.2034:
	s_wait_xcnt 0x0
	v_cndmask_b32_e64 v1, 0, 1.0, s4
	v_mov_b32_e32 v4, 0x80
	s_mov_b32 s3, exec_lo
	s_delay_alu instid0(VALU_DEP_2)
	v_cmpx_gt_u32_e32 0x47800000, v1
	s_cbranch_execz .LBB15_2040
; %bb.2035:
	s_mov_b32 s5, 0
	s_mov_b32 s6, exec_lo
                                        ; implicit-def: $vgpr0
	v_cmpx_lt_u32_e32 0x37ffffff, v1
	s_xor_b32 s6, exec_lo, s6
	s_cbranch_execz .LBB15_2137
; %bb.2036:
	v_bfe_u32 v0, v1, 21, 1
	s_mov_b32 s5, exec_lo
	s_delay_alu instid0(VALU_DEP_1) | instskip(NEXT) | instid1(VALU_DEP_1)
	v_add3_u32 v0, v1, v0, 0x88fffff
                                        ; implicit-def: $vgpr1
	v_lshrrev_b32_e32 v0, 21, v0
	s_and_not1_saveexec_b32 s6, s6
	s_cbranch_execnz .LBB15_2138
.LBB15_2037:
	s_or_b32 exec_lo, exec_lo, s6
	v_mov_b32_e32 v4, 0
	s_and_saveexec_b32 s6, s5
.LBB15_2038:
	v_mov_b32_e32 v4, v0
.LBB15_2039:
	s_or_b32 exec_lo, exec_lo, s6
.LBB15_2040:
	s_delay_alu instid0(SALU_CYCLE_1)
	s_or_b32 exec_lo, exec_lo, s3
	s_mov_b32 s3, 0
	global_store_b8 v[2:3], v4, off
.LBB15_2041:
	s_and_b32 vcc_lo, exec_lo, s3
	s_cbranch_vccz .LBB15_2051
; %bb.2042:
	s_wait_xcnt 0x0
	v_cndmask_b32_e64 v1, 0, 1.0, s4
	s_mov_b32 s3, exec_lo
                                        ; implicit-def: $vgpr0
	s_delay_alu instid0(VALU_DEP_1)
	v_cmpx_gt_u32_e32 0x43f00000, v1
	s_xor_b32 s3, exec_lo, s3
	s_cbranch_execz .LBB15_2048
; %bb.2043:
	s_mov_b32 s5, exec_lo
                                        ; implicit-def: $vgpr0
	v_cmpx_lt_u32_e32 0x3c7fffff, v1
	s_xor_b32 s5, exec_lo, s5
; %bb.2044:
	v_bfe_u32 v0, v1, 20, 1
	s_delay_alu instid0(VALU_DEP_1) | instskip(NEXT) | instid1(VALU_DEP_1)
	v_add3_u32 v0, v1, v0, 0x407ffff
	v_and_b32_e32 v1, 0xff00000, v0
	v_lshrrev_b32_e32 v0, 20, v0
	s_delay_alu instid0(VALU_DEP_2) | instskip(NEXT) | instid1(VALU_DEP_2)
	v_cmp_ne_u32_e32 vcc_lo, 0x7f00000, v1
                                        ; implicit-def: $vgpr1
	v_cndmask_b32_e32 v0, 0x7e, v0, vcc_lo
; %bb.2045:
	s_and_not1_saveexec_b32 s5, s5
; %bb.2046:
	v_add_f32_e32 v0, 0x46800000, v1
; %bb.2047:
	s_or_b32 exec_lo, exec_lo, s5
                                        ; implicit-def: $vgpr1
.LBB15_2048:
	s_and_not1_saveexec_b32 s3, s3
; %bb.2049:
	v_mov_b32_e32 v0, 0x7f
	v_cmp_lt_u32_e32 vcc_lo, 0x7f800000, v1
	s_delay_alu instid0(VALU_DEP_2)
	v_cndmask_b32_e32 v0, 0x7e, v0, vcc_lo
; %bb.2050:
	s_or_b32 exec_lo, exec_lo, s3
	global_store_b8 v[2:3], v0, off
.LBB15_2051:
	s_mov_b32 s3, 0
.LBB15_2052:
	s_delay_alu instid0(SALU_CYCLE_1)
	s_and_not1_b32 vcc_lo, exec_lo, s3
	s_cbranch_vccnz .LBB15_2062
; %bb.2053:
	s_wait_xcnt 0x0
	v_cndmask_b32_e64 v1, 0, 1.0, s4
	s_mov_b32 s3, exec_lo
                                        ; implicit-def: $vgpr0
	s_delay_alu instid0(VALU_DEP_1)
	v_cmpx_gt_u32_e32 0x47800000, v1
	s_xor_b32 s3, exec_lo, s3
	s_cbranch_execz .LBB15_2059
; %bb.2054:
	s_mov_b32 s5, exec_lo
                                        ; implicit-def: $vgpr0
	v_cmpx_lt_u32_e32 0x387fffff, v1
	s_xor_b32 s5, exec_lo, s5
; %bb.2055:
	v_bfe_u32 v0, v1, 21, 1
	s_delay_alu instid0(VALU_DEP_1) | instskip(NEXT) | instid1(VALU_DEP_1)
	v_add3_u32 v0, v1, v0, 0x80fffff
                                        ; implicit-def: $vgpr1
	v_lshrrev_b32_e32 v0, 21, v0
; %bb.2056:
	s_and_not1_saveexec_b32 s5, s5
; %bb.2057:
	v_add_f32_e32 v0, 0x43000000, v1
; %bb.2058:
	s_or_b32 exec_lo, exec_lo, s5
                                        ; implicit-def: $vgpr1
.LBB15_2059:
	s_and_not1_saveexec_b32 s3, s3
; %bb.2060:
	v_mov_b32_e32 v0, 0x7f
	v_cmp_lt_u32_e32 vcc_lo, 0x7f800000, v1
	s_delay_alu instid0(VALU_DEP_2)
	v_cndmask_b32_e32 v0, 0x7c, v0, vcc_lo
; %bb.2061:
	s_or_b32 exec_lo, exec_lo, s3
	global_store_b8 v[2:3], v0, off
.LBB15_2062:
	s_mov_b32 s3, 0
.LBB15_2063:
	s_delay_alu instid0(SALU_CYCLE_1)
	s_and_not1_b32 vcc_lo, exec_lo, s3
	s_mov_b32 s3, 0
	s_cbranch_vccnz .LBB15_2070
; %bb.2064:
	s_cmp_gt_i32 s7, 14
	s_mov_b32 s3, -1
	s_cbranch_scc0 .LBB15_2068
; %bb.2065:
	s_cmp_eq_u32 s7, 15
	s_mov_b32 s0, -1
	s_cbranch_scc0 .LBB15_2067
; %bb.2066:
	s_wait_xcnt 0x0
	v_cndmask_b32_e64 v0, 0, 1.0, s4
	s_mov_b32 s0, 0
	s_delay_alu instid0(VALU_DEP_1) | instskip(NEXT) | instid1(VALU_DEP_1)
	v_bfe_u32 v1, v0, 16, 1
	v_add3_u32 v0, v0, v1, 0x7fff
	global_store_d16_hi_b16 v[2:3], v0, off
.LBB15_2067:
	s_mov_b32 s3, 0
.LBB15_2068:
	s_delay_alu instid0(SALU_CYCLE_1)
	s_and_b32 vcc_lo, exec_lo, s3
	s_mov_b32 s3, 0
	s_cbranch_vccz .LBB15_2070
; %bb.2069:
	s_cmp_lg_u32 s7, 11
	s_mov_b32 s3, -1
	s_cselect_b32 s0, -1, 0
.LBB15_2070:
	s_delay_alu instid0(SALU_CYCLE_1)
	s_and_b32 vcc_lo, exec_lo, s0
	s_cbranch_vccnz .LBB15_2136
.LBB15_2071:
	s_mov_b32 s0, 0
	s_branch .LBB15_2073
.LBB15_2072:
	s_mov_b32 s0, 0
	s_mov_b32 s3, 0
                                        ; implicit-def: $sgpr4
                                        ; implicit-def: $vgpr2_vgpr3
                                        ; implicit-def: $sgpr2
.LBB15_2073:
	s_and_not1_b32 s5, s8, exec_lo
	s_and_b32 s1, s1, exec_lo
	s_and_b32 s0, s0, exec_lo
	;; [unrolled: 1-line block ×3, first 2 shown]
	s_or_b32 s8, s5, s1
.LBB15_2074:
	s_wait_xcnt 0x0
	s_or_b32 exec_lo, exec_lo, s9
	s_and_saveexec_b32 s1, s8
	s_cbranch_execz .LBB15_2077
; %bb.2075:
	; divergent unreachable
	s_or_b32 exec_lo, exec_lo, s1
	s_and_saveexec_b32 s1, s3
	s_delay_alu instid0(SALU_CYCLE_1)
	s_xor_b32 s1, exec_lo, s1
	s_cbranch_execnz .LBB15_2078
.LBB15_2076:
	s_or_b32 exec_lo, exec_lo, s1
	s_and_saveexec_b32 s1, s0
	s_cbranch_execnz .LBB15_2079
	s_branch .LBB15_2116
.LBB15_2077:
	s_or_b32 exec_lo, exec_lo, s1
	s_and_saveexec_b32 s1, s3
	s_delay_alu instid0(SALU_CYCLE_1)
	s_xor_b32 s1, exec_lo, s1
	s_cbranch_execz .LBB15_2076
.LBB15_2078:
	v_cndmask_b32_e64 v0, 0, 1, s4
	global_store_b8 v[2:3], v0, off
	s_wait_xcnt 0x0
	s_or_b32 exec_lo, exec_lo, s1
	s_and_saveexec_b32 s1, s0
	s_cbranch_execz .LBB15_2116
.LBB15_2079:
	s_sext_i32_i16 s1, s2
	s_mov_b32 s0, -1
	s_cmp_lt_i32 s1, 5
	s_cbranch_scc1 .LBB15_2100
; %bb.2080:
	s_cmp_lt_i32 s1, 8
	s_cbranch_scc1 .LBB15_2090
; %bb.2081:
	;; [unrolled: 3-line block ×3, first 2 shown]
	s_cmp_gt_i32 s1, 9
	s_cbranch_scc0 .LBB15_2084
; %bb.2083:
	v_cndmask_b32_e64 v0, 0, 1, s4
	s_wait_loadcnt 0x0
	v_mov_b32_e32 v6, 0
	s_mov_b32 s0, 0
	s_delay_alu instid0(VALU_DEP_2) | instskip(NEXT) | instid1(VALU_DEP_2)
	v_cvt_f64_u32_e32 v[4:5], v0
	v_mov_b32_e32 v7, v6
	global_store_b128 v[2:3], v[4:7], off
.LBB15_2084:
	s_and_not1_b32 vcc_lo, exec_lo, s0
	s_cbranch_vccnz .LBB15_2086
; %bb.2085:
	v_cndmask_b32_e64 v0, 0, 1.0, s4
	v_mov_b32_e32 v1, 0
	global_store_b64 v[2:3], v[0:1], off
.LBB15_2086:
	s_mov_b32 s0, 0
.LBB15_2087:
	s_delay_alu instid0(SALU_CYCLE_1)
	s_and_not1_b32 vcc_lo, exec_lo, s0
	s_cbranch_vccnz .LBB15_2089
; %bb.2088:
	s_wait_xcnt 0x0
	v_cndmask_b32_e64 v0, 0, 1.0, s4
	s_delay_alu instid0(VALU_DEP_1) | instskip(NEXT) | instid1(VALU_DEP_1)
	v_cvt_f16_f32_e32 v0, v0
	v_and_b32_e32 v0, 0xffff, v0
	global_store_b32 v[2:3], v0, off
.LBB15_2089:
	s_mov_b32 s0, 0
.LBB15_2090:
	s_delay_alu instid0(SALU_CYCLE_1)
	s_and_not1_b32 vcc_lo, exec_lo, s0
	s_cbranch_vccnz .LBB15_2099
; %bb.2091:
	s_sext_i32_i16 s1, s2
	s_mov_b32 s0, -1
	s_cmp_lt_i32 s1, 6
	s_cbranch_scc1 .LBB15_2097
; %bb.2092:
	s_cmp_gt_i32 s1, 6
	s_cbranch_scc0 .LBB15_2094
; %bb.2093:
	s_wait_xcnt 0x0
	v_cndmask_b32_e64 v0, 0, 1, s4
	s_mov_b32 s0, 0
	s_delay_alu instid0(VALU_DEP_1)
	v_cvt_f64_u32_e32 v[0:1], v0
	global_store_b64 v[2:3], v[0:1], off
.LBB15_2094:
	s_and_not1_b32 vcc_lo, exec_lo, s0
	s_cbranch_vccnz .LBB15_2096
; %bb.2095:
	s_wait_xcnt 0x0
	v_cndmask_b32_e64 v0, 0, 1.0, s4
	global_store_b32 v[2:3], v0, off
.LBB15_2096:
	s_mov_b32 s0, 0
.LBB15_2097:
	s_delay_alu instid0(SALU_CYCLE_1)
	s_and_not1_b32 vcc_lo, exec_lo, s0
	s_cbranch_vccnz .LBB15_2099
; %bb.2098:
	s_wait_xcnt 0x0
	v_cndmask_b32_e64 v0, 0, 1.0, s4
	s_delay_alu instid0(VALU_DEP_1)
	v_cvt_f16_f32_e32 v0, v0
	global_store_b16 v[2:3], v0, off
.LBB15_2099:
	s_mov_b32 s0, 0
.LBB15_2100:
	s_delay_alu instid0(SALU_CYCLE_1)
	s_and_not1_b32 vcc_lo, exec_lo, s0
	s_cbranch_vccnz .LBB15_2116
; %bb.2101:
	s_sext_i32_i16 s1, s2
	s_mov_b32 s0, -1
	s_cmp_lt_i32 s1, 2
	s_cbranch_scc1 .LBB15_2111
; %bb.2102:
	s_cmp_lt_i32 s1, 3
	s_cbranch_scc1 .LBB15_2108
; %bb.2103:
	s_cmp_gt_i32 s1, 3
	s_cbranch_scc0 .LBB15_2105
; %bb.2104:
	s_mov_b32 s0, 0
	s_wait_xcnt 0x0
	v_cndmask_b32_e64 v0, 0, 1, s4
	v_mov_b32_e32 v1, s0
	global_store_b64 v[2:3], v[0:1], off
.LBB15_2105:
	s_and_not1_b32 vcc_lo, exec_lo, s0
	s_cbranch_vccnz .LBB15_2107
; %bb.2106:
	s_wait_xcnt 0x0
	v_cndmask_b32_e64 v0, 0, 1, s4
	global_store_b32 v[2:3], v0, off
.LBB15_2107:
	s_mov_b32 s0, 0
.LBB15_2108:
	s_delay_alu instid0(SALU_CYCLE_1)
	s_and_not1_b32 vcc_lo, exec_lo, s0
	s_cbranch_vccnz .LBB15_2110
; %bb.2109:
	s_wait_xcnt 0x0
	v_cndmask_b32_e64 v0, 0, 1, s4
	global_store_b16 v[2:3], v0, off
.LBB15_2110:
	s_mov_b32 s0, 0
.LBB15_2111:
	s_delay_alu instid0(SALU_CYCLE_1)
	s_and_not1_b32 vcc_lo, exec_lo, s0
	s_cbranch_vccnz .LBB15_2116
; %bb.2112:
	s_sext_i32_i16 s0, s2
	s_delay_alu instid0(SALU_CYCLE_1)
	s_cmp_gt_i32 s0, 0
	s_mov_b32 s0, -1
	s_cbranch_scc0 .LBB15_2114
; %bb.2113:
	s_wait_xcnt 0x0
	v_cndmask_b32_e64 v0, 0, 1, s4
	s_mov_b32 s0, 0
	global_store_b8 v[2:3], v0, off
.LBB15_2114:
	s_and_not1_b32 vcc_lo, exec_lo, s0
	s_cbranch_vccnz .LBB15_2116
; %bb.2115:
	s_wait_xcnt 0x0
	v_cndmask_b32_e64 v0, 0, 1, s4
	global_store_b8 v[2:3], v0, off
	s_endpgm
.LBB15_2116:
	s_endpgm
.LBB15_2117:
	s_mov_b32 s3, 0
	s_mov_b32 s0, -1
	s_branch .LBB15_2073
.LBB15_2118:
	s_or_b32 s1, s1, exec_lo
	s_trap 2
	s_cbranch_execz .LBB15_1588
	s_branch .LBB15_1589
.LBB15_2119:
	s_and_not1_saveexec_b32 s14, s14
	s_cbranch_execz .LBB15_1668
.LBB15_2120:
	v_add_f32_e32 v1, 0x46000000, v3
	s_and_not1_b32 s13, s13, exec_lo
	s_delay_alu instid0(VALU_DEP_1) | instskip(NEXT) | instid1(VALU_DEP_1)
	v_and_b32_e32 v1, 0xff, v1
	v_cmp_ne_u32_e32 vcc_lo, 0, v1
	s_and_b32 s15, vcc_lo, exec_lo
	s_delay_alu instid0(SALU_CYCLE_1)
	s_or_b32 s13, s13, s15
	s_or_b32 exec_lo, exec_lo, s14
	v_mov_b32_e32 v5, 0
	s_and_saveexec_b32 s14, s13
	s_cbranch_execnz .LBB15_1669
	s_branch .LBB15_1670
.LBB15_2121:
	s_or_b32 s1, s1, exec_lo
	s_trap 2
	s_cbranch_execz .LBB15_1716
	s_branch .LBB15_1717
.LBB15_2122:
	s_and_not1_saveexec_b32 s13, s13
	s_cbranch_execz .LBB15_1681
.LBB15_2123:
	v_add_f32_e32 v1, 0x42800000, v3
	s_and_not1_b32 s12, s12, exec_lo
	s_delay_alu instid0(VALU_DEP_1) | instskip(NEXT) | instid1(VALU_DEP_1)
	v_and_b32_e32 v1, 0xff, v1
	v_cmp_ne_u32_e32 vcc_lo, 0, v1
	s_and_b32 s14, vcc_lo, exec_lo
	s_delay_alu instid0(SALU_CYCLE_1)
	s_or_b32 s12, s12, s14
	s_or_b32 exec_lo, exec_lo, s13
	v_mov_b32_e32 v5, 0
	s_and_saveexec_b32 s13, s12
	s_cbranch_execnz .LBB15_1682
	s_branch .LBB15_1683
.LBB15_2124:
	s_and_not1_saveexec_b32 s14, s14
	s_cbranch_execz .LBB15_1786
.LBB15_2125:
	v_add_f32_e32 v1, 0x46000000, v3
	s_and_not1_b32 s13, s13, exec_lo
	s_delay_alu instid0(VALU_DEP_1) | instskip(NEXT) | instid1(VALU_DEP_1)
	v_and_b32_e32 v1, 0xff, v1
	v_cmp_ne_u32_e32 vcc_lo, 0, v1
	s_and_b32 s15, vcc_lo, exec_lo
	s_delay_alu instid0(SALU_CYCLE_1)
	s_or_b32 s13, s13, s15
	s_or_b32 exec_lo, exec_lo, s14
	v_mov_b32_e32 v6, 0
	s_and_saveexec_b32 s14, s13
	s_cbranch_execnz .LBB15_1787
	s_branch .LBB15_1788
.LBB15_2126:
	s_or_b32 s1, s1, exec_lo
	s_trap 2
	s_cbranch_execz .LBB15_1834
	s_branch .LBB15_1835
.LBB15_2127:
	s_and_not1_saveexec_b32 s13, s13
	s_cbranch_execz .LBB15_1799
.LBB15_2128:
	v_add_f32_e32 v1, 0x42800000, v3
	s_and_not1_b32 s12, s12, exec_lo
	s_delay_alu instid0(VALU_DEP_1) | instskip(NEXT) | instid1(VALU_DEP_1)
	v_and_b32_e32 v1, 0xff, v1
	v_cmp_ne_u32_e32 vcc_lo, 0, v1
	s_and_b32 s14, vcc_lo, exec_lo
	s_delay_alu instid0(SALU_CYCLE_1)
	s_or_b32 s12, s12, s14
	s_or_b32 exec_lo, exec_lo, s13
	v_mov_b32_e32 v6, 0
	s_and_saveexec_b32 s13, s12
	s_cbranch_execnz .LBB15_1800
	s_branch .LBB15_1801
.LBB15_2129:
	s_and_not1_saveexec_b32 s14, s14
	s_cbranch_execz .LBB15_1905
.LBB15_2130:
	v_add_f32_e32 v1, 0x46000000, v4
	s_and_not1_b32 s13, s13, exec_lo
	s_delay_alu instid0(VALU_DEP_1) | instskip(NEXT) | instid1(VALU_DEP_1)
	v_and_b32_e32 v1, 0xff, v1
	v_cmp_ne_u32_e32 vcc_lo, 0, v1
	s_and_b32 s15, vcc_lo, exec_lo
	s_delay_alu instid0(SALU_CYCLE_1)
	s_or_b32 s13, s13, s15
	s_or_b32 exec_lo, exec_lo, s14
	v_mov_b32_e32 v5, 0
	s_and_saveexec_b32 s14, s13
	s_cbranch_execnz .LBB15_1906
	s_branch .LBB15_1907
.LBB15_2131:
	s_or_b32 s1, s1, exec_lo
	s_trap 2
	s_cbranch_execz .LBB15_1953
	s_branch .LBB15_1954
.LBB15_2132:
	s_and_not1_saveexec_b32 s13, s13
	s_cbranch_execz .LBB15_1918
.LBB15_2133:
	v_add_f32_e32 v1, 0x42800000, v4
	s_and_not1_b32 s12, s12, exec_lo
	s_delay_alu instid0(VALU_DEP_1) | instskip(NEXT) | instid1(VALU_DEP_1)
	v_and_b32_e32 v1, 0xff, v1
	v_cmp_ne_u32_e32 vcc_lo, 0, v1
	s_and_b32 s14, vcc_lo, exec_lo
	s_delay_alu instid0(SALU_CYCLE_1)
	s_or_b32 s12, s12, s14
	s_or_b32 exec_lo, exec_lo, s13
	v_mov_b32_e32 v5, 0
	s_and_saveexec_b32 s13, s12
	s_cbranch_execnz .LBB15_1919
	s_branch .LBB15_1920
.LBB15_2134:
	s_and_not1_saveexec_b32 s10, s10
	s_cbranch_execz .LBB15_2025
.LBB15_2135:
	v_add_f32_e32 v0, 0x46000000, v1
	s_and_not1_b32 s6, s6, exec_lo
	s_delay_alu instid0(VALU_DEP_1) | instskip(NEXT) | instid1(VALU_DEP_1)
	v_and_b32_e32 v0, 0xff, v0
	v_cmp_ne_u32_e32 vcc_lo, 0, v0
	s_and_b32 s11, vcc_lo, exec_lo
	s_delay_alu instid0(SALU_CYCLE_1)
	s_or_b32 s6, s6, s11
	s_or_b32 exec_lo, exec_lo, s10
	v_mov_b32_e32 v4, 0
	s_and_saveexec_b32 s10, s6
	s_cbranch_execnz .LBB15_2026
	s_branch .LBB15_2027
.LBB15_2136:
	s_mov_b32 s3, 0
	s_or_b32 s1, s1, exec_lo
	s_trap 2
	s_branch .LBB15_2071
.LBB15_2137:
	s_and_not1_saveexec_b32 s6, s6
	s_cbranch_execz .LBB15_2037
.LBB15_2138:
	v_add_f32_e32 v0, 0x42800000, v1
	s_and_not1_b32 s5, s5, exec_lo
	s_delay_alu instid0(VALU_DEP_1) | instskip(NEXT) | instid1(VALU_DEP_1)
	v_and_b32_e32 v0, 0xff, v0
	v_cmp_ne_u32_e32 vcc_lo, 0, v0
	s_and_b32 s10, vcc_lo, exec_lo
	s_delay_alu instid0(SALU_CYCLE_1)
	s_or_b32 s5, s5, s10
	s_or_b32 exec_lo, exec_lo, s6
	v_mov_b32_e32 v4, 0
	s_and_saveexec_b32 s6, s5
	s_cbranch_execnz .LBB15_2038
	s_branch .LBB15_2039
	.section	.rodata,"a",@progbits
	.p2align	6, 0x0
	.amdhsa_kernel _ZN2at6native32elementwise_kernel_manual_unrollILi128ELi4EZNS0_15gpu_kernel_implINS0_13AUnaryFunctorIhhbNS0_12_GLOBAL__N_116CompareEqFunctorIhEEEEEEvRNS_18TensorIteratorBaseERKT_EUlibE0_EEviT1_
		.amdhsa_group_segment_fixed_size 0
		.amdhsa_private_segment_fixed_size 0
		.amdhsa_kernarg_size 368
		.amdhsa_user_sgpr_count 2
		.amdhsa_user_sgpr_dispatch_ptr 0
		.amdhsa_user_sgpr_queue_ptr 0
		.amdhsa_user_sgpr_kernarg_segment_ptr 1
		.amdhsa_user_sgpr_dispatch_id 0
		.amdhsa_user_sgpr_kernarg_preload_length 0
		.amdhsa_user_sgpr_kernarg_preload_offset 0
		.amdhsa_user_sgpr_private_segment_size 0
		.amdhsa_wavefront_size32 1
		.amdhsa_uses_dynamic_stack 0
		.amdhsa_enable_private_segment 0
		.amdhsa_system_sgpr_workgroup_id_x 1
		.amdhsa_system_sgpr_workgroup_id_y 0
		.amdhsa_system_sgpr_workgroup_id_z 0
		.amdhsa_system_sgpr_workgroup_info 0
		.amdhsa_system_vgpr_workitem_id 0
		.amdhsa_next_free_vgpr 20
		.amdhsa_next_free_sgpr 68
		.amdhsa_named_barrier_count 0
		.amdhsa_reserve_vcc 1
		.amdhsa_float_round_mode_32 0
		.amdhsa_float_round_mode_16_64 0
		.amdhsa_float_denorm_mode_32 3
		.amdhsa_float_denorm_mode_16_64 3
		.amdhsa_fp16_overflow 0
		.amdhsa_memory_ordered 1
		.amdhsa_forward_progress 1
		.amdhsa_inst_pref_size 255
		.amdhsa_round_robin_scheduling 0
		.amdhsa_exception_fp_ieee_invalid_op 0
		.amdhsa_exception_fp_denorm_src 0
		.amdhsa_exception_fp_ieee_div_zero 0
		.amdhsa_exception_fp_ieee_overflow 0
		.amdhsa_exception_fp_ieee_underflow 0
		.amdhsa_exception_fp_ieee_inexact 0
		.amdhsa_exception_int_div_zero 0
	.end_amdhsa_kernel
	.section	.text._ZN2at6native32elementwise_kernel_manual_unrollILi128ELi4EZNS0_15gpu_kernel_implINS0_13AUnaryFunctorIhhbNS0_12_GLOBAL__N_116CompareEqFunctorIhEEEEEEvRNS_18TensorIteratorBaseERKT_EUlibE0_EEviT1_,"axG",@progbits,_ZN2at6native32elementwise_kernel_manual_unrollILi128ELi4EZNS0_15gpu_kernel_implINS0_13AUnaryFunctorIhhbNS0_12_GLOBAL__N_116CompareEqFunctorIhEEEEEEvRNS_18TensorIteratorBaseERKT_EUlibE0_EEviT1_,comdat
.Lfunc_end15:
	.size	_ZN2at6native32elementwise_kernel_manual_unrollILi128ELi4EZNS0_15gpu_kernel_implINS0_13AUnaryFunctorIhhbNS0_12_GLOBAL__N_116CompareEqFunctorIhEEEEEEvRNS_18TensorIteratorBaseERKT_EUlibE0_EEviT1_, .Lfunc_end15-_ZN2at6native32elementwise_kernel_manual_unrollILi128ELi4EZNS0_15gpu_kernel_implINS0_13AUnaryFunctorIhhbNS0_12_GLOBAL__N_116CompareEqFunctorIhEEEEEEvRNS_18TensorIteratorBaseERKT_EUlibE0_EEviT1_
                                        ; -- End function
	.set _ZN2at6native32elementwise_kernel_manual_unrollILi128ELi4EZNS0_15gpu_kernel_implINS0_13AUnaryFunctorIhhbNS0_12_GLOBAL__N_116CompareEqFunctorIhEEEEEEvRNS_18TensorIteratorBaseERKT_EUlibE0_EEviT1_.num_vgpr, 20
	.set _ZN2at6native32elementwise_kernel_manual_unrollILi128ELi4EZNS0_15gpu_kernel_implINS0_13AUnaryFunctorIhhbNS0_12_GLOBAL__N_116CompareEqFunctorIhEEEEEEvRNS_18TensorIteratorBaseERKT_EUlibE0_EEviT1_.num_agpr, 0
	.set _ZN2at6native32elementwise_kernel_manual_unrollILi128ELi4EZNS0_15gpu_kernel_implINS0_13AUnaryFunctorIhhbNS0_12_GLOBAL__N_116CompareEqFunctorIhEEEEEEvRNS_18TensorIteratorBaseERKT_EUlibE0_EEviT1_.numbered_sgpr, 68
	.set _ZN2at6native32elementwise_kernel_manual_unrollILi128ELi4EZNS0_15gpu_kernel_implINS0_13AUnaryFunctorIhhbNS0_12_GLOBAL__N_116CompareEqFunctorIhEEEEEEvRNS_18TensorIteratorBaseERKT_EUlibE0_EEviT1_.num_named_barrier, 0
	.set _ZN2at6native32elementwise_kernel_manual_unrollILi128ELi4EZNS0_15gpu_kernel_implINS0_13AUnaryFunctorIhhbNS0_12_GLOBAL__N_116CompareEqFunctorIhEEEEEEvRNS_18TensorIteratorBaseERKT_EUlibE0_EEviT1_.private_seg_size, 0
	.set _ZN2at6native32elementwise_kernel_manual_unrollILi128ELi4EZNS0_15gpu_kernel_implINS0_13AUnaryFunctorIhhbNS0_12_GLOBAL__N_116CompareEqFunctorIhEEEEEEvRNS_18TensorIteratorBaseERKT_EUlibE0_EEviT1_.uses_vcc, 1
	.set _ZN2at6native32elementwise_kernel_manual_unrollILi128ELi4EZNS0_15gpu_kernel_implINS0_13AUnaryFunctorIhhbNS0_12_GLOBAL__N_116CompareEqFunctorIhEEEEEEvRNS_18TensorIteratorBaseERKT_EUlibE0_EEviT1_.uses_flat_scratch, 0
	.set _ZN2at6native32elementwise_kernel_manual_unrollILi128ELi4EZNS0_15gpu_kernel_implINS0_13AUnaryFunctorIhhbNS0_12_GLOBAL__N_116CompareEqFunctorIhEEEEEEvRNS_18TensorIteratorBaseERKT_EUlibE0_EEviT1_.has_dyn_sized_stack, 0
	.set _ZN2at6native32elementwise_kernel_manual_unrollILi128ELi4EZNS0_15gpu_kernel_implINS0_13AUnaryFunctorIhhbNS0_12_GLOBAL__N_116CompareEqFunctorIhEEEEEEvRNS_18TensorIteratorBaseERKT_EUlibE0_EEviT1_.has_recursion, 0
	.set _ZN2at6native32elementwise_kernel_manual_unrollILi128ELi4EZNS0_15gpu_kernel_implINS0_13AUnaryFunctorIhhbNS0_12_GLOBAL__N_116CompareEqFunctorIhEEEEEEvRNS_18TensorIteratorBaseERKT_EUlibE0_EEviT1_.has_indirect_call, 0
	.section	.AMDGPU.csdata,"",@progbits
; Kernel info:
; codeLenInByte = 44708
; TotalNumSgprs: 70
; NumVgprs: 20
; ScratchSize: 0
; MemoryBound: 1
; FloatMode: 240
; IeeeMode: 1
; LDSByteSize: 0 bytes/workgroup (compile time only)
; SGPRBlocks: 0
; VGPRBlocks: 1
; NumSGPRsForWavesPerEU: 70
; NumVGPRsForWavesPerEU: 20
; NamedBarCnt: 0
; Occupancy: 16
; WaveLimiterHint : 1
; COMPUTE_PGM_RSRC2:SCRATCH_EN: 0
; COMPUTE_PGM_RSRC2:USER_SGPR: 2
; COMPUTE_PGM_RSRC2:TRAP_HANDLER: 0
; COMPUTE_PGM_RSRC2:TGID_X_EN: 1
; COMPUTE_PGM_RSRC2:TGID_Y_EN: 0
; COMPUTE_PGM_RSRC2:TGID_Z_EN: 0
; COMPUTE_PGM_RSRC2:TIDIG_COMP_CNT: 0
	.section	.text._ZN2at6native29vectorized_elementwise_kernelILi16ENS0_13BinaryFunctorIaabNS0_12_GLOBAL__N_116CompareEqFunctorIaEEEESt5arrayIPcLm3EEEEviT0_T1_,"axG",@progbits,_ZN2at6native29vectorized_elementwise_kernelILi16ENS0_13BinaryFunctorIaabNS0_12_GLOBAL__N_116CompareEqFunctorIaEEEESt5arrayIPcLm3EEEEviT0_T1_,comdat
	.globl	_ZN2at6native29vectorized_elementwise_kernelILi16ENS0_13BinaryFunctorIaabNS0_12_GLOBAL__N_116CompareEqFunctorIaEEEESt5arrayIPcLm3EEEEviT0_T1_ ; -- Begin function _ZN2at6native29vectorized_elementwise_kernelILi16ENS0_13BinaryFunctorIaabNS0_12_GLOBAL__N_116CompareEqFunctorIaEEEESt5arrayIPcLm3EEEEviT0_T1_
	.p2align	8
	.type	_ZN2at6native29vectorized_elementwise_kernelILi16ENS0_13BinaryFunctorIaabNS0_12_GLOBAL__N_116CompareEqFunctorIaEEEESt5arrayIPcLm3EEEEviT0_T1_,@function
_ZN2at6native29vectorized_elementwise_kernelILi16ENS0_13BinaryFunctorIaabNS0_12_GLOBAL__N_116CompareEqFunctorIaEEEESt5arrayIPcLm3EEEEviT0_T1_: ; @_ZN2at6native29vectorized_elementwise_kernelILi16ENS0_13BinaryFunctorIaabNS0_12_GLOBAL__N_116CompareEqFunctorIaEEEESt5arrayIPcLm3EEEEviT0_T1_
; %bb.0:
	s_clause 0x2
	s_load_b64 s[12:13], s[0:1], 0x0
	s_load_b128 s[16:19], s[0:1], 0x8
	s_load_b64 s[20:21], s[0:1], 0x18
	s_wait_xcnt 0x0
	s_bfe_u32 s0, ttmp6, 0x4000c
	s_and_b32 s1, ttmp6, 15
	s_add_co_i32 s0, s0, 1
	s_getreg_b32 s2, hwreg(HW_REG_IB_STS2, 6, 4)
	s_mul_i32 s0, ttmp9, s0
	s_delay_alu instid0(SALU_CYCLE_1) | instskip(SKIP_2) | instid1(SALU_CYCLE_1)
	s_add_co_i32 s1, s1, s0
	s_cmp_eq_u32 s2, 0
	s_cselect_b32 s0, ttmp9, s1
	s_lshl_b32 s14, s0, 12
	s_mov_b32 s0, -1
	s_wait_kmcnt 0x0
	s_sub_co_i32 s22, s12, s14
	s_delay_alu instid0(SALU_CYCLE_1)
	s_cmp_gt_i32 s22, 0xfff
	s_cbranch_scc0 .LBB16_2
; %bb.1:
	s_ashr_i32 s15, s14, 31
	s_cmp_eq_u32 s13, 0
	s_add_nc_u64 s[0:1], s[18:19], s[14:15]
	s_cselect_b32 s23, -1, 0
	global_load_b128 v[2:5], v0, s[0:1] scale_offset
	s_wait_xcnt 0x0
	s_add_nc_u64 s[0:1], s[20:21], s[14:15]
	global_load_b128 v[6:9], v0, s[0:1] scale_offset
	s_wait_loadcnt 0x1
	v_and_b32_e32 v14, 0xff, v3
	v_dual_lshrrev_b32 v12, 16, v3 :: v_dual_lshrrev_b32 v13, 24, v3
	s_wait_loadcnt 0x0
	v_and_b32_e32 v26, 0xff, v7
	v_dual_lshrrev_b32 v18, 16, v5 :: v_dual_lshrrev_b32 v19, 24, v5
	v_and_b32_e32 v20, 0xff, v5
	v_lshrrev_b16 v5, 8, v5
	v_dual_lshrrev_b32 v24, 16, v7 :: v_dual_lshrrev_b32 v25, 24, v7
	v_dual_lshrrev_b32 v30, 16, v9 :: v_dual_lshrrev_b32 v31, 24, v9
	v_and_b32_e32 v32, 0xff, v9
	v_lshrrev_b16 v9, 8, v9
	v_cmp_ne_u16_e64 s0, v14, v26
	v_dual_lshrrev_b32 v1, 16, v2 :: v_dual_lshrrev_b32 v10, 24, v2
	v_and_b32_e32 v11, 0xff, v2
	v_lshrrev_b16 v2, 8, v2
	v_dual_lshrrev_b32 v21, 16, v6 :: v_dual_lshrrev_b32 v22, 24, v6
	v_and_b32_e32 v23, 0xff, v6
	v_lshrrev_b16 v6, 8, v6
	v_cmp_ne_u16_e64 s1, v13, v25
	v_cmp_ne_u16_e64 s5, v5, v9
	v_dual_lshrrev_b32 v15, 16, v4 :: v_dual_lshrrev_b32 v16, 24, v4
	v_and_b32_e32 v17, 0xff, v4
	v_lshrrev_b16 v4, 8, v4
	v_dual_lshrrev_b32 v27, 16, v8 :: v_dual_lshrrev_b32 v28, 24, v8
	v_and_b32_e32 v29, 0xff, v8
	v_lshrrev_b16 v8, 8, v8
	v_lshrrev_b16 v3, 8, v3
	;; [unrolled: 1-line block ×3, first 2 shown]
	v_cmp_ne_u16_e64 s6, v20, v32
	s_xor_b32 s0, s23, s0
	v_cmp_ne_u16_e64 s7, v19, v31
	v_cmp_ne_u16_e64 s2, v2, v6
	v_cndmask_b32_e64 v2, 0, 1, s0
	s_xor_b32 s0, s23, s1
	s_xor_b32 s1, s23, s5
	v_cmp_ne_u16_e64 s8, v4, v8
	v_and_b32_e32 v12, 0xff, v12
	v_and_b32_e32 v24, 0xff, v24
	v_cmp_ne_u16_e32 vcc_lo, v3, v7
	v_cmp_ne_u16_e64 s3, v11, v23
	v_cndmask_b32_e64 v7, 0, 1, s1
	s_xor_b32 s1, s23, s6
	v_cmp_ne_u16_e64 s9, v17, v29
	v_and_b32_e32 v1, 0xff, v1
	v_and_b32_e32 v21, 0xff, v21
	v_cmp_ne_u16_e64 s4, v10, v22
	v_cndmask_b32_e64 v8, 0, 1, s1
	s_xor_b32 s1, s23, s7
	v_cmp_ne_u16_e64 s10, v16, v28
	v_cndmask_b32_e64 v3, 0, 1, s0
	s_xor_b32 s0, s23, s2
	v_and_b32_e32 v15, 0xff, v15
	v_and_b32_e32 v18, 0xff, v18
	;; [unrolled: 1-line block ×4, first 2 shown]
	v_cndmask_b32_e64 v9, 0, 1, s1
	s_xor_b32 s1, s23, s8
	v_cmp_ne_u16_e64 s11, v12, v24
	v_cndmask_b32_e64 v4, 0, 1, s0
	s_xor_b32 s0, s23, s3
	v_cndmask_b32_e64 v10, 0, 1, s1
	s_xor_b32 s1, s23, s9
	v_cmp_ne_u16_e64 s12, v1, v21
	v_cndmask_b32_e64 v5, 0, 1, s0
	s_xor_b32 s0, s23, s4
	v_cndmask_b32_e64 v11, 0, 1, s1
	s_xor_b32 s1, s23, s10
	s_xor_b32 s24, s23, vcc_lo
	v_cndmask_b32_e64 v6, 0, 1, s0
	v_cmp_ne_u16_e32 vcc_lo, v18, v30
	v_cmp_ne_u16_e64 s0, v15, v27
	v_cndmask_b32_e64 v12, 0, 1, s1
	s_xor_b32 s1, s23, s11
	v_cndmask_b32_e64 v1, 0, 1, s24
	v_cndmask_b32_e64 v13, 0, 1, s1
	s_xor_b32 s1, s23, s12
	s_xor_b32 s0, s23, s0
	v_cndmask_b32_e64 v14, 0, 1, s1
	s_xor_b32 s1, s23, vcc_lo
	v_lshlrev_b16 v1, 8, v1
	v_lshlrev_b16 v3, 8, v3
	;; [unrolled: 1-line block ×6, first 2 shown]
	v_cndmask_b32_e64 v15, 0, 1, s1
	v_lshlrev_b16 v10, 8, v10
	v_lshlrev_b16 v12, 8, v12
	v_cndmask_b32_e64 v16, 0, 1, s0
	v_or_b32_e32 v1, v2, v1
	v_or_b32_e32 v2, v13, v3
	;; [unrolled: 1-line block ×8, first 2 shown]
	v_and_b32_e32 v5, 0xffff, v5
	v_and_b32_e32 v7, 0xffff, v7
	v_lshlrev_b32_e32 v8, 16, v8
	v_dual_lshlrev_b32 v4, 16, v4 :: v_dual_lshlrev_b32 v2, 16, v2
	v_and_b32_e32 v1, 0xffff, v1
	v_lshlrev_b32_e32 v6, 16, v6
	v_and_b32_e32 v9, 0xffff, v3
	s_add_nc_u64 s[2:3], s[16:17], s[14:15]
	s_mov_b32 s0, 0
	v_or_b32_e32 v3, v1, v2
	v_or_b32_e32 v5, v5, v6
	;; [unrolled: 1-line block ×4, first 2 shown]
	global_store_b128 v0, v[2:5], s[2:3] scale_offset
.LBB16_2:
	s_and_not1_b32 vcc_lo, exec_lo, s0
	s_cbranch_vccnz .LBB16_54
; %bb.3:
	v_cmp_le_i32_e64 s0, s22, v0
	v_or_b32_e32 v1, 0x100, v0
	v_cmp_gt_i32_e32 vcc_lo, s22, v0
	s_wait_xcnt 0x0
	s_and_saveexec_b32 s1, s0
	s_delay_alu instid0(SALU_CYCLE_1)
	s_xor_b32 s0, exec_lo, s1
; %bb.4:
	v_or_b32_e32 v1, 0x100, v0
; %bb.5:
	s_or_saveexec_b32 s1, s0
	v_dual_mov_b32 v35, 0 :: v_dual_bitop2_b32 v8, s14, v0 bitop3:0x54
	v_dual_mov_b32 v34, 0 :: v_dual_mov_b32 v36, 0
	v_dual_mov_b32 v33, 0 :: v_dual_mov_b32 v32, 0
	;; [unrolled: 1-line block ×14, first 2 shown]
	v_mov_b32_e32 v28, 0
	s_mov_b32 s5, 0
	s_xor_b32 exec_lo, exec_lo, s1
	s_cbranch_execz .LBB16_37
; %bb.6:
	s_clause 0x1
	global_load_u8 v26, v8, s[18:19]
	global_load_u8 v28, v8, s[20:21]
	v_cmp_gt_u32_e64 s0, s22, v1
	v_dual_mov_b32 v17, 0 :: v_dual_mov_b32 v16, 0
	v_dual_mov_b32 v3, 0 :: v_dual_mov_b32 v10, 0
	;; [unrolled: 1-line block ×14, first 2 shown]
	s_mov_b32 s3, 0
	s_wait_xcnt 0x0
	s_and_saveexec_b32 s2, s0
	s_cbranch_execz .LBB16_36
; %bb.7:
	v_dual_mov_b32 v3, 0 :: v_dual_add_nc_u32 v2, s14, v0
	v_or_b32_e32 v4, 0x200, v0
	v_dual_mov_b32 v10, 0 :: v_dual_mov_b32 v9, 0
	v_mov_b32_e32 v29, 0
	s_clause 0x1
	global_load_u8 v16, v2, s[18:19] offset:256
	global_load_u8 v17, v2, s[20:21] offset:256
	v_cmp_gt_u32_e64 s0, s22, v4
	v_dual_mov_b32 v4, 0 :: v_dual_mov_b32 v30, 0
	v_dual_mov_b32 v25, 0 :: v_dual_mov_b32 v27, 0
	;; [unrolled: 1-line block ×11, first 2 shown]
	s_mov_b32 s4, 0
	s_wait_xcnt 0x0
	s_and_saveexec_b32 s3, s0
	s_cbranch_execz .LBB16_35
; %bb.8:
	v_add_nc_u64_e32 v[4:5], s[18:19], v[2:3]
	v_add_nc_u64_e32 v[6:7], s[20:21], v[2:3]
	v_or_b32_e32 v9, 0x300, v0
	v_dual_mov_b32 v30, 0 :: v_dual_mov_b32 v25, 0
	v_dual_mov_b32 v29, 0 :: v_dual_mov_b32 v27, 0
	v_mov_b32_e32 v22, 0
	global_load_u8 v10, v[4:5], off offset:512
	global_load_u8 v2, v[6:7], off offset:512
	v_cmp_gt_u32_e64 s0, s22, v9
	v_dual_mov_b32 v9, 0 :: v_dual_mov_b32 v24, 0
	v_dual_mov_b32 v18, 0 :: v_dual_mov_b32 v19, 0
	;; [unrolled: 1-line block ×9, first 2 shown]
	s_wait_xcnt 0x0
	s_and_saveexec_b32 s4, s0
	s_cbranch_execz .LBB16_34
; %bb.9:
	global_load_u8 v9, v[4:5], off offset:768
	global_load_u8 v3, v[6:7], off offset:768
	v_or_b32_e32 v11, 0x400, v0
	v_dual_mov_b32 v29, 0 :: v_dual_mov_b32 v30, 0
	v_dual_mov_b32 v25, 0 :: v_dual_mov_b32 v27, 0
	s_delay_alu instid0(VALU_DEP_3)
	v_cmp_gt_u32_e64 s0, s22, v11
	v_dual_mov_b32 v22, 0 :: v_dual_mov_b32 v24, 0
	v_dual_mov_b32 v18, 0 :: v_dual_mov_b32 v19, 0
	;; [unrolled: 1-line block ×9, first 2 shown]
	s_mov_b32 s6, 0
	s_wait_xcnt 0x0
	s_and_saveexec_b32 s5, s0
	s_cbranch_execz .LBB16_33
; %bb.10:
	global_load_u8 v30, v[4:5], off offset:1024
	global_load_u8 v29, v[6:7], off offset:1024
	v_or_b32_e32 v11, 0x500, v0
	v_dual_mov_b32 v25, 0 :: v_dual_mov_b32 v27, 0
	v_dual_mov_b32 v22, 0 :: v_dual_mov_b32 v24, 0
	s_delay_alu instid0(VALU_DEP_3)
	v_cmp_gt_u32_e64 s0, s22, v11
	v_dual_mov_b32 v18, 0 :: v_dual_mov_b32 v19, 0
	v_dual_mov_b32 v20, 0 :: v_dual_mov_b32 v21, 0
	;; [unrolled: 1-line block ×8, first 2 shown]
	s_mov_b32 s7, 0
	s_wait_xcnt 0x0
	s_and_saveexec_b32 s6, s0
	s_cbranch_execz .LBB16_32
; %bb.11:
	global_load_u8 v27, v[4:5], off offset:1280
	global_load_u8 v25, v[6:7], off offset:1280
	v_or_b32_e32 v11, 0x600, v0
	v_dual_mov_b32 v22, 0 :: v_dual_mov_b32 v24, 0
	v_dual_mov_b32 v18, 0 :: v_dual_mov_b32 v19, 0
	s_delay_alu instid0(VALU_DEP_3)
	v_cmp_gt_u32_e64 s0, s22, v11
	v_dual_mov_b32 v20, 0 :: v_dual_mov_b32 v21, 0
	v_dual_mov_b32 v23, 0 :: v_dual_mov_b32 v13, 0
	;; [unrolled: 1-line block ×7, first 2 shown]
	s_mov_b32 s8, 0
	s_wait_xcnt 0x0
	s_and_saveexec_b32 s7, s0
	s_cbranch_execz .LBB16_31
; %bb.12:
	global_load_u8 v24, v[4:5], off offset:1536
	global_load_u8 v22, v[6:7], off offset:1536
	v_or_b32_e32 v11, 0x700, v0
	v_dual_mov_b32 v18, 0 :: v_dual_mov_b32 v19, 0
	v_dual_mov_b32 v20, 0 :: v_dual_mov_b32 v21, 0
	s_delay_alu instid0(VALU_DEP_3)
	v_cmp_gt_u32_e64 s0, s22, v11
	v_dual_mov_b32 v23, 0 :: v_dual_mov_b32 v13, 0
	v_dual_mov_b32 v11, 0 :: v_dual_mov_b32 v14, 0
	;; [unrolled: 1-line block ×6, first 2 shown]
	s_mov_b32 s9, 0
	s_wait_xcnt 0x0
	s_and_saveexec_b32 s8, s0
	s_cbranch_execz .LBB16_30
; %bb.13:
	global_load_u8 v19, v[4:5], off offset:1792
	global_load_u8 v18, v[6:7], off offset:1792
	v_or_b32_e32 v11, 0x800, v0
	v_dual_mov_b32 v20, 0 :: v_dual_mov_b32 v21, 0
	v_dual_mov_b32 v23, 0 :: v_dual_mov_b32 v13, 0
	s_delay_alu instid0(VALU_DEP_3)
	v_cmp_gt_u32_e64 s0, s22, v11
	v_dual_mov_b32 v11, 0 :: v_dual_mov_b32 v14, 0
	v_dual_mov_b32 v12, 0 :: v_dual_mov_b32 v15, 0
	;; [unrolled: 1-line block ×5, first 2 shown]
	s_mov_b32 s10, 0
	s_wait_xcnt 0x0
	s_and_saveexec_b32 s9, s0
	s_cbranch_execz .LBB16_29
; %bb.14:
	global_load_u8 v21, v[4:5], off offset:2048
	global_load_u8 v20, v[6:7], off offset:2048
	v_or_b32_e32 v11, 0x900, v0
	v_dual_mov_b32 v23, 0 :: v_dual_mov_b32 v13, 0
	v_dual_mov_b32 v12, 0 :: v_dual_mov_b32 v15, 0
	s_delay_alu instid0(VALU_DEP_3)
	v_cmp_gt_u32_e64 s0, s22, v11
	v_dual_mov_b32 v11, 0 :: v_dual_mov_b32 v14, 0
	v_dual_mov_b32 v31, 0 :: v_dual_mov_b32 v32, 0
	;; [unrolled: 1-line block ×4, first 2 shown]
	s_mov_b32 s11, 0
	s_wait_xcnt 0x0
	s_and_saveexec_b32 s10, s0
	s_cbranch_execz .LBB16_28
; %bb.15:
	global_load_u8 v13, v[4:5], off offset:2304
	global_load_u8 v23, v[6:7], off offset:2304
	v_or_b32_e32 v11, 0xa00, v0
	v_dual_mov_b32 v12, 0 :: v_dual_mov_b32 v15, 0
	v_dual_mov_b32 v31, 0 :: v_dual_mov_b32 v32, 0
	s_delay_alu instid0(VALU_DEP_3)
	v_cmp_gt_u32_e64 s0, s22, v11
	v_dual_mov_b32 v11, 0 :: v_dual_mov_b32 v14, 0
	v_dual_mov_b32 v33, 0 :: v_dual_mov_b32 v36, 0
	;; [unrolled: 1-line block ×3, first 2 shown]
	s_mov_b32 s12, 0
	s_wait_xcnt 0x0
	s_and_saveexec_b32 s11, s0
	s_cbranch_execz .LBB16_27
; %bb.16:
	global_load_u8 v14, v[4:5], off offset:2560
	global_load_u8 v11, v[6:7], off offset:2560
	v_or_b32_e32 v12, 0xb00, v0
	v_dual_mov_b32 v31, 0 :: v_dual_mov_b32 v32, 0
	v_dual_mov_b32 v33, 0 :: v_dual_mov_b32 v36, 0
	s_delay_alu instid0(VALU_DEP_3)
	v_cmp_gt_u32_e64 s0, s22, v12
	v_dual_mov_b32 v12, 0 :: v_dual_mov_b32 v15, 0
	v_dual_mov_b32 v34, 0 :: v_dual_mov_b32 v35, 0
	s_mov_b32 s15, 0
	s_wait_xcnt 0x0
	s_and_saveexec_b32 s12, s0
	s_cbranch_execz .LBB16_26
; %bb.17:
	global_load_u8 v15, v[4:5], off offset:2816
	global_load_u8 v12, v[6:7], off offset:2816
	v_or_b32_e32 v31, 0xc00, v0
	v_dual_mov_b32 v33, 0 :: v_dual_mov_b32 v36, 0
	v_dual_mov_b32 v34, 0 :: v_dual_mov_b32 v35, 0
	s_delay_alu instid0(VALU_DEP_3)
	v_cmp_gt_u32_e64 s0, s22, v31
	v_dual_mov_b32 v31, 0 :: v_dual_mov_b32 v32, 0
	s_mov_b32 s18, 0
	s_wait_xcnt 0x0
	s_and_saveexec_b32 s15, s0
	s_cbranch_execz .LBB16_25
; %bb.18:
	global_load_u8 v32, v[4:5], off offset:3072
	global_load_u8 v31, v[6:7], off offset:3072
	v_or_b32_e32 v33, 0xd00, v0
	v_dual_mov_b32 v34, 0 :: v_dual_mov_b32 v35, 0
	s_mov_b32 s19, 0
	v_mov_b32_e32 v36, 0
	s_delay_alu instid0(VALU_DEP_3)
	v_cmp_gt_u32_e64 s0, s22, v33
	v_mov_b32_e32 v33, 0
	s_wait_xcnt 0x0
	s_and_saveexec_b32 s18, s0
	s_cbranch_execz .LBB16_24
; %bb.19:
	global_load_u8 v36, v[4:5], off offset:3328
	global_load_u8 v33, v[6:7], off offset:3328
	v_or_b32_e32 v34, 0xe00, v0
	s_mov_b32 s20, 0
	v_mov_b32_e32 v35, 0
	s_delay_alu instid0(VALU_DEP_2)
	v_cmp_gt_u32_e64 s0, s22, v34
	v_mov_b32_e32 v34, 0
	s_wait_xcnt 0x0
	s_and_saveexec_b32 s19, s0
	s_cbranch_execz .LBB16_23
; %bb.20:
	global_load_u8 v35, v[4:5], off offset:3584
	global_load_u8 v34, v[6:7], off offset:3584
	v_or_b32_e32 v37, 0xf00, v0
	s_mov_b32 s21, 0
	s_mov_b32 s20, exec_lo
	s_wait_xcnt 0x0
	s_delay_alu instid0(VALU_DEP_1)
	v_cmpx_gt_u32_e64 s22, v37
	s_cbranch_execz .LBB16_22
; %bb.21:
	global_load_u8 v37, v[4:5], off offset:3840
	global_load_u8 v38, v[6:7], off offset:3840
	s_wait_loadcnt 0x0
	v_cmp_ne_u16_e64 s0, v37, v38
	s_and_b32 s21, s0, exec_lo
.LBB16_22:
	s_wait_xcnt 0x0
	s_or_b32 exec_lo, exec_lo, s20
	s_delay_alu instid0(SALU_CYCLE_1)
	s_and_b32 s20, s21, exec_lo
.LBB16_23:
	s_or_b32 exec_lo, exec_lo, s19
	s_delay_alu instid0(SALU_CYCLE_1)
	s_and_b32 s19, s20, exec_lo
.LBB16_24:
	s_or_b32 exec_lo, exec_lo, s18
	s_delay_alu instid0(SALU_CYCLE_1)
	s_and_b32 s18, s19, exec_lo
.LBB16_25:
	s_or_b32 exec_lo, exec_lo, s15
	s_delay_alu instid0(SALU_CYCLE_1)
	s_and_b32 s15, s18, exec_lo
.LBB16_26:
	s_or_b32 exec_lo, exec_lo, s12
	s_delay_alu instid0(SALU_CYCLE_1)
	s_and_b32 s12, s15, exec_lo
.LBB16_27:
	s_or_b32 exec_lo, exec_lo, s11
	s_delay_alu instid0(SALU_CYCLE_1)
	s_and_b32 s11, s12, exec_lo
.LBB16_28:
	s_or_b32 exec_lo, exec_lo, s10
	s_delay_alu instid0(SALU_CYCLE_1)
	s_and_b32 s10, s11, exec_lo
.LBB16_29:
	s_or_b32 exec_lo, exec_lo, s9
	s_delay_alu instid0(SALU_CYCLE_1)
	s_and_b32 s9, s10, exec_lo
.LBB16_30:
	s_or_b32 exec_lo, exec_lo, s8
	s_delay_alu instid0(SALU_CYCLE_1)
	s_and_b32 s8, s9, exec_lo
.LBB16_31:
	s_or_b32 exec_lo, exec_lo, s7
	s_delay_alu instid0(SALU_CYCLE_1)
	s_and_b32 s7, s8, exec_lo
.LBB16_32:
	s_or_b32 exec_lo, exec_lo, s6
	s_delay_alu instid0(SALU_CYCLE_1)
	s_and_b32 s6, s7, exec_lo
.LBB16_33:
	s_or_b32 exec_lo, exec_lo, s5
	s_delay_alu instid0(SALU_CYCLE_1)
	s_and_b32 s5, s6, exec_lo
.LBB16_34:
	s_or_b32 exec_lo, exec_lo, s4
	s_wait_loadcnt 0x0
	v_dual_mov_b32 v4, v3 :: v_dual_mov_b32 v3, v2
	s_and_b32 s4, s5, exec_lo
.LBB16_35:
	s_or_b32 exec_lo, exec_lo, s3
	s_delay_alu instid0(SALU_CYCLE_1)
	s_and_b32 s3, s4, exec_lo
.LBB16_36:
	s_or_b32 exec_lo, exec_lo, s2
	s_delay_alu instid0(SALU_CYCLE_1)
	s_and_b32 s5, s3, exec_lo
.LBB16_37:
	s_or_b32 exec_lo, exec_lo, s1
	s_wait_loadcnt 0x0
	v_and_b32_e32 v2, 0xff, v28
	v_and_b32_e32 v5, 0xff, v26
	;; [unrolled: 1-line block ×4, first 2 shown]
	s_cmp_eq_u32 s13, 0
	v_and_b32_e32 v3, 0xff, v3
	v_cmp_ne_u16_e64 s0, v5, v2
	s_cselect_b32 s6, -1, 0
	v_cmp_ne_u16_e64 s1, v7, v6
	v_and_b32_e32 v2, 0xff, v17
	v_and_b32_e32 v6, 0xff, v16
	s_xor_b32 s0, s6, s0
	v_and_b32_e32 v16, 0xff, v25
	v_cndmask_b32_e64 v5, 0, 1, s0
	s_xor_b32 s0, s6, s1
	v_and_b32_e32 v17, 0xff, v27
	v_cndmask_b32_e64 v7, 0, 1, s0
	v_cmp_ne_u16_e64 s0, v6, v2
	v_cndmask_b32_e32 v2, 0, v5, vcc_lo
	v_and_b32_e32 v10, 0xff, v10
	v_cmp_ne_u16_e64 s1, v17, v16
	v_bitop3_b16 v5, v7, 0, 0xff00 bitop3:0xf8
	v_or_b32_e32 v7, 0x400, v0
	s_xor_b32 s0, s6, s0
	v_and_b32_e32 v4, 0xff, v4
	v_cndmask_b32_e64 v6, 0, 1, s0
	s_xor_b32 s0, s6, s1
	v_and_b32_e32 v5, 0xffff, v5
	v_cndmask_b32_e64 v16, 0, 1, s0
	v_cmp_gt_i32_e64 s0, s22, v7
	v_lshlrev_b16 v6, 8, v6
	v_cmp_gt_i32_e64 s1, s22, v1
	v_and_b32_e32 v17, 0xff, v33
	v_lshlrev_b16 v7, 8, v16
	v_cndmask_b32_e64 v5, 0, v5, s0
	v_cmp_ne_u16_e64 s0, v10, v3
	v_or_b32_e32 v3, 0x500, v0
	v_and_b32_e32 v10, 0xff, v22
	v_and_b32_e32 v16, 0xff, v24
	v_bitop3_b16 v7, v5, v7, 0xff bitop3:0xec
	s_xor_b32 s0, s6, s0
	v_and_b32_e32 v13, 0xff, v13
	v_and_b32_e32 v11, 0xff, v11
	;; [unrolled: 1-line block ×4, first 2 shown]
	v_or_b32_e32 v6, v2, v6
	s_delay_alu instid0(VALU_DEP_1) | instskip(NEXT) | instid1(VALU_DEP_1)
	v_and_b32_e32 v6, 0xffff, v6
	v_cndmask_b32_e64 v2, v2, v6, s1
	v_cmp_gt_i32_e64 s1, s22, v3
	v_and_b32_e32 v6, 0xff, v9
	s_delay_alu instid0(VALU_DEP_2)
	v_cndmask_b32_e64 v3, v5, v7, s1
	v_cmp_ne_u16_e64 s1, v16, v10
	v_cndmask_b32_e64 v5, 0, 1, s0
	v_or_b32_e32 v10, 0x200, v0
	v_and_b32_e32 v16, 0xff, v32
	v_lshrrev_b32_e32 v7, 16, v3
	s_xor_b32 s0, s6, s1
	v_lshl_or_b32 v5, v5, 16, v2
	v_cndmask_b32_e64 v9, 0, 1, s0
	v_cmp_ne_u16_e64 s0, v6, v4
	v_cmp_gt_i32_e64 s1, s22, v10
	v_and_b32_e32 v10, 0xff, v31
	s_delay_alu instid0(VALU_DEP_4)
	v_bitop3_b16 v4, v9, v7, 0xff00 bitop3:0xf8
	s_xor_b32 s0, s6, s0
	v_cndmask_b32_e64 v2, v2, v5, s1
	v_cndmask_b32_e64 v5, 0, 1, s0
	v_or_b32_e32 v7, 0x600, v0
	v_lshlrev_b32_e32 v4, 16, v4
	v_cmp_ne_u16_e64 s1, v16, v10
	v_and_b32_e32 v9, 0xff, v23
	v_lshlrev_b16 v5, 8, v5
	v_cmp_gt_i32_e64 s0, s22, v7
	v_and_or_b32 v4, 0xffff, v3, v4
	v_lshrrev_b32_e32 v6, 16, v2
	s_xor_b32 s1, s6, s1
	v_cmp_ne_u16_e64 s4, v13, v9
	v_or_b32_e32 v16, 0xd00, v0
	v_cndmask_b32_e64 v3, v3, v4, s0
	v_bitop3_b16 v5, v6, v5, 0xff bitop3:0xec
	v_and_b32_e32 v4, 0xff, v18
	v_and_b32_e32 v6, 0xff, v19
	;; [unrolled: 1-line block ×3, first 2 shown]
	v_or_b32_e32 v19, 0x800, v0
	v_or_b32_e32 v13, 0x900, v0
	v_dual_lshlrev_b32 v5, 16, v5 :: v_dual_lshrrev_b32 v7, 16, v3
	v_cmp_ne_u16_e64 s0, v6, v4
	v_and_b32_e32 v4, 0xff, v20
	v_and_b32_e32 v6, 0xff, v21
	v_cmp_ne_u16_e64 s3, v18, v17
	v_and_b32_e32 v17, 0xff, v34
	v_and_b32_e32 v18, 0xff, v35
	s_xor_b32 s0, s6, s0
	v_cmp_ne_u16_e64 s2, v6, v4
	v_or_b32_e32 v4, 0xc00, v0
	v_cndmask_b32_e64 v6, 0, 1, s1
	s_xor_b32 s1, s6, s3
	v_and_or_b32 v5, 0xffff, v2, v5
	v_cndmask_b32_e64 v9, 0, 1, s1
	s_xor_b32 s1, s6, s2
	v_cmp_gt_i32_e64 s2, s22, v16
	v_cndmask_b32_e64 v10, 0, 1, s1
	v_cmp_gt_i32_e64 s1, s22, v4
	v_cndmask_b32_e64 v16, 0, 1, s0
	v_cmp_gt_i32_e64 s0, s22, v13
	s_delay_alu instid0(VALU_DEP_3)
	v_cndmask_b32_e64 v4, 0, v6, s1
	s_xor_b32 s1, s6, s4
	v_lshlrev_b16 v6, 8, v9
	v_cndmask_b32_e64 v9, 0, 1, s1
	v_cmp_gt_i32_e64 s1, s22, v19
	v_lshlrev_b16 v13, 8, v16
	s_delay_alu instid0(VALU_DEP_3) | instskip(NEXT) | instid1(VALU_DEP_3)
	v_lshlrev_b16 v9, 8, v9
	v_cndmask_b32_e64 v10, 0, v10, s1
	v_cmp_ne_u16_e64 s1, v14, v11
	s_delay_alu instid0(VALU_DEP_4) | instskip(SKIP_1) | instid1(VALU_DEP_4)
	v_bitop3_b16 v7, v7, v13, 0xff bitop3:0xec
	v_or_b32_e32 v13, 0x300, v0
	v_or_b32_e32 v9, v10, v9
	v_bitop3_b16 v6, v4, v6, 0xff bitop3:0xec
	s_xor_b32 s1, s6, s1
	v_lshlrev_b32_e32 v7, 16, v7
	s_delay_alu instid0(VALU_DEP_2) | instskip(NEXT) | instid1(VALU_DEP_2)
	v_and_b32_e32 v6, 0xffff, v6
	v_and_or_b32 v7, 0xffff, v3, v7
	s_delay_alu instid0(VALU_DEP_2) | instskip(SKIP_3) | instid1(VALU_DEP_4)
	v_cndmask_b32_e64 v4, v4, v6, s2
	v_cmp_ne_u16_e64 s2, v18, v17
	v_and_b32_e32 v6, 0xffff, v9
	v_cndmask_b32_e64 v9, 0, 1, s1
	v_lshrrev_b32_e32 v11, 16, v4
	s_xor_b32 s1, s6, s2
	s_delay_alu instid0(VALU_DEP_3) | instskip(SKIP_1) | instid1(VALU_DEP_1)
	v_cndmask_b32_e64 v6, v10, v6, s0
	v_cndmask_b32_e64 v14, 0, 1, s1
	v_bitop3_b16 v10, v14, v11, 0xff00 bitop3:0xf8
	v_and_b32_e32 v11, 0xff, v12
	v_and_b32_e32 v12, 0xff, v15
	v_lshlrev_b32_e32 v9, 16, v9
	v_or_b32_e32 v14, 0xa00, v0
	v_lshlrev_b32_e32 v10, 16, v10
	s_delay_alu instid0(VALU_DEP_4) | instskip(NEXT) | instid1(VALU_DEP_4)
	v_cmp_ne_u16_e64 s0, v12, v11
	v_and_or_b32 v9, 0x1ff, v6, v9
	v_or_b32_e32 v11, 0xe00, v0
	v_cmp_gt_i32_e64 s1, s22, v14
	v_and_or_b32 v10, 0xffff, v4, v10
	s_xor_b32 s0, s6, s0
	v_cndmask_b32_e64 v6, v6, v9, s1
	v_cndmask_b32_e64 v9, 0, 1, s0
	v_cmp_gt_i32_e64 s0, s22, v11
	s_delay_alu instid0(VALU_DEP_2) | instskip(NEXT) | instid1(VALU_DEP_2)
	v_lshlrev_b16 v9, 8, v9
	v_cndmask_b32_e64 v10, v4, v10, s0
	s_xor_b32 s0, s6, s5
	v_lshrrev_b32_e32 v11, 16, v6
	v_cndmask_b32_e64 v4, 0, 1, s0
	v_cmp_gt_i32_e64 s0, s22, v13
	v_lshrrev_b32_e32 v12, 16, v10
	s_delay_alu instid0(VALU_DEP_4) | instskip(NEXT) | instid1(VALU_DEP_4)
	v_bitop3_b16 v9, v11, v9, 0xff bitop3:0xec
	v_lshlrev_b16 v4, 8, v4
	s_delay_alu instid0(VALU_DEP_4) | instskip(SKIP_1) | instid1(VALU_DEP_3)
	v_cndmask_b32_e64 v5, v2, v5, s0
	v_or_b32_e32 v11, 0xb00, v0
	v_bitop3_b16 v4, v12, v4, 0xff bitop3:0xec
	v_lshlrev_b32_e32 v2, 16, v9
	v_or_b32_e32 v9, 0x700, v0
	v_or_b32_e32 v12, 0xf00, v0
	s_delay_alu instid0(VALU_DEP_4) | instskip(NEXT) | instid1(VALU_DEP_4)
	v_lshlrev_b32_e32 v4, 16, v4
	v_and_or_b32 v2, 0xffff, v6, v2
	s_delay_alu instid0(VALU_DEP_4) | instskip(NEXT) | instid1(VALU_DEP_3)
	v_cmp_gt_i32_e64 s0, s22, v9
	v_and_or_b32 v13, 0xffff, v10, v4
	s_delay_alu instid0(VALU_DEP_2) | instskip(SKIP_1) | instid1(VALU_DEP_1)
	v_cndmask_b32_e64 v4, v3, v7, s0
	v_cmp_gt_i32_e64 s0, s22, v11
	v_cndmask_b32_e64 v3, v6, v2, s0
	v_cmp_gt_i32_e64 s0, s22, v12
	s_delay_alu instid0(VALU_DEP_1)
	v_cndmask_b32_e64 v2, v10, v13, s0
	s_and_saveexec_b32 s0, vcc_lo
	s_cbranch_execnz .LBB16_55
; %bb.38:
	s_or_b32 exec_lo, exec_lo, s0
	s_delay_alu instid0(SALU_CYCLE_1)
	s_mov_b32 s0, exec_lo
	v_cmpx_gt_i32_e64 s22, v0
	s_cbranch_execnz .LBB16_56
.LBB16_39:
	s_or_b32 exec_lo, exec_lo, s0
	s_delay_alu instid0(SALU_CYCLE_1)
	s_mov_b32 s0, exec_lo
	v_cmpx_gt_i32_e64 s22, v0
	s_cbranch_execnz .LBB16_57
.LBB16_40:
	s_or_b32 exec_lo, exec_lo, s0
	s_delay_alu instid0(SALU_CYCLE_1)
	s_mov_b32 s0, exec_lo
	v_cmpx_gt_i32_e64 s22, v0
	s_cbranch_execnz .LBB16_58
.LBB16_41:
	s_or_b32 exec_lo, exec_lo, s0
	s_delay_alu instid0(SALU_CYCLE_1)
	s_mov_b32 s0, exec_lo
	v_cmpx_gt_i32_e64 s22, v0
	s_cbranch_execnz .LBB16_59
.LBB16_42:
	s_or_b32 exec_lo, exec_lo, s0
	s_delay_alu instid0(SALU_CYCLE_1)
	s_mov_b32 s0, exec_lo
	v_cmpx_gt_i32_e64 s22, v0
	s_cbranch_execnz .LBB16_60
.LBB16_43:
	s_or_b32 exec_lo, exec_lo, s0
	s_delay_alu instid0(SALU_CYCLE_1)
	s_mov_b32 s0, exec_lo
	v_cmpx_gt_i32_e64 s22, v0
	s_cbranch_execnz .LBB16_61
.LBB16_44:
	s_or_b32 exec_lo, exec_lo, s0
	s_delay_alu instid0(SALU_CYCLE_1)
	s_mov_b32 s0, exec_lo
	v_cmpx_gt_i32_e64 s22, v0
	s_cbranch_execnz .LBB16_62
.LBB16_45:
	s_or_b32 exec_lo, exec_lo, s0
	s_delay_alu instid0(SALU_CYCLE_1)
	s_mov_b32 s0, exec_lo
	v_cmpx_gt_i32_e64 s22, v0
	s_cbranch_execnz .LBB16_63
.LBB16_46:
	s_or_b32 exec_lo, exec_lo, s0
	s_delay_alu instid0(SALU_CYCLE_1)
	s_mov_b32 s0, exec_lo
	v_cmpx_gt_i32_e64 s22, v0
	s_cbranch_execnz .LBB16_64
.LBB16_47:
	s_or_b32 exec_lo, exec_lo, s0
	s_delay_alu instid0(SALU_CYCLE_1)
	s_mov_b32 s0, exec_lo
	v_cmpx_gt_i32_e64 s22, v0
	s_cbranch_execnz .LBB16_65
.LBB16_48:
	s_or_b32 exec_lo, exec_lo, s0
	s_delay_alu instid0(SALU_CYCLE_1)
	s_mov_b32 s0, exec_lo
	v_cmpx_gt_i32_e64 s22, v0
	s_cbranch_execnz .LBB16_66
.LBB16_49:
	s_or_b32 exec_lo, exec_lo, s0
	s_delay_alu instid0(SALU_CYCLE_1)
	s_mov_b32 s0, exec_lo
	v_cmpx_gt_i32_e64 s22, v0
	s_cbranch_execnz .LBB16_67
.LBB16_50:
	s_or_b32 exec_lo, exec_lo, s0
	s_delay_alu instid0(SALU_CYCLE_1)
	s_mov_b32 s0, exec_lo
	v_cmpx_gt_i32_e64 s22, v0
	s_cbranch_execnz .LBB16_68
.LBB16_51:
	s_or_b32 exec_lo, exec_lo, s0
	s_delay_alu instid0(SALU_CYCLE_1)
	s_mov_b32 s0, exec_lo
	v_cmpx_gt_i32_e64 s22, v0
	s_cbranch_execnz .LBB16_69
.LBB16_52:
	s_or_b32 exec_lo, exec_lo, s0
	s_delay_alu instid0(SALU_CYCLE_1)
	s_mov_b32 s0, exec_lo
	v_cmpx_gt_i32_e64 s22, v0
	s_cbranch_execz .LBB16_54
.LBB16_53:
	v_dual_lshrrev_b32 v1, 24, v2 :: v_dual_add_nc_u32 v0, s14, v0
	global_store_b8 v0, v1, s[16:17]
.LBB16_54:
	s_endpgm
.LBB16_55:
	v_mov_b32_e32 v0, v1
	global_store_b8 v8, v5, s[16:17]
	s_wait_xcnt 0x0
	s_or_b32 exec_lo, exec_lo, s0
	s_delay_alu instid0(SALU_CYCLE_1)
	s_mov_b32 s0, exec_lo
	v_cmpx_gt_i32_e64 s22, v0
	s_cbranch_execz .LBB16_39
.LBB16_56:
	v_dual_lshrrev_b32 v1, 8, v5 :: v_dual_add_nc_u32 v6, s14, v0
	v_add_nc_u32_e32 v0, 0x100, v0
	global_store_b8 v6, v1, s[16:17]
	s_wait_xcnt 0x0
	s_or_b32 exec_lo, exec_lo, s0
	s_delay_alu instid0(SALU_CYCLE_1)
	s_mov_b32 s0, exec_lo
	v_cmpx_gt_i32_e64 s22, v0
	s_cbranch_execz .LBB16_40
.LBB16_57:
	v_add_nc_u32_e32 v1, s14, v0
	v_add_nc_u32_e32 v0, 0x100, v0
	global_store_d16_hi_b8 v1, v5, s[16:17]
	s_wait_xcnt 0x0
	s_or_b32 exec_lo, exec_lo, s0
	s_delay_alu instid0(SALU_CYCLE_1)
	s_mov_b32 s0, exec_lo
	v_cmpx_gt_i32_e64 s22, v0
	s_cbranch_execz .LBB16_41
.LBB16_58:
	v_dual_lshrrev_b32 v1, 24, v5 :: v_dual_add_nc_u32 v5, s14, v0
	v_add_nc_u32_e32 v0, 0x100, v0
	global_store_b8 v5, v1, s[16:17]
	s_wait_xcnt 0x0
	s_or_b32 exec_lo, exec_lo, s0
	s_delay_alu instid0(SALU_CYCLE_1)
	s_mov_b32 s0, exec_lo
	v_cmpx_gt_i32_e64 s22, v0
	s_cbranch_execz .LBB16_42
.LBB16_59:
	v_add_nc_u32_e32 v1, s14, v0
	v_add_nc_u32_e32 v0, 0x100, v0
	global_store_b8 v1, v4, s[16:17]
	s_wait_xcnt 0x0
	s_or_b32 exec_lo, exec_lo, s0
	s_delay_alu instid0(SALU_CYCLE_1)
	s_mov_b32 s0, exec_lo
	v_cmpx_gt_i32_e64 s22, v0
	s_cbranch_execz .LBB16_43
.LBB16_60:
	v_lshrrev_b32_e32 v1, 8, v4
	v_add_nc_u32_e32 v5, s14, v0
	v_add_nc_u32_e32 v0, 0x100, v0
	global_store_b8 v5, v1, s[16:17]
	s_wait_xcnt 0x0
	s_or_b32 exec_lo, exec_lo, s0
	s_delay_alu instid0(SALU_CYCLE_1)
	s_mov_b32 s0, exec_lo
	v_cmpx_gt_i32_e64 s22, v0
	s_cbranch_execz .LBB16_44
.LBB16_61:
	v_add_nc_u32_e32 v1, s14, v0
	v_add_nc_u32_e32 v0, 0x100, v0
	global_store_d16_hi_b8 v1, v4, s[16:17]
	s_wait_xcnt 0x0
	s_or_b32 exec_lo, exec_lo, s0
	s_delay_alu instid0(SALU_CYCLE_1)
	s_mov_b32 s0, exec_lo
	v_cmpx_gt_i32_e64 s22, v0
	s_cbranch_execz .LBB16_45
.LBB16_62:
	v_lshrrev_b32_e32 v1, 24, v4
	v_add_nc_u32_e32 v4, s14, v0
	v_add_nc_u32_e32 v0, 0x100, v0
	global_store_b8 v4, v1, s[16:17]
	s_wait_xcnt 0x0
	s_or_b32 exec_lo, exec_lo, s0
	s_delay_alu instid0(SALU_CYCLE_1)
	s_mov_b32 s0, exec_lo
	v_cmpx_gt_i32_e64 s22, v0
	s_cbranch_execz .LBB16_46
.LBB16_63:
	v_add_nc_u32_e32 v1, s14, v0
	v_add_nc_u32_e32 v0, 0x100, v0
	global_store_b8 v1, v3, s[16:17]
	s_wait_xcnt 0x0
	s_or_b32 exec_lo, exec_lo, s0
	s_delay_alu instid0(SALU_CYCLE_1)
	s_mov_b32 s0, exec_lo
	v_cmpx_gt_i32_e64 s22, v0
	s_cbranch_execz .LBB16_47
.LBB16_64:
	v_dual_lshrrev_b32 v1, 8, v3 :: v_dual_add_nc_u32 v4, s14, v0
	v_add_nc_u32_e32 v0, 0x100, v0
	global_store_b8 v4, v1, s[16:17]
	s_wait_xcnt 0x0
	s_or_b32 exec_lo, exec_lo, s0
	s_delay_alu instid0(SALU_CYCLE_1)
	s_mov_b32 s0, exec_lo
	v_cmpx_gt_i32_e64 s22, v0
	s_cbranch_execz .LBB16_48
.LBB16_65:
	v_add_nc_u32_e32 v1, s14, v0
	v_add_nc_u32_e32 v0, 0x100, v0
	global_store_d16_hi_b8 v1, v3, s[16:17]
	s_wait_xcnt 0x0
	s_or_b32 exec_lo, exec_lo, s0
	s_delay_alu instid0(SALU_CYCLE_1)
	s_mov_b32 s0, exec_lo
	v_cmpx_gt_i32_e64 s22, v0
	s_cbranch_execz .LBB16_49
.LBB16_66:
	v_dual_lshrrev_b32 v1, 24, v3 :: v_dual_add_nc_u32 v3, s14, v0
	v_add_nc_u32_e32 v0, 0x100, v0
	global_store_b8 v3, v1, s[16:17]
	s_wait_xcnt 0x0
	s_or_b32 exec_lo, exec_lo, s0
	s_delay_alu instid0(SALU_CYCLE_1)
	s_mov_b32 s0, exec_lo
	v_cmpx_gt_i32_e64 s22, v0
	s_cbranch_execz .LBB16_50
.LBB16_67:
	v_add_nc_u32_e32 v1, s14, v0
	v_add_nc_u32_e32 v0, 0x100, v0
	global_store_b8 v1, v2, s[16:17]
	s_wait_xcnt 0x0
	s_or_b32 exec_lo, exec_lo, s0
	s_delay_alu instid0(SALU_CYCLE_1)
	s_mov_b32 s0, exec_lo
	v_cmpx_gt_i32_e64 s22, v0
	s_cbranch_execz .LBB16_51
.LBB16_68:
	v_dual_lshrrev_b32 v1, 8, v2 :: v_dual_add_nc_u32 v3, s14, v0
	v_add_nc_u32_e32 v0, 0x100, v0
	global_store_b8 v3, v1, s[16:17]
	s_wait_xcnt 0x0
	s_or_b32 exec_lo, exec_lo, s0
	s_delay_alu instid0(SALU_CYCLE_1)
	s_mov_b32 s0, exec_lo
	v_cmpx_gt_i32_e64 s22, v0
	s_cbranch_execz .LBB16_52
.LBB16_69:
	v_add_nc_u32_e32 v1, s14, v0
	v_add_nc_u32_e32 v0, 0x100, v0
	global_store_d16_hi_b8 v1, v2, s[16:17]
	s_wait_xcnt 0x0
	s_or_b32 exec_lo, exec_lo, s0
	s_delay_alu instid0(SALU_CYCLE_1)
	s_mov_b32 s0, exec_lo
	v_cmpx_gt_i32_e64 s22, v0
	s_cbranch_execnz .LBB16_53
	s_branch .LBB16_54
	.section	.rodata,"a",@progbits
	.p2align	6, 0x0
	.amdhsa_kernel _ZN2at6native29vectorized_elementwise_kernelILi16ENS0_13BinaryFunctorIaabNS0_12_GLOBAL__N_116CompareEqFunctorIaEEEESt5arrayIPcLm3EEEEviT0_T1_
		.amdhsa_group_segment_fixed_size 0
		.amdhsa_private_segment_fixed_size 0
		.amdhsa_kernarg_size 32
		.amdhsa_user_sgpr_count 2
		.amdhsa_user_sgpr_dispatch_ptr 0
		.amdhsa_user_sgpr_queue_ptr 0
		.amdhsa_user_sgpr_kernarg_segment_ptr 1
		.amdhsa_user_sgpr_dispatch_id 0
		.amdhsa_user_sgpr_kernarg_preload_length 0
		.amdhsa_user_sgpr_kernarg_preload_offset 0
		.amdhsa_user_sgpr_private_segment_size 0
		.amdhsa_wavefront_size32 1
		.amdhsa_uses_dynamic_stack 0
		.amdhsa_enable_private_segment 0
		.amdhsa_system_sgpr_workgroup_id_x 1
		.amdhsa_system_sgpr_workgroup_id_y 0
		.amdhsa_system_sgpr_workgroup_id_z 0
		.amdhsa_system_sgpr_workgroup_info 0
		.amdhsa_system_vgpr_workitem_id 0
		.amdhsa_next_free_vgpr 39
		.amdhsa_next_free_sgpr 25
		.amdhsa_named_barrier_count 0
		.amdhsa_reserve_vcc 1
		.amdhsa_float_round_mode_32 0
		.amdhsa_float_round_mode_16_64 0
		.amdhsa_float_denorm_mode_32 3
		.amdhsa_float_denorm_mode_16_64 3
		.amdhsa_fp16_overflow 0
		.amdhsa_memory_ordered 1
		.amdhsa_forward_progress 1
		.amdhsa_inst_pref_size 46
		.amdhsa_round_robin_scheduling 0
		.amdhsa_exception_fp_ieee_invalid_op 0
		.amdhsa_exception_fp_denorm_src 0
		.amdhsa_exception_fp_ieee_div_zero 0
		.amdhsa_exception_fp_ieee_overflow 0
		.amdhsa_exception_fp_ieee_underflow 0
		.amdhsa_exception_fp_ieee_inexact 0
		.amdhsa_exception_int_div_zero 0
	.end_amdhsa_kernel
	.section	.text._ZN2at6native29vectorized_elementwise_kernelILi16ENS0_13BinaryFunctorIaabNS0_12_GLOBAL__N_116CompareEqFunctorIaEEEESt5arrayIPcLm3EEEEviT0_T1_,"axG",@progbits,_ZN2at6native29vectorized_elementwise_kernelILi16ENS0_13BinaryFunctorIaabNS0_12_GLOBAL__N_116CompareEqFunctorIaEEEESt5arrayIPcLm3EEEEviT0_T1_,comdat
.Lfunc_end16:
	.size	_ZN2at6native29vectorized_elementwise_kernelILi16ENS0_13BinaryFunctorIaabNS0_12_GLOBAL__N_116CompareEqFunctorIaEEEESt5arrayIPcLm3EEEEviT0_T1_, .Lfunc_end16-_ZN2at6native29vectorized_elementwise_kernelILi16ENS0_13BinaryFunctorIaabNS0_12_GLOBAL__N_116CompareEqFunctorIaEEEESt5arrayIPcLm3EEEEviT0_T1_
                                        ; -- End function
	.set _ZN2at6native29vectorized_elementwise_kernelILi16ENS0_13BinaryFunctorIaabNS0_12_GLOBAL__N_116CompareEqFunctorIaEEEESt5arrayIPcLm3EEEEviT0_T1_.num_vgpr, 39
	.set _ZN2at6native29vectorized_elementwise_kernelILi16ENS0_13BinaryFunctorIaabNS0_12_GLOBAL__N_116CompareEqFunctorIaEEEESt5arrayIPcLm3EEEEviT0_T1_.num_agpr, 0
	.set _ZN2at6native29vectorized_elementwise_kernelILi16ENS0_13BinaryFunctorIaabNS0_12_GLOBAL__N_116CompareEqFunctorIaEEEESt5arrayIPcLm3EEEEviT0_T1_.numbered_sgpr, 25
	.set _ZN2at6native29vectorized_elementwise_kernelILi16ENS0_13BinaryFunctorIaabNS0_12_GLOBAL__N_116CompareEqFunctorIaEEEESt5arrayIPcLm3EEEEviT0_T1_.num_named_barrier, 0
	.set _ZN2at6native29vectorized_elementwise_kernelILi16ENS0_13BinaryFunctorIaabNS0_12_GLOBAL__N_116CompareEqFunctorIaEEEESt5arrayIPcLm3EEEEviT0_T1_.private_seg_size, 0
	.set _ZN2at6native29vectorized_elementwise_kernelILi16ENS0_13BinaryFunctorIaabNS0_12_GLOBAL__N_116CompareEqFunctorIaEEEESt5arrayIPcLm3EEEEviT0_T1_.uses_vcc, 1
	.set _ZN2at6native29vectorized_elementwise_kernelILi16ENS0_13BinaryFunctorIaabNS0_12_GLOBAL__N_116CompareEqFunctorIaEEEESt5arrayIPcLm3EEEEviT0_T1_.uses_flat_scratch, 0
	.set _ZN2at6native29vectorized_elementwise_kernelILi16ENS0_13BinaryFunctorIaabNS0_12_GLOBAL__N_116CompareEqFunctorIaEEEESt5arrayIPcLm3EEEEviT0_T1_.has_dyn_sized_stack, 0
	.set _ZN2at6native29vectorized_elementwise_kernelILi16ENS0_13BinaryFunctorIaabNS0_12_GLOBAL__N_116CompareEqFunctorIaEEEESt5arrayIPcLm3EEEEviT0_T1_.has_recursion, 0
	.set _ZN2at6native29vectorized_elementwise_kernelILi16ENS0_13BinaryFunctorIaabNS0_12_GLOBAL__N_116CompareEqFunctorIaEEEESt5arrayIPcLm3EEEEviT0_T1_.has_indirect_call, 0
	.section	.AMDGPU.csdata,"",@progbits
; Kernel info:
; codeLenInByte = 5796
; TotalNumSgprs: 27
; NumVgprs: 39
; ScratchSize: 0
; MemoryBound: 0
; FloatMode: 240
; IeeeMode: 1
; LDSByteSize: 0 bytes/workgroup (compile time only)
; SGPRBlocks: 0
; VGPRBlocks: 2
; NumSGPRsForWavesPerEU: 27
; NumVGPRsForWavesPerEU: 39
; NamedBarCnt: 0
; Occupancy: 16
; WaveLimiterHint : 0
; COMPUTE_PGM_RSRC2:SCRATCH_EN: 0
; COMPUTE_PGM_RSRC2:USER_SGPR: 2
; COMPUTE_PGM_RSRC2:TRAP_HANDLER: 0
; COMPUTE_PGM_RSRC2:TGID_X_EN: 1
; COMPUTE_PGM_RSRC2:TGID_Y_EN: 0
; COMPUTE_PGM_RSRC2:TGID_Z_EN: 0
; COMPUTE_PGM_RSRC2:TIDIG_COMP_CNT: 0
	.section	.text._ZN2at6native29vectorized_elementwise_kernelILi8ENS0_13BinaryFunctorIaabNS0_12_GLOBAL__N_116CompareEqFunctorIaEEEESt5arrayIPcLm3EEEEviT0_T1_,"axG",@progbits,_ZN2at6native29vectorized_elementwise_kernelILi8ENS0_13BinaryFunctorIaabNS0_12_GLOBAL__N_116CompareEqFunctorIaEEEESt5arrayIPcLm3EEEEviT0_T1_,comdat
	.globl	_ZN2at6native29vectorized_elementwise_kernelILi8ENS0_13BinaryFunctorIaabNS0_12_GLOBAL__N_116CompareEqFunctorIaEEEESt5arrayIPcLm3EEEEviT0_T1_ ; -- Begin function _ZN2at6native29vectorized_elementwise_kernelILi8ENS0_13BinaryFunctorIaabNS0_12_GLOBAL__N_116CompareEqFunctorIaEEEESt5arrayIPcLm3EEEEviT0_T1_
	.p2align	8
	.type	_ZN2at6native29vectorized_elementwise_kernelILi8ENS0_13BinaryFunctorIaabNS0_12_GLOBAL__N_116CompareEqFunctorIaEEEESt5arrayIPcLm3EEEEviT0_T1_,@function
_ZN2at6native29vectorized_elementwise_kernelILi8ENS0_13BinaryFunctorIaabNS0_12_GLOBAL__N_116CompareEqFunctorIaEEEESt5arrayIPcLm3EEEEviT0_T1_: ; @_ZN2at6native29vectorized_elementwise_kernelILi8ENS0_13BinaryFunctorIaabNS0_12_GLOBAL__N_116CompareEqFunctorIaEEEESt5arrayIPcLm3EEEEviT0_T1_
; %bb.0:
	s_clause 0x2
	s_load_b64 s[14:15], s[0:1], 0x0
	s_load_b128 s[8:11], s[0:1], 0x8
	s_load_b64 s[16:17], s[0:1], 0x18
	s_wait_xcnt 0x0
	s_bfe_u32 s0, ttmp6, 0x4000c
	s_and_b32 s1, ttmp6, 15
	s_add_co_i32 s0, s0, 1
	s_getreg_b32 s2, hwreg(HW_REG_IB_STS2, 6, 4)
	s_mul_i32 s0, ttmp9, s0
	s_delay_alu instid0(SALU_CYCLE_1) | instskip(SKIP_2) | instid1(SALU_CYCLE_1)
	s_add_co_i32 s1, s1, s0
	s_cmp_eq_u32 s2, 0
	s_cselect_b32 s0, ttmp9, s1
	s_lshl_b32 s12, s0, 12
	s_mov_b32 s0, -1
	s_wait_kmcnt 0x0
	s_sub_co_i32 s14, s14, s12
	s_delay_alu instid0(SALU_CYCLE_1)
	s_cmp_gt_i32 s14, 0xfff
	s_cbranch_scc0 .LBB17_2
; %bb.1:
	s_ashr_i32 s13, s12, 31
	s_cmp_eq_u32 s15, 0
	s_add_nc_u64 s[0:1], s[10:11], s[12:13]
	s_cselect_b32 s18, -1, 0
	s_clause 0x1
	global_load_b64 v[2:3], v0, s[0:1] scale_offset
	global_load_b64 v[4:5], v0, s[0:1] offset:2048 scale_offset
	s_wait_xcnt 0x0
	s_add_nc_u64 s[0:1], s[16:17], s[12:13]
	s_clause 0x1
	global_load_b64 v[6:7], v0, s[0:1] scale_offset
	global_load_b64 v[8:9], v0, s[0:1] offset:2048 scale_offset
	s_wait_loadcnt 0x3
	v_and_b32_e32 v1, 0xff, v2
	v_dual_lshrrev_b32 v10, 8, v2 :: v_dual_lshrrev_b32 v11, 16, v2
	s_wait_loadcnt 0x1
	v_xor_b32_e32 v2, v6, v2
	v_and_b32_e32 v12, 0xff, v3
	v_and_b32_e32 v24, 0xff, v7
	v_dual_lshrrev_b32 v13, 8, v3 :: v_dual_lshrrev_b32 v14, 16, v3
	v_dual_lshrrev_b32 v19, 8, v5 :: v_dual_lshrrev_b32 v20, 16, v5
	;; [unrolled: 1-line block ×3, first 2 shown]
	s_wait_xcnt 0x0
	v_cmp_lt_u32_e64 s0, 0xffffff, v2
	v_xor_b32_e32 v3, v7, v3
	v_cmp_ne_u16_e64 s1, v12, v24
	v_and_b32_e32 v15, 0xff, v4
	v_dual_lshrrev_b32 v16, 8, v4 :: v_dual_lshrrev_b32 v17, 16, v4
	s_wait_loadcnt 0x0
	v_and_b32_e32 v27, 0xff, v8
	v_dual_lshrrev_b32 v28, 8, v8 :: v_dual_lshrrev_b32 v29, 16, v8
	v_xor_b32_e32 v4, v8, v4
	v_and_b32_e32 v8, 0xff, v13
	v_and_b32_e32 v13, 0xff, v19
	;; [unrolled: 1-line block ×3, first 2 shown]
	s_xor_b32 s0, s18, s0
	v_and_b32_e32 v18, 0xff, v5
	v_dual_lshrrev_b32 v22, 8, v6 :: v_dual_lshrrev_b32 v23, 16, v6
	v_and_b32_e32 v30, 0xff, v9
	v_dual_lshrrev_b32 v31, 8, v9 :: v_dual_lshrrev_b32 v32, 16, v9
	v_xor_b32_e32 v5, v9, v5
	v_and_b32_e32 v9, 0xff, v14
	v_and_b32_e32 v14, 0xff, v20
	v_and_b32_e32 v20, 0xff, v26
	v_cmp_lt_u32_e64 s2, 0xffffff, v3
	v_cndmask_b32_e64 v2, 0, 1, s0
	s_xor_b32 s0, s18, s1
	v_and_b32_e32 v7, 0xff, v11
	v_cndmask_b32_e64 v3, 0, 1, s0
	v_cmp_ne_u16_e64 s0, v8, v19
	v_and_b32_e32 v11, 0xff, v17
	v_and_b32_e32 v17, 0xff, v23
	;; [unrolled: 1-line block ×3, first 2 shown]
	v_cmp_ne_u16_e64 s3, v15, v27
	v_cmp_ne_u16_e64 s1, v9, v20
	s_xor_b32 s2, s18, s2
	v_cmp_lt_u32_e64 s4, 0xffffff, v4
	v_cndmask_b32_e64 v4, 0, 1, s2
	s_xor_b32 s0, s18, s0
	s_xor_b32 s2, s18, s3
	v_cmp_ne_u16_e64 s3, v11, v23
	v_cndmask_b32_e64 v11, 0, 1, s0
	s_xor_b32 s0, s18, s1
	v_lshlrev_b16 v4, 8, v4
	v_cndmask_b32_e64 v12, 0, 1, s0
	v_and_b32_e32 v21, 0xff, v6
	v_and_b32_e32 v6, 0xff, v10
	;; [unrolled: 1-line block ×5, first 2 shown]
	v_or_b32_e32 v4, v12, v4
	v_cmp_ne_u16_e32 vcc_lo, v1, v21
	v_cmp_ne_u16_e64 s5, v18, v30
	v_and_b32_e32 v25, 0xff, v31
	s_xor_b32 s4, s18, s4
	v_lshlrev_b32_e32 v4, 16, v4
	v_cmp_lt_u32_e64 s6, 0xffffff, v5
	v_cndmask_b32_e64 v5, 0, 1, s2
	v_cmp_ne_u16_e64 s2, v10, v22
	s_xor_b32 s7, s18, vcc_lo
	v_cmp_ne_u16_e32 vcc_lo, v6, v16
	v_cndmask_b32_e64 v6, 0, 1, s4
	s_xor_b32 s4, s18, s5
	v_and_b32_e32 v26, 0xff, v32
	v_cndmask_b32_e64 v1, 0, 1, s7
	v_cmp_ne_u16_e64 s7, v7, v17
	v_cndmask_b32_e64 v7, 0, 1, s4
	v_cmp_ne_u16_e64 s4, v13, v25
	s_xor_b32 s0, s18, s2
	s_xor_b32 s6, s18, s6
	v_cndmask_b32_e64 v13, 0, 1, s0
	s_xor_b32 s0, s18, s3
	v_cndmask_b32_e64 v8, 0, 1, s6
	s_xor_b32 s6, s18, vcc_lo
	v_cmp_ne_u16_e64 s5, v14, v26
	v_cndmask_b32_e64 v14, 0, 1, s0
	s_xor_b32 s0, s18, s4
	v_cndmask_b32_e64 v9, 0, 1, s6
	v_cndmask_b32_e64 v15, 0, 1, s0
	s_xor_b32 s6, s18, s7
	s_xor_b32 s0, s18, s5
	v_cndmask_b32_e64 v10, 0, 1, s6
	v_lshlrev_b16 v2, 8, v2
	v_lshlrev_b16 v11, 8, v11
	;; [unrolled: 1-line block ×3, first 2 shown]
	v_cndmask_b32_e64 v16, 0, 1, s0
	v_lshlrev_b16 v8, 8, v8
	v_lshlrev_b16 v6, 8, v6
	;; [unrolled: 1-line block ×4, first 2 shown]
	v_or_b32_e32 v2, v10, v2
	v_or_b32_e32 v3, v3, v11
	;; [unrolled: 1-line block ×6, first 2 shown]
	v_dual_lshlrev_b32 v2, 16, v2 :: v_dual_bitop2_b32 v5, v5, v13 bitop3:0x54
	v_and_b32_e32 v9, 0xffff, v3
	v_and_b32_e32 v1, 0xffff, v1
	v_dual_lshlrev_b32 v8, 16, v8 :: v_dual_lshlrev_b32 v6, 16, v6
	v_and_b32_e32 v7, 0xffff, v7
	v_and_b32_e32 v10, 0xffff, v5
	v_or_b32_e32 v5, v9, v4
	v_or_b32_e32 v4, v1, v2
	s_add_nc_u64 s[2:3], s[8:9], s[12:13]
	v_or_b32_e32 v3, v7, v8
	v_or_b32_e32 v2, v10, v6
	s_mov_b32 s0, 0
	s_clause 0x1
	global_store_b64 v0, v[4:5], s[2:3] scale_offset
	global_store_b64 v0, v[2:3], s[2:3] offset:2048 scale_offset
.LBB17_2:
	s_and_not1_b32 vcc_lo, exec_lo, s0
	s_cbranch_vccnz .LBB17_54
; %bb.3:
	v_cmp_le_i32_e64 s0, s14, v0
	v_or_b32_e32 v1, 0x100, v0
	v_cmp_gt_i32_e32 vcc_lo, s14, v0
	s_wait_xcnt 0x0
	s_and_saveexec_b32 s1, s0
	s_delay_alu instid0(SALU_CYCLE_1)
	s_xor_b32 s0, exec_lo, s1
; %bb.4:
	v_or_b32_e32 v1, 0x100, v0
; %bb.5:
	s_or_saveexec_b32 s1, s0
	v_dual_mov_b32 v35, 0 :: v_dual_bitop2_b32 v8, s12, v0 bitop3:0x54
	v_dual_mov_b32 v34, 0 :: v_dual_mov_b32 v36, 0
	v_dual_mov_b32 v33, 0 :: v_dual_mov_b32 v32, 0
	;; [unrolled: 1-line block ×14, first 2 shown]
	v_mov_b32_e32 v28, 0
	s_mov_b32 s5, 0
	s_xor_b32 exec_lo, exec_lo, s1
	s_cbranch_execz .LBB17_37
; %bb.6:
	s_clause 0x1
	global_load_u8 v26, v8, s[10:11]
	global_load_u8 v28, v8, s[16:17]
	v_cmp_gt_u32_e64 s0, s14, v1
	v_dual_mov_b32 v17, 0 :: v_dual_mov_b32 v16, 0
	v_dual_mov_b32 v3, 0 :: v_dual_mov_b32 v10, 0
	;; [unrolled: 1-line block ×14, first 2 shown]
	s_mov_b32 s3, 0
	s_wait_xcnt 0x0
	s_and_saveexec_b32 s2, s0
	s_cbranch_execz .LBB17_36
; %bb.7:
	v_dual_mov_b32 v3, 0 :: v_dual_add_nc_u32 v2, s12, v0
	v_or_b32_e32 v4, 0x200, v0
	v_dual_mov_b32 v10, 0 :: v_dual_mov_b32 v9, 0
	v_mov_b32_e32 v29, 0
	s_clause 0x1
	global_load_u8 v16, v2, s[10:11] offset:256
	global_load_u8 v17, v2, s[16:17] offset:256
	v_cmp_gt_u32_e64 s0, s14, v4
	v_dual_mov_b32 v4, 0 :: v_dual_mov_b32 v30, 0
	v_dual_mov_b32 v25, 0 :: v_dual_mov_b32 v27, 0
	;; [unrolled: 1-line block ×11, first 2 shown]
	s_mov_b32 s4, 0
	s_wait_xcnt 0x0
	s_and_saveexec_b32 s3, s0
	s_cbranch_execz .LBB17_35
; %bb.8:
	v_add_nc_u64_e32 v[4:5], s[10:11], v[2:3]
	v_add_nc_u64_e32 v[6:7], s[16:17], v[2:3]
	v_or_b32_e32 v9, 0x300, v0
	v_dual_mov_b32 v30, 0 :: v_dual_mov_b32 v25, 0
	v_dual_mov_b32 v29, 0 :: v_dual_mov_b32 v27, 0
	v_mov_b32_e32 v22, 0
	global_load_u8 v10, v[4:5], off offset:512
	global_load_u8 v2, v[6:7], off offset:512
	v_cmp_gt_u32_e64 s0, s14, v9
	v_dual_mov_b32 v9, 0 :: v_dual_mov_b32 v24, 0
	v_dual_mov_b32 v18, 0 :: v_dual_mov_b32 v19, 0
	;; [unrolled: 1-line block ×9, first 2 shown]
	s_wait_xcnt 0x0
	s_and_saveexec_b32 s4, s0
	s_cbranch_execz .LBB17_34
; %bb.9:
	global_load_u8 v9, v[4:5], off offset:768
	global_load_u8 v3, v[6:7], off offset:768
	v_or_b32_e32 v11, 0x400, v0
	v_dual_mov_b32 v29, 0 :: v_dual_mov_b32 v30, 0
	v_dual_mov_b32 v25, 0 :: v_dual_mov_b32 v27, 0
	s_delay_alu instid0(VALU_DEP_3)
	v_cmp_gt_u32_e64 s0, s14, v11
	v_dual_mov_b32 v22, 0 :: v_dual_mov_b32 v24, 0
	v_dual_mov_b32 v18, 0 :: v_dual_mov_b32 v19, 0
	;; [unrolled: 1-line block ×9, first 2 shown]
	s_mov_b32 s6, 0
	s_wait_xcnt 0x0
	s_and_saveexec_b32 s5, s0
	s_cbranch_execz .LBB17_33
; %bb.10:
	global_load_u8 v30, v[4:5], off offset:1024
	global_load_u8 v29, v[6:7], off offset:1024
	v_or_b32_e32 v11, 0x500, v0
	v_dual_mov_b32 v25, 0 :: v_dual_mov_b32 v27, 0
	v_dual_mov_b32 v22, 0 :: v_dual_mov_b32 v24, 0
	s_delay_alu instid0(VALU_DEP_3)
	v_cmp_gt_u32_e64 s0, s14, v11
	v_dual_mov_b32 v18, 0 :: v_dual_mov_b32 v19, 0
	v_dual_mov_b32 v20, 0 :: v_dual_mov_b32 v21, 0
	;; [unrolled: 1-line block ×8, first 2 shown]
	s_mov_b32 s7, 0
	s_wait_xcnt 0x0
	s_and_saveexec_b32 s6, s0
	s_cbranch_execz .LBB17_32
; %bb.11:
	global_load_u8 v27, v[4:5], off offset:1280
	global_load_u8 v25, v[6:7], off offset:1280
	v_or_b32_e32 v11, 0x600, v0
	v_dual_mov_b32 v22, 0 :: v_dual_mov_b32 v24, 0
	v_dual_mov_b32 v18, 0 :: v_dual_mov_b32 v19, 0
	s_delay_alu instid0(VALU_DEP_3)
	v_cmp_gt_u32_e64 s0, s14, v11
	v_dual_mov_b32 v20, 0 :: v_dual_mov_b32 v21, 0
	v_dual_mov_b32 v23, 0 :: v_dual_mov_b32 v13, 0
	;; [unrolled: 1-line block ×7, first 2 shown]
	s_mov_b32 s10, 0
	s_wait_xcnt 0x0
	s_and_saveexec_b32 s7, s0
	s_cbranch_execz .LBB17_31
; %bb.12:
	global_load_u8 v24, v[4:5], off offset:1536
	global_load_u8 v22, v[6:7], off offset:1536
	v_or_b32_e32 v11, 0x700, v0
	v_dual_mov_b32 v18, 0 :: v_dual_mov_b32 v19, 0
	v_dual_mov_b32 v20, 0 :: v_dual_mov_b32 v21, 0
	s_delay_alu instid0(VALU_DEP_3)
	v_cmp_gt_u32_e64 s0, s14, v11
	v_dual_mov_b32 v23, 0 :: v_dual_mov_b32 v13, 0
	v_dual_mov_b32 v11, 0 :: v_dual_mov_b32 v14, 0
	;; [unrolled: 1-line block ×6, first 2 shown]
	s_mov_b32 s11, 0
	s_wait_xcnt 0x0
	s_and_saveexec_b32 s10, s0
	s_cbranch_execz .LBB17_30
; %bb.13:
	global_load_u8 v19, v[4:5], off offset:1792
	global_load_u8 v18, v[6:7], off offset:1792
	v_or_b32_e32 v11, 0x800, v0
	v_dual_mov_b32 v20, 0 :: v_dual_mov_b32 v21, 0
	v_dual_mov_b32 v23, 0 :: v_dual_mov_b32 v13, 0
	s_delay_alu instid0(VALU_DEP_3)
	v_cmp_gt_u32_e64 s0, s14, v11
	v_dual_mov_b32 v11, 0 :: v_dual_mov_b32 v14, 0
	v_dual_mov_b32 v12, 0 :: v_dual_mov_b32 v15, 0
	;; [unrolled: 1-line block ×5, first 2 shown]
	s_mov_b32 s13, 0
	s_wait_xcnt 0x0
	s_and_saveexec_b32 s11, s0
	s_cbranch_execz .LBB17_29
; %bb.14:
	global_load_u8 v21, v[4:5], off offset:2048
	global_load_u8 v20, v[6:7], off offset:2048
	v_or_b32_e32 v11, 0x900, v0
	v_dual_mov_b32 v23, 0 :: v_dual_mov_b32 v13, 0
	v_dual_mov_b32 v12, 0 :: v_dual_mov_b32 v15, 0
	s_delay_alu instid0(VALU_DEP_3)
	v_cmp_gt_u32_e64 s0, s14, v11
	v_dual_mov_b32 v11, 0 :: v_dual_mov_b32 v14, 0
	v_dual_mov_b32 v31, 0 :: v_dual_mov_b32 v32, 0
	v_dual_mov_b32 v33, 0 :: v_dual_mov_b32 v36, 0
	v_dual_mov_b32 v34, 0 :: v_dual_mov_b32 v35, 0
	s_mov_b32 s16, 0
	s_wait_xcnt 0x0
	s_and_saveexec_b32 s13, s0
	s_cbranch_execz .LBB17_28
; %bb.15:
	global_load_u8 v13, v[4:5], off offset:2304
	global_load_u8 v23, v[6:7], off offset:2304
	v_or_b32_e32 v11, 0xa00, v0
	v_dual_mov_b32 v12, 0 :: v_dual_mov_b32 v15, 0
	v_dual_mov_b32 v31, 0 :: v_dual_mov_b32 v32, 0
	s_delay_alu instid0(VALU_DEP_3)
	v_cmp_gt_u32_e64 s0, s14, v11
	v_dual_mov_b32 v11, 0 :: v_dual_mov_b32 v14, 0
	v_dual_mov_b32 v33, 0 :: v_dual_mov_b32 v36, 0
	;; [unrolled: 1-line block ×3, first 2 shown]
	s_mov_b32 s17, 0
	s_wait_xcnt 0x0
	s_and_saveexec_b32 s16, s0
	s_cbranch_execz .LBB17_27
; %bb.16:
	global_load_u8 v14, v[4:5], off offset:2560
	global_load_u8 v11, v[6:7], off offset:2560
	v_or_b32_e32 v12, 0xb00, v0
	v_dual_mov_b32 v31, 0 :: v_dual_mov_b32 v32, 0
	v_dual_mov_b32 v33, 0 :: v_dual_mov_b32 v36, 0
	s_delay_alu instid0(VALU_DEP_3)
	v_cmp_gt_u32_e64 s0, s14, v12
	v_dual_mov_b32 v12, 0 :: v_dual_mov_b32 v15, 0
	v_dual_mov_b32 v34, 0 :: v_dual_mov_b32 v35, 0
	s_mov_b32 s18, 0
	s_wait_xcnt 0x0
	s_and_saveexec_b32 s17, s0
	s_cbranch_execz .LBB17_26
; %bb.17:
	global_load_u8 v15, v[4:5], off offset:2816
	global_load_u8 v12, v[6:7], off offset:2816
	v_or_b32_e32 v31, 0xc00, v0
	v_dual_mov_b32 v33, 0 :: v_dual_mov_b32 v36, 0
	v_dual_mov_b32 v34, 0 :: v_dual_mov_b32 v35, 0
	s_delay_alu instid0(VALU_DEP_3)
	v_cmp_gt_u32_e64 s0, s14, v31
	v_dual_mov_b32 v31, 0 :: v_dual_mov_b32 v32, 0
	s_mov_b32 s19, 0
	s_wait_xcnt 0x0
	s_and_saveexec_b32 s18, s0
	s_cbranch_execz .LBB17_25
; %bb.18:
	global_load_u8 v32, v[4:5], off offset:3072
	global_load_u8 v31, v[6:7], off offset:3072
	v_or_b32_e32 v33, 0xd00, v0
	v_dual_mov_b32 v34, 0 :: v_dual_mov_b32 v35, 0
	s_mov_b32 s20, 0
	v_mov_b32_e32 v36, 0
	s_delay_alu instid0(VALU_DEP_3)
	v_cmp_gt_u32_e64 s0, s14, v33
	v_mov_b32_e32 v33, 0
	s_wait_xcnt 0x0
	s_and_saveexec_b32 s19, s0
	s_cbranch_execz .LBB17_24
; %bb.19:
	global_load_u8 v36, v[4:5], off offset:3328
	global_load_u8 v33, v[6:7], off offset:3328
	v_or_b32_e32 v34, 0xe00, v0
	s_mov_b32 s21, 0
	v_mov_b32_e32 v35, 0
	s_delay_alu instid0(VALU_DEP_2)
	v_cmp_gt_u32_e64 s0, s14, v34
	v_mov_b32_e32 v34, 0
	s_wait_xcnt 0x0
	s_and_saveexec_b32 s20, s0
	s_cbranch_execz .LBB17_23
; %bb.20:
	global_load_u8 v35, v[4:5], off offset:3584
	global_load_u8 v34, v[6:7], off offset:3584
	v_or_b32_e32 v37, 0xf00, v0
	s_mov_b32 s22, 0
	s_mov_b32 s21, exec_lo
	s_wait_xcnt 0x0
	s_delay_alu instid0(VALU_DEP_1)
	v_cmpx_gt_u32_e64 s14, v37
	s_cbranch_execz .LBB17_22
; %bb.21:
	global_load_u8 v37, v[4:5], off offset:3840
	global_load_u8 v38, v[6:7], off offset:3840
	s_wait_loadcnt 0x0
	v_cmp_ne_u16_e64 s0, v37, v38
	s_and_b32 s22, s0, exec_lo
.LBB17_22:
	s_wait_xcnt 0x0
	s_or_b32 exec_lo, exec_lo, s21
	s_delay_alu instid0(SALU_CYCLE_1)
	s_and_b32 s21, s22, exec_lo
.LBB17_23:
	s_or_b32 exec_lo, exec_lo, s20
	s_delay_alu instid0(SALU_CYCLE_1)
	s_and_b32 s20, s21, exec_lo
.LBB17_24:
	s_or_b32 exec_lo, exec_lo, s19
	s_delay_alu instid0(SALU_CYCLE_1)
	s_and_b32 s19, s20, exec_lo
.LBB17_25:
	s_or_b32 exec_lo, exec_lo, s18
	s_delay_alu instid0(SALU_CYCLE_1)
	s_and_b32 s18, s19, exec_lo
.LBB17_26:
	s_or_b32 exec_lo, exec_lo, s17
	s_delay_alu instid0(SALU_CYCLE_1)
	s_and_b32 s17, s18, exec_lo
.LBB17_27:
	s_or_b32 exec_lo, exec_lo, s16
	s_delay_alu instid0(SALU_CYCLE_1)
	s_and_b32 s16, s17, exec_lo
.LBB17_28:
	s_or_b32 exec_lo, exec_lo, s13
	s_delay_alu instid0(SALU_CYCLE_1)
	s_and_b32 s13, s16, exec_lo
.LBB17_29:
	s_or_b32 exec_lo, exec_lo, s11
	s_delay_alu instid0(SALU_CYCLE_1)
	s_and_b32 s11, s13, exec_lo
.LBB17_30:
	s_or_b32 exec_lo, exec_lo, s10
	s_delay_alu instid0(SALU_CYCLE_1)
	s_and_b32 s10, s11, exec_lo
.LBB17_31:
	s_or_b32 exec_lo, exec_lo, s7
	s_delay_alu instid0(SALU_CYCLE_1)
	s_and_b32 s7, s10, exec_lo
.LBB17_32:
	s_or_b32 exec_lo, exec_lo, s6
	s_delay_alu instid0(SALU_CYCLE_1)
	s_and_b32 s6, s7, exec_lo
.LBB17_33:
	s_or_b32 exec_lo, exec_lo, s5
	s_delay_alu instid0(SALU_CYCLE_1)
	s_and_b32 s5, s6, exec_lo
.LBB17_34:
	s_or_b32 exec_lo, exec_lo, s4
	s_wait_loadcnt 0x0
	v_dual_mov_b32 v4, v3 :: v_dual_mov_b32 v3, v2
	s_and_b32 s4, s5, exec_lo
.LBB17_35:
	s_or_b32 exec_lo, exec_lo, s3
	s_delay_alu instid0(SALU_CYCLE_1)
	s_and_b32 s3, s4, exec_lo
.LBB17_36:
	s_or_b32 exec_lo, exec_lo, s2
	s_delay_alu instid0(SALU_CYCLE_1)
	s_and_b32 s5, s3, exec_lo
.LBB17_37:
	s_or_b32 exec_lo, exec_lo, s1
	s_wait_loadcnt 0x0
	v_and_b32_e32 v2, 0xff, v28
	v_and_b32_e32 v5, 0xff, v26
	;; [unrolled: 1-line block ×4, first 2 shown]
	s_cmp_eq_u32 s15, 0
	v_and_b32_e32 v3, 0xff, v3
	v_cmp_ne_u16_e64 s0, v5, v2
	s_cselect_b32 s6, -1, 0
	v_cmp_ne_u16_e64 s1, v7, v6
	v_and_b32_e32 v2, 0xff, v17
	v_and_b32_e32 v6, 0xff, v16
	s_xor_b32 s0, s6, s0
	v_and_b32_e32 v16, 0xff, v25
	v_cndmask_b32_e64 v5, 0, 1, s0
	s_xor_b32 s0, s6, s1
	v_and_b32_e32 v17, 0xff, v27
	v_cndmask_b32_e64 v7, 0, 1, s0
	v_cmp_ne_u16_e64 s0, v6, v2
	v_cndmask_b32_e32 v2, 0, v5, vcc_lo
	v_and_b32_e32 v10, 0xff, v10
	v_cmp_ne_u16_e64 s1, v17, v16
	v_bitop3_b16 v5, v7, 0, 0xff00 bitop3:0xf8
	v_or_b32_e32 v7, 0x400, v0
	s_xor_b32 s0, s6, s0
	v_and_b32_e32 v4, 0xff, v4
	v_cndmask_b32_e64 v6, 0, 1, s0
	s_xor_b32 s0, s6, s1
	v_and_b32_e32 v5, 0xffff, v5
	v_cndmask_b32_e64 v16, 0, 1, s0
	v_cmp_gt_i32_e64 s0, s14, v7
	v_lshlrev_b16 v6, 8, v6
	v_cmp_gt_i32_e64 s1, s14, v1
	v_and_b32_e32 v17, 0xff, v33
	v_lshlrev_b16 v7, 8, v16
	v_cndmask_b32_e64 v5, 0, v5, s0
	v_cmp_ne_u16_e64 s0, v10, v3
	v_or_b32_e32 v3, 0x500, v0
	v_and_b32_e32 v10, 0xff, v22
	v_and_b32_e32 v16, 0xff, v24
	v_bitop3_b16 v7, v5, v7, 0xff bitop3:0xec
	s_xor_b32 s0, s6, s0
	v_and_b32_e32 v13, 0xff, v13
	v_and_b32_e32 v11, 0xff, v11
	;; [unrolled: 1-line block ×4, first 2 shown]
	v_or_b32_e32 v6, v2, v6
	s_delay_alu instid0(VALU_DEP_1) | instskip(NEXT) | instid1(VALU_DEP_1)
	v_and_b32_e32 v6, 0xffff, v6
	v_cndmask_b32_e64 v2, v2, v6, s1
	v_cmp_gt_i32_e64 s1, s14, v3
	v_and_b32_e32 v6, 0xff, v9
	s_delay_alu instid0(VALU_DEP_2)
	v_cndmask_b32_e64 v3, v5, v7, s1
	v_cmp_ne_u16_e64 s1, v16, v10
	v_cndmask_b32_e64 v5, 0, 1, s0
	v_or_b32_e32 v10, 0x200, v0
	v_and_b32_e32 v16, 0xff, v32
	v_lshrrev_b32_e32 v7, 16, v3
	s_xor_b32 s0, s6, s1
	v_lshl_or_b32 v5, v5, 16, v2
	v_cndmask_b32_e64 v9, 0, 1, s0
	v_cmp_ne_u16_e64 s0, v6, v4
	v_cmp_gt_i32_e64 s1, s14, v10
	v_and_b32_e32 v10, 0xff, v31
	s_delay_alu instid0(VALU_DEP_4)
	v_bitop3_b16 v4, v9, v7, 0xff00 bitop3:0xf8
	s_xor_b32 s0, s6, s0
	v_cndmask_b32_e64 v2, v2, v5, s1
	v_cndmask_b32_e64 v5, 0, 1, s0
	v_or_b32_e32 v7, 0x600, v0
	v_lshlrev_b32_e32 v4, 16, v4
	v_cmp_ne_u16_e64 s1, v16, v10
	v_and_b32_e32 v9, 0xff, v23
	v_lshlrev_b16 v5, 8, v5
	v_cmp_gt_i32_e64 s0, s14, v7
	v_and_or_b32 v4, 0xffff, v3, v4
	v_lshrrev_b32_e32 v6, 16, v2
	s_xor_b32 s1, s6, s1
	v_cmp_ne_u16_e64 s4, v13, v9
	v_or_b32_e32 v16, 0xd00, v0
	v_cndmask_b32_e64 v3, v3, v4, s0
	v_bitop3_b16 v5, v6, v5, 0xff bitop3:0xec
	v_and_b32_e32 v4, 0xff, v18
	v_and_b32_e32 v6, 0xff, v19
	;; [unrolled: 1-line block ×3, first 2 shown]
	v_or_b32_e32 v19, 0x800, v0
	v_or_b32_e32 v13, 0x900, v0
	v_dual_lshlrev_b32 v5, 16, v5 :: v_dual_lshrrev_b32 v7, 16, v3
	v_cmp_ne_u16_e64 s0, v6, v4
	v_and_b32_e32 v4, 0xff, v20
	v_and_b32_e32 v6, 0xff, v21
	v_cmp_ne_u16_e64 s3, v18, v17
	v_and_b32_e32 v17, 0xff, v34
	v_and_b32_e32 v18, 0xff, v35
	s_xor_b32 s0, s6, s0
	v_cmp_ne_u16_e64 s2, v6, v4
	v_or_b32_e32 v4, 0xc00, v0
	v_cndmask_b32_e64 v6, 0, 1, s1
	s_xor_b32 s1, s6, s3
	v_and_or_b32 v5, 0xffff, v2, v5
	v_cndmask_b32_e64 v9, 0, 1, s1
	s_xor_b32 s1, s6, s2
	v_cmp_gt_i32_e64 s2, s14, v16
	v_cndmask_b32_e64 v10, 0, 1, s1
	v_cmp_gt_i32_e64 s1, s14, v4
	v_cndmask_b32_e64 v16, 0, 1, s0
	v_cmp_gt_i32_e64 s0, s14, v13
	s_delay_alu instid0(VALU_DEP_3)
	v_cndmask_b32_e64 v4, 0, v6, s1
	s_xor_b32 s1, s6, s4
	v_lshlrev_b16 v6, 8, v9
	v_cndmask_b32_e64 v9, 0, 1, s1
	v_cmp_gt_i32_e64 s1, s14, v19
	v_lshlrev_b16 v13, 8, v16
	s_delay_alu instid0(VALU_DEP_3) | instskip(NEXT) | instid1(VALU_DEP_3)
	v_lshlrev_b16 v9, 8, v9
	v_cndmask_b32_e64 v10, 0, v10, s1
	v_cmp_ne_u16_e64 s1, v14, v11
	s_delay_alu instid0(VALU_DEP_4) | instskip(SKIP_1) | instid1(VALU_DEP_4)
	v_bitop3_b16 v7, v7, v13, 0xff bitop3:0xec
	v_or_b32_e32 v13, 0x300, v0
	v_or_b32_e32 v9, v10, v9
	v_bitop3_b16 v6, v4, v6, 0xff bitop3:0xec
	s_xor_b32 s1, s6, s1
	v_lshlrev_b32_e32 v7, 16, v7
	s_delay_alu instid0(VALU_DEP_2) | instskip(NEXT) | instid1(VALU_DEP_2)
	v_and_b32_e32 v6, 0xffff, v6
	v_and_or_b32 v7, 0xffff, v3, v7
	s_delay_alu instid0(VALU_DEP_2) | instskip(SKIP_3) | instid1(VALU_DEP_4)
	v_cndmask_b32_e64 v4, v4, v6, s2
	v_cmp_ne_u16_e64 s2, v18, v17
	v_and_b32_e32 v6, 0xffff, v9
	v_cndmask_b32_e64 v9, 0, 1, s1
	v_lshrrev_b32_e32 v11, 16, v4
	s_xor_b32 s1, s6, s2
	s_delay_alu instid0(VALU_DEP_3) | instskip(SKIP_1) | instid1(VALU_DEP_1)
	v_cndmask_b32_e64 v6, v10, v6, s0
	v_cndmask_b32_e64 v14, 0, 1, s1
	v_bitop3_b16 v10, v14, v11, 0xff00 bitop3:0xf8
	v_and_b32_e32 v11, 0xff, v12
	v_and_b32_e32 v12, 0xff, v15
	v_lshlrev_b32_e32 v9, 16, v9
	v_or_b32_e32 v14, 0xa00, v0
	v_lshlrev_b32_e32 v10, 16, v10
	s_delay_alu instid0(VALU_DEP_4) | instskip(NEXT) | instid1(VALU_DEP_4)
	v_cmp_ne_u16_e64 s0, v12, v11
	v_and_or_b32 v9, 0x1ff, v6, v9
	v_or_b32_e32 v11, 0xe00, v0
	v_cmp_gt_i32_e64 s1, s14, v14
	v_and_or_b32 v10, 0xffff, v4, v10
	s_xor_b32 s0, s6, s0
	v_cndmask_b32_e64 v6, v6, v9, s1
	v_cndmask_b32_e64 v9, 0, 1, s0
	v_cmp_gt_i32_e64 s0, s14, v11
	s_delay_alu instid0(VALU_DEP_2) | instskip(NEXT) | instid1(VALU_DEP_2)
	v_lshlrev_b16 v9, 8, v9
	v_cndmask_b32_e64 v10, v4, v10, s0
	s_xor_b32 s0, s6, s5
	v_lshrrev_b32_e32 v11, 16, v6
	v_cndmask_b32_e64 v4, 0, 1, s0
	v_cmp_gt_i32_e64 s0, s14, v13
	v_lshrrev_b32_e32 v12, 16, v10
	s_delay_alu instid0(VALU_DEP_4) | instskip(NEXT) | instid1(VALU_DEP_4)
	v_bitop3_b16 v9, v11, v9, 0xff bitop3:0xec
	v_lshlrev_b16 v4, 8, v4
	s_delay_alu instid0(VALU_DEP_4) | instskip(SKIP_1) | instid1(VALU_DEP_3)
	v_cndmask_b32_e64 v5, v2, v5, s0
	v_or_b32_e32 v11, 0xb00, v0
	v_bitop3_b16 v4, v12, v4, 0xff bitop3:0xec
	v_lshlrev_b32_e32 v2, 16, v9
	v_or_b32_e32 v9, 0x700, v0
	v_or_b32_e32 v12, 0xf00, v0
	s_delay_alu instid0(VALU_DEP_4) | instskip(NEXT) | instid1(VALU_DEP_4)
	v_lshlrev_b32_e32 v4, 16, v4
	v_and_or_b32 v2, 0xffff, v6, v2
	s_delay_alu instid0(VALU_DEP_4) | instskip(NEXT) | instid1(VALU_DEP_3)
	v_cmp_gt_i32_e64 s0, s14, v9
	v_and_or_b32 v13, 0xffff, v10, v4
	s_delay_alu instid0(VALU_DEP_2) | instskip(SKIP_1) | instid1(VALU_DEP_1)
	v_cndmask_b32_e64 v4, v3, v7, s0
	v_cmp_gt_i32_e64 s0, s14, v11
	v_cndmask_b32_e64 v3, v6, v2, s0
	v_cmp_gt_i32_e64 s0, s14, v12
	s_delay_alu instid0(VALU_DEP_1)
	v_cndmask_b32_e64 v2, v10, v13, s0
	s_and_saveexec_b32 s0, vcc_lo
	s_cbranch_execnz .LBB17_55
; %bb.38:
	s_or_b32 exec_lo, exec_lo, s0
	s_delay_alu instid0(SALU_CYCLE_1)
	s_mov_b32 s0, exec_lo
	v_cmpx_gt_i32_e64 s14, v0
	s_cbranch_execnz .LBB17_56
.LBB17_39:
	s_or_b32 exec_lo, exec_lo, s0
	s_delay_alu instid0(SALU_CYCLE_1)
	s_mov_b32 s0, exec_lo
	v_cmpx_gt_i32_e64 s14, v0
	s_cbranch_execnz .LBB17_57
.LBB17_40:
	s_or_b32 exec_lo, exec_lo, s0
	s_delay_alu instid0(SALU_CYCLE_1)
	s_mov_b32 s0, exec_lo
	v_cmpx_gt_i32_e64 s14, v0
	s_cbranch_execnz .LBB17_58
.LBB17_41:
	s_or_b32 exec_lo, exec_lo, s0
	s_delay_alu instid0(SALU_CYCLE_1)
	s_mov_b32 s0, exec_lo
	v_cmpx_gt_i32_e64 s14, v0
	s_cbranch_execnz .LBB17_59
.LBB17_42:
	s_or_b32 exec_lo, exec_lo, s0
	s_delay_alu instid0(SALU_CYCLE_1)
	s_mov_b32 s0, exec_lo
	v_cmpx_gt_i32_e64 s14, v0
	s_cbranch_execnz .LBB17_60
.LBB17_43:
	s_or_b32 exec_lo, exec_lo, s0
	s_delay_alu instid0(SALU_CYCLE_1)
	s_mov_b32 s0, exec_lo
	v_cmpx_gt_i32_e64 s14, v0
	s_cbranch_execnz .LBB17_61
.LBB17_44:
	s_or_b32 exec_lo, exec_lo, s0
	s_delay_alu instid0(SALU_CYCLE_1)
	s_mov_b32 s0, exec_lo
	v_cmpx_gt_i32_e64 s14, v0
	s_cbranch_execnz .LBB17_62
.LBB17_45:
	s_or_b32 exec_lo, exec_lo, s0
	s_delay_alu instid0(SALU_CYCLE_1)
	s_mov_b32 s0, exec_lo
	v_cmpx_gt_i32_e64 s14, v0
	s_cbranch_execnz .LBB17_63
.LBB17_46:
	s_or_b32 exec_lo, exec_lo, s0
	s_delay_alu instid0(SALU_CYCLE_1)
	s_mov_b32 s0, exec_lo
	v_cmpx_gt_i32_e64 s14, v0
	s_cbranch_execnz .LBB17_64
.LBB17_47:
	s_or_b32 exec_lo, exec_lo, s0
	s_delay_alu instid0(SALU_CYCLE_1)
	s_mov_b32 s0, exec_lo
	v_cmpx_gt_i32_e64 s14, v0
	s_cbranch_execnz .LBB17_65
.LBB17_48:
	s_or_b32 exec_lo, exec_lo, s0
	s_delay_alu instid0(SALU_CYCLE_1)
	s_mov_b32 s0, exec_lo
	v_cmpx_gt_i32_e64 s14, v0
	s_cbranch_execnz .LBB17_66
.LBB17_49:
	s_or_b32 exec_lo, exec_lo, s0
	s_delay_alu instid0(SALU_CYCLE_1)
	s_mov_b32 s0, exec_lo
	v_cmpx_gt_i32_e64 s14, v0
	s_cbranch_execnz .LBB17_67
.LBB17_50:
	s_or_b32 exec_lo, exec_lo, s0
	s_delay_alu instid0(SALU_CYCLE_1)
	s_mov_b32 s0, exec_lo
	v_cmpx_gt_i32_e64 s14, v0
	s_cbranch_execnz .LBB17_68
.LBB17_51:
	s_or_b32 exec_lo, exec_lo, s0
	s_delay_alu instid0(SALU_CYCLE_1)
	s_mov_b32 s0, exec_lo
	v_cmpx_gt_i32_e64 s14, v0
	s_cbranch_execnz .LBB17_69
.LBB17_52:
	s_or_b32 exec_lo, exec_lo, s0
	s_delay_alu instid0(SALU_CYCLE_1)
	s_mov_b32 s0, exec_lo
	v_cmpx_gt_i32_e64 s14, v0
	s_cbranch_execz .LBB17_54
.LBB17_53:
	v_dual_lshrrev_b32 v1, 24, v2 :: v_dual_add_nc_u32 v0, s12, v0
	global_store_b8 v0, v1, s[8:9]
.LBB17_54:
	s_endpgm
.LBB17_55:
	v_mov_b32_e32 v0, v1
	global_store_b8 v8, v5, s[8:9]
	s_wait_xcnt 0x0
	s_or_b32 exec_lo, exec_lo, s0
	s_delay_alu instid0(SALU_CYCLE_1)
	s_mov_b32 s0, exec_lo
	v_cmpx_gt_i32_e64 s14, v0
	s_cbranch_execz .LBB17_39
.LBB17_56:
	v_dual_lshrrev_b32 v1, 8, v5 :: v_dual_add_nc_u32 v6, s12, v0
	v_add_nc_u32_e32 v0, 0x100, v0
	global_store_b8 v6, v1, s[8:9]
	s_wait_xcnt 0x0
	s_or_b32 exec_lo, exec_lo, s0
	s_delay_alu instid0(SALU_CYCLE_1)
	s_mov_b32 s0, exec_lo
	v_cmpx_gt_i32_e64 s14, v0
	s_cbranch_execz .LBB17_40
.LBB17_57:
	v_add_nc_u32_e32 v1, s12, v0
	v_add_nc_u32_e32 v0, 0x100, v0
	global_store_d16_hi_b8 v1, v5, s[8:9]
	s_wait_xcnt 0x0
	s_or_b32 exec_lo, exec_lo, s0
	s_delay_alu instid0(SALU_CYCLE_1)
	s_mov_b32 s0, exec_lo
	v_cmpx_gt_i32_e64 s14, v0
	s_cbranch_execz .LBB17_41
.LBB17_58:
	v_dual_lshrrev_b32 v1, 24, v5 :: v_dual_add_nc_u32 v5, s12, v0
	v_add_nc_u32_e32 v0, 0x100, v0
	global_store_b8 v5, v1, s[8:9]
	s_wait_xcnt 0x0
	s_or_b32 exec_lo, exec_lo, s0
	s_delay_alu instid0(SALU_CYCLE_1)
	s_mov_b32 s0, exec_lo
	v_cmpx_gt_i32_e64 s14, v0
	s_cbranch_execz .LBB17_42
.LBB17_59:
	v_add_nc_u32_e32 v1, s12, v0
	v_add_nc_u32_e32 v0, 0x100, v0
	global_store_b8 v1, v4, s[8:9]
	s_wait_xcnt 0x0
	s_or_b32 exec_lo, exec_lo, s0
	s_delay_alu instid0(SALU_CYCLE_1)
	s_mov_b32 s0, exec_lo
	v_cmpx_gt_i32_e64 s14, v0
	s_cbranch_execz .LBB17_43
.LBB17_60:
	v_lshrrev_b32_e32 v1, 8, v4
	v_add_nc_u32_e32 v5, s12, v0
	v_add_nc_u32_e32 v0, 0x100, v0
	global_store_b8 v5, v1, s[8:9]
	s_wait_xcnt 0x0
	s_or_b32 exec_lo, exec_lo, s0
	s_delay_alu instid0(SALU_CYCLE_1)
	s_mov_b32 s0, exec_lo
	v_cmpx_gt_i32_e64 s14, v0
	s_cbranch_execz .LBB17_44
.LBB17_61:
	v_add_nc_u32_e32 v1, s12, v0
	v_add_nc_u32_e32 v0, 0x100, v0
	global_store_d16_hi_b8 v1, v4, s[8:9]
	s_wait_xcnt 0x0
	s_or_b32 exec_lo, exec_lo, s0
	s_delay_alu instid0(SALU_CYCLE_1)
	s_mov_b32 s0, exec_lo
	v_cmpx_gt_i32_e64 s14, v0
	s_cbranch_execz .LBB17_45
.LBB17_62:
	v_lshrrev_b32_e32 v1, 24, v4
	v_add_nc_u32_e32 v4, s12, v0
	v_add_nc_u32_e32 v0, 0x100, v0
	global_store_b8 v4, v1, s[8:9]
	s_wait_xcnt 0x0
	s_or_b32 exec_lo, exec_lo, s0
	s_delay_alu instid0(SALU_CYCLE_1)
	s_mov_b32 s0, exec_lo
	v_cmpx_gt_i32_e64 s14, v0
	s_cbranch_execz .LBB17_46
.LBB17_63:
	v_add_nc_u32_e32 v1, s12, v0
	v_add_nc_u32_e32 v0, 0x100, v0
	global_store_b8 v1, v3, s[8:9]
	s_wait_xcnt 0x0
	s_or_b32 exec_lo, exec_lo, s0
	s_delay_alu instid0(SALU_CYCLE_1)
	s_mov_b32 s0, exec_lo
	v_cmpx_gt_i32_e64 s14, v0
	s_cbranch_execz .LBB17_47
.LBB17_64:
	v_dual_lshrrev_b32 v1, 8, v3 :: v_dual_add_nc_u32 v4, s12, v0
	v_add_nc_u32_e32 v0, 0x100, v0
	global_store_b8 v4, v1, s[8:9]
	s_wait_xcnt 0x0
	s_or_b32 exec_lo, exec_lo, s0
	s_delay_alu instid0(SALU_CYCLE_1)
	s_mov_b32 s0, exec_lo
	v_cmpx_gt_i32_e64 s14, v0
	s_cbranch_execz .LBB17_48
.LBB17_65:
	v_add_nc_u32_e32 v1, s12, v0
	v_add_nc_u32_e32 v0, 0x100, v0
	global_store_d16_hi_b8 v1, v3, s[8:9]
	s_wait_xcnt 0x0
	s_or_b32 exec_lo, exec_lo, s0
	s_delay_alu instid0(SALU_CYCLE_1)
	s_mov_b32 s0, exec_lo
	v_cmpx_gt_i32_e64 s14, v0
	s_cbranch_execz .LBB17_49
.LBB17_66:
	v_dual_lshrrev_b32 v1, 24, v3 :: v_dual_add_nc_u32 v3, s12, v0
	v_add_nc_u32_e32 v0, 0x100, v0
	global_store_b8 v3, v1, s[8:9]
	s_wait_xcnt 0x0
	s_or_b32 exec_lo, exec_lo, s0
	s_delay_alu instid0(SALU_CYCLE_1)
	s_mov_b32 s0, exec_lo
	v_cmpx_gt_i32_e64 s14, v0
	s_cbranch_execz .LBB17_50
.LBB17_67:
	v_add_nc_u32_e32 v1, s12, v0
	v_add_nc_u32_e32 v0, 0x100, v0
	global_store_b8 v1, v2, s[8:9]
	s_wait_xcnt 0x0
	s_or_b32 exec_lo, exec_lo, s0
	s_delay_alu instid0(SALU_CYCLE_1)
	s_mov_b32 s0, exec_lo
	v_cmpx_gt_i32_e64 s14, v0
	s_cbranch_execz .LBB17_51
.LBB17_68:
	v_dual_lshrrev_b32 v1, 8, v2 :: v_dual_add_nc_u32 v3, s12, v0
	v_add_nc_u32_e32 v0, 0x100, v0
	global_store_b8 v3, v1, s[8:9]
	s_wait_xcnt 0x0
	s_or_b32 exec_lo, exec_lo, s0
	s_delay_alu instid0(SALU_CYCLE_1)
	s_mov_b32 s0, exec_lo
	v_cmpx_gt_i32_e64 s14, v0
	s_cbranch_execz .LBB17_52
.LBB17_69:
	v_add_nc_u32_e32 v1, s12, v0
	v_add_nc_u32_e32 v0, 0x100, v0
	global_store_d16_hi_b8 v1, v2, s[8:9]
	s_wait_xcnt 0x0
	s_or_b32 exec_lo, exec_lo, s0
	s_delay_alu instid0(SALU_CYCLE_1)
	s_mov_b32 s0, exec_lo
	v_cmpx_gt_i32_e64 s14, v0
	s_cbranch_execnz .LBB17_53
	s_branch .LBB17_54
	.section	.rodata,"a",@progbits
	.p2align	6, 0x0
	.amdhsa_kernel _ZN2at6native29vectorized_elementwise_kernelILi8ENS0_13BinaryFunctorIaabNS0_12_GLOBAL__N_116CompareEqFunctorIaEEEESt5arrayIPcLm3EEEEviT0_T1_
		.amdhsa_group_segment_fixed_size 0
		.amdhsa_private_segment_fixed_size 0
		.amdhsa_kernarg_size 32
		.amdhsa_user_sgpr_count 2
		.amdhsa_user_sgpr_dispatch_ptr 0
		.amdhsa_user_sgpr_queue_ptr 0
		.amdhsa_user_sgpr_kernarg_segment_ptr 1
		.amdhsa_user_sgpr_dispatch_id 0
		.amdhsa_user_sgpr_kernarg_preload_length 0
		.amdhsa_user_sgpr_kernarg_preload_offset 0
		.amdhsa_user_sgpr_private_segment_size 0
		.amdhsa_wavefront_size32 1
		.amdhsa_uses_dynamic_stack 0
		.amdhsa_enable_private_segment 0
		.amdhsa_system_sgpr_workgroup_id_x 1
		.amdhsa_system_sgpr_workgroup_id_y 0
		.amdhsa_system_sgpr_workgroup_id_z 0
		.amdhsa_system_sgpr_workgroup_info 0
		.amdhsa_system_vgpr_workitem_id 0
		.amdhsa_next_free_vgpr 39
		.amdhsa_next_free_sgpr 23
		.amdhsa_named_barrier_count 0
		.amdhsa_reserve_vcc 1
		.amdhsa_float_round_mode_32 0
		.amdhsa_float_round_mode_16_64 0
		.amdhsa_float_denorm_mode_32 3
		.amdhsa_float_denorm_mode_16_64 3
		.amdhsa_fp16_overflow 0
		.amdhsa_memory_ordered 1
		.amdhsa_forward_progress 1
		.amdhsa_inst_pref_size 46
		.amdhsa_round_robin_scheduling 0
		.amdhsa_exception_fp_ieee_invalid_op 0
		.amdhsa_exception_fp_denorm_src 0
		.amdhsa_exception_fp_ieee_div_zero 0
		.amdhsa_exception_fp_ieee_overflow 0
		.amdhsa_exception_fp_ieee_underflow 0
		.amdhsa_exception_fp_ieee_inexact 0
		.amdhsa_exception_int_div_zero 0
	.end_amdhsa_kernel
	.section	.text._ZN2at6native29vectorized_elementwise_kernelILi8ENS0_13BinaryFunctorIaabNS0_12_GLOBAL__N_116CompareEqFunctorIaEEEESt5arrayIPcLm3EEEEviT0_T1_,"axG",@progbits,_ZN2at6native29vectorized_elementwise_kernelILi8ENS0_13BinaryFunctorIaabNS0_12_GLOBAL__N_116CompareEqFunctorIaEEEESt5arrayIPcLm3EEEEviT0_T1_,comdat
.Lfunc_end17:
	.size	_ZN2at6native29vectorized_elementwise_kernelILi8ENS0_13BinaryFunctorIaabNS0_12_GLOBAL__N_116CompareEqFunctorIaEEEESt5arrayIPcLm3EEEEviT0_T1_, .Lfunc_end17-_ZN2at6native29vectorized_elementwise_kernelILi8ENS0_13BinaryFunctorIaabNS0_12_GLOBAL__N_116CompareEqFunctorIaEEEESt5arrayIPcLm3EEEEviT0_T1_
                                        ; -- End function
	.set _ZN2at6native29vectorized_elementwise_kernelILi8ENS0_13BinaryFunctorIaabNS0_12_GLOBAL__N_116CompareEqFunctorIaEEEESt5arrayIPcLm3EEEEviT0_T1_.num_vgpr, 39
	.set _ZN2at6native29vectorized_elementwise_kernelILi8ENS0_13BinaryFunctorIaabNS0_12_GLOBAL__N_116CompareEqFunctorIaEEEESt5arrayIPcLm3EEEEviT0_T1_.num_agpr, 0
	.set _ZN2at6native29vectorized_elementwise_kernelILi8ENS0_13BinaryFunctorIaabNS0_12_GLOBAL__N_116CompareEqFunctorIaEEEESt5arrayIPcLm3EEEEviT0_T1_.numbered_sgpr, 23
	.set _ZN2at6native29vectorized_elementwise_kernelILi8ENS0_13BinaryFunctorIaabNS0_12_GLOBAL__N_116CompareEqFunctorIaEEEESt5arrayIPcLm3EEEEviT0_T1_.num_named_barrier, 0
	.set _ZN2at6native29vectorized_elementwise_kernelILi8ENS0_13BinaryFunctorIaabNS0_12_GLOBAL__N_116CompareEqFunctorIaEEEESt5arrayIPcLm3EEEEviT0_T1_.private_seg_size, 0
	.set _ZN2at6native29vectorized_elementwise_kernelILi8ENS0_13BinaryFunctorIaabNS0_12_GLOBAL__N_116CompareEqFunctorIaEEEESt5arrayIPcLm3EEEEviT0_T1_.uses_vcc, 1
	.set _ZN2at6native29vectorized_elementwise_kernelILi8ENS0_13BinaryFunctorIaabNS0_12_GLOBAL__N_116CompareEqFunctorIaEEEESt5arrayIPcLm3EEEEviT0_T1_.uses_flat_scratch, 0
	.set _ZN2at6native29vectorized_elementwise_kernelILi8ENS0_13BinaryFunctorIaabNS0_12_GLOBAL__N_116CompareEqFunctorIaEEEESt5arrayIPcLm3EEEEviT0_T1_.has_dyn_sized_stack, 0
	.set _ZN2at6native29vectorized_elementwise_kernelILi8ENS0_13BinaryFunctorIaabNS0_12_GLOBAL__N_116CompareEqFunctorIaEEEESt5arrayIPcLm3EEEEviT0_T1_.has_recursion, 0
	.set _ZN2at6native29vectorized_elementwise_kernelILi8ENS0_13BinaryFunctorIaabNS0_12_GLOBAL__N_116CompareEqFunctorIaEEEESt5arrayIPcLm3EEEEviT0_T1_.has_indirect_call, 0
	.section	.AMDGPU.csdata,"",@progbits
; Kernel info:
; codeLenInByte = 5888
; TotalNumSgprs: 25
; NumVgprs: 39
; ScratchSize: 0
; MemoryBound: 0
; FloatMode: 240
; IeeeMode: 1
; LDSByteSize: 0 bytes/workgroup (compile time only)
; SGPRBlocks: 0
; VGPRBlocks: 2
; NumSGPRsForWavesPerEU: 25
; NumVGPRsForWavesPerEU: 39
; NamedBarCnt: 0
; Occupancy: 16
; WaveLimiterHint : 1
; COMPUTE_PGM_RSRC2:SCRATCH_EN: 0
; COMPUTE_PGM_RSRC2:USER_SGPR: 2
; COMPUTE_PGM_RSRC2:TRAP_HANDLER: 0
; COMPUTE_PGM_RSRC2:TGID_X_EN: 1
; COMPUTE_PGM_RSRC2:TGID_Y_EN: 0
; COMPUTE_PGM_RSRC2:TGID_Z_EN: 0
; COMPUTE_PGM_RSRC2:TIDIG_COMP_CNT: 0
	.section	.text._ZN2at6native29vectorized_elementwise_kernelILi4ENS0_13BinaryFunctorIaabNS0_12_GLOBAL__N_116CompareEqFunctorIaEEEESt5arrayIPcLm3EEEEviT0_T1_,"axG",@progbits,_ZN2at6native29vectorized_elementwise_kernelILi4ENS0_13BinaryFunctorIaabNS0_12_GLOBAL__N_116CompareEqFunctorIaEEEESt5arrayIPcLm3EEEEviT0_T1_,comdat
	.globl	_ZN2at6native29vectorized_elementwise_kernelILi4ENS0_13BinaryFunctorIaabNS0_12_GLOBAL__N_116CompareEqFunctorIaEEEESt5arrayIPcLm3EEEEviT0_T1_ ; -- Begin function _ZN2at6native29vectorized_elementwise_kernelILi4ENS0_13BinaryFunctorIaabNS0_12_GLOBAL__N_116CompareEqFunctorIaEEEESt5arrayIPcLm3EEEEviT0_T1_
	.p2align	8
	.type	_ZN2at6native29vectorized_elementwise_kernelILi4ENS0_13BinaryFunctorIaabNS0_12_GLOBAL__N_116CompareEqFunctorIaEEEESt5arrayIPcLm3EEEEviT0_T1_,@function
_ZN2at6native29vectorized_elementwise_kernelILi4ENS0_13BinaryFunctorIaabNS0_12_GLOBAL__N_116CompareEqFunctorIaEEEESt5arrayIPcLm3EEEEviT0_T1_: ; @_ZN2at6native29vectorized_elementwise_kernelILi4ENS0_13BinaryFunctorIaabNS0_12_GLOBAL__N_116CompareEqFunctorIaEEEESt5arrayIPcLm3EEEEviT0_T1_
; %bb.0:
	s_clause 0x2
	s_load_b64 s[14:15], s[0:1], 0x0
	s_load_b128 s[8:11], s[0:1], 0x8
	s_load_b64 s[16:17], s[0:1], 0x18
	s_wait_xcnt 0x0
	s_bfe_u32 s0, ttmp6, 0x4000c
	s_and_b32 s1, ttmp6, 15
	s_add_co_i32 s0, s0, 1
	s_getreg_b32 s2, hwreg(HW_REG_IB_STS2, 6, 4)
	s_mul_i32 s0, ttmp9, s0
	s_delay_alu instid0(SALU_CYCLE_1) | instskip(SKIP_2) | instid1(SALU_CYCLE_1)
	s_add_co_i32 s1, s1, s0
	s_cmp_eq_u32 s2, 0
	s_cselect_b32 s0, ttmp9, s1
	s_lshl_b32 s12, s0, 12
	s_mov_b32 s0, -1
	s_wait_kmcnt 0x0
	s_sub_co_i32 s14, s14, s12
	s_delay_alu instid0(SALU_CYCLE_1)
	s_cmp_gt_i32 s14, 0xfff
	s_cbranch_scc0 .LBB18_2
; %bb.1:
	s_ashr_i32 s13, s12, 31
	s_cmp_eq_u32 s15, 0
	s_add_nc_u64 s[0:1], s[10:11], s[12:13]
	s_cselect_b32 s18, -1, 0
	s_clause 0x3
	global_load_b32 v1, v0, s[0:1] scale_offset
	global_load_b32 v2, v0, s[0:1] offset:1024 scale_offset
	global_load_b32 v3, v0, s[0:1] offset:2048 scale_offset
	global_load_b32 v4, v0, s[0:1] offset:3072 scale_offset
	s_wait_xcnt 0x0
	s_add_nc_u64 s[0:1], s[16:17], s[12:13]
	s_clause 0x3
	global_load_b32 v5, v0, s[0:1] scale_offset
	global_load_b32 v6, v0, s[0:1] offset:1024 scale_offset
	global_load_b32 v7, v0, s[0:1] offset:2048 scale_offset
	;; [unrolled: 1-line block ×3, first 2 shown]
	s_wait_loadcnt 0x7
	v_and_b32_e32 v9, 0xff, v1
	v_dual_lshrrev_b32 v10, 8, v1 :: v_dual_lshrrev_b32 v11, 16, v1
	s_wait_loadcnt 0x3
	v_xor_b32_e32 v1, v5, v1
	v_and_b32_e32 v12, 0xff, v2
	s_wait_loadcnt 0x2
	v_and_b32_e32 v24, 0xff, v6
	v_dual_lshrrev_b32 v13, 8, v2 :: v_dual_lshrrev_b32 v14, 16, v2
	v_dual_lshrrev_b32 v19, 8, v4 :: v_dual_lshrrev_b32 v20, 16, v4
	v_dual_lshrrev_b32 v25, 8, v6 :: v_dual_lshrrev_b32 v26, 16, v6
	v_xor_b32_e32 v2, v6, v2
	s_wait_xcnt 0x0
	v_cmp_lt_u32_e64 s0, 0xffffff, v1
	v_and_b32_e32 v15, 0xff, v3
	s_wait_loadcnt 0x1
	v_and_b32_e32 v27, 0xff, v7
	v_cmp_ne_u16_e64 s1, v12, v24
	v_dual_lshrrev_b32 v16, 8, v3 :: v_dual_lshrrev_b32 v17, 16, v3
	v_and_b32_e32 v21, 0xff, v5
	v_dual_lshrrev_b32 v22, 8, v5 :: v_dual_lshrrev_b32 v23, 16, v5
	v_dual_lshrrev_b32 v28, 8, v7 :: v_dual_lshrrev_b32 v29, 16, v7
	v_xor_b32_e32 v3, v7, v3
	v_and_b32_e32 v7, 0xff, v13
	v_and_b32_e32 v13, 0xff, v19
	;; [unrolled: 1-line block ×3, first 2 shown]
	v_cmp_lt_u32_e64 s2, 0xffffff, v2
	v_and_b32_e32 v18, 0xff, v4
	s_wait_loadcnt 0x0
	v_and_b32_e32 v30, 0xff, v8
	s_xor_b32 s0, s18, s0
	v_dual_lshrrev_b32 v31, 8, v8 :: v_dual_lshrrev_b32 v32, 16, v8
	v_xor_b32_e32 v4, v8, v4
	v_and_b32_e32 v8, 0xff, v14
	v_and_b32_e32 v14, 0xff, v20
	;; [unrolled: 1-line block ×3, first 2 shown]
	v_cmp_ne_u16_e64 s3, v15, v27
	v_cndmask_b32_e64 v2, 0, 1, s0
	s_xor_b32 s0, s18, s1
	v_and_b32_e32 v5, 0xff, v10
	v_and_b32_e32 v10, 0xff, v16
	;; [unrolled: 1-line block ×4, first 2 shown]
	v_cmp_ne_u16_e32 vcc_lo, v9, v21
	v_cmp_lt_u32_e64 s4, 0xffffff, v3
	v_cndmask_b32_e64 v3, 0, 1, s0
	v_cmp_ne_u16_e64 s0, v7, v19
	s_xor_b32 s2, s18, s2
	v_and_b32_e32 v6, 0xff, v11
	v_and_b32_e32 v11, 0xff, v17
	;; [unrolled: 1-line block ×4, first 2 shown]
	v_cmp_ne_u16_e64 s5, v18, v30
	v_cmp_lt_u32_e64 s6, 0xffffff, v4
	v_cmp_ne_u16_e64 s1, v8, v20
	v_cndmask_b32_e64 v4, 0, 1, s2
	s_xor_b32 s2, s18, s3
	v_and_b32_e32 v25, 0xff, v31
	s_xor_b32 s7, s18, vcc_lo
	v_cmp_ne_u16_e32 vcc_lo, v5, v16
	v_cndmask_b32_e64 v5, 0, 1, s2
	v_cmp_ne_u16_e64 s2, v10, v22
	s_xor_b32 s4, s18, s4
	s_xor_b32 s0, s18, s0
	v_cndmask_b32_e64 v1, 0, 1, s7
	v_cmp_ne_u16_e64 s7, v6, v17
	v_cmp_ne_u16_e64 s3, v11, v23
	v_cndmask_b32_e64 v6, 0, 1, s4
	s_xor_b32 s4, s18, s5
	v_cndmask_b32_e64 v11, 0, 1, s0
	s_xor_b32 s0, s18, s1
	v_and_b32_e32 v26, 0xff, v32
	v_cndmask_b32_e64 v7, 0, 1, s4
	v_cmp_ne_u16_e64 s4, v13, v25
	s_xor_b32 s6, s18, s6
	v_cndmask_b32_e64 v12, 0, 1, s0
	s_xor_b32 s0, s18, s2
	v_cndmask_b32_e64 v8, 0, 1, s6
	s_xor_b32 s6, s18, vcc_lo
	v_cndmask_b32_e64 v13, 0, 1, s0
	s_xor_b32 s0, s18, s3
	v_cndmask_b32_e64 v9, 0, 1, s6
	v_cmp_ne_u16_e64 s5, v14, v26
	v_cndmask_b32_e64 v14, 0, 1, s0
	s_xor_b32 s0, s18, s4
	s_xor_b32 s6, s18, s7
	v_cndmask_b32_e64 v15, 0, 1, s0
	v_cndmask_b32_e64 v10, 0, 1, s6
	v_lshlrev_b16 v2, 8, v2
	v_lshlrev_b16 v9, 8, v9
	s_xor_b32 s0, s18, s5
	v_lshlrev_b16 v4, 8, v4
	v_lshlrev_b16 v11, 8, v11
	;; [unrolled: 1-line block ×4, first 2 shown]
	v_cndmask_b32_e64 v16, 0, 1, s0
	v_lshlrev_b16 v8, 8, v8
	v_lshlrev_b16 v15, 8, v15
	v_or_b32_e32 v2, v10, v2
	v_or_b32_e32 v1, v1, v9
	;; [unrolled: 1-line block ×7, first 2 shown]
	v_dual_lshlrev_b32 v2, 16, v2 :: v_dual_bitop2_b32 v7, v7, v15 bitop3:0x54
	v_and_b32_e32 v1, 0xffff, v1
	v_lshlrev_b32_e32 v4, 16, v4
	v_and_b32_e32 v3, 0xffff, v3
	v_lshlrev_b32_e32 v6, 16, v6
	;; [unrolled: 2-line block ×3, first 2 shown]
	v_and_b32_e32 v7, 0xffff, v7
	v_or_b32_e32 v1, v1, v2
	v_or_b32_e32 v2, v3, v4
	;; [unrolled: 1-line block ×3, first 2 shown]
	s_add_nc_u64 s[2:3], s[8:9], s[12:13]
	v_or_b32_e32 v4, v7, v8
	s_mov_b32 s0, 0
	s_clause 0x3
	global_store_b32 v0, v1, s[2:3] scale_offset
	global_store_b32 v0, v2, s[2:3] offset:1024 scale_offset
	global_store_b32 v0, v3, s[2:3] offset:2048 scale_offset
	;; [unrolled: 1-line block ×3, first 2 shown]
.LBB18_2:
	s_and_not1_b32 vcc_lo, exec_lo, s0
	s_cbranch_vccnz .LBB18_54
; %bb.3:
	v_cmp_le_i32_e64 s0, s14, v0
	s_wait_xcnt 0x3
	v_or_b32_e32 v1, 0x100, v0
	v_cmp_gt_i32_e32 vcc_lo, s14, v0
	s_wait_xcnt 0x0
	s_and_saveexec_b32 s1, s0
	s_delay_alu instid0(SALU_CYCLE_1)
	s_xor_b32 s0, exec_lo, s1
; %bb.4:
	v_or_b32_e32 v1, 0x100, v0
; %bb.5:
	s_or_saveexec_b32 s1, s0
	v_dual_mov_b32 v35, 0 :: v_dual_bitop2_b32 v8, s12, v0 bitop3:0x54
	v_dual_mov_b32 v34, 0 :: v_dual_mov_b32 v36, 0
	v_dual_mov_b32 v33, 0 :: v_dual_mov_b32 v32, 0
	;; [unrolled: 1-line block ×14, first 2 shown]
	v_mov_b32_e32 v28, 0
	s_mov_b32 s5, 0
	s_xor_b32 exec_lo, exec_lo, s1
	s_cbranch_execz .LBB18_37
; %bb.6:
	s_clause 0x1
	global_load_u8 v26, v8, s[10:11]
	global_load_u8 v28, v8, s[16:17]
	v_cmp_gt_u32_e64 s0, s14, v1
	v_dual_mov_b32 v17, 0 :: v_dual_mov_b32 v16, 0
	v_dual_mov_b32 v3, 0 :: v_dual_mov_b32 v10, 0
	;; [unrolled: 1-line block ×14, first 2 shown]
	s_mov_b32 s3, 0
	s_wait_xcnt 0x0
	s_and_saveexec_b32 s2, s0
	s_cbranch_execz .LBB18_36
; %bb.7:
	v_dual_mov_b32 v3, 0 :: v_dual_add_nc_u32 v2, s12, v0
	v_or_b32_e32 v4, 0x200, v0
	v_dual_mov_b32 v10, 0 :: v_dual_mov_b32 v9, 0
	v_mov_b32_e32 v29, 0
	s_clause 0x1
	global_load_u8 v16, v2, s[10:11] offset:256
	global_load_u8 v17, v2, s[16:17] offset:256
	v_cmp_gt_u32_e64 s0, s14, v4
	v_dual_mov_b32 v4, 0 :: v_dual_mov_b32 v30, 0
	v_dual_mov_b32 v25, 0 :: v_dual_mov_b32 v27, 0
	;; [unrolled: 1-line block ×11, first 2 shown]
	s_mov_b32 s4, 0
	s_wait_xcnt 0x0
	s_and_saveexec_b32 s3, s0
	s_cbranch_execz .LBB18_35
; %bb.8:
	v_add_nc_u64_e32 v[4:5], s[10:11], v[2:3]
	v_add_nc_u64_e32 v[6:7], s[16:17], v[2:3]
	v_or_b32_e32 v9, 0x300, v0
	v_dual_mov_b32 v30, 0 :: v_dual_mov_b32 v25, 0
	v_dual_mov_b32 v29, 0 :: v_dual_mov_b32 v27, 0
	v_mov_b32_e32 v22, 0
	global_load_u8 v10, v[4:5], off offset:512
	global_load_u8 v2, v[6:7], off offset:512
	v_cmp_gt_u32_e64 s0, s14, v9
	v_dual_mov_b32 v9, 0 :: v_dual_mov_b32 v24, 0
	v_dual_mov_b32 v18, 0 :: v_dual_mov_b32 v19, 0
	;; [unrolled: 1-line block ×9, first 2 shown]
	s_wait_xcnt 0x0
	s_and_saveexec_b32 s4, s0
	s_cbranch_execz .LBB18_34
; %bb.9:
	global_load_u8 v9, v[4:5], off offset:768
	global_load_u8 v3, v[6:7], off offset:768
	v_or_b32_e32 v11, 0x400, v0
	v_dual_mov_b32 v29, 0 :: v_dual_mov_b32 v30, 0
	v_dual_mov_b32 v25, 0 :: v_dual_mov_b32 v27, 0
	s_delay_alu instid0(VALU_DEP_3)
	v_cmp_gt_u32_e64 s0, s14, v11
	v_dual_mov_b32 v22, 0 :: v_dual_mov_b32 v24, 0
	v_dual_mov_b32 v18, 0 :: v_dual_mov_b32 v19, 0
	;; [unrolled: 1-line block ×9, first 2 shown]
	s_mov_b32 s6, 0
	s_wait_xcnt 0x0
	s_and_saveexec_b32 s5, s0
	s_cbranch_execz .LBB18_33
; %bb.10:
	global_load_u8 v30, v[4:5], off offset:1024
	global_load_u8 v29, v[6:7], off offset:1024
	v_or_b32_e32 v11, 0x500, v0
	v_dual_mov_b32 v25, 0 :: v_dual_mov_b32 v27, 0
	v_dual_mov_b32 v22, 0 :: v_dual_mov_b32 v24, 0
	s_delay_alu instid0(VALU_DEP_3)
	v_cmp_gt_u32_e64 s0, s14, v11
	v_dual_mov_b32 v18, 0 :: v_dual_mov_b32 v19, 0
	v_dual_mov_b32 v20, 0 :: v_dual_mov_b32 v21, 0
	;; [unrolled: 1-line block ×8, first 2 shown]
	s_mov_b32 s7, 0
	s_wait_xcnt 0x0
	s_and_saveexec_b32 s6, s0
	s_cbranch_execz .LBB18_32
; %bb.11:
	global_load_u8 v27, v[4:5], off offset:1280
	global_load_u8 v25, v[6:7], off offset:1280
	v_or_b32_e32 v11, 0x600, v0
	v_dual_mov_b32 v22, 0 :: v_dual_mov_b32 v24, 0
	v_dual_mov_b32 v18, 0 :: v_dual_mov_b32 v19, 0
	s_delay_alu instid0(VALU_DEP_3)
	v_cmp_gt_u32_e64 s0, s14, v11
	v_dual_mov_b32 v20, 0 :: v_dual_mov_b32 v21, 0
	v_dual_mov_b32 v23, 0 :: v_dual_mov_b32 v13, 0
	;; [unrolled: 1-line block ×7, first 2 shown]
	s_mov_b32 s10, 0
	s_wait_xcnt 0x0
	s_and_saveexec_b32 s7, s0
	s_cbranch_execz .LBB18_31
; %bb.12:
	global_load_u8 v24, v[4:5], off offset:1536
	global_load_u8 v22, v[6:7], off offset:1536
	v_or_b32_e32 v11, 0x700, v0
	v_dual_mov_b32 v18, 0 :: v_dual_mov_b32 v19, 0
	v_dual_mov_b32 v20, 0 :: v_dual_mov_b32 v21, 0
	s_delay_alu instid0(VALU_DEP_3)
	v_cmp_gt_u32_e64 s0, s14, v11
	v_dual_mov_b32 v23, 0 :: v_dual_mov_b32 v13, 0
	v_dual_mov_b32 v11, 0 :: v_dual_mov_b32 v14, 0
	;; [unrolled: 1-line block ×6, first 2 shown]
	s_mov_b32 s11, 0
	s_wait_xcnt 0x0
	s_and_saveexec_b32 s10, s0
	s_cbranch_execz .LBB18_30
; %bb.13:
	global_load_u8 v19, v[4:5], off offset:1792
	global_load_u8 v18, v[6:7], off offset:1792
	v_or_b32_e32 v11, 0x800, v0
	v_dual_mov_b32 v20, 0 :: v_dual_mov_b32 v21, 0
	v_dual_mov_b32 v23, 0 :: v_dual_mov_b32 v13, 0
	s_delay_alu instid0(VALU_DEP_3)
	v_cmp_gt_u32_e64 s0, s14, v11
	v_dual_mov_b32 v11, 0 :: v_dual_mov_b32 v14, 0
	v_dual_mov_b32 v12, 0 :: v_dual_mov_b32 v15, 0
	;; [unrolled: 1-line block ×5, first 2 shown]
	s_mov_b32 s13, 0
	s_wait_xcnt 0x0
	s_and_saveexec_b32 s11, s0
	s_cbranch_execz .LBB18_29
; %bb.14:
	global_load_u8 v21, v[4:5], off offset:2048
	global_load_u8 v20, v[6:7], off offset:2048
	v_or_b32_e32 v11, 0x900, v0
	v_dual_mov_b32 v23, 0 :: v_dual_mov_b32 v13, 0
	v_dual_mov_b32 v12, 0 :: v_dual_mov_b32 v15, 0
	s_delay_alu instid0(VALU_DEP_3)
	v_cmp_gt_u32_e64 s0, s14, v11
	v_dual_mov_b32 v11, 0 :: v_dual_mov_b32 v14, 0
	v_dual_mov_b32 v31, 0 :: v_dual_mov_b32 v32, 0
	;; [unrolled: 1-line block ×4, first 2 shown]
	s_mov_b32 s16, 0
	s_wait_xcnt 0x0
	s_and_saveexec_b32 s13, s0
	s_cbranch_execz .LBB18_28
; %bb.15:
	global_load_u8 v13, v[4:5], off offset:2304
	global_load_u8 v23, v[6:7], off offset:2304
	v_or_b32_e32 v11, 0xa00, v0
	v_dual_mov_b32 v12, 0 :: v_dual_mov_b32 v15, 0
	v_dual_mov_b32 v31, 0 :: v_dual_mov_b32 v32, 0
	s_delay_alu instid0(VALU_DEP_3)
	v_cmp_gt_u32_e64 s0, s14, v11
	v_dual_mov_b32 v11, 0 :: v_dual_mov_b32 v14, 0
	v_dual_mov_b32 v33, 0 :: v_dual_mov_b32 v36, 0
	;; [unrolled: 1-line block ×3, first 2 shown]
	s_mov_b32 s17, 0
	s_wait_xcnt 0x0
	s_and_saveexec_b32 s16, s0
	s_cbranch_execz .LBB18_27
; %bb.16:
	global_load_u8 v14, v[4:5], off offset:2560
	global_load_u8 v11, v[6:7], off offset:2560
	v_or_b32_e32 v12, 0xb00, v0
	v_dual_mov_b32 v31, 0 :: v_dual_mov_b32 v32, 0
	v_dual_mov_b32 v33, 0 :: v_dual_mov_b32 v36, 0
	s_delay_alu instid0(VALU_DEP_3)
	v_cmp_gt_u32_e64 s0, s14, v12
	v_dual_mov_b32 v12, 0 :: v_dual_mov_b32 v15, 0
	v_dual_mov_b32 v34, 0 :: v_dual_mov_b32 v35, 0
	s_mov_b32 s18, 0
	s_wait_xcnt 0x0
	s_and_saveexec_b32 s17, s0
	s_cbranch_execz .LBB18_26
; %bb.17:
	global_load_u8 v15, v[4:5], off offset:2816
	global_load_u8 v12, v[6:7], off offset:2816
	v_or_b32_e32 v31, 0xc00, v0
	v_dual_mov_b32 v33, 0 :: v_dual_mov_b32 v36, 0
	v_dual_mov_b32 v34, 0 :: v_dual_mov_b32 v35, 0
	s_delay_alu instid0(VALU_DEP_3)
	v_cmp_gt_u32_e64 s0, s14, v31
	v_dual_mov_b32 v31, 0 :: v_dual_mov_b32 v32, 0
	s_mov_b32 s19, 0
	s_wait_xcnt 0x0
	s_and_saveexec_b32 s18, s0
	s_cbranch_execz .LBB18_25
; %bb.18:
	global_load_u8 v32, v[4:5], off offset:3072
	global_load_u8 v31, v[6:7], off offset:3072
	v_or_b32_e32 v33, 0xd00, v0
	v_dual_mov_b32 v34, 0 :: v_dual_mov_b32 v35, 0
	s_mov_b32 s20, 0
	v_mov_b32_e32 v36, 0
	s_delay_alu instid0(VALU_DEP_3)
	v_cmp_gt_u32_e64 s0, s14, v33
	v_mov_b32_e32 v33, 0
	s_wait_xcnt 0x0
	s_and_saveexec_b32 s19, s0
	s_cbranch_execz .LBB18_24
; %bb.19:
	global_load_u8 v36, v[4:5], off offset:3328
	global_load_u8 v33, v[6:7], off offset:3328
	v_or_b32_e32 v34, 0xe00, v0
	s_mov_b32 s21, 0
	v_mov_b32_e32 v35, 0
	s_delay_alu instid0(VALU_DEP_2)
	v_cmp_gt_u32_e64 s0, s14, v34
	v_mov_b32_e32 v34, 0
	s_wait_xcnt 0x0
	s_and_saveexec_b32 s20, s0
	s_cbranch_execz .LBB18_23
; %bb.20:
	global_load_u8 v35, v[4:5], off offset:3584
	global_load_u8 v34, v[6:7], off offset:3584
	v_or_b32_e32 v37, 0xf00, v0
	s_mov_b32 s22, 0
	s_mov_b32 s21, exec_lo
	s_wait_xcnt 0x0
	s_delay_alu instid0(VALU_DEP_1)
	v_cmpx_gt_u32_e64 s14, v37
	s_cbranch_execz .LBB18_22
; %bb.21:
	global_load_u8 v37, v[4:5], off offset:3840
	global_load_u8 v38, v[6:7], off offset:3840
	s_wait_loadcnt 0x0
	v_cmp_ne_u16_e64 s0, v37, v38
	s_and_b32 s22, s0, exec_lo
.LBB18_22:
	s_wait_xcnt 0x0
	s_or_b32 exec_lo, exec_lo, s21
	s_delay_alu instid0(SALU_CYCLE_1)
	s_and_b32 s21, s22, exec_lo
.LBB18_23:
	s_or_b32 exec_lo, exec_lo, s20
	s_delay_alu instid0(SALU_CYCLE_1)
	s_and_b32 s20, s21, exec_lo
.LBB18_24:
	s_or_b32 exec_lo, exec_lo, s19
	s_delay_alu instid0(SALU_CYCLE_1)
	s_and_b32 s19, s20, exec_lo
.LBB18_25:
	s_or_b32 exec_lo, exec_lo, s18
	s_delay_alu instid0(SALU_CYCLE_1)
	s_and_b32 s18, s19, exec_lo
.LBB18_26:
	s_or_b32 exec_lo, exec_lo, s17
	s_delay_alu instid0(SALU_CYCLE_1)
	s_and_b32 s17, s18, exec_lo
.LBB18_27:
	s_or_b32 exec_lo, exec_lo, s16
	s_delay_alu instid0(SALU_CYCLE_1)
	s_and_b32 s16, s17, exec_lo
.LBB18_28:
	s_or_b32 exec_lo, exec_lo, s13
	s_delay_alu instid0(SALU_CYCLE_1)
	s_and_b32 s13, s16, exec_lo
.LBB18_29:
	s_or_b32 exec_lo, exec_lo, s11
	s_delay_alu instid0(SALU_CYCLE_1)
	s_and_b32 s11, s13, exec_lo
.LBB18_30:
	s_or_b32 exec_lo, exec_lo, s10
	s_delay_alu instid0(SALU_CYCLE_1)
	s_and_b32 s10, s11, exec_lo
.LBB18_31:
	s_or_b32 exec_lo, exec_lo, s7
	s_delay_alu instid0(SALU_CYCLE_1)
	s_and_b32 s7, s10, exec_lo
.LBB18_32:
	s_or_b32 exec_lo, exec_lo, s6
	s_delay_alu instid0(SALU_CYCLE_1)
	s_and_b32 s6, s7, exec_lo
.LBB18_33:
	s_or_b32 exec_lo, exec_lo, s5
	s_delay_alu instid0(SALU_CYCLE_1)
	s_and_b32 s5, s6, exec_lo
.LBB18_34:
	s_or_b32 exec_lo, exec_lo, s4
	s_wait_loadcnt 0x0
	v_dual_mov_b32 v4, v3 :: v_dual_mov_b32 v3, v2
	s_and_b32 s4, s5, exec_lo
.LBB18_35:
	s_or_b32 exec_lo, exec_lo, s3
	s_delay_alu instid0(SALU_CYCLE_1)
	s_and_b32 s3, s4, exec_lo
.LBB18_36:
	s_or_b32 exec_lo, exec_lo, s2
	s_delay_alu instid0(SALU_CYCLE_1)
	s_and_b32 s5, s3, exec_lo
.LBB18_37:
	s_or_b32 exec_lo, exec_lo, s1
	s_wait_loadcnt 0x0
	v_and_b32_e32 v2, 0xff, v28
	v_and_b32_e32 v5, 0xff, v26
	;; [unrolled: 1-line block ×4, first 2 shown]
	s_cmp_eq_u32 s15, 0
	v_and_b32_e32 v3, 0xff, v3
	v_cmp_ne_u16_e64 s0, v5, v2
	s_cselect_b32 s6, -1, 0
	v_cmp_ne_u16_e64 s1, v7, v6
	v_and_b32_e32 v2, 0xff, v17
	v_and_b32_e32 v6, 0xff, v16
	s_xor_b32 s0, s6, s0
	v_and_b32_e32 v16, 0xff, v25
	v_cndmask_b32_e64 v5, 0, 1, s0
	s_xor_b32 s0, s6, s1
	v_and_b32_e32 v17, 0xff, v27
	v_cndmask_b32_e64 v7, 0, 1, s0
	v_cmp_ne_u16_e64 s0, v6, v2
	v_cndmask_b32_e32 v2, 0, v5, vcc_lo
	v_and_b32_e32 v10, 0xff, v10
	v_cmp_ne_u16_e64 s1, v17, v16
	v_bitop3_b16 v5, v7, 0, 0xff00 bitop3:0xf8
	v_or_b32_e32 v7, 0x400, v0
	s_xor_b32 s0, s6, s0
	v_and_b32_e32 v4, 0xff, v4
	v_cndmask_b32_e64 v6, 0, 1, s0
	s_xor_b32 s0, s6, s1
	v_and_b32_e32 v5, 0xffff, v5
	v_cndmask_b32_e64 v16, 0, 1, s0
	v_cmp_gt_i32_e64 s0, s14, v7
	v_lshlrev_b16 v6, 8, v6
	v_cmp_gt_i32_e64 s1, s14, v1
	v_and_b32_e32 v17, 0xff, v33
	v_lshlrev_b16 v7, 8, v16
	v_cndmask_b32_e64 v5, 0, v5, s0
	v_cmp_ne_u16_e64 s0, v10, v3
	v_or_b32_e32 v3, 0x500, v0
	v_and_b32_e32 v10, 0xff, v22
	v_and_b32_e32 v16, 0xff, v24
	v_bitop3_b16 v7, v5, v7, 0xff bitop3:0xec
	s_xor_b32 s0, s6, s0
	v_and_b32_e32 v13, 0xff, v13
	v_and_b32_e32 v11, 0xff, v11
	;; [unrolled: 1-line block ×4, first 2 shown]
	v_or_b32_e32 v6, v2, v6
	s_delay_alu instid0(VALU_DEP_1) | instskip(NEXT) | instid1(VALU_DEP_1)
	v_and_b32_e32 v6, 0xffff, v6
	v_cndmask_b32_e64 v2, v2, v6, s1
	v_cmp_gt_i32_e64 s1, s14, v3
	v_and_b32_e32 v6, 0xff, v9
	s_delay_alu instid0(VALU_DEP_2)
	v_cndmask_b32_e64 v3, v5, v7, s1
	v_cmp_ne_u16_e64 s1, v16, v10
	v_cndmask_b32_e64 v5, 0, 1, s0
	v_or_b32_e32 v10, 0x200, v0
	v_and_b32_e32 v16, 0xff, v32
	v_lshrrev_b32_e32 v7, 16, v3
	s_xor_b32 s0, s6, s1
	v_lshl_or_b32 v5, v5, 16, v2
	v_cndmask_b32_e64 v9, 0, 1, s0
	v_cmp_ne_u16_e64 s0, v6, v4
	v_cmp_gt_i32_e64 s1, s14, v10
	v_and_b32_e32 v10, 0xff, v31
	s_delay_alu instid0(VALU_DEP_4)
	v_bitop3_b16 v4, v9, v7, 0xff00 bitop3:0xf8
	s_xor_b32 s0, s6, s0
	v_cndmask_b32_e64 v2, v2, v5, s1
	v_cndmask_b32_e64 v5, 0, 1, s0
	v_or_b32_e32 v7, 0x600, v0
	v_lshlrev_b32_e32 v4, 16, v4
	v_cmp_ne_u16_e64 s1, v16, v10
	v_and_b32_e32 v9, 0xff, v23
	v_lshlrev_b16 v5, 8, v5
	v_cmp_gt_i32_e64 s0, s14, v7
	v_and_or_b32 v4, 0xffff, v3, v4
	v_lshrrev_b32_e32 v6, 16, v2
	s_xor_b32 s1, s6, s1
	v_cmp_ne_u16_e64 s4, v13, v9
	v_or_b32_e32 v16, 0xd00, v0
	v_cndmask_b32_e64 v3, v3, v4, s0
	v_bitop3_b16 v5, v6, v5, 0xff bitop3:0xec
	v_and_b32_e32 v4, 0xff, v18
	v_and_b32_e32 v6, 0xff, v19
	;; [unrolled: 1-line block ×3, first 2 shown]
	v_or_b32_e32 v19, 0x800, v0
	v_or_b32_e32 v13, 0x900, v0
	v_dual_lshlrev_b32 v5, 16, v5 :: v_dual_lshrrev_b32 v7, 16, v3
	v_cmp_ne_u16_e64 s0, v6, v4
	v_and_b32_e32 v4, 0xff, v20
	v_and_b32_e32 v6, 0xff, v21
	v_cmp_ne_u16_e64 s3, v18, v17
	v_and_b32_e32 v17, 0xff, v34
	v_and_b32_e32 v18, 0xff, v35
	s_xor_b32 s0, s6, s0
	v_cmp_ne_u16_e64 s2, v6, v4
	v_or_b32_e32 v4, 0xc00, v0
	v_cndmask_b32_e64 v6, 0, 1, s1
	s_xor_b32 s1, s6, s3
	v_and_or_b32 v5, 0xffff, v2, v5
	v_cndmask_b32_e64 v9, 0, 1, s1
	s_xor_b32 s1, s6, s2
	v_cmp_gt_i32_e64 s2, s14, v16
	v_cndmask_b32_e64 v10, 0, 1, s1
	v_cmp_gt_i32_e64 s1, s14, v4
	v_cndmask_b32_e64 v16, 0, 1, s0
	v_cmp_gt_i32_e64 s0, s14, v13
	s_delay_alu instid0(VALU_DEP_3)
	v_cndmask_b32_e64 v4, 0, v6, s1
	s_xor_b32 s1, s6, s4
	v_lshlrev_b16 v6, 8, v9
	v_cndmask_b32_e64 v9, 0, 1, s1
	v_cmp_gt_i32_e64 s1, s14, v19
	v_lshlrev_b16 v13, 8, v16
	s_delay_alu instid0(VALU_DEP_3) | instskip(NEXT) | instid1(VALU_DEP_3)
	v_lshlrev_b16 v9, 8, v9
	v_cndmask_b32_e64 v10, 0, v10, s1
	v_cmp_ne_u16_e64 s1, v14, v11
	s_delay_alu instid0(VALU_DEP_4) | instskip(SKIP_1) | instid1(VALU_DEP_4)
	v_bitop3_b16 v7, v7, v13, 0xff bitop3:0xec
	v_or_b32_e32 v13, 0x300, v0
	v_or_b32_e32 v9, v10, v9
	v_bitop3_b16 v6, v4, v6, 0xff bitop3:0xec
	s_xor_b32 s1, s6, s1
	v_lshlrev_b32_e32 v7, 16, v7
	s_delay_alu instid0(VALU_DEP_2) | instskip(NEXT) | instid1(VALU_DEP_2)
	v_and_b32_e32 v6, 0xffff, v6
	v_and_or_b32 v7, 0xffff, v3, v7
	s_delay_alu instid0(VALU_DEP_2) | instskip(SKIP_3) | instid1(VALU_DEP_4)
	v_cndmask_b32_e64 v4, v4, v6, s2
	v_cmp_ne_u16_e64 s2, v18, v17
	v_and_b32_e32 v6, 0xffff, v9
	v_cndmask_b32_e64 v9, 0, 1, s1
	v_lshrrev_b32_e32 v11, 16, v4
	s_xor_b32 s1, s6, s2
	s_delay_alu instid0(VALU_DEP_3) | instskip(SKIP_1) | instid1(VALU_DEP_1)
	v_cndmask_b32_e64 v6, v10, v6, s0
	v_cndmask_b32_e64 v14, 0, 1, s1
	v_bitop3_b16 v10, v14, v11, 0xff00 bitop3:0xf8
	v_and_b32_e32 v11, 0xff, v12
	v_and_b32_e32 v12, 0xff, v15
	v_lshlrev_b32_e32 v9, 16, v9
	v_or_b32_e32 v14, 0xa00, v0
	v_lshlrev_b32_e32 v10, 16, v10
	s_delay_alu instid0(VALU_DEP_4) | instskip(NEXT) | instid1(VALU_DEP_4)
	v_cmp_ne_u16_e64 s0, v12, v11
	v_and_or_b32 v9, 0x1ff, v6, v9
	v_or_b32_e32 v11, 0xe00, v0
	v_cmp_gt_i32_e64 s1, s14, v14
	v_and_or_b32 v10, 0xffff, v4, v10
	s_xor_b32 s0, s6, s0
	v_cndmask_b32_e64 v6, v6, v9, s1
	v_cndmask_b32_e64 v9, 0, 1, s0
	v_cmp_gt_i32_e64 s0, s14, v11
	s_delay_alu instid0(VALU_DEP_2) | instskip(NEXT) | instid1(VALU_DEP_2)
	v_lshlrev_b16 v9, 8, v9
	v_cndmask_b32_e64 v10, v4, v10, s0
	s_xor_b32 s0, s6, s5
	v_lshrrev_b32_e32 v11, 16, v6
	v_cndmask_b32_e64 v4, 0, 1, s0
	v_cmp_gt_i32_e64 s0, s14, v13
	v_lshrrev_b32_e32 v12, 16, v10
	s_delay_alu instid0(VALU_DEP_4) | instskip(NEXT) | instid1(VALU_DEP_4)
	v_bitop3_b16 v9, v11, v9, 0xff bitop3:0xec
	v_lshlrev_b16 v4, 8, v4
	s_delay_alu instid0(VALU_DEP_4) | instskip(SKIP_1) | instid1(VALU_DEP_3)
	v_cndmask_b32_e64 v5, v2, v5, s0
	v_or_b32_e32 v11, 0xb00, v0
	v_bitop3_b16 v4, v12, v4, 0xff bitop3:0xec
	v_lshlrev_b32_e32 v2, 16, v9
	v_or_b32_e32 v9, 0x700, v0
	v_or_b32_e32 v12, 0xf00, v0
	s_delay_alu instid0(VALU_DEP_4) | instskip(NEXT) | instid1(VALU_DEP_4)
	v_lshlrev_b32_e32 v4, 16, v4
	v_and_or_b32 v2, 0xffff, v6, v2
	s_delay_alu instid0(VALU_DEP_4) | instskip(NEXT) | instid1(VALU_DEP_3)
	v_cmp_gt_i32_e64 s0, s14, v9
	v_and_or_b32 v13, 0xffff, v10, v4
	s_delay_alu instid0(VALU_DEP_2) | instskip(SKIP_1) | instid1(VALU_DEP_1)
	v_cndmask_b32_e64 v4, v3, v7, s0
	v_cmp_gt_i32_e64 s0, s14, v11
	v_cndmask_b32_e64 v3, v6, v2, s0
	v_cmp_gt_i32_e64 s0, s14, v12
	s_delay_alu instid0(VALU_DEP_1)
	v_cndmask_b32_e64 v2, v10, v13, s0
	s_and_saveexec_b32 s0, vcc_lo
	s_cbranch_execnz .LBB18_55
; %bb.38:
	s_or_b32 exec_lo, exec_lo, s0
	s_delay_alu instid0(SALU_CYCLE_1)
	s_mov_b32 s0, exec_lo
	v_cmpx_gt_i32_e64 s14, v0
	s_cbranch_execnz .LBB18_56
.LBB18_39:
	s_or_b32 exec_lo, exec_lo, s0
	s_delay_alu instid0(SALU_CYCLE_1)
	s_mov_b32 s0, exec_lo
	v_cmpx_gt_i32_e64 s14, v0
	s_cbranch_execnz .LBB18_57
.LBB18_40:
	s_or_b32 exec_lo, exec_lo, s0
	s_delay_alu instid0(SALU_CYCLE_1)
	s_mov_b32 s0, exec_lo
	v_cmpx_gt_i32_e64 s14, v0
	s_cbranch_execnz .LBB18_58
.LBB18_41:
	s_or_b32 exec_lo, exec_lo, s0
	s_delay_alu instid0(SALU_CYCLE_1)
	s_mov_b32 s0, exec_lo
	v_cmpx_gt_i32_e64 s14, v0
	s_cbranch_execnz .LBB18_59
.LBB18_42:
	s_or_b32 exec_lo, exec_lo, s0
	s_delay_alu instid0(SALU_CYCLE_1)
	s_mov_b32 s0, exec_lo
	v_cmpx_gt_i32_e64 s14, v0
	s_cbranch_execnz .LBB18_60
.LBB18_43:
	s_or_b32 exec_lo, exec_lo, s0
	s_delay_alu instid0(SALU_CYCLE_1)
	s_mov_b32 s0, exec_lo
	v_cmpx_gt_i32_e64 s14, v0
	s_cbranch_execnz .LBB18_61
.LBB18_44:
	s_or_b32 exec_lo, exec_lo, s0
	s_delay_alu instid0(SALU_CYCLE_1)
	s_mov_b32 s0, exec_lo
	v_cmpx_gt_i32_e64 s14, v0
	s_cbranch_execnz .LBB18_62
.LBB18_45:
	s_or_b32 exec_lo, exec_lo, s0
	s_delay_alu instid0(SALU_CYCLE_1)
	s_mov_b32 s0, exec_lo
	v_cmpx_gt_i32_e64 s14, v0
	s_cbranch_execnz .LBB18_63
.LBB18_46:
	s_or_b32 exec_lo, exec_lo, s0
	s_delay_alu instid0(SALU_CYCLE_1)
	s_mov_b32 s0, exec_lo
	v_cmpx_gt_i32_e64 s14, v0
	s_cbranch_execnz .LBB18_64
.LBB18_47:
	s_or_b32 exec_lo, exec_lo, s0
	s_delay_alu instid0(SALU_CYCLE_1)
	s_mov_b32 s0, exec_lo
	v_cmpx_gt_i32_e64 s14, v0
	s_cbranch_execnz .LBB18_65
.LBB18_48:
	s_or_b32 exec_lo, exec_lo, s0
	s_delay_alu instid0(SALU_CYCLE_1)
	s_mov_b32 s0, exec_lo
	v_cmpx_gt_i32_e64 s14, v0
	s_cbranch_execnz .LBB18_66
.LBB18_49:
	s_or_b32 exec_lo, exec_lo, s0
	s_delay_alu instid0(SALU_CYCLE_1)
	s_mov_b32 s0, exec_lo
	v_cmpx_gt_i32_e64 s14, v0
	s_cbranch_execnz .LBB18_67
.LBB18_50:
	s_or_b32 exec_lo, exec_lo, s0
	s_delay_alu instid0(SALU_CYCLE_1)
	s_mov_b32 s0, exec_lo
	v_cmpx_gt_i32_e64 s14, v0
	s_cbranch_execnz .LBB18_68
.LBB18_51:
	s_or_b32 exec_lo, exec_lo, s0
	s_delay_alu instid0(SALU_CYCLE_1)
	s_mov_b32 s0, exec_lo
	v_cmpx_gt_i32_e64 s14, v0
	s_cbranch_execnz .LBB18_69
.LBB18_52:
	s_or_b32 exec_lo, exec_lo, s0
	s_delay_alu instid0(SALU_CYCLE_1)
	s_mov_b32 s0, exec_lo
	v_cmpx_gt_i32_e64 s14, v0
	s_cbranch_execz .LBB18_54
.LBB18_53:
	v_dual_lshrrev_b32 v1, 24, v2 :: v_dual_add_nc_u32 v0, s12, v0
	global_store_b8 v0, v1, s[8:9]
.LBB18_54:
	s_endpgm
.LBB18_55:
	v_mov_b32_e32 v0, v1
	global_store_b8 v8, v5, s[8:9]
	s_wait_xcnt 0x0
	s_or_b32 exec_lo, exec_lo, s0
	s_delay_alu instid0(SALU_CYCLE_1)
	s_mov_b32 s0, exec_lo
	v_cmpx_gt_i32_e64 s14, v0
	s_cbranch_execz .LBB18_39
.LBB18_56:
	v_dual_lshrrev_b32 v1, 8, v5 :: v_dual_add_nc_u32 v6, s12, v0
	v_add_nc_u32_e32 v0, 0x100, v0
	global_store_b8 v6, v1, s[8:9]
	s_wait_xcnt 0x0
	s_or_b32 exec_lo, exec_lo, s0
	s_delay_alu instid0(SALU_CYCLE_1)
	s_mov_b32 s0, exec_lo
	v_cmpx_gt_i32_e64 s14, v0
	s_cbranch_execz .LBB18_40
.LBB18_57:
	v_add_nc_u32_e32 v1, s12, v0
	v_add_nc_u32_e32 v0, 0x100, v0
	global_store_d16_hi_b8 v1, v5, s[8:9]
	s_wait_xcnt 0x0
	s_or_b32 exec_lo, exec_lo, s0
	s_delay_alu instid0(SALU_CYCLE_1)
	s_mov_b32 s0, exec_lo
	v_cmpx_gt_i32_e64 s14, v0
	s_cbranch_execz .LBB18_41
.LBB18_58:
	v_dual_lshrrev_b32 v1, 24, v5 :: v_dual_add_nc_u32 v5, s12, v0
	v_add_nc_u32_e32 v0, 0x100, v0
	global_store_b8 v5, v1, s[8:9]
	s_wait_xcnt 0x0
	s_or_b32 exec_lo, exec_lo, s0
	s_delay_alu instid0(SALU_CYCLE_1)
	s_mov_b32 s0, exec_lo
	v_cmpx_gt_i32_e64 s14, v0
	s_cbranch_execz .LBB18_42
.LBB18_59:
	v_add_nc_u32_e32 v1, s12, v0
	v_add_nc_u32_e32 v0, 0x100, v0
	global_store_b8 v1, v4, s[8:9]
	s_wait_xcnt 0x0
	s_or_b32 exec_lo, exec_lo, s0
	s_delay_alu instid0(SALU_CYCLE_1)
	s_mov_b32 s0, exec_lo
	v_cmpx_gt_i32_e64 s14, v0
	s_cbranch_execz .LBB18_43
.LBB18_60:
	v_lshrrev_b32_e32 v1, 8, v4
	v_add_nc_u32_e32 v5, s12, v0
	v_add_nc_u32_e32 v0, 0x100, v0
	global_store_b8 v5, v1, s[8:9]
	s_wait_xcnt 0x0
	s_or_b32 exec_lo, exec_lo, s0
	s_delay_alu instid0(SALU_CYCLE_1)
	s_mov_b32 s0, exec_lo
	v_cmpx_gt_i32_e64 s14, v0
	s_cbranch_execz .LBB18_44
.LBB18_61:
	v_add_nc_u32_e32 v1, s12, v0
	v_add_nc_u32_e32 v0, 0x100, v0
	global_store_d16_hi_b8 v1, v4, s[8:9]
	s_wait_xcnt 0x0
	s_or_b32 exec_lo, exec_lo, s0
	s_delay_alu instid0(SALU_CYCLE_1)
	s_mov_b32 s0, exec_lo
	v_cmpx_gt_i32_e64 s14, v0
	s_cbranch_execz .LBB18_45
.LBB18_62:
	v_lshrrev_b32_e32 v1, 24, v4
	v_add_nc_u32_e32 v4, s12, v0
	v_add_nc_u32_e32 v0, 0x100, v0
	global_store_b8 v4, v1, s[8:9]
	s_wait_xcnt 0x0
	s_or_b32 exec_lo, exec_lo, s0
	s_delay_alu instid0(SALU_CYCLE_1)
	s_mov_b32 s0, exec_lo
	v_cmpx_gt_i32_e64 s14, v0
	s_cbranch_execz .LBB18_46
.LBB18_63:
	v_add_nc_u32_e32 v1, s12, v0
	v_add_nc_u32_e32 v0, 0x100, v0
	global_store_b8 v1, v3, s[8:9]
	s_wait_xcnt 0x0
	s_or_b32 exec_lo, exec_lo, s0
	s_delay_alu instid0(SALU_CYCLE_1)
	s_mov_b32 s0, exec_lo
	v_cmpx_gt_i32_e64 s14, v0
	s_cbranch_execz .LBB18_47
.LBB18_64:
	v_dual_lshrrev_b32 v1, 8, v3 :: v_dual_add_nc_u32 v4, s12, v0
	v_add_nc_u32_e32 v0, 0x100, v0
	global_store_b8 v4, v1, s[8:9]
	s_wait_xcnt 0x0
	s_or_b32 exec_lo, exec_lo, s0
	s_delay_alu instid0(SALU_CYCLE_1)
	s_mov_b32 s0, exec_lo
	v_cmpx_gt_i32_e64 s14, v0
	s_cbranch_execz .LBB18_48
.LBB18_65:
	v_add_nc_u32_e32 v1, s12, v0
	v_add_nc_u32_e32 v0, 0x100, v0
	global_store_d16_hi_b8 v1, v3, s[8:9]
	s_wait_xcnt 0x0
	s_or_b32 exec_lo, exec_lo, s0
	s_delay_alu instid0(SALU_CYCLE_1)
	s_mov_b32 s0, exec_lo
	v_cmpx_gt_i32_e64 s14, v0
	s_cbranch_execz .LBB18_49
.LBB18_66:
	v_dual_lshrrev_b32 v1, 24, v3 :: v_dual_add_nc_u32 v3, s12, v0
	v_add_nc_u32_e32 v0, 0x100, v0
	global_store_b8 v3, v1, s[8:9]
	s_wait_xcnt 0x0
	s_or_b32 exec_lo, exec_lo, s0
	s_delay_alu instid0(SALU_CYCLE_1)
	s_mov_b32 s0, exec_lo
	v_cmpx_gt_i32_e64 s14, v0
	s_cbranch_execz .LBB18_50
.LBB18_67:
	v_add_nc_u32_e32 v1, s12, v0
	v_add_nc_u32_e32 v0, 0x100, v0
	global_store_b8 v1, v2, s[8:9]
	s_wait_xcnt 0x0
	s_or_b32 exec_lo, exec_lo, s0
	s_delay_alu instid0(SALU_CYCLE_1)
	s_mov_b32 s0, exec_lo
	v_cmpx_gt_i32_e64 s14, v0
	s_cbranch_execz .LBB18_51
.LBB18_68:
	v_dual_lshrrev_b32 v1, 8, v2 :: v_dual_add_nc_u32 v3, s12, v0
	v_add_nc_u32_e32 v0, 0x100, v0
	global_store_b8 v3, v1, s[8:9]
	s_wait_xcnt 0x0
	s_or_b32 exec_lo, exec_lo, s0
	s_delay_alu instid0(SALU_CYCLE_1)
	s_mov_b32 s0, exec_lo
	v_cmpx_gt_i32_e64 s14, v0
	s_cbranch_execz .LBB18_52
.LBB18_69:
	v_add_nc_u32_e32 v1, s12, v0
	v_add_nc_u32_e32 v0, 0x100, v0
	global_store_d16_hi_b8 v1, v2, s[8:9]
	s_wait_xcnt 0x0
	s_or_b32 exec_lo, exec_lo, s0
	s_delay_alu instid0(SALU_CYCLE_1)
	s_mov_b32 s0, exec_lo
	v_cmpx_gt_i32_e64 s14, v0
	s_cbranch_execnz .LBB18_53
	s_branch .LBB18_54
	.section	.rodata,"a",@progbits
	.p2align	6, 0x0
	.amdhsa_kernel _ZN2at6native29vectorized_elementwise_kernelILi4ENS0_13BinaryFunctorIaabNS0_12_GLOBAL__N_116CompareEqFunctorIaEEEESt5arrayIPcLm3EEEEviT0_T1_
		.amdhsa_group_segment_fixed_size 0
		.amdhsa_private_segment_fixed_size 0
		.amdhsa_kernarg_size 32
		.amdhsa_user_sgpr_count 2
		.amdhsa_user_sgpr_dispatch_ptr 0
		.amdhsa_user_sgpr_queue_ptr 0
		.amdhsa_user_sgpr_kernarg_segment_ptr 1
		.amdhsa_user_sgpr_dispatch_id 0
		.amdhsa_user_sgpr_kernarg_preload_length 0
		.amdhsa_user_sgpr_kernarg_preload_offset 0
		.amdhsa_user_sgpr_private_segment_size 0
		.amdhsa_wavefront_size32 1
		.amdhsa_uses_dynamic_stack 0
		.amdhsa_enable_private_segment 0
		.amdhsa_system_sgpr_workgroup_id_x 1
		.amdhsa_system_sgpr_workgroup_id_y 0
		.amdhsa_system_sgpr_workgroup_id_z 0
		.amdhsa_system_sgpr_workgroup_info 0
		.amdhsa_system_vgpr_workitem_id 0
		.amdhsa_next_free_vgpr 39
		.amdhsa_next_free_sgpr 23
		.amdhsa_named_barrier_count 0
		.amdhsa_reserve_vcc 1
		.amdhsa_float_round_mode_32 0
		.amdhsa_float_round_mode_16_64 0
		.amdhsa_float_denorm_mode_32 3
		.amdhsa_float_denorm_mode_16_64 3
		.amdhsa_fp16_overflow 0
		.amdhsa_memory_ordered 1
		.amdhsa_forward_progress 1
		.amdhsa_inst_pref_size 47
		.amdhsa_round_robin_scheduling 0
		.amdhsa_exception_fp_ieee_invalid_op 0
		.amdhsa_exception_fp_denorm_src 0
		.amdhsa_exception_fp_ieee_div_zero 0
		.amdhsa_exception_fp_ieee_overflow 0
		.amdhsa_exception_fp_ieee_underflow 0
		.amdhsa_exception_fp_ieee_inexact 0
		.amdhsa_exception_int_div_zero 0
	.end_amdhsa_kernel
	.section	.text._ZN2at6native29vectorized_elementwise_kernelILi4ENS0_13BinaryFunctorIaabNS0_12_GLOBAL__N_116CompareEqFunctorIaEEEESt5arrayIPcLm3EEEEviT0_T1_,"axG",@progbits,_ZN2at6native29vectorized_elementwise_kernelILi4ENS0_13BinaryFunctorIaabNS0_12_GLOBAL__N_116CompareEqFunctorIaEEEESt5arrayIPcLm3EEEEviT0_T1_,comdat
.Lfunc_end18:
	.size	_ZN2at6native29vectorized_elementwise_kernelILi4ENS0_13BinaryFunctorIaabNS0_12_GLOBAL__N_116CompareEqFunctorIaEEEESt5arrayIPcLm3EEEEviT0_T1_, .Lfunc_end18-_ZN2at6native29vectorized_elementwise_kernelILi4ENS0_13BinaryFunctorIaabNS0_12_GLOBAL__N_116CompareEqFunctorIaEEEESt5arrayIPcLm3EEEEviT0_T1_
                                        ; -- End function
	.set _ZN2at6native29vectorized_elementwise_kernelILi4ENS0_13BinaryFunctorIaabNS0_12_GLOBAL__N_116CompareEqFunctorIaEEEESt5arrayIPcLm3EEEEviT0_T1_.num_vgpr, 39
	.set _ZN2at6native29vectorized_elementwise_kernelILi4ENS0_13BinaryFunctorIaabNS0_12_GLOBAL__N_116CompareEqFunctorIaEEEESt5arrayIPcLm3EEEEviT0_T1_.num_agpr, 0
	.set _ZN2at6native29vectorized_elementwise_kernelILi4ENS0_13BinaryFunctorIaabNS0_12_GLOBAL__N_116CompareEqFunctorIaEEEESt5arrayIPcLm3EEEEviT0_T1_.numbered_sgpr, 23
	.set _ZN2at6native29vectorized_elementwise_kernelILi4ENS0_13BinaryFunctorIaabNS0_12_GLOBAL__N_116CompareEqFunctorIaEEEESt5arrayIPcLm3EEEEviT0_T1_.num_named_barrier, 0
	.set _ZN2at6native29vectorized_elementwise_kernelILi4ENS0_13BinaryFunctorIaabNS0_12_GLOBAL__N_116CompareEqFunctorIaEEEESt5arrayIPcLm3EEEEviT0_T1_.private_seg_size, 0
	.set _ZN2at6native29vectorized_elementwise_kernelILi4ENS0_13BinaryFunctorIaabNS0_12_GLOBAL__N_116CompareEqFunctorIaEEEESt5arrayIPcLm3EEEEviT0_T1_.uses_vcc, 1
	.set _ZN2at6native29vectorized_elementwise_kernelILi4ENS0_13BinaryFunctorIaabNS0_12_GLOBAL__N_116CompareEqFunctorIaEEEESt5arrayIPcLm3EEEEviT0_T1_.uses_flat_scratch, 0
	.set _ZN2at6native29vectorized_elementwise_kernelILi4ENS0_13BinaryFunctorIaabNS0_12_GLOBAL__N_116CompareEqFunctorIaEEEESt5arrayIPcLm3EEEEviT0_T1_.has_dyn_sized_stack, 0
	.set _ZN2at6native29vectorized_elementwise_kernelILi4ENS0_13BinaryFunctorIaabNS0_12_GLOBAL__N_116CompareEqFunctorIaEEEESt5arrayIPcLm3EEEEviT0_T1_.has_recursion, 0
	.set _ZN2at6native29vectorized_elementwise_kernelILi4ENS0_13BinaryFunctorIaabNS0_12_GLOBAL__N_116CompareEqFunctorIaEEEESt5arrayIPcLm3EEEEviT0_T1_.has_indirect_call, 0
	.section	.AMDGPU.csdata,"",@progbits
; Kernel info:
; codeLenInByte = 5968
; TotalNumSgprs: 25
; NumVgprs: 39
; ScratchSize: 0
; MemoryBound: 0
; FloatMode: 240
; IeeeMode: 1
; LDSByteSize: 0 bytes/workgroup (compile time only)
; SGPRBlocks: 0
; VGPRBlocks: 2
; NumSGPRsForWavesPerEU: 25
; NumVGPRsForWavesPerEU: 39
; NamedBarCnt: 0
; Occupancy: 16
; WaveLimiterHint : 1
; COMPUTE_PGM_RSRC2:SCRATCH_EN: 0
; COMPUTE_PGM_RSRC2:USER_SGPR: 2
; COMPUTE_PGM_RSRC2:TRAP_HANDLER: 0
; COMPUTE_PGM_RSRC2:TGID_X_EN: 1
; COMPUTE_PGM_RSRC2:TGID_Y_EN: 0
; COMPUTE_PGM_RSRC2:TGID_Z_EN: 0
; COMPUTE_PGM_RSRC2:TIDIG_COMP_CNT: 0
	.section	.text._ZN2at6native29vectorized_elementwise_kernelILi2ENS0_13BinaryFunctorIaabNS0_12_GLOBAL__N_116CompareEqFunctorIaEEEESt5arrayIPcLm3EEEEviT0_T1_,"axG",@progbits,_ZN2at6native29vectorized_elementwise_kernelILi2ENS0_13BinaryFunctorIaabNS0_12_GLOBAL__N_116CompareEqFunctorIaEEEESt5arrayIPcLm3EEEEviT0_T1_,comdat
	.globl	_ZN2at6native29vectorized_elementwise_kernelILi2ENS0_13BinaryFunctorIaabNS0_12_GLOBAL__N_116CompareEqFunctorIaEEEESt5arrayIPcLm3EEEEviT0_T1_ ; -- Begin function _ZN2at6native29vectorized_elementwise_kernelILi2ENS0_13BinaryFunctorIaabNS0_12_GLOBAL__N_116CompareEqFunctorIaEEEESt5arrayIPcLm3EEEEviT0_T1_
	.p2align	8
	.type	_ZN2at6native29vectorized_elementwise_kernelILi2ENS0_13BinaryFunctorIaabNS0_12_GLOBAL__N_116CompareEqFunctorIaEEEESt5arrayIPcLm3EEEEviT0_T1_,@function
_ZN2at6native29vectorized_elementwise_kernelILi2ENS0_13BinaryFunctorIaabNS0_12_GLOBAL__N_116CompareEqFunctorIaEEEESt5arrayIPcLm3EEEEviT0_T1_: ; @_ZN2at6native29vectorized_elementwise_kernelILi2ENS0_13BinaryFunctorIaabNS0_12_GLOBAL__N_116CompareEqFunctorIaEEEESt5arrayIPcLm3EEEEviT0_T1_
; %bb.0:
	s_clause 0x2
	s_load_b64 s[14:15], s[0:1], 0x0
	s_load_b128 s[16:19], s[0:1], 0x8
	s_load_b64 s[22:23], s[0:1], 0x18
	s_wait_xcnt 0x0
	s_bfe_u32 s0, ttmp6, 0x4000c
	s_and_b32 s1, ttmp6, 15
	s_add_co_i32 s0, s0, 1
	s_getreg_b32 s2, hwreg(HW_REG_IB_STS2, 6, 4)
	s_mul_i32 s0, ttmp9, s0
	s_mov_b32 s25, -1
	s_add_co_i32 s1, s1, s0
	s_cmp_eq_u32 s2, 0
	s_cselect_b32 s0, ttmp9, s1
	s_delay_alu instid0(SALU_CYCLE_1) | instskip(SKIP_2) | instid1(SALU_CYCLE_1)
	s_lshl_b32 s20, s0, 12
	s_wait_kmcnt 0x0
	s_sub_co_i32 s24, s14, s20
	s_cmp_gt_i32 s24, 0xfff
	s_cbranch_scc0 .LBB19_2
; %bb.1:
	s_ashr_i32 s21, s20, 31
	s_cmp_eq_u32 s15, 0
	s_add_nc_u64 s[0:1], s[18:19], s[20:21]
	s_add_nc_u64 s[2:3], s[22:23], s[20:21]
	s_clause 0xf
	global_load_u16 v1, v0, s[0:1] scale_offset
	global_load_u16 v2, v0, s[0:1] offset:512 scale_offset
	global_load_u16 v3, v0, s[0:1] offset:1024 scale_offset
	global_load_u16 v4, v0, s[0:1] offset:1536 scale_offset
	global_load_u16 v5, v0, s[0:1] offset:2048 scale_offset
	global_load_u16 v6, v0, s[0:1] offset:2560 scale_offset
	global_load_u16 v7, v0, s[0:1] offset:3072 scale_offset
	global_load_u16 v8, v0, s[0:1] offset:3584 scale_offset
	global_load_u16 v9, v0, s[2:3] scale_offset
	global_load_u16 v10, v0, s[2:3] offset:512 scale_offset
	global_load_u16 v11, v0, s[2:3] offset:1024 scale_offset
	;; [unrolled: 1-line block ×6, first 2 shown]
	; meta instruction
	global_load_u16 v16, v0, s[2:3] offset:3584 scale_offset
	s_add_nc_u64 s[26:27], s[16:17], s[20:21]
	s_cselect_b32 s21, -1, 0
	s_mov_b32 s25, 0
	s_wait_loadcnt 0xf
	v_and_b32_e32 v17, 0xff, v1
	s_wait_loadcnt 0xe
	v_and_b32_e32 v18, 0xff, v2
	;; [unrolled: 2-line block ×8, first 2 shown]
	s_wait_loadcnt 0x7
	v_xor_b32_e32 v1, v9, v1
	s_wait_loadcnt 0x6
	v_and_b32_e32 v26, 0xff, v10
	v_xor_b32_e32 v2, v10, v2
	s_wait_loadcnt 0x5
	v_and_b32_e32 v27, 0xff, v11
	v_xor_b32_e32 v3, v11, v3
	v_cmp_lt_u16_e64 s0, 0xff, v1
	v_cmp_ne_u16_e64 s1, v18, v26
	s_wait_xcnt 0x0
	v_cmp_lt_u16_e64 s2, 0xff, v2
	s_wait_loadcnt 0x4
	v_and_b32_e32 v28, 0xff, v12
	v_xor_b32_e32 v4, v12, v4
	s_xor_b32 s0, s21, s0
	v_cmp_ne_u16_e64 s3, v19, v27
	v_cndmask_b32_e64 v2, 0, 1, s0
	s_xor_b32 s0, s21, s1
	s_wait_loadcnt 0x3
	v_xor_b32_e32 v5, v13, v5
	v_cmp_lt_u16_e64 s4, 0xff, v3
	v_and_b32_e32 v29, 0xff, v13
	v_cndmask_b32_e64 v3, 0, 1, s0
	s_xor_b32 s0, s21, s2
	s_wait_loadcnt 0x2
	v_xor_b32_e32 v6, v14, v6
	v_cmp_ne_u16_e64 s5, v20, v28
	v_cmp_lt_u16_e64 s6, 0xff, v4
	v_cndmask_b32_e64 v4, 0, 1, s0
	s_xor_b32 s0, s21, s3
	s_wait_loadcnt 0x1
	v_xor_b32_e32 v7, v15, v7
	v_and_b32_e32 v30, 0xff, v14
	v_cmp_lt_u16_e64 s8, 0xff, v5
	v_cndmask_b32_e64 v5, 0, 1, s0
	s_xor_b32 s0, s21, s4
	s_wait_loadcnt 0x0
	v_xor_b32_e32 v8, v16, v8
	v_cmp_ne_u16_e64 s7, v21, v29
	v_cmp_lt_u16_e64 s10, 0xff, v6
	v_cndmask_b32_e64 v6, 0, 1, s0
	s_xor_b32 s0, s21, s5
	v_cmp_lt_u16_e64 s12, 0xff, v7
	v_cndmask_b32_e64 v7, 0, 1, s0
	s_xor_b32 s0, s21, s6
	v_cmp_ne_u16_e64 s9, v22, v30
	v_and_b32_e32 v25, 0xff, v9
	v_cmp_lt_u16_e64 s14, 0xff, v8
	v_cndmask_b32_e64 v8, 0, 1, s0
	s_xor_b32 s0, s21, s7
	v_and_b32_e32 v31, 0xff, v15
	v_cndmask_b32_e64 v9, 0, 1, s0
	s_xor_b32 s0, s21, s8
	v_and_b32_e32 v32, 0xff, v16
	v_cndmask_b32_e64 v10, 0, 1, s0
	s_xor_b32 s0, s21, s9
	v_cmp_ne_u16_e32 vcc_lo, v17, v25
	v_cndmask_b32_e64 v11, 0, 1, s0
	s_xor_b32 s0, s21, s10
	v_cmp_ne_u16_e64 s11, v23, v31
	v_cndmask_b32_e64 v12, 0, 1, s0
	s_xor_b32 s0, s21, s12
	v_cmp_ne_u16_e64 s13, v24, v32
	s_xor_b32 s28, s21, vcc_lo
	v_cndmask_b32_e64 v13, 0, 1, s0
	s_xor_b32 s0, s21, s14
	v_cndmask_b32_e64 v1, 0, 1, s28
	v_cndmask_b32_e64 v14, 0, 1, s0
	v_lshlrev_b16 v2, 8, v2
	s_xor_b32 s0, s21, s11
	v_lshlrev_b16 v4, 8, v4
	v_lshlrev_b16 v6, 8, v6
	v_cndmask_b32_e64 v15, 0, 1, s0
	s_xor_b32 s0, s21, s13
	v_lshlrev_b16 v8, 8, v8
	v_lshlrev_b16 v10, 8, v10
	v_cndmask_b32_e64 v16, 0, 1, s0
	v_lshlrev_b16 v14, 8, v14
	v_lshlrev_b16 v13, 8, v13
	v_lshlrev_b16 v12, 8, v12
	v_or_b32_e32 v1, v1, v2
	v_or_b32_e32 v2, v3, v4
	;; [unrolled: 1-line block ×8, first 2 shown]
	s_clause 0x7
	global_store_b16 v0, v1, s[26:27] scale_offset
	global_store_b16 v0, v2, s[26:27] offset:512 scale_offset
	global_store_b16 v0, v3, s[26:27] offset:1024 scale_offset
	;; [unrolled: 1-line block ×7, first 2 shown]
.LBB19_2:
	s_and_not1_b32 vcc_lo, exec_lo, s25
	s_cbranch_vccnz .LBB19_54
; %bb.3:
	v_cmp_le_i32_e64 s0, s24, v0
	s_wait_xcnt 0x7
	v_or_b32_e32 v1, 0x100, v0
	v_cmp_gt_i32_e32 vcc_lo, s24, v0
	s_wait_xcnt 0x0
	s_and_saveexec_b32 s1, s0
	s_delay_alu instid0(SALU_CYCLE_1)
	s_xor_b32 s0, exec_lo, s1
; %bb.4:
	v_or_b32_e32 v1, 0x100, v0
; %bb.5:
	s_or_saveexec_b32 s1, s0
	v_dual_mov_b32 v35, 0 :: v_dual_bitop2_b32 v8, s20, v0 bitop3:0x54
	v_dual_mov_b32 v34, 0 :: v_dual_mov_b32 v36, 0
	v_dual_mov_b32 v33, 0 :: v_dual_mov_b32 v32, 0
	;; [unrolled: 1-line block ×14, first 2 shown]
	v_mov_b32_e32 v28, 0
	s_mov_b32 s5, 0
	s_xor_b32 exec_lo, exec_lo, s1
	s_cbranch_execz .LBB19_37
; %bb.6:
	s_clause 0x1
	global_load_u8 v26, v8, s[18:19]
	global_load_u8 v28, v8, s[22:23]
	v_cmp_gt_u32_e64 s0, s24, v1
	v_dual_mov_b32 v17, 0 :: v_dual_mov_b32 v16, 0
	v_dual_mov_b32 v3, 0 :: v_dual_mov_b32 v10, 0
	v_dual_mov_b32 v4, 0 :: v_dual_mov_b32 v9, 0
	v_dual_mov_b32 v29, 0 :: v_dual_mov_b32 v30, 0
	v_dual_mov_b32 v25, 0 :: v_dual_mov_b32 v27, 0
	v_dual_mov_b32 v22, 0 :: v_dual_mov_b32 v24, 0
	v_dual_mov_b32 v18, 0 :: v_dual_mov_b32 v19, 0
	v_dual_mov_b32 v20, 0 :: v_dual_mov_b32 v21, 0
	v_dual_mov_b32 v23, 0 :: v_dual_mov_b32 v13, 0
	v_dual_mov_b32 v11, 0 :: v_dual_mov_b32 v14, 0
	v_dual_mov_b32 v12, 0 :: v_dual_mov_b32 v15, 0
	v_dual_mov_b32 v31, 0 :: v_dual_mov_b32 v32, 0
	v_dual_mov_b32 v33, 0 :: v_dual_mov_b32 v36, 0
	v_dual_mov_b32 v34, 0 :: v_dual_mov_b32 v35, 0
	s_mov_b32 s3, 0
	s_wait_xcnt 0x0
	s_and_saveexec_b32 s2, s0
	s_cbranch_execz .LBB19_36
; %bb.7:
	v_dual_mov_b32 v3, 0 :: v_dual_add_nc_u32 v2, s20, v0
	v_or_b32_e32 v4, 0x200, v0
	v_dual_mov_b32 v10, 0 :: v_dual_mov_b32 v9, 0
	v_mov_b32_e32 v29, 0
	s_clause 0x1
	global_load_u8 v16, v2, s[18:19] offset:256
	global_load_u8 v17, v2, s[22:23] offset:256
	v_cmp_gt_u32_e64 s0, s24, v4
	v_dual_mov_b32 v4, 0 :: v_dual_mov_b32 v30, 0
	v_dual_mov_b32 v25, 0 :: v_dual_mov_b32 v27, 0
	;; [unrolled: 1-line block ×11, first 2 shown]
	s_mov_b32 s4, 0
	s_wait_xcnt 0x0
	s_and_saveexec_b32 s3, s0
	s_cbranch_execz .LBB19_35
; %bb.8:
	v_add_nc_u64_e32 v[4:5], s[18:19], v[2:3]
	v_add_nc_u64_e32 v[6:7], s[22:23], v[2:3]
	v_or_b32_e32 v9, 0x300, v0
	v_dual_mov_b32 v30, 0 :: v_dual_mov_b32 v25, 0
	v_dual_mov_b32 v29, 0 :: v_dual_mov_b32 v27, 0
	v_mov_b32_e32 v22, 0
	global_load_u8 v10, v[4:5], off offset:512
	global_load_u8 v2, v[6:7], off offset:512
	v_cmp_gt_u32_e64 s0, s24, v9
	v_dual_mov_b32 v9, 0 :: v_dual_mov_b32 v24, 0
	v_dual_mov_b32 v18, 0 :: v_dual_mov_b32 v19, 0
	;; [unrolled: 1-line block ×9, first 2 shown]
	s_wait_xcnt 0x0
	s_and_saveexec_b32 s4, s0
	s_cbranch_execz .LBB19_34
; %bb.9:
	global_load_u8 v9, v[4:5], off offset:768
	global_load_u8 v3, v[6:7], off offset:768
	v_or_b32_e32 v11, 0x400, v0
	v_dual_mov_b32 v29, 0 :: v_dual_mov_b32 v30, 0
	v_dual_mov_b32 v25, 0 :: v_dual_mov_b32 v27, 0
	s_delay_alu instid0(VALU_DEP_3)
	v_cmp_gt_u32_e64 s0, s24, v11
	v_dual_mov_b32 v22, 0 :: v_dual_mov_b32 v24, 0
	v_dual_mov_b32 v18, 0 :: v_dual_mov_b32 v19, 0
	v_dual_mov_b32 v20, 0 :: v_dual_mov_b32 v21, 0
	v_dual_mov_b32 v23, 0 :: v_dual_mov_b32 v13, 0
	v_dual_mov_b32 v11, 0 :: v_dual_mov_b32 v14, 0
	v_dual_mov_b32 v12, 0 :: v_dual_mov_b32 v15, 0
	v_dual_mov_b32 v31, 0 :: v_dual_mov_b32 v32, 0
	v_dual_mov_b32 v33, 0 :: v_dual_mov_b32 v36, 0
	v_dual_mov_b32 v34, 0 :: v_dual_mov_b32 v35, 0
	s_mov_b32 s6, 0
	s_wait_xcnt 0x0
	s_and_saveexec_b32 s5, s0
	s_cbranch_execz .LBB19_33
; %bb.10:
	global_load_u8 v30, v[4:5], off offset:1024
	global_load_u8 v29, v[6:7], off offset:1024
	v_or_b32_e32 v11, 0x500, v0
	v_dual_mov_b32 v25, 0 :: v_dual_mov_b32 v27, 0
	v_dual_mov_b32 v22, 0 :: v_dual_mov_b32 v24, 0
	s_delay_alu instid0(VALU_DEP_3)
	v_cmp_gt_u32_e64 s0, s24, v11
	v_dual_mov_b32 v18, 0 :: v_dual_mov_b32 v19, 0
	v_dual_mov_b32 v20, 0 :: v_dual_mov_b32 v21, 0
	;; [unrolled: 1-line block ×8, first 2 shown]
	s_mov_b32 s7, 0
	s_wait_xcnt 0x0
	s_and_saveexec_b32 s6, s0
	s_cbranch_execz .LBB19_32
; %bb.11:
	global_load_u8 v27, v[4:5], off offset:1280
	global_load_u8 v25, v[6:7], off offset:1280
	v_or_b32_e32 v11, 0x600, v0
	v_dual_mov_b32 v22, 0 :: v_dual_mov_b32 v24, 0
	v_dual_mov_b32 v18, 0 :: v_dual_mov_b32 v19, 0
	s_delay_alu instid0(VALU_DEP_3)
	v_cmp_gt_u32_e64 s0, s24, v11
	v_dual_mov_b32 v20, 0 :: v_dual_mov_b32 v21, 0
	v_dual_mov_b32 v23, 0 :: v_dual_mov_b32 v13, 0
	;; [unrolled: 1-line block ×7, first 2 shown]
	s_mov_b32 s8, 0
	s_wait_xcnt 0x0
	s_and_saveexec_b32 s7, s0
	s_cbranch_execz .LBB19_31
; %bb.12:
	global_load_u8 v24, v[4:5], off offset:1536
	global_load_u8 v22, v[6:7], off offset:1536
	v_or_b32_e32 v11, 0x700, v0
	v_dual_mov_b32 v18, 0 :: v_dual_mov_b32 v19, 0
	v_dual_mov_b32 v20, 0 :: v_dual_mov_b32 v21, 0
	s_delay_alu instid0(VALU_DEP_3)
	v_cmp_gt_u32_e64 s0, s24, v11
	v_dual_mov_b32 v23, 0 :: v_dual_mov_b32 v13, 0
	v_dual_mov_b32 v11, 0 :: v_dual_mov_b32 v14, 0
	;; [unrolled: 1-line block ×6, first 2 shown]
	s_mov_b32 s9, 0
	s_wait_xcnt 0x0
	s_and_saveexec_b32 s8, s0
	s_cbranch_execz .LBB19_30
; %bb.13:
	global_load_u8 v19, v[4:5], off offset:1792
	global_load_u8 v18, v[6:7], off offset:1792
	v_or_b32_e32 v11, 0x800, v0
	v_dual_mov_b32 v20, 0 :: v_dual_mov_b32 v21, 0
	v_dual_mov_b32 v23, 0 :: v_dual_mov_b32 v13, 0
	s_delay_alu instid0(VALU_DEP_3)
	v_cmp_gt_u32_e64 s0, s24, v11
	v_dual_mov_b32 v11, 0 :: v_dual_mov_b32 v14, 0
	v_dual_mov_b32 v12, 0 :: v_dual_mov_b32 v15, 0
	;; [unrolled: 1-line block ×5, first 2 shown]
	s_mov_b32 s10, 0
	s_wait_xcnt 0x0
	s_and_saveexec_b32 s9, s0
	s_cbranch_execz .LBB19_29
; %bb.14:
	global_load_u8 v21, v[4:5], off offset:2048
	global_load_u8 v20, v[6:7], off offset:2048
	v_or_b32_e32 v11, 0x900, v0
	v_dual_mov_b32 v23, 0 :: v_dual_mov_b32 v13, 0
	v_dual_mov_b32 v12, 0 :: v_dual_mov_b32 v15, 0
	s_delay_alu instid0(VALU_DEP_3)
	v_cmp_gt_u32_e64 s0, s24, v11
	v_dual_mov_b32 v11, 0 :: v_dual_mov_b32 v14, 0
	v_dual_mov_b32 v31, 0 :: v_dual_mov_b32 v32, 0
	;; [unrolled: 1-line block ×4, first 2 shown]
	s_mov_b32 s11, 0
	s_wait_xcnt 0x0
	s_and_saveexec_b32 s10, s0
	s_cbranch_execz .LBB19_28
; %bb.15:
	global_load_u8 v13, v[4:5], off offset:2304
	global_load_u8 v23, v[6:7], off offset:2304
	v_or_b32_e32 v11, 0xa00, v0
	v_dual_mov_b32 v12, 0 :: v_dual_mov_b32 v15, 0
	v_dual_mov_b32 v31, 0 :: v_dual_mov_b32 v32, 0
	s_delay_alu instid0(VALU_DEP_3)
	v_cmp_gt_u32_e64 s0, s24, v11
	v_dual_mov_b32 v11, 0 :: v_dual_mov_b32 v14, 0
	v_dual_mov_b32 v33, 0 :: v_dual_mov_b32 v36, 0
	;; [unrolled: 1-line block ×3, first 2 shown]
	s_mov_b32 s12, 0
	s_wait_xcnt 0x0
	s_and_saveexec_b32 s11, s0
	s_cbranch_execz .LBB19_27
; %bb.16:
	global_load_u8 v14, v[4:5], off offset:2560
	global_load_u8 v11, v[6:7], off offset:2560
	v_or_b32_e32 v12, 0xb00, v0
	v_dual_mov_b32 v31, 0 :: v_dual_mov_b32 v32, 0
	v_dual_mov_b32 v33, 0 :: v_dual_mov_b32 v36, 0
	s_delay_alu instid0(VALU_DEP_3)
	v_cmp_gt_u32_e64 s0, s24, v12
	v_dual_mov_b32 v12, 0 :: v_dual_mov_b32 v15, 0
	v_dual_mov_b32 v34, 0 :: v_dual_mov_b32 v35, 0
	s_mov_b32 s13, 0
	s_wait_xcnt 0x0
	s_and_saveexec_b32 s12, s0
	s_cbranch_execz .LBB19_26
; %bb.17:
	global_load_u8 v15, v[4:5], off offset:2816
	global_load_u8 v12, v[6:7], off offset:2816
	v_or_b32_e32 v31, 0xc00, v0
	v_dual_mov_b32 v33, 0 :: v_dual_mov_b32 v36, 0
	v_dual_mov_b32 v34, 0 :: v_dual_mov_b32 v35, 0
	s_delay_alu instid0(VALU_DEP_3)
	v_cmp_gt_u32_e64 s0, s24, v31
	v_dual_mov_b32 v31, 0 :: v_dual_mov_b32 v32, 0
	s_mov_b32 s14, 0
	s_wait_xcnt 0x0
	s_and_saveexec_b32 s13, s0
	s_cbranch_execz .LBB19_25
; %bb.18:
	global_load_u8 v32, v[4:5], off offset:3072
	global_load_u8 v31, v[6:7], off offset:3072
	v_or_b32_e32 v33, 0xd00, v0
	v_dual_mov_b32 v34, 0 :: v_dual_mov_b32 v35, 0
	s_mov_b32 s18, 0
	v_mov_b32_e32 v36, 0
	s_delay_alu instid0(VALU_DEP_3)
	v_cmp_gt_u32_e64 s0, s24, v33
	v_mov_b32_e32 v33, 0
	s_wait_xcnt 0x0
	s_and_saveexec_b32 s14, s0
	s_cbranch_execz .LBB19_24
; %bb.19:
	global_load_u8 v36, v[4:5], off offset:3328
	global_load_u8 v33, v[6:7], off offset:3328
	v_or_b32_e32 v34, 0xe00, v0
	s_mov_b32 s19, 0
	v_mov_b32_e32 v35, 0
	s_delay_alu instid0(VALU_DEP_2)
	v_cmp_gt_u32_e64 s0, s24, v34
	v_mov_b32_e32 v34, 0
	s_wait_xcnt 0x0
	s_and_saveexec_b32 s18, s0
	s_cbranch_execz .LBB19_23
; %bb.20:
	global_load_u8 v35, v[4:5], off offset:3584
	global_load_u8 v34, v[6:7], off offset:3584
	v_or_b32_e32 v37, 0xf00, v0
	s_mov_b32 s21, 0
	s_mov_b32 s19, exec_lo
	s_wait_xcnt 0x0
	s_delay_alu instid0(VALU_DEP_1)
	v_cmpx_gt_u32_e64 s24, v37
	s_cbranch_execz .LBB19_22
; %bb.21:
	global_load_u8 v37, v[4:5], off offset:3840
	global_load_u8 v38, v[6:7], off offset:3840
	s_wait_loadcnt 0x0
	v_cmp_ne_u16_e64 s0, v37, v38
	s_and_b32 s21, s0, exec_lo
.LBB19_22:
	s_wait_xcnt 0x0
	s_or_b32 exec_lo, exec_lo, s19
	s_delay_alu instid0(SALU_CYCLE_1)
	s_and_b32 s19, s21, exec_lo
.LBB19_23:
	s_or_b32 exec_lo, exec_lo, s18
	s_delay_alu instid0(SALU_CYCLE_1)
	s_and_b32 s18, s19, exec_lo
.LBB19_24:
	s_or_b32 exec_lo, exec_lo, s14
	s_delay_alu instid0(SALU_CYCLE_1)
	s_and_b32 s14, s18, exec_lo
.LBB19_25:
	s_or_b32 exec_lo, exec_lo, s13
	s_delay_alu instid0(SALU_CYCLE_1)
	s_and_b32 s13, s14, exec_lo
.LBB19_26:
	s_or_b32 exec_lo, exec_lo, s12
	s_delay_alu instid0(SALU_CYCLE_1)
	s_and_b32 s12, s13, exec_lo
.LBB19_27:
	s_or_b32 exec_lo, exec_lo, s11
	s_delay_alu instid0(SALU_CYCLE_1)
	s_and_b32 s11, s12, exec_lo
.LBB19_28:
	s_or_b32 exec_lo, exec_lo, s10
	s_delay_alu instid0(SALU_CYCLE_1)
	s_and_b32 s10, s11, exec_lo
.LBB19_29:
	s_or_b32 exec_lo, exec_lo, s9
	s_delay_alu instid0(SALU_CYCLE_1)
	s_and_b32 s9, s10, exec_lo
.LBB19_30:
	s_or_b32 exec_lo, exec_lo, s8
	s_delay_alu instid0(SALU_CYCLE_1)
	s_and_b32 s8, s9, exec_lo
.LBB19_31:
	s_or_b32 exec_lo, exec_lo, s7
	s_delay_alu instid0(SALU_CYCLE_1)
	s_and_b32 s7, s8, exec_lo
.LBB19_32:
	s_or_b32 exec_lo, exec_lo, s6
	s_delay_alu instid0(SALU_CYCLE_1)
	s_and_b32 s6, s7, exec_lo
.LBB19_33:
	s_or_b32 exec_lo, exec_lo, s5
	s_delay_alu instid0(SALU_CYCLE_1)
	s_and_b32 s5, s6, exec_lo
.LBB19_34:
	s_or_b32 exec_lo, exec_lo, s4
	s_wait_loadcnt 0x0
	v_dual_mov_b32 v4, v3 :: v_dual_mov_b32 v3, v2
	s_and_b32 s4, s5, exec_lo
.LBB19_35:
	s_or_b32 exec_lo, exec_lo, s3
	s_delay_alu instid0(SALU_CYCLE_1)
	s_and_b32 s3, s4, exec_lo
.LBB19_36:
	s_or_b32 exec_lo, exec_lo, s2
	s_delay_alu instid0(SALU_CYCLE_1)
	s_and_b32 s5, s3, exec_lo
.LBB19_37:
	s_or_b32 exec_lo, exec_lo, s1
	s_wait_loadcnt 0x0
	v_and_b32_e32 v2, 0xff, v28
	v_and_b32_e32 v5, 0xff, v26
	;; [unrolled: 1-line block ×4, first 2 shown]
	s_cmp_eq_u32 s15, 0
	v_and_b32_e32 v3, 0xff, v3
	v_cmp_ne_u16_e64 s0, v5, v2
	s_cselect_b32 s6, -1, 0
	v_cmp_ne_u16_e64 s1, v7, v6
	v_and_b32_e32 v2, 0xff, v17
	v_and_b32_e32 v6, 0xff, v16
	s_xor_b32 s0, s6, s0
	v_and_b32_e32 v16, 0xff, v25
	v_cndmask_b32_e64 v5, 0, 1, s0
	s_xor_b32 s0, s6, s1
	v_and_b32_e32 v17, 0xff, v27
	v_cndmask_b32_e64 v7, 0, 1, s0
	v_cmp_ne_u16_e64 s0, v6, v2
	v_cndmask_b32_e32 v2, 0, v5, vcc_lo
	v_and_b32_e32 v10, 0xff, v10
	v_cmp_ne_u16_e64 s1, v17, v16
	v_bitop3_b16 v5, v7, 0, 0xff00 bitop3:0xf8
	v_or_b32_e32 v7, 0x400, v0
	s_xor_b32 s0, s6, s0
	v_and_b32_e32 v4, 0xff, v4
	v_cndmask_b32_e64 v6, 0, 1, s0
	s_xor_b32 s0, s6, s1
	v_and_b32_e32 v5, 0xffff, v5
	v_cndmask_b32_e64 v16, 0, 1, s0
	v_cmp_gt_i32_e64 s0, s24, v7
	v_lshlrev_b16 v6, 8, v6
	v_cmp_gt_i32_e64 s1, s24, v1
	v_and_b32_e32 v17, 0xff, v33
	v_lshlrev_b16 v7, 8, v16
	v_cndmask_b32_e64 v5, 0, v5, s0
	v_cmp_ne_u16_e64 s0, v10, v3
	v_or_b32_e32 v3, 0x500, v0
	v_and_b32_e32 v10, 0xff, v22
	v_and_b32_e32 v16, 0xff, v24
	v_bitop3_b16 v7, v5, v7, 0xff bitop3:0xec
	s_xor_b32 s0, s6, s0
	v_and_b32_e32 v13, 0xff, v13
	v_and_b32_e32 v11, 0xff, v11
	;; [unrolled: 1-line block ×4, first 2 shown]
	v_or_b32_e32 v6, v2, v6
	s_delay_alu instid0(VALU_DEP_1) | instskip(NEXT) | instid1(VALU_DEP_1)
	v_and_b32_e32 v6, 0xffff, v6
	v_cndmask_b32_e64 v2, v2, v6, s1
	v_cmp_gt_i32_e64 s1, s24, v3
	v_and_b32_e32 v6, 0xff, v9
	s_delay_alu instid0(VALU_DEP_2)
	v_cndmask_b32_e64 v3, v5, v7, s1
	v_cmp_ne_u16_e64 s1, v16, v10
	v_cndmask_b32_e64 v5, 0, 1, s0
	v_or_b32_e32 v10, 0x200, v0
	v_and_b32_e32 v16, 0xff, v32
	v_lshrrev_b32_e32 v7, 16, v3
	s_xor_b32 s0, s6, s1
	v_lshl_or_b32 v5, v5, 16, v2
	v_cndmask_b32_e64 v9, 0, 1, s0
	v_cmp_ne_u16_e64 s0, v6, v4
	v_cmp_gt_i32_e64 s1, s24, v10
	v_and_b32_e32 v10, 0xff, v31
	s_delay_alu instid0(VALU_DEP_4)
	v_bitop3_b16 v4, v9, v7, 0xff00 bitop3:0xf8
	s_xor_b32 s0, s6, s0
	v_cndmask_b32_e64 v2, v2, v5, s1
	v_cndmask_b32_e64 v5, 0, 1, s0
	v_or_b32_e32 v7, 0x600, v0
	v_lshlrev_b32_e32 v4, 16, v4
	v_cmp_ne_u16_e64 s1, v16, v10
	v_and_b32_e32 v9, 0xff, v23
	v_lshlrev_b16 v5, 8, v5
	v_cmp_gt_i32_e64 s0, s24, v7
	v_and_or_b32 v4, 0xffff, v3, v4
	v_lshrrev_b32_e32 v6, 16, v2
	s_xor_b32 s1, s6, s1
	v_cmp_ne_u16_e64 s4, v13, v9
	v_or_b32_e32 v16, 0xd00, v0
	v_cndmask_b32_e64 v3, v3, v4, s0
	v_bitop3_b16 v5, v6, v5, 0xff bitop3:0xec
	v_and_b32_e32 v4, 0xff, v18
	v_and_b32_e32 v6, 0xff, v19
	v_and_b32_e32 v18, 0xff, v36
	v_or_b32_e32 v19, 0x800, v0
	v_or_b32_e32 v13, 0x900, v0
	v_dual_lshlrev_b32 v5, 16, v5 :: v_dual_lshrrev_b32 v7, 16, v3
	v_cmp_ne_u16_e64 s0, v6, v4
	v_and_b32_e32 v4, 0xff, v20
	v_and_b32_e32 v6, 0xff, v21
	v_cmp_ne_u16_e64 s3, v18, v17
	v_and_b32_e32 v17, 0xff, v34
	v_and_b32_e32 v18, 0xff, v35
	s_xor_b32 s0, s6, s0
	v_cmp_ne_u16_e64 s2, v6, v4
	v_or_b32_e32 v4, 0xc00, v0
	v_cndmask_b32_e64 v6, 0, 1, s1
	s_xor_b32 s1, s6, s3
	v_and_or_b32 v5, 0xffff, v2, v5
	v_cndmask_b32_e64 v9, 0, 1, s1
	s_xor_b32 s1, s6, s2
	v_cmp_gt_i32_e64 s2, s24, v16
	v_cndmask_b32_e64 v10, 0, 1, s1
	v_cmp_gt_i32_e64 s1, s24, v4
	v_cndmask_b32_e64 v16, 0, 1, s0
	v_cmp_gt_i32_e64 s0, s24, v13
	s_delay_alu instid0(VALU_DEP_3)
	v_cndmask_b32_e64 v4, 0, v6, s1
	s_xor_b32 s1, s6, s4
	v_lshlrev_b16 v6, 8, v9
	v_cndmask_b32_e64 v9, 0, 1, s1
	v_cmp_gt_i32_e64 s1, s24, v19
	v_lshlrev_b16 v13, 8, v16
	s_delay_alu instid0(VALU_DEP_3) | instskip(NEXT) | instid1(VALU_DEP_3)
	v_lshlrev_b16 v9, 8, v9
	v_cndmask_b32_e64 v10, 0, v10, s1
	v_cmp_ne_u16_e64 s1, v14, v11
	s_delay_alu instid0(VALU_DEP_4) | instskip(SKIP_1) | instid1(VALU_DEP_4)
	v_bitop3_b16 v7, v7, v13, 0xff bitop3:0xec
	v_or_b32_e32 v13, 0x300, v0
	v_or_b32_e32 v9, v10, v9
	v_bitop3_b16 v6, v4, v6, 0xff bitop3:0xec
	s_xor_b32 s1, s6, s1
	v_lshlrev_b32_e32 v7, 16, v7
	s_delay_alu instid0(VALU_DEP_2) | instskip(NEXT) | instid1(VALU_DEP_2)
	v_and_b32_e32 v6, 0xffff, v6
	v_and_or_b32 v7, 0xffff, v3, v7
	s_delay_alu instid0(VALU_DEP_2) | instskip(SKIP_3) | instid1(VALU_DEP_4)
	v_cndmask_b32_e64 v4, v4, v6, s2
	v_cmp_ne_u16_e64 s2, v18, v17
	v_and_b32_e32 v6, 0xffff, v9
	v_cndmask_b32_e64 v9, 0, 1, s1
	v_lshrrev_b32_e32 v11, 16, v4
	s_xor_b32 s1, s6, s2
	s_delay_alu instid0(VALU_DEP_3) | instskip(SKIP_1) | instid1(VALU_DEP_1)
	v_cndmask_b32_e64 v6, v10, v6, s0
	v_cndmask_b32_e64 v14, 0, 1, s1
	v_bitop3_b16 v10, v14, v11, 0xff00 bitop3:0xf8
	v_and_b32_e32 v11, 0xff, v12
	v_and_b32_e32 v12, 0xff, v15
	v_lshlrev_b32_e32 v9, 16, v9
	v_or_b32_e32 v14, 0xa00, v0
	v_lshlrev_b32_e32 v10, 16, v10
	s_delay_alu instid0(VALU_DEP_4) | instskip(NEXT) | instid1(VALU_DEP_4)
	v_cmp_ne_u16_e64 s0, v12, v11
	v_and_or_b32 v9, 0x1ff, v6, v9
	v_or_b32_e32 v11, 0xe00, v0
	v_cmp_gt_i32_e64 s1, s24, v14
	v_and_or_b32 v10, 0xffff, v4, v10
	s_xor_b32 s0, s6, s0
	v_cndmask_b32_e64 v6, v6, v9, s1
	v_cndmask_b32_e64 v9, 0, 1, s0
	v_cmp_gt_i32_e64 s0, s24, v11
	s_delay_alu instid0(VALU_DEP_2) | instskip(NEXT) | instid1(VALU_DEP_2)
	v_lshlrev_b16 v9, 8, v9
	v_cndmask_b32_e64 v10, v4, v10, s0
	s_xor_b32 s0, s6, s5
	v_lshrrev_b32_e32 v11, 16, v6
	v_cndmask_b32_e64 v4, 0, 1, s0
	v_cmp_gt_i32_e64 s0, s24, v13
	v_lshrrev_b32_e32 v12, 16, v10
	s_delay_alu instid0(VALU_DEP_4) | instskip(NEXT) | instid1(VALU_DEP_4)
	v_bitop3_b16 v9, v11, v9, 0xff bitop3:0xec
	v_lshlrev_b16 v4, 8, v4
	s_delay_alu instid0(VALU_DEP_4) | instskip(SKIP_1) | instid1(VALU_DEP_3)
	v_cndmask_b32_e64 v5, v2, v5, s0
	v_or_b32_e32 v11, 0xb00, v0
	v_bitop3_b16 v4, v12, v4, 0xff bitop3:0xec
	v_lshlrev_b32_e32 v2, 16, v9
	v_or_b32_e32 v9, 0x700, v0
	v_or_b32_e32 v12, 0xf00, v0
	s_delay_alu instid0(VALU_DEP_4) | instskip(NEXT) | instid1(VALU_DEP_4)
	v_lshlrev_b32_e32 v4, 16, v4
	v_and_or_b32 v2, 0xffff, v6, v2
	s_delay_alu instid0(VALU_DEP_4) | instskip(NEXT) | instid1(VALU_DEP_3)
	v_cmp_gt_i32_e64 s0, s24, v9
	v_and_or_b32 v13, 0xffff, v10, v4
	s_delay_alu instid0(VALU_DEP_2) | instskip(SKIP_1) | instid1(VALU_DEP_1)
	v_cndmask_b32_e64 v4, v3, v7, s0
	v_cmp_gt_i32_e64 s0, s24, v11
	v_cndmask_b32_e64 v3, v6, v2, s0
	v_cmp_gt_i32_e64 s0, s24, v12
	s_delay_alu instid0(VALU_DEP_1)
	v_cndmask_b32_e64 v2, v10, v13, s0
	s_and_saveexec_b32 s0, vcc_lo
	s_cbranch_execnz .LBB19_55
; %bb.38:
	s_or_b32 exec_lo, exec_lo, s0
	s_delay_alu instid0(SALU_CYCLE_1)
	s_mov_b32 s0, exec_lo
	v_cmpx_gt_i32_e64 s24, v0
	s_cbranch_execnz .LBB19_56
.LBB19_39:
	s_or_b32 exec_lo, exec_lo, s0
	s_delay_alu instid0(SALU_CYCLE_1)
	s_mov_b32 s0, exec_lo
	v_cmpx_gt_i32_e64 s24, v0
	s_cbranch_execnz .LBB19_57
.LBB19_40:
	s_or_b32 exec_lo, exec_lo, s0
	s_delay_alu instid0(SALU_CYCLE_1)
	s_mov_b32 s0, exec_lo
	v_cmpx_gt_i32_e64 s24, v0
	s_cbranch_execnz .LBB19_58
.LBB19_41:
	s_or_b32 exec_lo, exec_lo, s0
	s_delay_alu instid0(SALU_CYCLE_1)
	s_mov_b32 s0, exec_lo
	v_cmpx_gt_i32_e64 s24, v0
	s_cbranch_execnz .LBB19_59
.LBB19_42:
	s_or_b32 exec_lo, exec_lo, s0
	s_delay_alu instid0(SALU_CYCLE_1)
	s_mov_b32 s0, exec_lo
	v_cmpx_gt_i32_e64 s24, v0
	s_cbranch_execnz .LBB19_60
.LBB19_43:
	s_or_b32 exec_lo, exec_lo, s0
	s_delay_alu instid0(SALU_CYCLE_1)
	s_mov_b32 s0, exec_lo
	v_cmpx_gt_i32_e64 s24, v0
	s_cbranch_execnz .LBB19_61
.LBB19_44:
	s_or_b32 exec_lo, exec_lo, s0
	s_delay_alu instid0(SALU_CYCLE_1)
	s_mov_b32 s0, exec_lo
	v_cmpx_gt_i32_e64 s24, v0
	s_cbranch_execnz .LBB19_62
.LBB19_45:
	s_or_b32 exec_lo, exec_lo, s0
	s_delay_alu instid0(SALU_CYCLE_1)
	s_mov_b32 s0, exec_lo
	v_cmpx_gt_i32_e64 s24, v0
	s_cbranch_execnz .LBB19_63
.LBB19_46:
	s_or_b32 exec_lo, exec_lo, s0
	s_delay_alu instid0(SALU_CYCLE_1)
	s_mov_b32 s0, exec_lo
	v_cmpx_gt_i32_e64 s24, v0
	s_cbranch_execnz .LBB19_64
.LBB19_47:
	s_or_b32 exec_lo, exec_lo, s0
	s_delay_alu instid0(SALU_CYCLE_1)
	s_mov_b32 s0, exec_lo
	v_cmpx_gt_i32_e64 s24, v0
	s_cbranch_execnz .LBB19_65
.LBB19_48:
	s_or_b32 exec_lo, exec_lo, s0
	s_delay_alu instid0(SALU_CYCLE_1)
	s_mov_b32 s0, exec_lo
	v_cmpx_gt_i32_e64 s24, v0
	s_cbranch_execnz .LBB19_66
.LBB19_49:
	s_or_b32 exec_lo, exec_lo, s0
	s_delay_alu instid0(SALU_CYCLE_1)
	s_mov_b32 s0, exec_lo
	v_cmpx_gt_i32_e64 s24, v0
	s_cbranch_execnz .LBB19_67
.LBB19_50:
	s_or_b32 exec_lo, exec_lo, s0
	s_delay_alu instid0(SALU_CYCLE_1)
	s_mov_b32 s0, exec_lo
	v_cmpx_gt_i32_e64 s24, v0
	s_cbranch_execnz .LBB19_68
.LBB19_51:
	s_or_b32 exec_lo, exec_lo, s0
	s_delay_alu instid0(SALU_CYCLE_1)
	s_mov_b32 s0, exec_lo
	v_cmpx_gt_i32_e64 s24, v0
	s_cbranch_execnz .LBB19_69
.LBB19_52:
	s_or_b32 exec_lo, exec_lo, s0
	s_delay_alu instid0(SALU_CYCLE_1)
	s_mov_b32 s0, exec_lo
	v_cmpx_gt_i32_e64 s24, v0
	s_cbranch_execz .LBB19_54
.LBB19_53:
	v_dual_lshrrev_b32 v1, 24, v2 :: v_dual_add_nc_u32 v0, s20, v0
	global_store_b8 v0, v1, s[16:17]
.LBB19_54:
	s_endpgm
.LBB19_55:
	v_mov_b32_e32 v0, v1
	global_store_b8 v8, v5, s[16:17]
	s_wait_xcnt 0x0
	s_or_b32 exec_lo, exec_lo, s0
	s_delay_alu instid0(SALU_CYCLE_1)
	s_mov_b32 s0, exec_lo
	v_cmpx_gt_i32_e64 s24, v0
	s_cbranch_execz .LBB19_39
.LBB19_56:
	v_dual_lshrrev_b32 v1, 8, v5 :: v_dual_add_nc_u32 v6, s20, v0
	v_add_nc_u32_e32 v0, 0x100, v0
	global_store_b8 v6, v1, s[16:17]
	s_wait_xcnt 0x0
	s_or_b32 exec_lo, exec_lo, s0
	s_delay_alu instid0(SALU_CYCLE_1)
	s_mov_b32 s0, exec_lo
	v_cmpx_gt_i32_e64 s24, v0
	s_cbranch_execz .LBB19_40
.LBB19_57:
	v_add_nc_u32_e32 v1, s20, v0
	v_add_nc_u32_e32 v0, 0x100, v0
	global_store_d16_hi_b8 v1, v5, s[16:17]
	s_wait_xcnt 0x0
	s_or_b32 exec_lo, exec_lo, s0
	s_delay_alu instid0(SALU_CYCLE_1)
	s_mov_b32 s0, exec_lo
	v_cmpx_gt_i32_e64 s24, v0
	s_cbranch_execz .LBB19_41
.LBB19_58:
	v_dual_lshrrev_b32 v1, 24, v5 :: v_dual_add_nc_u32 v5, s20, v0
	v_add_nc_u32_e32 v0, 0x100, v0
	global_store_b8 v5, v1, s[16:17]
	s_wait_xcnt 0x0
	s_or_b32 exec_lo, exec_lo, s0
	s_delay_alu instid0(SALU_CYCLE_1)
	s_mov_b32 s0, exec_lo
	v_cmpx_gt_i32_e64 s24, v0
	s_cbranch_execz .LBB19_42
.LBB19_59:
	v_add_nc_u32_e32 v1, s20, v0
	v_add_nc_u32_e32 v0, 0x100, v0
	global_store_b8 v1, v4, s[16:17]
	s_wait_xcnt 0x0
	s_or_b32 exec_lo, exec_lo, s0
	s_delay_alu instid0(SALU_CYCLE_1)
	s_mov_b32 s0, exec_lo
	v_cmpx_gt_i32_e64 s24, v0
	s_cbranch_execz .LBB19_43
.LBB19_60:
	v_lshrrev_b32_e32 v1, 8, v4
	v_add_nc_u32_e32 v5, s20, v0
	v_add_nc_u32_e32 v0, 0x100, v0
	global_store_b8 v5, v1, s[16:17]
	s_wait_xcnt 0x0
	s_or_b32 exec_lo, exec_lo, s0
	s_delay_alu instid0(SALU_CYCLE_1)
	s_mov_b32 s0, exec_lo
	v_cmpx_gt_i32_e64 s24, v0
	s_cbranch_execz .LBB19_44
.LBB19_61:
	v_add_nc_u32_e32 v1, s20, v0
	v_add_nc_u32_e32 v0, 0x100, v0
	global_store_d16_hi_b8 v1, v4, s[16:17]
	s_wait_xcnt 0x0
	s_or_b32 exec_lo, exec_lo, s0
	s_delay_alu instid0(SALU_CYCLE_1)
	s_mov_b32 s0, exec_lo
	v_cmpx_gt_i32_e64 s24, v0
	s_cbranch_execz .LBB19_45
.LBB19_62:
	v_lshrrev_b32_e32 v1, 24, v4
	v_add_nc_u32_e32 v4, s20, v0
	v_add_nc_u32_e32 v0, 0x100, v0
	global_store_b8 v4, v1, s[16:17]
	s_wait_xcnt 0x0
	s_or_b32 exec_lo, exec_lo, s0
	s_delay_alu instid0(SALU_CYCLE_1)
	s_mov_b32 s0, exec_lo
	v_cmpx_gt_i32_e64 s24, v0
	s_cbranch_execz .LBB19_46
.LBB19_63:
	v_add_nc_u32_e32 v1, s20, v0
	v_add_nc_u32_e32 v0, 0x100, v0
	global_store_b8 v1, v3, s[16:17]
	s_wait_xcnt 0x0
	s_or_b32 exec_lo, exec_lo, s0
	s_delay_alu instid0(SALU_CYCLE_1)
	s_mov_b32 s0, exec_lo
	v_cmpx_gt_i32_e64 s24, v0
	s_cbranch_execz .LBB19_47
.LBB19_64:
	v_dual_lshrrev_b32 v1, 8, v3 :: v_dual_add_nc_u32 v4, s20, v0
	v_add_nc_u32_e32 v0, 0x100, v0
	global_store_b8 v4, v1, s[16:17]
	s_wait_xcnt 0x0
	s_or_b32 exec_lo, exec_lo, s0
	s_delay_alu instid0(SALU_CYCLE_1)
	s_mov_b32 s0, exec_lo
	v_cmpx_gt_i32_e64 s24, v0
	s_cbranch_execz .LBB19_48
.LBB19_65:
	v_add_nc_u32_e32 v1, s20, v0
	v_add_nc_u32_e32 v0, 0x100, v0
	global_store_d16_hi_b8 v1, v3, s[16:17]
	s_wait_xcnt 0x0
	s_or_b32 exec_lo, exec_lo, s0
	s_delay_alu instid0(SALU_CYCLE_1)
	s_mov_b32 s0, exec_lo
	v_cmpx_gt_i32_e64 s24, v0
	s_cbranch_execz .LBB19_49
.LBB19_66:
	v_dual_lshrrev_b32 v1, 24, v3 :: v_dual_add_nc_u32 v3, s20, v0
	v_add_nc_u32_e32 v0, 0x100, v0
	global_store_b8 v3, v1, s[16:17]
	s_wait_xcnt 0x0
	s_or_b32 exec_lo, exec_lo, s0
	s_delay_alu instid0(SALU_CYCLE_1)
	s_mov_b32 s0, exec_lo
	v_cmpx_gt_i32_e64 s24, v0
	s_cbranch_execz .LBB19_50
.LBB19_67:
	v_add_nc_u32_e32 v1, s20, v0
	v_add_nc_u32_e32 v0, 0x100, v0
	global_store_b8 v1, v2, s[16:17]
	s_wait_xcnt 0x0
	s_or_b32 exec_lo, exec_lo, s0
	s_delay_alu instid0(SALU_CYCLE_1)
	s_mov_b32 s0, exec_lo
	v_cmpx_gt_i32_e64 s24, v0
	s_cbranch_execz .LBB19_51
.LBB19_68:
	v_dual_lshrrev_b32 v1, 8, v2 :: v_dual_add_nc_u32 v3, s20, v0
	v_add_nc_u32_e32 v0, 0x100, v0
	global_store_b8 v3, v1, s[16:17]
	s_wait_xcnt 0x0
	s_or_b32 exec_lo, exec_lo, s0
	s_delay_alu instid0(SALU_CYCLE_1)
	s_mov_b32 s0, exec_lo
	v_cmpx_gt_i32_e64 s24, v0
	s_cbranch_execz .LBB19_52
.LBB19_69:
	v_add_nc_u32_e32 v1, s20, v0
	v_add_nc_u32_e32 v0, 0x100, v0
	global_store_d16_hi_b8 v1, v2, s[16:17]
	s_wait_xcnt 0x0
	s_or_b32 exec_lo, exec_lo, s0
	s_delay_alu instid0(SALU_CYCLE_1)
	s_mov_b32 s0, exec_lo
	v_cmpx_gt_i32_e64 s24, v0
	s_cbranch_execnz .LBB19_53
	s_branch .LBB19_54
	.section	.rodata,"a",@progbits
	.p2align	6, 0x0
	.amdhsa_kernel _ZN2at6native29vectorized_elementwise_kernelILi2ENS0_13BinaryFunctorIaabNS0_12_GLOBAL__N_116CompareEqFunctorIaEEEESt5arrayIPcLm3EEEEviT0_T1_
		.amdhsa_group_segment_fixed_size 0
		.amdhsa_private_segment_fixed_size 0
		.amdhsa_kernarg_size 32
		.amdhsa_user_sgpr_count 2
		.amdhsa_user_sgpr_dispatch_ptr 0
		.amdhsa_user_sgpr_queue_ptr 0
		.amdhsa_user_sgpr_kernarg_segment_ptr 1
		.amdhsa_user_sgpr_dispatch_id 0
		.amdhsa_user_sgpr_kernarg_preload_length 0
		.amdhsa_user_sgpr_kernarg_preload_offset 0
		.amdhsa_user_sgpr_private_segment_size 0
		.amdhsa_wavefront_size32 1
		.amdhsa_uses_dynamic_stack 0
		.amdhsa_enable_private_segment 0
		.amdhsa_system_sgpr_workgroup_id_x 1
		.amdhsa_system_sgpr_workgroup_id_y 0
		.amdhsa_system_sgpr_workgroup_id_z 0
		.amdhsa_system_sgpr_workgroup_info 0
		.amdhsa_system_vgpr_workitem_id 0
		.amdhsa_next_free_vgpr 39
		.amdhsa_next_free_sgpr 29
		.amdhsa_named_barrier_count 0
		.amdhsa_reserve_vcc 1
		.amdhsa_float_round_mode_32 0
		.amdhsa_float_round_mode_16_64 0
		.amdhsa_float_denorm_mode_32 3
		.amdhsa_float_denorm_mode_16_64 3
		.amdhsa_fp16_overflow 0
		.amdhsa_memory_ordered 1
		.amdhsa_forward_progress 1
		.amdhsa_inst_pref_size 47
		.amdhsa_round_robin_scheduling 0
		.amdhsa_exception_fp_ieee_invalid_op 0
		.amdhsa_exception_fp_denorm_src 0
		.amdhsa_exception_fp_ieee_div_zero 0
		.amdhsa_exception_fp_ieee_overflow 0
		.amdhsa_exception_fp_ieee_underflow 0
		.amdhsa_exception_fp_ieee_inexact 0
		.amdhsa_exception_int_div_zero 0
	.end_amdhsa_kernel
	.section	.text._ZN2at6native29vectorized_elementwise_kernelILi2ENS0_13BinaryFunctorIaabNS0_12_GLOBAL__N_116CompareEqFunctorIaEEEESt5arrayIPcLm3EEEEviT0_T1_,"axG",@progbits,_ZN2at6native29vectorized_elementwise_kernelILi2ENS0_13BinaryFunctorIaabNS0_12_GLOBAL__N_116CompareEqFunctorIaEEEESt5arrayIPcLm3EEEEviT0_T1_,comdat
.Lfunc_end19:
	.size	_ZN2at6native29vectorized_elementwise_kernelILi2ENS0_13BinaryFunctorIaabNS0_12_GLOBAL__N_116CompareEqFunctorIaEEEESt5arrayIPcLm3EEEEviT0_T1_, .Lfunc_end19-_ZN2at6native29vectorized_elementwise_kernelILi2ENS0_13BinaryFunctorIaabNS0_12_GLOBAL__N_116CompareEqFunctorIaEEEESt5arrayIPcLm3EEEEviT0_T1_
                                        ; -- End function
	.set _ZN2at6native29vectorized_elementwise_kernelILi2ENS0_13BinaryFunctorIaabNS0_12_GLOBAL__N_116CompareEqFunctorIaEEEESt5arrayIPcLm3EEEEviT0_T1_.num_vgpr, 39
	.set _ZN2at6native29vectorized_elementwise_kernelILi2ENS0_13BinaryFunctorIaabNS0_12_GLOBAL__N_116CompareEqFunctorIaEEEESt5arrayIPcLm3EEEEviT0_T1_.num_agpr, 0
	.set _ZN2at6native29vectorized_elementwise_kernelILi2ENS0_13BinaryFunctorIaabNS0_12_GLOBAL__N_116CompareEqFunctorIaEEEESt5arrayIPcLm3EEEEviT0_T1_.numbered_sgpr, 29
	.set _ZN2at6native29vectorized_elementwise_kernelILi2ENS0_13BinaryFunctorIaabNS0_12_GLOBAL__N_116CompareEqFunctorIaEEEESt5arrayIPcLm3EEEEviT0_T1_.num_named_barrier, 0
	.set _ZN2at6native29vectorized_elementwise_kernelILi2ENS0_13BinaryFunctorIaabNS0_12_GLOBAL__N_116CompareEqFunctorIaEEEESt5arrayIPcLm3EEEEviT0_T1_.private_seg_size, 0
	.set _ZN2at6native29vectorized_elementwise_kernelILi2ENS0_13BinaryFunctorIaabNS0_12_GLOBAL__N_116CompareEqFunctorIaEEEESt5arrayIPcLm3EEEEviT0_T1_.uses_vcc, 1
	.set _ZN2at6native29vectorized_elementwise_kernelILi2ENS0_13BinaryFunctorIaabNS0_12_GLOBAL__N_116CompareEqFunctorIaEEEESt5arrayIPcLm3EEEEviT0_T1_.uses_flat_scratch, 0
	.set _ZN2at6native29vectorized_elementwise_kernelILi2ENS0_13BinaryFunctorIaabNS0_12_GLOBAL__N_116CompareEqFunctorIaEEEESt5arrayIPcLm3EEEEviT0_T1_.has_dyn_sized_stack, 0
	.set _ZN2at6native29vectorized_elementwise_kernelILi2ENS0_13BinaryFunctorIaabNS0_12_GLOBAL__N_116CompareEqFunctorIaEEEESt5arrayIPcLm3EEEEviT0_T1_.has_recursion, 0
	.set _ZN2at6native29vectorized_elementwise_kernelILi2ENS0_13BinaryFunctorIaabNS0_12_GLOBAL__N_116CompareEqFunctorIaEEEESt5arrayIPcLm3EEEEviT0_T1_.has_indirect_call, 0
	.section	.AMDGPU.csdata,"",@progbits
; Kernel info:
; codeLenInByte = 5952
; TotalNumSgprs: 31
; NumVgprs: 39
; ScratchSize: 0
; MemoryBound: 0
; FloatMode: 240
; IeeeMode: 1
; LDSByteSize: 0 bytes/workgroup (compile time only)
; SGPRBlocks: 0
; VGPRBlocks: 2
; NumSGPRsForWavesPerEU: 31
; NumVGPRsForWavesPerEU: 39
; NamedBarCnt: 0
; Occupancy: 16
; WaveLimiterHint : 1
; COMPUTE_PGM_RSRC2:SCRATCH_EN: 0
; COMPUTE_PGM_RSRC2:USER_SGPR: 2
; COMPUTE_PGM_RSRC2:TRAP_HANDLER: 0
; COMPUTE_PGM_RSRC2:TGID_X_EN: 1
; COMPUTE_PGM_RSRC2:TGID_Y_EN: 0
; COMPUTE_PGM_RSRC2:TGID_Z_EN: 0
; COMPUTE_PGM_RSRC2:TIDIG_COMP_CNT: 0
	.section	.text._ZN2at6native27unrolled_elementwise_kernelINS0_13BinaryFunctorIaabNS0_12_GLOBAL__N_116CompareEqFunctorIaEEEESt5arrayIPcLm3EELi4E23TrivialOffsetCalculatorILi2EjESA_ILi1EjENS0_6memory15LoadWithoutCastENSD_16StoreWithoutCastEEEviT_T0_T2_T3_T4_T5_,"axG",@progbits,_ZN2at6native27unrolled_elementwise_kernelINS0_13BinaryFunctorIaabNS0_12_GLOBAL__N_116CompareEqFunctorIaEEEESt5arrayIPcLm3EELi4E23TrivialOffsetCalculatorILi2EjESA_ILi1EjENS0_6memory15LoadWithoutCastENSD_16StoreWithoutCastEEEviT_T0_T2_T3_T4_T5_,comdat
	.globl	_ZN2at6native27unrolled_elementwise_kernelINS0_13BinaryFunctorIaabNS0_12_GLOBAL__N_116CompareEqFunctorIaEEEESt5arrayIPcLm3EELi4E23TrivialOffsetCalculatorILi2EjESA_ILi1EjENS0_6memory15LoadWithoutCastENSD_16StoreWithoutCastEEEviT_T0_T2_T3_T4_T5_ ; -- Begin function _ZN2at6native27unrolled_elementwise_kernelINS0_13BinaryFunctorIaabNS0_12_GLOBAL__N_116CompareEqFunctorIaEEEESt5arrayIPcLm3EELi4E23TrivialOffsetCalculatorILi2EjESA_ILi1EjENS0_6memory15LoadWithoutCastENSD_16StoreWithoutCastEEEviT_T0_T2_T3_T4_T5_
	.p2align	8
	.type	_ZN2at6native27unrolled_elementwise_kernelINS0_13BinaryFunctorIaabNS0_12_GLOBAL__N_116CompareEqFunctorIaEEEESt5arrayIPcLm3EELi4E23TrivialOffsetCalculatorILi2EjESA_ILi1EjENS0_6memory15LoadWithoutCastENSD_16StoreWithoutCastEEEviT_T0_T2_T3_T4_T5_,@function
_ZN2at6native27unrolled_elementwise_kernelINS0_13BinaryFunctorIaabNS0_12_GLOBAL__N_116CompareEqFunctorIaEEEESt5arrayIPcLm3EELi4E23TrivialOffsetCalculatorILi2EjESA_ILi1EjENS0_6memory15LoadWithoutCastENSD_16StoreWithoutCastEEEviT_T0_T2_T3_T4_T5_: ; @_ZN2at6native27unrolled_elementwise_kernelINS0_13BinaryFunctorIaabNS0_12_GLOBAL__N_116CompareEqFunctorIaEEEESt5arrayIPcLm3EELi4E23TrivialOffsetCalculatorILi2EjESA_ILi1EjENS0_6memory15LoadWithoutCastENSD_16StoreWithoutCastEEEviT_T0_T2_T3_T4_T5_
; %bb.0:
	s_load_b64 s[2:3], s[0:1], 0x0
	s_bfe_u32 s10, ttmp6, 0x4000c
	s_clause 0x1
	s_load_b128 s[4:7], s[0:1], 0x8
	s_load_b64 s[8:9], s[0:1], 0x18
	s_add_co_i32 s10, s10, 1
	s_wait_xcnt 0x0
	s_and_b32 s0, ttmp6, 15
	s_mul_i32 s1, ttmp9, s10
	s_getreg_b32 s10, hwreg(HW_REG_IB_STS2, 6, 4)
	s_add_co_i32 s0, s0, s1
	s_cmp_eq_u32 s10, 0
	v_or_b32_e32 v1, 0x100, v0
	s_cselect_b32 s0, ttmp9, s0
	s_mov_b32 s11, 0
	s_lshl_b32 s10, s0, 10
	s_wait_kmcnt 0x0
	s_sub_co_i32 s2, s2, s10
	s_delay_alu instid0(SALU_CYCLE_1) | instskip(SKIP_2) | instid1(SALU_CYCLE_1)
	v_cmp_le_i32_e64 s0, s2, v0
	v_cmp_gt_i32_e32 vcc_lo, s2, v0
	s_and_saveexec_b32 s1, s0
	s_xor_b32 s0, exec_lo, s1
; %bb.1:
	v_or_b32_e32 v1, 0x100, v0
; %bb.2:
	s_or_saveexec_b32 s1, s0
	v_dual_mov_b32 v3, 0 :: v_dual_bitop2_b32 v2, s10, v0 bitop3:0x54
	v_dual_mov_b32 v4, 0 :: v_dual_mov_b32 v6, 0
	v_dual_mov_b32 v7, 0 :: v_dual_mov_b32 v5, 0
	v_mov_b32_e32 v8, 0
	s_xor_b32 exec_lo, exec_lo, s1
	s_cbranch_execz .LBB20_10
; %bb.3:
	s_clause 0x1
	global_load_u8 v5, v2, s[6:7]
	global_load_u8 v8, v2, s[8:9]
	v_dual_mov_b32 v7, 0 :: v_dual_mov_b32 v6, 0
	v_dual_mov_b32 v4, 0 :: v_dual_mov_b32 v3, 0
	s_mov_b32 s12, 0
	s_mov_b32 s11, exec_lo
	s_wait_xcnt 0x0
	v_cmpx_gt_u32_e64 s2, v1
	s_cbranch_execz .LBB20_9
; %bb.4:
	v_dual_mov_b32 v4, 0 :: v_dual_add_nc_u32 v3, s10, v1
	v_or_b32_e32 v9, 0x200, v0
	s_mov_b32 s13, 0
	s_mov_b32 s12, exec_lo
	s_clause 0x1
	global_load_u8 v6, v3, s[6:7]
	global_load_u8 v7, v3, s[8:9]
	s_wait_xcnt 0x0
	v_mov_b32_e32 v3, 0
	v_cmpx_gt_u32_e64 s2, v9
	s_cbranch_execz .LBB20_8
; %bb.5:
	v_add_nc_u32_e32 v9, s10, v9
	s_mov_b32 s14, 0
	s_mov_b32 s13, exec_lo
	s_clause 0x1
	global_load_u8 v3, v9, s[6:7]
	global_load_u8 v4, v9, s[8:9]
	s_wait_xcnt 0x0
	v_or_b32_e32 v9, 0x300, v0
	s_delay_alu instid0(VALU_DEP_1)
	v_cmpx_gt_u32_e64 s2, v9
	s_cbranch_execz .LBB20_7
; %bb.6:
	v_add_nc_u32_e32 v9, s10, v9
	s_clause 0x1
	global_load_u8 v10, v9, s[6:7]
	global_load_u8 v11, v9, s[8:9]
	s_wait_loadcnt 0x0
	v_cmp_ne_u16_e64 s0, v10, v11
	s_and_b32 s14, s0, exec_lo
.LBB20_7:
	s_or_b32 exec_lo, exec_lo, s13
	s_delay_alu instid0(SALU_CYCLE_1)
	s_and_b32 s13, s14, exec_lo
.LBB20_8:
	s_or_b32 exec_lo, exec_lo, s12
	s_delay_alu instid0(SALU_CYCLE_1)
	s_and_b32 s12, s13, exec_lo
.LBB20_9:
	s_or_b32 exec_lo, exec_lo, s11
	s_delay_alu instid0(SALU_CYCLE_1)
	s_and_b32 s11, s12, exec_lo
.LBB20_10:
	s_or_b32 exec_lo, exec_lo, s1
	s_wait_loadcnt 0x0
	v_and_b32_e32 v8, 0xff, v8
	v_and_b32_e32 v5, 0xff, v5
	;; [unrolled: 1-line block ×4, first 2 shown]
	s_cmp_eq_u32 s3, 0
	v_and_b32_e32 v4, 0xff, v4
	v_cmp_ne_u16_e64 s0, v5, v8
	s_cselect_b32 s3, -1, 0
	v_cmp_ne_u16_e64 s1, v6, v7
	v_and_b32_e32 v3, 0xff, v3
	s_xor_b32 s0, s3, s0
	s_delay_alu instid0(SALU_CYCLE_1) | instskip(SKIP_1) | instid1(SALU_CYCLE_1)
	v_cndmask_b32_e64 v5, 0, 1, s0
	s_xor_b32 s0, s3, s1
	v_cndmask_b32_e64 v6, 0, 1, s0
	v_cmp_ne_u16_e64 s0, v3, v4
	s_delay_alu instid0(VALU_DEP_2) | instskip(SKIP_1) | instid1(SALU_CYCLE_1)
	v_lshlrev_b16 v6, 8, v6
	s_xor_b32 s0, s3, s0
	v_cndmask_b32_e64 v4, 0, 1, s0
	v_cndmask_b32_e32 v5, 0, v5, vcc_lo
	v_cmp_gt_i32_e64 s0, s2, v1
	s_delay_alu instid0(VALU_DEP_2) | instskip(NEXT) | instid1(VALU_DEP_1)
	v_dual_lshlrev_b32 v4, 16, v4 :: v_dual_bitop2_b32 v3, v5, v6 bitop3:0x54
	v_and_b32_e32 v3, 0xffff, v3
	s_delay_alu instid0(VALU_DEP_1) | instskip(SKIP_1) | instid1(VALU_DEP_2)
	v_cndmask_b32_e64 v3, v5, v3, s0
	v_or_b32_e32 v5, 0x200, v0
	v_or_b32_e32 v4, v3, v4
	s_delay_alu instid0(VALU_DEP_2) | instskip(NEXT) | instid1(VALU_DEP_1)
	v_cmp_gt_i32_e64 s0, s2, v5
	v_cndmask_b32_e64 v3, v3, v4, s0
	s_xor_b32 s0, s3, s11
	s_delay_alu instid0(SALU_CYCLE_1) | instskip(NEXT) | instid1(VALU_DEP_2)
	v_cndmask_b32_e64 v4, 0, 1, s0
	v_lshrrev_b32_e32 v5, 16, v3
	s_delay_alu instid0(VALU_DEP_2) | instskip(NEXT) | instid1(VALU_DEP_1)
	v_lshlrev_b16 v4, 8, v4
	v_bitop3_b16 v4, v5, v4, 0xff bitop3:0xec
	v_or_b32_e32 v5, 0x300, v0
	s_delay_alu instid0(VALU_DEP_2) | instskip(NEXT) | instid1(VALU_DEP_2)
	v_lshlrev_b32_e32 v4, 16, v4
	v_cmp_gt_i32_e64 s0, s2, v5
	s_delay_alu instid0(VALU_DEP_2) | instskip(NEXT) | instid1(VALU_DEP_1)
	v_and_or_b32 v4, 0xffff, v3, v4
	v_cndmask_b32_e64 v3, v3, v4, s0
	s_and_saveexec_b32 s0, vcc_lo
	s_cbranch_execnz .LBB20_15
; %bb.11:
	s_or_b32 exec_lo, exec_lo, s0
	s_delay_alu instid0(SALU_CYCLE_1)
	s_mov_b32 s0, exec_lo
	v_cmpx_gt_i32_e64 s2, v0
	s_cbranch_execnz .LBB20_16
.LBB20_12:
	s_or_b32 exec_lo, exec_lo, s0
	s_delay_alu instid0(SALU_CYCLE_1)
	s_mov_b32 s0, exec_lo
	v_cmpx_gt_i32_e64 s2, v0
	s_cbranch_execnz .LBB20_17
.LBB20_13:
	s_or_b32 exec_lo, exec_lo, s0
	s_delay_alu instid0(SALU_CYCLE_1)
	s_mov_b32 s0, exec_lo
	v_cmpx_gt_i32_e64 s2, v0
	s_cbranch_execnz .LBB20_18
.LBB20_14:
	s_endpgm
.LBB20_15:
	v_mov_b32_e32 v0, v1
	global_store_b8 v2, v3, s[4:5]
	s_wait_xcnt 0x0
	s_or_b32 exec_lo, exec_lo, s0
	s_delay_alu instid0(SALU_CYCLE_1)
	s_mov_b32 s0, exec_lo
	v_cmpx_gt_i32_e64 s2, v0
	s_cbranch_execz .LBB20_12
.LBB20_16:
	v_add_nc_u32_e32 v1, 0x100, v0
	v_dual_add_nc_u32 v2, s10, v0 :: v_dual_lshrrev_b32 v4, 8, v3
	s_delay_alu instid0(VALU_DEP_2) | instskip(SKIP_3) | instid1(SALU_CYCLE_1)
	v_mov_b32_e32 v0, v1
	global_store_b8 v2, v4, s[4:5]
	s_wait_xcnt 0x0
	s_or_b32 exec_lo, exec_lo, s0
	s_mov_b32 s0, exec_lo
	v_cmpx_gt_i32_e64 s2, v0
	s_cbranch_execz .LBB20_13
.LBB20_17:
	v_add_nc_u32_e32 v1, 0x100, v0
	s_delay_alu instid0(VALU_DEP_1) | instskip(SKIP_3) | instid1(SALU_CYCLE_1)
	v_dual_add_nc_u32 v2, s10, v0 :: v_dual_mov_b32 v0, v1
	global_store_d16_hi_b8 v2, v3, s[4:5]
	s_wait_xcnt 0x0
	s_or_b32 exec_lo, exec_lo, s0
	s_mov_b32 s0, exec_lo
	v_cmpx_gt_i32_e64 s2, v0
	s_cbranch_execz .LBB20_14
.LBB20_18:
	v_dual_add_nc_u32 v0, s10, v0 :: v_dual_lshrrev_b32 v1, 24, v3
	global_store_b8 v0, v1, s[4:5]
	s_endpgm
	.section	.rodata,"a",@progbits
	.p2align	6, 0x0
	.amdhsa_kernel _ZN2at6native27unrolled_elementwise_kernelINS0_13BinaryFunctorIaabNS0_12_GLOBAL__N_116CompareEqFunctorIaEEEESt5arrayIPcLm3EELi4E23TrivialOffsetCalculatorILi2EjESA_ILi1EjENS0_6memory15LoadWithoutCastENSD_16StoreWithoutCastEEEviT_T0_T2_T3_T4_T5_
		.amdhsa_group_segment_fixed_size 0
		.amdhsa_private_segment_fixed_size 0
		.amdhsa_kernarg_size 36
		.amdhsa_user_sgpr_count 2
		.amdhsa_user_sgpr_dispatch_ptr 0
		.amdhsa_user_sgpr_queue_ptr 0
		.amdhsa_user_sgpr_kernarg_segment_ptr 1
		.amdhsa_user_sgpr_dispatch_id 0
		.amdhsa_user_sgpr_kernarg_preload_length 0
		.amdhsa_user_sgpr_kernarg_preload_offset 0
		.amdhsa_user_sgpr_private_segment_size 0
		.amdhsa_wavefront_size32 1
		.amdhsa_uses_dynamic_stack 0
		.amdhsa_enable_private_segment 0
		.amdhsa_system_sgpr_workgroup_id_x 1
		.amdhsa_system_sgpr_workgroup_id_y 0
		.amdhsa_system_sgpr_workgroup_id_z 0
		.amdhsa_system_sgpr_workgroup_info 0
		.amdhsa_system_vgpr_workitem_id 0
		.amdhsa_next_free_vgpr 12
		.amdhsa_next_free_sgpr 15
		.amdhsa_named_barrier_count 0
		.amdhsa_reserve_vcc 1
		.amdhsa_float_round_mode_32 0
		.amdhsa_float_round_mode_16_64 0
		.amdhsa_float_denorm_mode_32 3
		.amdhsa_float_denorm_mode_16_64 3
		.amdhsa_fp16_overflow 0
		.amdhsa_memory_ordered 1
		.amdhsa_forward_progress 1
		.amdhsa_inst_pref_size 9
		.amdhsa_round_robin_scheduling 0
		.amdhsa_exception_fp_ieee_invalid_op 0
		.amdhsa_exception_fp_denorm_src 0
		.amdhsa_exception_fp_ieee_div_zero 0
		.amdhsa_exception_fp_ieee_overflow 0
		.amdhsa_exception_fp_ieee_underflow 0
		.amdhsa_exception_fp_ieee_inexact 0
		.amdhsa_exception_int_div_zero 0
	.end_amdhsa_kernel
	.section	.text._ZN2at6native27unrolled_elementwise_kernelINS0_13BinaryFunctorIaabNS0_12_GLOBAL__N_116CompareEqFunctorIaEEEESt5arrayIPcLm3EELi4E23TrivialOffsetCalculatorILi2EjESA_ILi1EjENS0_6memory15LoadWithoutCastENSD_16StoreWithoutCastEEEviT_T0_T2_T3_T4_T5_,"axG",@progbits,_ZN2at6native27unrolled_elementwise_kernelINS0_13BinaryFunctorIaabNS0_12_GLOBAL__N_116CompareEqFunctorIaEEEESt5arrayIPcLm3EELi4E23TrivialOffsetCalculatorILi2EjESA_ILi1EjENS0_6memory15LoadWithoutCastENSD_16StoreWithoutCastEEEviT_T0_T2_T3_T4_T5_,comdat
.Lfunc_end20:
	.size	_ZN2at6native27unrolled_elementwise_kernelINS0_13BinaryFunctorIaabNS0_12_GLOBAL__N_116CompareEqFunctorIaEEEESt5arrayIPcLm3EELi4E23TrivialOffsetCalculatorILi2EjESA_ILi1EjENS0_6memory15LoadWithoutCastENSD_16StoreWithoutCastEEEviT_T0_T2_T3_T4_T5_, .Lfunc_end20-_ZN2at6native27unrolled_elementwise_kernelINS0_13BinaryFunctorIaabNS0_12_GLOBAL__N_116CompareEqFunctorIaEEEESt5arrayIPcLm3EELi4E23TrivialOffsetCalculatorILi2EjESA_ILi1EjENS0_6memory15LoadWithoutCastENSD_16StoreWithoutCastEEEviT_T0_T2_T3_T4_T5_
                                        ; -- End function
	.set _ZN2at6native27unrolled_elementwise_kernelINS0_13BinaryFunctorIaabNS0_12_GLOBAL__N_116CompareEqFunctorIaEEEESt5arrayIPcLm3EELi4E23TrivialOffsetCalculatorILi2EjESA_ILi1EjENS0_6memory15LoadWithoutCastENSD_16StoreWithoutCastEEEviT_T0_T2_T3_T4_T5_.num_vgpr, 12
	.set _ZN2at6native27unrolled_elementwise_kernelINS0_13BinaryFunctorIaabNS0_12_GLOBAL__N_116CompareEqFunctorIaEEEESt5arrayIPcLm3EELi4E23TrivialOffsetCalculatorILi2EjESA_ILi1EjENS0_6memory15LoadWithoutCastENSD_16StoreWithoutCastEEEviT_T0_T2_T3_T4_T5_.num_agpr, 0
	.set _ZN2at6native27unrolled_elementwise_kernelINS0_13BinaryFunctorIaabNS0_12_GLOBAL__N_116CompareEqFunctorIaEEEESt5arrayIPcLm3EELi4E23TrivialOffsetCalculatorILi2EjESA_ILi1EjENS0_6memory15LoadWithoutCastENSD_16StoreWithoutCastEEEviT_T0_T2_T3_T4_T5_.numbered_sgpr, 15
	.set _ZN2at6native27unrolled_elementwise_kernelINS0_13BinaryFunctorIaabNS0_12_GLOBAL__N_116CompareEqFunctorIaEEEESt5arrayIPcLm3EELi4E23TrivialOffsetCalculatorILi2EjESA_ILi1EjENS0_6memory15LoadWithoutCastENSD_16StoreWithoutCastEEEviT_T0_T2_T3_T4_T5_.num_named_barrier, 0
	.set _ZN2at6native27unrolled_elementwise_kernelINS0_13BinaryFunctorIaabNS0_12_GLOBAL__N_116CompareEqFunctorIaEEEESt5arrayIPcLm3EELi4E23TrivialOffsetCalculatorILi2EjESA_ILi1EjENS0_6memory15LoadWithoutCastENSD_16StoreWithoutCastEEEviT_T0_T2_T3_T4_T5_.private_seg_size, 0
	.set _ZN2at6native27unrolled_elementwise_kernelINS0_13BinaryFunctorIaabNS0_12_GLOBAL__N_116CompareEqFunctorIaEEEESt5arrayIPcLm3EELi4E23TrivialOffsetCalculatorILi2EjESA_ILi1EjENS0_6memory15LoadWithoutCastENSD_16StoreWithoutCastEEEviT_T0_T2_T3_T4_T5_.uses_vcc, 1
	.set _ZN2at6native27unrolled_elementwise_kernelINS0_13BinaryFunctorIaabNS0_12_GLOBAL__N_116CompareEqFunctorIaEEEESt5arrayIPcLm3EELi4E23TrivialOffsetCalculatorILi2EjESA_ILi1EjENS0_6memory15LoadWithoutCastENSD_16StoreWithoutCastEEEviT_T0_T2_T3_T4_T5_.uses_flat_scratch, 0
	.set _ZN2at6native27unrolled_elementwise_kernelINS0_13BinaryFunctorIaabNS0_12_GLOBAL__N_116CompareEqFunctorIaEEEESt5arrayIPcLm3EELi4E23TrivialOffsetCalculatorILi2EjESA_ILi1EjENS0_6memory15LoadWithoutCastENSD_16StoreWithoutCastEEEviT_T0_T2_T3_T4_T5_.has_dyn_sized_stack, 0
	.set _ZN2at6native27unrolled_elementwise_kernelINS0_13BinaryFunctorIaabNS0_12_GLOBAL__N_116CompareEqFunctorIaEEEESt5arrayIPcLm3EELi4E23TrivialOffsetCalculatorILi2EjESA_ILi1EjENS0_6memory15LoadWithoutCastENSD_16StoreWithoutCastEEEviT_T0_T2_T3_T4_T5_.has_recursion, 0
	.set _ZN2at6native27unrolled_elementwise_kernelINS0_13BinaryFunctorIaabNS0_12_GLOBAL__N_116CompareEqFunctorIaEEEESt5arrayIPcLm3EELi4E23TrivialOffsetCalculatorILi2EjESA_ILi1EjENS0_6memory15LoadWithoutCastENSD_16StoreWithoutCastEEEviT_T0_T2_T3_T4_T5_.has_indirect_call, 0
	.section	.AMDGPU.csdata,"",@progbits
; Kernel info:
; codeLenInByte = 1060
; TotalNumSgprs: 17
; NumVgprs: 12
; ScratchSize: 0
; MemoryBound: 0
; FloatMode: 240
; IeeeMode: 1
; LDSByteSize: 0 bytes/workgroup (compile time only)
; SGPRBlocks: 0
; VGPRBlocks: 0
; NumSGPRsForWavesPerEU: 17
; NumVGPRsForWavesPerEU: 12
; NamedBarCnt: 0
; Occupancy: 16
; WaveLimiterHint : 0
; COMPUTE_PGM_RSRC2:SCRATCH_EN: 0
; COMPUTE_PGM_RSRC2:USER_SGPR: 2
; COMPUTE_PGM_RSRC2:TRAP_HANDLER: 0
; COMPUTE_PGM_RSRC2:TGID_X_EN: 1
; COMPUTE_PGM_RSRC2:TGID_Y_EN: 0
; COMPUTE_PGM_RSRC2:TGID_Z_EN: 0
; COMPUTE_PGM_RSRC2:TIDIG_COMP_CNT: 0
	.section	.text._ZN2at6native32elementwise_kernel_manual_unrollILi128ELi8EZNS0_22gpu_kernel_impl_nocastINS0_13BinaryFunctorIaabNS0_12_GLOBAL__N_116CompareEqFunctorIaEEEEEEvRNS_18TensorIteratorBaseERKT_EUlibE_EEviT1_,"axG",@progbits,_ZN2at6native32elementwise_kernel_manual_unrollILi128ELi8EZNS0_22gpu_kernel_impl_nocastINS0_13BinaryFunctorIaabNS0_12_GLOBAL__N_116CompareEqFunctorIaEEEEEEvRNS_18TensorIteratorBaseERKT_EUlibE_EEviT1_,comdat
	.globl	_ZN2at6native32elementwise_kernel_manual_unrollILi128ELi8EZNS0_22gpu_kernel_impl_nocastINS0_13BinaryFunctorIaabNS0_12_GLOBAL__N_116CompareEqFunctorIaEEEEEEvRNS_18TensorIteratorBaseERKT_EUlibE_EEviT1_ ; -- Begin function _ZN2at6native32elementwise_kernel_manual_unrollILi128ELi8EZNS0_22gpu_kernel_impl_nocastINS0_13BinaryFunctorIaabNS0_12_GLOBAL__N_116CompareEqFunctorIaEEEEEEvRNS_18TensorIteratorBaseERKT_EUlibE_EEviT1_
	.p2align	8
	.type	_ZN2at6native32elementwise_kernel_manual_unrollILi128ELi8EZNS0_22gpu_kernel_impl_nocastINS0_13BinaryFunctorIaabNS0_12_GLOBAL__N_116CompareEqFunctorIaEEEEEEvRNS_18TensorIteratorBaseERKT_EUlibE_EEviT1_,@function
_ZN2at6native32elementwise_kernel_manual_unrollILi128ELi8EZNS0_22gpu_kernel_impl_nocastINS0_13BinaryFunctorIaabNS0_12_GLOBAL__N_116CompareEqFunctorIaEEEEEEvRNS_18TensorIteratorBaseERKT_EUlibE_EEviT1_: ; @_ZN2at6native32elementwise_kernel_manual_unrollILi128ELi8EZNS0_22gpu_kernel_impl_nocastINS0_13BinaryFunctorIaabNS0_12_GLOBAL__N_116CompareEqFunctorIaEEEEEEvRNS_18TensorIteratorBaseERKT_EUlibE_EEviT1_
; %bb.0:
	s_clause 0x1
	s_load_b32 s26, s[0:1], 0x8
	s_load_b32 s33, s[0:1], 0x0
	s_bfe_u32 s2, ttmp6, 0x4000c
	s_and_b32 s3, ttmp6, 15
	s_add_co_i32 s2, s2, 1
	s_getreg_b32 s4, hwreg(HW_REG_IB_STS2, 6, 4)
	s_mul_i32 s2, ttmp9, s2
	s_add_nc_u64 s[16:17], s[0:1], 8
	s_add_co_i32 s3, s3, s2
	s_cmp_eq_u32 s4, 0
	s_mov_b32 s21, 0
	s_cselect_b32 s2, ttmp9, s3
	s_wait_xcnt 0x0
	s_mov_b32 s0, exec_lo
	v_lshl_or_b32 v0, s2, 10, v0
	s_delay_alu instid0(VALU_DEP_1) | instskip(SKIP_2) | instid1(SALU_CYCLE_1)
	v_or_b32_e32 v4, 0x380, v0
	s_wait_kmcnt 0x0
	s_add_co_i32 s27, s26, -1
	s_cmp_gt_u32 s27, 1
	s_cselect_b32 s28, -1, 0
	v_cmpx_le_i32_e64 s33, v4
	s_xor_b32 s29, exec_lo, s0
	s_cbranch_execz .LBB21_106
; %bb.1:
	s_clause 0x5
	s_load_b128 s[4:7], s[16:17], 0x4
	s_load_b64 s[18:19], s[16:17], 0x14
	s_load_b96 s[12:14], s[16:17], 0x198
	s_load_b128 s[8:11], s[16:17], 0xc4
	s_load_b64 s[22:23], s[16:17], 0xd4
	s_load_b128 s[0:3], s[16:17], 0x188
	s_cmp_lg_u32 s26, 0
	s_mov_b32 s25, s21
	s_cselect_b32 s34, -1, 0
	s_min_u32 s31, s27, 15
	s_cmp_gt_u32 s26, 1
	s_cselect_b32 s30, -1, 0
	s_wait_kmcnt 0x0
	s_mov_b32 s20, s5
	s_mov_b32 s24, s18
	s_cmp_eq_u32 s14, 0
	s_mov_b32 s18, exec_lo
	s_cselect_b32 s5, -1, 0
	v_cmpx_gt_i32_e64 s33, v0
	s_cbranch_execnz .LBB21_9
; %bb.2:
	s_or_b32 exec_lo, exec_lo, s18
	s_delay_alu instid0(SALU_CYCLE_1)
	s_mov_b32 s18, exec_lo
	v_cmpx_gt_i32_e64 s33, v0
	s_cbranch_execnz .LBB21_21
.LBB21_3:
	s_or_b32 exec_lo, exec_lo, s18
	s_delay_alu instid0(SALU_CYCLE_1)
	s_mov_b32 s18, exec_lo
	v_cmpx_gt_i32_e64 s33, v0
	s_cbranch_execnz .LBB21_33
.LBB21_4:
	s_or_b32 exec_lo, exec_lo, s18
	s_delay_alu instid0(SALU_CYCLE_1)
	s_mov_b32 s18, exec_lo
	v_cmpx_gt_i32_e64 s33, v0
	s_cbranch_execnz .LBB21_45
.LBB21_5:
	s_or_b32 exec_lo, exec_lo, s18
	s_delay_alu instid0(SALU_CYCLE_1)
	s_mov_b32 s18, exec_lo
	v_cmpx_gt_i32_e64 s33, v0
	s_cbranch_execnz .LBB21_57
.LBB21_6:
	s_or_b32 exec_lo, exec_lo, s18
	s_delay_alu instid0(SALU_CYCLE_1)
	s_mov_b32 s18, exec_lo
	v_cmpx_gt_i32_e64 s33, v0
	s_cbranch_execnz .LBB21_69
.LBB21_7:
	s_or_b32 exec_lo, exec_lo, s18
	s_delay_alu instid0(SALU_CYCLE_1)
	s_mov_b32 s18, exec_lo
	v_cmpx_gt_i32_e64 s33, v0
	s_cbranch_execnz .LBB21_81
.LBB21_8:
	s_or_b32 exec_lo, exec_lo, s18
	s_delay_alu instid0(SALU_CYCLE_1)
	s_mov_b32 s18, exec_lo
	v_cmpx_gt_i32_e64 s33, v0
	s_cbranch_execnz .LBB21_93
	s_branch .LBB21_105
.LBB21_9:
	s_and_not1_b32 vcc_lo, exec_lo, s28
	s_cbranch_vccnz .LBB21_15
; %bb.10:
	s_and_not1_b32 vcc_lo, exec_lo, s34
	s_cbranch_vccnz .LBB21_16
; %bb.11:
	v_dual_mov_b32 v4, 0 :: v_dual_mov_b32 v1, v0
	v_dual_mov_b32 v6, 0 :: v_dual_mov_b32 v5, 0
	s_add_co_i32 s35, s31, 1
	s_mov_b64 s[14:15], 0xffffffffffffffe8
	s_and_b32 s35, s35, 30
	s_add_nc_u64 s[14:15], s[16:17], s[14:15]
.LBB21_12:                              ; =>This Inner Loop Header: Depth=1
	s_clause 0x1
	s_load_b128 s[36:39], s[14:15], 0x1c
	s_load_b64 s[44:45], s[14:15], 0x2c
	s_add_co_i32 s35, s35, -2
	s_delay_alu instid0(SALU_CYCLE_1) | instskip(SKIP_2) | instid1(VALU_DEP_1)
	s_cmp_lg_u32 s35, 0
	s_wait_kmcnt 0x0
	v_mul_hi_u32 v2, s37, v1
	v_add_nc_u32_e32 v2, v1, v2
	s_delay_alu instid0(VALU_DEP_1) | instskip(NEXT) | instid1(VALU_DEP_1)
	v_lshrrev_b32_e32 v2, s38, v2
	v_mul_hi_u32 v3, s44, v2
	v_mul_lo_u32 v7, v2, s36
	s_clause 0x1
	s_load_b128 s[40:43], s[14:15], 0xdc
	s_load_b64 s[36:37], s[14:15], 0xec
	s_wait_xcnt 0x0
	s_add_nc_u64 s[14:15], s[14:15], 24
	s_delay_alu instid0(VALU_DEP_2) | instskip(NEXT) | instid1(VALU_DEP_2)
	v_add_nc_u32_e32 v3, v2, v3
	v_sub_nc_u32_e32 v7, v1, v7
	s_delay_alu instid0(VALU_DEP_2) | instskip(SKIP_1) | instid1(VALU_DEP_2)
	v_lshrrev_b32_e32 v1, s45, v3
	s_wait_kmcnt 0x0
	v_mad_u32 v4, v7, s40, v4
	s_delay_alu instid0(VALU_DEP_2) | instskip(SKIP_2) | instid1(VALU_DEP_3)
	v_mul_lo_u32 v3, v1, s39
	v_mad_u32 v5, v7, s42, v5
	v_mad_u32 v6, v7, s41, v6
	v_sub_nc_u32_e32 v2, v2, v3
	s_delay_alu instid0(VALU_DEP_1) | instskip(NEXT) | instid1(VALU_DEP_4)
	v_mad_u32 v4, v2, s43, v4
	v_mad_u32 v5, v2, s37, v5
	s_delay_alu instid0(VALU_DEP_4)
	v_mad_u32 v6, v2, s36, v6
	s_cbranch_scc1 .LBB21_12
; %bb.13:
	s_bitcmp1_b32 s31, 0
	s_cselect_b32 s35, -1, 0
	s_delay_alu instid0(SALU_CYCLE_1)
	s_and_b32 vcc_lo, exec_lo, s35
	s_cbranch_vccnz .LBB21_17
; %bb.14:
	s_clause 0x1
	s_load_b96 s[36:38], s[14:15], 0x1c
	s_load_b96 s[40:42], s[14:15], 0xdc
	s_wait_xcnt 0x0
	s_wait_kmcnt 0x0
	v_mul_hi_u32 v2, s37, v1
	s_delay_alu instid0(VALU_DEP_1) | instskip(NEXT) | instid1(VALU_DEP_1)
	v_add_nc_u32_e32 v2, v1, v2
	v_lshrrev_b32_e32 v2, s38, v2
	s_delay_alu instid0(VALU_DEP_1) | instskip(NEXT) | instid1(VALU_DEP_1)
	v_mul_lo_u32 v2, v2, s36
	v_sub_nc_u32_e32 v1, v1, v2
	s_delay_alu instid0(VALU_DEP_1)
	v_mad_u32 v4, v1, s40, v4
	v_mad_u32 v6, v1, s41, v6
	;; [unrolled: 1-line block ×3, first 2 shown]
	s_cbranch_execz .LBB21_18
	s_branch .LBB21_20
.LBB21_15:
                                        ; implicit-def: $vgpr5
                                        ; implicit-def: $vgpr6
                                        ; implicit-def: $vgpr4
	s_branch .LBB21_18
.LBB21_16:
	v_dual_mov_b32 v5, 0 :: v_dual_mov_b32 v6, 0
	v_mov_b32_e32 v4, 0
.LBB21_17:
	s_cbranch_execnz .LBB21_20
.LBB21_18:
	v_mov_b32_e32 v1, 0
	s_and_not1_b32 vcc_lo, exec_lo, s30
	s_delay_alu instid0(VALU_DEP_1) | instskip(NEXT) | instid1(VALU_DEP_1)
	v_mul_u64_e32 v[2:3], s[20:21], v[0:1]
	v_add_nc_u32_e32 v2, v0, v3
	s_delay_alu instid0(VALU_DEP_1) | instskip(NEXT) | instid1(VALU_DEP_1)
	v_lshrrev_b32_e32 v2, s6, v2
	v_mul_lo_u32 v3, v2, s4
	s_delay_alu instid0(VALU_DEP_1) | instskip(NEXT) | instid1(VALU_DEP_1)
	v_sub_nc_u32_e32 v3, v0, v3
	v_mul_lo_u32 v4, v3, s8
	v_mul_lo_u32 v5, v3, s10
	;; [unrolled: 1-line block ×3, first 2 shown]
	s_cbranch_vccnz .LBB21_20
; %bb.19:
	v_mov_b32_e32 v3, v1
	s_delay_alu instid0(VALU_DEP_1) | instskip(NEXT) | instid1(VALU_DEP_1)
	v_mul_u64_e32 v[8:9], s[24:25], v[2:3]
	v_add_nc_u32_e32 v1, v2, v9
	s_delay_alu instid0(VALU_DEP_1) | instskip(NEXT) | instid1(VALU_DEP_1)
	v_lshrrev_b32_e32 v1, s19, v1
	v_mul_lo_u32 v1, v1, s7
	s_delay_alu instid0(VALU_DEP_1) | instskip(NEXT) | instid1(VALU_DEP_1)
	v_sub_nc_u32_e32 v1, v2, v1
	v_mad_u32 v4, v1, s11, v4
	v_mad_u32 v6, v1, s22, v6
	;; [unrolled: 1-line block ×3, first 2 shown]
.LBB21_20:
	global_load_u8 v1, v6, s[2:3]
	global_load_u8 v2, v5, s[12:13]
	v_add_nc_u32_e32 v0, 0x80, v0
	s_wait_loadcnt 0x0
	v_cmp_ne_u16_e32 vcc_lo, v1, v2
	s_xor_b32 s14, s5, vcc_lo
	s_delay_alu instid0(SALU_CYCLE_1) | instskip(SKIP_3) | instid1(SALU_CYCLE_1)
	v_cndmask_b32_e64 v1, 0, 1, s14
	global_store_b8 v4, v1, s[0:1]
	s_wait_xcnt 0x0
	s_or_b32 exec_lo, exec_lo, s18
	s_mov_b32 s18, exec_lo
	v_cmpx_gt_i32_e64 s33, v0
	s_cbranch_execz .LBB21_3
.LBB21_21:
	s_and_not1_b32 vcc_lo, exec_lo, s28
	s_cbranch_vccnz .LBB21_27
; %bb.22:
	s_and_not1_b32 vcc_lo, exec_lo, s34
	s_cbranch_vccnz .LBB21_28
; %bb.23:
	v_dual_mov_b32 v4, 0 :: v_dual_mov_b32 v1, v0
	v_dual_mov_b32 v6, 0 :: v_dual_mov_b32 v5, 0
	s_add_co_i32 s35, s31, 1
	s_mov_b64 s[14:15], 0xffffffffffffffe8
	s_and_b32 s35, s35, 30
	s_add_nc_u64 s[14:15], s[16:17], s[14:15]
.LBB21_24:                              ; =>This Inner Loop Header: Depth=1
	s_clause 0x1
	s_load_b128 s[36:39], s[14:15], 0x1c
	s_load_b64 s[44:45], s[14:15], 0x2c
	s_add_co_i32 s35, s35, -2
	s_delay_alu instid0(SALU_CYCLE_1) | instskip(SKIP_2) | instid1(VALU_DEP_1)
	s_cmp_eq_u32 s35, 0
	s_wait_kmcnt 0x0
	v_mul_hi_u32 v2, s37, v1
	v_add_nc_u32_e32 v2, v1, v2
	s_delay_alu instid0(VALU_DEP_1) | instskip(NEXT) | instid1(VALU_DEP_1)
	v_lshrrev_b32_e32 v2, s38, v2
	v_mul_hi_u32 v3, s44, v2
	v_mul_lo_u32 v7, v2, s36
	s_clause 0x1
	s_load_b128 s[40:43], s[14:15], 0xdc
	s_load_b64 s[36:37], s[14:15], 0xec
	s_wait_xcnt 0x0
	s_add_nc_u64 s[14:15], s[14:15], 24
	s_delay_alu instid0(VALU_DEP_2) | instskip(NEXT) | instid1(VALU_DEP_2)
	v_add_nc_u32_e32 v3, v2, v3
	v_sub_nc_u32_e32 v7, v1, v7
	s_delay_alu instid0(VALU_DEP_2) | instskip(SKIP_1) | instid1(VALU_DEP_2)
	v_lshrrev_b32_e32 v1, s45, v3
	s_wait_kmcnt 0x0
	v_mad_u32 v4, v7, s40, v4
	s_delay_alu instid0(VALU_DEP_2) | instskip(SKIP_2) | instid1(VALU_DEP_3)
	v_mul_lo_u32 v3, v1, s39
	v_mad_u32 v5, v7, s42, v5
	v_mad_u32 v6, v7, s41, v6
	v_sub_nc_u32_e32 v2, v2, v3
	s_delay_alu instid0(VALU_DEP_1) | instskip(NEXT) | instid1(VALU_DEP_4)
	v_mad_u32 v4, v2, s43, v4
	v_mad_u32 v5, v2, s37, v5
	s_delay_alu instid0(VALU_DEP_4)
	v_mad_u32 v6, v2, s36, v6
	s_cbranch_scc0 .LBB21_24
; %bb.25:
	s_bitcmp1_b32 s31, 0
	s_cselect_b32 s35, -1, 0
	s_delay_alu instid0(SALU_CYCLE_1)
	s_and_b32 vcc_lo, exec_lo, s35
	s_cbranch_vccnz .LBB21_29
; %bb.26:
	s_clause 0x1
	s_load_b96 s[36:38], s[14:15], 0x1c
	s_load_b96 s[40:42], s[14:15], 0xdc
	s_wait_kmcnt 0x0
	v_mul_hi_u32 v2, s37, v1
	s_delay_alu instid0(VALU_DEP_1) | instskip(NEXT) | instid1(VALU_DEP_1)
	v_add_nc_u32_e32 v2, v1, v2
	v_lshrrev_b32_e32 v2, s38, v2
	s_delay_alu instid0(VALU_DEP_1) | instskip(NEXT) | instid1(VALU_DEP_1)
	v_mul_lo_u32 v2, v2, s36
	v_sub_nc_u32_e32 v1, v1, v2
	s_delay_alu instid0(VALU_DEP_1)
	v_mad_u32 v4, v1, s40, v4
	v_mad_u32 v6, v1, s41, v6
	;; [unrolled: 1-line block ×3, first 2 shown]
	s_branch .LBB21_29
.LBB21_27:
                                        ; implicit-def: $vgpr5
                                        ; implicit-def: $vgpr6
                                        ; implicit-def: $vgpr4
	s_branch .LBB21_30
.LBB21_28:
	v_dual_mov_b32 v5, 0 :: v_dual_mov_b32 v6, 0
	v_mov_b32_e32 v4, 0
.LBB21_29:
	s_cbranch_execnz .LBB21_32
.LBB21_30:
	v_mov_b32_e32 v1, 0
	s_and_not1_b32 vcc_lo, exec_lo, s30
	s_delay_alu instid0(VALU_DEP_1) | instskip(NEXT) | instid1(VALU_DEP_1)
	v_mul_u64_e32 v[2:3], s[20:21], v[0:1]
	v_add_nc_u32_e32 v2, v0, v3
	s_delay_alu instid0(VALU_DEP_1) | instskip(NEXT) | instid1(VALU_DEP_1)
	v_lshrrev_b32_e32 v2, s6, v2
	v_mul_lo_u32 v3, v2, s4
	s_delay_alu instid0(VALU_DEP_1) | instskip(NEXT) | instid1(VALU_DEP_1)
	v_sub_nc_u32_e32 v3, v0, v3
	v_mul_lo_u32 v4, v3, s8
	v_mul_lo_u32 v5, v3, s10
	;; [unrolled: 1-line block ×3, first 2 shown]
	s_cbranch_vccnz .LBB21_32
; %bb.31:
	v_mov_b32_e32 v3, v1
	s_delay_alu instid0(VALU_DEP_1) | instskip(NEXT) | instid1(VALU_DEP_1)
	v_mul_u64_e32 v[8:9], s[24:25], v[2:3]
	v_add_nc_u32_e32 v1, v2, v9
	s_delay_alu instid0(VALU_DEP_1) | instskip(NEXT) | instid1(VALU_DEP_1)
	v_lshrrev_b32_e32 v1, s19, v1
	v_mul_lo_u32 v1, v1, s7
	s_delay_alu instid0(VALU_DEP_1) | instskip(NEXT) | instid1(VALU_DEP_1)
	v_sub_nc_u32_e32 v1, v2, v1
	v_mad_u32 v4, v1, s11, v4
	v_mad_u32 v6, v1, s22, v6
	;; [unrolled: 1-line block ×3, first 2 shown]
.LBB21_32:
	global_load_u8 v1, v6, s[2:3]
	global_load_u8 v2, v5, s[12:13]
	v_add_nc_u32_e32 v0, 0x80, v0
	s_wait_loadcnt 0x0
	v_cmp_ne_u16_e32 vcc_lo, v1, v2
	s_xor_b32 s14, s5, vcc_lo
	s_delay_alu instid0(SALU_CYCLE_1) | instskip(SKIP_3) | instid1(SALU_CYCLE_1)
	v_cndmask_b32_e64 v1, 0, 1, s14
	global_store_b8 v4, v1, s[0:1]
	s_wait_xcnt 0x0
	s_or_b32 exec_lo, exec_lo, s18
	s_mov_b32 s18, exec_lo
	v_cmpx_gt_i32_e64 s33, v0
	s_cbranch_execz .LBB21_4
.LBB21_33:
	s_and_not1_b32 vcc_lo, exec_lo, s28
	s_cbranch_vccnz .LBB21_39
; %bb.34:
	s_and_not1_b32 vcc_lo, exec_lo, s34
	s_cbranch_vccnz .LBB21_40
; %bb.35:
	v_dual_mov_b32 v4, 0 :: v_dual_mov_b32 v1, v0
	v_dual_mov_b32 v6, 0 :: v_dual_mov_b32 v5, 0
	s_add_co_i32 s35, s31, 1
	s_mov_b64 s[14:15], 0xffffffffffffffe8
	s_and_b32 s35, s35, 30
	s_add_nc_u64 s[14:15], s[16:17], s[14:15]
.LBB21_36:                              ; =>This Inner Loop Header: Depth=1
	s_clause 0x1
	s_load_b128 s[36:39], s[14:15], 0x1c
	s_load_b64 s[44:45], s[14:15], 0x2c
	s_add_co_i32 s35, s35, -2
	s_delay_alu instid0(SALU_CYCLE_1) | instskip(SKIP_2) | instid1(VALU_DEP_1)
	s_cmp_eq_u32 s35, 0
	s_wait_kmcnt 0x0
	v_mul_hi_u32 v2, s37, v1
	v_add_nc_u32_e32 v2, v1, v2
	s_delay_alu instid0(VALU_DEP_1) | instskip(NEXT) | instid1(VALU_DEP_1)
	v_lshrrev_b32_e32 v2, s38, v2
	v_mul_hi_u32 v3, s44, v2
	v_mul_lo_u32 v7, v2, s36
	s_clause 0x1
	s_load_b128 s[40:43], s[14:15], 0xdc
	s_load_b64 s[36:37], s[14:15], 0xec
	s_wait_xcnt 0x0
	s_add_nc_u64 s[14:15], s[14:15], 24
	s_delay_alu instid0(VALU_DEP_2) | instskip(NEXT) | instid1(VALU_DEP_2)
	v_add_nc_u32_e32 v3, v2, v3
	v_sub_nc_u32_e32 v7, v1, v7
	s_delay_alu instid0(VALU_DEP_2) | instskip(SKIP_1) | instid1(VALU_DEP_2)
	v_lshrrev_b32_e32 v1, s45, v3
	s_wait_kmcnt 0x0
	v_mad_u32 v4, v7, s40, v4
	s_delay_alu instid0(VALU_DEP_2) | instskip(SKIP_2) | instid1(VALU_DEP_3)
	v_mul_lo_u32 v3, v1, s39
	v_mad_u32 v5, v7, s42, v5
	v_mad_u32 v6, v7, s41, v6
	v_sub_nc_u32_e32 v2, v2, v3
	s_delay_alu instid0(VALU_DEP_1) | instskip(NEXT) | instid1(VALU_DEP_4)
	v_mad_u32 v4, v2, s43, v4
	v_mad_u32 v5, v2, s37, v5
	s_delay_alu instid0(VALU_DEP_4)
	v_mad_u32 v6, v2, s36, v6
	s_cbranch_scc0 .LBB21_36
; %bb.37:
	s_bitcmp1_b32 s31, 0
	s_cselect_b32 s35, -1, 0
	s_delay_alu instid0(SALU_CYCLE_1)
	s_and_b32 vcc_lo, exec_lo, s35
	s_cbranch_vccnz .LBB21_41
; %bb.38:
	s_clause 0x1
	s_load_b96 s[36:38], s[14:15], 0x1c
	s_load_b96 s[40:42], s[14:15], 0xdc
	s_wait_kmcnt 0x0
	v_mul_hi_u32 v2, s37, v1
	s_delay_alu instid0(VALU_DEP_1) | instskip(NEXT) | instid1(VALU_DEP_1)
	v_add_nc_u32_e32 v2, v1, v2
	v_lshrrev_b32_e32 v2, s38, v2
	s_delay_alu instid0(VALU_DEP_1) | instskip(NEXT) | instid1(VALU_DEP_1)
	v_mul_lo_u32 v2, v2, s36
	v_sub_nc_u32_e32 v1, v1, v2
	s_delay_alu instid0(VALU_DEP_1)
	v_mad_u32 v4, v1, s40, v4
	v_mad_u32 v6, v1, s41, v6
	;; [unrolled: 1-line block ×3, first 2 shown]
	s_branch .LBB21_41
.LBB21_39:
                                        ; implicit-def: $vgpr5
                                        ; implicit-def: $vgpr6
                                        ; implicit-def: $vgpr4
	s_branch .LBB21_42
.LBB21_40:
	v_dual_mov_b32 v5, 0 :: v_dual_mov_b32 v6, 0
	v_mov_b32_e32 v4, 0
.LBB21_41:
	s_cbranch_execnz .LBB21_44
.LBB21_42:
	v_mov_b32_e32 v1, 0
	s_and_not1_b32 vcc_lo, exec_lo, s30
	s_delay_alu instid0(VALU_DEP_1) | instskip(NEXT) | instid1(VALU_DEP_1)
	v_mul_u64_e32 v[2:3], s[20:21], v[0:1]
	v_add_nc_u32_e32 v2, v0, v3
	s_delay_alu instid0(VALU_DEP_1) | instskip(NEXT) | instid1(VALU_DEP_1)
	v_lshrrev_b32_e32 v2, s6, v2
	v_mul_lo_u32 v3, v2, s4
	s_delay_alu instid0(VALU_DEP_1) | instskip(NEXT) | instid1(VALU_DEP_1)
	v_sub_nc_u32_e32 v3, v0, v3
	v_mul_lo_u32 v4, v3, s8
	v_mul_lo_u32 v5, v3, s10
	;; [unrolled: 1-line block ×3, first 2 shown]
	s_cbranch_vccnz .LBB21_44
; %bb.43:
	v_mov_b32_e32 v3, v1
	s_delay_alu instid0(VALU_DEP_1) | instskip(NEXT) | instid1(VALU_DEP_1)
	v_mul_u64_e32 v[8:9], s[24:25], v[2:3]
	v_add_nc_u32_e32 v1, v2, v9
	s_delay_alu instid0(VALU_DEP_1) | instskip(NEXT) | instid1(VALU_DEP_1)
	v_lshrrev_b32_e32 v1, s19, v1
	v_mul_lo_u32 v1, v1, s7
	s_delay_alu instid0(VALU_DEP_1) | instskip(NEXT) | instid1(VALU_DEP_1)
	v_sub_nc_u32_e32 v1, v2, v1
	v_mad_u32 v4, v1, s11, v4
	v_mad_u32 v6, v1, s22, v6
	;; [unrolled: 1-line block ×3, first 2 shown]
.LBB21_44:
	global_load_u8 v1, v6, s[2:3]
	global_load_u8 v2, v5, s[12:13]
	v_add_nc_u32_e32 v0, 0x80, v0
	s_wait_loadcnt 0x0
	v_cmp_ne_u16_e32 vcc_lo, v1, v2
	s_xor_b32 s14, s5, vcc_lo
	s_delay_alu instid0(SALU_CYCLE_1) | instskip(SKIP_3) | instid1(SALU_CYCLE_1)
	v_cndmask_b32_e64 v1, 0, 1, s14
	global_store_b8 v4, v1, s[0:1]
	s_wait_xcnt 0x0
	s_or_b32 exec_lo, exec_lo, s18
	s_mov_b32 s18, exec_lo
	v_cmpx_gt_i32_e64 s33, v0
	s_cbranch_execz .LBB21_5
.LBB21_45:
	s_and_not1_b32 vcc_lo, exec_lo, s28
	s_cbranch_vccnz .LBB21_51
; %bb.46:
	s_and_not1_b32 vcc_lo, exec_lo, s34
	s_cbranch_vccnz .LBB21_52
; %bb.47:
	v_dual_mov_b32 v4, 0 :: v_dual_mov_b32 v1, v0
	v_dual_mov_b32 v6, 0 :: v_dual_mov_b32 v5, 0
	s_add_co_i32 s35, s31, 1
	s_mov_b64 s[14:15], 0xffffffffffffffe8
	s_and_b32 s35, s35, 30
	s_add_nc_u64 s[14:15], s[16:17], s[14:15]
.LBB21_48:                              ; =>This Inner Loop Header: Depth=1
	s_clause 0x1
	s_load_b128 s[36:39], s[14:15], 0x1c
	s_load_b64 s[44:45], s[14:15], 0x2c
	s_add_co_i32 s35, s35, -2
	s_delay_alu instid0(SALU_CYCLE_1) | instskip(SKIP_2) | instid1(VALU_DEP_1)
	s_cmp_eq_u32 s35, 0
	s_wait_kmcnt 0x0
	v_mul_hi_u32 v2, s37, v1
	v_add_nc_u32_e32 v2, v1, v2
	s_delay_alu instid0(VALU_DEP_1) | instskip(NEXT) | instid1(VALU_DEP_1)
	v_lshrrev_b32_e32 v2, s38, v2
	v_mul_hi_u32 v3, s44, v2
	v_mul_lo_u32 v7, v2, s36
	s_clause 0x1
	s_load_b128 s[40:43], s[14:15], 0xdc
	s_load_b64 s[36:37], s[14:15], 0xec
	s_wait_xcnt 0x0
	s_add_nc_u64 s[14:15], s[14:15], 24
	s_delay_alu instid0(VALU_DEP_2) | instskip(NEXT) | instid1(VALU_DEP_2)
	v_add_nc_u32_e32 v3, v2, v3
	v_sub_nc_u32_e32 v7, v1, v7
	s_delay_alu instid0(VALU_DEP_2) | instskip(SKIP_1) | instid1(VALU_DEP_2)
	v_lshrrev_b32_e32 v1, s45, v3
	s_wait_kmcnt 0x0
	v_mad_u32 v4, v7, s40, v4
	s_delay_alu instid0(VALU_DEP_2) | instskip(SKIP_2) | instid1(VALU_DEP_3)
	v_mul_lo_u32 v3, v1, s39
	v_mad_u32 v5, v7, s42, v5
	v_mad_u32 v6, v7, s41, v6
	v_sub_nc_u32_e32 v2, v2, v3
	s_delay_alu instid0(VALU_DEP_1) | instskip(NEXT) | instid1(VALU_DEP_4)
	v_mad_u32 v4, v2, s43, v4
	v_mad_u32 v5, v2, s37, v5
	s_delay_alu instid0(VALU_DEP_4)
	v_mad_u32 v6, v2, s36, v6
	s_cbranch_scc0 .LBB21_48
; %bb.49:
	s_bitcmp1_b32 s31, 0
	s_cselect_b32 s35, -1, 0
	s_delay_alu instid0(SALU_CYCLE_1)
	s_and_b32 vcc_lo, exec_lo, s35
	s_cbranch_vccnz .LBB21_53
; %bb.50:
	s_clause 0x1
	s_load_b96 s[36:38], s[14:15], 0x1c
	s_load_b96 s[40:42], s[14:15], 0xdc
	s_wait_kmcnt 0x0
	v_mul_hi_u32 v2, s37, v1
	s_delay_alu instid0(VALU_DEP_1) | instskip(NEXT) | instid1(VALU_DEP_1)
	v_add_nc_u32_e32 v2, v1, v2
	v_lshrrev_b32_e32 v2, s38, v2
	s_delay_alu instid0(VALU_DEP_1) | instskip(NEXT) | instid1(VALU_DEP_1)
	v_mul_lo_u32 v2, v2, s36
	v_sub_nc_u32_e32 v1, v1, v2
	s_delay_alu instid0(VALU_DEP_1)
	v_mad_u32 v4, v1, s40, v4
	v_mad_u32 v6, v1, s41, v6
	;; [unrolled: 1-line block ×3, first 2 shown]
	s_branch .LBB21_53
.LBB21_51:
                                        ; implicit-def: $vgpr5
                                        ; implicit-def: $vgpr6
                                        ; implicit-def: $vgpr4
	s_branch .LBB21_54
.LBB21_52:
	v_dual_mov_b32 v5, 0 :: v_dual_mov_b32 v6, 0
	v_mov_b32_e32 v4, 0
.LBB21_53:
	s_cbranch_execnz .LBB21_56
.LBB21_54:
	v_mov_b32_e32 v1, 0
	s_and_not1_b32 vcc_lo, exec_lo, s30
	s_delay_alu instid0(VALU_DEP_1) | instskip(NEXT) | instid1(VALU_DEP_1)
	v_mul_u64_e32 v[2:3], s[20:21], v[0:1]
	v_add_nc_u32_e32 v2, v0, v3
	s_delay_alu instid0(VALU_DEP_1) | instskip(NEXT) | instid1(VALU_DEP_1)
	v_lshrrev_b32_e32 v2, s6, v2
	v_mul_lo_u32 v3, v2, s4
	s_delay_alu instid0(VALU_DEP_1) | instskip(NEXT) | instid1(VALU_DEP_1)
	v_sub_nc_u32_e32 v3, v0, v3
	v_mul_lo_u32 v4, v3, s8
	v_mul_lo_u32 v5, v3, s10
	;; [unrolled: 1-line block ×3, first 2 shown]
	s_cbranch_vccnz .LBB21_56
; %bb.55:
	v_mov_b32_e32 v3, v1
	s_delay_alu instid0(VALU_DEP_1) | instskip(NEXT) | instid1(VALU_DEP_1)
	v_mul_u64_e32 v[8:9], s[24:25], v[2:3]
	v_add_nc_u32_e32 v1, v2, v9
	s_delay_alu instid0(VALU_DEP_1) | instskip(NEXT) | instid1(VALU_DEP_1)
	v_lshrrev_b32_e32 v1, s19, v1
	v_mul_lo_u32 v1, v1, s7
	s_delay_alu instid0(VALU_DEP_1) | instskip(NEXT) | instid1(VALU_DEP_1)
	v_sub_nc_u32_e32 v1, v2, v1
	v_mad_u32 v4, v1, s11, v4
	v_mad_u32 v6, v1, s22, v6
	;; [unrolled: 1-line block ×3, first 2 shown]
.LBB21_56:
	global_load_u8 v1, v6, s[2:3]
	global_load_u8 v2, v5, s[12:13]
	v_add_nc_u32_e32 v0, 0x80, v0
	s_wait_loadcnt 0x0
	v_cmp_ne_u16_e32 vcc_lo, v1, v2
	s_xor_b32 s14, s5, vcc_lo
	s_delay_alu instid0(SALU_CYCLE_1) | instskip(SKIP_3) | instid1(SALU_CYCLE_1)
	v_cndmask_b32_e64 v1, 0, 1, s14
	global_store_b8 v4, v1, s[0:1]
	s_wait_xcnt 0x0
	s_or_b32 exec_lo, exec_lo, s18
	s_mov_b32 s18, exec_lo
	v_cmpx_gt_i32_e64 s33, v0
	s_cbranch_execz .LBB21_6
.LBB21_57:
	s_and_not1_b32 vcc_lo, exec_lo, s28
	s_cbranch_vccnz .LBB21_63
; %bb.58:
	s_and_not1_b32 vcc_lo, exec_lo, s34
	s_cbranch_vccnz .LBB21_64
; %bb.59:
	v_dual_mov_b32 v4, 0 :: v_dual_mov_b32 v1, v0
	v_dual_mov_b32 v6, 0 :: v_dual_mov_b32 v5, 0
	s_add_co_i32 s35, s31, 1
	s_mov_b64 s[14:15], 0xffffffffffffffe8
	s_and_b32 s35, s35, 30
	s_add_nc_u64 s[14:15], s[16:17], s[14:15]
.LBB21_60:                              ; =>This Inner Loop Header: Depth=1
	s_clause 0x1
	s_load_b128 s[36:39], s[14:15], 0x1c
	s_load_b64 s[44:45], s[14:15], 0x2c
	s_add_co_i32 s35, s35, -2
	s_delay_alu instid0(SALU_CYCLE_1) | instskip(SKIP_2) | instid1(VALU_DEP_1)
	s_cmp_eq_u32 s35, 0
	s_wait_kmcnt 0x0
	v_mul_hi_u32 v2, s37, v1
	v_add_nc_u32_e32 v2, v1, v2
	s_delay_alu instid0(VALU_DEP_1) | instskip(NEXT) | instid1(VALU_DEP_1)
	v_lshrrev_b32_e32 v2, s38, v2
	v_mul_hi_u32 v3, s44, v2
	v_mul_lo_u32 v7, v2, s36
	s_clause 0x1
	s_load_b128 s[40:43], s[14:15], 0xdc
	s_load_b64 s[36:37], s[14:15], 0xec
	s_wait_xcnt 0x0
	s_add_nc_u64 s[14:15], s[14:15], 24
	s_delay_alu instid0(VALU_DEP_2) | instskip(NEXT) | instid1(VALU_DEP_2)
	v_add_nc_u32_e32 v3, v2, v3
	v_sub_nc_u32_e32 v7, v1, v7
	s_delay_alu instid0(VALU_DEP_2) | instskip(SKIP_1) | instid1(VALU_DEP_2)
	v_lshrrev_b32_e32 v1, s45, v3
	s_wait_kmcnt 0x0
	v_mad_u32 v4, v7, s40, v4
	s_delay_alu instid0(VALU_DEP_2) | instskip(SKIP_2) | instid1(VALU_DEP_3)
	v_mul_lo_u32 v3, v1, s39
	v_mad_u32 v5, v7, s42, v5
	v_mad_u32 v6, v7, s41, v6
	v_sub_nc_u32_e32 v2, v2, v3
	s_delay_alu instid0(VALU_DEP_1) | instskip(NEXT) | instid1(VALU_DEP_4)
	v_mad_u32 v4, v2, s43, v4
	v_mad_u32 v5, v2, s37, v5
	s_delay_alu instid0(VALU_DEP_4)
	v_mad_u32 v6, v2, s36, v6
	s_cbranch_scc0 .LBB21_60
; %bb.61:
	s_bitcmp1_b32 s31, 0
	s_cselect_b32 s35, -1, 0
	s_delay_alu instid0(SALU_CYCLE_1)
	s_and_b32 vcc_lo, exec_lo, s35
	s_cbranch_vccnz .LBB21_65
; %bb.62:
	s_clause 0x1
	s_load_b96 s[36:38], s[14:15], 0x1c
	s_load_b96 s[40:42], s[14:15], 0xdc
	s_wait_kmcnt 0x0
	v_mul_hi_u32 v2, s37, v1
	s_delay_alu instid0(VALU_DEP_1) | instskip(NEXT) | instid1(VALU_DEP_1)
	v_add_nc_u32_e32 v2, v1, v2
	v_lshrrev_b32_e32 v2, s38, v2
	s_delay_alu instid0(VALU_DEP_1) | instskip(NEXT) | instid1(VALU_DEP_1)
	v_mul_lo_u32 v2, v2, s36
	v_sub_nc_u32_e32 v1, v1, v2
	s_delay_alu instid0(VALU_DEP_1)
	v_mad_u32 v4, v1, s40, v4
	v_mad_u32 v6, v1, s41, v6
	;; [unrolled: 1-line block ×3, first 2 shown]
	s_branch .LBB21_65
.LBB21_63:
                                        ; implicit-def: $vgpr5
                                        ; implicit-def: $vgpr6
                                        ; implicit-def: $vgpr4
	s_branch .LBB21_66
.LBB21_64:
	v_dual_mov_b32 v5, 0 :: v_dual_mov_b32 v6, 0
	v_mov_b32_e32 v4, 0
.LBB21_65:
	s_cbranch_execnz .LBB21_68
.LBB21_66:
	v_mov_b32_e32 v1, 0
	s_and_not1_b32 vcc_lo, exec_lo, s30
	s_delay_alu instid0(VALU_DEP_1) | instskip(NEXT) | instid1(VALU_DEP_1)
	v_mul_u64_e32 v[2:3], s[20:21], v[0:1]
	v_add_nc_u32_e32 v2, v0, v3
	s_delay_alu instid0(VALU_DEP_1) | instskip(NEXT) | instid1(VALU_DEP_1)
	v_lshrrev_b32_e32 v2, s6, v2
	v_mul_lo_u32 v3, v2, s4
	s_delay_alu instid0(VALU_DEP_1) | instskip(NEXT) | instid1(VALU_DEP_1)
	v_sub_nc_u32_e32 v3, v0, v3
	v_mul_lo_u32 v4, v3, s8
	v_mul_lo_u32 v5, v3, s10
	;; [unrolled: 1-line block ×3, first 2 shown]
	s_cbranch_vccnz .LBB21_68
; %bb.67:
	v_mov_b32_e32 v3, v1
	s_delay_alu instid0(VALU_DEP_1) | instskip(NEXT) | instid1(VALU_DEP_1)
	v_mul_u64_e32 v[8:9], s[24:25], v[2:3]
	v_add_nc_u32_e32 v1, v2, v9
	s_delay_alu instid0(VALU_DEP_1) | instskip(NEXT) | instid1(VALU_DEP_1)
	v_lshrrev_b32_e32 v1, s19, v1
	v_mul_lo_u32 v1, v1, s7
	s_delay_alu instid0(VALU_DEP_1) | instskip(NEXT) | instid1(VALU_DEP_1)
	v_sub_nc_u32_e32 v1, v2, v1
	v_mad_u32 v4, v1, s11, v4
	v_mad_u32 v6, v1, s22, v6
	;; [unrolled: 1-line block ×3, first 2 shown]
.LBB21_68:
	global_load_u8 v1, v6, s[2:3]
	global_load_u8 v2, v5, s[12:13]
	v_add_nc_u32_e32 v0, 0x80, v0
	s_wait_loadcnt 0x0
	v_cmp_ne_u16_e32 vcc_lo, v1, v2
	s_xor_b32 s14, s5, vcc_lo
	s_delay_alu instid0(SALU_CYCLE_1) | instskip(SKIP_3) | instid1(SALU_CYCLE_1)
	v_cndmask_b32_e64 v1, 0, 1, s14
	global_store_b8 v4, v1, s[0:1]
	s_wait_xcnt 0x0
	s_or_b32 exec_lo, exec_lo, s18
	s_mov_b32 s18, exec_lo
	v_cmpx_gt_i32_e64 s33, v0
	s_cbranch_execz .LBB21_7
.LBB21_69:
	s_and_not1_b32 vcc_lo, exec_lo, s28
	s_cbranch_vccnz .LBB21_75
; %bb.70:
	s_and_not1_b32 vcc_lo, exec_lo, s34
	s_cbranch_vccnz .LBB21_76
; %bb.71:
	v_dual_mov_b32 v4, 0 :: v_dual_mov_b32 v1, v0
	v_dual_mov_b32 v6, 0 :: v_dual_mov_b32 v5, 0
	s_add_co_i32 s35, s31, 1
	s_mov_b64 s[14:15], 0xffffffffffffffe8
	s_and_b32 s35, s35, 30
	s_add_nc_u64 s[14:15], s[16:17], s[14:15]
.LBB21_72:                              ; =>This Inner Loop Header: Depth=1
	s_clause 0x1
	s_load_b128 s[36:39], s[14:15], 0x1c
	s_load_b64 s[44:45], s[14:15], 0x2c
	s_add_co_i32 s35, s35, -2
	s_delay_alu instid0(SALU_CYCLE_1) | instskip(SKIP_2) | instid1(VALU_DEP_1)
	s_cmp_eq_u32 s35, 0
	s_wait_kmcnt 0x0
	v_mul_hi_u32 v2, s37, v1
	v_add_nc_u32_e32 v2, v1, v2
	s_delay_alu instid0(VALU_DEP_1) | instskip(NEXT) | instid1(VALU_DEP_1)
	v_lshrrev_b32_e32 v2, s38, v2
	v_mul_hi_u32 v3, s44, v2
	v_mul_lo_u32 v7, v2, s36
	s_clause 0x1
	s_load_b128 s[40:43], s[14:15], 0xdc
	s_load_b64 s[36:37], s[14:15], 0xec
	s_wait_xcnt 0x0
	s_add_nc_u64 s[14:15], s[14:15], 24
	s_delay_alu instid0(VALU_DEP_2) | instskip(NEXT) | instid1(VALU_DEP_2)
	v_add_nc_u32_e32 v3, v2, v3
	v_sub_nc_u32_e32 v7, v1, v7
	s_delay_alu instid0(VALU_DEP_2) | instskip(SKIP_1) | instid1(VALU_DEP_2)
	v_lshrrev_b32_e32 v1, s45, v3
	s_wait_kmcnt 0x0
	v_mad_u32 v4, v7, s40, v4
	s_delay_alu instid0(VALU_DEP_2) | instskip(SKIP_2) | instid1(VALU_DEP_3)
	v_mul_lo_u32 v3, v1, s39
	v_mad_u32 v5, v7, s42, v5
	v_mad_u32 v6, v7, s41, v6
	v_sub_nc_u32_e32 v2, v2, v3
	s_delay_alu instid0(VALU_DEP_1) | instskip(NEXT) | instid1(VALU_DEP_4)
	v_mad_u32 v4, v2, s43, v4
	v_mad_u32 v5, v2, s37, v5
	s_delay_alu instid0(VALU_DEP_4)
	v_mad_u32 v6, v2, s36, v6
	s_cbranch_scc0 .LBB21_72
; %bb.73:
	s_bitcmp1_b32 s31, 0
	s_cselect_b32 s35, -1, 0
	s_delay_alu instid0(SALU_CYCLE_1)
	s_and_b32 vcc_lo, exec_lo, s35
	s_cbranch_vccnz .LBB21_77
; %bb.74:
	s_clause 0x1
	s_load_b96 s[36:38], s[14:15], 0x1c
	s_load_b96 s[40:42], s[14:15], 0xdc
	s_wait_kmcnt 0x0
	v_mul_hi_u32 v2, s37, v1
	s_delay_alu instid0(VALU_DEP_1) | instskip(NEXT) | instid1(VALU_DEP_1)
	v_add_nc_u32_e32 v2, v1, v2
	v_lshrrev_b32_e32 v2, s38, v2
	s_delay_alu instid0(VALU_DEP_1) | instskip(NEXT) | instid1(VALU_DEP_1)
	v_mul_lo_u32 v2, v2, s36
	v_sub_nc_u32_e32 v1, v1, v2
	s_delay_alu instid0(VALU_DEP_1)
	v_mad_u32 v4, v1, s40, v4
	v_mad_u32 v6, v1, s41, v6
	v_mad_u32 v5, v1, s42, v5
	s_branch .LBB21_77
.LBB21_75:
                                        ; implicit-def: $vgpr5
                                        ; implicit-def: $vgpr6
                                        ; implicit-def: $vgpr4
	s_branch .LBB21_78
.LBB21_76:
	v_dual_mov_b32 v5, 0 :: v_dual_mov_b32 v6, 0
	v_mov_b32_e32 v4, 0
.LBB21_77:
	s_cbranch_execnz .LBB21_80
.LBB21_78:
	v_mov_b32_e32 v1, 0
	s_and_not1_b32 vcc_lo, exec_lo, s30
	s_delay_alu instid0(VALU_DEP_1) | instskip(NEXT) | instid1(VALU_DEP_1)
	v_mul_u64_e32 v[2:3], s[20:21], v[0:1]
	v_add_nc_u32_e32 v2, v0, v3
	s_delay_alu instid0(VALU_DEP_1) | instskip(NEXT) | instid1(VALU_DEP_1)
	v_lshrrev_b32_e32 v2, s6, v2
	v_mul_lo_u32 v3, v2, s4
	s_delay_alu instid0(VALU_DEP_1) | instskip(NEXT) | instid1(VALU_DEP_1)
	v_sub_nc_u32_e32 v3, v0, v3
	v_mul_lo_u32 v4, v3, s8
	v_mul_lo_u32 v5, v3, s10
	;; [unrolled: 1-line block ×3, first 2 shown]
	s_cbranch_vccnz .LBB21_80
; %bb.79:
	v_mov_b32_e32 v3, v1
	s_delay_alu instid0(VALU_DEP_1) | instskip(NEXT) | instid1(VALU_DEP_1)
	v_mul_u64_e32 v[8:9], s[24:25], v[2:3]
	v_add_nc_u32_e32 v1, v2, v9
	s_delay_alu instid0(VALU_DEP_1) | instskip(NEXT) | instid1(VALU_DEP_1)
	v_lshrrev_b32_e32 v1, s19, v1
	v_mul_lo_u32 v1, v1, s7
	s_delay_alu instid0(VALU_DEP_1) | instskip(NEXT) | instid1(VALU_DEP_1)
	v_sub_nc_u32_e32 v1, v2, v1
	v_mad_u32 v4, v1, s11, v4
	v_mad_u32 v6, v1, s22, v6
	;; [unrolled: 1-line block ×3, first 2 shown]
.LBB21_80:
	global_load_u8 v1, v6, s[2:3]
	global_load_u8 v2, v5, s[12:13]
	v_add_nc_u32_e32 v0, 0x80, v0
	s_wait_loadcnt 0x0
	v_cmp_ne_u16_e32 vcc_lo, v1, v2
	s_xor_b32 s14, s5, vcc_lo
	s_delay_alu instid0(SALU_CYCLE_1) | instskip(SKIP_3) | instid1(SALU_CYCLE_1)
	v_cndmask_b32_e64 v1, 0, 1, s14
	global_store_b8 v4, v1, s[0:1]
	s_wait_xcnt 0x0
	s_or_b32 exec_lo, exec_lo, s18
	s_mov_b32 s18, exec_lo
	v_cmpx_gt_i32_e64 s33, v0
	s_cbranch_execz .LBB21_8
.LBB21_81:
	s_and_not1_b32 vcc_lo, exec_lo, s28
	s_cbranch_vccnz .LBB21_87
; %bb.82:
	s_and_not1_b32 vcc_lo, exec_lo, s34
	s_cbranch_vccnz .LBB21_88
; %bb.83:
	v_dual_mov_b32 v4, 0 :: v_dual_mov_b32 v1, v0
	v_dual_mov_b32 v6, 0 :: v_dual_mov_b32 v5, 0
	s_add_co_i32 s35, s31, 1
	s_mov_b64 s[14:15], 0xffffffffffffffe8
	s_and_b32 s35, s35, 30
	s_add_nc_u64 s[14:15], s[16:17], s[14:15]
.LBB21_84:                              ; =>This Inner Loop Header: Depth=1
	s_clause 0x1
	s_load_b128 s[36:39], s[14:15], 0x1c
	s_load_b64 s[44:45], s[14:15], 0x2c
	s_add_co_i32 s35, s35, -2
	s_delay_alu instid0(SALU_CYCLE_1) | instskip(SKIP_2) | instid1(VALU_DEP_1)
	s_cmp_eq_u32 s35, 0
	s_wait_kmcnt 0x0
	v_mul_hi_u32 v2, s37, v1
	v_add_nc_u32_e32 v2, v1, v2
	s_delay_alu instid0(VALU_DEP_1) | instskip(NEXT) | instid1(VALU_DEP_1)
	v_lshrrev_b32_e32 v2, s38, v2
	v_mul_hi_u32 v3, s44, v2
	v_mul_lo_u32 v7, v2, s36
	s_clause 0x1
	s_load_b128 s[40:43], s[14:15], 0xdc
	s_load_b64 s[36:37], s[14:15], 0xec
	s_wait_xcnt 0x0
	s_add_nc_u64 s[14:15], s[14:15], 24
	s_delay_alu instid0(VALU_DEP_2) | instskip(NEXT) | instid1(VALU_DEP_2)
	v_add_nc_u32_e32 v3, v2, v3
	v_sub_nc_u32_e32 v7, v1, v7
	s_delay_alu instid0(VALU_DEP_2) | instskip(SKIP_1) | instid1(VALU_DEP_2)
	v_lshrrev_b32_e32 v1, s45, v3
	s_wait_kmcnt 0x0
	v_mad_u32 v4, v7, s40, v4
	s_delay_alu instid0(VALU_DEP_2) | instskip(SKIP_2) | instid1(VALU_DEP_3)
	v_mul_lo_u32 v3, v1, s39
	v_mad_u32 v5, v7, s42, v5
	v_mad_u32 v6, v7, s41, v6
	v_sub_nc_u32_e32 v2, v2, v3
	s_delay_alu instid0(VALU_DEP_1) | instskip(NEXT) | instid1(VALU_DEP_4)
	v_mad_u32 v4, v2, s43, v4
	v_mad_u32 v5, v2, s37, v5
	s_delay_alu instid0(VALU_DEP_4)
	v_mad_u32 v6, v2, s36, v6
	s_cbranch_scc0 .LBB21_84
; %bb.85:
	s_bitcmp1_b32 s31, 0
	s_cselect_b32 s35, -1, 0
	s_delay_alu instid0(SALU_CYCLE_1)
	s_and_b32 vcc_lo, exec_lo, s35
	s_cbranch_vccnz .LBB21_89
; %bb.86:
	s_clause 0x1
	s_load_b96 s[36:38], s[14:15], 0x1c
	s_load_b96 s[40:42], s[14:15], 0xdc
	s_wait_kmcnt 0x0
	v_mul_hi_u32 v2, s37, v1
	s_delay_alu instid0(VALU_DEP_1) | instskip(NEXT) | instid1(VALU_DEP_1)
	v_add_nc_u32_e32 v2, v1, v2
	v_lshrrev_b32_e32 v2, s38, v2
	s_delay_alu instid0(VALU_DEP_1) | instskip(NEXT) | instid1(VALU_DEP_1)
	v_mul_lo_u32 v2, v2, s36
	v_sub_nc_u32_e32 v1, v1, v2
	s_delay_alu instid0(VALU_DEP_1)
	v_mad_u32 v4, v1, s40, v4
	v_mad_u32 v6, v1, s41, v6
	;; [unrolled: 1-line block ×3, first 2 shown]
	s_branch .LBB21_89
.LBB21_87:
                                        ; implicit-def: $vgpr5
                                        ; implicit-def: $vgpr6
                                        ; implicit-def: $vgpr4
	s_branch .LBB21_90
.LBB21_88:
	v_dual_mov_b32 v5, 0 :: v_dual_mov_b32 v6, 0
	v_mov_b32_e32 v4, 0
.LBB21_89:
	s_cbranch_execnz .LBB21_92
.LBB21_90:
	v_mov_b32_e32 v1, 0
	s_and_not1_b32 vcc_lo, exec_lo, s30
	s_delay_alu instid0(VALU_DEP_1) | instskip(NEXT) | instid1(VALU_DEP_1)
	v_mul_u64_e32 v[2:3], s[20:21], v[0:1]
	v_add_nc_u32_e32 v2, v0, v3
	s_delay_alu instid0(VALU_DEP_1) | instskip(NEXT) | instid1(VALU_DEP_1)
	v_lshrrev_b32_e32 v2, s6, v2
	v_mul_lo_u32 v3, v2, s4
	s_delay_alu instid0(VALU_DEP_1) | instskip(NEXT) | instid1(VALU_DEP_1)
	v_sub_nc_u32_e32 v3, v0, v3
	v_mul_lo_u32 v4, v3, s8
	v_mul_lo_u32 v5, v3, s10
	v_mul_lo_u32 v6, v3, s9
	s_cbranch_vccnz .LBB21_92
; %bb.91:
	v_mov_b32_e32 v3, v1
	s_delay_alu instid0(VALU_DEP_1) | instskip(NEXT) | instid1(VALU_DEP_1)
	v_mul_u64_e32 v[8:9], s[24:25], v[2:3]
	v_add_nc_u32_e32 v1, v2, v9
	s_delay_alu instid0(VALU_DEP_1) | instskip(NEXT) | instid1(VALU_DEP_1)
	v_lshrrev_b32_e32 v1, s19, v1
	v_mul_lo_u32 v1, v1, s7
	s_delay_alu instid0(VALU_DEP_1) | instskip(NEXT) | instid1(VALU_DEP_1)
	v_sub_nc_u32_e32 v1, v2, v1
	v_mad_u32 v4, v1, s11, v4
	v_mad_u32 v6, v1, s22, v6
	;; [unrolled: 1-line block ×3, first 2 shown]
.LBB21_92:
	global_load_u8 v1, v6, s[2:3]
	global_load_u8 v2, v5, s[12:13]
	v_add_nc_u32_e32 v0, 0x80, v0
	s_wait_loadcnt 0x0
	v_cmp_ne_u16_e32 vcc_lo, v1, v2
	s_xor_b32 s14, s5, vcc_lo
	s_delay_alu instid0(SALU_CYCLE_1) | instskip(SKIP_3) | instid1(SALU_CYCLE_1)
	v_cndmask_b32_e64 v1, 0, 1, s14
	global_store_b8 v4, v1, s[0:1]
	s_wait_xcnt 0x0
	s_or_b32 exec_lo, exec_lo, s18
	s_mov_b32 s18, exec_lo
	v_cmpx_gt_i32_e64 s33, v0
	s_cbranch_execz .LBB21_105
.LBB21_93:
	s_and_not1_b32 vcc_lo, exec_lo, s28
	s_cbranch_vccnz .LBB21_99
; %bb.94:
	s_and_not1_b32 vcc_lo, exec_lo, s34
	s_cbranch_vccnz .LBB21_100
; %bb.95:
	v_dual_mov_b32 v4, 0 :: v_dual_mov_b32 v1, v0
	v_dual_mov_b32 v6, 0 :: v_dual_mov_b32 v5, 0
	s_add_co_i32 s33, s31, 1
	s_mov_b64 s[14:15], 0xffffffffffffffe8
	s_and_b32 s33, s33, 30
	s_add_nc_u64 s[14:15], s[16:17], s[14:15]
.LBB21_96:                              ; =>This Inner Loop Header: Depth=1
	s_clause 0x1
	s_load_b128 s[36:39], s[14:15], 0x1c
	s_load_b64 s[34:35], s[14:15], 0x2c
	s_add_co_i32 s33, s33, -2
	s_delay_alu instid0(SALU_CYCLE_1) | instskip(SKIP_2) | instid1(VALU_DEP_1)
	s_cmp_eq_u32 s33, 0
	s_wait_kmcnt 0x0
	v_mul_hi_u32 v2, s37, v1
	v_add_nc_u32_e32 v2, v1, v2
	s_delay_alu instid0(VALU_DEP_1) | instskip(NEXT) | instid1(VALU_DEP_1)
	v_lshrrev_b32_e32 v2, s38, v2
	v_mul_hi_u32 v3, s34, v2
	v_mul_lo_u32 v7, v2, s36
	s_clause 0x1
	s_load_b128 s[40:43], s[14:15], 0xdc
	s_load_b64 s[36:37], s[14:15], 0xec
	s_wait_xcnt 0x0
	s_add_nc_u64 s[14:15], s[14:15], 24
	s_delay_alu instid0(VALU_DEP_2) | instskip(NEXT) | instid1(VALU_DEP_2)
	v_add_nc_u32_e32 v3, v2, v3
	v_sub_nc_u32_e32 v7, v1, v7
	s_delay_alu instid0(VALU_DEP_2) | instskip(SKIP_1) | instid1(VALU_DEP_2)
	v_lshrrev_b32_e32 v1, s35, v3
	s_wait_kmcnt 0x0
	v_mad_u32 v4, v7, s40, v4
	s_delay_alu instid0(VALU_DEP_2) | instskip(SKIP_2) | instid1(VALU_DEP_3)
	v_mul_lo_u32 v3, v1, s39
	v_mad_u32 v5, v7, s42, v5
	v_mad_u32 v6, v7, s41, v6
	v_sub_nc_u32_e32 v2, v2, v3
	s_delay_alu instid0(VALU_DEP_1) | instskip(NEXT) | instid1(VALU_DEP_4)
	v_mad_u32 v4, v2, s43, v4
	v_mad_u32 v5, v2, s37, v5
	s_delay_alu instid0(VALU_DEP_4)
	v_mad_u32 v6, v2, s36, v6
	s_cbranch_scc0 .LBB21_96
; %bb.97:
	s_bitcmp1_b32 s31, 0
	s_cselect_b32 s31, -1, 0
	s_delay_alu instid0(SALU_CYCLE_1)
	s_and_b32 vcc_lo, exec_lo, s31
	s_cbranch_vccnz .LBB21_101
; %bb.98:
	s_clause 0x1
	s_load_b96 s[36:38], s[14:15], 0x1c
	s_load_b96 s[40:42], s[14:15], 0xdc
	s_wait_kmcnt 0x0
	v_mul_hi_u32 v2, s37, v1
	s_delay_alu instid0(VALU_DEP_1) | instskip(NEXT) | instid1(VALU_DEP_1)
	v_add_nc_u32_e32 v2, v1, v2
	v_lshrrev_b32_e32 v2, s38, v2
	s_delay_alu instid0(VALU_DEP_1) | instskip(NEXT) | instid1(VALU_DEP_1)
	v_mul_lo_u32 v2, v2, s36
	v_sub_nc_u32_e32 v1, v1, v2
	s_delay_alu instid0(VALU_DEP_1)
	v_mad_u32 v4, v1, s40, v4
	v_mad_u32 v6, v1, s41, v6
	;; [unrolled: 1-line block ×3, first 2 shown]
	s_branch .LBB21_101
.LBB21_99:
                                        ; implicit-def: $vgpr5
                                        ; implicit-def: $vgpr6
                                        ; implicit-def: $vgpr4
	s_branch .LBB21_102
.LBB21_100:
	v_dual_mov_b32 v5, 0 :: v_dual_mov_b32 v6, 0
	v_mov_b32_e32 v4, 0
.LBB21_101:
	s_cbranch_execnz .LBB21_104
.LBB21_102:
	v_mov_b32_e32 v1, 0
	s_and_not1_b32 vcc_lo, exec_lo, s30
	s_delay_alu instid0(VALU_DEP_1) | instskip(NEXT) | instid1(VALU_DEP_1)
	v_mul_u64_e32 v[2:3], s[20:21], v[0:1]
	v_add_nc_u32_e32 v2, v0, v3
	s_delay_alu instid0(VALU_DEP_1) | instskip(NEXT) | instid1(VALU_DEP_1)
	v_lshrrev_b32_e32 v2, s6, v2
	v_mul_lo_u32 v3, v2, s4
	s_delay_alu instid0(VALU_DEP_1) | instskip(NEXT) | instid1(VALU_DEP_1)
	v_sub_nc_u32_e32 v0, v0, v3
	v_mul_lo_u32 v4, v0, s8
	v_mul_lo_u32 v5, v0, s10
	;; [unrolled: 1-line block ×3, first 2 shown]
	s_cbranch_vccnz .LBB21_104
; %bb.103:
	v_mov_b32_e32 v3, v1
	s_delay_alu instid0(VALU_DEP_1) | instskip(NEXT) | instid1(VALU_DEP_1)
	v_mul_u64_e32 v[0:1], s[24:25], v[2:3]
	v_add_nc_u32_e32 v0, v2, v1
	s_delay_alu instid0(VALU_DEP_1) | instskip(NEXT) | instid1(VALU_DEP_1)
	v_lshrrev_b32_e32 v0, s19, v0
	v_mul_lo_u32 v0, v0, s7
	s_delay_alu instid0(VALU_DEP_1) | instskip(NEXT) | instid1(VALU_DEP_1)
	v_sub_nc_u32_e32 v0, v2, v0
	v_mad_u32 v4, v0, s11, v4
	v_mad_u32 v6, v0, s22, v6
	;; [unrolled: 1-line block ×3, first 2 shown]
.LBB21_104:
	global_load_u8 v0, v6, s[2:3]
	global_load_u8 v1, v5, s[12:13]
	s_wait_loadcnt 0x0
	v_cmp_ne_u16_e32 vcc_lo, v0, v1
	s_wait_xcnt 0x1
	s_xor_b32 s2, s5, vcc_lo
	s_delay_alu instid0(SALU_CYCLE_1)
	v_cndmask_b32_e64 v0, 0, 1, s2
	global_store_b8 v4, v0, s[0:1]
.LBB21_105:
	s_wait_xcnt 0x0
	s_or_b32 exec_lo, exec_lo, s18
                                        ; implicit-def: $vgpr4
                                        ; implicit-def: $vgpr0
.LBB21_106:
	s_and_not1_saveexec_b32 s0, s29
	s_cbranch_execz .LBB21_113
; %bb.107:
	v_cndmask_b32_e64 v8, 0, 1, s28
	s_and_not1_b32 vcc_lo, exec_lo, s28
	s_cbranch_vccnz .LBB21_114
; %bb.108:
	s_cmp_lg_u32 s26, 0
	s_mov_b32 s2, 0
	s_cbranch_scc0 .LBB21_118
; %bb.109:
	s_min_u32 s3, s27, 15
	v_dual_mov_b32 v1, 0 :: v_dual_mov_b32 v5, v0
	v_dual_mov_b32 v3, 0 :: v_dual_mov_b32 v2, 0
	s_add_co_i32 s4, s3, 1
	s_mov_b64 s[0:1], 0xffffffffffffffe8
	s_and_b32 s4, s4, 30
	s_add_nc_u64 s[0:1], s[16:17], s[0:1]
.LBB21_110:                             ; =>This Inner Loop Header: Depth=1
	s_clause 0x1
	s_load_b128 s[8:11], s[0:1], 0x1c
	s_load_b64 s[6:7], s[0:1], 0x2c
	s_add_co_i32 s4, s4, -2
	s_delay_alu instid0(SALU_CYCLE_1) | instskip(SKIP_2) | instid1(VALU_DEP_1)
	s_cmp_lg_u32 s4, 0
	s_wait_kmcnt 0x0
	v_mul_hi_u32 v6, s9, v5
	v_add_nc_u32_e32 v6, v5, v6
	s_delay_alu instid0(VALU_DEP_1) | instskip(NEXT) | instid1(VALU_DEP_1)
	v_lshrrev_b32_e32 v6, s10, v6
	v_mul_hi_u32 v7, s6, v6
	v_mul_lo_u32 v9, v6, s8
	s_clause 0x1
	s_load_b128 s[12:15], s[0:1], 0xdc
	s_load_b64 s[8:9], s[0:1], 0xec
	s_wait_xcnt 0x0
	s_add_nc_u64 s[0:1], s[0:1], 24
	s_delay_alu instid0(VALU_DEP_1) | instskip(NEXT) | instid1(VALU_DEP_1)
	v_dual_add_nc_u32 v7, v6, v7 :: v_dual_sub_nc_u32 v9, v5, v9
	v_lshrrev_b32_e32 v5, s7, v7
	s_wait_kmcnt 0x0
	s_delay_alu instid0(VALU_DEP_2) | instskip(NEXT) | instid1(VALU_DEP_2)
	v_mad_u32 v1, v9, s12, v1
	v_mul_lo_u32 v7, v5, s11
	v_mad_u32 v2, v9, s14, v2
	v_mad_u32 v3, v9, s13, v3
	s_delay_alu instid0(VALU_DEP_3) | instskip(NEXT) | instid1(VALU_DEP_1)
	v_sub_nc_u32_e32 v6, v6, v7
	v_mad_u32 v1, v6, s15, v1
	s_delay_alu instid0(VALU_DEP_4) | instskip(NEXT) | instid1(VALU_DEP_4)
	v_mad_u32 v2, v6, s9, v2
	v_mad_u32 v3, v6, s8, v3
	s_cbranch_scc1 .LBB21_110
; %bb.111:
	s_bitcmp1_b32 s3, 0
	s_cselect_b32 s3, -1, 0
	s_delay_alu instid0(SALU_CYCLE_1)
	s_and_b32 vcc_lo, exec_lo, s3
	s_cbranch_vccnz .LBB21_115
; %bb.112:
	s_clause 0x1
	s_load_b96 s[4:6], s[0:1], 0x1c
	s_load_b96 s[8:10], s[0:1], 0xdc
	s_wait_kmcnt 0x0
	v_mul_hi_u32 v6, s5, v5
	s_delay_alu instid0(VALU_DEP_1) | instskip(NEXT) | instid1(VALU_DEP_1)
	v_add_nc_u32_e32 v6, v5, v6
	v_lshrrev_b32_e32 v6, s6, v6
	s_delay_alu instid0(VALU_DEP_1) | instskip(NEXT) | instid1(VALU_DEP_1)
	v_mul_lo_u32 v6, v6, s4
	v_sub_nc_u32_e32 v5, v5, v6
	s_delay_alu instid0(VALU_DEP_1)
	v_mad_u32 v1, v5, s8, v1
	v_mad_u32 v3, v5, s9, v3
	;; [unrolled: 1-line block ×3, first 2 shown]
	s_and_not1_b32 vcc_lo, exec_lo, s2
	s_cbranch_vccz .LBB21_116
	s_branch .LBB21_119
.LBB21_113:
	s_endpgm
.LBB21_114:
	s_mov_b32 s2, -1
                                        ; implicit-def: $vgpr2
                                        ; implicit-def: $vgpr3
                                        ; implicit-def: $vgpr1
.LBB21_115:
	s_delay_alu instid0(SALU_CYCLE_1)
	s_and_not1_b32 vcc_lo, exec_lo, s2
	s_cbranch_vccnz .LBB21_119
.LBB21_116:
	s_clause 0x1
	s_load_b96 s[0:2], s[16:17], 0x4
	s_load_b96 s[4:6], s[16:17], 0xc4
	s_cmp_lt_u32 s26, 2
	s_wait_kmcnt 0x0
	v_mul_hi_u32 v1, s1, v0
	s_delay_alu instid0(VALU_DEP_1) | instskip(NEXT) | instid1(VALU_DEP_1)
	v_add_nc_u32_e32 v1, v0, v1
	v_lshrrev_b32_e32 v5, s2, v1
	s_delay_alu instid0(VALU_DEP_1) | instskip(NEXT) | instid1(VALU_DEP_1)
	v_mul_lo_u32 v1, v5, s0
	v_sub_nc_u32_e32 v3, v0, v1
	s_delay_alu instid0(VALU_DEP_1)
	v_mul_lo_u32 v1, v3, s4
	v_mul_lo_u32 v2, v3, s6
	;; [unrolled: 1-line block ×3, first 2 shown]
	s_cbranch_scc1 .LBB21_119
; %bb.117:
	s_clause 0x1
	s_load_b96 s[0:2], s[16:17], 0x10
	s_load_b96 s[4:6], s[16:17], 0xd0
	s_wait_kmcnt 0x0
	v_mul_hi_u32 v6, s1, v5
	s_delay_alu instid0(VALU_DEP_1) | instskip(NEXT) | instid1(VALU_DEP_1)
	v_add_nc_u32_e32 v6, v5, v6
	v_lshrrev_b32_e32 v6, s2, v6
	s_delay_alu instid0(VALU_DEP_1) | instskip(NEXT) | instid1(VALU_DEP_1)
	v_mul_lo_u32 v6, v6, s0
	v_sub_nc_u32_e32 v5, v5, v6
	s_delay_alu instid0(VALU_DEP_1)
	v_mad_u32 v1, v5, s4, v1
	v_mad_u32 v3, v5, s5, v3
	;; [unrolled: 1-line block ×3, first 2 shown]
	s_branch .LBB21_119
.LBB21_118:
	v_dual_mov_b32 v2, 0 :: v_dual_mov_b32 v3, 0
	v_mov_b32_e32 v1, 0
	s_and_not1_b32 vcc_lo, exec_lo, s2
	s_cbranch_vccz .LBB21_116
.LBB21_119:
	v_cmp_ne_u32_e32 vcc_lo, 1, v8
	v_add_nc_u32_e32 v9, 0x80, v0
	s_cbranch_vccnz .LBB21_125
; %bb.120:
	s_cmp_lg_u32 s26, 0
	s_mov_b32 s2, 0
	s_cbranch_scc0 .LBB21_129
; %bb.121:
	s_min_u32 s3, s27, 15
	v_dual_mov_b32 v5, 0 :: v_dual_mov_b32 v10, v9
	v_dual_mov_b32 v6, 0 :: v_dual_mov_b32 v7, 0
	s_add_co_i32 s4, s3, 1
	s_mov_b64 s[0:1], 0xffffffffffffffe8
	s_and_b32 s4, s4, 30
	s_add_nc_u64 s[0:1], s[16:17], s[0:1]
.LBB21_122:                             ; =>This Inner Loop Header: Depth=1
	s_clause 0x1
	s_load_b128 s[8:11], s[0:1], 0x1c
	s_load_b64 s[6:7], s[0:1], 0x2c
	s_add_co_i32 s4, s4, -2
	s_delay_alu instid0(SALU_CYCLE_1) | instskip(SKIP_2) | instid1(VALU_DEP_1)
	s_cmp_lg_u32 s4, 0
	s_wait_kmcnt 0x0
	v_mul_hi_u32 v11, s9, v10
	v_add_nc_u32_e32 v11, v10, v11
	s_delay_alu instid0(VALU_DEP_1) | instskip(NEXT) | instid1(VALU_DEP_1)
	v_lshrrev_b32_e32 v11, s10, v11
	v_mul_hi_u32 v12, s6, v11
	v_mul_lo_u32 v13, v11, s8
	s_clause 0x1
	s_load_b128 s[12:15], s[0:1], 0xdc
	s_load_b64 s[8:9], s[0:1], 0xec
	s_wait_xcnt 0x0
	s_add_nc_u64 s[0:1], s[0:1], 24
	s_delay_alu instid0(VALU_DEP_1) | instskip(NEXT) | instid1(VALU_DEP_1)
	v_dual_add_nc_u32 v12, v11, v12 :: v_dual_sub_nc_u32 v13, v10, v13
	v_lshrrev_b32_e32 v10, s7, v12
	s_wait_kmcnt 0x0
	s_delay_alu instid0(VALU_DEP_2) | instskip(NEXT) | instid1(VALU_DEP_2)
	v_mad_u32 v5, v13, s12, v5
	v_mul_lo_u32 v12, v10, s11
	v_mad_u32 v7, v13, s14, v7
	v_mad_u32 v6, v13, s13, v6
	s_delay_alu instid0(VALU_DEP_3) | instskip(NEXT) | instid1(VALU_DEP_1)
	v_sub_nc_u32_e32 v11, v11, v12
	v_mad_u32 v5, v11, s15, v5
	s_delay_alu instid0(VALU_DEP_4) | instskip(NEXT) | instid1(VALU_DEP_4)
	v_mad_u32 v7, v11, s9, v7
	v_mad_u32 v6, v11, s8, v6
	s_cbranch_scc1 .LBB21_122
; %bb.123:
	s_bitcmp1_b32 s3, 0
	s_cselect_b32 s3, -1, 0
	s_delay_alu instid0(SALU_CYCLE_1)
	s_and_b32 vcc_lo, exec_lo, s3
	s_cbranch_vccnz .LBB21_126
; %bb.124:
	s_clause 0x1
	s_load_b96 s[4:6], s[0:1], 0x1c
	s_load_b96 s[8:10], s[0:1], 0xdc
	s_wait_kmcnt 0x0
	v_mul_hi_u32 v11, s5, v10
	s_delay_alu instid0(VALU_DEP_1) | instskip(NEXT) | instid1(VALU_DEP_1)
	v_add_nc_u32_e32 v11, v10, v11
	v_lshrrev_b32_e32 v11, s6, v11
	s_delay_alu instid0(VALU_DEP_1) | instskip(NEXT) | instid1(VALU_DEP_1)
	v_mul_lo_u32 v11, v11, s4
	v_sub_nc_u32_e32 v10, v10, v11
	s_delay_alu instid0(VALU_DEP_1)
	v_mad_u32 v5, v10, s8, v5
	v_mad_u32 v6, v10, s9, v6
	;; [unrolled: 1-line block ×3, first 2 shown]
	s_and_not1_b32 vcc_lo, exec_lo, s2
	s_cbranch_vccz .LBB21_127
	s_branch .LBB21_130
.LBB21_125:
	s_mov_b32 s2, -1
                                        ; implicit-def: $vgpr7
                                        ; implicit-def: $vgpr6
                                        ; implicit-def: $vgpr5
.LBB21_126:
	s_delay_alu instid0(SALU_CYCLE_1)
	s_and_not1_b32 vcc_lo, exec_lo, s2
	s_cbranch_vccnz .LBB21_130
.LBB21_127:
	s_clause 0x1
	s_load_b96 s[0:2], s[16:17], 0x4
	s_load_b96 s[4:6], s[16:17], 0xc4
	s_cmp_lt_u32 s26, 2
	s_wait_kmcnt 0x0
	v_mul_hi_u32 v5, s1, v9
	s_delay_alu instid0(VALU_DEP_1) | instskip(NEXT) | instid1(VALU_DEP_1)
	v_add_nc_u32_e32 v5, v9, v5
	v_lshrrev_b32_e32 v10, s2, v5
	s_delay_alu instid0(VALU_DEP_1) | instskip(NEXT) | instid1(VALU_DEP_1)
	v_mul_lo_u32 v5, v10, s0
	v_sub_nc_u32_e32 v6, v9, v5
	s_delay_alu instid0(VALU_DEP_1)
	v_mul_lo_u32 v5, v6, s4
	v_mul_lo_u32 v7, v6, s6
	;; [unrolled: 1-line block ×3, first 2 shown]
	s_cbranch_scc1 .LBB21_130
; %bb.128:
	s_clause 0x1
	s_load_b96 s[0:2], s[16:17], 0x10
	s_load_b96 s[4:6], s[16:17], 0xd0
	s_wait_kmcnt 0x0
	v_mul_hi_u32 v9, s1, v10
	s_delay_alu instid0(VALU_DEP_1) | instskip(NEXT) | instid1(VALU_DEP_1)
	v_add_nc_u32_e32 v9, v10, v9
	v_lshrrev_b32_e32 v9, s2, v9
	s_delay_alu instid0(VALU_DEP_1) | instskip(NEXT) | instid1(VALU_DEP_1)
	v_mul_lo_u32 v9, v9, s0
	v_sub_nc_u32_e32 v9, v10, v9
	s_delay_alu instid0(VALU_DEP_1)
	v_mad_u32 v5, v9, s4, v5
	v_mad_u32 v6, v9, s5, v6
	;; [unrolled: 1-line block ×3, first 2 shown]
	s_branch .LBB21_130
.LBB21_129:
	v_dual_mov_b32 v7, 0 :: v_dual_mov_b32 v6, 0
	v_mov_b32_e32 v5, 0
	s_and_not1_b32 vcc_lo, exec_lo, s2
	s_cbranch_vccz .LBB21_127
.LBB21_130:
	v_cmp_ne_u32_e32 vcc_lo, 1, v8
	v_add_nc_u32_e32 v12, 0x100, v0
	s_cbranch_vccnz .LBB21_136
; %bb.131:
	s_cmp_lg_u32 s26, 0
	s_mov_b32 s2, 0
	s_cbranch_scc0 .LBB21_140
; %bb.132:
	s_min_u32 s3, s27, 15
	v_dual_mov_b32 v9, 0 :: v_dual_mov_b32 v13, v12
	v_dual_mov_b32 v11, 0 :: v_dual_mov_b32 v10, 0
	s_add_co_i32 s4, s3, 1
	s_mov_b64 s[0:1], 0xffffffffffffffe8
	s_and_b32 s4, s4, 30
	s_add_nc_u64 s[0:1], s[16:17], s[0:1]
.LBB21_133:                             ; =>This Inner Loop Header: Depth=1
	s_clause 0x1
	s_load_b128 s[8:11], s[0:1], 0x1c
	s_load_b64 s[6:7], s[0:1], 0x2c
	s_add_co_i32 s4, s4, -2
	s_delay_alu instid0(SALU_CYCLE_1) | instskip(SKIP_2) | instid1(VALU_DEP_1)
	s_cmp_lg_u32 s4, 0
	s_wait_kmcnt 0x0
	v_mul_hi_u32 v14, s9, v13
	v_add_nc_u32_e32 v14, v13, v14
	s_delay_alu instid0(VALU_DEP_1) | instskip(NEXT) | instid1(VALU_DEP_1)
	v_lshrrev_b32_e32 v14, s10, v14
	v_mul_hi_u32 v15, s6, v14
	v_mul_lo_u32 v16, v14, s8
	s_clause 0x1
	s_load_b128 s[12:15], s[0:1], 0xdc
	s_load_b64 s[8:9], s[0:1], 0xec
	s_wait_xcnt 0x0
	s_add_nc_u64 s[0:1], s[0:1], 24
	s_delay_alu instid0(VALU_DEP_1) | instskip(NEXT) | instid1(VALU_DEP_1)
	v_dual_add_nc_u32 v15, v14, v15 :: v_dual_sub_nc_u32 v16, v13, v16
	v_lshrrev_b32_e32 v13, s7, v15
	s_wait_kmcnt 0x0
	s_delay_alu instid0(VALU_DEP_2) | instskip(NEXT) | instid1(VALU_DEP_2)
	v_mad_u32 v9, v16, s12, v9
	v_mul_lo_u32 v15, v13, s11
	v_mad_u32 v10, v16, s14, v10
	v_mad_u32 v11, v16, s13, v11
	s_delay_alu instid0(VALU_DEP_3) | instskip(NEXT) | instid1(VALU_DEP_1)
	v_sub_nc_u32_e32 v14, v14, v15
	v_mad_u32 v9, v14, s15, v9
	s_delay_alu instid0(VALU_DEP_4) | instskip(NEXT) | instid1(VALU_DEP_4)
	v_mad_u32 v10, v14, s9, v10
	v_mad_u32 v11, v14, s8, v11
	s_cbranch_scc1 .LBB21_133
; %bb.134:
	s_bitcmp1_b32 s3, 0
	s_cselect_b32 s3, -1, 0
	s_delay_alu instid0(SALU_CYCLE_1)
	s_and_b32 vcc_lo, exec_lo, s3
	s_cbranch_vccnz .LBB21_137
; %bb.135:
	s_clause 0x1
	s_load_b96 s[4:6], s[0:1], 0x1c
	s_load_b96 s[8:10], s[0:1], 0xdc
	s_wait_kmcnt 0x0
	v_mul_hi_u32 v14, s5, v13
	s_delay_alu instid0(VALU_DEP_1) | instskip(NEXT) | instid1(VALU_DEP_1)
	v_add_nc_u32_e32 v14, v13, v14
	v_lshrrev_b32_e32 v14, s6, v14
	s_delay_alu instid0(VALU_DEP_1) | instskip(NEXT) | instid1(VALU_DEP_1)
	v_mul_lo_u32 v14, v14, s4
	v_sub_nc_u32_e32 v13, v13, v14
	s_delay_alu instid0(VALU_DEP_1)
	v_mad_u32 v9, v13, s8, v9
	v_mad_u32 v11, v13, s9, v11
	;; [unrolled: 1-line block ×3, first 2 shown]
	s_and_not1_b32 vcc_lo, exec_lo, s2
	s_cbranch_vccz .LBB21_138
	s_branch .LBB21_141
.LBB21_136:
	s_mov_b32 s2, -1
                                        ; implicit-def: $vgpr10
                                        ; implicit-def: $vgpr11
                                        ; implicit-def: $vgpr9
.LBB21_137:
	s_delay_alu instid0(SALU_CYCLE_1)
	s_and_not1_b32 vcc_lo, exec_lo, s2
	s_cbranch_vccnz .LBB21_141
.LBB21_138:
	s_clause 0x1
	s_load_b96 s[0:2], s[16:17], 0x4
	s_load_b96 s[4:6], s[16:17], 0xc4
	s_cmp_lt_u32 s26, 2
	s_wait_kmcnt 0x0
	v_mul_hi_u32 v9, s1, v12
	s_delay_alu instid0(VALU_DEP_1) | instskip(NEXT) | instid1(VALU_DEP_1)
	v_add_nc_u32_e32 v9, v12, v9
	v_lshrrev_b32_e32 v13, s2, v9
	s_delay_alu instid0(VALU_DEP_1) | instskip(NEXT) | instid1(VALU_DEP_1)
	v_mul_lo_u32 v9, v13, s0
	v_sub_nc_u32_e32 v11, v12, v9
	s_delay_alu instid0(VALU_DEP_1)
	v_mul_lo_u32 v9, v11, s4
	v_mul_lo_u32 v10, v11, s6
	;; [unrolled: 1-line block ×3, first 2 shown]
	s_cbranch_scc1 .LBB21_141
; %bb.139:
	s_clause 0x1
	s_load_b96 s[0:2], s[16:17], 0x10
	s_load_b96 s[4:6], s[16:17], 0xd0
	s_wait_kmcnt 0x0
	v_mul_hi_u32 v12, s1, v13
	s_delay_alu instid0(VALU_DEP_1) | instskip(NEXT) | instid1(VALU_DEP_1)
	v_add_nc_u32_e32 v12, v13, v12
	v_lshrrev_b32_e32 v12, s2, v12
	s_delay_alu instid0(VALU_DEP_1) | instskip(NEXT) | instid1(VALU_DEP_1)
	v_mul_lo_u32 v12, v12, s0
	v_sub_nc_u32_e32 v12, v13, v12
	s_delay_alu instid0(VALU_DEP_1)
	v_mad_u32 v9, v12, s4, v9
	v_mad_u32 v11, v12, s5, v11
	;; [unrolled: 1-line block ×3, first 2 shown]
	s_branch .LBB21_141
.LBB21_140:
	v_dual_mov_b32 v10, 0 :: v_dual_mov_b32 v11, 0
	v_mov_b32_e32 v9, 0
	s_and_not1_b32 vcc_lo, exec_lo, s2
	s_cbranch_vccz .LBB21_138
.LBB21_141:
	v_cmp_ne_u32_e32 vcc_lo, 1, v8
	v_add_nc_u32_e32 v15, 0x180, v0
	s_cbranch_vccnz .LBB21_147
; %bb.142:
	s_cmp_lg_u32 s26, 0
	s_mov_b32 s2, 0
	s_cbranch_scc0 .LBB21_151
; %bb.143:
	s_min_u32 s3, s27, 15
	v_dual_mov_b32 v12, 0 :: v_dual_mov_b32 v16, v15
	v_dual_mov_b32 v14, 0 :: v_dual_mov_b32 v13, 0
	s_add_co_i32 s4, s3, 1
	s_mov_b64 s[0:1], 0xffffffffffffffe8
	s_and_b32 s4, s4, 30
	s_add_nc_u64 s[0:1], s[16:17], s[0:1]
.LBB21_144:                             ; =>This Inner Loop Header: Depth=1
	s_clause 0x1
	s_load_b128 s[8:11], s[0:1], 0x1c
	s_load_b64 s[6:7], s[0:1], 0x2c
	s_add_co_i32 s4, s4, -2
	s_delay_alu instid0(SALU_CYCLE_1) | instskip(SKIP_2) | instid1(VALU_DEP_1)
	s_cmp_lg_u32 s4, 0
	s_wait_kmcnt 0x0
	v_mul_hi_u32 v17, s9, v16
	v_add_nc_u32_e32 v17, v16, v17
	s_delay_alu instid0(VALU_DEP_1) | instskip(NEXT) | instid1(VALU_DEP_1)
	v_lshrrev_b32_e32 v17, s10, v17
	v_mul_hi_u32 v18, s6, v17
	v_mul_lo_u32 v19, v17, s8
	s_clause 0x1
	s_load_b128 s[12:15], s[0:1], 0xdc
	s_load_b64 s[8:9], s[0:1], 0xec
	s_wait_xcnt 0x0
	s_add_nc_u64 s[0:1], s[0:1], 24
	s_delay_alu instid0(VALU_DEP_1) | instskip(NEXT) | instid1(VALU_DEP_1)
	v_dual_add_nc_u32 v18, v17, v18 :: v_dual_sub_nc_u32 v19, v16, v19
	v_lshrrev_b32_e32 v16, s7, v18
	s_wait_kmcnt 0x0
	s_delay_alu instid0(VALU_DEP_2) | instskip(NEXT) | instid1(VALU_DEP_2)
	v_mad_u32 v12, v19, s12, v12
	v_mul_lo_u32 v18, v16, s11
	v_mad_u32 v13, v19, s14, v13
	v_mad_u32 v14, v19, s13, v14
	s_delay_alu instid0(VALU_DEP_3) | instskip(NEXT) | instid1(VALU_DEP_1)
	v_sub_nc_u32_e32 v17, v17, v18
	v_mad_u32 v12, v17, s15, v12
	s_delay_alu instid0(VALU_DEP_4) | instskip(NEXT) | instid1(VALU_DEP_4)
	v_mad_u32 v13, v17, s9, v13
	v_mad_u32 v14, v17, s8, v14
	s_cbranch_scc1 .LBB21_144
; %bb.145:
	s_bitcmp1_b32 s3, 0
	s_cselect_b32 s3, -1, 0
	s_delay_alu instid0(SALU_CYCLE_1)
	s_and_b32 vcc_lo, exec_lo, s3
	s_cbranch_vccnz .LBB21_148
; %bb.146:
	s_clause 0x1
	s_load_b96 s[4:6], s[0:1], 0x1c
	s_load_b96 s[8:10], s[0:1], 0xdc
	s_wait_kmcnt 0x0
	v_mul_hi_u32 v17, s5, v16
	s_delay_alu instid0(VALU_DEP_1) | instskip(NEXT) | instid1(VALU_DEP_1)
	v_add_nc_u32_e32 v17, v16, v17
	v_lshrrev_b32_e32 v17, s6, v17
	s_delay_alu instid0(VALU_DEP_1) | instskip(NEXT) | instid1(VALU_DEP_1)
	v_mul_lo_u32 v17, v17, s4
	v_sub_nc_u32_e32 v16, v16, v17
	s_delay_alu instid0(VALU_DEP_1)
	v_mad_u32 v12, v16, s8, v12
	v_mad_u32 v14, v16, s9, v14
	v_mad_u32 v13, v16, s10, v13
	s_and_not1_b32 vcc_lo, exec_lo, s2
	s_cbranch_vccz .LBB21_149
	s_branch .LBB21_152
.LBB21_147:
	s_mov_b32 s2, -1
                                        ; implicit-def: $vgpr13
                                        ; implicit-def: $vgpr14
                                        ; implicit-def: $vgpr12
.LBB21_148:
	s_delay_alu instid0(SALU_CYCLE_1)
	s_and_not1_b32 vcc_lo, exec_lo, s2
	s_cbranch_vccnz .LBB21_152
.LBB21_149:
	s_clause 0x1
	s_load_b96 s[0:2], s[16:17], 0x4
	s_load_b96 s[4:6], s[16:17], 0xc4
	s_cmp_lt_u32 s26, 2
	s_wait_kmcnt 0x0
	v_mul_hi_u32 v12, s1, v15
	s_delay_alu instid0(VALU_DEP_1) | instskip(NEXT) | instid1(VALU_DEP_1)
	v_add_nc_u32_e32 v12, v15, v12
	v_lshrrev_b32_e32 v16, s2, v12
	s_delay_alu instid0(VALU_DEP_1) | instskip(NEXT) | instid1(VALU_DEP_1)
	v_mul_lo_u32 v12, v16, s0
	v_sub_nc_u32_e32 v14, v15, v12
	s_delay_alu instid0(VALU_DEP_1)
	v_mul_lo_u32 v12, v14, s4
	v_mul_lo_u32 v13, v14, s6
	;; [unrolled: 1-line block ×3, first 2 shown]
	s_cbranch_scc1 .LBB21_152
; %bb.150:
	s_clause 0x1
	s_load_b96 s[0:2], s[16:17], 0x10
	s_load_b96 s[4:6], s[16:17], 0xd0
	s_wait_kmcnt 0x0
	v_mul_hi_u32 v15, s1, v16
	s_delay_alu instid0(VALU_DEP_1) | instskip(NEXT) | instid1(VALU_DEP_1)
	v_add_nc_u32_e32 v15, v16, v15
	v_lshrrev_b32_e32 v15, s2, v15
	s_delay_alu instid0(VALU_DEP_1) | instskip(NEXT) | instid1(VALU_DEP_1)
	v_mul_lo_u32 v15, v15, s0
	v_sub_nc_u32_e32 v15, v16, v15
	s_delay_alu instid0(VALU_DEP_1)
	v_mad_u32 v12, v15, s4, v12
	v_mad_u32 v14, v15, s5, v14
	;; [unrolled: 1-line block ×3, first 2 shown]
	s_branch .LBB21_152
.LBB21_151:
	v_dual_mov_b32 v13, 0 :: v_dual_mov_b32 v14, 0
	v_mov_b32_e32 v12, 0
	s_and_not1_b32 vcc_lo, exec_lo, s2
	s_cbranch_vccz .LBB21_149
.LBB21_152:
	v_cmp_ne_u32_e32 vcc_lo, 1, v8
	v_add_nc_u32_e32 v18, 0x200, v0
	s_cbranch_vccnz .LBB21_158
; %bb.153:
	s_cmp_lg_u32 s26, 0
	s_mov_b32 s2, 0
	s_cbranch_scc0 .LBB21_162
; %bb.154:
	s_min_u32 s3, s27, 15
	v_dual_mov_b32 v15, 0 :: v_dual_mov_b32 v19, v18
	v_dual_mov_b32 v16, 0 :: v_dual_mov_b32 v17, 0
	s_add_co_i32 s4, s3, 1
	s_mov_b64 s[0:1], 0xffffffffffffffe8
	s_and_b32 s4, s4, 30
	s_add_nc_u64 s[0:1], s[16:17], s[0:1]
.LBB21_155:                             ; =>This Inner Loop Header: Depth=1
	s_clause 0x1
	s_load_b128 s[8:11], s[0:1], 0x1c
	s_load_b64 s[6:7], s[0:1], 0x2c
	s_add_co_i32 s4, s4, -2
	s_delay_alu instid0(SALU_CYCLE_1) | instskip(SKIP_2) | instid1(VALU_DEP_1)
	s_cmp_lg_u32 s4, 0
	s_wait_kmcnt 0x0
	v_mul_hi_u32 v20, s9, v19
	v_add_nc_u32_e32 v20, v19, v20
	s_delay_alu instid0(VALU_DEP_1) | instskip(NEXT) | instid1(VALU_DEP_1)
	v_lshrrev_b32_e32 v20, s10, v20
	v_mul_hi_u32 v21, s6, v20
	v_mul_lo_u32 v22, v20, s8
	s_clause 0x1
	s_load_b128 s[12:15], s[0:1], 0xdc
	s_load_b64 s[8:9], s[0:1], 0xec
	s_wait_xcnt 0x0
	s_add_nc_u64 s[0:1], s[0:1], 24
	s_delay_alu instid0(VALU_DEP_1) | instskip(NEXT) | instid1(VALU_DEP_1)
	v_dual_add_nc_u32 v21, v20, v21 :: v_dual_sub_nc_u32 v22, v19, v22
	v_lshrrev_b32_e32 v19, s7, v21
	s_wait_kmcnt 0x0
	s_delay_alu instid0(VALU_DEP_2) | instskip(NEXT) | instid1(VALU_DEP_2)
	v_mad_u32 v15, v22, s12, v15
	v_mul_lo_u32 v21, v19, s11
	v_mad_u32 v17, v22, s14, v17
	v_mad_u32 v16, v22, s13, v16
	s_delay_alu instid0(VALU_DEP_3) | instskip(NEXT) | instid1(VALU_DEP_1)
	v_sub_nc_u32_e32 v20, v20, v21
	v_mad_u32 v15, v20, s15, v15
	s_delay_alu instid0(VALU_DEP_4) | instskip(NEXT) | instid1(VALU_DEP_4)
	v_mad_u32 v17, v20, s9, v17
	v_mad_u32 v16, v20, s8, v16
	s_cbranch_scc1 .LBB21_155
; %bb.156:
	s_bitcmp1_b32 s3, 0
	s_cselect_b32 s3, -1, 0
	s_delay_alu instid0(SALU_CYCLE_1)
	s_and_b32 vcc_lo, exec_lo, s3
	s_cbranch_vccnz .LBB21_159
; %bb.157:
	s_clause 0x1
	s_load_b96 s[4:6], s[0:1], 0x1c
	s_load_b96 s[8:10], s[0:1], 0xdc
	s_wait_kmcnt 0x0
	v_mul_hi_u32 v20, s5, v19
	s_delay_alu instid0(VALU_DEP_1) | instskip(NEXT) | instid1(VALU_DEP_1)
	v_add_nc_u32_e32 v20, v19, v20
	v_lshrrev_b32_e32 v20, s6, v20
	s_delay_alu instid0(VALU_DEP_1) | instskip(NEXT) | instid1(VALU_DEP_1)
	v_mul_lo_u32 v20, v20, s4
	v_sub_nc_u32_e32 v19, v19, v20
	s_delay_alu instid0(VALU_DEP_1)
	v_mad_u32 v15, v19, s8, v15
	v_mad_u32 v16, v19, s9, v16
	;; [unrolled: 1-line block ×3, first 2 shown]
	s_and_not1_b32 vcc_lo, exec_lo, s2
	s_cbranch_vccz .LBB21_160
	s_branch .LBB21_163
.LBB21_158:
	s_mov_b32 s2, -1
                                        ; implicit-def: $vgpr17
                                        ; implicit-def: $vgpr16
                                        ; implicit-def: $vgpr15
.LBB21_159:
	s_delay_alu instid0(SALU_CYCLE_1)
	s_and_not1_b32 vcc_lo, exec_lo, s2
	s_cbranch_vccnz .LBB21_163
.LBB21_160:
	s_clause 0x1
	s_load_b96 s[0:2], s[16:17], 0x4
	s_load_b96 s[4:6], s[16:17], 0xc4
	s_cmp_lt_u32 s26, 2
	s_wait_kmcnt 0x0
	v_mul_hi_u32 v15, s1, v18
	s_delay_alu instid0(VALU_DEP_1) | instskip(NEXT) | instid1(VALU_DEP_1)
	v_add_nc_u32_e32 v15, v18, v15
	v_lshrrev_b32_e32 v19, s2, v15
	s_delay_alu instid0(VALU_DEP_1) | instskip(NEXT) | instid1(VALU_DEP_1)
	v_mul_lo_u32 v15, v19, s0
	v_sub_nc_u32_e32 v16, v18, v15
	s_delay_alu instid0(VALU_DEP_1)
	v_mul_lo_u32 v15, v16, s4
	v_mul_lo_u32 v17, v16, s6
	;; [unrolled: 1-line block ×3, first 2 shown]
	s_cbranch_scc1 .LBB21_163
; %bb.161:
	s_clause 0x1
	s_load_b96 s[0:2], s[16:17], 0x10
	s_load_b96 s[4:6], s[16:17], 0xd0
	s_wait_kmcnt 0x0
	v_mul_hi_u32 v18, s1, v19
	s_delay_alu instid0(VALU_DEP_1) | instskip(NEXT) | instid1(VALU_DEP_1)
	v_add_nc_u32_e32 v18, v19, v18
	v_lshrrev_b32_e32 v18, s2, v18
	s_delay_alu instid0(VALU_DEP_1) | instskip(NEXT) | instid1(VALU_DEP_1)
	v_mul_lo_u32 v18, v18, s0
	v_sub_nc_u32_e32 v18, v19, v18
	s_delay_alu instid0(VALU_DEP_1)
	v_mad_u32 v15, v18, s4, v15
	v_mad_u32 v16, v18, s5, v16
	;; [unrolled: 1-line block ×3, first 2 shown]
	s_branch .LBB21_163
.LBB21_162:
	v_dual_mov_b32 v17, 0 :: v_dual_mov_b32 v16, 0
	v_mov_b32_e32 v15, 0
	s_and_not1_b32 vcc_lo, exec_lo, s2
	s_cbranch_vccz .LBB21_160
.LBB21_163:
	v_cmp_ne_u32_e32 vcc_lo, 1, v8
	v_add_nc_u32_e32 v21, 0x280, v0
	s_cbranch_vccnz .LBB21_169
; %bb.164:
	s_cmp_lg_u32 s26, 0
	s_mov_b32 s2, 0
	s_cbranch_scc0 .LBB21_173
; %bb.165:
	s_min_u32 s3, s27, 15
	v_dual_mov_b32 v18, 0 :: v_dual_mov_b32 v22, v21
	v_dual_mov_b32 v19, 0 :: v_dual_mov_b32 v20, 0
	s_add_co_i32 s4, s3, 1
	s_mov_b64 s[0:1], 0xffffffffffffffe8
	s_and_b32 s4, s4, 30
	s_add_nc_u64 s[0:1], s[16:17], s[0:1]
.LBB21_166:                             ; =>This Inner Loop Header: Depth=1
	s_clause 0x1
	s_load_b128 s[8:11], s[0:1], 0x1c
	s_load_b64 s[6:7], s[0:1], 0x2c
	s_add_co_i32 s4, s4, -2
	s_delay_alu instid0(SALU_CYCLE_1) | instskip(SKIP_2) | instid1(VALU_DEP_1)
	s_cmp_lg_u32 s4, 0
	s_wait_kmcnt 0x0
	v_mul_hi_u32 v23, s9, v22
	v_add_nc_u32_e32 v23, v22, v23
	s_delay_alu instid0(VALU_DEP_1) | instskip(NEXT) | instid1(VALU_DEP_1)
	v_lshrrev_b32_e32 v23, s10, v23
	v_mul_hi_u32 v24, s6, v23
	v_mul_lo_u32 v25, v23, s8
	s_clause 0x1
	s_load_b128 s[12:15], s[0:1], 0xdc
	s_load_b64 s[8:9], s[0:1], 0xec
	s_wait_xcnt 0x0
	s_add_nc_u64 s[0:1], s[0:1], 24
	s_delay_alu instid0(VALU_DEP_1) | instskip(NEXT) | instid1(VALU_DEP_1)
	v_dual_add_nc_u32 v24, v23, v24 :: v_dual_sub_nc_u32 v25, v22, v25
	v_lshrrev_b32_e32 v22, s7, v24
	s_wait_kmcnt 0x0
	s_delay_alu instid0(VALU_DEP_2) | instskip(NEXT) | instid1(VALU_DEP_2)
	v_mad_u32 v18, v25, s12, v18
	v_mul_lo_u32 v24, v22, s11
	v_mad_u32 v20, v25, s14, v20
	v_mad_u32 v19, v25, s13, v19
	s_delay_alu instid0(VALU_DEP_3) | instskip(NEXT) | instid1(VALU_DEP_1)
	v_sub_nc_u32_e32 v23, v23, v24
	v_mad_u32 v18, v23, s15, v18
	s_delay_alu instid0(VALU_DEP_4) | instskip(NEXT) | instid1(VALU_DEP_4)
	v_mad_u32 v20, v23, s9, v20
	v_mad_u32 v19, v23, s8, v19
	s_cbranch_scc1 .LBB21_166
; %bb.167:
	s_bitcmp1_b32 s3, 0
	s_cselect_b32 s3, -1, 0
	s_delay_alu instid0(SALU_CYCLE_1)
	s_and_b32 vcc_lo, exec_lo, s3
	s_cbranch_vccnz .LBB21_170
; %bb.168:
	s_clause 0x1
	s_load_b96 s[4:6], s[0:1], 0x1c
	s_load_b96 s[8:10], s[0:1], 0xdc
	s_wait_kmcnt 0x0
	v_mul_hi_u32 v23, s5, v22
	s_delay_alu instid0(VALU_DEP_1) | instskip(NEXT) | instid1(VALU_DEP_1)
	v_add_nc_u32_e32 v23, v22, v23
	v_lshrrev_b32_e32 v23, s6, v23
	s_delay_alu instid0(VALU_DEP_1) | instskip(NEXT) | instid1(VALU_DEP_1)
	v_mul_lo_u32 v23, v23, s4
	v_sub_nc_u32_e32 v22, v22, v23
	s_delay_alu instid0(VALU_DEP_1)
	v_mad_u32 v18, v22, s8, v18
	v_mad_u32 v19, v22, s9, v19
	;; [unrolled: 1-line block ×3, first 2 shown]
	s_and_not1_b32 vcc_lo, exec_lo, s2
	s_cbranch_vccz .LBB21_171
	s_branch .LBB21_174
.LBB21_169:
	s_mov_b32 s2, -1
                                        ; implicit-def: $vgpr20
                                        ; implicit-def: $vgpr19
                                        ; implicit-def: $vgpr18
.LBB21_170:
	s_delay_alu instid0(SALU_CYCLE_1)
	s_and_not1_b32 vcc_lo, exec_lo, s2
	s_cbranch_vccnz .LBB21_174
.LBB21_171:
	s_clause 0x1
	s_load_b96 s[0:2], s[16:17], 0x4
	s_load_b96 s[4:6], s[16:17], 0xc4
	s_cmp_lt_u32 s26, 2
	s_wait_kmcnt 0x0
	v_mul_hi_u32 v18, s1, v21
	s_delay_alu instid0(VALU_DEP_1) | instskip(NEXT) | instid1(VALU_DEP_1)
	v_add_nc_u32_e32 v18, v21, v18
	v_lshrrev_b32_e32 v22, s2, v18
	s_delay_alu instid0(VALU_DEP_1) | instskip(NEXT) | instid1(VALU_DEP_1)
	v_mul_lo_u32 v18, v22, s0
	v_sub_nc_u32_e32 v19, v21, v18
	s_delay_alu instid0(VALU_DEP_1)
	v_mul_lo_u32 v18, v19, s4
	v_mul_lo_u32 v20, v19, s6
	;; [unrolled: 1-line block ×3, first 2 shown]
	s_cbranch_scc1 .LBB21_174
; %bb.172:
	s_clause 0x1
	s_load_b96 s[0:2], s[16:17], 0x10
	s_load_b96 s[4:6], s[16:17], 0xd0
	s_wait_kmcnt 0x0
	v_mul_hi_u32 v21, s1, v22
	s_delay_alu instid0(VALU_DEP_1) | instskip(NEXT) | instid1(VALU_DEP_1)
	v_add_nc_u32_e32 v21, v22, v21
	v_lshrrev_b32_e32 v21, s2, v21
	s_delay_alu instid0(VALU_DEP_1) | instskip(NEXT) | instid1(VALU_DEP_1)
	v_mul_lo_u32 v21, v21, s0
	v_sub_nc_u32_e32 v21, v22, v21
	s_delay_alu instid0(VALU_DEP_1)
	v_mad_u32 v18, v21, s4, v18
	v_mad_u32 v19, v21, s5, v19
	;; [unrolled: 1-line block ×3, first 2 shown]
	s_branch .LBB21_174
.LBB21_173:
	v_dual_mov_b32 v20, 0 :: v_dual_mov_b32 v19, 0
	v_mov_b32_e32 v18, 0
	s_and_not1_b32 vcc_lo, exec_lo, s2
	s_cbranch_vccz .LBB21_171
.LBB21_174:
	v_cmp_ne_u32_e32 vcc_lo, 1, v8
	v_add_nc_u32_e32 v23, 0x300, v0
	s_cbranch_vccnz .LBB21_180
; %bb.175:
	s_cmp_lg_u32 s26, 0
	s_mov_b32 s2, 0
	s_cbranch_scc0 .LBB21_184
; %bb.176:
	s_min_u32 s3, s27, 15
	v_dual_mov_b32 v0, 0 :: v_dual_mov_b32 v24, v23
	v_dual_mov_b32 v22, 0 :: v_dual_mov_b32 v21, 0
	s_add_co_i32 s4, s3, 1
	s_mov_b64 s[0:1], 0xffffffffffffffe8
	s_and_b32 s4, s4, 30
	s_add_nc_u64 s[0:1], s[16:17], s[0:1]
.LBB21_177:                             ; =>This Inner Loop Header: Depth=1
	s_clause 0x1
	s_load_b128 s[8:11], s[0:1], 0x1c
	s_load_b64 s[6:7], s[0:1], 0x2c
	s_add_co_i32 s4, s4, -2
	s_delay_alu instid0(SALU_CYCLE_1) | instskip(SKIP_2) | instid1(VALU_DEP_1)
	s_cmp_lg_u32 s4, 0
	s_wait_kmcnt 0x0
	v_mul_hi_u32 v25, s9, v24
	v_add_nc_u32_e32 v25, v24, v25
	s_delay_alu instid0(VALU_DEP_1) | instskip(NEXT) | instid1(VALU_DEP_1)
	v_lshrrev_b32_e32 v25, s10, v25
	v_mul_hi_u32 v26, s6, v25
	v_mul_lo_u32 v27, v25, s8
	s_clause 0x1
	s_load_b128 s[12:15], s[0:1], 0xdc
	s_load_b64 s[8:9], s[0:1], 0xec
	s_wait_xcnt 0x0
	s_add_nc_u64 s[0:1], s[0:1], 24
	s_delay_alu instid0(VALU_DEP_1) | instskip(NEXT) | instid1(VALU_DEP_1)
	v_dual_add_nc_u32 v26, v25, v26 :: v_dual_sub_nc_u32 v27, v24, v27
	v_lshrrev_b32_e32 v24, s7, v26
	s_wait_kmcnt 0x0
	s_delay_alu instid0(VALU_DEP_2) | instskip(NEXT) | instid1(VALU_DEP_2)
	v_mad_u32 v0, v27, s12, v0
	v_mul_lo_u32 v26, v24, s11
	v_mad_u32 v21, v27, s14, v21
	v_mad_u32 v22, v27, s13, v22
	s_delay_alu instid0(VALU_DEP_3) | instskip(NEXT) | instid1(VALU_DEP_1)
	v_sub_nc_u32_e32 v25, v25, v26
	v_mad_u32 v0, v25, s15, v0
	s_delay_alu instid0(VALU_DEP_4) | instskip(NEXT) | instid1(VALU_DEP_4)
	v_mad_u32 v21, v25, s9, v21
	v_mad_u32 v22, v25, s8, v22
	s_cbranch_scc1 .LBB21_177
; %bb.178:
	s_bitcmp1_b32 s3, 0
	s_cselect_b32 s3, -1, 0
	s_delay_alu instid0(SALU_CYCLE_1)
	s_and_b32 vcc_lo, exec_lo, s3
	s_cbranch_vccnz .LBB21_181
; %bb.179:
	s_clause 0x1
	s_load_b96 s[4:6], s[0:1], 0x1c
	s_load_b96 s[8:10], s[0:1], 0xdc
	s_wait_kmcnt 0x0
	v_mul_hi_u32 v25, s5, v24
	s_delay_alu instid0(VALU_DEP_1) | instskip(NEXT) | instid1(VALU_DEP_1)
	v_add_nc_u32_e32 v25, v24, v25
	v_lshrrev_b32_e32 v25, s6, v25
	s_delay_alu instid0(VALU_DEP_1) | instskip(NEXT) | instid1(VALU_DEP_1)
	v_mul_lo_u32 v25, v25, s4
	v_sub_nc_u32_e32 v24, v24, v25
	s_delay_alu instid0(VALU_DEP_1)
	v_mad_u32 v0, v24, s8, v0
	v_mad_u32 v22, v24, s9, v22
	;; [unrolled: 1-line block ×3, first 2 shown]
	s_and_not1_b32 vcc_lo, exec_lo, s2
	s_cbranch_vccz .LBB21_182
	s_branch .LBB21_185
.LBB21_180:
	s_mov_b32 s2, -1
                                        ; implicit-def: $vgpr21
                                        ; implicit-def: $vgpr22
                                        ; implicit-def: $vgpr0
.LBB21_181:
	s_delay_alu instid0(SALU_CYCLE_1)
	s_and_not1_b32 vcc_lo, exec_lo, s2
	s_cbranch_vccnz .LBB21_185
.LBB21_182:
	s_clause 0x1
	s_load_b96 s[0:2], s[16:17], 0x4
	s_load_b96 s[4:6], s[16:17], 0xc4
	s_cmp_lt_u32 s26, 2
	s_wait_kmcnt 0x0
	v_mul_hi_u32 v0, s1, v23
	s_delay_alu instid0(VALU_DEP_1) | instskip(NEXT) | instid1(VALU_DEP_1)
	v_add_nc_u32_e32 v0, v23, v0
	v_lshrrev_b32_e32 v24, s2, v0
	s_delay_alu instid0(VALU_DEP_1) | instskip(NEXT) | instid1(VALU_DEP_1)
	v_mul_lo_u32 v0, v24, s0
	v_sub_nc_u32_e32 v22, v23, v0
	s_delay_alu instid0(VALU_DEP_1)
	v_mul_lo_u32 v0, v22, s4
	v_mul_lo_u32 v21, v22, s6
	;; [unrolled: 1-line block ×3, first 2 shown]
	s_cbranch_scc1 .LBB21_185
; %bb.183:
	s_clause 0x1
	s_load_b96 s[0:2], s[16:17], 0x10
	s_load_b96 s[4:6], s[16:17], 0xd0
	s_wait_kmcnt 0x0
	v_mul_hi_u32 v23, s1, v24
	s_delay_alu instid0(VALU_DEP_1) | instskip(NEXT) | instid1(VALU_DEP_1)
	v_add_nc_u32_e32 v23, v24, v23
	v_lshrrev_b32_e32 v23, s2, v23
	s_delay_alu instid0(VALU_DEP_1) | instskip(NEXT) | instid1(VALU_DEP_1)
	v_mul_lo_u32 v23, v23, s0
	v_sub_nc_u32_e32 v23, v24, v23
	s_delay_alu instid0(VALU_DEP_1)
	v_mad_u32 v0, v23, s4, v0
	v_mad_u32 v22, v23, s5, v22
	;; [unrolled: 1-line block ×3, first 2 shown]
	s_branch .LBB21_185
.LBB21_184:
	v_dual_mov_b32 v21, 0 :: v_dual_mov_b32 v22, 0
	v_mov_b32_e32 v0, 0
	s_and_not1_b32 vcc_lo, exec_lo, s2
	s_cbranch_vccz .LBB21_182
.LBB21_185:
	v_cmp_ne_u32_e32 vcc_lo, 1, v8
	s_cbranch_vccnz .LBB21_191
; %bb.186:
	s_cmp_lg_u32 s26, 0
	s_mov_b32 s2, 0
	s_cbranch_scc0 .LBB21_195
; %bb.187:
	s_min_u32 s3, s27, 15
	v_dual_mov_b32 v8, 0 :: v_dual_mov_b32 v25, v4
	v_dual_mov_b32 v24, 0 :: v_dual_mov_b32 v23, 0
	s_add_co_i32 s4, s3, 1
	s_mov_b64 s[0:1], 0xffffffffffffffe8
	s_and_b32 s4, s4, 30
	s_add_nc_u64 s[0:1], s[16:17], s[0:1]
.LBB21_188:                             ; =>This Inner Loop Header: Depth=1
	s_clause 0x1
	s_load_b128 s[8:11], s[0:1], 0x1c
	s_load_b64 s[6:7], s[0:1], 0x2c
	s_add_co_i32 s4, s4, -2
	s_delay_alu instid0(SALU_CYCLE_1) | instskip(SKIP_2) | instid1(VALU_DEP_1)
	s_cmp_lg_u32 s4, 0
	s_wait_kmcnt 0x0
	v_mul_hi_u32 v26, s9, v25
	v_add_nc_u32_e32 v26, v25, v26
	s_delay_alu instid0(VALU_DEP_1) | instskip(NEXT) | instid1(VALU_DEP_1)
	v_lshrrev_b32_e32 v26, s10, v26
	v_mul_hi_u32 v27, s6, v26
	v_mul_lo_u32 v28, v26, s8
	s_clause 0x1
	s_load_b128 s[12:15], s[0:1], 0xdc
	s_load_b64 s[8:9], s[0:1], 0xec
	s_wait_xcnt 0x0
	s_add_nc_u64 s[0:1], s[0:1], 24
	s_delay_alu instid0(VALU_DEP_1) | instskip(NEXT) | instid1(VALU_DEP_1)
	v_dual_add_nc_u32 v27, v26, v27 :: v_dual_sub_nc_u32 v28, v25, v28
	v_lshrrev_b32_e32 v25, s7, v27
	s_wait_kmcnt 0x0
	s_delay_alu instid0(VALU_DEP_2) | instskip(NEXT) | instid1(VALU_DEP_2)
	v_mad_u32 v8, v28, s12, v8
	v_mul_lo_u32 v27, v25, s11
	v_mad_u32 v23, v28, s14, v23
	v_mad_u32 v24, v28, s13, v24
	s_delay_alu instid0(VALU_DEP_3) | instskip(NEXT) | instid1(VALU_DEP_1)
	v_sub_nc_u32_e32 v26, v26, v27
	v_mad_u32 v8, v26, s15, v8
	s_delay_alu instid0(VALU_DEP_4) | instskip(NEXT) | instid1(VALU_DEP_4)
	v_mad_u32 v23, v26, s9, v23
	v_mad_u32 v24, v26, s8, v24
	s_cbranch_scc1 .LBB21_188
; %bb.189:
	s_bitcmp1_b32 s3, 0
	s_cselect_b32 s3, -1, 0
	s_delay_alu instid0(SALU_CYCLE_1)
	s_and_b32 vcc_lo, exec_lo, s3
	s_cbranch_vccnz .LBB21_192
; %bb.190:
	s_clause 0x1
	s_load_b96 s[4:6], s[0:1], 0x1c
	s_load_b96 s[8:10], s[0:1], 0xdc
	s_wait_kmcnt 0x0
	v_mul_hi_u32 v26, s5, v25
	s_delay_alu instid0(VALU_DEP_1) | instskip(NEXT) | instid1(VALU_DEP_1)
	v_add_nc_u32_e32 v26, v25, v26
	v_lshrrev_b32_e32 v26, s6, v26
	s_delay_alu instid0(VALU_DEP_1) | instskip(NEXT) | instid1(VALU_DEP_1)
	v_mul_lo_u32 v26, v26, s4
	v_sub_nc_u32_e32 v25, v25, v26
	s_delay_alu instid0(VALU_DEP_1)
	v_mad_u32 v8, v25, s8, v8
	v_mad_u32 v24, v25, s9, v24
	;; [unrolled: 1-line block ×3, first 2 shown]
	s_and_not1_b32 vcc_lo, exec_lo, s2
	s_cbranch_vccz .LBB21_193
	s_branch .LBB21_196
.LBB21_191:
	s_mov_b32 s2, -1
                                        ; implicit-def: $vgpr23
                                        ; implicit-def: $vgpr24
                                        ; implicit-def: $vgpr8
.LBB21_192:
	s_delay_alu instid0(SALU_CYCLE_1)
	s_and_not1_b32 vcc_lo, exec_lo, s2
	s_cbranch_vccnz .LBB21_196
.LBB21_193:
	s_clause 0x1
	s_load_b96 s[0:2], s[16:17], 0x4
	s_load_b96 s[4:6], s[16:17], 0xc4
	s_cmp_lt_u32 s26, 2
	s_wait_kmcnt 0x0
	v_mul_hi_u32 v8, s1, v4
	s_delay_alu instid0(VALU_DEP_1) | instskip(NEXT) | instid1(VALU_DEP_1)
	v_add_nc_u32_e32 v8, v4, v8
	v_lshrrev_b32_e32 v25, s2, v8
	s_delay_alu instid0(VALU_DEP_1) | instskip(NEXT) | instid1(VALU_DEP_1)
	v_mul_lo_u32 v8, v25, s0
	v_sub_nc_u32_e32 v4, v4, v8
	s_delay_alu instid0(VALU_DEP_1)
	v_mul_lo_u32 v8, v4, s4
	v_mul_lo_u32 v23, v4, s6
	;; [unrolled: 1-line block ×3, first 2 shown]
	s_cbranch_scc1 .LBB21_196
; %bb.194:
	s_clause 0x1
	s_load_b96 s[0:2], s[16:17], 0x10
	s_load_b96 s[4:6], s[16:17], 0xd0
	s_wait_kmcnt 0x0
	v_mul_hi_u32 v4, s1, v25
	s_delay_alu instid0(VALU_DEP_1) | instskip(NEXT) | instid1(VALU_DEP_1)
	v_add_nc_u32_e32 v4, v25, v4
	v_lshrrev_b32_e32 v4, s2, v4
	s_delay_alu instid0(VALU_DEP_1) | instskip(NEXT) | instid1(VALU_DEP_1)
	v_mul_lo_u32 v4, v4, s0
	v_sub_nc_u32_e32 v4, v25, v4
	s_delay_alu instid0(VALU_DEP_1)
	v_mad_u32 v8, v4, s4, v8
	v_mad_u32 v24, v4, s5, v24
	;; [unrolled: 1-line block ×3, first 2 shown]
	s_branch .LBB21_196
.LBB21_195:
	v_dual_mov_b32 v23, 0 :: v_dual_mov_b32 v24, 0
	v_mov_b32_e32 v8, 0
	s_and_not1_b32 vcc_lo, exec_lo, s2
	s_cbranch_vccz .LBB21_193
.LBB21_196:
	s_clause 0x1
	s_load_b128 s[8:11], s[16:17], 0x188
	s_load_b96 s[0:2], s[16:17], 0x198
	s_wait_kmcnt 0x0
	global_load_u8 v4, v3, s[10:11]
	global_load_u8 v25, v2, s[0:1]
	;; [unrolled: 1-line block ×15, first 2 shown]
                                        ; kill: killed $vgpr17
                                        ; kill: killed $vgpr11
                                        ; kill: killed $vgpr22
                                        ; kill: killed $vgpr7
                                        ; kill: killed $vgpr20
                                        ; kill: killed $vgpr14
                                        ; kill: killed $vgpr24
                                        ; kill: killed $vgpr10
                                        ; kill: killed $vgpr3
                                        ; kill: killed $vgpr21
                                        ; kill: killed $vgpr16
                                        ; kill: killed $vgpr13
                                        ; kill: killed $vgpr6
                                        ; kill: killed $sgpr10_sgpr11
                                        ; kill: killed $vgpr19
                                        ; kill: killed $vgpr2
	global_load_u8 v2, v23, s[0:1]
	s_cmp_eq_u32 s2, 0
	s_cselect_b32 s7, -1, 0
	s_wait_loadcnt 0xe
	v_cmp_ne_u16_e32 vcc_lo, v4, v25
	s_wait_loadcnt 0xc
	s_wait_xcnt 0x0
	v_cmp_ne_u16_e64 s0, v26, v27
	s_wait_loadcnt 0xa
	v_cmp_ne_u16_e64 s1, v28, v29
	s_xor_b32 s10, s7, vcc_lo
	s_wait_loadcnt 0x8
	v_cmp_ne_u16_e64 s2, v30, v31
	s_xor_b32 s0, s7, s0
	s_wait_loadcnt 0x6
	v_cmp_ne_u16_e64 s3, v32, v33
	v_cndmask_b32_e64 v3, 0, 1, s0
	s_xor_b32 s0, s7, s1
	s_wait_loadcnt 0x4
	v_cmp_ne_u16_e64 s4, v34, v35
	v_cndmask_b32_e64 v4, 0, 1, s0
	;; [unrolled: 4-line block ×3, first 2 shown]
	s_xor_b32 s0, s7, s3
	s_delay_alu instid0(SALU_CYCLE_1) | instskip(SKIP_1) | instid1(SALU_CYCLE_1)
	v_cndmask_b32_e64 v7, 0, 1, s0
	s_xor_b32 s0, s7, s4
	v_cndmask_b32_e64 v10, 0, 1, s0
	s_xor_b32 s0, s7, s5
	s_delay_alu instid0(SALU_CYCLE_1) | instskip(SKIP_4) | instid1(SALU_CYCLE_1)
	v_cndmask_b32_e64 v11, 0, 1, s0
	s_wait_loadcnt 0x0
	v_cmp_ne_u16_e64 s6, v38, v2
	v_cndmask_b32_e64 v2, 0, 1, s10
	s_xor_b32 s0, s7, s6
	v_cndmask_b32_e64 v13, 0, 1, s0
	s_clause 0x7
	global_store_b8 v1, v2, s[8:9]
	global_store_b8 v5, v3, s[8:9]
	;; [unrolled: 1-line block ×8, first 2 shown]
	s_endpgm
	.section	.rodata,"a",@progbits
	.p2align	6, 0x0
	.amdhsa_kernel _ZN2at6native32elementwise_kernel_manual_unrollILi128ELi8EZNS0_22gpu_kernel_impl_nocastINS0_13BinaryFunctorIaabNS0_12_GLOBAL__N_116CompareEqFunctorIaEEEEEEvRNS_18TensorIteratorBaseERKT_EUlibE_EEviT1_
		.amdhsa_group_segment_fixed_size 0
		.amdhsa_private_segment_fixed_size 0
		.amdhsa_kernarg_size 432
		.amdhsa_user_sgpr_count 2
		.amdhsa_user_sgpr_dispatch_ptr 0
		.amdhsa_user_sgpr_queue_ptr 0
		.amdhsa_user_sgpr_kernarg_segment_ptr 1
		.amdhsa_user_sgpr_dispatch_id 0
		.amdhsa_user_sgpr_kernarg_preload_length 0
		.amdhsa_user_sgpr_kernarg_preload_offset 0
		.amdhsa_user_sgpr_private_segment_size 0
		.amdhsa_wavefront_size32 1
		.amdhsa_uses_dynamic_stack 0
		.amdhsa_enable_private_segment 0
		.amdhsa_system_sgpr_workgroup_id_x 1
		.amdhsa_system_sgpr_workgroup_id_y 0
		.amdhsa_system_sgpr_workgroup_id_z 0
		.amdhsa_system_sgpr_workgroup_info 0
		.amdhsa_system_vgpr_workitem_id 0
		.amdhsa_next_free_vgpr 39
		.amdhsa_next_free_sgpr 46
		.amdhsa_named_barrier_count 0
		.amdhsa_reserve_vcc 1
		.amdhsa_float_round_mode_32 0
		.amdhsa_float_round_mode_16_64 0
		.amdhsa_float_denorm_mode_32 3
		.amdhsa_float_denorm_mode_16_64 3
		.amdhsa_fp16_overflow 0
		.amdhsa_memory_ordered 1
		.amdhsa_forward_progress 1
		.amdhsa_inst_pref_size 84
		.amdhsa_round_robin_scheduling 0
		.amdhsa_exception_fp_ieee_invalid_op 0
		.amdhsa_exception_fp_denorm_src 0
		.amdhsa_exception_fp_ieee_div_zero 0
		.amdhsa_exception_fp_ieee_overflow 0
		.amdhsa_exception_fp_ieee_underflow 0
		.amdhsa_exception_fp_ieee_inexact 0
		.amdhsa_exception_int_div_zero 0
	.end_amdhsa_kernel
	.section	.text._ZN2at6native32elementwise_kernel_manual_unrollILi128ELi8EZNS0_22gpu_kernel_impl_nocastINS0_13BinaryFunctorIaabNS0_12_GLOBAL__N_116CompareEqFunctorIaEEEEEEvRNS_18TensorIteratorBaseERKT_EUlibE_EEviT1_,"axG",@progbits,_ZN2at6native32elementwise_kernel_manual_unrollILi128ELi8EZNS0_22gpu_kernel_impl_nocastINS0_13BinaryFunctorIaabNS0_12_GLOBAL__N_116CompareEqFunctorIaEEEEEEvRNS_18TensorIteratorBaseERKT_EUlibE_EEviT1_,comdat
.Lfunc_end21:
	.size	_ZN2at6native32elementwise_kernel_manual_unrollILi128ELi8EZNS0_22gpu_kernel_impl_nocastINS0_13BinaryFunctorIaabNS0_12_GLOBAL__N_116CompareEqFunctorIaEEEEEEvRNS_18TensorIteratorBaseERKT_EUlibE_EEviT1_, .Lfunc_end21-_ZN2at6native32elementwise_kernel_manual_unrollILi128ELi8EZNS0_22gpu_kernel_impl_nocastINS0_13BinaryFunctorIaabNS0_12_GLOBAL__N_116CompareEqFunctorIaEEEEEEvRNS_18TensorIteratorBaseERKT_EUlibE_EEviT1_
                                        ; -- End function
	.set _ZN2at6native32elementwise_kernel_manual_unrollILi128ELi8EZNS0_22gpu_kernel_impl_nocastINS0_13BinaryFunctorIaabNS0_12_GLOBAL__N_116CompareEqFunctorIaEEEEEEvRNS_18TensorIteratorBaseERKT_EUlibE_EEviT1_.num_vgpr, 39
	.set _ZN2at6native32elementwise_kernel_manual_unrollILi128ELi8EZNS0_22gpu_kernel_impl_nocastINS0_13BinaryFunctorIaabNS0_12_GLOBAL__N_116CompareEqFunctorIaEEEEEEvRNS_18TensorIteratorBaseERKT_EUlibE_EEviT1_.num_agpr, 0
	.set _ZN2at6native32elementwise_kernel_manual_unrollILi128ELi8EZNS0_22gpu_kernel_impl_nocastINS0_13BinaryFunctorIaabNS0_12_GLOBAL__N_116CompareEqFunctorIaEEEEEEvRNS_18TensorIteratorBaseERKT_EUlibE_EEviT1_.numbered_sgpr, 46
	.set _ZN2at6native32elementwise_kernel_manual_unrollILi128ELi8EZNS0_22gpu_kernel_impl_nocastINS0_13BinaryFunctorIaabNS0_12_GLOBAL__N_116CompareEqFunctorIaEEEEEEvRNS_18TensorIteratorBaseERKT_EUlibE_EEviT1_.num_named_barrier, 0
	.set _ZN2at6native32elementwise_kernel_manual_unrollILi128ELi8EZNS0_22gpu_kernel_impl_nocastINS0_13BinaryFunctorIaabNS0_12_GLOBAL__N_116CompareEqFunctorIaEEEEEEvRNS_18TensorIteratorBaseERKT_EUlibE_EEviT1_.private_seg_size, 0
	.set _ZN2at6native32elementwise_kernel_manual_unrollILi128ELi8EZNS0_22gpu_kernel_impl_nocastINS0_13BinaryFunctorIaabNS0_12_GLOBAL__N_116CompareEqFunctorIaEEEEEEvRNS_18TensorIteratorBaseERKT_EUlibE_EEviT1_.uses_vcc, 1
	.set _ZN2at6native32elementwise_kernel_manual_unrollILi128ELi8EZNS0_22gpu_kernel_impl_nocastINS0_13BinaryFunctorIaabNS0_12_GLOBAL__N_116CompareEqFunctorIaEEEEEEvRNS_18TensorIteratorBaseERKT_EUlibE_EEviT1_.uses_flat_scratch, 0
	.set _ZN2at6native32elementwise_kernel_manual_unrollILi128ELi8EZNS0_22gpu_kernel_impl_nocastINS0_13BinaryFunctorIaabNS0_12_GLOBAL__N_116CompareEqFunctorIaEEEEEEvRNS_18TensorIteratorBaseERKT_EUlibE_EEviT1_.has_dyn_sized_stack, 0
	.set _ZN2at6native32elementwise_kernel_manual_unrollILi128ELi8EZNS0_22gpu_kernel_impl_nocastINS0_13BinaryFunctorIaabNS0_12_GLOBAL__N_116CompareEqFunctorIaEEEEEEvRNS_18TensorIteratorBaseERKT_EUlibE_EEviT1_.has_recursion, 0
	.set _ZN2at6native32elementwise_kernel_manual_unrollILi128ELi8EZNS0_22gpu_kernel_impl_nocastINS0_13BinaryFunctorIaabNS0_12_GLOBAL__N_116CompareEqFunctorIaEEEEEEvRNS_18TensorIteratorBaseERKT_EUlibE_EEviT1_.has_indirect_call, 0
	.section	.AMDGPU.csdata,"",@progbits
; Kernel info:
; codeLenInByte = 10744
; TotalNumSgprs: 48
; NumVgprs: 39
; ScratchSize: 0
; MemoryBound: 0
; FloatMode: 240
; IeeeMode: 1
; LDSByteSize: 0 bytes/workgroup (compile time only)
; SGPRBlocks: 0
; VGPRBlocks: 2
; NumSGPRsForWavesPerEU: 48
; NumVGPRsForWavesPerEU: 39
; NamedBarCnt: 0
; Occupancy: 16
; WaveLimiterHint : 1
; COMPUTE_PGM_RSRC2:SCRATCH_EN: 0
; COMPUTE_PGM_RSRC2:USER_SGPR: 2
; COMPUTE_PGM_RSRC2:TRAP_HANDLER: 0
; COMPUTE_PGM_RSRC2:TGID_X_EN: 1
; COMPUTE_PGM_RSRC2:TGID_Y_EN: 0
; COMPUTE_PGM_RSRC2:TGID_Z_EN: 0
; COMPUTE_PGM_RSRC2:TIDIG_COMP_CNT: 0
	.section	.text._ZN2at6native32elementwise_kernel_manual_unrollILi128ELi4EZNS0_15gpu_kernel_implINS0_13BinaryFunctorIaabNS0_12_GLOBAL__N_116CompareEqFunctorIaEEEEEEvRNS_18TensorIteratorBaseERKT_EUlibE_EEviT1_,"axG",@progbits,_ZN2at6native32elementwise_kernel_manual_unrollILi128ELi4EZNS0_15gpu_kernel_implINS0_13BinaryFunctorIaabNS0_12_GLOBAL__N_116CompareEqFunctorIaEEEEEEvRNS_18TensorIteratorBaseERKT_EUlibE_EEviT1_,comdat
	.globl	_ZN2at6native32elementwise_kernel_manual_unrollILi128ELi4EZNS0_15gpu_kernel_implINS0_13BinaryFunctorIaabNS0_12_GLOBAL__N_116CompareEqFunctorIaEEEEEEvRNS_18TensorIteratorBaseERKT_EUlibE_EEviT1_ ; -- Begin function _ZN2at6native32elementwise_kernel_manual_unrollILi128ELi4EZNS0_15gpu_kernel_implINS0_13BinaryFunctorIaabNS0_12_GLOBAL__N_116CompareEqFunctorIaEEEEEEvRNS_18TensorIteratorBaseERKT_EUlibE_EEviT1_
	.p2align	8
	.type	_ZN2at6native32elementwise_kernel_manual_unrollILi128ELi4EZNS0_15gpu_kernel_implINS0_13BinaryFunctorIaabNS0_12_GLOBAL__N_116CompareEqFunctorIaEEEEEEvRNS_18TensorIteratorBaseERKT_EUlibE_EEviT1_,@function
_ZN2at6native32elementwise_kernel_manual_unrollILi128ELi4EZNS0_15gpu_kernel_implINS0_13BinaryFunctorIaabNS0_12_GLOBAL__N_116CompareEqFunctorIaEEEEEEvRNS_18TensorIteratorBaseERKT_EUlibE_EEviT1_: ; @_ZN2at6native32elementwise_kernel_manual_unrollILi128ELi4EZNS0_15gpu_kernel_implINS0_13BinaryFunctorIaabNS0_12_GLOBAL__N_116CompareEqFunctorIaEEEEEEvRNS_18TensorIteratorBaseERKT_EUlibE_EEviT1_
; %bb.0:
	s_load_b32 s12, s[0:1], 0x30
	s_bfe_u32 s2, ttmp6, 0x4000c
	s_clause 0x1
	s_load_b32 s17, s[0:1], 0x0
	s_load_b128 s[4:7], s[0:1], 0x8
	s_add_co_i32 s14, s2, 1
	s_clause 0x1
	s_load_b64 s[2:3], s[0:1], 0x18
	s_load_b128 s[8:11], s[0:1], 0x20
	s_and_b32 s13, ttmp6, 15
	s_wait_xcnt 0x0
	s_mul_i32 s0, ttmp9, s14
	s_getreg_b32 s15, hwreg(HW_REG_IB_STS2, 6, 4)
	s_add_co_i32 s13, s13, s0
	s_mov_b32 s16, 0
	s_wait_kmcnt 0x0
	s_lshr_b32 s14, s12, 8
	s_lshr_b32 s1, s12, 16
	s_cmp_eq_u32 s15, 0
	s_cselect_b32 s0, ttmp9, s13
	s_mov_b32 s13, 0
	v_lshl_or_b32 v18, s0, 9, v0
	s_mov_b32 s0, exec_lo
	s_delay_alu instid0(VALU_DEP_1) | instskip(NEXT) | instid1(VALU_DEP_1)
	v_or_b32_e32 v0, 0x180, v18
	v_cmpx_le_i32_e64 s17, v0
	s_xor_b32 s15, exec_lo, s0
	s_cbranch_execz .LBB22_1515
; %bb.1:
	s_cmp_eq_u32 s11, 0
	s_mov_b32 s22, 0
	s_cselect_b32 s16, -1, 0
	s_mov_b32 s25, -1
	s_mov_b32 s20, 0
	s_mov_b32 s19, 0
	s_mov_b32 s18, 0
	s_mov_b32 s21, exec_lo
	v_cmpx_gt_i32_e64 s17, v18
	s_cbranch_execz .LBB22_374
; %bb.2:
	v_mul_lo_u32 v0, v18, s9
	s_and_b32 s0, s14, 0xff
	s_delay_alu instid0(SALU_CYCLE_1) | instskip(NEXT) | instid1(VALU_DEP_1)
	s_cmp_lt_i32 s0, 11
	v_ashrrev_i32_e32 v1, 31, v0
	s_delay_alu instid0(VALU_DEP_1)
	v_add_nc_u64_e32 v[2:3], s[6:7], v[0:1]
	s_cbranch_scc1 .LBB22_9
; %bb.3:
	s_and_b32 s18, 0xffff, s0
	s_delay_alu instid0(SALU_CYCLE_1)
	s_cmp_gt_i32 s18, 25
	s_cbranch_scc0 .LBB22_18
; %bb.4:
	s_cmp_gt_i32 s18, 28
	s_cbranch_scc0 .LBB22_28
; %bb.5:
	;; [unrolled: 3-line block ×4, first 2 shown]
	s_cmp_eq_u32 s18, 46
	s_mov_b32 s23, 0
	s_cbranch_scc0 .LBB22_37
; %bb.8:
	global_load_b32 v0, v[2:3], off
	s_mov_b32 s19, -1
	s_wait_loadcnt 0x0
	v_lshlrev_b32_e32 v0, 16, v0
	s_delay_alu instid0(VALU_DEP_1)
	v_cvt_i32_f32_e32 v0, v0
	s_branch .LBB22_39
.LBB22_9:
                                        ; implicit-def: $vgpr0
	s_cbranch_execnz .LBB22_101
.LBB22_10:
	s_and_not1_b32 vcc_lo, exec_lo, s19
	s_cbranch_vccnz .LBB22_148
.LBB22_11:
	s_wait_xcnt 0x0
	v_mul_lo_u32 v2, v18, s10
	s_and_b32 s0, s1, 0xff
	s_delay_alu instid0(SALU_CYCLE_1) | instskip(NEXT) | instid1(VALU_DEP_1)
	s_cmp_lt_i32 s0, 11
	v_ashrrev_i32_e32 v3, 31, v2
	s_delay_alu instid0(VALU_DEP_1)
	v_add_nc_u64_e32 v[2:3], s[2:3], v[2:3]
	s_cbranch_scc1 .LBB22_19
; %bb.12:
	s_and_b32 s18, 0xffff, s0
	s_delay_alu instid0(SALU_CYCLE_1)
	s_cmp_gt_i32 s18, 25
	s_cbranch_scc0 .LBB22_29
; %bb.13:
	s_cmp_gt_i32 s18, 28
	s_cbranch_scc0 .LBB22_32
; %bb.14:
	;; [unrolled: 3-line block ×4, first 2 shown]
	s_cmp_eq_u32 s18, 46
	s_mov_b32 s24, 0
	s_cbranch_scc0 .LBB22_149
; %bb.17:
	s_wait_loadcnt 0x0
	global_load_b32 v1, v[2:3], off
	s_mov_b32 s23, -1
	s_mov_b32 s19, 0
	s_wait_loadcnt 0x0
	v_lshlrev_b32_e32 v1, 16, v1
	s_delay_alu instid0(VALU_DEP_1)
	v_cvt_i32_f32_e32 v4, v1
	s_branch .LBB22_151
.LBB22_18:
                                        ; implicit-def: $vgpr0
	s_cbranch_execnz .LBB22_68
	s_branch .LBB22_100
.LBB22_19:
	s_mov_b32 s19, 0
	s_mov_b32 s23, 0
                                        ; implicit-def: $vgpr4
	s_cbranch_execnz .LBB22_323
.LBB22_20:
	s_and_not1_b32 vcc_lo, exec_lo, s23
	s_cbranch_vccnz .LBB22_371
.LBB22_21:
	s_wait_xcnt 0x0
	v_mul_lo_u32 v2, v18, s8
	s_wait_loadcnt 0x0
	s_delay_alu instid0(VALU_DEP_2) | instskip(SKIP_2) | instid1(VALU_DEP_1)
	v_and_b32_e32 v1, 0xff, v4
	v_and_b32_e32 v0, 0xff, v0
	s_and_b32 s23, s12, 0xff
	v_cmp_ne_u16_e32 vcc_lo, v0, v1
	s_delay_alu instid0(VALU_DEP_4) | instskip(SKIP_2) | instid1(VALU_DEP_1)
	v_ashrrev_i32_e32 v3, 31, v2
	s_xor_b32 s18, s16, vcc_lo
	s_cmp_lt_i32 s23, 11
	v_add_nc_u64_e32 v[0:1], s[4:5], v[2:3]
	s_cbranch_scc1 .LBB22_30
; %bb.22:
	s_and_b32 s24, 0xffff, s23
	s_delay_alu instid0(SALU_CYCLE_1)
	s_cmp_gt_i32 s24, 25
	s_cbranch_scc0 .LBB22_33
; %bb.23:
	s_cmp_gt_i32 s24, 28
	s_cbranch_scc0 .LBB22_36
; %bb.24:
	;; [unrolled: 3-line block ×4, first 2 shown]
	s_mov_b32 s26, 0
	s_mov_b32 s0, -1
	s_cmp_eq_u32 s24, 46
	s_mov_b32 s25, 0
	s_cbranch_scc0 .LBB22_155
; %bb.27:
	v_cndmask_b32_e64 v2, 0, 1.0, s18
	s_mov_b32 s25, -1
	s_mov_b32 s0, 0
	s_delay_alu instid0(VALU_DEP_1) | instskip(NEXT) | instid1(VALU_DEP_1)
	v_bfe_u32 v3, v2, 16, 1
	v_add3_u32 v2, v2, v3, 0x7fff
	s_delay_alu instid0(VALU_DEP_1)
	v_lshrrev_b32_e32 v2, 16, v2
	global_store_b32 v[0:1], v2, off
	s_branch .LBB22_155
.LBB22_28:
	s_mov_b32 s23, -1
                                        ; implicit-def: $vgpr0
	s_branch .LBB22_51
.LBB22_29:
	s_mov_b32 s24, -1
	s_mov_b32 s19, 0
	s_mov_b32 s23, 0
                                        ; implicit-def: $vgpr4
	s_branch .LBB22_289
.LBB22_30:
	s_mov_b32 s24, -1
	s_mov_b32 s0, 0
	s_mov_b32 s25, 0
	s_branch .LBB22_224
.LBB22_31:
	s_mov_b32 s23, -1
                                        ; implicit-def: $vgpr0
	s_branch .LBB22_46
.LBB22_32:
	s_mov_b32 s24, -1
	s_mov_b32 s19, 0
	s_mov_b32 s23, 0
                                        ; implicit-def: $vgpr4
	s_branch .LBB22_272
.LBB22_33:
	s_mov_b32 s26, -1
	s_mov_b32 s0, 0
	s_mov_b32 s25, 0
	s_branch .LBB22_182
.LBB22_34:
	s_mov_b32 s23, -1
	s_branch .LBB22_38
.LBB22_35:
	s_mov_b32 s24, -1
	s_mov_b32 s19, 0
	s_mov_b32 s23, 0
                                        ; implicit-def: $vgpr4
	s_branch .LBB22_267
.LBB22_36:
	s_mov_b32 s26, -1
	s_mov_b32 s0, 0
	s_mov_b32 s25, 0
	s_branch .LBB22_165
.LBB22_37:
	s_mov_b32 s20, -1
.LBB22_38:
                                        ; implicit-def: $vgpr0
.LBB22_39:
	s_and_b32 vcc_lo, exec_lo, s23
	s_cbranch_vccz .LBB22_45
; %bb.40:
	s_cmp_eq_u32 s18, 44
	s_cbranch_scc0 .LBB22_44
; %bb.41:
	global_load_u8 v0, v[2:3], off
	s_mov_b32 s20, 0
	s_mov_b32 s19, -1
	s_wait_loadcnt 0x0
	v_lshlrev_b32_e32 v1, 23, v0
	v_cmp_ne_u32_e32 vcc_lo, 0, v0
	s_delay_alu instid0(VALU_DEP_2) | instskip(NEXT) | instid1(VALU_DEP_1)
	v_cvt_i32_f32_e32 v1, v1
	v_cndmask_b32_e32 v0, 0, v1, vcc_lo
	s_branch .LBB22_45
.LBB22_42:
	s_mov_b32 s24, -1
	s_mov_b32 s19, 0
	s_branch .LBB22_150
.LBB22_43:
	s_mov_b32 s26, -1
	s_mov_b32 s0, 0
	s_mov_b32 s25, 0
	s_branch .LBB22_161
.LBB22_44:
	s_mov_b32 s20, -1
                                        ; implicit-def: $vgpr0
.LBB22_45:
	s_mov_b32 s23, 0
.LBB22_46:
	s_delay_alu instid0(SALU_CYCLE_1)
	s_and_b32 vcc_lo, exec_lo, s23
	s_cbranch_vccz .LBB22_50
; %bb.47:
	s_cmp_eq_u32 s18, 29
	s_cbranch_scc0 .LBB22_49
; %bb.48:
	global_load_b64 v[0:1], v[2:3], off
	s_mov_b32 s19, -1
	s_mov_b32 s20, 0
	s_branch .LBB22_50
.LBB22_49:
	s_mov_b32 s20, -1
                                        ; implicit-def: $vgpr0
.LBB22_50:
	s_mov_b32 s23, 0
.LBB22_51:
	s_delay_alu instid0(SALU_CYCLE_1)
	s_and_b32 vcc_lo, exec_lo, s23
	s_cbranch_vccz .LBB22_67
; %bb.52:
	s_cmp_lt_i32 s18, 27
	s_cbranch_scc1 .LBB22_55
; %bb.53:
	s_cmp_gt_i32 s18, 27
	s_cbranch_scc0 .LBB22_56
; %bb.54:
	s_wait_loadcnt 0x0
	global_load_b32 v0, v[2:3], off
	s_mov_b32 s19, 0
	s_branch .LBB22_57
.LBB22_55:
	s_mov_b32 s19, -1
                                        ; implicit-def: $vgpr0
	s_branch .LBB22_60
.LBB22_56:
	s_mov_b32 s19, -1
                                        ; implicit-def: $vgpr0
.LBB22_57:
	s_delay_alu instid0(SALU_CYCLE_1)
	s_and_not1_b32 vcc_lo, exec_lo, s19
	s_cbranch_vccnz .LBB22_59
; %bb.58:
	s_wait_loadcnt 0x0
	global_load_u16 v0, v[2:3], off
.LBB22_59:
	s_mov_b32 s19, 0
.LBB22_60:
	s_delay_alu instid0(SALU_CYCLE_1)
	s_and_not1_b32 vcc_lo, exec_lo, s19
	s_cbranch_vccnz .LBB22_66
; %bb.61:
	s_wait_loadcnt 0x0
	global_load_u8 v1, v[2:3], off
	s_mov_b32 s23, 0
	s_mov_b32 s19, exec_lo
	s_wait_loadcnt 0x0
	v_cmpx_lt_i16_e32 0x7f, v1
	s_xor_b32 s19, exec_lo, s19
	s_cbranch_execz .LBB22_77
; %bb.62:
	v_cmp_ne_u16_e32 vcc_lo, 0x80, v1
	s_and_b32 s23, vcc_lo, exec_lo
	s_and_not1_saveexec_b32 s19, s19
	s_cbranch_execnz .LBB22_78
.LBB22_63:
	s_or_b32 exec_lo, exec_lo, s19
	v_mov_b32_e32 v0, 0
	s_and_saveexec_b32 s19, s23
	s_cbranch_execz .LBB22_65
.LBB22_64:
	v_and_b32_e32 v0, 0xffff, v1
	s_delay_alu instid0(VALU_DEP_1) | instskip(SKIP_1) | instid1(VALU_DEP_2)
	v_and_b32_e32 v4, 7, v0
	v_bfe_u32 v7, v0, 3, 4
	v_clz_i32_u32_e32 v5, v4
	s_delay_alu instid0(VALU_DEP_2) | instskip(NEXT) | instid1(VALU_DEP_2)
	v_cmp_eq_u32_e32 vcc_lo, 0, v7
	v_min_u32_e32 v5, 32, v5
	s_delay_alu instid0(VALU_DEP_1) | instskip(NEXT) | instid1(VALU_DEP_1)
	v_subrev_nc_u32_e32 v6, 28, v5
	v_dual_lshlrev_b32 v0, v6, v0 :: v_dual_sub_nc_u32 v5, 29, v5
	s_delay_alu instid0(VALU_DEP_1) | instskip(NEXT) | instid1(VALU_DEP_1)
	v_dual_lshlrev_b32 v1, 24, v1 :: v_dual_bitop2_b32 v0, 7, v0 bitop3:0x40
	v_dual_cndmask_b32 v0, v4, v0 :: v_dual_cndmask_b32 v5, v7, v5
	s_delay_alu instid0(VALU_DEP_2) | instskip(NEXT) | instid1(VALU_DEP_2)
	v_and_b32_e32 v1, 0x80000000, v1
	v_lshlrev_b32_e32 v0, 20, v0
	s_delay_alu instid0(VALU_DEP_3) | instskip(NEXT) | instid1(VALU_DEP_1)
	v_lshl_add_u32 v4, v5, 23, 0x3b800000
	v_or3_b32 v0, v1, v4, v0
	s_delay_alu instid0(VALU_DEP_1)
	v_cvt_i32_f32_e32 v0, v0
.LBB22_65:
	s_or_b32 exec_lo, exec_lo, s19
.LBB22_66:
	s_mov_b32 s19, -1
.LBB22_67:
	s_branch .LBB22_100
.LBB22_68:
	s_cmp_gt_i32 s18, 22
	s_cbranch_scc0 .LBB22_76
; %bb.69:
	s_cmp_lt_i32 s18, 24
	s_cbranch_scc1 .LBB22_79
; %bb.70:
	s_cmp_gt_i32 s18, 24
	s_cbranch_scc0 .LBB22_80
; %bb.71:
	s_wait_loadcnt 0x0
	global_load_u8 v1, v[2:3], off
	s_mov_b32 s23, 0
	s_mov_b32 s19, exec_lo
	s_wait_loadcnt 0x0
	v_cmpx_lt_i16_e32 0x7f, v1
	s_xor_b32 s19, exec_lo, s19
	s_cbranch_execz .LBB22_92
; %bb.72:
	v_cmp_ne_u16_e32 vcc_lo, 0x80, v1
	s_and_b32 s23, vcc_lo, exec_lo
	s_and_not1_saveexec_b32 s19, s19
	s_cbranch_execnz .LBB22_93
.LBB22_73:
	s_or_b32 exec_lo, exec_lo, s19
	v_mov_b32_e32 v0, 0
	s_and_saveexec_b32 s19, s23
	s_cbranch_execz .LBB22_75
.LBB22_74:
	v_and_b32_e32 v0, 0xffff, v1
	s_delay_alu instid0(VALU_DEP_1) | instskip(SKIP_1) | instid1(VALU_DEP_2)
	v_and_b32_e32 v4, 3, v0
	v_bfe_u32 v7, v0, 2, 5
	v_clz_i32_u32_e32 v5, v4
	s_delay_alu instid0(VALU_DEP_2) | instskip(NEXT) | instid1(VALU_DEP_2)
	v_cmp_eq_u32_e32 vcc_lo, 0, v7
	v_min_u32_e32 v5, 32, v5
	s_delay_alu instid0(VALU_DEP_1) | instskip(NEXT) | instid1(VALU_DEP_1)
	v_subrev_nc_u32_e32 v6, 29, v5
	v_dual_lshlrev_b32 v0, v6, v0 :: v_dual_sub_nc_u32 v5, 30, v5
	s_delay_alu instid0(VALU_DEP_1) | instskip(NEXT) | instid1(VALU_DEP_1)
	v_dual_lshlrev_b32 v1, 24, v1 :: v_dual_bitop2_b32 v0, 3, v0 bitop3:0x40
	v_dual_cndmask_b32 v0, v4, v0 :: v_dual_cndmask_b32 v5, v7, v5
	s_delay_alu instid0(VALU_DEP_2) | instskip(NEXT) | instid1(VALU_DEP_2)
	v_and_b32_e32 v1, 0x80000000, v1
	v_lshlrev_b32_e32 v0, 21, v0
	s_delay_alu instid0(VALU_DEP_3) | instskip(NEXT) | instid1(VALU_DEP_1)
	v_lshl_add_u32 v4, v5, 23, 0x37800000
	v_or3_b32 v0, v1, v4, v0
	s_delay_alu instid0(VALU_DEP_1)
	v_cvt_i32_f32_e32 v0, v0
.LBB22_75:
	s_or_b32 exec_lo, exec_lo, s19
	s_mov_b32 s19, 0
	s_branch .LBB22_81
.LBB22_76:
	s_mov_b32 s23, -1
                                        ; implicit-def: $vgpr0
	s_branch .LBB22_87
.LBB22_77:
	s_and_not1_saveexec_b32 s19, s19
	s_cbranch_execz .LBB22_63
.LBB22_78:
	v_cmp_ne_u16_e32 vcc_lo, 0, v1
	s_and_not1_b32 s23, s23, exec_lo
	s_and_b32 s24, vcc_lo, exec_lo
	s_delay_alu instid0(SALU_CYCLE_1)
	s_or_b32 s23, s23, s24
	s_or_b32 exec_lo, exec_lo, s19
	v_mov_b32_e32 v0, 0
	s_and_saveexec_b32 s19, s23
	s_cbranch_execnz .LBB22_64
	s_branch .LBB22_65
.LBB22_79:
	s_mov_b32 s19, -1
                                        ; implicit-def: $vgpr0
	s_branch .LBB22_84
.LBB22_80:
	s_mov_b32 s19, -1
                                        ; implicit-def: $vgpr0
.LBB22_81:
	s_delay_alu instid0(SALU_CYCLE_1)
	s_and_b32 vcc_lo, exec_lo, s19
	s_cbranch_vccz .LBB22_83
; %bb.82:
	s_wait_loadcnt 0x0
	global_load_u8 v0, v[2:3], off
	s_wait_loadcnt 0x0
	v_lshlrev_b32_e32 v0, 24, v0
	s_delay_alu instid0(VALU_DEP_1) | instskip(NEXT) | instid1(VALU_DEP_1)
	v_and_b32_e32 v1, 0x7f000000, v0
	v_clz_i32_u32_e32 v4, v1
	v_cmp_ne_u32_e32 vcc_lo, 0, v1
	v_add_nc_u32_e32 v6, 0x1000000, v1
	s_delay_alu instid0(VALU_DEP_3) | instskip(NEXT) | instid1(VALU_DEP_1)
	v_min_u32_e32 v4, 32, v4
	v_sub_nc_u32_e64 v4, v4, 4 clamp
	s_delay_alu instid0(VALU_DEP_1) | instskip(NEXT) | instid1(VALU_DEP_1)
	v_dual_lshlrev_b32 v5, v4, v1 :: v_dual_lshlrev_b32 v4, 23, v4
	v_lshrrev_b32_e32 v5, 4, v5
	s_delay_alu instid0(VALU_DEP_1) | instskip(NEXT) | instid1(VALU_DEP_1)
	v_dual_sub_nc_u32 v4, v5, v4 :: v_dual_ashrrev_i32 v5, 8, v6
	v_add_nc_u32_e32 v4, 0x3c000000, v4
	s_delay_alu instid0(VALU_DEP_1) | instskip(NEXT) | instid1(VALU_DEP_1)
	v_and_or_b32 v4, 0x7f800000, v5, v4
	v_cndmask_b32_e32 v1, 0, v4, vcc_lo
	s_delay_alu instid0(VALU_DEP_1) | instskip(NEXT) | instid1(VALU_DEP_1)
	v_and_or_b32 v0, 0x80000000, v0, v1
	v_cvt_i32_f32_e32 v0, v0
.LBB22_83:
	s_mov_b32 s19, 0
.LBB22_84:
	s_delay_alu instid0(SALU_CYCLE_1)
	s_and_not1_b32 vcc_lo, exec_lo, s19
	s_cbranch_vccnz .LBB22_86
; %bb.85:
	s_wait_loadcnt 0x0
	global_load_u8 v0, v[2:3], off
	s_wait_loadcnt 0x0
	v_lshlrev_b32_e32 v1, 25, v0
	v_lshlrev_b16 v0, 8, v0
	s_delay_alu instid0(VALU_DEP_1) | instskip(SKIP_1) | instid1(VALU_DEP_2)
	v_and_or_b32 v5, 0x7f00, v0, 0.5
	v_bfe_i32 v0, v0, 0, 16
	v_add_f32_e32 v5, -0.5, v5
	v_lshrrev_b32_e32 v4, 4, v1
	v_cmp_gt_u32_e32 vcc_lo, 0x8000000, v1
	s_delay_alu instid0(VALU_DEP_2) | instskip(NEXT) | instid1(VALU_DEP_1)
	v_or_b32_e32 v4, 0x70000000, v4
	v_mul_f32_e32 v4, 0x7800000, v4
	s_delay_alu instid0(VALU_DEP_1) | instskip(NEXT) | instid1(VALU_DEP_1)
	v_cndmask_b32_e32 v1, v4, v5, vcc_lo
	v_and_or_b32 v0, 0x80000000, v0, v1
	s_delay_alu instid0(VALU_DEP_1)
	v_cvt_i32_f32_e32 v0, v0
.LBB22_86:
	s_mov_b32 s23, 0
	s_mov_b32 s19, -1
.LBB22_87:
	s_and_not1_b32 vcc_lo, exec_lo, s23
	s_cbranch_vccnz .LBB22_100
; %bb.88:
	s_cmp_gt_i32 s18, 14
	s_cbranch_scc0 .LBB22_91
; %bb.89:
	s_cmp_eq_u32 s18, 15
	s_cbranch_scc0 .LBB22_94
; %bb.90:
	s_wait_loadcnt 0x0
	global_load_u16 v0, v[2:3], off
	s_mov_b32 s19, -1
	s_mov_b32 s20, 0
	s_wait_loadcnt 0x0
	v_lshlrev_b32_e32 v0, 16, v0
	s_delay_alu instid0(VALU_DEP_1)
	v_cvt_i32_f32_e32 v0, v0
	s_branch .LBB22_95
.LBB22_91:
	s_mov_b32 s23, -1
                                        ; implicit-def: $vgpr0
	s_branch .LBB22_96
.LBB22_92:
	s_and_not1_saveexec_b32 s19, s19
	s_cbranch_execz .LBB22_73
.LBB22_93:
	v_cmp_ne_u16_e32 vcc_lo, 0, v1
	s_and_not1_b32 s23, s23, exec_lo
	s_and_b32 s24, vcc_lo, exec_lo
	s_delay_alu instid0(SALU_CYCLE_1)
	s_or_b32 s23, s23, s24
	s_or_b32 exec_lo, exec_lo, s19
	v_mov_b32_e32 v0, 0
	s_and_saveexec_b32 s19, s23
	s_cbranch_execnz .LBB22_74
	s_branch .LBB22_75
.LBB22_94:
	s_mov_b32 s20, -1
                                        ; implicit-def: $vgpr0
.LBB22_95:
	s_mov_b32 s23, 0
.LBB22_96:
	s_delay_alu instid0(SALU_CYCLE_1)
	s_and_b32 vcc_lo, exec_lo, s23
	s_cbranch_vccz .LBB22_100
; %bb.97:
	s_cmp_eq_u32 s18, 11
	s_cbranch_scc0 .LBB22_99
; %bb.98:
	s_wait_loadcnt 0x0
	global_load_u8 v0, v[2:3], off
	s_mov_b32 s20, 0
	s_mov_b32 s19, -1
	s_wait_loadcnt 0x0
	v_cmp_ne_u16_e32 vcc_lo, 0, v0
	v_cndmask_b32_e64 v0, 0, 1, vcc_lo
	s_branch .LBB22_100
.LBB22_99:
	s_mov_b32 s20, -1
                                        ; implicit-def: $vgpr0
.LBB22_100:
	s_branch .LBB22_10
.LBB22_101:
	s_and_b32 s0, 0xffff, s0
	s_delay_alu instid0(SALU_CYCLE_1)
	s_cmp_lt_i32 s0, 5
	s_cbranch_scc1 .LBB22_106
; %bb.102:
	s_cmp_lt_i32 s0, 8
	s_cbranch_scc1 .LBB22_107
; %bb.103:
	;; [unrolled: 3-line block ×3, first 2 shown]
	s_cmp_gt_i32 s0, 9
	s_cbranch_scc0 .LBB22_109
; %bb.105:
	s_wait_loadcnt 0x0
	global_load_b64 v[0:1], v[2:3], off
	s_mov_b32 s18, 0
	s_wait_loadcnt 0x0
	v_cvt_i32_f64_e32 v0, v[0:1]
	s_branch .LBB22_110
.LBB22_106:
                                        ; implicit-def: $vgpr0
	s_branch .LBB22_128
.LBB22_107:
	s_mov_b32 s18, -1
                                        ; implicit-def: $vgpr0
	s_branch .LBB22_116
.LBB22_108:
	s_mov_b32 s18, -1
                                        ; implicit-def: $vgpr0
	s_branch .LBB22_113
.LBB22_109:
	s_mov_b32 s18, -1
                                        ; implicit-def: $vgpr0
.LBB22_110:
	s_delay_alu instid0(SALU_CYCLE_1)
	s_and_not1_b32 vcc_lo, exec_lo, s18
	s_cbranch_vccnz .LBB22_112
; %bb.111:
	s_wait_loadcnt 0x0
	global_load_b32 v0, v[2:3], off
	s_wait_loadcnt 0x0
	v_cvt_i32_f32_e32 v0, v0
.LBB22_112:
	s_mov_b32 s18, 0
.LBB22_113:
	s_delay_alu instid0(SALU_CYCLE_1)
	s_and_not1_b32 vcc_lo, exec_lo, s18
	s_cbranch_vccnz .LBB22_115
; %bb.114:
	s_wait_loadcnt 0x0
	global_load_b32 v0, v[2:3], off
	s_wait_loadcnt 0x0
	v_cvt_i16_f16_e32 v0, v0
.LBB22_115:
	s_mov_b32 s18, 0
.LBB22_116:
	s_delay_alu instid0(SALU_CYCLE_1)
	s_and_not1_b32 vcc_lo, exec_lo, s18
	s_cbranch_vccnz .LBB22_127
; %bb.117:
	s_cmp_lt_i32 s0, 6
	s_cbranch_scc1 .LBB22_120
; %bb.118:
	s_cmp_gt_i32 s0, 6
	s_cbranch_scc0 .LBB22_121
; %bb.119:
	s_wait_loadcnt 0x0
	global_load_b64 v[0:1], v[2:3], off
	s_mov_b32 s18, 0
	s_wait_loadcnt 0x0
	v_cvt_i32_f64_e32 v0, v[0:1]
	s_branch .LBB22_122
.LBB22_120:
	s_mov_b32 s18, -1
                                        ; implicit-def: $vgpr0
	s_branch .LBB22_125
.LBB22_121:
	s_mov_b32 s18, -1
                                        ; implicit-def: $vgpr0
.LBB22_122:
	s_delay_alu instid0(SALU_CYCLE_1)
	s_and_not1_b32 vcc_lo, exec_lo, s18
	s_cbranch_vccnz .LBB22_124
; %bb.123:
	s_wait_loadcnt 0x0
	global_load_b32 v0, v[2:3], off
	s_wait_loadcnt 0x0
	v_cvt_i32_f32_e32 v0, v0
.LBB22_124:
	s_mov_b32 s18, 0
.LBB22_125:
	s_delay_alu instid0(SALU_CYCLE_1)
	s_and_not1_b32 vcc_lo, exec_lo, s18
	s_cbranch_vccnz .LBB22_127
; %bb.126:
	s_wait_loadcnt 0x0
	global_load_u16 v0, v[2:3], off
	s_wait_loadcnt 0x0
	v_cvt_i16_f16_e32 v0, v0
.LBB22_127:
	s_cbranch_execnz .LBB22_147
.LBB22_128:
	s_cmp_lt_i32 s0, 2
	s_cbranch_scc1 .LBB22_132
; %bb.129:
	s_cmp_lt_i32 s0, 3
	s_cbranch_scc1 .LBB22_133
; %bb.130:
	s_cmp_gt_i32 s0, 3
	s_cbranch_scc0 .LBB22_134
; %bb.131:
	s_wait_loadcnt 0x0
	global_load_b64 v[0:1], v[2:3], off
	s_mov_b32 s18, 0
	s_branch .LBB22_135
.LBB22_132:
	s_mov_b32 s18, -1
                                        ; implicit-def: $vgpr0
	s_branch .LBB22_141
.LBB22_133:
	s_mov_b32 s18, -1
                                        ; implicit-def: $vgpr0
	s_branch .LBB22_138
.LBB22_134:
	s_mov_b32 s18, -1
                                        ; implicit-def: $vgpr0
.LBB22_135:
	s_delay_alu instid0(SALU_CYCLE_1)
	s_and_not1_b32 vcc_lo, exec_lo, s18
	s_cbranch_vccnz .LBB22_137
; %bb.136:
	s_wait_loadcnt 0x0
	global_load_b32 v0, v[2:3], off
.LBB22_137:
	s_mov_b32 s18, 0
.LBB22_138:
	s_delay_alu instid0(SALU_CYCLE_1)
	s_and_not1_b32 vcc_lo, exec_lo, s18
	s_cbranch_vccnz .LBB22_140
; %bb.139:
	s_wait_loadcnt 0x0
	global_load_u16 v0, v[2:3], off
.LBB22_140:
	s_mov_b32 s18, 0
.LBB22_141:
	s_delay_alu instid0(SALU_CYCLE_1)
	s_and_not1_b32 vcc_lo, exec_lo, s18
	s_cbranch_vccnz .LBB22_147
; %bb.142:
	s_cmp_gt_i32 s0, 0
	s_mov_b32 s0, 0
	s_cbranch_scc0 .LBB22_144
; %bb.143:
	s_wait_loadcnt 0x0
	global_load_u8 v0, v[2:3], off
	s_branch .LBB22_145
.LBB22_144:
	s_mov_b32 s0, -1
                                        ; implicit-def: $vgpr0
.LBB22_145:
	s_delay_alu instid0(SALU_CYCLE_1)
	s_and_not1_b32 vcc_lo, exec_lo, s0
	s_cbranch_vccnz .LBB22_147
; %bb.146:
	s_wait_loadcnt 0x0
	global_load_u8 v0, v[2:3], off
.LBB22_147:
	s_branch .LBB22_11
.LBB22_148:
	s_mov_b32 s0, 0
	s_mov_b32 s19, 0
	s_branch .LBB22_372
.LBB22_149:
	s_mov_b32 s19, -1
.LBB22_150:
	s_mov_b32 s23, 0
                                        ; implicit-def: $vgpr4
.LBB22_151:
	s_and_b32 vcc_lo, exec_lo, s24
	s_cbranch_vccz .LBB22_266
; %bb.152:
	s_cmp_eq_u32 s18, 44
	s_cbranch_scc0 .LBB22_265
; %bb.153:
	s_wait_loadcnt 0x0
	global_load_u8 v1, v[2:3], off
	s_mov_b32 s19, 0
	s_mov_b32 s23, -1
	s_wait_loadcnt 0x0
	v_lshlrev_b32_e32 v4, 23, v1
	v_cmp_ne_u32_e32 vcc_lo, 0, v1
	s_delay_alu instid0(VALU_DEP_2) | instskip(NEXT) | instid1(VALU_DEP_1)
	v_cvt_i32_f32_e32 v4, v4
	v_cndmask_b32_e32 v4, 0, v4, vcc_lo
	s_branch .LBB22_266
.LBB22_154:
	s_mov_b32 s26, -1
	s_mov_b32 s0, 0
	s_mov_b32 s25, 0
.LBB22_155:
	s_and_b32 vcc_lo, exec_lo, s26
	s_cbranch_vccz .LBB22_160
; %bb.156:
	s_cmp_eq_u32 s24, 44
	s_mov_b32 s0, -1
	s_cbranch_scc0 .LBB22_160
; %bb.157:
	v_cndmask_b32_e64 v4, 0, 1.0, s18
	s_mov_b32 s25, exec_lo
	s_wait_xcnt 0x0
	s_delay_alu instid0(VALU_DEP_1) | instskip(NEXT) | instid1(VALU_DEP_1)
	v_dual_mov_b32 v3, 0xff :: v_dual_lshrrev_b32 v2, 23, v4
	v_cmpx_ne_u32_e32 0xff, v2
; %bb.158:
	v_and_b32_e32 v3, 0x400000, v4
	v_and_or_b32 v4, 0x3fffff, v4, v2
	s_delay_alu instid0(VALU_DEP_2) | instskip(NEXT) | instid1(VALU_DEP_2)
	v_cmp_ne_u32_e32 vcc_lo, 0, v3
	v_cmp_ne_u32_e64 s0, 0, v4
	s_and_b32 s0, vcc_lo, s0
	s_delay_alu instid0(SALU_CYCLE_1) | instskip(NEXT) | instid1(VALU_DEP_1)
	v_cndmask_b32_e64 v3, 0, 1, s0
	v_add_nc_u32_e32 v3, v2, v3
; %bb.159:
	s_or_b32 exec_lo, exec_lo, s25
	s_mov_b32 s25, -1
	s_mov_b32 s0, 0
	global_store_b8 v[0:1], v3, off
.LBB22_160:
	s_mov_b32 s26, 0
.LBB22_161:
	s_delay_alu instid0(SALU_CYCLE_1)
	s_and_b32 vcc_lo, exec_lo, s26
	s_cbranch_vccz .LBB22_164
; %bb.162:
	s_cmp_eq_u32 s24, 29
	s_mov_b32 s0, -1
	s_cbranch_scc0 .LBB22_164
; %bb.163:
	s_mov_b32 s0, 0
	s_wait_xcnt 0x0
	v_cndmask_b32_e64 v2, 0, 1, s18
	v_mov_b32_e32 v3, s0
	s_mov_b32 s25, -1
	s_mov_b32 s26, 0
	global_store_b64 v[0:1], v[2:3], off
	s_branch .LBB22_165
.LBB22_164:
	s_mov_b32 s26, 0
.LBB22_165:
	s_delay_alu instid0(SALU_CYCLE_1)
	s_and_b32 vcc_lo, exec_lo, s26
	s_cbranch_vccz .LBB22_181
; %bb.166:
	s_cmp_lt_i32 s24, 27
	s_mov_b32 s25, -1
	s_cbranch_scc1 .LBB22_172
; %bb.167:
	s_cmp_gt_i32 s24, 27
	s_cbranch_scc0 .LBB22_169
; %bb.168:
	s_wait_xcnt 0x0
	v_cndmask_b32_e64 v2, 0, 1, s18
	s_mov_b32 s25, 0
	global_store_b32 v[0:1], v2, off
.LBB22_169:
	s_and_not1_b32 vcc_lo, exec_lo, s25
	s_cbranch_vccnz .LBB22_171
; %bb.170:
	s_wait_xcnt 0x0
	v_cndmask_b32_e64 v2, 0, 1, s18
	global_store_b16 v[0:1], v2, off
.LBB22_171:
	s_mov_b32 s25, 0
.LBB22_172:
	s_delay_alu instid0(SALU_CYCLE_1)
	s_and_not1_b32 vcc_lo, exec_lo, s25
	s_cbranch_vccnz .LBB22_180
; %bb.173:
	s_wait_xcnt 0x0
	v_cndmask_b32_e64 v3, 0, 1.0, s18
	v_mov_b32_e32 v4, 0x80
	s_mov_b32 s25, exec_lo
	s_delay_alu instid0(VALU_DEP_2)
	v_cmpx_gt_u32_e32 0x43800000, v3
	s_cbranch_execz .LBB22_179
; %bb.174:
	s_mov_b32 s26, 0
	s_mov_b32 s27, exec_lo
                                        ; implicit-def: $vgpr2
	v_cmpx_lt_u32_e32 0x3bffffff, v3
	s_xor_b32 s27, exec_lo, s27
	s_cbranch_execz .LBB22_403
; %bb.175:
	v_bfe_u32 v2, v3, 20, 1
	s_mov_b32 s26, exec_lo
	s_delay_alu instid0(VALU_DEP_1) | instskip(NEXT) | instid1(VALU_DEP_1)
	v_add3_u32 v2, v3, v2, 0x487ffff
                                        ; implicit-def: $vgpr3
	v_lshrrev_b32_e32 v2, 20, v2
	s_and_not1_saveexec_b32 s27, s27
	s_cbranch_execnz .LBB22_404
.LBB22_176:
	s_or_b32 exec_lo, exec_lo, s27
	v_mov_b32_e32 v4, 0
	s_and_saveexec_b32 s27, s26
.LBB22_177:
	v_mov_b32_e32 v4, v2
.LBB22_178:
	s_or_b32 exec_lo, exec_lo, s27
.LBB22_179:
	s_delay_alu instid0(SALU_CYCLE_1)
	s_or_b32 exec_lo, exec_lo, s25
	global_store_b8 v[0:1], v4, off
.LBB22_180:
	s_mov_b32 s25, -1
.LBB22_181:
	s_mov_b32 s26, 0
.LBB22_182:
	s_delay_alu instid0(SALU_CYCLE_1)
	s_and_b32 vcc_lo, exec_lo, s26
	s_cbranch_vccz .LBB22_223
; %bb.183:
	s_cmp_gt_i32 s24, 22
	s_mov_b32 s26, -1
	s_cbranch_scc0 .LBB22_215
; %bb.184:
	s_cmp_lt_i32 s24, 24
	s_mov_b32 s25, -1
	s_cbranch_scc1 .LBB22_204
; %bb.185:
	s_cmp_gt_i32 s24, 24
	s_cbranch_scc0 .LBB22_193
; %bb.186:
	s_wait_xcnt 0x0
	v_cndmask_b32_e64 v3, 0, 1.0, s18
	v_mov_b32_e32 v4, 0x80
	s_mov_b32 s25, exec_lo
	s_delay_alu instid0(VALU_DEP_2)
	v_cmpx_gt_u32_e32 0x47800000, v3
	s_cbranch_execz .LBB22_192
; %bb.187:
	s_mov_b32 s26, 0
	s_mov_b32 s27, exec_lo
                                        ; implicit-def: $vgpr2
	v_cmpx_lt_u32_e32 0x37ffffff, v3
	s_xor_b32 s27, exec_lo, s27
	s_cbranch_execz .LBB22_518
; %bb.188:
	v_bfe_u32 v2, v3, 21, 1
	s_mov_b32 s26, exec_lo
	s_delay_alu instid0(VALU_DEP_1) | instskip(NEXT) | instid1(VALU_DEP_1)
	v_add3_u32 v2, v3, v2, 0x88fffff
                                        ; implicit-def: $vgpr3
	v_lshrrev_b32_e32 v2, 21, v2
	s_and_not1_saveexec_b32 s27, s27
	s_cbranch_execnz .LBB22_519
.LBB22_189:
	s_or_b32 exec_lo, exec_lo, s27
	v_mov_b32_e32 v4, 0
	s_and_saveexec_b32 s27, s26
.LBB22_190:
	v_mov_b32_e32 v4, v2
.LBB22_191:
	s_or_b32 exec_lo, exec_lo, s27
.LBB22_192:
	s_delay_alu instid0(SALU_CYCLE_1)
	s_or_b32 exec_lo, exec_lo, s25
	s_mov_b32 s25, 0
	global_store_b8 v[0:1], v4, off
.LBB22_193:
	s_and_b32 vcc_lo, exec_lo, s25
	s_cbranch_vccz .LBB22_203
; %bb.194:
	s_wait_xcnt 0x0
	v_cndmask_b32_e64 v3, 0, 1.0, s18
	s_mov_b32 s25, exec_lo
                                        ; implicit-def: $vgpr2
	s_delay_alu instid0(VALU_DEP_1)
	v_cmpx_gt_u32_e32 0x43f00000, v3
	s_xor_b32 s25, exec_lo, s25
	s_cbranch_execz .LBB22_200
; %bb.195:
	s_mov_b32 s26, exec_lo
                                        ; implicit-def: $vgpr2
	v_cmpx_lt_u32_e32 0x3c7fffff, v3
	s_xor_b32 s26, exec_lo, s26
; %bb.196:
	v_bfe_u32 v2, v3, 20, 1
	s_delay_alu instid0(VALU_DEP_1) | instskip(NEXT) | instid1(VALU_DEP_1)
	v_add3_u32 v2, v3, v2, 0x407ffff
	v_and_b32_e32 v3, 0xff00000, v2
	v_lshrrev_b32_e32 v2, 20, v2
	s_delay_alu instid0(VALU_DEP_2) | instskip(NEXT) | instid1(VALU_DEP_2)
	v_cmp_ne_u32_e32 vcc_lo, 0x7f00000, v3
                                        ; implicit-def: $vgpr3
	v_cndmask_b32_e32 v2, 0x7e, v2, vcc_lo
; %bb.197:
	s_and_not1_saveexec_b32 s26, s26
; %bb.198:
	v_add_f32_e32 v2, 0x46800000, v3
; %bb.199:
	s_or_b32 exec_lo, exec_lo, s26
                                        ; implicit-def: $vgpr3
.LBB22_200:
	s_and_not1_saveexec_b32 s25, s25
; %bb.201:
	v_mov_b32_e32 v2, 0x7f
	v_cmp_lt_u32_e32 vcc_lo, 0x7f800000, v3
	s_delay_alu instid0(VALU_DEP_2)
	v_cndmask_b32_e32 v2, 0x7e, v2, vcc_lo
; %bb.202:
	s_or_b32 exec_lo, exec_lo, s25
	global_store_b8 v[0:1], v2, off
.LBB22_203:
	s_mov_b32 s25, 0
.LBB22_204:
	s_delay_alu instid0(SALU_CYCLE_1)
	s_and_not1_b32 vcc_lo, exec_lo, s25
	s_cbranch_vccnz .LBB22_214
; %bb.205:
	s_wait_xcnt 0x0
	v_cndmask_b32_e64 v3, 0, 1.0, s18
	s_mov_b32 s25, exec_lo
                                        ; implicit-def: $vgpr2
	s_delay_alu instid0(VALU_DEP_1)
	v_cmpx_gt_u32_e32 0x47800000, v3
	s_xor_b32 s25, exec_lo, s25
	s_cbranch_execz .LBB22_211
; %bb.206:
	s_mov_b32 s26, exec_lo
                                        ; implicit-def: $vgpr2
	v_cmpx_lt_u32_e32 0x387fffff, v3
	s_xor_b32 s26, exec_lo, s26
; %bb.207:
	v_bfe_u32 v2, v3, 21, 1
	s_delay_alu instid0(VALU_DEP_1) | instskip(NEXT) | instid1(VALU_DEP_1)
	v_add3_u32 v2, v3, v2, 0x80fffff
                                        ; implicit-def: $vgpr3
	v_lshrrev_b32_e32 v2, 21, v2
; %bb.208:
	s_and_not1_saveexec_b32 s26, s26
; %bb.209:
	v_add_f32_e32 v2, 0x43000000, v3
; %bb.210:
	s_or_b32 exec_lo, exec_lo, s26
                                        ; implicit-def: $vgpr3
.LBB22_211:
	s_and_not1_saveexec_b32 s25, s25
; %bb.212:
	v_mov_b32_e32 v2, 0x7f
	v_cmp_lt_u32_e32 vcc_lo, 0x7f800000, v3
	s_delay_alu instid0(VALU_DEP_2)
	v_cndmask_b32_e32 v2, 0x7c, v2, vcc_lo
; %bb.213:
	s_or_b32 exec_lo, exec_lo, s25
	global_store_b8 v[0:1], v2, off
.LBB22_214:
	s_mov_b32 s26, 0
	s_mov_b32 s25, -1
.LBB22_215:
	s_and_not1_b32 vcc_lo, exec_lo, s26
	s_cbranch_vccnz .LBB22_223
; %bb.216:
	s_cmp_gt_i32 s24, 14
	s_mov_b32 s26, -1
	s_cbranch_scc0 .LBB22_220
; %bb.217:
	s_cmp_eq_u32 s24, 15
	s_mov_b32 s0, -1
	s_cbranch_scc0 .LBB22_219
; %bb.218:
	s_wait_xcnt 0x0
	v_cndmask_b32_e64 v2, 0, 1.0, s18
	s_mov_b32 s25, -1
	s_mov_b32 s0, 0
	s_delay_alu instid0(VALU_DEP_1) | instskip(NEXT) | instid1(VALU_DEP_1)
	v_bfe_u32 v3, v2, 16, 1
	v_add3_u32 v2, v2, v3, 0x7fff
	global_store_d16_hi_b16 v[0:1], v2, off
.LBB22_219:
	s_mov_b32 s26, 0
.LBB22_220:
	s_delay_alu instid0(SALU_CYCLE_1)
	s_and_b32 vcc_lo, exec_lo, s26
	s_cbranch_vccz .LBB22_223
; %bb.221:
	s_cmp_eq_u32 s24, 11
	s_mov_b32 s0, -1
	s_cbranch_scc0 .LBB22_223
; %bb.222:
	s_wait_xcnt 0x0
	v_cndmask_b32_e64 v2, 0, 1, s18
	s_mov_b32 s25, -1
	s_mov_b32 s0, 0
	global_store_b8 v[0:1], v2, off
.LBB22_223:
	s_mov_b32 s24, 0
.LBB22_224:
	s_delay_alu instid0(SALU_CYCLE_1)
	s_and_b32 vcc_lo, exec_lo, s24
	s_cbranch_vccz .LBB22_263
; %bb.225:
	s_and_b32 s23, 0xffff, s23
	s_mov_b32 s24, -1
	s_cmp_lt_i32 s23, 5
	s_cbranch_scc1 .LBB22_246
; %bb.226:
	s_cmp_lt_i32 s23, 8
	s_cbranch_scc1 .LBB22_236
; %bb.227:
	;; [unrolled: 3-line block ×3, first 2 shown]
	s_cmp_gt_i32 s23, 9
	s_cbranch_scc0 .LBB22_230
; %bb.229:
	s_wait_xcnt 0x0
	v_cndmask_b32_e64 v2, 0, 1, s18
	v_mov_b32_e32 v4, 0
	s_mov_b32 s24, 0
	s_delay_alu instid0(VALU_DEP_2) | instskip(NEXT) | instid1(VALU_DEP_2)
	v_cvt_f64_u32_e32 v[2:3], v2
	v_mov_b32_e32 v5, v4
	global_store_b128 v[0:1], v[2:5], off
.LBB22_230:
	s_and_not1_b32 vcc_lo, exec_lo, s24
	s_cbranch_vccnz .LBB22_232
; %bb.231:
	s_wait_xcnt 0x0
	v_cndmask_b32_e64 v2, 0, 1.0, s18
	v_mov_b32_e32 v3, 0
	global_store_b64 v[0:1], v[2:3], off
.LBB22_232:
	s_mov_b32 s24, 0
.LBB22_233:
	s_delay_alu instid0(SALU_CYCLE_1)
	s_and_not1_b32 vcc_lo, exec_lo, s24
	s_cbranch_vccnz .LBB22_235
; %bb.234:
	s_wait_xcnt 0x0
	v_cndmask_b32_e64 v2, 0, 1.0, s18
	s_delay_alu instid0(VALU_DEP_1) | instskip(NEXT) | instid1(VALU_DEP_1)
	v_cvt_f16_f32_e32 v2, v2
	v_and_b32_e32 v2, 0xffff, v2
	global_store_b32 v[0:1], v2, off
.LBB22_235:
	s_mov_b32 s24, 0
.LBB22_236:
	s_delay_alu instid0(SALU_CYCLE_1)
	s_and_not1_b32 vcc_lo, exec_lo, s24
	s_cbranch_vccnz .LBB22_245
; %bb.237:
	s_cmp_lt_i32 s23, 6
	s_mov_b32 s24, -1
	s_cbranch_scc1 .LBB22_243
; %bb.238:
	s_cmp_gt_i32 s23, 6
	s_cbranch_scc0 .LBB22_240
; %bb.239:
	s_wait_xcnt 0x0
	v_cndmask_b32_e64 v2, 0, 1, s18
	s_mov_b32 s24, 0
	s_delay_alu instid0(VALU_DEP_1)
	v_cvt_f64_u32_e32 v[2:3], v2
	global_store_b64 v[0:1], v[2:3], off
.LBB22_240:
	s_and_not1_b32 vcc_lo, exec_lo, s24
	s_cbranch_vccnz .LBB22_242
; %bb.241:
	s_wait_xcnt 0x0
	v_cndmask_b32_e64 v2, 0, 1.0, s18
	global_store_b32 v[0:1], v2, off
.LBB22_242:
	s_mov_b32 s24, 0
.LBB22_243:
	s_delay_alu instid0(SALU_CYCLE_1)
	s_and_not1_b32 vcc_lo, exec_lo, s24
	s_cbranch_vccnz .LBB22_245
; %bb.244:
	s_wait_xcnt 0x0
	v_cndmask_b32_e64 v2, 0, 1.0, s18
	s_delay_alu instid0(VALU_DEP_1)
	v_cvt_f16_f32_e32 v2, v2
	global_store_b16 v[0:1], v2, off
.LBB22_245:
	s_mov_b32 s24, 0
.LBB22_246:
	s_delay_alu instid0(SALU_CYCLE_1)
	s_and_not1_b32 vcc_lo, exec_lo, s24
	s_cbranch_vccnz .LBB22_262
; %bb.247:
	s_cmp_lt_i32 s23, 2
	s_mov_b32 s24, -1
	s_cbranch_scc1 .LBB22_257
; %bb.248:
	s_cmp_lt_i32 s23, 3
	s_cbranch_scc1 .LBB22_254
; %bb.249:
	s_cmp_gt_i32 s23, 3
	s_cbranch_scc0 .LBB22_251
; %bb.250:
	s_mov_b32 s24, 0
	s_wait_xcnt 0x0
	v_cndmask_b32_e64 v2, 0, 1, s18
	v_mov_b32_e32 v3, s24
	global_store_b64 v[0:1], v[2:3], off
.LBB22_251:
	s_and_not1_b32 vcc_lo, exec_lo, s24
	s_cbranch_vccnz .LBB22_253
; %bb.252:
	s_wait_xcnt 0x0
	v_cndmask_b32_e64 v2, 0, 1, s18
	global_store_b32 v[0:1], v2, off
.LBB22_253:
	s_mov_b32 s24, 0
.LBB22_254:
	s_delay_alu instid0(SALU_CYCLE_1)
	s_and_not1_b32 vcc_lo, exec_lo, s24
	s_cbranch_vccnz .LBB22_256
; %bb.255:
	s_wait_xcnt 0x0
	v_cndmask_b32_e64 v2, 0, 1, s18
	global_store_b16 v[0:1], v2, off
.LBB22_256:
	s_mov_b32 s24, 0
.LBB22_257:
	s_delay_alu instid0(SALU_CYCLE_1)
	s_and_not1_b32 vcc_lo, exec_lo, s24
	s_cbranch_vccnz .LBB22_262
; %bb.258:
	s_wait_xcnt 0x0
	v_cndmask_b32_e64 v2, 0, 1, s18
	s_cmp_gt_i32 s23, 0
	s_mov_b32 s18, -1
	s_cbranch_scc0 .LBB22_260
; %bb.259:
	s_mov_b32 s18, 0
	global_store_b8 v[0:1], v2, off
.LBB22_260:
	s_and_not1_b32 vcc_lo, exec_lo, s18
	s_cbranch_vccnz .LBB22_262
; %bb.261:
	global_store_b8 v[0:1], v2, off
.LBB22_262:
	s_mov_b32 s25, -1
.LBB22_263:
	s_delay_alu instid0(SALU_CYCLE_1)
	s_and_not1_b32 vcc_lo, exec_lo, s25
	s_cbranch_vccnz .LBB22_372
; %bb.264:
	v_add_nc_u32_e32 v18, 0x80, v18
	s_mov_b32 s23, -1
	s_branch .LBB22_373
.LBB22_265:
	s_mov_b32 s19, -1
                                        ; implicit-def: $vgpr4
.LBB22_266:
	s_mov_b32 s24, 0
.LBB22_267:
	s_delay_alu instid0(SALU_CYCLE_1)
	s_and_b32 vcc_lo, exec_lo, s24
	s_cbranch_vccz .LBB22_271
; %bb.268:
	s_cmp_eq_u32 s18, 29
	s_cbranch_scc0 .LBB22_270
; %bb.269:
	global_load_b64 v[4:5], v[2:3], off
	s_mov_b32 s23, -1
	s_mov_b32 s19, 0
	s_branch .LBB22_271
.LBB22_270:
	s_mov_b32 s19, -1
                                        ; implicit-def: $vgpr4
.LBB22_271:
	s_mov_b32 s24, 0
.LBB22_272:
	s_delay_alu instid0(SALU_CYCLE_1)
	s_and_b32 vcc_lo, exec_lo, s24
	s_cbranch_vccz .LBB22_288
; %bb.273:
	s_cmp_lt_i32 s18, 27
	s_cbranch_scc1 .LBB22_276
; %bb.274:
	s_cmp_gt_i32 s18, 27
	s_cbranch_scc0 .LBB22_277
; %bb.275:
	s_wait_loadcnt 0x0
	global_load_b32 v4, v[2:3], off
	s_mov_b32 s23, 0
	s_branch .LBB22_278
.LBB22_276:
	s_mov_b32 s23, -1
                                        ; implicit-def: $vgpr4
	s_branch .LBB22_281
.LBB22_277:
	s_mov_b32 s23, -1
                                        ; implicit-def: $vgpr4
.LBB22_278:
	s_delay_alu instid0(SALU_CYCLE_1)
	s_and_not1_b32 vcc_lo, exec_lo, s23
	s_cbranch_vccnz .LBB22_280
; %bb.279:
	s_wait_loadcnt 0x0
	global_load_u16 v4, v[2:3], off
.LBB22_280:
	s_mov_b32 s23, 0
.LBB22_281:
	s_delay_alu instid0(SALU_CYCLE_1)
	s_and_not1_b32 vcc_lo, exec_lo, s23
	s_cbranch_vccnz .LBB22_287
; %bb.282:
	s_wait_loadcnt 0x0
	global_load_u8 v1, v[2:3], off
	s_mov_b32 s24, 0
	s_mov_b32 s23, exec_lo
	s_wait_loadcnt 0x0
	v_cmpx_lt_i16_e32 0x7f, v1
	s_xor_b32 s23, exec_lo, s23
	s_cbranch_execz .LBB22_299
; %bb.283:
	v_cmp_ne_u16_e32 vcc_lo, 0x80, v1
	s_and_b32 s24, vcc_lo, exec_lo
	s_and_not1_saveexec_b32 s23, s23
	s_cbranch_execnz .LBB22_300
.LBB22_284:
	s_or_b32 exec_lo, exec_lo, s23
	v_mov_b32_e32 v4, 0
	s_and_saveexec_b32 s23, s24
	s_cbranch_execz .LBB22_286
.LBB22_285:
	v_and_b32_e32 v4, 0xffff, v1
	s_delay_alu instid0(VALU_DEP_1) | instskip(SKIP_1) | instid1(VALU_DEP_2)
	v_and_b32_e32 v5, 7, v4
	v_bfe_u32 v8, v4, 3, 4
	v_clz_i32_u32_e32 v6, v5
	s_delay_alu instid0(VALU_DEP_2) | instskip(NEXT) | instid1(VALU_DEP_2)
	v_cmp_eq_u32_e32 vcc_lo, 0, v8
	v_min_u32_e32 v6, 32, v6
	s_delay_alu instid0(VALU_DEP_1) | instskip(NEXT) | instid1(VALU_DEP_1)
	v_subrev_nc_u32_e32 v7, 28, v6
	v_dual_lshlrev_b32 v4, v7, v4 :: v_dual_sub_nc_u32 v6, 29, v6
	s_delay_alu instid0(VALU_DEP_1) | instskip(NEXT) | instid1(VALU_DEP_1)
	v_dual_lshlrev_b32 v1, 24, v1 :: v_dual_bitop2_b32 v4, 7, v4 bitop3:0x40
	v_dual_cndmask_b32 v6, v8, v6, vcc_lo :: v_dual_cndmask_b32 v4, v5, v4, vcc_lo
	s_delay_alu instid0(VALU_DEP_2) | instskip(NEXT) | instid1(VALU_DEP_2)
	v_and_b32_e32 v1, 0x80000000, v1
	v_lshl_add_u32 v5, v6, 23, 0x3b800000
	s_delay_alu instid0(VALU_DEP_3) | instskip(NEXT) | instid1(VALU_DEP_1)
	v_lshlrev_b32_e32 v4, 20, v4
	v_or3_b32 v1, v1, v5, v4
	s_delay_alu instid0(VALU_DEP_1)
	v_cvt_i32_f32_e32 v4, v1
.LBB22_286:
	s_or_b32 exec_lo, exec_lo, s23
.LBB22_287:
	s_mov_b32 s23, -1
.LBB22_288:
	s_mov_b32 s24, 0
.LBB22_289:
	s_delay_alu instid0(SALU_CYCLE_1)
	s_and_b32 vcc_lo, exec_lo, s24
	s_cbranch_vccz .LBB22_322
; %bb.290:
	s_cmp_gt_i32 s18, 22
	s_cbranch_scc0 .LBB22_298
; %bb.291:
	s_cmp_lt_i32 s18, 24
	s_cbranch_scc1 .LBB22_301
; %bb.292:
	s_cmp_gt_i32 s18, 24
	s_cbranch_scc0 .LBB22_302
; %bb.293:
	s_wait_loadcnt 0x0
	global_load_u8 v1, v[2:3], off
	s_mov_b32 s24, 0
	s_mov_b32 s23, exec_lo
	s_wait_loadcnt 0x0
	v_cmpx_lt_i16_e32 0x7f, v1
	s_xor_b32 s23, exec_lo, s23
	s_cbranch_execz .LBB22_314
; %bb.294:
	v_cmp_ne_u16_e32 vcc_lo, 0x80, v1
	s_and_b32 s24, vcc_lo, exec_lo
	s_and_not1_saveexec_b32 s23, s23
	s_cbranch_execnz .LBB22_315
.LBB22_295:
	s_or_b32 exec_lo, exec_lo, s23
	v_mov_b32_e32 v4, 0
	s_and_saveexec_b32 s23, s24
	s_cbranch_execz .LBB22_297
.LBB22_296:
	v_and_b32_e32 v4, 0xffff, v1
	s_delay_alu instid0(VALU_DEP_1) | instskip(SKIP_1) | instid1(VALU_DEP_2)
	v_and_b32_e32 v5, 3, v4
	v_bfe_u32 v8, v4, 2, 5
	v_clz_i32_u32_e32 v6, v5
	s_delay_alu instid0(VALU_DEP_2) | instskip(NEXT) | instid1(VALU_DEP_2)
	v_cmp_eq_u32_e32 vcc_lo, 0, v8
	v_min_u32_e32 v6, 32, v6
	s_delay_alu instid0(VALU_DEP_1) | instskip(NEXT) | instid1(VALU_DEP_1)
	v_subrev_nc_u32_e32 v7, 29, v6
	v_dual_lshlrev_b32 v4, v7, v4 :: v_dual_sub_nc_u32 v6, 30, v6
	s_delay_alu instid0(VALU_DEP_1) | instskip(NEXT) | instid1(VALU_DEP_1)
	v_dual_lshlrev_b32 v1, 24, v1 :: v_dual_bitop2_b32 v4, 3, v4 bitop3:0x40
	v_dual_cndmask_b32 v6, v8, v6, vcc_lo :: v_dual_cndmask_b32 v4, v5, v4, vcc_lo
	s_delay_alu instid0(VALU_DEP_2) | instskip(NEXT) | instid1(VALU_DEP_2)
	v_and_b32_e32 v1, 0x80000000, v1
	v_lshl_add_u32 v5, v6, 23, 0x37800000
	s_delay_alu instid0(VALU_DEP_3) | instskip(NEXT) | instid1(VALU_DEP_1)
	v_lshlrev_b32_e32 v4, 21, v4
	v_or3_b32 v1, v1, v5, v4
	s_delay_alu instid0(VALU_DEP_1)
	v_cvt_i32_f32_e32 v4, v1
.LBB22_297:
	s_or_b32 exec_lo, exec_lo, s23
	s_mov_b32 s23, 0
	s_branch .LBB22_303
.LBB22_298:
	s_mov_b32 s24, -1
                                        ; implicit-def: $vgpr4
	s_branch .LBB22_309
.LBB22_299:
	s_and_not1_saveexec_b32 s23, s23
	s_cbranch_execz .LBB22_284
.LBB22_300:
	v_cmp_ne_u16_e32 vcc_lo, 0, v1
	s_and_not1_b32 s24, s24, exec_lo
	s_and_b32 s25, vcc_lo, exec_lo
	s_delay_alu instid0(SALU_CYCLE_1)
	s_or_b32 s24, s24, s25
	s_or_b32 exec_lo, exec_lo, s23
	v_mov_b32_e32 v4, 0
	s_and_saveexec_b32 s23, s24
	s_cbranch_execnz .LBB22_285
	s_branch .LBB22_286
.LBB22_301:
	s_mov_b32 s23, -1
                                        ; implicit-def: $vgpr4
	s_branch .LBB22_306
.LBB22_302:
	s_mov_b32 s23, -1
                                        ; implicit-def: $vgpr4
.LBB22_303:
	s_delay_alu instid0(SALU_CYCLE_1)
	s_and_b32 vcc_lo, exec_lo, s23
	s_cbranch_vccz .LBB22_305
; %bb.304:
	s_wait_loadcnt 0x0
	global_load_u8 v1, v[2:3], off
	s_wait_loadcnt 0x0
	v_lshlrev_b32_e32 v1, 24, v1
	s_delay_alu instid0(VALU_DEP_1) | instskip(NEXT) | instid1(VALU_DEP_1)
	v_and_b32_e32 v4, 0x7f000000, v1
	v_clz_i32_u32_e32 v5, v4
	v_cmp_ne_u32_e32 vcc_lo, 0, v4
	v_add_nc_u32_e32 v7, 0x1000000, v4
	s_delay_alu instid0(VALU_DEP_3) | instskip(NEXT) | instid1(VALU_DEP_1)
	v_min_u32_e32 v5, 32, v5
	v_sub_nc_u32_e64 v5, v5, 4 clamp
	s_delay_alu instid0(VALU_DEP_1) | instskip(NEXT) | instid1(VALU_DEP_1)
	v_dual_lshlrev_b32 v6, v5, v4 :: v_dual_lshlrev_b32 v5, 23, v5
	v_lshrrev_b32_e32 v6, 4, v6
	s_delay_alu instid0(VALU_DEP_1) | instskip(NEXT) | instid1(VALU_DEP_1)
	v_dual_sub_nc_u32 v5, v6, v5 :: v_dual_ashrrev_i32 v6, 8, v7
	v_add_nc_u32_e32 v5, 0x3c000000, v5
	s_delay_alu instid0(VALU_DEP_1) | instskip(NEXT) | instid1(VALU_DEP_1)
	v_and_or_b32 v5, 0x7f800000, v6, v5
	v_cndmask_b32_e32 v4, 0, v5, vcc_lo
	s_delay_alu instid0(VALU_DEP_1) | instskip(NEXT) | instid1(VALU_DEP_1)
	v_and_or_b32 v1, 0x80000000, v1, v4
	v_cvt_i32_f32_e32 v4, v1
.LBB22_305:
	s_mov_b32 s23, 0
.LBB22_306:
	s_delay_alu instid0(SALU_CYCLE_1)
	s_and_not1_b32 vcc_lo, exec_lo, s23
	s_cbranch_vccnz .LBB22_308
; %bb.307:
	s_wait_loadcnt 0x0
	global_load_u8 v1, v[2:3], off
	s_wait_loadcnt 0x0
	v_lshlrev_b32_e32 v4, 25, v1
	v_lshlrev_b16 v1, 8, v1
	s_delay_alu instid0(VALU_DEP_1) | instskip(SKIP_1) | instid1(VALU_DEP_2)
	v_and_or_b32 v6, 0x7f00, v1, 0.5
	v_bfe_i32 v1, v1, 0, 16
	v_dual_add_f32 v6, -0.5, v6 :: v_dual_lshrrev_b32 v5, 4, v4
	v_cmp_gt_u32_e32 vcc_lo, 0x8000000, v4
	s_delay_alu instid0(VALU_DEP_2) | instskip(NEXT) | instid1(VALU_DEP_1)
	v_or_b32_e32 v5, 0x70000000, v5
	v_mul_f32_e32 v5, 0x7800000, v5
	s_delay_alu instid0(VALU_DEP_1) | instskip(NEXT) | instid1(VALU_DEP_1)
	v_cndmask_b32_e32 v4, v5, v6, vcc_lo
	v_and_or_b32 v1, 0x80000000, v1, v4
	s_delay_alu instid0(VALU_DEP_1)
	v_cvt_i32_f32_e32 v4, v1
.LBB22_308:
	s_mov_b32 s24, 0
	s_mov_b32 s23, -1
.LBB22_309:
	s_and_not1_b32 vcc_lo, exec_lo, s24
	s_cbranch_vccnz .LBB22_322
; %bb.310:
	s_cmp_gt_i32 s18, 14
	s_cbranch_scc0 .LBB22_313
; %bb.311:
	s_cmp_eq_u32 s18, 15
	s_cbranch_scc0 .LBB22_316
; %bb.312:
	s_wait_loadcnt 0x0
	global_load_u16 v1, v[2:3], off
	s_mov_b32 s23, -1
	s_mov_b32 s19, 0
	s_wait_loadcnt 0x0
	v_lshlrev_b32_e32 v1, 16, v1
	s_delay_alu instid0(VALU_DEP_1)
	v_cvt_i32_f32_e32 v4, v1
	s_branch .LBB22_317
.LBB22_313:
	s_mov_b32 s24, -1
                                        ; implicit-def: $vgpr4
	s_branch .LBB22_318
.LBB22_314:
	s_and_not1_saveexec_b32 s23, s23
	s_cbranch_execz .LBB22_295
.LBB22_315:
	v_cmp_ne_u16_e32 vcc_lo, 0, v1
	s_and_not1_b32 s24, s24, exec_lo
	s_and_b32 s25, vcc_lo, exec_lo
	s_delay_alu instid0(SALU_CYCLE_1)
	s_or_b32 s24, s24, s25
	s_or_b32 exec_lo, exec_lo, s23
	v_mov_b32_e32 v4, 0
	s_and_saveexec_b32 s23, s24
	s_cbranch_execnz .LBB22_296
	s_branch .LBB22_297
.LBB22_316:
	s_mov_b32 s19, -1
                                        ; implicit-def: $vgpr4
.LBB22_317:
	s_mov_b32 s24, 0
.LBB22_318:
	s_delay_alu instid0(SALU_CYCLE_1)
	s_and_b32 vcc_lo, exec_lo, s24
	s_cbranch_vccz .LBB22_322
; %bb.319:
	s_cmp_eq_u32 s18, 11
	s_cbranch_scc0 .LBB22_321
; %bb.320:
	s_wait_loadcnt 0x0
	global_load_u8 v1, v[2:3], off
	s_mov_b32 s19, 0
	s_mov_b32 s23, -1
	s_wait_loadcnt 0x0
	v_cmp_ne_u16_e32 vcc_lo, 0, v1
	v_cndmask_b32_e64 v4, 0, 1, vcc_lo
	s_branch .LBB22_322
.LBB22_321:
	s_mov_b32 s19, -1
                                        ; implicit-def: $vgpr4
.LBB22_322:
	s_branch .LBB22_20
.LBB22_323:
	s_and_b32 s0, 0xffff, s0
	s_delay_alu instid0(SALU_CYCLE_1)
	s_cmp_lt_i32 s0, 5
	s_cbranch_scc1 .LBB22_328
; %bb.324:
	s_cmp_lt_i32 s0, 8
	s_cbranch_scc1 .LBB22_329
; %bb.325:
	;; [unrolled: 3-line block ×3, first 2 shown]
	s_cmp_gt_i32 s0, 9
	s_cbranch_scc0 .LBB22_331
; %bb.327:
	s_wait_loadcnt 0x0
	global_load_b64 v[4:5], v[2:3], off
	s_mov_b32 s18, 0
	s_wait_loadcnt 0x0
	v_cvt_i32_f64_e32 v4, v[4:5]
	s_branch .LBB22_332
.LBB22_328:
	s_mov_b32 s18, -1
                                        ; implicit-def: $vgpr4
	s_branch .LBB22_350
.LBB22_329:
	s_mov_b32 s18, -1
                                        ; implicit-def: $vgpr4
	s_branch .LBB22_338
.LBB22_330:
	s_mov_b32 s18, -1
                                        ; implicit-def: $vgpr4
	s_branch .LBB22_335
.LBB22_331:
	s_mov_b32 s18, -1
                                        ; implicit-def: $vgpr4
.LBB22_332:
	s_delay_alu instid0(SALU_CYCLE_1)
	s_and_not1_b32 vcc_lo, exec_lo, s18
	s_cbranch_vccnz .LBB22_334
; %bb.333:
	s_wait_loadcnt 0x0
	global_load_b32 v1, v[2:3], off
	s_wait_loadcnt 0x0
	v_cvt_i32_f32_e32 v4, v1
.LBB22_334:
	s_mov_b32 s18, 0
.LBB22_335:
	s_delay_alu instid0(SALU_CYCLE_1)
	s_and_not1_b32 vcc_lo, exec_lo, s18
	s_cbranch_vccnz .LBB22_337
; %bb.336:
	s_wait_loadcnt 0x0
	global_load_b32 v1, v[2:3], off
	s_wait_loadcnt 0x0
	v_cvt_i16_f16_e32 v4, v1
.LBB22_337:
	s_mov_b32 s18, 0
.LBB22_338:
	s_delay_alu instid0(SALU_CYCLE_1)
	s_and_not1_b32 vcc_lo, exec_lo, s18
	s_cbranch_vccnz .LBB22_349
; %bb.339:
	s_cmp_lt_i32 s0, 6
	s_cbranch_scc1 .LBB22_342
; %bb.340:
	s_cmp_gt_i32 s0, 6
	s_cbranch_scc0 .LBB22_343
; %bb.341:
	s_wait_loadcnt 0x0
	global_load_b64 v[4:5], v[2:3], off
	s_mov_b32 s18, 0
	s_wait_loadcnt 0x0
	v_cvt_i32_f64_e32 v4, v[4:5]
	s_branch .LBB22_344
.LBB22_342:
	s_mov_b32 s18, -1
                                        ; implicit-def: $vgpr4
	s_branch .LBB22_347
.LBB22_343:
	s_mov_b32 s18, -1
                                        ; implicit-def: $vgpr4
.LBB22_344:
	s_delay_alu instid0(SALU_CYCLE_1)
	s_and_not1_b32 vcc_lo, exec_lo, s18
	s_cbranch_vccnz .LBB22_346
; %bb.345:
	s_wait_loadcnt 0x0
	global_load_b32 v1, v[2:3], off
	s_wait_loadcnt 0x0
	v_cvt_i32_f32_e32 v4, v1
.LBB22_346:
	s_mov_b32 s18, 0
.LBB22_347:
	s_delay_alu instid0(SALU_CYCLE_1)
	s_and_not1_b32 vcc_lo, exec_lo, s18
	s_cbranch_vccnz .LBB22_349
; %bb.348:
	s_wait_loadcnt 0x0
	global_load_u16 v1, v[2:3], off
	s_wait_loadcnt 0x0
	v_cvt_i16_f16_e32 v4, v1
.LBB22_349:
	s_mov_b32 s18, 0
.LBB22_350:
	s_delay_alu instid0(SALU_CYCLE_1)
	s_and_not1_b32 vcc_lo, exec_lo, s18
	s_cbranch_vccnz .LBB22_370
; %bb.351:
	s_cmp_lt_i32 s0, 2
	s_cbranch_scc1 .LBB22_355
; %bb.352:
	s_cmp_lt_i32 s0, 3
	s_cbranch_scc1 .LBB22_356
; %bb.353:
	s_cmp_gt_i32 s0, 3
	s_cbranch_scc0 .LBB22_357
; %bb.354:
	s_wait_loadcnt 0x0
	global_load_b64 v[4:5], v[2:3], off
	s_mov_b32 s18, 0
	s_branch .LBB22_358
.LBB22_355:
	s_mov_b32 s18, -1
                                        ; implicit-def: $vgpr4
	s_branch .LBB22_364
.LBB22_356:
	s_mov_b32 s18, -1
                                        ; implicit-def: $vgpr4
	s_branch .LBB22_361
.LBB22_357:
	s_mov_b32 s18, -1
                                        ; implicit-def: $vgpr4
.LBB22_358:
	s_delay_alu instid0(SALU_CYCLE_1)
	s_and_not1_b32 vcc_lo, exec_lo, s18
	s_cbranch_vccnz .LBB22_360
; %bb.359:
	s_wait_loadcnt 0x0
	global_load_b32 v4, v[2:3], off
.LBB22_360:
	s_mov_b32 s18, 0
.LBB22_361:
	s_delay_alu instid0(SALU_CYCLE_1)
	s_and_not1_b32 vcc_lo, exec_lo, s18
	s_cbranch_vccnz .LBB22_363
; %bb.362:
	s_wait_loadcnt 0x0
	global_load_u16 v4, v[2:3], off
.LBB22_363:
	s_mov_b32 s18, 0
.LBB22_364:
	s_delay_alu instid0(SALU_CYCLE_1)
	s_and_not1_b32 vcc_lo, exec_lo, s18
	s_cbranch_vccnz .LBB22_370
; %bb.365:
	s_cmp_gt_i32 s0, 0
	s_mov_b32 s0, 0
	s_cbranch_scc0 .LBB22_367
; %bb.366:
	s_wait_loadcnt 0x0
	global_load_u8 v4, v[2:3], off
	s_branch .LBB22_368
.LBB22_367:
	s_mov_b32 s0, -1
                                        ; implicit-def: $vgpr4
.LBB22_368:
	s_delay_alu instid0(SALU_CYCLE_1)
	s_and_not1_b32 vcc_lo, exec_lo, s0
	s_cbranch_vccnz .LBB22_370
; %bb.369:
	s_wait_loadcnt 0x0
	global_load_u8 v4, v[2:3], off
.LBB22_370:
	s_branch .LBB22_21
.LBB22_371:
	s_mov_b32 s0, 0
.LBB22_372:
	s_mov_b32 s23, 0
                                        ; implicit-def: $vgpr18
.LBB22_373:
	s_and_b32 s18, s0, exec_lo
	s_and_b32 s19, s19, exec_lo
	;; [unrolled: 1-line block ×3, first 2 shown]
	s_or_not1_b32 s25, s23, exec_lo
.LBB22_374:
	s_wait_xcnt 0x0
	s_or_b32 exec_lo, exec_lo, s21
	s_mov_b32 s24, 0
	s_mov_b32 s23, 0
                                        ; implicit-def: $sgpr0
                                        ; implicit-def: $vgpr2_vgpr3
                                        ; implicit-def: $vgpr0
	s_and_saveexec_b32 s21, s25
	s_cbranch_execz .LBB22_383
; %bb.375:
	s_mov_b32 s27, -1
	s_mov_b32 s22, s20
	s_mov_b32 s24, s19
	;; [unrolled: 1-line block ×3, first 2 shown]
	s_mov_b32 s25, exec_lo
	v_cmpx_gt_i32_e64 s17, v18
	s_cbranch_execz .LBB22_759
; %bb.376:
	s_wait_loadcnt 0x0
	v_mul_lo_u32 v0, v18, s9
	s_and_b32 s0, s14, 0xff
	s_delay_alu instid0(SALU_CYCLE_1) | instskip(NEXT) | instid1(VALU_DEP_1)
	s_cmp_lt_i32 s0, 11
	v_ashrrev_i32_e32 v1, 31, v0
	s_delay_alu instid0(VALU_DEP_1)
	v_add_nc_u64_e32 v[2:3], s[6:7], v[0:1]
	s_cbranch_scc1 .LBB22_386
; %bb.377:
	s_and_b32 s23, 0xffff, s0
	s_delay_alu instid0(SALU_CYCLE_1)
	s_cmp_gt_i32 s23, 25
	s_cbranch_scc0 .LBB22_395
; %bb.378:
	s_cmp_gt_i32 s23, 28
	s_cbranch_scc0 .LBB22_397
; %bb.379:
	;; [unrolled: 3-line block ×4, first 2 shown]
	s_cmp_eq_u32 s23, 46
	s_mov_b32 s26, 0
	s_cbranch_scc0 .LBB22_405
; %bb.382:
	global_load_b32 v0, v[2:3], off
	s_mov_b32 s24, -1
	s_mov_b32 s22, 0
	s_wait_loadcnt 0x0
	v_lshlrev_b32_e32 v0, 16, v0
	s_delay_alu instid0(VALU_DEP_1)
	v_cvt_i32_f32_e32 v0, v0
	s_branch .LBB22_407
.LBB22_383:
	s_or_b32 exec_lo, exec_lo, s21
	s_mov_b32 s17, 0
	s_and_saveexec_b32 s21, s20
	s_cbranch_execnz .LBB22_1223
.LBB22_384:
	s_or_b32 exec_lo, exec_lo, s21
	s_and_saveexec_b32 s20, s22
	s_delay_alu instid0(SALU_CYCLE_1)
	s_xor_b32 s20, exec_lo, s20
	s_cbranch_execz .LBB22_1224
.LBB22_385:
	s_wait_loadcnt 0x0
	global_load_u8 v0, v[2:3], off
	s_or_b32 s23, s23, exec_lo
	s_wait_loadcnt 0x0
	v_cmp_ne_u16_e32 vcc_lo, 0, v0
	v_cndmask_b32_e64 v0, 0, 1, vcc_lo
	s_wait_xcnt 0x0
	s_or_b32 exec_lo, exec_lo, s20
	s_and_saveexec_b32 s20, s24
	s_cbranch_execz .LBB22_1270
	s_branch .LBB22_1225
.LBB22_386:
	s_mov_b32 s24, 0
	s_mov_b32 s22, s20
                                        ; implicit-def: $vgpr0
	s_cbranch_execnz .LBB22_469
.LBB22_387:
	s_and_not1_b32 vcc_lo, exec_lo, s24
	s_cbranch_vccnz .LBB22_517
.LBB22_388:
	s_wait_xcnt 0x0
	v_mul_lo_u32 v2, v18, s10
	s_and_b32 s0, s1, 0xff
	s_delay_alu instid0(SALU_CYCLE_1) | instskip(NEXT) | instid1(VALU_DEP_1)
	s_cmp_lt_i32 s0, 11
	v_ashrrev_i32_e32 v3, 31, v2
	s_delay_alu instid0(VALU_DEP_1)
	v_add_nc_u64_e32 v[2:3], s[2:3], v[2:3]
	s_cbranch_scc1 .LBB22_396
; %bb.389:
	s_and_b32 s23, 0xffff, s0
	s_delay_alu instid0(SALU_CYCLE_1)
	s_cmp_gt_i32 s23, 25
	s_cbranch_scc0 .LBB22_398
; %bb.390:
	s_cmp_gt_i32 s23, 28
	s_cbranch_scc0 .LBB22_400
; %bb.391:
	;; [unrolled: 3-line block ×4, first 2 shown]
	s_cmp_eq_u32 s23, 46
	s_mov_b32 s27, 0
	s_cbranch_scc0 .LBB22_520
; %bb.394:
	s_wait_loadcnt 0x0
	global_load_b32 v1, v[2:3], off
	s_mov_b32 s26, -1
	s_mov_b32 s24, 0
	s_wait_loadcnt 0x0
	v_lshlrev_b32_e32 v1, 16, v1
	s_delay_alu instid0(VALU_DEP_1)
	v_cvt_i32_f32_e32 v4, v1
	s_branch .LBB22_522
.LBB22_395:
	s_mov_b32 s26, -1
	s_mov_b32 s24, 0
	s_mov_b32 s22, s20
                                        ; implicit-def: $vgpr0
	s_branch .LBB22_435
.LBB22_396:
	s_mov_b32 s23, -1
	s_mov_b32 s26, 0
	s_mov_b32 s24, s19
                                        ; implicit-def: $vgpr4
	s_branch .LBB22_583
.LBB22_397:
	s_mov_b32 s26, -1
	s_mov_b32 s24, 0
	s_mov_b32 s22, s20
                                        ; implicit-def: $vgpr0
	s_branch .LBB22_418
.LBB22_398:
	s_mov_b32 s27, -1
	s_mov_b32 s26, 0
	s_mov_b32 s24, s19
                                        ; implicit-def: $vgpr4
	s_branch .LBB22_549
.LBB22_399:
	s_mov_b32 s26, -1
	s_mov_b32 s24, 0
	s_mov_b32 s22, s20
                                        ; implicit-def: $vgpr0
	s_branch .LBB22_413
.LBB22_400:
	s_mov_b32 s27, -1
	s_mov_b32 s26, 0
	s_mov_b32 s24, s19
                                        ; implicit-def: $vgpr4
	s_branch .LBB22_532
.LBB22_401:
	s_mov_b32 s26, -1
	s_mov_b32 s24, 0
	s_mov_b32 s22, s20
	s_branch .LBB22_406
.LBB22_402:
	s_mov_b32 s27, -1
	s_mov_b32 s26, 0
	s_mov_b32 s24, s19
                                        ; implicit-def: $vgpr4
	s_branch .LBB22_527
.LBB22_403:
	s_and_not1_saveexec_b32 s27, s27
	s_cbranch_execz .LBB22_176
.LBB22_404:
	v_add_f32_e32 v2, 0x46000000, v3
	s_and_not1_b32 s26, s26, exec_lo
	s_delay_alu instid0(VALU_DEP_1) | instskip(NEXT) | instid1(VALU_DEP_1)
	v_and_b32_e32 v2, 0xff, v2
	v_cmp_ne_u32_e32 vcc_lo, 0, v2
	s_and_b32 s28, vcc_lo, exec_lo
	s_delay_alu instid0(SALU_CYCLE_1)
	s_or_b32 s26, s26, s28
	s_or_b32 exec_lo, exec_lo, s27
	v_mov_b32_e32 v4, 0
	s_and_saveexec_b32 s27, s26
	s_cbranch_execnz .LBB22_177
	s_branch .LBB22_178
.LBB22_405:
	s_mov_b32 s22, -1
	s_mov_b32 s24, 0
.LBB22_406:
                                        ; implicit-def: $vgpr0
.LBB22_407:
	s_and_b32 vcc_lo, exec_lo, s26
	s_cbranch_vccz .LBB22_412
; %bb.408:
	s_cmp_eq_u32 s23, 44
	s_cbranch_scc0 .LBB22_411
; %bb.409:
	global_load_u8 v0, v[2:3], off
	s_mov_b32 s22, 0
	s_mov_b32 s24, -1
	s_wait_loadcnt 0x0
	v_lshlrev_b32_e32 v1, 23, v0
	v_cmp_ne_u32_e32 vcc_lo, 0, v0
	s_delay_alu instid0(VALU_DEP_2) | instskip(NEXT) | instid1(VALU_DEP_1)
	v_cvt_i32_f32_e32 v1, v1
	v_cndmask_b32_e32 v0, 0, v1, vcc_lo
	s_branch .LBB22_412
.LBB22_410:
	s_mov_b32 s27, -1
	s_mov_b32 s26, 0
	s_mov_b32 s24, s19
	s_branch .LBB22_521
.LBB22_411:
	s_mov_b32 s22, -1
                                        ; implicit-def: $vgpr0
.LBB22_412:
	s_mov_b32 s26, 0
.LBB22_413:
	s_delay_alu instid0(SALU_CYCLE_1)
	s_and_b32 vcc_lo, exec_lo, s26
	s_cbranch_vccz .LBB22_417
; %bb.414:
	s_cmp_eq_u32 s23, 29
	s_cbranch_scc0 .LBB22_416
; %bb.415:
	global_load_b64 v[0:1], v[2:3], off
	s_mov_b32 s24, -1
	s_mov_b32 s22, 0
	s_branch .LBB22_417
.LBB22_416:
	s_mov_b32 s22, -1
                                        ; implicit-def: $vgpr0
.LBB22_417:
	s_mov_b32 s26, 0
.LBB22_418:
	s_delay_alu instid0(SALU_CYCLE_1)
	s_and_b32 vcc_lo, exec_lo, s26
	s_cbranch_vccz .LBB22_434
; %bb.419:
	s_cmp_lt_i32 s23, 27
	s_cbranch_scc1 .LBB22_422
; %bb.420:
	s_cmp_gt_i32 s23, 27
	s_cbranch_scc0 .LBB22_423
; %bb.421:
	s_wait_loadcnt 0x0
	global_load_b32 v0, v[2:3], off
	s_mov_b32 s24, 0
	s_branch .LBB22_424
.LBB22_422:
	s_mov_b32 s24, -1
                                        ; implicit-def: $vgpr0
	s_branch .LBB22_427
.LBB22_423:
	s_mov_b32 s24, -1
                                        ; implicit-def: $vgpr0
.LBB22_424:
	s_delay_alu instid0(SALU_CYCLE_1)
	s_and_not1_b32 vcc_lo, exec_lo, s24
	s_cbranch_vccnz .LBB22_426
; %bb.425:
	s_wait_loadcnt 0x0
	global_load_u16 v0, v[2:3], off
.LBB22_426:
	s_mov_b32 s24, 0
.LBB22_427:
	s_delay_alu instid0(SALU_CYCLE_1)
	s_and_not1_b32 vcc_lo, exec_lo, s24
	s_cbranch_vccnz .LBB22_433
; %bb.428:
	s_wait_loadcnt 0x0
	global_load_u8 v1, v[2:3], off
	s_mov_b32 s26, 0
	s_mov_b32 s24, exec_lo
	s_wait_loadcnt 0x0
	v_cmpx_lt_i16_e32 0x7f, v1
	s_xor_b32 s24, exec_lo, s24
	s_cbranch_execz .LBB22_445
; %bb.429:
	v_cmp_ne_u16_e32 vcc_lo, 0x80, v1
	s_and_b32 s26, vcc_lo, exec_lo
	s_and_not1_saveexec_b32 s24, s24
	s_cbranch_execnz .LBB22_446
.LBB22_430:
	s_or_b32 exec_lo, exec_lo, s24
	v_mov_b32_e32 v0, 0
	s_and_saveexec_b32 s24, s26
	s_cbranch_execz .LBB22_432
.LBB22_431:
	v_and_b32_e32 v0, 0xffff, v1
	s_delay_alu instid0(VALU_DEP_1) | instskip(SKIP_1) | instid1(VALU_DEP_2)
	v_and_b32_e32 v4, 7, v0
	v_bfe_u32 v7, v0, 3, 4
	v_clz_i32_u32_e32 v5, v4
	s_delay_alu instid0(VALU_DEP_2) | instskip(NEXT) | instid1(VALU_DEP_2)
	v_cmp_eq_u32_e32 vcc_lo, 0, v7
	v_min_u32_e32 v5, 32, v5
	s_delay_alu instid0(VALU_DEP_1) | instskip(NEXT) | instid1(VALU_DEP_1)
	v_subrev_nc_u32_e32 v6, 28, v5
	v_dual_lshlrev_b32 v0, v6, v0 :: v_dual_sub_nc_u32 v5, 29, v5
	s_delay_alu instid0(VALU_DEP_1) | instskip(NEXT) | instid1(VALU_DEP_1)
	v_dual_lshlrev_b32 v1, 24, v1 :: v_dual_bitop2_b32 v0, 7, v0 bitop3:0x40
	v_dual_cndmask_b32 v0, v4, v0 :: v_dual_cndmask_b32 v5, v7, v5
	s_delay_alu instid0(VALU_DEP_2) | instskip(NEXT) | instid1(VALU_DEP_2)
	v_and_b32_e32 v1, 0x80000000, v1
	v_lshlrev_b32_e32 v0, 20, v0
	s_delay_alu instid0(VALU_DEP_3) | instskip(NEXT) | instid1(VALU_DEP_1)
	v_lshl_add_u32 v4, v5, 23, 0x3b800000
	v_or3_b32 v0, v1, v4, v0
	s_delay_alu instid0(VALU_DEP_1)
	v_cvt_i32_f32_e32 v0, v0
.LBB22_432:
	s_or_b32 exec_lo, exec_lo, s24
.LBB22_433:
	s_mov_b32 s24, -1
.LBB22_434:
	s_mov_b32 s26, 0
.LBB22_435:
	s_delay_alu instid0(SALU_CYCLE_1)
	s_and_b32 vcc_lo, exec_lo, s26
	s_cbranch_vccz .LBB22_468
; %bb.436:
	s_cmp_gt_i32 s23, 22
	s_cbranch_scc0 .LBB22_444
; %bb.437:
	s_cmp_lt_i32 s23, 24
	s_cbranch_scc1 .LBB22_447
; %bb.438:
	s_cmp_gt_i32 s23, 24
	s_cbranch_scc0 .LBB22_448
; %bb.439:
	s_wait_loadcnt 0x0
	global_load_u8 v1, v[2:3], off
	s_mov_b32 s26, 0
	s_mov_b32 s24, exec_lo
	s_wait_loadcnt 0x0
	v_cmpx_lt_i16_e32 0x7f, v1
	s_xor_b32 s24, exec_lo, s24
	s_cbranch_execz .LBB22_460
; %bb.440:
	v_cmp_ne_u16_e32 vcc_lo, 0x80, v1
	s_and_b32 s26, vcc_lo, exec_lo
	s_and_not1_saveexec_b32 s24, s24
	s_cbranch_execnz .LBB22_461
.LBB22_441:
	s_or_b32 exec_lo, exec_lo, s24
	v_mov_b32_e32 v0, 0
	s_and_saveexec_b32 s24, s26
	s_cbranch_execz .LBB22_443
.LBB22_442:
	v_and_b32_e32 v0, 0xffff, v1
	s_delay_alu instid0(VALU_DEP_1) | instskip(SKIP_1) | instid1(VALU_DEP_2)
	v_and_b32_e32 v4, 3, v0
	v_bfe_u32 v7, v0, 2, 5
	v_clz_i32_u32_e32 v5, v4
	s_delay_alu instid0(VALU_DEP_2) | instskip(NEXT) | instid1(VALU_DEP_2)
	v_cmp_eq_u32_e32 vcc_lo, 0, v7
	v_min_u32_e32 v5, 32, v5
	s_delay_alu instid0(VALU_DEP_1) | instskip(NEXT) | instid1(VALU_DEP_1)
	v_subrev_nc_u32_e32 v6, 29, v5
	v_dual_lshlrev_b32 v0, v6, v0 :: v_dual_sub_nc_u32 v5, 30, v5
	s_delay_alu instid0(VALU_DEP_1) | instskip(NEXT) | instid1(VALU_DEP_1)
	v_dual_lshlrev_b32 v1, 24, v1 :: v_dual_bitop2_b32 v0, 3, v0 bitop3:0x40
	v_dual_cndmask_b32 v0, v4, v0 :: v_dual_cndmask_b32 v5, v7, v5
	s_delay_alu instid0(VALU_DEP_2) | instskip(NEXT) | instid1(VALU_DEP_2)
	v_and_b32_e32 v1, 0x80000000, v1
	v_lshlrev_b32_e32 v0, 21, v0
	s_delay_alu instid0(VALU_DEP_3) | instskip(NEXT) | instid1(VALU_DEP_1)
	v_lshl_add_u32 v4, v5, 23, 0x37800000
	v_or3_b32 v0, v1, v4, v0
	s_delay_alu instid0(VALU_DEP_1)
	v_cvt_i32_f32_e32 v0, v0
.LBB22_443:
	s_or_b32 exec_lo, exec_lo, s24
	s_mov_b32 s24, 0
	s_branch .LBB22_449
.LBB22_444:
	s_mov_b32 s26, -1
                                        ; implicit-def: $vgpr0
	s_branch .LBB22_455
.LBB22_445:
	s_and_not1_saveexec_b32 s24, s24
	s_cbranch_execz .LBB22_430
.LBB22_446:
	v_cmp_ne_u16_e32 vcc_lo, 0, v1
	s_and_not1_b32 s26, s26, exec_lo
	s_and_b32 s27, vcc_lo, exec_lo
	s_delay_alu instid0(SALU_CYCLE_1)
	s_or_b32 s26, s26, s27
	s_or_b32 exec_lo, exec_lo, s24
	v_mov_b32_e32 v0, 0
	s_and_saveexec_b32 s24, s26
	s_cbranch_execnz .LBB22_431
	s_branch .LBB22_432
.LBB22_447:
	s_mov_b32 s24, -1
                                        ; implicit-def: $vgpr0
	s_branch .LBB22_452
.LBB22_448:
	s_mov_b32 s24, -1
                                        ; implicit-def: $vgpr0
.LBB22_449:
	s_delay_alu instid0(SALU_CYCLE_1)
	s_and_b32 vcc_lo, exec_lo, s24
	s_cbranch_vccz .LBB22_451
; %bb.450:
	s_wait_loadcnt 0x0
	global_load_u8 v0, v[2:3], off
	s_wait_loadcnt 0x0
	v_lshlrev_b32_e32 v0, 24, v0
	s_delay_alu instid0(VALU_DEP_1) | instskip(NEXT) | instid1(VALU_DEP_1)
	v_and_b32_e32 v1, 0x7f000000, v0
	v_clz_i32_u32_e32 v4, v1
	v_cmp_ne_u32_e32 vcc_lo, 0, v1
	v_add_nc_u32_e32 v6, 0x1000000, v1
	s_delay_alu instid0(VALU_DEP_3) | instskip(NEXT) | instid1(VALU_DEP_1)
	v_min_u32_e32 v4, 32, v4
	v_sub_nc_u32_e64 v4, v4, 4 clamp
	s_delay_alu instid0(VALU_DEP_1) | instskip(NEXT) | instid1(VALU_DEP_1)
	v_dual_lshlrev_b32 v5, v4, v1 :: v_dual_lshlrev_b32 v4, 23, v4
	v_lshrrev_b32_e32 v5, 4, v5
	s_delay_alu instid0(VALU_DEP_1) | instskip(NEXT) | instid1(VALU_DEP_1)
	v_dual_sub_nc_u32 v4, v5, v4 :: v_dual_ashrrev_i32 v5, 8, v6
	v_add_nc_u32_e32 v4, 0x3c000000, v4
	s_delay_alu instid0(VALU_DEP_1) | instskip(NEXT) | instid1(VALU_DEP_1)
	v_and_or_b32 v4, 0x7f800000, v5, v4
	v_cndmask_b32_e32 v1, 0, v4, vcc_lo
	s_delay_alu instid0(VALU_DEP_1) | instskip(NEXT) | instid1(VALU_DEP_1)
	v_and_or_b32 v0, 0x80000000, v0, v1
	v_cvt_i32_f32_e32 v0, v0
.LBB22_451:
	s_mov_b32 s24, 0
.LBB22_452:
	s_delay_alu instid0(SALU_CYCLE_1)
	s_and_not1_b32 vcc_lo, exec_lo, s24
	s_cbranch_vccnz .LBB22_454
; %bb.453:
	s_wait_loadcnt 0x0
	global_load_u8 v0, v[2:3], off
	s_wait_loadcnt 0x0
	v_lshlrev_b32_e32 v1, 25, v0
	v_lshlrev_b16 v0, 8, v0
	s_delay_alu instid0(VALU_DEP_1) | instskip(SKIP_1) | instid1(VALU_DEP_2)
	v_and_or_b32 v5, 0x7f00, v0, 0.5
	v_bfe_i32 v0, v0, 0, 16
	v_add_f32_e32 v5, -0.5, v5
	v_lshrrev_b32_e32 v4, 4, v1
	v_cmp_gt_u32_e32 vcc_lo, 0x8000000, v1
	s_delay_alu instid0(VALU_DEP_2) | instskip(NEXT) | instid1(VALU_DEP_1)
	v_or_b32_e32 v4, 0x70000000, v4
	v_mul_f32_e32 v4, 0x7800000, v4
	s_delay_alu instid0(VALU_DEP_1) | instskip(NEXT) | instid1(VALU_DEP_1)
	v_cndmask_b32_e32 v1, v4, v5, vcc_lo
	v_and_or_b32 v0, 0x80000000, v0, v1
	s_delay_alu instid0(VALU_DEP_1)
	v_cvt_i32_f32_e32 v0, v0
.LBB22_454:
	s_mov_b32 s26, 0
	s_mov_b32 s24, -1
.LBB22_455:
	s_and_not1_b32 vcc_lo, exec_lo, s26
	s_cbranch_vccnz .LBB22_468
; %bb.456:
	s_cmp_gt_i32 s23, 14
	s_cbranch_scc0 .LBB22_459
; %bb.457:
	s_cmp_eq_u32 s23, 15
	s_cbranch_scc0 .LBB22_462
; %bb.458:
	s_wait_loadcnt 0x0
	global_load_u16 v0, v[2:3], off
	s_mov_b32 s24, -1
	s_mov_b32 s22, 0
	s_wait_loadcnt 0x0
	v_lshlrev_b32_e32 v0, 16, v0
	s_delay_alu instid0(VALU_DEP_1)
	v_cvt_i32_f32_e32 v0, v0
	s_branch .LBB22_463
.LBB22_459:
	s_mov_b32 s26, -1
                                        ; implicit-def: $vgpr0
	s_branch .LBB22_464
.LBB22_460:
	s_and_not1_saveexec_b32 s24, s24
	s_cbranch_execz .LBB22_441
.LBB22_461:
	v_cmp_ne_u16_e32 vcc_lo, 0, v1
	s_and_not1_b32 s26, s26, exec_lo
	s_and_b32 s27, vcc_lo, exec_lo
	s_delay_alu instid0(SALU_CYCLE_1)
	s_or_b32 s26, s26, s27
	s_or_b32 exec_lo, exec_lo, s24
	v_mov_b32_e32 v0, 0
	s_and_saveexec_b32 s24, s26
	s_cbranch_execnz .LBB22_442
	s_branch .LBB22_443
.LBB22_462:
	s_mov_b32 s22, -1
                                        ; implicit-def: $vgpr0
.LBB22_463:
	s_mov_b32 s26, 0
.LBB22_464:
	s_delay_alu instid0(SALU_CYCLE_1)
	s_and_b32 vcc_lo, exec_lo, s26
	s_cbranch_vccz .LBB22_468
; %bb.465:
	s_cmp_eq_u32 s23, 11
	s_cbranch_scc0 .LBB22_467
; %bb.466:
	s_wait_loadcnt 0x0
	global_load_u8 v0, v[2:3], off
	s_mov_b32 s22, 0
	s_mov_b32 s24, -1
	s_wait_loadcnt 0x0
	v_cmp_ne_u16_e32 vcc_lo, 0, v0
	v_cndmask_b32_e64 v0, 0, 1, vcc_lo
	s_branch .LBB22_468
.LBB22_467:
	s_mov_b32 s22, -1
                                        ; implicit-def: $vgpr0
.LBB22_468:
	s_branch .LBB22_387
.LBB22_469:
	s_and_b32 s0, 0xffff, s0
	s_delay_alu instid0(SALU_CYCLE_1)
	s_cmp_lt_i32 s0, 5
	s_cbranch_scc1 .LBB22_474
; %bb.470:
	s_cmp_lt_i32 s0, 8
	s_cbranch_scc1 .LBB22_475
; %bb.471:
	;; [unrolled: 3-line block ×3, first 2 shown]
	s_cmp_gt_i32 s0, 9
	s_cbranch_scc0 .LBB22_477
; %bb.473:
	s_wait_loadcnt 0x0
	global_load_b64 v[0:1], v[2:3], off
	s_mov_b32 s23, 0
	s_wait_loadcnt 0x0
	v_cvt_i32_f64_e32 v0, v[0:1]
	s_branch .LBB22_478
.LBB22_474:
	s_mov_b32 s23, -1
                                        ; implicit-def: $vgpr0
	s_branch .LBB22_496
.LBB22_475:
	s_mov_b32 s23, -1
                                        ; implicit-def: $vgpr0
	s_branch .LBB22_484
.LBB22_476:
	s_mov_b32 s23, -1
                                        ; implicit-def: $vgpr0
	s_branch .LBB22_481
.LBB22_477:
	s_mov_b32 s23, -1
                                        ; implicit-def: $vgpr0
.LBB22_478:
	s_delay_alu instid0(SALU_CYCLE_1)
	s_and_not1_b32 vcc_lo, exec_lo, s23
	s_cbranch_vccnz .LBB22_480
; %bb.479:
	s_wait_loadcnt 0x0
	global_load_b32 v0, v[2:3], off
	s_wait_loadcnt 0x0
	v_cvt_i32_f32_e32 v0, v0
.LBB22_480:
	s_mov_b32 s23, 0
.LBB22_481:
	s_delay_alu instid0(SALU_CYCLE_1)
	s_and_not1_b32 vcc_lo, exec_lo, s23
	s_cbranch_vccnz .LBB22_483
; %bb.482:
	s_wait_loadcnt 0x0
	global_load_b32 v0, v[2:3], off
	s_wait_loadcnt 0x0
	v_cvt_i16_f16_e32 v0, v0
.LBB22_483:
	s_mov_b32 s23, 0
.LBB22_484:
	s_delay_alu instid0(SALU_CYCLE_1)
	s_and_not1_b32 vcc_lo, exec_lo, s23
	s_cbranch_vccnz .LBB22_495
; %bb.485:
	s_cmp_lt_i32 s0, 6
	s_cbranch_scc1 .LBB22_488
; %bb.486:
	s_cmp_gt_i32 s0, 6
	s_cbranch_scc0 .LBB22_489
; %bb.487:
	s_wait_loadcnt 0x0
	global_load_b64 v[0:1], v[2:3], off
	s_mov_b32 s23, 0
	s_wait_loadcnt 0x0
	v_cvt_i32_f64_e32 v0, v[0:1]
	s_branch .LBB22_490
.LBB22_488:
	s_mov_b32 s23, -1
                                        ; implicit-def: $vgpr0
	s_branch .LBB22_493
.LBB22_489:
	s_mov_b32 s23, -1
                                        ; implicit-def: $vgpr0
.LBB22_490:
	s_delay_alu instid0(SALU_CYCLE_1)
	s_and_not1_b32 vcc_lo, exec_lo, s23
	s_cbranch_vccnz .LBB22_492
; %bb.491:
	s_wait_loadcnt 0x0
	global_load_b32 v0, v[2:3], off
	s_wait_loadcnt 0x0
	v_cvt_i32_f32_e32 v0, v0
.LBB22_492:
	s_mov_b32 s23, 0
.LBB22_493:
	s_delay_alu instid0(SALU_CYCLE_1)
	s_and_not1_b32 vcc_lo, exec_lo, s23
	s_cbranch_vccnz .LBB22_495
; %bb.494:
	s_wait_loadcnt 0x0
	global_load_u16 v0, v[2:3], off
	s_wait_loadcnt 0x0
	v_cvt_i16_f16_e32 v0, v0
.LBB22_495:
	s_mov_b32 s23, 0
.LBB22_496:
	s_delay_alu instid0(SALU_CYCLE_1)
	s_and_not1_b32 vcc_lo, exec_lo, s23
	s_cbranch_vccnz .LBB22_516
; %bb.497:
	s_cmp_lt_i32 s0, 2
	s_cbranch_scc1 .LBB22_501
; %bb.498:
	s_cmp_lt_i32 s0, 3
	s_cbranch_scc1 .LBB22_502
; %bb.499:
	s_cmp_gt_i32 s0, 3
	s_cbranch_scc0 .LBB22_503
; %bb.500:
	s_wait_loadcnt 0x0
	global_load_b64 v[0:1], v[2:3], off
	s_mov_b32 s23, 0
	s_branch .LBB22_504
.LBB22_501:
	s_mov_b32 s23, -1
                                        ; implicit-def: $vgpr0
	s_branch .LBB22_510
.LBB22_502:
	s_mov_b32 s23, -1
                                        ; implicit-def: $vgpr0
	s_branch .LBB22_507
.LBB22_503:
	s_mov_b32 s23, -1
                                        ; implicit-def: $vgpr0
.LBB22_504:
	s_delay_alu instid0(SALU_CYCLE_1)
	s_and_not1_b32 vcc_lo, exec_lo, s23
	s_cbranch_vccnz .LBB22_506
; %bb.505:
	s_wait_loadcnt 0x0
	global_load_b32 v0, v[2:3], off
.LBB22_506:
	s_mov_b32 s23, 0
.LBB22_507:
	s_delay_alu instid0(SALU_CYCLE_1)
	s_and_not1_b32 vcc_lo, exec_lo, s23
	s_cbranch_vccnz .LBB22_509
; %bb.508:
	s_wait_loadcnt 0x0
	global_load_u16 v0, v[2:3], off
.LBB22_509:
	s_mov_b32 s23, 0
.LBB22_510:
	s_delay_alu instid0(SALU_CYCLE_1)
	s_and_not1_b32 vcc_lo, exec_lo, s23
	s_cbranch_vccnz .LBB22_516
; %bb.511:
	s_cmp_gt_i32 s0, 0
	s_mov_b32 s0, 0
	s_cbranch_scc0 .LBB22_513
; %bb.512:
	s_wait_loadcnt 0x0
	global_load_u8 v0, v[2:3], off
	s_branch .LBB22_514
.LBB22_513:
	s_mov_b32 s0, -1
                                        ; implicit-def: $vgpr0
.LBB22_514:
	s_delay_alu instid0(SALU_CYCLE_1)
	s_and_not1_b32 vcc_lo, exec_lo, s0
	s_cbranch_vccnz .LBB22_516
; %bb.515:
	s_wait_loadcnt 0x0
	global_load_u8 v0, v[2:3], off
.LBB22_516:
	s_branch .LBB22_388
.LBB22_517:
	s_mov_b32 s26, 0
	s_mov_b32 s0, s18
	;; [unrolled: 1-line block ×3, first 2 shown]
	s_branch .LBB22_757
.LBB22_518:
	s_and_not1_saveexec_b32 s27, s27
	s_cbranch_execz .LBB22_189
.LBB22_519:
	v_add_f32_e32 v2, 0x42800000, v3
	s_and_not1_b32 s26, s26, exec_lo
	s_delay_alu instid0(VALU_DEP_1) | instskip(NEXT) | instid1(VALU_DEP_1)
	v_and_b32_e32 v2, 0xff, v2
	v_cmp_ne_u32_e32 vcc_lo, 0, v2
	s_and_b32 s28, vcc_lo, exec_lo
	s_delay_alu instid0(SALU_CYCLE_1)
	s_or_b32 s26, s26, s28
	s_or_b32 exec_lo, exec_lo, s27
	v_mov_b32_e32 v4, 0
	s_and_saveexec_b32 s27, s26
	s_cbranch_execnz .LBB22_190
	s_branch .LBB22_191
.LBB22_520:
	s_mov_b32 s24, -1
	s_mov_b32 s26, 0
.LBB22_521:
                                        ; implicit-def: $vgpr4
.LBB22_522:
	s_and_b32 vcc_lo, exec_lo, s27
	s_cbranch_vccz .LBB22_526
; %bb.523:
	s_cmp_eq_u32 s23, 44
	s_cbranch_scc0 .LBB22_525
; %bb.524:
	s_wait_loadcnt 0x0
	global_load_u8 v1, v[2:3], off
	s_mov_b32 s24, 0
	s_mov_b32 s26, -1
	s_wait_loadcnt 0x0
	v_lshlrev_b32_e32 v4, 23, v1
	v_cmp_ne_u32_e32 vcc_lo, 0, v1
	s_delay_alu instid0(VALU_DEP_2) | instskip(NEXT) | instid1(VALU_DEP_1)
	v_cvt_i32_f32_e32 v4, v4
	v_cndmask_b32_e32 v4, 0, v4, vcc_lo
	s_branch .LBB22_526
.LBB22_525:
	s_mov_b32 s24, -1
                                        ; implicit-def: $vgpr4
.LBB22_526:
	s_mov_b32 s27, 0
.LBB22_527:
	s_delay_alu instid0(SALU_CYCLE_1)
	s_and_b32 vcc_lo, exec_lo, s27
	s_cbranch_vccz .LBB22_531
; %bb.528:
	s_cmp_eq_u32 s23, 29
	s_cbranch_scc0 .LBB22_530
; %bb.529:
	global_load_b64 v[4:5], v[2:3], off
	s_mov_b32 s26, -1
	s_mov_b32 s24, 0
	s_branch .LBB22_531
.LBB22_530:
	s_mov_b32 s24, -1
                                        ; implicit-def: $vgpr4
.LBB22_531:
	s_mov_b32 s27, 0
.LBB22_532:
	s_delay_alu instid0(SALU_CYCLE_1)
	s_and_b32 vcc_lo, exec_lo, s27
	s_cbranch_vccz .LBB22_548
; %bb.533:
	s_cmp_lt_i32 s23, 27
	s_cbranch_scc1 .LBB22_536
; %bb.534:
	s_cmp_gt_i32 s23, 27
	s_cbranch_scc0 .LBB22_537
; %bb.535:
	s_wait_loadcnt 0x0
	global_load_b32 v4, v[2:3], off
	s_mov_b32 s26, 0
	s_branch .LBB22_538
.LBB22_536:
	s_mov_b32 s26, -1
                                        ; implicit-def: $vgpr4
	s_branch .LBB22_541
.LBB22_537:
	s_mov_b32 s26, -1
                                        ; implicit-def: $vgpr4
.LBB22_538:
	s_delay_alu instid0(SALU_CYCLE_1)
	s_and_not1_b32 vcc_lo, exec_lo, s26
	s_cbranch_vccnz .LBB22_540
; %bb.539:
	s_wait_loadcnt 0x0
	global_load_u16 v4, v[2:3], off
.LBB22_540:
	s_mov_b32 s26, 0
.LBB22_541:
	s_delay_alu instid0(SALU_CYCLE_1)
	s_and_not1_b32 vcc_lo, exec_lo, s26
	s_cbranch_vccnz .LBB22_547
; %bb.542:
	s_wait_loadcnt 0x0
	global_load_u8 v1, v[2:3], off
	s_mov_b32 s27, 0
	s_mov_b32 s26, exec_lo
	s_wait_loadcnt 0x0
	v_cmpx_lt_i16_e32 0x7f, v1
	s_xor_b32 s26, exec_lo, s26
	s_cbranch_execz .LBB22_559
; %bb.543:
	v_cmp_ne_u16_e32 vcc_lo, 0x80, v1
	s_and_b32 s27, vcc_lo, exec_lo
	s_and_not1_saveexec_b32 s26, s26
	s_cbranch_execnz .LBB22_560
.LBB22_544:
	s_or_b32 exec_lo, exec_lo, s26
	v_mov_b32_e32 v4, 0
	s_and_saveexec_b32 s26, s27
	s_cbranch_execz .LBB22_546
.LBB22_545:
	v_and_b32_e32 v4, 0xffff, v1
	s_delay_alu instid0(VALU_DEP_1) | instskip(SKIP_1) | instid1(VALU_DEP_2)
	v_and_b32_e32 v5, 7, v4
	v_bfe_u32 v8, v4, 3, 4
	v_clz_i32_u32_e32 v6, v5
	s_delay_alu instid0(VALU_DEP_2) | instskip(NEXT) | instid1(VALU_DEP_2)
	v_cmp_eq_u32_e32 vcc_lo, 0, v8
	v_min_u32_e32 v6, 32, v6
	s_delay_alu instid0(VALU_DEP_1) | instskip(NEXT) | instid1(VALU_DEP_1)
	v_subrev_nc_u32_e32 v7, 28, v6
	v_dual_lshlrev_b32 v4, v7, v4 :: v_dual_sub_nc_u32 v6, 29, v6
	s_delay_alu instid0(VALU_DEP_1) | instskip(NEXT) | instid1(VALU_DEP_1)
	v_dual_lshlrev_b32 v1, 24, v1 :: v_dual_bitop2_b32 v4, 7, v4 bitop3:0x40
	v_dual_cndmask_b32 v6, v8, v6, vcc_lo :: v_dual_cndmask_b32 v4, v5, v4, vcc_lo
	s_delay_alu instid0(VALU_DEP_2) | instskip(NEXT) | instid1(VALU_DEP_2)
	v_and_b32_e32 v1, 0x80000000, v1
	v_lshl_add_u32 v5, v6, 23, 0x3b800000
	s_delay_alu instid0(VALU_DEP_3) | instskip(NEXT) | instid1(VALU_DEP_1)
	v_lshlrev_b32_e32 v4, 20, v4
	v_or3_b32 v1, v1, v5, v4
	s_delay_alu instid0(VALU_DEP_1)
	v_cvt_i32_f32_e32 v4, v1
.LBB22_546:
	s_or_b32 exec_lo, exec_lo, s26
.LBB22_547:
	s_mov_b32 s26, -1
.LBB22_548:
	s_mov_b32 s27, 0
.LBB22_549:
	s_delay_alu instid0(SALU_CYCLE_1)
	s_and_b32 vcc_lo, exec_lo, s27
	s_cbranch_vccz .LBB22_582
; %bb.550:
	s_cmp_gt_i32 s23, 22
	s_cbranch_scc0 .LBB22_558
; %bb.551:
	s_cmp_lt_i32 s23, 24
	s_cbranch_scc1 .LBB22_561
; %bb.552:
	s_cmp_gt_i32 s23, 24
	s_cbranch_scc0 .LBB22_562
; %bb.553:
	s_wait_loadcnt 0x0
	global_load_u8 v1, v[2:3], off
	s_mov_b32 s27, 0
	s_mov_b32 s26, exec_lo
	s_wait_loadcnt 0x0
	v_cmpx_lt_i16_e32 0x7f, v1
	s_xor_b32 s26, exec_lo, s26
	s_cbranch_execz .LBB22_574
; %bb.554:
	v_cmp_ne_u16_e32 vcc_lo, 0x80, v1
	s_and_b32 s27, vcc_lo, exec_lo
	s_and_not1_saveexec_b32 s26, s26
	s_cbranch_execnz .LBB22_575
.LBB22_555:
	s_or_b32 exec_lo, exec_lo, s26
	v_mov_b32_e32 v4, 0
	s_and_saveexec_b32 s26, s27
	s_cbranch_execz .LBB22_557
.LBB22_556:
	v_and_b32_e32 v4, 0xffff, v1
	s_delay_alu instid0(VALU_DEP_1) | instskip(SKIP_1) | instid1(VALU_DEP_2)
	v_and_b32_e32 v5, 3, v4
	v_bfe_u32 v8, v4, 2, 5
	v_clz_i32_u32_e32 v6, v5
	s_delay_alu instid0(VALU_DEP_2) | instskip(NEXT) | instid1(VALU_DEP_2)
	v_cmp_eq_u32_e32 vcc_lo, 0, v8
	v_min_u32_e32 v6, 32, v6
	s_delay_alu instid0(VALU_DEP_1) | instskip(NEXT) | instid1(VALU_DEP_1)
	v_subrev_nc_u32_e32 v7, 29, v6
	v_dual_lshlrev_b32 v4, v7, v4 :: v_dual_sub_nc_u32 v6, 30, v6
	s_delay_alu instid0(VALU_DEP_1) | instskip(NEXT) | instid1(VALU_DEP_1)
	v_dual_lshlrev_b32 v1, 24, v1 :: v_dual_bitop2_b32 v4, 3, v4 bitop3:0x40
	v_dual_cndmask_b32 v6, v8, v6, vcc_lo :: v_dual_cndmask_b32 v4, v5, v4, vcc_lo
	s_delay_alu instid0(VALU_DEP_2) | instskip(NEXT) | instid1(VALU_DEP_2)
	v_and_b32_e32 v1, 0x80000000, v1
	v_lshl_add_u32 v5, v6, 23, 0x37800000
	s_delay_alu instid0(VALU_DEP_3) | instskip(NEXT) | instid1(VALU_DEP_1)
	v_lshlrev_b32_e32 v4, 21, v4
	v_or3_b32 v1, v1, v5, v4
	s_delay_alu instid0(VALU_DEP_1)
	v_cvt_i32_f32_e32 v4, v1
.LBB22_557:
	s_or_b32 exec_lo, exec_lo, s26
	s_mov_b32 s26, 0
	s_branch .LBB22_563
.LBB22_558:
	s_mov_b32 s27, -1
                                        ; implicit-def: $vgpr4
	s_branch .LBB22_569
.LBB22_559:
	s_and_not1_saveexec_b32 s26, s26
	s_cbranch_execz .LBB22_544
.LBB22_560:
	v_cmp_ne_u16_e32 vcc_lo, 0, v1
	s_and_not1_b32 s27, s27, exec_lo
	s_and_b32 s28, vcc_lo, exec_lo
	s_delay_alu instid0(SALU_CYCLE_1)
	s_or_b32 s27, s27, s28
	s_or_b32 exec_lo, exec_lo, s26
	v_mov_b32_e32 v4, 0
	s_and_saveexec_b32 s26, s27
	s_cbranch_execnz .LBB22_545
	s_branch .LBB22_546
.LBB22_561:
	s_mov_b32 s26, -1
                                        ; implicit-def: $vgpr4
	s_branch .LBB22_566
.LBB22_562:
	s_mov_b32 s26, -1
                                        ; implicit-def: $vgpr4
.LBB22_563:
	s_delay_alu instid0(SALU_CYCLE_1)
	s_and_b32 vcc_lo, exec_lo, s26
	s_cbranch_vccz .LBB22_565
; %bb.564:
	s_wait_loadcnt 0x0
	global_load_u8 v1, v[2:3], off
	s_wait_loadcnt 0x0
	v_lshlrev_b32_e32 v1, 24, v1
	s_delay_alu instid0(VALU_DEP_1) | instskip(NEXT) | instid1(VALU_DEP_1)
	v_and_b32_e32 v4, 0x7f000000, v1
	v_clz_i32_u32_e32 v5, v4
	v_cmp_ne_u32_e32 vcc_lo, 0, v4
	v_add_nc_u32_e32 v7, 0x1000000, v4
	s_delay_alu instid0(VALU_DEP_3) | instskip(NEXT) | instid1(VALU_DEP_1)
	v_min_u32_e32 v5, 32, v5
	v_sub_nc_u32_e64 v5, v5, 4 clamp
	s_delay_alu instid0(VALU_DEP_1) | instskip(NEXT) | instid1(VALU_DEP_1)
	v_dual_lshlrev_b32 v6, v5, v4 :: v_dual_lshlrev_b32 v5, 23, v5
	v_lshrrev_b32_e32 v6, 4, v6
	s_delay_alu instid0(VALU_DEP_1) | instskip(NEXT) | instid1(VALU_DEP_1)
	v_dual_sub_nc_u32 v5, v6, v5 :: v_dual_ashrrev_i32 v6, 8, v7
	v_add_nc_u32_e32 v5, 0x3c000000, v5
	s_delay_alu instid0(VALU_DEP_1) | instskip(NEXT) | instid1(VALU_DEP_1)
	v_and_or_b32 v5, 0x7f800000, v6, v5
	v_cndmask_b32_e32 v4, 0, v5, vcc_lo
	s_delay_alu instid0(VALU_DEP_1) | instskip(NEXT) | instid1(VALU_DEP_1)
	v_and_or_b32 v1, 0x80000000, v1, v4
	v_cvt_i32_f32_e32 v4, v1
.LBB22_565:
	s_mov_b32 s26, 0
.LBB22_566:
	s_delay_alu instid0(SALU_CYCLE_1)
	s_and_not1_b32 vcc_lo, exec_lo, s26
	s_cbranch_vccnz .LBB22_568
; %bb.567:
	s_wait_loadcnt 0x0
	global_load_u8 v1, v[2:3], off
	s_wait_loadcnt 0x0
	v_lshlrev_b32_e32 v4, 25, v1
	v_lshlrev_b16 v1, 8, v1
	s_delay_alu instid0(VALU_DEP_1) | instskip(SKIP_1) | instid1(VALU_DEP_2)
	v_and_or_b32 v6, 0x7f00, v1, 0.5
	v_bfe_i32 v1, v1, 0, 16
	v_dual_add_f32 v6, -0.5, v6 :: v_dual_lshrrev_b32 v5, 4, v4
	v_cmp_gt_u32_e32 vcc_lo, 0x8000000, v4
	s_delay_alu instid0(VALU_DEP_2) | instskip(NEXT) | instid1(VALU_DEP_1)
	v_or_b32_e32 v5, 0x70000000, v5
	v_mul_f32_e32 v5, 0x7800000, v5
	s_delay_alu instid0(VALU_DEP_1) | instskip(NEXT) | instid1(VALU_DEP_1)
	v_cndmask_b32_e32 v4, v5, v6, vcc_lo
	v_and_or_b32 v1, 0x80000000, v1, v4
	s_delay_alu instid0(VALU_DEP_1)
	v_cvt_i32_f32_e32 v4, v1
.LBB22_568:
	s_mov_b32 s27, 0
	s_mov_b32 s26, -1
.LBB22_569:
	s_and_not1_b32 vcc_lo, exec_lo, s27
	s_cbranch_vccnz .LBB22_582
; %bb.570:
	s_cmp_gt_i32 s23, 14
	s_cbranch_scc0 .LBB22_573
; %bb.571:
	s_cmp_eq_u32 s23, 15
	s_cbranch_scc0 .LBB22_576
; %bb.572:
	s_wait_loadcnt 0x0
	global_load_u16 v1, v[2:3], off
	s_mov_b32 s26, -1
	s_mov_b32 s24, 0
	s_wait_loadcnt 0x0
	v_lshlrev_b32_e32 v1, 16, v1
	s_delay_alu instid0(VALU_DEP_1)
	v_cvt_i32_f32_e32 v4, v1
	s_branch .LBB22_577
.LBB22_573:
	s_mov_b32 s27, -1
                                        ; implicit-def: $vgpr4
	s_branch .LBB22_578
.LBB22_574:
	s_and_not1_saveexec_b32 s26, s26
	s_cbranch_execz .LBB22_555
.LBB22_575:
	v_cmp_ne_u16_e32 vcc_lo, 0, v1
	s_and_not1_b32 s27, s27, exec_lo
	s_and_b32 s28, vcc_lo, exec_lo
	s_delay_alu instid0(SALU_CYCLE_1)
	s_or_b32 s27, s27, s28
	s_or_b32 exec_lo, exec_lo, s26
	v_mov_b32_e32 v4, 0
	s_and_saveexec_b32 s26, s27
	s_cbranch_execnz .LBB22_556
	s_branch .LBB22_557
.LBB22_576:
	s_mov_b32 s24, -1
                                        ; implicit-def: $vgpr4
.LBB22_577:
	s_mov_b32 s27, 0
.LBB22_578:
	s_delay_alu instid0(SALU_CYCLE_1)
	s_and_b32 vcc_lo, exec_lo, s27
	s_cbranch_vccz .LBB22_582
; %bb.579:
	s_cmp_eq_u32 s23, 11
	s_cbranch_scc0 .LBB22_581
; %bb.580:
	s_wait_loadcnt 0x0
	global_load_u8 v1, v[2:3], off
	s_mov_b32 s24, 0
	s_mov_b32 s26, -1
	s_wait_loadcnt 0x0
	v_cmp_ne_u16_e32 vcc_lo, 0, v1
	v_cndmask_b32_e64 v4, 0, 1, vcc_lo
	s_branch .LBB22_582
.LBB22_581:
	s_mov_b32 s24, -1
                                        ; implicit-def: $vgpr4
.LBB22_582:
	s_mov_b32 s23, 0
.LBB22_583:
	s_delay_alu instid0(SALU_CYCLE_1)
	s_and_b32 vcc_lo, exec_lo, s23
	s_cbranch_vccz .LBB22_632
; %bb.584:
	s_and_b32 s0, 0xffff, s0
	s_delay_alu instid0(SALU_CYCLE_1)
	s_cmp_lt_i32 s0, 5
	s_cbranch_scc1 .LBB22_589
; %bb.585:
	s_cmp_lt_i32 s0, 8
	s_cbranch_scc1 .LBB22_590
; %bb.586:
	;; [unrolled: 3-line block ×3, first 2 shown]
	s_cmp_gt_i32 s0, 9
	s_cbranch_scc0 .LBB22_592
; %bb.588:
	s_wait_loadcnt 0x0
	global_load_b64 v[4:5], v[2:3], off
	s_mov_b32 s23, 0
	s_wait_loadcnt 0x0
	v_cvt_i32_f64_e32 v4, v[4:5]
	s_branch .LBB22_593
.LBB22_589:
	s_mov_b32 s23, -1
                                        ; implicit-def: $vgpr4
	s_branch .LBB22_611
.LBB22_590:
	s_mov_b32 s23, -1
                                        ; implicit-def: $vgpr4
	s_branch .LBB22_599
.LBB22_591:
	s_mov_b32 s23, -1
                                        ; implicit-def: $vgpr4
	s_branch .LBB22_596
.LBB22_592:
	s_mov_b32 s23, -1
                                        ; implicit-def: $vgpr4
.LBB22_593:
	s_delay_alu instid0(SALU_CYCLE_1)
	s_and_not1_b32 vcc_lo, exec_lo, s23
	s_cbranch_vccnz .LBB22_595
; %bb.594:
	s_wait_loadcnt 0x0
	global_load_b32 v1, v[2:3], off
	s_wait_loadcnt 0x0
	v_cvt_i32_f32_e32 v4, v1
.LBB22_595:
	s_mov_b32 s23, 0
.LBB22_596:
	s_delay_alu instid0(SALU_CYCLE_1)
	s_and_not1_b32 vcc_lo, exec_lo, s23
	s_cbranch_vccnz .LBB22_598
; %bb.597:
	s_wait_loadcnt 0x0
	global_load_b32 v1, v[2:3], off
	s_wait_loadcnt 0x0
	v_cvt_i16_f16_e32 v4, v1
.LBB22_598:
	s_mov_b32 s23, 0
.LBB22_599:
	s_delay_alu instid0(SALU_CYCLE_1)
	s_and_not1_b32 vcc_lo, exec_lo, s23
	s_cbranch_vccnz .LBB22_610
; %bb.600:
	s_cmp_lt_i32 s0, 6
	s_cbranch_scc1 .LBB22_603
; %bb.601:
	s_cmp_gt_i32 s0, 6
	s_cbranch_scc0 .LBB22_604
; %bb.602:
	s_wait_loadcnt 0x0
	global_load_b64 v[4:5], v[2:3], off
	s_mov_b32 s23, 0
	s_wait_loadcnt 0x0
	v_cvt_i32_f64_e32 v4, v[4:5]
	s_branch .LBB22_605
.LBB22_603:
	s_mov_b32 s23, -1
                                        ; implicit-def: $vgpr4
	s_branch .LBB22_608
.LBB22_604:
	s_mov_b32 s23, -1
                                        ; implicit-def: $vgpr4
.LBB22_605:
	s_delay_alu instid0(SALU_CYCLE_1)
	s_and_not1_b32 vcc_lo, exec_lo, s23
	s_cbranch_vccnz .LBB22_607
; %bb.606:
	s_wait_loadcnt 0x0
	global_load_b32 v1, v[2:3], off
	s_wait_loadcnt 0x0
	v_cvt_i32_f32_e32 v4, v1
.LBB22_607:
	s_mov_b32 s23, 0
.LBB22_608:
	s_delay_alu instid0(SALU_CYCLE_1)
	s_and_not1_b32 vcc_lo, exec_lo, s23
	s_cbranch_vccnz .LBB22_610
; %bb.609:
	s_wait_loadcnt 0x0
	global_load_u16 v1, v[2:3], off
	s_wait_loadcnt 0x0
	v_cvt_i16_f16_e32 v4, v1
.LBB22_610:
	s_mov_b32 s23, 0
.LBB22_611:
	s_delay_alu instid0(SALU_CYCLE_1)
	s_and_not1_b32 vcc_lo, exec_lo, s23
	s_cbranch_vccnz .LBB22_631
; %bb.612:
	s_cmp_lt_i32 s0, 2
	s_cbranch_scc1 .LBB22_616
; %bb.613:
	s_cmp_lt_i32 s0, 3
	s_cbranch_scc1 .LBB22_617
; %bb.614:
	s_cmp_gt_i32 s0, 3
	s_cbranch_scc0 .LBB22_618
; %bb.615:
	s_wait_loadcnt 0x0
	global_load_b64 v[4:5], v[2:3], off
	s_mov_b32 s23, 0
	s_branch .LBB22_619
.LBB22_616:
	s_mov_b32 s23, -1
                                        ; implicit-def: $vgpr4
	s_branch .LBB22_625
.LBB22_617:
	s_mov_b32 s23, -1
                                        ; implicit-def: $vgpr4
	s_branch .LBB22_622
.LBB22_618:
	s_mov_b32 s23, -1
                                        ; implicit-def: $vgpr4
.LBB22_619:
	s_delay_alu instid0(SALU_CYCLE_1)
	s_and_not1_b32 vcc_lo, exec_lo, s23
	s_cbranch_vccnz .LBB22_621
; %bb.620:
	s_wait_loadcnt 0x0
	global_load_b32 v4, v[2:3], off
.LBB22_621:
	s_mov_b32 s23, 0
.LBB22_622:
	s_delay_alu instid0(SALU_CYCLE_1)
	s_and_not1_b32 vcc_lo, exec_lo, s23
	s_cbranch_vccnz .LBB22_624
; %bb.623:
	s_wait_loadcnt 0x0
	global_load_u16 v4, v[2:3], off
.LBB22_624:
	s_mov_b32 s23, 0
.LBB22_625:
	s_delay_alu instid0(SALU_CYCLE_1)
	s_and_not1_b32 vcc_lo, exec_lo, s23
	s_cbranch_vccnz .LBB22_631
; %bb.626:
	s_cmp_gt_i32 s0, 0
	s_mov_b32 s0, 0
	s_cbranch_scc0 .LBB22_628
; %bb.627:
	s_wait_loadcnt 0x0
	global_load_u8 v4, v[2:3], off
	s_branch .LBB22_629
.LBB22_628:
	s_mov_b32 s0, -1
                                        ; implicit-def: $vgpr4
.LBB22_629:
	s_delay_alu instid0(SALU_CYCLE_1)
	s_and_not1_b32 vcc_lo, exec_lo, s0
	s_cbranch_vccnz .LBB22_631
; %bb.630:
	s_wait_loadcnt 0x0
	global_load_u8 v4, v[2:3], off
.LBB22_631:
	s_mov_b32 s26, -1
.LBB22_632:
	s_delay_alu instid0(SALU_CYCLE_1)
	s_and_not1_b32 vcc_lo, exec_lo, s26
	s_cbranch_vccnz .LBB22_640
; %bb.633:
	s_wait_xcnt 0x0
	v_mul_lo_u32 v2, v18, s8
	s_wait_loadcnt 0x0
	s_delay_alu instid0(VALU_DEP_2) | instskip(SKIP_2) | instid1(VALU_DEP_1)
	v_and_b32_e32 v1, 0xff, v4
	v_and_b32_e32 v0, 0xff, v0
	s_and_b32 s26, s12, 0xff
	v_cmp_ne_u16_e32 vcc_lo, v0, v1
	s_delay_alu instid0(VALU_DEP_4) | instskip(SKIP_2) | instid1(VALU_DEP_1)
	v_ashrrev_i32_e32 v3, 31, v2
	s_xor_b32 s23, s16, vcc_lo
	s_cmp_lt_i32 s26, 11
	v_add_nc_u64_e32 v[0:1], s[4:5], v[2:3]
	s_cbranch_scc1 .LBB22_641
; %bb.634:
	s_and_b32 s27, 0xffff, s26
	s_delay_alu instid0(SALU_CYCLE_1)
	s_cmp_gt_i32 s27, 25
	s_cbranch_scc0 .LBB22_642
; %bb.635:
	s_cmp_gt_i32 s27, 28
	s_cbranch_scc0 .LBB22_643
; %bb.636:
	;; [unrolled: 3-line block ×4, first 2 shown]
	s_mov_b32 s29, 0
	s_mov_b32 s0, -1
	s_cmp_eq_u32 s27, 46
	s_mov_b32 s28, 0
	s_cbranch_scc0 .LBB22_646
; %bb.639:
	v_cndmask_b32_e64 v2, 0, 1.0, s23
	s_mov_b32 s28, -1
	s_mov_b32 s0, 0
	s_delay_alu instid0(VALU_DEP_1) | instskip(NEXT) | instid1(VALU_DEP_1)
	v_bfe_u32 v3, v2, 16, 1
	v_add3_u32 v2, v2, v3, 0x7fff
	s_delay_alu instid0(VALU_DEP_1)
	v_lshrrev_b32_e32 v2, 16, v2
	global_store_b32 v[0:1], v2, off
	s_branch .LBB22_646
.LBB22_640:
	s_mov_b32 s26, 0
	s_mov_b32 s0, s18
	s_branch .LBB22_757
.LBB22_641:
	s_mov_b32 s27, -1
	s_mov_b32 s28, 0
	s_mov_b32 s0, s18
	s_branch .LBB22_715
.LBB22_642:
	s_mov_b32 s29, -1
	s_mov_b32 s28, 0
	s_mov_b32 s0, s18
	s_branch .LBB22_673
.LBB22_643:
	s_mov_b32 s29, -1
	s_mov_b32 s28, 0
	s_mov_b32 s0, s18
	s_branch .LBB22_656
.LBB22_644:
	s_mov_b32 s29, -1
	s_mov_b32 s28, 0
	s_mov_b32 s0, s18
	s_branch .LBB22_652
.LBB22_645:
	s_mov_b32 s29, -1
	s_mov_b32 s28, 0
	s_mov_b32 s0, s18
.LBB22_646:
	s_and_b32 vcc_lo, exec_lo, s29
	s_cbranch_vccz .LBB22_651
; %bb.647:
	s_cmp_eq_u32 s27, 44
	s_mov_b32 s0, -1
	s_cbranch_scc0 .LBB22_651
; %bb.648:
	v_cndmask_b32_e64 v4, 0, 1.0, s23
	s_mov_b32 s28, exec_lo
	s_wait_xcnt 0x0
	s_delay_alu instid0(VALU_DEP_1) | instskip(NEXT) | instid1(VALU_DEP_1)
	v_dual_mov_b32 v3, 0xff :: v_dual_lshrrev_b32 v2, 23, v4
	v_cmpx_ne_u32_e32 0xff, v2
; %bb.649:
	v_and_b32_e32 v3, 0x400000, v4
	v_and_or_b32 v4, 0x3fffff, v4, v2
	s_delay_alu instid0(VALU_DEP_2) | instskip(NEXT) | instid1(VALU_DEP_2)
	v_cmp_ne_u32_e32 vcc_lo, 0, v3
	v_cmp_ne_u32_e64 s0, 0, v4
	s_and_b32 s0, vcc_lo, s0
	s_delay_alu instid0(SALU_CYCLE_1) | instskip(NEXT) | instid1(VALU_DEP_1)
	v_cndmask_b32_e64 v3, 0, 1, s0
	v_add_nc_u32_e32 v3, v2, v3
; %bb.650:
	s_or_b32 exec_lo, exec_lo, s28
	s_mov_b32 s28, -1
	s_mov_b32 s0, 0
	global_store_b8 v[0:1], v3, off
.LBB22_651:
	s_mov_b32 s29, 0
.LBB22_652:
	s_delay_alu instid0(SALU_CYCLE_1)
	s_and_b32 vcc_lo, exec_lo, s29
	s_cbranch_vccz .LBB22_655
; %bb.653:
	s_cmp_eq_u32 s27, 29
	s_mov_b32 s0, -1
	s_cbranch_scc0 .LBB22_655
; %bb.654:
	s_mov_b32 s0, 0
	s_wait_xcnt 0x0
	v_cndmask_b32_e64 v2, 0, 1, s23
	v_mov_b32_e32 v3, s0
	s_mov_b32 s28, -1
	s_mov_b32 s29, 0
	global_store_b64 v[0:1], v[2:3], off
	s_branch .LBB22_656
.LBB22_655:
	s_mov_b32 s29, 0
.LBB22_656:
	s_delay_alu instid0(SALU_CYCLE_1)
	s_and_b32 vcc_lo, exec_lo, s29
	s_cbranch_vccz .LBB22_672
; %bb.657:
	s_cmp_lt_i32 s27, 27
	s_mov_b32 s28, -1
	s_cbranch_scc1 .LBB22_663
; %bb.658:
	s_cmp_gt_i32 s27, 27
	s_cbranch_scc0 .LBB22_660
; %bb.659:
	s_wait_xcnt 0x0
	v_cndmask_b32_e64 v2, 0, 1, s23
	s_mov_b32 s28, 0
	global_store_b32 v[0:1], v2, off
.LBB22_660:
	s_and_not1_b32 vcc_lo, exec_lo, s28
	s_cbranch_vccnz .LBB22_662
; %bb.661:
	s_wait_xcnt 0x0
	v_cndmask_b32_e64 v2, 0, 1, s23
	global_store_b16 v[0:1], v2, off
.LBB22_662:
	s_mov_b32 s28, 0
.LBB22_663:
	s_delay_alu instid0(SALU_CYCLE_1)
	s_and_not1_b32 vcc_lo, exec_lo, s28
	s_cbranch_vccnz .LBB22_671
; %bb.664:
	s_wait_xcnt 0x0
	v_cndmask_b32_e64 v3, 0, 1.0, s23
	v_mov_b32_e32 v4, 0x80
	s_mov_b32 s28, exec_lo
	s_delay_alu instid0(VALU_DEP_2)
	v_cmpx_gt_u32_e32 0x43800000, v3
	s_cbranch_execz .LBB22_670
; %bb.665:
	s_mov_b32 s29, 0
	s_mov_b32 s30, exec_lo
                                        ; implicit-def: $vgpr2
	v_cmpx_lt_u32_e32 0x3bffffff, v3
	s_xor_b32 s30, exec_lo, s30
	s_cbranch_execz .LBB22_773
; %bb.666:
	v_bfe_u32 v2, v3, 20, 1
	s_mov_b32 s29, exec_lo
	s_delay_alu instid0(VALU_DEP_1) | instskip(NEXT) | instid1(VALU_DEP_1)
	v_add3_u32 v2, v3, v2, 0x487ffff
                                        ; implicit-def: $vgpr3
	v_lshrrev_b32_e32 v2, 20, v2
	s_and_not1_saveexec_b32 s30, s30
	s_cbranch_execnz .LBB22_774
.LBB22_667:
	s_or_b32 exec_lo, exec_lo, s30
	v_mov_b32_e32 v4, 0
	s_and_saveexec_b32 s30, s29
.LBB22_668:
	v_mov_b32_e32 v4, v2
.LBB22_669:
	s_or_b32 exec_lo, exec_lo, s30
.LBB22_670:
	s_delay_alu instid0(SALU_CYCLE_1)
	s_or_b32 exec_lo, exec_lo, s28
	global_store_b8 v[0:1], v4, off
.LBB22_671:
	s_mov_b32 s28, -1
.LBB22_672:
	s_mov_b32 s29, 0
.LBB22_673:
	s_delay_alu instid0(SALU_CYCLE_1)
	s_and_b32 vcc_lo, exec_lo, s29
	s_cbranch_vccz .LBB22_714
; %bb.674:
	s_cmp_gt_i32 s27, 22
	s_mov_b32 s29, -1
	s_cbranch_scc0 .LBB22_706
; %bb.675:
	s_cmp_lt_i32 s27, 24
	s_mov_b32 s28, -1
	s_cbranch_scc1 .LBB22_695
; %bb.676:
	s_cmp_gt_i32 s27, 24
	s_cbranch_scc0 .LBB22_684
; %bb.677:
	s_wait_xcnt 0x0
	v_cndmask_b32_e64 v3, 0, 1.0, s23
	v_mov_b32_e32 v4, 0x80
	s_mov_b32 s28, exec_lo
	s_delay_alu instid0(VALU_DEP_2)
	v_cmpx_gt_u32_e32 0x47800000, v3
	s_cbranch_execz .LBB22_683
; %bb.678:
	s_mov_b32 s29, 0
	s_mov_b32 s30, exec_lo
                                        ; implicit-def: $vgpr2
	v_cmpx_lt_u32_e32 0x37ffffff, v3
	s_xor_b32 s30, exec_lo, s30
	s_cbranch_execz .LBB22_901
; %bb.679:
	v_bfe_u32 v2, v3, 21, 1
	s_mov_b32 s29, exec_lo
	s_delay_alu instid0(VALU_DEP_1) | instskip(NEXT) | instid1(VALU_DEP_1)
	v_add3_u32 v2, v3, v2, 0x88fffff
                                        ; implicit-def: $vgpr3
	v_lshrrev_b32_e32 v2, 21, v2
	s_and_not1_saveexec_b32 s30, s30
	s_cbranch_execnz .LBB22_902
.LBB22_680:
	s_or_b32 exec_lo, exec_lo, s30
	v_mov_b32_e32 v4, 0
	s_and_saveexec_b32 s30, s29
.LBB22_681:
	v_mov_b32_e32 v4, v2
.LBB22_682:
	s_or_b32 exec_lo, exec_lo, s30
.LBB22_683:
	s_delay_alu instid0(SALU_CYCLE_1)
	s_or_b32 exec_lo, exec_lo, s28
	s_mov_b32 s28, 0
	global_store_b8 v[0:1], v4, off
.LBB22_684:
	s_and_b32 vcc_lo, exec_lo, s28
	s_cbranch_vccz .LBB22_694
; %bb.685:
	s_wait_xcnt 0x0
	v_cndmask_b32_e64 v3, 0, 1.0, s23
	s_mov_b32 s28, exec_lo
                                        ; implicit-def: $vgpr2
	s_delay_alu instid0(VALU_DEP_1)
	v_cmpx_gt_u32_e32 0x43f00000, v3
	s_xor_b32 s28, exec_lo, s28
	s_cbranch_execz .LBB22_691
; %bb.686:
	s_mov_b32 s29, exec_lo
                                        ; implicit-def: $vgpr2
	v_cmpx_lt_u32_e32 0x3c7fffff, v3
	s_xor_b32 s29, exec_lo, s29
; %bb.687:
	v_bfe_u32 v2, v3, 20, 1
	s_delay_alu instid0(VALU_DEP_1) | instskip(NEXT) | instid1(VALU_DEP_1)
	v_add3_u32 v2, v3, v2, 0x407ffff
	v_and_b32_e32 v3, 0xff00000, v2
	v_lshrrev_b32_e32 v2, 20, v2
	s_delay_alu instid0(VALU_DEP_2) | instskip(NEXT) | instid1(VALU_DEP_2)
	v_cmp_ne_u32_e32 vcc_lo, 0x7f00000, v3
                                        ; implicit-def: $vgpr3
	v_cndmask_b32_e32 v2, 0x7e, v2, vcc_lo
; %bb.688:
	s_and_not1_saveexec_b32 s29, s29
; %bb.689:
	v_add_f32_e32 v2, 0x46800000, v3
; %bb.690:
	s_or_b32 exec_lo, exec_lo, s29
                                        ; implicit-def: $vgpr3
.LBB22_691:
	s_and_not1_saveexec_b32 s28, s28
; %bb.692:
	v_mov_b32_e32 v2, 0x7f
	v_cmp_lt_u32_e32 vcc_lo, 0x7f800000, v3
	s_delay_alu instid0(VALU_DEP_2)
	v_cndmask_b32_e32 v2, 0x7e, v2, vcc_lo
; %bb.693:
	s_or_b32 exec_lo, exec_lo, s28
	global_store_b8 v[0:1], v2, off
.LBB22_694:
	s_mov_b32 s28, 0
.LBB22_695:
	s_delay_alu instid0(SALU_CYCLE_1)
	s_and_not1_b32 vcc_lo, exec_lo, s28
	s_cbranch_vccnz .LBB22_705
; %bb.696:
	s_wait_xcnt 0x0
	v_cndmask_b32_e64 v3, 0, 1.0, s23
	s_mov_b32 s28, exec_lo
                                        ; implicit-def: $vgpr2
	s_delay_alu instid0(VALU_DEP_1)
	v_cmpx_gt_u32_e32 0x47800000, v3
	s_xor_b32 s28, exec_lo, s28
	s_cbranch_execz .LBB22_702
; %bb.697:
	s_mov_b32 s29, exec_lo
                                        ; implicit-def: $vgpr2
	v_cmpx_lt_u32_e32 0x387fffff, v3
	s_xor_b32 s29, exec_lo, s29
; %bb.698:
	v_bfe_u32 v2, v3, 21, 1
	s_delay_alu instid0(VALU_DEP_1) | instskip(NEXT) | instid1(VALU_DEP_1)
	v_add3_u32 v2, v3, v2, 0x80fffff
                                        ; implicit-def: $vgpr3
	v_lshrrev_b32_e32 v2, 21, v2
; %bb.699:
	s_and_not1_saveexec_b32 s29, s29
; %bb.700:
	v_add_f32_e32 v2, 0x43000000, v3
; %bb.701:
	s_or_b32 exec_lo, exec_lo, s29
                                        ; implicit-def: $vgpr3
.LBB22_702:
	s_and_not1_saveexec_b32 s28, s28
; %bb.703:
	v_mov_b32_e32 v2, 0x7f
	v_cmp_lt_u32_e32 vcc_lo, 0x7f800000, v3
	s_delay_alu instid0(VALU_DEP_2)
	v_cndmask_b32_e32 v2, 0x7c, v2, vcc_lo
; %bb.704:
	s_or_b32 exec_lo, exec_lo, s28
	global_store_b8 v[0:1], v2, off
.LBB22_705:
	s_mov_b32 s29, 0
	s_mov_b32 s28, -1
.LBB22_706:
	s_and_not1_b32 vcc_lo, exec_lo, s29
	s_cbranch_vccnz .LBB22_714
; %bb.707:
	s_cmp_gt_i32 s27, 14
	s_mov_b32 s29, -1
	s_cbranch_scc0 .LBB22_711
; %bb.708:
	s_cmp_eq_u32 s27, 15
	s_mov_b32 s0, -1
	s_cbranch_scc0 .LBB22_710
; %bb.709:
	s_wait_xcnt 0x0
	v_cndmask_b32_e64 v2, 0, 1.0, s23
	s_mov_b32 s28, -1
	s_mov_b32 s0, 0
	s_delay_alu instid0(VALU_DEP_1) | instskip(NEXT) | instid1(VALU_DEP_1)
	v_bfe_u32 v3, v2, 16, 1
	v_add3_u32 v2, v2, v3, 0x7fff
	global_store_d16_hi_b16 v[0:1], v2, off
.LBB22_710:
	s_mov_b32 s29, 0
.LBB22_711:
	s_delay_alu instid0(SALU_CYCLE_1)
	s_and_b32 vcc_lo, exec_lo, s29
	s_cbranch_vccz .LBB22_714
; %bb.712:
	s_cmp_eq_u32 s27, 11
	s_mov_b32 s0, -1
	s_cbranch_scc0 .LBB22_714
; %bb.713:
	s_wait_xcnt 0x0
	v_cndmask_b32_e64 v2, 0, 1, s23
	s_mov_b32 s28, -1
	s_mov_b32 s0, 0
	global_store_b8 v[0:1], v2, off
.LBB22_714:
	s_mov_b32 s27, 0
.LBB22_715:
	s_delay_alu instid0(SALU_CYCLE_1)
	s_and_b32 vcc_lo, exec_lo, s27
	s_cbranch_vccz .LBB22_754
; %bb.716:
	s_and_b32 s26, 0xffff, s26
	s_mov_b32 s27, -1
	s_cmp_lt_i32 s26, 5
	s_cbranch_scc1 .LBB22_737
; %bb.717:
	s_cmp_lt_i32 s26, 8
	s_cbranch_scc1 .LBB22_727
; %bb.718:
	;; [unrolled: 3-line block ×3, first 2 shown]
	s_cmp_gt_i32 s26, 9
	s_cbranch_scc0 .LBB22_721
; %bb.720:
	s_wait_xcnt 0x0
	v_cndmask_b32_e64 v2, 0, 1, s23
	v_mov_b32_e32 v4, 0
	s_mov_b32 s27, 0
	s_delay_alu instid0(VALU_DEP_2) | instskip(NEXT) | instid1(VALU_DEP_2)
	v_cvt_f64_u32_e32 v[2:3], v2
	v_mov_b32_e32 v5, v4
	global_store_b128 v[0:1], v[2:5], off
.LBB22_721:
	s_and_not1_b32 vcc_lo, exec_lo, s27
	s_cbranch_vccnz .LBB22_723
; %bb.722:
	s_wait_xcnt 0x0
	v_cndmask_b32_e64 v2, 0, 1.0, s23
	v_mov_b32_e32 v3, 0
	global_store_b64 v[0:1], v[2:3], off
.LBB22_723:
	s_mov_b32 s27, 0
.LBB22_724:
	s_delay_alu instid0(SALU_CYCLE_1)
	s_and_not1_b32 vcc_lo, exec_lo, s27
	s_cbranch_vccnz .LBB22_726
; %bb.725:
	s_wait_xcnt 0x0
	v_cndmask_b32_e64 v2, 0, 1.0, s23
	s_delay_alu instid0(VALU_DEP_1) | instskip(NEXT) | instid1(VALU_DEP_1)
	v_cvt_f16_f32_e32 v2, v2
	v_and_b32_e32 v2, 0xffff, v2
	global_store_b32 v[0:1], v2, off
.LBB22_726:
	s_mov_b32 s27, 0
.LBB22_727:
	s_delay_alu instid0(SALU_CYCLE_1)
	s_and_not1_b32 vcc_lo, exec_lo, s27
	s_cbranch_vccnz .LBB22_736
; %bb.728:
	s_cmp_lt_i32 s26, 6
	s_mov_b32 s27, -1
	s_cbranch_scc1 .LBB22_734
; %bb.729:
	s_cmp_gt_i32 s26, 6
	s_cbranch_scc0 .LBB22_731
; %bb.730:
	s_wait_xcnt 0x0
	v_cndmask_b32_e64 v2, 0, 1, s23
	s_mov_b32 s27, 0
	s_delay_alu instid0(VALU_DEP_1)
	v_cvt_f64_u32_e32 v[2:3], v2
	global_store_b64 v[0:1], v[2:3], off
.LBB22_731:
	s_and_not1_b32 vcc_lo, exec_lo, s27
	s_cbranch_vccnz .LBB22_733
; %bb.732:
	s_wait_xcnt 0x0
	v_cndmask_b32_e64 v2, 0, 1.0, s23
	global_store_b32 v[0:1], v2, off
.LBB22_733:
	s_mov_b32 s27, 0
.LBB22_734:
	s_delay_alu instid0(SALU_CYCLE_1)
	s_and_not1_b32 vcc_lo, exec_lo, s27
	s_cbranch_vccnz .LBB22_736
; %bb.735:
	s_wait_xcnt 0x0
	v_cndmask_b32_e64 v2, 0, 1.0, s23
	s_delay_alu instid0(VALU_DEP_1)
	v_cvt_f16_f32_e32 v2, v2
	global_store_b16 v[0:1], v2, off
.LBB22_736:
	s_mov_b32 s27, 0
.LBB22_737:
	s_delay_alu instid0(SALU_CYCLE_1)
	s_and_not1_b32 vcc_lo, exec_lo, s27
	s_cbranch_vccnz .LBB22_753
; %bb.738:
	s_cmp_lt_i32 s26, 2
	s_mov_b32 s27, -1
	s_cbranch_scc1 .LBB22_748
; %bb.739:
	s_cmp_lt_i32 s26, 3
	s_cbranch_scc1 .LBB22_745
; %bb.740:
	s_cmp_gt_i32 s26, 3
	s_cbranch_scc0 .LBB22_742
; %bb.741:
	s_mov_b32 s27, 0
	s_wait_xcnt 0x0
	v_cndmask_b32_e64 v2, 0, 1, s23
	v_mov_b32_e32 v3, s27
	global_store_b64 v[0:1], v[2:3], off
.LBB22_742:
	s_and_not1_b32 vcc_lo, exec_lo, s27
	s_cbranch_vccnz .LBB22_744
; %bb.743:
	s_wait_xcnt 0x0
	v_cndmask_b32_e64 v2, 0, 1, s23
	global_store_b32 v[0:1], v2, off
.LBB22_744:
	s_mov_b32 s27, 0
.LBB22_745:
	s_delay_alu instid0(SALU_CYCLE_1)
	s_and_not1_b32 vcc_lo, exec_lo, s27
	s_cbranch_vccnz .LBB22_747
; %bb.746:
	s_wait_xcnt 0x0
	v_cndmask_b32_e64 v2, 0, 1, s23
	global_store_b16 v[0:1], v2, off
.LBB22_747:
	s_mov_b32 s27, 0
.LBB22_748:
	s_delay_alu instid0(SALU_CYCLE_1)
	s_and_not1_b32 vcc_lo, exec_lo, s27
	s_cbranch_vccnz .LBB22_753
; %bb.749:
	s_wait_xcnt 0x0
	v_cndmask_b32_e64 v2, 0, 1, s23
	s_cmp_gt_i32 s26, 0
	s_mov_b32 s23, -1
	s_cbranch_scc0 .LBB22_751
; %bb.750:
	s_mov_b32 s23, 0
	global_store_b8 v[0:1], v2, off
.LBB22_751:
	s_and_not1_b32 vcc_lo, exec_lo, s23
	s_cbranch_vccnz .LBB22_753
; %bb.752:
	global_store_b8 v[0:1], v2, off
.LBB22_753:
	s_mov_b32 s28, -1
.LBB22_754:
	s_delay_alu instid0(SALU_CYCLE_1)
	s_and_not1_b32 vcc_lo, exec_lo, s28
	s_cbranch_vccnz .LBB22_756
; %bb.755:
	v_add_nc_u32_e32 v18, 0x80, v18
	s_mov_b32 s26, -1
	s_branch .LBB22_758
.LBB22_756:
	s_mov_b32 s26, 0
.LBB22_757:
                                        ; implicit-def: $vgpr18
.LBB22_758:
	s_and_not1_b32 s23, s18, exec_lo
	s_and_b32 s0, s0, exec_lo
	s_and_b32 s24, s24, exec_lo
	s_or_b32 s23, s23, s0
	s_and_not1_b32 s0, s19, exec_lo
	s_and_not1_b32 s27, s20, exec_lo
	s_and_b32 s22, s22, exec_lo
	s_or_b32 s24, s0, s24
	s_or_b32 s22, s27, s22
	s_or_not1_b32 s27, s26, exec_lo
.LBB22_759:
	s_wait_xcnt 0x0
	s_or_b32 exec_lo, exec_lo, s25
	s_mov_b32 s26, 0
	s_mov_b32 s28, 0
	;; [unrolled: 1-line block ×3, first 2 shown]
                                        ; implicit-def: $sgpr0
                                        ; implicit-def: $vgpr2_vgpr3
                                        ; implicit-def: $vgpr0
	s_and_saveexec_b32 s25, s27
	s_cbranch_execz .LBB22_1222
; %bb.760:
	s_mov_b32 s34, -1
	s_mov_b32 s27, s22
	s_mov_b32 s28, s24
	;; [unrolled: 1-line block ×3, first 2 shown]
	s_mov_b32 s26, exec_lo
	v_cmpx_gt_i32_e64 s17, v18
	s_cbranch_execz .LBB22_1142
; %bb.761:
	s_wait_loadcnt 0x0
	v_mul_lo_u32 v0, v18, s9
	s_and_b32 s0, s14, 0xff
	s_delay_alu instid0(SALU_CYCLE_1) | instskip(NEXT) | instid1(VALU_DEP_1)
	s_cmp_lt_i32 s0, 11
	v_ashrrev_i32_e32 v1, 31, v0
	s_delay_alu instid0(VALU_DEP_1)
	v_add_nc_u64_e32 v[2:3], s[6:7], v[0:1]
	s_cbranch_scc1 .LBB22_768
; %bb.762:
	s_and_b32 s28, 0xffff, s0
	s_delay_alu instid0(SALU_CYCLE_1)
	s_cmp_gt_i32 s28, 25
	s_cbranch_scc0 .LBB22_769
; %bb.763:
	s_cmp_gt_i32 s28, 28
	s_cbranch_scc0 .LBB22_770
; %bb.764:
	;; [unrolled: 3-line block ×4, first 2 shown]
	s_cmp_eq_u32 s28, 46
	s_mov_b32 s30, 0
	s_cbranch_scc0 .LBB22_775
; %bb.767:
	global_load_b32 v0, v[2:3], off
	s_mov_b32 s29, -1
	s_mov_b32 s27, 0
	s_wait_loadcnt 0x0
	v_lshlrev_b32_e32 v0, 16, v0
	s_delay_alu instid0(VALU_DEP_1)
	v_cvt_i32_f32_e32 v0, v0
	s_branch .LBB22_777
.LBB22_768:
	s_mov_b32 s28, -1
	s_mov_b32 s29, 0
	s_mov_b32 s27, s22
                                        ; implicit-def: $vgpr0
	s_branch .LBB22_838
.LBB22_769:
	s_mov_b32 s30, -1
	s_mov_b32 s29, 0
	s_mov_b32 s27, s22
                                        ; implicit-def: $vgpr0
	s_branch .LBB22_804
.LBB22_770:
	s_mov_b32 s30, -1
	s_mov_b32 s29, 0
	s_mov_b32 s27, s22
                                        ; implicit-def: $vgpr0
	s_branch .LBB22_787
.LBB22_771:
	s_mov_b32 s30, -1
	s_mov_b32 s29, 0
	s_mov_b32 s27, s22
                                        ; implicit-def: $vgpr0
	s_branch .LBB22_782
.LBB22_772:
	s_mov_b32 s30, -1
	s_mov_b32 s29, 0
	s_mov_b32 s27, s22
	s_branch .LBB22_776
.LBB22_773:
	s_and_not1_saveexec_b32 s30, s30
	s_cbranch_execz .LBB22_667
.LBB22_774:
	v_add_f32_e32 v2, 0x46000000, v3
	s_and_not1_b32 s29, s29, exec_lo
	s_delay_alu instid0(VALU_DEP_1) | instskip(NEXT) | instid1(VALU_DEP_1)
	v_and_b32_e32 v2, 0xff, v2
	v_cmp_ne_u32_e32 vcc_lo, 0, v2
	s_and_b32 s31, vcc_lo, exec_lo
	s_delay_alu instid0(SALU_CYCLE_1)
	s_or_b32 s29, s29, s31
	s_or_b32 exec_lo, exec_lo, s30
	v_mov_b32_e32 v4, 0
	s_and_saveexec_b32 s30, s29
	s_cbranch_execnz .LBB22_668
	s_branch .LBB22_669
.LBB22_775:
	s_mov_b32 s27, -1
	s_mov_b32 s29, 0
.LBB22_776:
                                        ; implicit-def: $vgpr0
.LBB22_777:
	s_and_b32 vcc_lo, exec_lo, s30
	s_cbranch_vccz .LBB22_781
; %bb.778:
	s_cmp_eq_u32 s28, 44
	s_cbranch_scc0 .LBB22_780
; %bb.779:
	global_load_u8 v0, v[2:3], off
	s_mov_b32 s27, 0
	s_mov_b32 s29, -1
	s_wait_loadcnt 0x0
	v_lshlrev_b32_e32 v1, 23, v0
	v_cmp_ne_u32_e32 vcc_lo, 0, v0
	s_delay_alu instid0(VALU_DEP_2) | instskip(NEXT) | instid1(VALU_DEP_1)
	v_cvt_i32_f32_e32 v1, v1
	v_cndmask_b32_e32 v0, 0, v1, vcc_lo
	s_branch .LBB22_781
.LBB22_780:
	s_mov_b32 s27, -1
                                        ; implicit-def: $vgpr0
.LBB22_781:
	s_mov_b32 s30, 0
.LBB22_782:
	s_delay_alu instid0(SALU_CYCLE_1)
	s_and_b32 vcc_lo, exec_lo, s30
	s_cbranch_vccz .LBB22_786
; %bb.783:
	s_cmp_eq_u32 s28, 29
	s_cbranch_scc0 .LBB22_785
; %bb.784:
	global_load_b64 v[0:1], v[2:3], off
	s_mov_b32 s29, -1
	s_mov_b32 s27, 0
	s_branch .LBB22_786
.LBB22_785:
	s_mov_b32 s27, -1
                                        ; implicit-def: $vgpr0
.LBB22_786:
	s_mov_b32 s30, 0
.LBB22_787:
	s_delay_alu instid0(SALU_CYCLE_1)
	s_and_b32 vcc_lo, exec_lo, s30
	s_cbranch_vccz .LBB22_803
; %bb.788:
	s_cmp_lt_i32 s28, 27
	s_cbranch_scc1 .LBB22_791
; %bb.789:
	s_cmp_gt_i32 s28, 27
	s_cbranch_scc0 .LBB22_792
; %bb.790:
	s_wait_loadcnt 0x0
	global_load_b32 v0, v[2:3], off
	s_mov_b32 s29, 0
	s_branch .LBB22_793
.LBB22_791:
	s_mov_b32 s29, -1
                                        ; implicit-def: $vgpr0
	s_branch .LBB22_796
.LBB22_792:
	s_mov_b32 s29, -1
                                        ; implicit-def: $vgpr0
.LBB22_793:
	s_delay_alu instid0(SALU_CYCLE_1)
	s_and_not1_b32 vcc_lo, exec_lo, s29
	s_cbranch_vccnz .LBB22_795
; %bb.794:
	s_wait_loadcnt 0x0
	global_load_u16 v0, v[2:3], off
.LBB22_795:
	s_mov_b32 s29, 0
.LBB22_796:
	s_delay_alu instid0(SALU_CYCLE_1)
	s_and_not1_b32 vcc_lo, exec_lo, s29
	s_cbranch_vccnz .LBB22_802
; %bb.797:
	s_wait_loadcnt 0x0
	global_load_u8 v1, v[2:3], off
	s_mov_b32 s30, 0
	s_mov_b32 s29, exec_lo
	s_wait_loadcnt 0x0
	v_cmpx_lt_i16_e32 0x7f, v1
	s_xor_b32 s29, exec_lo, s29
	s_cbranch_execz .LBB22_814
; %bb.798:
	v_cmp_ne_u16_e32 vcc_lo, 0x80, v1
	s_and_b32 s30, vcc_lo, exec_lo
	s_and_not1_saveexec_b32 s29, s29
	s_cbranch_execnz .LBB22_815
.LBB22_799:
	s_or_b32 exec_lo, exec_lo, s29
	v_mov_b32_e32 v0, 0
	s_and_saveexec_b32 s29, s30
	s_cbranch_execz .LBB22_801
.LBB22_800:
	v_and_b32_e32 v0, 0xffff, v1
	s_delay_alu instid0(VALU_DEP_1) | instskip(SKIP_1) | instid1(VALU_DEP_2)
	v_and_b32_e32 v4, 7, v0
	v_bfe_u32 v7, v0, 3, 4
	v_clz_i32_u32_e32 v5, v4
	s_delay_alu instid0(VALU_DEP_2) | instskip(NEXT) | instid1(VALU_DEP_2)
	v_cmp_eq_u32_e32 vcc_lo, 0, v7
	v_min_u32_e32 v5, 32, v5
	s_delay_alu instid0(VALU_DEP_1) | instskip(NEXT) | instid1(VALU_DEP_1)
	v_subrev_nc_u32_e32 v6, 28, v5
	v_dual_lshlrev_b32 v0, v6, v0 :: v_dual_sub_nc_u32 v5, 29, v5
	s_delay_alu instid0(VALU_DEP_1) | instskip(NEXT) | instid1(VALU_DEP_1)
	v_dual_lshlrev_b32 v1, 24, v1 :: v_dual_bitop2_b32 v0, 7, v0 bitop3:0x40
	v_dual_cndmask_b32 v0, v4, v0 :: v_dual_cndmask_b32 v5, v7, v5
	s_delay_alu instid0(VALU_DEP_2) | instskip(NEXT) | instid1(VALU_DEP_2)
	v_and_b32_e32 v1, 0x80000000, v1
	v_lshlrev_b32_e32 v0, 20, v0
	s_delay_alu instid0(VALU_DEP_3) | instskip(NEXT) | instid1(VALU_DEP_1)
	v_lshl_add_u32 v4, v5, 23, 0x3b800000
	v_or3_b32 v0, v1, v4, v0
	s_delay_alu instid0(VALU_DEP_1)
	v_cvt_i32_f32_e32 v0, v0
.LBB22_801:
	s_or_b32 exec_lo, exec_lo, s29
.LBB22_802:
	s_mov_b32 s29, -1
.LBB22_803:
	s_mov_b32 s30, 0
.LBB22_804:
	s_delay_alu instid0(SALU_CYCLE_1)
	s_and_b32 vcc_lo, exec_lo, s30
	s_cbranch_vccz .LBB22_837
; %bb.805:
	s_cmp_gt_i32 s28, 22
	s_cbranch_scc0 .LBB22_813
; %bb.806:
	s_cmp_lt_i32 s28, 24
	s_cbranch_scc1 .LBB22_816
; %bb.807:
	s_cmp_gt_i32 s28, 24
	s_cbranch_scc0 .LBB22_817
; %bb.808:
	s_wait_loadcnt 0x0
	global_load_u8 v1, v[2:3], off
	s_mov_b32 s30, 0
	s_mov_b32 s29, exec_lo
	s_wait_loadcnt 0x0
	v_cmpx_lt_i16_e32 0x7f, v1
	s_xor_b32 s29, exec_lo, s29
	s_cbranch_execz .LBB22_829
; %bb.809:
	v_cmp_ne_u16_e32 vcc_lo, 0x80, v1
	s_and_b32 s30, vcc_lo, exec_lo
	s_and_not1_saveexec_b32 s29, s29
	s_cbranch_execnz .LBB22_830
.LBB22_810:
	s_or_b32 exec_lo, exec_lo, s29
	v_mov_b32_e32 v0, 0
	s_and_saveexec_b32 s29, s30
	s_cbranch_execz .LBB22_812
.LBB22_811:
	v_and_b32_e32 v0, 0xffff, v1
	s_delay_alu instid0(VALU_DEP_1) | instskip(SKIP_1) | instid1(VALU_DEP_2)
	v_and_b32_e32 v4, 3, v0
	v_bfe_u32 v7, v0, 2, 5
	v_clz_i32_u32_e32 v5, v4
	s_delay_alu instid0(VALU_DEP_2) | instskip(NEXT) | instid1(VALU_DEP_2)
	v_cmp_eq_u32_e32 vcc_lo, 0, v7
	v_min_u32_e32 v5, 32, v5
	s_delay_alu instid0(VALU_DEP_1) | instskip(NEXT) | instid1(VALU_DEP_1)
	v_subrev_nc_u32_e32 v6, 29, v5
	v_dual_lshlrev_b32 v0, v6, v0 :: v_dual_sub_nc_u32 v5, 30, v5
	s_delay_alu instid0(VALU_DEP_1) | instskip(NEXT) | instid1(VALU_DEP_1)
	v_dual_lshlrev_b32 v1, 24, v1 :: v_dual_bitop2_b32 v0, 3, v0 bitop3:0x40
	v_dual_cndmask_b32 v0, v4, v0 :: v_dual_cndmask_b32 v5, v7, v5
	s_delay_alu instid0(VALU_DEP_2) | instskip(NEXT) | instid1(VALU_DEP_2)
	v_and_b32_e32 v1, 0x80000000, v1
	v_lshlrev_b32_e32 v0, 21, v0
	s_delay_alu instid0(VALU_DEP_3) | instskip(NEXT) | instid1(VALU_DEP_1)
	v_lshl_add_u32 v4, v5, 23, 0x37800000
	v_or3_b32 v0, v1, v4, v0
	s_delay_alu instid0(VALU_DEP_1)
	v_cvt_i32_f32_e32 v0, v0
.LBB22_812:
	s_or_b32 exec_lo, exec_lo, s29
	s_mov_b32 s29, 0
	s_branch .LBB22_818
.LBB22_813:
	s_mov_b32 s30, -1
                                        ; implicit-def: $vgpr0
	s_branch .LBB22_824
.LBB22_814:
	s_and_not1_saveexec_b32 s29, s29
	s_cbranch_execz .LBB22_799
.LBB22_815:
	v_cmp_ne_u16_e32 vcc_lo, 0, v1
	s_and_not1_b32 s30, s30, exec_lo
	s_and_b32 s31, vcc_lo, exec_lo
	s_delay_alu instid0(SALU_CYCLE_1)
	s_or_b32 s30, s30, s31
	s_or_b32 exec_lo, exec_lo, s29
	v_mov_b32_e32 v0, 0
	s_and_saveexec_b32 s29, s30
	s_cbranch_execnz .LBB22_800
	s_branch .LBB22_801
.LBB22_816:
	s_mov_b32 s29, -1
                                        ; implicit-def: $vgpr0
	s_branch .LBB22_821
.LBB22_817:
	s_mov_b32 s29, -1
                                        ; implicit-def: $vgpr0
.LBB22_818:
	s_delay_alu instid0(SALU_CYCLE_1)
	s_and_b32 vcc_lo, exec_lo, s29
	s_cbranch_vccz .LBB22_820
; %bb.819:
	s_wait_loadcnt 0x0
	global_load_u8 v0, v[2:3], off
	s_wait_loadcnt 0x0
	v_lshlrev_b32_e32 v0, 24, v0
	s_delay_alu instid0(VALU_DEP_1) | instskip(NEXT) | instid1(VALU_DEP_1)
	v_and_b32_e32 v1, 0x7f000000, v0
	v_clz_i32_u32_e32 v4, v1
	v_cmp_ne_u32_e32 vcc_lo, 0, v1
	v_add_nc_u32_e32 v6, 0x1000000, v1
	s_delay_alu instid0(VALU_DEP_3) | instskip(NEXT) | instid1(VALU_DEP_1)
	v_min_u32_e32 v4, 32, v4
	v_sub_nc_u32_e64 v4, v4, 4 clamp
	s_delay_alu instid0(VALU_DEP_1) | instskip(NEXT) | instid1(VALU_DEP_1)
	v_dual_lshlrev_b32 v5, v4, v1 :: v_dual_lshlrev_b32 v4, 23, v4
	v_lshrrev_b32_e32 v5, 4, v5
	s_delay_alu instid0(VALU_DEP_1) | instskip(NEXT) | instid1(VALU_DEP_1)
	v_dual_sub_nc_u32 v4, v5, v4 :: v_dual_ashrrev_i32 v5, 8, v6
	v_add_nc_u32_e32 v4, 0x3c000000, v4
	s_delay_alu instid0(VALU_DEP_1) | instskip(NEXT) | instid1(VALU_DEP_1)
	v_and_or_b32 v4, 0x7f800000, v5, v4
	v_cndmask_b32_e32 v1, 0, v4, vcc_lo
	s_delay_alu instid0(VALU_DEP_1) | instskip(NEXT) | instid1(VALU_DEP_1)
	v_and_or_b32 v0, 0x80000000, v0, v1
	v_cvt_i32_f32_e32 v0, v0
.LBB22_820:
	s_mov_b32 s29, 0
.LBB22_821:
	s_delay_alu instid0(SALU_CYCLE_1)
	s_and_not1_b32 vcc_lo, exec_lo, s29
	s_cbranch_vccnz .LBB22_823
; %bb.822:
	s_wait_loadcnt 0x0
	global_load_u8 v0, v[2:3], off
	s_wait_loadcnt 0x0
	v_lshlrev_b32_e32 v1, 25, v0
	v_lshlrev_b16 v0, 8, v0
	s_delay_alu instid0(VALU_DEP_1) | instskip(SKIP_1) | instid1(VALU_DEP_2)
	v_and_or_b32 v5, 0x7f00, v0, 0.5
	v_bfe_i32 v0, v0, 0, 16
	v_add_f32_e32 v5, -0.5, v5
	v_lshrrev_b32_e32 v4, 4, v1
	v_cmp_gt_u32_e32 vcc_lo, 0x8000000, v1
	s_delay_alu instid0(VALU_DEP_2) | instskip(NEXT) | instid1(VALU_DEP_1)
	v_or_b32_e32 v4, 0x70000000, v4
	v_mul_f32_e32 v4, 0x7800000, v4
	s_delay_alu instid0(VALU_DEP_1) | instskip(NEXT) | instid1(VALU_DEP_1)
	v_cndmask_b32_e32 v1, v4, v5, vcc_lo
	v_and_or_b32 v0, 0x80000000, v0, v1
	s_delay_alu instid0(VALU_DEP_1)
	v_cvt_i32_f32_e32 v0, v0
.LBB22_823:
	s_mov_b32 s30, 0
	s_mov_b32 s29, -1
.LBB22_824:
	s_and_not1_b32 vcc_lo, exec_lo, s30
	s_cbranch_vccnz .LBB22_837
; %bb.825:
	s_cmp_gt_i32 s28, 14
	s_cbranch_scc0 .LBB22_828
; %bb.826:
	s_cmp_eq_u32 s28, 15
	s_cbranch_scc0 .LBB22_831
; %bb.827:
	s_wait_loadcnt 0x0
	global_load_u16 v0, v[2:3], off
	s_mov_b32 s29, -1
	s_mov_b32 s27, 0
	s_wait_loadcnt 0x0
	v_lshlrev_b32_e32 v0, 16, v0
	s_delay_alu instid0(VALU_DEP_1)
	v_cvt_i32_f32_e32 v0, v0
	s_branch .LBB22_832
.LBB22_828:
	s_mov_b32 s30, -1
                                        ; implicit-def: $vgpr0
	s_branch .LBB22_833
.LBB22_829:
	s_and_not1_saveexec_b32 s29, s29
	s_cbranch_execz .LBB22_810
.LBB22_830:
	v_cmp_ne_u16_e32 vcc_lo, 0, v1
	s_and_not1_b32 s30, s30, exec_lo
	s_and_b32 s31, vcc_lo, exec_lo
	s_delay_alu instid0(SALU_CYCLE_1)
	s_or_b32 s30, s30, s31
	s_or_b32 exec_lo, exec_lo, s29
	v_mov_b32_e32 v0, 0
	s_and_saveexec_b32 s29, s30
	s_cbranch_execnz .LBB22_811
	s_branch .LBB22_812
.LBB22_831:
	s_mov_b32 s27, -1
                                        ; implicit-def: $vgpr0
.LBB22_832:
	s_mov_b32 s30, 0
.LBB22_833:
	s_delay_alu instid0(SALU_CYCLE_1)
	s_and_b32 vcc_lo, exec_lo, s30
	s_cbranch_vccz .LBB22_837
; %bb.834:
	s_cmp_eq_u32 s28, 11
	s_cbranch_scc0 .LBB22_836
; %bb.835:
	s_wait_loadcnt 0x0
	global_load_u8 v0, v[2:3], off
	s_mov_b32 s27, 0
	s_mov_b32 s29, -1
	s_wait_loadcnt 0x0
	v_cmp_ne_u16_e32 vcc_lo, 0, v0
	v_cndmask_b32_e64 v0, 0, 1, vcc_lo
	s_branch .LBB22_837
.LBB22_836:
	s_mov_b32 s27, -1
                                        ; implicit-def: $vgpr0
.LBB22_837:
	s_mov_b32 s28, 0
.LBB22_838:
	s_delay_alu instid0(SALU_CYCLE_1)
	s_and_b32 vcc_lo, exec_lo, s28
	s_cbranch_vccz .LBB22_887
; %bb.839:
	s_and_b32 s0, 0xffff, s0
	s_delay_alu instid0(SALU_CYCLE_1)
	s_cmp_lt_i32 s0, 5
	s_cbranch_scc1 .LBB22_844
; %bb.840:
	s_cmp_lt_i32 s0, 8
	s_cbranch_scc1 .LBB22_845
; %bb.841:
	;; [unrolled: 3-line block ×3, first 2 shown]
	s_cmp_gt_i32 s0, 9
	s_cbranch_scc0 .LBB22_847
; %bb.843:
	s_wait_loadcnt 0x0
	global_load_b64 v[0:1], v[2:3], off
	s_mov_b32 s28, 0
	s_wait_loadcnt 0x0
	v_cvt_i32_f64_e32 v0, v[0:1]
	s_branch .LBB22_848
.LBB22_844:
	s_mov_b32 s28, -1
                                        ; implicit-def: $vgpr0
	s_branch .LBB22_866
.LBB22_845:
	s_mov_b32 s28, -1
                                        ; implicit-def: $vgpr0
	s_branch .LBB22_854
.LBB22_846:
	s_mov_b32 s28, -1
                                        ; implicit-def: $vgpr0
	s_branch .LBB22_851
.LBB22_847:
	s_mov_b32 s28, -1
                                        ; implicit-def: $vgpr0
.LBB22_848:
	s_delay_alu instid0(SALU_CYCLE_1)
	s_and_not1_b32 vcc_lo, exec_lo, s28
	s_cbranch_vccnz .LBB22_850
; %bb.849:
	s_wait_loadcnt 0x0
	global_load_b32 v0, v[2:3], off
	s_wait_loadcnt 0x0
	v_cvt_i32_f32_e32 v0, v0
.LBB22_850:
	s_mov_b32 s28, 0
.LBB22_851:
	s_delay_alu instid0(SALU_CYCLE_1)
	s_and_not1_b32 vcc_lo, exec_lo, s28
	s_cbranch_vccnz .LBB22_853
; %bb.852:
	s_wait_loadcnt 0x0
	global_load_b32 v0, v[2:3], off
	s_wait_loadcnt 0x0
	v_cvt_i16_f16_e32 v0, v0
.LBB22_853:
	s_mov_b32 s28, 0
.LBB22_854:
	s_delay_alu instid0(SALU_CYCLE_1)
	s_and_not1_b32 vcc_lo, exec_lo, s28
	s_cbranch_vccnz .LBB22_865
; %bb.855:
	s_cmp_lt_i32 s0, 6
	s_cbranch_scc1 .LBB22_858
; %bb.856:
	s_cmp_gt_i32 s0, 6
	s_cbranch_scc0 .LBB22_859
; %bb.857:
	s_wait_loadcnt 0x0
	global_load_b64 v[0:1], v[2:3], off
	s_mov_b32 s28, 0
	s_wait_loadcnt 0x0
	v_cvt_i32_f64_e32 v0, v[0:1]
	s_branch .LBB22_860
.LBB22_858:
	s_mov_b32 s28, -1
                                        ; implicit-def: $vgpr0
	s_branch .LBB22_863
.LBB22_859:
	s_mov_b32 s28, -1
                                        ; implicit-def: $vgpr0
.LBB22_860:
	s_delay_alu instid0(SALU_CYCLE_1)
	s_and_not1_b32 vcc_lo, exec_lo, s28
	s_cbranch_vccnz .LBB22_862
; %bb.861:
	s_wait_loadcnt 0x0
	global_load_b32 v0, v[2:3], off
	s_wait_loadcnt 0x0
	v_cvt_i32_f32_e32 v0, v0
.LBB22_862:
	s_mov_b32 s28, 0
.LBB22_863:
	s_delay_alu instid0(SALU_CYCLE_1)
	s_and_not1_b32 vcc_lo, exec_lo, s28
	s_cbranch_vccnz .LBB22_865
; %bb.864:
	s_wait_loadcnt 0x0
	global_load_u16 v0, v[2:3], off
	s_wait_loadcnt 0x0
	v_cvt_i16_f16_e32 v0, v0
.LBB22_865:
	s_mov_b32 s28, 0
.LBB22_866:
	s_delay_alu instid0(SALU_CYCLE_1)
	s_and_not1_b32 vcc_lo, exec_lo, s28
	s_cbranch_vccnz .LBB22_886
; %bb.867:
	s_cmp_lt_i32 s0, 2
	s_cbranch_scc1 .LBB22_871
; %bb.868:
	s_cmp_lt_i32 s0, 3
	s_cbranch_scc1 .LBB22_872
; %bb.869:
	s_cmp_gt_i32 s0, 3
	s_cbranch_scc0 .LBB22_873
; %bb.870:
	s_wait_loadcnt 0x0
	global_load_b64 v[0:1], v[2:3], off
	s_mov_b32 s28, 0
	s_branch .LBB22_874
.LBB22_871:
	s_mov_b32 s28, -1
                                        ; implicit-def: $vgpr0
	s_branch .LBB22_880
.LBB22_872:
	s_mov_b32 s28, -1
                                        ; implicit-def: $vgpr0
	s_branch .LBB22_877
.LBB22_873:
	s_mov_b32 s28, -1
                                        ; implicit-def: $vgpr0
.LBB22_874:
	s_delay_alu instid0(SALU_CYCLE_1)
	s_and_not1_b32 vcc_lo, exec_lo, s28
	s_cbranch_vccnz .LBB22_876
; %bb.875:
	s_wait_loadcnt 0x0
	global_load_b32 v0, v[2:3], off
.LBB22_876:
	s_mov_b32 s28, 0
.LBB22_877:
	s_delay_alu instid0(SALU_CYCLE_1)
	s_and_not1_b32 vcc_lo, exec_lo, s28
	s_cbranch_vccnz .LBB22_879
; %bb.878:
	s_wait_loadcnt 0x0
	global_load_u16 v0, v[2:3], off
.LBB22_879:
	s_mov_b32 s28, 0
.LBB22_880:
	s_delay_alu instid0(SALU_CYCLE_1)
	s_and_not1_b32 vcc_lo, exec_lo, s28
	s_cbranch_vccnz .LBB22_886
; %bb.881:
	s_cmp_gt_i32 s0, 0
	s_mov_b32 s0, 0
	s_cbranch_scc0 .LBB22_883
; %bb.882:
	s_wait_loadcnt 0x0
	global_load_u8 v0, v[2:3], off
	s_branch .LBB22_884
.LBB22_883:
	s_mov_b32 s0, -1
                                        ; implicit-def: $vgpr0
.LBB22_884:
	s_delay_alu instid0(SALU_CYCLE_1)
	s_and_not1_b32 vcc_lo, exec_lo, s0
	s_cbranch_vccnz .LBB22_886
; %bb.885:
	s_wait_loadcnt 0x0
	global_load_u8 v0, v[2:3], off
.LBB22_886:
	s_mov_b32 s29, -1
.LBB22_887:
	s_delay_alu instid0(SALU_CYCLE_1)
	s_and_not1_b32 vcc_lo, exec_lo, s29
	s_cbranch_vccnz .LBB22_895
; %bb.888:
	s_wait_xcnt 0x0
	v_mul_lo_u32 v2, v18, s10
	s_and_b32 s0, s1, 0xff
	s_delay_alu instid0(SALU_CYCLE_1) | instskip(NEXT) | instid1(VALU_DEP_1)
	s_cmp_lt_i32 s0, 11
	v_ashrrev_i32_e32 v3, 31, v2
	s_delay_alu instid0(VALU_DEP_1)
	v_add_nc_u64_e32 v[2:3], s[2:3], v[2:3]
	s_cbranch_scc1 .LBB22_896
; %bb.889:
	s_and_b32 s29, 0xffff, s0
	s_delay_alu instid0(SALU_CYCLE_1)
	s_cmp_gt_i32 s29, 25
	s_cbranch_scc0 .LBB22_897
; %bb.890:
	s_cmp_gt_i32 s29, 28
	s_cbranch_scc0 .LBB22_898
; %bb.891:
	;; [unrolled: 3-line block ×4, first 2 shown]
	s_cmp_eq_u32 s29, 46
	s_mov_b32 s31, 0
	s_cbranch_scc0 .LBB22_903
; %bb.894:
	s_wait_loadcnt 0x0
	global_load_b32 v1, v[2:3], off
	s_mov_b32 s30, -1
	s_mov_b32 s28, 0
	s_wait_loadcnt 0x0
	v_lshlrev_b32_e32 v1, 16, v1
	s_delay_alu instid0(VALU_DEP_1)
	v_cvt_i32_f32_e32 v4, v1
	s_branch .LBB22_905
.LBB22_895:
	s_mov_b32 s30, 0
	s_mov_b32 s0, s23
	;; [unrolled: 1-line block ×3, first 2 shown]
	s_branch .LBB22_1140
.LBB22_896:
	s_mov_b32 s29, -1
	s_mov_b32 s30, 0
	s_mov_b32 s28, s24
                                        ; implicit-def: $vgpr4
	s_branch .LBB22_966
.LBB22_897:
	s_mov_b32 s31, -1
	s_mov_b32 s30, 0
	s_mov_b32 s28, s24
                                        ; implicit-def: $vgpr4
	s_branch .LBB22_932
.LBB22_898:
	s_mov_b32 s31, -1
	s_mov_b32 s30, 0
	s_mov_b32 s28, s24
                                        ; implicit-def: $vgpr4
	s_branch .LBB22_915
.LBB22_899:
	s_mov_b32 s31, -1
	s_mov_b32 s30, 0
	s_mov_b32 s28, s24
                                        ; implicit-def: $vgpr4
	s_branch .LBB22_910
.LBB22_900:
	s_mov_b32 s31, -1
	s_mov_b32 s30, 0
	s_mov_b32 s28, s24
	s_branch .LBB22_904
.LBB22_901:
	s_and_not1_saveexec_b32 s30, s30
	s_cbranch_execz .LBB22_680
.LBB22_902:
	v_add_f32_e32 v2, 0x42800000, v3
	s_and_not1_b32 s29, s29, exec_lo
	s_delay_alu instid0(VALU_DEP_1) | instskip(NEXT) | instid1(VALU_DEP_1)
	v_and_b32_e32 v2, 0xff, v2
	v_cmp_ne_u32_e32 vcc_lo, 0, v2
	s_and_b32 s31, vcc_lo, exec_lo
	s_delay_alu instid0(SALU_CYCLE_1)
	s_or_b32 s29, s29, s31
	s_or_b32 exec_lo, exec_lo, s30
	v_mov_b32_e32 v4, 0
	s_and_saveexec_b32 s30, s29
	s_cbranch_execnz .LBB22_681
	s_branch .LBB22_682
.LBB22_903:
	s_mov_b32 s28, -1
	s_mov_b32 s30, 0
.LBB22_904:
                                        ; implicit-def: $vgpr4
.LBB22_905:
	s_and_b32 vcc_lo, exec_lo, s31
	s_cbranch_vccz .LBB22_909
; %bb.906:
	s_cmp_eq_u32 s29, 44
	s_cbranch_scc0 .LBB22_908
; %bb.907:
	s_wait_loadcnt 0x0
	global_load_u8 v1, v[2:3], off
	s_mov_b32 s28, 0
	s_mov_b32 s30, -1
	s_wait_loadcnt 0x0
	v_lshlrev_b32_e32 v4, 23, v1
	v_cmp_ne_u32_e32 vcc_lo, 0, v1
	s_delay_alu instid0(VALU_DEP_2) | instskip(NEXT) | instid1(VALU_DEP_1)
	v_cvt_i32_f32_e32 v4, v4
	v_cndmask_b32_e32 v4, 0, v4, vcc_lo
	s_branch .LBB22_909
.LBB22_908:
	s_mov_b32 s28, -1
                                        ; implicit-def: $vgpr4
.LBB22_909:
	s_mov_b32 s31, 0
.LBB22_910:
	s_delay_alu instid0(SALU_CYCLE_1)
	s_and_b32 vcc_lo, exec_lo, s31
	s_cbranch_vccz .LBB22_914
; %bb.911:
	s_cmp_eq_u32 s29, 29
	s_cbranch_scc0 .LBB22_913
; %bb.912:
	global_load_b64 v[4:5], v[2:3], off
	s_mov_b32 s30, -1
	s_mov_b32 s28, 0
	s_branch .LBB22_914
.LBB22_913:
	s_mov_b32 s28, -1
                                        ; implicit-def: $vgpr4
.LBB22_914:
	s_mov_b32 s31, 0
.LBB22_915:
	s_delay_alu instid0(SALU_CYCLE_1)
	s_and_b32 vcc_lo, exec_lo, s31
	s_cbranch_vccz .LBB22_931
; %bb.916:
	s_cmp_lt_i32 s29, 27
	s_cbranch_scc1 .LBB22_919
; %bb.917:
	s_cmp_gt_i32 s29, 27
	s_cbranch_scc0 .LBB22_920
; %bb.918:
	s_wait_loadcnt 0x0
	global_load_b32 v4, v[2:3], off
	s_mov_b32 s30, 0
	s_branch .LBB22_921
.LBB22_919:
	s_mov_b32 s30, -1
                                        ; implicit-def: $vgpr4
	s_branch .LBB22_924
.LBB22_920:
	s_mov_b32 s30, -1
                                        ; implicit-def: $vgpr4
.LBB22_921:
	s_delay_alu instid0(SALU_CYCLE_1)
	s_and_not1_b32 vcc_lo, exec_lo, s30
	s_cbranch_vccnz .LBB22_923
; %bb.922:
	s_wait_loadcnt 0x0
	global_load_u16 v4, v[2:3], off
.LBB22_923:
	s_mov_b32 s30, 0
.LBB22_924:
	s_delay_alu instid0(SALU_CYCLE_1)
	s_and_not1_b32 vcc_lo, exec_lo, s30
	s_cbranch_vccnz .LBB22_930
; %bb.925:
	s_wait_loadcnt 0x0
	global_load_u8 v1, v[2:3], off
	s_mov_b32 s31, 0
	s_mov_b32 s30, exec_lo
	s_wait_loadcnt 0x0
	v_cmpx_lt_i16_e32 0x7f, v1
	s_xor_b32 s30, exec_lo, s30
	s_cbranch_execz .LBB22_942
; %bb.926:
	v_cmp_ne_u16_e32 vcc_lo, 0x80, v1
	s_and_b32 s31, vcc_lo, exec_lo
	s_and_not1_saveexec_b32 s30, s30
	s_cbranch_execnz .LBB22_943
.LBB22_927:
	s_or_b32 exec_lo, exec_lo, s30
	v_mov_b32_e32 v4, 0
	s_and_saveexec_b32 s30, s31
	s_cbranch_execz .LBB22_929
.LBB22_928:
	v_and_b32_e32 v4, 0xffff, v1
	s_delay_alu instid0(VALU_DEP_1) | instskip(SKIP_1) | instid1(VALU_DEP_2)
	v_and_b32_e32 v5, 7, v4
	v_bfe_u32 v8, v4, 3, 4
	v_clz_i32_u32_e32 v6, v5
	s_delay_alu instid0(VALU_DEP_2) | instskip(NEXT) | instid1(VALU_DEP_2)
	v_cmp_eq_u32_e32 vcc_lo, 0, v8
	v_min_u32_e32 v6, 32, v6
	s_delay_alu instid0(VALU_DEP_1) | instskip(NEXT) | instid1(VALU_DEP_1)
	v_subrev_nc_u32_e32 v7, 28, v6
	v_dual_lshlrev_b32 v4, v7, v4 :: v_dual_sub_nc_u32 v6, 29, v6
	s_delay_alu instid0(VALU_DEP_1) | instskip(NEXT) | instid1(VALU_DEP_1)
	v_dual_lshlrev_b32 v1, 24, v1 :: v_dual_bitop2_b32 v4, 7, v4 bitop3:0x40
	v_dual_cndmask_b32 v6, v8, v6, vcc_lo :: v_dual_cndmask_b32 v4, v5, v4, vcc_lo
	s_delay_alu instid0(VALU_DEP_2) | instskip(NEXT) | instid1(VALU_DEP_2)
	v_and_b32_e32 v1, 0x80000000, v1
	v_lshl_add_u32 v5, v6, 23, 0x3b800000
	s_delay_alu instid0(VALU_DEP_3) | instskip(NEXT) | instid1(VALU_DEP_1)
	v_lshlrev_b32_e32 v4, 20, v4
	v_or3_b32 v1, v1, v5, v4
	s_delay_alu instid0(VALU_DEP_1)
	v_cvt_i32_f32_e32 v4, v1
.LBB22_929:
	s_or_b32 exec_lo, exec_lo, s30
.LBB22_930:
	s_mov_b32 s30, -1
.LBB22_931:
	s_mov_b32 s31, 0
.LBB22_932:
	s_delay_alu instid0(SALU_CYCLE_1)
	s_and_b32 vcc_lo, exec_lo, s31
	s_cbranch_vccz .LBB22_965
; %bb.933:
	s_cmp_gt_i32 s29, 22
	s_cbranch_scc0 .LBB22_941
; %bb.934:
	s_cmp_lt_i32 s29, 24
	s_cbranch_scc1 .LBB22_944
; %bb.935:
	s_cmp_gt_i32 s29, 24
	s_cbranch_scc0 .LBB22_945
; %bb.936:
	s_wait_loadcnt 0x0
	global_load_u8 v1, v[2:3], off
	s_mov_b32 s31, 0
	s_mov_b32 s30, exec_lo
	s_wait_loadcnt 0x0
	v_cmpx_lt_i16_e32 0x7f, v1
	s_xor_b32 s30, exec_lo, s30
	s_cbranch_execz .LBB22_957
; %bb.937:
	v_cmp_ne_u16_e32 vcc_lo, 0x80, v1
	s_and_b32 s31, vcc_lo, exec_lo
	s_and_not1_saveexec_b32 s30, s30
	s_cbranch_execnz .LBB22_958
.LBB22_938:
	s_or_b32 exec_lo, exec_lo, s30
	v_mov_b32_e32 v4, 0
	s_and_saveexec_b32 s30, s31
	s_cbranch_execz .LBB22_940
.LBB22_939:
	v_and_b32_e32 v4, 0xffff, v1
	s_delay_alu instid0(VALU_DEP_1) | instskip(SKIP_1) | instid1(VALU_DEP_2)
	v_and_b32_e32 v5, 3, v4
	v_bfe_u32 v8, v4, 2, 5
	v_clz_i32_u32_e32 v6, v5
	s_delay_alu instid0(VALU_DEP_2) | instskip(NEXT) | instid1(VALU_DEP_2)
	v_cmp_eq_u32_e32 vcc_lo, 0, v8
	v_min_u32_e32 v6, 32, v6
	s_delay_alu instid0(VALU_DEP_1) | instskip(NEXT) | instid1(VALU_DEP_1)
	v_subrev_nc_u32_e32 v7, 29, v6
	v_dual_lshlrev_b32 v4, v7, v4 :: v_dual_sub_nc_u32 v6, 30, v6
	s_delay_alu instid0(VALU_DEP_1) | instskip(NEXT) | instid1(VALU_DEP_1)
	v_dual_lshlrev_b32 v1, 24, v1 :: v_dual_bitop2_b32 v4, 3, v4 bitop3:0x40
	v_dual_cndmask_b32 v6, v8, v6, vcc_lo :: v_dual_cndmask_b32 v4, v5, v4, vcc_lo
	s_delay_alu instid0(VALU_DEP_2) | instskip(NEXT) | instid1(VALU_DEP_2)
	v_and_b32_e32 v1, 0x80000000, v1
	v_lshl_add_u32 v5, v6, 23, 0x37800000
	s_delay_alu instid0(VALU_DEP_3) | instskip(NEXT) | instid1(VALU_DEP_1)
	v_lshlrev_b32_e32 v4, 21, v4
	v_or3_b32 v1, v1, v5, v4
	s_delay_alu instid0(VALU_DEP_1)
	v_cvt_i32_f32_e32 v4, v1
.LBB22_940:
	s_or_b32 exec_lo, exec_lo, s30
	s_mov_b32 s30, 0
	s_branch .LBB22_946
.LBB22_941:
	s_mov_b32 s31, -1
                                        ; implicit-def: $vgpr4
	s_branch .LBB22_952
.LBB22_942:
	s_and_not1_saveexec_b32 s30, s30
	s_cbranch_execz .LBB22_927
.LBB22_943:
	v_cmp_ne_u16_e32 vcc_lo, 0, v1
	s_and_not1_b32 s31, s31, exec_lo
	s_and_b32 s33, vcc_lo, exec_lo
	s_delay_alu instid0(SALU_CYCLE_1)
	s_or_b32 s31, s31, s33
	s_or_b32 exec_lo, exec_lo, s30
	v_mov_b32_e32 v4, 0
	s_and_saveexec_b32 s30, s31
	s_cbranch_execnz .LBB22_928
	s_branch .LBB22_929
.LBB22_944:
	s_mov_b32 s30, -1
                                        ; implicit-def: $vgpr4
	s_branch .LBB22_949
.LBB22_945:
	s_mov_b32 s30, -1
                                        ; implicit-def: $vgpr4
.LBB22_946:
	s_delay_alu instid0(SALU_CYCLE_1)
	s_and_b32 vcc_lo, exec_lo, s30
	s_cbranch_vccz .LBB22_948
; %bb.947:
	s_wait_loadcnt 0x0
	global_load_u8 v1, v[2:3], off
	s_wait_loadcnt 0x0
	v_lshlrev_b32_e32 v1, 24, v1
	s_delay_alu instid0(VALU_DEP_1) | instskip(NEXT) | instid1(VALU_DEP_1)
	v_and_b32_e32 v4, 0x7f000000, v1
	v_clz_i32_u32_e32 v5, v4
	v_cmp_ne_u32_e32 vcc_lo, 0, v4
	v_add_nc_u32_e32 v7, 0x1000000, v4
	s_delay_alu instid0(VALU_DEP_3) | instskip(NEXT) | instid1(VALU_DEP_1)
	v_min_u32_e32 v5, 32, v5
	v_sub_nc_u32_e64 v5, v5, 4 clamp
	s_delay_alu instid0(VALU_DEP_1) | instskip(NEXT) | instid1(VALU_DEP_1)
	v_dual_lshlrev_b32 v6, v5, v4 :: v_dual_lshlrev_b32 v5, 23, v5
	v_lshrrev_b32_e32 v6, 4, v6
	s_delay_alu instid0(VALU_DEP_1) | instskip(NEXT) | instid1(VALU_DEP_1)
	v_dual_sub_nc_u32 v5, v6, v5 :: v_dual_ashrrev_i32 v6, 8, v7
	v_add_nc_u32_e32 v5, 0x3c000000, v5
	s_delay_alu instid0(VALU_DEP_1) | instskip(NEXT) | instid1(VALU_DEP_1)
	v_and_or_b32 v5, 0x7f800000, v6, v5
	v_cndmask_b32_e32 v4, 0, v5, vcc_lo
	s_delay_alu instid0(VALU_DEP_1) | instskip(NEXT) | instid1(VALU_DEP_1)
	v_and_or_b32 v1, 0x80000000, v1, v4
	v_cvt_i32_f32_e32 v4, v1
.LBB22_948:
	s_mov_b32 s30, 0
.LBB22_949:
	s_delay_alu instid0(SALU_CYCLE_1)
	s_and_not1_b32 vcc_lo, exec_lo, s30
	s_cbranch_vccnz .LBB22_951
; %bb.950:
	s_wait_loadcnt 0x0
	global_load_u8 v1, v[2:3], off
	s_wait_loadcnt 0x0
	v_lshlrev_b32_e32 v4, 25, v1
	v_lshlrev_b16 v1, 8, v1
	s_delay_alu instid0(VALU_DEP_1) | instskip(SKIP_1) | instid1(VALU_DEP_2)
	v_and_or_b32 v6, 0x7f00, v1, 0.5
	v_bfe_i32 v1, v1, 0, 16
	v_dual_add_f32 v6, -0.5, v6 :: v_dual_lshrrev_b32 v5, 4, v4
	v_cmp_gt_u32_e32 vcc_lo, 0x8000000, v4
	s_delay_alu instid0(VALU_DEP_2) | instskip(NEXT) | instid1(VALU_DEP_1)
	v_or_b32_e32 v5, 0x70000000, v5
	v_mul_f32_e32 v5, 0x7800000, v5
	s_delay_alu instid0(VALU_DEP_1) | instskip(NEXT) | instid1(VALU_DEP_1)
	v_cndmask_b32_e32 v4, v5, v6, vcc_lo
	v_and_or_b32 v1, 0x80000000, v1, v4
	s_delay_alu instid0(VALU_DEP_1)
	v_cvt_i32_f32_e32 v4, v1
.LBB22_951:
	s_mov_b32 s31, 0
	s_mov_b32 s30, -1
.LBB22_952:
	s_and_not1_b32 vcc_lo, exec_lo, s31
	s_cbranch_vccnz .LBB22_965
; %bb.953:
	s_cmp_gt_i32 s29, 14
	s_cbranch_scc0 .LBB22_956
; %bb.954:
	s_cmp_eq_u32 s29, 15
	s_cbranch_scc0 .LBB22_959
; %bb.955:
	s_wait_loadcnt 0x0
	global_load_u16 v1, v[2:3], off
	s_mov_b32 s30, -1
	s_mov_b32 s28, 0
	s_wait_loadcnt 0x0
	v_lshlrev_b32_e32 v1, 16, v1
	s_delay_alu instid0(VALU_DEP_1)
	v_cvt_i32_f32_e32 v4, v1
	s_branch .LBB22_960
.LBB22_956:
	s_mov_b32 s31, -1
                                        ; implicit-def: $vgpr4
	s_branch .LBB22_961
.LBB22_957:
	s_and_not1_saveexec_b32 s30, s30
	s_cbranch_execz .LBB22_938
.LBB22_958:
	v_cmp_ne_u16_e32 vcc_lo, 0, v1
	s_and_not1_b32 s31, s31, exec_lo
	s_and_b32 s33, vcc_lo, exec_lo
	s_delay_alu instid0(SALU_CYCLE_1)
	s_or_b32 s31, s31, s33
	s_or_b32 exec_lo, exec_lo, s30
	v_mov_b32_e32 v4, 0
	s_and_saveexec_b32 s30, s31
	s_cbranch_execnz .LBB22_939
	s_branch .LBB22_940
.LBB22_959:
	s_mov_b32 s28, -1
                                        ; implicit-def: $vgpr4
.LBB22_960:
	s_mov_b32 s31, 0
.LBB22_961:
	s_delay_alu instid0(SALU_CYCLE_1)
	s_and_b32 vcc_lo, exec_lo, s31
	s_cbranch_vccz .LBB22_965
; %bb.962:
	s_cmp_eq_u32 s29, 11
	s_cbranch_scc0 .LBB22_964
; %bb.963:
	s_wait_loadcnt 0x0
	global_load_u8 v1, v[2:3], off
	s_mov_b32 s28, 0
	s_mov_b32 s30, -1
	s_wait_loadcnt 0x0
	v_cmp_ne_u16_e32 vcc_lo, 0, v1
	v_cndmask_b32_e64 v4, 0, 1, vcc_lo
	s_branch .LBB22_965
.LBB22_964:
	s_mov_b32 s28, -1
                                        ; implicit-def: $vgpr4
.LBB22_965:
	s_mov_b32 s29, 0
.LBB22_966:
	s_delay_alu instid0(SALU_CYCLE_1)
	s_and_b32 vcc_lo, exec_lo, s29
	s_cbranch_vccz .LBB22_1015
; %bb.967:
	s_and_b32 s0, 0xffff, s0
	s_delay_alu instid0(SALU_CYCLE_1)
	s_cmp_lt_i32 s0, 5
	s_cbranch_scc1 .LBB22_972
; %bb.968:
	s_cmp_lt_i32 s0, 8
	s_cbranch_scc1 .LBB22_973
; %bb.969:
	;; [unrolled: 3-line block ×3, first 2 shown]
	s_cmp_gt_i32 s0, 9
	s_cbranch_scc0 .LBB22_975
; %bb.971:
	s_wait_loadcnt 0x0
	global_load_b64 v[4:5], v[2:3], off
	s_mov_b32 s29, 0
	s_wait_loadcnt 0x0
	v_cvt_i32_f64_e32 v4, v[4:5]
	s_branch .LBB22_976
.LBB22_972:
	s_mov_b32 s29, -1
                                        ; implicit-def: $vgpr4
	s_branch .LBB22_994
.LBB22_973:
	s_mov_b32 s29, -1
                                        ; implicit-def: $vgpr4
	s_branch .LBB22_982
.LBB22_974:
	s_mov_b32 s29, -1
                                        ; implicit-def: $vgpr4
	s_branch .LBB22_979
.LBB22_975:
	s_mov_b32 s29, -1
                                        ; implicit-def: $vgpr4
.LBB22_976:
	s_delay_alu instid0(SALU_CYCLE_1)
	s_and_not1_b32 vcc_lo, exec_lo, s29
	s_cbranch_vccnz .LBB22_978
; %bb.977:
	s_wait_loadcnt 0x0
	global_load_b32 v1, v[2:3], off
	s_wait_loadcnt 0x0
	v_cvt_i32_f32_e32 v4, v1
.LBB22_978:
	s_mov_b32 s29, 0
.LBB22_979:
	s_delay_alu instid0(SALU_CYCLE_1)
	s_and_not1_b32 vcc_lo, exec_lo, s29
	s_cbranch_vccnz .LBB22_981
; %bb.980:
	s_wait_loadcnt 0x0
	global_load_b32 v1, v[2:3], off
	s_wait_loadcnt 0x0
	v_cvt_i16_f16_e32 v4, v1
.LBB22_981:
	s_mov_b32 s29, 0
.LBB22_982:
	s_delay_alu instid0(SALU_CYCLE_1)
	s_and_not1_b32 vcc_lo, exec_lo, s29
	s_cbranch_vccnz .LBB22_993
; %bb.983:
	s_cmp_lt_i32 s0, 6
	s_cbranch_scc1 .LBB22_986
; %bb.984:
	s_cmp_gt_i32 s0, 6
	s_cbranch_scc0 .LBB22_987
; %bb.985:
	s_wait_loadcnt 0x0
	global_load_b64 v[4:5], v[2:3], off
	s_mov_b32 s29, 0
	s_wait_loadcnt 0x0
	v_cvt_i32_f64_e32 v4, v[4:5]
	s_branch .LBB22_988
.LBB22_986:
	s_mov_b32 s29, -1
                                        ; implicit-def: $vgpr4
	s_branch .LBB22_991
.LBB22_987:
	s_mov_b32 s29, -1
                                        ; implicit-def: $vgpr4
.LBB22_988:
	s_delay_alu instid0(SALU_CYCLE_1)
	s_and_not1_b32 vcc_lo, exec_lo, s29
	s_cbranch_vccnz .LBB22_990
; %bb.989:
	s_wait_loadcnt 0x0
	global_load_b32 v1, v[2:3], off
	s_wait_loadcnt 0x0
	v_cvt_i32_f32_e32 v4, v1
.LBB22_990:
	s_mov_b32 s29, 0
.LBB22_991:
	s_delay_alu instid0(SALU_CYCLE_1)
	s_and_not1_b32 vcc_lo, exec_lo, s29
	s_cbranch_vccnz .LBB22_993
; %bb.992:
	s_wait_loadcnt 0x0
	global_load_u16 v1, v[2:3], off
	s_wait_loadcnt 0x0
	v_cvt_i16_f16_e32 v4, v1
.LBB22_993:
	s_mov_b32 s29, 0
.LBB22_994:
	s_delay_alu instid0(SALU_CYCLE_1)
	s_and_not1_b32 vcc_lo, exec_lo, s29
	s_cbranch_vccnz .LBB22_1014
; %bb.995:
	s_cmp_lt_i32 s0, 2
	s_cbranch_scc1 .LBB22_999
; %bb.996:
	s_cmp_lt_i32 s0, 3
	s_cbranch_scc1 .LBB22_1000
; %bb.997:
	s_cmp_gt_i32 s0, 3
	s_cbranch_scc0 .LBB22_1001
; %bb.998:
	s_wait_loadcnt 0x0
	global_load_b64 v[4:5], v[2:3], off
	s_mov_b32 s29, 0
	s_branch .LBB22_1002
.LBB22_999:
	s_mov_b32 s29, -1
                                        ; implicit-def: $vgpr4
	s_branch .LBB22_1008
.LBB22_1000:
	s_mov_b32 s29, -1
                                        ; implicit-def: $vgpr4
	s_branch .LBB22_1005
.LBB22_1001:
	s_mov_b32 s29, -1
                                        ; implicit-def: $vgpr4
.LBB22_1002:
	s_delay_alu instid0(SALU_CYCLE_1)
	s_and_not1_b32 vcc_lo, exec_lo, s29
	s_cbranch_vccnz .LBB22_1004
; %bb.1003:
	s_wait_loadcnt 0x0
	global_load_b32 v4, v[2:3], off
.LBB22_1004:
	s_mov_b32 s29, 0
.LBB22_1005:
	s_delay_alu instid0(SALU_CYCLE_1)
	s_and_not1_b32 vcc_lo, exec_lo, s29
	s_cbranch_vccnz .LBB22_1007
; %bb.1006:
	s_wait_loadcnt 0x0
	global_load_u16 v4, v[2:3], off
.LBB22_1007:
	s_mov_b32 s29, 0
.LBB22_1008:
	s_delay_alu instid0(SALU_CYCLE_1)
	s_and_not1_b32 vcc_lo, exec_lo, s29
	s_cbranch_vccnz .LBB22_1014
; %bb.1009:
	s_cmp_gt_i32 s0, 0
	s_mov_b32 s0, 0
	s_cbranch_scc0 .LBB22_1011
; %bb.1010:
	s_wait_loadcnt 0x0
	global_load_u8 v4, v[2:3], off
	s_branch .LBB22_1012
.LBB22_1011:
	s_mov_b32 s0, -1
                                        ; implicit-def: $vgpr4
.LBB22_1012:
	s_delay_alu instid0(SALU_CYCLE_1)
	s_and_not1_b32 vcc_lo, exec_lo, s0
	s_cbranch_vccnz .LBB22_1014
; %bb.1013:
	s_wait_loadcnt 0x0
	global_load_u8 v4, v[2:3], off
.LBB22_1014:
	s_mov_b32 s30, -1
.LBB22_1015:
	s_delay_alu instid0(SALU_CYCLE_1)
	s_and_not1_b32 vcc_lo, exec_lo, s30
	s_cbranch_vccnz .LBB22_1023
; %bb.1016:
	s_wait_xcnt 0x0
	v_mul_lo_u32 v2, v18, s8
	s_wait_loadcnt 0x0
	s_delay_alu instid0(VALU_DEP_2) | instskip(SKIP_2) | instid1(VALU_DEP_1)
	v_and_b32_e32 v1, 0xff, v4
	v_and_b32_e32 v0, 0xff, v0
	s_and_b32 s30, s12, 0xff
	v_cmp_ne_u16_e32 vcc_lo, v0, v1
	s_delay_alu instid0(VALU_DEP_4) | instskip(SKIP_2) | instid1(VALU_DEP_1)
	v_ashrrev_i32_e32 v3, 31, v2
	s_xor_b32 s29, s16, vcc_lo
	s_cmp_lt_i32 s30, 11
	v_add_nc_u64_e32 v[0:1], s[4:5], v[2:3]
	s_cbranch_scc1 .LBB22_1024
; %bb.1017:
	s_and_b32 s31, 0xffff, s30
	s_delay_alu instid0(SALU_CYCLE_1)
	s_cmp_gt_i32 s31, 25
	s_cbranch_scc0 .LBB22_1025
; %bb.1018:
	s_cmp_gt_i32 s31, 28
	s_cbranch_scc0 .LBB22_1026
; %bb.1019:
	;; [unrolled: 3-line block ×4, first 2 shown]
	s_mov_b32 s34, 0
	s_mov_b32 s0, -1
	s_cmp_eq_u32 s31, 46
	s_mov_b32 s33, 0
	s_cbranch_scc0 .LBB22_1029
; %bb.1022:
	v_cndmask_b32_e64 v2, 0, 1.0, s29
	s_mov_b32 s33, -1
	s_mov_b32 s0, 0
	s_delay_alu instid0(VALU_DEP_1) | instskip(NEXT) | instid1(VALU_DEP_1)
	v_bfe_u32 v3, v2, 16, 1
	v_add3_u32 v2, v2, v3, 0x7fff
	s_delay_alu instid0(VALU_DEP_1)
	v_lshrrev_b32_e32 v2, 16, v2
	global_store_b32 v[0:1], v2, off
	s_branch .LBB22_1029
.LBB22_1023:
	s_mov_b32 s30, 0
	s_mov_b32 s0, s23
	s_branch .LBB22_1140
.LBB22_1024:
	s_mov_b32 s31, -1
	s_mov_b32 s33, 0
	s_mov_b32 s0, s23
	s_branch .LBB22_1098
.LBB22_1025:
	s_mov_b32 s33, 0
	s_mov_b32 s0, s23
	s_branch .LBB22_1056
.LBB22_1026:
	s_mov_b32 s33, 0
	s_mov_b32 s0, s23
	s_branch .LBB22_1039
.LBB22_1027:
	s_mov_b32 s33, 0
	s_mov_b32 s0, s23
	s_branch .LBB22_1035
.LBB22_1028:
	s_mov_b32 s33, 0
	s_mov_b32 s0, s23
.LBB22_1029:
	s_and_b32 vcc_lo, exec_lo, s34
	s_cbranch_vccz .LBB22_1034
; %bb.1030:
	s_cmp_eq_u32 s31, 44
	s_mov_b32 s0, -1
	s_cbranch_scc0 .LBB22_1034
; %bb.1031:
	v_cndmask_b32_e64 v4, 0, 1.0, s29
	s_mov_b32 s33, exec_lo
	s_wait_xcnt 0x0
	s_delay_alu instid0(VALU_DEP_1) | instskip(NEXT) | instid1(VALU_DEP_1)
	v_dual_mov_b32 v3, 0xff :: v_dual_lshrrev_b32 v2, 23, v4
	v_cmpx_ne_u32_e32 0xff, v2
; %bb.1032:
	v_and_b32_e32 v3, 0x400000, v4
	v_and_or_b32 v4, 0x3fffff, v4, v2
	s_delay_alu instid0(VALU_DEP_2) | instskip(NEXT) | instid1(VALU_DEP_2)
	v_cmp_ne_u32_e32 vcc_lo, 0, v3
	v_cmp_ne_u32_e64 s0, 0, v4
	s_and_b32 s0, vcc_lo, s0
	s_delay_alu instid0(SALU_CYCLE_1) | instskip(NEXT) | instid1(VALU_DEP_1)
	v_cndmask_b32_e64 v3, 0, 1, s0
	v_add_nc_u32_e32 v3, v2, v3
; %bb.1033:
	s_or_b32 exec_lo, exec_lo, s33
	s_mov_b32 s33, -1
	s_mov_b32 s0, 0
	global_store_b8 v[0:1], v3, off
.LBB22_1034:
	s_mov_b32 s34, 0
.LBB22_1035:
	s_delay_alu instid0(SALU_CYCLE_1)
	s_and_b32 vcc_lo, exec_lo, s34
	s_cbranch_vccz .LBB22_1038
; %bb.1036:
	s_cmp_eq_u32 s31, 29
	s_mov_b32 s0, -1
	s_cbranch_scc0 .LBB22_1038
; %bb.1037:
	s_mov_b32 s0, 0
	s_wait_xcnt 0x0
	v_cndmask_b32_e64 v2, 0, 1, s29
	v_mov_b32_e32 v3, s0
	s_mov_b32 s33, -1
	s_mov_b32 s34, 0
	global_store_b64 v[0:1], v[2:3], off
	s_branch .LBB22_1039
.LBB22_1038:
	s_mov_b32 s34, 0
.LBB22_1039:
	s_delay_alu instid0(SALU_CYCLE_1)
	s_and_b32 vcc_lo, exec_lo, s34
	s_cbranch_vccz .LBB22_1055
; %bb.1040:
	s_cmp_lt_i32 s31, 27
	s_mov_b32 s33, -1
	s_cbranch_scc1 .LBB22_1046
; %bb.1041:
	s_cmp_gt_i32 s31, 27
	s_cbranch_scc0 .LBB22_1043
; %bb.1042:
	s_wait_xcnt 0x0
	v_cndmask_b32_e64 v2, 0, 1, s29
	s_mov_b32 s33, 0
	global_store_b32 v[0:1], v2, off
.LBB22_1043:
	s_and_not1_b32 vcc_lo, exec_lo, s33
	s_cbranch_vccnz .LBB22_1045
; %bb.1044:
	s_wait_xcnt 0x0
	v_cndmask_b32_e64 v2, 0, 1, s29
	global_store_b16 v[0:1], v2, off
.LBB22_1045:
	s_mov_b32 s33, 0
.LBB22_1046:
	s_delay_alu instid0(SALU_CYCLE_1)
	s_and_not1_b32 vcc_lo, exec_lo, s33
	s_cbranch_vccnz .LBB22_1054
; %bb.1047:
	s_wait_xcnt 0x0
	v_cndmask_b32_e64 v3, 0, 1.0, s29
	v_mov_b32_e32 v4, 0x80
	s_mov_b32 s33, exec_lo
	s_delay_alu instid0(VALU_DEP_2)
	v_cmpx_gt_u32_e32 0x43800000, v3
	s_cbranch_execz .LBB22_1053
; %bb.1048:
	s_mov_b32 s34, 0
	s_mov_b32 s35, exec_lo
                                        ; implicit-def: $vgpr2
	v_cmpx_lt_u32_e32 0x3bffffff, v3
	s_xor_b32 s35, exec_lo, s35
	s_cbranch_execz .LBB22_1156
; %bb.1049:
	v_bfe_u32 v2, v3, 20, 1
	s_mov_b32 s34, exec_lo
	s_delay_alu instid0(VALU_DEP_1) | instskip(NEXT) | instid1(VALU_DEP_1)
	v_add3_u32 v2, v3, v2, 0x487ffff
                                        ; implicit-def: $vgpr3
	v_lshrrev_b32_e32 v2, 20, v2
	s_and_not1_saveexec_b32 s35, s35
	s_cbranch_execnz .LBB22_1157
.LBB22_1050:
	s_or_b32 exec_lo, exec_lo, s35
	v_mov_b32_e32 v4, 0
	s_and_saveexec_b32 s35, s34
.LBB22_1051:
	v_mov_b32_e32 v4, v2
.LBB22_1052:
	s_or_b32 exec_lo, exec_lo, s35
.LBB22_1053:
	s_delay_alu instid0(SALU_CYCLE_1)
	s_or_b32 exec_lo, exec_lo, s33
	global_store_b8 v[0:1], v4, off
.LBB22_1054:
	s_mov_b32 s33, -1
.LBB22_1055:
	s_mov_b32 s34, 0
.LBB22_1056:
	s_delay_alu instid0(SALU_CYCLE_1)
	s_and_b32 vcc_lo, exec_lo, s34
	s_cbranch_vccz .LBB22_1097
; %bb.1057:
	s_cmp_gt_i32 s31, 22
	s_mov_b32 s34, -1
	s_cbranch_scc0 .LBB22_1089
; %bb.1058:
	s_cmp_lt_i32 s31, 24
	s_mov_b32 s33, -1
	s_cbranch_scc1 .LBB22_1078
; %bb.1059:
	s_cmp_gt_i32 s31, 24
	s_cbranch_scc0 .LBB22_1067
; %bb.1060:
	s_wait_xcnt 0x0
	v_cndmask_b32_e64 v3, 0, 1.0, s29
	v_mov_b32_e32 v4, 0x80
	s_mov_b32 s33, exec_lo
	s_delay_alu instid0(VALU_DEP_2)
	v_cmpx_gt_u32_e32 0x47800000, v3
	s_cbranch_execz .LBB22_1066
; %bb.1061:
	s_mov_b32 s34, 0
	s_mov_b32 s35, exec_lo
                                        ; implicit-def: $vgpr2
	v_cmpx_lt_u32_e32 0x37ffffff, v3
	s_xor_b32 s35, exec_lo, s35
	s_cbranch_execz .LBB22_2155
; %bb.1062:
	v_bfe_u32 v2, v3, 21, 1
	s_mov_b32 s34, exec_lo
	s_delay_alu instid0(VALU_DEP_1) | instskip(NEXT) | instid1(VALU_DEP_1)
	v_add3_u32 v2, v3, v2, 0x88fffff
                                        ; implicit-def: $vgpr3
	v_lshrrev_b32_e32 v2, 21, v2
	s_and_not1_saveexec_b32 s35, s35
	s_cbranch_execnz .LBB22_2156
.LBB22_1063:
	s_or_b32 exec_lo, exec_lo, s35
	v_mov_b32_e32 v4, 0
	s_and_saveexec_b32 s35, s34
.LBB22_1064:
	v_mov_b32_e32 v4, v2
.LBB22_1065:
	s_or_b32 exec_lo, exec_lo, s35
.LBB22_1066:
	s_delay_alu instid0(SALU_CYCLE_1)
	s_or_b32 exec_lo, exec_lo, s33
	s_mov_b32 s33, 0
	global_store_b8 v[0:1], v4, off
.LBB22_1067:
	s_and_b32 vcc_lo, exec_lo, s33
	s_cbranch_vccz .LBB22_1077
; %bb.1068:
	s_wait_xcnt 0x0
	v_cndmask_b32_e64 v3, 0, 1.0, s29
	s_mov_b32 s33, exec_lo
                                        ; implicit-def: $vgpr2
	s_delay_alu instid0(VALU_DEP_1)
	v_cmpx_gt_u32_e32 0x43f00000, v3
	s_xor_b32 s33, exec_lo, s33
	s_cbranch_execz .LBB22_1074
; %bb.1069:
	s_mov_b32 s34, exec_lo
                                        ; implicit-def: $vgpr2
	v_cmpx_lt_u32_e32 0x3c7fffff, v3
	s_xor_b32 s34, exec_lo, s34
; %bb.1070:
	v_bfe_u32 v2, v3, 20, 1
	s_delay_alu instid0(VALU_DEP_1) | instskip(NEXT) | instid1(VALU_DEP_1)
	v_add3_u32 v2, v3, v2, 0x407ffff
	v_and_b32_e32 v3, 0xff00000, v2
	v_lshrrev_b32_e32 v2, 20, v2
	s_delay_alu instid0(VALU_DEP_2) | instskip(NEXT) | instid1(VALU_DEP_2)
	v_cmp_ne_u32_e32 vcc_lo, 0x7f00000, v3
                                        ; implicit-def: $vgpr3
	v_cndmask_b32_e32 v2, 0x7e, v2, vcc_lo
; %bb.1071:
	s_and_not1_saveexec_b32 s34, s34
; %bb.1072:
	v_add_f32_e32 v2, 0x46800000, v3
; %bb.1073:
	s_or_b32 exec_lo, exec_lo, s34
                                        ; implicit-def: $vgpr3
.LBB22_1074:
	s_and_not1_saveexec_b32 s33, s33
; %bb.1075:
	v_mov_b32_e32 v2, 0x7f
	v_cmp_lt_u32_e32 vcc_lo, 0x7f800000, v3
	s_delay_alu instid0(VALU_DEP_2)
	v_cndmask_b32_e32 v2, 0x7e, v2, vcc_lo
; %bb.1076:
	s_or_b32 exec_lo, exec_lo, s33
	global_store_b8 v[0:1], v2, off
.LBB22_1077:
	s_mov_b32 s33, 0
.LBB22_1078:
	s_delay_alu instid0(SALU_CYCLE_1)
	s_and_not1_b32 vcc_lo, exec_lo, s33
	s_cbranch_vccnz .LBB22_1088
; %bb.1079:
	s_wait_xcnt 0x0
	v_cndmask_b32_e64 v3, 0, 1.0, s29
	s_mov_b32 s33, exec_lo
                                        ; implicit-def: $vgpr2
	s_delay_alu instid0(VALU_DEP_1)
	v_cmpx_gt_u32_e32 0x47800000, v3
	s_xor_b32 s33, exec_lo, s33
	s_cbranch_execz .LBB22_1085
; %bb.1080:
	s_mov_b32 s34, exec_lo
                                        ; implicit-def: $vgpr2
	v_cmpx_lt_u32_e32 0x387fffff, v3
	s_xor_b32 s34, exec_lo, s34
; %bb.1081:
	v_bfe_u32 v2, v3, 21, 1
	s_delay_alu instid0(VALU_DEP_1) | instskip(NEXT) | instid1(VALU_DEP_1)
	v_add3_u32 v2, v3, v2, 0x80fffff
                                        ; implicit-def: $vgpr3
	v_lshrrev_b32_e32 v2, 21, v2
; %bb.1082:
	s_and_not1_saveexec_b32 s34, s34
; %bb.1083:
	v_add_f32_e32 v2, 0x43000000, v3
; %bb.1084:
	s_or_b32 exec_lo, exec_lo, s34
                                        ; implicit-def: $vgpr3
.LBB22_1085:
	s_and_not1_saveexec_b32 s33, s33
; %bb.1086:
	v_mov_b32_e32 v2, 0x7f
	v_cmp_lt_u32_e32 vcc_lo, 0x7f800000, v3
	s_delay_alu instid0(VALU_DEP_2)
	v_cndmask_b32_e32 v2, 0x7c, v2, vcc_lo
; %bb.1087:
	s_or_b32 exec_lo, exec_lo, s33
	global_store_b8 v[0:1], v2, off
.LBB22_1088:
	s_mov_b32 s34, 0
	s_mov_b32 s33, -1
.LBB22_1089:
	s_and_not1_b32 vcc_lo, exec_lo, s34
	s_cbranch_vccnz .LBB22_1097
; %bb.1090:
	s_cmp_gt_i32 s31, 14
	s_mov_b32 s34, -1
	s_cbranch_scc0 .LBB22_1094
; %bb.1091:
	s_cmp_eq_u32 s31, 15
	s_mov_b32 s0, -1
	s_cbranch_scc0 .LBB22_1093
; %bb.1092:
	s_wait_xcnt 0x0
	v_cndmask_b32_e64 v2, 0, 1.0, s29
	s_mov_b32 s33, -1
	s_mov_b32 s0, 0
	s_delay_alu instid0(VALU_DEP_1) | instskip(NEXT) | instid1(VALU_DEP_1)
	v_bfe_u32 v3, v2, 16, 1
	v_add3_u32 v2, v2, v3, 0x7fff
	global_store_d16_hi_b16 v[0:1], v2, off
.LBB22_1093:
	s_mov_b32 s34, 0
.LBB22_1094:
	s_delay_alu instid0(SALU_CYCLE_1)
	s_and_b32 vcc_lo, exec_lo, s34
	s_cbranch_vccz .LBB22_1097
; %bb.1095:
	s_cmp_eq_u32 s31, 11
	s_mov_b32 s0, -1
	s_cbranch_scc0 .LBB22_1097
; %bb.1096:
	s_wait_xcnt 0x0
	v_cndmask_b32_e64 v2, 0, 1, s29
	s_mov_b32 s33, -1
	s_mov_b32 s0, 0
	global_store_b8 v[0:1], v2, off
.LBB22_1097:
	s_mov_b32 s31, 0
.LBB22_1098:
	s_delay_alu instid0(SALU_CYCLE_1)
	s_and_b32 vcc_lo, exec_lo, s31
	s_cbranch_vccz .LBB22_1137
; %bb.1099:
	s_and_b32 s30, 0xffff, s30
	s_mov_b32 s31, -1
	s_cmp_lt_i32 s30, 5
	s_cbranch_scc1 .LBB22_1120
; %bb.1100:
	s_cmp_lt_i32 s30, 8
	s_cbranch_scc1 .LBB22_1110
; %bb.1101:
	;; [unrolled: 3-line block ×3, first 2 shown]
	s_cmp_gt_i32 s30, 9
	s_cbranch_scc0 .LBB22_1104
; %bb.1103:
	s_wait_xcnt 0x0
	v_cndmask_b32_e64 v2, 0, 1, s29
	v_mov_b32_e32 v4, 0
	s_mov_b32 s31, 0
	s_delay_alu instid0(VALU_DEP_2) | instskip(NEXT) | instid1(VALU_DEP_2)
	v_cvt_f64_u32_e32 v[2:3], v2
	v_mov_b32_e32 v5, v4
	global_store_b128 v[0:1], v[2:5], off
.LBB22_1104:
	s_and_not1_b32 vcc_lo, exec_lo, s31
	s_cbranch_vccnz .LBB22_1106
; %bb.1105:
	s_wait_xcnt 0x0
	v_cndmask_b32_e64 v2, 0, 1.0, s29
	v_mov_b32_e32 v3, 0
	global_store_b64 v[0:1], v[2:3], off
.LBB22_1106:
	s_mov_b32 s31, 0
.LBB22_1107:
	s_delay_alu instid0(SALU_CYCLE_1)
	s_and_not1_b32 vcc_lo, exec_lo, s31
	s_cbranch_vccnz .LBB22_1109
; %bb.1108:
	s_wait_xcnt 0x0
	v_cndmask_b32_e64 v2, 0, 1.0, s29
	s_delay_alu instid0(VALU_DEP_1) | instskip(NEXT) | instid1(VALU_DEP_1)
	v_cvt_f16_f32_e32 v2, v2
	v_and_b32_e32 v2, 0xffff, v2
	global_store_b32 v[0:1], v2, off
.LBB22_1109:
	s_mov_b32 s31, 0
.LBB22_1110:
	s_delay_alu instid0(SALU_CYCLE_1)
	s_and_not1_b32 vcc_lo, exec_lo, s31
	s_cbranch_vccnz .LBB22_1119
; %bb.1111:
	s_cmp_lt_i32 s30, 6
	s_mov_b32 s31, -1
	s_cbranch_scc1 .LBB22_1117
; %bb.1112:
	s_cmp_gt_i32 s30, 6
	s_cbranch_scc0 .LBB22_1114
; %bb.1113:
	s_wait_xcnt 0x0
	v_cndmask_b32_e64 v2, 0, 1, s29
	s_mov_b32 s31, 0
	s_delay_alu instid0(VALU_DEP_1)
	v_cvt_f64_u32_e32 v[2:3], v2
	global_store_b64 v[0:1], v[2:3], off
.LBB22_1114:
	s_and_not1_b32 vcc_lo, exec_lo, s31
	s_cbranch_vccnz .LBB22_1116
; %bb.1115:
	s_wait_xcnt 0x0
	v_cndmask_b32_e64 v2, 0, 1.0, s29
	global_store_b32 v[0:1], v2, off
.LBB22_1116:
	s_mov_b32 s31, 0
.LBB22_1117:
	s_delay_alu instid0(SALU_CYCLE_1)
	s_and_not1_b32 vcc_lo, exec_lo, s31
	s_cbranch_vccnz .LBB22_1119
; %bb.1118:
	s_wait_xcnt 0x0
	v_cndmask_b32_e64 v2, 0, 1.0, s29
	s_delay_alu instid0(VALU_DEP_1)
	v_cvt_f16_f32_e32 v2, v2
	global_store_b16 v[0:1], v2, off
.LBB22_1119:
	s_mov_b32 s31, 0
.LBB22_1120:
	s_delay_alu instid0(SALU_CYCLE_1)
	s_and_not1_b32 vcc_lo, exec_lo, s31
	s_cbranch_vccnz .LBB22_1136
; %bb.1121:
	s_cmp_lt_i32 s30, 2
	s_mov_b32 s31, -1
	s_cbranch_scc1 .LBB22_1131
; %bb.1122:
	s_cmp_lt_i32 s30, 3
	s_cbranch_scc1 .LBB22_1128
; %bb.1123:
	s_cmp_gt_i32 s30, 3
	s_cbranch_scc0 .LBB22_1125
; %bb.1124:
	s_mov_b32 s31, 0
	s_wait_xcnt 0x0
	v_cndmask_b32_e64 v2, 0, 1, s29
	v_mov_b32_e32 v3, s31
	global_store_b64 v[0:1], v[2:3], off
.LBB22_1125:
	s_and_not1_b32 vcc_lo, exec_lo, s31
	s_cbranch_vccnz .LBB22_1127
; %bb.1126:
	s_wait_xcnt 0x0
	v_cndmask_b32_e64 v2, 0, 1, s29
	global_store_b32 v[0:1], v2, off
.LBB22_1127:
	s_mov_b32 s31, 0
.LBB22_1128:
	s_delay_alu instid0(SALU_CYCLE_1)
	s_and_not1_b32 vcc_lo, exec_lo, s31
	s_cbranch_vccnz .LBB22_1130
; %bb.1129:
	s_wait_xcnt 0x0
	v_cndmask_b32_e64 v2, 0, 1, s29
	global_store_b16 v[0:1], v2, off
.LBB22_1130:
	s_mov_b32 s31, 0
.LBB22_1131:
	s_delay_alu instid0(SALU_CYCLE_1)
	s_and_not1_b32 vcc_lo, exec_lo, s31
	s_cbranch_vccnz .LBB22_1136
; %bb.1132:
	s_wait_xcnt 0x0
	v_cndmask_b32_e64 v2, 0, 1, s29
	s_cmp_gt_i32 s30, 0
	s_mov_b32 s29, -1
	s_cbranch_scc0 .LBB22_1134
; %bb.1133:
	s_mov_b32 s29, 0
	global_store_b8 v[0:1], v2, off
.LBB22_1134:
	s_and_not1_b32 vcc_lo, exec_lo, s29
	s_cbranch_vccnz .LBB22_1136
; %bb.1135:
	global_store_b8 v[0:1], v2, off
.LBB22_1136:
	s_mov_b32 s33, -1
.LBB22_1137:
	s_delay_alu instid0(SALU_CYCLE_1)
	s_and_not1_b32 vcc_lo, exec_lo, s33
	s_cbranch_vccnz .LBB22_1139
; %bb.1138:
	v_add_nc_u32_e32 v18, 0x80, v18
	s_mov_b32 s30, -1
	s_branch .LBB22_1141
.LBB22_1139:
	s_mov_b32 s30, 0
.LBB22_1140:
                                        ; implicit-def: $vgpr18
.LBB22_1141:
	s_and_not1_b32 s29, s23, exec_lo
	s_and_b32 s0, s0, exec_lo
	s_and_b32 s28, s28, exec_lo
	s_or_b32 s29, s29, s0
	s_and_not1_b32 s0, s24, exec_lo
	s_and_not1_b32 s31, s22, exec_lo
	s_and_b32 s27, s27, exec_lo
	s_or_b32 s28, s0, s28
	s_or_b32 s27, s31, s27
	s_or_not1_b32 s34, s30, exec_lo
.LBB22_1142:
	s_wait_xcnt 0x0
	s_or_b32 exec_lo, exec_lo, s26
	s_mov_b32 s30, 0
	s_mov_b32 s31, 0
	;; [unrolled: 1-line block ×3, first 2 shown]
                                        ; implicit-def: $sgpr0
                                        ; implicit-def: $vgpr2_vgpr3
                                        ; implicit-def: $vgpr0
	s_and_saveexec_b32 s26, s34
	s_cbranch_execz .LBB22_1221
; %bb.1143:
	v_cmp_gt_i32_e32 vcc_lo, s17, v18
	s_mov_b32 s35, s27
	s_mov_b32 s34, 0
	;; [unrolled: 1-line block ×3, first 2 shown]
                                        ; implicit-def: $sgpr0
                                        ; implicit-def: $vgpr2_vgpr3
                                        ; implicit-def: $vgpr0
	s_and_saveexec_b32 s17, vcc_lo
	s_cbranch_execz .LBB22_1220
; %bb.1144:
	s_wait_loadcnt 0x0
	v_mul_lo_u32 v0, v18, s9
	s_and_b32 s0, s14, 0xff
	s_delay_alu instid0(SALU_CYCLE_1) | instskip(NEXT) | instid1(VALU_DEP_1)
	s_cmp_lt_i32 s0, 11
	v_ashrrev_i32_e32 v1, 31, v0
	s_delay_alu instid0(VALU_DEP_1)
	v_add_nc_u64_e32 v[2:3], s[6:7], v[0:1]
	s_cbranch_scc1 .LBB22_1151
; %bb.1145:
	s_and_b32 s30, 0xffff, s0
	s_delay_alu instid0(SALU_CYCLE_1)
	s_cmp_gt_i32 s30, 25
	s_cbranch_scc0 .LBB22_1152
; %bb.1146:
	s_cmp_gt_i32 s30, 28
	s_cbranch_scc0 .LBB22_1153
; %bb.1147:
	;; [unrolled: 3-line block ×4, first 2 shown]
	s_cmp_eq_u32 s30, 46
	s_mov_b32 s35, 0
	s_cbranch_scc0 .LBB22_1158
; %bb.1150:
	global_load_b32 v0, v[2:3], off
	s_mov_b32 s34, -1
	s_wait_loadcnt 0x0
	v_lshlrev_b32_e32 v0, 16, v0
	s_delay_alu instid0(VALU_DEP_1)
	v_cvt_i32_f32_e32 v0, v0
	s_branch .LBB22_1160
.LBB22_1151:
	s_mov_b32 s30, -1
	s_mov_b32 s31, s27
                                        ; implicit-def: $vgpr0
	s_branch .LBB22_1219
.LBB22_1152:
	s_mov_b32 s35, -1
	s_mov_b32 s31, s27
                                        ; implicit-def: $vgpr0
	s_branch .LBB22_1187
.LBB22_1153:
	s_mov_b32 s35, -1
	s_mov_b32 s31, s27
                                        ; implicit-def: $vgpr0
	s_branch .LBB22_1170
.LBB22_1154:
	s_mov_b32 s35, -1
	s_mov_b32 s31, s27
                                        ; implicit-def: $vgpr0
	s_branch .LBB22_1165
.LBB22_1155:
	s_mov_b32 s35, -1
	s_mov_b32 s31, s27
	s_branch .LBB22_1159
.LBB22_1156:
	s_and_not1_saveexec_b32 s35, s35
	s_cbranch_execz .LBB22_1050
.LBB22_1157:
	v_add_f32_e32 v2, 0x46000000, v3
	s_and_not1_b32 s34, s34, exec_lo
	s_delay_alu instid0(VALU_DEP_1) | instskip(NEXT) | instid1(VALU_DEP_1)
	v_and_b32_e32 v2, 0xff, v2
	v_cmp_ne_u32_e32 vcc_lo, 0, v2
	s_and_b32 s36, vcc_lo, exec_lo
	s_delay_alu instid0(SALU_CYCLE_1)
	s_or_b32 s34, s34, s36
	s_or_b32 exec_lo, exec_lo, s35
	v_mov_b32_e32 v4, 0
	s_and_saveexec_b32 s35, s34
	s_cbranch_execnz .LBB22_1051
	s_branch .LBB22_1052
.LBB22_1158:
	s_mov_b32 s31, -1
.LBB22_1159:
                                        ; implicit-def: $vgpr0
.LBB22_1160:
	s_and_b32 vcc_lo, exec_lo, s35
	s_cbranch_vccz .LBB22_1164
; %bb.1161:
	s_cmp_eq_u32 s30, 44
	s_cbranch_scc0 .LBB22_1163
; %bb.1162:
	global_load_u8 v0, v[2:3], off
	s_mov_b32 s31, 0
	s_mov_b32 s34, -1
	s_wait_loadcnt 0x0
	v_lshlrev_b32_e32 v1, 23, v0
	v_cmp_ne_u32_e32 vcc_lo, 0, v0
	s_delay_alu instid0(VALU_DEP_2) | instskip(NEXT) | instid1(VALU_DEP_1)
	v_cvt_i32_f32_e32 v1, v1
	v_cndmask_b32_e32 v0, 0, v1, vcc_lo
	s_branch .LBB22_1164
.LBB22_1163:
	s_mov_b32 s31, -1
                                        ; implicit-def: $vgpr0
.LBB22_1164:
	s_mov_b32 s35, 0
.LBB22_1165:
	s_delay_alu instid0(SALU_CYCLE_1)
	s_and_b32 vcc_lo, exec_lo, s35
	s_cbranch_vccz .LBB22_1169
; %bb.1166:
	s_cmp_eq_u32 s30, 29
	s_cbranch_scc0 .LBB22_1168
; %bb.1167:
	global_load_b64 v[0:1], v[2:3], off
	s_mov_b32 s31, 0
	s_mov_b32 s34, -1
	s_branch .LBB22_1169
.LBB22_1168:
	s_mov_b32 s31, -1
                                        ; implicit-def: $vgpr0
.LBB22_1169:
	s_mov_b32 s35, 0
.LBB22_1170:
	s_delay_alu instid0(SALU_CYCLE_1)
	s_and_b32 vcc_lo, exec_lo, s35
	s_cbranch_vccz .LBB22_1186
; %bb.1171:
	s_cmp_lt_i32 s30, 27
	s_cbranch_scc1 .LBB22_1174
; %bb.1172:
	s_cmp_gt_i32 s30, 27
	s_cbranch_scc0 .LBB22_1175
; %bb.1173:
	s_wait_loadcnt 0x0
	global_load_b32 v0, v[2:3], off
	s_mov_b32 s34, 0
	s_branch .LBB22_1176
.LBB22_1174:
	s_mov_b32 s34, -1
                                        ; implicit-def: $vgpr0
	s_branch .LBB22_1179
.LBB22_1175:
	s_mov_b32 s34, -1
                                        ; implicit-def: $vgpr0
.LBB22_1176:
	s_delay_alu instid0(SALU_CYCLE_1)
	s_and_not1_b32 vcc_lo, exec_lo, s34
	s_cbranch_vccnz .LBB22_1178
; %bb.1177:
	s_wait_loadcnt 0x0
	global_load_u16 v0, v[2:3], off
.LBB22_1178:
	s_mov_b32 s34, 0
.LBB22_1179:
	s_delay_alu instid0(SALU_CYCLE_1)
	s_and_not1_b32 vcc_lo, exec_lo, s34
	s_cbranch_vccnz .LBB22_1185
; %bb.1180:
	s_wait_loadcnt 0x0
	global_load_u8 v1, v[2:3], off
	s_mov_b32 s35, 0
	s_mov_b32 s34, exec_lo
	s_wait_loadcnt 0x0
	v_cmpx_lt_i16_e32 0x7f, v1
	s_xor_b32 s34, exec_lo, s34
	s_cbranch_execz .LBB22_1197
; %bb.1181:
	v_cmp_ne_u16_e32 vcc_lo, 0x80, v1
	s_and_b32 s35, vcc_lo, exec_lo
	s_and_not1_saveexec_b32 s34, s34
	s_cbranch_execnz .LBB22_1198
.LBB22_1182:
	s_or_b32 exec_lo, exec_lo, s34
	v_mov_b32_e32 v0, 0
	s_and_saveexec_b32 s34, s35
	s_cbranch_execz .LBB22_1184
.LBB22_1183:
	v_and_b32_e32 v0, 0xffff, v1
	s_delay_alu instid0(VALU_DEP_1) | instskip(SKIP_1) | instid1(VALU_DEP_2)
	v_and_b32_e32 v4, 7, v0
	v_bfe_u32 v7, v0, 3, 4
	v_clz_i32_u32_e32 v5, v4
	s_delay_alu instid0(VALU_DEP_2) | instskip(NEXT) | instid1(VALU_DEP_2)
	v_cmp_eq_u32_e32 vcc_lo, 0, v7
	v_min_u32_e32 v5, 32, v5
	s_delay_alu instid0(VALU_DEP_1) | instskip(NEXT) | instid1(VALU_DEP_1)
	v_subrev_nc_u32_e32 v6, 28, v5
	v_dual_lshlrev_b32 v0, v6, v0 :: v_dual_sub_nc_u32 v5, 29, v5
	s_delay_alu instid0(VALU_DEP_1) | instskip(NEXT) | instid1(VALU_DEP_1)
	v_dual_lshlrev_b32 v1, 24, v1 :: v_dual_bitop2_b32 v0, 7, v0 bitop3:0x40
	v_dual_cndmask_b32 v0, v4, v0 :: v_dual_cndmask_b32 v5, v7, v5
	s_delay_alu instid0(VALU_DEP_2) | instskip(NEXT) | instid1(VALU_DEP_2)
	v_and_b32_e32 v1, 0x80000000, v1
	v_lshlrev_b32_e32 v0, 20, v0
	s_delay_alu instid0(VALU_DEP_3) | instskip(NEXT) | instid1(VALU_DEP_1)
	v_lshl_add_u32 v4, v5, 23, 0x3b800000
	v_or3_b32 v0, v1, v4, v0
	s_delay_alu instid0(VALU_DEP_1)
	v_cvt_i32_f32_e32 v0, v0
.LBB22_1184:
	s_or_b32 exec_lo, exec_lo, s34
.LBB22_1185:
	s_mov_b32 s34, -1
.LBB22_1186:
	s_mov_b32 s35, 0
.LBB22_1187:
	s_delay_alu instid0(SALU_CYCLE_1)
	s_and_b32 vcc_lo, exec_lo, s35
	s_cbranch_vccz .LBB22_1218
; %bb.1188:
	s_cmp_gt_i32 s30, 22
	s_cbranch_scc0 .LBB22_1196
; %bb.1189:
	s_cmp_lt_i32 s30, 24
	s_cbranch_scc1 .LBB22_1199
; %bb.1190:
	s_cmp_gt_i32 s30, 24
	s_cbranch_scc0 .LBB22_1200
; %bb.1191:
	s_wait_loadcnt 0x0
	global_load_u8 v1, v[2:3], off
	s_mov_b32 s34, 0
	s_mov_b32 s33, exec_lo
	s_wait_loadcnt 0x0
	v_cmpx_lt_i16_e32 0x7f, v1
	s_xor_b32 s33, exec_lo, s33
	s_cbranch_execz .LBB22_1212
; %bb.1192:
	v_cmp_ne_u16_e32 vcc_lo, 0x80, v1
	s_and_b32 s34, vcc_lo, exec_lo
	s_and_not1_saveexec_b32 s33, s33
	s_cbranch_execnz .LBB22_1213
.LBB22_1193:
	s_or_b32 exec_lo, exec_lo, s33
	v_mov_b32_e32 v0, 0
	s_and_saveexec_b32 s33, s34
	s_cbranch_execz .LBB22_1195
.LBB22_1194:
	v_and_b32_e32 v0, 0xffff, v1
	s_delay_alu instid0(VALU_DEP_1) | instskip(SKIP_1) | instid1(VALU_DEP_2)
	v_and_b32_e32 v4, 3, v0
	v_bfe_u32 v7, v0, 2, 5
	v_clz_i32_u32_e32 v5, v4
	s_delay_alu instid0(VALU_DEP_2) | instskip(NEXT) | instid1(VALU_DEP_2)
	v_cmp_eq_u32_e32 vcc_lo, 0, v7
	v_min_u32_e32 v5, 32, v5
	s_delay_alu instid0(VALU_DEP_1) | instskip(NEXT) | instid1(VALU_DEP_1)
	v_subrev_nc_u32_e32 v6, 29, v5
	v_dual_lshlrev_b32 v0, v6, v0 :: v_dual_sub_nc_u32 v5, 30, v5
	s_delay_alu instid0(VALU_DEP_1) | instskip(NEXT) | instid1(VALU_DEP_1)
	v_dual_lshlrev_b32 v1, 24, v1 :: v_dual_bitop2_b32 v0, 3, v0 bitop3:0x40
	v_dual_cndmask_b32 v0, v4, v0 :: v_dual_cndmask_b32 v5, v7, v5
	s_delay_alu instid0(VALU_DEP_2) | instskip(NEXT) | instid1(VALU_DEP_2)
	v_and_b32_e32 v1, 0x80000000, v1
	v_lshlrev_b32_e32 v0, 21, v0
	s_delay_alu instid0(VALU_DEP_3) | instskip(NEXT) | instid1(VALU_DEP_1)
	v_lshl_add_u32 v4, v5, 23, 0x37800000
	v_or3_b32 v0, v1, v4, v0
	s_delay_alu instid0(VALU_DEP_1)
	v_cvt_i32_f32_e32 v0, v0
.LBB22_1195:
	s_or_b32 exec_lo, exec_lo, s33
	s_mov_b32 s33, 0
	s_branch .LBB22_1201
.LBB22_1196:
	s_mov_b32 s33, -1
                                        ; implicit-def: $vgpr0
	s_branch .LBB22_1207
.LBB22_1197:
	s_and_not1_saveexec_b32 s34, s34
	s_cbranch_execz .LBB22_1182
.LBB22_1198:
	v_cmp_ne_u16_e32 vcc_lo, 0, v1
	s_and_not1_b32 s35, s35, exec_lo
	s_and_b32 s36, vcc_lo, exec_lo
	s_delay_alu instid0(SALU_CYCLE_1)
	s_or_b32 s35, s35, s36
	s_or_b32 exec_lo, exec_lo, s34
	v_mov_b32_e32 v0, 0
	s_and_saveexec_b32 s34, s35
	s_cbranch_execnz .LBB22_1183
	s_branch .LBB22_1184
.LBB22_1199:
	s_mov_b32 s33, -1
                                        ; implicit-def: $vgpr0
	s_branch .LBB22_1204
.LBB22_1200:
	s_mov_b32 s33, -1
                                        ; implicit-def: $vgpr0
.LBB22_1201:
	s_delay_alu instid0(SALU_CYCLE_1)
	s_and_b32 vcc_lo, exec_lo, s33
	s_cbranch_vccz .LBB22_1203
; %bb.1202:
	s_wait_loadcnt 0x0
	global_load_u8 v0, v[2:3], off
	s_wait_loadcnt 0x0
	v_lshlrev_b32_e32 v0, 24, v0
	s_delay_alu instid0(VALU_DEP_1) | instskip(NEXT) | instid1(VALU_DEP_1)
	v_and_b32_e32 v1, 0x7f000000, v0
	v_clz_i32_u32_e32 v4, v1
	v_cmp_ne_u32_e32 vcc_lo, 0, v1
	v_add_nc_u32_e32 v6, 0x1000000, v1
	s_delay_alu instid0(VALU_DEP_3) | instskip(NEXT) | instid1(VALU_DEP_1)
	v_min_u32_e32 v4, 32, v4
	v_sub_nc_u32_e64 v4, v4, 4 clamp
	s_delay_alu instid0(VALU_DEP_1) | instskip(NEXT) | instid1(VALU_DEP_1)
	v_dual_lshlrev_b32 v5, v4, v1 :: v_dual_lshlrev_b32 v4, 23, v4
	v_lshrrev_b32_e32 v5, 4, v5
	s_delay_alu instid0(VALU_DEP_1) | instskip(NEXT) | instid1(VALU_DEP_1)
	v_dual_sub_nc_u32 v4, v5, v4 :: v_dual_ashrrev_i32 v5, 8, v6
	v_add_nc_u32_e32 v4, 0x3c000000, v4
	s_delay_alu instid0(VALU_DEP_1) | instskip(NEXT) | instid1(VALU_DEP_1)
	v_and_or_b32 v4, 0x7f800000, v5, v4
	v_cndmask_b32_e32 v1, 0, v4, vcc_lo
	s_delay_alu instid0(VALU_DEP_1) | instskip(NEXT) | instid1(VALU_DEP_1)
	v_and_or_b32 v0, 0x80000000, v0, v1
	v_cvt_i32_f32_e32 v0, v0
.LBB22_1203:
	s_mov_b32 s33, 0
.LBB22_1204:
	s_delay_alu instid0(SALU_CYCLE_1)
	s_and_not1_b32 vcc_lo, exec_lo, s33
	s_cbranch_vccnz .LBB22_1206
; %bb.1205:
	s_wait_loadcnt 0x0
	global_load_u8 v0, v[2:3], off
	s_wait_loadcnt 0x0
	v_lshlrev_b32_e32 v1, 25, v0
	v_lshlrev_b16 v0, 8, v0
	s_delay_alu instid0(VALU_DEP_1) | instskip(SKIP_1) | instid1(VALU_DEP_2)
	v_and_or_b32 v5, 0x7f00, v0, 0.5
	v_bfe_i32 v0, v0, 0, 16
	v_add_f32_e32 v5, -0.5, v5
	v_lshrrev_b32_e32 v4, 4, v1
	v_cmp_gt_u32_e32 vcc_lo, 0x8000000, v1
	s_delay_alu instid0(VALU_DEP_2) | instskip(NEXT) | instid1(VALU_DEP_1)
	v_or_b32_e32 v4, 0x70000000, v4
	v_mul_f32_e32 v4, 0x7800000, v4
	s_delay_alu instid0(VALU_DEP_1) | instskip(NEXT) | instid1(VALU_DEP_1)
	v_cndmask_b32_e32 v1, v4, v5, vcc_lo
	v_and_or_b32 v0, 0x80000000, v0, v1
	s_delay_alu instid0(VALU_DEP_1)
	v_cvt_i32_f32_e32 v0, v0
.LBB22_1206:
	s_mov_b32 s33, 0
	s_mov_b32 s34, -1
.LBB22_1207:
	s_and_not1_b32 vcc_lo, exec_lo, s33
	s_mov_b32 s33, 0
	s_cbranch_vccnz .LBB22_1218
; %bb.1208:
	s_cmp_gt_i32 s30, 14
	s_cbranch_scc0 .LBB22_1211
; %bb.1209:
	s_cmp_eq_u32 s30, 15
	s_cbranch_scc0 .LBB22_1214
; %bb.1210:
	s_wait_loadcnt 0x0
	global_load_u16 v0, v[2:3], off
	s_mov_b32 s31, 0
	s_mov_b32 s34, -1
	s_wait_loadcnt 0x0
	v_lshlrev_b32_e32 v0, 16, v0
	s_delay_alu instid0(VALU_DEP_1)
	v_cvt_i32_f32_e32 v0, v0
	s_branch .LBB22_1216
.LBB22_1211:
	s_mov_b32 s33, -1
	s_branch .LBB22_1215
.LBB22_1212:
	s_and_not1_saveexec_b32 s33, s33
	s_cbranch_execz .LBB22_1193
.LBB22_1213:
	v_cmp_ne_u16_e32 vcc_lo, 0, v1
	s_and_not1_b32 s34, s34, exec_lo
	s_and_b32 s35, vcc_lo, exec_lo
	s_delay_alu instid0(SALU_CYCLE_1)
	s_or_b32 s34, s34, s35
	s_or_b32 exec_lo, exec_lo, s33
	v_mov_b32_e32 v0, 0
	s_and_saveexec_b32 s33, s34
	s_cbranch_execnz .LBB22_1194
	s_branch .LBB22_1195
.LBB22_1214:
	s_mov_b32 s31, -1
.LBB22_1215:
                                        ; implicit-def: $vgpr0
.LBB22_1216:
	s_and_b32 vcc_lo, exec_lo, s33
	s_mov_b32 s33, 0
	s_cbranch_vccz .LBB22_1218
; %bb.1217:
	s_cmp_lg_u32 s30, 11
	s_mov_b32 s33, -1
	s_cselect_b32 s30, -1, 0
	s_and_not1_b32 s31, s31, exec_lo
	s_and_b32 s30, s30, exec_lo
	s_delay_alu instid0(SALU_CYCLE_1)
	s_or_b32 s31, s31, s30
.LBB22_1218:
	s_mov_b32 s30, 0
.LBB22_1219:
	s_and_not1_b32 s35, s27, exec_lo
	s_and_b32 s31, s31, exec_lo
	s_and_b32 s36, s34, exec_lo
	;; [unrolled: 1-line block ×4, first 2 shown]
	s_or_b32 s35, s35, s31
.LBB22_1220:
	s_wait_xcnt 0x0
	s_or_b32 exec_lo, exec_lo, s17
	s_delay_alu instid0(SALU_CYCLE_1)
	s_and_not1_b32 s17, s27, exec_lo
	s_and_b32 s27, s35, exec_lo
	s_and_b32 s33, s36, exec_lo
	;; [unrolled: 1-line block ×4, first 2 shown]
	s_or_b32 s27, s17, s27
.LBB22_1221:
	s_or_b32 exec_lo, exec_lo, s26
	s_delay_alu instid0(SALU_CYCLE_1)
	s_and_not1_b32 s17, s23, exec_lo
	s_and_b32 s23, s29, exec_lo
	s_and_not1_b32 s24, s24, exec_lo
	s_and_b32 s26, s28, exec_lo
	s_or_b32 s23, s17, s23
	s_and_not1_b32 s17, s22, exec_lo
	s_and_b32 s22, s27, exec_lo
	s_or_b32 s24, s24, s26
	s_and_b32 s29, s33, exec_lo
	s_and_b32 s28, s31, exec_lo
	;; [unrolled: 1-line block ×3, first 2 shown]
	s_or_b32 s22, s17, s22
.LBB22_1222:
	s_or_b32 exec_lo, exec_lo, s25
	s_delay_alu instid0(SALU_CYCLE_1)
	s_and_not1_b32 s17, s18, exec_lo
	s_and_b32 s18, s23, exec_lo
	s_and_not1_b32 s19, s19, exec_lo
	s_and_b32 s23, s24, exec_lo
	s_or_b32 s18, s17, s18
	s_and_not1_b32 s17, s20, exec_lo
	s_and_b32 s20, s22, exec_lo
	s_or_b32 s19, s19, s23
	s_and_b32 s23, s29, exec_lo
	s_and_b32 s24, s28, exec_lo
	;; [unrolled: 1-line block ×3, first 2 shown]
	s_or_b32 s20, s17, s20
	s_or_b32 exec_lo, exec_lo, s21
	s_mov_b32 s17, 0
	s_and_saveexec_b32 s21, s20
	s_cbranch_execz .LBB22_384
.LBB22_1223:
	s_mov_b32 s17, exec_lo
	s_and_not1_b32 s22, s22, exec_lo
	s_trap 2
	s_or_b32 exec_lo, exec_lo, s21
	s_and_saveexec_b32 s20, s22
	s_delay_alu instid0(SALU_CYCLE_1)
	s_xor_b32 s20, exec_lo, s20
	s_cbranch_execnz .LBB22_385
.LBB22_1224:
	s_or_b32 exec_lo, exec_lo, s20
	s_and_saveexec_b32 s20, s24
	s_cbranch_execz .LBB22_1270
.LBB22_1225:
	s_sext_i32_i16 s21, s0
	s_delay_alu instid0(SALU_CYCLE_1)
	s_cmp_lt_i32 s21, 5
	s_cbranch_scc1 .LBB22_1230
; %bb.1226:
	s_cmp_lt_i32 s21, 8
	s_cbranch_scc1 .LBB22_1231
; %bb.1227:
	;; [unrolled: 3-line block ×3, first 2 shown]
	s_cmp_gt_i32 s21, 9
	s_cbranch_scc0 .LBB22_1233
; %bb.1229:
	s_wait_loadcnt 0x0
	global_load_b64 v[0:1], v[2:3], off
	s_mov_b32 s21, 0
	s_wait_loadcnt 0x0
	v_cvt_i32_f64_e32 v0, v[0:1]
	s_branch .LBB22_1234
.LBB22_1230:
                                        ; implicit-def: $vgpr0
	s_branch .LBB22_1251
.LBB22_1231:
                                        ; implicit-def: $vgpr0
	s_branch .LBB22_1240
.LBB22_1232:
	s_mov_b32 s21, -1
                                        ; implicit-def: $vgpr0
	s_branch .LBB22_1237
.LBB22_1233:
	s_mov_b32 s21, -1
                                        ; implicit-def: $vgpr0
.LBB22_1234:
	s_delay_alu instid0(SALU_CYCLE_1)
	s_and_not1_b32 vcc_lo, exec_lo, s21
	s_cbranch_vccnz .LBB22_1236
; %bb.1235:
	s_wait_loadcnt 0x0
	global_load_b32 v0, v[2:3], off
	s_wait_loadcnt 0x0
	v_cvt_i32_f32_e32 v0, v0
.LBB22_1236:
	s_mov_b32 s21, 0
.LBB22_1237:
	s_delay_alu instid0(SALU_CYCLE_1)
	s_and_not1_b32 vcc_lo, exec_lo, s21
	s_cbranch_vccnz .LBB22_1239
; %bb.1238:
	s_wait_loadcnt 0x0
	global_load_b32 v0, v[2:3], off
	s_wait_loadcnt 0x0
	v_cvt_i16_f16_e32 v0, v0
.LBB22_1239:
	s_cbranch_execnz .LBB22_1250
.LBB22_1240:
	s_sext_i32_i16 s21, s0
	s_delay_alu instid0(SALU_CYCLE_1)
	s_cmp_lt_i32 s21, 6
	s_cbranch_scc1 .LBB22_1243
; %bb.1241:
	s_cmp_gt_i32 s21, 6
	s_cbranch_scc0 .LBB22_1244
; %bb.1242:
	s_wait_loadcnt 0x0
	global_load_b64 v[0:1], v[2:3], off
	s_mov_b32 s21, 0
	s_wait_loadcnt 0x0
	v_cvt_i32_f64_e32 v0, v[0:1]
	s_branch .LBB22_1245
.LBB22_1243:
	s_mov_b32 s21, -1
                                        ; implicit-def: $vgpr0
	s_branch .LBB22_1248
.LBB22_1244:
	s_mov_b32 s21, -1
                                        ; implicit-def: $vgpr0
.LBB22_1245:
	s_delay_alu instid0(SALU_CYCLE_1)
	s_and_not1_b32 vcc_lo, exec_lo, s21
	s_cbranch_vccnz .LBB22_1247
; %bb.1246:
	s_wait_loadcnt 0x0
	global_load_b32 v0, v[2:3], off
	s_wait_loadcnt 0x0
	v_cvt_i32_f32_e32 v0, v0
.LBB22_1247:
	s_mov_b32 s21, 0
.LBB22_1248:
	s_delay_alu instid0(SALU_CYCLE_1)
	s_and_not1_b32 vcc_lo, exec_lo, s21
	s_cbranch_vccnz .LBB22_1250
; %bb.1249:
	s_wait_loadcnt 0x0
	global_load_u16 v0, v[2:3], off
	s_wait_loadcnt 0x0
	v_cvt_i16_f16_e32 v0, v0
.LBB22_1250:
	s_cbranch_execnz .LBB22_1269
.LBB22_1251:
	s_sext_i32_i16 s21, s0
	s_delay_alu instid0(SALU_CYCLE_1)
	s_cmp_lt_i32 s21, 2
	s_cbranch_scc1 .LBB22_1255
; %bb.1252:
	s_cmp_lt_i32 s21, 3
	s_cbranch_scc1 .LBB22_1256
; %bb.1253:
	s_cmp_gt_i32 s21, 3
	s_cbranch_scc0 .LBB22_1257
; %bb.1254:
	s_wait_loadcnt 0x0
	global_load_b64 v[0:1], v[2:3], off
	s_mov_b32 s21, 0
	s_branch .LBB22_1258
.LBB22_1255:
                                        ; implicit-def: $vgpr0
	s_branch .LBB22_1264
.LBB22_1256:
	s_mov_b32 s21, -1
                                        ; implicit-def: $vgpr0
	s_branch .LBB22_1261
.LBB22_1257:
	s_mov_b32 s21, -1
                                        ; implicit-def: $vgpr0
.LBB22_1258:
	s_delay_alu instid0(SALU_CYCLE_1)
	s_and_not1_b32 vcc_lo, exec_lo, s21
	s_cbranch_vccnz .LBB22_1260
; %bb.1259:
	s_wait_loadcnt 0x0
	global_load_b32 v0, v[2:3], off
.LBB22_1260:
	s_mov_b32 s21, 0
.LBB22_1261:
	s_delay_alu instid0(SALU_CYCLE_1)
	s_and_not1_b32 vcc_lo, exec_lo, s21
	s_cbranch_vccnz .LBB22_1263
; %bb.1262:
	s_wait_loadcnt 0x0
	global_load_u16 v0, v[2:3], off
.LBB22_1263:
	s_cbranch_execnz .LBB22_1269
.LBB22_1264:
	s_sext_i32_i16 s0, s0
	s_delay_alu instid0(SALU_CYCLE_1)
	s_cmp_gt_i32 s0, 0
	s_mov_b32 s0, 0
	s_cbranch_scc0 .LBB22_1266
; %bb.1265:
	s_wait_loadcnt 0x0
	global_load_u8 v0, v[2:3], off
	s_branch .LBB22_1267
.LBB22_1266:
	s_mov_b32 s0, -1
                                        ; implicit-def: $vgpr0
.LBB22_1267:
	s_delay_alu instid0(SALU_CYCLE_1)
	s_and_not1_b32 vcc_lo, exec_lo, s0
	s_cbranch_vccnz .LBB22_1269
; %bb.1268:
	s_wait_loadcnt 0x0
	global_load_u8 v0, v[2:3], off
.LBB22_1269:
	s_or_b32 s23, s23, exec_lo
.LBB22_1270:
	s_wait_xcnt 0x0
	s_or_b32 exec_lo, exec_lo, s20
	s_mov_b32 s22, 0
	s_mov_b32 s21, 0
	;; [unrolled: 1-line block ×3, first 2 shown]
                                        ; implicit-def: $sgpr0
                                        ; implicit-def: $vgpr2_vgpr3
                                        ; implicit-def: $vgpr4
	s_and_saveexec_b32 s20, s23
	s_cbranch_execz .LBB22_1278
; %bb.1271:
	v_mul_lo_u32 v2, v18, s10
	s_and_b32 s0, s1, 0xff
	s_delay_alu instid0(SALU_CYCLE_1) | instskip(NEXT) | instid1(VALU_DEP_1)
	s_cmp_lt_i32 s0, 11
	v_ashrrev_i32_e32 v3, 31, v2
	s_delay_alu instid0(VALU_DEP_1)
	v_add_nc_u64_e32 v[2:3], s[2:3], v[2:3]
	s_cbranch_scc1 .LBB22_1281
; %bb.1272:
	s_and_b32 s21, 0xffff, s0
	s_mov_b32 s23, 0
	s_cmp_gt_i32 s21, 25
	s_cbranch_scc0 .LBB22_1282
; %bb.1273:
	s_cmp_gt_i32 s21, 28
	s_cbranch_scc0 .LBB22_1283
; %bb.1274:
	;; [unrolled: 3-line block ×4, first 2 shown]
	s_cmp_eq_u32 s21, 46
	s_mov_b32 s25, 0
	s_cbranch_scc0 .LBB22_1286
; %bb.1277:
	s_wait_loadcnt 0x0
	global_load_b32 v1, v[2:3], off
	s_mov_b32 s24, -1
	s_wait_loadcnt 0x0
	v_lshlrev_b32_e32 v1, 16, v1
	s_delay_alu instid0(VALU_DEP_1)
	v_cvt_i32_f32_e32 v4, v1
	s_branch .LBB22_1288
.LBB22_1278:
	s_or_b32 exec_lo, exec_lo, s20
	s_and_saveexec_b32 s20, s19
	s_cbranch_execnz .LBB22_1347
.LBB22_1279:
	s_or_b32 exec_lo, exec_lo, s20
	s_and_saveexec_b32 s19, s22
	s_delay_alu instid0(SALU_CYCLE_1)
	s_xor_b32 s19, exec_lo, s19
	s_cbranch_execz .LBB22_1348
.LBB22_1280:
	s_wait_loadcnt 0x0
	global_load_u8 v1, v[2:3], off
	s_or_b32 s24, s24, exec_lo
	s_wait_loadcnt 0x0
	v_cmp_ne_u16_e32 vcc_lo, 0, v1
	v_cndmask_b32_e64 v4, 0, 1, vcc_lo
	s_wait_xcnt 0x0
	s_or_b32 exec_lo, exec_lo, s19
	s_and_saveexec_b32 s19, s21
	s_cbranch_execz .LBB22_1394
	s_branch .LBB22_1349
.LBB22_1281:
	s_mov_b32 s21, -1
	s_mov_b32 s23, 0
	s_mov_b32 s22, s19
                                        ; implicit-def: $vgpr4
	s_branch .LBB22_1346
.LBB22_1282:
	s_mov_b32 s22, s19
                                        ; implicit-def: $vgpr4
	s_cbranch_execnz .LBB22_1315
	s_branch .LBB22_1345
.LBB22_1283:
	s_mov_b32 s25, -1
	s_mov_b32 s22, s19
                                        ; implicit-def: $vgpr4
	s_branch .LBB22_1298
.LBB22_1284:
	s_mov_b32 s25, -1
	s_mov_b32 s22, s19
                                        ; implicit-def: $vgpr4
	s_branch .LBB22_1293
.LBB22_1285:
	s_mov_b32 s25, -1
	s_mov_b32 s22, s19
	s_branch .LBB22_1287
.LBB22_1286:
	s_mov_b32 s22, -1
.LBB22_1287:
                                        ; implicit-def: $vgpr4
.LBB22_1288:
	s_and_b32 vcc_lo, exec_lo, s25
	s_cbranch_vccz .LBB22_1292
; %bb.1289:
	s_cmp_eq_u32 s21, 44
	s_cbranch_scc0 .LBB22_1291
; %bb.1290:
	s_wait_loadcnt 0x0
	global_load_u8 v1, v[2:3], off
	s_mov_b32 s22, 0
	s_mov_b32 s24, -1
	s_wait_loadcnt 0x0
	v_lshlrev_b32_e32 v4, 23, v1
	v_cmp_ne_u32_e32 vcc_lo, 0, v1
	s_delay_alu instid0(VALU_DEP_2) | instskip(NEXT) | instid1(VALU_DEP_1)
	v_cvt_i32_f32_e32 v4, v4
	v_cndmask_b32_e32 v4, 0, v4, vcc_lo
	s_branch .LBB22_1292
.LBB22_1291:
	s_mov_b32 s22, -1
                                        ; implicit-def: $vgpr4
.LBB22_1292:
	s_mov_b32 s25, 0
.LBB22_1293:
	s_delay_alu instid0(SALU_CYCLE_1)
	s_and_b32 vcc_lo, exec_lo, s25
	s_cbranch_vccz .LBB22_1297
; %bb.1294:
	s_cmp_eq_u32 s21, 29
	s_cbranch_scc0 .LBB22_1296
; %bb.1295:
	s_wait_loadcnt 0x0
	global_load_b64 v[4:5], v[2:3], off
	s_mov_b32 s22, 0
	s_mov_b32 s24, -1
	s_branch .LBB22_1297
.LBB22_1296:
	s_mov_b32 s22, -1
                                        ; implicit-def: $vgpr4
.LBB22_1297:
	s_mov_b32 s25, 0
.LBB22_1298:
	s_delay_alu instid0(SALU_CYCLE_1)
	s_and_b32 vcc_lo, exec_lo, s25
	s_cbranch_vccz .LBB22_1314
; %bb.1299:
	s_cmp_lt_i32 s21, 27
	s_cbranch_scc1 .LBB22_1302
; %bb.1300:
	s_cmp_gt_i32 s21, 27
	s_cbranch_scc0 .LBB22_1303
; %bb.1301:
	s_wait_loadcnt 0x0
	global_load_b32 v4, v[2:3], off
	s_mov_b32 s24, 0
	s_branch .LBB22_1304
.LBB22_1302:
	s_mov_b32 s24, -1
                                        ; implicit-def: $vgpr4
	s_branch .LBB22_1307
.LBB22_1303:
	s_mov_b32 s24, -1
                                        ; implicit-def: $vgpr4
.LBB22_1304:
	s_delay_alu instid0(SALU_CYCLE_1)
	s_and_not1_b32 vcc_lo, exec_lo, s24
	s_cbranch_vccnz .LBB22_1306
; %bb.1305:
	s_wait_loadcnt 0x0
	global_load_u16 v4, v[2:3], off
.LBB22_1306:
	s_mov_b32 s24, 0
.LBB22_1307:
	s_delay_alu instid0(SALU_CYCLE_1)
	s_and_not1_b32 vcc_lo, exec_lo, s24
	s_cbranch_vccnz .LBB22_1313
; %bb.1308:
	s_wait_loadcnt 0x0
	global_load_u8 v1, v[2:3], off
	s_mov_b32 s25, 0
	s_mov_b32 s24, exec_lo
	s_wait_loadcnt 0x0
	v_cmpx_lt_i16_e32 0x7f, v1
	s_xor_b32 s24, exec_lo, s24
	s_cbranch_execz .LBB22_1324
; %bb.1309:
	v_cmp_ne_u16_e32 vcc_lo, 0x80, v1
	s_and_b32 s25, vcc_lo, exec_lo
	s_and_not1_saveexec_b32 s24, s24
	s_cbranch_execnz .LBB22_1325
.LBB22_1310:
	s_or_b32 exec_lo, exec_lo, s24
	v_mov_b32_e32 v4, 0
	s_and_saveexec_b32 s24, s25
	s_cbranch_execz .LBB22_1312
.LBB22_1311:
	v_and_b32_e32 v4, 0xffff, v1
	s_delay_alu instid0(VALU_DEP_1) | instskip(SKIP_1) | instid1(VALU_DEP_2)
	v_and_b32_e32 v5, 7, v4
	v_bfe_u32 v8, v4, 3, 4
	v_clz_i32_u32_e32 v6, v5
	s_delay_alu instid0(VALU_DEP_2) | instskip(NEXT) | instid1(VALU_DEP_2)
	v_cmp_eq_u32_e32 vcc_lo, 0, v8
	v_min_u32_e32 v6, 32, v6
	s_delay_alu instid0(VALU_DEP_1) | instskip(NEXT) | instid1(VALU_DEP_1)
	v_subrev_nc_u32_e32 v7, 28, v6
	v_dual_lshlrev_b32 v4, v7, v4 :: v_dual_sub_nc_u32 v6, 29, v6
	s_delay_alu instid0(VALU_DEP_1) | instskip(NEXT) | instid1(VALU_DEP_1)
	v_dual_lshlrev_b32 v1, 24, v1 :: v_dual_bitop2_b32 v4, 7, v4 bitop3:0x40
	v_dual_cndmask_b32 v6, v8, v6, vcc_lo :: v_dual_cndmask_b32 v4, v5, v4, vcc_lo
	s_delay_alu instid0(VALU_DEP_2) | instskip(NEXT) | instid1(VALU_DEP_2)
	v_and_b32_e32 v1, 0x80000000, v1
	v_lshl_add_u32 v5, v6, 23, 0x3b800000
	s_delay_alu instid0(VALU_DEP_3) | instskip(NEXT) | instid1(VALU_DEP_1)
	v_lshlrev_b32_e32 v4, 20, v4
	v_or3_b32 v1, v1, v5, v4
	s_delay_alu instid0(VALU_DEP_1)
	v_cvt_i32_f32_e32 v4, v1
.LBB22_1312:
	s_or_b32 exec_lo, exec_lo, s24
.LBB22_1313:
	s_mov_b32 s24, -1
.LBB22_1314:
	s_branch .LBB22_1345
.LBB22_1315:
	s_cmp_gt_i32 s21, 22
	s_cbranch_scc0 .LBB22_1323
; %bb.1316:
	s_cmp_lt_i32 s21, 24
	s_cbranch_scc1 .LBB22_1326
; %bb.1317:
	s_cmp_gt_i32 s21, 24
	s_cbranch_scc0 .LBB22_1327
; %bb.1318:
	s_wait_loadcnt 0x0
	global_load_u8 v1, v[2:3], off
	s_mov_b32 s24, 0
	s_mov_b32 s23, exec_lo
	s_wait_loadcnt 0x0
	v_cmpx_lt_i16_e32 0x7f, v1
	s_xor_b32 s23, exec_lo, s23
	s_cbranch_execz .LBB22_1339
; %bb.1319:
	v_cmp_ne_u16_e32 vcc_lo, 0x80, v1
	s_and_b32 s24, vcc_lo, exec_lo
	s_and_not1_saveexec_b32 s23, s23
	s_cbranch_execnz .LBB22_1340
.LBB22_1320:
	s_or_b32 exec_lo, exec_lo, s23
	v_mov_b32_e32 v4, 0
	s_and_saveexec_b32 s23, s24
	s_cbranch_execz .LBB22_1322
.LBB22_1321:
	v_and_b32_e32 v4, 0xffff, v1
	s_delay_alu instid0(VALU_DEP_1) | instskip(SKIP_1) | instid1(VALU_DEP_2)
	v_and_b32_e32 v5, 3, v4
	v_bfe_u32 v8, v4, 2, 5
	v_clz_i32_u32_e32 v6, v5
	s_delay_alu instid0(VALU_DEP_2) | instskip(NEXT) | instid1(VALU_DEP_2)
	v_cmp_eq_u32_e32 vcc_lo, 0, v8
	v_min_u32_e32 v6, 32, v6
	s_delay_alu instid0(VALU_DEP_1) | instskip(NEXT) | instid1(VALU_DEP_1)
	v_subrev_nc_u32_e32 v7, 29, v6
	v_dual_lshlrev_b32 v4, v7, v4 :: v_dual_sub_nc_u32 v6, 30, v6
	s_delay_alu instid0(VALU_DEP_1) | instskip(NEXT) | instid1(VALU_DEP_1)
	v_dual_lshlrev_b32 v1, 24, v1 :: v_dual_bitop2_b32 v4, 3, v4 bitop3:0x40
	v_dual_cndmask_b32 v6, v8, v6, vcc_lo :: v_dual_cndmask_b32 v4, v5, v4, vcc_lo
	s_delay_alu instid0(VALU_DEP_2) | instskip(NEXT) | instid1(VALU_DEP_2)
	v_and_b32_e32 v1, 0x80000000, v1
	v_lshl_add_u32 v5, v6, 23, 0x37800000
	s_delay_alu instid0(VALU_DEP_3) | instskip(NEXT) | instid1(VALU_DEP_1)
	v_lshlrev_b32_e32 v4, 21, v4
	v_or3_b32 v1, v1, v5, v4
	s_delay_alu instid0(VALU_DEP_1)
	v_cvt_i32_f32_e32 v4, v1
.LBB22_1322:
	s_or_b32 exec_lo, exec_lo, s23
	s_mov_b32 s23, 0
	s_branch .LBB22_1328
.LBB22_1323:
	s_mov_b32 s23, -1
                                        ; implicit-def: $vgpr4
	s_branch .LBB22_1334
.LBB22_1324:
	s_and_not1_saveexec_b32 s24, s24
	s_cbranch_execz .LBB22_1310
.LBB22_1325:
	v_cmp_ne_u16_e32 vcc_lo, 0, v1
	s_and_not1_b32 s25, s25, exec_lo
	s_and_b32 s26, vcc_lo, exec_lo
	s_delay_alu instid0(SALU_CYCLE_1)
	s_or_b32 s25, s25, s26
	s_or_b32 exec_lo, exec_lo, s24
	v_mov_b32_e32 v4, 0
	s_and_saveexec_b32 s24, s25
	s_cbranch_execnz .LBB22_1311
	s_branch .LBB22_1312
.LBB22_1326:
	s_mov_b32 s23, -1
                                        ; implicit-def: $vgpr4
	s_branch .LBB22_1331
.LBB22_1327:
	s_mov_b32 s23, -1
                                        ; implicit-def: $vgpr4
.LBB22_1328:
	s_delay_alu instid0(SALU_CYCLE_1)
	s_and_b32 vcc_lo, exec_lo, s23
	s_cbranch_vccz .LBB22_1330
; %bb.1329:
	s_wait_loadcnt 0x0
	global_load_u8 v1, v[2:3], off
	s_wait_loadcnt 0x0
	v_lshlrev_b32_e32 v1, 24, v1
	s_delay_alu instid0(VALU_DEP_1) | instskip(NEXT) | instid1(VALU_DEP_1)
	v_and_b32_e32 v4, 0x7f000000, v1
	v_clz_i32_u32_e32 v5, v4
	v_cmp_ne_u32_e32 vcc_lo, 0, v4
	v_add_nc_u32_e32 v7, 0x1000000, v4
	s_delay_alu instid0(VALU_DEP_3) | instskip(NEXT) | instid1(VALU_DEP_1)
	v_min_u32_e32 v5, 32, v5
	v_sub_nc_u32_e64 v5, v5, 4 clamp
	s_delay_alu instid0(VALU_DEP_1) | instskip(NEXT) | instid1(VALU_DEP_1)
	v_dual_lshlrev_b32 v6, v5, v4 :: v_dual_lshlrev_b32 v5, 23, v5
	v_lshrrev_b32_e32 v6, 4, v6
	s_delay_alu instid0(VALU_DEP_1) | instskip(NEXT) | instid1(VALU_DEP_1)
	v_dual_sub_nc_u32 v5, v6, v5 :: v_dual_ashrrev_i32 v6, 8, v7
	v_add_nc_u32_e32 v5, 0x3c000000, v5
	s_delay_alu instid0(VALU_DEP_1) | instskip(NEXT) | instid1(VALU_DEP_1)
	v_and_or_b32 v5, 0x7f800000, v6, v5
	v_cndmask_b32_e32 v4, 0, v5, vcc_lo
	s_delay_alu instid0(VALU_DEP_1) | instskip(NEXT) | instid1(VALU_DEP_1)
	v_and_or_b32 v1, 0x80000000, v1, v4
	v_cvt_i32_f32_e32 v4, v1
.LBB22_1330:
	s_mov_b32 s23, 0
.LBB22_1331:
	s_delay_alu instid0(SALU_CYCLE_1)
	s_and_not1_b32 vcc_lo, exec_lo, s23
	s_cbranch_vccnz .LBB22_1333
; %bb.1332:
	s_wait_loadcnt 0x0
	global_load_u8 v1, v[2:3], off
	s_wait_loadcnt 0x0
	v_lshlrev_b32_e32 v4, 25, v1
	v_lshlrev_b16 v1, 8, v1
	s_delay_alu instid0(VALU_DEP_1) | instskip(SKIP_1) | instid1(VALU_DEP_2)
	v_and_or_b32 v6, 0x7f00, v1, 0.5
	v_bfe_i32 v1, v1, 0, 16
	v_dual_add_f32 v6, -0.5, v6 :: v_dual_lshrrev_b32 v5, 4, v4
	v_cmp_gt_u32_e32 vcc_lo, 0x8000000, v4
	s_delay_alu instid0(VALU_DEP_2) | instskip(NEXT) | instid1(VALU_DEP_1)
	v_or_b32_e32 v5, 0x70000000, v5
	v_mul_f32_e32 v5, 0x7800000, v5
	s_delay_alu instid0(VALU_DEP_1) | instskip(NEXT) | instid1(VALU_DEP_1)
	v_cndmask_b32_e32 v4, v5, v6, vcc_lo
	v_and_or_b32 v1, 0x80000000, v1, v4
	s_delay_alu instid0(VALU_DEP_1)
	v_cvt_i32_f32_e32 v4, v1
.LBB22_1333:
	s_mov_b32 s23, 0
	s_mov_b32 s24, -1
.LBB22_1334:
	s_and_not1_b32 vcc_lo, exec_lo, s23
	s_mov_b32 s23, 0
	s_cbranch_vccnz .LBB22_1345
; %bb.1335:
	s_cmp_gt_i32 s21, 14
	s_cbranch_scc0 .LBB22_1338
; %bb.1336:
	s_cmp_eq_u32 s21, 15
	s_cbranch_scc0 .LBB22_1341
; %bb.1337:
	s_wait_loadcnt 0x0
	global_load_u16 v1, v[2:3], off
	s_mov_b32 s22, 0
	s_mov_b32 s24, -1
	s_wait_loadcnt 0x0
	v_lshlrev_b32_e32 v1, 16, v1
	s_delay_alu instid0(VALU_DEP_1)
	v_cvt_i32_f32_e32 v4, v1
	s_branch .LBB22_1343
.LBB22_1338:
	s_mov_b32 s23, -1
	s_branch .LBB22_1342
.LBB22_1339:
	s_and_not1_saveexec_b32 s23, s23
	s_cbranch_execz .LBB22_1320
.LBB22_1340:
	v_cmp_ne_u16_e32 vcc_lo, 0, v1
	s_and_not1_b32 s24, s24, exec_lo
	s_and_b32 s25, vcc_lo, exec_lo
	s_delay_alu instid0(SALU_CYCLE_1)
	s_or_b32 s24, s24, s25
	s_or_b32 exec_lo, exec_lo, s23
	v_mov_b32_e32 v4, 0
	s_and_saveexec_b32 s23, s24
	s_cbranch_execnz .LBB22_1321
	s_branch .LBB22_1322
.LBB22_1341:
	s_mov_b32 s22, -1
.LBB22_1342:
                                        ; implicit-def: $vgpr4
.LBB22_1343:
	s_and_b32 vcc_lo, exec_lo, s23
	s_mov_b32 s23, 0
	s_cbranch_vccz .LBB22_1345
; %bb.1344:
	s_cmp_lg_u32 s21, 11
	s_mov_b32 s23, -1
	s_cselect_b32 s21, -1, 0
	s_and_not1_b32 s22, s22, exec_lo
	s_and_b32 s21, s21, exec_lo
	s_delay_alu instid0(SALU_CYCLE_1)
	s_or_b32 s22, s22, s21
.LBB22_1345:
	s_mov_b32 s21, 0
.LBB22_1346:
	s_and_not1_b32 s19, s19, exec_lo
	s_and_b32 s25, s22, exec_lo
	s_and_b32 s24, s24, exec_lo
	;; [unrolled: 1-line block ×4, first 2 shown]
	s_or_b32 s19, s19, s25
	s_wait_xcnt 0x0
	s_or_b32 exec_lo, exec_lo, s20
	s_and_saveexec_b32 s20, s19
	s_cbranch_execz .LBB22_1279
.LBB22_1347:
	s_or_b32 s17, s17, exec_lo
	s_and_not1_b32 s22, s22, exec_lo
	s_trap 2
	s_or_b32 exec_lo, exec_lo, s20
	s_and_saveexec_b32 s19, s22
	s_delay_alu instid0(SALU_CYCLE_1)
	s_xor_b32 s19, exec_lo, s19
	s_cbranch_execnz .LBB22_1280
.LBB22_1348:
	s_or_b32 exec_lo, exec_lo, s19
	s_and_saveexec_b32 s19, s21
	s_cbranch_execz .LBB22_1394
.LBB22_1349:
	s_sext_i32_i16 s20, s0
	s_delay_alu instid0(SALU_CYCLE_1)
	s_cmp_lt_i32 s20, 5
	s_cbranch_scc1 .LBB22_1354
; %bb.1350:
	s_cmp_lt_i32 s20, 8
	s_cbranch_scc1 .LBB22_1355
; %bb.1351:
	;; [unrolled: 3-line block ×3, first 2 shown]
	s_cmp_gt_i32 s20, 9
	s_cbranch_scc0 .LBB22_1357
; %bb.1353:
	s_wait_loadcnt 0x0
	global_load_b64 v[4:5], v[2:3], off
	s_mov_b32 s20, 0
	s_wait_loadcnt 0x0
	v_cvt_i32_f64_e32 v4, v[4:5]
	s_branch .LBB22_1358
.LBB22_1354:
                                        ; implicit-def: $vgpr4
	s_branch .LBB22_1375
.LBB22_1355:
                                        ; implicit-def: $vgpr4
	s_branch .LBB22_1364
.LBB22_1356:
	s_mov_b32 s20, -1
                                        ; implicit-def: $vgpr4
	s_branch .LBB22_1361
.LBB22_1357:
	s_mov_b32 s20, -1
                                        ; implicit-def: $vgpr4
.LBB22_1358:
	s_delay_alu instid0(SALU_CYCLE_1)
	s_and_not1_b32 vcc_lo, exec_lo, s20
	s_cbranch_vccnz .LBB22_1360
; %bb.1359:
	s_wait_loadcnt 0x0
	global_load_b32 v1, v[2:3], off
	s_wait_loadcnt 0x0
	v_cvt_i32_f32_e32 v4, v1
.LBB22_1360:
	s_mov_b32 s20, 0
.LBB22_1361:
	s_delay_alu instid0(SALU_CYCLE_1)
	s_and_not1_b32 vcc_lo, exec_lo, s20
	s_cbranch_vccnz .LBB22_1363
; %bb.1362:
	s_wait_loadcnt 0x0
	global_load_b32 v1, v[2:3], off
	s_wait_loadcnt 0x0
	v_cvt_i16_f16_e32 v4, v1
.LBB22_1363:
	s_cbranch_execnz .LBB22_1374
.LBB22_1364:
	s_sext_i32_i16 s20, s0
	s_delay_alu instid0(SALU_CYCLE_1)
	s_cmp_lt_i32 s20, 6
	s_cbranch_scc1 .LBB22_1367
; %bb.1365:
	s_cmp_gt_i32 s20, 6
	s_cbranch_scc0 .LBB22_1368
; %bb.1366:
	s_wait_loadcnt 0x0
	global_load_b64 v[4:5], v[2:3], off
	s_mov_b32 s20, 0
	s_wait_loadcnt 0x0
	v_cvt_i32_f64_e32 v4, v[4:5]
	s_branch .LBB22_1369
.LBB22_1367:
	s_mov_b32 s20, -1
                                        ; implicit-def: $vgpr4
	s_branch .LBB22_1372
.LBB22_1368:
	s_mov_b32 s20, -1
                                        ; implicit-def: $vgpr4
.LBB22_1369:
	s_delay_alu instid0(SALU_CYCLE_1)
	s_and_not1_b32 vcc_lo, exec_lo, s20
	s_cbranch_vccnz .LBB22_1371
; %bb.1370:
	s_wait_loadcnt 0x0
	global_load_b32 v1, v[2:3], off
	s_wait_loadcnt 0x0
	v_cvt_i32_f32_e32 v4, v1
.LBB22_1371:
	s_mov_b32 s20, 0
.LBB22_1372:
	s_delay_alu instid0(SALU_CYCLE_1)
	s_and_not1_b32 vcc_lo, exec_lo, s20
	s_cbranch_vccnz .LBB22_1374
; %bb.1373:
	s_wait_loadcnt 0x0
	global_load_u16 v1, v[2:3], off
	s_wait_loadcnt 0x0
	v_cvt_i16_f16_e32 v4, v1
.LBB22_1374:
	s_cbranch_execnz .LBB22_1393
.LBB22_1375:
	s_sext_i32_i16 s20, s0
	s_delay_alu instid0(SALU_CYCLE_1)
	s_cmp_lt_i32 s20, 2
	s_cbranch_scc1 .LBB22_1379
; %bb.1376:
	s_cmp_lt_i32 s20, 3
	s_cbranch_scc1 .LBB22_1380
; %bb.1377:
	s_cmp_gt_i32 s20, 3
	s_cbranch_scc0 .LBB22_1381
; %bb.1378:
	s_wait_loadcnt 0x0
	global_load_b64 v[4:5], v[2:3], off
	s_mov_b32 s20, 0
	s_branch .LBB22_1382
.LBB22_1379:
                                        ; implicit-def: $vgpr4
	s_branch .LBB22_1388
.LBB22_1380:
	s_mov_b32 s20, -1
                                        ; implicit-def: $vgpr4
	s_branch .LBB22_1385
.LBB22_1381:
	s_mov_b32 s20, -1
                                        ; implicit-def: $vgpr4
.LBB22_1382:
	s_delay_alu instid0(SALU_CYCLE_1)
	s_and_not1_b32 vcc_lo, exec_lo, s20
	s_cbranch_vccnz .LBB22_1384
; %bb.1383:
	s_wait_loadcnt 0x0
	global_load_b32 v4, v[2:3], off
.LBB22_1384:
	s_mov_b32 s20, 0
.LBB22_1385:
	s_delay_alu instid0(SALU_CYCLE_1)
	s_and_not1_b32 vcc_lo, exec_lo, s20
	s_cbranch_vccnz .LBB22_1387
; %bb.1386:
	s_wait_loadcnt 0x0
	global_load_u16 v4, v[2:3], off
.LBB22_1387:
	s_cbranch_execnz .LBB22_1393
.LBB22_1388:
	s_sext_i32_i16 s0, s0
	s_delay_alu instid0(SALU_CYCLE_1)
	s_cmp_gt_i32 s0, 0
	s_mov_b32 s0, 0
	s_cbranch_scc0 .LBB22_1390
; %bb.1389:
	s_wait_loadcnt 0x0
	global_load_u8 v4, v[2:3], off
	s_branch .LBB22_1391
.LBB22_1390:
	s_mov_b32 s0, -1
                                        ; implicit-def: $vgpr4
.LBB22_1391:
	s_delay_alu instid0(SALU_CYCLE_1)
	s_and_not1_b32 vcc_lo, exec_lo, s0
	s_cbranch_vccnz .LBB22_1393
; %bb.1392:
	s_wait_loadcnt 0x0
	global_load_u8 v4, v[2:3], off
.LBB22_1393:
	s_or_b32 s24, s24, exec_lo
.LBB22_1394:
	s_wait_xcnt 0x0
	s_or_b32 exec_lo, exec_lo, s19
	s_mov_b32 s0, 0
	s_mov_b32 s22, 0
                                        ; implicit-def: $sgpr19
                                        ; implicit-def: $sgpr20
                                        ; implicit-def: $vgpr2_vgpr3
	s_and_saveexec_b32 s21, s24
	s_cbranch_execz .LBB22_1402
; %bb.1395:
	v_mul_lo_u32 v2, v18, s8
	s_wait_loadcnt 0x0
	s_delay_alu instid0(VALU_DEP_2) | instskip(SKIP_2) | instid1(VALU_DEP_1)
	v_and_b32_e32 v1, 0xff, v4
	v_and_b32_e32 v0, 0xff, v0
	s_and_b32 s20, s12, 0xff
	v_cmp_ne_u16_e32 vcc_lo, v0, v1
	s_delay_alu instid0(VALU_DEP_4) | instskip(SKIP_2) | instid1(VALU_DEP_1)
	v_ashrrev_i32_e32 v3, 31, v2
	s_xor_b32 s19, s16, vcc_lo
	s_cmp_lt_i32 s20, 11
	v_add_nc_u64_e32 v[2:3], s[4:5], v[2:3]
	s_cbranch_scc1 .LBB22_1405
; %bb.1396:
	s_and_b32 s16, 0xffff, s20
	s_mov_b32 s22, -1
	s_cmp_gt_i32 s16, 25
	s_mov_b32 s0, s18
	s_cbranch_scc0 .LBB22_1433
; %bb.1397:
	s_cmp_gt_i32 s16, 28
	s_mov_b32 s0, s18
	s_cbranch_scc0 .LBB22_1417
; %bb.1398:
	;; [unrolled: 4-line block ×4, first 2 shown]
	s_cmp_eq_u32 s16, 46
	s_mov_b32 s0, -1
	s_cbranch_scc0 .LBB22_1406
; %bb.1401:
	v_cndmask_b32_e64 v0, 0, 1.0, s19
	s_mov_b32 s0, 0
	s_mov_b32 s22, 0
	s_delay_alu instid0(VALU_DEP_1) | instskip(NEXT) | instid1(VALU_DEP_1)
	v_bfe_u32 v1, v0, 16, 1
	v_add3_u32 v0, v0, v1, 0x7fff
	s_delay_alu instid0(VALU_DEP_1)
	v_lshrrev_b32_e32 v0, 16, v0
	global_store_b32 v[2:3], v0, off
	s_branch .LBB22_1407
.LBB22_1402:
	s_or_b32 exec_lo, exec_lo, s21
	s_and_saveexec_b32 s16, s18
	s_cbranch_execnz .LBB22_1475
.LBB22_1403:
	s_or_b32 exec_lo, exec_lo, s16
	s_and_saveexec_b32 s16, s0
	s_delay_alu instid0(SALU_CYCLE_1)
	s_xor_b32 s0, exec_lo, s16
	s_cbranch_execz .LBB22_1476
.LBB22_1404:
	s_wait_loadcnt 0x0
	v_cndmask_b32_e64 v0, 0, 1, s19
	global_store_b8 v[2:3], v0, off
	s_wait_xcnt 0x0
	s_or_b32 exec_lo, exec_lo, s0
	s_and_saveexec_b32 s0, s22
	s_delay_alu instid0(SALU_CYCLE_1)
	s_xor_b32 s0, exec_lo, s0
	s_cbranch_execz .LBB22_1514
	s_branch .LBB22_1477
.LBB22_1405:
	s_mov_b32 s23, 0
	s_mov_b32 s22, -1
	s_mov_b32 s0, s18
	s_branch .LBB22_1474
.LBB22_1406:
	s_mov_b32 s22, 0
.LBB22_1407:
	s_delay_alu instid0(SALU_CYCLE_1)
	s_and_b32 vcc_lo, exec_lo, s22
	s_cbranch_vccz .LBB22_1412
; %bb.1408:
	s_cmp_eq_u32 s16, 44
	s_mov_b32 s0, -1
	s_cbranch_scc0 .LBB22_1412
; %bb.1409:
	v_cndmask_b32_e64 v4, 0, 1.0, s19
	s_mov_b32 s22, exec_lo
	s_wait_xcnt 0x0
	s_delay_alu instid0(VALU_DEP_1) | instskip(NEXT) | instid1(VALU_DEP_1)
	v_dual_mov_b32 v1, 0xff :: v_dual_lshrrev_b32 v0, 23, v4
	v_cmpx_ne_u32_e32 0xff, v0
; %bb.1410:
	v_and_b32_e32 v1, 0x400000, v4
	v_and_or_b32 v4, 0x3fffff, v4, v0
	s_delay_alu instid0(VALU_DEP_2) | instskip(NEXT) | instid1(VALU_DEP_2)
	v_cmp_ne_u32_e32 vcc_lo, 0, v1
	v_cmp_ne_u32_e64 s0, 0, v4
	s_and_b32 s0, vcc_lo, s0
	s_delay_alu instid0(SALU_CYCLE_1) | instskip(NEXT) | instid1(VALU_DEP_1)
	v_cndmask_b32_e64 v1, 0, 1, s0
	v_add_nc_u32_e32 v1, v0, v1
; %bb.1411:
	s_or_b32 exec_lo, exec_lo, s22
	s_mov_b32 s0, 0
	global_store_b8 v[2:3], v1, off
.LBB22_1412:
	s_mov_b32 s22, 0
.LBB22_1413:
	s_delay_alu instid0(SALU_CYCLE_1)
	s_and_b32 vcc_lo, exec_lo, s22
	s_cbranch_vccz .LBB22_1416
; %bb.1414:
	s_cmp_eq_u32 s16, 29
	s_mov_b32 s0, -1
	s_cbranch_scc0 .LBB22_1416
; %bb.1415:
	s_mov_b32 s0, 0
	s_wait_xcnt 0x0
	v_cndmask_b32_e64 v0, 0, 1, s19
	v_mov_b32_e32 v1, s0
	s_mov_b32 s22, 0
	global_store_b64 v[2:3], v[0:1], off
	s_branch .LBB22_1417
.LBB22_1416:
	s_mov_b32 s22, 0
.LBB22_1417:
	s_delay_alu instid0(SALU_CYCLE_1)
	s_and_b32 vcc_lo, exec_lo, s22
	s_cbranch_vccz .LBB22_1432
; %bb.1418:
	s_cmp_lt_i32 s16, 27
	s_mov_b32 s22, -1
	s_cbranch_scc1 .LBB22_1424
; %bb.1419:
	s_wait_xcnt 0x0
	v_cndmask_b32_e64 v0, 0, 1, s19
	s_cmp_gt_i32 s16, 27
	s_cbranch_scc0 .LBB22_1421
; %bb.1420:
	s_mov_b32 s22, 0
	global_store_b32 v[2:3], v0, off
.LBB22_1421:
	s_and_not1_b32 vcc_lo, exec_lo, s22
	s_cbranch_vccnz .LBB22_1423
; %bb.1422:
	global_store_b16 v[2:3], v0, off
.LBB22_1423:
	s_mov_b32 s22, 0
.LBB22_1424:
	s_delay_alu instid0(SALU_CYCLE_1)
	s_and_not1_b32 vcc_lo, exec_lo, s22
	s_cbranch_vccnz .LBB22_1432
; %bb.1425:
	s_wait_xcnt 0x0
	v_cndmask_b32_e64 v1, 0, 1.0, s19
	v_mov_b32_e32 v4, 0x80
	s_mov_b32 s22, exec_lo
	s_delay_alu instid0(VALU_DEP_2)
	v_cmpx_gt_u32_e32 0x43800000, v1
	s_cbranch_execz .LBB22_1431
; %bb.1426:
	s_mov_b32 s23, 0
	s_mov_b32 s24, exec_lo
                                        ; implicit-def: $vgpr0
	v_cmpx_lt_u32_e32 0x3bffffff, v1
	s_xor_b32 s24, exec_lo, s24
	s_cbranch_execz .LBB22_1529
; %bb.1427:
	v_bfe_u32 v0, v1, 20, 1
	s_mov_b32 s23, exec_lo
	s_delay_alu instid0(VALU_DEP_1) | instskip(NEXT) | instid1(VALU_DEP_1)
	v_add3_u32 v0, v1, v0, 0x487ffff
                                        ; implicit-def: $vgpr1
	v_lshrrev_b32_e32 v0, 20, v0
	s_and_not1_saveexec_b32 s24, s24
	s_cbranch_execnz .LBB22_1530
.LBB22_1428:
	s_or_b32 exec_lo, exec_lo, s24
	v_mov_b32_e32 v4, 0
	s_and_saveexec_b32 s24, s23
.LBB22_1429:
	v_mov_b32_e32 v4, v0
.LBB22_1430:
	s_or_b32 exec_lo, exec_lo, s24
.LBB22_1431:
	s_delay_alu instid0(SALU_CYCLE_1)
	s_or_b32 exec_lo, exec_lo, s22
	global_store_b8 v[2:3], v4, off
.LBB22_1432:
	s_mov_b32 s22, 0
.LBB22_1433:
	s_delay_alu instid0(SALU_CYCLE_1)
	s_and_b32 vcc_lo, exec_lo, s22
	s_mov_b32 s22, 0
	s_cbranch_vccz .LBB22_1473
; %bb.1434:
	s_cmp_gt_i32 s16, 22
	s_mov_b32 s23, -1
	s_cbranch_scc0 .LBB22_1466
; %bb.1435:
	s_cmp_lt_i32 s16, 24
	s_cbranch_scc1 .LBB22_1455
; %bb.1436:
	s_cmp_gt_i32 s16, 24
	s_cbranch_scc0 .LBB22_1444
; %bb.1437:
	s_wait_xcnt 0x0
	v_cndmask_b32_e64 v1, 0, 1.0, s19
	v_mov_b32_e32 v4, 0x80
	s_mov_b32 s23, exec_lo
	s_delay_alu instid0(VALU_DEP_2)
	v_cmpx_gt_u32_e32 0x47800000, v1
	s_cbranch_execz .LBB22_1443
; %bb.1438:
	s_mov_b32 s24, 0
	s_mov_b32 s25, exec_lo
                                        ; implicit-def: $vgpr0
	v_cmpx_lt_u32_e32 0x37ffffff, v1
	s_xor_b32 s25, exec_lo, s25
	s_cbranch_execz .LBB22_1650
; %bb.1439:
	v_bfe_u32 v0, v1, 21, 1
	s_mov_b32 s24, exec_lo
	s_delay_alu instid0(VALU_DEP_1) | instskip(NEXT) | instid1(VALU_DEP_1)
	v_add3_u32 v0, v1, v0, 0x88fffff
                                        ; implicit-def: $vgpr1
	v_lshrrev_b32_e32 v0, 21, v0
	s_and_not1_saveexec_b32 s25, s25
	s_cbranch_execnz .LBB22_1651
.LBB22_1440:
	s_or_b32 exec_lo, exec_lo, s25
	v_mov_b32_e32 v4, 0
	s_and_saveexec_b32 s25, s24
.LBB22_1441:
	v_mov_b32_e32 v4, v0
.LBB22_1442:
	s_or_b32 exec_lo, exec_lo, s25
.LBB22_1443:
	s_delay_alu instid0(SALU_CYCLE_1)
	s_or_b32 exec_lo, exec_lo, s23
	s_mov_b32 s23, 0
	global_store_b8 v[2:3], v4, off
.LBB22_1444:
	s_and_b32 vcc_lo, exec_lo, s23
	s_cbranch_vccz .LBB22_1454
; %bb.1445:
	s_wait_xcnt 0x0
	v_cndmask_b32_e64 v1, 0, 1.0, s19
	s_mov_b32 s23, exec_lo
                                        ; implicit-def: $vgpr0
	s_delay_alu instid0(VALU_DEP_1)
	v_cmpx_gt_u32_e32 0x43f00000, v1
	s_xor_b32 s23, exec_lo, s23
	s_cbranch_execz .LBB22_1451
; %bb.1446:
	s_mov_b32 s24, exec_lo
                                        ; implicit-def: $vgpr0
	v_cmpx_lt_u32_e32 0x3c7fffff, v1
	s_xor_b32 s24, exec_lo, s24
; %bb.1447:
	v_bfe_u32 v0, v1, 20, 1
	s_delay_alu instid0(VALU_DEP_1) | instskip(NEXT) | instid1(VALU_DEP_1)
	v_add3_u32 v0, v1, v0, 0x407ffff
	v_and_b32_e32 v1, 0xff00000, v0
	v_lshrrev_b32_e32 v0, 20, v0
	s_delay_alu instid0(VALU_DEP_2) | instskip(NEXT) | instid1(VALU_DEP_2)
	v_cmp_ne_u32_e32 vcc_lo, 0x7f00000, v1
                                        ; implicit-def: $vgpr1
	v_cndmask_b32_e32 v0, 0x7e, v0, vcc_lo
; %bb.1448:
	s_and_not1_saveexec_b32 s24, s24
; %bb.1449:
	v_add_f32_e32 v0, 0x46800000, v1
; %bb.1450:
	s_or_b32 exec_lo, exec_lo, s24
                                        ; implicit-def: $vgpr1
.LBB22_1451:
	s_and_not1_saveexec_b32 s23, s23
; %bb.1452:
	v_mov_b32_e32 v0, 0x7f
	v_cmp_lt_u32_e32 vcc_lo, 0x7f800000, v1
	s_delay_alu instid0(VALU_DEP_2)
	v_cndmask_b32_e32 v0, 0x7e, v0, vcc_lo
; %bb.1453:
	s_or_b32 exec_lo, exec_lo, s23
	global_store_b8 v[2:3], v0, off
.LBB22_1454:
	s_mov_b32 s23, 0
.LBB22_1455:
	s_delay_alu instid0(SALU_CYCLE_1)
	s_and_not1_b32 vcc_lo, exec_lo, s23
	s_cbranch_vccnz .LBB22_1465
; %bb.1456:
	s_wait_xcnt 0x0
	v_cndmask_b32_e64 v1, 0, 1.0, s19
	s_mov_b32 s23, exec_lo
                                        ; implicit-def: $vgpr0
	s_delay_alu instid0(VALU_DEP_1)
	v_cmpx_gt_u32_e32 0x47800000, v1
	s_xor_b32 s23, exec_lo, s23
	s_cbranch_execz .LBB22_1462
; %bb.1457:
	s_mov_b32 s24, exec_lo
                                        ; implicit-def: $vgpr0
	v_cmpx_lt_u32_e32 0x387fffff, v1
	s_xor_b32 s24, exec_lo, s24
; %bb.1458:
	v_bfe_u32 v0, v1, 21, 1
	s_delay_alu instid0(VALU_DEP_1) | instskip(NEXT) | instid1(VALU_DEP_1)
	v_add3_u32 v0, v1, v0, 0x80fffff
                                        ; implicit-def: $vgpr1
	v_lshrrev_b32_e32 v0, 21, v0
; %bb.1459:
	s_and_not1_saveexec_b32 s24, s24
; %bb.1460:
	v_add_f32_e32 v0, 0x43000000, v1
; %bb.1461:
	s_or_b32 exec_lo, exec_lo, s24
                                        ; implicit-def: $vgpr1
.LBB22_1462:
	s_and_not1_saveexec_b32 s23, s23
; %bb.1463:
	v_mov_b32_e32 v0, 0x7f
	v_cmp_lt_u32_e32 vcc_lo, 0x7f800000, v1
	s_delay_alu instid0(VALU_DEP_2)
	v_cndmask_b32_e32 v0, 0x7c, v0, vcc_lo
; %bb.1464:
	s_or_b32 exec_lo, exec_lo, s23
	global_store_b8 v[2:3], v0, off
.LBB22_1465:
	s_mov_b32 s23, 0
.LBB22_1466:
	s_delay_alu instid0(SALU_CYCLE_1)
	s_and_not1_b32 vcc_lo, exec_lo, s23
	s_mov_b32 s23, 0
	s_cbranch_vccnz .LBB22_1474
; %bb.1467:
	s_cmp_gt_i32 s16, 14
	s_mov_b32 s23, -1
	s_cbranch_scc0 .LBB22_1471
; %bb.1468:
	s_cmp_eq_u32 s16, 15
	s_mov_b32 s0, -1
	s_cbranch_scc0 .LBB22_1470
; %bb.1469:
	s_wait_xcnt 0x0
	v_cndmask_b32_e64 v0, 0, 1.0, s19
	s_mov_b32 s0, 0
	s_delay_alu instid0(VALU_DEP_1) | instskip(NEXT) | instid1(VALU_DEP_1)
	v_bfe_u32 v1, v0, 16, 1
	v_add3_u32 v0, v0, v1, 0x7fff
	global_store_d16_hi_b16 v[2:3], v0, off
.LBB22_1470:
	s_mov_b32 s23, 0
.LBB22_1471:
	s_delay_alu instid0(SALU_CYCLE_1)
	s_and_b32 vcc_lo, exec_lo, s23
	s_mov_b32 s23, 0
	s_cbranch_vccz .LBB22_1474
; %bb.1472:
	s_cmp_lg_u32 s16, 11
	s_mov_b32 s23, -1
	s_cselect_b32 s16, -1, 0
	s_and_not1_b32 s0, s0, exec_lo
	s_and_b32 s16, s16, exec_lo
	s_delay_alu instid0(SALU_CYCLE_1)
	s_or_b32 s0, s0, s16
	s_branch .LBB22_1474
.LBB22_1473:
	s_mov_b32 s23, 0
.LBB22_1474:
	s_and_not1_b32 s16, s18, exec_lo
	s_and_b32 s18, s0, exec_lo
	s_and_b32 s22, s22, exec_lo
	;; [unrolled: 1-line block ×3, first 2 shown]
	s_or_b32 s18, s16, s18
	s_wait_xcnt 0x0
	s_or_b32 exec_lo, exec_lo, s21
	s_and_saveexec_b32 s16, s18
	s_cbranch_execz .LBB22_1403
.LBB22_1475:
	s_or_b32 s17, s17, exec_lo
	s_and_not1_b32 s0, s0, exec_lo
	s_trap 2
	s_or_b32 exec_lo, exec_lo, s16
	s_and_saveexec_b32 s16, s0
	s_delay_alu instid0(SALU_CYCLE_1)
	s_xor_b32 s0, exec_lo, s16
	s_cbranch_execnz .LBB22_1404
.LBB22_1476:
	s_or_b32 exec_lo, exec_lo, s0
	s_and_saveexec_b32 s0, s22
	s_delay_alu instid0(SALU_CYCLE_1)
	s_xor_b32 s0, exec_lo, s0
	s_cbranch_execz .LBB22_1514
.LBB22_1477:
	s_sext_i32_i16 s18, s20
	s_mov_b32 s16, -1
	s_cmp_lt_i32 s18, 5
	s_cbranch_scc1 .LBB22_1498
; %bb.1478:
	s_cmp_lt_i32 s18, 8
	s_cbranch_scc1 .LBB22_1488
; %bb.1479:
	;; [unrolled: 3-line block ×3, first 2 shown]
	s_cmp_gt_i32 s18, 9
	s_cbranch_scc0 .LBB22_1482
; %bb.1481:
	s_wait_loadcnt 0x0
	v_cndmask_b32_e64 v0, 0, 1, s19
	v_mov_b32_e32 v6, 0
	s_mov_b32 s16, 0
	s_delay_alu instid0(VALU_DEP_2) | instskip(NEXT) | instid1(VALU_DEP_2)
	v_cvt_f64_u32_e32 v[4:5], v0
	v_mov_b32_e32 v7, v6
	global_store_b128 v[2:3], v[4:7], off
.LBB22_1482:
	s_and_not1_b32 vcc_lo, exec_lo, s16
	s_cbranch_vccnz .LBB22_1484
; %bb.1483:
	s_wait_loadcnt 0x0
	v_cndmask_b32_e64 v0, 0, 1.0, s19
	v_mov_b32_e32 v1, 0
	global_store_b64 v[2:3], v[0:1], off
.LBB22_1484:
	s_mov_b32 s16, 0
.LBB22_1485:
	s_delay_alu instid0(SALU_CYCLE_1)
	s_and_not1_b32 vcc_lo, exec_lo, s16
	s_cbranch_vccnz .LBB22_1487
; %bb.1486:
	s_wait_loadcnt 0x0
	v_cndmask_b32_e64 v0, 0, 1.0, s19
	s_delay_alu instid0(VALU_DEP_1) | instskip(NEXT) | instid1(VALU_DEP_1)
	v_cvt_f16_f32_e32 v0, v0
	v_and_b32_e32 v0, 0xffff, v0
	global_store_b32 v[2:3], v0, off
.LBB22_1487:
	s_mov_b32 s16, 0
.LBB22_1488:
	s_delay_alu instid0(SALU_CYCLE_1)
	s_and_not1_b32 vcc_lo, exec_lo, s16
	s_cbranch_vccnz .LBB22_1497
; %bb.1489:
	s_sext_i32_i16 s18, s20
	s_mov_b32 s16, -1
	s_cmp_lt_i32 s18, 6
	s_cbranch_scc1 .LBB22_1495
; %bb.1490:
	s_cmp_gt_i32 s18, 6
	s_cbranch_scc0 .LBB22_1492
; %bb.1491:
	s_wait_loadcnt 0x0
	v_cndmask_b32_e64 v0, 0, 1, s19
	s_mov_b32 s16, 0
	s_delay_alu instid0(VALU_DEP_1)
	v_cvt_f64_u32_e32 v[0:1], v0
	global_store_b64 v[2:3], v[0:1], off
.LBB22_1492:
	s_and_not1_b32 vcc_lo, exec_lo, s16
	s_cbranch_vccnz .LBB22_1494
; %bb.1493:
	s_wait_loadcnt 0x0
	v_cndmask_b32_e64 v0, 0, 1.0, s19
	global_store_b32 v[2:3], v0, off
.LBB22_1494:
	s_mov_b32 s16, 0
.LBB22_1495:
	s_delay_alu instid0(SALU_CYCLE_1)
	s_and_not1_b32 vcc_lo, exec_lo, s16
	s_cbranch_vccnz .LBB22_1497
; %bb.1496:
	s_wait_loadcnt 0x0
	v_cndmask_b32_e64 v0, 0, 1.0, s19
	s_delay_alu instid0(VALU_DEP_1)
	v_cvt_f16_f32_e32 v0, v0
	global_store_b16 v[2:3], v0, off
.LBB22_1497:
	s_mov_b32 s16, 0
.LBB22_1498:
	s_delay_alu instid0(SALU_CYCLE_1)
	s_and_not1_b32 vcc_lo, exec_lo, s16
	s_cbranch_vccnz .LBB22_1514
; %bb.1499:
	s_sext_i32_i16 s18, s20
	s_mov_b32 s16, -1
	s_cmp_lt_i32 s18, 2
	s_cbranch_scc1 .LBB22_1509
; %bb.1500:
	s_cmp_lt_i32 s18, 3
	s_cbranch_scc1 .LBB22_1506
; %bb.1501:
	s_cmp_gt_i32 s18, 3
	s_cbranch_scc0 .LBB22_1503
; %bb.1502:
	s_mov_b32 s16, 0
	s_wait_loadcnt 0x0
	v_cndmask_b32_e64 v0, 0, 1, s19
	v_mov_b32_e32 v1, s16
	global_store_b64 v[2:3], v[0:1], off
.LBB22_1503:
	s_and_not1_b32 vcc_lo, exec_lo, s16
	s_cbranch_vccnz .LBB22_1505
; %bb.1504:
	s_wait_loadcnt 0x0
	v_cndmask_b32_e64 v0, 0, 1, s19
	global_store_b32 v[2:3], v0, off
.LBB22_1505:
	s_mov_b32 s16, 0
.LBB22_1506:
	s_delay_alu instid0(SALU_CYCLE_1)
	s_and_not1_b32 vcc_lo, exec_lo, s16
	s_cbranch_vccnz .LBB22_1508
; %bb.1507:
	s_wait_loadcnt 0x0
	v_cndmask_b32_e64 v0, 0, 1, s19
	global_store_b16 v[2:3], v0, off
.LBB22_1508:
	s_mov_b32 s16, 0
.LBB22_1509:
	s_delay_alu instid0(SALU_CYCLE_1)
	s_and_not1_b32 vcc_lo, exec_lo, s16
	s_cbranch_vccnz .LBB22_1514
; %bb.1510:
	s_wait_loadcnt 0x0
	v_cndmask_b32_e64 v0, 0, 1, s19
	s_sext_i32_i16 s16, s20
	s_delay_alu instid0(SALU_CYCLE_1)
	s_cmp_gt_i32 s16, 0
	s_mov_b32 s16, -1
	s_cbranch_scc0 .LBB22_1512
; %bb.1511:
	s_mov_b32 s16, 0
	global_store_b8 v[2:3], v0, off
.LBB22_1512:
	s_and_not1_b32 vcc_lo, exec_lo, s16
	s_cbranch_vccnz .LBB22_1514
; %bb.1513:
	global_store_b8 v[2:3], v0, off
.LBB22_1514:
	s_wait_xcnt 0x0
	s_or_b32 exec_lo, exec_lo, s0
	s_delay_alu instid0(SALU_CYCLE_1)
	s_and_b32 s16, s17, exec_lo
                                        ; implicit-def: $vgpr18
.LBB22_1515:
	s_or_saveexec_b32 s15, s15
	s_mov_b32 s0, 0
                                        ; implicit-def: $sgpr18
                                        ; implicit-def: $sgpr17
                                        ; implicit-def: $vgpr0_vgpr1
	s_xor_b32 exec_lo, exec_lo, s15
	s_cbranch_execz .LBB22_2959
; %bb.1516:
	v_mul_lo_u32 v2, s9, v18
	s_and_b32 s0, s14, 0xff
	s_delay_alu instid0(SALU_CYCLE_1) | instskip(NEXT) | instid1(VALU_DEP_1)
	s_cmp_lt_i32 s0, 11
	v_ashrrev_i32_e32 v3, 31, v2
	s_wait_loadcnt 0x0
	s_delay_alu instid0(VALU_DEP_1)
	v_add_nc_u64_e32 v[4:5], s[6:7], v[2:3]
	s_cbranch_scc1 .LBB22_1523
; %bb.1517:
	s_and_b32 s13, 0xffff, s0
	s_mov_b32 s17, 0
	s_cmp_gt_i32 s13, 25
	s_cbranch_scc0 .LBB22_1525
; %bb.1518:
	s_cmp_gt_i32 s13, 28
	s_cbranch_scc0 .LBB22_1526
; %bb.1519:
	;; [unrolled: 3-line block ×4, first 2 shown]
	s_cmp_eq_u32 s13, 46
	s_mov_b32 s19, 0
	s_cbranch_scc0 .LBB22_1531
; %bb.1522:
	global_load_b32 v0, v[4:5], off
	s_mov_b32 s14, 0
	s_mov_b32 s18, -1
	s_wait_loadcnt 0x0
	v_lshlrev_b32_e32 v0, 16, v0
	s_delay_alu instid0(VALU_DEP_1)
	v_cvt_i32_f32_e32 v0, v0
	s_branch .LBB22_1533
.LBB22_1523:
	s_mov_b32 s18, 0
	s_mov_b32 s13, s16
                                        ; implicit-def: $vgpr0
	s_cbranch_execnz .LBB22_1591
.LBB22_1524:
	s_and_not1_b32 vcc_lo, exec_lo, s18
	s_cbranch_vccz .LBB22_1636
	s_branch .LBB22_2957
.LBB22_1525:
	s_mov_b32 s18, 0
	s_mov_b32 s14, 0
                                        ; implicit-def: $vgpr0
	s_cbranch_execnz .LBB22_1558
	s_branch .LBB22_1587
.LBB22_1526:
	s_mov_b32 s18, 0
	s_mov_b32 s14, 0
                                        ; implicit-def: $vgpr0
	s_cbranch_execz .LBB22_1557
	s_branch .LBB22_1542
.LBB22_1527:
	s_mov_b32 s18, 0
	s_mov_b32 s14, 0
                                        ; implicit-def: $vgpr0
	s_cbranch_execnz .LBB22_1538
	s_branch .LBB22_1541
.LBB22_1528:
	s_mov_b32 s19, -1
	s_mov_b32 s18, 0
	s_mov_b32 s14, 0
	s_branch .LBB22_1532
.LBB22_1529:
	s_and_not1_saveexec_b32 s24, s24
	s_cbranch_execz .LBB22_1428
.LBB22_1530:
	v_add_f32_e32 v0, 0x46000000, v1
	s_and_not1_b32 s23, s23, exec_lo
	s_delay_alu instid0(VALU_DEP_1) | instskip(NEXT) | instid1(VALU_DEP_1)
	v_and_b32_e32 v0, 0xff, v0
	v_cmp_ne_u32_e32 vcc_lo, 0, v0
	s_and_b32 s25, vcc_lo, exec_lo
	s_delay_alu instid0(SALU_CYCLE_1)
	s_or_b32 s23, s23, s25
	s_or_b32 exec_lo, exec_lo, s24
	v_mov_b32_e32 v4, 0
	s_and_saveexec_b32 s24, s23
	s_cbranch_execnz .LBB22_1429
	s_branch .LBB22_1430
.LBB22_1531:
	s_mov_b32 s14, -1
	s_mov_b32 s18, 0
.LBB22_1532:
                                        ; implicit-def: $vgpr0
.LBB22_1533:
	s_and_b32 vcc_lo, exec_lo, s19
	s_cbranch_vccz .LBB22_1536
; %bb.1534:
	s_cmp_eq_u32 s13, 44
	s_cbranch_scc0 .LBB22_1537
; %bb.1535:
	global_load_u8 v0, v[4:5], off
	s_mov_b32 s14, 0
	s_mov_b32 s18, -1
	s_wait_loadcnt 0x0
	v_lshlrev_b32_e32 v1, 23, v0
	v_cmp_ne_u32_e32 vcc_lo, 0, v0
	s_delay_alu instid0(VALU_DEP_2) | instskip(NEXT) | instid1(VALU_DEP_1)
	v_cvt_i32_f32_e32 v1, v1
	v_cndmask_b32_e32 v0, 0, v1, vcc_lo
.LBB22_1536:
	s_branch .LBB22_1541
.LBB22_1537:
	s_mov_b32 s14, -1
                                        ; implicit-def: $vgpr0
	s_branch .LBB22_1541
.LBB22_1538:
	s_cmp_eq_u32 s13, 29
	s_cbranch_scc0 .LBB22_1540
; %bb.1539:
	global_load_b64 v[0:1], v[4:5], off
	s_mov_b32 s14, 0
	s_mov_b32 s18, -1
	s_branch .LBB22_1541
.LBB22_1540:
	s_mov_b32 s14, -1
                                        ; implicit-def: $vgpr0
.LBB22_1541:
	s_branch .LBB22_1557
.LBB22_1542:
	s_cmp_lt_i32 s13, 27
	s_cbranch_scc1 .LBB22_1545
; %bb.1543:
	s_cmp_gt_i32 s13, 27
	s_cbranch_scc0 .LBB22_1546
; %bb.1544:
	s_wait_loadcnt 0x0
	global_load_b32 v0, v[4:5], off
	s_mov_b32 s18, 0
	s_branch .LBB22_1547
.LBB22_1545:
	s_mov_b32 s18, -1
                                        ; implicit-def: $vgpr0
	s_branch .LBB22_1550
.LBB22_1546:
	s_mov_b32 s18, -1
                                        ; implicit-def: $vgpr0
.LBB22_1547:
	s_delay_alu instid0(SALU_CYCLE_1)
	s_and_not1_b32 vcc_lo, exec_lo, s18
	s_cbranch_vccnz .LBB22_1549
; %bb.1548:
	s_wait_loadcnt 0x0
	global_load_u16 v0, v[4:5], off
.LBB22_1549:
	s_mov_b32 s18, 0
.LBB22_1550:
	s_delay_alu instid0(SALU_CYCLE_1)
	s_and_not1_b32 vcc_lo, exec_lo, s18
	s_cbranch_vccnz .LBB22_1556
; %bb.1551:
	s_wait_loadcnt 0x0
	global_load_u8 v1, v[4:5], off
	s_mov_b32 s19, 0
	s_mov_b32 s18, exec_lo
	s_wait_loadcnt 0x0
	v_cmpx_lt_i16_e32 0x7f, v1
	s_xor_b32 s18, exec_lo, s18
	s_cbranch_execz .LBB22_1567
; %bb.1552:
	v_cmp_ne_u16_e32 vcc_lo, 0x80, v1
	s_and_b32 s19, vcc_lo, exec_lo
	s_and_not1_saveexec_b32 s18, s18
	s_cbranch_execnz .LBB22_1568
.LBB22_1553:
	s_or_b32 exec_lo, exec_lo, s18
	v_mov_b32_e32 v0, 0
	s_and_saveexec_b32 s18, s19
	s_cbranch_execz .LBB22_1555
.LBB22_1554:
	v_and_b32_e32 v0, 0xffff, v1
	s_delay_alu instid0(VALU_DEP_1) | instskip(SKIP_1) | instid1(VALU_DEP_2)
	v_and_b32_e32 v3, 7, v0
	v_bfe_u32 v8, v0, 3, 4
	v_clz_i32_u32_e32 v6, v3
	s_delay_alu instid0(VALU_DEP_2) | instskip(NEXT) | instid1(VALU_DEP_2)
	v_cmp_eq_u32_e32 vcc_lo, 0, v8
	v_min_u32_e32 v6, 32, v6
	s_delay_alu instid0(VALU_DEP_1) | instskip(NEXT) | instid1(VALU_DEP_1)
	v_subrev_nc_u32_e32 v7, 28, v6
	v_dual_lshlrev_b32 v0, v7, v0 :: v_dual_sub_nc_u32 v6, 29, v6
	s_delay_alu instid0(VALU_DEP_1) | instskip(NEXT) | instid1(VALU_DEP_1)
	v_dual_lshlrev_b32 v1, 24, v1 :: v_dual_bitop2_b32 v0, 7, v0 bitop3:0x40
	v_dual_cndmask_b32 v6, v8, v6, vcc_lo :: v_dual_cndmask_b32 v0, v3, v0, vcc_lo
	s_delay_alu instid0(VALU_DEP_2) | instskip(NEXT) | instid1(VALU_DEP_2)
	v_and_b32_e32 v1, 0x80000000, v1
	v_lshl_add_u32 v3, v6, 23, 0x3b800000
	s_delay_alu instid0(VALU_DEP_3) | instskip(NEXT) | instid1(VALU_DEP_1)
	v_lshlrev_b32_e32 v0, 20, v0
	v_or3_b32 v0, v1, v3, v0
	s_delay_alu instid0(VALU_DEP_1)
	v_cvt_i32_f32_e32 v0, v0
.LBB22_1555:
	s_or_b32 exec_lo, exec_lo, s18
.LBB22_1556:
	s_mov_b32 s18, -1
.LBB22_1557:
	s_branch .LBB22_1587
.LBB22_1558:
	s_cmp_gt_i32 s13, 22
	s_cbranch_scc0 .LBB22_1566
; %bb.1559:
	s_cmp_lt_i32 s13, 24
	s_cbranch_scc1 .LBB22_1569
; %bb.1560:
	s_cmp_gt_i32 s13, 24
	s_cbranch_scc0 .LBB22_1570
; %bb.1561:
	s_wait_loadcnt 0x0
	global_load_u8 v1, v[4:5], off
	s_mov_b32 s18, 0
	s_mov_b32 s17, exec_lo
	s_wait_loadcnt 0x0
	v_cmpx_lt_i16_e32 0x7f, v1
	s_xor_b32 s17, exec_lo, s17
	s_cbranch_execz .LBB22_1581
; %bb.1562:
	v_cmp_ne_u16_e32 vcc_lo, 0x80, v1
	s_and_b32 s18, vcc_lo, exec_lo
	s_and_not1_saveexec_b32 s17, s17
	s_cbranch_execnz .LBB22_1582
.LBB22_1563:
	s_or_b32 exec_lo, exec_lo, s17
	v_mov_b32_e32 v0, 0
	s_and_saveexec_b32 s17, s18
	s_cbranch_execz .LBB22_1565
.LBB22_1564:
	v_and_b32_e32 v0, 0xffff, v1
	s_delay_alu instid0(VALU_DEP_1) | instskip(SKIP_1) | instid1(VALU_DEP_2)
	v_and_b32_e32 v3, 3, v0
	v_bfe_u32 v8, v0, 2, 5
	v_clz_i32_u32_e32 v6, v3
	s_delay_alu instid0(VALU_DEP_2) | instskip(NEXT) | instid1(VALU_DEP_2)
	v_cmp_eq_u32_e32 vcc_lo, 0, v8
	v_min_u32_e32 v6, 32, v6
	s_delay_alu instid0(VALU_DEP_1) | instskip(NEXT) | instid1(VALU_DEP_1)
	v_subrev_nc_u32_e32 v7, 29, v6
	v_dual_lshlrev_b32 v0, v7, v0 :: v_dual_sub_nc_u32 v6, 30, v6
	s_delay_alu instid0(VALU_DEP_1) | instskip(NEXT) | instid1(VALU_DEP_1)
	v_dual_lshlrev_b32 v1, 24, v1 :: v_dual_bitop2_b32 v0, 3, v0 bitop3:0x40
	v_dual_cndmask_b32 v6, v8, v6, vcc_lo :: v_dual_cndmask_b32 v0, v3, v0, vcc_lo
	s_delay_alu instid0(VALU_DEP_2) | instskip(NEXT) | instid1(VALU_DEP_2)
	v_and_b32_e32 v1, 0x80000000, v1
	v_lshl_add_u32 v3, v6, 23, 0x37800000
	s_delay_alu instid0(VALU_DEP_3) | instskip(NEXT) | instid1(VALU_DEP_1)
	v_lshlrev_b32_e32 v0, 21, v0
	v_or3_b32 v0, v1, v3, v0
	s_delay_alu instid0(VALU_DEP_1)
	v_cvt_i32_f32_e32 v0, v0
.LBB22_1565:
	s_or_b32 exec_lo, exec_lo, s17
	s_mov_b32 s17, 0
	s_branch .LBB22_1571
.LBB22_1566:
                                        ; implicit-def: $vgpr0
	s_mov_b32 s17, 0
	s_branch .LBB22_1577
.LBB22_1567:
	s_and_not1_saveexec_b32 s18, s18
	s_cbranch_execz .LBB22_1553
.LBB22_1568:
	v_cmp_ne_u16_e32 vcc_lo, 0, v1
	s_and_not1_b32 s19, s19, exec_lo
	s_and_b32 s20, vcc_lo, exec_lo
	s_delay_alu instid0(SALU_CYCLE_1)
	s_or_b32 s19, s19, s20
	s_or_b32 exec_lo, exec_lo, s18
	v_mov_b32_e32 v0, 0
	s_and_saveexec_b32 s18, s19
	s_cbranch_execnz .LBB22_1554
	s_branch .LBB22_1555
.LBB22_1569:
	s_mov_b32 s17, -1
                                        ; implicit-def: $vgpr0
	s_branch .LBB22_1574
.LBB22_1570:
	s_mov_b32 s17, -1
                                        ; implicit-def: $vgpr0
.LBB22_1571:
	s_delay_alu instid0(SALU_CYCLE_1)
	s_and_b32 vcc_lo, exec_lo, s17
	s_cbranch_vccz .LBB22_1573
; %bb.1572:
	s_wait_loadcnt 0x0
	global_load_u8 v0, v[4:5], off
	s_wait_loadcnt 0x0
	v_lshlrev_b32_e32 v0, 24, v0
	s_delay_alu instid0(VALU_DEP_1) | instskip(NEXT) | instid1(VALU_DEP_1)
	v_and_b32_e32 v1, 0x7f000000, v0
	v_clz_i32_u32_e32 v3, v1
	v_add_nc_u32_e32 v7, 0x1000000, v1
	v_cmp_ne_u32_e32 vcc_lo, 0, v1
	s_delay_alu instid0(VALU_DEP_3) | instskip(NEXT) | instid1(VALU_DEP_1)
	v_min_u32_e32 v3, 32, v3
	v_sub_nc_u32_e64 v3, v3, 4 clamp
	s_delay_alu instid0(VALU_DEP_1) | instskip(NEXT) | instid1(VALU_DEP_1)
	v_dual_lshlrev_b32 v6, v3, v1 :: v_dual_lshlrev_b32 v3, 23, v3
	v_lshrrev_b32_e32 v6, 4, v6
	s_delay_alu instid0(VALU_DEP_1) | instskip(SKIP_1) | instid1(VALU_DEP_2)
	v_sub_nc_u32_e32 v3, v6, v3
	v_ashrrev_i32_e32 v6, 8, v7
	v_add_nc_u32_e32 v3, 0x3c000000, v3
	s_delay_alu instid0(VALU_DEP_1) | instskip(NEXT) | instid1(VALU_DEP_1)
	v_and_or_b32 v3, 0x7f800000, v6, v3
	v_cndmask_b32_e32 v1, 0, v3, vcc_lo
	s_delay_alu instid0(VALU_DEP_1) | instskip(NEXT) | instid1(VALU_DEP_1)
	v_and_or_b32 v0, 0x80000000, v0, v1
	v_cvt_i32_f32_e32 v0, v0
.LBB22_1573:
	s_mov_b32 s17, 0
.LBB22_1574:
	s_delay_alu instid0(SALU_CYCLE_1)
	s_and_not1_b32 vcc_lo, exec_lo, s17
	s_cbranch_vccnz .LBB22_1576
; %bb.1575:
	s_wait_loadcnt 0x0
	global_load_u8 v0, v[4:5], off
	s_wait_loadcnt 0x0
	v_lshlrev_b32_e32 v1, 25, v0
	v_lshlrev_b16 v0, 8, v0
	s_delay_alu instid0(VALU_DEP_1) | instskip(SKIP_1) | instid1(VALU_DEP_2)
	v_and_or_b32 v6, 0x7f00, v0, 0.5
	v_bfe_i32 v0, v0, 0, 16
	v_dual_add_f32 v6, -0.5, v6 :: v_dual_lshrrev_b32 v3, 4, v1
	v_cmp_gt_u32_e32 vcc_lo, 0x8000000, v1
	s_delay_alu instid0(VALU_DEP_2) | instskip(NEXT) | instid1(VALU_DEP_1)
	v_or_b32_e32 v3, 0x70000000, v3
	v_mul_f32_e32 v3, 0x7800000, v3
	s_delay_alu instid0(VALU_DEP_1) | instskip(NEXT) | instid1(VALU_DEP_1)
	v_cndmask_b32_e32 v1, v3, v6, vcc_lo
	v_and_or_b32 v0, 0x80000000, v0, v1
	s_delay_alu instid0(VALU_DEP_1)
	v_cvt_i32_f32_e32 v0, v0
.LBB22_1576:
	s_mov_b32 s18, -1
	s_mov_b32 s17, 0
	s_cbranch_execnz .LBB22_1587
.LBB22_1577:
	s_cmp_gt_i32 s13, 14
	s_cbranch_scc0 .LBB22_1580
; %bb.1578:
	s_cmp_eq_u32 s13, 15
	s_cbranch_scc0 .LBB22_1583
; %bb.1579:
	s_wait_loadcnt 0x0
	global_load_u16 v0, v[4:5], off
	s_mov_b32 s14, 0
	s_mov_b32 s18, -1
	s_wait_loadcnt 0x0
	v_lshlrev_b32_e32 v0, 16, v0
	s_delay_alu instid0(VALU_DEP_1)
	v_cvt_i32_f32_e32 v0, v0
	s_branch .LBB22_1585
.LBB22_1580:
	s_mov_b32 s17, -1
	s_branch .LBB22_1584
.LBB22_1581:
	s_and_not1_saveexec_b32 s17, s17
	s_cbranch_execz .LBB22_1563
.LBB22_1582:
	v_cmp_ne_u16_e32 vcc_lo, 0, v1
	s_and_not1_b32 s18, s18, exec_lo
	s_and_b32 s19, vcc_lo, exec_lo
	s_delay_alu instid0(SALU_CYCLE_1)
	s_or_b32 s18, s18, s19
	s_or_b32 exec_lo, exec_lo, s17
	v_mov_b32_e32 v0, 0
	s_and_saveexec_b32 s17, s18
	s_cbranch_execnz .LBB22_1564
	s_branch .LBB22_1565
.LBB22_1583:
	s_mov_b32 s14, -1
.LBB22_1584:
                                        ; implicit-def: $vgpr0
.LBB22_1585:
	s_and_b32 vcc_lo, exec_lo, s17
	s_mov_b32 s17, 0
	s_cbranch_vccz .LBB22_1587
; %bb.1586:
	s_cmp_lg_u32 s13, 11
	s_mov_b32 s17, -1
	s_cselect_b32 s14, -1, 0
.LBB22_1587:
	s_delay_alu instid0(SALU_CYCLE_1)
	s_and_b32 vcc_lo, exec_lo, s14
	s_mov_b32 s13, s16
	s_cbranch_vccnz .LBB22_1648
; %bb.1588:
	s_and_not1_b32 vcc_lo, exec_lo, s17
	s_cbranch_vccnz .LBB22_1590
.LBB22_1589:
	s_wait_loadcnt 0x0
	global_load_u8 v0, v[4:5], off
	s_mov_b32 s18, -1
	s_wait_loadcnt 0x0
	v_cmp_ne_u16_e32 vcc_lo, 0, v0
	v_cndmask_b32_e64 v0, 0, 1, vcc_lo
.LBB22_1590:
	s_branch .LBB22_1524
.LBB22_1591:
	s_and_b32 s14, 0xffff, s0
	s_delay_alu instid0(SALU_CYCLE_1)
	s_cmp_lt_i32 s14, 5
	s_cbranch_scc1 .LBB22_1596
; %bb.1592:
	s_cmp_lt_i32 s14, 8
	s_cbranch_scc1 .LBB22_1597
; %bb.1593:
	s_cmp_lt_i32 s14, 9
	s_cbranch_scc1 .LBB22_1598
; %bb.1594:
	s_cmp_gt_i32 s14, 9
	s_cbranch_scc0 .LBB22_1599
; %bb.1595:
	s_wait_loadcnt 0x0
	global_load_b64 v[0:1], v[4:5], off
	s_mov_b32 s17, 0
	s_wait_loadcnt 0x0
	v_cvt_i32_f64_e32 v0, v[0:1]
	s_branch .LBB22_1600
.LBB22_1596:
                                        ; implicit-def: $vgpr0
	s_branch .LBB22_1617
.LBB22_1597:
                                        ; implicit-def: $vgpr0
	s_branch .LBB22_1606
.LBB22_1598:
	s_mov_b32 s17, -1
                                        ; implicit-def: $vgpr0
	s_branch .LBB22_1603
.LBB22_1599:
	s_mov_b32 s17, -1
                                        ; implicit-def: $vgpr0
.LBB22_1600:
	s_delay_alu instid0(SALU_CYCLE_1)
	s_and_not1_b32 vcc_lo, exec_lo, s17
	s_cbranch_vccnz .LBB22_1602
; %bb.1601:
	s_wait_loadcnt 0x0
	global_load_b32 v0, v[4:5], off
	s_wait_loadcnt 0x0
	v_cvt_i32_f32_e32 v0, v0
.LBB22_1602:
	s_mov_b32 s17, 0
.LBB22_1603:
	s_delay_alu instid0(SALU_CYCLE_1)
	s_and_not1_b32 vcc_lo, exec_lo, s17
	s_cbranch_vccnz .LBB22_1605
; %bb.1604:
	s_wait_loadcnt 0x0
	global_load_b32 v0, v[4:5], off
	s_wait_loadcnt 0x0
	v_cvt_i16_f16_e32 v0, v0
.LBB22_1605:
	s_cbranch_execnz .LBB22_1616
.LBB22_1606:
	s_cmp_lt_i32 s14, 6
	s_cbranch_scc1 .LBB22_1609
; %bb.1607:
	s_cmp_gt_i32 s14, 6
	s_cbranch_scc0 .LBB22_1610
; %bb.1608:
	s_wait_loadcnt 0x0
	global_load_b64 v[0:1], v[4:5], off
	s_mov_b32 s17, 0
	s_wait_loadcnt 0x0
	v_cvt_i32_f64_e32 v0, v[0:1]
	s_branch .LBB22_1611
.LBB22_1609:
	s_mov_b32 s17, -1
                                        ; implicit-def: $vgpr0
	s_branch .LBB22_1614
.LBB22_1610:
	s_mov_b32 s17, -1
                                        ; implicit-def: $vgpr0
.LBB22_1611:
	s_delay_alu instid0(SALU_CYCLE_1)
	s_and_not1_b32 vcc_lo, exec_lo, s17
	s_cbranch_vccnz .LBB22_1613
; %bb.1612:
	s_wait_loadcnt 0x0
	global_load_b32 v0, v[4:5], off
	s_wait_loadcnt 0x0
	v_cvt_i32_f32_e32 v0, v0
.LBB22_1613:
	s_mov_b32 s17, 0
.LBB22_1614:
	s_delay_alu instid0(SALU_CYCLE_1)
	s_and_not1_b32 vcc_lo, exec_lo, s17
	s_cbranch_vccnz .LBB22_1616
; %bb.1615:
	s_wait_loadcnt 0x0
	global_load_u16 v0, v[4:5], off
	s_wait_loadcnt 0x0
	v_cvt_i16_f16_e32 v0, v0
.LBB22_1616:
	s_cbranch_execnz .LBB22_1635
.LBB22_1617:
	s_cmp_lt_i32 s14, 2
	s_cbranch_scc1 .LBB22_1621
; %bb.1618:
	s_cmp_lt_i32 s14, 3
	s_cbranch_scc1 .LBB22_1622
; %bb.1619:
	s_cmp_gt_i32 s14, 3
	s_cbranch_scc0 .LBB22_1623
; %bb.1620:
	s_wait_loadcnt 0x0
	global_load_b64 v[0:1], v[4:5], off
	s_mov_b32 s17, 0
	s_branch .LBB22_1624
.LBB22_1621:
                                        ; implicit-def: $vgpr0
	s_branch .LBB22_1630
.LBB22_1622:
	s_mov_b32 s17, -1
                                        ; implicit-def: $vgpr0
	s_branch .LBB22_1627
.LBB22_1623:
	s_mov_b32 s17, -1
                                        ; implicit-def: $vgpr0
.LBB22_1624:
	s_delay_alu instid0(SALU_CYCLE_1)
	s_and_not1_b32 vcc_lo, exec_lo, s17
	s_cbranch_vccnz .LBB22_1626
; %bb.1625:
	s_wait_loadcnt 0x0
	global_load_b32 v0, v[4:5], off
.LBB22_1626:
	s_mov_b32 s17, 0
.LBB22_1627:
	s_delay_alu instid0(SALU_CYCLE_1)
	s_and_not1_b32 vcc_lo, exec_lo, s17
	s_cbranch_vccnz .LBB22_1629
; %bb.1628:
	s_wait_loadcnt 0x0
	global_load_u16 v0, v[4:5], off
.LBB22_1629:
	s_cbranch_execnz .LBB22_1635
.LBB22_1630:
	s_cmp_gt_i32 s14, 0
	s_mov_b32 s14, 0
	s_cbranch_scc0 .LBB22_1632
; %bb.1631:
	s_wait_loadcnt 0x0
	global_load_u8 v0, v[4:5], off
	s_branch .LBB22_1633
.LBB22_1632:
	s_mov_b32 s14, -1
                                        ; implicit-def: $vgpr0
.LBB22_1633:
	s_delay_alu instid0(SALU_CYCLE_1)
	s_and_not1_b32 vcc_lo, exec_lo, s14
	s_cbranch_vccnz .LBB22_1635
; %bb.1634:
	s_wait_loadcnt 0x0
	global_load_u8 v0, v[4:5], off
.LBB22_1635:
.LBB22_1636:
	v_mul_lo_u32 v6, s10, v18
	s_and_b32 s1, s1, 0xff
	s_delay_alu instid0(SALU_CYCLE_1) | instskip(NEXT) | instid1(VALU_DEP_1)
	s_cmp_lt_i32 s1, 11
	v_ashrrev_i32_e32 v7, 31, v6
	s_delay_alu instid0(VALU_DEP_1)
	v_add_nc_u64_e32 v[8:9], s[2:3], v[6:7]
	s_cbranch_scc1 .LBB22_1643
; %bb.1637:
	s_and_b32 s14, 0xffff, s1
	s_mov_b32 s18, 0
	s_cmp_gt_i32 s14, 25
	s_cbranch_scc0 .LBB22_1645
; %bb.1638:
	s_cmp_gt_i32 s14, 28
	s_cbranch_scc0 .LBB22_1646
; %bb.1639:
	;; [unrolled: 3-line block ×4, first 2 shown]
	s_cmp_eq_u32 s14, 46
	s_mov_b32 s20, 0
	s_cbranch_scc0 .LBB22_1652
; %bb.1642:
	s_wait_loadcnt 0x0
	global_load_b32 v1, v[8:9], off
	s_mov_b32 s17, 0
	s_mov_b32 s19, -1
	s_wait_loadcnt 0x0
	v_lshlrev_b32_e32 v1, 16, v1
	s_wait_xcnt 0x1
	s_delay_alu instid0(VALU_DEP_1)
	v_cvt_i32_f32_e32 v4, v1
	s_branch .LBB22_1654
.LBB22_1643:
	s_mov_b32 s19, 0
                                        ; implicit-def: $vgpr4
	s_cbranch_execnz .LBB22_1715
.LBB22_1644:
	s_and_not1_b32 vcc_lo, exec_lo, s19
	s_cbranch_vccnz .LBB22_2957
	s_branch .LBB22_1762
.LBB22_1645:
	s_mov_b32 s19, 0
	s_mov_b32 s17, 0
                                        ; implicit-def: $vgpr4
	s_cbranch_execnz .LBB22_1681
	s_branch .LBB22_1711
.LBB22_1646:
	s_mov_b32 s20, -1
	s_mov_b32 s19, 0
	s_mov_b32 s17, 0
                                        ; implicit-def: $vgpr4
	s_branch .LBB22_1664
.LBB22_1647:
	s_mov_b32 s20, -1
	s_mov_b32 s19, 0
	s_mov_b32 s17, 0
                                        ; implicit-def: $vgpr4
	s_branch .LBB22_1659
.LBB22_1648:
	s_or_b32 s13, s16, exec_lo
	s_trap 2
	s_cbranch_execz .LBB22_1589
	s_branch .LBB22_1590
.LBB22_1649:
	s_mov_b32 s20, -1
	s_mov_b32 s19, 0
	s_mov_b32 s17, 0
	s_branch .LBB22_1653
.LBB22_1650:
	s_and_not1_saveexec_b32 s25, s25
	s_cbranch_execz .LBB22_1440
.LBB22_1651:
	v_add_f32_e32 v0, 0x42800000, v1
	s_and_not1_b32 s24, s24, exec_lo
	s_delay_alu instid0(VALU_DEP_1) | instskip(NEXT) | instid1(VALU_DEP_1)
	v_and_b32_e32 v0, 0xff, v0
	v_cmp_ne_u32_e32 vcc_lo, 0, v0
	s_and_b32 s26, vcc_lo, exec_lo
	s_delay_alu instid0(SALU_CYCLE_1)
	s_or_b32 s24, s24, s26
	s_or_b32 exec_lo, exec_lo, s25
	v_mov_b32_e32 v4, 0
	s_and_saveexec_b32 s25, s24
	s_cbranch_execnz .LBB22_1441
	s_branch .LBB22_1442
.LBB22_1652:
	s_mov_b32 s17, -1
	s_mov_b32 s19, 0
.LBB22_1653:
                                        ; implicit-def: $vgpr4
.LBB22_1654:
	s_and_b32 vcc_lo, exec_lo, s20
	s_cbranch_vccz .LBB22_1658
; %bb.1655:
	s_cmp_eq_u32 s14, 44
	s_cbranch_scc0 .LBB22_1657
; %bb.1656:
	s_wait_loadcnt 0x0
	global_load_u8 v1, v[8:9], off
	s_mov_b32 s17, 0
	s_mov_b32 s19, -1
	s_wait_loadcnt 0x0
	v_lshlrev_b32_e32 v3, 23, v1
	v_cmp_ne_u32_e32 vcc_lo, 0, v1
	s_delay_alu instid0(VALU_DEP_2) | instskip(SKIP_1) | instid1(VALU_DEP_1)
	v_cvt_i32_f32_e32 v3, v3
	s_wait_xcnt 0x1
	v_cndmask_b32_e32 v4, 0, v3, vcc_lo
	s_branch .LBB22_1658
.LBB22_1657:
	s_mov_b32 s17, -1
                                        ; implicit-def: $vgpr4
.LBB22_1658:
	s_mov_b32 s20, 0
.LBB22_1659:
	s_delay_alu instid0(SALU_CYCLE_1)
	s_and_b32 vcc_lo, exec_lo, s20
	s_cbranch_vccz .LBB22_1663
; %bb.1660:
	s_cmp_eq_u32 s14, 29
	s_cbranch_scc0 .LBB22_1662
; %bb.1661:
	global_load_b64 v[4:5], v[8:9], off
	s_mov_b32 s17, 0
	s_mov_b32 s19, -1
	s_branch .LBB22_1663
.LBB22_1662:
	s_mov_b32 s17, -1
                                        ; implicit-def: $vgpr4
.LBB22_1663:
	s_mov_b32 s20, 0
.LBB22_1664:
	s_delay_alu instid0(SALU_CYCLE_1)
	s_and_b32 vcc_lo, exec_lo, s20
	s_cbranch_vccz .LBB22_1680
; %bb.1665:
	s_cmp_lt_i32 s14, 27
	s_cbranch_scc1 .LBB22_1668
; %bb.1666:
	s_cmp_gt_i32 s14, 27
	s_cbranch_scc0 .LBB22_1669
; %bb.1667:
	s_wait_loadcnt 0x0
	global_load_b32 v4, v[8:9], off
	s_mov_b32 s19, 0
	s_branch .LBB22_1670
.LBB22_1668:
	s_mov_b32 s19, -1
                                        ; implicit-def: $vgpr4
	s_branch .LBB22_1673
.LBB22_1669:
	s_mov_b32 s19, -1
                                        ; implicit-def: $vgpr4
.LBB22_1670:
	s_delay_alu instid0(SALU_CYCLE_1)
	s_and_not1_b32 vcc_lo, exec_lo, s19
	s_cbranch_vccnz .LBB22_1672
; %bb.1671:
	s_wait_loadcnt 0x0
	global_load_u16 v4, v[8:9], off
.LBB22_1672:
	s_mov_b32 s19, 0
.LBB22_1673:
	s_delay_alu instid0(SALU_CYCLE_1)
	s_and_not1_b32 vcc_lo, exec_lo, s19
	s_cbranch_vccnz .LBB22_1679
; %bb.1674:
	s_wait_loadcnt 0x0
	global_load_u8 v1, v[8:9], off
	s_mov_b32 s20, 0
	s_mov_b32 s19, exec_lo
	s_wait_loadcnt 0x0
	v_cmpx_lt_i16_e32 0x7f, v1
	s_xor_b32 s19, exec_lo, s19
	s_cbranch_execz .LBB22_1690
; %bb.1675:
	v_cmp_ne_u16_e32 vcc_lo, 0x80, v1
	s_and_b32 s20, vcc_lo, exec_lo
	s_and_not1_saveexec_b32 s19, s19
	s_cbranch_execnz .LBB22_1691
.LBB22_1676:
	s_or_b32 exec_lo, exec_lo, s19
	v_mov_b32_e32 v4, 0
	s_and_saveexec_b32 s19, s20
	s_cbranch_execz .LBB22_1678
.LBB22_1677:
	v_and_b32_e32 v3, 0xffff, v1
	s_delay_alu instid0(VALU_DEP_1) | instskip(SKIP_1) | instid1(VALU_DEP_2)
	v_and_b32_e32 v4, 7, v3
	v_bfe_u32 v10, v3, 3, 4
	v_clz_i32_u32_e32 v5, v4
	s_delay_alu instid0(VALU_DEP_2) | instskip(NEXT) | instid1(VALU_DEP_2)
	v_cmp_eq_u32_e32 vcc_lo, 0, v10
	v_min_u32_e32 v5, 32, v5
	s_delay_alu instid0(VALU_DEP_1) | instskip(NEXT) | instid1(VALU_DEP_1)
	v_subrev_nc_u32_e32 v7, 28, v5
	v_dual_lshlrev_b32 v3, v7, v3 :: v_dual_sub_nc_u32 v5, 29, v5
	s_delay_alu instid0(VALU_DEP_1) | instskip(NEXT) | instid1(VALU_DEP_1)
	v_dual_lshlrev_b32 v1, 24, v1 :: v_dual_bitop2_b32 v3, 7, v3 bitop3:0x40
	v_dual_cndmask_b32 v3, v4, v3, vcc_lo :: v_dual_cndmask_b32 v5, v10, v5, vcc_lo
	s_delay_alu instid0(VALU_DEP_2) | instskip(NEXT) | instid1(VALU_DEP_2)
	v_and_b32_e32 v1, 0x80000000, v1
	v_lshlrev_b32_e32 v3, 20, v3
	s_delay_alu instid0(VALU_DEP_3) | instskip(NEXT) | instid1(VALU_DEP_1)
	v_lshl_add_u32 v4, v5, 23, 0x3b800000
	v_or3_b32 v1, v1, v4, v3
	s_delay_alu instid0(VALU_DEP_1)
	v_cvt_i32_f32_e32 v4, v1
.LBB22_1678:
	s_or_b32 exec_lo, exec_lo, s19
.LBB22_1679:
	s_mov_b32 s19, -1
.LBB22_1680:
	s_branch .LBB22_1711
.LBB22_1681:
	s_cmp_gt_i32 s14, 22
	s_cbranch_scc0 .LBB22_1689
; %bb.1682:
	s_cmp_lt_i32 s14, 24
	s_cbranch_scc1 .LBB22_1692
; %bb.1683:
	s_cmp_gt_i32 s14, 24
	s_cbranch_scc0 .LBB22_1693
; %bb.1684:
	s_wait_loadcnt 0x0
	global_load_u8 v1, v[8:9], off
	s_mov_b32 s19, 0
	s_mov_b32 s18, exec_lo
	s_wait_loadcnt 0x0
	v_cmpx_lt_i16_e32 0x7f, v1
	s_xor_b32 s18, exec_lo, s18
	s_cbranch_execz .LBB22_1705
; %bb.1685:
	v_cmp_ne_u16_e32 vcc_lo, 0x80, v1
	s_and_b32 s19, vcc_lo, exec_lo
	s_and_not1_saveexec_b32 s18, s18
	s_cbranch_execnz .LBB22_1706
.LBB22_1686:
	s_or_b32 exec_lo, exec_lo, s18
	v_mov_b32_e32 v4, 0
	s_and_saveexec_b32 s18, s19
	s_cbranch_execz .LBB22_1688
.LBB22_1687:
	v_and_b32_e32 v3, 0xffff, v1
	s_delay_alu instid0(VALU_DEP_1) | instskip(SKIP_1) | instid1(VALU_DEP_2)
	v_and_b32_e32 v4, 3, v3
	v_bfe_u32 v10, v3, 2, 5
	v_clz_i32_u32_e32 v5, v4
	s_delay_alu instid0(VALU_DEP_2) | instskip(NEXT) | instid1(VALU_DEP_2)
	v_cmp_eq_u32_e32 vcc_lo, 0, v10
	v_min_u32_e32 v5, 32, v5
	s_delay_alu instid0(VALU_DEP_1) | instskip(NEXT) | instid1(VALU_DEP_1)
	v_subrev_nc_u32_e32 v7, 29, v5
	v_dual_lshlrev_b32 v3, v7, v3 :: v_dual_sub_nc_u32 v5, 30, v5
	s_delay_alu instid0(VALU_DEP_1) | instskip(NEXT) | instid1(VALU_DEP_1)
	v_dual_lshlrev_b32 v1, 24, v1 :: v_dual_bitop2_b32 v3, 3, v3 bitop3:0x40
	v_dual_cndmask_b32 v3, v4, v3, vcc_lo :: v_dual_cndmask_b32 v5, v10, v5, vcc_lo
	s_delay_alu instid0(VALU_DEP_2) | instskip(NEXT) | instid1(VALU_DEP_2)
	v_and_b32_e32 v1, 0x80000000, v1
	v_lshlrev_b32_e32 v3, 21, v3
	s_delay_alu instid0(VALU_DEP_3) | instskip(NEXT) | instid1(VALU_DEP_1)
	v_lshl_add_u32 v4, v5, 23, 0x37800000
	v_or3_b32 v1, v1, v4, v3
	s_delay_alu instid0(VALU_DEP_1)
	v_cvt_i32_f32_e32 v4, v1
.LBB22_1688:
	s_or_b32 exec_lo, exec_lo, s18
	s_mov_b32 s18, 0
	s_branch .LBB22_1694
.LBB22_1689:
	s_mov_b32 s18, -1
                                        ; implicit-def: $vgpr4
	s_branch .LBB22_1700
.LBB22_1690:
	s_and_not1_saveexec_b32 s19, s19
	s_cbranch_execz .LBB22_1676
.LBB22_1691:
	v_cmp_ne_u16_e32 vcc_lo, 0, v1
	s_and_not1_b32 s20, s20, exec_lo
	s_and_b32 s21, vcc_lo, exec_lo
	s_delay_alu instid0(SALU_CYCLE_1)
	s_or_b32 s20, s20, s21
	s_or_b32 exec_lo, exec_lo, s19
	v_mov_b32_e32 v4, 0
	s_and_saveexec_b32 s19, s20
	s_cbranch_execnz .LBB22_1677
	s_branch .LBB22_1678
.LBB22_1692:
	s_mov_b32 s18, -1
                                        ; implicit-def: $vgpr4
	s_branch .LBB22_1697
.LBB22_1693:
	s_mov_b32 s18, -1
                                        ; implicit-def: $vgpr4
.LBB22_1694:
	s_delay_alu instid0(SALU_CYCLE_1)
	s_and_b32 vcc_lo, exec_lo, s18
	s_cbranch_vccz .LBB22_1696
; %bb.1695:
	s_wait_loadcnt 0x0
	global_load_u8 v1, v[8:9], off
	s_wait_loadcnt 0x0
	v_lshlrev_b32_e32 v1, 24, v1
	s_delay_alu instid0(VALU_DEP_1) | instskip(SKIP_1) | instid1(VALU_DEP_1)
	v_and_b32_e32 v3, 0x7f000000, v1
	s_wait_xcnt 0x1
	v_clz_i32_u32_e32 v4, v3
	v_add_nc_u32_e32 v7, 0x1000000, v3
	v_cmp_ne_u32_e32 vcc_lo, 0, v3
	s_delay_alu instid0(VALU_DEP_3) | instskip(NEXT) | instid1(VALU_DEP_1)
	v_min_u32_e32 v4, 32, v4
	v_sub_nc_u32_e64 v4, v4, 4 clamp
	s_delay_alu instid0(VALU_DEP_1) | instskip(NEXT) | instid1(VALU_DEP_1)
	v_dual_lshlrev_b32 v5, v4, v3 :: v_dual_lshlrev_b32 v4, 23, v4
	v_lshrrev_b32_e32 v5, 4, v5
	s_delay_alu instid0(VALU_DEP_1) | instskip(NEXT) | instid1(VALU_DEP_1)
	v_dual_sub_nc_u32 v4, v5, v4 :: v_dual_ashrrev_i32 v5, 8, v7
	v_add_nc_u32_e32 v4, 0x3c000000, v4
	s_delay_alu instid0(VALU_DEP_1) | instskip(NEXT) | instid1(VALU_DEP_1)
	v_and_or_b32 v4, 0x7f800000, v5, v4
	v_cndmask_b32_e32 v3, 0, v4, vcc_lo
	s_delay_alu instid0(VALU_DEP_1) | instskip(NEXT) | instid1(VALU_DEP_1)
	v_and_or_b32 v1, 0x80000000, v1, v3
	v_cvt_i32_f32_e32 v4, v1
.LBB22_1696:
	s_mov_b32 s18, 0
.LBB22_1697:
	s_delay_alu instid0(SALU_CYCLE_1)
	s_and_not1_b32 vcc_lo, exec_lo, s18
	s_cbranch_vccnz .LBB22_1699
; %bb.1698:
	s_wait_loadcnt 0x0
	global_load_u8 v1, v[8:9], off
	s_wait_loadcnt 0x0
	v_lshlrev_b32_e32 v3, 25, v1
	v_lshlrev_b16 v1, 8, v1
	s_wait_xcnt 0x1
	s_delay_alu instid0(VALU_DEP_1) | instskip(NEXT) | instid1(VALU_DEP_3)
	v_and_or_b32 v5, 0x7f00, v1, 0.5
	v_lshrrev_b32_e32 v4, 4, v3
	v_bfe_i32 v1, v1, 0, 16
	s_delay_alu instid0(VALU_DEP_3) | instskip(NEXT) | instid1(VALU_DEP_3)
	v_add_f32_e32 v5, -0.5, v5
	v_or_b32_e32 v4, 0x70000000, v4
	s_delay_alu instid0(VALU_DEP_1) | instskip(SKIP_1) | instid1(VALU_DEP_2)
	v_mul_f32_e32 v4, 0x7800000, v4
	v_cmp_gt_u32_e32 vcc_lo, 0x8000000, v3
	v_cndmask_b32_e32 v3, v4, v5, vcc_lo
	s_delay_alu instid0(VALU_DEP_1) | instskip(NEXT) | instid1(VALU_DEP_1)
	v_and_or_b32 v1, 0x80000000, v1, v3
	v_cvt_i32_f32_e32 v4, v1
.LBB22_1699:
	s_mov_b32 s18, 0
	s_mov_b32 s19, -1
.LBB22_1700:
	s_and_not1_b32 vcc_lo, exec_lo, s18
	s_mov_b32 s18, 0
	s_cbranch_vccnz .LBB22_1711
; %bb.1701:
	s_cmp_gt_i32 s14, 14
	s_cbranch_scc0 .LBB22_1704
; %bb.1702:
	s_cmp_eq_u32 s14, 15
	s_cbranch_scc0 .LBB22_1707
; %bb.1703:
	s_wait_loadcnt 0x0
	global_load_u16 v1, v[8:9], off
	s_mov_b32 s17, 0
	s_mov_b32 s19, -1
	s_wait_loadcnt 0x0
	v_lshlrev_b32_e32 v1, 16, v1
	s_wait_xcnt 0x1
	s_delay_alu instid0(VALU_DEP_1)
	v_cvt_i32_f32_e32 v4, v1
	s_branch .LBB22_1709
.LBB22_1704:
	s_mov_b32 s18, -1
	s_branch .LBB22_1708
.LBB22_1705:
	s_and_not1_saveexec_b32 s18, s18
	s_cbranch_execz .LBB22_1686
.LBB22_1706:
	v_cmp_ne_u16_e32 vcc_lo, 0, v1
	s_and_not1_b32 s19, s19, exec_lo
	s_and_b32 s20, vcc_lo, exec_lo
	s_delay_alu instid0(SALU_CYCLE_1)
	s_or_b32 s19, s19, s20
	s_or_b32 exec_lo, exec_lo, s18
	v_mov_b32_e32 v4, 0
	s_and_saveexec_b32 s18, s19
	s_cbranch_execnz .LBB22_1687
	s_branch .LBB22_1688
.LBB22_1707:
	s_mov_b32 s17, -1
.LBB22_1708:
                                        ; implicit-def: $vgpr4
.LBB22_1709:
	s_and_b32 vcc_lo, exec_lo, s18
	s_mov_b32 s18, 0
	s_cbranch_vccz .LBB22_1711
; %bb.1710:
	s_cmp_lg_u32 s14, 11
	s_mov_b32 s18, -1
	s_cselect_b32 s17, -1, 0
.LBB22_1711:
	s_delay_alu instid0(SALU_CYCLE_1)
	s_and_b32 vcc_lo, exec_lo, s17
	s_cbranch_vccnz .LBB22_1774
; %bb.1712:
	s_and_not1_b32 vcc_lo, exec_lo, s18
	s_cbranch_vccnz .LBB22_1714
.LBB22_1713:
	s_wait_loadcnt 0x0
	global_load_u8 v1, v[8:9], off
	s_mov_b32 s19, -1
	s_wait_loadcnt 0x0
	v_cmp_ne_u16_e32 vcc_lo, 0, v1
	s_wait_xcnt 0x1
	v_cndmask_b32_e64 v4, 0, 1, vcc_lo
.LBB22_1714:
	s_branch .LBB22_1644
.LBB22_1715:
	s_and_b32 s14, 0xffff, s1
	s_delay_alu instid0(SALU_CYCLE_1)
	s_cmp_lt_i32 s14, 5
	s_cbranch_scc1 .LBB22_1720
; %bb.1716:
	s_cmp_lt_i32 s14, 8
	s_cbranch_scc1 .LBB22_1721
; %bb.1717:
	;; [unrolled: 3-line block ×3, first 2 shown]
	s_cmp_gt_i32 s14, 9
	s_cbranch_scc0 .LBB22_1723
; %bb.1719:
	s_wait_loadcnt 0x0
	global_load_b64 v[4:5], v[8:9], off
	s_mov_b32 s17, 0
	s_wait_loadcnt 0x0
	v_cvt_i32_f64_e32 v4, v[4:5]
	s_branch .LBB22_1724
.LBB22_1720:
                                        ; implicit-def: $vgpr4
	s_branch .LBB22_1742
.LBB22_1721:
	s_mov_b32 s17, -1
                                        ; implicit-def: $vgpr4
	s_branch .LBB22_1730
.LBB22_1722:
	s_mov_b32 s17, -1
                                        ; implicit-def: $vgpr4
	s_branch .LBB22_1727
.LBB22_1723:
	s_mov_b32 s17, -1
                                        ; implicit-def: $vgpr4
.LBB22_1724:
	s_delay_alu instid0(SALU_CYCLE_1)
	s_and_not1_b32 vcc_lo, exec_lo, s17
	s_cbranch_vccnz .LBB22_1726
; %bb.1725:
	s_wait_loadcnt 0x0
	global_load_b32 v1, v[8:9], off
	s_wait_loadcnt 0x0
	s_wait_xcnt 0x1
	v_cvt_i32_f32_e32 v4, v1
.LBB22_1726:
	s_mov_b32 s17, 0
.LBB22_1727:
	s_delay_alu instid0(SALU_CYCLE_1)
	s_and_not1_b32 vcc_lo, exec_lo, s17
	s_cbranch_vccnz .LBB22_1729
; %bb.1728:
	s_wait_loadcnt 0x0
	global_load_b32 v1, v[8:9], off
	s_wait_loadcnt 0x0
	s_wait_xcnt 0x1
	v_cvt_i16_f16_e32 v4, v1
.LBB22_1729:
	s_mov_b32 s17, 0
.LBB22_1730:
	s_delay_alu instid0(SALU_CYCLE_1)
	s_and_not1_b32 vcc_lo, exec_lo, s17
	s_cbranch_vccnz .LBB22_1741
; %bb.1731:
	s_cmp_lt_i32 s14, 6
	s_cbranch_scc1 .LBB22_1734
; %bb.1732:
	s_cmp_gt_i32 s14, 6
	s_cbranch_scc0 .LBB22_1735
; %bb.1733:
	s_wait_loadcnt 0x0
	global_load_b64 v[4:5], v[8:9], off
	s_mov_b32 s17, 0
	s_wait_loadcnt 0x0
	v_cvt_i32_f64_e32 v4, v[4:5]
	s_branch .LBB22_1736
.LBB22_1734:
	s_mov_b32 s17, -1
                                        ; implicit-def: $vgpr4
	s_branch .LBB22_1739
.LBB22_1735:
	s_mov_b32 s17, -1
                                        ; implicit-def: $vgpr4
.LBB22_1736:
	s_delay_alu instid0(SALU_CYCLE_1)
	s_and_not1_b32 vcc_lo, exec_lo, s17
	s_cbranch_vccnz .LBB22_1738
; %bb.1737:
	s_wait_loadcnt 0x0
	global_load_b32 v1, v[8:9], off
	s_wait_loadcnt 0x0
	s_wait_xcnt 0x1
	v_cvt_i32_f32_e32 v4, v1
.LBB22_1738:
	s_mov_b32 s17, 0
.LBB22_1739:
	s_delay_alu instid0(SALU_CYCLE_1)
	s_and_not1_b32 vcc_lo, exec_lo, s17
	s_cbranch_vccnz .LBB22_1741
; %bb.1740:
	s_wait_loadcnt 0x0
	global_load_u16 v1, v[8:9], off
	s_wait_loadcnt 0x0
	s_wait_xcnt 0x1
	v_cvt_i16_f16_e32 v4, v1
.LBB22_1741:
	s_cbranch_execnz .LBB22_1761
.LBB22_1742:
	s_cmp_lt_i32 s14, 2
	s_cbranch_scc1 .LBB22_1746
; %bb.1743:
	s_cmp_lt_i32 s14, 3
	s_cbranch_scc1 .LBB22_1747
; %bb.1744:
	s_cmp_gt_i32 s14, 3
	s_cbranch_scc0 .LBB22_1748
; %bb.1745:
	s_wait_loadcnt 0x0
	global_load_b64 v[4:5], v[8:9], off
	s_mov_b32 s17, 0
	s_branch .LBB22_1749
.LBB22_1746:
	s_mov_b32 s17, -1
                                        ; implicit-def: $vgpr4
	s_branch .LBB22_1755
.LBB22_1747:
	s_mov_b32 s17, -1
                                        ; implicit-def: $vgpr4
	s_branch .LBB22_1752
.LBB22_1748:
	s_mov_b32 s17, -1
                                        ; implicit-def: $vgpr4
.LBB22_1749:
	s_delay_alu instid0(SALU_CYCLE_1)
	s_and_not1_b32 vcc_lo, exec_lo, s17
	s_cbranch_vccnz .LBB22_1751
; %bb.1750:
	s_wait_loadcnt 0x0
	global_load_b32 v4, v[8:9], off
.LBB22_1751:
	s_mov_b32 s17, 0
.LBB22_1752:
	s_delay_alu instid0(SALU_CYCLE_1)
	s_and_not1_b32 vcc_lo, exec_lo, s17
	s_cbranch_vccnz .LBB22_1754
; %bb.1753:
	s_wait_loadcnt 0x0
	global_load_u16 v4, v[8:9], off
.LBB22_1754:
	s_mov_b32 s17, 0
.LBB22_1755:
	s_delay_alu instid0(SALU_CYCLE_1)
	s_and_not1_b32 vcc_lo, exec_lo, s17
	s_cbranch_vccnz .LBB22_1761
; %bb.1756:
	s_cmp_gt_i32 s14, 0
	s_mov_b32 s14, 0
	s_cbranch_scc0 .LBB22_1758
; %bb.1757:
	s_wait_loadcnt 0x0
	global_load_u8 v4, v[8:9], off
	s_branch .LBB22_1759
.LBB22_1758:
	s_mov_b32 s14, -1
                                        ; implicit-def: $vgpr4
.LBB22_1759:
	s_delay_alu instid0(SALU_CYCLE_1)
	s_and_not1_b32 vcc_lo, exec_lo, s14
	s_cbranch_vccnz .LBB22_1761
; %bb.1760:
	s_wait_loadcnt 0x0
	global_load_u8 v4, v[8:9], off
.LBB22_1761:
.LBB22_1762:
	s_lshl_b32 s9, s9, 7
	s_cmp_lt_i32 s0, 11
	v_add_nc_u32_e32 v10, s9, v2
	s_delay_alu instid0(VALU_DEP_1) | instskip(SKIP_1) | instid1(VALU_DEP_1)
	v_ashrrev_i32_e32 v11, 31, v10
	s_wait_xcnt 0x0
	v_add_nc_u64_e32 v[8:9], s[6:7], v[10:11]
	s_cbranch_scc1 .LBB22_1769
; %bb.1763:
	s_and_b32 s14, 0xffff, s0
	s_mov_b32 s18, 0
	s_cmp_gt_i32 s14, 25
	s_cbranch_scc0 .LBB22_1771
; %bb.1764:
	s_cmp_gt_i32 s14, 28
	s_cbranch_scc0 .LBB22_1772
; %bb.1765:
	;; [unrolled: 3-line block ×4, first 2 shown]
	s_cmp_eq_u32 s14, 46
	s_mov_b32 s20, 0
	s_cbranch_scc0 .LBB22_1776
; %bb.1768:
	s_wait_loadcnt 0x0
	global_load_b32 v1, v[8:9], off
	s_mov_b32 s17, 0
	s_mov_b32 s19, -1
	s_wait_loadcnt 0x0
	v_lshlrev_b32_e32 v1, 16, v1
	s_delay_alu instid0(VALU_DEP_1)
	v_cvt_i32_f32_e32 v2, v1
	s_branch .LBB22_1778
.LBB22_1769:
	s_mov_b32 s19, 0
                                        ; implicit-def: $vgpr2
	s_cbranch_execnz .LBB22_1840
.LBB22_1770:
	s_and_not1_b32 vcc_lo, exec_lo, s19
	s_cbranch_vccnz .LBB22_2957
	s_branch .LBB22_1888
.LBB22_1771:
	s_mov_b32 s20, -1
	s_mov_b32 s19, 0
	s_mov_b32 s17, 0
                                        ; implicit-def: $vgpr2
	s_branch .LBB22_1805
.LBB22_1772:
	s_mov_b32 s20, -1
	s_mov_b32 s19, 0
	s_mov_b32 s17, 0
                                        ; implicit-def: $vgpr2
	s_branch .LBB22_1788
.LBB22_1773:
	s_mov_b32 s20, -1
	s_mov_b32 s19, 0
	s_mov_b32 s17, 0
                                        ; implicit-def: $vgpr2
	s_branch .LBB22_1783
.LBB22_1774:
	s_or_b32 s13, s13, exec_lo
	s_trap 2
	s_cbranch_execz .LBB22_1713
	s_branch .LBB22_1714
.LBB22_1775:
	s_mov_b32 s20, -1
	s_mov_b32 s19, 0
	s_mov_b32 s17, 0
	s_branch .LBB22_1777
.LBB22_1776:
	s_mov_b32 s17, -1
	s_mov_b32 s19, 0
.LBB22_1777:
                                        ; implicit-def: $vgpr2
.LBB22_1778:
	s_and_b32 vcc_lo, exec_lo, s20
	s_cbranch_vccz .LBB22_1782
; %bb.1779:
	s_cmp_eq_u32 s14, 44
	s_cbranch_scc0 .LBB22_1781
; %bb.1780:
	s_wait_loadcnt 0x0
	global_load_u8 v1, v[8:9], off
	s_mov_b32 s17, 0
	s_mov_b32 s19, -1
	s_wait_loadcnt 0x0
	v_lshlrev_b32_e32 v2, 23, v1
	v_cmp_ne_u32_e32 vcc_lo, 0, v1
	s_delay_alu instid0(VALU_DEP_2) | instskip(NEXT) | instid1(VALU_DEP_1)
	v_cvt_i32_f32_e32 v2, v2
	v_cndmask_b32_e32 v2, 0, v2, vcc_lo
	s_branch .LBB22_1782
.LBB22_1781:
	s_mov_b32 s17, -1
                                        ; implicit-def: $vgpr2
.LBB22_1782:
	s_mov_b32 s20, 0
.LBB22_1783:
	s_delay_alu instid0(SALU_CYCLE_1)
	s_and_b32 vcc_lo, exec_lo, s20
	s_cbranch_vccz .LBB22_1787
; %bb.1784:
	s_cmp_eq_u32 s14, 29
	s_cbranch_scc0 .LBB22_1786
; %bb.1785:
	global_load_b64 v[2:3], v[8:9], off
	s_mov_b32 s17, 0
	s_mov_b32 s19, -1
	s_branch .LBB22_1787
.LBB22_1786:
	s_mov_b32 s17, -1
                                        ; implicit-def: $vgpr2
.LBB22_1787:
	s_mov_b32 s20, 0
.LBB22_1788:
	s_delay_alu instid0(SALU_CYCLE_1)
	s_and_b32 vcc_lo, exec_lo, s20
	s_cbranch_vccz .LBB22_1804
; %bb.1789:
	s_cmp_lt_i32 s14, 27
	s_cbranch_scc1 .LBB22_1792
; %bb.1790:
	s_cmp_gt_i32 s14, 27
	s_cbranch_scc0 .LBB22_1793
; %bb.1791:
	s_wait_loadcnt 0x0
	global_load_b32 v2, v[8:9], off
	s_mov_b32 s19, 0
	s_branch .LBB22_1794
.LBB22_1792:
	s_mov_b32 s19, -1
                                        ; implicit-def: $vgpr2
	s_branch .LBB22_1797
.LBB22_1793:
	s_mov_b32 s19, -1
                                        ; implicit-def: $vgpr2
.LBB22_1794:
	s_delay_alu instid0(SALU_CYCLE_1)
	s_and_not1_b32 vcc_lo, exec_lo, s19
	s_cbranch_vccnz .LBB22_1796
; %bb.1795:
	s_wait_loadcnt 0x0
	global_load_u16 v2, v[8:9], off
.LBB22_1796:
	s_mov_b32 s19, 0
.LBB22_1797:
	s_delay_alu instid0(SALU_CYCLE_1)
	s_and_not1_b32 vcc_lo, exec_lo, s19
	s_cbranch_vccnz .LBB22_1803
; %bb.1798:
	s_wait_loadcnt 0x0
	global_load_u8 v1, v[8:9], off
	s_mov_b32 s20, 0
	s_mov_b32 s19, exec_lo
	s_wait_loadcnt 0x0
	v_cmpx_lt_i16_e32 0x7f, v1
	s_xor_b32 s19, exec_lo, s19
	s_cbranch_execz .LBB22_1815
; %bb.1799:
	v_cmp_ne_u16_e32 vcc_lo, 0x80, v1
	s_and_b32 s20, vcc_lo, exec_lo
	s_and_not1_saveexec_b32 s19, s19
	s_cbranch_execnz .LBB22_1816
.LBB22_1800:
	s_or_b32 exec_lo, exec_lo, s19
	v_mov_b32_e32 v2, 0
	s_and_saveexec_b32 s19, s20
	s_cbranch_execz .LBB22_1802
.LBB22_1801:
	v_and_b32_e32 v2, 0xffff, v1
	s_delay_alu instid0(VALU_DEP_1) | instskip(SKIP_1) | instid1(VALU_DEP_2)
	v_and_b32_e32 v3, 7, v2
	v_bfe_u32 v11, v2, 3, 4
	v_clz_i32_u32_e32 v5, v3
	s_delay_alu instid0(VALU_DEP_2) | instskip(NEXT) | instid1(VALU_DEP_2)
	v_cmp_eq_u32_e32 vcc_lo, 0, v11
	v_min_u32_e32 v5, 32, v5
	s_delay_alu instid0(VALU_DEP_1) | instskip(NEXT) | instid1(VALU_DEP_1)
	v_subrev_nc_u32_e32 v7, 28, v5
	v_dual_lshlrev_b32 v2, v7, v2 :: v_dual_sub_nc_u32 v5, 29, v5
	s_delay_alu instid0(VALU_DEP_1) | instskip(NEXT) | instid1(VALU_DEP_1)
	v_dual_lshlrev_b32 v1, 24, v1 :: v_dual_bitop2_b32 v2, 7, v2 bitop3:0x40
	v_cndmask_b32_e32 v2, v3, v2, vcc_lo
	s_delay_alu instid0(VALU_DEP_3) | instskip(NEXT) | instid1(VALU_DEP_3)
	v_cndmask_b32_e32 v5, v11, v5, vcc_lo
	v_and_b32_e32 v1, 0x80000000, v1
	s_delay_alu instid0(VALU_DEP_3) | instskip(NEXT) | instid1(VALU_DEP_3)
	v_lshlrev_b32_e32 v2, 20, v2
	v_lshl_add_u32 v3, v5, 23, 0x3b800000
	s_delay_alu instid0(VALU_DEP_1) | instskip(NEXT) | instid1(VALU_DEP_1)
	v_or3_b32 v1, v1, v3, v2
	v_cvt_i32_f32_e32 v2, v1
.LBB22_1802:
	s_or_b32 exec_lo, exec_lo, s19
.LBB22_1803:
	s_mov_b32 s19, -1
.LBB22_1804:
	s_mov_b32 s20, 0
.LBB22_1805:
	s_delay_alu instid0(SALU_CYCLE_1)
	s_and_b32 vcc_lo, exec_lo, s20
	s_cbranch_vccz .LBB22_1836
; %bb.1806:
	s_cmp_gt_i32 s14, 22
	s_cbranch_scc0 .LBB22_1814
; %bb.1807:
	s_cmp_lt_i32 s14, 24
	s_cbranch_scc1 .LBB22_1817
; %bb.1808:
	s_cmp_gt_i32 s14, 24
	s_cbranch_scc0 .LBB22_1818
; %bb.1809:
	s_wait_loadcnt 0x0
	global_load_u8 v1, v[8:9], off
	s_mov_b32 s19, 0
	s_mov_b32 s18, exec_lo
	s_wait_loadcnt 0x0
	v_cmpx_lt_i16_e32 0x7f, v1
	s_xor_b32 s18, exec_lo, s18
	s_cbranch_execz .LBB22_1830
; %bb.1810:
	v_cmp_ne_u16_e32 vcc_lo, 0x80, v1
	s_and_b32 s19, vcc_lo, exec_lo
	s_and_not1_saveexec_b32 s18, s18
	s_cbranch_execnz .LBB22_1831
.LBB22_1811:
	s_or_b32 exec_lo, exec_lo, s18
	v_mov_b32_e32 v2, 0
	s_and_saveexec_b32 s18, s19
	s_cbranch_execz .LBB22_1813
.LBB22_1812:
	v_and_b32_e32 v2, 0xffff, v1
	s_delay_alu instid0(VALU_DEP_1) | instskip(SKIP_1) | instid1(VALU_DEP_2)
	v_and_b32_e32 v3, 3, v2
	v_bfe_u32 v11, v2, 2, 5
	v_clz_i32_u32_e32 v5, v3
	s_delay_alu instid0(VALU_DEP_2) | instskip(NEXT) | instid1(VALU_DEP_2)
	v_cmp_eq_u32_e32 vcc_lo, 0, v11
	v_min_u32_e32 v5, 32, v5
	s_delay_alu instid0(VALU_DEP_1) | instskip(NEXT) | instid1(VALU_DEP_1)
	v_subrev_nc_u32_e32 v7, 29, v5
	v_dual_lshlrev_b32 v2, v7, v2 :: v_dual_sub_nc_u32 v5, 30, v5
	s_delay_alu instid0(VALU_DEP_1) | instskip(NEXT) | instid1(VALU_DEP_1)
	v_dual_lshlrev_b32 v1, 24, v1 :: v_dual_bitop2_b32 v2, 3, v2 bitop3:0x40
	v_cndmask_b32_e32 v2, v3, v2, vcc_lo
	s_delay_alu instid0(VALU_DEP_3) | instskip(NEXT) | instid1(VALU_DEP_3)
	v_cndmask_b32_e32 v5, v11, v5, vcc_lo
	v_and_b32_e32 v1, 0x80000000, v1
	s_delay_alu instid0(VALU_DEP_3) | instskip(NEXT) | instid1(VALU_DEP_3)
	v_lshlrev_b32_e32 v2, 21, v2
	v_lshl_add_u32 v3, v5, 23, 0x37800000
	s_delay_alu instid0(VALU_DEP_1) | instskip(NEXT) | instid1(VALU_DEP_1)
	v_or3_b32 v1, v1, v3, v2
	v_cvt_i32_f32_e32 v2, v1
.LBB22_1813:
	s_or_b32 exec_lo, exec_lo, s18
	s_mov_b32 s18, 0
	s_branch .LBB22_1819
.LBB22_1814:
	s_mov_b32 s18, -1
                                        ; implicit-def: $vgpr2
	s_branch .LBB22_1825
.LBB22_1815:
	s_and_not1_saveexec_b32 s19, s19
	s_cbranch_execz .LBB22_1800
.LBB22_1816:
	v_cmp_ne_u16_e32 vcc_lo, 0, v1
	s_and_not1_b32 s20, s20, exec_lo
	s_and_b32 s21, vcc_lo, exec_lo
	s_delay_alu instid0(SALU_CYCLE_1)
	s_or_b32 s20, s20, s21
	s_or_b32 exec_lo, exec_lo, s19
	v_mov_b32_e32 v2, 0
	s_and_saveexec_b32 s19, s20
	s_cbranch_execnz .LBB22_1801
	s_branch .LBB22_1802
.LBB22_1817:
	s_mov_b32 s18, -1
                                        ; implicit-def: $vgpr2
	s_branch .LBB22_1822
.LBB22_1818:
	s_mov_b32 s18, -1
                                        ; implicit-def: $vgpr2
.LBB22_1819:
	s_delay_alu instid0(SALU_CYCLE_1)
	s_and_b32 vcc_lo, exec_lo, s18
	s_cbranch_vccz .LBB22_1821
; %bb.1820:
	s_wait_loadcnt 0x0
	global_load_u8 v1, v[8:9], off
	s_wait_loadcnt 0x0
	v_lshlrev_b32_e32 v1, 24, v1
	s_delay_alu instid0(VALU_DEP_1) | instskip(NEXT) | instid1(VALU_DEP_1)
	v_and_b32_e32 v2, 0x7f000000, v1
	v_clz_i32_u32_e32 v3, v2
	v_cmp_ne_u32_e32 vcc_lo, 0, v2
	v_add_nc_u32_e32 v7, 0x1000000, v2
	s_delay_alu instid0(VALU_DEP_3) | instskip(NEXT) | instid1(VALU_DEP_1)
	v_min_u32_e32 v3, 32, v3
	v_sub_nc_u32_e64 v3, v3, 4 clamp
	s_delay_alu instid0(VALU_DEP_1) | instskip(NEXT) | instid1(VALU_DEP_1)
	v_dual_lshlrev_b32 v5, v3, v2 :: v_dual_lshlrev_b32 v3, 23, v3
	v_lshrrev_b32_e32 v5, 4, v5
	s_delay_alu instid0(VALU_DEP_1) | instskip(SKIP_1) | instid1(VALU_DEP_2)
	v_sub_nc_u32_e32 v3, v5, v3
	v_ashrrev_i32_e32 v5, 8, v7
	v_add_nc_u32_e32 v3, 0x3c000000, v3
	s_delay_alu instid0(VALU_DEP_1) | instskip(NEXT) | instid1(VALU_DEP_1)
	v_and_or_b32 v3, 0x7f800000, v5, v3
	v_cndmask_b32_e32 v2, 0, v3, vcc_lo
	s_delay_alu instid0(VALU_DEP_1) | instskip(NEXT) | instid1(VALU_DEP_1)
	v_and_or_b32 v1, 0x80000000, v1, v2
	v_cvt_i32_f32_e32 v2, v1
.LBB22_1821:
	s_mov_b32 s18, 0
.LBB22_1822:
	s_delay_alu instid0(SALU_CYCLE_1)
	s_and_not1_b32 vcc_lo, exec_lo, s18
	s_cbranch_vccnz .LBB22_1824
; %bb.1823:
	s_wait_loadcnt 0x0
	global_load_u8 v1, v[8:9], off
	s_wait_loadcnt 0x0
	v_lshlrev_b32_e32 v2, 25, v1
	v_lshlrev_b16 v1, 8, v1
	s_delay_alu instid0(VALU_DEP_1) | instskip(NEXT) | instid1(VALU_DEP_3)
	v_and_or_b32 v5, 0x7f00, v1, 0.5
	v_lshrrev_b32_e32 v3, 4, v2
	v_bfe_i32 v1, v1, 0, 16
	s_delay_alu instid0(VALU_DEP_3) | instskip(NEXT) | instid1(VALU_DEP_3)
	v_add_f32_e32 v5, -0.5, v5
	v_or_b32_e32 v3, 0x70000000, v3
	s_delay_alu instid0(VALU_DEP_1) | instskip(SKIP_1) | instid1(VALU_DEP_2)
	v_mul_f32_e32 v3, 0x7800000, v3
	v_cmp_gt_u32_e32 vcc_lo, 0x8000000, v2
	v_cndmask_b32_e32 v2, v3, v5, vcc_lo
	s_delay_alu instid0(VALU_DEP_1) | instskip(NEXT) | instid1(VALU_DEP_1)
	v_and_or_b32 v1, 0x80000000, v1, v2
	v_cvt_i32_f32_e32 v2, v1
.LBB22_1824:
	s_mov_b32 s18, 0
	s_mov_b32 s19, -1
.LBB22_1825:
	s_and_not1_b32 vcc_lo, exec_lo, s18
	s_mov_b32 s18, 0
	s_cbranch_vccnz .LBB22_1836
; %bb.1826:
	s_cmp_gt_i32 s14, 14
	s_cbranch_scc0 .LBB22_1829
; %bb.1827:
	s_cmp_eq_u32 s14, 15
	s_cbranch_scc0 .LBB22_1832
; %bb.1828:
	s_wait_loadcnt 0x0
	global_load_u16 v1, v[8:9], off
	s_mov_b32 s17, 0
	s_mov_b32 s19, -1
	s_wait_loadcnt 0x0
	v_lshlrev_b32_e32 v1, 16, v1
	s_delay_alu instid0(VALU_DEP_1)
	v_cvt_i32_f32_e32 v2, v1
	s_branch .LBB22_1834
.LBB22_1829:
	s_mov_b32 s18, -1
	s_branch .LBB22_1833
.LBB22_1830:
	s_and_not1_saveexec_b32 s18, s18
	s_cbranch_execz .LBB22_1811
.LBB22_1831:
	v_cmp_ne_u16_e32 vcc_lo, 0, v1
	s_and_not1_b32 s19, s19, exec_lo
	s_and_b32 s20, vcc_lo, exec_lo
	s_delay_alu instid0(SALU_CYCLE_1)
	s_or_b32 s19, s19, s20
	s_or_b32 exec_lo, exec_lo, s18
	v_mov_b32_e32 v2, 0
	s_and_saveexec_b32 s18, s19
	s_cbranch_execnz .LBB22_1812
	s_branch .LBB22_1813
.LBB22_1832:
	s_mov_b32 s17, -1
.LBB22_1833:
                                        ; implicit-def: $vgpr2
.LBB22_1834:
	s_and_b32 vcc_lo, exec_lo, s18
	s_mov_b32 s18, 0
	s_cbranch_vccz .LBB22_1836
; %bb.1835:
	s_cmp_lg_u32 s14, 11
	s_mov_b32 s18, -1
	s_cselect_b32 s17, -1, 0
.LBB22_1836:
	s_delay_alu instid0(SALU_CYCLE_1)
	s_and_b32 vcc_lo, exec_lo, s17
	s_cbranch_vccnz .LBB22_1899
; %bb.1837:
	s_and_not1_b32 vcc_lo, exec_lo, s18
	s_cbranch_vccnz .LBB22_1839
.LBB22_1838:
	s_wait_loadcnt 0x0
	global_load_u8 v1, v[8:9], off
	s_mov_b32 s19, -1
	s_wait_loadcnt 0x0
	v_cmp_ne_u16_e32 vcc_lo, 0, v1
	v_cndmask_b32_e64 v2, 0, 1, vcc_lo
.LBB22_1839:
	s_branch .LBB22_1770
.LBB22_1840:
	s_and_b32 s14, 0xffff, s0
	s_delay_alu instid0(SALU_CYCLE_1)
	s_cmp_lt_i32 s14, 5
	s_cbranch_scc1 .LBB22_1845
; %bb.1841:
	s_cmp_lt_i32 s14, 8
	s_cbranch_scc1 .LBB22_1846
; %bb.1842:
	;; [unrolled: 3-line block ×3, first 2 shown]
	s_cmp_gt_i32 s14, 9
	s_cbranch_scc0 .LBB22_1848
; %bb.1844:
	s_wait_loadcnt 0x0
	global_load_b64 v[2:3], v[8:9], off
	s_mov_b32 s17, 0
	s_wait_loadcnt 0x0
	v_cvt_i32_f64_e32 v2, v[2:3]
	s_branch .LBB22_1849
.LBB22_1845:
	s_mov_b32 s17, -1
                                        ; implicit-def: $vgpr2
	s_branch .LBB22_1867
.LBB22_1846:
	s_mov_b32 s17, -1
                                        ; implicit-def: $vgpr2
	s_branch .LBB22_1855
.LBB22_1847:
	s_mov_b32 s17, -1
                                        ; implicit-def: $vgpr2
	s_branch .LBB22_1852
.LBB22_1848:
	s_mov_b32 s17, -1
                                        ; implicit-def: $vgpr2
.LBB22_1849:
	s_delay_alu instid0(SALU_CYCLE_1)
	s_and_not1_b32 vcc_lo, exec_lo, s17
	s_cbranch_vccnz .LBB22_1851
; %bb.1850:
	s_wait_loadcnt 0x0
	global_load_b32 v1, v[8:9], off
	s_wait_loadcnt 0x0
	v_cvt_i32_f32_e32 v2, v1
.LBB22_1851:
	s_mov_b32 s17, 0
.LBB22_1852:
	s_delay_alu instid0(SALU_CYCLE_1)
	s_and_not1_b32 vcc_lo, exec_lo, s17
	s_cbranch_vccnz .LBB22_1854
; %bb.1853:
	s_wait_loadcnt 0x0
	global_load_b32 v1, v[8:9], off
	s_wait_loadcnt 0x0
	v_cvt_i16_f16_e32 v2, v1
.LBB22_1854:
	s_mov_b32 s17, 0
.LBB22_1855:
	s_delay_alu instid0(SALU_CYCLE_1)
	s_and_not1_b32 vcc_lo, exec_lo, s17
	s_cbranch_vccnz .LBB22_1866
; %bb.1856:
	s_cmp_lt_i32 s14, 6
	s_cbranch_scc1 .LBB22_1859
; %bb.1857:
	s_cmp_gt_i32 s14, 6
	s_cbranch_scc0 .LBB22_1860
; %bb.1858:
	s_wait_loadcnt 0x0
	global_load_b64 v[2:3], v[8:9], off
	s_mov_b32 s17, 0
	s_wait_loadcnt 0x0
	v_cvt_i32_f64_e32 v2, v[2:3]
	s_branch .LBB22_1861
.LBB22_1859:
	s_mov_b32 s17, -1
                                        ; implicit-def: $vgpr2
	s_branch .LBB22_1864
.LBB22_1860:
	s_mov_b32 s17, -1
                                        ; implicit-def: $vgpr2
.LBB22_1861:
	s_delay_alu instid0(SALU_CYCLE_1)
	s_and_not1_b32 vcc_lo, exec_lo, s17
	s_cbranch_vccnz .LBB22_1863
; %bb.1862:
	s_wait_loadcnt 0x0
	global_load_b32 v1, v[8:9], off
	s_wait_loadcnt 0x0
	v_cvt_i32_f32_e32 v2, v1
.LBB22_1863:
	s_mov_b32 s17, 0
.LBB22_1864:
	s_delay_alu instid0(SALU_CYCLE_1)
	s_and_not1_b32 vcc_lo, exec_lo, s17
	s_cbranch_vccnz .LBB22_1866
; %bb.1865:
	s_wait_loadcnt 0x0
	global_load_u16 v1, v[8:9], off
	s_wait_loadcnt 0x0
	v_cvt_i16_f16_e32 v2, v1
.LBB22_1866:
	s_mov_b32 s17, 0
.LBB22_1867:
	s_delay_alu instid0(SALU_CYCLE_1)
	s_and_not1_b32 vcc_lo, exec_lo, s17
	s_cbranch_vccnz .LBB22_1887
; %bb.1868:
	s_cmp_lt_i32 s14, 2
	s_cbranch_scc1 .LBB22_1872
; %bb.1869:
	s_cmp_lt_i32 s14, 3
	s_cbranch_scc1 .LBB22_1873
; %bb.1870:
	s_cmp_gt_i32 s14, 3
	s_cbranch_scc0 .LBB22_1874
; %bb.1871:
	s_wait_loadcnt 0x0
	global_load_b64 v[2:3], v[8:9], off
	s_mov_b32 s17, 0
	s_branch .LBB22_1875
.LBB22_1872:
	s_mov_b32 s17, -1
                                        ; implicit-def: $vgpr2
	s_branch .LBB22_1881
.LBB22_1873:
	s_mov_b32 s17, -1
                                        ; implicit-def: $vgpr2
	s_branch .LBB22_1878
.LBB22_1874:
	s_mov_b32 s17, -1
                                        ; implicit-def: $vgpr2
.LBB22_1875:
	s_delay_alu instid0(SALU_CYCLE_1)
	s_and_not1_b32 vcc_lo, exec_lo, s17
	s_cbranch_vccnz .LBB22_1877
; %bb.1876:
	s_wait_loadcnt 0x0
	global_load_b32 v2, v[8:9], off
.LBB22_1877:
	s_mov_b32 s17, 0
.LBB22_1878:
	s_delay_alu instid0(SALU_CYCLE_1)
	s_and_not1_b32 vcc_lo, exec_lo, s17
	s_cbranch_vccnz .LBB22_1880
; %bb.1879:
	s_wait_loadcnt 0x0
	global_load_u16 v2, v[8:9], off
.LBB22_1880:
	s_mov_b32 s17, 0
.LBB22_1881:
	s_delay_alu instid0(SALU_CYCLE_1)
	s_and_not1_b32 vcc_lo, exec_lo, s17
	s_cbranch_vccnz .LBB22_1887
; %bb.1882:
	s_cmp_gt_i32 s14, 0
	s_mov_b32 s14, 0
	s_cbranch_scc0 .LBB22_1884
; %bb.1883:
	s_wait_loadcnt 0x0
	global_load_u8 v2, v[8:9], off
	s_branch .LBB22_1885
.LBB22_1884:
	s_mov_b32 s14, -1
                                        ; implicit-def: $vgpr2
.LBB22_1885:
	s_delay_alu instid0(SALU_CYCLE_1)
	s_and_not1_b32 vcc_lo, exec_lo, s14
	s_cbranch_vccnz .LBB22_1887
; %bb.1886:
	s_wait_loadcnt 0x0
	global_load_u8 v2, v[8:9], off
.LBB22_1887:
.LBB22_1888:
	s_lshl_b32 s10, s10, 7
	s_cmp_lt_i32 s1, 11
	v_add_nc_u32_e32 v12, s10, v6
	s_delay_alu instid0(VALU_DEP_1) | instskip(NEXT) | instid1(VALU_DEP_1)
	v_ashrrev_i32_e32 v13, 31, v12
	v_add_nc_u64_e32 v[6:7], s[2:3], v[12:13]
	s_cbranch_scc1 .LBB22_1895
; %bb.1889:
	s_and_b32 s14, 0xffff, s1
	s_mov_b32 s18, 0
	s_cmp_gt_i32 s14, 25
	s_cbranch_scc0 .LBB22_1896
; %bb.1890:
	s_cmp_gt_i32 s14, 28
	s_cbranch_scc0 .LBB22_1897
; %bb.1891:
	;; [unrolled: 3-line block ×4, first 2 shown]
	s_cmp_eq_u32 s14, 46
	s_mov_b32 s20, 0
	s_cbranch_scc0 .LBB22_1901
; %bb.1894:
	s_wait_loadcnt 0x0
	global_load_b32 v1, v[6:7], off
	s_mov_b32 s17, 0
	s_mov_b32 s19, -1
	s_wait_loadcnt 0x0
	v_lshlrev_b32_e32 v1, 16, v1
	s_wait_xcnt 0x1
	s_delay_alu instid0(VALU_DEP_1)
	v_cvt_i32_f32_e32 v8, v1
	s_branch .LBB22_1903
.LBB22_1895:
	s_mov_b32 s14, -1
	s_mov_b32 s19, 0
                                        ; implicit-def: $vgpr8
	s_branch .LBB22_1965
.LBB22_1896:
	s_mov_b32 s20, -1
	s_mov_b32 s19, 0
	s_mov_b32 s17, 0
                                        ; implicit-def: $vgpr8
	s_branch .LBB22_1930
.LBB22_1897:
	s_mov_b32 s20, -1
	s_mov_b32 s19, 0
	s_mov_b32 s17, 0
                                        ; implicit-def: $vgpr8
	s_branch .LBB22_1913
.LBB22_1898:
	s_mov_b32 s20, -1
	s_mov_b32 s19, 0
	s_mov_b32 s17, 0
                                        ; implicit-def: $vgpr8
	s_branch .LBB22_1908
.LBB22_1899:
	s_or_b32 s13, s13, exec_lo
	s_trap 2
	s_cbranch_execz .LBB22_1838
	s_branch .LBB22_1839
.LBB22_1900:
	s_mov_b32 s20, -1
	s_mov_b32 s19, 0
	s_mov_b32 s17, 0
	s_branch .LBB22_1902
.LBB22_1901:
	s_mov_b32 s17, -1
	s_mov_b32 s19, 0
.LBB22_1902:
                                        ; implicit-def: $vgpr8
.LBB22_1903:
	s_and_b32 vcc_lo, exec_lo, s20
	s_cbranch_vccz .LBB22_1907
; %bb.1904:
	s_cmp_eq_u32 s14, 44
	s_cbranch_scc0 .LBB22_1906
; %bb.1905:
	s_wait_loadcnt 0x0
	global_load_u8 v1, v[6:7], off
	s_mov_b32 s17, 0
	s_mov_b32 s19, -1
	s_wait_loadcnt 0x0
	v_lshlrev_b32_e32 v3, 23, v1
	v_cmp_ne_u32_e32 vcc_lo, 0, v1
	s_delay_alu instid0(VALU_DEP_2) | instskip(SKIP_1) | instid1(VALU_DEP_1)
	v_cvt_i32_f32_e32 v3, v3
	s_wait_xcnt 0x1
	v_cndmask_b32_e32 v8, 0, v3, vcc_lo
	s_branch .LBB22_1907
.LBB22_1906:
	s_mov_b32 s17, -1
                                        ; implicit-def: $vgpr8
.LBB22_1907:
	s_mov_b32 s20, 0
.LBB22_1908:
	s_delay_alu instid0(SALU_CYCLE_1)
	s_and_b32 vcc_lo, exec_lo, s20
	s_cbranch_vccz .LBB22_1912
; %bb.1909:
	s_cmp_eq_u32 s14, 29
	s_cbranch_scc0 .LBB22_1911
; %bb.1910:
	global_load_b64 v[8:9], v[6:7], off
	s_mov_b32 s17, 0
	s_mov_b32 s19, -1
	s_branch .LBB22_1912
.LBB22_1911:
	s_mov_b32 s17, -1
                                        ; implicit-def: $vgpr8
.LBB22_1912:
	s_mov_b32 s20, 0
.LBB22_1913:
	s_delay_alu instid0(SALU_CYCLE_1)
	s_and_b32 vcc_lo, exec_lo, s20
	s_cbranch_vccz .LBB22_1929
; %bb.1914:
	s_cmp_lt_i32 s14, 27
	s_cbranch_scc1 .LBB22_1917
; %bb.1915:
	s_cmp_gt_i32 s14, 27
	s_cbranch_scc0 .LBB22_1918
; %bb.1916:
	s_wait_loadcnt 0x0
	global_load_b32 v8, v[6:7], off
	s_mov_b32 s19, 0
	s_branch .LBB22_1919
.LBB22_1917:
	s_mov_b32 s19, -1
                                        ; implicit-def: $vgpr8
	s_branch .LBB22_1922
.LBB22_1918:
	s_mov_b32 s19, -1
                                        ; implicit-def: $vgpr8
.LBB22_1919:
	s_delay_alu instid0(SALU_CYCLE_1)
	s_and_not1_b32 vcc_lo, exec_lo, s19
	s_cbranch_vccnz .LBB22_1921
; %bb.1920:
	s_wait_loadcnt 0x0
	global_load_u16 v8, v[6:7], off
.LBB22_1921:
	s_mov_b32 s19, 0
.LBB22_1922:
	s_delay_alu instid0(SALU_CYCLE_1)
	s_and_not1_b32 vcc_lo, exec_lo, s19
	s_cbranch_vccnz .LBB22_1928
; %bb.1923:
	s_wait_loadcnt 0x0
	global_load_u8 v1, v[6:7], off
	s_mov_b32 s20, 0
	s_mov_b32 s19, exec_lo
	s_wait_loadcnt 0x0
	v_cmpx_lt_i16_e32 0x7f, v1
	s_xor_b32 s19, exec_lo, s19
	s_cbranch_execz .LBB22_1940
; %bb.1924:
	v_cmp_ne_u16_e32 vcc_lo, 0x80, v1
	s_and_b32 s20, vcc_lo, exec_lo
	s_and_not1_saveexec_b32 s19, s19
	s_cbranch_execnz .LBB22_1941
.LBB22_1925:
	s_or_b32 exec_lo, exec_lo, s19
	v_mov_b32_e32 v8, 0
	s_and_saveexec_b32 s19, s20
	s_cbranch_execz .LBB22_1927
.LBB22_1926:
	v_and_b32_e32 v3, 0xffff, v1
	s_delay_alu instid0(VALU_DEP_1) | instskip(SKIP_1) | instid1(VALU_DEP_2)
	v_and_b32_e32 v5, 7, v3
	v_bfe_u32 v11, v3, 3, 4
	v_clz_i32_u32_e32 v8, v5
	s_delay_alu instid0(VALU_DEP_2) | instskip(NEXT) | instid1(VALU_DEP_2)
	v_cmp_eq_u32_e32 vcc_lo, 0, v11
	v_min_u32_e32 v8, 32, v8
	s_delay_alu instid0(VALU_DEP_1) | instskip(NEXT) | instid1(VALU_DEP_1)
	v_subrev_nc_u32_e32 v9, 28, v8
	v_dual_lshlrev_b32 v3, v9, v3 :: v_dual_sub_nc_u32 v8, 29, v8
	s_delay_alu instid0(VALU_DEP_1) | instskip(NEXT) | instid1(VALU_DEP_1)
	v_dual_lshlrev_b32 v1, 24, v1 :: v_dual_bitop2_b32 v3, 7, v3 bitop3:0x40
	v_dual_cndmask_b32 v8, v11, v8 :: v_dual_cndmask_b32 v3, v5, v3
	s_delay_alu instid0(VALU_DEP_2) | instskip(NEXT) | instid1(VALU_DEP_2)
	v_and_b32_e32 v1, 0x80000000, v1
	v_lshl_add_u32 v5, v8, 23, 0x3b800000
	s_delay_alu instid0(VALU_DEP_3) | instskip(NEXT) | instid1(VALU_DEP_1)
	v_lshlrev_b32_e32 v3, 20, v3
	v_or3_b32 v1, v1, v5, v3
	s_delay_alu instid0(VALU_DEP_1)
	v_cvt_i32_f32_e32 v8, v1
.LBB22_1927:
	s_or_b32 exec_lo, exec_lo, s19
.LBB22_1928:
	s_mov_b32 s19, -1
.LBB22_1929:
	s_mov_b32 s20, 0
.LBB22_1930:
	s_delay_alu instid0(SALU_CYCLE_1)
	s_and_b32 vcc_lo, exec_lo, s20
	s_cbranch_vccz .LBB22_1961
; %bb.1931:
	s_cmp_gt_i32 s14, 22
	s_cbranch_scc0 .LBB22_1939
; %bb.1932:
	s_cmp_lt_i32 s14, 24
	s_cbranch_scc1 .LBB22_1942
; %bb.1933:
	s_cmp_gt_i32 s14, 24
	s_cbranch_scc0 .LBB22_1943
; %bb.1934:
	s_wait_loadcnt 0x0
	global_load_u8 v1, v[6:7], off
	s_mov_b32 s19, 0
	s_mov_b32 s18, exec_lo
	s_wait_loadcnt 0x0
	v_cmpx_lt_i16_e32 0x7f, v1
	s_xor_b32 s18, exec_lo, s18
	s_cbranch_execz .LBB22_1955
; %bb.1935:
	v_cmp_ne_u16_e32 vcc_lo, 0x80, v1
	s_and_b32 s19, vcc_lo, exec_lo
	s_and_not1_saveexec_b32 s18, s18
	s_cbranch_execnz .LBB22_1956
.LBB22_1936:
	s_or_b32 exec_lo, exec_lo, s18
	v_mov_b32_e32 v8, 0
	s_and_saveexec_b32 s18, s19
	s_cbranch_execz .LBB22_1938
.LBB22_1937:
	v_and_b32_e32 v3, 0xffff, v1
	s_delay_alu instid0(VALU_DEP_1) | instskip(SKIP_1) | instid1(VALU_DEP_2)
	v_and_b32_e32 v5, 3, v3
	v_bfe_u32 v11, v3, 2, 5
	v_clz_i32_u32_e32 v8, v5
	s_delay_alu instid0(VALU_DEP_2) | instskip(NEXT) | instid1(VALU_DEP_2)
	v_cmp_eq_u32_e32 vcc_lo, 0, v11
	v_min_u32_e32 v8, 32, v8
	s_delay_alu instid0(VALU_DEP_1) | instskip(NEXT) | instid1(VALU_DEP_1)
	v_subrev_nc_u32_e32 v9, 29, v8
	v_dual_lshlrev_b32 v3, v9, v3 :: v_dual_sub_nc_u32 v8, 30, v8
	s_delay_alu instid0(VALU_DEP_1) | instskip(NEXT) | instid1(VALU_DEP_1)
	v_dual_lshlrev_b32 v1, 24, v1 :: v_dual_bitop2_b32 v3, 3, v3 bitop3:0x40
	v_dual_cndmask_b32 v8, v11, v8 :: v_dual_cndmask_b32 v3, v5, v3
	s_delay_alu instid0(VALU_DEP_2) | instskip(NEXT) | instid1(VALU_DEP_2)
	v_and_b32_e32 v1, 0x80000000, v1
	v_lshl_add_u32 v5, v8, 23, 0x37800000
	s_delay_alu instid0(VALU_DEP_3) | instskip(NEXT) | instid1(VALU_DEP_1)
	v_lshlrev_b32_e32 v3, 21, v3
	v_or3_b32 v1, v1, v5, v3
	s_delay_alu instid0(VALU_DEP_1)
	v_cvt_i32_f32_e32 v8, v1
.LBB22_1938:
	s_or_b32 exec_lo, exec_lo, s18
	s_mov_b32 s18, 0
	s_branch .LBB22_1944
.LBB22_1939:
	s_mov_b32 s18, -1
                                        ; implicit-def: $vgpr8
	s_branch .LBB22_1950
.LBB22_1940:
	s_and_not1_saveexec_b32 s19, s19
	s_cbranch_execz .LBB22_1925
.LBB22_1941:
	v_cmp_ne_u16_e32 vcc_lo, 0, v1
	s_and_not1_b32 s20, s20, exec_lo
	s_and_b32 s21, vcc_lo, exec_lo
	s_delay_alu instid0(SALU_CYCLE_1)
	s_or_b32 s20, s20, s21
	s_or_b32 exec_lo, exec_lo, s19
	v_mov_b32_e32 v8, 0
	s_and_saveexec_b32 s19, s20
	s_cbranch_execnz .LBB22_1926
	s_branch .LBB22_1927
.LBB22_1942:
	s_mov_b32 s18, -1
                                        ; implicit-def: $vgpr8
	s_branch .LBB22_1947
.LBB22_1943:
	s_mov_b32 s18, -1
                                        ; implicit-def: $vgpr8
.LBB22_1944:
	s_delay_alu instid0(SALU_CYCLE_1)
	s_and_b32 vcc_lo, exec_lo, s18
	s_cbranch_vccz .LBB22_1946
; %bb.1945:
	s_wait_loadcnt 0x0
	global_load_u8 v1, v[6:7], off
	s_wait_loadcnt 0x0
	v_lshlrev_b32_e32 v1, 24, v1
	s_delay_alu instid0(VALU_DEP_1) | instskip(NEXT) | instid1(VALU_DEP_1)
	v_and_b32_e32 v3, 0x7f000000, v1
	v_clz_i32_u32_e32 v5, v3
	s_wait_xcnt 0x1
	v_add_nc_u32_e32 v9, 0x1000000, v3
	v_cmp_ne_u32_e32 vcc_lo, 0, v3
	s_delay_alu instid0(VALU_DEP_3) | instskip(NEXT) | instid1(VALU_DEP_1)
	v_min_u32_e32 v5, 32, v5
	v_sub_nc_u32_e64 v5, v5, 4 clamp
	s_delay_alu instid0(VALU_DEP_1) | instskip(NEXT) | instid1(VALU_DEP_1)
	v_dual_lshlrev_b32 v8, v5, v3 :: v_dual_lshlrev_b32 v5, 23, v5
	v_lshrrev_b32_e32 v8, 4, v8
	s_delay_alu instid0(VALU_DEP_1) | instskip(SKIP_1) | instid1(VALU_DEP_2)
	v_sub_nc_u32_e32 v5, v8, v5
	v_ashrrev_i32_e32 v8, 8, v9
	v_add_nc_u32_e32 v5, 0x3c000000, v5
	s_delay_alu instid0(VALU_DEP_1) | instskip(NEXT) | instid1(VALU_DEP_1)
	v_and_or_b32 v5, 0x7f800000, v8, v5
	v_cndmask_b32_e32 v3, 0, v5, vcc_lo
	s_delay_alu instid0(VALU_DEP_1) | instskip(NEXT) | instid1(VALU_DEP_1)
	v_and_or_b32 v1, 0x80000000, v1, v3
	v_cvt_i32_f32_e32 v8, v1
.LBB22_1946:
	s_mov_b32 s18, 0
.LBB22_1947:
	s_delay_alu instid0(SALU_CYCLE_1)
	s_and_not1_b32 vcc_lo, exec_lo, s18
	s_cbranch_vccnz .LBB22_1949
; %bb.1948:
	s_wait_loadcnt 0x0
	global_load_u8 v1, v[6:7], off
	s_wait_loadcnt 0x0
	v_lshlrev_b32_e32 v3, 25, v1
	v_lshlrev_b16 v1, 8, v1
	s_wait_xcnt 0x1
	s_delay_alu instid0(VALU_DEP_1) | instskip(SKIP_1) | instid1(VALU_DEP_2)
	v_and_or_b32 v8, 0x7f00, v1, 0.5
	v_bfe_i32 v1, v1, 0, 16
	v_dual_add_f32 v8, -0.5, v8 :: v_dual_lshrrev_b32 v5, 4, v3
	v_cmp_gt_u32_e32 vcc_lo, 0x8000000, v3
	s_delay_alu instid0(VALU_DEP_2) | instskip(NEXT) | instid1(VALU_DEP_1)
	v_or_b32_e32 v5, 0x70000000, v5
	v_mul_f32_e32 v5, 0x7800000, v5
	s_delay_alu instid0(VALU_DEP_1) | instskip(NEXT) | instid1(VALU_DEP_1)
	v_cndmask_b32_e32 v3, v5, v8, vcc_lo
	v_and_or_b32 v1, 0x80000000, v1, v3
	s_delay_alu instid0(VALU_DEP_1)
	v_cvt_i32_f32_e32 v8, v1
.LBB22_1949:
	s_mov_b32 s18, 0
	s_mov_b32 s19, -1
.LBB22_1950:
	s_and_not1_b32 vcc_lo, exec_lo, s18
	s_mov_b32 s18, 0
	s_cbranch_vccnz .LBB22_1961
; %bb.1951:
	s_cmp_gt_i32 s14, 14
	s_cbranch_scc0 .LBB22_1954
; %bb.1952:
	s_cmp_eq_u32 s14, 15
	s_cbranch_scc0 .LBB22_1957
; %bb.1953:
	s_wait_loadcnt 0x0
	global_load_u16 v1, v[6:7], off
	s_mov_b32 s17, 0
	s_mov_b32 s19, -1
	s_wait_loadcnt 0x0
	v_lshlrev_b32_e32 v1, 16, v1
	s_wait_xcnt 0x1
	s_delay_alu instid0(VALU_DEP_1)
	v_cvt_i32_f32_e32 v8, v1
	s_branch .LBB22_1959
.LBB22_1954:
	s_mov_b32 s18, -1
	s_branch .LBB22_1958
.LBB22_1955:
	s_and_not1_saveexec_b32 s18, s18
	s_cbranch_execz .LBB22_1936
.LBB22_1956:
	v_cmp_ne_u16_e32 vcc_lo, 0, v1
	s_and_not1_b32 s19, s19, exec_lo
	s_and_b32 s20, vcc_lo, exec_lo
	s_delay_alu instid0(SALU_CYCLE_1)
	s_or_b32 s19, s19, s20
	s_or_b32 exec_lo, exec_lo, s18
	v_mov_b32_e32 v8, 0
	s_and_saveexec_b32 s18, s19
	s_cbranch_execnz .LBB22_1937
	s_branch .LBB22_1938
.LBB22_1957:
	s_mov_b32 s17, -1
.LBB22_1958:
                                        ; implicit-def: $vgpr8
.LBB22_1959:
	s_and_b32 vcc_lo, exec_lo, s18
	s_mov_b32 s18, 0
	s_cbranch_vccz .LBB22_1961
; %bb.1960:
	s_cmp_lg_u32 s14, 11
	s_mov_b32 s18, -1
	s_cselect_b32 s17, -1, 0
.LBB22_1961:
	s_delay_alu instid0(SALU_CYCLE_1)
	s_and_b32 vcc_lo, exec_lo, s17
	s_cbranch_vccnz .LBB22_2026
; %bb.1962:
	s_and_not1_b32 vcc_lo, exec_lo, s18
	s_cbranch_vccnz .LBB22_1964
.LBB22_1963:
	s_wait_loadcnt 0x0
	global_load_u8 v1, v[6:7], off
	s_mov_b32 s19, -1
	s_wait_loadcnt 0x0
	v_cmp_ne_u16_e32 vcc_lo, 0, v1
	s_wait_xcnt 0x1
	v_cndmask_b32_e64 v8, 0, 1, vcc_lo
.LBB22_1964:
	s_mov_b32 s14, 0
.LBB22_1965:
	s_delay_alu instid0(SALU_CYCLE_1)
	s_and_b32 vcc_lo, exec_lo, s14
	s_cbranch_vccz .LBB22_2014
; %bb.1966:
	s_and_b32 s14, 0xffff, s1
	s_delay_alu instid0(SALU_CYCLE_1)
	s_cmp_lt_i32 s14, 5
	s_cbranch_scc1 .LBB22_1971
; %bb.1967:
	s_cmp_lt_i32 s14, 8
	s_cbranch_scc1 .LBB22_1972
; %bb.1968:
	;; [unrolled: 3-line block ×3, first 2 shown]
	s_cmp_gt_i32 s14, 9
	s_cbranch_scc0 .LBB22_1974
; %bb.1970:
	s_wait_loadcnt 0x0
	global_load_b64 v[8:9], v[6:7], off
	s_mov_b32 s17, 0
	s_wait_loadcnt 0x0
	v_cvt_i32_f64_e32 v8, v[8:9]
	s_branch .LBB22_1975
.LBB22_1971:
	s_mov_b32 s17, -1
                                        ; implicit-def: $vgpr8
	s_branch .LBB22_1993
.LBB22_1972:
	s_mov_b32 s17, -1
                                        ; implicit-def: $vgpr8
	s_branch .LBB22_1981
.LBB22_1973:
	s_mov_b32 s17, -1
                                        ; implicit-def: $vgpr8
	s_branch .LBB22_1978
.LBB22_1974:
	s_mov_b32 s17, -1
                                        ; implicit-def: $vgpr8
.LBB22_1975:
	s_delay_alu instid0(SALU_CYCLE_1)
	s_and_not1_b32 vcc_lo, exec_lo, s17
	s_cbranch_vccnz .LBB22_1977
; %bb.1976:
	s_wait_loadcnt 0x0
	global_load_b32 v1, v[6:7], off
	s_wait_loadcnt 0x0
	s_wait_xcnt 0x1
	v_cvt_i32_f32_e32 v8, v1
.LBB22_1977:
	s_mov_b32 s17, 0
.LBB22_1978:
	s_delay_alu instid0(SALU_CYCLE_1)
	s_and_not1_b32 vcc_lo, exec_lo, s17
	s_cbranch_vccnz .LBB22_1980
; %bb.1979:
	s_wait_loadcnt 0x0
	global_load_b32 v1, v[6:7], off
	s_wait_loadcnt 0x0
	s_wait_xcnt 0x1
	v_cvt_i16_f16_e32 v8, v1
.LBB22_1980:
	s_mov_b32 s17, 0
.LBB22_1981:
	s_delay_alu instid0(SALU_CYCLE_1)
	s_and_not1_b32 vcc_lo, exec_lo, s17
	s_cbranch_vccnz .LBB22_1992
; %bb.1982:
	s_cmp_lt_i32 s14, 6
	s_cbranch_scc1 .LBB22_1985
; %bb.1983:
	s_cmp_gt_i32 s14, 6
	s_cbranch_scc0 .LBB22_1986
; %bb.1984:
	s_wait_loadcnt 0x0
	global_load_b64 v[8:9], v[6:7], off
	s_mov_b32 s17, 0
	s_wait_loadcnt 0x0
	v_cvt_i32_f64_e32 v8, v[8:9]
	s_branch .LBB22_1987
.LBB22_1985:
	s_mov_b32 s17, -1
                                        ; implicit-def: $vgpr8
	s_branch .LBB22_1990
.LBB22_1986:
	s_mov_b32 s17, -1
                                        ; implicit-def: $vgpr8
.LBB22_1987:
	s_delay_alu instid0(SALU_CYCLE_1)
	s_and_not1_b32 vcc_lo, exec_lo, s17
	s_cbranch_vccnz .LBB22_1989
; %bb.1988:
	s_wait_loadcnt 0x0
	global_load_b32 v1, v[6:7], off
	s_wait_loadcnt 0x0
	s_wait_xcnt 0x1
	v_cvt_i32_f32_e32 v8, v1
.LBB22_1989:
	s_mov_b32 s17, 0
.LBB22_1990:
	s_delay_alu instid0(SALU_CYCLE_1)
	s_and_not1_b32 vcc_lo, exec_lo, s17
	s_cbranch_vccnz .LBB22_1992
; %bb.1991:
	s_wait_loadcnt 0x0
	global_load_u16 v1, v[6:7], off
	s_wait_loadcnt 0x0
	s_wait_xcnt 0x1
	v_cvt_i16_f16_e32 v8, v1
.LBB22_1992:
	s_mov_b32 s17, 0
.LBB22_1993:
	s_delay_alu instid0(SALU_CYCLE_1)
	s_and_not1_b32 vcc_lo, exec_lo, s17
	s_cbranch_vccnz .LBB22_2013
; %bb.1994:
	s_cmp_lt_i32 s14, 2
	s_cbranch_scc1 .LBB22_1998
; %bb.1995:
	s_cmp_lt_i32 s14, 3
	s_cbranch_scc1 .LBB22_1999
; %bb.1996:
	s_cmp_gt_i32 s14, 3
	s_cbranch_scc0 .LBB22_2000
; %bb.1997:
	s_wait_loadcnt 0x0
	global_load_b64 v[8:9], v[6:7], off
	s_mov_b32 s17, 0
	s_branch .LBB22_2001
.LBB22_1998:
	s_mov_b32 s17, -1
                                        ; implicit-def: $vgpr8
	s_branch .LBB22_2007
.LBB22_1999:
	s_mov_b32 s17, -1
                                        ; implicit-def: $vgpr8
	s_branch .LBB22_2004
.LBB22_2000:
	s_mov_b32 s17, -1
                                        ; implicit-def: $vgpr8
.LBB22_2001:
	s_delay_alu instid0(SALU_CYCLE_1)
	s_and_not1_b32 vcc_lo, exec_lo, s17
	s_cbranch_vccnz .LBB22_2003
; %bb.2002:
	s_wait_loadcnt 0x0
	global_load_b32 v8, v[6:7], off
.LBB22_2003:
	s_mov_b32 s17, 0
.LBB22_2004:
	s_delay_alu instid0(SALU_CYCLE_1)
	s_and_not1_b32 vcc_lo, exec_lo, s17
	s_cbranch_vccnz .LBB22_2006
; %bb.2005:
	s_wait_loadcnt 0x0
	global_load_u16 v8, v[6:7], off
.LBB22_2006:
	s_mov_b32 s17, 0
.LBB22_2007:
	s_delay_alu instid0(SALU_CYCLE_1)
	s_and_not1_b32 vcc_lo, exec_lo, s17
	s_cbranch_vccnz .LBB22_2013
; %bb.2008:
	s_cmp_gt_i32 s14, 0
	s_mov_b32 s14, 0
	s_cbranch_scc0 .LBB22_2010
; %bb.2009:
	s_wait_loadcnt 0x0
	global_load_u8 v8, v[6:7], off
	s_branch .LBB22_2011
.LBB22_2010:
	s_mov_b32 s14, -1
                                        ; implicit-def: $vgpr8
.LBB22_2011:
	s_delay_alu instid0(SALU_CYCLE_1)
	s_and_not1_b32 vcc_lo, exec_lo, s14
	s_cbranch_vccnz .LBB22_2013
; %bb.2012:
	s_wait_loadcnt 0x0
	global_load_u8 v8, v[6:7], off
.LBB22_2013:
	s_mov_b32 s19, -1
.LBB22_2014:
	s_delay_alu instid0(SALU_CYCLE_1)
	s_and_not1_b32 vcc_lo, exec_lo, s19
	s_cbranch_vccnz .LBB22_2957
; %bb.2015:
	v_add_nc_u32_e32 v10, s9, v10
	s_cmp_lt_i32 s0, 11
	s_delay_alu instid0(VALU_DEP_1) | instskip(NEXT) | instid1(VALU_DEP_1)
	v_ashrrev_i32_e32 v11, 31, v10
	v_add_nc_u64_e32 v[14:15], s[6:7], v[10:11]
	s_cbranch_scc1 .LBB22_2022
; %bb.2016:
	s_and_b32 s14, 0xffff, s0
	s_mov_b32 s18, 0
	s_cmp_gt_i32 s14, 25
	s_cbranch_scc0 .LBB22_2023
; %bb.2017:
	s_cmp_gt_i32 s14, 28
	s_cbranch_scc0 .LBB22_2024
; %bb.2018:
	;; [unrolled: 3-line block ×4, first 2 shown]
	s_cmp_eq_u32 s14, 46
	s_mov_b32 s20, 0
	s_cbranch_scc0 .LBB22_2028
; %bb.2021:
	s_wait_loadcnt 0x0
	global_load_b32 v1, v[14:15], off
	s_mov_b32 s17, 0
	s_mov_b32 s19, -1
	s_wait_loadcnt 0x0
	v_lshlrev_b32_e32 v1, 16, v1
	s_wait_xcnt 0x1
	s_delay_alu instid0(VALU_DEP_1)
	v_cvt_i32_f32_e32 v6, v1
	s_branch .LBB22_2030
.LBB22_2022:
	s_mov_b32 s14, -1
	s_mov_b32 s19, 0
                                        ; implicit-def: $vgpr6
	s_branch .LBB22_2092
.LBB22_2023:
	s_mov_b32 s20, -1
	s_mov_b32 s19, 0
	s_mov_b32 s17, 0
                                        ; implicit-def: $vgpr6
	s_branch .LBB22_2057
.LBB22_2024:
	s_mov_b32 s20, -1
	s_mov_b32 s19, 0
	s_mov_b32 s17, 0
                                        ; implicit-def: $vgpr6
	s_branch .LBB22_2040
.LBB22_2025:
	s_mov_b32 s20, -1
	s_mov_b32 s19, 0
	s_mov_b32 s17, 0
                                        ; implicit-def: $vgpr6
	s_branch .LBB22_2035
.LBB22_2026:
	s_or_b32 s13, s13, exec_lo
	s_trap 2
	s_cbranch_execz .LBB22_1963
	s_branch .LBB22_1964
.LBB22_2027:
	s_mov_b32 s20, -1
	s_mov_b32 s19, 0
	s_mov_b32 s17, 0
	s_branch .LBB22_2029
.LBB22_2028:
	s_mov_b32 s17, -1
	s_mov_b32 s19, 0
.LBB22_2029:
                                        ; implicit-def: $vgpr6
.LBB22_2030:
	s_and_b32 vcc_lo, exec_lo, s20
	s_cbranch_vccz .LBB22_2034
; %bb.2031:
	s_cmp_eq_u32 s14, 44
	s_cbranch_scc0 .LBB22_2033
; %bb.2032:
	s_wait_loadcnt 0x0
	global_load_u8 v1, v[14:15], off
	s_mov_b32 s17, 0
	s_mov_b32 s19, -1
	s_wait_loadcnt 0x0
	v_lshlrev_b32_e32 v3, 23, v1
	v_cmp_ne_u32_e32 vcc_lo, 0, v1
	s_delay_alu instid0(VALU_DEP_2) | instskip(SKIP_1) | instid1(VALU_DEP_1)
	v_cvt_i32_f32_e32 v3, v3
	s_wait_xcnt 0x1
	v_cndmask_b32_e32 v6, 0, v3, vcc_lo
	s_branch .LBB22_2034
.LBB22_2033:
	s_mov_b32 s17, -1
                                        ; implicit-def: $vgpr6
.LBB22_2034:
	s_mov_b32 s20, 0
.LBB22_2035:
	s_delay_alu instid0(SALU_CYCLE_1)
	s_and_b32 vcc_lo, exec_lo, s20
	s_cbranch_vccz .LBB22_2039
; %bb.2036:
	s_cmp_eq_u32 s14, 29
	s_cbranch_scc0 .LBB22_2038
; %bb.2037:
	global_load_b64 v[6:7], v[14:15], off
	s_mov_b32 s17, 0
	s_mov_b32 s19, -1
	s_branch .LBB22_2039
.LBB22_2038:
	s_mov_b32 s17, -1
                                        ; implicit-def: $vgpr6
.LBB22_2039:
	s_mov_b32 s20, 0
.LBB22_2040:
	s_delay_alu instid0(SALU_CYCLE_1)
	s_and_b32 vcc_lo, exec_lo, s20
	s_cbranch_vccz .LBB22_2056
; %bb.2041:
	s_cmp_lt_i32 s14, 27
	s_cbranch_scc1 .LBB22_2044
; %bb.2042:
	s_cmp_gt_i32 s14, 27
	s_cbranch_scc0 .LBB22_2045
; %bb.2043:
	s_wait_loadcnt 0x0
	global_load_b32 v6, v[14:15], off
	s_mov_b32 s19, 0
	s_branch .LBB22_2046
.LBB22_2044:
	s_mov_b32 s19, -1
                                        ; implicit-def: $vgpr6
	s_branch .LBB22_2049
.LBB22_2045:
	s_mov_b32 s19, -1
                                        ; implicit-def: $vgpr6
.LBB22_2046:
	s_delay_alu instid0(SALU_CYCLE_1)
	s_and_not1_b32 vcc_lo, exec_lo, s19
	s_cbranch_vccnz .LBB22_2048
; %bb.2047:
	s_wait_loadcnt 0x0
	global_load_u16 v6, v[14:15], off
.LBB22_2048:
	s_mov_b32 s19, 0
.LBB22_2049:
	s_delay_alu instid0(SALU_CYCLE_1)
	s_and_not1_b32 vcc_lo, exec_lo, s19
	s_cbranch_vccnz .LBB22_2055
; %bb.2050:
	s_wait_loadcnt 0x0
	global_load_u8 v1, v[14:15], off
	s_mov_b32 s20, 0
	s_mov_b32 s19, exec_lo
	s_wait_loadcnt 0x0
	v_cmpx_lt_i16_e32 0x7f, v1
	s_xor_b32 s19, exec_lo, s19
	s_cbranch_execz .LBB22_2067
; %bb.2051:
	v_cmp_ne_u16_e32 vcc_lo, 0x80, v1
	s_and_b32 s20, vcc_lo, exec_lo
	s_and_not1_saveexec_b32 s19, s19
	s_cbranch_execnz .LBB22_2068
.LBB22_2052:
	s_or_b32 exec_lo, exec_lo, s19
	v_mov_b32_e32 v6, 0
	s_and_saveexec_b32 s19, s20
	s_cbranch_execz .LBB22_2054
.LBB22_2053:
	v_and_b32_e32 v3, 0xffff, v1
	s_delay_alu instid0(VALU_DEP_1) | instskip(SKIP_1) | instid1(VALU_DEP_2)
	v_and_b32_e32 v5, 7, v3
	v_bfe_u32 v9, v3, 3, 4
	v_clz_i32_u32_e32 v6, v5
	s_delay_alu instid0(VALU_DEP_2) | instskip(NEXT) | instid1(VALU_DEP_2)
	v_cmp_eq_u32_e32 vcc_lo, 0, v9
	v_min_u32_e32 v6, 32, v6
	s_delay_alu instid0(VALU_DEP_1) | instskip(NEXT) | instid1(VALU_DEP_1)
	v_subrev_nc_u32_e32 v7, 28, v6
	v_dual_lshlrev_b32 v3, v7, v3 :: v_dual_sub_nc_u32 v6, 29, v6
	s_delay_alu instid0(VALU_DEP_1) | instskip(NEXT) | instid1(VALU_DEP_2)
	v_dual_lshlrev_b32 v1, 24, v1 :: v_dual_bitop2_b32 v3, 7, v3 bitop3:0x40
	v_cndmask_b32_e32 v6, v9, v6, vcc_lo
	s_delay_alu instid0(VALU_DEP_2) | instskip(NEXT) | instid1(VALU_DEP_3)
	v_cndmask_b32_e32 v3, v5, v3, vcc_lo
	v_and_b32_e32 v1, 0x80000000, v1
	s_delay_alu instid0(VALU_DEP_3) | instskip(NEXT) | instid1(VALU_DEP_3)
	v_lshl_add_u32 v5, v6, 23, 0x3b800000
	v_lshlrev_b32_e32 v3, 20, v3
	s_delay_alu instid0(VALU_DEP_1) | instskip(NEXT) | instid1(VALU_DEP_1)
	v_or3_b32 v1, v1, v5, v3
	v_cvt_i32_f32_e32 v6, v1
.LBB22_2054:
	s_or_b32 exec_lo, exec_lo, s19
.LBB22_2055:
	s_mov_b32 s19, -1
.LBB22_2056:
	s_mov_b32 s20, 0
.LBB22_2057:
	s_delay_alu instid0(SALU_CYCLE_1)
	s_and_b32 vcc_lo, exec_lo, s20
	s_cbranch_vccz .LBB22_2088
; %bb.2058:
	s_cmp_gt_i32 s14, 22
	s_cbranch_scc0 .LBB22_2066
; %bb.2059:
	s_cmp_lt_i32 s14, 24
	s_cbranch_scc1 .LBB22_2069
; %bb.2060:
	s_cmp_gt_i32 s14, 24
	s_cbranch_scc0 .LBB22_2070
; %bb.2061:
	s_wait_loadcnt 0x0
	global_load_u8 v1, v[14:15], off
	s_mov_b32 s19, 0
	s_mov_b32 s18, exec_lo
	s_wait_loadcnt 0x0
	v_cmpx_lt_i16_e32 0x7f, v1
	s_xor_b32 s18, exec_lo, s18
	s_cbranch_execz .LBB22_2082
; %bb.2062:
	v_cmp_ne_u16_e32 vcc_lo, 0x80, v1
	s_and_b32 s19, vcc_lo, exec_lo
	s_and_not1_saveexec_b32 s18, s18
	s_cbranch_execnz .LBB22_2083
.LBB22_2063:
	s_or_b32 exec_lo, exec_lo, s18
	v_mov_b32_e32 v6, 0
	s_and_saveexec_b32 s18, s19
	s_cbranch_execz .LBB22_2065
.LBB22_2064:
	v_and_b32_e32 v3, 0xffff, v1
	s_delay_alu instid0(VALU_DEP_1) | instskip(SKIP_1) | instid1(VALU_DEP_2)
	v_and_b32_e32 v5, 3, v3
	v_bfe_u32 v9, v3, 2, 5
	v_clz_i32_u32_e32 v6, v5
	s_delay_alu instid0(VALU_DEP_2) | instskip(NEXT) | instid1(VALU_DEP_2)
	v_cmp_eq_u32_e32 vcc_lo, 0, v9
	v_min_u32_e32 v6, 32, v6
	s_delay_alu instid0(VALU_DEP_1) | instskip(NEXT) | instid1(VALU_DEP_1)
	v_subrev_nc_u32_e32 v7, 29, v6
	v_dual_lshlrev_b32 v3, v7, v3 :: v_dual_sub_nc_u32 v6, 30, v6
	s_delay_alu instid0(VALU_DEP_1) | instskip(NEXT) | instid1(VALU_DEP_2)
	v_dual_lshlrev_b32 v1, 24, v1 :: v_dual_bitop2_b32 v3, 3, v3 bitop3:0x40
	v_cndmask_b32_e32 v6, v9, v6, vcc_lo
	s_delay_alu instid0(VALU_DEP_2) | instskip(NEXT) | instid1(VALU_DEP_3)
	v_cndmask_b32_e32 v3, v5, v3, vcc_lo
	v_and_b32_e32 v1, 0x80000000, v1
	s_delay_alu instid0(VALU_DEP_3) | instskip(NEXT) | instid1(VALU_DEP_3)
	v_lshl_add_u32 v5, v6, 23, 0x37800000
	v_lshlrev_b32_e32 v3, 21, v3
	s_delay_alu instid0(VALU_DEP_1) | instskip(NEXT) | instid1(VALU_DEP_1)
	v_or3_b32 v1, v1, v5, v3
	v_cvt_i32_f32_e32 v6, v1
.LBB22_2065:
	s_or_b32 exec_lo, exec_lo, s18
	s_mov_b32 s18, 0
	s_branch .LBB22_2071
.LBB22_2066:
	s_mov_b32 s18, -1
                                        ; implicit-def: $vgpr6
	s_branch .LBB22_2077
.LBB22_2067:
	s_and_not1_saveexec_b32 s19, s19
	s_cbranch_execz .LBB22_2052
.LBB22_2068:
	v_cmp_ne_u16_e32 vcc_lo, 0, v1
	s_and_not1_b32 s20, s20, exec_lo
	s_and_b32 s21, vcc_lo, exec_lo
	s_delay_alu instid0(SALU_CYCLE_1)
	s_or_b32 s20, s20, s21
	s_or_b32 exec_lo, exec_lo, s19
	v_mov_b32_e32 v6, 0
	s_and_saveexec_b32 s19, s20
	s_cbranch_execnz .LBB22_2053
	s_branch .LBB22_2054
.LBB22_2069:
	s_mov_b32 s18, -1
                                        ; implicit-def: $vgpr6
	s_branch .LBB22_2074
.LBB22_2070:
	s_mov_b32 s18, -1
                                        ; implicit-def: $vgpr6
.LBB22_2071:
	s_delay_alu instid0(SALU_CYCLE_1)
	s_and_b32 vcc_lo, exec_lo, s18
	s_cbranch_vccz .LBB22_2073
; %bb.2072:
	s_wait_loadcnt 0x0
	global_load_u8 v1, v[14:15], off
	s_wait_loadcnt 0x0
	v_lshlrev_b32_e32 v1, 24, v1
	s_delay_alu instid0(VALU_DEP_1) | instskip(NEXT) | instid1(VALU_DEP_1)
	v_and_b32_e32 v3, 0x7f000000, v1
	v_clz_i32_u32_e32 v5, v3
	s_wait_xcnt 0x1
	v_add_nc_u32_e32 v7, 0x1000000, v3
	v_cmp_ne_u32_e32 vcc_lo, 0, v3
	s_delay_alu instid0(VALU_DEP_3) | instskip(NEXT) | instid1(VALU_DEP_1)
	v_min_u32_e32 v5, 32, v5
	v_sub_nc_u32_e64 v5, v5, 4 clamp
	s_delay_alu instid0(VALU_DEP_1) | instskip(NEXT) | instid1(VALU_DEP_1)
	v_dual_lshlrev_b32 v6, v5, v3 :: v_dual_lshlrev_b32 v5, 23, v5
	v_lshrrev_b32_e32 v6, 4, v6
	s_delay_alu instid0(VALU_DEP_1) | instskip(NEXT) | instid1(VALU_DEP_1)
	v_dual_sub_nc_u32 v5, v6, v5 :: v_dual_ashrrev_i32 v6, 8, v7
	v_add_nc_u32_e32 v5, 0x3c000000, v5
	s_delay_alu instid0(VALU_DEP_1) | instskip(NEXT) | instid1(VALU_DEP_1)
	v_and_or_b32 v5, 0x7f800000, v6, v5
	v_cndmask_b32_e32 v3, 0, v5, vcc_lo
	s_delay_alu instid0(VALU_DEP_1) | instskip(NEXT) | instid1(VALU_DEP_1)
	v_and_or_b32 v1, 0x80000000, v1, v3
	v_cvt_i32_f32_e32 v6, v1
.LBB22_2073:
	s_mov_b32 s18, 0
.LBB22_2074:
	s_delay_alu instid0(SALU_CYCLE_1)
	s_and_not1_b32 vcc_lo, exec_lo, s18
	s_cbranch_vccnz .LBB22_2076
; %bb.2075:
	s_wait_loadcnt 0x0
	global_load_u8 v1, v[14:15], off
	s_wait_loadcnt 0x0
	v_lshlrev_b32_e32 v3, 25, v1
	v_lshlrev_b16 v1, 8, v1
	s_wait_xcnt 0x1
	s_delay_alu instid0(VALU_DEP_1) | instskip(SKIP_1) | instid1(VALU_DEP_2)
	v_and_or_b32 v6, 0x7f00, v1, 0.5
	v_bfe_i32 v1, v1, 0, 16
	v_dual_add_f32 v6, -0.5, v6 :: v_dual_lshrrev_b32 v5, 4, v3
	v_cmp_gt_u32_e32 vcc_lo, 0x8000000, v3
	s_delay_alu instid0(VALU_DEP_2) | instskip(NEXT) | instid1(VALU_DEP_1)
	v_or_b32_e32 v5, 0x70000000, v5
	v_mul_f32_e32 v5, 0x7800000, v5
	s_delay_alu instid0(VALU_DEP_1) | instskip(NEXT) | instid1(VALU_DEP_1)
	v_cndmask_b32_e32 v3, v5, v6, vcc_lo
	v_and_or_b32 v1, 0x80000000, v1, v3
	s_delay_alu instid0(VALU_DEP_1)
	v_cvt_i32_f32_e32 v6, v1
.LBB22_2076:
	s_mov_b32 s18, 0
	s_mov_b32 s19, -1
.LBB22_2077:
	s_and_not1_b32 vcc_lo, exec_lo, s18
	s_mov_b32 s18, 0
	s_cbranch_vccnz .LBB22_2088
; %bb.2078:
	s_cmp_gt_i32 s14, 14
	s_cbranch_scc0 .LBB22_2081
; %bb.2079:
	s_cmp_eq_u32 s14, 15
	s_cbranch_scc0 .LBB22_2084
; %bb.2080:
	s_wait_loadcnt 0x0
	global_load_u16 v1, v[14:15], off
	s_mov_b32 s17, 0
	s_mov_b32 s19, -1
	s_wait_loadcnt 0x0
	v_lshlrev_b32_e32 v1, 16, v1
	s_wait_xcnt 0x1
	s_delay_alu instid0(VALU_DEP_1)
	v_cvt_i32_f32_e32 v6, v1
	s_branch .LBB22_2086
.LBB22_2081:
	s_mov_b32 s18, -1
	s_branch .LBB22_2085
.LBB22_2082:
	s_and_not1_saveexec_b32 s18, s18
	s_cbranch_execz .LBB22_2063
.LBB22_2083:
	v_cmp_ne_u16_e32 vcc_lo, 0, v1
	s_and_not1_b32 s19, s19, exec_lo
	s_and_b32 s20, vcc_lo, exec_lo
	s_delay_alu instid0(SALU_CYCLE_1)
	s_or_b32 s19, s19, s20
	s_or_b32 exec_lo, exec_lo, s18
	v_mov_b32_e32 v6, 0
	s_and_saveexec_b32 s18, s19
	s_cbranch_execnz .LBB22_2064
	s_branch .LBB22_2065
.LBB22_2084:
	s_mov_b32 s17, -1
.LBB22_2085:
                                        ; implicit-def: $vgpr6
.LBB22_2086:
	s_and_b32 vcc_lo, exec_lo, s18
	s_mov_b32 s18, 0
	s_cbranch_vccz .LBB22_2088
; %bb.2087:
	s_cmp_lg_u32 s14, 11
	s_mov_b32 s18, -1
	s_cselect_b32 s17, -1, 0
.LBB22_2088:
	s_delay_alu instid0(SALU_CYCLE_1)
	s_and_b32 vcc_lo, exec_lo, s17
	s_cbranch_vccnz .LBB22_2153
; %bb.2089:
	s_and_not1_b32 vcc_lo, exec_lo, s18
	s_cbranch_vccnz .LBB22_2091
.LBB22_2090:
	s_wait_loadcnt 0x0
	global_load_u8 v1, v[14:15], off
	s_mov_b32 s19, -1
	s_wait_loadcnt 0x0
	v_cmp_ne_u16_e32 vcc_lo, 0, v1
	s_wait_xcnt 0x1
	v_cndmask_b32_e64 v6, 0, 1, vcc_lo
.LBB22_2091:
	s_mov_b32 s14, 0
.LBB22_2092:
	s_delay_alu instid0(SALU_CYCLE_1)
	s_and_b32 vcc_lo, exec_lo, s14
	s_cbranch_vccz .LBB22_2141
; %bb.2093:
	s_and_b32 s14, 0xffff, s0
	s_delay_alu instid0(SALU_CYCLE_1)
	s_cmp_lt_i32 s14, 5
	s_cbranch_scc1 .LBB22_2098
; %bb.2094:
	s_cmp_lt_i32 s14, 8
	s_cbranch_scc1 .LBB22_2099
; %bb.2095:
	;; [unrolled: 3-line block ×3, first 2 shown]
	s_cmp_gt_i32 s14, 9
	s_cbranch_scc0 .LBB22_2101
; %bb.2097:
	s_wait_loadcnt 0x0
	global_load_b64 v[6:7], v[14:15], off
	s_mov_b32 s17, 0
	s_wait_loadcnt 0x0
	v_cvt_i32_f64_e32 v6, v[6:7]
	s_branch .LBB22_2102
.LBB22_2098:
	s_mov_b32 s17, -1
                                        ; implicit-def: $vgpr6
	s_branch .LBB22_2120
.LBB22_2099:
	s_mov_b32 s17, -1
                                        ; implicit-def: $vgpr6
	s_branch .LBB22_2108
.LBB22_2100:
	s_mov_b32 s17, -1
                                        ; implicit-def: $vgpr6
	s_branch .LBB22_2105
.LBB22_2101:
	s_mov_b32 s17, -1
                                        ; implicit-def: $vgpr6
.LBB22_2102:
	s_delay_alu instid0(SALU_CYCLE_1)
	s_and_not1_b32 vcc_lo, exec_lo, s17
	s_cbranch_vccnz .LBB22_2104
; %bb.2103:
	s_wait_loadcnt 0x0
	global_load_b32 v1, v[14:15], off
	s_wait_loadcnt 0x0
	s_wait_xcnt 0x1
	v_cvt_i32_f32_e32 v6, v1
.LBB22_2104:
	s_mov_b32 s17, 0
.LBB22_2105:
	s_delay_alu instid0(SALU_CYCLE_1)
	s_and_not1_b32 vcc_lo, exec_lo, s17
	s_cbranch_vccnz .LBB22_2107
; %bb.2106:
	s_wait_loadcnt 0x0
	global_load_b32 v1, v[14:15], off
	s_wait_loadcnt 0x0
	s_wait_xcnt 0x1
	v_cvt_i16_f16_e32 v6, v1
.LBB22_2107:
	s_mov_b32 s17, 0
.LBB22_2108:
	s_delay_alu instid0(SALU_CYCLE_1)
	s_and_not1_b32 vcc_lo, exec_lo, s17
	s_cbranch_vccnz .LBB22_2119
; %bb.2109:
	s_cmp_lt_i32 s14, 6
	s_cbranch_scc1 .LBB22_2112
; %bb.2110:
	s_cmp_gt_i32 s14, 6
	s_cbranch_scc0 .LBB22_2113
; %bb.2111:
	s_wait_loadcnt 0x0
	global_load_b64 v[6:7], v[14:15], off
	s_mov_b32 s17, 0
	s_wait_loadcnt 0x0
	v_cvt_i32_f64_e32 v6, v[6:7]
	s_branch .LBB22_2114
.LBB22_2112:
	s_mov_b32 s17, -1
                                        ; implicit-def: $vgpr6
	s_branch .LBB22_2117
.LBB22_2113:
	s_mov_b32 s17, -1
                                        ; implicit-def: $vgpr6
.LBB22_2114:
	s_delay_alu instid0(SALU_CYCLE_1)
	s_and_not1_b32 vcc_lo, exec_lo, s17
	s_cbranch_vccnz .LBB22_2116
; %bb.2115:
	s_wait_loadcnt 0x0
	global_load_b32 v1, v[14:15], off
	s_wait_loadcnt 0x0
	s_wait_xcnt 0x1
	v_cvt_i32_f32_e32 v6, v1
.LBB22_2116:
	s_mov_b32 s17, 0
.LBB22_2117:
	s_delay_alu instid0(SALU_CYCLE_1)
	s_and_not1_b32 vcc_lo, exec_lo, s17
	s_cbranch_vccnz .LBB22_2119
; %bb.2118:
	s_wait_loadcnt 0x0
	global_load_u16 v1, v[14:15], off
	s_wait_loadcnt 0x0
	s_wait_xcnt 0x1
	v_cvt_i16_f16_e32 v6, v1
.LBB22_2119:
	s_mov_b32 s17, 0
.LBB22_2120:
	s_delay_alu instid0(SALU_CYCLE_1)
	s_and_not1_b32 vcc_lo, exec_lo, s17
	s_cbranch_vccnz .LBB22_2140
; %bb.2121:
	s_cmp_lt_i32 s14, 2
	s_cbranch_scc1 .LBB22_2125
; %bb.2122:
	s_cmp_lt_i32 s14, 3
	s_cbranch_scc1 .LBB22_2126
; %bb.2123:
	s_cmp_gt_i32 s14, 3
	s_cbranch_scc0 .LBB22_2127
; %bb.2124:
	s_wait_loadcnt 0x0
	global_load_b64 v[6:7], v[14:15], off
	s_mov_b32 s17, 0
	s_branch .LBB22_2128
.LBB22_2125:
	s_mov_b32 s17, -1
                                        ; implicit-def: $vgpr6
	s_branch .LBB22_2134
.LBB22_2126:
	s_mov_b32 s17, -1
                                        ; implicit-def: $vgpr6
	s_branch .LBB22_2131
.LBB22_2127:
	s_mov_b32 s17, -1
                                        ; implicit-def: $vgpr6
.LBB22_2128:
	s_delay_alu instid0(SALU_CYCLE_1)
	s_and_not1_b32 vcc_lo, exec_lo, s17
	s_cbranch_vccnz .LBB22_2130
; %bb.2129:
	s_wait_loadcnt 0x0
	global_load_b32 v6, v[14:15], off
.LBB22_2130:
	s_mov_b32 s17, 0
.LBB22_2131:
	s_delay_alu instid0(SALU_CYCLE_1)
	s_and_not1_b32 vcc_lo, exec_lo, s17
	s_cbranch_vccnz .LBB22_2133
; %bb.2132:
	s_wait_loadcnt 0x0
	global_load_u16 v6, v[14:15], off
.LBB22_2133:
	s_mov_b32 s17, 0
.LBB22_2134:
	s_delay_alu instid0(SALU_CYCLE_1)
	s_and_not1_b32 vcc_lo, exec_lo, s17
	s_cbranch_vccnz .LBB22_2140
; %bb.2135:
	s_cmp_gt_i32 s14, 0
	s_mov_b32 s14, 0
	s_cbranch_scc0 .LBB22_2137
; %bb.2136:
	s_wait_loadcnt 0x0
	global_load_u8 v6, v[14:15], off
	s_branch .LBB22_2138
.LBB22_2137:
	s_mov_b32 s14, -1
                                        ; implicit-def: $vgpr6
.LBB22_2138:
	s_delay_alu instid0(SALU_CYCLE_1)
	s_and_not1_b32 vcc_lo, exec_lo, s14
	s_cbranch_vccnz .LBB22_2140
; %bb.2139:
	s_wait_loadcnt 0x0
	global_load_u8 v6, v[14:15], off
.LBB22_2140:
	s_mov_b32 s19, -1
.LBB22_2141:
	s_delay_alu instid0(SALU_CYCLE_1)
	s_and_not1_b32 vcc_lo, exec_lo, s19
	s_cbranch_vccnz .LBB22_2957
; %bb.2142:
	s_wait_xcnt 0x0
	v_add_nc_u32_e32 v14, s10, v12
	s_cmp_lt_i32 s1, 11
	s_delay_alu instid0(VALU_DEP_1) | instskip(NEXT) | instid1(VALU_DEP_1)
	v_ashrrev_i32_e32 v15, 31, v14
	v_add_nc_u64_e32 v[16:17], s[2:3], v[14:15]
	s_cbranch_scc1 .LBB22_2149
; %bb.2143:
	s_and_b32 s14, 0xffff, s1
	s_mov_b32 s18, 0
	s_cmp_gt_i32 s14, 25
	s_cbranch_scc0 .LBB22_2150
; %bb.2144:
	s_cmp_gt_i32 s14, 28
	s_cbranch_scc0 .LBB22_2151
; %bb.2145:
	;; [unrolled: 3-line block ×4, first 2 shown]
	s_cmp_eq_u32 s14, 46
	s_mov_b32 s20, 0
	s_cbranch_scc0 .LBB22_2157
; %bb.2148:
	s_wait_loadcnt 0x0
	global_load_b32 v1, v[16:17], off
	s_mov_b32 s17, 0
	s_mov_b32 s19, -1
	s_wait_loadcnt 0x0
	v_lshlrev_b32_e32 v1, 16, v1
	s_delay_alu instid0(VALU_DEP_1)
	v_cvt_i32_f32_e32 v12, v1
	s_branch .LBB22_2159
.LBB22_2149:
	s_mov_b32 s14, -1
	s_mov_b32 s19, 0
                                        ; implicit-def: $vgpr12
	s_branch .LBB22_2221
.LBB22_2150:
	s_mov_b32 s20, -1
	s_mov_b32 s19, 0
	s_mov_b32 s17, 0
                                        ; implicit-def: $vgpr12
	s_branch .LBB22_2186
.LBB22_2151:
	s_mov_b32 s20, -1
	s_mov_b32 s19, 0
	s_mov_b32 s17, 0
                                        ; implicit-def: $vgpr12
	s_branch .LBB22_2169
.LBB22_2152:
	s_mov_b32 s20, -1
	s_mov_b32 s19, 0
	s_mov_b32 s17, 0
                                        ; implicit-def: $vgpr12
	s_branch .LBB22_2164
.LBB22_2153:
	s_or_b32 s13, s13, exec_lo
	s_trap 2
	s_cbranch_execz .LBB22_2090
	s_branch .LBB22_2091
.LBB22_2154:
	s_mov_b32 s20, -1
	s_mov_b32 s19, 0
	s_mov_b32 s17, 0
	s_branch .LBB22_2158
.LBB22_2155:
	s_and_not1_saveexec_b32 s35, s35
	s_cbranch_execz .LBB22_1063
.LBB22_2156:
	v_add_f32_e32 v2, 0x42800000, v3
	s_and_not1_b32 s34, s34, exec_lo
	s_delay_alu instid0(VALU_DEP_1) | instskip(NEXT) | instid1(VALU_DEP_1)
	v_and_b32_e32 v2, 0xff, v2
	v_cmp_ne_u32_e32 vcc_lo, 0, v2
	s_and_b32 s36, vcc_lo, exec_lo
	s_delay_alu instid0(SALU_CYCLE_1)
	s_or_b32 s34, s34, s36
	s_or_b32 exec_lo, exec_lo, s35
	v_mov_b32_e32 v4, 0
	s_and_saveexec_b32 s35, s34
	s_cbranch_execnz .LBB22_1064
	s_branch .LBB22_1065
.LBB22_2157:
	s_mov_b32 s17, -1
	s_mov_b32 s19, 0
.LBB22_2158:
                                        ; implicit-def: $vgpr12
.LBB22_2159:
	s_and_b32 vcc_lo, exec_lo, s20
	s_cbranch_vccz .LBB22_2163
; %bb.2160:
	s_cmp_eq_u32 s14, 44
	s_cbranch_scc0 .LBB22_2162
; %bb.2161:
	s_wait_loadcnt 0x0
	global_load_u8 v1, v[16:17], off
	s_mov_b32 s17, 0
	s_mov_b32 s19, -1
	s_wait_loadcnt 0x0
	v_lshlrev_b32_e32 v3, 23, v1
	v_cmp_ne_u32_e32 vcc_lo, 0, v1
	s_delay_alu instid0(VALU_DEP_2) | instskip(NEXT) | instid1(VALU_DEP_1)
	v_cvt_i32_f32_e32 v3, v3
	v_cndmask_b32_e32 v12, 0, v3, vcc_lo
	s_branch .LBB22_2163
.LBB22_2162:
	s_mov_b32 s17, -1
                                        ; implicit-def: $vgpr12
.LBB22_2163:
	s_mov_b32 s20, 0
.LBB22_2164:
	s_delay_alu instid0(SALU_CYCLE_1)
	s_and_b32 vcc_lo, exec_lo, s20
	s_cbranch_vccz .LBB22_2168
; %bb.2165:
	s_cmp_eq_u32 s14, 29
	s_cbranch_scc0 .LBB22_2167
; %bb.2166:
	global_load_b64 v[12:13], v[16:17], off
	s_mov_b32 s17, 0
	s_mov_b32 s19, -1
	s_branch .LBB22_2168
.LBB22_2167:
	s_mov_b32 s17, -1
                                        ; implicit-def: $vgpr12
.LBB22_2168:
	s_mov_b32 s20, 0
.LBB22_2169:
	s_delay_alu instid0(SALU_CYCLE_1)
	s_and_b32 vcc_lo, exec_lo, s20
	s_cbranch_vccz .LBB22_2185
; %bb.2170:
	s_cmp_lt_i32 s14, 27
	s_cbranch_scc1 .LBB22_2173
; %bb.2171:
	s_cmp_gt_i32 s14, 27
	s_cbranch_scc0 .LBB22_2174
; %bb.2172:
	s_wait_loadcnt 0x0
	global_load_b32 v12, v[16:17], off
	s_mov_b32 s19, 0
	s_branch .LBB22_2175
.LBB22_2173:
	s_mov_b32 s19, -1
                                        ; implicit-def: $vgpr12
	s_branch .LBB22_2178
.LBB22_2174:
	s_mov_b32 s19, -1
                                        ; implicit-def: $vgpr12
.LBB22_2175:
	s_delay_alu instid0(SALU_CYCLE_1)
	s_and_not1_b32 vcc_lo, exec_lo, s19
	s_cbranch_vccnz .LBB22_2177
; %bb.2176:
	s_wait_loadcnt 0x0
	global_load_u16 v12, v[16:17], off
.LBB22_2177:
	s_mov_b32 s19, 0
.LBB22_2178:
	s_delay_alu instid0(SALU_CYCLE_1)
	s_and_not1_b32 vcc_lo, exec_lo, s19
	s_cbranch_vccnz .LBB22_2184
; %bb.2179:
	s_wait_loadcnt 0x0
	global_load_u8 v1, v[16:17], off
	s_mov_b32 s20, 0
	s_mov_b32 s19, exec_lo
	s_wait_loadcnt 0x0
	v_cmpx_lt_i16_e32 0x7f, v1
	s_xor_b32 s19, exec_lo, s19
	s_cbranch_execz .LBB22_2196
; %bb.2180:
	v_cmp_ne_u16_e32 vcc_lo, 0x80, v1
	s_and_b32 s20, vcc_lo, exec_lo
	s_and_not1_saveexec_b32 s19, s19
	s_cbranch_execnz .LBB22_2197
.LBB22_2181:
	s_or_b32 exec_lo, exec_lo, s19
	v_mov_b32_e32 v12, 0
	s_and_saveexec_b32 s19, s20
	s_cbranch_execz .LBB22_2183
.LBB22_2182:
	v_and_b32_e32 v3, 0xffff, v1
	s_delay_alu instid0(VALU_DEP_1) | instskip(SKIP_1) | instid1(VALU_DEP_2)
	v_dual_lshlrev_b32 v1, 24, v1 :: v_dual_bitop2_b32 v5, 7, v3 bitop3:0x40
	v_bfe_u32 v11, v3, 3, 4
	v_and_b32_e32 v1, 0x80000000, v1
	s_delay_alu instid0(VALU_DEP_3) | instskip(NEXT) | instid1(VALU_DEP_3)
	v_clz_i32_u32_e32 v7, v5
	v_cmp_eq_u32_e32 vcc_lo, 0, v11
	s_delay_alu instid0(VALU_DEP_2) | instskip(NEXT) | instid1(VALU_DEP_1)
	v_min_u32_e32 v7, 32, v7
	v_subrev_nc_u32_e32 v9, 28, v7
	v_sub_nc_u32_e32 v7, 29, v7
	s_delay_alu instid0(VALU_DEP_2) | instskip(NEXT) | instid1(VALU_DEP_2)
	v_lshlrev_b32_e32 v3, v9, v3
	v_cndmask_b32_e32 v7, v11, v7, vcc_lo
	s_delay_alu instid0(VALU_DEP_2) | instskip(NEXT) | instid1(VALU_DEP_1)
	v_and_b32_e32 v3, 7, v3
	v_cndmask_b32_e32 v3, v5, v3, vcc_lo
	s_delay_alu instid0(VALU_DEP_3) | instskip(NEXT) | instid1(VALU_DEP_2)
	v_lshl_add_u32 v5, v7, 23, 0x3b800000
	v_lshlrev_b32_e32 v3, 20, v3
	s_delay_alu instid0(VALU_DEP_1) | instskip(NEXT) | instid1(VALU_DEP_1)
	v_or3_b32 v1, v1, v5, v3
	v_cvt_i32_f32_e32 v12, v1
.LBB22_2183:
	s_or_b32 exec_lo, exec_lo, s19
.LBB22_2184:
	s_mov_b32 s19, -1
.LBB22_2185:
	s_mov_b32 s20, 0
.LBB22_2186:
	s_delay_alu instid0(SALU_CYCLE_1)
	s_and_b32 vcc_lo, exec_lo, s20
	s_cbranch_vccz .LBB22_2217
; %bb.2187:
	s_cmp_gt_i32 s14, 22
	s_cbranch_scc0 .LBB22_2195
; %bb.2188:
	s_cmp_lt_i32 s14, 24
	s_cbranch_scc1 .LBB22_2198
; %bb.2189:
	s_cmp_gt_i32 s14, 24
	s_cbranch_scc0 .LBB22_2199
; %bb.2190:
	s_wait_loadcnt 0x0
	global_load_u8 v1, v[16:17], off
	s_mov_b32 s19, 0
	s_mov_b32 s18, exec_lo
	s_wait_loadcnt 0x0
	v_cmpx_lt_i16_e32 0x7f, v1
	s_xor_b32 s18, exec_lo, s18
	s_cbranch_execz .LBB22_2211
; %bb.2191:
	v_cmp_ne_u16_e32 vcc_lo, 0x80, v1
	s_and_b32 s19, vcc_lo, exec_lo
	s_and_not1_saveexec_b32 s18, s18
	s_cbranch_execnz .LBB22_2212
.LBB22_2192:
	s_or_b32 exec_lo, exec_lo, s18
	v_mov_b32_e32 v12, 0
	s_and_saveexec_b32 s18, s19
	s_cbranch_execz .LBB22_2194
.LBB22_2193:
	v_and_b32_e32 v3, 0xffff, v1
	s_delay_alu instid0(VALU_DEP_1) | instskip(SKIP_1) | instid1(VALU_DEP_2)
	v_dual_lshlrev_b32 v1, 24, v1 :: v_dual_bitop2_b32 v5, 3, v3 bitop3:0x40
	v_bfe_u32 v11, v3, 2, 5
	v_and_b32_e32 v1, 0x80000000, v1
	s_delay_alu instid0(VALU_DEP_3) | instskip(NEXT) | instid1(VALU_DEP_3)
	v_clz_i32_u32_e32 v7, v5
	v_cmp_eq_u32_e32 vcc_lo, 0, v11
	s_delay_alu instid0(VALU_DEP_2) | instskip(NEXT) | instid1(VALU_DEP_1)
	v_min_u32_e32 v7, 32, v7
	v_subrev_nc_u32_e32 v9, 29, v7
	v_sub_nc_u32_e32 v7, 30, v7
	s_delay_alu instid0(VALU_DEP_2) | instskip(NEXT) | instid1(VALU_DEP_2)
	v_lshlrev_b32_e32 v3, v9, v3
	v_cndmask_b32_e32 v7, v11, v7, vcc_lo
	s_delay_alu instid0(VALU_DEP_2) | instskip(NEXT) | instid1(VALU_DEP_1)
	v_and_b32_e32 v3, 3, v3
	v_cndmask_b32_e32 v3, v5, v3, vcc_lo
	s_delay_alu instid0(VALU_DEP_3) | instskip(NEXT) | instid1(VALU_DEP_2)
	v_lshl_add_u32 v5, v7, 23, 0x37800000
	v_lshlrev_b32_e32 v3, 21, v3
	s_delay_alu instid0(VALU_DEP_1) | instskip(NEXT) | instid1(VALU_DEP_1)
	v_or3_b32 v1, v1, v5, v3
	v_cvt_i32_f32_e32 v12, v1
.LBB22_2194:
	s_or_b32 exec_lo, exec_lo, s18
	s_mov_b32 s18, 0
	s_branch .LBB22_2200
.LBB22_2195:
	s_mov_b32 s18, -1
                                        ; implicit-def: $vgpr12
	s_branch .LBB22_2206
.LBB22_2196:
	s_and_not1_saveexec_b32 s19, s19
	s_cbranch_execz .LBB22_2181
.LBB22_2197:
	v_cmp_ne_u16_e32 vcc_lo, 0, v1
	s_and_not1_b32 s20, s20, exec_lo
	s_and_b32 s21, vcc_lo, exec_lo
	s_delay_alu instid0(SALU_CYCLE_1)
	s_or_b32 s20, s20, s21
	s_or_b32 exec_lo, exec_lo, s19
	v_mov_b32_e32 v12, 0
	s_and_saveexec_b32 s19, s20
	s_cbranch_execnz .LBB22_2182
	s_branch .LBB22_2183
.LBB22_2198:
	s_mov_b32 s18, -1
                                        ; implicit-def: $vgpr12
	s_branch .LBB22_2203
.LBB22_2199:
	s_mov_b32 s18, -1
                                        ; implicit-def: $vgpr12
.LBB22_2200:
	s_delay_alu instid0(SALU_CYCLE_1)
	s_and_b32 vcc_lo, exec_lo, s18
	s_cbranch_vccz .LBB22_2202
; %bb.2201:
	s_wait_loadcnt 0x0
	global_load_u8 v1, v[16:17], off
	s_wait_loadcnt 0x0
	v_lshlrev_b32_e32 v1, 24, v1
	s_delay_alu instid0(VALU_DEP_1) | instskip(NEXT) | instid1(VALU_DEP_1)
	v_and_b32_e32 v3, 0x7f000000, v1
	v_clz_i32_u32_e32 v5, v3
	v_add_nc_u32_e32 v9, 0x1000000, v3
	v_cmp_ne_u32_e32 vcc_lo, 0, v3
	s_delay_alu instid0(VALU_DEP_3) | instskip(NEXT) | instid1(VALU_DEP_1)
	v_min_u32_e32 v5, 32, v5
	v_sub_nc_u32_e64 v5, v5, 4 clamp
	s_delay_alu instid0(VALU_DEP_1) | instskip(NEXT) | instid1(VALU_DEP_1)
	v_dual_lshlrev_b32 v7, v5, v3 :: v_dual_lshlrev_b32 v5, 23, v5
	v_lshrrev_b32_e32 v7, 4, v7
	s_delay_alu instid0(VALU_DEP_1) | instskip(SKIP_1) | instid1(VALU_DEP_2)
	v_sub_nc_u32_e32 v5, v7, v5
	v_ashrrev_i32_e32 v7, 8, v9
	v_add_nc_u32_e32 v5, 0x3c000000, v5
	s_delay_alu instid0(VALU_DEP_1) | instskip(NEXT) | instid1(VALU_DEP_1)
	v_and_or_b32 v5, 0x7f800000, v7, v5
	v_cndmask_b32_e32 v3, 0, v5, vcc_lo
	s_delay_alu instid0(VALU_DEP_1) | instskip(NEXT) | instid1(VALU_DEP_1)
	v_and_or_b32 v1, 0x80000000, v1, v3
	v_cvt_i32_f32_e32 v12, v1
.LBB22_2202:
	s_mov_b32 s18, 0
.LBB22_2203:
	s_delay_alu instid0(SALU_CYCLE_1)
	s_and_not1_b32 vcc_lo, exec_lo, s18
	s_cbranch_vccnz .LBB22_2205
; %bb.2204:
	s_wait_loadcnt 0x0
	global_load_u8 v1, v[16:17], off
	s_wait_loadcnt 0x0
	v_lshlrev_b32_e32 v3, 25, v1
	v_lshlrev_b16 v1, 8, v1
	s_delay_alu instid0(VALU_DEP_1) | instskip(SKIP_1) | instid1(VALU_DEP_2)
	v_and_or_b32 v7, 0x7f00, v1, 0.5
	v_bfe_i32 v1, v1, 0, 16
	v_add_f32_e32 v7, -0.5, v7
	v_lshrrev_b32_e32 v5, 4, v3
	v_cmp_gt_u32_e32 vcc_lo, 0x8000000, v3
	s_delay_alu instid0(VALU_DEP_2) | instskip(NEXT) | instid1(VALU_DEP_1)
	v_or_b32_e32 v5, 0x70000000, v5
	v_mul_f32_e32 v5, 0x7800000, v5
	s_delay_alu instid0(VALU_DEP_1) | instskip(NEXT) | instid1(VALU_DEP_1)
	v_cndmask_b32_e32 v3, v5, v7, vcc_lo
	v_and_or_b32 v1, 0x80000000, v1, v3
	s_delay_alu instid0(VALU_DEP_1)
	v_cvt_i32_f32_e32 v12, v1
.LBB22_2205:
	s_mov_b32 s18, 0
	s_mov_b32 s19, -1
.LBB22_2206:
	s_and_not1_b32 vcc_lo, exec_lo, s18
	s_mov_b32 s18, 0
	s_cbranch_vccnz .LBB22_2217
; %bb.2207:
	s_cmp_gt_i32 s14, 14
	s_cbranch_scc0 .LBB22_2210
; %bb.2208:
	s_cmp_eq_u32 s14, 15
	s_cbranch_scc0 .LBB22_2213
; %bb.2209:
	s_wait_loadcnt 0x0
	global_load_u16 v1, v[16:17], off
	s_mov_b32 s17, 0
	s_mov_b32 s19, -1
	s_wait_loadcnt 0x0
	v_lshlrev_b32_e32 v1, 16, v1
	s_delay_alu instid0(VALU_DEP_1)
	v_cvt_i32_f32_e32 v12, v1
	s_branch .LBB22_2215
.LBB22_2210:
	s_mov_b32 s18, -1
	s_branch .LBB22_2214
.LBB22_2211:
	s_and_not1_saveexec_b32 s18, s18
	s_cbranch_execz .LBB22_2192
.LBB22_2212:
	v_cmp_ne_u16_e32 vcc_lo, 0, v1
	s_and_not1_b32 s19, s19, exec_lo
	s_and_b32 s20, vcc_lo, exec_lo
	s_delay_alu instid0(SALU_CYCLE_1)
	s_or_b32 s19, s19, s20
	s_or_b32 exec_lo, exec_lo, s18
	v_mov_b32_e32 v12, 0
	s_and_saveexec_b32 s18, s19
	s_cbranch_execnz .LBB22_2193
	s_branch .LBB22_2194
.LBB22_2213:
	s_mov_b32 s17, -1
.LBB22_2214:
                                        ; implicit-def: $vgpr12
.LBB22_2215:
	s_and_b32 vcc_lo, exec_lo, s18
	s_mov_b32 s18, 0
	s_cbranch_vccz .LBB22_2217
; %bb.2216:
	s_cmp_lg_u32 s14, 11
	s_mov_b32 s18, -1
	s_cselect_b32 s17, -1, 0
.LBB22_2217:
	s_delay_alu instid0(SALU_CYCLE_1)
	s_and_b32 vcc_lo, exec_lo, s17
	s_cbranch_vccnz .LBB22_2282
; %bb.2218:
	s_and_not1_b32 vcc_lo, exec_lo, s18
	s_cbranch_vccnz .LBB22_2220
.LBB22_2219:
	s_wait_loadcnt 0x0
	global_load_u8 v1, v[16:17], off
	s_mov_b32 s19, -1
	s_wait_loadcnt 0x0
	v_cmp_ne_u16_e32 vcc_lo, 0, v1
	v_cndmask_b32_e64 v12, 0, 1, vcc_lo
.LBB22_2220:
	s_mov_b32 s14, 0
.LBB22_2221:
	s_delay_alu instid0(SALU_CYCLE_1)
	s_and_b32 vcc_lo, exec_lo, s14
	s_cbranch_vccz .LBB22_2270
; %bb.2222:
	s_and_b32 s14, 0xffff, s1
	s_delay_alu instid0(SALU_CYCLE_1)
	s_cmp_lt_i32 s14, 5
	s_cbranch_scc1 .LBB22_2227
; %bb.2223:
	s_cmp_lt_i32 s14, 8
	s_cbranch_scc1 .LBB22_2228
; %bb.2224:
	;; [unrolled: 3-line block ×3, first 2 shown]
	s_cmp_gt_i32 s14, 9
	s_cbranch_scc0 .LBB22_2230
; %bb.2226:
	s_wait_loadcnt 0x0
	global_load_b64 v[12:13], v[16:17], off
	s_mov_b32 s17, 0
	s_wait_loadcnt 0x0
	v_cvt_i32_f64_e32 v12, v[12:13]
	s_branch .LBB22_2231
.LBB22_2227:
	s_mov_b32 s17, -1
                                        ; implicit-def: $vgpr12
	s_branch .LBB22_2249
.LBB22_2228:
	s_mov_b32 s17, -1
                                        ; implicit-def: $vgpr12
	s_branch .LBB22_2237
.LBB22_2229:
	s_mov_b32 s17, -1
                                        ; implicit-def: $vgpr12
	s_branch .LBB22_2234
.LBB22_2230:
	s_mov_b32 s17, -1
                                        ; implicit-def: $vgpr12
.LBB22_2231:
	s_delay_alu instid0(SALU_CYCLE_1)
	s_and_not1_b32 vcc_lo, exec_lo, s17
	s_cbranch_vccnz .LBB22_2233
; %bb.2232:
	s_wait_loadcnt 0x0
	global_load_b32 v1, v[16:17], off
	s_wait_loadcnt 0x0
	v_cvt_i32_f32_e32 v12, v1
.LBB22_2233:
	s_mov_b32 s17, 0
.LBB22_2234:
	s_delay_alu instid0(SALU_CYCLE_1)
	s_and_not1_b32 vcc_lo, exec_lo, s17
	s_cbranch_vccnz .LBB22_2236
; %bb.2235:
	s_wait_loadcnt 0x0
	global_load_b32 v1, v[16:17], off
	s_wait_loadcnt 0x0
	v_cvt_i16_f16_e32 v12, v1
.LBB22_2236:
	s_mov_b32 s17, 0
.LBB22_2237:
	s_delay_alu instid0(SALU_CYCLE_1)
	s_and_not1_b32 vcc_lo, exec_lo, s17
	s_cbranch_vccnz .LBB22_2248
; %bb.2238:
	s_cmp_lt_i32 s14, 6
	s_cbranch_scc1 .LBB22_2241
; %bb.2239:
	s_cmp_gt_i32 s14, 6
	s_cbranch_scc0 .LBB22_2242
; %bb.2240:
	s_wait_loadcnt 0x0
	global_load_b64 v[12:13], v[16:17], off
	s_mov_b32 s17, 0
	s_wait_loadcnt 0x0
	v_cvt_i32_f64_e32 v12, v[12:13]
	s_branch .LBB22_2243
.LBB22_2241:
	s_mov_b32 s17, -1
                                        ; implicit-def: $vgpr12
	s_branch .LBB22_2246
.LBB22_2242:
	s_mov_b32 s17, -1
                                        ; implicit-def: $vgpr12
.LBB22_2243:
	s_delay_alu instid0(SALU_CYCLE_1)
	s_and_not1_b32 vcc_lo, exec_lo, s17
	s_cbranch_vccnz .LBB22_2245
; %bb.2244:
	s_wait_loadcnt 0x0
	global_load_b32 v1, v[16:17], off
	s_wait_loadcnt 0x0
	v_cvt_i32_f32_e32 v12, v1
.LBB22_2245:
	s_mov_b32 s17, 0
.LBB22_2246:
	s_delay_alu instid0(SALU_CYCLE_1)
	s_and_not1_b32 vcc_lo, exec_lo, s17
	s_cbranch_vccnz .LBB22_2248
; %bb.2247:
	s_wait_loadcnt 0x0
	global_load_u16 v1, v[16:17], off
	s_wait_loadcnt 0x0
	v_cvt_i16_f16_e32 v12, v1
.LBB22_2248:
	s_mov_b32 s17, 0
.LBB22_2249:
	s_delay_alu instid0(SALU_CYCLE_1)
	s_and_not1_b32 vcc_lo, exec_lo, s17
	s_cbranch_vccnz .LBB22_2269
; %bb.2250:
	s_cmp_lt_i32 s14, 2
	s_cbranch_scc1 .LBB22_2254
; %bb.2251:
	s_cmp_lt_i32 s14, 3
	s_cbranch_scc1 .LBB22_2255
; %bb.2252:
	s_cmp_gt_i32 s14, 3
	s_cbranch_scc0 .LBB22_2256
; %bb.2253:
	s_wait_loadcnt 0x0
	global_load_b64 v[12:13], v[16:17], off
	s_mov_b32 s17, 0
	s_branch .LBB22_2257
.LBB22_2254:
	s_mov_b32 s17, -1
                                        ; implicit-def: $vgpr12
	s_branch .LBB22_2263
.LBB22_2255:
	s_mov_b32 s17, -1
                                        ; implicit-def: $vgpr12
	s_branch .LBB22_2260
.LBB22_2256:
	s_mov_b32 s17, -1
                                        ; implicit-def: $vgpr12
.LBB22_2257:
	s_delay_alu instid0(SALU_CYCLE_1)
	s_and_not1_b32 vcc_lo, exec_lo, s17
	s_cbranch_vccnz .LBB22_2259
; %bb.2258:
	s_wait_loadcnt 0x0
	global_load_b32 v12, v[16:17], off
.LBB22_2259:
	s_mov_b32 s17, 0
.LBB22_2260:
	s_delay_alu instid0(SALU_CYCLE_1)
	s_and_not1_b32 vcc_lo, exec_lo, s17
	s_cbranch_vccnz .LBB22_2262
; %bb.2261:
	s_wait_loadcnt 0x0
	global_load_u16 v12, v[16:17], off
.LBB22_2262:
	s_mov_b32 s17, 0
.LBB22_2263:
	s_delay_alu instid0(SALU_CYCLE_1)
	s_and_not1_b32 vcc_lo, exec_lo, s17
	s_cbranch_vccnz .LBB22_2269
; %bb.2264:
	s_cmp_gt_i32 s14, 0
	s_mov_b32 s14, 0
	s_cbranch_scc0 .LBB22_2266
; %bb.2265:
	s_wait_loadcnt 0x0
	global_load_u8 v12, v[16:17], off
	s_branch .LBB22_2267
.LBB22_2266:
	s_mov_b32 s14, -1
                                        ; implicit-def: $vgpr12
.LBB22_2267:
	s_delay_alu instid0(SALU_CYCLE_1)
	s_and_not1_b32 vcc_lo, exec_lo, s14
	s_cbranch_vccnz .LBB22_2269
; %bb.2268:
	s_wait_loadcnt 0x0
	global_load_u8 v12, v[16:17], off
.LBB22_2269:
	s_mov_b32 s19, -1
.LBB22_2270:
	s_delay_alu instid0(SALU_CYCLE_1)
	s_and_not1_b32 vcc_lo, exec_lo, s19
	s_cbranch_vccnz .LBB22_2957
; %bb.2271:
	v_add_nc_u32_e32 v10, s9, v10
	s_cmp_lt_i32 s0, 11
	s_delay_alu instid0(VALU_DEP_1) | instskip(SKIP_1) | instid1(VALU_DEP_1)
	v_ashrrev_i32_e32 v11, 31, v10
	s_wait_xcnt 0x0
	v_add_nc_u64_e32 v[16:17], s[6:7], v[10:11]
	s_cbranch_scc1 .LBB22_2278
; %bb.2272:
	s_and_b32 s6, 0xffff, s0
	s_mov_b32 s9, 0
	s_cmp_gt_i32 s6, 25
	s_cbranch_scc0 .LBB22_2279
; %bb.2273:
	s_cmp_gt_i32 s6, 28
	s_cbranch_scc0 .LBB22_2280
; %bb.2274:
	;; [unrolled: 3-line block ×4, first 2 shown]
	s_cmp_eq_u32 s6, 46
	s_mov_b32 s17, 0
	s_cbranch_scc0 .LBB22_2284
; %bb.2277:
	s_wait_loadcnt 0x0
	global_load_b32 v1, v[16:17], off
	s_mov_b32 s7, 0
	s_mov_b32 s14, -1
	s_wait_loadcnt 0x0
	v_lshlrev_b32_e32 v1, 16, v1
	s_delay_alu instid0(VALU_DEP_1)
	v_cvt_i32_f32_e32 v10, v1
	s_branch .LBB22_2286
.LBB22_2278:
	s_mov_b32 s6, -1
	s_mov_b32 s14, 0
                                        ; implicit-def: $vgpr10
	s_branch .LBB22_2348
.LBB22_2279:
	s_mov_b32 s17, -1
	s_mov_b32 s14, 0
	s_mov_b32 s7, 0
                                        ; implicit-def: $vgpr10
	s_branch .LBB22_2313
.LBB22_2280:
	s_mov_b32 s17, -1
	s_mov_b32 s14, 0
	s_mov_b32 s7, 0
                                        ; implicit-def: $vgpr10
	s_branch .LBB22_2296
.LBB22_2281:
	s_mov_b32 s17, -1
	s_mov_b32 s14, 0
	s_mov_b32 s7, 0
                                        ; implicit-def: $vgpr10
	s_branch .LBB22_2291
.LBB22_2282:
	s_or_b32 s13, s13, exec_lo
	s_trap 2
	s_cbranch_execz .LBB22_2219
	s_branch .LBB22_2220
.LBB22_2283:
	s_mov_b32 s17, -1
	s_mov_b32 s14, 0
	s_mov_b32 s7, 0
	s_branch .LBB22_2285
.LBB22_2284:
	s_mov_b32 s7, -1
	s_mov_b32 s14, 0
.LBB22_2285:
                                        ; implicit-def: $vgpr10
.LBB22_2286:
	s_and_b32 vcc_lo, exec_lo, s17
	s_cbranch_vccz .LBB22_2290
; %bb.2287:
	s_cmp_eq_u32 s6, 44
	s_cbranch_scc0 .LBB22_2289
; %bb.2288:
	s_wait_loadcnt 0x0
	global_load_u8 v1, v[16:17], off
	s_mov_b32 s7, 0
	s_mov_b32 s14, -1
	s_wait_loadcnt 0x0
	v_lshlrev_b32_e32 v3, 23, v1
	v_cmp_ne_u32_e32 vcc_lo, 0, v1
	s_delay_alu instid0(VALU_DEP_2) | instskip(NEXT) | instid1(VALU_DEP_1)
	v_cvt_i32_f32_e32 v3, v3
	v_cndmask_b32_e32 v10, 0, v3, vcc_lo
	s_branch .LBB22_2290
.LBB22_2289:
	s_mov_b32 s7, -1
                                        ; implicit-def: $vgpr10
.LBB22_2290:
	s_mov_b32 s17, 0
.LBB22_2291:
	s_delay_alu instid0(SALU_CYCLE_1)
	s_and_b32 vcc_lo, exec_lo, s17
	s_cbranch_vccz .LBB22_2295
; %bb.2292:
	s_cmp_eq_u32 s6, 29
	s_cbranch_scc0 .LBB22_2294
; %bb.2293:
	global_load_b64 v[10:11], v[16:17], off
	s_mov_b32 s7, 0
	s_mov_b32 s14, -1
	s_branch .LBB22_2295
.LBB22_2294:
	s_mov_b32 s7, -1
                                        ; implicit-def: $vgpr10
.LBB22_2295:
	s_mov_b32 s17, 0
.LBB22_2296:
	s_delay_alu instid0(SALU_CYCLE_1)
	s_and_b32 vcc_lo, exec_lo, s17
	s_cbranch_vccz .LBB22_2312
; %bb.2297:
	s_cmp_lt_i32 s6, 27
	s_cbranch_scc1 .LBB22_2300
; %bb.2298:
	s_cmp_gt_i32 s6, 27
	s_cbranch_scc0 .LBB22_2301
; %bb.2299:
	s_wait_loadcnt 0x0
	global_load_b32 v10, v[16:17], off
	s_mov_b32 s14, 0
	s_branch .LBB22_2302
.LBB22_2300:
	s_mov_b32 s14, -1
                                        ; implicit-def: $vgpr10
	s_branch .LBB22_2305
.LBB22_2301:
	s_mov_b32 s14, -1
                                        ; implicit-def: $vgpr10
.LBB22_2302:
	s_delay_alu instid0(SALU_CYCLE_1)
	s_and_not1_b32 vcc_lo, exec_lo, s14
	s_cbranch_vccnz .LBB22_2304
; %bb.2303:
	s_wait_loadcnt 0x0
	global_load_u16 v10, v[16:17], off
.LBB22_2304:
	s_mov_b32 s14, 0
.LBB22_2305:
	s_delay_alu instid0(SALU_CYCLE_1)
	s_and_not1_b32 vcc_lo, exec_lo, s14
	s_cbranch_vccnz .LBB22_2311
; %bb.2306:
	s_wait_loadcnt 0x0
	global_load_u8 v1, v[16:17], off
	s_mov_b32 s17, 0
	s_mov_b32 s14, exec_lo
	s_wait_loadcnt 0x0
	v_cmpx_lt_i16_e32 0x7f, v1
	s_xor_b32 s14, exec_lo, s14
	s_cbranch_execz .LBB22_2323
; %bb.2307:
	v_cmp_ne_u16_e32 vcc_lo, 0x80, v1
	s_and_b32 s17, vcc_lo, exec_lo
	s_and_not1_saveexec_b32 s14, s14
	s_cbranch_execnz .LBB22_2324
.LBB22_2308:
	s_or_b32 exec_lo, exec_lo, s14
	v_mov_b32_e32 v10, 0
	s_and_saveexec_b32 s14, s17
	s_cbranch_execz .LBB22_2310
.LBB22_2309:
	v_and_b32_e32 v3, 0xffff, v1
	s_delay_alu instid0(VALU_DEP_1) | instskip(SKIP_1) | instid1(VALU_DEP_2)
	v_dual_lshlrev_b32 v1, 24, v1 :: v_dual_bitop2_b32 v5, 7, v3 bitop3:0x40
	v_bfe_u32 v10, v3, 3, 4
	v_and_b32_e32 v1, 0x80000000, v1
	s_delay_alu instid0(VALU_DEP_3) | instskip(NEXT) | instid1(VALU_DEP_3)
	v_clz_i32_u32_e32 v7, v5
	v_cmp_eq_u32_e32 vcc_lo, 0, v10
	s_delay_alu instid0(VALU_DEP_2) | instskip(NEXT) | instid1(VALU_DEP_1)
	v_min_u32_e32 v7, 32, v7
	v_subrev_nc_u32_e32 v9, 28, v7
	v_sub_nc_u32_e32 v7, 29, v7
	s_delay_alu instid0(VALU_DEP_2) | instskip(NEXT) | instid1(VALU_DEP_2)
	v_lshlrev_b32_e32 v3, v9, v3
	v_cndmask_b32_e32 v7, v10, v7, vcc_lo
	s_delay_alu instid0(VALU_DEP_2) | instskip(NEXT) | instid1(VALU_DEP_1)
	v_and_b32_e32 v3, 7, v3
	v_cndmask_b32_e32 v3, v5, v3, vcc_lo
	s_delay_alu instid0(VALU_DEP_3) | instskip(NEXT) | instid1(VALU_DEP_2)
	v_lshl_add_u32 v5, v7, 23, 0x3b800000
	v_lshlrev_b32_e32 v3, 20, v3
	s_delay_alu instid0(VALU_DEP_1) | instskip(NEXT) | instid1(VALU_DEP_1)
	v_or3_b32 v1, v1, v5, v3
	v_cvt_i32_f32_e32 v10, v1
.LBB22_2310:
	s_or_b32 exec_lo, exec_lo, s14
.LBB22_2311:
	s_mov_b32 s14, -1
.LBB22_2312:
	s_mov_b32 s17, 0
.LBB22_2313:
	s_delay_alu instid0(SALU_CYCLE_1)
	s_and_b32 vcc_lo, exec_lo, s17
	s_cbranch_vccz .LBB22_2344
; %bb.2314:
	s_cmp_gt_i32 s6, 22
	s_cbranch_scc0 .LBB22_2322
; %bb.2315:
	s_cmp_lt_i32 s6, 24
	s_cbranch_scc1 .LBB22_2325
; %bb.2316:
	s_cmp_gt_i32 s6, 24
	s_cbranch_scc0 .LBB22_2326
; %bb.2317:
	s_wait_loadcnt 0x0
	global_load_u8 v1, v[16:17], off
	s_mov_b32 s14, 0
	s_mov_b32 s9, exec_lo
	s_wait_loadcnt 0x0
	v_cmpx_lt_i16_e32 0x7f, v1
	s_xor_b32 s9, exec_lo, s9
	s_cbranch_execz .LBB22_2338
; %bb.2318:
	v_cmp_ne_u16_e32 vcc_lo, 0x80, v1
	s_and_b32 s14, vcc_lo, exec_lo
	s_and_not1_saveexec_b32 s9, s9
	s_cbranch_execnz .LBB22_2339
.LBB22_2319:
	s_or_b32 exec_lo, exec_lo, s9
	v_mov_b32_e32 v10, 0
	s_and_saveexec_b32 s9, s14
	s_cbranch_execz .LBB22_2321
.LBB22_2320:
	v_and_b32_e32 v3, 0xffff, v1
	s_delay_alu instid0(VALU_DEP_1) | instskip(SKIP_1) | instid1(VALU_DEP_2)
	v_dual_lshlrev_b32 v1, 24, v1 :: v_dual_bitop2_b32 v5, 3, v3 bitop3:0x40
	v_bfe_u32 v10, v3, 2, 5
	v_and_b32_e32 v1, 0x80000000, v1
	s_delay_alu instid0(VALU_DEP_3) | instskip(NEXT) | instid1(VALU_DEP_3)
	v_clz_i32_u32_e32 v7, v5
	v_cmp_eq_u32_e32 vcc_lo, 0, v10
	s_delay_alu instid0(VALU_DEP_2) | instskip(NEXT) | instid1(VALU_DEP_1)
	v_min_u32_e32 v7, 32, v7
	v_subrev_nc_u32_e32 v9, 29, v7
	v_sub_nc_u32_e32 v7, 30, v7
	s_delay_alu instid0(VALU_DEP_2) | instskip(NEXT) | instid1(VALU_DEP_2)
	v_lshlrev_b32_e32 v3, v9, v3
	v_cndmask_b32_e32 v7, v10, v7, vcc_lo
	s_delay_alu instid0(VALU_DEP_2) | instskip(NEXT) | instid1(VALU_DEP_1)
	v_and_b32_e32 v3, 3, v3
	v_cndmask_b32_e32 v3, v5, v3, vcc_lo
	s_delay_alu instid0(VALU_DEP_3) | instskip(NEXT) | instid1(VALU_DEP_2)
	v_lshl_add_u32 v5, v7, 23, 0x37800000
	v_lshlrev_b32_e32 v3, 21, v3
	s_delay_alu instid0(VALU_DEP_1) | instskip(NEXT) | instid1(VALU_DEP_1)
	v_or3_b32 v1, v1, v5, v3
	v_cvt_i32_f32_e32 v10, v1
.LBB22_2321:
	s_or_b32 exec_lo, exec_lo, s9
	s_mov_b32 s9, 0
	s_branch .LBB22_2327
.LBB22_2322:
	s_mov_b32 s9, -1
                                        ; implicit-def: $vgpr10
	s_branch .LBB22_2333
.LBB22_2323:
	s_and_not1_saveexec_b32 s14, s14
	s_cbranch_execz .LBB22_2308
.LBB22_2324:
	v_cmp_ne_u16_e32 vcc_lo, 0, v1
	s_and_not1_b32 s17, s17, exec_lo
	s_and_b32 s18, vcc_lo, exec_lo
	s_delay_alu instid0(SALU_CYCLE_1)
	s_or_b32 s17, s17, s18
	s_or_b32 exec_lo, exec_lo, s14
	v_mov_b32_e32 v10, 0
	s_and_saveexec_b32 s14, s17
	s_cbranch_execnz .LBB22_2309
	s_branch .LBB22_2310
.LBB22_2325:
	s_mov_b32 s9, -1
                                        ; implicit-def: $vgpr10
	s_branch .LBB22_2330
.LBB22_2326:
	s_mov_b32 s9, -1
                                        ; implicit-def: $vgpr10
.LBB22_2327:
	s_delay_alu instid0(SALU_CYCLE_1)
	s_and_b32 vcc_lo, exec_lo, s9
	s_cbranch_vccz .LBB22_2329
; %bb.2328:
	s_wait_loadcnt 0x0
	global_load_u8 v1, v[16:17], off
	s_wait_loadcnt 0x0
	v_lshlrev_b32_e32 v1, 24, v1
	s_delay_alu instid0(VALU_DEP_1) | instskip(NEXT) | instid1(VALU_DEP_1)
	v_and_b32_e32 v3, 0x7f000000, v1
	v_clz_i32_u32_e32 v5, v3
	v_add_nc_u32_e32 v9, 0x1000000, v3
	v_cmp_ne_u32_e32 vcc_lo, 0, v3
	s_delay_alu instid0(VALU_DEP_3) | instskip(NEXT) | instid1(VALU_DEP_1)
	v_min_u32_e32 v5, 32, v5
	v_sub_nc_u32_e64 v5, v5, 4 clamp
	s_delay_alu instid0(VALU_DEP_1) | instskip(NEXT) | instid1(VALU_DEP_1)
	v_dual_lshlrev_b32 v7, v5, v3 :: v_dual_lshlrev_b32 v5, 23, v5
	v_lshrrev_b32_e32 v7, 4, v7
	s_delay_alu instid0(VALU_DEP_1) | instskip(SKIP_1) | instid1(VALU_DEP_2)
	v_sub_nc_u32_e32 v5, v7, v5
	v_ashrrev_i32_e32 v7, 8, v9
	v_add_nc_u32_e32 v5, 0x3c000000, v5
	s_delay_alu instid0(VALU_DEP_1) | instskip(NEXT) | instid1(VALU_DEP_1)
	v_and_or_b32 v5, 0x7f800000, v7, v5
	v_cndmask_b32_e32 v3, 0, v5, vcc_lo
	s_delay_alu instid0(VALU_DEP_1) | instskip(NEXT) | instid1(VALU_DEP_1)
	v_and_or_b32 v1, 0x80000000, v1, v3
	v_cvt_i32_f32_e32 v10, v1
.LBB22_2329:
	s_mov_b32 s9, 0
.LBB22_2330:
	s_delay_alu instid0(SALU_CYCLE_1)
	s_and_not1_b32 vcc_lo, exec_lo, s9
	s_cbranch_vccnz .LBB22_2332
; %bb.2331:
	s_wait_loadcnt 0x0
	global_load_u8 v1, v[16:17], off
	s_wait_loadcnt 0x0
	v_lshlrev_b32_e32 v3, 25, v1
	v_lshlrev_b16 v1, 8, v1
	s_delay_alu instid0(VALU_DEP_1) | instskip(SKIP_1) | instid1(VALU_DEP_2)
	v_and_or_b32 v7, 0x7f00, v1, 0.5
	v_bfe_i32 v1, v1, 0, 16
	v_add_f32_e32 v7, -0.5, v7
	v_lshrrev_b32_e32 v5, 4, v3
	v_cmp_gt_u32_e32 vcc_lo, 0x8000000, v3
	s_delay_alu instid0(VALU_DEP_2) | instskip(NEXT) | instid1(VALU_DEP_1)
	v_or_b32_e32 v5, 0x70000000, v5
	v_mul_f32_e32 v5, 0x7800000, v5
	s_delay_alu instid0(VALU_DEP_1) | instskip(NEXT) | instid1(VALU_DEP_1)
	v_cndmask_b32_e32 v3, v5, v7, vcc_lo
	v_and_or_b32 v1, 0x80000000, v1, v3
	s_delay_alu instid0(VALU_DEP_1)
	v_cvt_i32_f32_e32 v10, v1
.LBB22_2332:
	s_mov_b32 s9, 0
	s_mov_b32 s14, -1
.LBB22_2333:
	s_and_not1_b32 vcc_lo, exec_lo, s9
	s_mov_b32 s9, 0
	s_cbranch_vccnz .LBB22_2344
; %bb.2334:
	s_cmp_gt_i32 s6, 14
	s_cbranch_scc0 .LBB22_2337
; %bb.2335:
	s_cmp_eq_u32 s6, 15
	s_cbranch_scc0 .LBB22_2340
; %bb.2336:
	s_wait_loadcnt 0x0
	global_load_u16 v1, v[16:17], off
	s_mov_b32 s7, 0
	s_mov_b32 s14, -1
	s_wait_loadcnt 0x0
	v_lshlrev_b32_e32 v1, 16, v1
	s_delay_alu instid0(VALU_DEP_1)
	v_cvt_i32_f32_e32 v10, v1
	s_branch .LBB22_2342
.LBB22_2337:
	s_mov_b32 s9, -1
	s_branch .LBB22_2341
.LBB22_2338:
	s_and_not1_saveexec_b32 s9, s9
	s_cbranch_execz .LBB22_2319
.LBB22_2339:
	v_cmp_ne_u16_e32 vcc_lo, 0, v1
	s_and_not1_b32 s14, s14, exec_lo
	s_and_b32 s17, vcc_lo, exec_lo
	s_delay_alu instid0(SALU_CYCLE_1)
	s_or_b32 s14, s14, s17
	s_or_b32 exec_lo, exec_lo, s9
	v_mov_b32_e32 v10, 0
	s_and_saveexec_b32 s9, s14
	s_cbranch_execnz .LBB22_2320
	s_branch .LBB22_2321
.LBB22_2340:
	s_mov_b32 s7, -1
.LBB22_2341:
                                        ; implicit-def: $vgpr10
.LBB22_2342:
	s_and_b32 vcc_lo, exec_lo, s9
	s_mov_b32 s9, 0
	s_cbranch_vccz .LBB22_2344
; %bb.2343:
	s_cmp_lg_u32 s6, 11
	s_mov_b32 s9, -1
	s_cselect_b32 s7, -1, 0
.LBB22_2344:
	s_delay_alu instid0(SALU_CYCLE_1)
	s_and_b32 vcc_lo, exec_lo, s7
	s_cbranch_vccnz .LBB22_2409
; %bb.2345:
	s_and_not1_b32 vcc_lo, exec_lo, s9
	s_cbranch_vccnz .LBB22_2347
.LBB22_2346:
	s_wait_loadcnt 0x0
	global_load_u8 v1, v[16:17], off
	s_mov_b32 s14, -1
	s_wait_loadcnt 0x0
	v_cmp_ne_u16_e32 vcc_lo, 0, v1
	v_cndmask_b32_e64 v10, 0, 1, vcc_lo
.LBB22_2347:
	s_mov_b32 s6, 0
.LBB22_2348:
	s_delay_alu instid0(SALU_CYCLE_1)
	s_and_b32 vcc_lo, exec_lo, s6
	s_cbranch_vccz .LBB22_2397
; %bb.2349:
	s_and_b32 s0, 0xffff, s0
	s_delay_alu instid0(SALU_CYCLE_1)
	s_cmp_lt_i32 s0, 5
	s_cbranch_scc1 .LBB22_2354
; %bb.2350:
	s_cmp_lt_i32 s0, 8
	s_cbranch_scc1 .LBB22_2355
; %bb.2351:
	;; [unrolled: 3-line block ×3, first 2 shown]
	s_cmp_gt_i32 s0, 9
	s_cbranch_scc0 .LBB22_2357
; %bb.2353:
	s_wait_loadcnt 0x0
	global_load_b64 v[10:11], v[16:17], off
	s_mov_b32 s6, 0
	s_wait_loadcnt 0x0
	v_cvt_i32_f64_e32 v10, v[10:11]
	s_branch .LBB22_2358
.LBB22_2354:
	s_mov_b32 s6, -1
                                        ; implicit-def: $vgpr10
	s_branch .LBB22_2376
.LBB22_2355:
	s_mov_b32 s6, -1
                                        ; implicit-def: $vgpr10
	s_branch .LBB22_2364
.LBB22_2356:
	s_mov_b32 s6, -1
                                        ; implicit-def: $vgpr10
	s_branch .LBB22_2361
.LBB22_2357:
	s_mov_b32 s6, -1
                                        ; implicit-def: $vgpr10
.LBB22_2358:
	s_delay_alu instid0(SALU_CYCLE_1)
	s_and_not1_b32 vcc_lo, exec_lo, s6
	s_cbranch_vccnz .LBB22_2360
; %bb.2359:
	s_wait_loadcnt 0x0
	global_load_b32 v1, v[16:17], off
	s_wait_loadcnt 0x0
	v_cvt_i32_f32_e32 v10, v1
.LBB22_2360:
	s_mov_b32 s6, 0
.LBB22_2361:
	s_delay_alu instid0(SALU_CYCLE_1)
	s_and_not1_b32 vcc_lo, exec_lo, s6
	s_cbranch_vccnz .LBB22_2363
; %bb.2362:
	s_wait_loadcnt 0x0
	global_load_b32 v1, v[16:17], off
	s_wait_loadcnt 0x0
	v_cvt_i16_f16_e32 v10, v1
.LBB22_2363:
	s_mov_b32 s6, 0
.LBB22_2364:
	s_delay_alu instid0(SALU_CYCLE_1)
	s_and_not1_b32 vcc_lo, exec_lo, s6
	s_cbranch_vccnz .LBB22_2375
; %bb.2365:
	s_cmp_lt_i32 s0, 6
	s_cbranch_scc1 .LBB22_2368
; %bb.2366:
	s_cmp_gt_i32 s0, 6
	s_cbranch_scc0 .LBB22_2369
; %bb.2367:
	s_wait_loadcnt 0x0
	global_load_b64 v[10:11], v[16:17], off
	s_mov_b32 s6, 0
	s_wait_loadcnt 0x0
	v_cvt_i32_f64_e32 v10, v[10:11]
	s_branch .LBB22_2370
.LBB22_2368:
	s_mov_b32 s6, -1
                                        ; implicit-def: $vgpr10
	s_branch .LBB22_2373
.LBB22_2369:
	s_mov_b32 s6, -1
                                        ; implicit-def: $vgpr10
.LBB22_2370:
	s_delay_alu instid0(SALU_CYCLE_1)
	s_and_not1_b32 vcc_lo, exec_lo, s6
	s_cbranch_vccnz .LBB22_2372
; %bb.2371:
	s_wait_loadcnt 0x0
	global_load_b32 v1, v[16:17], off
	s_wait_loadcnt 0x0
	v_cvt_i32_f32_e32 v10, v1
.LBB22_2372:
	s_mov_b32 s6, 0
.LBB22_2373:
	s_delay_alu instid0(SALU_CYCLE_1)
	s_and_not1_b32 vcc_lo, exec_lo, s6
	s_cbranch_vccnz .LBB22_2375
; %bb.2374:
	s_wait_loadcnt 0x0
	global_load_u16 v1, v[16:17], off
	s_wait_loadcnt 0x0
	v_cvt_i16_f16_e32 v10, v1
.LBB22_2375:
	s_mov_b32 s6, 0
.LBB22_2376:
	s_delay_alu instid0(SALU_CYCLE_1)
	s_and_not1_b32 vcc_lo, exec_lo, s6
	s_cbranch_vccnz .LBB22_2396
; %bb.2377:
	s_cmp_lt_i32 s0, 2
	s_cbranch_scc1 .LBB22_2381
; %bb.2378:
	s_cmp_lt_i32 s0, 3
	s_cbranch_scc1 .LBB22_2382
; %bb.2379:
	s_cmp_gt_i32 s0, 3
	s_cbranch_scc0 .LBB22_2383
; %bb.2380:
	s_wait_loadcnt 0x0
	global_load_b64 v[10:11], v[16:17], off
	s_mov_b32 s6, 0
	s_branch .LBB22_2384
.LBB22_2381:
	s_mov_b32 s6, -1
                                        ; implicit-def: $vgpr10
	s_branch .LBB22_2390
.LBB22_2382:
	s_mov_b32 s6, -1
                                        ; implicit-def: $vgpr10
	s_branch .LBB22_2387
.LBB22_2383:
	s_mov_b32 s6, -1
                                        ; implicit-def: $vgpr10
.LBB22_2384:
	s_delay_alu instid0(SALU_CYCLE_1)
	s_and_not1_b32 vcc_lo, exec_lo, s6
	s_cbranch_vccnz .LBB22_2386
; %bb.2385:
	s_wait_loadcnt 0x0
	global_load_b32 v10, v[16:17], off
.LBB22_2386:
	s_mov_b32 s6, 0
.LBB22_2387:
	s_delay_alu instid0(SALU_CYCLE_1)
	s_and_not1_b32 vcc_lo, exec_lo, s6
	s_cbranch_vccnz .LBB22_2389
; %bb.2388:
	s_wait_loadcnt 0x0
	global_load_u16 v10, v[16:17], off
.LBB22_2389:
	s_mov_b32 s6, 0
.LBB22_2390:
	s_delay_alu instid0(SALU_CYCLE_1)
	s_and_not1_b32 vcc_lo, exec_lo, s6
	s_cbranch_vccnz .LBB22_2396
; %bb.2391:
	s_cmp_gt_i32 s0, 0
	s_mov_b32 s0, 0
	s_cbranch_scc0 .LBB22_2393
; %bb.2392:
	s_wait_loadcnt 0x0
	global_load_u8 v10, v[16:17], off
	s_branch .LBB22_2394
.LBB22_2393:
	s_mov_b32 s0, -1
                                        ; implicit-def: $vgpr10
.LBB22_2394:
	s_delay_alu instid0(SALU_CYCLE_1)
	s_and_not1_b32 vcc_lo, exec_lo, s0
	s_cbranch_vccnz .LBB22_2396
; %bb.2395:
	s_wait_loadcnt 0x0
	global_load_u8 v10, v[16:17], off
.LBB22_2396:
	s_mov_b32 s14, -1
.LBB22_2397:
	s_delay_alu instid0(SALU_CYCLE_1)
	s_and_not1_b32 vcc_lo, exec_lo, s14
	s_cbranch_vccnz .LBB22_2957
; %bb.2398:
	v_add_nc_u32_e32 v14, s10, v14
	s_cmp_lt_i32 s1, 11
	s_delay_alu instid0(VALU_DEP_1) | instskip(SKIP_1) | instid1(VALU_DEP_1)
	v_ashrrev_i32_e32 v15, 31, v14
	s_wait_xcnt 0x0
	v_add_nc_u64_e32 v[16:17], s[2:3], v[14:15]
	s_cbranch_scc1 .LBB22_2405
; %bb.2399:
	s_and_b32 s0, 0xffff, s1
	s_mov_b32 s3, 0
	s_cmp_gt_i32 s0, 25
	s_cbranch_scc0 .LBB22_2406
; %bb.2400:
	s_cmp_gt_i32 s0, 28
	s_cbranch_scc0 .LBB22_2407
; %bb.2401:
	;; [unrolled: 3-line block ×4, first 2 shown]
	s_cmp_eq_u32 s0, 46
	s_mov_b32 s7, 0
	s_cbranch_scc0 .LBB22_2411
; %bb.2404:
	s_wait_loadcnt 0x0
	global_load_b32 v1, v[16:17], off
	s_mov_b32 s2, 0
	s_mov_b32 s6, -1
	s_wait_loadcnt 0x0
	v_lshlrev_b32_e32 v1, 16, v1
	s_delay_alu instid0(VALU_DEP_1)
	v_cvt_i32_f32_e32 v14, v1
	s_branch .LBB22_2413
.LBB22_2405:
	s_mov_b32 s0, -1
	s_mov_b32 s6, 0
                                        ; implicit-def: $vgpr14
	s_branch .LBB22_2475
.LBB22_2406:
	s_mov_b32 s7, -1
	s_mov_b32 s6, 0
	s_mov_b32 s2, 0
                                        ; implicit-def: $vgpr14
	s_branch .LBB22_2440
.LBB22_2407:
	s_mov_b32 s7, -1
	s_mov_b32 s6, 0
	s_mov_b32 s2, 0
                                        ; implicit-def: $vgpr14
	s_branch .LBB22_2423
.LBB22_2408:
	s_mov_b32 s7, -1
	s_mov_b32 s6, 0
	s_mov_b32 s2, 0
                                        ; implicit-def: $vgpr14
	s_branch .LBB22_2418
.LBB22_2409:
	s_or_b32 s13, s13, exec_lo
	s_trap 2
	s_cbranch_execz .LBB22_2346
	s_branch .LBB22_2347
.LBB22_2410:
	s_mov_b32 s7, -1
	s_mov_b32 s6, 0
	s_mov_b32 s2, 0
	s_branch .LBB22_2412
.LBB22_2411:
	s_mov_b32 s2, -1
	s_mov_b32 s6, 0
.LBB22_2412:
                                        ; implicit-def: $vgpr14
.LBB22_2413:
	s_and_b32 vcc_lo, exec_lo, s7
	s_cbranch_vccz .LBB22_2417
; %bb.2414:
	s_cmp_eq_u32 s0, 44
	s_cbranch_scc0 .LBB22_2416
; %bb.2415:
	s_wait_loadcnt 0x0
	global_load_u8 v1, v[16:17], off
	s_mov_b32 s2, 0
	s_mov_b32 s6, -1
	s_wait_loadcnt 0x0
	v_lshlrev_b32_e32 v3, 23, v1
	v_cmp_ne_u32_e32 vcc_lo, 0, v1
	s_delay_alu instid0(VALU_DEP_2) | instskip(NEXT) | instid1(VALU_DEP_1)
	v_cvt_i32_f32_e32 v3, v3
	v_cndmask_b32_e32 v14, 0, v3, vcc_lo
	s_branch .LBB22_2417
.LBB22_2416:
	s_mov_b32 s2, -1
                                        ; implicit-def: $vgpr14
.LBB22_2417:
	s_mov_b32 s7, 0
.LBB22_2418:
	s_delay_alu instid0(SALU_CYCLE_1)
	s_and_b32 vcc_lo, exec_lo, s7
	s_cbranch_vccz .LBB22_2422
; %bb.2419:
	s_cmp_eq_u32 s0, 29
	s_cbranch_scc0 .LBB22_2421
; %bb.2420:
	global_load_b64 v[14:15], v[16:17], off
	s_mov_b32 s2, 0
	s_mov_b32 s6, -1
	s_branch .LBB22_2422
.LBB22_2421:
	s_mov_b32 s2, -1
                                        ; implicit-def: $vgpr14
.LBB22_2422:
	s_mov_b32 s7, 0
.LBB22_2423:
	s_delay_alu instid0(SALU_CYCLE_1)
	s_and_b32 vcc_lo, exec_lo, s7
	s_cbranch_vccz .LBB22_2439
; %bb.2424:
	s_cmp_lt_i32 s0, 27
	s_cbranch_scc1 .LBB22_2427
; %bb.2425:
	s_cmp_gt_i32 s0, 27
	s_cbranch_scc0 .LBB22_2428
; %bb.2426:
	s_wait_loadcnt 0x0
	global_load_b32 v14, v[16:17], off
	s_mov_b32 s6, 0
	s_branch .LBB22_2429
.LBB22_2427:
	s_mov_b32 s6, -1
                                        ; implicit-def: $vgpr14
	s_branch .LBB22_2432
.LBB22_2428:
	s_mov_b32 s6, -1
                                        ; implicit-def: $vgpr14
.LBB22_2429:
	s_delay_alu instid0(SALU_CYCLE_1)
	s_and_not1_b32 vcc_lo, exec_lo, s6
	s_cbranch_vccnz .LBB22_2431
; %bb.2430:
	s_wait_loadcnt 0x0
	global_load_u16 v14, v[16:17], off
.LBB22_2431:
	s_mov_b32 s6, 0
.LBB22_2432:
	s_delay_alu instid0(SALU_CYCLE_1)
	s_and_not1_b32 vcc_lo, exec_lo, s6
	s_cbranch_vccnz .LBB22_2438
; %bb.2433:
	s_wait_loadcnt 0x0
	global_load_u8 v1, v[16:17], off
	s_mov_b32 s7, 0
	s_mov_b32 s6, exec_lo
	s_wait_loadcnt 0x0
	v_cmpx_lt_i16_e32 0x7f, v1
	s_xor_b32 s6, exec_lo, s6
	s_cbranch_execz .LBB22_2450
; %bb.2434:
	v_cmp_ne_u16_e32 vcc_lo, 0x80, v1
	s_and_b32 s7, vcc_lo, exec_lo
	s_and_not1_saveexec_b32 s6, s6
	s_cbranch_execnz .LBB22_2451
.LBB22_2435:
	s_or_b32 exec_lo, exec_lo, s6
	v_mov_b32_e32 v14, 0
	s_and_saveexec_b32 s6, s7
	s_cbranch_execz .LBB22_2437
.LBB22_2436:
	v_and_b32_e32 v3, 0xffff, v1
	s_delay_alu instid0(VALU_DEP_1) | instskip(SKIP_1) | instid1(VALU_DEP_2)
	v_dual_lshlrev_b32 v1, 24, v1 :: v_dual_bitop2_b32 v5, 7, v3 bitop3:0x40
	v_bfe_u32 v11, v3, 3, 4
	v_and_b32_e32 v1, 0x80000000, v1
	s_delay_alu instid0(VALU_DEP_3) | instskip(NEXT) | instid1(VALU_DEP_3)
	v_clz_i32_u32_e32 v7, v5
	v_cmp_eq_u32_e32 vcc_lo, 0, v11
	s_delay_alu instid0(VALU_DEP_2) | instskip(NEXT) | instid1(VALU_DEP_1)
	v_min_u32_e32 v7, 32, v7
	v_subrev_nc_u32_e32 v9, 28, v7
	v_sub_nc_u32_e32 v7, 29, v7
	s_delay_alu instid0(VALU_DEP_2) | instskip(NEXT) | instid1(VALU_DEP_2)
	v_lshlrev_b32_e32 v3, v9, v3
	v_cndmask_b32_e32 v7, v11, v7, vcc_lo
	s_delay_alu instid0(VALU_DEP_2) | instskip(NEXT) | instid1(VALU_DEP_1)
	v_and_b32_e32 v3, 7, v3
	v_cndmask_b32_e32 v3, v5, v3, vcc_lo
	s_delay_alu instid0(VALU_DEP_3) | instskip(NEXT) | instid1(VALU_DEP_2)
	v_lshl_add_u32 v5, v7, 23, 0x3b800000
	v_lshlrev_b32_e32 v3, 20, v3
	s_delay_alu instid0(VALU_DEP_1) | instskip(NEXT) | instid1(VALU_DEP_1)
	v_or3_b32 v1, v1, v5, v3
	v_cvt_i32_f32_e32 v14, v1
.LBB22_2437:
	s_or_b32 exec_lo, exec_lo, s6
.LBB22_2438:
	s_mov_b32 s6, -1
.LBB22_2439:
	s_mov_b32 s7, 0
.LBB22_2440:
	s_delay_alu instid0(SALU_CYCLE_1)
	s_and_b32 vcc_lo, exec_lo, s7
	s_cbranch_vccz .LBB22_2471
; %bb.2441:
	s_cmp_gt_i32 s0, 22
	s_cbranch_scc0 .LBB22_2449
; %bb.2442:
	s_cmp_lt_i32 s0, 24
	s_cbranch_scc1 .LBB22_2452
; %bb.2443:
	s_cmp_gt_i32 s0, 24
	s_cbranch_scc0 .LBB22_2453
; %bb.2444:
	s_wait_loadcnt 0x0
	global_load_u8 v1, v[16:17], off
	s_mov_b32 s6, 0
	s_mov_b32 s3, exec_lo
	s_wait_loadcnt 0x0
	v_cmpx_lt_i16_e32 0x7f, v1
	s_xor_b32 s3, exec_lo, s3
	s_cbranch_execz .LBB22_2465
; %bb.2445:
	v_cmp_ne_u16_e32 vcc_lo, 0x80, v1
	s_and_b32 s6, vcc_lo, exec_lo
	s_and_not1_saveexec_b32 s3, s3
	s_cbranch_execnz .LBB22_2466
.LBB22_2446:
	s_or_b32 exec_lo, exec_lo, s3
	v_mov_b32_e32 v14, 0
	s_and_saveexec_b32 s3, s6
	s_cbranch_execz .LBB22_2448
.LBB22_2447:
	v_and_b32_e32 v3, 0xffff, v1
	s_delay_alu instid0(VALU_DEP_1) | instskip(SKIP_1) | instid1(VALU_DEP_2)
	v_dual_lshlrev_b32 v1, 24, v1 :: v_dual_bitop2_b32 v5, 3, v3 bitop3:0x40
	v_bfe_u32 v11, v3, 2, 5
	v_and_b32_e32 v1, 0x80000000, v1
	s_delay_alu instid0(VALU_DEP_3) | instskip(NEXT) | instid1(VALU_DEP_3)
	v_clz_i32_u32_e32 v7, v5
	v_cmp_eq_u32_e32 vcc_lo, 0, v11
	s_delay_alu instid0(VALU_DEP_2) | instskip(NEXT) | instid1(VALU_DEP_1)
	v_min_u32_e32 v7, 32, v7
	v_subrev_nc_u32_e32 v9, 29, v7
	v_sub_nc_u32_e32 v7, 30, v7
	s_delay_alu instid0(VALU_DEP_2) | instskip(NEXT) | instid1(VALU_DEP_2)
	v_lshlrev_b32_e32 v3, v9, v3
	v_cndmask_b32_e32 v7, v11, v7, vcc_lo
	s_delay_alu instid0(VALU_DEP_2) | instskip(NEXT) | instid1(VALU_DEP_1)
	v_and_b32_e32 v3, 3, v3
	v_cndmask_b32_e32 v3, v5, v3, vcc_lo
	s_delay_alu instid0(VALU_DEP_3) | instskip(NEXT) | instid1(VALU_DEP_2)
	v_lshl_add_u32 v5, v7, 23, 0x37800000
	v_lshlrev_b32_e32 v3, 21, v3
	s_delay_alu instid0(VALU_DEP_1) | instskip(NEXT) | instid1(VALU_DEP_1)
	v_or3_b32 v1, v1, v5, v3
	v_cvt_i32_f32_e32 v14, v1
.LBB22_2448:
	s_or_b32 exec_lo, exec_lo, s3
	s_mov_b32 s3, 0
	s_branch .LBB22_2454
.LBB22_2449:
	s_mov_b32 s3, -1
                                        ; implicit-def: $vgpr14
	s_branch .LBB22_2460
.LBB22_2450:
	s_and_not1_saveexec_b32 s6, s6
	s_cbranch_execz .LBB22_2435
.LBB22_2451:
	v_cmp_ne_u16_e32 vcc_lo, 0, v1
	s_and_not1_b32 s7, s7, exec_lo
	s_and_b32 s9, vcc_lo, exec_lo
	s_delay_alu instid0(SALU_CYCLE_1)
	s_or_b32 s7, s7, s9
	s_or_b32 exec_lo, exec_lo, s6
	v_mov_b32_e32 v14, 0
	s_and_saveexec_b32 s6, s7
	s_cbranch_execnz .LBB22_2436
	s_branch .LBB22_2437
.LBB22_2452:
	s_mov_b32 s3, -1
                                        ; implicit-def: $vgpr14
	s_branch .LBB22_2457
.LBB22_2453:
	s_mov_b32 s3, -1
                                        ; implicit-def: $vgpr14
.LBB22_2454:
	s_delay_alu instid0(SALU_CYCLE_1)
	s_and_b32 vcc_lo, exec_lo, s3
	s_cbranch_vccz .LBB22_2456
; %bb.2455:
	s_wait_loadcnt 0x0
	global_load_u8 v1, v[16:17], off
	s_wait_loadcnt 0x0
	v_lshlrev_b32_e32 v1, 24, v1
	s_delay_alu instid0(VALU_DEP_1) | instskip(NEXT) | instid1(VALU_DEP_1)
	v_and_b32_e32 v3, 0x7f000000, v1
	v_clz_i32_u32_e32 v5, v3
	v_add_nc_u32_e32 v9, 0x1000000, v3
	v_cmp_ne_u32_e32 vcc_lo, 0, v3
	s_delay_alu instid0(VALU_DEP_3) | instskip(NEXT) | instid1(VALU_DEP_1)
	v_min_u32_e32 v5, 32, v5
	v_sub_nc_u32_e64 v5, v5, 4 clamp
	s_delay_alu instid0(VALU_DEP_1) | instskip(NEXT) | instid1(VALU_DEP_1)
	v_dual_lshlrev_b32 v7, v5, v3 :: v_dual_lshlrev_b32 v5, 23, v5
	v_lshrrev_b32_e32 v7, 4, v7
	s_delay_alu instid0(VALU_DEP_1) | instskip(SKIP_1) | instid1(VALU_DEP_2)
	v_sub_nc_u32_e32 v5, v7, v5
	v_ashrrev_i32_e32 v7, 8, v9
	v_add_nc_u32_e32 v5, 0x3c000000, v5
	s_delay_alu instid0(VALU_DEP_1) | instskip(NEXT) | instid1(VALU_DEP_1)
	v_and_or_b32 v5, 0x7f800000, v7, v5
	v_cndmask_b32_e32 v3, 0, v5, vcc_lo
	s_delay_alu instid0(VALU_DEP_1) | instskip(NEXT) | instid1(VALU_DEP_1)
	v_and_or_b32 v1, 0x80000000, v1, v3
	v_cvt_i32_f32_e32 v14, v1
.LBB22_2456:
	s_mov_b32 s3, 0
.LBB22_2457:
	s_delay_alu instid0(SALU_CYCLE_1)
	s_and_not1_b32 vcc_lo, exec_lo, s3
	s_cbranch_vccnz .LBB22_2459
; %bb.2458:
	s_wait_loadcnt 0x0
	global_load_u8 v1, v[16:17], off
	s_wait_loadcnt 0x0
	v_lshlrev_b32_e32 v3, 25, v1
	v_lshlrev_b16 v1, 8, v1
	s_delay_alu instid0(VALU_DEP_1) | instskip(SKIP_1) | instid1(VALU_DEP_2)
	v_and_or_b32 v7, 0x7f00, v1, 0.5
	v_bfe_i32 v1, v1, 0, 16
	v_add_f32_e32 v7, -0.5, v7
	v_lshrrev_b32_e32 v5, 4, v3
	v_cmp_gt_u32_e32 vcc_lo, 0x8000000, v3
	s_delay_alu instid0(VALU_DEP_2) | instskip(NEXT) | instid1(VALU_DEP_1)
	v_or_b32_e32 v5, 0x70000000, v5
	v_mul_f32_e32 v5, 0x7800000, v5
	s_delay_alu instid0(VALU_DEP_1) | instskip(NEXT) | instid1(VALU_DEP_1)
	v_cndmask_b32_e32 v3, v5, v7, vcc_lo
	v_and_or_b32 v1, 0x80000000, v1, v3
	s_delay_alu instid0(VALU_DEP_1)
	v_cvt_i32_f32_e32 v14, v1
.LBB22_2459:
	s_mov_b32 s3, 0
	s_mov_b32 s6, -1
.LBB22_2460:
	s_and_not1_b32 vcc_lo, exec_lo, s3
	s_mov_b32 s3, 0
	s_cbranch_vccnz .LBB22_2471
; %bb.2461:
	s_cmp_gt_i32 s0, 14
	s_cbranch_scc0 .LBB22_2464
; %bb.2462:
	s_cmp_eq_u32 s0, 15
	s_cbranch_scc0 .LBB22_2467
; %bb.2463:
	s_wait_loadcnt 0x0
	global_load_u16 v1, v[16:17], off
	s_mov_b32 s2, 0
	s_mov_b32 s6, -1
	s_wait_loadcnt 0x0
	v_lshlrev_b32_e32 v1, 16, v1
	s_delay_alu instid0(VALU_DEP_1)
	v_cvt_i32_f32_e32 v14, v1
	s_branch .LBB22_2469
.LBB22_2464:
	s_mov_b32 s3, -1
	s_branch .LBB22_2468
.LBB22_2465:
	s_and_not1_saveexec_b32 s3, s3
	s_cbranch_execz .LBB22_2446
.LBB22_2466:
	v_cmp_ne_u16_e32 vcc_lo, 0, v1
	s_and_not1_b32 s6, s6, exec_lo
	s_and_b32 s7, vcc_lo, exec_lo
	s_delay_alu instid0(SALU_CYCLE_1)
	s_or_b32 s6, s6, s7
	s_or_b32 exec_lo, exec_lo, s3
	v_mov_b32_e32 v14, 0
	s_and_saveexec_b32 s3, s6
	s_cbranch_execnz .LBB22_2447
	s_branch .LBB22_2448
.LBB22_2467:
	s_mov_b32 s2, -1
.LBB22_2468:
                                        ; implicit-def: $vgpr14
.LBB22_2469:
	s_and_b32 vcc_lo, exec_lo, s3
	s_mov_b32 s3, 0
	s_cbranch_vccz .LBB22_2471
; %bb.2470:
	s_cmp_lg_u32 s0, 11
	s_mov_b32 s3, -1
	s_cselect_b32 s2, -1, 0
.LBB22_2471:
	s_delay_alu instid0(SALU_CYCLE_1)
	s_and_b32 vcc_lo, exec_lo, s2
	s_cbranch_vccnz .LBB22_3003
; %bb.2472:
	s_and_not1_b32 vcc_lo, exec_lo, s3
	s_cbranch_vccnz .LBB22_2474
.LBB22_2473:
	s_wait_loadcnt 0x0
	global_load_u8 v1, v[16:17], off
	s_mov_b32 s6, -1
	s_wait_loadcnt 0x0
	v_cmp_ne_u16_e32 vcc_lo, 0, v1
	v_cndmask_b32_e64 v14, 0, 1, vcc_lo
.LBB22_2474:
	s_mov_b32 s0, 0
.LBB22_2475:
	s_delay_alu instid0(SALU_CYCLE_1)
	s_and_b32 vcc_lo, exec_lo, s0
	s_cbranch_vccz .LBB22_2524
; %bb.2476:
	s_and_b32 s0, 0xffff, s1
	s_delay_alu instid0(SALU_CYCLE_1)
	s_cmp_lt_i32 s0, 5
	s_cbranch_scc1 .LBB22_2481
; %bb.2477:
	s_cmp_lt_i32 s0, 8
	s_cbranch_scc1 .LBB22_2482
; %bb.2478:
	s_cmp_lt_i32 s0, 9
	s_cbranch_scc1 .LBB22_2483
; %bb.2479:
	s_cmp_gt_i32 s0, 9
	s_cbranch_scc0 .LBB22_2484
; %bb.2480:
	s_wait_loadcnt 0x0
	global_load_b64 v[14:15], v[16:17], off
	s_mov_b32 s1, 0
	s_wait_loadcnt 0x0
	v_cvt_i32_f64_e32 v14, v[14:15]
	s_branch .LBB22_2485
.LBB22_2481:
	s_mov_b32 s1, -1
                                        ; implicit-def: $vgpr14
	s_branch .LBB22_2503
.LBB22_2482:
	s_mov_b32 s1, -1
                                        ; implicit-def: $vgpr14
	s_branch .LBB22_2491
.LBB22_2483:
	s_mov_b32 s1, -1
                                        ; implicit-def: $vgpr14
	s_branch .LBB22_2488
.LBB22_2484:
	s_mov_b32 s1, -1
                                        ; implicit-def: $vgpr14
.LBB22_2485:
	s_delay_alu instid0(SALU_CYCLE_1)
	s_and_not1_b32 vcc_lo, exec_lo, s1
	s_cbranch_vccnz .LBB22_2487
; %bb.2486:
	s_wait_loadcnt 0x0
	global_load_b32 v1, v[16:17], off
	s_wait_loadcnt 0x0
	v_cvt_i32_f32_e32 v14, v1
.LBB22_2487:
	s_mov_b32 s1, 0
.LBB22_2488:
	s_delay_alu instid0(SALU_CYCLE_1)
	s_and_not1_b32 vcc_lo, exec_lo, s1
	s_cbranch_vccnz .LBB22_2490
; %bb.2489:
	s_wait_loadcnt 0x0
	global_load_b32 v1, v[16:17], off
	s_wait_loadcnt 0x0
	v_cvt_i16_f16_e32 v14, v1
.LBB22_2490:
	s_mov_b32 s1, 0
.LBB22_2491:
	s_delay_alu instid0(SALU_CYCLE_1)
	s_and_not1_b32 vcc_lo, exec_lo, s1
	s_cbranch_vccnz .LBB22_2502
; %bb.2492:
	s_cmp_lt_i32 s0, 6
	s_cbranch_scc1 .LBB22_2495
; %bb.2493:
	s_cmp_gt_i32 s0, 6
	s_cbranch_scc0 .LBB22_2496
; %bb.2494:
	s_wait_loadcnt 0x0
	global_load_b64 v[14:15], v[16:17], off
	s_mov_b32 s1, 0
	s_wait_loadcnt 0x0
	v_cvt_i32_f64_e32 v14, v[14:15]
	s_branch .LBB22_2497
.LBB22_2495:
	s_mov_b32 s1, -1
                                        ; implicit-def: $vgpr14
	s_branch .LBB22_2500
.LBB22_2496:
	s_mov_b32 s1, -1
                                        ; implicit-def: $vgpr14
.LBB22_2497:
	s_delay_alu instid0(SALU_CYCLE_1)
	s_and_not1_b32 vcc_lo, exec_lo, s1
	s_cbranch_vccnz .LBB22_2499
; %bb.2498:
	s_wait_loadcnt 0x0
	global_load_b32 v1, v[16:17], off
	s_wait_loadcnt 0x0
	v_cvt_i32_f32_e32 v14, v1
.LBB22_2499:
	s_mov_b32 s1, 0
.LBB22_2500:
	s_delay_alu instid0(SALU_CYCLE_1)
	s_and_not1_b32 vcc_lo, exec_lo, s1
	s_cbranch_vccnz .LBB22_2502
; %bb.2501:
	s_wait_loadcnt 0x0
	global_load_u16 v1, v[16:17], off
	s_wait_loadcnt 0x0
	v_cvt_i16_f16_e32 v14, v1
.LBB22_2502:
	s_mov_b32 s1, 0
.LBB22_2503:
	s_delay_alu instid0(SALU_CYCLE_1)
	s_and_not1_b32 vcc_lo, exec_lo, s1
	s_cbranch_vccnz .LBB22_2523
; %bb.2504:
	s_cmp_lt_i32 s0, 2
	s_cbranch_scc1 .LBB22_2508
; %bb.2505:
	s_cmp_lt_i32 s0, 3
	s_cbranch_scc1 .LBB22_2509
; %bb.2506:
	s_cmp_gt_i32 s0, 3
	s_cbranch_scc0 .LBB22_2510
; %bb.2507:
	s_wait_loadcnt 0x0
	global_load_b64 v[14:15], v[16:17], off
	s_mov_b32 s1, 0
	s_branch .LBB22_2511
.LBB22_2508:
	s_mov_b32 s1, -1
                                        ; implicit-def: $vgpr14
	s_branch .LBB22_2517
.LBB22_2509:
	s_mov_b32 s1, -1
                                        ; implicit-def: $vgpr14
	s_branch .LBB22_2514
.LBB22_2510:
	s_mov_b32 s1, -1
                                        ; implicit-def: $vgpr14
.LBB22_2511:
	s_delay_alu instid0(SALU_CYCLE_1)
	s_and_not1_b32 vcc_lo, exec_lo, s1
	s_cbranch_vccnz .LBB22_2513
; %bb.2512:
	s_wait_loadcnt 0x0
	global_load_b32 v14, v[16:17], off
.LBB22_2513:
	s_mov_b32 s1, 0
.LBB22_2514:
	s_delay_alu instid0(SALU_CYCLE_1)
	s_and_not1_b32 vcc_lo, exec_lo, s1
	s_cbranch_vccnz .LBB22_2516
; %bb.2515:
	s_wait_loadcnt 0x0
	global_load_u16 v14, v[16:17], off
.LBB22_2516:
	s_mov_b32 s1, 0
.LBB22_2517:
	s_delay_alu instid0(SALU_CYCLE_1)
	s_and_not1_b32 vcc_lo, exec_lo, s1
	s_cbranch_vccnz .LBB22_2523
; %bb.2518:
	s_cmp_gt_i32 s0, 0
	s_mov_b32 s0, 0
	s_cbranch_scc0 .LBB22_2520
; %bb.2519:
	s_wait_loadcnt 0x0
	global_load_u8 v14, v[16:17], off
	s_branch .LBB22_2521
.LBB22_2520:
	s_mov_b32 s0, -1
                                        ; implicit-def: $vgpr14
.LBB22_2521:
	s_delay_alu instid0(SALU_CYCLE_1)
	s_and_not1_b32 vcc_lo, exec_lo, s0
	s_cbranch_vccnz .LBB22_2523
; %bb.2522:
	s_wait_loadcnt 0x0
	global_load_u8 v14, v[16:17], off
.LBB22_2523:
	s_mov_b32 s6, -1
.LBB22_2524:
	s_delay_alu instid0(SALU_CYCLE_1)
	s_and_not1_b32 vcc_lo, exec_lo, s6
	s_cbranch_vccnz .LBB22_2957
; %bb.2525:
	s_wait_xcnt 0x0
	v_mul_lo_u32 v16, s8, v18
	s_wait_loadcnt 0x0
	v_and_b32_e32 v1, 0xff, v4
	v_and_b32_e32 v0, 0xff, v0
	s_cmp_eq_u32 s11, 0
	s_mov_b32 s7, 0
	s_cselect_b32 s1, -1, 0
	s_and_b32 s17, s12, 0xff
	v_cmp_ne_u16_e32 vcc_lo, v0, v1
	s_mov_b32 s0, -1
	s_delay_alu instid0(VALU_DEP_4) | instskip(SKIP_2) | instid1(VALU_DEP_1)
	v_ashrrev_i32_e32 v17, 31, v16
	s_xor_b32 s2, s1, vcc_lo
	s_cmp_lt_i32 s17, 11
	v_add_nc_u64_e32 v[0:1], s[4:5], v[16:17]
	s_cbranch_scc1 .LBB22_2604
; %bb.2526:
	s_and_b32 s3, 0xffff, s17
	s_mov_b32 s9, -1
	s_mov_b32 s6, 0
	s_cmp_gt_i32 s3, 25
	s_mov_b32 s0, 0
	s_cbranch_scc0 .LBB22_2559
; %bb.2527:
	s_cmp_gt_i32 s3, 28
	s_cbranch_scc0 .LBB22_2542
; %bb.2528:
	s_cmp_gt_i32 s3, 43
	;; [unrolled: 3-line block ×3, first 2 shown]
	s_cbranch_scc0 .LBB22_2532
; %bb.2530:
	s_mov_b32 s0, -1
	s_mov_b32 s9, 0
	s_cmp_eq_u32 s3, 46
	s_cbranch_scc0 .LBB22_2532
; %bb.2531:
	v_cndmask_b32_e64 v3, 0, 1.0, s2
	s_mov_b32 s0, 0
	s_mov_b32 s7, -1
	s_delay_alu instid0(VALU_DEP_1) | instskip(NEXT) | instid1(VALU_DEP_1)
	v_bfe_u32 v4, v3, 16, 1
	v_add3_u32 v3, v3, v4, 0x7fff
	s_delay_alu instid0(VALU_DEP_1)
	v_lshrrev_b32_e32 v3, 16, v3
	global_store_b32 v[0:1], v3, off
.LBB22_2532:
	s_and_b32 vcc_lo, exec_lo, s9
	s_cbranch_vccz .LBB22_2537
; %bb.2533:
	s_cmp_eq_u32 s3, 44
	s_mov_b32 s0, -1
	s_cbranch_scc0 .LBB22_2537
; %bb.2534:
	v_cndmask_b32_e64 v5, 0, 1.0, s2
	s_mov_b32 s7, exec_lo
	s_wait_xcnt 0x0
	s_delay_alu instid0(VALU_DEP_1) | instskip(NEXT) | instid1(VALU_DEP_1)
	v_dual_mov_b32 v4, 0xff :: v_dual_lshrrev_b32 v3, 23, v5
	v_cmpx_ne_u32_e32 0xff, v3
; %bb.2535:
	v_and_b32_e32 v4, 0x400000, v5
	v_and_or_b32 v5, 0x3fffff, v5, v3
	s_delay_alu instid0(VALU_DEP_2) | instskip(NEXT) | instid1(VALU_DEP_2)
	v_cmp_ne_u32_e32 vcc_lo, 0, v4
	v_cmp_ne_u32_e64 s0, 0, v5
	s_and_b32 s0, vcc_lo, s0
	s_delay_alu instid0(SALU_CYCLE_1) | instskip(NEXT) | instid1(VALU_DEP_1)
	v_cndmask_b32_e64 v4, 0, 1, s0
	v_add_nc_u32_e32 v4, v3, v4
; %bb.2536:
	s_or_b32 exec_lo, exec_lo, s7
	s_mov_b32 s0, 0
	s_mov_b32 s7, -1
	global_store_b8 v[0:1], v4, off
.LBB22_2537:
	s_mov_b32 s9, 0
.LBB22_2538:
	s_delay_alu instid0(SALU_CYCLE_1)
	s_and_b32 vcc_lo, exec_lo, s9
	s_cbranch_vccz .LBB22_2541
; %bb.2539:
	s_cmp_eq_u32 s3, 29
	s_mov_b32 s0, -1
	s_cbranch_scc0 .LBB22_2541
; %bb.2540:
	s_mov_b32 s0, 0
	s_wait_xcnt 0x0
	v_cndmask_b32_e64 v4, 0, 1, s2
	v_mov_b32_e32 v5, s0
	s_mov_b32 s7, -1
	global_store_b64 v[0:1], v[4:5], off
.LBB22_2541:
	s_mov_b32 s9, 0
.LBB22_2542:
	s_delay_alu instid0(SALU_CYCLE_1)
	s_and_b32 vcc_lo, exec_lo, s9
	s_cbranch_vccz .LBB22_2558
; %bb.2543:
	s_cmp_lt_i32 s3, 27
	s_mov_b32 s7, -1
	s_cbranch_scc1 .LBB22_2549
; %bb.2544:
	s_cmp_gt_i32 s3, 27
	s_cbranch_scc0 .LBB22_2546
; %bb.2545:
	s_wait_xcnt 0x0
	v_cndmask_b32_e64 v3, 0, 1, s2
	s_mov_b32 s7, 0
	global_store_b32 v[0:1], v3, off
.LBB22_2546:
	s_and_not1_b32 vcc_lo, exec_lo, s7
	s_cbranch_vccnz .LBB22_2548
; %bb.2547:
	s_wait_xcnt 0x0
	v_cndmask_b32_e64 v3, 0, 1, s2
	global_store_b16 v[0:1], v3, off
.LBB22_2548:
	s_mov_b32 s7, 0
.LBB22_2549:
	s_delay_alu instid0(SALU_CYCLE_1)
	s_and_not1_b32 vcc_lo, exec_lo, s7
	s_cbranch_vccnz .LBB22_2557
; %bb.2550:
	s_wait_xcnt 0x0
	v_cndmask_b32_e64 v4, 0, 1.0, s2
	v_mov_b32_e32 v5, 0x80
	s_mov_b32 s7, exec_lo
	s_delay_alu instid0(VALU_DEP_2)
	v_cmpx_gt_u32_e32 0x43800000, v4
	s_cbranch_execz .LBB22_2556
; %bb.2551:
	s_mov_b32 s9, 0
	s_mov_b32 s10, exec_lo
                                        ; implicit-def: $vgpr3
	v_cmpx_lt_u32_e32 0x3bffffff, v4
	s_xor_b32 s10, exec_lo, s10
	s_cbranch_execz .LBB22_3004
; %bb.2552:
	v_bfe_u32 v3, v4, 20, 1
	s_mov_b32 s9, exec_lo
	s_delay_alu instid0(VALU_DEP_1) | instskip(NEXT) | instid1(VALU_DEP_1)
	v_add3_u32 v3, v4, v3, 0x487ffff
                                        ; implicit-def: $vgpr4
	v_lshrrev_b32_e32 v3, 20, v3
	s_and_not1_saveexec_b32 s10, s10
	s_cbranch_execnz .LBB22_3005
.LBB22_2553:
	s_or_b32 exec_lo, exec_lo, s10
	v_mov_b32_e32 v5, 0
	s_and_saveexec_b32 s10, s9
.LBB22_2554:
	v_mov_b32_e32 v5, v3
.LBB22_2555:
	s_or_b32 exec_lo, exec_lo, s10
.LBB22_2556:
	s_delay_alu instid0(SALU_CYCLE_1)
	s_or_b32 exec_lo, exec_lo, s7
	global_store_b8 v[0:1], v5, off
.LBB22_2557:
	s_mov_b32 s7, -1
.LBB22_2558:
	s_mov_b32 s9, 0
.LBB22_2559:
	s_delay_alu instid0(SALU_CYCLE_1)
	s_and_b32 vcc_lo, exec_lo, s9
	s_cbranch_vccz .LBB22_2599
; %bb.2560:
	s_cmp_gt_i32 s3, 22
	s_mov_b32 s6, -1
	s_cbranch_scc0 .LBB22_2592
; %bb.2561:
	s_cmp_lt_i32 s3, 24
	s_cbranch_scc1 .LBB22_2581
; %bb.2562:
	s_cmp_gt_i32 s3, 24
	s_cbranch_scc0 .LBB22_2570
; %bb.2563:
	s_wait_xcnt 0x0
	v_cndmask_b32_e64 v4, 0, 1.0, s2
	v_mov_b32_e32 v5, 0x80
	s_mov_b32 s6, exec_lo
	s_delay_alu instid0(VALU_DEP_2)
	v_cmpx_gt_u32_e32 0x47800000, v4
	s_cbranch_execz .LBB22_2569
; %bb.2564:
	s_mov_b32 s7, 0
	s_mov_b32 s9, exec_lo
                                        ; implicit-def: $vgpr3
	v_cmpx_lt_u32_e32 0x37ffffff, v4
	s_xor_b32 s9, exec_lo, s9
	s_cbranch_execz .LBB22_3007
; %bb.2565:
	v_bfe_u32 v3, v4, 21, 1
	s_mov_b32 s7, exec_lo
	s_delay_alu instid0(VALU_DEP_1) | instskip(NEXT) | instid1(VALU_DEP_1)
	v_add3_u32 v3, v4, v3, 0x88fffff
                                        ; implicit-def: $vgpr4
	v_lshrrev_b32_e32 v3, 21, v3
	s_and_not1_saveexec_b32 s9, s9
	s_cbranch_execnz .LBB22_3008
.LBB22_2566:
	s_or_b32 exec_lo, exec_lo, s9
	v_mov_b32_e32 v5, 0
	s_and_saveexec_b32 s9, s7
.LBB22_2567:
	v_mov_b32_e32 v5, v3
.LBB22_2568:
	s_or_b32 exec_lo, exec_lo, s9
.LBB22_2569:
	s_delay_alu instid0(SALU_CYCLE_1)
	s_or_b32 exec_lo, exec_lo, s6
	s_mov_b32 s6, 0
	global_store_b8 v[0:1], v5, off
.LBB22_2570:
	s_and_b32 vcc_lo, exec_lo, s6
	s_cbranch_vccz .LBB22_2580
; %bb.2571:
	s_wait_xcnt 0x0
	v_cndmask_b32_e64 v4, 0, 1.0, s2
	s_mov_b32 s6, exec_lo
                                        ; implicit-def: $vgpr3
	s_delay_alu instid0(VALU_DEP_1)
	v_cmpx_gt_u32_e32 0x43f00000, v4
	s_xor_b32 s6, exec_lo, s6
	s_cbranch_execz .LBB22_2577
; %bb.2572:
	s_mov_b32 s7, exec_lo
                                        ; implicit-def: $vgpr3
	v_cmpx_lt_u32_e32 0x3c7fffff, v4
	s_xor_b32 s7, exec_lo, s7
; %bb.2573:
	v_bfe_u32 v3, v4, 20, 1
	s_delay_alu instid0(VALU_DEP_1) | instskip(NEXT) | instid1(VALU_DEP_1)
	v_add3_u32 v3, v4, v3, 0x407ffff
	v_and_b32_e32 v4, 0xff00000, v3
	v_lshrrev_b32_e32 v3, 20, v3
	s_delay_alu instid0(VALU_DEP_2) | instskip(NEXT) | instid1(VALU_DEP_2)
	v_cmp_ne_u32_e32 vcc_lo, 0x7f00000, v4
                                        ; implicit-def: $vgpr4
	v_cndmask_b32_e32 v3, 0x7e, v3, vcc_lo
; %bb.2574:
	s_and_not1_saveexec_b32 s7, s7
; %bb.2575:
	v_add_f32_e32 v3, 0x46800000, v4
; %bb.2576:
	s_or_b32 exec_lo, exec_lo, s7
                                        ; implicit-def: $vgpr4
.LBB22_2577:
	s_and_not1_saveexec_b32 s6, s6
; %bb.2578:
	v_mov_b32_e32 v3, 0x7f
	v_cmp_lt_u32_e32 vcc_lo, 0x7f800000, v4
	s_delay_alu instid0(VALU_DEP_2)
	v_cndmask_b32_e32 v3, 0x7e, v3, vcc_lo
; %bb.2579:
	s_or_b32 exec_lo, exec_lo, s6
	global_store_b8 v[0:1], v3, off
.LBB22_2580:
	s_mov_b32 s6, 0
.LBB22_2581:
	s_delay_alu instid0(SALU_CYCLE_1)
	s_and_not1_b32 vcc_lo, exec_lo, s6
	s_cbranch_vccnz .LBB22_2591
; %bb.2582:
	s_wait_xcnt 0x0
	v_cndmask_b32_e64 v4, 0, 1.0, s2
	s_mov_b32 s6, exec_lo
                                        ; implicit-def: $vgpr3
	s_delay_alu instid0(VALU_DEP_1)
	v_cmpx_gt_u32_e32 0x47800000, v4
	s_xor_b32 s6, exec_lo, s6
	s_cbranch_execz .LBB22_2588
; %bb.2583:
	s_mov_b32 s7, exec_lo
                                        ; implicit-def: $vgpr3
	v_cmpx_lt_u32_e32 0x387fffff, v4
	s_xor_b32 s7, exec_lo, s7
; %bb.2584:
	v_bfe_u32 v3, v4, 21, 1
	s_delay_alu instid0(VALU_DEP_1) | instskip(NEXT) | instid1(VALU_DEP_1)
	v_add3_u32 v3, v4, v3, 0x80fffff
                                        ; implicit-def: $vgpr4
	v_lshrrev_b32_e32 v3, 21, v3
; %bb.2585:
	s_and_not1_saveexec_b32 s7, s7
; %bb.2586:
	v_add_f32_e32 v3, 0x43000000, v4
; %bb.2587:
	s_or_b32 exec_lo, exec_lo, s7
                                        ; implicit-def: $vgpr4
.LBB22_2588:
	s_and_not1_saveexec_b32 s6, s6
; %bb.2589:
	v_mov_b32_e32 v3, 0x7f
	v_cmp_lt_u32_e32 vcc_lo, 0x7f800000, v4
	s_delay_alu instid0(VALU_DEP_2)
	v_cndmask_b32_e32 v3, 0x7c, v3, vcc_lo
; %bb.2590:
	s_or_b32 exec_lo, exec_lo, s6
	global_store_b8 v[0:1], v3, off
.LBB22_2591:
	s_mov_b32 s6, 0
	s_mov_b32 s7, -1
.LBB22_2592:
	s_and_not1_b32 vcc_lo, exec_lo, s6
	s_mov_b32 s6, 0
	s_cbranch_vccnz .LBB22_2599
; %bb.2593:
	s_cmp_gt_i32 s3, 14
	s_mov_b32 s6, -1
	s_cbranch_scc0 .LBB22_2597
; %bb.2594:
	s_cmp_eq_u32 s3, 15
	s_mov_b32 s0, -1
	s_cbranch_scc0 .LBB22_2596
; %bb.2595:
	s_wait_xcnt 0x0
	v_cndmask_b32_e64 v3, 0, 1.0, s2
	s_mov_b32 s0, 0
	s_mov_b32 s7, -1
	s_delay_alu instid0(VALU_DEP_1) | instskip(NEXT) | instid1(VALU_DEP_1)
	v_bfe_u32 v4, v3, 16, 1
	v_add3_u32 v3, v3, v4, 0x7fff
	global_store_d16_hi_b16 v[0:1], v3, off
.LBB22_2596:
	s_mov_b32 s6, 0
.LBB22_2597:
	s_delay_alu instid0(SALU_CYCLE_1)
	s_and_b32 vcc_lo, exec_lo, s6
	s_mov_b32 s6, 0
	s_cbranch_vccz .LBB22_2599
; %bb.2598:
	s_cmp_lg_u32 s3, 11
	s_mov_b32 s6, -1
	s_cselect_b32 s0, -1, 0
.LBB22_2599:
	s_delay_alu instid0(SALU_CYCLE_1)
	s_and_b32 vcc_lo, exec_lo, s0
	s_cbranch_vccnz .LBB22_3006
; %bb.2600:
	s_and_not1_b32 vcc_lo, exec_lo, s6
	s_cbranch_vccnz .LBB22_2602
.LBB22_2601:
	s_wait_xcnt 0x0
	v_cndmask_b32_e64 v3, 0, 1, s2
	s_mov_b32 s7, -1
	global_store_b8 v[0:1], v3, off
.LBB22_2602:
.LBB22_2603:
	s_and_not1_b32 vcc_lo, exec_lo, s7
	s_cbranch_vccnz .LBB22_2957
	s_branch .LBB22_2643
.LBB22_2604:
	s_and_b32 vcc_lo, exec_lo, s0
	s_cbranch_vccz .LBB22_2603
; %bb.2605:
	s_and_b32 s0, 0xffff, s17
	s_mov_b32 s3, -1
	s_cmp_lt_i32 s0, 5
	s_cbranch_scc1 .LBB22_2626
; %bb.2606:
	s_cmp_lt_i32 s0, 8
	s_cbranch_scc1 .LBB22_2616
; %bb.2607:
	;; [unrolled: 3-line block ×3, first 2 shown]
	s_cmp_gt_i32 s0, 9
	s_cbranch_scc0 .LBB22_2610
; %bb.2609:
	s_wait_xcnt 0x0
	v_cndmask_b32_e64 v3, 0, 1, s2
	v_mov_b32_e32 v20, 0
	s_mov_b32 s3, 0
	s_delay_alu instid0(VALU_DEP_2) | instskip(NEXT) | instid1(VALU_DEP_2)
	v_cvt_f64_u32_e32 v[18:19], v3
	v_mov_b32_e32 v21, v20
	global_store_b128 v[0:1], v[18:21], off
.LBB22_2610:
	s_and_not1_b32 vcc_lo, exec_lo, s3
	s_cbranch_vccnz .LBB22_2612
; %bb.2611:
	s_wait_xcnt 0x0
	v_cndmask_b32_e64 v4, 0, 1.0, s2
	v_mov_b32_e32 v5, 0
	global_store_b64 v[0:1], v[4:5], off
.LBB22_2612:
	s_mov_b32 s3, 0
.LBB22_2613:
	s_delay_alu instid0(SALU_CYCLE_1)
	s_and_not1_b32 vcc_lo, exec_lo, s3
	s_cbranch_vccnz .LBB22_2615
; %bb.2614:
	s_wait_xcnt 0x0
	v_cndmask_b32_e64 v3, 0, 1.0, s2
	s_delay_alu instid0(VALU_DEP_1) | instskip(NEXT) | instid1(VALU_DEP_1)
	v_cvt_f16_f32_e32 v3, v3
	v_and_b32_e32 v3, 0xffff, v3
	global_store_b32 v[0:1], v3, off
.LBB22_2615:
	s_mov_b32 s3, 0
.LBB22_2616:
	s_delay_alu instid0(SALU_CYCLE_1)
	s_and_not1_b32 vcc_lo, exec_lo, s3
	s_cbranch_vccnz .LBB22_2625
; %bb.2617:
	s_cmp_lt_i32 s0, 6
	s_mov_b32 s3, -1
	s_cbranch_scc1 .LBB22_2623
; %bb.2618:
	s_cmp_gt_i32 s0, 6
	s_cbranch_scc0 .LBB22_2620
; %bb.2619:
	s_wait_xcnt 0x0
	v_cndmask_b32_e64 v3, 0, 1, s2
	s_mov_b32 s3, 0
	s_delay_alu instid0(VALU_DEP_1)
	v_cvt_f64_u32_e32 v[4:5], v3
	global_store_b64 v[0:1], v[4:5], off
.LBB22_2620:
	s_and_not1_b32 vcc_lo, exec_lo, s3
	s_cbranch_vccnz .LBB22_2622
; %bb.2621:
	s_wait_xcnt 0x0
	v_cndmask_b32_e64 v3, 0, 1.0, s2
	global_store_b32 v[0:1], v3, off
.LBB22_2622:
	s_mov_b32 s3, 0
.LBB22_2623:
	s_delay_alu instid0(SALU_CYCLE_1)
	s_and_not1_b32 vcc_lo, exec_lo, s3
	s_cbranch_vccnz .LBB22_2625
; %bb.2624:
	s_wait_xcnt 0x0
	v_cndmask_b32_e64 v3, 0, 1.0, s2
	s_delay_alu instid0(VALU_DEP_1)
	v_cvt_f16_f32_e32 v3, v3
	global_store_b16 v[0:1], v3, off
.LBB22_2625:
	s_mov_b32 s3, 0
.LBB22_2626:
	s_delay_alu instid0(SALU_CYCLE_1)
	s_and_not1_b32 vcc_lo, exec_lo, s3
	s_cbranch_vccnz .LBB22_2642
; %bb.2627:
	s_cmp_lt_i32 s0, 2
	s_mov_b32 s3, -1
	s_cbranch_scc1 .LBB22_2637
; %bb.2628:
	s_cmp_lt_i32 s0, 3
	s_cbranch_scc1 .LBB22_2634
; %bb.2629:
	s_cmp_gt_i32 s0, 3
	s_cbranch_scc0 .LBB22_2631
; %bb.2630:
	s_mov_b32 s3, 0
	s_wait_xcnt 0x0
	v_cndmask_b32_e64 v4, 0, 1, s2
	v_mov_b32_e32 v5, s3
	global_store_b64 v[0:1], v[4:5], off
.LBB22_2631:
	s_and_not1_b32 vcc_lo, exec_lo, s3
	s_cbranch_vccnz .LBB22_2633
; %bb.2632:
	s_wait_xcnt 0x0
	v_cndmask_b32_e64 v3, 0, 1, s2
	global_store_b32 v[0:1], v3, off
.LBB22_2633:
	s_mov_b32 s3, 0
.LBB22_2634:
	s_delay_alu instid0(SALU_CYCLE_1)
	s_and_not1_b32 vcc_lo, exec_lo, s3
	s_cbranch_vccnz .LBB22_2636
; %bb.2635:
	s_wait_xcnt 0x0
	v_cndmask_b32_e64 v3, 0, 1, s2
	global_store_b16 v[0:1], v3, off
.LBB22_2636:
	s_mov_b32 s3, 0
.LBB22_2637:
	s_delay_alu instid0(SALU_CYCLE_1)
	s_and_not1_b32 vcc_lo, exec_lo, s3
	s_cbranch_vccnz .LBB22_2642
; %bb.2638:
	s_wait_xcnt 0x0
	v_cndmask_b32_e64 v3, 0, 1, s2
	s_cmp_gt_i32 s0, 0
	s_mov_b32 s0, -1
	s_cbranch_scc0 .LBB22_2640
; %bb.2639:
	s_mov_b32 s0, 0
	global_store_b8 v[0:1], v3, off
.LBB22_2640:
	s_and_not1_b32 vcc_lo, exec_lo, s0
	s_cbranch_vccnz .LBB22_2642
; %bb.2641:
	global_store_b8 v[0:1], v3, off
.LBB22_2642:
.LBB22_2643:
	s_lshl_b32 s2, s8, 7
	s_wait_xcnt 0x0
	v_and_b32_e32 v3, 0xff, v8
	v_add_nc_u32_e32 v0, s2, v16
	v_and_b32_e32 v2, 0xff, v2
	s_delay_alu instid0(VALU_DEP_2) | instskip(NEXT) | instid1(VALU_DEP_2)
	v_ashrrev_i32_e32 v1, 31, v0
	v_cmp_ne_u16_e32 vcc_lo, v2, v3
	s_delay_alu instid0(VALU_DEP_2)
	v_add_nc_u64_e32 v[2:3], s[4:5], v[0:1]
	s_xor_b32 s3, s1, vcc_lo
	s_cmp_lt_i32 s17, 11
	s_cbranch_scc1 .LBB22_2721
; %bb.2644:
	s_and_b32 s6, 0xffff, s17
	s_mov_b32 s9, -1
	s_mov_b32 s7, 0
	s_cmp_gt_i32 s6, 25
	s_mov_b32 s8, 0
	s_mov_b32 s0, 0
	s_cbranch_scc0 .LBB22_2677
; %bb.2645:
	s_cmp_gt_i32 s6, 28
	s_cbranch_scc0 .LBB22_2660
; %bb.2646:
	s_cmp_gt_i32 s6, 43
	;; [unrolled: 3-line block ×3, first 2 shown]
	s_cbranch_scc0 .LBB22_2650
; %bb.2648:
	s_mov_b32 s0, -1
	s_mov_b32 s9, 0
	s_cmp_eq_u32 s6, 46
	s_cbranch_scc0 .LBB22_2650
; %bb.2649:
	v_cndmask_b32_e64 v1, 0, 1.0, s3
	s_mov_b32 s0, 0
	s_mov_b32 s8, -1
	s_delay_alu instid0(VALU_DEP_1) | instskip(NEXT) | instid1(VALU_DEP_1)
	v_bfe_u32 v4, v1, 16, 1
	v_add3_u32 v1, v1, v4, 0x7fff
	s_delay_alu instid0(VALU_DEP_1)
	v_lshrrev_b32_e32 v1, 16, v1
	global_store_b32 v[2:3], v1, off
.LBB22_2650:
	s_and_b32 vcc_lo, exec_lo, s9
	s_cbranch_vccz .LBB22_2655
; %bb.2651:
	s_cmp_eq_u32 s6, 44
	s_mov_b32 s0, -1
	s_cbranch_scc0 .LBB22_2655
; %bb.2652:
	v_cndmask_b32_e64 v5, 0, 1.0, s3
	s_mov_b32 s8, exec_lo
	s_wait_xcnt 0x0
	s_delay_alu instid0(VALU_DEP_1) | instskip(NEXT) | instid1(VALU_DEP_1)
	v_dual_mov_b32 v4, 0xff :: v_dual_lshrrev_b32 v1, 23, v5
	v_cmpx_ne_u32_e32 0xff, v1
; %bb.2653:
	v_and_b32_e32 v4, 0x400000, v5
	v_and_or_b32 v5, 0x3fffff, v5, v1
	s_delay_alu instid0(VALU_DEP_2) | instskip(NEXT) | instid1(VALU_DEP_2)
	v_cmp_ne_u32_e32 vcc_lo, 0, v4
	v_cmp_ne_u32_e64 s0, 0, v5
	s_and_b32 s0, vcc_lo, s0
	s_delay_alu instid0(SALU_CYCLE_1) | instskip(NEXT) | instid1(VALU_DEP_1)
	v_cndmask_b32_e64 v4, 0, 1, s0
	v_add_nc_u32_e32 v4, v1, v4
; %bb.2654:
	s_or_b32 exec_lo, exec_lo, s8
	s_mov_b32 s0, 0
	s_mov_b32 s8, -1
	global_store_b8 v[2:3], v4, off
.LBB22_2655:
	s_mov_b32 s9, 0
.LBB22_2656:
	s_delay_alu instid0(SALU_CYCLE_1)
	s_and_b32 vcc_lo, exec_lo, s9
	s_cbranch_vccz .LBB22_2659
; %bb.2657:
	s_cmp_eq_u32 s6, 29
	s_mov_b32 s0, -1
	s_cbranch_scc0 .LBB22_2659
; %bb.2658:
	s_mov_b32 s0, 0
	s_wait_xcnt 0x0
	v_cndmask_b32_e64 v4, 0, 1, s3
	v_mov_b32_e32 v5, s0
	s_mov_b32 s8, -1
	global_store_b64 v[2:3], v[4:5], off
.LBB22_2659:
	s_mov_b32 s9, 0
.LBB22_2660:
	s_delay_alu instid0(SALU_CYCLE_1)
	s_and_b32 vcc_lo, exec_lo, s9
	s_cbranch_vccz .LBB22_2676
; %bb.2661:
	s_cmp_lt_i32 s6, 27
	s_mov_b32 s8, -1
	s_cbranch_scc1 .LBB22_2667
; %bb.2662:
	s_cmp_gt_i32 s6, 27
	s_cbranch_scc0 .LBB22_2664
; %bb.2663:
	s_wait_xcnt 0x0
	v_cndmask_b32_e64 v1, 0, 1, s3
	s_mov_b32 s8, 0
	global_store_b32 v[2:3], v1, off
.LBB22_2664:
	s_and_not1_b32 vcc_lo, exec_lo, s8
	s_cbranch_vccnz .LBB22_2666
; %bb.2665:
	s_wait_xcnt 0x0
	v_cndmask_b32_e64 v1, 0, 1, s3
	global_store_b16 v[2:3], v1, off
.LBB22_2666:
	s_mov_b32 s8, 0
.LBB22_2667:
	s_delay_alu instid0(SALU_CYCLE_1)
	s_and_not1_b32 vcc_lo, exec_lo, s8
	s_cbranch_vccnz .LBB22_2675
; %bb.2668:
	s_wait_xcnt 0x0
	v_cndmask_b32_e64 v4, 0, 1.0, s3
	v_mov_b32_e32 v5, 0x80
	s_mov_b32 s8, exec_lo
	s_delay_alu instid0(VALU_DEP_2)
	v_cmpx_gt_u32_e32 0x43800000, v4
	s_cbranch_execz .LBB22_2674
; %bb.2669:
	s_mov_b32 s9, 0
	s_mov_b32 s10, exec_lo
                                        ; implicit-def: $vgpr1
	v_cmpx_lt_u32_e32 0x3bffffff, v4
	s_xor_b32 s10, exec_lo, s10
	s_cbranch_execz .LBB22_3009
; %bb.2670:
	v_bfe_u32 v1, v4, 20, 1
	s_mov_b32 s9, exec_lo
	s_delay_alu instid0(VALU_DEP_1) | instskip(NEXT) | instid1(VALU_DEP_1)
	v_add3_u32 v1, v4, v1, 0x487ffff
                                        ; implicit-def: $vgpr4
	v_lshrrev_b32_e32 v1, 20, v1
	s_and_not1_saveexec_b32 s10, s10
	s_cbranch_execnz .LBB22_3010
.LBB22_2671:
	s_or_b32 exec_lo, exec_lo, s10
	v_mov_b32_e32 v5, 0
	s_and_saveexec_b32 s10, s9
.LBB22_2672:
	v_mov_b32_e32 v5, v1
.LBB22_2673:
	s_or_b32 exec_lo, exec_lo, s10
.LBB22_2674:
	s_delay_alu instid0(SALU_CYCLE_1)
	s_or_b32 exec_lo, exec_lo, s8
	global_store_b8 v[2:3], v5, off
.LBB22_2675:
	s_mov_b32 s8, -1
.LBB22_2676:
	s_mov_b32 s9, 0
.LBB22_2677:
	s_delay_alu instid0(SALU_CYCLE_1)
	s_and_b32 vcc_lo, exec_lo, s9
	s_cbranch_vccz .LBB22_2717
; %bb.2678:
	s_cmp_gt_i32 s6, 22
	s_mov_b32 s7, -1
	s_cbranch_scc0 .LBB22_2710
; %bb.2679:
	s_cmp_lt_i32 s6, 24
	s_cbranch_scc1 .LBB22_2699
; %bb.2680:
	s_cmp_gt_i32 s6, 24
	s_cbranch_scc0 .LBB22_2688
; %bb.2681:
	s_wait_xcnt 0x0
	v_cndmask_b32_e64 v4, 0, 1.0, s3
	v_mov_b32_e32 v5, 0x80
	s_mov_b32 s7, exec_lo
	s_delay_alu instid0(VALU_DEP_2)
	v_cmpx_gt_u32_e32 0x47800000, v4
	s_cbranch_execz .LBB22_2687
; %bb.2682:
	s_mov_b32 s8, 0
	s_mov_b32 s9, exec_lo
                                        ; implicit-def: $vgpr1
	v_cmpx_lt_u32_e32 0x37ffffff, v4
	s_xor_b32 s9, exec_lo, s9
	s_cbranch_execz .LBB22_3012
; %bb.2683:
	v_bfe_u32 v1, v4, 21, 1
	s_mov_b32 s8, exec_lo
	s_delay_alu instid0(VALU_DEP_1) | instskip(NEXT) | instid1(VALU_DEP_1)
	v_add3_u32 v1, v4, v1, 0x88fffff
                                        ; implicit-def: $vgpr4
	v_lshrrev_b32_e32 v1, 21, v1
	s_and_not1_saveexec_b32 s9, s9
	s_cbranch_execnz .LBB22_3013
.LBB22_2684:
	s_or_b32 exec_lo, exec_lo, s9
	v_mov_b32_e32 v5, 0
	s_and_saveexec_b32 s9, s8
.LBB22_2685:
	v_mov_b32_e32 v5, v1
.LBB22_2686:
	s_or_b32 exec_lo, exec_lo, s9
.LBB22_2687:
	s_delay_alu instid0(SALU_CYCLE_1)
	s_or_b32 exec_lo, exec_lo, s7
	s_mov_b32 s7, 0
	global_store_b8 v[2:3], v5, off
.LBB22_2688:
	s_and_b32 vcc_lo, exec_lo, s7
	s_cbranch_vccz .LBB22_2698
; %bb.2689:
	s_wait_xcnt 0x0
	v_cndmask_b32_e64 v4, 0, 1.0, s3
	s_mov_b32 s7, exec_lo
                                        ; implicit-def: $vgpr1
	s_delay_alu instid0(VALU_DEP_1)
	v_cmpx_gt_u32_e32 0x43f00000, v4
	s_xor_b32 s7, exec_lo, s7
	s_cbranch_execz .LBB22_2695
; %bb.2690:
	s_mov_b32 s8, exec_lo
                                        ; implicit-def: $vgpr1
	v_cmpx_lt_u32_e32 0x3c7fffff, v4
	s_xor_b32 s8, exec_lo, s8
; %bb.2691:
	v_bfe_u32 v1, v4, 20, 1
	s_delay_alu instid0(VALU_DEP_1) | instskip(NEXT) | instid1(VALU_DEP_1)
	v_add3_u32 v1, v4, v1, 0x407ffff
	v_and_b32_e32 v4, 0xff00000, v1
	v_lshrrev_b32_e32 v1, 20, v1
	s_delay_alu instid0(VALU_DEP_2) | instskip(NEXT) | instid1(VALU_DEP_2)
	v_cmp_ne_u32_e32 vcc_lo, 0x7f00000, v4
                                        ; implicit-def: $vgpr4
	v_cndmask_b32_e32 v1, 0x7e, v1, vcc_lo
; %bb.2692:
	s_and_not1_saveexec_b32 s8, s8
; %bb.2693:
	v_add_f32_e32 v1, 0x46800000, v4
; %bb.2694:
	s_or_b32 exec_lo, exec_lo, s8
                                        ; implicit-def: $vgpr4
.LBB22_2695:
	s_and_not1_saveexec_b32 s7, s7
; %bb.2696:
	v_mov_b32_e32 v1, 0x7f
	v_cmp_lt_u32_e32 vcc_lo, 0x7f800000, v4
	s_delay_alu instid0(VALU_DEP_2)
	v_cndmask_b32_e32 v1, 0x7e, v1, vcc_lo
; %bb.2697:
	s_or_b32 exec_lo, exec_lo, s7
	global_store_b8 v[2:3], v1, off
.LBB22_2698:
	s_mov_b32 s7, 0
.LBB22_2699:
	s_delay_alu instid0(SALU_CYCLE_1)
	s_and_not1_b32 vcc_lo, exec_lo, s7
	s_cbranch_vccnz .LBB22_2709
; %bb.2700:
	s_wait_xcnt 0x0
	v_cndmask_b32_e64 v4, 0, 1.0, s3
	s_mov_b32 s7, exec_lo
                                        ; implicit-def: $vgpr1
	s_delay_alu instid0(VALU_DEP_1)
	v_cmpx_gt_u32_e32 0x47800000, v4
	s_xor_b32 s7, exec_lo, s7
	s_cbranch_execz .LBB22_2706
; %bb.2701:
	s_mov_b32 s8, exec_lo
                                        ; implicit-def: $vgpr1
	v_cmpx_lt_u32_e32 0x387fffff, v4
	s_xor_b32 s8, exec_lo, s8
; %bb.2702:
	v_bfe_u32 v1, v4, 21, 1
	s_delay_alu instid0(VALU_DEP_1) | instskip(NEXT) | instid1(VALU_DEP_1)
	v_add3_u32 v1, v4, v1, 0x80fffff
                                        ; implicit-def: $vgpr4
	v_lshrrev_b32_e32 v1, 21, v1
; %bb.2703:
	s_and_not1_saveexec_b32 s8, s8
; %bb.2704:
	v_add_f32_e32 v1, 0x43000000, v4
; %bb.2705:
	s_or_b32 exec_lo, exec_lo, s8
                                        ; implicit-def: $vgpr4
.LBB22_2706:
	s_and_not1_saveexec_b32 s7, s7
; %bb.2707:
	v_mov_b32_e32 v1, 0x7f
	v_cmp_lt_u32_e32 vcc_lo, 0x7f800000, v4
	s_delay_alu instid0(VALU_DEP_2)
	v_cndmask_b32_e32 v1, 0x7c, v1, vcc_lo
; %bb.2708:
	s_or_b32 exec_lo, exec_lo, s7
	global_store_b8 v[2:3], v1, off
.LBB22_2709:
	s_mov_b32 s7, 0
	s_mov_b32 s8, -1
.LBB22_2710:
	s_and_not1_b32 vcc_lo, exec_lo, s7
	s_mov_b32 s7, 0
	s_cbranch_vccnz .LBB22_2717
; %bb.2711:
	s_cmp_gt_i32 s6, 14
	s_mov_b32 s7, -1
	s_cbranch_scc0 .LBB22_2715
; %bb.2712:
	s_cmp_eq_u32 s6, 15
	s_mov_b32 s0, -1
	s_cbranch_scc0 .LBB22_2714
; %bb.2713:
	s_wait_xcnt 0x0
	v_cndmask_b32_e64 v1, 0, 1.0, s3
	s_mov_b32 s0, 0
	s_mov_b32 s8, -1
	s_delay_alu instid0(VALU_DEP_1) | instskip(NEXT) | instid1(VALU_DEP_1)
	v_bfe_u32 v4, v1, 16, 1
	v_add3_u32 v1, v1, v4, 0x7fff
	global_store_d16_hi_b16 v[2:3], v1, off
.LBB22_2714:
	s_mov_b32 s7, 0
.LBB22_2715:
	s_delay_alu instid0(SALU_CYCLE_1)
	s_and_b32 vcc_lo, exec_lo, s7
	s_mov_b32 s7, 0
	s_cbranch_vccz .LBB22_2717
; %bb.2716:
	s_cmp_lg_u32 s6, 11
	s_mov_b32 s7, -1
	s_cselect_b32 s0, -1, 0
.LBB22_2717:
	s_delay_alu instid0(SALU_CYCLE_1)
	s_and_b32 vcc_lo, exec_lo, s0
	s_cbranch_vccnz .LBB22_3011
; %bb.2718:
	s_and_not1_b32 vcc_lo, exec_lo, s7
	s_cbranch_vccnz .LBB22_2720
.LBB22_2719:
	s_wait_xcnt 0x0
	v_cndmask_b32_e64 v1, 0, 1, s3
	s_mov_b32 s8, -1
	global_store_b8 v[2:3], v1, off
.LBB22_2720:
	s_mov_b32 s0, 0
	s_branch .LBB22_2722
.LBB22_2721:
	s_mov_b32 s0, -1
	s_mov_b32 s8, 0
.LBB22_2722:
	s_and_b32 vcc_lo, exec_lo, s0
	s_cbranch_vccz .LBB22_2761
; %bb.2723:
	s_and_b32 s0, 0xffff, s17
	s_mov_b32 s6, -1
	s_cmp_lt_i32 s0, 5
	s_cbranch_scc1 .LBB22_2744
; %bb.2724:
	s_cmp_lt_i32 s0, 8
	s_cbranch_scc1 .LBB22_2734
; %bb.2725:
	;; [unrolled: 3-line block ×3, first 2 shown]
	s_cmp_gt_i32 s0, 9
	s_cbranch_scc0 .LBB22_2728
; %bb.2727:
	s_wait_xcnt 0x0
	v_cndmask_b32_e64 v1, 0, 1, s3
	v_mov_b32_e32 v18, 0
	s_mov_b32 s6, 0
	s_delay_alu instid0(VALU_DEP_2) | instskip(NEXT) | instid1(VALU_DEP_2)
	v_cvt_f64_u32_e32 v[16:17], v1
	v_mov_b32_e32 v19, v18
	global_store_b128 v[2:3], v[16:19], off
.LBB22_2728:
	s_and_not1_b32 vcc_lo, exec_lo, s6
	s_cbranch_vccnz .LBB22_2730
; %bb.2729:
	s_wait_xcnt 0x0
	v_cndmask_b32_e64 v4, 0, 1.0, s3
	v_mov_b32_e32 v5, 0
	global_store_b64 v[2:3], v[4:5], off
.LBB22_2730:
	s_mov_b32 s6, 0
.LBB22_2731:
	s_delay_alu instid0(SALU_CYCLE_1)
	s_and_not1_b32 vcc_lo, exec_lo, s6
	s_cbranch_vccnz .LBB22_2733
; %bb.2732:
	s_wait_xcnt 0x0
	v_cndmask_b32_e64 v1, 0, 1.0, s3
	s_delay_alu instid0(VALU_DEP_1) | instskip(NEXT) | instid1(VALU_DEP_1)
	v_cvt_f16_f32_e32 v1, v1
	v_and_b32_e32 v1, 0xffff, v1
	global_store_b32 v[2:3], v1, off
.LBB22_2733:
	s_mov_b32 s6, 0
.LBB22_2734:
	s_delay_alu instid0(SALU_CYCLE_1)
	s_and_not1_b32 vcc_lo, exec_lo, s6
	s_cbranch_vccnz .LBB22_2743
; %bb.2735:
	s_cmp_lt_i32 s0, 6
	s_mov_b32 s6, -1
	s_cbranch_scc1 .LBB22_2741
; %bb.2736:
	s_cmp_gt_i32 s0, 6
	s_cbranch_scc0 .LBB22_2738
; %bb.2737:
	s_wait_xcnt 0x0
	v_cndmask_b32_e64 v1, 0, 1, s3
	s_mov_b32 s6, 0
	s_delay_alu instid0(VALU_DEP_1)
	v_cvt_f64_u32_e32 v[4:5], v1
	global_store_b64 v[2:3], v[4:5], off
.LBB22_2738:
	s_and_not1_b32 vcc_lo, exec_lo, s6
	s_cbranch_vccnz .LBB22_2740
; %bb.2739:
	s_wait_xcnt 0x0
	v_cndmask_b32_e64 v1, 0, 1.0, s3
	global_store_b32 v[2:3], v1, off
.LBB22_2740:
	s_mov_b32 s6, 0
.LBB22_2741:
	s_delay_alu instid0(SALU_CYCLE_1)
	s_and_not1_b32 vcc_lo, exec_lo, s6
	s_cbranch_vccnz .LBB22_2743
; %bb.2742:
	s_wait_xcnt 0x0
	v_cndmask_b32_e64 v1, 0, 1.0, s3
	s_delay_alu instid0(VALU_DEP_1)
	v_cvt_f16_f32_e32 v1, v1
	global_store_b16 v[2:3], v1, off
.LBB22_2743:
	s_mov_b32 s6, 0
.LBB22_2744:
	s_delay_alu instid0(SALU_CYCLE_1)
	s_and_not1_b32 vcc_lo, exec_lo, s6
	s_cbranch_vccnz .LBB22_2760
; %bb.2745:
	s_cmp_lt_i32 s0, 2
	s_mov_b32 s6, -1
	s_cbranch_scc1 .LBB22_2755
; %bb.2746:
	s_cmp_lt_i32 s0, 3
	s_cbranch_scc1 .LBB22_2752
; %bb.2747:
	s_cmp_gt_i32 s0, 3
	s_cbranch_scc0 .LBB22_2749
; %bb.2748:
	s_mov_b32 s6, 0
	s_wait_xcnt 0x0
	v_cndmask_b32_e64 v4, 0, 1, s3
	v_mov_b32_e32 v5, s6
	global_store_b64 v[2:3], v[4:5], off
.LBB22_2749:
	s_and_not1_b32 vcc_lo, exec_lo, s6
	s_cbranch_vccnz .LBB22_2751
; %bb.2750:
	s_wait_xcnt 0x0
	v_cndmask_b32_e64 v1, 0, 1, s3
	global_store_b32 v[2:3], v1, off
.LBB22_2751:
	s_mov_b32 s6, 0
.LBB22_2752:
	s_delay_alu instid0(SALU_CYCLE_1)
	s_and_not1_b32 vcc_lo, exec_lo, s6
	s_cbranch_vccnz .LBB22_2754
; %bb.2753:
	s_wait_xcnt 0x0
	v_cndmask_b32_e64 v1, 0, 1, s3
	global_store_b16 v[2:3], v1, off
.LBB22_2754:
	s_mov_b32 s6, 0
.LBB22_2755:
	s_delay_alu instid0(SALU_CYCLE_1)
	s_and_not1_b32 vcc_lo, exec_lo, s6
	s_cbranch_vccnz .LBB22_2760
; %bb.2756:
	s_wait_xcnt 0x0
	v_cndmask_b32_e64 v1, 0, 1, s3
	s_cmp_gt_i32 s0, 0
	s_mov_b32 s0, -1
	s_cbranch_scc0 .LBB22_2758
; %bb.2757:
	s_mov_b32 s0, 0
	global_store_b8 v[2:3], v1, off
.LBB22_2758:
	s_and_not1_b32 vcc_lo, exec_lo, s0
	s_cbranch_vccnz .LBB22_2760
; %bb.2759:
	global_store_b8 v[2:3], v1, off
.LBB22_2760:
	s_mov_b32 s8, -1
.LBB22_2761:
	s_delay_alu instid0(SALU_CYCLE_1)
	s_and_not1_b32 vcc_lo, exec_lo, s8
	s_cbranch_vccnz .LBB22_2957
; %bb.2762:
	v_add_nc_u32_e32 v0, s2, v0
	s_wait_xcnt 0x0
	v_and_b32_e32 v2, 0xff, v12
	v_and_b32_e32 v3, 0xff, v6
	s_delay_alu instid0(VALU_DEP_3) | instskip(NEXT) | instid1(VALU_DEP_2)
	v_ashrrev_i32_e32 v1, 31, v0
	v_cmp_ne_u16_e32 vcc_lo, v3, v2
	s_delay_alu instid0(VALU_DEP_2)
	v_add_nc_u64_e32 v[2:3], s[4:5], v[0:1]
	s_xor_b32 s3, s1, vcc_lo
	s_cmp_lt_i32 s17, 11
	s_cbranch_scc1 .LBB22_2840
; %bb.2763:
	s_and_b32 s6, 0xffff, s17
	s_mov_b32 s9, -1
	s_mov_b32 s7, 0
	s_cmp_gt_i32 s6, 25
	s_mov_b32 s8, 0
	s_mov_b32 s0, 0
	s_cbranch_scc0 .LBB22_2796
; %bb.2764:
	s_cmp_gt_i32 s6, 28
	s_cbranch_scc0 .LBB22_2779
; %bb.2765:
	s_cmp_gt_i32 s6, 43
	;; [unrolled: 3-line block ×3, first 2 shown]
	s_cbranch_scc0 .LBB22_2769
; %bb.2767:
	s_mov_b32 s0, -1
	s_mov_b32 s9, 0
	s_cmp_eq_u32 s6, 46
	s_cbranch_scc0 .LBB22_2769
; %bb.2768:
	v_cndmask_b32_e64 v1, 0, 1.0, s3
	s_mov_b32 s0, 0
	s_mov_b32 s8, -1
	s_delay_alu instid0(VALU_DEP_1) | instskip(NEXT) | instid1(VALU_DEP_1)
	v_bfe_u32 v4, v1, 16, 1
	v_add3_u32 v1, v1, v4, 0x7fff
	s_delay_alu instid0(VALU_DEP_1)
	v_lshrrev_b32_e32 v1, 16, v1
	global_store_b32 v[2:3], v1, off
.LBB22_2769:
	s_and_b32 vcc_lo, exec_lo, s9
	s_cbranch_vccz .LBB22_2774
; %bb.2770:
	s_cmp_eq_u32 s6, 44
	s_mov_b32 s0, -1
	s_cbranch_scc0 .LBB22_2774
; %bb.2771:
	v_cndmask_b32_e64 v5, 0, 1.0, s3
	s_mov_b32 s8, exec_lo
	s_wait_xcnt 0x0
	s_delay_alu instid0(VALU_DEP_1) | instskip(NEXT) | instid1(VALU_DEP_1)
	v_dual_mov_b32 v4, 0xff :: v_dual_lshrrev_b32 v1, 23, v5
	v_cmpx_ne_u32_e32 0xff, v1
; %bb.2772:
	v_and_b32_e32 v4, 0x400000, v5
	v_and_or_b32 v5, 0x3fffff, v5, v1
	s_delay_alu instid0(VALU_DEP_2) | instskip(NEXT) | instid1(VALU_DEP_2)
	v_cmp_ne_u32_e32 vcc_lo, 0, v4
	v_cmp_ne_u32_e64 s0, 0, v5
	s_and_b32 s0, vcc_lo, s0
	s_delay_alu instid0(SALU_CYCLE_1) | instskip(NEXT) | instid1(VALU_DEP_1)
	v_cndmask_b32_e64 v4, 0, 1, s0
	v_add_nc_u32_e32 v4, v1, v4
; %bb.2773:
	s_or_b32 exec_lo, exec_lo, s8
	s_mov_b32 s0, 0
	s_mov_b32 s8, -1
	global_store_b8 v[2:3], v4, off
.LBB22_2774:
	s_mov_b32 s9, 0
.LBB22_2775:
	s_delay_alu instid0(SALU_CYCLE_1)
	s_and_b32 vcc_lo, exec_lo, s9
	s_cbranch_vccz .LBB22_2778
; %bb.2776:
	s_cmp_eq_u32 s6, 29
	s_mov_b32 s0, -1
	s_cbranch_scc0 .LBB22_2778
; %bb.2777:
	s_mov_b32 s0, 0
	s_wait_xcnt 0x0
	v_cndmask_b32_e64 v4, 0, 1, s3
	v_mov_b32_e32 v5, s0
	s_mov_b32 s8, -1
	global_store_b64 v[2:3], v[4:5], off
.LBB22_2778:
	s_mov_b32 s9, 0
.LBB22_2779:
	s_delay_alu instid0(SALU_CYCLE_1)
	s_and_b32 vcc_lo, exec_lo, s9
	s_cbranch_vccz .LBB22_2795
; %bb.2780:
	s_cmp_lt_i32 s6, 27
	s_mov_b32 s8, -1
	s_cbranch_scc1 .LBB22_2786
; %bb.2781:
	s_cmp_gt_i32 s6, 27
	s_cbranch_scc0 .LBB22_2783
; %bb.2782:
	s_wait_xcnt 0x0
	v_cndmask_b32_e64 v1, 0, 1, s3
	s_mov_b32 s8, 0
	global_store_b32 v[2:3], v1, off
.LBB22_2783:
	s_and_not1_b32 vcc_lo, exec_lo, s8
	s_cbranch_vccnz .LBB22_2785
; %bb.2784:
	s_wait_xcnt 0x0
	v_cndmask_b32_e64 v1, 0, 1, s3
	global_store_b16 v[2:3], v1, off
.LBB22_2785:
	s_mov_b32 s8, 0
.LBB22_2786:
	s_delay_alu instid0(SALU_CYCLE_1)
	s_and_not1_b32 vcc_lo, exec_lo, s8
	s_cbranch_vccnz .LBB22_2794
; %bb.2787:
	s_wait_xcnt 0x0
	v_cndmask_b32_e64 v4, 0, 1.0, s3
	v_mov_b32_e32 v5, 0x80
	s_mov_b32 s8, exec_lo
	s_delay_alu instid0(VALU_DEP_2)
	v_cmpx_gt_u32_e32 0x43800000, v4
	s_cbranch_execz .LBB22_2793
; %bb.2788:
	s_mov_b32 s9, 0
	s_mov_b32 s10, exec_lo
                                        ; implicit-def: $vgpr1
	v_cmpx_lt_u32_e32 0x3bffffff, v4
	s_xor_b32 s10, exec_lo, s10
	s_cbranch_execz .LBB22_3014
; %bb.2789:
	v_bfe_u32 v1, v4, 20, 1
	s_mov_b32 s9, exec_lo
	s_delay_alu instid0(VALU_DEP_1) | instskip(NEXT) | instid1(VALU_DEP_1)
	v_add3_u32 v1, v4, v1, 0x487ffff
                                        ; implicit-def: $vgpr4
	v_lshrrev_b32_e32 v1, 20, v1
	s_and_not1_saveexec_b32 s10, s10
	s_cbranch_execnz .LBB22_3015
.LBB22_2790:
	s_or_b32 exec_lo, exec_lo, s10
	v_mov_b32_e32 v5, 0
	s_and_saveexec_b32 s10, s9
.LBB22_2791:
	v_mov_b32_e32 v5, v1
.LBB22_2792:
	s_or_b32 exec_lo, exec_lo, s10
.LBB22_2793:
	s_delay_alu instid0(SALU_CYCLE_1)
	s_or_b32 exec_lo, exec_lo, s8
	global_store_b8 v[2:3], v5, off
.LBB22_2794:
	s_mov_b32 s8, -1
.LBB22_2795:
	s_mov_b32 s9, 0
.LBB22_2796:
	s_delay_alu instid0(SALU_CYCLE_1)
	s_and_b32 vcc_lo, exec_lo, s9
	s_cbranch_vccz .LBB22_2836
; %bb.2797:
	s_cmp_gt_i32 s6, 22
	s_mov_b32 s7, -1
	s_cbranch_scc0 .LBB22_2829
; %bb.2798:
	s_cmp_lt_i32 s6, 24
	s_cbranch_scc1 .LBB22_2818
; %bb.2799:
	s_cmp_gt_i32 s6, 24
	s_cbranch_scc0 .LBB22_2807
; %bb.2800:
	s_wait_xcnt 0x0
	v_cndmask_b32_e64 v4, 0, 1.0, s3
	v_mov_b32_e32 v5, 0x80
	s_mov_b32 s7, exec_lo
	s_delay_alu instid0(VALU_DEP_2)
	v_cmpx_gt_u32_e32 0x47800000, v4
	s_cbranch_execz .LBB22_2806
; %bb.2801:
	s_mov_b32 s8, 0
	s_mov_b32 s9, exec_lo
                                        ; implicit-def: $vgpr1
	v_cmpx_lt_u32_e32 0x37ffffff, v4
	s_xor_b32 s9, exec_lo, s9
	s_cbranch_execz .LBB22_3017
; %bb.2802:
	v_bfe_u32 v1, v4, 21, 1
	s_mov_b32 s8, exec_lo
	s_delay_alu instid0(VALU_DEP_1) | instskip(NEXT) | instid1(VALU_DEP_1)
	v_add3_u32 v1, v4, v1, 0x88fffff
                                        ; implicit-def: $vgpr4
	v_lshrrev_b32_e32 v1, 21, v1
	s_and_not1_saveexec_b32 s9, s9
	s_cbranch_execnz .LBB22_3018
.LBB22_2803:
	s_or_b32 exec_lo, exec_lo, s9
	v_mov_b32_e32 v5, 0
	s_and_saveexec_b32 s9, s8
.LBB22_2804:
	v_mov_b32_e32 v5, v1
.LBB22_2805:
	s_or_b32 exec_lo, exec_lo, s9
.LBB22_2806:
	s_delay_alu instid0(SALU_CYCLE_1)
	s_or_b32 exec_lo, exec_lo, s7
	s_mov_b32 s7, 0
	global_store_b8 v[2:3], v5, off
.LBB22_2807:
	s_and_b32 vcc_lo, exec_lo, s7
	s_cbranch_vccz .LBB22_2817
; %bb.2808:
	s_wait_xcnt 0x0
	v_cndmask_b32_e64 v4, 0, 1.0, s3
	s_mov_b32 s7, exec_lo
                                        ; implicit-def: $vgpr1
	s_delay_alu instid0(VALU_DEP_1)
	v_cmpx_gt_u32_e32 0x43f00000, v4
	s_xor_b32 s7, exec_lo, s7
	s_cbranch_execz .LBB22_2814
; %bb.2809:
	s_mov_b32 s8, exec_lo
                                        ; implicit-def: $vgpr1
	v_cmpx_lt_u32_e32 0x3c7fffff, v4
	s_xor_b32 s8, exec_lo, s8
; %bb.2810:
	v_bfe_u32 v1, v4, 20, 1
	s_delay_alu instid0(VALU_DEP_1) | instskip(NEXT) | instid1(VALU_DEP_1)
	v_add3_u32 v1, v4, v1, 0x407ffff
	v_and_b32_e32 v4, 0xff00000, v1
	v_lshrrev_b32_e32 v1, 20, v1
	s_delay_alu instid0(VALU_DEP_2) | instskip(NEXT) | instid1(VALU_DEP_2)
	v_cmp_ne_u32_e32 vcc_lo, 0x7f00000, v4
                                        ; implicit-def: $vgpr4
	v_cndmask_b32_e32 v1, 0x7e, v1, vcc_lo
; %bb.2811:
	s_and_not1_saveexec_b32 s8, s8
; %bb.2812:
	v_add_f32_e32 v1, 0x46800000, v4
; %bb.2813:
	s_or_b32 exec_lo, exec_lo, s8
                                        ; implicit-def: $vgpr4
.LBB22_2814:
	s_and_not1_saveexec_b32 s7, s7
; %bb.2815:
	v_mov_b32_e32 v1, 0x7f
	v_cmp_lt_u32_e32 vcc_lo, 0x7f800000, v4
	s_delay_alu instid0(VALU_DEP_2)
	v_cndmask_b32_e32 v1, 0x7e, v1, vcc_lo
; %bb.2816:
	s_or_b32 exec_lo, exec_lo, s7
	global_store_b8 v[2:3], v1, off
.LBB22_2817:
	s_mov_b32 s7, 0
.LBB22_2818:
	s_delay_alu instid0(SALU_CYCLE_1)
	s_and_not1_b32 vcc_lo, exec_lo, s7
	s_cbranch_vccnz .LBB22_2828
; %bb.2819:
	s_wait_xcnt 0x0
	v_cndmask_b32_e64 v4, 0, 1.0, s3
	s_mov_b32 s7, exec_lo
                                        ; implicit-def: $vgpr1
	s_delay_alu instid0(VALU_DEP_1)
	v_cmpx_gt_u32_e32 0x47800000, v4
	s_xor_b32 s7, exec_lo, s7
	s_cbranch_execz .LBB22_2825
; %bb.2820:
	s_mov_b32 s8, exec_lo
                                        ; implicit-def: $vgpr1
	v_cmpx_lt_u32_e32 0x387fffff, v4
	s_xor_b32 s8, exec_lo, s8
; %bb.2821:
	v_bfe_u32 v1, v4, 21, 1
	s_delay_alu instid0(VALU_DEP_1) | instskip(NEXT) | instid1(VALU_DEP_1)
	v_add3_u32 v1, v4, v1, 0x80fffff
                                        ; implicit-def: $vgpr4
	v_lshrrev_b32_e32 v1, 21, v1
; %bb.2822:
	s_and_not1_saveexec_b32 s8, s8
; %bb.2823:
	v_add_f32_e32 v1, 0x43000000, v4
; %bb.2824:
	s_or_b32 exec_lo, exec_lo, s8
                                        ; implicit-def: $vgpr4
.LBB22_2825:
	s_and_not1_saveexec_b32 s7, s7
; %bb.2826:
	v_mov_b32_e32 v1, 0x7f
	v_cmp_lt_u32_e32 vcc_lo, 0x7f800000, v4
	s_delay_alu instid0(VALU_DEP_2)
	v_cndmask_b32_e32 v1, 0x7c, v1, vcc_lo
; %bb.2827:
	s_or_b32 exec_lo, exec_lo, s7
	global_store_b8 v[2:3], v1, off
.LBB22_2828:
	s_mov_b32 s7, 0
	s_mov_b32 s8, -1
.LBB22_2829:
	s_and_not1_b32 vcc_lo, exec_lo, s7
	s_mov_b32 s7, 0
	s_cbranch_vccnz .LBB22_2836
; %bb.2830:
	s_cmp_gt_i32 s6, 14
	s_mov_b32 s7, -1
	s_cbranch_scc0 .LBB22_2834
; %bb.2831:
	s_cmp_eq_u32 s6, 15
	s_mov_b32 s0, -1
	s_cbranch_scc0 .LBB22_2833
; %bb.2832:
	s_wait_xcnt 0x0
	v_cndmask_b32_e64 v1, 0, 1.0, s3
	s_mov_b32 s0, 0
	s_mov_b32 s8, -1
	s_delay_alu instid0(VALU_DEP_1) | instskip(NEXT) | instid1(VALU_DEP_1)
	v_bfe_u32 v4, v1, 16, 1
	v_add3_u32 v1, v1, v4, 0x7fff
	global_store_d16_hi_b16 v[2:3], v1, off
.LBB22_2833:
	s_mov_b32 s7, 0
.LBB22_2834:
	s_delay_alu instid0(SALU_CYCLE_1)
	s_and_b32 vcc_lo, exec_lo, s7
	s_mov_b32 s7, 0
	s_cbranch_vccz .LBB22_2836
; %bb.2835:
	s_cmp_lg_u32 s6, 11
	s_mov_b32 s7, -1
	s_cselect_b32 s0, -1, 0
.LBB22_2836:
	s_delay_alu instid0(SALU_CYCLE_1)
	s_and_b32 vcc_lo, exec_lo, s0
	s_cbranch_vccnz .LBB22_3016
; %bb.2837:
	s_and_not1_b32 vcc_lo, exec_lo, s7
	s_cbranch_vccnz .LBB22_2839
.LBB22_2838:
	s_wait_xcnt 0x0
	v_cndmask_b32_e64 v1, 0, 1, s3
	s_mov_b32 s8, -1
	global_store_b8 v[2:3], v1, off
.LBB22_2839:
	s_mov_b32 s0, 0
	s_branch .LBB22_2841
.LBB22_2840:
	s_mov_b32 s0, -1
	s_mov_b32 s8, 0
.LBB22_2841:
	s_and_b32 vcc_lo, exec_lo, s0
	s_cbranch_vccz .LBB22_2880
; %bb.2842:
	s_and_b32 s0, 0xffff, s17
	s_mov_b32 s6, -1
	s_cmp_lt_i32 s0, 5
	s_cbranch_scc1 .LBB22_2863
; %bb.2843:
	s_cmp_lt_i32 s0, 8
	s_cbranch_scc1 .LBB22_2853
; %bb.2844:
	;; [unrolled: 3-line block ×3, first 2 shown]
	s_cmp_gt_i32 s0, 9
	s_cbranch_scc0 .LBB22_2847
; %bb.2846:
	s_wait_xcnt 0x0
	v_cndmask_b32_e64 v1, 0, 1, s3
	v_mov_b32_e32 v6, 0
	s_mov_b32 s6, 0
	s_delay_alu instid0(VALU_DEP_2) | instskip(NEXT) | instid1(VALU_DEP_2)
	v_cvt_f64_u32_e32 v[4:5], v1
	v_mov_b32_e32 v7, v6
	global_store_b128 v[2:3], v[4:7], off
.LBB22_2847:
	s_and_not1_b32 vcc_lo, exec_lo, s6
	s_cbranch_vccnz .LBB22_2849
; %bb.2848:
	s_wait_xcnt 0x0
	v_cndmask_b32_e64 v4, 0, 1.0, s3
	v_mov_b32_e32 v5, 0
	global_store_b64 v[2:3], v[4:5], off
.LBB22_2849:
	s_mov_b32 s6, 0
.LBB22_2850:
	s_delay_alu instid0(SALU_CYCLE_1)
	s_and_not1_b32 vcc_lo, exec_lo, s6
	s_cbranch_vccnz .LBB22_2852
; %bb.2851:
	s_wait_xcnt 0x0
	v_cndmask_b32_e64 v1, 0, 1.0, s3
	s_delay_alu instid0(VALU_DEP_1) | instskip(NEXT) | instid1(VALU_DEP_1)
	v_cvt_f16_f32_e32 v1, v1
	v_and_b32_e32 v1, 0xffff, v1
	global_store_b32 v[2:3], v1, off
.LBB22_2852:
	s_mov_b32 s6, 0
.LBB22_2853:
	s_delay_alu instid0(SALU_CYCLE_1)
	s_and_not1_b32 vcc_lo, exec_lo, s6
	s_cbranch_vccnz .LBB22_2862
; %bb.2854:
	s_cmp_lt_i32 s0, 6
	s_mov_b32 s6, -1
	s_cbranch_scc1 .LBB22_2860
; %bb.2855:
	s_cmp_gt_i32 s0, 6
	s_cbranch_scc0 .LBB22_2857
; %bb.2856:
	s_wait_xcnt 0x0
	v_cndmask_b32_e64 v1, 0, 1, s3
	s_mov_b32 s6, 0
	s_delay_alu instid0(VALU_DEP_1)
	v_cvt_f64_u32_e32 v[4:5], v1
	global_store_b64 v[2:3], v[4:5], off
.LBB22_2857:
	s_and_not1_b32 vcc_lo, exec_lo, s6
	s_cbranch_vccnz .LBB22_2859
; %bb.2858:
	s_wait_xcnt 0x0
	v_cndmask_b32_e64 v1, 0, 1.0, s3
	global_store_b32 v[2:3], v1, off
.LBB22_2859:
	s_mov_b32 s6, 0
.LBB22_2860:
	s_delay_alu instid0(SALU_CYCLE_1)
	s_and_not1_b32 vcc_lo, exec_lo, s6
	s_cbranch_vccnz .LBB22_2862
; %bb.2861:
	s_wait_xcnt 0x0
	v_cndmask_b32_e64 v1, 0, 1.0, s3
	s_delay_alu instid0(VALU_DEP_1)
	v_cvt_f16_f32_e32 v1, v1
	global_store_b16 v[2:3], v1, off
.LBB22_2862:
	s_mov_b32 s6, 0
.LBB22_2863:
	s_delay_alu instid0(SALU_CYCLE_1)
	s_and_not1_b32 vcc_lo, exec_lo, s6
	s_cbranch_vccnz .LBB22_2879
; %bb.2864:
	s_cmp_lt_i32 s0, 2
	s_mov_b32 s6, -1
	s_cbranch_scc1 .LBB22_2874
; %bb.2865:
	s_cmp_lt_i32 s0, 3
	s_cbranch_scc1 .LBB22_2871
; %bb.2866:
	s_cmp_gt_i32 s0, 3
	s_cbranch_scc0 .LBB22_2868
; %bb.2867:
	s_mov_b32 s6, 0
	s_wait_xcnt 0x0
	v_cndmask_b32_e64 v4, 0, 1, s3
	v_mov_b32_e32 v5, s6
	global_store_b64 v[2:3], v[4:5], off
.LBB22_2868:
	s_and_not1_b32 vcc_lo, exec_lo, s6
	s_cbranch_vccnz .LBB22_2870
; %bb.2869:
	s_wait_xcnt 0x0
	v_cndmask_b32_e64 v1, 0, 1, s3
	global_store_b32 v[2:3], v1, off
.LBB22_2870:
	s_mov_b32 s6, 0
.LBB22_2871:
	s_delay_alu instid0(SALU_CYCLE_1)
	s_and_not1_b32 vcc_lo, exec_lo, s6
	s_cbranch_vccnz .LBB22_2873
; %bb.2872:
	s_wait_xcnt 0x0
	v_cndmask_b32_e64 v1, 0, 1, s3
	global_store_b16 v[2:3], v1, off
.LBB22_2873:
	s_mov_b32 s6, 0
.LBB22_2874:
	s_delay_alu instid0(SALU_CYCLE_1)
	s_and_not1_b32 vcc_lo, exec_lo, s6
	s_cbranch_vccnz .LBB22_2879
; %bb.2875:
	s_wait_xcnt 0x0
	v_cndmask_b32_e64 v1, 0, 1, s3
	s_cmp_gt_i32 s0, 0
	s_mov_b32 s0, -1
	s_cbranch_scc0 .LBB22_2877
; %bb.2876:
	s_mov_b32 s0, 0
	global_store_b8 v[2:3], v1, off
.LBB22_2877:
	s_and_not1_b32 vcc_lo, exec_lo, s0
	s_cbranch_vccnz .LBB22_2879
; %bb.2878:
	global_store_b8 v[2:3], v1, off
.LBB22_2879:
	s_mov_b32 s8, -1
.LBB22_2880:
	s_delay_alu instid0(SALU_CYCLE_1)
	s_and_not1_b32 vcc_lo, exec_lo, s8
	s_cbranch_vccnz .LBB22_2957
; %bb.2881:
	v_add_nc_u32_e32 v0, s2, v0
	s_wait_xcnt 0x0
	v_and_b32_e32 v2, 0xff, v14
	v_and_b32_e32 v3, 0xff, v10
	s_delay_alu instid0(VALU_DEP_3) | instskip(NEXT) | instid1(VALU_DEP_2)
	v_ashrrev_i32_e32 v1, 31, v0
	v_cmp_ne_u16_e32 vcc_lo, v3, v2
	s_delay_alu instid0(VALU_DEP_2)
	v_add_nc_u64_e32 v[0:1], s[4:5], v[0:1]
	s_xor_b32 s18, s1, vcc_lo
	s_cmp_lt_i32 s17, 11
	s_cbranch_scc1 .LBB22_3002
; %bb.2882:
	s_and_b32 s1, 0xffff, s17
	s_mov_b32 s3, -1
	s_mov_b32 s2, 0
	s_cmp_gt_i32 s1, 25
	s_mov_b32 s0, 0
	s_cbranch_scc0 .LBB22_2915
; %bb.2883:
	s_cmp_gt_i32 s1, 28
	s_cbranch_scc0 .LBB22_2899
; %bb.2884:
	s_cmp_gt_i32 s1, 43
	;; [unrolled: 3-line block ×3, first 2 shown]
	s_cbranch_scc0 .LBB22_2889
; %bb.2886:
	s_cmp_eq_u32 s1, 46
	s_mov_b32 s0, -1
	s_cbranch_scc0 .LBB22_2888
; %bb.2887:
	v_cndmask_b32_e64 v2, 0, 1.0, s18
	s_mov_b32 s0, 0
	s_delay_alu instid0(VALU_DEP_1) | instskip(NEXT) | instid1(VALU_DEP_1)
	v_bfe_u32 v3, v2, 16, 1
	v_add3_u32 v2, v2, v3, 0x7fff
	s_delay_alu instid0(VALU_DEP_1)
	v_lshrrev_b32_e32 v2, 16, v2
	global_store_b32 v[0:1], v2, off
.LBB22_2888:
	s_mov_b32 s3, 0
.LBB22_2889:
	s_delay_alu instid0(SALU_CYCLE_1)
	s_and_b32 vcc_lo, exec_lo, s3
	s_cbranch_vccz .LBB22_2894
; %bb.2890:
	s_cmp_eq_u32 s1, 44
	s_mov_b32 s0, -1
	s_cbranch_scc0 .LBB22_2894
; %bb.2891:
	v_cndmask_b32_e64 v4, 0, 1.0, s18
	s_mov_b32 s3, exec_lo
	s_wait_xcnt 0x0
	s_delay_alu instid0(VALU_DEP_1) | instskip(NEXT) | instid1(VALU_DEP_1)
	v_dual_mov_b32 v3, 0xff :: v_dual_lshrrev_b32 v2, 23, v4
	v_cmpx_ne_u32_e32 0xff, v2
; %bb.2892:
	v_and_b32_e32 v3, 0x400000, v4
	v_and_or_b32 v4, 0x3fffff, v4, v2
	s_delay_alu instid0(VALU_DEP_2) | instskip(NEXT) | instid1(VALU_DEP_2)
	v_cmp_ne_u32_e32 vcc_lo, 0, v3
	v_cmp_ne_u32_e64 s0, 0, v4
	s_and_b32 s0, vcc_lo, s0
	s_delay_alu instid0(SALU_CYCLE_1) | instskip(NEXT) | instid1(VALU_DEP_1)
	v_cndmask_b32_e64 v3, 0, 1, s0
	v_add_nc_u32_e32 v3, v2, v3
; %bb.2893:
	s_or_b32 exec_lo, exec_lo, s3
	s_mov_b32 s0, 0
	global_store_b8 v[0:1], v3, off
.LBB22_2894:
	s_mov_b32 s3, 0
.LBB22_2895:
	s_delay_alu instid0(SALU_CYCLE_1)
	s_and_b32 vcc_lo, exec_lo, s3
	s_cbranch_vccz .LBB22_2898
; %bb.2896:
	s_cmp_eq_u32 s1, 29
	s_mov_b32 s0, -1
	s_cbranch_scc0 .LBB22_2898
; %bb.2897:
	s_mov_b32 s0, 0
	s_wait_xcnt 0x0
	v_cndmask_b32_e64 v2, 0, 1, s18
	v_mov_b32_e32 v3, s0
	global_store_b64 v[0:1], v[2:3], off
.LBB22_2898:
	s_mov_b32 s3, 0
.LBB22_2899:
	s_delay_alu instid0(SALU_CYCLE_1)
	s_and_b32 vcc_lo, exec_lo, s3
	s_cbranch_vccz .LBB22_2914
; %bb.2900:
	s_cmp_lt_i32 s1, 27
	s_mov_b32 s3, -1
	s_cbranch_scc1 .LBB22_2906
; %bb.2901:
	s_wait_xcnt 0x0
	v_cndmask_b32_e64 v2, 0, 1, s18
	s_cmp_gt_i32 s1, 27
	s_cbranch_scc0 .LBB22_2903
; %bb.2902:
	s_mov_b32 s3, 0
	global_store_b32 v[0:1], v2, off
.LBB22_2903:
	s_and_not1_b32 vcc_lo, exec_lo, s3
	s_cbranch_vccnz .LBB22_2905
; %bb.2904:
	global_store_b16 v[0:1], v2, off
.LBB22_2905:
	s_mov_b32 s3, 0
.LBB22_2906:
	s_delay_alu instid0(SALU_CYCLE_1)
	s_and_not1_b32 vcc_lo, exec_lo, s3
	s_cbranch_vccnz .LBB22_2914
; %bb.2907:
	s_wait_xcnt 0x0
	v_cndmask_b32_e64 v3, 0, 1.0, s18
	v_mov_b32_e32 v4, 0x80
	s_mov_b32 s3, exec_lo
	s_delay_alu instid0(VALU_DEP_2)
	v_cmpx_gt_u32_e32 0x43800000, v3
	s_cbranch_execz .LBB22_2913
; %bb.2908:
	s_mov_b32 s4, 0
	s_mov_b32 s5, exec_lo
                                        ; implicit-def: $vgpr2
	v_cmpx_lt_u32_e32 0x3bffffff, v3
	s_xor_b32 s5, exec_lo, s5
	s_cbranch_execz .LBB22_3019
; %bb.2909:
	v_bfe_u32 v2, v3, 20, 1
	s_mov_b32 s4, exec_lo
	s_delay_alu instid0(VALU_DEP_1) | instskip(NEXT) | instid1(VALU_DEP_1)
	v_add3_u32 v2, v3, v2, 0x487ffff
                                        ; implicit-def: $vgpr3
	v_lshrrev_b32_e32 v2, 20, v2
	s_and_not1_saveexec_b32 s5, s5
	s_cbranch_execnz .LBB22_3020
.LBB22_2910:
	s_or_b32 exec_lo, exec_lo, s5
	v_mov_b32_e32 v4, 0
	s_and_saveexec_b32 s5, s4
.LBB22_2911:
	v_mov_b32_e32 v4, v2
.LBB22_2912:
	s_or_b32 exec_lo, exec_lo, s5
.LBB22_2913:
	s_delay_alu instid0(SALU_CYCLE_1)
	s_or_b32 exec_lo, exec_lo, s3
	global_store_b8 v[0:1], v4, off
.LBB22_2914:
	s_mov_b32 s3, 0
.LBB22_2915:
	s_delay_alu instid0(SALU_CYCLE_1)
	s_and_b32 vcc_lo, exec_lo, s3
	s_cbranch_vccz .LBB22_2955
; %bb.2916:
	s_cmp_gt_i32 s1, 22
	s_mov_b32 s2, -1
	s_cbranch_scc0 .LBB22_2948
; %bb.2917:
	s_cmp_lt_i32 s1, 24
	s_cbranch_scc1 .LBB22_2937
; %bb.2918:
	s_cmp_gt_i32 s1, 24
	s_cbranch_scc0 .LBB22_2926
; %bb.2919:
	s_wait_xcnt 0x0
	v_cndmask_b32_e64 v3, 0, 1.0, s18
	v_mov_b32_e32 v4, 0x80
	s_mov_b32 s2, exec_lo
	s_delay_alu instid0(VALU_DEP_2)
	v_cmpx_gt_u32_e32 0x47800000, v3
	s_cbranch_execz .LBB22_2925
; %bb.2920:
	s_mov_b32 s3, 0
	s_mov_b32 s4, exec_lo
                                        ; implicit-def: $vgpr2
	v_cmpx_lt_u32_e32 0x37ffffff, v3
	s_xor_b32 s4, exec_lo, s4
	s_cbranch_execz .LBB22_3022
; %bb.2921:
	v_bfe_u32 v2, v3, 21, 1
	s_mov_b32 s3, exec_lo
	s_delay_alu instid0(VALU_DEP_1) | instskip(NEXT) | instid1(VALU_DEP_1)
	v_add3_u32 v2, v3, v2, 0x88fffff
                                        ; implicit-def: $vgpr3
	v_lshrrev_b32_e32 v2, 21, v2
	s_and_not1_saveexec_b32 s4, s4
	s_cbranch_execnz .LBB22_3023
.LBB22_2922:
	s_or_b32 exec_lo, exec_lo, s4
	v_mov_b32_e32 v4, 0
	s_and_saveexec_b32 s4, s3
.LBB22_2923:
	v_mov_b32_e32 v4, v2
.LBB22_2924:
	s_or_b32 exec_lo, exec_lo, s4
.LBB22_2925:
	s_delay_alu instid0(SALU_CYCLE_1)
	s_or_b32 exec_lo, exec_lo, s2
	s_mov_b32 s2, 0
	global_store_b8 v[0:1], v4, off
.LBB22_2926:
	s_and_b32 vcc_lo, exec_lo, s2
	s_cbranch_vccz .LBB22_2936
; %bb.2927:
	s_wait_xcnt 0x0
	v_cndmask_b32_e64 v3, 0, 1.0, s18
	s_mov_b32 s2, exec_lo
                                        ; implicit-def: $vgpr2
	s_delay_alu instid0(VALU_DEP_1)
	v_cmpx_gt_u32_e32 0x43f00000, v3
	s_xor_b32 s2, exec_lo, s2
	s_cbranch_execz .LBB22_2933
; %bb.2928:
	s_mov_b32 s3, exec_lo
                                        ; implicit-def: $vgpr2
	v_cmpx_lt_u32_e32 0x3c7fffff, v3
	s_xor_b32 s3, exec_lo, s3
; %bb.2929:
	v_bfe_u32 v2, v3, 20, 1
	s_delay_alu instid0(VALU_DEP_1) | instskip(NEXT) | instid1(VALU_DEP_1)
	v_add3_u32 v2, v3, v2, 0x407ffff
	v_and_b32_e32 v3, 0xff00000, v2
	v_lshrrev_b32_e32 v2, 20, v2
	s_delay_alu instid0(VALU_DEP_2) | instskip(NEXT) | instid1(VALU_DEP_2)
	v_cmp_ne_u32_e32 vcc_lo, 0x7f00000, v3
                                        ; implicit-def: $vgpr3
	v_cndmask_b32_e32 v2, 0x7e, v2, vcc_lo
; %bb.2930:
	s_and_not1_saveexec_b32 s3, s3
; %bb.2931:
	v_add_f32_e32 v2, 0x46800000, v3
; %bb.2932:
	s_or_b32 exec_lo, exec_lo, s3
                                        ; implicit-def: $vgpr3
.LBB22_2933:
	s_and_not1_saveexec_b32 s2, s2
; %bb.2934:
	v_mov_b32_e32 v2, 0x7f
	v_cmp_lt_u32_e32 vcc_lo, 0x7f800000, v3
	s_delay_alu instid0(VALU_DEP_2)
	v_cndmask_b32_e32 v2, 0x7e, v2, vcc_lo
; %bb.2935:
	s_or_b32 exec_lo, exec_lo, s2
	global_store_b8 v[0:1], v2, off
.LBB22_2936:
	s_mov_b32 s2, 0
.LBB22_2937:
	s_delay_alu instid0(SALU_CYCLE_1)
	s_and_not1_b32 vcc_lo, exec_lo, s2
	s_cbranch_vccnz .LBB22_2947
; %bb.2938:
	s_wait_xcnt 0x0
	v_cndmask_b32_e64 v3, 0, 1.0, s18
	s_mov_b32 s2, exec_lo
                                        ; implicit-def: $vgpr2
	s_delay_alu instid0(VALU_DEP_1)
	v_cmpx_gt_u32_e32 0x47800000, v3
	s_xor_b32 s2, exec_lo, s2
	s_cbranch_execz .LBB22_2944
; %bb.2939:
	s_mov_b32 s3, exec_lo
                                        ; implicit-def: $vgpr2
	v_cmpx_lt_u32_e32 0x387fffff, v3
	s_xor_b32 s3, exec_lo, s3
; %bb.2940:
	v_bfe_u32 v2, v3, 21, 1
	s_delay_alu instid0(VALU_DEP_1) | instskip(NEXT) | instid1(VALU_DEP_1)
	v_add3_u32 v2, v3, v2, 0x80fffff
                                        ; implicit-def: $vgpr3
	v_lshrrev_b32_e32 v2, 21, v2
; %bb.2941:
	s_and_not1_saveexec_b32 s3, s3
; %bb.2942:
	v_add_f32_e32 v2, 0x43000000, v3
; %bb.2943:
	s_or_b32 exec_lo, exec_lo, s3
                                        ; implicit-def: $vgpr3
.LBB22_2944:
	s_and_not1_saveexec_b32 s2, s2
; %bb.2945:
	v_mov_b32_e32 v2, 0x7f
	v_cmp_lt_u32_e32 vcc_lo, 0x7f800000, v3
	s_delay_alu instid0(VALU_DEP_2)
	v_cndmask_b32_e32 v2, 0x7c, v2, vcc_lo
; %bb.2946:
	s_or_b32 exec_lo, exec_lo, s2
	global_store_b8 v[0:1], v2, off
.LBB22_2947:
	s_mov_b32 s2, 0
.LBB22_2948:
	s_delay_alu instid0(SALU_CYCLE_1)
	s_and_not1_b32 vcc_lo, exec_lo, s2
	s_mov_b32 s2, 0
	s_cbranch_vccnz .LBB22_2955
; %bb.2949:
	s_cmp_gt_i32 s1, 14
	s_mov_b32 s2, -1
	s_cbranch_scc0 .LBB22_2953
; %bb.2950:
	s_cmp_eq_u32 s1, 15
	s_mov_b32 s0, -1
	s_cbranch_scc0 .LBB22_2952
; %bb.2951:
	s_wait_xcnt 0x0
	v_cndmask_b32_e64 v2, 0, 1.0, s18
	s_mov_b32 s0, 0
	s_delay_alu instid0(VALU_DEP_1) | instskip(NEXT) | instid1(VALU_DEP_1)
	v_bfe_u32 v3, v2, 16, 1
	v_add3_u32 v2, v2, v3, 0x7fff
	global_store_d16_hi_b16 v[0:1], v2, off
.LBB22_2952:
	s_mov_b32 s2, 0
.LBB22_2953:
	s_delay_alu instid0(SALU_CYCLE_1)
	s_and_b32 vcc_lo, exec_lo, s2
	s_mov_b32 s2, 0
	s_cbranch_vccz .LBB22_2955
; %bb.2954:
	s_cmp_lg_u32 s1, 11
	s_mov_b32 s2, -1
	s_cselect_b32 s0, -1, 0
.LBB22_2955:
	s_delay_alu instid0(SALU_CYCLE_1)
	s_and_b32 vcc_lo, exec_lo, s0
	s_cbranch_vccnz .LBB22_3021
.LBB22_2956:
	s_mov_b32 s0, 0
	s_branch .LBB22_2958
.LBB22_2957:
	s_mov_b32 s0, 0
	s_mov_b32 s2, 0
                                        ; implicit-def: $sgpr18
                                        ; implicit-def: $sgpr17
                                        ; implicit-def: $vgpr0_vgpr1
.LBB22_2958:
	s_and_not1_b32 s1, s16, exec_lo
	s_and_b32 s3, s13, exec_lo
	s_and_b32 s0, s0, exec_lo
	;; [unrolled: 1-line block ×3, first 2 shown]
	s_or_b32 s16, s1, s3
.LBB22_2959:
	s_wait_xcnt 0x0
	s_or_b32 exec_lo, exec_lo, s15
	s_and_saveexec_b32 s1, s16
	s_cbranch_execz .LBB22_2962
; %bb.2960:
	; divergent unreachable
	s_or_b32 exec_lo, exec_lo, s1
	s_and_saveexec_b32 s1, s13
	s_delay_alu instid0(SALU_CYCLE_1)
	s_xor_b32 s1, exec_lo, s1
	s_cbranch_execnz .LBB22_2963
.LBB22_2961:
	s_or_b32 exec_lo, exec_lo, s1
	s_and_saveexec_b32 s1, s0
	s_cbranch_execnz .LBB22_2964
	s_branch .LBB22_3001
.LBB22_2962:
	s_or_b32 exec_lo, exec_lo, s1
	s_and_saveexec_b32 s1, s13
	s_delay_alu instid0(SALU_CYCLE_1)
	s_xor_b32 s1, exec_lo, s1
	s_cbranch_execz .LBB22_2961
.LBB22_2963:
	s_wait_loadcnt 0x0
	v_cndmask_b32_e64 v2, 0, 1, s18
	global_store_b8 v[0:1], v2, off
	s_wait_xcnt 0x0
	s_or_b32 exec_lo, exec_lo, s1
	s_and_saveexec_b32 s1, s0
	s_cbranch_execz .LBB22_3001
.LBB22_2964:
	s_sext_i32_i16 s1, s17
	s_mov_b32 s0, -1
	s_cmp_lt_i32 s1, 5
	s_cbranch_scc1 .LBB22_2985
; %bb.2965:
	s_cmp_lt_i32 s1, 8
	s_cbranch_scc1 .LBB22_2975
; %bb.2966:
	;; [unrolled: 3-line block ×3, first 2 shown]
	s_cmp_gt_i32 s1, 9
	s_cbranch_scc0 .LBB22_2969
; %bb.2968:
	s_wait_loadcnt 0x0
	v_cndmask_b32_e64 v2, 0, 1, s18
	v_mov_b32_e32 v4, 0
	s_mov_b32 s0, 0
	s_delay_alu instid0(VALU_DEP_2) | instskip(NEXT) | instid1(VALU_DEP_2)
	v_cvt_f64_u32_e32 v[2:3], v2
	v_mov_b32_e32 v5, v4
	global_store_b128 v[0:1], v[2:5], off
.LBB22_2969:
	s_and_not1_b32 vcc_lo, exec_lo, s0
	s_cbranch_vccnz .LBB22_2971
; %bb.2970:
	s_wait_loadcnt 0x0
	v_cndmask_b32_e64 v2, 0, 1.0, s18
	v_mov_b32_e32 v3, 0
	global_store_b64 v[0:1], v[2:3], off
.LBB22_2971:
	s_mov_b32 s0, 0
.LBB22_2972:
	s_delay_alu instid0(SALU_CYCLE_1)
	s_and_not1_b32 vcc_lo, exec_lo, s0
	s_cbranch_vccnz .LBB22_2974
; %bb.2973:
	s_wait_loadcnt 0x0
	v_cndmask_b32_e64 v2, 0, 1.0, s18
	s_delay_alu instid0(VALU_DEP_1) | instskip(NEXT) | instid1(VALU_DEP_1)
	v_cvt_f16_f32_e32 v2, v2
	v_and_b32_e32 v2, 0xffff, v2
	global_store_b32 v[0:1], v2, off
.LBB22_2974:
	s_mov_b32 s0, 0
.LBB22_2975:
	s_delay_alu instid0(SALU_CYCLE_1)
	s_and_not1_b32 vcc_lo, exec_lo, s0
	s_cbranch_vccnz .LBB22_2984
; %bb.2976:
	s_sext_i32_i16 s1, s17
	s_mov_b32 s0, -1
	s_cmp_lt_i32 s1, 6
	s_cbranch_scc1 .LBB22_2982
; %bb.2977:
	s_cmp_gt_i32 s1, 6
	s_cbranch_scc0 .LBB22_2979
; %bb.2978:
	s_wait_loadcnt 0x0
	v_cndmask_b32_e64 v2, 0, 1, s18
	s_mov_b32 s0, 0
	s_delay_alu instid0(VALU_DEP_1)
	v_cvt_f64_u32_e32 v[2:3], v2
	global_store_b64 v[0:1], v[2:3], off
.LBB22_2979:
	s_and_not1_b32 vcc_lo, exec_lo, s0
	s_cbranch_vccnz .LBB22_2981
; %bb.2980:
	s_wait_loadcnt 0x0
	v_cndmask_b32_e64 v2, 0, 1.0, s18
	global_store_b32 v[0:1], v2, off
.LBB22_2981:
	s_mov_b32 s0, 0
.LBB22_2982:
	s_delay_alu instid0(SALU_CYCLE_1)
	s_and_not1_b32 vcc_lo, exec_lo, s0
	s_cbranch_vccnz .LBB22_2984
; %bb.2983:
	s_wait_loadcnt 0x0
	v_cndmask_b32_e64 v2, 0, 1.0, s18
	s_delay_alu instid0(VALU_DEP_1)
	v_cvt_f16_f32_e32 v2, v2
	global_store_b16 v[0:1], v2, off
.LBB22_2984:
	s_mov_b32 s0, 0
.LBB22_2985:
	s_delay_alu instid0(SALU_CYCLE_1)
	s_and_not1_b32 vcc_lo, exec_lo, s0
	s_cbranch_vccnz .LBB22_3001
; %bb.2986:
	s_sext_i32_i16 s1, s17
	s_mov_b32 s0, -1
	s_cmp_lt_i32 s1, 2
	s_cbranch_scc1 .LBB22_2996
; %bb.2987:
	s_cmp_lt_i32 s1, 3
	s_cbranch_scc1 .LBB22_2993
; %bb.2988:
	s_cmp_gt_i32 s1, 3
	s_cbranch_scc0 .LBB22_2990
; %bb.2989:
	s_mov_b32 s0, 0
	s_wait_loadcnt 0x0
	v_cndmask_b32_e64 v2, 0, 1, s18
	v_mov_b32_e32 v3, s0
	global_store_b64 v[0:1], v[2:3], off
.LBB22_2990:
	s_and_not1_b32 vcc_lo, exec_lo, s0
	s_cbranch_vccnz .LBB22_2992
; %bb.2991:
	s_wait_loadcnt 0x0
	v_cndmask_b32_e64 v2, 0, 1, s18
	global_store_b32 v[0:1], v2, off
.LBB22_2992:
	s_mov_b32 s0, 0
.LBB22_2993:
	s_delay_alu instid0(SALU_CYCLE_1)
	s_and_not1_b32 vcc_lo, exec_lo, s0
	s_cbranch_vccnz .LBB22_2995
; %bb.2994:
	s_wait_loadcnt 0x0
	v_cndmask_b32_e64 v2, 0, 1, s18
	global_store_b16 v[0:1], v2, off
.LBB22_2995:
	s_mov_b32 s0, 0
.LBB22_2996:
	s_delay_alu instid0(SALU_CYCLE_1)
	s_and_not1_b32 vcc_lo, exec_lo, s0
	s_cbranch_vccnz .LBB22_3001
; %bb.2997:
	s_wait_loadcnt 0x0
	v_cndmask_b32_e64 v2, 0, 1, s18
	s_sext_i32_i16 s0, s17
	s_delay_alu instid0(SALU_CYCLE_1)
	s_cmp_gt_i32 s0, 0
	s_mov_b32 s0, -1
	s_cbranch_scc0 .LBB22_2999
; %bb.2998:
	s_mov_b32 s0, 0
	global_store_b8 v[0:1], v2, off
.LBB22_2999:
	s_and_not1_b32 vcc_lo, exec_lo, s0
	s_cbranch_vccnz .LBB22_3001
; %bb.3000:
	global_store_b8 v[0:1], v2, off
	s_endpgm
.LBB22_3001:
	s_endpgm
.LBB22_3002:
	s_mov_b32 s2, 0
	s_mov_b32 s0, -1
	s_branch .LBB22_2958
.LBB22_3003:
	s_or_b32 s13, s13, exec_lo
	s_trap 2
	s_cbranch_execz .LBB22_2473
	s_branch .LBB22_2474
.LBB22_3004:
	s_and_not1_saveexec_b32 s10, s10
	s_cbranch_execz .LBB22_2553
.LBB22_3005:
	v_add_f32_e32 v3, 0x46000000, v4
	s_and_not1_b32 s9, s9, exec_lo
	s_delay_alu instid0(VALU_DEP_1) | instskip(NEXT) | instid1(VALU_DEP_1)
	v_and_b32_e32 v3, 0xff, v3
	v_cmp_ne_u32_e32 vcc_lo, 0, v3
	s_and_b32 s11, vcc_lo, exec_lo
	s_delay_alu instid0(SALU_CYCLE_1)
	s_or_b32 s9, s9, s11
	s_or_b32 exec_lo, exec_lo, s10
	v_mov_b32_e32 v5, 0
	s_and_saveexec_b32 s10, s9
	s_cbranch_execnz .LBB22_2554
	s_branch .LBB22_2555
.LBB22_3006:
	s_or_b32 s13, s13, exec_lo
	s_trap 2
	s_cbranch_execz .LBB22_2601
	s_branch .LBB22_2602
.LBB22_3007:
	s_and_not1_saveexec_b32 s9, s9
	s_cbranch_execz .LBB22_2566
.LBB22_3008:
	v_add_f32_e32 v3, 0x42800000, v4
	s_and_not1_b32 s7, s7, exec_lo
	s_delay_alu instid0(VALU_DEP_1) | instskip(NEXT) | instid1(VALU_DEP_1)
	v_and_b32_e32 v3, 0xff, v3
	v_cmp_ne_u32_e32 vcc_lo, 0, v3
	s_and_b32 s10, vcc_lo, exec_lo
	s_delay_alu instid0(SALU_CYCLE_1)
	s_or_b32 s7, s7, s10
	s_or_b32 exec_lo, exec_lo, s9
	v_mov_b32_e32 v5, 0
	s_and_saveexec_b32 s9, s7
	s_cbranch_execnz .LBB22_2567
	s_branch .LBB22_2568
.LBB22_3009:
	s_and_not1_saveexec_b32 s10, s10
	s_cbranch_execz .LBB22_2671
.LBB22_3010:
	v_add_f32_e32 v1, 0x46000000, v4
	s_and_not1_b32 s9, s9, exec_lo
	s_delay_alu instid0(VALU_DEP_1) | instskip(NEXT) | instid1(VALU_DEP_1)
	v_and_b32_e32 v1, 0xff, v1
	v_cmp_ne_u32_e32 vcc_lo, 0, v1
	s_and_b32 s11, vcc_lo, exec_lo
	s_delay_alu instid0(SALU_CYCLE_1)
	s_or_b32 s9, s9, s11
	s_or_b32 exec_lo, exec_lo, s10
	v_mov_b32_e32 v5, 0
	s_and_saveexec_b32 s10, s9
	s_cbranch_execnz .LBB22_2672
	s_branch .LBB22_2673
.LBB22_3011:
	s_or_b32 s13, s13, exec_lo
	s_trap 2
	s_cbranch_execz .LBB22_2719
	s_branch .LBB22_2720
.LBB22_3012:
	s_and_not1_saveexec_b32 s9, s9
	s_cbranch_execz .LBB22_2684
.LBB22_3013:
	v_add_f32_e32 v1, 0x42800000, v4
	s_and_not1_b32 s8, s8, exec_lo
	s_delay_alu instid0(VALU_DEP_1) | instskip(NEXT) | instid1(VALU_DEP_1)
	v_and_b32_e32 v1, 0xff, v1
	v_cmp_ne_u32_e32 vcc_lo, 0, v1
	s_and_b32 s10, vcc_lo, exec_lo
	s_delay_alu instid0(SALU_CYCLE_1)
	s_or_b32 s8, s8, s10
	s_or_b32 exec_lo, exec_lo, s9
	v_mov_b32_e32 v5, 0
	s_and_saveexec_b32 s9, s8
	s_cbranch_execnz .LBB22_2685
	s_branch .LBB22_2686
.LBB22_3014:
	s_and_not1_saveexec_b32 s10, s10
	s_cbranch_execz .LBB22_2790
.LBB22_3015:
	v_add_f32_e32 v1, 0x46000000, v4
	s_and_not1_b32 s9, s9, exec_lo
	s_delay_alu instid0(VALU_DEP_1) | instskip(NEXT) | instid1(VALU_DEP_1)
	v_and_b32_e32 v1, 0xff, v1
	v_cmp_ne_u32_e32 vcc_lo, 0, v1
	s_and_b32 s11, vcc_lo, exec_lo
	s_delay_alu instid0(SALU_CYCLE_1)
	s_or_b32 s9, s9, s11
	s_or_b32 exec_lo, exec_lo, s10
	v_mov_b32_e32 v5, 0
	s_and_saveexec_b32 s10, s9
	s_cbranch_execnz .LBB22_2791
	s_branch .LBB22_2792
.LBB22_3016:
	s_or_b32 s13, s13, exec_lo
	s_trap 2
	s_cbranch_execz .LBB22_2838
	s_branch .LBB22_2839
.LBB22_3017:
	s_and_not1_saveexec_b32 s9, s9
	s_cbranch_execz .LBB22_2803
.LBB22_3018:
	v_add_f32_e32 v1, 0x42800000, v4
	s_and_not1_b32 s8, s8, exec_lo
	s_delay_alu instid0(VALU_DEP_1) | instskip(NEXT) | instid1(VALU_DEP_1)
	v_and_b32_e32 v1, 0xff, v1
	v_cmp_ne_u32_e32 vcc_lo, 0, v1
	s_and_b32 s10, vcc_lo, exec_lo
	s_delay_alu instid0(SALU_CYCLE_1)
	s_or_b32 s8, s8, s10
	s_or_b32 exec_lo, exec_lo, s9
	v_mov_b32_e32 v5, 0
	s_and_saveexec_b32 s9, s8
	s_cbranch_execnz .LBB22_2804
	s_branch .LBB22_2805
.LBB22_3019:
	s_and_not1_saveexec_b32 s5, s5
	s_cbranch_execz .LBB22_2910
.LBB22_3020:
	v_add_f32_e32 v2, 0x46000000, v3
	s_and_not1_b32 s4, s4, exec_lo
	s_delay_alu instid0(VALU_DEP_1) | instskip(NEXT) | instid1(VALU_DEP_1)
	v_and_b32_e32 v2, 0xff, v2
	v_cmp_ne_u32_e32 vcc_lo, 0, v2
	s_and_b32 s6, vcc_lo, exec_lo
	s_delay_alu instid0(SALU_CYCLE_1)
	s_or_b32 s4, s4, s6
	s_or_b32 exec_lo, exec_lo, s5
	v_mov_b32_e32 v4, 0
	s_and_saveexec_b32 s5, s4
	s_cbranch_execnz .LBB22_2911
	s_branch .LBB22_2912
.LBB22_3021:
	s_mov_b32 s2, 0
	s_or_b32 s13, s13, exec_lo
	s_trap 2
	s_branch .LBB22_2956
.LBB22_3022:
	s_and_not1_saveexec_b32 s4, s4
	s_cbranch_execz .LBB22_2922
.LBB22_3023:
	v_add_f32_e32 v2, 0x42800000, v3
	s_and_not1_b32 s3, s3, exec_lo
	s_delay_alu instid0(VALU_DEP_1) | instskip(NEXT) | instid1(VALU_DEP_1)
	v_and_b32_e32 v2, 0xff, v2
	v_cmp_ne_u32_e32 vcc_lo, 0, v2
	s_and_b32 s5, vcc_lo, exec_lo
	s_delay_alu instid0(SALU_CYCLE_1)
	s_or_b32 s3, s3, s5
	s_or_b32 exec_lo, exec_lo, s4
	v_mov_b32_e32 v4, 0
	s_and_saveexec_b32 s4, s3
	s_cbranch_execnz .LBB22_2923
	s_branch .LBB22_2924
	.section	.rodata,"a",@progbits
	.p2align	6, 0x0
	.amdhsa_kernel _ZN2at6native32elementwise_kernel_manual_unrollILi128ELi4EZNS0_15gpu_kernel_implINS0_13BinaryFunctorIaabNS0_12_GLOBAL__N_116CompareEqFunctorIaEEEEEEvRNS_18TensorIteratorBaseERKT_EUlibE_EEviT1_
		.amdhsa_group_segment_fixed_size 0
		.amdhsa_private_segment_fixed_size 0
		.amdhsa_kernarg_size 56
		.amdhsa_user_sgpr_count 2
		.amdhsa_user_sgpr_dispatch_ptr 0
		.amdhsa_user_sgpr_queue_ptr 0
		.amdhsa_user_sgpr_kernarg_segment_ptr 1
		.amdhsa_user_sgpr_dispatch_id 0
		.amdhsa_user_sgpr_kernarg_preload_length 0
		.amdhsa_user_sgpr_kernarg_preload_offset 0
		.amdhsa_user_sgpr_private_segment_size 0
		.amdhsa_wavefront_size32 1
		.amdhsa_uses_dynamic_stack 0
		.amdhsa_enable_private_segment 0
		.amdhsa_system_sgpr_workgroup_id_x 1
		.amdhsa_system_sgpr_workgroup_id_y 0
		.amdhsa_system_sgpr_workgroup_id_z 0
		.amdhsa_system_sgpr_workgroup_info 0
		.amdhsa_system_vgpr_workitem_id 0
		.amdhsa_next_free_vgpr 22
		.amdhsa_next_free_sgpr 37
		.amdhsa_named_barrier_count 0
		.amdhsa_reserve_vcc 1
		.amdhsa_float_round_mode_32 0
		.amdhsa_float_round_mode_16_64 0
		.amdhsa_float_denorm_mode_32 3
		.amdhsa_float_denorm_mode_16_64 3
		.amdhsa_fp16_overflow 0
		.amdhsa_memory_ordered 1
		.amdhsa_forward_progress 1
		.amdhsa_inst_pref_size 255
		.amdhsa_round_robin_scheduling 0
		.amdhsa_exception_fp_ieee_invalid_op 0
		.amdhsa_exception_fp_denorm_src 0
		.amdhsa_exception_fp_ieee_div_zero 0
		.amdhsa_exception_fp_ieee_overflow 0
		.amdhsa_exception_fp_ieee_underflow 0
		.amdhsa_exception_fp_ieee_inexact 0
		.amdhsa_exception_int_div_zero 0
	.end_amdhsa_kernel
	.section	.text._ZN2at6native32elementwise_kernel_manual_unrollILi128ELi4EZNS0_15gpu_kernel_implINS0_13BinaryFunctorIaabNS0_12_GLOBAL__N_116CompareEqFunctorIaEEEEEEvRNS_18TensorIteratorBaseERKT_EUlibE_EEviT1_,"axG",@progbits,_ZN2at6native32elementwise_kernel_manual_unrollILi128ELi4EZNS0_15gpu_kernel_implINS0_13BinaryFunctorIaabNS0_12_GLOBAL__N_116CompareEqFunctorIaEEEEEEvRNS_18TensorIteratorBaseERKT_EUlibE_EEviT1_,comdat
.Lfunc_end22:
	.size	_ZN2at6native32elementwise_kernel_manual_unrollILi128ELi4EZNS0_15gpu_kernel_implINS0_13BinaryFunctorIaabNS0_12_GLOBAL__N_116CompareEqFunctorIaEEEEEEvRNS_18TensorIteratorBaseERKT_EUlibE_EEviT1_, .Lfunc_end22-_ZN2at6native32elementwise_kernel_manual_unrollILi128ELi4EZNS0_15gpu_kernel_implINS0_13BinaryFunctorIaabNS0_12_GLOBAL__N_116CompareEqFunctorIaEEEEEEvRNS_18TensorIteratorBaseERKT_EUlibE_EEviT1_
                                        ; -- End function
	.set _ZN2at6native32elementwise_kernel_manual_unrollILi128ELi4EZNS0_15gpu_kernel_implINS0_13BinaryFunctorIaabNS0_12_GLOBAL__N_116CompareEqFunctorIaEEEEEEvRNS_18TensorIteratorBaseERKT_EUlibE_EEviT1_.num_vgpr, 22
	.set _ZN2at6native32elementwise_kernel_manual_unrollILi128ELi4EZNS0_15gpu_kernel_implINS0_13BinaryFunctorIaabNS0_12_GLOBAL__N_116CompareEqFunctorIaEEEEEEvRNS_18TensorIteratorBaseERKT_EUlibE_EEviT1_.num_agpr, 0
	.set _ZN2at6native32elementwise_kernel_manual_unrollILi128ELi4EZNS0_15gpu_kernel_implINS0_13BinaryFunctorIaabNS0_12_GLOBAL__N_116CompareEqFunctorIaEEEEEEvRNS_18TensorIteratorBaseERKT_EUlibE_EEviT1_.numbered_sgpr, 37
	.set _ZN2at6native32elementwise_kernel_manual_unrollILi128ELi4EZNS0_15gpu_kernel_implINS0_13BinaryFunctorIaabNS0_12_GLOBAL__N_116CompareEqFunctorIaEEEEEEvRNS_18TensorIteratorBaseERKT_EUlibE_EEviT1_.num_named_barrier, 0
	.set _ZN2at6native32elementwise_kernel_manual_unrollILi128ELi4EZNS0_15gpu_kernel_implINS0_13BinaryFunctorIaabNS0_12_GLOBAL__N_116CompareEqFunctorIaEEEEEEvRNS_18TensorIteratorBaseERKT_EUlibE_EEviT1_.private_seg_size, 0
	.set _ZN2at6native32elementwise_kernel_manual_unrollILi128ELi4EZNS0_15gpu_kernel_implINS0_13BinaryFunctorIaabNS0_12_GLOBAL__N_116CompareEqFunctorIaEEEEEEvRNS_18TensorIteratorBaseERKT_EUlibE_EEviT1_.uses_vcc, 1
	.set _ZN2at6native32elementwise_kernel_manual_unrollILi128ELi4EZNS0_15gpu_kernel_implINS0_13BinaryFunctorIaabNS0_12_GLOBAL__N_116CompareEqFunctorIaEEEEEEvRNS_18TensorIteratorBaseERKT_EUlibE_EEviT1_.uses_flat_scratch, 0
	.set _ZN2at6native32elementwise_kernel_manual_unrollILi128ELi4EZNS0_15gpu_kernel_implINS0_13BinaryFunctorIaabNS0_12_GLOBAL__N_116CompareEqFunctorIaEEEEEEvRNS_18TensorIteratorBaseERKT_EUlibE_EEviT1_.has_dyn_sized_stack, 0
	.set _ZN2at6native32elementwise_kernel_manual_unrollILi128ELi4EZNS0_15gpu_kernel_implINS0_13BinaryFunctorIaabNS0_12_GLOBAL__N_116CompareEqFunctorIaEEEEEEvRNS_18TensorIteratorBaseERKT_EUlibE_EEviT1_.has_recursion, 0
	.set _ZN2at6native32elementwise_kernel_manual_unrollILi128ELi4EZNS0_15gpu_kernel_implINS0_13BinaryFunctorIaabNS0_12_GLOBAL__N_116CompareEqFunctorIaEEEEEEvRNS_18TensorIteratorBaseERKT_EUlibE_EEviT1_.has_indirect_call, 0
	.section	.AMDGPU.csdata,"",@progbits
; Kernel info:
; codeLenInByte = 51900
; TotalNumSgprs: 39
; NumVgprs: 22
; ScratchSize: 0
; MemoryBound: 1
; FloatMode: 240
; IeeeMode: 1
; LDSByteSize: 0 bytes/workgroup (compile time only)
; SGPRBlocks: 0
; VGPRBlocks: 1
; NumSGPRsForWavesPerEU: 39
; NumVGPRsForWavesPerEU: 22
; NamedBarCnt: 0
; Occupancy: 16
; WaveLimiterHint : 0
; COMPUTE_PGM_RSRC2:SCRATCH_EN: 0
; COMPUTE_PGM_RSRC2:USER_SGPR: 2
; COMPUTE_PGM_RSRC2:TRAP_HANDLER: 0
; COMPUTE_PGM_RSRC2:TGID_X_EN: 1
; COMPUTE_PGM_RSRC2:TGID_Y_EN: 0
; COMPUTE_PGM_RSRC2:TGID_Z_EN: 0
; COMPUTE_PGM_RSRC2:TIDIG_COMP_CNT: 0
	.section	.text._ZN2at6native32elementwise_kernel_manual_unrollILi128ELi4EZNS0_15gpu_kernel_implINS0_13BinaryFunctorIaabNS0_12_GLOBAL__N_116CompareEqFunctorIaEEEEEEvRNS_18TensorIteratorBaseERKT_EUlibE0_EEviT1_,"axG",@progbits,_ZN2at6native32elementwise_kernel_manual_unrollILi128ELi4EZNS0_15gpu_kernel_implINS0_13BinaryFunctorIaabNS0_12_GLOBAL__N_116CompareEqFunctorIaEEEEEEvRNS_18TensorIteratorBaseERKT_EUlibE0_EEviT1_,comdat
	.globl	_ZN2at6native32elementwise_kernel_manual_unrollILi128ELi4EZNS0_15gpu_kernel_implINS0_13BinaryFunctorIaabNS0_12_GLOBAL__N_116CompareEqFunctorIaEEEEEEvRNS_18TensorIteratorBaseERKT_EUlibE0_EEviT1_ ; -- Begin function _ZN2at6native32elementwise_kernel_manual_unrollILi128ELi4EZNS0_15gpu_kernel_implINS0_13BinaryFunctorIaabNS0_12_GLOBAL__N_116CompareEqFunctorIaEEEEEEvRNS_18TensorIteratorBaseERKT_EUlibE0_EEviT1_
	.p2align	8
	.type	_ZN2at6native32elementwise_kernel_manual_unrollILi128ELi4EZNS0_15gpu_kernel_implINS0_13BinaryFunctorIaabNS0_12_GLOBAL__N_116CompareEqFunctorIaEEEEEEvRNS_18TensorIteratorBaseERKT_EUlibE0_EEviT1_,@function
_ZN2at6native32elementwise_kernel_manual_unrollILi128ELi4EZNS0_15gpu_kernel_implINS0_13BinaryFunctorIaabNS0_12_GLOBAL__N_116CompareEqFunctorIaEEEEEEvRNS_18TensorIteratorBaseERKT_EUlibE0_EEviT1_: ; @_ZN2at6native32elementwise_kernel_manual_unrollILi128ELi4EZNS0_15gpu_kernel_implINS0_13BinaryFunctorIaabNS0_12_GLOBAL__N_116CompareEqFunctorIaEEEEEEvRNS_18TensorIteratorBaseERKT_EUlibE0_EEviT1_
; %bb.0:
	s_clause 0x1
	s_load_b32 s28, s[0:1], 0x8
	s_load_b32 s37, s[0:1], 0x0
	s_bfe_u32 s2, ttmp6, 0x4000c
	s_and_b32 s3, ttmp6, 15
	s_add_co_i32 s2, s2, 1
	s_getreg_b32 s4, hwreg(HW_REG_IB_STS2, 6, 4)
	s_mul_i32 s2, ttmp9, s2
	s_mov_b32 s30, 0
	s_add_co_i32 s3, s3, s2
	s_cmp_eq_u32 s4, 0
	s_mov_b32 s27, -1
	s_cselect_b32 s2, ttmp9, s3
	s_mov_b32 s8, 0
	v_lshl_or_b32 v0, s2, 9, v0
	s_add_nc_u64 s[2:3], s[0:1], 8
	s_wait_xcnt 0x0
	s_mov_b32 s0, exec_lo
	s_delay_alu instid0(VALU_DEP_1) | instskip(SKIP_2) | instid1(SALU_CYCLE_1)
	v_or_b32_e32 v1, 0x180, v0
	s_wait_kmcnt 0x0
	s_add_co_i32 s29, s28, -1
	s_cmp_gt_u32 s29, 1
	s_cselect_b32 s31, -1, 0
	v_cmpx_le_i32_e64 s37, v1
	s_xor_b32 s33, exec_lo, s0
	s_cbranch_execz .LBB23_1561
; %bb.1:
	s_clause 0x4
	s_load_b128 s[12:15], s[2:3], 0x4
	s_load_b256 s[4:11], s[2:3], 0x188
	s_load_b64 s[0:1], s[2:3], 0x14
	s_load_b128 s[16:19], s[2:3], 0xc4
	s_load_b64 s[22:23], s[2:3], 0xd4
	s_cmp_lg_u32 s28, 0
	s_mov_b32 s21, 0
	s_cselect_b32 s38, -1, 0
	s_min_u32 s36, s29, 15
	s_cmp_gt_u32 s28, 1
	s_mov_b32 s25, s21
	s_cselect_b32 s35, -1, 0
	s_mov_b32 s41, s21
	s_mov_b32 s40, s21
	;; [unrolled: 1-line block ×3, first 2 shown]
	s_mov_b32 s42, exec_lo
	s_wait_kmcnt 0x0
	s_mov_b32 s20, s13
	s_lshr_b32 s34, s11, 8
	s_lshr_b32 s13, s11, 16
	s_cmp_eq_u32 s10, 0
	s_mov_b32 s24, s0
	s_cselect_b32 s10, -1, 0
	v_cmpx_gt_i32_e64 s37, v0
	s_cbranch_execz .LBB23_385
; %bb.2:
	s_and_not1_b32 vcc_lo, exec_lo, s31
	s_cbranch_vccnz .LBB23_8
; %bb.3:
	s_and_not1_b32 vcc_lo, exec_lo, s38
	s_cbranch_vccnz .LBB23_9
; %bb.4:
	v_dual_mov_b32 v2, 0 :: v_dual_mov_b32 v1, v0
	v_dual_mov_b32 v4, 0 :: v_dual_mov_b32 v6, 0
	s_add_co_i32 s0, s36, 1
	s_mov_b64 s[26:27], 0xffffffffffffffe8
	s_and_b32 s0, s0, 30
	s_add_nc_u64 s[26:27], s[2:3], s[26:27]
.LBB23_5:                               ; =>This Inner Loop Header: Depth=1
	s_clause 0x1
	s_load_b128 s[44:47], s[26:27], 0x1c
	s_load_b64 s[40:41], s[26:27], 0x2c
	s_add_co_i32 s0, s0, -2
	s_delay_alu instid0(SALU_CYCLE_1) | instskip(SKIP_2) | instid1(VALU_DEP_1)
	s_cmp_lg_u32 s0, 0
	s_wait_kmcnt 0x0
	v_mul_hi_u32 v3, s45, v1
	v_add_nc_u32_e32 v3, v1, v3
	s_delay_alu instid0(VALU_DEP_1) | instskip(NEXT) | instid1(VALU_DEP_1)
	v_lshrrev_b32_e32 v3, s46, v3
	v_mul_hi_u32 v5, s40, v3
	v_mul_lo_u32 v7, v3, s44
	s_clause 0x1
	s_load_b128 s[48:51], s[26:27], 0xdc
	s_load_b64 s[44:45], s[26:27], 0xec
	s_wait_xcnt 0x0
	s_add_nc_u64 s[26:27], s[26:27], 24
	s_delay_alu instid0(VALU_DEP_1) | instskip(NEXT) | instid1(VALU_DEP_1)
	v_dual_add_nc_u32 v5, v3, v5 :: v_dual_sub_nc_u32 v7, v1, v7
	v_lshrrev_b32_e32 v1, s41, v5
	s_wait_kmcnt 0x0
	s_delay_alu instid0(VALU_DEP_2) | instskip(NEXT) | instid1(VALU_DEP_2)
	v_mad_u32 v2, v7, s48, v2
	v_mul_lo_u32 v5, v1, s47
	v_mad_u32 v6, v7, s50, v6
	v_mad_u32 v4, v7, s49, v4
	s_delay_alu instid0(VALU_DEP_3) | instskip(NEXT) | instid1(VALU_DEP_1)
	v_sub_nc_u32_e32 v3, v3, v5
	v_mad_u32 v2, v3, s51, v2
	s_delay_alu instid0(VALU_DEP_4) | instskip(NEXT) | instid1(VALU_DEP_4)
	v_mad_u32 v6, v3, s45, v6
	v_mad_u32 v4, v3, s44, v4
	s_cbranch_scc1 .LBB23_5
; %bb.6:
	s_bitcmp1_b32 s36, 0
	s_cselect_b32 s0, -1, 0
	s_delay_alu instid0(SALU_CYCLE_1)
	s_and_b32 vcc_lo, exec_lo, s0
	s_cbranch_vccnz .LBB23_10
; %bb.7:
	s_clause 0x1
	s_load_b96 s[44:46], s[26:27], 0x1c
	s_load_b96 s[48:50], s[26:27], 0xdc
	s_wait_kmcnt 0x0
	v_mul_hi_u32 v3, s45, v1
	s_delay_alu instid0(VALU_DEP_1) | instskip(NEXT) | instid1(VALU_DEP_1)
	v_add_nc_u32_e32 v3, v1, v3
	v_lshrrev_b32_e32 v3, s46, v3
	s_delay_alu instid0(VALU_DEP_1) | instskip(NEXT) | instid1(VALU_DEP_1)
	v_mul_lo_u32 v3, v3, s44
	v_sub_nc_u32_e32 v1, v1, v3
	s_delay_alu instid0(VALU_DEP_1)
	v_mad_u32 v2, v1, s48, v2
	v_mad_u32 v4, v1, s49, v4
	;; [unrolled: 1-line block ×3, first 2 shown]
	s_cbranch_execz .LBB23_11
	s_branch .LBB23_13
.LBB23_8:
                                        ; implicit-def: $vgpr6
                                        ; implicit-def: $vgpr4
                                        ; implicit-def: $vgpr2
	s_branch .LBB23_11
.LBB23_9:
	v_dual_mov_b32 v6, 0 :: v_dual_mov_b32 v4, 0
	v_mov_b32_e32 v2, 0
.LBB23_10:
	s_cbranch_execnz .LBB23_13
.LBB23_11:
	v_mov_b32_e32 v1, 0
	s_and_not1_b32 vcc_lo, exec_lo, s35
	s_delay_alu instid0(VALU_DEP_1) | instskip(NEXT) | instid1(VALU_DEP_1)
	v_mul_u64_e32 v[2:3], s[20:21], v[0:1]
	v_add_nc_u32_e32 v2, v0, v3
	s_delay_alu instid0(VALU_DEP_1) | instskip(NEXT) | instid1(VALU_DEP_1)
	v_lshrrev_b32_e32 v8, s14, v2
	v_mul_lo_u32 v2, v8, s12
	s_delay_alu instid0(VALU_DEP_1) | instskip(NEXT) | instid1(VALU_DEP_1)
	v_sub_nc_u32_e32 v3, v0, v2
	v_mul_lo_u32 v2, v3, s16
	v_mul_lo_u32 v6, v3, s18
	;; [unrolled: 1-line block ×3, first 2 shown]
	s_cbranch_vccnz .LBB23_13
; %bb.12:
	v_mov_b32_e32 v9, v1
	s_delay_alu instid0(VALU_DEP_1) | instskip(NEXT) | instid1(VALU_DEP_1)
	v_mul_u64_e32 v[10:11], s[24:25], v[8:9]
	v_add_nc_u32_e32 v1, v8, v11
	s_delay_alu instid0(VALU_DEP_1) | instskip(NEXT) | instid1(VALU_DEP_1)
	v_lshrrev_b32_e32 v1, s1, v1
	v_mul_lo_u32 v1, v1, s15
	s_delay_alu instid0(VALU_DEP_1) | instskip(NEXT) | instid1(VALU_DEP_1)
	v_sub_nc_u32_e32 v1, v8, v1
	v_mad_u32 v2, v1, s19, v2
	v_mad_u32 v4, v1, s22, v4
	;; [unrolled: 1-line block ×3, first 2 shown]
.LBB23_13:
	v_mov_b32_e32 v5, 0
	s_and_b32 s0, s34, 0xff
	s_delay_alu instid0(SALU_CYCLE_1) | instskip(NEXT) | instid1(VALU_DEP_1)
	s_cmp_lt_i32 s0, 11
	v_add_nc_u64_e32 v[8:9], s[6:7], v[4:5]
	s_cbranch_scc1 .LBB23_20
; %bb.14:
	s_and_b32 s27, 0xffff, s0
	s_delay_alu instid0(SALU_CYCLE_1)
	s_cmp_gt_i32 s27, 25
	s_cbranch_scc0 .LBB23_29
; %bb.15:
	s_cmp_gt_i32 s27, 28
	s_cbranch_scc0 .LBB23_39
; %bb.16:
	;; [unrolled: 3-line block ×4, first 2 shown]
	s_cmp_eq_u32 s27, 46
	s_mov_b32 s40, 0
	s_cbranch_scc0 .LBB23_48
; %bb.19:
	global_load_b32 v1, v[8:9], off
	s_mov_b32 s39, -1
	s_mov_b32 s26, 0
	s_wait_loadcnt 0x0
	v_lshlrev_b32_e32 v1, 16, v1
	s_delay_alu instid0(VALU_DEP_1)
	v_cvt_i32_f32_e32 v4, v1
	s_branch .LBB23_50
.LBB23_20:
	s_mov_b32 s26, 0
	s_mov_b32 s39, 0
                                        ; implicit-def: $vgpr4
	s_cbranch_execnz .LBB23_112
.LBB23_21:
	s_and_not1_b32 vcc_lo, exec_lo, s39
	s_cbranch_vccnz .LBB23_159
.LBB23_22:
	v_mov_b32_e32 v7, 0
	s_and_b32 s0, s13, 0xff
	s_delay_alu instid0(SALU_CYCLE_1) | instskip(NEXT) | instid1(VALU_DEP_1)
	s_cmp_lt_i32 s0, 11
	v_add_nc_u64_e32 v[6:7], s[8:9], v[6:7]
	s_cbranch_scc1 .LBB23_30
; %bb.23:
	s_and_b32 s39, 0xffff, s0
	s_delay_alu instid0(SALU_CYCLE_1)
	s_cmp_gt_i32 s39, 25
	s_cbranch_scc0 .LBB23_40
; %bb.24:
	s_cmp_gt_i32 s39, 28
	s_cbranch_scc0 .LBB23_43
; %bb.25:
	;; [unrolled: 3-line block ×4, first 2 shown]
	s_cmp_eq_u32 s39, 46
	s_mov_b32 s41, 0
	s_cbranch_scc0 .LBB23_160
; %bb.28:
	global_load_b32 v1, v[6:7], off
	s_mov_b32 s40, -1
	s_mov_b32 s27, 0
	s_wait_loadcnt 0x0
	v_lshlrev_b32_e32 v1, 16, v1
	s_delay_alu instid0(VALU_DEP_1)
	v_cvt_i32_f32_e32 v8, v1
	s_branch .LBB23_162
.LBB23_29:
	s_mov_b32 s26, 0
	s_mov_b32 s39, 0
                                        ; implicit-def: $vgpr4
	s_cbranch_execnz .LBB23_79
	s_branch .LBB23_111
.LBB23_30:
	s_mov_b32 s27, 0
	s_mov_b32 s40, 0
                                        ; implicit-def: $vgpr8
	s_cbranch_execnz .LBB23_334
.LBB23_31:
	s_and_not1_b32 vcc_lo, exec_lo, s40
	s_cbranch_vccnz .LBB23_382
.LBB23_32:
	s_wait_loadcnt 0x0
	s_delay_alu instid0(VALU_DEP_1) | instskip(NEXT) | instid1(VALU_DEP_4)
	v_and_b32_e32 v1, 0xff, v8
	v_and_b32_e32 v4, 0xff, v4
	v_mov_b32_e32 v3, 0
	s_and_b32 s40, s11, 0xff
	s_delay_alu instid0(VALU_DEP_2) | instskip(NEXT) | instid1(VALU_DEP_2)
	v_cmp_ne_u16_e32 vcc_lo, v4, v1
	v_add_nc_u64_e32 v[2:3], s[4:5], v[2:3]
	s_xor_b32 s39, s10, vcc_lo
	s_cmp_lt_i32 s40, 11
	s_cbranch_scc1 .LBB23_41
; %bb.33:
	s_and_b32 s41, 0xffff, s40
	s_delay_alu instid0(SALU_CYCLE_1)
	s_cmp_gt_i32 s41, 25
	s_cbranch_scc0 .LBB23_44
; %bb.34:
	s_cmp_gt_i32 s41, 28
	s_cbranch_scc0 .LBB23_47
; %bb.35:
	;; [unrolled: 3-line block ×4, first 2 shown]
	s_mov_b32 s44, 0
	s_mov_b32 s0, -1
	s_cmp_eq_u32 s41, 46
	s_mov_b32 s43, 0
	s_cbranch_scc0 .LBB23_166
; %bb.38:
	v_cndmask_b32_e64 v1, 0, 1.0, s39
	s_mov_b32 s43, -1
	s_mov_b32 s0, 0
	s_delay_alu instid0(VALU_DEP_1) | instskip(NEXT) | instid1(VALU_DEP_1)
	v_bfe_u32 v4, v1, 16, 1
	v_add3_u32 v1, v1, v4, 0x7fff
	s_delay_alu instid0(VALU_DEP_1)
	v_lshrrev_b32_e32 v1, 16, v1
	global_store_b32 v[2:3], v1, off
	s_branch .LBB23_166
.LBB23_39:
	s_mov_b32 s40, -1
	s_mov_b32 s26, 0
	s_mov_b32 s39, 0
                                        ; implicit-def: $vgpr4
	s_branch .LBB23_62
.LBB23_40:
	s_mov_b32 s41, -1
	s_mov_b32 s27, 0
	s_mov_b32 s40, 0
                                        ; implicit-def: $vgpr8
	s_branch .LBB23_300
.LBB23_41:
	s_mov_b32 s41, -1
	s_mov_b32 s0, 0
	s_mov_b32 s43, 0
	s_branch .LBB23_235
.LBB23_42:
	s_mov_b32 s40, -1
	s_mov_b32 s26, 0
	s_mov_b32 s39, 0
                                        ; implicit-def: $vgpr4
	s_branch .LBB23_57
.LBB23_43:
	s_mov_b32 s41, -1
	s_mov_b32 s27, 0
	s_mov_b32 s40, 0
                                        ; implicit-def: $vgpr8
	s_branch .LBB23_283
.LBB23_44:
	s_mov_b32 s44, -1
	s_mov_b32 s0, 0
	s_mov_b32 s43, 0
	s_branch .LBB23_193
.LBB23_45:
	s_mov_b32 s40, -1
	s_mov_b32 s26, 0
	s_branch .LBB23_49
.LBB23_46:
	s_mov_b32 s41, -1
	s_mov_b32 s27, 0
	s_mov_b32 s40, 0
                                        ; implicit-def: $vgpr8
	s_branch .LBB23_278
.LBB23_47:
	s_mov_b32 s44, -1
	s_mov_b32 s0, 0
	s_mov_b32 s43, 0
	s_branch .LBB23_176
.LBB23_48:
	s_mov_b32 s26, -1
.LBB23_49:
	s_mov_b32 s39, 0
                                        ; implicit-def: $vgpr4
.LBB23_50:
	s_and_b32 vcc_lo, exec_lo, s40
	s_cbranch_vccz .LBB23_56
; %bb.51:
	s_cmp_eq_u32 s27, 44
	s_cbranch_scc0 .LBB23_55
; %bb.52:
	global_load_u8 v1, v[8:9], off
	s_mov_b32 s26, 0
	s_mov_b32 s39, -1
	s_wait_loadcnt 0x0
	v_lshlrev_b32_e32 v3, 23, v1
	v_cmp_ne_u32_e32 vcc_lo, 0, v1
	s_delay_alu instid0(VALU_DEP_2) | instskip(NEXT) | instid1(VALU_DEP_1)
	v_cvt_i32_f32_e32 v3, v3
	v_cndmask_b32_e32 v4, 0, v3, vcc_lo
	s_branch .LBB23_56
.LBB23_53:
	s_mov_b32 s41, -1
	s_mov_b32 s27, 0
	s_branch .LBB23_161
.LBB23_54:
	s_mov_b32 s44, -1
	s_mov_b32 s0, 0
	s_mov_b32 s43, 0
	s_branch .LBB23_172
.LBB23_55:
	s_mov_b32 s26, -1
                                        ; implicit-def: $vgpr4
.LBB23_56:
	s_mov_b32 s40, 0
.LBB23_57:
	s_delay_alu instid0(SALU_CYCLE_1)
	s_and_b32 vcc_lo, exec_lo, s40
	s_cbranch_vccz .LBB23_61
; %bb.58:
	s_cmp_eq_u32 s27, 29
	s_cbranch_scc0 .LBB23_60
; %bb.59:
	global_load_b64 v[4:5], v[8:9], off
	s_mov_b32 s39, -1
	s_mov_b32 s26, 0
	s_branch .LBB23_61
.LBB23_60:
	s_mov_b32 s26, -1
                                        ; implicit-def: $vgpr4
.LBB23_61:
	s_mov_b32 s40, 0
.LBB23_62:
	s_delay_alu instid0(SALU_CYCLE_1)
	s_and_b32 vcc_lo, exec_lo, s40
	s_cbranch_vccz .LBB23_78
; %bb.63:
	s_cmp_lt_i32 s27, 27
	s_cbranch_scc1 .LBB23_66
; %bb.64:
	s_cmp_gt_i32 s27, 27
	s_cbranch_scc0 .LBB23_67
; %bb.65:
	s_wait_loadcnt 0x0
	global_load_b32 v4, v[8:9], off
	s_mov_b32 s39, 0
	s_branch .LBB23_68
.LBB23_66:
	s_mov_b32 s39, -1
                                        ; implicit-def: $vgpr4
	s_branch .LBB23_71
.LBB23_67:
	s_mov_b32 s39, -1
                                        ; implicit-def: $vgpr4
.LBB23_68:
	s_delay_alu instid0(SALU_CYCLE_1)
	s_and_not1_b32 vcc_lo, exec_lo, s39
	s_cbranch_vccnz .LBB23_70
; %bb.69:
	s_wait_loadcnt 0x0
	global_load_u16 v4, v[8:9], off
.LBB23_70:
	s_mov_b32 s39, 0
.LBB23_71:
	s_delay_alu instid0(SALU_CYCLE_1)
	s_and_not1_b32 vcc_lo, exec_lo, s39
	s_cbranch_vccnz .LBB23_77
; %bb.72:
	global_load_u8 v1, v[8:9], off
	s_mov_b32 s40, 0
	s_mov_b32 s39, exec_lo
	s_wait_loadcnt 0x0
	v_cmpx_lt_i16_e32 0x7f, v1
	s_xor_b32 s39, exec_lo, s39
	s_cbranch_execz .LBB23_88
; %bb.73:
	v_cmp_ne_u16_e32 vcc_lo, 0x80, v1
	s_and_b32 s40, vcc_lo, exec_lo
	s_and_not1_saveexec_b32 s39, s39
	s_cbranch_execnz .LBB23_89
.LBB23_74:
	s_or_b32 exec_lo, exec_lo, s39
	v_mov_b32_e32 v4, 0
	s_and_saveexec_b32 s39, s40
	s_cbranch_execz .LBB23_76
.LBB23_75:
	v_and_b32_e32 v3, 0xffff, v1
	s_delay_alu instid0(VALU_DEP_1) | instskip(SKIP_1) | instid1(VALU_DEP_2)
	v_and_b32_e32 v4, 7, v3
	v_bfe_u32 v10, v3, 3, 4
	v_clz_i32_u32_e32 v5, v4
	s_delay_alu instid0(VALU_DEP_2) | instskip(NEXT) | instid1(VALU_DEP_2)
	v_cmp_eq_u32_e32 vcc_lo, 0, v10
	v_min_u32_e32 v5, 32, v5
	s_delay_alu instid0(VALU_DEP_1) | instskip(NEXT) | instid1(VALU_DEP_1)
	v_subrev_nc_u32_e32 v7, 28, v5
	v_dual_lshlrev_b32 v3, v7, v3 :: v_dual_sub_nc_u32 v5, 29, v5
	s_delay_alu instid0(VALU_DEP_1) | instskip(NEXT) | instid1(VALU_DEP_1)
	v_dual_lshlrev_b32 v1, 24, v1 :: v_dual_bitop2_b32 v3, 7, v3 bitop3:0x40
	v_dual_cndmask_b32 v3, v4, v3, vcc_lo :: v_dual_cndmask_b32 v5, v10, v5, vcc_lo
	s_delay_alu instid0(VALU_DEP_2) | instskip(NEXT) | instid1(VALU_DEP_2)
	v_and_b32_e32 v1, 0x80000000, v1
	v_lshlrev_b32_e32 v3, 20, v3
	s_delay_alu instid0(VALU_DEP_3) | instskip(NEXT) | instid1(VALU_DEP_1)
	v_lshl_add_u32 v4, v5, 23, 0x3b800000
	v_or3_b32 v1, v1, v4, v3
	s_delay_alu instid0(VALU_DEP_1)
	v_cvt_i32_f32_e32 v4, v1
.LBB23_76:
	s_or_b32 exec_lo, exec_lo, s39
.LBB23_77:
	s_mov_b32 s39, -1
.LBB23_78:
	s_branch .LBB23_111
.LBB23_79:
	s_cmp_gt_i32 s27, 22
	s_cbranch_scc0 .LBB23_87
; %bb.80:
	s_cmp_lt_i32 s27, 24
	s_cbranch_scc1 .LBB23_90
; %bb.81:
	s_cmp_gt_i32 s27, 24
	s_cbranch_scc0 .LBB23_91
; %bb.82:
	global_load_u8 v1, v[8:9], off
	s_mov_b32 s40, 0
	s_mov_b32 s39, exec_lo
	s_wait_loadcnt 0x0
	v_cmpx_lt_i16_e32 0x7f, v1
	s_xor_b32 s39, exec_lo, s39
	s_cbranch_execz .LBB23_103
; %bb.83:
	v_cmp_ne_u16_e32 vcc_lo, 0x80, v1
	s_and_b32 s40, vcc_lo, exec_lo
	s_and_not1_saveexec_b32 s39, s39
	s_cbranch_execnz .LBB23_104
.LBB23_84:
	s_or_b32 exec_lo, exec_lo, s39
	v_mov_b32_e32 v4, 0
	s_and_saveexec_b32 s39, s40
	s_cbranch_execz .LBB23_86
.LBB23_85:
	v_and_b32_e32 v3, 0xffff, v1
	s_delay_alu instid0(VALU_DEP_1) | instskip(SKIP_1) | instid1(VALU_DEP_2)
	v_and_b32_e32 v4, 3, v3
	v_bfe_u32 v10, v3, 2, 5
	v_clz_i32_u32_e32 v5, v4
	s_delay_alu instid0(VALU_DEP_2) | instskip(NEXT) | instid1(VALU_DEP_2)
	v_cmp_eq_u32_e32 vcc_lo, 0, v10
	v_min_u32_e32 v5, 32, v5
	s_delay_alu instid0(VALU_DEP_1) | instskip(NEXT) | instid1(VALU_DEP_1)
	v_subrev_nc_u32_e32 v7, 29, v5
	v_dual_lshlrev_b32 v3, v7, v3 :: v_dual_sub_nc_u32 v5, 30, v5
	s_delay_alu instid0(VALU_DEP_1) | instskip(NEXT) | instid1(VALU_DEP_1)
	v_dual_lshlrev_b32 v1, 24, v1 :: v_dual_bitop2_b32 v3, 3, v3 bitop3:0x40
	v_dual_cndmask_b32 v3, v4, v3, vcc_lo :: v_dual_cndmask_b32 v5, v10, v5, vcc_lo
	s_delay_alu instid0(VALU_DEP_2) | instskip(NEXT) | instid1(VALU_DEP_2)
	v_and_b32_e32 v1, 0x80000000, v1
	v_lshlrev_b32_e32 v3, 21, v3
	s_delay_alu instid0(VALU_DEP_3) | instskip(NEXT) | instid1(VALU_DEP_1)
	v_lshl_add_u32 v4, v5, 23, 0x37800000
	v_or3_b32 v1, v1, v4, v3
	s_delay_alu instid0(VALU_DEP_1)
	v_cvt_i32_f32_e32 v4, v1
.LBB23_86:
	s_or_b32 exec_lo, exec_lo, s39
	s_mov_b32 s39, 0
	s_branch .LBB23_92
.LBB23_87:
	s_mov_b32 s40, -1
                                        ; implicit-def: $vgpr4
	s_branch .LBB23_98
.LBB23_88:
	s_and_not1_saveexec_b32 s39, s39
	s_cbranch_execz .LBB23_74
.LBB23_89:
	v_cmp_ne_u16_e32 vcc_lo, 0, v1
	s_and_not1_b32 s40, s40, exec_lo
	s_and_b32 s41, vcc_lo, exec_lo
	s_delay_alu instid0(SALU_CYCLE_1)
	s_or_b32 s40, s40, s41
	s_or_b32 exec_lo, exec_lo, s39
	v_mov_b32_e32 v4, 0
	s_and_saveexec_b32 s39, s40
	s_cbranch_execnz .LBB23_75
	s_branch .LBB23_76
.LBB23_90:
	s_mov_b32 s39, -1
                                        ; implicit-def: $vgpr4
	s_branch .LBB23_95
.LBB23_91:
	s_mov_b32 s39, -1
                                        ; implicit-def: $vgpr4
.LBB23_92:
	s_delay_alu instid0(SALU_CYCLE_1)
	s_and_b32 vcc_lo, exec_lo, s39
	s_cbranch_vccz .LBB23_94
; %bb.93:
	global_load_u8 v1, v[8:9], off
	s_wait_loadcnt 0x0
	v_lshlrev_b32_e32 v1, 24, v1
	s_delay_alu instid0(VALU_DEP_1) | instskip(NEXT) | instid1(VALU_DEP_1)
	v_and_b32_e32 v3, 0x7f000000, v1
	v_clz_i32_u32_e32 v4, v3
	v_add_nc_u32_e32 v7, 0x1000000, v3
	v_cmp_ne_u32_e32 vcc_lo, 0, v3
	s_delay_alu instid0(VALU_DEP_3) | instskip(NEXT) | instid1(VALU_DEP_1)
	v_min_u32_e32 v4, 32, v4
	v_sub_nc_u32_e64 v4, v4, 4 clamp
	s_delay_alu instid0(VALU_DEP_1) | instskip(NEXT) | instid1(VALU_DEP_1)
	v_dual_lshlrev_b32 v5, v4, v3 :: v_dual_lshlrev_b32 v4, 23, v4
	v_lshrrev_b32_e32 v5, 4, v5
	s_delay_alu instid0(VALU_DEP_1) | instskip(NEXT) | instid1(VALU_DEP_1)
	v_dual_sub_nc_u32 v4, v5, v4 :: v_dual_ashrrev_i32 v5, 8, v7
	v_add_nc_u32_e32 v4, 0x3c000000, v4
	s_delay_alu instid0(VALU_DEP_1) | instskip(NEXT) | instid1(VALU_DEP_1)
	v_and_or_b32 v4, 0x7f800000, v5, v4
	v_cndmask_b32_e32 v3, 0, v4, vcc_lo
	s_delay_alu instid0(VALU_DEP_1) | instskip(NEXT) | instid1(VALU_DEP_1)
	v_and_or_b32 v1, 0x80000000, v1, v3
	v_cvt_i32_f32_e32 v4, v1
.LBB23_94:
	s_mov_b32 s39, 0
.LBB23_95:
	s_delay_alu instid0(SALU_CYCLE_1)
	s_and_not1_b32 vcc_lo, exec_lo, s39
	s_cbranch_vccnz .LBB23_97
; %bb.96:
	global_load_u8 v1, v[8:9], off
	s_wait_loadcnt 0x0
	v_lshlrev_b32_e32 v3, 25, v1
	v_lshlrev_b16 v1, 8, v1
	s_delay_alu instid0(VALU_DEP_1) | instskip(NEXT) | instid1(VALU_DEP_3)
	v_and_or_b32 v5, 0x7f00, v1, 0.5
	v_lshrrev_b32_e32 v4, 4, v3
	v_bfe_i32 v1, v1, 0, 16
	s_delay_alu instid0(VALU_DEP_3) | instskip(NEXT) | instid1(VALU_DEP_3)
	v_add_f32_e32 v5, -0.5, v5
	v_or_b32_e32 v4, 0x70000000, v4
	s_delay_alu instid0(VALU_DEP_1) | instskip(SKIP_1) | instid1(VALU_DEP_2)
	v_mul_f32_e32 v4, 0x7800000, v4
	v_cmp_gt_u32_e32 vcc_lo, 0x8000000, v3
	v_cndmask_b32_e32 v3, v4, v5, vcc_lo
	s_delay_alu instid0(VALU_DEP_1) | instskip(NEXT) | instid1(VALU_DEP_1)
	v_and_or_b32 v1, 0x80000000, v1, v3
	v_cvt_i32_f32_e32 v4, v1
.LBB23_97:
	s_mov_b32 s40, 0
	s_mov_b32 s39, -1
.LBB23_98:
	s_and_not1_b32 vcc_lo, exec_lo, s40
	s_cbranch_vccnz .LBB23_111
; %bb.99:
	s_cmp_gt_i32 s27, 14
	s_cbranch_scc0 .LBB23_102
; %bb.100:
	s_cmp_eq_u32 s27, 15
	s_cbranch_scc0 .LBB23_105
; %bb.101:
	global_load_u16 v1, v[8:9], off
	s_mov_b32 s39, -1
	s_mov_b32 s26, 0
	s_wait_loadcnt 0x0
	v_lshlrev_b32_e32 v1, 16, v1
	s_delay_alu instid0(VALU_DEP_1)
	v_cvt_i32_f32_e32 v4, v1
	s_branch .LBB23_106
.LBB23_102:
	s_mov_b32 s40, -1
                                        ; implicit-def: $vgpr4
	s_branch .LBB23_107
.LBB23_103:
	s_and_not1_saveexec_b32 s39, s39
	s_cbranch_execz .LBB23_84
.LBB23_104:
	v_cmp_ne_u16_e32 vcc_lo, 0, v1
	s_and_not1_b32 s40, s40, exec_lo
	s_and_b32 s41, vcc_lo, exec_lo
	s_delay_alu instid0(SALU_CYCLE_1)
	s_or_b32 s40, s40, s41
	s_or_b32 exec_lo, exec_lo, s39
	v_mov_b32_e32 v4, 0
	s_and_saveexec_b32 s39, s40
	s_cbranch_execnz .LBB23_85
	s_branch .LBB23_86
.LBB23_105:
	s_mov_b32 s26, -1
                                        ; implicit-def: $vgpr4
.LBB23_106:
	s_mov_b32 s40, 0
.LBB23_107:
	s_delay_alu instid0(SALU_CYCLE_1)
	s_and_b32 vcc_lo, exec_lo, s40
	s_cbranch_vccz .LBB23_111
; %bb.108:
	s_cmp_eq_u32 s27, 11
	s_cbranch_scc0 .LBB23_110
; %bb.109:
	global_load_u8 v1, v[8:9], off
	s_mov_b32 s26, 0
	s_mov_b32 s39, -1
	s_wait_loadcnt 0x0
	v_cmp_ne_u16_e32 vcc_lo, 0, v1
	v_cndmask_b32_e64 v4, 0, 1, vcc_lo
	s_branch .LBB23_111
.LBB23_110:
	s_mov_b32 s26, -1
                                        ; implicit-def: $vgpr4
.LBB23_111:
	s_branch .LBB23_21
.LBB23_112:
	s_and_b32 s0, 0xffff, s0
	s_delay_alu instid0(SALU_CYCLE_1)
	s_cmp_lt_i32 s0, 5
	s_cbranch_scc1 .LBB23_117
; %bb.113:
	s_cmp_lt_i32 s0, 8
	s_cbranch_scc1 .LBB23_118
; %bb.114:
	;; [unrolled: 3-line block ×3, first 2 shown]
	s_cmp_gt_i32 s0, 9
	s_cbranch_scc0 .LBB23_120
; %bb.116:
	s_wait_loadcnt 0x0
	global_load_b64 v[4:5], v[8:9], off
	s_mov_b32 s27, 0
	s_wait_loadcnt 0x0
	v_cvt_i32_f64_e32 v4, v[4:5]
	s_branch .LBB23_121
.LBB23_117:
                                        ; implicit-def: $vgpr4
	s_branch .LBB23_139
.LBB23_118:
	s_mov_b32 s27, -1
                                        ; implicit-def: $vgpr4
	s_branch .LBB23_127
.LBB23_119:
	s_mov_b32 s27, -1
                                        ; implicit-def: $vgpr4
	s_branch .LBB23_124
.LBB23_120:
	s_mov_b32 s27, -1
                                        ; implicit-def: $vgpr4
.LBB23_121:
	s_delay_alu instid0(SALU_CYCLE_1)
	s_and_not1_b32 vcc_lo, exec_lo, s27
	s_cbranch_vccnz .LBB23_123
; %bb.122:
	global_load_b32 v1, v[8:9], off
	s_wait_loadcnt 0x0
	v_cvt_i32_f32_e32 v4, v1
.LBB23_123:
	s_mov_b32 s27, 0
.LBB23_124:
	s_delay_alu instid0(SALU_CYCLE_1)
	s_and_not1_b32 vcc_lo, exec_lo, s27
	s_cbranch_vccnz .LBB23_126
; %bb.125:
	global_load_b32 v1, v[8:9], off
	s_wait_loadcnt 0x0
	v_cvt_i16_f16_e32 v4, v1
.LBB23_126:
	s_mov_b32 s27, 0
.LBB23_127:
	s_delay_alu instid0(SALU_CYCLE_1)
	s_and_not1_b32 vcc_lo, exec_lo, s27
	s_cbranch_vccnz .LBB23_138
; %bb.128:
	s_cmp_lt_i32 s0, 6
	s_cbranch_scc1 .LBB23_131
; %bb.129:
	s_cmp_gt_i32 s0, 6
	s_cbranch_scc0 .LBB23_132
; %bb.130:
	s_wait_loadcnt 0x0
	global_load_b64 v[4:5], v[8:9], off
	s_mov_b32 s27, 0
	s_wait_loadcnt 0x0
	v_cvt_i32_f64_e32 v4, v[4:5]
	s_branch .LBB23_133
.LBB23_131:
	s_mov_b32 s27, -1
                                        ; implicit-def: $vgpr4
	s_branch .LBB23_136
.LBB23_132:
	s_mov_b32 s27, -1
                                        ; implicit-def: $vgpr4
.LBB23_133:
	s_delay_alu instid0(SALU_CYCLE_1)
	s_and_not1_b32 vcc_lo, exec_lo, s27
	s_cbranch_vccnz .LBB23_135
; %bb.134:
	global_load_b32 v1, v[8:9], off
	s_wait_loadcnt 0x0
	v_cvt_i32_f32_e32 v4, v1
.LBB23_135:
	s_mov_b32 s27, 0
.LBB23_136:
	s_delay_alu instid0(SALU_CYCLE_1)
	s_and_not1_b32 vcc_lo, exec_lo, s27
	s_cbranch_vccnz .LBB23_138
; %bb.137:
	global_load_u16 v1, v[8:9], off
	s_wait_loadcnt 0x0
	v_cvt_i16_f16_e32 v4, v1
.LBB23_138:
	s_cbranch_execnz .LBB23_158
.LBB23_139:
	s_cmp_lt_i32 s0, 2
	s_cbranch_scc1 .LBB23_143
; %bb.140:
	s_cmp_lt_i32 s0, 3
	s_cbranch_scc1 .LBB23_144
; %bb.141:
	s_cmp_gt_i32 s0, 3
	s_cbranch_scc0 .LBB23_145
; %bb.142:
	s_wait_loadcnt 0x0
	global_load_b64 v[4:5], v[8:9], off
	s_mov_b32 s27, 0
	s_branch .LBB23_146
.LBB23_143:
	s_mov_b32 s27, -1
                                        ; implicit-def: $vgpr4
	s_branch .LBB23_152
.LBB23_144:
	s_mov_b32 s27, -1
                                        ; implicit-def: $vgpr4
	s_branch .LBB23_149
.LBB23_145:
	s_mov_b32 s27, -1
                                        ; implicit-def: $vgpr4
.LBB23_146:
	s_delay_alu instid0(SALU_CYCLE_1)
	s_and_not1_b32 vcc_lo, exec_lo, s27
	s_cbranch_vccnz .LBB23_148
; %bb.147:
	s_wait_loadcnt 0x0
	global_load_b32 v4, v[8:9], off
.LBB23_148:
	s_mov_b32 s27, 0
.LBB23_149:
	s_delay_alu instid0(SALU_CYCLE_1)
	s_and_not1_b32 vcc_lo, exec_lo, s27
	s_cbranch_vccnz .LBB23_151
; %bb.150:
	s_wait_loadcnt 0x0
	global_load_u16 v4, v[8:9], off
.LBB23_151:
	s_mov_b32 s27, 0
.LBB23_152:
	s_delay_alu instid0(SALU_CYCLE_1)
	s_and_not1_b32 vcc_lo, exec_lo, s27
	s_cbranch_vccnz .LBB23_158
; %bb.153:
	s_cmp_gt_i32 s0, 0
	s_mov_b32 s0, 0
	s_cbranch_scc0 .LBB23_155
; %bb.154:
	s_wait_loadcnt 0x0
	global_load_u8 v4, v[8:9], off
	s_branch .LBB23_156
.LBB23_155:
	s_mov_b32 s0, -1
                                        ; implicit-def: $vgpr4
.LBB23_156:
	s_delay_alu instid0(SALU_CYCLE_1)
	s_and_not1_b32 vcc_lo, exec_lo, s0
	s_cbranch_vccnz .LBB23_158
; %bb.157:
	s_wait_loadcnt 0x0
	global_load_u8 v4, v[8:9], off
.LBB23_158:
	s_branch .LBB23_22
.LBB23_159:
	s_mov_b32 s0, 0
	s_mov_b32 s27, 0
	s_branch .LBB23_383
.LBB23_160:
	s_mov_b32 s27, -1
.LBB23_161:
	s_mov_b32 s40, 0
                                        ; implicit-def: $vgpr8
.LBB23_162:
	s_and_b32 vcc_lo, exec_lo, s41
	s_cbranch_vccz .LBB23_277
; %bb.163:
	s_cmp_eq_u32 s39, 44
	s_cbranch_scc0 .LBB23_276
; %bb.164:
	global_load_u8 v1, v[6:7], off
	s_mov_b32 s27, 0
	s_mov_b32 s40, -1
	s_wait_loadcnt 0x0
	v_lshlrev_b32_e32 v3, 23, v1
	v_cmp_ne_u32_e32 vcc_lo, 0, v1
	s_delay_alu instid0(VALU_DEP_2) | instskip(NEXT) | instid1(VALU_DEP_1)
	v_cvt_i32_f32_e32 v3, v3
	v_cndmask_b32_e32 v8, 0, v3, vcc_lo
	s_branch .LBB23_277
.LBB23_165:
	s_mov_b32 s44, -1
	s_mov_b32 s0, 0
	s_mov_b32 s43, 0
.LBB23_166:
	s_and_b32 vcc_lo, exec_lo, s44
	s_cbranch_vccz .LBB23_171
; %bb.167:
	s_cmp_eq_u32 s41, 44
	s_mov_b32 s0, -1
	s_cbranch_scc0 .LBB23_171
; %bb.168:
	v_cndmask_b32_e64 v5, 0, 1.0, s39
	s_mov_b32 s43, exec_lo
	s_wait_xcnt 0x0
	s_delay_alu instid0(VALU_DEP_1) | instskip(NEXT) | instid1(VALU_DEP_1)
	v_dual_mov_b32 v4, 0xff :: v_dual_lshrrev_b32 v1, 23, v5
	v_cmpx_ne_u32_e32 0xff, v1
; %bb.169:
	v_and_b32_e32 v4, 0x400000, v5
	v_and_or_b32 v5, 0x3fffff, v5, v1
	s_delay_alu instid0(VALU_DEP_2) | instskip(NEXT) | instid1(VALU_DEP_2)
	v_cmp_ne_u32_e32 vcc_lo, 0, v4
	v_cmp_ne_u32_e64 s0, 0, v5
	s_and_b32 s0, vcc_lo, s0
	s_delay_alu instid0(SALU_CYCLE_1) | instskip(NEXT) | instid1(VALU_DEP_1)
	v_cndmask_b32_e64 v4, 0, 1, s0
	v_add_nc_u32_e32 v4, v1, v4
; %bb.170:
	s_or_b32 exec_lo, exec_lo, s43
	s_mov_b32 s43, -1
	s_mov_b32 s0, 0
	global_store_b8 v[2:3], v4, off
.LBB23_171:
	s_mov_b32 s44, 0
.LBB23_172:
	s_delay_alu instid0(SALU_CYCLE_1)
	s_and_b32 vcc_lo, exec_lo, s44
	s_cbranch_vccz .LBB23_175
; %bb.173:
	s_cmp_eq_u32 s41, 29
	s_mov_b32 s0, -1
	s_cbranch_scc0 .LBB23_175
; %bb.174:
	s_mov_b32 s0, 0
	s_wait_xcnt 0x0
	v_cndmask_b32_e64 v4, 0, 1, s39
	v_mov_b32_e32 v5, s0
	s_mov_b32 s43, -1
	s_mov_b32 s44, 0
	global_store_b64 v[2:3], v[4:5], off
	s_branch .LBB23_176
.LBB23_175:
	s_mov_b32 s44, 0
.LBB23_176:
	s_delay_alu instid0(SALU_CYCLE_1)
	s_and_b32 vcc_lo, exec_lo, s44
	s_cbranch_vccz .LBB23_192
; %bb.177:
	s_cmp_lt_i32 s41, 27
	s_mov_b32 s43, -1
	s_cbranch_scc1 .LBB23_183
; %bb.178:
	s_cmp_gt_i32 s41, 27
	s_cbranch_scc0 .LBB23_180
; %bb.179:
	s_wait_xcnt 0x0
	v_cndmask_b32_e64 v1, 0, 1, s39
	s_mov_b32 s43, 0
	global_store_b32 v[2:3], v1, off
.LBB23_180:
	s_and_not1_b32 vcc_lo, exec_lo, s43
	s_cbranch_vccnz .LBB23_182
; %bb.181:
	s_wait_xcnt 0x0
	v_cndmask_b32_e64 v1, 0, 1, s39
	global_store_b16 v[2:3], v1, off
.LBB23_182:
	s_mov_b32 s43, 0
.LBB23_183:
	s_delay_alu instid0(SALU_CYCLE_1)
	s_and_not1_b32 vcc_lo, exec_lo, s43
	s_cbranch_vccnz .LBB23_191
; %bb.184:
	s_wait_xcnt 0x0
	v_cndmask_b32_e64 v4, 0, 1.0, s39
	v_mov_b32_e32 v5, 0x80
	s_mov_b32 s43, exec_lo
	s_delay_alu instid0(VALU_DEP_2)
	v_cmpx_gt_u32_e32 0x43800000, v4
	s_cbranch_execz .LBB23_190
; %bb.185:
	s_mov_b32 s44, 0
	s_mov_b32 s45, exec_lo
                                        ; implicit-def: $vgpr1
	v_cmpx_lt_u32_e32 0x3bffffff, v4
	s_xor_b32 s45, exec_lo, s45
	s_cbranch_execz .LBB23_425
; %bb.186:
	v_bfe_u32 v1, v4, 20, 1
	s_mov_b32 s44, exec_lo
	s_delay_alu instid0(VALU_DEP_1) | instskip(NEXT) | instid1(VALU_DEP_1)
	v_add3_u32 v1, v4, v1, 0x487ffff
                                        ; implicit-def: $vgpr4
	v_lshrrev_b32_e32 v1, 20, v1
	s_and_not1_saveexec_b32 s45, s45
	s_cbranch_execnz .LBB23_426
.LBB23_187:
	s_or_b32 exec_lo, exec_lo, s45
	v_mov_b32_e32 v5, 0
	s_and_saveexec_b32 s45, s44
.LBB23_188:
	v_mov_b32_e32 v5, v1
.LBB23_189:
	s_or_b32 exec_lo, exec_lo, s45
.LBB23_190:
	s_delay_alu instid0(SALU_CYCLE_1)
	s_or_b32 exec_lo, exec_lo, s43
	global_store_b8 v[2:3], v5, off
.LBB23_191:
	s_mov_b32 s43, -1
.LBB23_192:
	s_mov_b32 s44, 0
.LBB23_193:
	s_delay_alu instid0(SALU_CYCLE_1)
	s_and_b32 vcc_lo, exec_lo, s44
	s_cbranch_vccz .LBB23_234
; %bb.194:
	s_cmp_gt_i32 s41, 22
	s_mov_b32 s44, -1
	s_cbranch_scc0 .LBB23_226
; %bb.195:
	s_cmp_lt_i32 s41, 24
	s_mov_b32 s43, -1
	s_cbranch_scc1 .LBB23_215
; %bb.196:
	s_cmp_gt_i32 s41, 24
	s_cbranch_scc0 .LBB23_204
; %bb.197:
	s_wait_xcnt 0x0
	v_cndmask_b32_e64 v4, 0, 1.0, s39
	v_mov_b32_e32 v5, 0x80
	s_mov_b32 s43, exec_lo
	s_delay_alu instid0(VALU_DEP_2)
	v_cmpx_gt_u32_e32 0x47800000, v4
	s_cbranch_execz .LBB23_203
; %bb.198:
	s_mov_b32 s44, 0
	s_mov_b32 s45, exec_lo
                                        ; implicit-def: $vgpr1
	v_cmpx_lt_u32_e32 0x37ffffff, v4
	s_xor_b32 s45, exec_lo, s45
	s_cbranch_execz .LBB23_540
; %bb.199:
	v_bfe_u32 v1, v4, 21, 1
	s_mov_b32 s44, exec_lo
	s_delay_alu instid0(VALU_DEP_1) | instskip(NEXT) | instid1(VALU_DEP_1)
	v_add3_u32 v1, v4, v1, 0x88fffff
                                        ; implicit-def: $vgpr4
	v_lshrrev_b32_e32 v1, 21, v1
	s_and_not1_saveexec_b32 s45, s45
	s_cbranch_execnz .LBB23_541
.LBB23_200:
	s_or_b32 exec_lo, exec_lo, s45
	v_mov_b32_e32 v5, 0
	s_and_saveexec_b32 s45, s44
.LBB23_201:
	v_mov_b32_e32 v5, v1
.LBB23_202:
	s_or_b32 exec_lo, exec_lo, s45
.LBB23_203:
	s_delay_alu instid0(SALU_CYCLE_1)
	s_or_b32 exec_lo, exec_lo, s43
	s_mov_b32 s43, 0
	global_store_b8 v[2:3], v5, off
.LBB23_204:
	s_and_b32 vcc_lo, exec_lo, s43
	s_cbranch_vccz .LBB23_214
; %bb.205:
	s_wait_xcnt 0x0
	v_cndmask_b32_e64 v4, 0, 1.0, s39
	s_mov_b32 s43, exec_lo
                                        ; implicit-def: $vgpr1
	s_delay_alu instid0(VALU_DEP_1)
	v_cmpx_gt_u32_e32 0x43f00000, v4
	s_xor_b32 s43, exec_lo, s43
	s_cbranch_execz .LBB23_211
; %bb.206:
	s_mov_b32 s44, exec_lo
                                        ; implicit-def: $vgpr1
	v_cmpx_lt_u32_e32 0x3c7fffff, v4
	s_xor_b32 s44, exec_lo, s44
; %bb.207:
	v_bfe_u32 v1, v4, 20, 1
	s_delay_alu instid0(VALU_DEP_1) | instskip(NEXT) | instid1(VALU_DEP_1)
	v_add3_u32 v1, v4, v1, 0x407ffff
	v_and_b32_e32 v4, 0xff00000, v1
	v_lshrrev_b32_e32 v1, 20, v1
	s_delay_alu instid0(VALU_DEP_2) | instskip(NEXT) | instid1(VALU_DEP_2)
	v_cmp_ne_u32_e32 vcc_lo, 0x7f00000, v4
                                        ; implicit-def: $vgpr4
	v_cndmask_b32_e32 v1, 0x7e, v1, vcc_lo
; %bb.208:
	s_and_not1_saveexec_b32 s44, s44
; %bb.209:
	v_add_f32_e32 v1, 0x46800000, v4
; %bb.210:
	s_or_b32 exec_lo, exec_lo, s44
                                        ; implicit-def: $vgpr4
.LBB23_211:
	s_and_not1_saveexec_b32 s43, s43
; %bb.212:
	v_mov_b32_e32 v1, 0x7f
	v_cmp_lt_u32_e32 vcc_lo, 0x7f800000, v4
	s_delay_alu instid0(VALU_DEP_2)
	v_cndmask_b32_e32 v1, 0x7e, v1, vcc_lo
; %bb.213:
	s_or_b32 exec_lo, exec_lo, s43
	global_store_b8 v[2:3], v1, off
.LBB23_214:
	s_mov_b32 s43, 0
.LBB23_215:
	s_delay_alu instid0(SALU_CYCLE_1)
	s_and_not1_b32 vcc_lo, exec_lo, s43
	s_cbranch_vccnz .LBB23_225
; %bb.216:
	s_wait_xcnt 0x0
	v_cndmask_b32_e64 v4, 0, 1.0, s39
	s_mov_b32 s43, exec_lo
                                        ; implicit-def: $vgpr1
	s_delay_alu instid0(VALU_DEP_1)
	v_cmpx_gt_u32_e32 0x47800000, v4
	s_xor_b32 s43, exec_lo, s43
	s_cbranch_execz .LBB23_222
; %bb.217:
	s_mov_b32 s44, exec_lo
                                        ; implicit-def: $vgpr1
	v_cmpx_lt_u32_e32 0x387fffff, v4
	s_xor_b32 s44, exec_lo, s44
; %bb.218:
	v_bfe_u32 v1, v4, 21, 1
	s_delay_alu instid0(VALU_DEP_1) | instskip(NEXT) | instid1(VALU_DEP_1)
	v_add3_u32 v1, v4, v1, 0x80fffff
                                        ; implicit-def: $vgpr4
	v_lshrrev_b32_e32 v1, 21, v1
; %bb.219:
	s_and_not1_saveexec_b32 s44, s44
; %bb.220:
	v_add_f32_e32 v1, 0x43000000, v4
; %bb.221:
	s_or_b32 exec_lo, exec_lo, s44
                                        ; implicit-def: $vgpr4
.LBB23_222:
	s_and_not1_saveexec_b32 s43, s43
; %bb.223:
	v_mov_b32_e32 v1, 0x7f
	v_cmp_lt_u32_e32 vcc_lo, 0x7f800000, v4
	s_delay_alu instid0(VALU_DEP_2)
	v_cndmask_b32_e32 v1, 0x7c, v1, vcc_lo
; %bb.224:
	s_or_b32 exec_lo, exec_lo, s43
	global_store_b8 v[2:3], v1, off
.LBB23_225:
	s_mov_b32 s44, 0
	s_mov_b32 s43, -1
.LBB23_226:
	s_and_not1_b32 vcc_lo, exec_lo, s44
	s_cbranch_vccnz .LBB23_234
; %bb.227:
	s_cmp_gt_i32 s41, 14
	s_mov_b32 s44, -1
	s_cbranch_scc0 .LBB23_231
; %bb.228:
	s_cmp_eq_u32 s41, 15
	s_mov_b32 s0, -1
	s_cbranch_scc0 .LBB23_230
; %bb.229:
	s_wait_xcnt 0x0
	v_cndmask_b32_e64 v1, 0, 1.0, s39
	s_mov_b32 s43, -1
	s_mov_b32 s0, 0
	s_delay_alu instid0(VALU_DEP_1) | instskip(NEXT) | instid1(VALU_DEP_1)
	v_bfe_u32 v4, v1, 16, 1
	v_add3_u32 v1, v1, v4, 0x7fff
	global_store_d16_hi_b16 v[2:3], v1, off
.LBB23_230:
	s_mov_b32 s44, 0
.LBB23_231:
	s_delay_alu instid0(SALU_CYCLE_1)
	s_and_b32 vcc_lo, exec_lo, s44
	s_cbranch_vccz .LBB23_234
; %bb.232:
	s_cmp_eq_u32 s41, 11
	s_mov_b32 s0, -1
	s_cbranch_scc0 .LBB23_234
; %bb.233:
	s_wait_xcnt 0x0
	v_cndmask_b32_e64 v1, 0, 1, s39
	s_mov_b32 s43, -1
	s_mov_b32 s0, 0
	global_store_b8 v[2:3], v1, off
.LBB23_234:
	s_mov_b32 s41, 0
.LBB23_235:
	s_delay_alu instid0(SALU_CYCLE_1)
	s_and_b32 vcc_lo, exec_lo, s41
	s_cbranch_vccz .LBB23_274
; %bb.236:
	s_and_b32 s40, 0xffff, s40
	s_mov_b32 s41, -1
	s_cmp_lt_i32 s40, 5
	s_cbranch_scc1 .LBB23_257
; %bb.237:
	s_cmp_lt_i32 s40, 8
	s_cbranch_scc1 .LBB23_247
; %bb.238:
	;; [unrolled: 3-line block ×3, first 2 shown]
	s_cmp_gt_i32 s40, 9
	s_cbranch_scc0 .LBB23_241
; %bb.240:
	s_wait_xcnt 0x0
	v_cndmask_b32_e64 v1, 0, 1, s39
	v_mov_b32_e32 v6, 0
	s_mov_b32 s41, 0
	s_delay_alu instid0(VALU_DEP_2) | instskip(NEXT) | instid1(VALU_DEP_2)
	v_cvt_f64_u32_e32 v[4:5], v1
	v_mov_b32_e32 v7, v6
	global_store_b128 v[2:3], v[4:7], off
.LBB23_241:
	s_and_not1_b32 vcc_lo, exec_lo, s41
	s_cbranch_vccnz .LBB23_243
; %bb.242:
	s_wait_xcnt 0x0
	v_cndmask_b32_e64 v4, 0, 1.0, s39
	v_mov_b32_e32 v5, 0
	global_store_b64 v[2:3], v[4:5], off
.LBB23_243:
	s_mov_b32 s41, 0
.LBB23_244:
	s_delay_alu instid0(SALU_CYCLE_1)
	s_and_not1_b32 vcc_lo, exec_lo, s41
	s_cbranch_vccnz .LBB23_246
; %bb.245:
	s_wait_xcnt 0x0
	v_cndmask_b32_e64 v1, 0, 1.0, s39
	s_delay_alu instid0(VALU_DEP_1) | instskip(NEXT) | instid1(VALU_DEP_1)
	v_cvt_f16_f32_e32 v1, v1
	v_and_b32_e32 v1, 0xffff, v1
	global_store_b32 v[2:3], v1, off
.LBB23_246:
	s_mov_b32 s41, 0
.LBB23_247:
	s_delay_alu instid0(SALU_CYCLE_1)
	s_and_not1_b32 vcc_lo, exec_lo, s41
	s_cbranch_vccnz .LBB23_256
; %bb.248:
	s_cmp_lt_i32 s40, 6
	s_mov_b32 s41, -1
	s_cbranch_scc1 .LBB23_254
; %bb.249:
	s_cmp_gt_i32 s40, 6
	s_cbranch_scc0 .LBB23_251
; %bb.250:
	s_wait_xcnt 0x0
	v_cndmask_b32_e64 v1, 0, 1, s39
	s_mov_b32 s41, 0
	s_delay_alu instid0(VALU_DEP_1)
	v_cvt_f64_u32_e32 v[4:5], v1
	global_store_b64 v[2:3], v[4:5], off
.LBB23_251:
	s_and_not1_b32 vcc_lo, exec_lo, s41
	s_cbranch_vccnz .LBB23_253
; %bb.252:
	s_wait_xcnt 0x0
	v_cndmask_b32_e64 v1, 0, 1.0, s39
	global_store_b32 v[2:3], v1, off
.LBB23_253:
	s_mov_b32 s41, 0
.LBB23_254:
	s_delay_alu instid0(SALU_CYCLE_1)
	s_and_not1_b32 vcc_lo, exec_lo, s41
	s_cbranch_vccnz .LBB23_256
; %bb.255:
	s_wait_xcnt 0x0
	v_cndmask_b32_e64 v1, 0, 1.0, s39
	s_delay_alu instid0(VALU_DEP_1)
	v_cvt_f16_f32_e32 v1, v1
	global_store_b16 v[2:3], v1, off
.LBB23_256:
	s_mov_b32 s41, 0
.LBB23_257:
	s_delay_alu instid0(SALU_CYCLE_1)
	s_and_not1_b32 vcc_lo, exec_lo, s41
	s_cbranch_vccnz .LBB23_273
; %bb.258:
	s_cmp_lt_i32 s40, 2
	s_mov_b32 s41, -1
	s_cbranch_scc1 .LBB23_268
; %bb.259:
	s_cmp_lt_i32 s40, 3
	s_cbranch_scc1 .LBB23_265
; %bb.260:
	s_cmp_gt_i32 s40, 3
	s_cbranch_scc0 .LBB23_262
; %bb.261:
	s_mov_b32 s41, 0
	s_wait_xcnt 0x0
	v_cndmask_b32_e64 v4, 0, 1, s39
	v_mov_b32_e32 v5, s41
	global_store_b64 v[2:3], v[4:5], off
.LBB23_262:
	s_and_not1_b32 vcc_lo, exec_lo, s41
	s_cbranch_vccnz .LBB23_264
; %bb.263:
	s_wait_xcnt 0x0
	v_cndmask_b32_e64 v1, 0, 1, s39
	global_store_b32 v[2:3], v1, off
.LBB23_264:
	s_mov_b32 s41, 0
.LBB23_265:
	s_delay_alu instid0(SALU_CYCLE_1)
	s_and_not1_b32 vcc_lo, exec_lo, s41
	s_cbranch_vccnz .LBB23_267
; %bb.266:
	s_wait_xcnt 0x0
	v_cndmask_b32_e64 v1, 0, 1, s39
	global_store_b16 v[2:3], v1, off
.LBB23_267:
	s_mov_b32 s41, 0
.LBB23_268:
	s_delay_alu instid0(SALU_CYCLE_1)
	s_and_not1_b32 vcc_lo, exec_lo, s41
	s_cbranch_vccnz .LBB23_273
; %bb.269:
	s_cmp_gt_i32 s40, 0
	s_mov_b32 s40, -1
	s_cbranch_scc0 .LBB23_271
; %bb.270:
	s_wait_xcnt 0x0
	v_cndmask_b32_e64 v1, 0, 1, s39
	s_mov_b32 s40, 0
	global_store_b8 v[2:3], v1, off
.LBB23_271:
	s_and_not1_b32 vcc_lo, exec_lo, s40
	s_cbranch_vccnz .LBB23_273
; %bb.272:
	s_wait_xcnt 0x0
	v_cndmask_b32_e64 v1, 0, 1, s39
	global_store_b8 v[2:3], v1, off
.LBB23_273:
	s_mov_b32 s43, -1
.LBB23_274:
	s_delay_alu instid0(SALU_CYCLE_1)
	s_and_not1_b32 vcc_lo, exec_lo, s43
	s_cbranch_vccnz .LBB23_383
; %bb.275:
	v_add_nc_u32_e32 v0, 0x80, v0
	s_mov_b32 s43, -1
	s_branch .LBB23_384
.LBB23_276:
	s_mov_b32 s27, -1
                                        ; implicit-def: $vgpr8
.LBB23_277:
	s_mov_b32 s41, 0
.LBB23_278:
	s_delay_alu instid0(SALU_CYCLE_1)
	s_and_b32 vcc_lo, exec_lo, s41
	s_cbranch_vccz .LBB23_282
; %bb.279:
	s_cmp_eq_u32 s39, 29
	s_cbranch_scc0 .LBB23_281
; %bb.280:
	global_load_b64 v[8:9], v[6:7], off
	s_mov_b32 s40, -1
	s_mov_b32 s27, 0
	s_branch .LBB23_282
.LBB23_281:
	s_mov_b32 s27, -1
                                        ; implicit-def: $vgpr8
.LBB23_282:
	s_mov_b32 s41, 0
.LBB23_283:
	s_delay_alu instid0(SALU_CYCLE_1)
	s_and_b32 vcc_lo, exec_lo, s41
	s_cbranch_vccz .LBB23_299
; %bb.284:
	s_cmp_lt_i32 s39, 27
	s_cbranch_scc1 .LBB23_287
; %bb.285:
	s_cmp_gt_i32 s39, 27
	s_cbranch_scc0 .LBB23_288
; %bb.286:
	s_wait_loadcnt 0x0
	global_load_b32 v8, v[6:7], off
	s_mov_b32 s40, 0
	s_branch .LBB23_289
.LBB23_287:
	s_mov_b32 s40, -1
                                        ; implicit-def: $vgpr8
	s_branch .LBB23_292
.LBB23_288:
	s_mov_b32 s40, -1
                                        ; implicit-def: $vgpr8
.LBB23_289:
	s_delay_alu instid0(SALU_CYCLE_1)
	s_and_not1_b32 vcc_lo, exec_lo, s40
	s_cbranch_vccnz .LBB23_291
; %bb.290:
	s_wait_loadcnt 0x0
	global_load_u16 v8, v[6:7], off
.LBB23_291:
	s_mov_b32 s40, 0
.LBB23_292:
	s_delay_alu instid0(SALU_CYCLE_1)
	s_and_not1_b32 vcc_lo, exec_lo, s40
	s_cbranch_vccnz .LBB23_298
; %bb.293:
	global_load_u8 v1, v[6:7], off
	s_mov_b32 s41, 0
	s_mov_b32 s40, exec_lo
	s_wait_loadcnt 0x0
	v_cmpx_lt_i16_e32 0x7f, v1
	s_xor_b32 s40, exec_lo, s40
	s_cbranch_execz .LBB23_310
; %bb.294:
	v_cmp_ne_u16_e32 vcc_lo, 0x80, v1
	s_and_b32 s41, vcc_lo, exec_lo
	s_and_not1_saveexec_b32 s40, s40
	s_cbranch_execnz .LBB23_311
.LBB23_295:
	s_or_b32 exec_lo, exec_lo, s40
	v_mov_b32_e32 v8, 0
	s_and_saveexec_b32 s40, s41
	s_cbranch_execz .LBB23_297
.LBB23_296:
	v_and_b32_e32 v3, 0xffff, v1
	s_delay_alu instid0(VALU_DEP_1) | instskip(SKIP_1) | instid1(VALU_DEP_2)
	v_and_b32_e32 v5, 7, v3
	v_bfe_u32 v10, v3, 3, 4
	v_clz_i32_u32_e32 v8, v5
	s_delay_alu instid0(VALU_DEP_2) | instskip(NEXT) | instid1(VALU_DEP_2)
	v_cmp_eq_u32_e32 vcc_lo, 0, v10
	v_min_u32_e32 v8, 32, v8
	s_delay_alu instid0(VALU_DEP_1) | instskip(NEXT) | instid1(VALU_DEP_1)
	v_subrev_nc_u32_e32 v9, 28, v8
	v_dual_lshlrev_b32 v3, v9, v3 :: v_dual_sub_nc_u32 v8, 29, v8
	s_delay_alu instid0(VALU_DEP_1) | instskip(NEXT) | instid1(VALU_DEP_1)
	v_dual_lshlrev_b32 v1, 24, v1 :: v_dual_bitop2_b32 v3, 7, v3 bitop3:0x40
	v_dual_cndmask_b32 v8, v10, v8 :: v_dual_cndmask_b32 v3, v5, v3
	s_delay_alu instid0(VALU_DEP_2) | instskip(NEXT) | instid1(VALU_DEP_2)
	v_and_b32_e32 v1, 0x80000000, v1
	v_lshl_add_u32 v5, v8, 23, 0x3b800000
	s_delay_alu instid0(VALU_DEP_3) | instskip(NEXT) | instid1(VALU_DEP_1)
	v_lshlrev_b32_e32 v3, 20, v3
	v_or3_b32 v1, v1, v5, v3
	s_delay_alu instid0(VALU_DEP_1)
	v_cvt_i32_f32_e32 v8, v1
.LBB23_297:
	s_or_b32 exec_lo, exec_lo, s40
.LBB23_298:
	s_mov_b32 s40, -1
.LBB23_299:
	s_mov_b32 s41, 0
.LBB23_300:
	s_delay_alu instid0(SALU_CYCLE_1)
	s_and_b32 vcc_lo, exec_lo, s41
	s_cbranch_vccz .LBB23_333
; %bb.301:
	s_cmp_gt_i32 s39, 22
	s_cbranch_scc0 .LBB23_309
; %bb.302:
	s_cmp_lt_i32 s39, 24
	s_cbranch_scc1 .LBB23_312
; %bb.303:
	s_cmp_gt_i32 s39, 24
	s_cbranch_scc0 .LBB23_313
; %bb.304:
	global_load_u8 v1, v[6:7], off
	s_mov_b32 s41, 0
	s_mov_b32 s40, exec_lo
	s_wait_loadcnt 0x0
	v_cmpx_lt_i16_e32 0x7f, v1
	s_xor_b32 s40, exec_lo, s40
	s_cbranch_execz .LBB23_325
; %bb.305:
	v_cmp_ne_u16_e32 vcc_lo, 0x80, v1
	s_and_b32 s41, vcc_lo, exec_lo
	s_and_not1_saveexec_b32 s40, s40
	s_cbranch_execnz .LBB23_326
.LBB23_306:
	s_or_b32 exec_lo, exec_lo, s40
	v_mov_b32_e32 v8, 0
	s_and_saveexec_b32 s40, s41
	s_cbranch_execz .LBB23_308
.LBB23_307:
	v_and_b32_e32 v3, 0xffff, v1
	s_delay_alu instid0(VALU_DEP_1) | instskip(SKIP_1) | instid1(VALU_DEP_2)
	v_and_b32_e32 v5, 3, v3
	v_bfe_u32 v10, v3, 2, 5
	v_clz_i32_u32_e32 v8, v5
	s_delay_alu instid0(VALU_DEP_2) | instskip(NEXT) | instid1(VALU_DEP_2)
	v_cmp_eq_u32_e32 vcc_lo, 0, v10
	v_min_u32_e32 v8, 32, v8
	s_delay_alu instid0(VALU_DEP_1) | instskip(NEXT) | instid1(VALU_DEP_1)
	v_subrev_nc_u32_e32 v9, 29, v8
	v_dual_lshlrev_b32 v3, v9, v3 :: v_dual_sub_nc_u32 v8, 30, v8
	s_delay_alu instid0(VALU_DEP_1) | instskip(NEXT) | instid1(VALU_DEP_1)
	v_dual_lshlrev_b32 v1, 24, v1 :: v_dual_bitop2_b32 v3, 3, v3 bitop3:0x40
	v_dual_cndmask_b32 v8, v10, v8 :: v_dual_cndmask_b32 v3, v5, v3
	s_delay_alu instid0(VALU_DEP_2) | instskip(NEXT) | instid1(VALU_DEP_2)
	v_and_b32_e32 v1, 0x80000000, v1
	v_lshl_add_u32 v5, v8, 23, 0x37800000
	s_delay_alu instid0(VALU_DEP_3) | instskip(NEXT) | instid1(VALU_DEP_1)
	v_lshlrev_b32_e32 v3, 21, v3
	v_or3_b32 v1, v1, v5, v3
	s_delay_alu instid0(VALU_DEP_1)
	v_cvt_i32_f32_e32 v8, v1
.LBB23_308:
	s_or_b32 exec_lo, exec_lo, s40
	s_mov_b32 s40, 0
	s_branch .LBB23_314
.LBB23_309:
	s_mov_b32 s41, -1
                                        ; implicit-def: $vgpr8
	s_branch .LBB23_320
.LBB23_310:
	s_and_not1_saveexec_b32 s40, s40
	s_cbranch_execz .LBB23_295
.LBB23_311:
	v_cmp_ne_u16_e32 vcc_lo, 0, v1
	s_and_not1_b32 s41, s41, exec_lo
	s_and_b32 s43, vcc_lo, exec_lo
	s_delay_alu instid0(SALU_CYCLE_1)
	s_or_b32 s41, s41, s43
	s_or_b32 exec_lo, exec_lo, s40
	v_mov_b32_e32 v8, 0
	s_and_saveexec_b32 s40, s41
	s_cbranch_execnz .LBB23_296
	s_branch .LBB23_297
.LBB23_312:
	s_mov_b32 s40, -1
                                        ; implicit-def: $vgpr8
	s_branch .LBB23_317
.LBB23_313:
	s_mov_b32 s40, -1
                                        ; implicit-def: $vgpr8
.LBB23_314:
	s_delay_alu instid0(SALU_CYCLE_1)
	s_and_b32 vcc_lo, exec_lo, s40
	s_cbranch_vccz .LBB23_316
; %bb.315:
	global_load_u8 v1, v[6:7], off
	s_wait_loadcnt 0x0
	v_lshlrev_b32_e32 v1, 24, v1
	s_delay_alu instid0(VALU_DEP_1) | instskip(NEXT) | instid1(VALU_DEP_1)
	v_and_b32_e32 v3, 0x7f000000, v1
	v_clz_i32_u32_e32 v5, v3
	v_add_nc_u32_e32 v9, 0x1000000, v3
	v_cmp_ne_u32_e32 vcc_lo, 0, v3
	s_delay_alu instid0(VALU_DEP_3) | instskip(NEXT) | instid1(VALU_DEP_1)
	v_min_u32_e32 v5, 32, v5
	v_sub_nc_u32_e64 v5, v5, 4 clamp
	s_delay_alu instid0(VALU_DEP_1) | instskip(NEXT) | instid1(VALU_DEP_1)
	v_dual_lshlrev_b32 v8, v5, v3 :: v_dual_lshlrev_b32 v5, 23, v5
	v_lshrrev_b32_e32 v8, 4, v8
	s_delay_alu instid0(VALU_DEP_1) | instskip(SKIP_1) | instid1(VALU_DEP_2)
	v_sub_nc_u32_e32 v5, v8, v5
	v_ashrrev_i32_e32 v8, 8, v9
	v_add_nc_u32_e32 v5, 0x3c000000, v5
	s_delay_alu instid0(VALU_DEP_1) | instskip(NEXT) | instid1(VALU_DEP_1)
	v_and_or_b32 v5, 0x7f800000, v8, v5
	v_cndmask_b32_e32 v3, 0, v5, vcc_lo
	s_delay_alu instid0(VALU_DEP_1) | instskip(NEXT) | instid1(VALU_DEP_1)
	v_and_or_b32 v1, 0x80000000, v1, v3
	v_cvt_i32_f32_e32 v8, v1
.LBB23_316:
	s_mov_b32 s40, 0
.LBB23_317:
	s_delay_alu instid0(SALU_CYCLE_1)
	s_and_not1_b32 vcc_lo, exec_lo, s40
	s_cbranch_vccnz .LBB23_319
; %bb.318:
	global_load_u8 v1, v[6:7], off
	s_wait_loadcnt 0x0
	v_lshlrev_b32_e32 v3, 25, v1
	v_lshlrev_b16 v1, 8, v1
	s_delay_alu instid0(VALU_DEP_1) | instskip(SKIP_1) | instid1(VALU_DEP_2)
	v_and_or_b32 v8, 0x7f00, v1, 0.5
	v_bfe_i32 v1, v1, 0, 16
	v_dual_add_f32 v8, -0.5, v8 :: v_dual_lshrrev_b32 v5, 4, v3
	v_cmp_gt_u32_e32 vcc_lo, 0x8000000, v3
	s_delay_alu instid0(VALU_DEP_2) | instskip(NEXT) | instid1(VALU_DEP_1)
	v_or_b32_e32 v5, 0x70000000, v5
	v_mul_f32_e32 v5, 0x7800000, v5
	s_delay_alu instid0(VALU_DEP_1) | instskip(NEXT) | instid1(VALU_DEP_1)
	v_cndmask_b32_e32 v3, v5, v8, vcc_lo
	v_and_or_b32 v1, 0x80000000, v1, v3
	s_delay_alu instid0(VALU_DEP_1)
	v_cvt_i32_f32_e32 v8, v1
.LBB23_319:
	s_mov_b32 s41, 0
	s_mov_b32 s40, -1
.LBB23_320:
	s_and_not1_b32 vcc_lo, exec_lo, s41
	s_cbranch_vccnz .LBB23_333
; %bb.321:
	s_cmp_gt_i32 s39, 14
	s_cbranch_scc0 .LBB23_324
; %bb.322:
	s_cmp_eq_u32 s39, 15
	s_cbranch_scc0 .LBB23_327
; %bb.323:
	global_load_u16 v1, v[6:7], off
	s_mov_b32 s40, -1
	s_mov_b32 s27, 0
	s_wait_loadcnt 0x0
	v_lshlrev_b32_e32 v1, 16, v1
	s_delay_alu instid0(VALU_DEP_1)
	v_cvt_i32_f32_e32 v8, v1
	s_branch .LBB23_328
.LBB23_324:
	s_mov_b32 s41, -1
                                        ; implicit-def: $vgpr8
	s_branch .LBB23_329
.LBB23_325:
	s_and_not1_saveexec_b32 s40, s40
	s_cbranch_execz .LBB23_306
.LBB23_326:
	v_cmp_ne_u16_e32 vcc_lo, 0, v1
	s_and_not1_b32 s41, s41, exec_lo
	s_and_b32 s43, vcc_lo, exec_lo
	s_delay_alu instid0(SALU_CYCLE_1)
	s_or_b32 s41, s41, s43
	s_or_b32 exec_lo, exec_lo, s40
	v_mov_b32_e32 v8, 0
	s_and_saveexec_b32 s40, s41
	s_cbranch_execnz .LBB23_307
	s_branch .LBB23_308
.LBB23_327:
	s_mov_b32 s27, -1
                                        ; implicit-def: $vgpr8
.LBB23_328:
	s_mov_b32 s41, 0
.LBB23_329:
	s_delay_alu instid0(SALU_CYCLE_1)
	s_and_b32 vcc_lo, exec_lo, s41
	s_cbranch_vccz .LBB23_333
; %bb.330:
	s_cmp_eq_u32 s39, 11
	s_cbranch_scc0 .LBB23_332
; %bb.331:
	global_load_u8 v1, v[6:7], off
	s_mov_b32 s27, 0
	s_mov_b32 s40, -1
	s_wait_loadcnt 0x0
	v_cmp_ne_u16_e32 vcc_lo, 0, v1
	v_cndmask_b32_e64 v8, 0, 1, vcc_lo
	s_branch .LBB23_333
.LBB23_332:
	s_mov_b32 s27, -1
                                        ; implicit-def: $vgpr8
.LBB23_333:
	s_branch .LBB23_31
.LBB23_334:
	s_and_b32 s0, 0xffff, s0
	s_delay_alu instid0(SALU_CYCLE_1)
	s_cmp_lt_i32 s0, 5
	s_cbranch_scc1 .LBB23_339
; %bb.335:
	s_cmp_lt_i32 s0, 8
	s_cbranch_scc1 .LBB23_340
; %bb.336:
	;; [unrolled: 3-line block ×3, first 2 shown]
	s_cmp_gt_i32 s0, 9
	s_cbranch_scc0 .LBB23_342
; %bb.338:
	s_wait_loadcnt 0x0
	global_load_b64 v[8:9], v[6:7], off
	s_mov_b32 s39, 0
	s_wait_loadcnt 0x0
	v_cvt_i32_f64_e32 v8, v[8:9]
	s_branch .LBB23_343
.LBB23_339:
	s_mov_b32 s39, -1
                                        ; implicit-def: $vgpr8
	s_branch .LBB23_361
.LBB23_340:
	s_mov_b32 s39, -1
                                        ; implicit-def: $vgpr8
	s_branch .LBB23_349
.LBB23_341:
	s_mov_b32 s39, -1
                                        ; implicit-def: $vgpr8
	s_branch .LBB23_346
.LBB23_342:
	s_mov_b32 s39, -1
                                        ; implicit-def: $vgpr8
.LBB23_343:
	s_delay_alu instid0(SALU_CYCLE_1)
	s_and_not1_b32 vcc_lo, exec_lo, s39
	s_cbranch_vccnz .LBB23_345
; %bb.344:
	global_load_b32 v1, v[6:7], off
	s_wait_loadcnt 0x0
	v_cvt_i32_f32_e32 v8, v1
.LBB23_345:
	s_mov_b32 s39, 0
.LBB23_346:
	s_delay_alu instid0(SALU_CYCLE_1)
	s_and_not1_b32 vcc_lo, exec_lo, s39
	s_cbranch_vccnz .LBB23_348
; %bb.347:
	global_load_b32 v1, v[6:7], off
	s_wait_loadcnt 0x0
	v_cvt_i16_f16_e32 v8, v1
.LBB23_348:
	s_mov_b32 s39, 0
.LBB23_349:
	s_delay_alu instid0(SALU_CYCLE_1)
	s_and_not1_b32 vcc_lo, exec_lo, s39
	s_cbranch_vccnz .LBB23_360
; %bb.350:
	s_cmp_lt_i32 s0, 6
	s_cbranch_scc1 .LBB23_353
; %bb.351:
	s_cmp_gt_i32 s0, 6
	s_cbranch_scc0 .LBB23_354
; %bb.352:
	s_wait_loadcnt 0x0
	global_load_b64 v[8:9], v[6:7], off
	s_mov_b32 s39, 0
	s_wait_loadcnt 0x0
	v_cvt_i32_f64_e32 v8, v[8:9]
	s_branch .LBB23_355
.LBB23_353:
	s_mov_b32 s39, -1
                                        ; implicit-def: $vgpr8
	s_branch .LBB23_358
.LBB23_354:
	s_mov_b32 s39, -1
                                        ; implicit-def: $vgpr8
.LBB23_355:
	s_delay_alu instid0(SALU_CYCLE_1)
	s_and_not1_b32 vcc_lo, exec_lo, s39
	s_cbranch_vccnz .LBB23_357
; %bb.356:
	global_load_b32 v1, v[6:7], off
	s_wait_loadcnt 0x0
	v_cvt_i32_f32_e32 v8, v1
.LBB23_357:
	s_mov_b32 s39, 0
.LBB23_358:
	s_delay_alu instid0(SALU_CYCLE_1)
	s_and_not1_b32 vcc_lo, exec_lo, s39
	s_cbranch_vccnz .LBB23_360
; %bb.359:
	global_load_u16 v1, v[6:7], off
	s_wait_loadcnt 0x0
	v_cvt_i16_f16_e32 v8, v1
.LBB23_360:
	s_mov_b32 s39, 0
.LBB23_361:
	s_delay_alu instid0(SALU_CYCLE_1)
	s_and_not1_b32 vcc_lo, exec_lo, s39
	s_cbranch_vccnz .LBB23_381
; %bb.362:
	s_cmp_lt_i32 s0, 2
	s_cbranch_scc1 .LBB23_366
; %bb.363:
	s_cmp_lt_i32 s0, 3
	s_cbranch_scc1 .LBB23_367
; %bb.364:
	s_cmp_gt_i32 s0, 3
	s_cbranch_scc0 .LBB23_368
; %bb.365:
	s_wait_loadcnt 0x0
	global_load_b64 v[8:9], v[6:7], off
	s_mov_b32 s39, 0
	s_branch .LBB23_369
.LBB23_366:
	s_mov_b32 s39, -1
                                        ; implicit-def: $vgpr8
	s_branch .LBB23_375
.LBB23_367:
	s_mov_b32 s39, -1
                                        ; implicit-def: $vgpr8
	s_branch .LBB23_372
.LBB23_368:
	s_mov_b32 s39, -1
                                        ; implicit-def: $vgpr8
.LBB23_369:
	s_delay_alu instid0(SALU_CYCLE_1)
	s_and_not1_b32 vcc_lo, exec_lo, s39
	s_cbranch_vccnz .LBB23_371
; %bb.370:
	s_wait_loadcnt 0x0
	global_load_b32 v8, v[6:7], off
.LBB23_371:
	s_mov_b32 s39, 0
.LBB23_372:
	s_delay_alu instid0(SALU_CYCLE_1)
	s_and_not1_b32 vcc_lo, exec_lo, s39
	s_cbranch_vccnz .LBB23_374
; %bb.373:
	s_wait_loadcnt 0x0
	global_load_u16 v8, v[6:7], off
.LBB23_374:
	s_mov_b32 s39, 0
.LBB23_375:
	s_delay_alu instid0(SALU_CYCLE_1)
	s_and_not1_b32 vcc_lo, exec_lo, s39
	s_cbranch_vccnz .LBB23_381
; %bb.376:
	s_cmp_gt_i32 s0, 0
	s_mov_b32 s0, 0
	s_cbranch_scc0 .LBB23_378
; %bb.377:
	s_wait_loadcnt 0x0
	global_load_u8 v8, v[6:7], off
	s_branch .LBB23_379
.LBB23_378:
	s_mov_b32 s0, -1
                                        ; implicit-def: $vgpr8
.LBB23_379:
	s_delay_alu instid0(SALU_CYCLE_1)
	s_and_not1_b32 vcc_lo, exec_lo, s0
	s_cbranch_vccnz .LBB23_381
; %bb.380:
	s_wait_loadcnt 0x0
	global_load_u8 v8, v[6:7], off
.LBB23_381:
	s_branch .LBB23_32
.LBB23_382:
	s_mov_b32 s0, 0
.LBB23_383:
	s_mov_b32 s43, 0
                                        ; implicit-def: $vgpr0
.LBB23_384:
	s_and_b32 s39, s0, exec_lo
	s_and_b32 s40, s27, exec_lo
	s_and_b32 s41, s26, exec_lo
	s_or_not1_b32 s27, s43, exec_lo
.LBB23_385:
	s_wait_xcnt 0x0
	s_or_b32 exec_lo, exec_lo, s42
	s_mov_b32 s44, 0
	s_mov_b32 s26, 0
                                        ; implicit-def: $sgpr0
                                        ; implicit-def: $vgpr8_vgpr9
                                        ; implicit-def: $vgpr6
                                        ; implicit-def: $vgpr2
                                        ; implicit-def: $vgpr4
	s_and_saveexec_b32 s42, s27
	s_cbranch_execz .LBB23_393
; %bb.386:
	s_mov_b32 s48, -1
	s_mov_b32 s43, s41
	s_mov_b32 s45, s40
	;; [unrolled: 1-line block ×3, first 2 shown]
	s_mov_b32 s46, exec_lo
	v_cmpx_gt_i32_e64 s37, v0
	s_cbranch_execz .LBB23_781
; %bb.387:
	s_and_not1_b32 vcc_lo, exec_lo, s31
	s_cbranch_vccnz .LBB23_396
; %bb.388:
	s_and_not1_b32 vcc_lo, exec_lo, s38
	s_cbranch_vccnz .LBB23_397
; %bb.389:
	v_dual_mov_b32 v2, 0 :: v_dual_mov_b32 v1, v0
	s_wait_loadcnt 0x0
	v_dual_mov_b32 v4, 0 :: v_dual_mov_b32 v6, 0
	s_add_co_i32 s0, s36, 1
	s_mov_b64 s[26:27], 0xffffffffffffffe8
	s_and_b32 s0, s0, 30
	s_add_nc_u64 s[26:27], s[2:3], s[26:27]
.LBB23_390:                             ; =>This Inner Loop Header: Depth=1
	s_clause 0x1
	s_load_b128 s[48:51], s[26:27], 0x1c
	s_load_b64 s[44:45], s[26:27], 0x2c
	s_add_co_i32 s0, s0, -2
	s_delay_alu instid0(SALU_CYCLE_1) | instskip(SKIP_2) | instid1(VALU_DEP_1)
	s_cmp_eq_u32 s0, 0
	s_wait_kmcnt 0x0
	v_mul_hi_u32 v3, s49, v1
	v_add_nc_u32_e32 v3, v1, v3
	s_delay_alu instid0(VALU_DEP_1) | instskip(NEXT) | instid1(VALU_DEP_1)
	v_lshrrev_b32_e32 v3, s50, v3
	v_mul_hi_u32 v5, s44, v3
	v_mul_lo_u32 v7, v3, s48
	s_clause 0x1
	s_load_b128 s[52:55], s[26:27], 0xdc
	s_load_b64 s[48:49], s[26:27], 0xec
	s_wait_xcnt 0x0
	s_add_nc_u64 s[26:27], s[26:27], 24
	s_delay_alu instid0(VALU_DEP_1) | instskip(NEXT) | instid1(VALU_DEP_1)
	v_dual_add_nc_u32 v5, v3, v5 :: v_dual_sub_nc_u32 v7, v1, v7
	v_lshrrev_b32_e32 v1, s45, v5
	s_wait_kmcnt 0x0
	s_delay_alu instid0(VALU_DEP_2) | instskip(NEXT) | instid1(VALU_DEP_2)
	v_mad_u32 v2, v7, s52, v2
	v_mul_lo_u32 v5, v1, s51
	v_mad_u32 v6, v7, s54, v6
	v_mad_u32 v4, v7, s53, v4
	s_delay_alu instid0(VALU_DEP_3) | instskip(NEXT) | instid1(VALU_DEP_1)
	v_sub_nc_u32_e32 v3, v3, v5
	v_mad_u32 v2, v3, s55, v2
	s_delay_alu instid0(VALU_DEP_4) | instskip(NEXT) | instid1(VALU_DEP_4)
	v_mad_u32 v6, v3, s49, v6
	v_mad_u32 v4, v3, s48, v4
	s_cbranch_scc0 .LBB23_390
; %bb.391:
	s_bitcmp1_b32 s36, 0
	s_cselect_b32 s0, -1, 0
	s_delay_alu instid0(SALU_CYCLE_1)
	s_and_b32 vcc_lo, exec_lo, s0
	s_cbranch_vccnz .LBB23_398
; %bb.392:
	s_clause 0x1
	s_load_b96 s[48:50], s[26:27], 0x1c
	s_load_b96 s[52:54], s[26:27], 0xdc
	s_wait_kmcnt 0x0
	v_mul_hi_u32 v3, s49, v1
	s_delay_alu instid0(VALU_DEP_1) | instskip(NEXT) | instid1(VALU_DEP_1)
	v_add_nc_u32_e32 v3, v1, v3
	v_lshrrev_b32_e32 v3, s50, v3
	s_delay_alu instid0(VALU_DEP_1) | instskip(NEXT) | instid1(VALU_DEP_1)
	v_mul_lo_u32 v3, v3, s48
	v_sub_nc_u32_e32 v1, v1, v3
	s_delay_alu instid0(VALU_DEP_1)
	v_mad_u32 v2, v1, s52, v2
	v_mad_u32 v4, v1, s53, v4
	;; [unrolled: 1-line block ×3, first 2 shown]
	s_branch .LBB23_398
.LBB23_393:
	s_or_b32 exec_lo, exec_lo, s42
	s_mov_b32 s1, 0
	s_and_saveexec_b32 s6, s41
	s_cbranch_execnz .LBB23_1269
.LBB23_394:
	s_or_b32 exec_lo, exec_lo, s6
	s_and_saveexec_b32 s6, s21
	s_delay_alu instid0(SALU_CYCLE_1)
	s_xor_b32 s6, exec_lo, s6
	s_cbranch_execz .LBB23_1270
.LBB23_395:
	s_wait_loadcnt 0x0
	global_load_u8 v0, v[8:9], off
	s_or_b32 s26, s26, exec_lo
	s_wait_loadcnt 0x0
	v_cmp_ne_u16_e32 vcc_lo, 0, v0
	v_cndmask_b32_e64 v4, 0, 1, vcc_lo
	s_wait_xcnt 0x0
	s_or_b32 exec_lo, exec_lo, s6
	s_and_saveexec_b32 s6, s44
	s_cbranch_execz .LBB23_1316
	s_branch .LBB23_1271
.LBB23_396:
                                        ; implicit-def: $vgpr6
                                        ; implicit-def: $vgpr4
                                        ; implicit-def: $vgpr2
	s_branch .LBB23_399
.LBB23_397:
	s_wait_loadcnt 0x0
	v_dual_mov_b32 v6, 0 :: v_dual_mov_b32 v4, 0
	v_mov_b32_e32 v2, 0
.LBB23_398:
	s_cbranch_execnz .LBB23_401
.LBB23_399:
	v_mov_b32_e32 v1, 0
	s_and_not1_b32 vcc_lo, exec_lo, s35
	s_delay_alu instid0(VALU_DEP_1) | instskip(NEXT) | instid1(VALU_DEP_1)
	v_mul_u64_e32 v[2:3], s[20:21], v[0:1]
	v_add_nc_u32_e32 v2, v0, v3
	s_wait_loadcnt 0x0
	s_delay_alu instid0(VALU_DEP_1) | instskip(NEXT) | instid1(VALU_DEP_1)
	v_lshrrev_b32_e32 v8, s14, v2
	v_mul_lo_u32 v2, v8, s12
	s_delay_alu instid0(VALU_DEP_1) | instskip(NEXT) | instid1(VALU_DEP_1)
	v_sub_nc_u32_e32 v3, v0, v2
	v_mul_lo_u32 v2, v3, s16
	v_mul_lo_u32 v6, v3, s18
	;; [unrolled: 1-line block ×3, first 2 shown]
	s_cbranch_vccnz .LBB23_401
; %bb.400:
	v_mov_b32_e32 v9, v1
	s_delay_alu instid0(VALU_DEP_1) | instskip(NEXT) | instid1(VALU_DEP_1)
	v_mul_u64_e32 v[10:11], s[24:25], v[8:9]
	v_add_nc_u32_e32 v1, v8, v11
	s_delay_alu instid0(VALU_DEP_1) | instskip(NEXT) | instid1(VALU_DEP_1)
	v_lshrrev_b32_e32 v1, s1, v1
	v_mul_lo_u32 v1, v1, s15
	s_delay_alu instid0(VALU_DEP_1) | instskip(NEXT) | instid1(VALU_DEP_1)
	v_sub_nc_u32_e32 v1, v8, v1
	v_mad_u32 v2, v1, s19, v2
	v_mad_u32 v4, v1, s22, v4
	v_mad_u32 v6, v1, s23, v6
.LBB23_401:
	s_wait_loadcnt 0x0
	v_mov_b32_e32 v5, 0
	s_and_b32 s0, s34, 0xff
	s_delay_alu instid0(SALU_CYCLE_1) | instskip(NEXT) | instid1(VALU_DEP_1)
	s_cmp_lt_i32 s0, 11
	v_add_nc_u64_e32 v[8:9], s[6:7], v[4:5]
	s_cbranch_scc1 .LBB23_408
; %bb.402:
	s_and_b32 s27, 0xffff, s0
	s_delay_alu instid0(SALU_CYCLE_1)
	s_cmp_gt_i32 s27, 25
	s_cbranch_scc0 .LBB23_417
; %bb.403:
	s_cmp_gt_i32 s27, 28
	s_cbranch_scc0 .LBB23_419
; %bb.404:
	;; [unrolled: 3-line block ×4, first 2 shown]
	s_cmp_eq_u32 s27, 46
	s_mov_b32 s44, 0
	s_cbranch_scc0 .LBB23_427
; %bb.407:
	global_load_b32 v1, v[8:9], off
	s_mov_b32 s43, -1
	s_mov_b32 s26, 0
	s_wait_loadcnt 0x0
	v_lshlrev_b32_e32 v1, 16, v1
	s_delay_alu instid0(VALU_DEP_1)
	v_cvt_i32_f32_e32 v4, v1
	s_branch .LBB23_429
.LBB23_408:
	s_mov_b32 s43, 0
	s_mov_b32 s26, s41
                                        ; implicit-def: $vgpr4
	s_cbranch_execnz .LBB23_491
.LBB23_409:
	s_and_not1_b32 vcc_lo, exec_lo, s43
	s_cbranch_vccnz .LBB23_539
.LBB23_410:
	v_mov_b32_e32 v7, 0
	s_and_b32 s0, s13, 0xff
	s_delay_alu instid0(SALU_CYCLE_1) | instskip(NEXT) | instid1(VALU_DEP_1)
	s_cmp_lt_i32 s0, 11
	v_add_nc_u64_e32 v[6:7], s[8:9], v[6:7]
	s_cbranch_scc1 .LBB23_418
; %bb.411:
	s_and_b32 s43, 0xffff, s0
	s_delay_alu instid0(SALU_CYCLE_1)
	s_cmp_gt_i32 s43, 25
	s_cbranch_scc0 .LBB23_420
; %bb.412:
	s_cmp_gt_i32 s43, 28
	s_cbranch_scc0 .LBB23_422
; %bb.413:
	s_cmp_gt_i32 s43, 43
	s_cbranch_scc0 .LBB23_424
; %bb.414:
	s_cmp_gt_i32 s43, 45
	s_cbranch_scc0 .LBB23_432
; %bb.415:
	s_cmp_eq_u32 s43, 46
	s_mov_b32 s45, 0
	s_cbranch_scc0 .LBB23_542
; %bb.416:
	global_load_b32 v1, v[6:7], off
	s_mov_b32 s44, -1
	s_mov_b32 s27, 0
	s_wait_loadcnt 0x0
	v_lshlrev_b32_e32 v1, 16, v1
	s_wait_xcnt 0x1
	s_delay_alu instid0(VALU_DEP_1)
	v_cvt_i32_f32_e32 v8, v1
	s_branch .LBB23_544
.LBB23_417:
	s_mov_b32 s44, -1
	s_mov_b32 s43, 0
	s_mov_b32 s26, s41
                                        ; implicit-def: $vgpr4
	s_branch .LBB23_457
.LBB23_418:
	s_mov_b32 s43, -1
	s_mov_b32 s44, 0
	s_mov_b32 s27, s40
                                        ; implicit-def: $vgpr8
	s_branch .LBB23_605
.LBB23_419:
	s_mov_b32 s44, -1
	s_mov_b32 s43, 0
	s_mov_b32 s26, s41
                                        ; implicit-def: $vgpr4
	s_branch .LBB23_440
.LBB23_420:
	s_mov_b32 s45, -1
	s_mov_b32 s44, 0
	s_mov_b32 s27, s40
                                        ; implicit-def: $vgpr8
	s_branch .LBB23_571
.LBB23_421:
	s_mov_b32 s44, -1
	s_mov_b32 s43, 0
	s_mov_b32 s26, s41
                                        ; implicit-def: $vgpr4
	s_branch .LBB23_435
.LBB23_422:
	s_mov_b32 s45, -1
	s_mov_b32 s44, 0
	s_mov_b32 s27, s40
                                        ; implicit-def: $vgpr8
	s_branch .LBB23_554
.LBB23_423:
	s_mov_b32 s44, -1
	s_mov_b32 s43, 0
	s_mov_b32 s26, s41
	s_branch .LBB23_428
.LBB23_424:
	s_mov_b32 s45, -1
	s_mov_b32 s44, 0
	s_mov_b32 s27, s40
                                        ; implicit-def: $vgpr8
	s_branch .LBB23_549
.LBB23_425:
	s_and_not1_saveexec_b32 s45, s45
	s_cbranch_execz .LBB23_187
.LBB23_426:
	v_add_f32_e32 v1, 0x46000000, v4
	s_and_not1_b32 s44, s44, exec_lo
	s_delay_alu instid0(VALU_DEP_1) | instskip(NEXT) | instid1(VALU_DEP_1)
	v_and_b32_e32 v1, 0xff, v1
	v_cmp_ne_u32_e32 vcc_lo, 0, v1
	s_and_b32 s46, vcc_lo, exec_lo
	s_delay_alu instid0(SALU_CYCLE_1)
	s_or_b32 s44, s44, s46
	s_or_b32 exec_lo, exec_lo, s45
	v_mov_b32_e32 v5, 0
	s_and_saveexec_b32 s45, s44
	s_cbranch_execnz .LBB23_188
	s_branch .LBB23_189
.LBB23_427:
	s_mov_b32 s26, -1
	s_mov_b32 s43, 0
.LBB23_428:
                                        ; implicit-def: $vgpr4
.LBB23_429:
	s_and_b32 vcc_lo, exec_lo, s44
	s_cbranch_vccz .LBB23_434
; %bb.430:
	s_cmp_eq_u32 s27, 44
	s_cbranch_scc0 .LBB23_433
; %bb.431:
	global_load_u8 v1, v[8:9], off
	s_mov_b32 s26, 0
	s_mov_b32 s43, -1
	s_wait_loadcnt 0x0
	v_lshlrev_b32_e32 v3, 23, v1
	v_cmp_ne_u32_e32 vcc_lo, 0, v1
	s_delay_alu instid0(VALU_DEP_2) | instskip(NEXT) | instid1(VALU_DEP_1)
	v_cvt_i32_f32_e32 v3, v3
	v_cndmask_b32_e32 v4, 0, v3, vcc_lo
	s_branch .LBB23_434
.LBB23_432:
	s_mov_b32 s45, -1
	s_mov_b32 s44, 0
	s_mov_b32 s27, s40
	s_branch .LBB23_543
.LBB23_433:
	s_mov_b32 s26, -1
                                        ; implicit-def: $vgpr4
.LBB23_434:
	s_mov_b32 s44, 0
.LBB23_435:
	s_delay_alu instid0(SALU_CYCLE_1)
	s_and_b32 vcc_lo, exec_lo, s44
	s_cbranch_vccz .LBB23_439
; %bb.436:
	s_cmp_eq_u32 s27, 29
	s_cbranch_scc0 .LBB23_438
; %bb.437:
	global_load_b64 v[4:5], v[8:9], off
	s_mov_b32 s43, -1
	s_mov_b32 s26, 0
	s_branch .LBB23_439
.LBB23_438:
	s_mov_b32 s26, -1
                                        ; implicit-def: $vgpr4
.LBB23_439:
	s_mov_b32 s44, 0
.LBB23_440:
	s_delay_alu instid0(SALU_CYCLE_1)
	s_and_b32 vcc_lo, exec_lo, s44
	s_cbranch_vccz .LBB23_456
; %bb.441:
	s_cmp_lt_i32 s27, 27
	s_cbranch_scc1 .LBB23_444
; %bb.442:
	s_cmp_gt_i32 s27, 27
	s_cbranch_scc0 .LBB23_445
; %bb.443:
	s_wait_loadcnt 0x0
	global_load_b32 v4, v[8:9], off
	s_mov_b32 s43, 0
	s_branch .LBB23_446
.LBB23_444:
	s_mov_b32 s43, -1
                                        ; implicit-def: $vgpr4
	s_branch .LBB23_449
.LBB23_445:
	s_mov_b32 s43, -1
                                        ; implicit-def: $vgpr4
.LBB23_446:
	s_delay_alu instid0(SALU_CYCLE_1)
	s_and_not1_b32 vcc_lo, exec_lo, s43
	s_cbranch_vccnz .LBB23_448
; %bb.447:
	s_wait_loadcnt 0x0
	global_load_u16 v4, v[8:9], off
.LBB23_448:
	s_mov_b32 s43, 0
.LBB23_449:
	s_delay_alu instid0(SALU_CYCLE_1)
	s_and_not1_b32 vcc_lo, exec_lo, s43
	s_cbranch_vccnz .LBB23_455
; %bb.450:
	global_load_u8 v1, v[8:9], off
	s_mov_b32 s44, 0
	s_mov_b32 s43, exec_lo
	s_wait_loadcnt 0x0
	v_cmpx_lt_i16_e32 0x7f, v1
	s_xor_b32 s43, exec_lo, s43
	s_cbranch_execz .LBB23_467
; %bb.451:
	v_cmp_ne_u16_e32 vcc_lo, 0x80, v1
	s_and_b32 s44, vcc_lo, exec_lo
	s_and_not1_saveexec_b32 s43, s43
	s_cbranch_execnz .LBB23_468
.LBB23_452:
	s_or_b32 exec_lo, exec_lo, s43
	v_mov_b32_e32 v4, 0
	s_and_saveexec_b32 s43, s44
	s_cbranch_execz .LBB23_454
.LBB23_453:
	v_and_b32_e32 v3, 0xffff, v1
	s_delay_alu instid0(VALU_DEP_1) | instskip(SKIP_1) | instid1(VALU_DEP_2)
	v_and_b32_e32 v4, 7, v3
	v_bfe_u32 v10, v3, 3, 4
	v_clz_i32_u32_e32 v5, v4
	s_delay_alu instid0(VALU_DEP_2) | instskip(NEXT) | instid1(VALU_DEP_2)
	v_cmp_eq_u32_e32 vcc_lo, 0, v10
	v_min_u32_e32 v5, 32, v5
	s_delay_alu instid0(VALU_DEP_1) | instskip(NEXT) | instid1(VALU_DEP_1)
	v_subrev_nc_u32_e32 v7, 28, v5
	v_dual_lshlrev_b32 v3, v7, v3 :: v_dual_sub_nc_u32 v5, 29, v5
	s_delay_alu instid0(VALU_DEP_1) | instskip(NEXT) | instid1(VALU_DEP_1)
	v_dual_lshlrev_b32 v1, 24, v1 :: v_dual_bitop2_b32 v3, 7, v3 bitop3:0x40
	v_dual_cndmask_b32 v3, v4, v3, vcc_lo :: v_dual_cndmask_b32 v5, v10, v5, vcc_lo
	s_delay_alu instid0(VALU_DEP_2) | instskip(NEXT) | instid1(VALU_DEP_2)
	v_and_b32_e32 v1, 0x80000000, v1
	v_lshlrev_b32_e32 v3, 20, v3
	s_delay_alu instid0(VALU_DEP_3) | instskip(NEXT) | instid1(VALU_DEP_1)
	v_lshl_add_u32 v4, v5, 23, 0x3b800000
	v_or3_b32 v1, v1, v4, v3
	s_delay_alu instid0(VALU_DEP_1)
	v_cvt_i32_f32_e32 v4, v1
.LBB23_454:
	s_or_b32 exec_lo, exec_lo, s43
.LBB23_455:
	s_mov_b32 s43, -1
.LBB23_456:
	s_mov_b32 s44, 0
.LBB23_457:
	s_delay_alu instid0(SALU_CYCLE_1)
	s_and_b32 vcc_lo, exec_lo, s44
	s_cbranch_vccz .LBB23_490
; %bb.458:
	s_cmp_gt_i32 s27, 22
	s_cbranch_scc0 .LBB23_466
; %bb.459:
	s_cmp_lt_i32 s27, 24
	s_cbranch_scc1 .LBB23_469
; %bb.460:
	s_cmp_gt_i32 s27, 24
	s_cbranch_scc0 .LBB23_470
; %bb.461:
	global_load_u8 v1, v[8:9], off
	s_mov_b32 s44, 0
	s_mov_b32 s43, exec_lo
	s_wait_loadcnt 0x0
	v_cmpx_lt_i16_e32 0x7f, v1
	s_xor_b32 s43, exec_lo, s43
	s_cbranch_execz .LBB23_482
; %bb.462:
	v_cmp_ne_u16_e32 vcc_lo, 0x80, v1
	s_and_b32 s44, vcc_lo, exec_lo
	s_and_not1_saveexec_b32 s43, s43
	s_cbranch_execnz .LBB23_483
.LBB23_463:
	s_or_b32 exec_lo, exec_lo, s43
	v_mov_b32_e32 v4, 0
	s_and_saveexec_b32 s43, s44
	s_cbranch_execz .LBB23_465
.LBB23_464:
	v_and_b32_e32 v3, 0xffff, v1
	s_delay_alu instid0(VALU_DEP_1) | instskip(SKIP_1) | instid1(VALU_DEP_2)
	v_and_b32_e32 v4, 3, v3
	v_bfe_u32 v10, v3, 2, 5
	v_clz_i32_u32_e32 v5, v4
	s_delay_alu instid0(VALU_DEP_2) | instskip(NEXT) | instid1(VALU_DEP_2)
	v_cmp_eq_u32_e32 vcc_lo, 0, v10
	v_min_u32_e32 v5, 32, v5
	s_delay_alu instid0(VALU_DEP_1) | instskip(NEXT) | instid1(VALU_DEP_1)
	v_subrev_nc_u32_e32 v7, 29, v5
	v_dual_lshlrev_b32 v3, v7, v3 :: v_dual_sub_nc_u32 v5, 30, v5
	s_delay_alu instid0(VALU_DEP_1) | instskip(NEXT) | instid1(VALU_DEP_1)
	v_dual_lshlrev_b32 v1, 24, v1 :: v_dual_bitop2_b32 v3, 3, v3 bitop3:0x40
	v_dual_cndmask_b32 v3, v4, v3, vcc_lo :: v_dual_cndmask_b32 v5, v10, v5, vcc_lo
	s_delay_alu instid0(VALU_DEP_2) | instskip(NEXT) | instid1(VALU_DEP_2)
	v_and_b32_e32 v1, 0x80000000, v1
	v_lshlrev_b32_e32 v3, 21, v3
	s_delay_alu instid0(VALU_DEP_3) | instskip(NEXT) | instid1(VALU_DEP_1)
	v_lshl_add_u32 v4, v5, 23, 0x37800000
	v_or3_b32 v1, v1, v4, v3
	s_delay_alu instid0(VALU_DEP_1)
	v_cvt_i32_f32_e32 v4, v1
.LBB23_465:
	s_or_b32 exec_lo, exec_lo, s43
	s_mov_b32 s43, 0
	s_branch .LBB23_471
.LBB23_466:
	s_mov_b32 s44, -1
                                        ; implicit-def: $vgpr4
	s_branch .LBB23_477
.LBB23_467:
	s_and_not1_saveexec_b32 s43, s43
	s_cbranch_execz .LBB23_452
.LBB23_468:
	v_cmp_ne_u16_e32 vcc_lo, 0, v1
	s_and_not1_b32 s44, s44, exec_lo
	s_and_b32 s45, vcc_lo, exec_lo
	s_delay_alu instid0(SALU_CYCLE_1)
	s_or_b32 s44, s44, s45
	s_or_b32 exec_lo, exec_lo, s43
	v_mov_b32_e32 v4, 0
	s_and_saveexec_b32 s43, s44
	s_cbranch_execnz .LBB23_453
	s_branch .LBB23_454
.LBB23_469:
	s_mov_b32 s43, -1
                                        ; implicit-def: $vgpr4
	s_branch .LBB23_474
.LBB23_470:
	s_mov_b32 s43, -1
                                        ; implicit-def: $vgpr4
.LBB23_471:
	s_delay_alu instid0(SALU_CYCLE_1)
	s_and_b32 vcc_lo, exec_lo, s43
	s_cbranch_vccz .LBB23_473
; %bb.472:
	global_load_u8 v1, v[8:9], off
	s_wait_loadcnt 0x0
	v_lshlrev_b32_e32 v1, 24, v1
	s_delay_alu instid0(VALU_DEP_1) | instskip(NEXT) | instid1(VALU_DEP_1)
	v_and_b32_e32 v3, 0x7f000000, v1
	v_clz_i32_u32_e32 v4, v3
	v_add_nc_u32_e32 v7, 0x1000000, v3
	v_cmp_ne_u32_e32 vcc_lo, 0, v3
	s_delay_alu instid0(VALU_DEP_3) | instskip(NEXT) | instid1(VALU_DEP_1)
	v_min_u32_e32 v4, 32, v4
	v_sub_nc_u32_e64 v4, v4, 4 clamp
	s_delay_alu instid0(VALU_DEP_1) | instskip(NEXT) | instid1(VALU_DEP_1)
	v_dual_lshlrev_b32 v5, v4, v3 :: v_dual_lshlrev_b32 v4, 23, v4
	v_lshrrev_b32_e32 v5, 4, v5
	s_delay_alu instid0(VALU_DEP_1) | instskip(NEXT) | instid1(VALU_DEP_1)
	v_dual_sub_nc_u32 v4, v5, v4 :: v_dual_ashrrev_i32 v5, 8, v7
	v_add_nc_u32_e32 v4, 0x3c000000, v4
	s_delay_alu instid0(VALU_DEP_1) | instskip(NEXT) | instid1(VALU_DEP_1)
	v_and_or_b32 v4, 0x7f800000, v5, v4
	v_cndmask_b32_e32 v3, 0, v4, vcc_lo
	s_delay_alu instid0(VALU_DEP_1) | instskip(NEXT) | instid1(VALU_DEP_1)
	v_and_or_b32 v1, 0x80000000, v1, v3
	v_cvt_i32_f32_e32 v4, v1
.LBB23_473:
	s_mov_b32 s43, 0
.LBB23_474:
	s_delay_alu instid0(SALU_CYCLE_1)
	s_and_not1_b32 vcc_lo, exec_lo, s43
	s_cbranch_vccnz .LBB23_476
; %bb.475:
	global_load_u8 v1, v[8:9], off
	s_wait_loadcnt 0x0
	v_lshlrev_b32_e32 v3, 25, v1
	v_lshlrev_b16 v1, 8, v1
	s_delay_alu instid0(VALU_DEP_1) | instskip(NEXT) | instid1(VALU_DEP_3)
	v_and_or_b32 v5, 0x7f00, v1, 0.5
	v_lshrrev_b32_e32 v4, 4, v3
	v_bfe_i32 v1, v1, 0, 16
	s_delay_alu instid0(VALU_DEP_3) | instskip(NEXT) | instid1(VALU_DEP_3)
	v_add_f32_e32 v5, -0.5, v5
	v_or_b32_e32 v4, 0x70000000, v4
	s_delay_alu instid0(VALU_DEP_1) | instskip(SKIP_1) | instid1(VALU_DEP_2)
	v_mul_f32_e32 v4, 0x7800000, v4
	v_cmp_gt_u32_e32 vcc_lo, 0x8000000, v3
	v_cndmask_b32_e32 v3, v4, v5, vcc_lo
	s_delay_alu instid0(VALU_DEP_1) | instskip(NEXT) | instid1(VALU_DEP_1)
	v_and_or_b32 v1, 0x80000000, v1, v3
	v_cvt_i32_f32_e32 v4, v1
.LBB23_476:
	s_mov_b32 s44, 0
	s_mov_b32 s43, -1
.LBB23_477:
	s_and_not1_b32 vcc_lo, exec_lo, s44
	s_cbranch_vccnz .LBB23_490
; %bb.478:
	s_cmp_gt_i32 s27, 14
	s_cbranch_scc0 .LBB23_481
; %bb.479:
	s_cmp_eq_u32 s27, 15
	s_cbranch_scc0 .LBB23_484
; %bb.480:
	global_load_u16 v1, v[8:9], off
	s_mov_b32 s43, -1
	s_mov_b32 s26, 0
	s_wait_loadcnt 0x0
	v_lshlrev_b32_e32 v1, 16, v1
	s_delay_alu instid0(VALU_DEP_1)
	v_cvt_i32_f32_e32 v4, v1
	s_branch .LBB23_485
.LBB23_481:
	s_mov_b32 s44, -1
                                        ; implicit-def: $vgpr4
	s_branch .LBB23_486
.LBB23_482:
	s_and_not1_saveexec_b32 s43, s43
	s_cbranch_execz .LBB23_463
.LBB23_483:
	v_cmp_ne_u16_e32 vcc_lo, 0, v1
	s_and_not1_b32 s44, s44, exec_lo
	s_and_b32 s45, vcc_lo, exec_lo
	s_delay_alu instid0(SALU_CYCLE_1)
	s_or_b32 s44, s44, s45
	s_or_b32 exec_lo, exec_lo, s43
	v_mov_b32_e32 v4, 0
	s_and_saveexec_b32 s43, s44
	s_cbranch_execnz .LBB23_464
	s_branch .LBB23_465
.LBB23_484:
	s_mov_b32 s26, -1
                                        ; implicit-def: $vgpr4
.LBB23_485:
	s_mov_b32 s44, 0
.LBB23_486:
	s_delay_alu instid0(SALU_CYCLE_1)
	s_and_b32 vcc_lo, exec_lo, s44
	s_cbranch_vccz .LBB23_490
; %bb.487:
	s_cmp_eq_u32 s27, 11
	s_cbranch_scc0 .LBB23_489
; %bb.488:
	global_load_u8 v1, v[8:9], off
	s_mov_b32 s26, 0
	s_mov_b32 s43, -1
	s_wait_loadcnt 0x0
	v_cmp_ne_u16_e32 vcc_lo, 0, v1
	v_cndmask_b32_e64 v4, 0, 1, vcc_lo
	s_branch .LBB23_490
.LBB23_489:
	s_mov_b32 s26, -1
                                        ; implicit-def: $vgpr4
.LBB23_490:
	s_branch .LBB23_409
.LBB23_491:
	s_and_b32 s0, 0xffff, s0
	s_delay_alu instid0(SALU_CYCLE_1)
	s_cmp_lt_i32 s0, 5
	s_cbranch_scc1 .LBB23_496
; %bb.492:
	s_cmp_lt_i32 s0, 8
	s_cbranch_scc1 .LBB23_497
; %bb.493:
	;; [unrolled: 3-line block ×3, first 2 shown]
	s_cmp_gt_i32 s0, 9
	s_cbranch_scc0 .LBB23_499
; %bb.495:
	s_wait_loadcnt 0x0
	global_load_b64 v[4:5], v[8:9], off
	s_mov_b32 s27, 0
	s_wait_loadcnt 0x0
	v_cvt_i32_f64_e32 v4, v[4:5]
	s_branch .LBB23_500
.LBB23_496:
	s_mov_b32 s27, -1
                                        ; implicit-def: $vgpr4
	s_branch .LBB23_518
.LBB23_497:
	s_mov_b32 s27, -1
                                        ; implicit-def: $vgpr4
	s_branch .LBB23_506
.LBB23_498:
	s_mov_b32 s27, -1
                                        ; implicit-def: $vgpr4
	s_branch .LBB23_503
.LBB23_499:
	s_mov_b32 s27, -1
                                        ; implicit-def: $vgpr4
.LBB23_500:
	s_delay_alu instid0(SALU_CYCLE_1)
	s_and_not1_b32 vcc_lo, exec_lo, s27
	s_cbranch_vccnz .LBB23_502
; %bb.501:
	global_load_b32 v1, v[8:9], off
	s_wait_loadcnt 0x0
	v_cvt_i32_f32_e32 v4, v1
.LBB23_502:
	s_mov_b32 s27, 0
.LBB23_503:
	s_delay_alu instid0(SALU_CYCLE_1)
	s_and_not1_b32 vcc_lo, exec_lo, s27
	s_cbranch_vccnz .LBB23_505
; %bb.504:
	global_load_b32 v1, v[8:9], off
	s_wait_loadcnt 0x0
	v_cvt_i16_f16_e32 v4, v1
.LBB23_505:
	s_mov_b32 s27, 0
.LBB23_506:
	s_delay_alu instid0(SALU_CYCLE_1)
	s_and_not1_b32 vcc_lo, exec_lo, s27
	s_cbranch_vccnz .LBB23_517
; %bb.507:
	s_cmp_lt_i32 s0, 6
	s_cbranch_scc1 .LBB23_510
; %bb.508:
	s_cmp_gt_i32 s0, 6
	s_cbranch_scc0 .LBB23_511
; %bb.509:
	s_wait_loadcnt 0x0
	global_load_b64 v[4:5], v[8:9], off
	s_mov_b32 s27, 0
	s_wait_loadcnt 0x0
	v_cvt_i32_f64_e32 v4, v[4:5]
	s_branch .LBB23_512
.LBB23_510:
	s_mov_b32 s27, -1
                                        ; implicit-def: $vgpr4
	s_branch .LBB23_515
.LBB23_511:
	s_mov_b32 s27, -1
                                        ; implicit-def: $vgpr4
.LBB23_512:
	s_delay_alu instid0(SALU_CYCLE_1)
	s_and_not1_b32 vcc_lo, exec_lo, s27
	s_cbranch_vccnz .LBB23_514
; %bb.513:
	global_load_b32 v1, v[8:9], off
	s_wait_loadcnt 0x0
	v_cvt_i32_f32_e32 v4, v1
.LBB23_514:
	s_mov_b32 s27, 0
.LBB23_515:
	s_delay_alu instid0(SALU_CYCLE_1)
	s_and_not1_b32 vcc_lo, exec_lo, s27
	s_cbranch_vccnz .LBB23_517
; %bb.516:
	global_load_u16 v1, v[8:9], off
	s_wait_loadcnt 0x0
	v_cvt_i16_f16_e32 v4, v1
.LBB23_517:
	s_mov_b32 s27, 0
.LBB23_518:
	s_delay_alu instid0(SALU_CYCLE_1)
	s_and_not1_b32 vcc_lo, exec_lo, s27
	s_cbranch_vccnz .LBB23_538
; %bb.519:
	s_cmp_lt_i32 s0, 2
	s_cbranch_scc1 .LBB23_523
; %bb.520:
	s_cmp_lt_i32 s0, 3
	s_cbranch_scc1 .LBB23_524
; %bb.521:
	s_cmp_gt_i32 s0, 3
	s_cbranch_scc0 .LBB23_525
; %bb.522:
	s_wait_loadcnt 0x0
	global_load_b64 v[4:5], v[8:9], off
	s_mov_b32 s27, 0
	s_branch .LBB23_526
.LBB23_523:
	s_mov_b32 s27, -1
                                        ; implicit-def: $vgpr4
	s_branch .LBB23_532
.LBB23_524:
	s_mov_b32 s27, -1
                                        ; implicit-def: $vgpr4
	s_branch .LBB23_529
.LBB23_525:
	s_mov_b32 s27, -1
                                        ; implicit-def: $vgpr4
.LBB23_526:
	s_delay_alu instid0(SALU_CYCLE_1)
	s_and_not1_b32 vcc_lo, exec_lo, s27
	s_cbranch_vccnz .LBB23_528
; %bb.527:
	s_wait_loadcnt 0x0
	global_load_b32 v4, v[8:9], off
.LBB23_528:
	s_mov_b32 s27, 0
.LBB23_529:
	s_delay_alu instid0(SALU_CYCLE_1)
	s_and_not1_b32 vcc_lo, exec_lo, s27
	s_cbranch_vccnz .LBB23_531
; %bb.530:
	s_wait_loadcnt 0x0
	global_load_u16 v4, v[8:9], off
.LBB23_531:
	s_mov_b32 s27, 0
.LBB23_532:
	s_delay_alu instid0(SALU_CYCLE_1)
	s_and_not1_b32 vcc_lo, exec_lo, s27
	s_cbranch_vccnz .LBB23_538
; %bb.533:
	s_cmp_gt_i32 s0, 0
	s_mov_b32 s0, 0
	s_cbranch_scc0 .LBB23_535
; %bb.534:
	s_wait_loadcnt 0x0
	global_load_u8 v4, v[8:9], off
	s_branch .LBB23_536
.LBB23_535:
	s_mov_b32 s0, -1
                                        ; implicit-def: $vgpr4
.LBB23_536:
	s_delay_alu instid0(SALU_CYCLE_1)
	s_and_not1_b32 vcc_lo, exec_lo, s0
	s_cbranch_vccnz .LBB23_538
; %bb.537:
	s_wait_loadcnt 0x0
	global_load_u8 v4, v[8:9], off
.LBB23_538:
	s_branch .LBB23_410
.LBB23_539:
	s_mov_b32 s47, 0
	s_mov_b32 s0, s39
	;; [unrolled: 1-line block ×3, first 2 shown]
	s_branch .LBB23_779
.LBB23_540:
	s_and_not1_saveexec_b32 s45, s45
	s_cbranch_execz .LBB23_200
.LBB23_541:
	v_add_f32_e32 v1, 0x42800000, v4
	s_and_not1_b32 s44, s44, exec_lo
	s_delay_alu instid0(VALU_DEP_1) | instskip(NEXT) | instid1(VALU_DEP_1)
	v_and_b32_e32 v1, 0xff, v1
	v_cmp_ne_u32_e32 vcc_lo, 0, v1
	s_and_b32 s46, vcc_lo, exec_lo
	s_delay_alu instid0(SALU_CYCLE_1)
	s_or_b32 s44, s44, s46
	s_or_b32 exec_lo, exec_lo, s45
	v_mov_b32_e32 v5, 0
	s_and_saveexec_b32 s45, s44
	s_cbranch_execnz .LBB23_201
	s_branch .LBB23_202
.LBB23_542:
	s_mov_b32 s27, -1
	s_mov_b32 s44, 0
.LBB23_543:
                                        ; implicit-def: $vgpr8
.LBB23_544:
	s_and_b32 vcc_lo, exec_lo, s45
	s_cbranch_vccz .LBB23_548
; %bb.545:
	s_cmp_eq_u32 s43, 44
	s_cbranch_scc0 .LBB23_547
; %bb.546:
	global_load_u8 v1, v[6:7], off
	s_mov_b32 s27, 0
	s_mov_b32 s44, -1
	s_wait_loadcnt 0x0
	v_lshlrev_b32_e32 v3, 23, v1
	v_cmp_ne_u32_e32 vcc_lo, 0, v1
	s_delay_alu instid0(VALU_DEP_2) | instskip(SKIP_1) | instid1(VALU_DEP_1)
	v_cvt_i32_f32_e32 v3, v3
	s_wait_xcnt 0x1
	v_cndmask_b32_e32 v8, 0, v3, vcc_lo
	s_branch .LBB23_548
.LBB23_547:
	s_mov_b32 s27, -1
                                        ; implicit-def: $vgpr8
.LBB23_548:
	s_mov_b32 s45, 0
.LBB23_549:
	s_delay_alu instid0(SALU_CYCLE_1)
	s_and_b32 vcc_lo, exec_lo, s45
	s_cbranch_vccz .LBB23_553
; %bb.550:
	s_cmp_eq_u32 s43, 29
	s_cbranch_scc0 .LBB23_552
; %bb.551:
	global_load_b64 v[8:9], v[6:7], off
	s_mov_b32 s44, -1
	s_mov_b32 s27, 0
	s_branch .LBB23_553
.LBB23_552:
	s_mov_b32 s27, -1
                                        ; implicit-def: $vgpr8
.LBB23_553:
	s_mov_b32 s45, 0
.LBB23_554:
	s_delay_alu instid0(SALU_CYCLE_1)
	s_and_b32 vcc_lo, exec_lo, s45
	s_cbranch_vccz .LBB23_570
; %bb.555:
	s_cmp_lt_i32 s43, 27
	s_cbranch_scc1 .LBB23_558
; %bb.556:
	s_cmp_gt_i32 s43, 27
	s_cbranch_scc0 .LBB23_559
; %bb.557:
	s_wait_loadcnt 0x0
	global_load_b32 v8, v[6:7], off
	s_mov_b32 s44, 0
	s_branch .LBB23_560
.LBB23_558:
	s_mov_b32 s44, -1
                                        ; implicit-def: $vgpr8
	s_branch .LBB23_563
.LBB23_559:
	s_mov_b32 s44, -1
                                        ; implicit-def: $vgpr8
.LBB23_560:
	s_delay_alu instid0(SALU_CYCLE_1)
	s_and_not1_b32 vcc_lo, exec_lo, s44
	s_cbranch_vccnz .LBB23_562
; %bb.561:
	s_wait_loadcnt 0x0
	global_load_u16 v8, v[6:7], off
.LBB23_562:
	s_mov_b32 s44, 0
.LBB23_563:
	s_delay_alu instid0(SALU_CYCLE_1)
	s_and_not1_b32 vcc_lo, exec_lo, s44
	s_cbranch_vccnz .LBB23_569
; %bb.564:
	global_load_u8 v1, v[6:7], off
	s_mov_b32 s45, 0
	s_mov_b32 s44, exec_lo
	s_wait_loadcnt 0x0
	v_cmpx_lt_i16_e32 0x7f, v1
	s_xor_b32 s44, exec_lo, s44
	s_cbranch_execz .LBB23_581
; %bb.565:
	v_cmp_ne_u16_e32 vcc_lo, 0x80, v1
	s_and_b32 s45, vcc_lo, exec_lo
	s_and_not1_saveexec_b32 s44, s44
	s_cbranch_execnz .LBB23_582
.LBB23_566:
	s_or_b32 exec_lo, exec_lo, s44
	v_mov_b32_e32 v8, 0
	s_and_saveexec_b32 s44, s45
	s_cbranch_execz .LBB23_568
.LBB23_567:
	v_and_b32_e32 v3, 0xffff, v1
	s_delay_alu instid0(VALU_DEP_1) | instskip(SKIP_1) | instid1(VALU_DEP_2)
	v_and_b32_e32 v5, 7, v3
	v_bfe_u32 v10, v3, 3, 4
	v_clz_i32_u32_e32 v8, v5
	s_delay_alu instid0(VALU_DEP_2) | instskip(NEXT) | instid1(VALU_DEP_2)
	v_cmp_eq_u32_e32 vcc_lo, 0, v10
	v_min_u32_e32 v8, 32, v8
	s_delay_alu instid0(VALU_DEP_1) | instskip(NEXT) | instid1(VALU_DEP_1)
	v_subrev_nc_u32_e32 v9, 28, v8
	v_dual_lshlrev_b32 v3, v9, v3 :: v_dual_sub_nc_u32 v8, 29, v8
	s_delay_alu instid0(VALU_DEP_1) | instskip(NEXT) | instid1(VALU_DEP_1)
	v_dual_lshlrev_b32 v1, 24, v1 :: v_dual_bitop2_b32 v3, 7, v3 bitop3:0x40
	v_dual_cndmask_b32 v8, v10, v8 :: v_dual_cndmask_b32 v3, v5, v3
	s_delay_alu instid0(VALU_DEP_2) | instskip(NEXT) | instid1(VALU_DEP_2)
	v_and_b32_e32 v1, 0x80000000, v1
	v_lshl_add_u32 v5, v8, 23, 0x3b800000
	s_delay_alu instid0(VALU_DEP_3) | instskip(NEXT) | instid1(VALU_DEP_1)
	v_lshlrev_b32_e32 v3, 20, v3
	v_or3_b32 v1, v1, v5, v3
	s_delay_alu instid0(VALU_DEP_1)
	v_cvt_i32_f32_e32 v8, v1
.LBB23_568:
	s_or_b32 exec_lo, exec_lo, s44
.LBB23_569:
	s_mov_b32 s44, -1
.LBB23_570:
	s_mov_b32 s45, 0
.LBB23_571:
	s_delay_alu instid0(SALU_CYCLE_1)
	s_and_b32 vcc_lo, exec_lo, s45
	s_cbranch_vccz .LBB23_604
; %bb.572:
	s_cmp_gt_i32 s43, 22
	s_cbranch_scc0 .LBB23_580
; %bb.573:
	s_cmp_lt_i32 s43, 24
	s_cbranch_scc1 .LBB23_583
; %bb.574:
	s_cmp_gt_i32 s43, 24
	s_cbranch_scc0 .LBB23_584
; %bb.575:
	global_load_u8 v1, v[6:7], off
	s_mov_b32 s45, 0
	s_mov_b32 s44, exec_lo
	s_wait_loadcnt 0x0
	v_cmpx_lt_i16_e32 0x7f, v1
	s_xor_b32 s44, exec_lo, s44
	s_cbranch_execz .LBB23_596
; %bb.576:
	v_cmp_ne_u16_e32 vcc_lo, 0x80, v1
	s_and_b32 s45, vcc_lo, exec_lo
	s_and_not1_saveexec_b32 s44, s44
	s_cbranch_execnz .LBB23_597
.LBB23_577:
	s_or_b32 exec_lo, exec_lo, s44
	v_mov_b32_e32 v8, 0
	s_and_saveexec_b32 s44, s45
	s_cbranch_execz .LBB23_579
.LBB23_578:
	v_and_b32_e32 v3, 0xffff, v1
	s_delay_alu instid0(VALU_DEP_1) | instskip(SKIP_1) | instid1(VALU_DEP_2)
	v_and_b32_e32 v5, 3, v3
	v_bfe_u32 v10, v3, 2, 5
	v_clz_i32_u32_e32 v8, v5
	s_delay_alu instid0(VALU_DEP_2) | instskip(NEXT) | instid1(VALU_DEP_2)
	v_cmp_eq_u32_e32 vcc_lo, 0, v10
	v_min_u32_e32 v8, 32, v8
	s_delay_alu instid0(VALU_DEP_1) | instskip(NEXT) | instid1(VALU_DEP_1)
	v_subrev_nc_u32_e32 v9, 29, v8
	v_dual_lshlrev_b32 v3, v9, v3 :: v_dual_sub_nc_u32 v8, 30, v8
	s_delay_alu instid0(VALU_DEP_1) | instskip(NEXT) | instid1(VALU_DEP_1)
	v_dual_lshlrev_b32 v1, 24, v1 :: v_dual_bitop2_b32 v3, 3, v3 bitop3:0x40
	v_dual_cndmask_b32 v8, v10, v8 :: v_dual_cndmask_b32 v3, v5, v3
	s_delay_alu instid0(VALU_DEP_2) | instskip(NEXT) | instid1(VALU_DEP_2)
	v_and_b32_e32 v1, 0x80000000, v1
	v_lshl_add_u32 v5, v8, 23, 0x37800000
	s_delay_alu instid0(VALU_DEP_3) | instskip(NEXT) | instid1(VALU_DEP_1)
	v_lshlrev_b32_e32 v3, 21, v3
	v_or3_b32 v1, v1, v5, v3
	s_delay_alu instid0(VALU_DEP_1)
	v_cvt_i32_f32_e32 v8, v1
.LBB23_579:
	s_or_b32 exec_lo, exec_lo, s44
	s_mov_b32 s44, 0
	s_branch .LBB23_585
.LBB23_580:
	s_mov_b32 s45, -1
                                        ; implicit-def: $vgpr8
	s_branch .LBB23_591
.LBB23_581:
	s_and_not1_saveexec_b32 s44, s44
	s_cbranch_execz .LBB23_566
.LBB23_582:
	v_cmp_ne_u16_e32 vcc_lo, 0, v1
	s_and_not1_b32 s45, s45, exec_lo
	s_and_b32 s47, vcc_lo, exec_lo
	s_delay_alu instid0(SALU_CYCLE_1)
	s_or_b32 s45, s45, s47
	s_or_b32 exec_lo, exec_lo, s44
	v_mov_b32_e32 v8, 0
	s_and_saveexec_b32 s44, s45
	s_cbranch_execnz .LBB23_567
	s_branch .LBB23_568
.LBB23_583:
	s_mov_b32 s44, -1
                                        ; implicit-def: $vgpr8
	s_branch .LBB23_588
.LBB23_584:
	s_mov_b32 s44, -1
                                        ; implicit-def: $vgpr8
.LBB23_585:
	s_delay_alu instid0(SALU_CYCLE_1)
	s_and_b32 vcc_lo, exec_lo, s44
	s_cbranch_vccz .LBB23_587
; %bb.586:
	global_load_u8 v1, v[6:7], off
	s_wait_loadcnt 0x0
	v_lshlrev_b32_e32 v1, 24, v1
	s_delay_alu instid0(VALU_DEP_1) | instskip(NEXT) | instid1(VALU_DEP_1)
	v_and_b32_e32 v3, 0x7f000000, v1
	v_clz_i32_u32_e32 v5, v3
	s_wait_xcnt 0x1
	v_add_nc_u32_e32 v9, 0x1000000, v3
	v_cmp_ne_u32_e32 vcc_lo, 0, v3
	s_delay_alu instid0(VALU_DEP_3) | instskip(NEXT) | instid1(VALU_DEP_1)
	v_min_u32_e32 v5, 32, v5
	v_sub_nc_u32_e64 v5, v5, 4 clamp
	s_delay_alu instid0(VALU_DEP_1) | instskip(NEXT) | instid1(VALU_DEP_1)
	v_dual_lshlrev_b32 v8, v5, v3 :: v_dual_lshlrev_b32 v5, 23, v5
	v_lshrrev_b32_e32 v8, 4, v8
	s_delay_alu instid0(VALU_DEP_1) | instskip(SKIP_1) | instid1(VALU_DEP_2)
	v_sub_nc_u32_e32 v5, v8, v5
	v_ashrrev_i32_e32 v8, 8, v9
	v_add_nc_u32_e32 v5, 0x3c000000, v5
	s_delay_alu instid0(VALU_DEP_1) | instskip(NEXT) | instid1(VALU_DEP_1)
	v_and_or_b32 v5, 0x7f800000, v8, v5
	v_cndmask_b32_e32 v3, 0, v5, vcc_lo
	s_delay_alu instid0(VALU_DEP_1) | instskip(NEXT) | instid1(VALU_DEP_1)
	v_and_or_b32 v1, 0x80000000, v1, v3
	v_cvt_i32_f32_e32 v8, v1
.LBB23_587:
	s_mov_b32 s44, 0
.LBB23_588:
	s_delay_alu instid0(SALU_CYCLE_1)
	s_and_not1_b32 vcc_lo, exec_lo, s44
	s_cbranch_vccnz .LBB23_590
; %bb.589:
	global_load_u8 v1, v[6:7], off
	s_wait_loadcnt 0x0
	v_lshlrev_b32_e32 v3, 25, v1
	v_lshlrev_b16 v1, 8, v1
	s_wait_xcnt 0x1
	s_delay_alu instid0(VALU_DEP_1) | instskip(SKIP_1) | instid1(VALU_DEP_2)
	v_and_or_b32 v8, 0x7f00, v1, 0.5
	v_bfe_i32 v1, v1, 0, 16
	v_dual_add_f32 v8, -0.5, v8 :: v_dual_lshrrev_b32 v5, 4, v3
	v_cmp_gt_u32_e32 vcc_lo, 0x8000000, v3
	s_delay_alu instid0(VALU_DEP_2) | instskip(NEXT) | instid1(VALU_DEP_1)
	v_or_b32_e32 v5, 0x70000000, v5
	v_mul_f32_e32 v5, 0x7800000, v5
	s_delay_alu instid0(VALU_DEP_1) | instskip(NEXT) | instid1(VALU_DEP_1)
	v_cndmask_b32_e32 v3, v5, v8, vcc_lo
	v_and_or_b32 v1, 0x80000000, v1, v3
	s_delay_alu instid0(VALU_DEP_1)
	v_cvt_i32_f32_e32 v8, v1
.LBB23_590:
	s_mov_b32 s45, 0
	s_mov_b32 s44, -1
.LBB23_591:
	s_and_not1_b32 vcc_lo, exec_lo, s45
	s_cbranch_vccnz .LBB23_604
; %bb.592:
	s_cmp_gt_i32 s43, 14
	s_cbranch_scc0 .LBB23_595
; %bb.593:
	s_cmp_eq_u32 s43, 15
	s_cbranch_scc0 .LBB23_598
; %bb.594:
	global_load_u16 v1, v[6:7], off
	s_mov_b32 s44, -1
	s_mov_b32 s27, 0
	s_wait_loadcnt 0x0
	v_lshlrev_b32_e32 v1, 16, v1
	s_wait_xcnt 0x1
	s_delay_alu instid0(VALU_DEP_1)
	v_cvt_i32_f32_e32 v8, v1
	s_branch .LBB23_599
.LBB23_595:
	s_mov_b32 s45, -1
                                        ; implicit-def: $vgpr8
	s_branch .LBB23_600
.LBB23_596:
	s_and_not1_saveexec_b32 s44, s44
	s_cbranch_execz .LBB23_577
.LBB23_597:
	v_cmp_ne_u16_e32 vcc_lo, 0, v1
	s_and_not1_b32 s45, s45, exec_lo
	s_and_b32 s47, vcc_lo, exec_lo
	s_delay_alu instid0(SALU_CYCLE_1)
	s_or_b32 s45, s45, s47
	s_or_b32 exec_lo, exec_lo, s44
	v_mov_b32_e32 v8, 0
	s_and_saveexec_b32 s44, s45
	s_cbranch_execnz .LBB23_578
	s_branch .LBB23_579
.LBB23_598:
	s_mov_b32 s27, -1
                                        ; implicit-def: $vgpr8
.LBB23_599:
	s_mov_b32 s45, 0
.LBB23_600:
	s_delay_alu instid0(SALU_CYCLE_1)
	s_and_b32 vcc_lo, exec_lo, s45
	s_cbranch_vccz .LBB23_604
; %bb.601:
	s_cmp_eq_u32 s43, 11
	s_cbranch_scc0 .LBB23_603
; %bb.602:
	global_load_u8 v1, v[6:7], off
	s_mov_b32 s27, 0
	s_mov_b32 s44, -1
	s_wait_loadcnt 0x0
	v_cmp_ne_u16_e32 vcc_lo, 0, v1
	s_wait_xcnt 0x1
	v_cndmask_b32_e64 v8, 0, 1, vcc_lo
	s_branch .LBB23_604
.LBB23_603:
	s_mov_b32 s27, -1
                                        ; implicit-def: $vgpr8
.LBB23_604:
	s_mov_b32 s43, 0
.LBB23_605:
	s_delay_alu instid0(SALU_CYCLE_1)
	s_and_b32 vcc_lo, exec_lo, s43
	s_cbranch_vccz .LBB23_654
; %bb.606:
	s_and_b32 s0, 0xffff, s0
	s_delay_alu instid0(SALU_CYCLE_1)
	s_cmp_lt_i32 s0, 5
	s_cbranch_scc1 .LBB23_611
; %bb.607:
	s_cmp_lt_i32 s0, 8
	s_cbranch_scc1 .LBB23_612
; %bb.608:
	s_cmp_lt_i32 s0, 9
	s_cbranch_scc1 .LBB23_613
; %bb.609:
	s_cmp_gt_i32 s0, 9
	s_cbranch_scc0 .LBB23_614
; %bb.610:
	s_wait_loadcnt 0x0
	global_load_b64 v[8:9], v[6:7], off
	s_mov_b32 s43, 0
	s_wait_loadcnt 0x0
	v_cvt_i32_f64_e32 v8, v[8:9]
	s_branch .LBB23_615
.LBB23_611:
	s_mov_b32 s43, -1
                                        ; implicit-def: $vgpr8
	s_branch .LBB23_633
.LBB23_612:
	s_mov_b32 s43, -1
                                        ; implicit-def: $vgpr8
	s_branch .LBB23_621
.LBB23_613:
	s_mov_b32 s43, -1
                                        ; implicit-def: $vgpr8
	s_branch .LBB23_618
.LBB23_614:
	s_mov_b32 s43, -1
                                        ; implicit-def: $vgpr8
.LBB23_615:
	s_delay_alu instid0(SALU_CYCLE_1)
	s_and_not1_b32 vcc_lo, exec_lo, s43
	s_cbranch_vccnz .LBB23_617
; %bb.616:
	global_load_b32 v1, v[6:7], off
	s_wait_loadcnt 0x0
	s_wait_xcnt 0x1
	v_cvt_i32_f32_e32 v8, v1
.LBB23_617:
	s_mov_b32 s43, 0
.LBB23_618:
	s_delay_alu instid0(SALU_CYCLE_1)
	s_and_not1_b32 vcc_lo, exec_lo, s43
	s_cbranch_vccnz .LBB23_620
; %bb.619:
	global_load_b32 v1, v[6:7], off
	s_wait_loadcnt 0x0
	s_wait_xcnt 0x1
	v_cvt_i16_f16_e32 v8, v1
.LBB23_620:
	s_mov_b32 s43, 0
.LBB23_621:
	s_delay_alu instid0(SALU_CYCLE_1)
	s_and_not1_b32 vcc_lo, exec_lo, s43
	s_cbranch_vccnz .LBB23_632
; %bb.622:
	s_cmp_lt_i32 s0, 6
	s_cbranch_scc1 .LBB23_625
; %bb.623:
	s_cmp_gt_i32 s0, 6
	s_cbranch_scc0 .LBB23_626
; %bb.624:
	s_wait_loadcnt 0x0
	global_load_b64 v[8:9], v[6:7], off
	s_mov_b32 s43, 0
	s_wait_loadcnt 0x0
	v_cvt_i32_f64_e32 v8, v[8:9]
	s_branch .LBB23_627
.LBB23_625:
	s_mov_b32 s43, -1
                                        ; implicit-def: $vgpr8
	s_branch .LBB23_630
.LBB23_626:
	s_mov_b32 s43, -1
                                        ; implicit-def: $vgpr8
.LBB23_627:
	s_delay_alu instid0(SALU_CYCLE_1)
	s_and_not1_b32 vcc_lo, exec_lo, s43
	s_cbranch_vccnz .LBB23_629
; %bb.628:
	global_load_b32 v1, v[6:7], off
	s_wait_loadcnt 0x0
	s_wait_xcnt 0x1
	v_cvt_i32_f32_e32 v8, v1
.LBB23_629:
	s_mov_b32 s43, 0
.LBB23_630:
	s_delay_alu instid0(SALU_CYCLE_1)
	s_and_not1_b32 vcc_lo, exec_lo, s43
	s_cbranch_vccnz .LBB23_632
; %bb.631:
	global_load_u16 v1, v[6:7], off
	s_wait_loadcnt 0x0
	s_wait_xcnt 0x1
	v_cvt_i16_f16_e32 v8, v1
.LBB23_632:
	s_mov_b32 s43, 0
.LBB23_633:
	s_delay_alu instid0(SALU_CYCLE_1)
	s_and_not1_b32 vcc_lo, exec_lo, s43
	s_cbranch_vccnz .LBB23_653
; %bb.634:
	s_cmp_lt_i32 s0, 2
	s_cbranch_scc1 .LBB23_638
; %bb.635:
	s_cmp_lt_i32 s0, 3
	s_cbranch_scc1 .LBB23_639
; %bb.636:
	s_cmp_gt_i32 s0, 3
	s_cbranch_scc0 .LBB23_640
; %bb.637:
	s_wait_loadcnt 0x0
	global_load_b64 v[8:9], v[6:7], off
	s_mov_b32 s43, 0
	s_branch .LBB23_641
.LBB23_638:
	s_mov_b32 s43, -1
                                        ; implicit-def: $vgpr8
	s_branch .LBB23_647
.LBB23_639:
	s_mov_b32 s43, -1
                                        ; implicit-def: $vgpr8
	s_branch .LBB23_644
.LBB23_640:
	s_mov_b32 s43, -1
                                        ; implicit-def: $vgpr8
.LBB23_641:
	s_delay_alu instid0(SALU_CYCLE_1)
	s_and_not1_b32 vcc_lo, exec_lo, s43
	s_cbranch_vccnz .LBB23_643
; %bb.642:
	s_wait_loadcnt 0x0
	global_load_b32 v8, v[6:7], off
.LBB23_643:
	s_mov_b32 s43, 0
.LBB23_644:
	s_delay_alu instid0(SALU_CYCLE_1)
	s_and_not1_b32 vcc_lo, exec_lo, s43
	s_cbranch_vccnz .LBB23_646
; %bb.645:
	s_wait_loadcnt 0x0
	global_load_u16 v8, v[6:7], off
.LBB23_646:
	s_mov_b32 s43, 0
.LBB23_647:
	s_delay_alu instid0(SALU_CYCLE_1)
	s_and_not1_b32 vcc_lo, exec_lo, s43
	s_cbranch_vccnz .LBB23_653
; %bb.648:
	s_cmp_gt_i32 s0, 0
	s_mov_b32 s0, 0
	s_cbranch_scc0 .LBB23_650
; %bb.649:
	s_wait_loadcnt 0x0
	global_load_u8 v8, v[6:7], off
	s_branch .LBB23_651
.LBB23_650:
	s_mov_b32 s0, -1
                                        ; implicit-def: $vgpr8
.LBB23_651:
	s_delay_alu instid0(SALU_CYCLE_1)
	s_and_not1_b32 vcc_lo, exec_lo, s0
	s_cbranch_vccnz .LBB23_653
; %bb.652:
	s_wait_loadcnt 0x0
	global_load_u8 v8, v[6:7], off
.LBB23_653:
	s_mov_b32 s44, -1
.LBB23_654:
	s_delay_alu instid0(SALU_CYCLE_1)
	s_and_not1_b32 vcc_lo, exec_lo, s44
	s_cbranch_vccnz .LBB23_662
; %bb.655:
	s_wait_loadcnt 0x0
	s_delay_alu instid0(VALU_DEP_1) | instskip(NEXT) | instid1(VALU_DEP_4)
	v_and_b32_e32 v1, 0xff, v8
	v_and_b32_e32 v4, 0xff, v4
	v_mov_b32_e32 v3, 0
	s_and_b32 s44, s11, 0xff
	s_delay_alu instid0(VALU_DEP_2) | instskip(NEXT) | instid1(VALU_DEP_2)
	v_cmp_ne_u16_e32 vcc_lo, v4, v1
	v_add_nc_u64_e32 v[2:3], s[4:5], v[2:3]
	s_xor_b32 s43, s10, vcc_lo
	s_cmp_lt_i32 s44, 11
	s_cbranch_scc1 .LBB23_663
; %bb.656:
	s_and_b32 s45, 0xffff, s44
	s_delay_alu instid0(SALU_CYCLE_1)
	s_cmp_gt_i32 s45, 25
	s_cbranch_scc0 .LBB23_664
; %bb.657:
	s_cmp_gt_i32 s45, 28
	s_cbranch_scc0 .LBB23_665
; %bb.658:
	;; [unrolled: 3-line block ×4, first 2 shown]
	s_mov_b32 s48, 0
	s_mov_b32 s0, -1
	s_cmp_eq_u32 s45, 46
	s_mov_b32 s47, 0
	s_cbranch_scc0 .LBB23_668
; %bb.661:
	v_cndmask_b32_e64 v1, 0, 1.0, s43
	s_mov_b32 s47, -1
	s_mov_b32 s0, 0
	s_delay_alu instid0(VALU_DEP_1) | instskip(NEXT) | instid1(VALU_DEP_1)
	v_bfe_u32 v4, v1, 16, 1
	v_add3_u32 v1, v1, v4, 0x7fff
	s_delay_alu instid0(VALU_DEP_1)
	v_lshrrev_b32_e32 v1, 16, v1
	global_store_b32 v[2:3], v1, off
	s_branch .LBB23_668
.LBB23_662:
	s_mov_b32 s47, 0
	s_mov_b32 s0, s39
	s_branch .LBB23_779
.LBB23_663:
	s_mov_b32 s45, -1
	s_mov_b32 s47, 0
	s_mov_b32 s0, s39
	s_branch .LBB23_737
.LBB23_664:
	s_mov_b32 s48, -1
	s_mov_b32 s47, 0
	s_mov_b32 s0, s39
	s_branch .LBB23_695
.LBB23_665:
	s_mov_b32 s48, -1
	s_mov_b32 s47, 0
	s_mov_b32 s0, s39
	s_branch .LBB23_678
.LBB23_666:
	s_mov_b32 s48, -1
	s_mov_b32 s47, 0
	s_mov_b32 s0, s39
	s_branch .LBB23_674
.LBB23_667:
	s_mov_b32 s48, -1
	s_mov_b32 s47, 0
	s_mov_b32 s0, s39
.LBB23_668:
	s_and_b32 vcc_lo, exec_lo, s48
	s_cbranch_vccz .LBB23_673
; %bb.669:
	s_cmp_eq_u32 s45, 44
	s_mov_b32 s0, -1
	s_cbranch_scc0 .LBB23_673
; %bb.670:
	v_cndmask_b32_e64 v5, 0, 1.0, s43
	s_mov_b32 s47, exec_lo
	s_wait_xcnt 0x0
	s_delay_alu instid0(VALU_DEP_1) | instskip(NEXT) | instid1(VALU_DEP_1)
	v_dual_mov_b32 v4, 0xff :: v_dual_lshrrev_b32 v1, 23, v5
	v_cmpx_ne_u32_e32 0xff, v1
; %bb.671:
	v_and_b32_e32 v4, 0x400000, v5
	v_and_or_b32 v5, 0x3fffff, v5, v1
	s_delay_alu instid0(VALU_DEP_2) | instskip(NEXT) | instid1(VALU_DEP_2)
	v_cmp_ne_u32_e32 vcc_lo, 0, v4
	v_cmp_ne_u32_e64 s0, 0, v5
	s_and_b32 s0, vcc_lo, s0
	s_delay_alu instid0(SALU_CYCLE_1) | instskip(NEXT) | instid1(VALU_DEP_1)
	v_cndmask_b32_e64 v4, 0, 1, s0
	v_add_nc_u32_e32 v4, v1, v4
; %bb.672:
	s_or_b32 exec_lo, exec_lo, s47
	s_mov_b32 s47, -1
	s_mov_b32 s0, 0
	global_store_b8 v[2:3], v4, off
.LBB23_673:
	s_mov_b32 s48, 0
.LBB23_674:
	s_delay_alu instid0(SALU_CYCLE_1)
	s_and_b32 vcc_lo, exec_lo, s48
	s_cbranch_vccz .LBB23_677
; %bb.675:
	s_cmp_eq_u32 s45, 29
	s_mov_b32 s0, -1
	s_cbranch_scc0 .LBB23_677
; %bb.676:
	s_mov_b32 s0, 0
	s_wait_xcnt 0x0
	v_cndmask_b32_e64 v4, 0, 1, s43
	v_mov_b32_e32 v5, s0
	s_mov_b32 s47, -1
	s_mov_b32 s48, 0
	global_store_b64 v[2:3], v[4:5], off
	s_branch .LBB23_678
.LBB23_677:
	s_mov_b32 s48, 0
.LBB23_678:
	s_delay_alu instid0(SALU_CYCLE_1)
	s_and_b32 vcc_lo, exec_lo, s48
	s_cbranch_vccz .LBB23_694
; %bb.679:
	s_cmp_lt_i32 s45, 27
	s_mov_b32 s47, -1
	s_cbranch_scc1 .LBB23_685
; %bb.680:
	s_cmp_gt_i32 s45, 27
	s_cbranch_scc0 .LBB23_682
; %bb.681:
	s_wait_xcnt 0x0
	v_cndmask_b32_e64 v1, 0, 1, s43
	s_mov_b32 s47, 0
	global_store_b32 v[2:3], v1, off
.LBB23_682:
	s_and_not1_b32 vcc_lo, exec_lo, s47
	s_cbranch_vccnz .LBB23_684
; %bb.683:
	s_wait_xcnt 0x0
	v_cndmask_b32_e64 v1, 0, 1, s43
	global_store_b16 v[2:3], v1, off
.LBB23_684:
	s_mov_b32 s47, 0
.LBB23_685:
	s_delay_alu instid0(SALU_CYCLE_1)
	s_and_not1_b32 vcc_lo, exec_lo, s47
	s_cbranch_vccnz .LBB23_693
; %bb.686:
	s_wait_xcnt 0x0
	v_cndmask_b32_e64 v4, 0, 1.0, s43
	v_mov_b32_e32 v5, 0x80
	s_mov_b32 s47, exec_lo
	s_delay_alu instid0(VALU_DEP_2)
	v_cmpx_gt_u32_e32 0x43800000, v4
	s_cbranch_execz .LBB23_692
; %bb.687:
	s_mov_b32 s48, 0
	s_mov_b32 s49, exec_lo
                                        ; implicit-def: $vgpr1
	v_cmpx_lt_u32_e32 0x3bffffff, v4
	s_xor_b32 s49, exec_lo, s49
	s_cbranch_execz .LBB23_807
; %bb.688:
	v_bfe_u32 v1, v4, 20, 1
	s_mov_b32 s48, exec_lo
	s_delay_alu instid0(VALU_DEP_1) | instskip(NEXT) | instid1(VALU_DEP_1)
	v_add3_u32 v1, v4, v1, 0x487ffff
                                        ; implicit-def: $vgpr4
	v_lshrrev_b32_e32 v1, 20, v1
	s_and_not1_saveexec_b32 s49, s49
	s_cbranch_execnz .LBB23_808
.LBB23_689:
	s_or_b32 exec_lo, exec_lo, s49
	v_mov_b32_e32 v5, 0
	s_and_saveexec_b32 s49, s48
.LBB23_690:
	v_mov_b32_e32 v5, v1
.LBB23_691:
	s_or_b32 exec_lo, exec_lo, s49
.LBB23_692:
	s_delay_alu instid0(SALU_CYCLE_1)
	s_or_b32 exec_lo, exec_lo, s47
	global_store_b8 v[2:3], v5, off
.LBB23_693:
	s_mov_b32 s47, -1
.LBB23_694:
	s_mov_b32 s48, 0
.LBB23_695:
	s_delay_alu instid0(SALU_CYCLE_1)
	s_and_b32 vcc_lo, exec_lo, s48
	s_cbranch_vccz .LBB23_736
; %bb.696:
	s_cmp_gt_i32 s45, 22
	s_mov_b32 s48, -1
	s_cbranch_scc0 .LBB23_728
; %bb.697:
	s_cmp_lt_i32 s45, 24
	s_mov_b32 s47, -1
	s_cbranch_scc1 .LBB23_717
; %bb.698:
	s_cmp_gt_i32 s45, 24
	s_cbranch_scc0 .LBB23_706
; %bb.699:
	s_wait_xcnt 0x0
	v_cndmask_b32_e64 v4, 0, 1.0, s43
	v_mov_b32_e32 v5, 0x80
	s_mov_b32 s47, exec_lo
	s_delay_alu instid0(VALU_DEP_2)
	v_cmpx_gt_u32_e32 0x47800000, v4
	s_cbranch_execz .LBB23_705
; %bb.700:
	s_mov_b32 s48, 0
	s_mov_b32 s49, exec_lo
                                        ; implicit-def: $vgpr1
	v_cmpx_lt_u32_e32 0x37ffffff, v4
	s_xor_b32 s49, exec_lo, s49
	s_cbranch_execz .LBB23_935
; %bb.701:
	v_bfe_u32 v1, v4, 21, 1
	s_mov_b32 s48, exec_lo
	s_delay_alu instid0(VALU_DEP_1) | instskip(NEXT) | instid1(VALU_DEP_1)
	v_add3_u32 v1, v4, v1, 0x88fffff
                                        ; implicit-def: $vgpr4
	v_lshrrev_b32_e32 v1, 21, v1
	s_and_not1_saveexec_b32 s49, s49
	s_cbranch_execnz .LBB23_936
.LBB23_702:
	s_or_b32 exec_lo, exec_lo, s49
	v_mov_b32_e32 v5, 0
	s_and_saveexec_b32 s49, s48
.LBB23_703:
	v_mov_b32_e32 v5, v1
.LBB23_704:
	s_or_b32 exec_lo, exec_lo, s49
.LBB23_705:
	s_delay_alu instid0(SALU_CYCLE_1)
	s_or_b32 exec_lo, exec_lo, s47
	s_mov_b32 s47, 0
	global_store_b8 v[2:3], v5, off
.LBB23_706:
	s_and_b32 vcc_lo, exec_lo, s47
	s_cbranch_vccz .LBB23_716
; %bb.707:
	s_wait_xcnt 0x0
	v_cndmask_b32_e64 v4, 0, 1.0, s43
	s_mov_b32 s47, exec_lo
                                        ; implicit-def: $vgpr1
	s_delay_alu instid0(VALU_DEP_1)
	v_cmpx_gt_u32_e32 0x43f00000, v4
	s_xor_b32 s47, exec_lo, s47
	s_cbranch_execz .LBB23_713
; %bb.708:
	s_mov_b32 s48, exec_lo
                                        ; implicit-def: $vgpr1
	v_cmpx_lt_u32_e32 0x3c7fffff, v4
	s_xor_b32 s48, exec_lo, s48
; %bb.709:
	v_bfe_u32 v1, v4, 20, 1
	s_delay_alu instid0(VALU_DEP_1) | instskip(NEXT) | instid1(VALU_DEP_1)
	v_add3_u32 v1, v4, v1, 0x407ffff
	v_and_b32_e32 v4, 0xff00000, v1
	v_lshrrev_b32_e32 v1, 20, v1
	s_delay_alu instid0(VALU_DEP_2) | instskip(NEXT) | instid1(VALU_DEP_2)
	v_cmp_ne_u32_e32 vcc_lo, 0x7f00000, v4
                                        ; implicit-def: $vgpr4
	v_cndmask_b32_e32 v1, 0x7e, v1, vcc_lo
; %bb.710:
	s_and_not1_saveexec_b32 s48, s48
; %bb.711:
	v_add_f32_e32 v1, 0x46800000, v4
; %bb.712:
	s_or_b32 exec_lo, exec_lo, s48
                                        ; implicit-def: $vgpr4
.LBB23_713:
	s_and_not1_saveexec_b32 s47, s47
; %bb.714:
	v_mov_b32_e32 v1, 0x7f
	v_cmp_lt_u32_e32 vcc_lo, 0x7f800000, v4
	s_delay_alu instid0(VALU_DEP_2)
	v_cndmask_b32_e32 v1, 0x7e, v1, vcc_lo
; %bb.715:
	s_or_b32 exec_lo, exec_lo, s47
	global_store_b8 v[2:3], v1, off
.LBB23_716:
	s_mov_b32 s47, 0
.LBB23_717:
	s_delay_alu instid0(SALU_CYCLE_1)
	s_and_not1_b32 vcc_lo, exec_lo, s47
	s_cbranch_vccnz .LBB23_727
; %bb.718:
	s_wait_xcnt 0x0
	v_cndmask_b32_e64 v4, 0, 1.0, s43
	s_mov_b32 s47, exec_lo
                                        ; implicit-def: $vgpr1
	s_delay_alu instid0(VALU_DEP_1)
	v_cmpx_gt_u32_e32 0x47800000, v4
	s_xor_b32 s47, exec_lo, s47
	s_cbranch_execz .LBB23_724
; %bb.719:
	s_mov_b32 s48, exec_lo
                                        ; implicit-def: $vgpr1
	v_cmpx_lt_u32_e32 0x387fffff, v4
	s_xor_b32 s48, exec_lo, s48
; %bb.720:
	v_bfe_u32 v1, v4, 21, 1
	s_delay_alu instid0(VALU_DEP_1) | instskip(NEXT) | instid1(VALU_DEP_1)
	v_add3_u32 v1, v4, v1, 0x80fffff
                                        ; implicit-def: $vgpr4
	v_lshrrev_b32_e32 v1, 21, v1
; %bb.721:
	s_and_not1_saveexec_b32 s48, s48
; %bb.722:
	v_add_f32_e32 v1, 0x43000000, v4
; %bb.723:
	s_or_b32 exec_lo, exec_lo, s48
                                        ; implicit-def: $vgpr4
.LBB23_724:
	s_and_not1_saveexec_b32 s47, s47
; %bb.725:
	v_mov_b32_e32 v1, 0x7f
	v_cmp_lt_u32_e32 vcc_lo, 0x7f800000, v4
	s_delay_alu instid0(VALU_DEP_2)
	v_cndmask_b32_e32 v1, 0x7c, v1, vcc_lo
; %bb.726:
	s_or_b32 exec_lo, exec_lo, s47
	global_store_b8 v[2:3], v1, off
.LBB23_727:
	s_mov_b32 s48, 0
	s_mov_b32 s47, -1
.LBB23_728:
	s_and_not1_b32 vcc_lo, exec_lo, s48
	s_cbranch_vccnz .LBB23_736
; %bb.729:
	s_cmp_gt_i32 s45, 14
	s_mov_b32 s48, -1
	s_cbranch_scc0 .LBB23_733
; %bb.730:
	s_cmp_eq_u32 s45, 15
	s_mov_b32 s0, -1
	s_cbranch_scc0 .LBB23_732
; %bb.731:
	s_wait_xcnt 0x0
	v_cndmask_b32_e64 v1, 0, 1.0, s43
	s_mov_b32 s47, -1
	s_mov_b32 s0, 0
	s_delay_alu instid0(VALU_DEP_1) | instskip(NEXT) | instid1(VALU_DEP_1)
	v_bfe_u32 v4, v1, 16, 1
	v_add3_u32 v1, v1, v4, 0x7fff
	global_store_d16_hi_b16 v[2:3], v1, off
.LBB23_732:
	s_mov_b32 s48, 0
.LBB23_733:
	s_delay_alu instid0(SALU_CYCLE_1)
	s_and_b32 vcc_lo, exec_lo, s48
	s_cbranch_vccz .LBB23_736
; %bb.734:
	s_cmp_eq_u32 s45, 11
	s_mov_b32 s0, -1
	s_cbranch_scc0 .LBB23_736
; %bb.735:
	s_wait_xcnt 0x0
	v_cndmask_b32_e64 v1, 0, 1, s43
	s_mov_b32 s47, -1
	s_mov_b32 s0, 0
	global_store_b8 v[2:3], v1, off
.LBB23_736:
	s_mov_b32 s45, 0
.LBB23_737:
	s_delay_alu instid0(SALU_CYCLE_1)
	s_and_b32 vcc_lo, exec_lo, s45
	s_cbranch_vccz .LBB23_776
; %bb.738:
	s_and_b32 s44, 0xffff, s44
	s_mov_b32 s45, -1
	s_cmp_lt_i32 s44, 5
	s_cbranch_scc1 .LBB23_759
; %bb.739:
	s_cmp_lt_i32 s44, 8
	s_cbranch_scc1 .LBB23_749
; %bb.740:
	;; [unrolled: 3-line block ×3, first 2 shown]
	s_cmp_gt_i32 s44, 9
	s_cbranch_scc0 .LBB23_743
; %bb.742:
	s_wait_xcnt 0x0
	v_cndmask_b32_e64 v1, 0, 1, s43
	v_mov_b32_e32 v6, 0
	s_mov_b32 s45, 0
	s_delay_alu instid0(VALU_DEP_2) | instskip(NEXT) | instid1(VALU_DEP_2)
	v_cvt_f64_u32_e32 v[4:5], v1
	v_mov_b32_e32 v7, v6
	global_store_b128 v[2:3], v[4:7], off
.LBB23_743:
	s_and_not1_b32 vcc_lo, exec_lo, s45
	s_cbranch_vccnz .LBB23_745
; %bb.744:
	s_wait_xcnt 0x0
	v_cndmask_b32_e64 v4, 0, 1.0, s43
	v_mov_b32_e32 v5, 0
	global_store_b64 v[2:3], v[4:5], off
.LBB23_745:
	s_mov_b32 s45, 0
.LBB23_746:
	s_delay_alu instid0(SALU_CYCLE_1)
	s_and_not1_b32 vcc_lo, exec_lo, s45
	s_cbranch_vccnz .LBB23_748
; %bb.747:
	s_wait_xcnt 0x0
	v_cndmask_b32_e64 v1, 0, 1.0, s43
	s_delay_alu instid0(VALU_DEP_1) | instskip(NEXT) | instid1(VALU_DEP_1)
	v_cvt_f16_f32_e32 v1, v1
	v_and_b32_e32 v1, 0xffff, v1
	global_store_b32 v[2:3], v1, off
.LBB23_748:
	s_mov_b32 s45, 0
.LBB23_749:
	s_delay_alu instid0(SALU_CYCLE_1)
	s_and_not1_b32 vcc_lo, exec_lo, s45
	s_cbranch_vccnz .LBB23_758
; %bb.750:
	s_cmp_lt_i32 s44, 6
	s_mov_b32 s45, -1
	s_cbranch_scc1 .LBB23_756
; %bb.751:
	s_cmp_gt_i32 s44, 6
	s_cbranch_scc0 .LBB23_753
; %bb.752:
	s_wait_xcnt 0x0
	v_cndmask_b32_e64 v1, 0, 1, s43
	s_mov_b32 s45, 0
	s_delay_alu instid0(VALU_DEP_1)
	v_cvt_f64_u32_e32 v[4:5], v1
	global_store_b64 v[2:3], v[4:5], off
.LBB23_753:
	s_and_not1_b32 vcc_lo, exec_lo, s45
	s_cbranch_vccnz .LBB23_755
; %bb.754:
	s_wait_xcnt 0x0
	v_cndmask_b32_e64 v1, 0, 1.0, s43
	global_store_b32 v[2:3], v1, off
.LBB23_755:
	s_mov_b32 s45, 0
.LBB23_756:
	s_delay_alu instid0(SALU_CYCLE_1)
	s_and_not1_b32 vcc_lo, exec_lo, s45
	s_cbranch_vccnz .LBB23_758
; %bb.757:
	s_wait_xcnt 0x0
	v_cndmask_b32_e64 v1, 0, 1.0, s43
	s_delay_alu instid0(VALU_DEP_1)
	v_cvt_f16_f32_e32 v1, v1
	global_store_b16 v[2:3], v1, off
.LBB23_758:
	s_mov_b32 s45, 0
.LBB23_759:
	s_delay_alu instid0(SALU_CYCLE_1)
	s_and_not1_b32 vcc_lo, exec_lo, s45
	s_cbranch_vccnz .LBB23_775
; %bb.760:
	s_cmp_lt_i32 s44, 2
	s_mov_b32 s45, -1
	s_cbranch_scc1 .LBB23_770
; %bb.761:
	s_cmp_lt_i32 s44, 3
	s_cbranch_scc1 .LBB23_767
; %bb.762:
	s_cmp_gt_i32 s44, 3
	s_cbranch_scc0 .LBB23_764
; %bb.763:
	s_mov_b32 s45, 0
	s_wait_xcnt 0x0
	v_cndmask_b32_e64 v4, 0, 1, s43
	v_mov_b32_e32 v5, s45
	global_store_b64 v[2:3], v[4:5], off
.LBB23_764:
	s_and_not1_b32 vcc_lo, exec_lo, s45
	s_cbranch_vccnz .LBB23_766
; %bb.765:
	s_wait_xcnt 0x0
	v_cndmask_b32_e64 v1, 0, 1, s43
	global_store_b32 v[2:3], v1, off
.LBB23_766:
	s_mov_b32 s45, 0
.LBB23_767:
	s_delay_alu instid0(SALU_CYCLE_1)
	s_and_not1_b32 vcc_lo, exec_lo, s45
	s_cbranch_vccnz .LBB23_769
; %bb.768:
	s_wait_xcnt 0x0
	v_cndmask_b32_e64 v1, 0, 1, s43
	global_store_b16 v[2:3], v1, off
.LBB23_769:
	s_mov_b32 s45, 0
.LBB23_770:
	s_delay_alu instid0(SALU_CYCLE_1)
	s_and_not1_b32 vcc_lo, exec_lo, s45
	s_cbranch_vccnz .LBB23_775
; %bb.771:
	s_wait_xcnt 0x0
	v_cndmask_b32_e64 v1, 0, 1, s43
	s_cmp_gt_i32 s44, 0
	s_mov_b32 s43, -1
	s_cbranch_scc0 .LBB23_773
; %bb.772:
	s_mov_b32 s43, 0
	global_store_b8 v[2:3], v1, off
.LBB23_773:
	s_and_not1_b32 vcc_lo, exec_lo, s43
	s_cbranch_vccnz .LBB23_775
; %bb.774:
	global_store_b8 v[2:3], v1, off
.LBB23_775:
	s_mov_b32 s47, -1
.LBB23_776:
	s_delay_alu instid0(SALU_CYCLE_1)
	s_and_not1_b32 vcc_lo, exec_lo, s47
	s_cbranch_vccnz .LBB23_778
; %bb.777:
	v_add_nc_u32_e32 v0, 0x80, v0
	s_mov_b32 s47, -1
	s_branch .LBB23_780
.LBB23_778:
	s_mov_b32 s47, 0
.LBB23_779:
                                        ; implicit-def: $vgpr0
.LBB23_780:
	s_and_not1_b32 s43, s39, exec_lo
	s_and_b32 s0, s0, exec_lo
	s_and_b32 s27, s27, exec_lo
	s_or_b32 s44, s43, s0
	s_and_not1_b32 s0, s40, exec_lo
	s_and_not1_b32 s43, s41, exec_lo
	s_and_b32 s26, s26, exec_lo
	s_or_b32 s45, s0, s27
	s_or_b32 s43, s43, s26
	s_or_not1_b32 s48, s47, exec_lo
.LBB23_781:
	s_wait_xcnt 0x0
	s_or_b32 exec_lo, exec_lo, s46
	s_mov_b32 s27, 0
	s_mov_b32 s47, 0
	;; [unrolled: 1-line block ×3, first 2 shown]
                                        ; implicit-def: $sgpr0
                                        ; implicit-def: $vgpr8_vgpr9
                                        ; implicit-def: $vgpr6
                                        ; implicit-def: $vgpr2
                                        ; implicit-def: $vgpr4
	s_and_saveexec_b32 s46, s48
	s_cbranch_execz .LBB23_1268
; %bb.782:
	s_mov_b32 s52, -1
	s_mov_b32 s48, s43
	s_mov_b32 s50, s45
	s_mov_b32 s49, s44
	s_mov_b32 s47, exec_lo
	v_cmpx_gt_i32_e64 s37, v0
	s_cbranch_execz .LBB23_1176
; %bb.783:
	s_and_not1_b32 vcc_lo, exec_lo, s31
	s_cbranch_vccnz .LBB23_789
; %bb.784:
	s_and_not1_b32 vcc_lo, exec_lo, s38
	s_cbranch_vccnz .LBB23_790
; %bb.785:
	v_dual_mov_b32 v2, 0 :: v_dual_mov_b32 v1, v0
	s_wait_loadcnt 0x0
	v_dual_mov_b32 v4, 0 :: v_dual_mov_b32 v6, 0
	s_add_co_i32 s0, s36, 1
	s_mov_b64 s[26:27], 0xffffffffffffffe8
	s_and_b32 s0, s0, 30
	s_add_nc_u64 s[26:27], s[2:3], s[26:27]
.LBB23_786:                             ; =>This Inner Loop Header: Depth=1
	s_clause 0x1
	s_load_b128 s[48:51], s[26:27], 0x1c
	s_load_b64 s[56:57], s[26:27], 0x2c
	s_add_co_i32 s0, s0, -2
	s_delay_alu instid0(SALU_CYCLE_1) | instskip(SKIP_2) | instid1(VALU_DEP_1)
	s_cmp_eq_u32 s0, 0
	s_wait_kmcnt 0x0
	v_mul_hi_u32 v3, s49, v1
	v_add_nc_u32_e32 v3, v1, v3
	s_delay_alu instid0(VALU_DEP_1) | instskip(NEXT) | instid1(VALU_DEP_1)
	v_lshrrev_b32_e32 v3, s50, v3
	v_mul_hi_u32 v5, s56, v3
	v_mul_lo_u32 v7, v3, s48
	s_clause 0x1
	s_load_b128 s[52:55], s[26:27], 0xdc
	s_load_b64 s[48:49], s[26:27], 0xec
	s_wait_xcnt 0x0
	s_add_nc_u64 s[26:27], s[26:27], 24
	s_delay_alu instid0(VALU_DEP_1) | instskip(NEXT) | instid1(VALU_DEP_1)
	v_dual_add_nc_u32 v5, v3, v5 :: v_dual_sub_nc_u32 v7, v1, v7
	v_lshrrev_b32_e32 v1, s57, v5
	s_wait_kmcnt 0x0
	s_delay_alu instid0(VALU_DEP_2) | instskip(NEXT) | instid1(VALU_DEP_2)
	v_mad_u32 v2, v7, s52, v2
	v_mul_lo_u32 v5, v1, s51
	v_mad_u32 v6, v7, s54, v6
	v_mad_u32 v4, v7, s53, v4
	s_delay_alu instid0(VALU_DEP_3) | instskip(NEXT) | instid1(VALU_DEP_1)
	v_sub_nc_u32_e32 v3, v3, v5
	v_mad_u32 v2, v3, s55, v2
	s_delay_alu instid0(VALU_DEP_4) | instskip(NEXT) | instid1(VALU_DEP_4)
	v_mad_u32 v6, v3, s49, v6
	v_mad_u32 v4, v3, s48, v4
	s_cbranch_scc0 .LBB23_786
; %bb.787:
	s_bitcmp1_b32 s36, 0
	s_cselect_b32 s0, -1, 0
	s_delay_alu instid0(SALU_CYCLE_1)
	s_and_b32 vcc_lo, exec_lo, s0
	s_cbranch_vccnz .LBB23_791
; %bb.788:
	s_clause 0x1
	s_load_b96 s[48:50], s[26:27], 0x1c
	s_load_b96 s[52:54], s[26:27], 0xdc
	s_wait_kmcnt 0x0
	v_mul_hi_u32 v3, s49, v1
	s_delay_alu instid0(VALU_DEP_1) | instskip(NEXT) | instid1(VALU_DEP_1)
	v_add_nc_u32_e32 v3, v1, v3
	v_lshrrev_b32_e32 v3, s50, v3
	s_delay_alu instid0(VALU_DEP_1) | instskip(NEXT) | instid1(VALU_DEP_1)
	v_mul_lo_u32 v3, v3, s48
	v_sub_nc_u32_e32 v1, v1, v3
	s_delay_alu instid0(VALU_DEP_1)
	v_mad_u32 v2, v1, s52, v2
	v_mad_u32 v4, v1, s53, v4
	;; [unrolled: 1-line block ×3, first 2 shown]
	s_branch .LBB23_791
.LBB23_789:
	s_mov_b32 s0, -1
                                        ; implicit-def: $vgpr6
                                        ; implicit-def: $vgpr4
                                        ; implicit-def: $vgpr2
	s_branch .LBB23_792
.LBB23_790:
	s_wait_loadcnt 0x0
	v_dual_mov_b32 v6, 0 :: v_dual_mov_b32 v4, 0
	v_mov_b32_e32 v2, 0
.LBB23_791:
	s_mov_b32 s0, 0
.LBB23_792:
	s_delay_alu instid0(SALU_CYCLE_1)
	s_and_not1_b32 vcc_lo, exec_lo, s0
	s_cbranch_vccnz .LBB23_795
; %bb.793:
	v_mov_b32_e32 v1, 0
	s_and_not1_b32 vcc_lo, exec_lo, s35
	s_delay_alu instid0(VALU_DEP_1) | instskip(NEXT) | instid1(VALU_DEP_1)
	v_mul_u64_e32 v[2:3], s[20:21], v[0:1]
	v_add_nc_u32_e32 v2, v0, v3
	s_wait_loadcnt 0x0
	s_delay_alu instid0(VALU_DEP_1) | instskip(NEXT) | instid1(VALU_DEP_1)
	v_lshrrev_b32_e32 v8, s14, v2
	v_mul_lo_u32 v2, v8, s12
	s_delay_alu instid0(VALU_DEP_1) | instskip(NEXT) | instid1(VALU_DEP_1)
	v_sub_nc_u32_e32 v3, v0, v2
	v_mul_lo_u32 v2, v3, s16
	v_mul_lo_u32 v6, v3, s18
	;; [unrolled: 1-line block ×3, first 2 shown]
	s_cbranch_vccnz .LBB23_795
; %bb.794:
	v_mov_b32_e32 v9, v1
	s_delay_alu instid0(VALU_DEP_1) | instskip(NEXT) | instid1(VALU_DEP_1)
	v_mul_u64_e32 v[10:11], s[24:25], v[8:9]
	v_add_nc_u32_e32 v1, v8, v11
	s_delay_alu instid0(VALU_DEP_1) | instskip(NEXT) | instid1(VALU_DEP_1)
	v_lshrrev_b32_e32 v1, s1, v1
	v_mul_lo_u32 v1, v1, s15
	s_delay_alu instid0(VALU_DEP_1) | instskip(NEXT) | instid1(VALU_DEP_1)
	v_sub_nc_u32_e32 v1, v8, v1
	v_mad_u32 v2, v1, s19, v2
	v_mad_u32 v4, v1, s22, v4
	;; [unrolled: 1-line block ×3, first 2 shown]
.LBB23_795:
	s_wait_loadcnt 0x0
	v_mov_b32_e32 v5, 0
	s_and_b32 s0, s34, 0xff
	s_delay_alu instid0(SALU_CYCLE_1) | instskip(NEXT) | instid1(VALU_DEP_1)
	s_cmp_lt_i32 s0, 11
	v_add_nc_u64_e32 v[8:9], s[6:7], v[4:5]
	s_cbranch_scc1 .LBB23_802
; %bb.796:
	s_and_b32 s27, 0xffff, s0
	s_delay_alu instid0(SALU_CYCLE_1)
	s_cmp_gt_i32 s27, 25
	s_cbranch_scc0 .LBB23_803
; %bb.797:
	s_cmp_gt_i32 s27, 28
	s_cbranch_scc0 .LBB23_804
; %bb.798:
	;; [unrolled: 3-line block ×4, first 2 shown]
	s_cmp_eq_u32 s27, 46
	s_mov_b32 s49, 0
	s_cbranch_scc0 .LBB23_809
; %bb.801:
	global_load_b32 v1, v[8:9], off
	s_mov_b32 s48, -1
	s_mov_b32 s26, 0
	s_wait_loadcnt 0x0
	v_lshlrev_b32_e32 v1, 16, v1
	s_delay_alu instid0(VALU_DEP_1)
	v_cvt_i32_f32_e32 v4, v1
	s_branch .LBB23_811
.LBB23_802:
	s_mov_b32 s27, -1
	s_mov_b32 s48, 0
	s_mov_b32 s26, s43
                                        ; implicit-def: $vgpr4
	s_branch .LBB23_872
.LBB23_803:
	s_mov_b32 s49, -1
	s_mov_b32 s48, 0
	s_mov_b32 s26, s43
                                        ; implicit-def: $vgpr4
	s_branch .LBB23_838
.LBB23_804:
	s_mov_b32 s49, -1
	s_mov_b32 s48, 0
	s_mov_b32 s26, s43
                                        ; implicit-def: $vgpr4
	s_branch .LBB23_821
.LBB23_805:
	s_mov_b32 s49, -1
	s_mov_b32 s48, 0
	s_mov_b32 s26, s43
                                        ; implicit-def: $vgpr4
	s_branch .LBB23_816
.LBB23_806:
	s_mov_b32 s49, -1
	s_mov_b32 s48, 0
	s_mov_b32 s26, s43
	s_branch .LBB23_810
.LBB23_807:
	s_and_not1_saveexec_b32 s49, s49
	s_cbranch_execz .LBB23_689
.LBB23_808:
	v_add_f32_e32 v1, 0x46000000, v4
	s_and_not1_b32 s48, s48, exec_lo
	s_delay_alu instid0(VALU_DEP_1) | instskip(NEXT) | instid1(VALU_DEP_1)
	v_and_b32_e32 v1, 0xff, v1
	v_cmp_ne_u32_e32 vcc_lo, 0, v1
	s_and_b32 s50, vcc_lo, exec_lo
	s_delay_alu instid0(SALU_CYCLE_1)
	s_or_b32 s48, s48, s50
	s_or_b32 exec_lo, exec_lo, s49
	v_mov_b32_e32 v5, 0
	s_and_saveexec_b32 s49, s48
	s_cbranch_execnz .LBB23_690
	s_branch .LBB23_691
.LBB23_809:
	s_mov_b32 s26, -1
	s_mov_b32 s48, 0
.LBB23_810:
                                        ; implicit-def: $vgpr4
.LBB23_811:
	s_and_b32 vcc_lo, exec_lo, s49
	s_cbranch_vccz .LBB23_815
; %bb.812:
	s_cmp_eq_u32 s27, 44
	s_cbranch_scc0 .LBB23_814
; %bb.813:
	global_load_u8 v1, v[8:9], off
	s_mov_b32 s26, 0
	s_mov_b32 s48, -1
	s_wait_loadcnt 0x0
	v_lshlrev_b32_e32 v3, 23, v1
	v_cmp_ne_u32_e32 vcc_lo, 0, v1
	s_delay_alu instid0(VALU_DEP_2) | instskip(NEXT) | instid1(VALU_DEP_1)
	v_cvt_i32_f32_e32 v3, v3
	v_cndmask_b32_e32 v4, 0, v3, vcc_lo
	s_branch .LBB23_815
.LBB23_814:
	s_mov_b32 s26, -1
                                        ; implicit-def: $vgpr4
.LBB23_815:
	s_mov_b32 s49, 0
.LBB23_816:
	s_delay_alu instid0(SALU_CYCLE_1)
	s_and_b32 vcc_lo, exec_lo, s49
	s_cbranch_vccz .LBB23_820
; %bb.817:
	s_cmp_eq_u32 s27, 29
	s_cbranch_scc0 .LBB23_819
; %bb.818:
	global_load_b64 v[4:5], v[8:9], off
	s_mov_b32 s48, -1
	s_mov_b32 s26, 0
	s_branch .LBB23_820
.LBB23_819:
	s_mov_b32 s26, -1
                                        ; implicit-def: $vgpr4
.LBB23_820:
	s_mov_b32 s49, 0
.LBB23_821:
	s_delay_alu instid0(SALU_CYCLE_1)
	s_and_b32 vcc_lo, exec_lo, s49
	s_cbranch_vccz .LBB23_837
; %bb.822:
	s_cmp_lt_i32 s27, 27
	s_cbranch_scc1 .LBB23_825
; %bb.823:
	s_cmp_gt_i32 s27, 27
	s_cbranch_scc0 .LBB23_826
; %bb.824:
	s_wait_loadcnt 0x0
	global_load_b32 v4, v[8:9], off
	s_mov_b32 s48, 0
	s_branch .LBB23_827
.LBB23_825:
	s_mov_b32 s48, -1
                                        ; implicit-def: $vgpr4
	s_branch .LBB23_830
.LBB23_826:
	s_mov_b32 s48, -1
                                        ; implicit-def: $vgpr4
.LBB23_827:
	s_delay_alu instid0(SALU_CYCLE_1)
	s_and_not1_b32 vcc_lo, exec_lo, s48
	s_cbranch_vccnz .LBB23_829
; %bb.828:
	s_wait_loadcnt 0x0
	global_load_u16 v4, v[8:9], off
.LBB23_829:
	s_mov_b32 s48, 0
.LBB23_830:
	s_delay_alu instid0(SALU_CYCLE_1)
	s_and_not1_b32 vcc_lo, exec_lo, s48
	s_cbranch_vccnz .LBB23_836
; %bb.831:
	global_load_u8 v1, v[8:9], off
	s_mov_b32 s49, 0
	s_mov_b32 s48, exec_lo
	s_wait_loadcnt 0x0
	v_cmpx_lt_i16_e32 0x7f, v1
	s_xor_b32 s48, exec_lo, s48
	s_cbranch_execz .LBB23_848
; %bb.832:
	v_cmp_ne_u16_e32 vcc_lo, 0x80, v1
	s_and_b32 s49, vcc_lo, exec_lo
	s_and_not1_saveexec_b32 s48, s48
	s_cbranch_execnz .LBB23_849
.LBB23_833:
	s_or_b32 exec_lo, exec_lo, s48
	v_mov_b32_e32 v4, 0
	s_and_saveexec_b32 s48, s49
	s_cbranch_execz .LBB23_835
.LBB23_834:
	v_and_b32_e32 v3, 0xffff, v1
	s_delay_alu instid0(VALU_DEP_1) | instskip(SKIP_1) | instid1(VALU_DEP_2)
	v_and_b32_e32 v4, 7, v3
	v_bfe_u32 v10, v3, 3, 4
	v_clz_i32_u32_e32 v5, v4
	s_delay_alu instid0(VALU_DEP_2) | instskip(NEXT) | instid1(VALU_DEP_2)
	v_cmp_eq_u32_e32 vcc_lo, 0, v10
	v_min_u32_e32 v5, 32, v5
	s_delay_alu instid0(VALU_DEP_1) | instskip(NEXT) | instid1(VALU_DEP_1)
	v_subrev_nc_u32_e32 v7, 28, v5
	v_dual_lshlrev_b32 v3, v7, v3 :: v_dual_sub_nc_u32 v5, 29, v5
	s_delay_alu instid0(VALU_DEP_1) | instskip(NEXT) | instid1(VALU_DEP_1)
	v_dual_lshlrev_b32 v1, 24, v1 :: v_dual_bitop2_b32 v3, 7, v3 bitop3:0x40
	v_dual_cndmask_b32 v3, v4, v3, vcc_lo :: v_dual_cndmask_b32 v5, v10, v5, vcc_lo
	s_delay_alu instid0(VALU_DEP_2) | instskip(NEXT) | instid1(VALU_DEP_2)
	v_and_b32_e32 v1, 0x80000000, v1
	v_lshlrev_b32_e32 v3, 20, v3
	s_delay_alu instid0(VALU_DEP_3) | instskip(NEXT) | instid1(VALU_DEP_1)
	v_lshl_add_u32 v4, v5, 23, 0x3b800000
	v_or3_b32 v1, v1, v4, v3
	s_delay_alu instid0(VALU_DEP_1)
	v_cvt_i32_f32_e32 v4, v1
.LBB23_835:
	s_or_b32 exec_lo, exec_lo, s48
.LBB23_836:
	s_mov_b32 s48, -1
.LBB23_837:
	s_mov_b32 s49, 0
.LBB23_838:
	s_delay_alu instid0(SALU_CYCLE_1)
	s_and_b32 vcc_lo, exec_lo, s49
	s_cbranch_vccz .LBB23_871
; %bb.839:
	s_cmp_gt_i32 s27, 22
	s_cbranch_scc0 .LBB23_847
; %bb.840:
	s_cmp_lt_i32 s27, 24
	s_cbranch_scc1 .LBB23_850
; %bb.841:
	s_cmp_gt_i32 s27, 24
	s_cbranch_scc0 .LBB23_851
; %bb.842:
	global_load_u8 v1, v[8:9], off
	s_mov_b32 s49, 0
	s_mov_b32 s48, exec_lo
	s_wait_loadcnt 0x0
	v_cmpx_lt_i16_e32 0x7f, v1
	s_xor_b32 s48, exec_lo, s48
	s_cbranch_execz .LBB23_863
; %bb.843:
	v_cmp_ne_u16_e32 vcc_lo, 0x80, v1
	s_and_b32 s49, vcc_lo, exec_lo
	s_and_not1_saveexec_b32 s48, s48
	s_cbranch_execnz .LBB23_864
.LBB23_844:
	s_or_b32 exec_lo, exec_lo, s48
	v_mov_b32_e32 v4, 0
	s_and_saveexec_b32 s48, s49
	s_cbranch_execz .LBB23_846
.LBB23_845:
	v_and_b32_e32 v3, 0xffff, v1
	s_delay_alu instid0(VALU_DEP_1) | instskip(SKIP_1) | instid1(VALU_DEP_2)
	v_and_b32_e32 v4, 3, v3
	v_bfe_u32 v10, v3, 2, 5
	v_clz_i32_u32_e32 v5, v4
	s_delay_alu instid0(VALU_DEP_2) | instskip(NEXT) | instid1(VALU_DEP_2)
	v_cmp_eq_u32_e32 vcc_lo, 0, v10
	v_min_u32_e32 v5, 32, v5
	s_delay_alu instid0(VALU_DEP_1) | instskip(NEXT) | instid1(VALU_DEP_1)
	v_subrev_nc_u32_e32 v7, 29, v5
	v_dual_lshlrev_b32 v3, v7, v3 :: v_dual_sub_nc_u32 v5, 30, v5
	s_delay_alu instid0(VALU_DEP_1) | instskip(NEXT) | instid1(VALU_DEP_1)
	v_dual_lshlrev_b32 v1, 24, v1 :: v_dual_bitop2_b32 v3, 3, v3 bitop3:0x40
	v_dual_cndmask_b32 v3, v4, v3, vcc_lo :: v_dual_cndmask_b32 v5, v10, v5, vcc_lo
	s_delay_alu instid0(VALU_DEP_2) | instskip(NEXT) | instid1(VALU_DEP_2)
	v_and_b32_e32 v1, 0x80000000, v1
	v_lshlrev_b32_e32 v3, 21, v3
	s_delay_alu instid0(VALU_DEP_3) | instskip(NEXT) | instid1(VALU_DEP_1)
	v_lshl_add_u32 v4, v5, 23, 0x37800000
	v_or3_b32 v1, v1, v4, v3
	s_delay_alu instid0(VALU_DEP_1)
	v_cvt_i32_f32_e32 v4, v1
.LBB23_846:
	s_or_b32 exec_lo, exec_lo, s48
	s_mov_b32 s48, 0
	s_branch .LBB23_852
.LBB23_847:
	s_mov_b32 s49, -1
                                        ; implicit-def: $vgpr4
	s_branch .LBB23_858
.LBB23_848:
	s_and_not1_saveexec_b32 s48, s48
	s_cbranch_execz .LBB23_833
.LBB23_849:
	v_cmp_ne_u16_e32 vcc_lo, 0, v1
	s_and_not1_b32 s49, s49, exec_lo
	s_and_b32 s50, vcc_lo, exec_lo
	s_delay_alu instid0(SALU_CYCLE_1)
	s_or_b32 s49, s49, s50
	s_or_b32 exec_lo, exec_lo, s48
	v_mov_b32_e32 v4, 0
	s_and_saveexec_b32 s48, s49
	s_cbranch_execnz .LBB23_834
	s_branch .LBB23_835
.LBB23_850:
	s_mov_b32 s48, -1
                                        ; implicit-def: $vgpr4
	s_branch .LBB23_855
.LBB23_851:
	s_mov_b32 s48, -1
                                        ; implicit-def: $vgpr4
.LBB23_852:
	s_delay_alu instid0(SALU_CYCLE_1)
	s_and_b32 vcc_lo, exec_lo, s48
	s_cbranch_vccz .LBB23_854
; %bb.853:
	global_load_u8 v1, v[8:9], off
	s_wait_loadcnt 0x0
	v_lshlrev_b32_e32 v1, 24, v1
	s_delay_alu instid0(VALU_DEP_1) | instskip(NEXT) | instid1(VALU_DEP_1)
	v_and_b32_e32 v3, 0x7f000000, v1
	v_clz_i32_u32_e32 v4, v3
	v_add_nc_u32_e32 v7, 0x1000000, v3
	v_cmp_ne_u32_e32 vcc_lo, 0, v3
	s_delay_alu instid0(VALU_DEP_3) | instskip(NEXT) | instid1(VALU_DEP_1)
	v_min_u32_e32 v4, 32, v4
	v_sub_nc_u32_e64 v4, v4, 4 clamp
	s_delay_alu instid0(VALU_DEP_1) | instskip(NEXT) | instid1(VALU_DEP_1)
	v_dual_lshlrev_b32 v5, v4, v3 :: v_dual_lshlrev_b32 v4, 23, v4
	v_lshrrev_b32_e32 v5, 4, v5
	s_delay_alu instid0(VALU_DEP_1) | instskip(NEXT) | instid1(VALU_DEP_1)
	v_dual_sub_nc_u32 v4, v5, v4 :: v_dual_ashrrev_i32 v5, 8, v7
	v_add_nc_u32_e32 v4, 0x3c000000, v4
	s_delay_alu instid0(VALU_DEP_1) | instskip(NEXT) | instid1(VALU_DEP_1)
	v_and_or_b32 v4, 0x7f800000, v5, v4
	v_cndmask_b32_e32 v3, 0, v4, vcc_lo
	s_delay_alu instid0(VALU_DEP_1) | instskip(NEXT) | instid1(VALU_DEP_1)
	v_and_or_b32 v1, 0x80000000, v1, v3
	v_cvt_i32_f32_e32 v4, v1
.LBB23_854:
	s_mov_b32 s48, 0
.LBB23_855:
	s_delay_alu instid0(SALU_CYCLE_1)
	s_and_not1_b32 vcc_lo, exec_lo, s48
	s_cbranch_vccnz .LBB23_857
; %bb.856:
	global_load_u8 v1, v[8:9], off
	s_wait_loadcnt 0x0
	v_lshlrev_b32_e32 v3, 25, v1
	v_lshlrev_b16 v1, 8, v1
	s_delay_alu instid0(VALU_DEP_1) | instskip(NEXT) | instid1(VALU_DEP_3)
	v_and_or_b32 v5, 0x7f00, v1, 0.5
	v_lshrrev_b32_e32 v4, 4, v3
	v_bfe_i32 v1, v1, 0, 16
	s_delay_alu instid0(VALU_DEP_3) | instskip(NEXT) | instid1(VALU_DEP_3)
	v_add_f32_e32 v5, -0.5, v5
	v_or_b32_e32 v4, 0x70000000, v4
	s_delay_alu instid0(VALU_DEP_1) | instskip(SKIP_1) | instid1(VALU_DEP_2)
	v_mul_f32_e32 v4, 0x7800000, v4
	v_cmp_gt_u32_e32 vcc_lo, 0x8000000, v3
	v_cndmask_b32_e32 v3, v4, v5, vcc_lo
	s_delay_alu instid0(VALU_DEP_1) | instskip(NEXT) | instid1(VALU_DEP_1)
	v_and_or_b32 v1, 0x80000000, v1, v3
	v_cvt_i32_f32_e32 v4, v1
.LBB23_857:
	s_mov_b32 s49, 0
	s_mov_b32 s48, -1
.LBB23_858:
	s_and_not1_b32 vcc_lo, exec_lo, s49
	s_cbranch_vccnz .LBB23_871
; %bb.859:
	s_cmp_gt_i32 s27, 14
	s_cbranch_scc0 .LBB23_862
; %bb.860:
	s_cmp_eq_u32 s27, 15
	s_cbranch_scc0 .LBB23_865
; %bb.861:
	global_load_u16 v1, v[8:9], off
	s_mov_b32 s48, -1
	s_mov_b32 s26, 0
	s_wait_loadcnt 0x0
	v_lshlrev_b32_e32 v1, 16, v1
	s_delay_alu instid0(VALU_DEP_1)
	v_cvt_i32_f32_e32 v4, v1
	s_branch .LBB23_866
.LBB23_862:
	s_mov_b32 s49, -1
                                        ; implicit-def: $vgpr4
	s_branch .LBB23_867
.LBB23_863:
	s_and_not1_saveexec_b32 s48, s48
	s_cbranch_execz .LBB23_844
.LBB23_864:
	v_cmp_ne_u16_e32 vcc_lo, 0, v1
	s_and_not1_b32 s49, s49, exec_lo
	s_and_b32 s50, vcc_lo, exec_lo
	s_delay_alu instid0(SALU_CYCLE_1)
	s_or_b32 s49, s49, s50
	s_or_b32 exec_lo, exec_lo, s48
	v_mov_b32_e32 v4, 0
	s_and_saveexec_b32 s48, s49
	s_cbranch_execnz .LBB23_845
	s_branch .LBB23_846
.LBB23_865:
	s_mov_b32 s26, -1
                                        ; implicit-def: $vgpr4
.LBB23_866:
	s_mov_b32 s49, 0
.LBB23_867:
	s_delay_alu instid0(SALU_CYCLE_1)
	s_and_b32 vcc_lo, exec_lo, s49
	s_cbranch_vccz .LBB23_871
; %bb.868:
	s_cmp_eq_u32 s27, 11
	s_cbranch_scc0 .LBB23_870
; %bb.869:
	global_load_u8 v1, v[8:9], off
	s_mov_b32 s26, 0
	s_mov_b32 s48, -1
	s_wait_loadcnt 0x0
	v_cmp_ne_u16_e32 vcc_lo, 0, v1
	v_cndmask_b32_e64 v4, 0, 1, vcc_lo
	s_branch .LBB23_871
.LBB23_870:
	s_mov_b32 s26, -1
                                        ; implicit-def: $vgpr4
.LBB23_871:
	s_mov_b32 s27, 0
.LBB23_872:
	s_delay_alu instid0(SALU_CYCLE_1)
	s_and_b32 vcc_lo, exec_lo, s27
	s_cbranch_vccz .LBB23_921
; %bb.873:
	s_and_b32 s0, 0xffff, s0
	s_delay_alu instid0(SALU_CYCLE_1)
	s_cmp_lt_i32 s0, 5
	s_cbranch_scc1 .LBB23_878
; %bb.874:
	s_cmp_lt_i32 s0, 8
	s_cbranch_scc1 .LBB23_879
; %bb.875:
	;; [unrolled: 3-line block ×3, first 2 shown]
	s_cmp_gt_i32 s0, 9
	s_cbranch_scc0 .LBB23_881
; %bb.877:
	s_wait_loadcnt 0x0
	global_load_b64 v[4:5], v[8:9], off
	s_mov_b32 s27, 0
	s_wait_loadcnt 0x0
	v_cvt_i32_f64_e32 v4, v[4:5]
	s_branch .LBB23_882
.LBB23_878:
	s_mov_b32 s27, -1
                                        ; implicit-def: $vgpr4
	s_branch .LBB23_900
.LBB23_879:
	s_mov_b32 s27, -1
                                        ; implicit-def: $vgpr4
	s_branch .LBB23_888
.LBB23_880:
	s_mov_b32 s27, -1
                                        ; implicit-def: $vgpr4
	s_branch .LBB23_885
.LBB23_881:
	s_mov_b32 s27, -1
                                        ; implicit-def: $vgpr4
.LBB23_882:
	s_delay_alu instid0(SALU_CYCLE_1)
	s_and_not1_b32 vcc_lo, exec_lo, s27
	s_cbranch_vccnz .LBB23_884
; %bb.883:
	global_load_b32 v1, v[8:9], off
	s_wait_loadcnt 0x0
	v_cvt_i32_f32_e32 v4, v1
.LBB23_884:
	s_mov_b32 s27, 0
.LBB23_885:
	s_delay_alu instid0(SALU_CYCLE_1)
	s_and_not1_b32 vcc_lo, exec_lo, s27
	s_cbranch_vccnz .LBB23_887
; %bb.886:
	global_load_b32 v1, v[8:9], off
	s_wait_loadcnt 0x0
	v_cvt_i16_f16_e32 v4, v1
.LBB23_887:
	s_mov_b32 s27, 0
.LBB23_888:
	s_delay_alu instid0(SALU_CYCLE_1)
	s_and_not1_b32 vcc_lo, exec_lo, s27
	s_cbranch_vccnz .LBB23_899
; %bb.889:
	s_cmp_lt_i32 s0, 6
	s_cbranch_scc1 .LBB23_892
; %bb.890:
	s_cmp_gt_i32 s0, 6
	s_cbranch_scc0 .LBB23_893
; %bb.891:
	s_wait_loadcnt 0x0
	global_load_b64 v[4:5], v[8:9], off
	s_mov_b32 s27, 0
	s_wait_loadcnt 0x0
	v_cvt_i32_f64_e32 v4, v[4:5]
	s_branch .LBB23_894
.LBB23_892:
	s_mov_b32 s27, -1
                                        ; implicit-def: $vgpr4
	s_branch .LBB23_897
.LBB23_893:
	s_mov_b32 s27, -1
                                        ; implicit-def: $vgpr4
.LBB23_894:
	s_delay_alu instid0(SALU_CYCLE_1)
	s_and_not1_b32 vcc_lo, exec_lo, s27
	s_cbranch_vccnz .LBB23_896
; %bb.895:
	global_load_b32 v1, v[8:9], off
	s_wait_loadcnt 0x0
	v_cvt_i32_f32_e32 v4, v1
.LBB23_896:
	s_mov_b32 s27, 0
.LBB23_897:
	s_delay_alu instid0(SALU_CYCLE_1)
	s_and_not1_b32 vcc_lo, exec_lo, s27
	s_cbranch_vccnz .LBB23_899
; %bb.898:
	global_load_u16 v1, v[8:9], off
	s_wait_loadcnt 0x0
	v_cvt_i16_f16_e32 v4, v1
.LBB23_899:
	s_mov_b32 s27, 0
.LBB23_900:
	s_delay_alu instid0(SALU_CYCLE_1)
	s_and_not1_b32 vcc_lo, exec_lo, s27
	s_cbranch_vccnz .LBB23_920
; %bb.901:
	s_cmp_lt_i32 s0, 2
	s_cbranch_scc1 .LBB23_905
; %bb.902:
	s_cmp_lt_i32 s0, 3
	s_cbranch_scc1 .LBB23_906
; %bb.903:
	s_cmp_gt_i32 s0, 3
	s_cbranch_scc0 .LBB23_907
; %bb.904:
	s_wait_loadcnt 0x0
	global_load_b64 v[4:5], v[8:9], off
	s_mov_b32 s27, 0
	s_branch .LBB23_908
.LBB23_905:
	s_mov_b32 s27, -1
                                        ; implicit-def: $vgpr4
	s_branch .LBB23_914
.LBB23_906:
	s_mov_b32 s27, -1
                                        ; implicit-def: $vgpr4
	s_branch .LBB23_911
.LBB23_907:
	s_mov_b32 s27, -1
                                        ; implicit-def: $vgpr4
.LBB23_908:
	s_delay_alu instid0(SALU_CYCLE_1)
	s_and_not1_b32 vcc_lo, exec_lo, s27
	s_cbranch_vccnz .LBB23_910
; %bb.909:
	s_wait_loadcnt 0x0
	global_load_b32 v4, v[8:9], off
.LBB23_910:
	s_mov_b32 s27, 0
.LBB23_911:
	s_delay_alu instid0(SALU_CYCLE_1)
	s_and_not1_b32 vcc_lo, exec_lo, s27
	s_cbranch_vccnz .LBB23_913
; %bb.912:
	s_wait_loadcnt 0x0
	global_load_u16 v4, v[8:9], off
.LBB23_913:
	s_mov_b32 s27, 0
.LBB23_914:
	s_delay_alu instid0(SALU_CYCLE_1)
	s_and_not1_b32 vcc_lo, exec_lo, s27
	s_cbranch_vccnz .LBB23_920
; %bb.915:
	s_cmp_gt_i32 s0, 0
	s_mov_b32 s0, 0
	s_cbranch_scc0 .LBB23_917
; %bb.916:
	s_wait_loadcnt 0x0
	global_load_u8 v4, v[8:9], off
	s_branch .LBB23_918
.LBB23_917:
	s_mov_b32 s0, -1
                                        ; implicit-def: $vgpr4
.LBB23_918:
	s_delay_alu instid0(SALU_CYCLE_1)
	s_and_not1_b32 vcc_lo, exec_lo, s0
	s_cbranch_vccnz .LBB23_920
; %bb.919:
	s_wait_loadcnt 0x0
	global_load_u8 v4, v[8:9], off
.LBB23_920:
	s_mov_b32 s48, -1
.LBB23_921:
	s_delay_alu instid0(SALU_CYCLE_1)
	s_and_not1_b32 vcc_lo, exec_lo, s48
	s_cbranch_vccnz .LBB23_929
; %bb.922:
	v_mov_b32_e32 v7, 0
	s_and_b32 s0, s13, 0xff
	s_delay_alu instid0(SALU_CYCLE_1) | instskip(NEXT) | instid1(VALU_DEP_1)
	s_cmp_lt_i32 s0, 11
	v_add_nc_u64_e32 v[6:7], s[8:9], v[6:7]
	s_cbranch_scc1 .LBB23_930
; %bb.923:
	s_and_b32 s48, 0xffff, s0
	s_delay_alu instid0(SALU_CYCLE_1)
	s_cmp_gt_i32 s48, 25
	s_cbranch_scc0 .LBB23_931
; %bb.924:
	s_cmp_gt_i32 s48, 28
	s_cbranch_scc0 .LBB23_932
; %bb.925:
	;; [unrolled: 3-line block ×4, first 2 shown]
	s_cmp_eq_u32 s48, 46
	s_mov_b32 s50, 0
	s_cbranch_scc0 .LBB23_937
; %bb.928:
	global_load_b32 v1, v[6:7], off
	s_mov_b32 s49, -1
	s_mov_b32 s27, 0
	s_wait_loadcnt 0x0
	v_lshlrev_b32_e32 v1, 16, v1
	s_wait_xcnt 0x1
	s_delay_alu instid0(VALU_DEP_1)
	v_cvt_i32_f32_e32 v8, v1
	s_branch .LBB23_939
.LBB23_929:
	s_mov_b32 s51, 0
	s_mov_b32 s0, s44
	s_mov_b32 s27, s45
	s_branch .LBB23_1174
.LBB23_930:
	s_mov_b32 s48, -1
	s_mov_b32 s49, 0
	s_mov_b32 s27, s45
                                        ; implicit-def: $vgpr8
	s_branch .LBB23_1000
.LBB23_931:
	s_mov_b32 s50, -1
	s_mov_b32 s49, 0
	s_mov_b32 s27, s45
                                        ; implicit-def: $vgpr8
	s_branch .LBB23_966
.LBB23_932:
	s_mov_b32 s50, -1
	s_mov_b32 s49, 0
	s_mov_b32 s27, s45
                                        ; implicit-def: $vgpr8
	s_branch .LBB23_949
.LBB23_933:
	s_mov_b32 s50, -1
	s_mov_b32 s49, 0
	s_mov_b32 s27, s45
                                        ; implicit-def: $vgpr8
	s_branch .LBB23_944
.LBB23_934:
	s_mov_b32 s50, -1
	s_mov_b32 s49, 0
	s_mov_b32 s27, s45
	s_branch .LBB23_938
.LBB23_935:
	s_and_not1_saveexec_b32 s49, s49
	s_cbranch_execz .LBB23_702
.LBB23_936:
	v_add_f32_e32 v1, 0x42800000, v4
	s_and_not1_b32 s48, s48, exec_lo
	s_delay_alu instid0(VALU_DEP_1) | instskip(NEXT) | instid1(VALU_DEP_1)
	v_and_b32_e32 v1, 0xff, v1
	v_cmp_ne_u32_e32 vcc_lo, 0, v1
	s_and_b32 s50, vcc_lo, exec_lo
	s_delay_alu instid0(SALU_CYCLE_1)
	s_or_b32 s48, s48, s50
	s_or_b32 exec_lo, exec_lo, s49
	v_mov_b32_e32 v5, 0
	s_and_saveexec_b32 s49, s48
	s_cbranch_execnz .LBB23_703
	s_branch .LBB23_704
.LBB23_937:
	s_mov_b32 s27, -1
	s_mov_b32 s49, 0
.LBB23_938:
                                        ; implicit-def: $vgpr8
.LBB23_939:
	s_and_b32 vcc_lo, exec_lo, s50
	s_cbranch_vccz .LBB23_943
; %bb.940:
	s_cmp_eq_u32 s48, 44
	s_cbranch_scc0 .LBB23_942
; %bb.941:
	global_load_u8 v1, v[6:7], off
	s_mov_b32 s27, 0
	s_mov_b32 s49, -1
	s_wait_loadcnt 0x0
	v_lshlrev_b32_e32 v3, 23, v1
	v_cmp_ne_u32_e32 vcc_lo, 0, v1
	s_delay_alu instid0(VALU_DEP_2) | instskip(SKIP_1) | instid1(VALU_DEP_1)
	v_cvt_i32_f32_e32 v3, v3
	s_wait_xcnt 0x1
	v_cndmask_b32_e32 v8, 0, v3, vcc_lo
	s_branch .LBB23_943
.LBB23_942:
	s_mov_b32 s27, -1
                                        ; implicit-def: $vgpr8
.LBB23_943:
	s_mov_b32 s50, 0
.LBB23_944:
	s_delay_alu instid0(SALU_CYCLE_1)
	s_and_b32 vcc_lo, exec_lo, s50
	s_cbranch_vccz .LBB23_948
; %bb.945:
	s_cmp_eq_u32 s48, 29
	s_cbranch_scc0 .LBB23_947
; %bb.946:
	global_load_b64 v[8:9], v[6:7], off
	s_mov_b32 s49, -1
	s_mov_b32 s27, 0
	s_branch .LBB23_948
.LBB23_947:
	s_mov_b32 s27, -1
                                        ; implicit-def: $vgpr8
.LBB23_948:
	s_mov_b32 s50, 0
.LBB23_949:
	s_delay_alu instid0(SALU_CYCLE_1)
	s_and_b32 vcc_lo, exec_lo, s50
	s_cbranch_vccz .LBB23_965
; %bb.950:
	s_cmp_lt_i32 s48, 27
	s_cbranch_scc1 .LBB23_953
; %bb.951:
	s_cmp_gt_i32 s48, 27
	s_cbranch_scc0 .LBB23_954
; %bb.952:
	s_wait_loadcnt 0x0
	global_load_b32 v8, v[6:7], off
	s_mov_b32 s49, 0
	s_branch .LBB23_955
.LBB23_953:
	s_mov_b32 s49, -1
                                        ; implicit-def: $vgpr8
	s_branch .LBB23_958
.LBB23_954:
	s_mov_b32 s49, -1
                                        ; implicit-def: $vgpr8
.LBB23_955:
	s_delay_alu instid0(SALU_CYCLE_1)
	s_and_not1_b32 vcc_lo, exec_lo, s49
	s_cbranch_vccnz .LBB23_957
; %bb.956:
	s_wait_loadcnt 0x0
	global_load_u16 v8, v[6:7], off
.LBB23_957:
	s_mov_b32 s49, 0
.LBB23_958:
	s_delay_alu instid0(SALU_CYCLE_1)
	s_and_not1_b32 vcc_lo, exec_lo, s49
	s_cbranch_vccnz .LBB23_964
; %bb.959:
	global_load_u8 v1, v[6:7], off
	s_mov_b32 s50, 0
	s_mov_b32 s49, exec_lo
	s_wait_loadcnt 0x0
	v_cmpx_lt_i16_e32 0x7f, v1
	s_xor_b32 s49, exec_lo, s49
	s_cbranch_execz .LBB23_976
; %bb.960:
	v_cmp_ne_u16_e32 vcc_lo, 0x80, v1
	s_and_b32 s50, vcc_lo, exec_lo
	s_and_not1_saveexec_b32 s49, s49
	s_cbranch_execnz .LBB23_977
.LBB23_961:
	s_or_b32 exec_lo, exec_lo, s49
	v_mov_b32_e32 v8, 0
	s_and_saveexec_b32 s49, s50
	s_cbranch_execz .LBB23_963
.LBB23_962:
	v_and_b32_e32 v3, 0xffff, v1
	s_delay_alu instid0(VALU_DEP_1) | instskip(SKIP_1) | instid1(VALU_DEP_2)
	v_and_b32_e32 v5, 7, v3
	v_bfe_u32 v10, v3, 3, 4
	v_clz_i32_u32_e32 v8, v5
	s_delay_alu instid0(VALU_DEP_2) | instskip(NEXT) | instid1(VALU_DEP_2)
	v_cmp_eq_u32_e32 vcc_lo, 0, v10
	v_min_u32_e32 v8, 32, v8
	s_delay_alu instid0(VALU_DEP_1) | instskip(NEXT) | instid1(VALU_DEP_1)
	v_subrev_nc_u32_e32 v9, 28, v8
	v_dual_lshlrev_b32 v3, v9, v3 :: v_dual_sub_nc_u32 v8, 29, v8
	s_delay_alu instid0(VALU_DEP_1) | instskip(NEXT) | instid1(VALU_DEP_1)
	v_dual_lshlrev_b32 v1, 24, v1 :: v_dual_bitop2_b32 v3, 7, v3 bitop3:0x40
	v_dual_cndmask_b32 v8, v10, v8 :: v_dual_cndmask_b32 v3, v5, v3
	s_delay_alu instid0(VALU_DEP_2) | instskip(NEXT) | instid1(VALU_DEP_2)
	v_and_b32_e32 v1, 0x80000000, v1
	v_lshl_add_u32 v5, v8, 23, 0x3b800000
	s_delay_alu instid0(VALU_DEP_3) | instskip(NEXT) | instid1(VALU_DEP_1)
	v_lshlrev_b32_e32 v3, 20, v3
	v_or3_b32 v1, v1, v5, v3
	s_delay_alu instid0(VALU_DEP_1)
	v_cvt_i32_f32_e32 v8, v1
.LBB23_963:
	s_or_b32 exec_lo, exec_lo, s49
.LBB23_964:
	s_mov_b32 s49, -1
.LBB23_965:
	s_mov_b32 s50, 0
.LBB23_966:
	s_delay_alu instid0(SALU_CYCLE_1)
	s_and_b32 vcc_lo, exec_lo, s50
	s_cbranch_vccz .LBB23_999
; %bb.967:
	s_cmp_gt_i32 s48, 22
	s_cbranch_scc0 .LBB23_975
; %bb.968:
	s_cmp_lt_i32 s48, 24
	s_cbranch_scc1 .LBB23_978
; %bb.969:
	s_cmp_gt_i32 s48, 24
	s_cbranch_scc0 .LBB23_979
; %bb.970:
	global_load_u8 v1, v[6:7], off
	s_mov_b32 s50, 0
	s_mov_b32 s49, exec_lo
	s_wait_loadcnt 0x0
	v_cmpx_lt_i16_e32 0x7f, v1
	s_xor_b32 s49, exec_lo, s49
	s_cbranch_execz .LBB23_991
; %bb.971:
	v_cmp_ne_u16_e32 vcc_lo, 0x80, v1
	s_and_b32 s50, vcc_lo, exec_lo
	s_and_not1_saveexec_b32 s49, s49
	s_cbranch_execnz .LBB23_992
.LBB23_972:
	s_or_b32 exec_lo, exec_lo, s49
	v_mov_b32_e32 v8, 0
	s_and_saveexec_b32 s49, s50
	s_cbranch_execz .LBB23_974
.LBB23_973:
	v_and_b32_e32 v3, 0xffff, v1
	s_delay_alu instid0(VALU_DEP_1) | instskip(SKIP_1) | instid1(VALU_DEP_2)
	v_and_b32_e32 v5, 3, v3
	v_bfe_u32 v10, v3, 2, 5
	v_clz_i32_u32_e32 v8, v5
	s_delay_alu instid0(VALU_DEP_2) | instskip(NEXT) | instid1(VALU_DEP_2)
	v_cmp_eq_u32_e32 vcc_lo, 0, v10
	v_min_u32_e32 v8, 32, v8
	s_delay_alu instid0(VALU_DEP_1) | instskip(NEXT) | instid1(VALU_DEP_1)
	v_subrev_nc_u32_e32 v9, 29, v8
	v_dual_lshlrev_b32 v3, v9, v3 :: v_dual_sub_nc_u32 v8, 30, v8
	s_delay_alu instid0(VALU_DEP_1) | instskip(NEXT) | instid1(VALU_DEP_1)
	v_dual_lshlrev_b32 v1, 24, v1 :: v_dual_bitop2_b32 v3, 3, v3 bitop3:0x40
	v_dual_cndmask_b32 v8, v10, v8 :: v_dual_cndmask_b32 v3, v5, v3
	s_delay_alu instid0(VALU_DEP_2) | instskip(NEXT) | instid1(VALU_DEP_2)
	v_and_b32_e32 v1, 0x80000000, v1
	v_lshl_add_u32 v5, v8, 23, 0x37800000
	s_delay_alu instid0(VALU_DEP_3) | instskip(NEXT) | instid1(VALU_DEP_1)
	v_lshlrev_b32_e32 v3, 21, v3
	v_or3_b32 v1, v1, v5, v3
	s_delay_alu instid0(VALU_DEP_1)
	v_cvt_i32_f32_e32 v8, v1
.LBB23_974:
	s_or_b32 exec_lo, exec_lo, s49
	s_mov_b32 s49, 0
	s_branch .LBB23_980
.LBB23_975:
	s_mov_b32 s50, -1
                                        ; implicit-def: $vgpr8
	s_branch .LBB23_986
.LBB23_976:
	s_and_not1_saveexec_b32 s49, s49
	s_cbranch_execz .LBB23_961
.LBB23_977:
	v_cmp_ne_u16_e32 vcc_lo, 0, v1
	s_and_not1_b32 s50, s50, exec_lo
	s_and_b32 s51, vcc_lo, exec_lo
	s_delay_alu instid0(SALU_CYCLE_1)
	s_or_b32 s50, s50, s51
	s_or_b32 exec_lo, exec_lo, s49
	v_mov_b32_e32 v8, 0
	s_and_saveexec_b32 s49, s50
	s_cbranch_execnz .LBB23_962
	s_branch .LBB23_963
.LBB23_978:
	s_mov_b32 s49, -1
                                        ; implicit-def: $vgpr8
	s_branch .LBB23_983
.LBB23_979:
	s_mov_b32 s49, -1
                                        ; implicit-def: $vgpr8
.LBB23_980:
	s_delay_alu instid0(SALU_CYCLE_1)
	s_and_b32 vcc_lo, exec_lo, s49
	s_cbranch_vccz .LBB23_982
; %bb.981:
	global_load_u8 v1, v[6:7], off
	s_wait_loadcnt 0x0
	v_lshlrev_b32_e32 v1, 24, v1
	s_delay_alu instid0(VALU_DEP_1) | instskip(NEXT) | instid1(VALU_DEP_1)
	v_and_b32_e32 v3, 0x7f000000, v1
	v_clz_i32_u32_e32 v5, v3
	s_wait_xcnt 0x1
	v_add_nc_u32_e32 v9, 0x1000000, v3
	v_cmp_ne_u32_e32 vcc_lo, 0, v3
	s_delay_alu instid0(VALU_DEP_3) | instskip(NEXT) | instid1(VALU_DEP_1)
	v_min_u32_e32 v5, 32, v5
	v_sub_nc_u32_e64 v5, v5, 4 clamp
	s_delay_alu instid0(VALU_DEP_1) | instskip(NEXT) | instid1(VALU_DEP_1)
	v_dual_lshlrev_b32 v8, v5, v3 :: v_dual_lshlrev_b32 v5, 23, v5
	v_lshrrev_b32_e32 v8, 4, v8
	s_delay_alu instid0(VALU_DEP_1) | instskip(SKIP_1) | instid1(VALU_DEP_2)
	v_sub_nc_u32_e32 v5, v8, v5
	v_ashrrev_i32_e32 v8, 8, v9
	v_add_nc_u32_e32 v5, 0x3c000000, v5
	s_delay_alu instid0(VALU_DEP_1) | instskip(NEXT) | instid1(VALU_DEP_1)
	v_and_or_b32 v5, 0x7f800000, v8, v5
	v_cndmask_b32_e32 v3, 0, v5, vcc_lo
	s_delay_alu instid0(VALU_DEP_1) | instskip(NEXT) | instid1(VALU_DEP_1)
	v_and_or_b32 v1, 0x80000000, v1, v3
	v_cvt_i32_f32_e32 v8, v1
.LBB23_982:
	s_mov_b32 s49, 0
.LBB23_983:
	s_delay_alu instid0(SALU_CYCLE_1)
	s_and_not1_b32 vcc_lo, exec_lo, s49
	s_cbranch_vccnz .LBB23_985
; %bb.984:
	global_load_u8 v1, v[6:7], off
	s_wait_loadcnt 0x0
	v_lshlrev_b32_e32 v3, 25, v1
	v_lshlrev_b16 v1, 8, v1
	s_wait_xcnt 0x1
	s_delay_alu instid0(VALU_DEP_1) | instskip(SKIP_1) | instid1(VALU_DEP_2)
	v_and_or_b32 v8, 0x7f00, v1, 0.5
	v_bfe_i32 v1, v1, 0, 16
	v_dual_add_f32 v8, -0.5, v8 :: v_dual_lshrrev_b32 v5, 4, v3
	v_cmp_gt_u32_e32 vcc_lo, 0x8000000, v3
	s_delay_alu instid0(VALU_DEP_2) | instskip(NEXT) | instid1(VALU_DEP_1)
	v_or_b32_e32 v5, 0x70000000, v5
	v_mul_f32_e32 v5, 0x7800000, v5
	s_delay_alu instid0(VALU_DEP_1) | instskip(NEXT) | instid1(VALU_DEP_1)
	v_cndmask_b32_e32 v3, v5, v8, vcc_lo
	v_and_or_b32 v1, 0x80000000, v1, v3
	s_delay_alu instid0(VALU_DEP_1)
	v_cvt_i32_f32_e32 v8, v1
.LBB23_985:
	s_mov_b32 s50, 0
	s_mov_b32 s49, -1
.LBB23_986:
	s_and_not1_b32 vcc_lo, exec_lo, s50
	s_cbranch_vccnz .LBB23_999
; %bb.987:
	s_cmp_gt_i32 s48, 14
	s_cbranch_scc0 .LBB23_990
; %bb.988:
	s_cmp_eq_u32 s48, 15
	s_cbranch_scc0 .LBB23_993
; %bb.989:
	global_load_u16 v1, v[6:7], off
	s_mov_b32 s49, -1
	s_mov_b32 s27, 0
	s_wait_loadcnt 0x0
	v_lshlrev_b32_e32 v1, 16, v1
	s_wait_xcnt 0x1
	s_delay_alu instid0(VALU_DEP_1)
	v_cvt_i32_f32_e32 v8, v1
	s_branch .LBB23_994
.LBB23_990:
	s_mov_b32 s50, -1
                                        ; implicit-def: $vgpr8
	s_branch .LBB23_995
.LBB23_991:
	s_and_not1_saveexec_b32 s49, s49
	s_cbranch_execz .LBB23_972
.LBB23_992:
	v_cmp_ne_u16_e32 vcc_lo, 0, v1
	s_and_not1_b32 s50, s50, exec_lo
	s_and_b32 s51, vcc_lo, exec_lo
	s_delay_alu instid0(SALU_CYCLE_1)
	s_or_b32 s50, s50, s51
	s_or_b32 exec_lo, exec_lo, s49
	v_mov_b32_e32 v8, 0
	s_and_saveexec_b32 s49, s50
	s_cbranch_execnz .LBB23_973
	s_branch .LBB23_974
.LBB23_993:
	s_mov_b32 s27, -1
                                        ; implicit-def: $vgpr8
.LBB23_994:
	s_mov_b32 s50, 0
.LBB23_995:
	s_delay_alu instid0(SALU_CYCLE_1)
	s_and_b32 vcc_lo, exec_lo, s50
	s_cbranch_vccz .LBB23_999
; %bb.996:
	s_cmp_eq_u32 s48, 11
	s_cbranch_scc0 .LBB23_998
; %bb.997:
	global_load_u8 v1, v[6:7], off
	s_mov_b32 s27, 0
	s_mov_b32 s49, -1
	s_wait_loadcnt 0x0
	v_cmp_ne_u16_e32 vcc_lo, 0, v1
	s_wait_xcnt 0x1
	v_cndmask_b32_e64 v8, 0, 1, vcc_lo
	s_branch .LBB23_999
.LBB23_998:
	s_mov_b32 s27, -1
                                        ; implicit-def: $vgpr8
.LBB23_999:
	s_mov_b32 s48, 0
.LBB23_1000:
	s_delay_alu instid0(SALU_CYCLE_1)
	s_and_b32 vcc_lo, exec_lo, s48
	s_cbranch_vccz .LBB23_1049
; %bb.1001:
	s_and_b32 s0, 0xffff, s0
	s_delay_alu instid0(SALU_CYCLE_1)
	s_cmp_lt_i32 s0, 5
	s_cbranch_scc1 .LBB23_1006
; %bb.1002:
	s_cmp_lt_i32 s0, 8
	s_cbranch_scc1 .LBB23_1007
; %bb.1003:
	;; [unrolled: 3-line block ×3, first 2 shown]
	s_cmp_gt_i32 s0, 9
	s_cbranch_scc0 .LBB23_1009
; %bb.1005:
	s_wait_loadcnt 0x0
	global_load_b64 v[8:9], v[6:7], off
	s_mov_b32 s48, 0
	s_wait_loadcnt 0x0
	v_cvt_i32_f64_e32 v8, v[8:9]
	s_branch .LBB23_1010
.LBB23_1006:
	s_mov_b32 s48, -1
                                        ; implicit-def: $vgpr8
	s_branch .LBB23_1028
.LBB23_1007:
	s_mov_b32 s48, -1
                                        ; implicit-def: $vgpr8
	s_branch .LBB23_1016
.LBB23_1008:
	s_mov_b32 s48, -1
                                        ; implicit-def: $vgpr8
	s_branch .LBB23_1013
.LBB23_1009:
	s_mov_b32 s48, -1
                                        ; implicit-def: $vgpr8
.LBB23_1010:
	s_delay_alu instid0(SALU_CYCLE_1)
	s_and_not1_b32 vcc_lo, exec_lo, s48
	s_cbranch_vccnz .LBB23_1012
; %bb.1011:
	global_load_b32 v1, v[6:7], off
	s_wait_loadcnt 0x0
	s_wait_xcnt 0x1
	v_cvt_i32_f32_e32 v8, v1
.LBB23_1012:
	s_mov_b32 s48, 0
.LBB23_1013:
	s_delay_alu instid0(SALU_CYCLE_1)
	s_and_not1_b32 vcc_lo, exec_lo, s48
	s_cbranch_vccnz .LBB23_1015
; %bb.1014:
	global_load_b32 v1, v[6:7], off
	s_wait_loadcnt 0x0
	s_wait_xcnt 0x1
	v_cvt_i16_f16_e32 v8, v1
.LBB23_1015:
	s_mov_b32 s48, 0
.LBB23_1016:
	s_delay_alu instid0(SALU_CYCLE_1)
	s_and_not1_b32 vcc_lo, exec_lo, s48
	s_cbranch_vccnz .LBB23_1027
; %bb.1017:
	s_cmp_lt_i32 s0, 6
	s_cbranch_scc1 .LBB23_1020
; %bb.1018:
	s_cmp_gt_i32 s0, 6
	s_cbranch_scc0 .LBB23_1021
; %bb.1019:
	s_wait_loadcnt 0x0
	global_load_b64 v[8:9], v[6:7], off
	s_mov_b32 s48, 0
	s_wait_loadcnt 0x0
	v_cvt_i32_f64_e32 v8, v[8:9]
	s_branch .LBB23_1022
.LBB23_1020:
	s_mov_b32 s48, -1
                                        ; implicit-def: $vgpr8
	s_branch .LBB23_1025
.LBB23_1021:
	s_mov_b32 s48, -1
                                        ; implicit-def: $vgpr8
.LBB23_1022:
	s_delay_alu instid0(SALU_CYCLE_1)
	s_and_not1_b32 vcc_lo, exec_lo, s48
	s_cbranch_vccnz .LBB23_1024
; %bb.1023:
	global_load_b32 v1, v[6:7], off
	s_wait_loadcnt 0x0
	s_wait_xcnt 0x1
	v_cvt_i32_f32_e32 v8, v1
.LBB23_1024:
	s_mov_b32 s48, 0
.LBB23_1025:
	s_delay_alu instid0(SALU_CYCLE_1)
	s_and_not1_b32 vcc_lo, exec_lo, s48
	s_cbranch_vccnz .LBB23_1027
; %bb.1026:
	global_load_u16 v1, v[6:7], off
	s_wait_loadcnt 0x0
	s_wait_xcnt 0x1
	v_cvt_i16_f16_e32 v8, v1
.LBB23_1027:
	s_mov_b32 s48, 0
.LBB23_1028:
	s_delay_alu instid0(SALU_CYCLE_1)
	s_and_not1_b32 vcc_lo, exec_lo, s48
	s_cbranch_vccnz .LBB23_1048
; %bb.1029:
	s_cmp_lt_i32 s0, 2
	s_cbranch_scc1 .LBB23_1033
; %bb.1030:
	s_cmp_lt_i32 s0, 3
	s_cbranch_scc1 .LBB23_1034
; %bb.1031:
	s_cmp_gt_i32 s0, 3
	s_cbranch_scc0 .LBB23_1035
; %bb.1032:
	s_wait_loadcnt 0x0
	global_load_b64 v[8:9], v[6:7], off
	s_mov_b32 s48, 0
	s_branch .LBB23_1036
.LBB23_1033:
	s_mov_b32 s48, -1
                                        ; implicit-def: $vgpr8
	s_branch .LBB23_1042
.LBB23_1034:
	s_mov_b32 s48, -1
                                        ; implicit-def: $vgpr8
	s_branch .LBB23_1039
.LBB23_1035:
	s_mov_b32 s48, -1
                                        ; implicit-def: $vgpr8
.LBB23_1036:
	s_delay_alu instid0(SALU_CYCLE_1)
	s_and_not1_b32 vcc_lo, exec_lo, s48
	s_cbranch_vccnz .LBB23_1038
; %bb.1037:
	s_wait_loadcnt 0x0
	global_load_b32 v8, v[6:7], off
.LBB23_1038:
	s_mov_b32 s48, 0
.LBB23_1039:
	s_delay_alu instid0(SALU_CYCLE_1)
	s_and_not1_b32 vcc_lo, exec_lo, s48
	s_cbranch_vccnz .LBB23_1041
; %bb.1040:
	s_wait_loadcnt 0x0
	global_load_u16 v8, v[6:7], off
.LBB23_1041:
	s_mov_b32 s48, 0
.LBB23_1042:
	s_delay_alu instid0(SALU_CYCLE_1)
	s_and_not1_b32 vcc_lo, exec_lo, s48
	s_cbranch_vccnz .LBB23_1048
; %bb.1043:
	s_cmp_gt_i32 s0, 0
	s_mov_b32 s0, 0
	s_cbranch_scc0 .LBB23_1045
; %bb.1044:
	s_wait_loadcnt 0x0
	global_load_u8 v8, v[6:7], off
	s_branch .LBB23_1046
.LBB23_1045:
	s_mov_b32 s0, -1
                                        ; implicit-def: $vgpr8
.LBB23_1046:
	s_delay_alu instid0(SALU_CYCLE_1)
	s_and_not1_b32 vcc_lo, exec_lo, s0
	s_cbranch_vccnz .LBB23_1048
; %bb.1047:
	s_wait_loadcnt 0x0
	global_load_u8 v8, v[6:7], off
.LBB23_1048:
	s_mov_b32 s49, -1
.LBB23_1049:
	s_delay_alu instid0(SALU_CYCLE_1)
	s_and_not1_b32 vcc_lo, exec_lo, s49
	s_cbranch_vccnz .LBB23_1057
; %bb.1050:
	s_wait_loadcnt 0x0
	s_delay_alu instid0(VALU_DEP_1) | instskip(NEXT) | instid1(VALU_DEP_4)
	v_and_b32_e32 v1, 0xff, v8
	v_and_b32_e32 v4, 0xff, v4
	v_mov_b32_e32 v3, 0
	s_and_b32 s49, s11, 0xff
	s_delay_alu instid0(VALU_DEP_2) | instskip(NEXT) | instid1(VALU_DEP_2)
	v_cmp_ne_u16_e32 vcc_lo, v4, v1
	v_add_nc_u64_e32 v[2:3], s[4:5], v[2:3]
	s_xor_b32 s48, s10, vcc_lo
	s_cmp_lt_i32 s49, 11
	s_cbranch_scc1 .LBB23_1058
; %bb.1051:
	s_and_b32 s50, 0xffff, s49
	s_delay_alu instid0(SALU_CYCLE_1)
	s_cmp_gt_i32 s50, 25
	s_cbranch_scc0 .LBB23_1059
; %bb.1052:
	s_cmp_gt_i32 s50, 28
	s_cbranch_scc0 .LBB23_1060
; %bb.1053:
	;; [unrolled: 3-line block ×4, first 2 shown]
	s_mov_b32 s52, 0
	s_mov_b32 s0, -1
	s_cmp_eq_u32 s50, 46
	s_mov_b32 s51, 0
	s_cbranch_scc0 .LBB23_1063
; %bb.1056:
	v_cndmask_b32_e64 v1, 0, 1.0, s48
	s_mov_b32 s51, -1
	s_mov_b32 s0, 0
	s_delay_alu instid0(VALU_DEP_1) | instskip(NEXT) | instid1(VALU_DEP_1)
	v_bfe_u32 v4, v1, 16, 1
	v_add3_u32 v1, v1, v4, 0x7fff
	s_delay_alu instid0(VALU_DEP_1)
	v_lshrrev_b32_e32 v1, 16, v1
	global_store_b32 v[2:3], v1, off
	s_branch .LBB23_1063
.LBB23_1057:
	s_mov_b32 s51, 0
	s_mov_b32 s0, s44
	s_branch .LBB23_1174
.LBB23_1058:
	s_mov_b32 s50, -1
	s_mov_b32 s51, 0
	s_mov_b32 s0, s44
	s_branch .LBB23_1132
.LBB23_1059:
	s_mov_b32 s52, -1
	s_mov_b32 s51, 0
	s_mov_b32 s0, s44
	s_branch .LBB23_1090
.LBB23_1060:
	s_mov_b32 s52, -1
	s_mov_b32 s51, 0
	s_mov_b32 s0, s44
	s_branch .LBB23_1073
.LBB23_1061:
	s_mov_b32 s52, -1
	s_mov_b32 s51, 0
	s_mov_b32 s0, s44
	s_branch .LBB23_1069
.LBB23_1062:
	s_mov_b32 s52, -1
	s_mov_b32 s51, 0
	s_mov_b32 s0, s44
.LBB23_1063:
	s_and_b32 vcc_lo, exec_lo, s52
	s_cbranch_vccz .LBB23_1068
; %bb.1064:
	s_cmp_eq_u32 s50, 44
	s_mov_b32 s0, -1
	s_cbranch_scc0 .LBB23_1068
; %bb.1065:
	v_cndmask_b32_e64 v5, 0, 1.0, s48
	s_mov_b32 s51, exec_lo
	s_wait_xcnt 0x0
	s_delay_alu instid0(VALU_DEP_1) | instskip(NEXT) | instid1(VALU_DEP_1)
	v_dual_mov_b32 v4, 0xff :: v_dual_lshrrev_b32 v1, 23, v5
	v_cmpx_ne_u32_e32 0xff, v1
; %bb.1066:
	v_and_b32_e32 v4, 0x400000, v5
	v_and_or_b32 v5, 0x3fffff, v5, v1
	s_delay_alu instid0(VALU_DEP_2) | instskip(NEXT) | instid1(VALU_DEP_2)
	v_cmp_ne_u32_e32 vcc_lo, 0, v4
	v_cmp_ne_u32_e64 s0, 0, v5
	s_and_b32 s0, vcc_lo, s0
	s_delay_alu instid0(SALU_CYCLE_1) | instskip(NEXT) | instid1(VALU_DEP_1)
	v_cndmask_b32_e64 v4, 0, 1, s0
	v_add_nc_u32_e32 v4, v1, v4
; %bb.1067:
	s_or_b32 exec_lo, exec_lo, s51
	s_mov_b32 s51, -1
	s_mov_b32 s0, 0
	global_store_b8 v[2:3], v4, off
.LBB23_1068:
	s_mov_b32 s52, 0
.LBB23_1069:
	s_delay_alu instid0(SALU_CYCLE_1)
	s_and_b32 vcc_lo, exec_lo, s52
	s_cbranch_vccz .LBB23_1072
; %bb.1070:
	s_cmp_eq_u32 s50, 29
	s_mov_b32 s0, -1
	s_cbranch_scc0 .LBB23_1072
; %bb.1071:
	s_mov_b32 s0, 0
	s_wait_xcnt 0x0
	v_cndmask_b32_e64 v4, 0, 1, s48
	v_mov_b32_e32 v5, s0
	s_mov_b32 s51, -1
	s_mov_b32 s52, 0
	global_store_b64 v[2:3], v[4:5], off
	s_branch .LBB23_1073
.LBB23_1072:
	s_mov_b32 s52, 0
.LBB23_1073:
	s_delay_alu instid0(SALU_CYCLE_1)
	s_and_b32 vcc_lo, exec_lo, s52
	s_cbranch_vccz .LBB23_1089
; %bb.1074:
	s_cmp_lt_i32 s50, 27
	s_mov_b32 s51, -1
	s_cbranch_scc1 .LBB23_1080
; %bb.1075:
	s_cmp_gt_i32 s50, 27
	s_cbranch_scc0 .LBB23_1077
; %bb.1076:
	s_wait_xcnt 0x0
	v_cndmask_b32_e64 v1, 0, 1, s48
	s_mov_b32 s51, 0
	global_store_b32 v[2:3], v1, off
.LBB23_1077:
	s_and_not1_b32 vcc_lo, exec_lo, s51
	s_cbranch_vccnz .LBB23_1079
; %bb.1078:
	s_wait_xcnt 0x0
	v_cndmask_b32_e64 v1, 0, 1, s48
	global_store_b16 v[2:3], v1, off
.LBB23_1079:
	s_mov_b32 s51, 0
.LBB23_1080:
	s_delay_alu instid0(SALU_CYCLE_1)
	s_and_not1_b32 vcc_lo, exec_lo, s51
	s_cbranch_vccnz .LBB23_1088
; %bb.1081:
	s_wait_xcnt 0x0
	v_cndmask_b32_e64 v4, 0, 1.0, s48
	v_mov_b32_e32 v5, 0x80
	s_mov_b32 s51, exec_lo
	s_delay_alu instid0(VALU_DEP_2)
	v_cmpx_gt_u32_e32 0x43800000, v4
	s_cbranch_execz .LBB23_1087
; %bb.1082:
	s_mov_b32 s52, 0
	s_mov_b32 s53, exec_lo
                                        ; implicit-def: $vgpr1
	v_cmpx_lt_u32_e32 0x3bffffff, v4
	s_xor_b32 s53, exec_lo, s53
	s_cbranch_execz .LBB23_1202
; %bb.1083:
	v_bfe_u32 v1, v4, 20, 1
	s_mov_b32 s52, exec_lo
	s_delay_alu instid0(VALU_DEP_1) | instskip(NEXT) | instid1(VALU_DEP_1)
	v_add3_u32 v1, v4, v1, 0x487ffff
                                        ; implicit-def: $vgpr4
	v_lshrrev_b32_e32 v1, 20, v1
	s_and_not1_saveexec_b32 s53, s53
	s_cbranch_execnz .LBB23_1203
.LBB23_1084:
	s_or_b32 exec_lo, exec_lo, s53
	v_mov_b32_e32 v5, 0
	s_and_saveexec_b32 s53, s52
.LBB23_1085:
	v_mov_b32_e32 v5, v1
.LBB23_1086:
	s_or_b32 exec_lo, exec_lo, s53
.LBB23_1087:
	s_delay_alu instid0(SALU_CYCLE_1)
	s_or_b32 exec_lo, exec_lo, s51
	global_store_b8 v[2:3], v5, off
.LBB23_1088:
	s_mov_b32 s51, -1
.LBB23_1089:
	s_mov_b32 s52, 0
.LBB23_1090:
	s_delay_alu instid0(SALU_CYCLE_1)
	s_and_b32 vcc_lo, exec_lo, s52
	s_cbranch_vccz .LBB23_1131
; %bb.1091:
	s_cmp_gt_i32 s50, 22
	s_mov_b32 s52, -1
	s_cbranch_scc0 .LBB23_1123
; %bb.1092:
	s_cmp_lt_i32 s50, 24
	s_mov_b32 s51, -1
	s_cbranch_scc1 .LBB23_1112
; %bb.1093:
	s_cmp_gt_i32 s50, 24
	s_cbranch_scc0 .LBB23_1101
; %bb.1094:
	s_wait_xcnt 0x0
	v_cndmask_b32_e64 v4, 0, 1.0, s48
	v_mov_b32_e32 v5, 0x80
	s_mov_b32 s51, exec_lo
	s_delay_alu instid0(VALU_DEP_2)
	v_cmpx_gt_u32_e32 0x47800000, v4
	s_cbranch_execz .LBB23_1100
; %bb.1095:
	s_mov_b32 s52, 0
	s_mov_b32 s53, exec_lo
                                        ; implicit-def: $vgpr1
	v_cmpx_lt_u32_e32 0x37ffffff, v4
	s_xor_b32 s53, exec_lo, s53
	s_cbranch_execz .LBB23_2245
; %bb.1096:
	v_bfe_u32 v1, v4, 21, 1
	s_mov_b32 s52, exec_lo
	s_delay_alu instid0(VALU_DEP_1) | instskip(NEXT) | instid1(VALU_DEP_1)
	v_add3_u32 v1, v4, v1, 0x88fffff
                                        ; implicit-def: $vgpr4
	v_lshrrev_b32_e32 v1, 21, v1
	s_and_not1_saveexec_b32 s53, s53
	s_cbranch_execnz .LBB23_2246
.LBB23_1097:
	s_or_b32 exec_lo, exec_lo, s53
	v_mov_b32_e32 v5, 0
	s_and_saveexec_b32 s53, s52
.LBB23_1098:
	v_mov_b32_e32 v5, v1
.LBB23_1099:
	s_or_b32 exec_lo, exec_lo, s53
.LBB23_1100:
	s_delay_alu instid0(SALU_CYCLE_1)
	s_or_b32 exec_lo, exec_lo, s51
	s_mov_b32 s51, 0
	global_store_b8 v[2:3], v5, off
.LBB23_1101:
	s_and_b32 vcc_lo, exec_lo, s51
	s_cbranch_vccz .LBB23_1111
; %bb.1102:
	s_wait_xcnt 0x0
	v_cndmask_b32_e64 v4, 0, 1.0, s48
	s_mov_b32 s51, exec_lo
                                        ; implicit-def: $vgpr1
	s_delay_alu instid0(VALU_DEP_1)
	v_cmpx_gt_u32_e32 0x43f00000, v4
	s_xor_b32 s51, exec_lo, s51
	s_cbranch_execz .LBB23_1108
; %bb.1103:
	s_mov_b32 s52, exec_lo
                                        ; implicit-def: $vgpr1
	v_cmpx_lt_u32_e32 0x3c7fffff, v4
	s_xor_b32 s52, exec_lo, s52
; %bb.1104:
	v_bfe_u32 v1, v4, 20, 1
	s_delay_alu instid0(VALU_DEP_1) | instskip(NEXT) | instid1(VALU_DEP_1)
	v_add3_u32 v1, v4, v1, 0x407ffff
	v_and_b32_e32 v4, 0xff00000, v1
	v_lshrrev_b32_e32 v1, 20, v1
	s_delay_alu instid0(VALU_DEP_2) | instskip(NEXT) | instid1(VALU_DEP_2)
	v_cmp_ne_u32_e32 vcc_lo, 0x7f00000, v4
                                        ; implicit-def: $vgpr4
	v_cndmask_b32_e32 v1, 0x7e, v1, vcc_lo
; %bb.1105:
	s_and_not1_saveexec_b32 s52, s52
; %bb.1106:
	v_add_f32_e32 v1, 0x46800000, v4
; %bb.1107:
	s_or_b32 exec_lo, exec_lo, s52
                                        ; implicit-def: $vgpr4
.LBB23_1108:
	s_and_not1_saveexec_b32 s51, s51
; %bb.1109:
	v_mov_b32_e32 v1, 0x7f
	v_cmp_lt_u32_e32 vcc_lo, 0x7f800000, v4
	s_delay_alu instid0(VALU_DEP_2)
	v_cndmask_b32_e32 v1, 0x7e, v1, vcc_lo
; %bb.1110:
	s_or_b32 exec_lo, exec_lo, s51
	global_store_b8 v[2:3], v1, off
.LBB23_1111:
	s_mov_b32 s51, 0
.LBB23_1112:
	s_delay_alu instid0(SALU_CYCLE_1)
	s_and_not1_b32 vcc_lo, exec_lo, s51
	s_cbranch_vccnz .LBB23_1122
; %bb.1113:
	s_wait_xcnt 0x0
	v_cndmask_b32_e64 v4, 0, 1.0, s48
	s_mov_b32 s51, exec_lo
                                        ; implicit-def: $vgpr1
	s_delay_alu instid0(VALU_DEP_1)
	v_cmpx_gt_u32_e32 0x47800000, v4
	s_xor_b32 s51, exec_lo, s51
	s_cbranch_execz .LBB23_1119
; %bb.1114:
	s_mov_b32 s52, exec_lo
                                        ; implicit-def: $vgpr1
	v_cmpx_lt_u32_e32 0x387fffff, v4
	s_xor_b32 s52, exec_lo, s52
; %bb.1115:
	v_bfe_u32 v1, v4, 21, 1
	s_delay_alu instid0(VALU_DEP_1) | instskip(NEXT) | instid1(VALU_DEP_1)
	v_add3_u32 v1, v4, v1, 0x80fffff
                                        ; implicit-def: $vgpr4
	v_lshrrev_b32_e32 v1, 21, v1
; %bb.1116:
	s_and_not1_saveexec_b32 s52, s52
; %bb.1117:
	v_add_f32_e32 v1, 0x43000000, v4
; %bb.1118:
	s_or_b32 exec_lo, exec_lo, s52
                                        ; implicit-def: $vgpr4
.LBB23_1119:
	s_and_not1_saveexec_b32 s51, s51
; %bb.1120:
	v_mov_b32_e32 v1, 0x7f
	v_cmp_lt_u32_e32 vcc_lo, 0x7f800000, v4
	s_delay_alu instid0(VALU_DEP_2)
	v_cndmask_b32_e32 v1, 0x7c, v1, vcc_lo
; %bb.1121:
	s_or_b32 exec_lo, exec_lo, s51
	global_store_b8 v[2:3], v1, off
.LBB23_1122:
	s_mov_b32 s52, 0
	s_mov_b32 s51, -1
.LBB23_1123:
	s_and_not1_b32 vcc_lo, exec_lo, s52
	s_cbranch_vccnz .LBB23_1131
; %bb.1124:
	s_cmp_gt_i32 s50, 14
	s_mov_b32 s52, -1
	s_cbranch_scc0 .LBB23_1128
; %bb.1125:
	s_cmp_eq_u32 s50, 15
	s_mov_b32 s0, -1
	s_cbranch_scc0 .LBB23_1127
; %bb.1126:
	s_wait_xcnt 0x0
	v_cndmask_b32_e64 v1, 0, 1.0, s48
	s_mov_b32 s51, -1
	s_mov_b32 s0, 0
	s_delay_alu instid0(VALU_DEP_1) | instskip(NEXT) | instid1(VALU_DEP_1)
	v_bfe_u32 v4, v1, 16, 1
	v_add3_u32 v1, v1, v4, 0x7fff
	global_store_d16_hi_b16 v[2:3], v1, off
.LBB23_1127:
	s_mov_b32 s52, 0
.LBB23_1128:
	s_delay_alu instid0(SALU_CYCLE_1)
	s_and_b32 vcc_lo, exec_lo, s52
	s_cbranch_vccz .LBB23_1131
; %bb.1129:
	s_cmp_eq_u32 s50, 11
	s_mov_b32 s0, -1
	s_cbranch_scc0 .LBB23_1131
; %bb.1130:
	s_wait_xcnt 0x0
	v_cndmask_b32_e64 v1, 0, 1, s48
	s_mov_b32 s51, -1
	s_mov_b32 s0, 0
	global_store_b8 v[2:3], v1, off
.LBB23_1131:
	s_mov_b32 s50, 0
.LBB23_1132:
	s_delay_alu instid0(SALU_CYCLE_1)
	s_and_b32 vcc_lo, exec_lo, s50
	s_cbranch_vccz .LBB23_1171
; %bb.1133:
	s_and_b32 s49, 0xffff, s49
	s_mov_b32 s50, -1
	s_cmp_lt_i32 s49, 5
	s_cbranch_scc1 .LBB23_1154
; %bb.1134:
	s_cmp_lt_i32 s49, 8
	s_cbranch_scc1 .LBB23_1144
; %bb.1135:
	;; [unrolled: 3-line block ×3, first 2 shown]
	s_cmp_gt_i32 s49, 9
	s_cbranch_scc0 .LBB23_1138
; %bb.1137:
	s_wait_xcnt 0x0
	v_cndmask_b32_e64 v1, 0, 1, s48
	v_mov_b32_e32 v6, 0
	s_mov_b32 s50, 0
	s_delay_alu instid0(VALU_DEP_2) | instskip(NEXT) | instid1(VALU_DEP_2)
	v_cvt_f64_u32_e32 v[4:5], v1
	v_mov_b32_e32 v7, v6
	global_store_b128 v[2:3], v[4:7], off
.LBB23_1138:
	s_and_not1_b32 vcc_lo, exec_lo, s50
	s_cbranch_vccnz .LBB23_1140
; %bb.1139:
	s_wait_xcnt 0x0
	v_cndmask_b32_e64 v4, 0, 1.0, s48
	v_mov_b32_e32 v5, 0
	global_store_b64 v[2:3], v[4:5], off
.LBB23_1140:
	s_mov_b32 s50, 0
.LBB23_1141:
	s_delay_alu instid0(SALU_CYCLE_1)
	s_and_not1_b32 vcc_lo, exec_lo, s50
	s_cbranch_vccnz .LBB23_1143
; %bb.1142:
	s_wait_xcnt 0x0
	v_cndmask_b32_e64 v1, 0, 1.0, s48
	s_delay_alu instid0(VALU_DEP_1) | instskip(NEXT) | instid1(VALU_DEP_1)
	v_cvt_f16_f32_e32 v1, v1
	v_and_b32_e32 v1, 0xffff, v1
	global_store_b32 v[2:3], v1, off
.LBB23_1143:
	s_mov_b32 s50, 0
.LBB23_1144:
	s_delay_alu instid0(SALU_CYCLE_1)
	s_and_not1_b32 vcc_lo, exec_lo, s50
	s_cbranch_vccnz .LBB23_1153
; %bb.1145:
	s_cmp_lt_i32 s49, 6
	s_mov_b32 s50, -1
	s_cbranch_scc1 .LBB23_1151
; %bb.1146:
	s_cmp_gt_i32 s49, 6
	s_cbranch_scc0 .LBB23_1148
; %bb.1147:
	s_wait_xcnt 0x0
	v_cndmask_b32_e64 v1, 0, 1, s48
	s_mov_b32 s50, 0
	s_delay_alu instid0(VALU_DEP_1)
	v_cvt_f64_u32_e32 v[4:5], v1
	global_store_b64 v[2:3], v[4:5], off
.LBB23_1148:
	s_and_not1_b32 vcc_lo, exec_lo, s50
	s_cbranch_vccnz .LBB23_1150
; %bb.1149:
	s_wait_xcnt 0x0
	v_cndmask_b32_e64 v1, 0, 1.0, s48
	global_store_b32 v[2:3], v1, off
.LBB23_1150:
	s_mov_b32 s50, 0
.LBB23_1151:
	s_delay_alu instid0(SALU_CYCLE_1)
	s_and_not1_b32 vcc_lo, exec_lo, s50
	s_cbranch_vccnz .LBB23_1153
; %bb.1152:
	s_wait_xcnt 0x0
	v_cndmask_b32_e64 v1, 0, 1.0, s48
	s_delay_alu instid0(VALU_DEP_1)
	v_cvt_f16_f32_e32 v1, v1
	global_store_b16 v[2:3], v1, off
.LBB23_1153:
	s_mov_b32 s50, 0
.LBB23_1154:
	s_delay_alu instid0(SALU_CYCLE_1)
	s_and_not1_b32 vcc_lo, exec_lo, s50
	s_cbranch_vccnz .LBB23_1170
; %bb.1155:
	s_cmp_lt_i32 s49, 2
	s_mov_b32 s50, -1
	s_cbranch_scc1 .LBB23_1165
; %bb.1156:
	s_cmp_lt_i32 s49, 3
	s_cbranch_scc1 .LBB23_1162
; %bb.1157:
	s_cmp_gt_i32 s49, 3
	s_cbranch_scc0 .LBB23_1159
; %bb.1158:
	s_mov_b32 s50, 0
	s_wait_xcnt 0x0
	v_cndmask_b32_e64 v4, 0, 1, s48
	v_mov_b32_e32 v5, s50
	global_store_b64 v[2:3], v[4:5], off
.LBB23_1159:
	s_and_not1_b32 vcc_lo, exec_lo, s50
	s_cbranch_vccnz .LBB23_1161
; %bb.1160:
	s_wait_xcnt 0x0
	v_cndmask_b32_e64 v1, 0, 1, s48
	global_store_b32 v[2:3], v1, off
.LBB23_1161:
	s_mov_b32 s50, 0
.LBB23_1162:
	s_delay_alu instid0(SALU_CYCLE_1)
	s_and_not1_b32 vcc_lo, exec_lo, s50
	s_cbranch_vccnz .LBB23_1164
; %bb.1163:
	s_wait_xcnt 0x0
	v_cndmask_b32_e64 v1, 0, 1, s48
	global_store_b16 v[2:3], v1, off
.LBB23_1164:
	s_mov_b32 s50, 0
.LBB23_1165:
	s_delay_alu instid0(SALU_CYCLE_1)
	s_and_not1_b32 vcc_lo, exec_lo, s50
	s_cbranch_vccnz .LBB23_1170
; %bb.1166:
	s_wait_xcnt 0x0
	v_cndmask_b32_e64 v1, 0, 1, s48
	s_cmp_gt_i32 s49, 0
	s_mov_b32 s48, -1
	s_cbranch_scc0 .LBB23_1168
; %bb.1167:
	s_mov_b32 s48, 0
	global_store_b8 v[2:3], v1, off
.LBB23_1168:
	s_and_not1_b32 vcc_lo, exec_lo, s48
	s_cbranch_vccnz .LBB23_1170
; %bb.1169:
	global_store_b8 v[2:3], v1, off
.LBB23_1170:
	s_mov_b32 s51, -1
.LBB23_1171:
	s_delay_alu instid0(SALU_CYCLE_1)
	s_and_not1_b32 vcc_lo, exec_lo, s51
	s_cbranch_vccnz .LBB23_1173
; %bb.1172:
	v_add_nc_u32_e32 v0, 0x80, v0
	s_mov_b32 s51, -1
	s_branch .LBB23_1175
.LBB23_1173:
	s_mov_b32 s51, 0
.LBB23_1174:
                                        ; implicit-def: $vgpr0
.LBB23_1175:
	s_and_not1_b32 s48, s44, exec_lo
	s_and_b32 s0, s0, exec_lo
	s_and_b32 s27, s27, exec_lo
	s_or_b32 s49, s48, s0
	s_and_not1_b32 s0, s45, exec_lo
	s_and_not1_b32 s48, s43, exec_lo
	s_and_b32 s26, s26, exec_lo
	s_or_b32 s50, s0, s27
	s_or_b32 s48, s48, s26
	s_or_not1_b32 s52, s51, exec_lo
.LBB23_1176:
	s_wait_xcnt 0x0
	s_or_b32 exec_lo, exec_lo, s47
	s_mov_b32 s27, 0
	s_mov_b32 s51, 0
	s_mov_b32 s26, 0
                                        ; implicit-def: $sgpr0
                                        ; implicit-def: $vgpr8_vgpr9
                                        ; implicit-def: $vgpr6
                                        ; implicit-def: $vgpr2
                                        ; implicit-def: $vgpr4
	s_and_saveexec_b32 s47, s52
	s_cbranch_execz .LBB23_1267
; %bb.1177:
	v_cmp_gt_i32_e32 vcc_lo, s37, v0
	s_mov_b32 s52, s48
                                        ; implicit-def: $sgpr0
                                        ; implicit-def: $vgpr8_vgpr9
                                        ; implicit-def: $vgpr6
                                        ; implicit-def: $vgpr2
                                        ; implicit-def: $vgpr4
	s_and_saveexec_b32 s37, vcc_lo
	s_cbranch_execz .LBB23_1266
; %bb.1178:
	s_and_not1_b32 vcc_lo, exec_lo, s31
	s_cbranch_vccnz .LBB23_1184
; %bb.1179:
	s_and_not1_b32 vcc_lo, exec_lo, s38
	s_cbranch_vccnz .LBB23_1185
; %bb.1180:
	v_dual_mov_b32 v2, 0 :: v_dual_mov_b32 v1, v0
	s_wait_loadcnt 0x0
	v_dual_mov_b32 v4, 0 :: v_dual_mov_b32 v6, 0
	s_add_co_i32 s0, s36, 1
	s_mov_b64 s[26:27], 0xffffffffffffffe8
	s_and_b32 s0, s0, 30
	s_add_nc_u64 s[26:27], s[2:3], s[26:27]
.LBB23_1181:                            ; =>This Inner Loop Header: Depth=1
	s_clause 0x1
	s_load_b128 s[52:55], s[26:27], 0x1c
	s_load_b64 s[60:61], s[26:27], 0x2c
	s_add_co_i32 s0, s0, -2
	s_delay_alu instid0(SALU_CYCLE_1) | instskip(SKIP_2) | instid1(VALU_DEP_1)
	s_cmp_eq_u32 s0, 0
	s_wait_kmcnt 0x0
	v_mul_hi_u32 v3, s53, v1
	v_add_nc_u32_e32 v3, v1, v3
	s_delay_alu instid0(VALU_DEP_1) | instskip(NEXT) | instid1(VALU_DEP_1)
	v_lshrrev_b32_e32 v3, s54, v3
	v_mul_hi_u32 v5, s60, v3
	v_mul_lo_u32 v7, v3, s52
	s_clause 0x1
	s_load_b128 s[56:59], s[26:27], 0xdc
	s_load_b64 s[52:53], s[26:27], 0xec
	s_wait_xcnt 0x0
	s_add_nc_u64 s[26:27], s[26:27], 24
	s_delay_alu instid0(VALU_DEP_1) | instskip(NEXT) | instid1(VALU_DEP_1)
	v_dual_add_nc_u32 v5, v3, v5 :: v_dual_sub_nc_u32 v7, v1, v7
	v_lshrrev_b32_e32 v1, s61, v5
	s_wait_kmcnt 0x0
	s_delay_alu instid0(VALU_DEP_2) | instskip(NEXT) | instid1(VALU_DEP_2)
	v_mad_u32 v2, v7, s56, v2
	v_mul_lo_u32 v5, v1, s55
	v_mad_u32 v6, v7, s58, v6
	v_mad_u32 v4, v7, s57, v4
	s_delay_alu instid0(VALU_DEP_3) | instskip(NEXT) | instid1(VALU_DEP_1)
	v_sub_nc_u32_e32 v3, v3, v5
	v_mad_u32 v2, v3, s59, v2
	s_delay_alu instid0(VALU_DEP_4) | instskip(NEXT) | instid1(VALU_DEP_4)
	v_mad_u32 v6, v3, s53, v6
	v_mad_u32 v4, v3, s52, v4
	s_cbranch_scc0 .LBB23_1181
; %bb.1182:
	s_bitcmp1_b32 s36, 0
	s_cselect_b32 s0, -1, 0
	s_delay_alu instid0(SALU_CYCLE_1)
	s_and_b32 vcc_lo, exec_lo, s0
	s_cbranch_vccnz .LBB23_1186
; %bb.1183:
	s_clause 0x1
	s_load_b96 s[52:54], s[26:27], 0x1c
	s_load_b96 s[56:58], s[26:27], 0xdc
	s_wait_kmcnt 0x0
	v_mul_hi_u32 v3, s53, v1
	s_delay_alu instid0(VALU_DEP_1) | instskip(NEXT) | instid1(VALU_DEP_1)
	v_add_nc_u32_e32 v3, v1, v3
	v_lshrrev_b32_e32 v3, s54, v3
	s_delay_alu instid0(VALU_DEP_1) | instskip(NEXT) | instid1(VALU_DEP_1)
	v_mul_lo_u32 v3, v3, s52
	v_sub_nc_u32_e32 v1, v1, v3
	s_delay_alu instid0(VALU_DEP_1)
	v_mad_u32 v2, v1, s56, v2
	v_mad_u32 v4, v1, s57, v4
	v_mad_u32 v6, v1, s58, v6
	s_branch .LBB23_1186
.LBB23_1184:
	s_mov_b32 s0, -1
                                        ; implicit-def: $vgpr6
                                        ; implicit-def: $vgpr4
                                        ; implicit-def: $vgpr2
	s_branch .LBB23_1187
.LBB23_1185:
	s_wait_loadcnt 0x0
	v_dual_mov_b32 v6, 0 :: v_dual_mov_b32 v4, 0
	v_mov_b32_e32 v2, 0
.LBB23_1186:
	s_mov_b32 s0, 0
.LBB23_1187:
	s_delay_alu instid0(SALU_CYCLE_1)
	s_and_not1_b32 vcc_lo, exec_lo, s0
	s_cbranch_vccnz .LBB23_1190
; %bb.1188:
	v_mov_b32_e32 v1, 0
	s_and_not1_b32 vcc_lo, exec_lo, s35
	s_delay_alu instid0(VALU_DEP_1) | instskip(NEXT) | instid1(VALU_DEP_1)
	v_mul_u64_e32 v[2:3], s[20:21], v[0:1]
	v_add_nc_u32_e32 v2, v0, v3
	s_wait_loadcnt 0x0
	s_delay_alu instid0(VALU_DEP_1) | instskip(NEXT) | instid1(VALU_DEP_1)
	v_lshrrev_b32_e32 v8, s14, v2
	v_mul_lo_u32 v2, v8, s12
	s_delay_alu instid0(VALU_DEP_1) | instskip(NEXT) | instid1(VALU_DEP_1)
	v_sub_nc_u32_e32 v0, v0, v2
	v_mul_lo_u32 v2, v0, s16
	v_mul_lo_u32 v6, v0, s18
	;; [unrolled: 1-line block ×3, first 2 shown]
	s_cbranch_vccnz .LBB23_1190
; %bb.1189:
	v_mov_b32_e32 v9, v1
	s_delay_alu instid0(VALU_DEP_1) | instskip(NEXT) | instid1(VALU_DEP_1)
	v_mul_u64_e32 v[0:1], s[24:25], v[8:9]
	v_add_nc_u32_e32 v0, v8, v1
	s_delay_alu instid0(VALU_DEP_1) | instskip(NEXT) | instid1(VALU_DEP_1)
	v_lshrrev_b32_e32 v0, s1, v0
	v_mul_lo_u32 v0, v0, s15
	s_delay_alu instid0(VALU_DEP_1) | instskip(NEXT) | instid1(VALU_DEP_1)
	v_sub_nc_u32_e32 v0, v8, v0
	v_mad_u32 v2, v0, s19, v2
	v_mad_u32 v4, v0, s22, v4
	;; [unrolled: 1-line block ×3, first 2 shown]
.LBB23_1190:
	s_wait_loadcnt 0x0
	v_mov_b32_e32 v5, 0
	s_and_b32 s0, s34, 0xff
	s_delay_alu instid0(SALU_CYCLE_1) | instskip(NEXT) | instid1(VALU_DEP_1)
	s_cmp_lt_i32 s0, 11
	v_add_nc_u64_e32 v[8:9], s[6:7], v[4:5]
	s_cbranch_scc1 .LBB23_1197
; %bb.1191:
	s_and_b32 s1, 0xffff, s0
	s_mov_b32 s7, 0
	s_cmp_gt_i32 s1, 25
	s_cbranch_scc0 .LBB23_1198
; %bb.1192:
	s_cmp_gt_i32 s1, 28
	s_cbranch_scc0 .LBB23_1199
; %bb.1193:
	;; [unrolled: 3-line block ×4, first 2 shown]
	s_cmp_eq_u32 s1, 46
	s_mov_b32 s14, 0
	s_cbranch_scc0 .LBB23_1204
; %bb.1196:
	global_load_b32 v0, v[8:9], off
	s_mov_b32 s6, 0
	s_mov_b32 s12, -1
	s_wait_loadcnt 0x0
	v_lshlrev_b32_e32 v0, 16, v0
	s_delay_alu instid0(VALU_DEP_1)
	v_cvt_i32_f32_e32 v4, v0
	s_branch .LBB23_1206
.LBB23_1197:
	s_mov_b32 s1, -1
	s_mov_b32 s12, 0
	s_mov_b32 s7, 0
	;; [unrolled: 1-line block ×3, first 2 shown]
                                        ; implicit-def: $vgpr4
	s_branch .LBB23_1265
.LBB23_1198:
	s_mov_b32 s14, -1
	s_mov_b32 s12, 0
	s_mov_b32 s6, s48
                                        ; implicit-def: $vgpr4
	s_branch .LBB23_1233
.LBB23_1199:
	s_mov_b32 s14, -1
	s_mov_b32 s12, 0
	s_mov_b32 s6, s48
                                        ; implicit-def: $vgpr4
	s_branch .LBB23_1216
.LBB23_1200:
	s_mov_b32 s14, -1
	s_mov_b32 s12, 0
	s_mov_b32 s6, s48
                                        ; implicit-def: $vgpr4
	s_branch .LBB23_1211
.LBB23_1201:
	s_mov_b32 s14, -1
	s_mov_b32 s12, 0
	s_mov_b32 s6, s48
	s_branch .LBB23_1205
.LBB23_1202:
	s_and_not1_saveexec_b32 s53, s53
	s_cbranch_execz .LBB23_1084
.LBB23_1203:
	v_add_f32_e32 v1, 0x46000000, v4
	s_and_not1_b32 s52, s52, exec_lo
	s_delay_alu instid0(VALU_DEP_1) | instskip(NEXT) | instid1(VALU_DEP_1)
	v_and_b32_e32 v1, 0xff, v1
	v_cmp_ne_u32_e32 vcc_lo, 0, v1
	s_and_b32 s54, vcc_lo, exec_lo
	s_delay_alu instid0(SALU_CYCLE_1)
	s_or_b32 s52, s52, s54
	s_or_b32 exec_lo, exec_lo, s53
	v_mov_b32_e32 v5, 0
	s_and_saveexec_b32 s53, s52
	s_cbranch_execnz .LBB23_1085
	s_branch .LBB23_1086
.LBB23_1204:
	s_mov_b32 s6, -1
	s_mov_b32 s12, 0
.LBB23_1205:
                                        ; implicit-def: $vgpr4
.LBB23_1206:
	s_and_b32 vcc_lo, exec_lo, s14
	s_cbranch_vccz .LBB23_1210
; %bb.1207:
	s_cmp_eq_u32 s1, 44
	s_cbranch_scc0 .LBB23_1209
; %bb.1208:
	global_load_u8 v0, v[8:9], off
	s_mov_b32 s6, 0
	s_mov_b32 s12, -1
	s_wait_loadcnt 0x0
	v_lshlrev_b32_e32 v1, 23, v0
	v_cmp_ne_u32_e32 vcc_lo, 0, v0
	s_delay_alu instid0(VALU_DEP_2) | instskip(NEXT) | instid1(VALU_DEP_1)
	v_cvt_i32_f32_e32 v1, v1
	v_cndmask_b32_e32 v4, 0, v1, vcc_lo
	s_branch .LBB23_1210
.LBB23_1209:
	s_mov_b32 s6, -1
                                        ; implicit-def: $vgpr4
.LBB23_1210:
	s_mov_b32 s14, 0
.LBB23_1211:
	s_delay_alu instid0(SALU_CYCLE_1)
	s_and_b32 vcc_lo, exec_lo, s14
	s_cbranch_vccz .LBB23_1215
; %bb.1212:
	s_cmp_eq_u32 s1, 29
	s_cbranch_scc0 .LBB23_1214
; %bb.1213:
	global_load_b64 v[4:5], v[8:9], off
	s_mov_b32 s6, 0
	s_mov_b32 s12, -1
	s_branch .LBB23_1215
.LBB23_1214:
	s_mov_b32 s6, -1
                                        ; implicit-def: $vgpr4
.LBB23_1215:
	s_mov_b32 s14, 0
.LBB23_1216:
	s_delay_alu instid0(SALU_CYCLE_1)
	s_and_b32 vcc_lo, exec_lo, s14
	s_cbranch_vccz .LBB23_1232
; %bb.1217:
	s_cmp_lt_i32 s1, 27
	s_cbranch_scc1 .LBB23_1220
; %bb.1218:
	s_cmp_gt_i32 s1, 27
	s_cbranch_scc0 .LBB23_1221
; %bb.1219:
	s_wait_loadcnt 0x0
	global_load_b32 v4, v[8:9], off
	s_mov_b32 s12, 0
	s_branch .LBB23_1222
.LBB23_1220:
	s_mov_b32 s12, -1
                                        ; implicit-def: $vgpr4
	s_branch .LBB23_1225
.LBB23_1221:
	s_mov_b32 s12, -1
                                        ; implicit-def: $vgpr4
.LBB23_1222:
	s_delay_alu instid0(SALU_CYCLE_1)
	s_and_not1_b32 vcc_lo, exec_lo, s12
	s_cbranch_vccnz .LBB23_1224
; %bb.1223:
	s_wait_loadcnt 0x0
	global_load_u16 v4, v[8:9], off
.LBB23_1224:
	s_mov_b32 s12, 0
.LBB23_1225:
	s_delay_alu instid0(SALU_CYCLE_1)
	s_and_not1_b32 vcc_lo, exec_lo, s12
	s_cbranch_vccnz .LBB23_1231
; %bb.1226:
	global_load_u8 v0, v[8:9], off
	s_mov_b32 s14, 0
	s_mov_b32 s12, exec_lo
	s_wait_loadcnt 0x0
	v_cmpx_lt_i16_e32 0x7f, v0
	s_xor_b32 s12, exec_lo, s12
	s_cbranch_execz .LBB23_1243
; %bb.1227:
	v_cmp_ne_u16_e32 vcc_lo, 0x80, v0
	s_and_b32 s14, vcc_lo, exec_lo
	s_and_not1_saveexec_b32 s12, s12
	s_cbranch_execnz .LBB23_1244
.LBB23_1228:
	s_or_b32 exec_lo, exec_lo, s12
	v_mov_b32_e32 v4, 0
	s_and_saveexec_b32 s12, s14
	s_cbranch_execz .LBB23_1230
.LBB23_1229:
	v_and_b32_e32 v1, 0xffff, v0
	s_delay_alu instid0(VALU_DEP_1) | instskip(SKIP_1) | instid1(VALU_DEP_2)
	v_and_b32_e32 v3, 7, v1
	v_bfe_u32 v7, v1, 3, 4
	v_clz_i32_u32_e32 v4, v3
	s_delay_alu instid0(VALU_DEP_2) | instskip(NEXT) | instid1(VALU_DEP_2)
	v_cmp_eq_u32_e32 vcc_lo, 0, v7
	v_min_u32_e32 v4, 32, v4
	s_delay_alu instid0(VALU_DEP_1) | instskip(NEXT) | instid1(VALU_DEP_1)
	v_subrev_nc_u32_e32 v5, 28, v4
	v_dual_lshlrev_b32 v1, v5, v1 :: v_dual_sub_nc_u32 v4, 29, v4
	s_delay_alu instid0(VALU_DEP_1) | instskip(NEXT) | instid1(VALU_DEP_1)
	v_dual_lshlrev_b32 v0, 24, v0 :: v_dual_bitop2_b32 v1, 7, v1 bitop3:0x40
	v_cndmask_b32_e32 v1, v3, v1, vcc_lo
	s_delay_alu instid0(VALU_DEP_3) | instskip(NEXT) | instid1(VALU_DEP_3)
	v_cndmask_b32_e32 v4, v7, v4, vcc_lo
	v_and_b32_e32 v0, 0x80000000, v0
	s_delay_alu instid0(VALU_DEP_3) | instskip(NEXT) | instid1(VALU_DEP_3)
	v_lshlrev_b32_e32 v1, 20, v1
	v_lshl_add_u32 v3, v4, 23, 0x3b800000
	s_delay_alu instid0(VALU_DEP_1) | instskip(NEXT) | instid1(VALU_DEP_1)
	v_or3_b32 v0, v0, v3, v1
	v_cvt_i32_f32_e32 v4, v0
.LBB23_1230:
	s_or_b32 exec_lo, exec_lo, s12
.LBB23_1231:
	s_mov_b32 s12, -1
.LBB23_1232:
	s_mov_b32 s14, 0
.LBB23_1233:
	s_delay_alu instid0(SALU_CYCLE_1)
	s_and_b32 vcc_lo, exec_lo, s14
	s_cbranch_vccz .LBB23_1264
; %bb.1234:
	s_cmp_gt_i32 s1, 22
	s_cbranch_scc0 .LBB23_1242
; %bb.1235:
	s_cmp_lt_i32 s1, 24
	s_cbranch_scc1 .LBB23_1245
; %bb.1236:
	s_cmp_gt_i32 s1, 24
	s_cbranch_scc0 .LBB23_1246
; %bb.1237:
	global_load_u8 v0, v[8:9], off
	s_mov_b32 s12, 0
	s_mov_b32 s7, exec_lo
	s_wait_loadcnt 0x0
	v_cmpx_lt_i16_e32 0x7f, v0
	s_xor_b32 s7, exec_lo, s7
	s_cbranch_execz .LBB23_1258
; %bb.1238:
	v_cmp_ne_u16_e32 vcc_lo, 0x80, v0
	s_and_b32 s12, vcc_lo, exec_lo
	s_and_not1_saveexec_b32 s7, s7
	s_cbranch_execnz .LBB23_1259
.LBB23_1239:
	s_or_b32 exec_lo, exec_lo, s7
	v_mov_b32_e32 v4, 0
	s_and_saveexec_b32 s7, s12
	s_cbranch_execz .LBB23_1241
.LBB23_1240:
	v_and_b32_e32 v1, 0xffff, v0
	s_delay_alu instid0(VALU_DEP_1) | instskip(SKIP_1) | instid1(VALU_DEP_2)
	v_and_b32_e32 v3, 3, v1
	v_bfe_u32 v7, v1, 2, 5
	v_clz_i32_u32_e32 v4, v3
	s_delay_alu instid0(VALU_DEP_2) | instskip(NEXT) | instid1(VALU_DEP_2)
	v_cmp_eq_u32_e32 vcc_lo, 0, v7
	v_min_u32_e32 v4, 32, v4
	s_delay_alu instid0(VALU_DEP_1) | instskip(NEXT) | instid1(VALU_DEP_1)
	v_subrev_nc_u32_e32 v5, 29, v4
	v_dual_lshlrev_b32 v1, v5, v1 :: v_dual_sub_nc_u32 v4, 30, v4
	s_delay_alu instid0(VALU_DEP_1) | instskip(NEXT) | instid1(VALU_DEP_1)
	v_dual_lshlrev_b32 v0, 24, v0 :: v_dual_bitop2_b32 v1, 3, v1 bitop3:0x40
	v_cndmask_b32_e32 v1, v3, v1, vcc_lo
	s_delay_alu instid0(VALU_DEP_3) | instskip(NEXT) | instid1(VALU_DEP_3)
	v_cndmask_b32_e32 v4, v7, v4, vcc_lo
	v_and_b32_e32 v0, 0x80000000, v0
	s_delay_alu instid0(VALU_DEP_3) | instskip(NEXT) | instid1(VALU_DEP_3)
	v_lshlrev_b32_e32 v1, 21, v1
	v_lshl_add_u32 v3, v4, 23, 0x37800000
	s_delay_alu instid0(VALU_DEP_1) | instskip(NEXT) | instid1(VALU_DEP_1)
	v_or3_b32 v0, v0, v3, v1
	v_cvt_i32_f32_e32 v4, v0
.LBB23_1241:
	s_or_b32 exec_lo, exec_lo, s7
	s_mov_b32 s7, 0
	s_branch .LBB23_1247
.LBB23_1242:
	s_mov_b32 s7, -1
                                        ; implicit-def: $vgpr4
	s_branch .LBB23_1253
.LBB23_1243:
	s_and_not1_saveexec_b32 s12, s12
	s_cbranch_execz .LBB23_1228
.LBB23_1244:
	v_cmp_ne_u16_e32 vcc_lo, 0, v0
	s_and_not1_b32 s14, s14, exec_lo
	s_and_b32 s15, vcc_lo, exec_lo
	s_delay_alu instid0(SALU_CYCLE_1)
	s_or_b32 s14, s14, s15
	s_or_b32 exec_lo, exec_lo, s12
	v_mov_b32_e32 v4, 0
	s_and_saveexec_b32 s12, s14
	s_cbranch_execnz .LBB23_1229
	s_branch .LBB23_1230
.LBB23_1245:
	s_mov_b32 s7, -1
                                        ; implicit-def: $vgpr4
	s_branch .LBB23_1250
.LBB23_1246:
	s_mov_b32 s7, -1
                                        ; implicit-def: $vgpr4
.LBB23_1247:
	s_delay_alu instid0(SALU_CYCLE_1)
	s_and_b32 vcc_lo, exec_lo, s7
	s_cbranch_vccz .LBB23_1249
; %bb.1248:
	global_load_u8 v0, v[8:9], off
	s_wait_loadcnt 0x0
	v_lshlrev_b32_e32 v0, 24, v0
	s_delay_alu instid0(VALU_DEP_1) | instskip(NEXT) | instid1(VALU_DEP_1)
	v_and_b32_e32 v1, 0x7f000000, v0
	v_clz_i32_u32_e32 v3, v1
	v_add_nc_u32_e32 v5, 0x1000000, v1
	v_cmp_ne_u32_e32 vcc_lo, 0, v1
	s_delay_alu instid0(VALU_DEP_3) | instskip(NEXT) | instid1(VALU_DEP_1)
	v_min_u32_e32 v3, 32, v3
	v_sub_nc_u32_e64 v3, v3, 4 clamp
	s_delay_alu instid0(VALU_DEP_1) | instskip(NEXT) | instid1(VALU_DEP_1)
	v_dual_lshlrev_b32 v4, v3, v1 :: v_dual_lshlrev_b32 v3, 23, v3
	v_lshrrev_b32_e32 v4, 4, v4
	s_delay_alu instid0(VALU_DEP_1) | instskip(NEXT) | instid1(VALU_DEP_1)
	v_dual_sub_nc_u32 v3, v4, v3 :: v_dual_ashrrev_i32 v4, 8, v5
	v_add_nc_u32_e32 v3, 0x3c000000, v3
	s_delay_alu instid0(VALU_DEP_1) | instskip(NEXT) | instid1(VALU_DEP_1)
	v_and_or_b32 v3, 0x7f800000, v4, v3
	v_cndmask_b32_e32 v1, 0, v3, vcc_lo
	s_delay_alu instid0(VALU_DEP_1) | instskip(NEXT) | instid1(VALU_DEP_1)
	v_and_or_b32 v0, 0x80000000, v0, v1
	v_cvt_i32_f32_e32 v4, v0
.LBB23_1249:
	s_mov_b32 s7, 0
.LBB23_1250:
	s_delay_alu instid0(SALU_CYCLE_1)
	s_and_not1_b32 vcc_lo, exec_lo, s7
	s_cbranch_vccnz .LBB23_1252
; %bb.1251:
	global_load_u8 v0, v[8:9], off
	s_wait_loadcnt 0x0
	v_lshlrev_b32_e32 v1, 25, v0
	v_lshlrev_b16 v0, 8, v0
	s_delay_alu instid0(VALU_DEP_2) | instskip(NEXT) | instid1(VALU_DEP_2)
	v_cmp_gt_u32_e32 vcc_lo, 0x8000000, v1
	v_and_or_b32 v4, 0x7f00, v0, 0.5
	v_lshrrev_b32_e32 v3, 4, v1
	v_bfe_i32 v0, v0, 0, 16
	s_delay_alu instid0(VALU_DEP_3) | instskip(NEXT) | instid1(VALU_DEP_3)
	v_add_f32_e32 v4, -0.5, v4
	v_or_b32_e32 v3, 0x70000000, v3
	s_delay_alu instid0(VALU_DEP_1) | instskip(NEXT) | instid1(VALU_DEP_1)
	v_mul_f32_e32 v3, 0x7800000, v3
	v_cndmask_b32_e32 v1, v3, v4, vcc_lo
	s_delay_alu instid0(VALU_DEP_1) | instskip(NEXT) | instid1(VALU_DEP_1)
	v_and_or_b32 v0, 0x80000000, v0, v1
	v_cvt_i32_f32_e32 v4, v0
.LBB23_1252:
	s_mov_b32 s7, 0
	s_mov_b32 s12, -1
.LBB23_1253:
	s_and_not1_b32 vcc_lo, exec_lo, s7
	s_mov_b32 s7, 0
	s_cbranch_vccnz .LBB23_1264
; %bb.1254:
	s_cmp_gt_i32 s1, 14
	s_cbranch_scc0 .LBB23_1257
; %bb.1255:
	s_cmp_eq_u32 s1, 15
	s_cbranch_scc0 .LBB23_1260
; %bb.1256:
	global_load_u16 v0, v[8:9], off
	s_mov_b32 s6, 0
	s_mov_b32 s12, -1
	s_wait_loadcnt 0x0
	v_lshlrev_b32_e32 v0, 16, v0
	s_delay_alu instid0(VALU_DEP_1)
	v_cvt_i32_f32_e32 v4, v0
	s_branch .LBB23_1262
.LBB23_1257:
	s_mov_b32 s7, -1
	s_branch .LBB23_1261
.LBB23_1258:
	s_and_not1_saveexec_b32 s7, s7
	s_cbranch_execz .LBB23_1239
.LBB23_1259:
	v_cmp_ne_u16_e32 vcc_lo, 0, v0
	s_and_not1_b32 s12, s12, exec_lo
	s_and_b32 s14, vcc_lo, exec_lo
	s_delay_alu instid0(SALU_CYCLE_1)
	s_or_b32 s12, s12, s14
	s_or_b32 exec_lo, exec_lo, s7
	v_mov_b32_e32 v4, 0
	s_and_saveexec_b32 s7, s12
	s_cbranch_execnz .LBB23_1240
	s_branch .LBB23_1241
.LBB23_1260:
	s_mov_b32 s6, -1
.LBB23_1261:
                                        ; implicit-def: $vgpr4
.LBB23_1262:
	s_and_b32 vcc_lo, exec_lo, s7
	s_mov_b32 s7, 0
	s_cbranch_vccz .LBB23_1264
; %bb.1263:
	s_cmp_lg_u32 s1, 11
	s_mov_b32 s7, -1
	s_cselect_b32 s1, -1, 0
	s_and_not1_b32 s6, s6, exec_lo
	s_and_b32 s1, s1, exec_lo
	s_delay_alu instid0(SALU_CYCLE_1)
	s_or_b32 s6, s6, s1
.LBB23_1264:
	s_mov_b32 s1, 0
.LBB23_1265:
	s_delay_alu instid0(SALU_CYCLE_1)
	s_and_b32 s51, s1, exec_lo
	s_and_not1_b32 s1, s48, exec_lo
	s_and_b32 s6, s6, exec_lo
	s_and_b32 s26, s12, exec_lo
	;; [unrolled: 1-line block ×3, first 2 shown]
	s_or_b32 s52, s1, s6
.LBB23_1266:
	s_wait_xcnt 0x0
	s_or_b32 exec_lo, exec_lo, s37
	s_delay_alu instid0(SALU_CYCLE_1)
	s_and_not1_b32 s1, s48, exec_lo
	s_and_b32 s6, s52, exec_lo
	s_and_b32 s26, s26, exec_lo
	;; [unrolled: 1-line block ×4, first 2 shown]
	s_or_b32 s48, s1, s6
.LBB23_1267:
	s_or_b32 exec_lo, exec_lo, s47
	s_delay_alu instid0(SALU_CYCLE_1)
	s_and_not1_b32 s1, s44, exec_lo
	s_and_b32 s6, s49, exec_lo
	s_and_not1_b32 s7, s45, exec_lo
	s_and_b32 s12, s50, exec_lo
	s_or_b32 s44, s1, s6
	s_and_not1_b32 s1, s43, exec_lo
	s_and_b32 s6, s48, exec_lo
	s_or_b32 s45, s7, s12
	s_and_b32 s26, s26, exec_lo
	s_and_b32 s47, s51, exec_lo
	;; [unrolled: 1-line block ×3, first 2 shown]
	s_or_b32 s43, s1, s6
.LBB23_1268:
	s_or_b32 exec_lo, exec_lo, s46
	s_delay_alu instid0(SALU_CYCLE_1)
	s_and_not1_b32 s1, s39, exec_lo
	s_and_b32 s6, s44, exec_lo
	s_and_not1_b32 s7, s40, exec_lo
	s_and_b32 s12, s45, exec_lo
	s_or_b32 s39, s1, s6
	s_and_not1_b32 s1, s41, exec_lo
	s_and_b32 s6, s43, exec_lo
	s_or_b32 s40, s7, s12
	s_and_b32 s26, s26, exec_lo
	s_and_b32 s44, s47, exec_lo
	;; [unrolled: 1-line block ×3, first 2 shown]
	s_or_b32 s41, s1, s6
	s_or_b32 exec_lo, exec_lo, s42
	s_mov_b32 s1, 0
	s_and_saveexec_b32 s6, s41
	s_cbranch_execz .LBB23_394
.LBB23_1269:
	s_mov_b32 s1, exec_lo
	s_and_not1_b32 s21, s21, exec_lo
	s_trap 2
	s_or_b32 exec_lo, exec_lo, s6
	s_and_saveexec_b32 s6, s21
	s_delay_alu instid0(SALU_CYCLE_1)
	s_xor_b32 s6, exec_lo, s6
	s_cbranch_execnz .LBB23_395
.LBB23_1270:
	s_or_b32 exec_lo, exec_lo, s6
	s_and_saveexec_b32 s6, s44
	s_cbranch_execz .LBB23_1316
.LBB23_1271:
	s_sext_i32_i16 s7, s0
	s_delay_alu instid0(SALU_CYCLE_1)
	s_cmp_lt_i32 s7, 5
	s_cbranch_scc1 .LBB23_1276
; %bb.1272:
	s_cmp_lt_i32 s7, 8
	s_cbranch_scc1 .LBB23_1277
; %bb.1273:
	;; [unrolled: 3-line block ×3, first 2 shown]
	s_cmp_gt_i32 s7, 9
	s_cbranch_scc0 .LBB23_1279
; %bb.1275:
	s_wait_loadcnt 0x0
	global_load_b64 v[0:1], v[8:9], off
	s_mov_b32 s7, 0
	s_wait_loadcnt 0x0
	v_cvt_i32_f64_e32 v4, v[0:1]
	s_branch .LBB23_1280
.LBB23_1276:
                                        ; implicit-def: $vgpr4
	s_branch .LBB23_1297
.LBB23_1277:
                                        ; implicit-def: $vgpr4
	s_branch .LBB23_1286
.LBB23_1278:
	s_mov_b32 s7, -1
                                        ; implicit-def: $vgpr4
	s_branch .LBB23_1283
.LBB23_1279:
	s_mov_b32 s7, -1
                                        ; implicit-def: $vgpr4
.LBB23_1280:
	s_delay_alu instid0(SALU_CYCLE_1)
	s_and_not1_b32 vcc_lo, exec_lo, s7
	s_cbranch_vccnz .LBB23_1282
; %bb.1281:
	s_wait_loadcnt 0x0
	global_load_b32 v0, v[8:9], off
	s_wait_loadcnt 0x0
	v_cvt_i32_f32_e32 v4, v0
.LBB23_1282:
	s_mov_b32 s7, 0
.LBB23_1283:
	s_delay_alu instid0(SALU_CYCLE_1)
	s_and_not1_b32 vcc_lo, exec_lo, s7
	s_cbranch_vccnz .LBB23_1285
; %bb.1284:
	s_wait_loadcnt 0x0
	global_load_b32 v0, v[8:9], off
	s_wait_loadcnt 0x0
	v_cvt_i16_f16_e32 v4, v0
.LBB23_1285:
	s_cbranch_execnz .LBB23_1296
.LBB23_1286:
	s_sext_i32_i16 s7, s0
	s_delay_alu instid0(SALU_CYCLE_1)
	s_cmp_lt_i32 s7, 6
	s_cbranch_scc1 .LBB23_1289
; %bb.1287:
	s_cmp_gt_i32 s7, 6
	s_cbranch_scc0 .LBB23_1290
; %bb.1288:
	s_wait_loadcnt 0x0
	global_load_b64 v[0:1], v[8:9], off
	s_mov_b32 s7, 0
	s_wait_loadcnt 0x0
	v_cvt_i32_f64_e32 v4, v[0:1]
	s_branch .LBB23_1291
.LBB23_1289:
	s_mov_b32 s7, -1
                                        ; implicit-def: $vgpr4
	s_branch .LBB23_1294
.LBB23_1290:
	s_mov_b32 s7, -1
                                        ; implicit-def: $vgpr4
.LBB23_1291:
	s_delay_alu instid0(SALU_CYCLE_1)
	s_and_not1_b32 vcc_lo, exec_lo, s7
	s_cbranch_vccnz .LBB23_1293
; %bb.1292:
	s_wait_loadcnt 0x0
	global_load_b32 v0, v[8:9], off
	s_wait_loadcnt 0x0
	v_cvt_i32_f32_e32 v4, v0
.LBB23_1293:
	s_mov_b32 s7, 0
.LBB23_1294:
	s_delay_alu instid0(SALU_CYCLE_1)
	s_and_not1_b32 vcc_lo, exec_lo, s7
	s_cbranch_vccnz .LBB23_1296
; %bb.1295:
	s_wait_loadcnt 0x0
	global_load_u16 v0, v[8:9], off
	s_wait_loadcnt 0x0
	v_cvt_i16_f16_e32 v4, v0
.LBB23_1296:
	s_cbranch_execnz .LBB23_1315
.LBB23_1297:
	s_sext_i32_i16 s7, s0
	s_delay_alu instid0(SALU_CYCLE_1)
	s_cmp_lt_i32 s7, 2
	s_cbranch_scc1 .LBB23_1301
; %bb.1298:
	s_cmp_lt_i32 s7, 3
	s_cbranch_scc1 .LBB23_1302
; %bb.1299:
	s_cmp_gt_i32 s7, 3
	s_cbranch_scc0 .LBB23_1303
; %bb.1300:
	s_wait_loadcnt 0x0
	global_load_b64 v[4:5], v[8:9], off
	s_mov_b32 s7, 0
	s_branch .LBB23_1304
.LBB23_1301:
                                        ; implicit-def: $vgpr4
	s_branch .LBB23_1310
.LBB23_1302:
	s_mov_b32 s7, -1
                                        ; implicit-def: $vgpr4
	s_branch .LBB23_1307
.LBB23_1303:
	s_mov_b32 s7, -1
                                        ; implicit-def: $vgpr4
.LBB23_1304:
	s_delay_alu instid0(SALU_CYCLE_1)
	s_and_not1_b32 vcc_lo, exec_lo, s7
	s_cbranch_vccnz .LBB23_1306
; %bb.1305:
	s_wait_loadcnt 0x0
	global_load_b32 v4, v[8:9], off
.LBB23_1306:
	s_mov_b32 s7, 0
.LBB23_1307:
	s_delay_alu instid0(SALU_CYCLE_1)
	s_and_not1_b32 vcc_lo, exec_lo, s7
	s_cbranch_vccnz .LBB23_1309
; %bb.1308:
	s_wait_loadcnt 0x0
	global_load_u16 v4, v[8:9], off
.LBB23_1309:
	s_cbranch_execnz .LBB23_1315
.LBB23_1310:
	s_sext_i32_i16 s0, s0
	s_delay_alu instid0(SALU_CYCLE_1)
	s_cmp_gt_i32 s0, 0
	s_mov_b32 s0, 0
	s_cbranch_scc0 .LBB23_1312
; %bb.1311:
	s_wait_loadcnt 0x0
	global_load_u8 v4, v[8:9], off
	s_branch .LBB23_1313
.LBB23_1312:
	s_mov_b32 s0, -1
                                        ; implicit-def: $vgpr4
.LBB23_1313:
	s_delay_alu instid0(SALU_CYCLE_1)
	s_and_not1_b32 vcc_lo, exec_lo, s0
	s_cbranch_vccnz .LBB23_1315
; %bb.1314:
	s_wait_loadcnt 0x0
	global_load_u8 v4, v[8:9], off
.LBB23_1315:
	s_or_b32 s26, s26, exec_lo
.LBB23_1316:
	s_wait_xcnt 0x0
	s_or_b32 exec_lo, exec_lo, s6
	s_mov_b32 s14, 0
	s_mov_b32 s7, 0
	;; [unrolled: 1-line block ×3, first 2 shown]
                                        ; implicit-def: $sgpr0
                                        ; implicit-def: $vgpr0_vgpr1
                                        ; implicit-def: $vgpr8
	s_and_saveexec_b32 s6, s26
	s_cbranch_execz .LBB23_1324
; %bb.1317:
	v_mov_b32_e32 v7, 0
	s_and_b32 s0, s13, 0xff
	s_delay_alu instid0(SALU_CYCLE_1) | instskip(NEXT) | instid1(VALU_DEP_1)
	s_cmp_lt_i32 s0, 11
	v_add_nc_u64_e32 v[0:1], s[8:9], v[6:7]
	s_cbranch_scc1 .LBB23_1327
; %bb.1318:
	s_and_b32 s7, 0xffff, s0
	s_mov_b32 s9, 0
	s_cmp_gt_i32 s7, 25
	s_cbranch_scc0 .LBB23_1328
; %bb.1319:
	s_cmp_gt_i32 s7, 28
	s_cbranch_scc0 .LBB23_1329
; %bb.1320:
	;; [unrolled: 3-line block ×4, first 2 shown]
	s_cmp_eq_u32 s7, 46
	s_mov_b32 s13, 0
	s_cbranch_scc0 .LBB23_1332
; %bb.1323:
	global_load_b32 v3, v[0:1], off
	s_mov_b32 s8, 0
	s_mov_b32 s12, -1
	s_wait_loadcnt 0x0
	v_lshlrev_b32_e32 v3, 16, v3
	s_delay_alu instid0(VALU_DEP_1)
	v_cvt_i32_f32_e32 v8, v3
	s_branch .LBB23_1334
.LBB23_1324:
	s_or_b32 exec_lo, exec_lo, s6
	s_and_saveexec_b32 s6, s40
	s_cbranch_execnz .LBB23_1393
.LBB23_1325:
	s_or_b32 exec_lo, exec_lo, s6
	s_and_saveexec_b32 s6, s14
	s_delay_alu instid0(SALU_CYCLE_1)
	s_xor_b32 s6, exec_lo, s6
	s_cbranch_execz .LBB23_1394
.LBB23_1326:
	global_load_u8 v3, v[0:1], off
	s_or_b32 s12, s12, exec_lo
	s_wait_loadcnt 0x0
	v_cmp_ne_u16_e32 vcc_lo, 0, v3
	v_cndmask_b32_e64 v8, 0, 1, vcc_lo
	s_wait_xcnt 0x0
	s_or_b32 exec_lo, exec_lo, s6
	s_and_saveexec_b32 s6, s7
	s_cbranch_execz .LBB23_1440
	s_branch .LBB23_1395
.LBB23_1327:
	s_mov_b32 s7, -1
	s_mov_b32 s9, 0
	s_mov_b32 s8, s40
                                        ; implicit-def: $vgpr8
	s_branch .LBB23_1392
.LBB23_1328:
	s_mov_b32 s8, s40
                                        ; implicit-def: $vgpr8
	s_cbranch_execnz .LBB23_1361
	s_branch .LBB23_1391
.LBB23_1329:
	s_mov_b32 s13, -1
	s_mov_b32 s8, s40
                                        ; implicit-def: $vgpr8
	s_branch .LBB23_1344
.LBB23_1330:
	s_mov_b32 s13, -1
	s_mov_b32 s8, s40
                                        ; implicit-def: $vgpr8
	s_branch .LBB23_1339
.LBB23_1331:
	s_mov_b32 s13, -1
	s_mov_b32 s8, s40
	s_branch .LBB23_1333
.LBB23_1332:
	s_mov_b32 s8, -1
.LBB23_1333:
                                        ; implicit-def: $vgpr8
.LBB23_1334:
	s_and_b32 vcc_lo, exec_lo, s13
	s_cbranch_vccz .LBB23_1338
; %bb.1335:
	s_cmp_eq_u32 s7, 44
	s_cbranch_scc0 .LBB23_1337
; %bb.1336:
	global_load_u8 v3, v[0:1], off
	s_mov_b32 s8, 0
	s_mov_b32 s12, -1
	s_wait_loadcnt 0x0
	v_lshlrev_b32_e32 v5, 23, v3
	v_cmp_ne_u32_e32 vcc_lo, 0, v3
	s_delay_alu instid0(VALU_DEP_2) | instskip(NEXT) | instid1(VALU_DEP_1)
	v_cvt_i32_f32_e32 v5, v5
	v_cndmask_b32_e32 v8, 0, v5, vcc_lo
	s_branch .LBB23_1338
.LBB23_1337:
	s_mov_b32 s8, -1
                                        ; implicit-def: $vgpr8
.LBB23_1338:
	s_mov_b32 s13, 0
.LBB23_1339:
	s_delay_alu instid0(SALU_CYCLE_1)
	s_and_b32 vcc_lo, exec_lo, s13
	s_cbranch_vccz .LBB23_1343
; %bb.1340:
	s_cmp_eq_u32 s7, 29
	s_cbranch_scc0 .LBB23_1342
; %bb.1341:
	s_wait_loadcnt 0x0
	global_load_b64 v[8:9], v[0:1], off
	s_mov_b32 s8, 0
	s_mov_b32 s12, -1
	s_branch .LBB23_1343
.LBB23_1342:
	s_mov_b32 s8, -1
                                        ; implicit-def: $vgpr8
.LBB23_1343:
	s_mov_b32 s13, 0
.LBB23_1344:
	s_delay_alu instid0(SALU_CYCLE_1)
	s_and_b32 vcc_lo, exec_lo, s13
	s_cbranch_vccz .LBB23_1360
; %bb.1345:
	s_cmp_lt_i32 s7, 27
	s_cbranch_scc1 .LBB23_1348
; %bb.1346:
	s_cmp_gt_i32 s7, 27
	s_cbranch_scc0 .LBB23_1349
; %bb.1347:
	s_wait_loadcnt 0x0
	global_load_b32 v8, v[0:1], off
	s_mov_b32 s12, 0
	s_branch .LBB23_1350
.LBB23_1348:
	s_mov_b32 s12, -1
                                        ; implicit-def: $vgpr8
	s_branch .LBB23_1353
.LBB23_1349:
	s_mov_b32 s12, -1
                                        ; implicit-def: $vgpr8
.LBB23_1350:
	s_delay_alu instid0(SALU_CYCLE_1)
	s_and_not1_b32 vcc_lo, exec_lo, s12
	s_cbranch_vccnz .LBB23_1352
; %bb.1351:
	s_wait_loadcnt 0x0
	global_load_u16 v8, v[0:1], off
.LBB23_1352:
	s_mov_b32 s12, 0
.LBB23_1353:
	s_delay_alu instid0(SALU_CYCLE_1)
	s_and_not1_b32 vcc_lo, exec_lo, s12
	s_cbranch_vccnz .LBB23_1359
; %bb.1354:
	global_load_u8 v3, v[0:1], off
	s_mov_b32 s13, 0
	s_mov_b32 s12, exec_lo
	s_wait_loadcnt 0x0
	v_cmpx_lt_i16_e32 0x7f, v3
	s_xor_b32 s12, exec_lo, s12
	s_cbranch_execz .LBB23_1370
; %bb.1355:
	v_cmp_ne_u16_e32 vcc_lo, 0x80, v3
	s_and_b32 s13, vcc_lo, exec_lo
	s_and_not1_saveexec_b32 s12, s12
	s_cbranch_execnz .LBB23_1371
.LBB23_1356:
	s_or_b32 exec_lo, exec_lo, s12
	v_mov_b32_e32 v8, 0
	s_and_saveexec_b32 s12, s13
	s_cbranch_execz .LBB23_1358
.LBB23_1357:
	v_and_b32_e32 v5, 0xffff, v3
	s_delay_alu instid0(VALU_DEP_1) | instskip(SKIP_1) | instid1(VALU_DEP_2)
	v_and_b32_e32 v6, 7, v5
	v_bfe_u32 v9, v5, 3, 4
	v_clz_i32_u32_e32 v7, v6
	s_delay_alu instid0(VALU_DEP_2) | instskip(NEXT) | instid1(VALU_DEP_2)
	v_cmp_eq_u32_e32 vcc_lo, 0, v9
	v_min_u32_e32 v7, 32, v7
	s_delay_alu instid0(VALU_DEP_1) | instskip(NEXT) | instid1(VALU_DEP_1)
	v_subrev_nc_u32_e32 v8, 28, v7
	v_dual_lshlrev_b32 v5, v8, v5 :: v_dual_sub_nc_u32 v7, 29, v7
	s_delay_alu instid0(VALU_DEP_1) | instskip(NEXT) | instid1(VALU_DEP_1)
	v_dual_lshlrev_b32 v3, 24, v3 :: v_dual_bitop2_b32 v5, 7, v5 bitop3:0x40
	v_dual_cndmask_b32 v5, v6, v5, vcc_lo :: v_dual_cndmask_b32 v7, v9, v7, vcc_lo
	s_delay_alu instid0(VALU_DEP_2) | instskip(NEXT) | instid1(VALU_DEP_2)
	v_and_b32_e32 v3, 0x80000000, v3
	v_lshlrev_b32_e32 v5, 20, v5
	s_delay_alu instid0(VALU_DEP_3) | instskip(NEXT) | instid1(VALU_DEP_1)
	v_lshl_add_u32 v6, v7, 23, 0x3b800000
	v_or3_b32 v3, v3, v6, v5
	s_delay_alu instid0(VALU_DEP_1)
	v_cvt_i32_f32_e32 v8, v3
.LBB23_1358:
	s_or_b32 exec_lo, exec_lo, s12
.LBB23_1359:
	s_mov_b32 s12, -1
.LBB23_1360:
	s_branch .LBB23_1391
.LBB23_1361:
	s_cmp_gt_i32 s7, 22
	s_cbranch_scc0 .LBB23_1369
; %bb.1362:
	s_cmp_lt_i32 s7, 24
	s_cbranch_scc1 .LBB23_1372
; %bb.1363:
	s_cmp_gt_i32 s7, 24
	s_cbranch_scc0 .LBB23_1373
; %bb.1364:
	global_load_u8 v3, v[0:1], off
	s_mov_b32 s12, 0
	s_mov_b32 s9, exec_lo
	s_wait_loadcnt 0x0
	v_cmpx_lt_i16_e32 0x7f, v3
	s_xor_b32 s9, exec_lo, s9
	s_cbranch_execz .LBB23_1385
; %bb.1365:
	v_cmp_ne_u16_e32 vcc_lo, 0x80, v3
	s_and_b32 s12, vcc_lo, exec_lo
	s_and_not1_saveexec_b32 s9, s9
	s_cbranch_execnz .LBB23_1386
.LBB23_1366:
	s_or_b32 exec_lo, exec_lo, s9
	v_mov_b32_e32 v8, 0
	s_and_saveexec_b32 s9, s12
	s_cbranch_execz .LBB23_1368
.LBB23_1367:
	v_and_b32_e32 v5, 0xffff, v3
	s_delay_alu instid0(VALU_DEP_1) | instskip(SKIP_1) | instid1(VALU_DEP_2)
	v_and_b32_e32 v6, 3, v5
	v_bfe_u32 v9, v5, 2, 5
	v_clz_i32_u32_e32 v7, v6
	s_delay_alu instid0(VALU_DEP_2) | instskip(NEXT) | instid1(VALU_DEP_2)
	v_cmp_eq_u32_e32 vcc_lo, 0, v9
	v_min_u32_e32 v7, 32, v7
	s_delay_alu instid0(VALU_DEP_1) | instskip(NEXT) | instid1(VALU_DEP_1)
	v_subrev_nc_u32_e32 v8, 29, v7
	v_dual_lshlrev_b32 v5, v8, v5 :: v_dual_sub_nc_u32 v7, 30, v7
	s_delay_alu instid0(VALU_DEP_1) | instskip(NEXT) | instid1(VALU_DEP_1)
	v_dual_lshlrev_b32 v3, 24, v3 :: v_dual_bitop2_b32 v5, 3, v5 bitop3:0x40
	v_dual_cndmask_b32 v5, v6, v5, vcc_lo :: v_dual_cndmask_b32 v7, v9, v7, vcc_lo
	s_delay_alu instid0(VALU_DEP_2) | instskip(NEXT) | instid1(VALU_DEP_2)
	v_and_b32_e32 v3, 0x80000000, v3
	v_lshlrev_b32_e32 v5, 21, v5
	s_delay_alu instid0(VALU_DEP_3) | instskip(NEXT) | instid1(VALU_DEP_1)
	v_lshl_add_u32 v6, v7, 23, 0x37800000
	v_or3_b32 v3, v3, v6, v5
	s_delay_alu instid0(VALU_DEP_1)
	v_cvt_i32_f32_e32 v8, v3
.LBB23_1368:
	s_or_b32 exec_lo, exec_lo, s9
	s_mov_b32 s9, 0
	s_branch .LBB23_1374
.LBB23_1369:
	s_mov_b32 s9, -1
                                        ; implicit-def: $vgpr8
	s_branch .LBB23_1380
.LBB23_1370:
	s_and_not1_saveexec_b32 s12, s12
	s_cbranch_execz .LBB23_1356
.LBB23_1371:
	v_cmp_ne_u16_e32 vcc_lo, 0, v3
	s_and_not1_b32 s13, s13, exec_lo
	s_and_b32 s14, vcc_lo, exec_lo
	s_delay_alu instid0(SALU_CYCLE_1)
	s_or_b32 s13, s13, s14
	s_or_b32 exec_lo, exec_lo, s12
	v_mov_b32_e32 v8, 0
	s_and_saveexec_b32 s12, s13
	s_cbranch_execnz .LBB23_1357
	s_branch .LBB23_1358
.LBB23_1372:
	s_mov_b32 s9, -1
                                        ; implicit-def: $vgpr8
	s_branch .LBB23_1377
.LBB23_1373:
	s_mov_b32 s9, -1
                                        ; implicit-def: $vgpr8
.LBB23_1374:
	s_delay_alu instid0(SALU_CYCLE_1)
	s_and_b32 vcc_lo, exec_lo, s9
	s_cbranch_vccz .LBB23_1376
; %bb.1375:
	global_load_u8 v3, v[0:1], off
	s_wait_loadcnt 0x0
	v_lshlrev_b32_e32 v3, 24, v3
	s_delay_alu instid0(VALU_DEP_1) | instskip(NEXT) | instid1(VALU_DEP_1)
	v_and_b32_e32 v5, 0x7f000000, v3
	v_clz_i32_u32_e32 v6, v5
	v_cmp_ne_u32_e32 vcc_lo, 0, v5
	v_add_nc_u32_e32 v8, 0x1000000, v5
	s_delay_alu instid0(VALU_DEP_3) | instskip(NEXT) | instid1(VALU_DEP_1)
	v_min_u32_e32 v6, 32, v6
	v_sub_nc_u32_e64 v6, v6, 4 clamp
	s_delay_alu instid0(VALU_DEP_1) | instskip(NEXT) | instid1(VALU_DEP_1)
	v_dual_lshlrev_b32 v7, v6, v5 :: v_dual_lshlrev_b32 v6, 23, v6
	v_lshrrev_b32_e32 v7, 4, v7
	s_delay_alu instid0(VALU_DEP_1) | instskip(NEXT) | instid1(VALU_DEP_1)
	v_dual_sub_nc_u32 v6, v7, v6 :: v_dual_ashrrev_i32 v7, 8, v8
	v_add_nc_u32_e32 v6, 0x3c000000, v6
	s_delay_alu instid0(VALU_DEP_1) | instskip(NEXT) | instid1(VALU_DEP_1)
	v_and_or_b32 v6, 0x7f800000, v7, v6
	v_cndmask_b32_e32 v5, 0, v6, vcc_lo
	s_delay_alu instid0(VALU_DEP_1) | instskip(NEXT) | instid1(VALU_DEP_1)
	v_and_or_b32 v3, 0x80000000, v3, v5
	v_cvt_i32_f32_e32 v8, v3
.LBB23_1376:
	s_mov_b32 s9, 0
.LBB23_1377:
	s_delay_alu instid0(SALU_CYCLE_1)
	s_and_not1_b32 vcc_lo, exec_lo, s9
	s_cbranch_vccnz .LBB23_1379
; %bb.1378:
	global_load_u8 v3, v[0:1], off
	s_wait_loadcnt 0x0
	v_lshlrev_b32_e32 v5, 25, v3
	v_lshlrev_b16 v3, 8, v3
	s_delay_alu instid0(VALU_DEP_1) | instskip(NEXT) | instid1(VALU_DEP_3)
	v_and_or_b32 v7, 0x7f00, v3, 0.5
	v_lshrrev_b32_e32 v6, 4, v5
	v_bfe_i32 v3, v3, 0, 16
	s_delay_alu instid0(VALU_DEP_3) | instskip(NEXT) | instid1(VALU_DEP_3)
	v_add_f32_e32 v7, -0.5, v7
	v_or_b32_e32 v6, 0x70000000, v6
	s_delay_alu instid0(VALU_DEP_1) | instskip(SKIP_1) | instid1(VALU_DEP_2)
	v_mul_f32_e32 v6, 0x7800000, v6
	v_cmp_gt_u32_e32 vcc_lo, 0x8000000, v5
	v_cndmask_b32_e32 v5, v6, v7, vcc_lo
	s_delay_alu instid0(VALU_DEP_1) | instskip(NEXT) | instid1(VALU_DEP_1)
	v_and_or_b32 v3, 0x80000000, v3, v5
	v_cvt_i32_f32_e32 v8, v3
.LBB23_1379:
	s_mov_b32 s9, 0
	s_mov_b32 s12, -1
.LBB23_1380:
	s_and_not1_b32 vcc_lo, exec_lo, s9
	s_mov_b32 s9, 0
	s_cbranch_vccnz .LBB23_1391
; %bb.1381:
	s_cmp_gt_i32 s7, 14
	s_cbranch_scc0 .LBB23_1384
; %bb.1382:
	s_cmp_eq_u32 s7, 15
	s_cbranch_scc0 .LBB23_1387
; %bb.1383:
	global_load_u16 v3, v[0:1], off
	s_mov_b32 s8, 0
	s_mov_b32 s12, -1
	s_wait_loadcnt 0x0
	v_lshlrev_b32_e32 v3, 16, v3
	s_delay_alu instid0(VALU_DEP_1)
	v_cvt_i32_f32_e32 v8, v3
	s_branch .LBB23_1389
.LBB23_1384:
	s_mov_b32 s9, -1
	s_branch .LBB23_1388
.LBB23_1385:
	s_and_not1_saveexec_b32 s9, s9
	s_cbranch_execz .LBB23_1366
.LBB23_1386:
	v_cmp_ne_u16_e32 vcc_lo, 0, v3
	s_and_not1_b32 s12, s12, exec_lo
	s_and_b32 s13, vcc_lo, exec_lo
	s_delay_alu instid0(SALU_CYCLE_1)
	s_or_b32 s12, s12, s13
	s_or_b32 exec_lo, exec_lo, s9
	v_mov_b32_e32 v8, 0
	s_and_saveexec_b32 s9, s12
	s_cbranch_execnz .LBB23_1367
	s_branch .LBB23_1368
.LBB23_1387:
	s_mov_b32 s8, -1
.LBB23_1388:
                                        ; implicit-def: $vgpr8
.LBB23_1389:
	s_and_b32 vcc_lo, exec_lo, s9
	s_mov_b32 s9, 0
	s_cbranch_vccz .LBB23_1391
; %bb.1390:
	s_cmp_lg_u32 s7, 11
	s_mov_b32 s9, -1
	s_cselect_b32 s7, -1, 0
	s_and_not1_b32 s8, s8, exec_lo
	s_and_b32 s7, s7, exec_lo
	s_delay_alu instid0(SALU_CYCLE_1)
	s_or_b32 s8, s8, s7
.LBB23_1391:
	s_mov_b32 s7, 0
.LBB23_1392:
	s_and_not1_b32 s13, s40, exec_lo
	s_and_b32 s8, s8, exec_lo
	s_and_b32 s12, s12, exec_lo
	;; [unrolled: 1-line block ×4, first 2 shown]
	s_or_b32 s40, s13, s8
	s_wait_xcnt 0x0
	s_or_b32 exec_lo, exec_lo, s6
	s_and_saveexec_b32 s6, s40
	s_cbranch_execz .LBB23_1325
.LBB23_1393:
	s_or_b32 s1, s1, exec_lo
	s_and_not1_b32 s14, s14, exec_lo
	s_trap 2
	s_or_b32 exec_lo, exec_lo, s6
	s_and_saveexec_b32 s6, s14
	s_delay_alu instid0(SALU_CYCLE_1)
	s_xor_b32 s6, exec_lo, s6
	s_cbranch_execnz .LBB23_1326
.LBB23_1394:
	s_or_b32 exec_lo, exec_lo, s6
	s_and_saveexec_b32 s6, s7
	s_cbranch_execz .LBB23_1440
.LBB23_1395:
	s_sext_i32_i16 s7, s0
	s_delay_alu instid0(SALU_CYCLE_1)
	s_cmp_lt_i32 s7, 5
	s_cbranch_scc1 .LBB23_1400
; %bb.1396:
	s_cmp_lt_i32 s7, 8
	s_cbranch_scc1 .LBB23_1401
; %bb.1397:
	s_cmp_lt_i32 s7, 9
	s_cbranch_scc1 .LBB23_1402
; %bb.1398:
	s_cmp_gt_i32 s7, 9
	s_cbranch_scc0 .LBB23_1403
; %bb.1399:
	global_load_b64 v[6:7], v[0:1], off
	s_mov_b32 s7, 0
	s_wait_loadcnt 0x0
	v_cvt_i32_f64_e32 v8, v[6:7]
	s_branch .LBB23_1404
.LBB23_1400:
                                        ; implicit-def: $vgpr8
	s_branch .LBB23_1421
.LBB23_1401:
                                        ; implicit-def: $vgpr8
	s_branch .LBB23_1410
.LBB23_1402:
	s_mov_b32 s7, -1
                                        ; implicit-def: $vgpr8
	s_branch .LBB23_1407
.LBB23_1403:
	s_mov_b32 s7, -1
                                        ; implicit-def: $vgpr8
.LBB23_1404:
	s_delay_alu instid0(SALU_CYCLE_1)
	s_and_not1_b32 vcc_lo, exec_lo, s7
	s_cbranch_vccnz .LBB23_1406
; %bb.1405:
	global_load_b32 v3, v[0:1], off
	s_wait_loadcnt 0x0
	v_cvt_i32_f32_e32 v8, v3
.LBB23_1406:
	s_mov_b32 s7, 0
.LBB23_1407:
	s_delay_alu instid0(SALU_CYCLE_1)
	s_and_not1_b32 vcc_lo, exec_lo, s7
	s_cbranch_vccnz .LBB23_1409
; %bb.1408:
	global_load_b32 v3, v[0:1], off
	s_wait_loadcnt 0x0
	v_cvt_i16_f16_e32 v8, v3
.LBB23_1409:
	s_cbranch_execnz .LBB23_1420
.LBB23_1410:
	s_sext_i32_i16 s7, s0
	s_delay_alu instid0(SALU_CYCLE_1)
	s_cmp_lt_i32 s7, 6
	s_cbranch_scc1 .LBB23_1413
; %bb.1411:
	s_cmp_gt_i32 s7, 6
	s_cbranch_scc0 .LBB23_1414
; %bb.1412:
	global_load_b64 v[6:7], v[0:1], off
	s_mov_b32 s7, 0
	s_wait_loadcnt 0x0
	v_cvt_i32_f64_e32 v8, v[6:7]
	s_branch .LBB23_1415
.LBB23_1413:
	s_mov_b32 s7, -1
                                        ; implicit-def: $vgpr8
	s_branch .LBB23_1418
.LBB23_1414:
	s_mov_b32 s7, -1
                                        ; implicit-def: $vgpr8
.LBB23_1415:
	s_delay_alu instid0(SALU_CYCLE_1)
	s_and_not1_b32 vcc_lo, exec_lo, s7
	s_cbranch_vccnz .LBB23_1417
; %bb.1416:
	global_load_b32 v3, v[0:1], off
	s_wait_loadcnt 0x0
	v_cvt_i32_f32_e32 v8, v3
.LBB23_1417:
	s_mov_b32 s7, 0
.LBB23_1418:
	s_delay_alu instid0(SALU_CYCLE_1)
	s_and_not1_b32 vcc_lo, exec_lo, s7
	s_cbranch_vccnz .LBB23_1420
; %bb.1419:
	global_load_u16 v3, v[0:1], off
	s_wait_loadcnt 0x0
	v_cvt_i16_f16_e32 v8, v3
.LBB23_1420:
	s_cbranch_execnz .LBB23_1439
.LBB23_1421:
	s_sext_i32_i16 s7, s0
	s_delay_alu instid0(SALU_CYCLE_1)
	s_cmp_lt_i32 s7, 2
	s_cbranch_scc1 .LBB23_1425
; %bb.1422:
	s_cmp_lt_i32 s7, 3
	s_cbranch_scc1 .LBB23_1426
; %bb.1423:
	s_cmp_gt_i32 s7, 3
	s_cbranch_scc0 .LBB23_1427
; %bb.1424:
	s_wait_loadcnt 0x0
	global_load_b64 v[8:9], v[0:1], off
	s_mov_b32 s7, 0
	s_branch .LBB23_1428
.LBB23_1425:
                                        ; implicit-def: $vgpr8
	s_branch .LBB23_1434
.LBB23_1426:
	s_mov_b32 s7, -1
                                        ; implicit-def: $vgpr8
	s_branch .LBB23_1431
.LBB23_1427:
	s_mov_b32 s7, -1
                                        ; implicit-def: $vgpr8
.LBB23_1428:
	s_delay_alu instid0(SALU_CYCLE_1)
	s_and_not1_b32 vcc_lo, exec_lo, s7
	s_cbranch_vccnz .LBB23_1430
; %bb.1429:
	s_wait_loadcnt 0x0
	global_load_b32 v8, v[0:1], off
.LBB23_1430:
	s_mov_b32 s7, 0
.LBB23_1431:
	s_delay_alu instid0(SALU_CYCLE_1)
	s_and_not1_b32 vcc_lo, exec_lo, s7
	s_cbranch_vccnz .LBB23_1433
; %bb.1432:
	s_wait_loadcnt 0x0
	global_load_u16 v8, v[0:1], off
.LBB23_1433:
	s_cbranch_execnz .LBB23_1439
.LBB23_1434:
	s_sext_i32_i16 s0, s0
	s_delay_alu instid0(SALU_CYCLE_1)
	s_cmp_gt_i32 s0, 0
	s_mov_b32 s0, 0
	s_cbranch_scc0 .LBB23_1436
; %bb.1435:
	s_wait_loadcnt 0x0
	global_load_u8 v8, v[0:1], off
	s_branch .LBB23_1437
.LBB23_1436:
	s_mov_b32 s0, -1
                                        ; implicit-def: $vgpr8
.LBB23_1437:
	s_delay_alu instid0(SALU_CYCLE_1)
	s_and_not1_b32 vcc_lo, exec_lo, s0
	s_cbranch_vccnz .LBB23_1439
; %bb.1438:
	s_wait_loadcnt 0x0
	global_load_u8 v8, v[0:1], off
.LBB23_1439:
	s_or_b32 s12, s12, exec_lo
.LBB23_1440:
	s_wait_xcnt 0x0
	s_or_b32 exec_lo, exec_lo, s6
	s_mov_b32 s0, 0
	s_mov_b32 s9, 0
                                        ; implicit-def: $sgpr6
                                        ; implicit-def: $sgpr7
                                        ; implicit-def: $vgpr0_vgpr1
	s_and_saveexec_b32 s8, s12
	s_cbranch_execz .LBB23_1448
; %bb.1441:
	s_wait_loadcnt 0x0
	s_delay_alu instid0(VALU_DEP_1) | instskip(SKIP_3) | instid1(VALU_DEP_2)
	v_and_b32_e32 v0, 0xff, v8
	v_and_b32_e32 v1, 0xff, v4
	v_mov_b32_e32 v3, 0
	s_and_b32 s7, s11, 0xff
	v_cmp_ne_u16_e32 vcc_lo, v1, v0
	s_delay_alu instid0(VALU_DEP_2)
	v_add_nc_u64_e32 v[0:1], s[4:5], v[2:3]
	s_xor_b32 s6, s10, vcc_lo
	s_cmp_lt_i32 s7, 11
	s_cbranch_scc1 .LBB23_1451
; %bb.1442:
	s_and_b32 s4, 0xffff, s7
	s_mov_b32 s5, -1
	s_cmp_gt_i32 s4, 25
	s_mov_b32 s0, s39
	s_cbranch_scc0 .LBB23_1479
; %bb.1443:
	s_cmp_gt_i32 s4, 28
	s_mov_b32 s0, s39
	s_cbranch_scc0 .LBB23_1463
; %bb.1444:
	;; [unrolled: 4-line block ×4, first 2 shown]
	s_cmp_eq_u32 s4, 46
	s_mov_b32 s0, -1
	s_cbranch_scc0 .LBB23_1452
; %bb.1447:
	v_cndmask_b32_e64 v2, 0, 1.0, s6
	s_mov_b32 s0, 0
	s_mov_b32 s5, 0
	s_delay_alu instid0(VALU_DEP_1) | instskip(NEXT) | instid1(VALU_DEP_1)
	v_bfe_u32 v3, v2, 16, 1
	v_add3_u32 v2, v2, v3, 0x7fff
	s_delay_alu instid0(VALU_DEP_1)
	v_lshrrev_b32_e32 v2, 16, v2
	global_store_b32 v[0:1], v2, off
	s_branch .LBB23_1453
.LBB23_1448:
	s_or_b32 exec_lo, exec_lo, s8
	s_and_saveexec_b32 s4, s39
	s_cbranch_execnz .LBB23_1521
.LBB23_1449:
	s_or_b32 exec_lo, exec_lo, s4
	s_and_saveexec_b32 s4, s0
	s_delay_alu instid0(SALU_CYCLE_1)
	s_xor_b32 s0, exec_lo, s4
	s_cbranch_execz .LBB23_1522
.LBB23_1450:
	v_cndmask_b32_e64 v2, 0, 1, s6
	global_store_b8 v[0:1], v2, off
	s_wait_xcnt 0x0
	s_or_b32 exec_lo, exec_lo, s0
	s_and_saveexec_b32 s0, s9
	s_delay_alu instid0(SALU_CYCLE_1)
	s_xor_b32 s0, exec_lo, s0
	s_cbranch_execz .LBB23_1560
	s_branch .LBB23_1523
.LBB23_1451:
	s_mov_b32 s10, 0
	s_mov_b32 s5, -1
	s_mov_b32 s0, s39
	s_branch .LBB23_1520
.LBB23_1452:
	s_mov_b32 s5, 0
.LBB23_1453:
	s_delay_alu instid0(SALU_CYCLE_1)
	s_and_b32 vcc_lo, exec_lo, s5
	s_cbranch_vccz .LBB23_1458
; %bb.1454:
	s_cmp_eq_u32 s4, 44
	s_mov_b32 s0, -1
	s_cbranch_scc0 .LBB23_1458
; %bb.1455:
	v_cndmask_b32_e64 v4, 0, 1.0, s6
	s_mov_b32 s5, exec_lo
	s_wait_xcnt 0x0
	s_delay_alu instid0(VALU_DEP_1) | instskip(NEXT) | instid1(VALU_DEP_1)
	v_dual_mov_b32 v3, 0xff :: v_dual_lshrrev_b32 v2, 23, v4
	v_cmpx_ne_u32_e32 0xff, v2
; %bb.1456:
	v_and_b32_e32 v3, 0x400000, v4
	v_and_or_b32 v4, 0x3fffff, v4, v2
	s_delay_alu instid0(VALU_DEP_2) | instskip(NEXT) | instid1(VALU_DEP_2)
	v_cmp_ne_u32_e32 vcc_lo, 0, v3
	v_cmp_ne_u32_e64 s0, 0, v4
	s_and_b32 s0, vcc_lo, s0
	s_delay_alu instid0(SALU_CYCLE_1) | instskip(NEXT) | instid1(VALU_DEP_1)
	v_cndmask_b32_e64 v3, 0, 1, s0
	v_add_nc_u32_e32 v3, v2, v3
; %bb.1457:
	s_or_b32 exec_lo, exec_lo, s5
	s_mov_b32 s0, 0
	global_store_b8 v[0:1], v3, off
.LBB23_1458:
	s_mov_b32 s5, 0
.LBB23_1459:
	s_delay_alu instid0(SALU_CYCLE_1)
	s_and_b32 vcc_lo, exec_lo, s5
	s_cbranch_vccz .LBB23_1462
; %bb.1460:
	s_cmp_eq_u32 s4, 29
	s_mov_b32 s0, -1
	s_cbranch_scc0 .LBB23_1462
; %bb.1461:
	s_mov_b32 s0, 0
	s_wait_xcnt 0x0
	v_cndmask_b32_e64 v2, 0, 1, s6
	v_mov_b32_e32 v3, s0
	s_mov_b32 s5, 0
	global_store_b64 v[0:1], v[2:3], off
	s_branch .LBB23_1463
.LBB23_1462:
	s_mov_b32 s5, 0
.LBB23_1463:
	s_delay_alu instid0(SALU_CYCLE_1)
	s_and_b32 vcc_lo, exec_lo, s5
	s_cbranch_vccz .LBB23_1478
; %bb.1464:
	s_cmp_lt_i32 s4, 27
	s_mov_b32 s5, -1
	s_cbranch_scc1 .LBB23_1470
; %bb.1465:
	s_cmp_gt_i32 s4, 27
	s_cbranch_scc0 .LBB23_1467
; %bb.1466:
	s_wait_xcnt 0x0
	v_cndmask_b32_e64 v2, 0, 1, s6
	s_mov_b32 s5, 0
	global_store_b32 v[0:1], v2, off
.LBB23_1467:
	s_and_not1_b32 vcc_lo, exec_lo, s5
	s_cbranch_vccnz .LBB23_1469
; %bb.1468:
	s_wait_xcnt 0x0
	v_cndmask_b32_e64 v2, 0, 1, s6
	global_store_b16 v[0:1], v2, off
.LBB23_1469:
	s_mov_b32 s5, 0
.LBB23_1470:
	s_delay_alu instid0(SALU_CYCLE_1)
	s_and_not1_b32 vcc_lo, exec_lo, s5
	s_cbranch_vccnz .LBB23_1478
; %bb.1471:
	s_wait_xcnt 0x0
	v_cndmask_b32_e64 v3, 0, 1.0, s6
	v_mov_b32_e32 v4, 0x80
	s_mov_b32 s5, exec_lo
	s_delay_alu instid0(VALU_DEP_2)
	v_cmpx_gt_u32_e32 0x43800000, v3
	s_cbranch_execz .LBB23_1477
; %bb.1472:
	s_mov_b32 s10, exec_lo
                                        ; implicit-def: $vgpr2
	v_cmpx_lt_u32_e32 0x3bffffff, v3
	s_xor_b32 s10, exec_lo, s10
	s_cbranch_execz .LBB23_1619
; %bb.1473:
	v_bfe_u32 v2, v3, 20, 1
	s_mov_b32 s9, exec_lo
	s_delay_alu instid0(VALU_DEP_1) | instskip(NEXT) | instid1(VALU_DEP_1)
	v_add3_u32 v2, v3, v2, 0x487ffff
                                        ; implicit-def: $vgpr3
	v_lshrrev_b32_e32 v2, 20, v2
	s_and_not1_saveexec_b32 s10, s10
	s_cbranch_execnz .LBB23_1620
.LBB23_1474:
	s_or_b32 exec_lo, exec_lo, s10
	v_mov_b32_e32 v4, 0
	s_and_saveexec_b32 s10, s9
.LBB23_1475:
	v_mov_b32_e32 v4, v2
.LBB23_1476:
	s_or_b32 exec_lo, exec_lo, s10
.LBB23_1477:
	s_delay_alu instid0(SALU_CYCLE_1)
	s_or_b32 exec_lo, exec_lo, s5
	global_store_b8 v[0:1], v4, off
.LBB23_1478:
	s_mov_b32 s5, 0
.LBB23_1479:
	s_delay_alu instid0(SALU_CYCLE_1)
	s_and_b32 vcc_lo, exec_lo, s5
	s_mov_b32 s5, 0
	s_cbranch_vccz .LBB23_1519
; %bb.1480:
	s_cmp_gt_i32 s4, 22
	s_mov_b32 s9, -1
	s_cbranch_scc0 .LBB23_1512
; %bb.1481:
	s_cmp_lt_i32 s4, 24
	s_cbranch_scc1 .LBB23_1501
; %bb.1482:
	s_cmp_gt_i32 s4, 24
	s_cbranch_scc0 .LBB23_1490
; %bb.1483:
	s_wait_xcnt 0x0
	v_cndmask_b32_e64 v3, 0, 1.0, s6
	v_mov_b32_e32 v4, 0x80
	s_mov_b32 s9, exec_lo
	s_delay_alu instid0(VALU_DEP_2)
	v_cmpx_gt_u32_e32 0x47800000, v3
	s_cbranch_execz .LBB23_1489
; %bb.1484:
	s_mov_b32 s10, 0
	s_mov_b32 s11, exec_lo
                                        ; implicit-def: $vgpr2
	v_cmpx_lt_u32_e32 0x37ffffff, v3
	s_xor_b32 s11, exec_lo, s11
	s_cbranch_execz .LBB23_1740
; %bb.1485:
	v_bfe_u32 v2, v3, 21, 1
	s_mov_b32 s10, exec_lo
	s_delay_alu instid0(VALU_DEP_1) | instskip(NEXT) | instid1(VALU_DEP_1)
	v_add3_u32 v2, v3, v2, 0x88fffff
                                        ; implicit-def: $vgpr3
	v_lshrrev_b32_e32 v2, 21, v2
	s_and_not1_saveexec_b32 s11, s11
	s_cbranch_execnz .LBB23_1741
.LBB23_1486:
	s_or_b32 exec_lo, exec_lo, s11
	v_mov_b32_e32 v4, 0
	s_and_saveexec_b32 s11, s10
.LBB23_1487:
	v_mov_b32_e32 v4, v2
.LBB23_1488:
	s_or_b32 exec_lo, exec_lo, s11
.LBB23_1489:
	s_delay_alu instid0(SALU_CYCLE_1)
	s_or_b32 exec_lo, exec_lo, s9
	s_mov_b32 s9, 0
	global_store_b8 v[0:1], v4, off
.LBB23_1490:
	s_and_b32 vcc_lo, exec_lo, s9
	s_cbranch_vccz .LBB23_1500
; %bb.1491:
	s_wait_xcnt 0x0
	v_cndmask_b32_e64 v3, 0, 1.0, s6
	s_mov_b32 s9, exec_lo
                                        ; implicit-def: $vgpr2
	s_delay_alu instid0(VALU_DEP_1)
	v_cmpx_gt_u32_e32 0x43f00000, v3
	s_xor_b32 s9, exec_lo, s9
	s_cbranch_execz .LBB23_1497
; %bb.1492:
	s_mov_b32 s10, exec_lo
                                        ; implicit-def: $vgpr2
	v_cmpx_lt_u32_e32 0x3c7fffff, v3
	s_xor_b32 s10, exec_lo, s10
; %bb.1493:
	v_bfe_u32 v2, v3, 20, 1
	s_delay_alu instid0(VALU_DEP_1) | instskip(NEXT) | instid1(VALU_DEP_1)
	v_add3_u32 v2, v3, v2, 0x407ffff
	v_and_b32_e32 v3, 0xff00000, v2
	v_lshrrev_b32_e32 v2, 20, v2
	s_delay_alu instid0(VALU_DEP_2) | instskip(NEXT) | instid1(VALU_DEP_2)
	v_cmp_ne_u32_e32 vcc_lo, 0x7f00000, v3
                                        ; implicit-def: $vgpr3
	v_cndmask_b32_e32 v2, 0x7e, v2, vcc_lo
; %bb.1494:
	s_and_not1_saveexec_b32 s10, s10
; %bb.1495:
	v_add_f32_e32 v2, 0x46800000, v3
; %bb.1496:
	s_or_b32 exec_lo, exec_lo, s10
                                        ; implicit-def: $vgpr3
.LBB23_1497:
	s_and_not1_saveexec_b32 s9, s9
; %bb.1498:
	v_mov_b32_e32 v2, 0x7f
	v_cmp_lt_u32_e32 vcc_lo, 0x7f800000, v3
	s_delay_alu instid0(VALU_DEP_2)
	v_cndmask_b32_e32 v2, 0x7e, v2, vcc_lo
; %bb.1499:
	s_or_b32 exec_lo, exec_lo, s9
	global_store_b8 v[0:1], v2, off
.LBB23_1500:
	s_mov_b32 s9, 0
.LBB23_1501:
	s_delay_alu instid0(SALU_CYCLE_1)
	s_and_not1_b32 vcc_lo, exec_lo, s9
	s_cbranch_vccnz .LBB23_1511
; %bb.1502:
	s_wait_xcnt 0x0
	v_cndmask_b32_e64 v3, 0, 1.0, s6
	s_mov_b32 s9, exec_lo
                                        ; implicit-def: $vgpr2
	s_delay_alu instid0(VALU_DEP_1)
	v_cmpx_gt_u32_e32 0x47800000, v3
	s_xor_b32 s9, exec_lo, s9
	s_cbranch_execz .LBB23_1508
; %bb.1503:
	s_mov_b32 s10, exec_lo
                                        ; implicit-def: $vgpr2
	v_cmpx_lt_u32_e32 0x387fffff, v3
	s_xor_b32 s10, exec_lo, s10
; %bb.1504:
	v_bfe_u32 v2, v3, 21, 1
	s_delay_alu instid0(VALU_DEP_1) | instskip(NEXT) | instid1(VALU_DEP_1)
	v_add3_u32 v2, v3, v2, 0x80fffff
                                        ; implicit-def: $vgpr3
	v_lshrrev_b32_e32 v2, 21, v2
; %bb.1505:
	s_and_not1_saveexec_b32 s10, s10
; %bb.1506:
	v_add_f32_e32 v2, 0x43000000, v3
; %bb.1507:
	s_or_b32 exec_lo, exec_lo, s10
                                        ; implicit-def: $vgpr3
.LBB23_1508:
	s_and_not1_saveexec_b32 s9, s9
; %bb.1509:
	v_mov_b32_e32 v2, 0x7f
	v_cmp_lt_u32_e32 vcc_lo, 0x7f800000, v3
	s_delay_alu instid0(VALU_DEP_2)
	v_cndmask_b32_e32 v2, 0x7c, v2, vcc_lo
; %bb.1510:
	s_or_b32 exec_lo, exec_lo, s9
	global_store_b8 v[0:1], v2, off
.LBB23_1511:
	s_mov_b32 s9, 0
.LBB23_1512:
	s_delay_alu instid0(SALU_CYCLE_1)
	s_and_not1_b32 vcc_lo, exec_lo, s9
	s_mov_b32 s10, 0
	s_cbranch_vccnz .LBB23_1520
; %bb.1513:
	s_cmp_gt_i32 s4, 14
	s_mov_b32 s9, -1
	s_cbranch_scc0 .LBB23_1517
; %bb.1514:
	s_cmp_eq_u32 s4, 15
	s_mov_b32 s0, -1
	s_cbranch_scc0 .LBB23_1516
; %bb.1515:
	s_wait_xcnt 0x0
	v_cndmask_b32_e64 v2, 0, 1.0, s6
	s_mov_b32 s0, 0
	s_delay_alu instid0(VALU_DEP_1) | instskip(NEXT) | instid1(VALU_DEP_1)
	v_bfe_u32 v3, v2, 16, 1
	v_add3_u32 v2, v2, v3, 0x7fff
	global_store_d16_hi_b16 v[0:1], v2, off
.LBB23_1516:
	s_mov_b32 s9, 0
.LBB23_1517:
	s_delay_alu instid0(SALU_CYCLE_1)
	s_and_b32 vcc_lo, exec_lo, s9
	s_cbranch_vccz .LBB23_1520
; %bb.1518:
	s_cmp_lg_u32 s4, 11
	s_mov_b32 s10, -1
	s_cselect_b32 s4, -1, 0
	s_and_not1_b32 s0, s0, exec_lo
	s_and_b32 s4, s4, exec_lo
	s_delay_alu instid0(SALU_CYCLE_1)
	s_or_b32 s0, s0, s4
	s_branch .LBB23_1520
.LBB23_1519:
	s_mov_b32 s10, 0
.LBB23_1520:
	s_and_b32 s9, s5, exec_lo
	s_and_not1_b32 s4, s39, exec_lo
	s_and_b32 s5, s0, exec_lo
	s_and_b32 s0, s10, exec_lo
	s_or_b32 s39, s4, s5
	s_wait_xcnt 0x0
	s_or_b32 exec_lo, exec_lo, s8
	s_and_saveexec_b32 s4, s39
	s_cbranch_execz .LBB23_1449
.LBB23_1521:
	s_or_b32 s1, s1, exec_lo
	s_and_not1_b32 s0, s0, exec_lo
	s_trap 2
	s_or_b32 exec_lo, exec_lo, s4
	s_and_saveexec_b32 s4, s0
	s_delay_alu instid0(SALU_CYCLE_1)
	s_xor_b32 s0, exec_lo, s4
	s_cbranch_execnz .LBB23_1450
.LBB23_1522:
	s_or_b32 exec_lo, exec_lo, s0
	s_and_saveexec_b32 s0, s9
	s_delay_alu instid0(SALU_CYCLE_1)
	s_xor_b32 s0, exec_lo, s0
	s_cbranch_execz .LBB23_1560
.LBB23_1523:
	s_sext_i32_i16 s5, s7
	s_mov_b32 s4, -1
	s_cmp_lt_i32 s5, 5
	s_cbranch_scc1 .LBB23_1544
; %bb.1524:
	s_cmp_lt_i32 s5, 8
	s_cbranch_scc1 .LBB23_1534
; %bb.1525:
	;; [unrolled: 3-line block ×3, first 2 shown]
	s_cmp_gt_i32 s5, 9
	s_cbranch_scc0 .LBB23_1528
; %bb.1527:
	v_cndmask_b32_e64 v2, 0, 1, s6
	s_wait_loadcnt 0x0
	v_mov_b32_e32 v4, 0
	s_mov_b32 s4, 0
	s_delay_alu instid0(VALU_DEP_2) | instskip(NEXT) | instid1(VALU_DEP_2)
	v_cvt_f64_u32_e32 v[2:3], v2
	v_mov_b32_e32 v5, v4
	global_store_b128 v[0:1], v[2:5], off
.LBB23_1528:
	s_and_not1_b32 vcc_lo, exec_lo, s4
	s_cbranch_vccnz .LBB23_1530
; %bb.1529:
	s_wait_xcnt 0x0
	v_cndmask_b32_e64 v2, 0, 1.0, s6
	v_mov_b32_e32 v3, 0
	global_store_b64 v[0:1], v[2:3], off
.LBB23_1530:
	s_mov_b32 s4, 0
.LBB23_1531:
	s_delay_alu instid0(SALU_CYCLE_1)
	s_and_not1_b32 vcc_lo, exec_lo, s4
	s_cbranch_vccnz .LBB23_1533
; %bb.1532:
	s_wait_xcnt 0x0
	v_cndmask_b32_e64 v2, 0, 1.0, s6
	s_delay_alu instid0(VALU_DEP_1) | instskip(NEXT) | instid1(VALU_DEP_1)
	v_cvt_f16_f32_e32 v2, v2
	v_and_b32_e32 v2, 0xffff, v2
	global_store_b32 v[0:1], v2, off
.LBB23_1533:
	s_mov_b32 s4, 0
.LBB23_1534:
	s_delay_alu instid0(SALU_CYCLE_1)
	s_and_not1_b32 vcc_lo, exec_lo, s4
	s_cbranch_vccnz .LBB23_1543
; %bb.1535:
	s_sext_i32_i16 s5, s7
	s_mov_b32 s4, -1
	s_cmp_lt_i32 s5, 6
	s_cbranch_scc1 .LBB23_1541
; %bb.1536:
	s_cmp_gt_i32 s5, 6
	s_cbranch_scc0 .LBB23_1538
; %bb.1537:
	s_wait_xcnt 0x0
	v_cndmask_b32_e64 v2, 0, 1, s6
	s_mov_b32 s4, 0
	s_delay_alu instid0(VALU_DEP_1)
	v_cvt_f64_u32_e32 v[2:3], v2
	global_store_b64 v[0:1], v[2:3], off
.LBB23_1538:
	s_and_not1_b32 vcc_lo, exec_lo, s4
	s_cbranch_vccnz .LBB23_1540
; %bb.1539:
	s_wait_xcnt 0x0
	v_cndmask_b32_e64 v2, 0, 1.0, s6
	global_store_b32 v[0:1], v2, off
.LBB23_1540:
	s_mov_b32 s4, 0
.LBB23_1541:
	s_delay_alu instid0(SALU_CYCLE_1)
	s_and_not1_b32 vcc_lo, exec_lo, s4
	s_cbranch_vccnz .LBB23_1543
; %bb.1542:
	s_wait_xcnt 0x0
	v_cndmask_b32_e64 v2, 0, 1.0, s6
	s_delay_alu instid0(VALU_DEP_1)
	v_cvt_f16_f32_e32 v2, v2
	global_store_b16 v[0:1], v2, off
.LBB23_1543:
	s_mov_b32 s4, 0
.LBB23_1544:
	s_delay_alu instid0(SALU_CYCLE_1)
	s_and_not1_b32 vcc_lo, exec_lo, s4
	s_cbranch_vccnz .LBB23_1560
; %bb.1545:
	s_sext_i32_i16 s5, s7
	s_mov_b32 s4, -1
	s_cmp_lt_i32 s5, 2
	s_cbranch_scc1 .LBB23_1555
; %bb.1546:
	s_cmp_lt_i32 s5, 3
	s_cbranch_scc1 .LBB23_1552
; %bb.1547:
	s_cmp_gt_i32 s5, 3
	s_cbranch_scc0 .LBB23_1549
; %bb.1548:
	s_mov_b32 s4, 0
	s_wait_xcnt 0x0
	v_cndmask_b32_e64 v2, 0, 1, s6
	v_mov_b32_e32 v3, s4
	global_store_b64 v[0:1], v[2:3], off
.LBB23_1549:
	s_and_not1_b32 vcc_lo, exec_lo, s4
	s_cbranch_vccnz .LBB23_1551
; %bb.1550:
	s_wait_xcnt 0x0
	v_cndmask_b32_e64 v2, 0, 1, s6
	global_store_b32 v[0:1], v2, off
.LBB23_1551:
	s_mov_b32 s4, 0
.LBB23_1552:
	s_delay_alu instid0(SALU_CYCLE_1)
	s_and_not1_b32 vcc_lo, exec_lo, s4
	s_cbranch_vccnz .LBB23_1554
; %bb.1553:
	s_wait_xcnt 0x0
	v_cndmask_b32_e64 v2, 0, 1, s6
	global_store_b16 v[0:1], v2, off
.LBB23_1554:
	s_mov_b32 s4, 0
.LBB23_1555:
	s_delay_alu instid0(SALU_CYCLE_1)
	s_and_not1_b32 vcc_lo, exec_lo, s4
	s_cbranch_vccnz .LBB23_1560
; %bb.1556:
	s_wait_xcnt 0x0
	v_cndmask_b32_e64 v2, 0, 1, s6
	s_sext_i32_i16 s4, s7
	s_delay_alu instid0(SALU_CYCLE_1)
	s_cmp_gt_i32 s4, 0
	s_mov_b32 s4, -1
	s_cbranch_scc0 .LBB23_1558
; %bb.1557:
	s_mov_b32 s4, 0
	global_store_b8 v[0:1], v2, off
.LBB23_1558:
	s_and_not1_b32 vcc_lo, exec_lo, s4
	s_cbranch_vccnz .LBB23_1560
; %bb.1559:
	global_store_b8 v[0:1], v2, off
.LBB23_1560:
	s_wait_xcnt 0x0
	s_or_b32 exec_lo, exec_lo, s0
	s_delay_alu instid0(SALU_CYCLE_1)
	s_and_b32 s8, s1, exec_lo
                                        ; implicit-def: $vgpr1
                                        ; implicit-def: $vgpr0
.LBB23_1561:
	s_or_saveexec_b32 s9, s33
	s_mov_b32 s0, 0
                                        ; implicit-def: $sgpr4
                                        ; implicit-def: $vgpr2_vgpr3
                                        ; implicit-def: $sgpr1
	s_xor_b32 exec_lo, exec_lo, s9
	s_cbranch_execz .LBB23_3049
; %bb.1562:
	v_cndmask_b32_e64 v3, 0, 1, s31
	s_and_not1_b32 vcc_lo, exec_lo, s31
	s_cbranch_vccnz .LBB23_1568
; %bb.1563:
	s_cmp_lg_u32 s28, 0
	s_mov_b32 s4, 0
	s_cbranch_scc0 .LBB23_1572
; %bb.1564:
	s_min_u32 s5, s29, 15
	v_dual_mov_b32 v6, 0 :: v_dual_mov_b32 v2, v0
	s_wait_loadcnt 0x0
	v_dual_mov_b32 v8, 0 :: v_dual_mov_b32 v14, 0
	s_add_co_i32 s6, s5, 1
	s_mov_b64 s[0:1], 0xffffffffffffffe8
	s_and_b32 s6, s6, 30
	s_add_nc_u64 s[0:1], s[2:3], s[0:1]
.LBB23_1565:                            ; =>This Inner Loop Header: Depth=1
	s_clause 0x1
	s_load_b128 s[12:15], s[0:1], 0x1c
	s_load_b64 s[10:11], s[0:1], 0x2c
	s_add_co_i32 s6, s6, -2
	s_delay_alu instid0(SALU_CYCLE_1) | instskip(SKIP_2) | instid1(VALU_DEP_1)
	s_cmp_lg_u32 s6, 0
	s_wait_kmcnt 0x0
	v_mul_hi_u32 v4, s13, v2
	v_add_nc_u32_e32 v4, v2, v4
	s_delay_alu instid0(VALU_DEP_1) | instskip(NEXT) | instid1(VALU_DEP_1)
	v_lshrrev_b32_e32 v4, s14, v4
	v_mul_hi_u32 v5, s10, v4
	v_mul_lo_u32 v7, v4, s12
	s_clause 0x1
	s_load_b128 s[16:19], s[0:1], 0xdc
	s_load_b64 s[12:13], s[0:1], 0xec
	s_wait_xcnt 0x0
	s_add_nc_u64 s[0:1], s[0:1], 24
	s_delay_alu instid0(VALU_DEP_1) | instskip(NEXT) | instid1(VALU_DEP_1)
	v_dual_add_nc_u32 v5, v4, v5 :: v_dual_sub_nc_u32 v7, v2, v7
	v_lshrrev_b32_e32 v2, s11, v5
	s_wait_kmcnt 0x0
	s_delay_alu instid0(VALU_DEP_2) | instskip(NEXT) | instid1(VALU_DEP_2)
	v_mad_u32 v6, v7, s16, v6
	v_mul_lo_u32 v5, v2, s15
	v_mad_u32 v9, v7, s18, v14
	v_mad_u32 v7, v7, s17, v8
	s_delay_alu instid0(VALU_DEP_3) | instskip(NEXT) | instid1(VALU_DEP_1)
	v_sub_nc_u32_e32 v4, v4, v5
	v_mad_u32 v6, v4, s19, v6
	s_delay_alu instid0(VALU_DEP_4) | instskip(NEXT) | instid1(VALU_DEP_4)
	v_mad_u32 v14, v4, s13, v9
	v_mad_u32 v8, v4, s12, v7
	s_cbranch_scc1 .LBB23_1565
; %bb.1566:
	s_bitcmp1_b32 s5, 0
	s_cselect_b32 s5, -1, 0
	s_delay_alu instid0(SALU_CYCLE_1)
	s_and_b32 vcc_lo, exec_lo, s5
	s_cbranch_vccnz .LBB23_1569
; %bb.1567:
	s_clause 0x1
	s_load_b96 s[12:14], s[0:1], 0x1c
	s_load_b96 s[16:18], s[0:1], 0xdc
	s_wait_kmcnt 0x0
	v_mul_hi_u32 v4, s13, v2
	s_delay_alu instid0(VALU_DEP_1) | instskip(NEXT) | instid1(VALU_DEP_1)
	v_add_nc_u32_e32 v4, v2, v4
	v_lshrrev_b32_e32 v4, s14, v4
	s_delay_alu instid0(VALU_DEP_1) | instskip(NEXT) | instid1(VALU_DEP_1)
	v_mul_lo_u32 v4, v4, s12
	v_sub_nc_u32_e32 v2, v2, v4
	s_delay_alu instid0(VALU_DEP_1)
	v_mad_u32 v6, v2, s16, v6
	v_mad_u32 v8, v2, s17, v8
	;; [unrolled: 1-line block ×3, first 2 shown]
	s_and_not1_b32 vcc_lo, exec_lo, s4
	s_cbranch_vccz .LBB23_1570
	s_branch .LBB23_1573
.LBB23_1568:
	s_mov_b32 s4, -1
                                        ; implicit-def: $vgpr14
                                        ; implicit-def: $vgpr8
                                        ; implicit-def: $vgpr6
.LBB23_1569:
	s_delay_alu instid0(SALU_CYCLE_1)
	s_and_not1_b32 vcc_lo, exec_lo, s4
	s_cbranch_vccnz .LBB23_1573
.LBB23_1570:
	s_clause 0x1
	s_load_b96 s[4:6], s[2:3], 0x4
	s_load_b96 s[12:14], s[2:3], 0xc4
	s_cmp_lt_u32 s28, 2
	s_wait_kmcnt 0x0
	v_mul_hi_u32 v2, s5, v0
	s_delay_alu instid0(VALU_DEP_1) | instskip(NEXT) | instid1(VALU_DEP_1)
	v_add_nc_u32_e32 v2, v0, v2
	v_lshrrev_b32_e32 v2, s6, v2
	s_wait_loadcnt 0x0
	s_delay_alu instid0(VALU_DEP_1) | instskip(NEXT) | instid1(VALU_DEP_1)
	v_mul_lo_u32 v4, v2, s4
	v_sub_nc_u32_e32 v4, v0, v4
	s_delay_alu instid0(VALU_DEP_1)
	v_mul_lo_u32 v6, v4, s12
	v_mul_lo_u32 v14, v4, s14
	;; [unrolled: 1-line block ×3, first 2 shown]
	s_cbranch_scc1 .LBB23_1573
; %bb.1571:
	s_clause 0x1
	s_load_b96 s[4:6], s[2:3], 0x10
	s_load_b96 s[12:14], s[2:3], 0xd0
	s_wait_kmcnt 0x0
	v_mul_hi_u32 v4, s5, v2
	s_delay_alu instid0(VALU_DEP_1) | instskip(NEXT) | instid1(VALU_DEP_1)
	v_add_nc_u32_e32 v4, v2, v4
	v_lshrrev_b32_e32 v4, s6, v4
	s_delay_alu instid0(VALU_DEP_1) | instskip(NEXT) | instid1(VALU_DEP_1)
	v_mul_lo_u32 v4, v4, s4
	v_sub_nc_u32_e32 v2, v2, v4
	s_delay_alu instid0(VALU_DEP_1)
	v_mad_u32 v6, v2, s12, v6
	v_mad_u32 v8, v2, s13, v8
	;; [unrolled: 1-line block ×3, first 2 shown]
	s_branch .LBB23_1573
.LBB23_1572:
	s_wait_loadcnt 0x0
	v_dual_mov_b32 v14, 0 :: v_dual_mov_b32 v8, 0
	v_mov_b32_e32 v6, 0
	s_and_not1_b32 vcc_lo, exec_lo, s4
	s_cbranch_vccz .LBB23_1570
.LBB23_1573:
	v_cmp_ne_u32_e32 vcc_lo, 1, v3
	v_add_nc_u32_e32 v2, 0x80, v0
	s_cbranch_vccnz .LBB23_1579
; %bb.1574:
	s_cmp_lg_u32 s28, 0
	s_mov_b32 s4, 0
	s_cbranch_scc0 .LBB23_1583
; %bb.1575:
	s_min_u32 s5, s29, 15
	s_wait_loadcnt 0x0
	v_dual_mov_b32 v4, 0 :: v_dual_mov_b32 v5, v2
	v_dual_mov_b32 v12, 0 :: v_dual_mov_b32 v20, 0
	s_add_co_i32 s6, s5, 1
	s_mov_b64 s[0:1], 0xffffffffffffffe8
	s_and_b32 s6, s6, 30
	s_add_nc_u64 s[0:1], s[2:3], s[0:1]
.LBB23_1576:                            ; =>This Inner Loop Header: Depth=1
	s_clause 0x1
	s_load_b128 s[12:15], s[0:1], 0x1c
	s_load_b64 s[10:11], s[0:1], 0x2c
	s_add_co_i32 s6, s6, -2
	s_delay_alu instid0(SALU_CYCLE_1) | instskip(SKIP_2) | instid1(VALU_DEP_1)
	s_cmp_lg_u32 s6, 0
	s_wait_kmcnt 0x0
	v_mul_hi_u32 v7, s13, v5
	v_add_nc_u32_e32 v7, v5, v7
	s_delay_alu instid0(VALU_DEP_1) | instskip(NEXT) | instid1(VALU_DEP_1)
	v_lshrrev_b32_e32 v7, s14, v7
	v_mul_hi_u32 v9, s10, v7
	v_mul_lo_u32 v10, v7, s12
	s_clause 0x1
	s_load_b128 s[16:19], s[0:1], 0xdc
	s_load_b64 s[12:13], s[0:1], 0xec
	s_wait_xcnt 0x0
	s_add_nc_u64 s[0:1], s[0:1], 24
	s_delay_alu instid0(VALU_DEP_1) | instskip(NEXT) | instid1(VALU_DEP_1)
	v_dual_add_nc_u32 v9, v7, v9 :: v_dual_sub_nc_u32 v10, v5, v10
	v_lshrrev_b32_e32 v5, s11, v9
	s_wait_kmcnt 0x0
	s_delay_alu instid0(VALU_DEP_2) | instskip(NEXT) | instid1(VALU_DEP_2)
	v_mad_u32 v4, v10, s16, v4
	v_mul_lo_u32 v9, v5, s15
	v_mad_u32 v11, v10, s18, v20
	v_mad_u32 v10, v10, s17, v12
	s_delay_alu instid0(VALU_DEP_3) | instskip(NEXT) | instid1(VALU_DEP_1)
	v_sub_nc_u32_e32 v7, v7, v9
	v_mad_u32 v4, v7, s19, v4
	s_delay_alu instid0(VALU_DEP_4) | instskip(NEXT) | instid1(VALU_DEP_4)
	v_mad_u32 v20, v7, s13, v11
	v_mad_u32 v12, v7, s12, v10
	s_cbranch_scc1 .LBB23_1576
; %bb.1577:
	s_bitcmp1_b32 s5, 0
	s_cselect_b32 s5, -1, 0
	s_delay_alu instid0(SALU_CYCLE_1)
	s_and_b32 vcc_lo, exec_lo, s5
	s_cbranch_vccnz .LBB23_1580
; %bb.1578:
	s_clause 0x1
	s_load_b96 s[12:14], s[0:1], 0x1c
	s_load_b96 s[16:18], s[0:1], 0xdc
	s_wait_kmcnt 0x0
	v_mul_hi_u32 v7, s13, v5
	s_delay_alu instid0(VALU_DEP_1) | instskip(NEXT) | instid1(VALU_DEP_1)
	v_add_nc_u32_e32 v7, v5, v7
	v_lshrrev_b32_e32 v7, s14, v7
	s_delay_alu instid0(VALU_DEP_1) | instskip(NEXT) | instid1(VALU_DEP_1)
	v_mul_lo_u32 v7, v7, s12
	v_sub_nc_u32_e32 v5, v5, v7
	s_delay_alu instid0(VALU_DEP_1)
	v_mad_u32 v4, v5, s16, v4
	v_mad_u32 v12, v5, s17, v12
	v_mad_u32 v20, v5, s18, v20
	s_and_not1_b32 vcc_lo, exec_lo, s4
	s_cbranch_vccz .LBB23_1581
	s_branch .LBB23_1584
.LBB23_1579:
	s_mov_b32 s4, -1
                                        ; implicit-def: $vgpr20
                                        ; implicit-def: $vgpr12
                                        ; implicit-def: $vgpr4
.LBB23_1580:
	s_delay_alu instid0(SALU_CYCLE_1)
	s_and_not1_b32 vcc_lo, exec_lo, s4
	s_cbranch_vccnz .LBB23_1584
.LBB23_1581:
	s_clause 0x1
	s_load_b96 s[4:6], s[2:3], 0x4
	s_load_b96 s[12:14], s[2:3], 0xc4
	s_cmp_lt_u32 s28, 2
	s_wait_loadcnt 0x0
	s_wait_kmcnt 0x0
	v_mul_hi_u32 v4, s5, v2
	s_delay_alu instid0(VALU_DEP_1) | instskip(NEXT) | instid1(VALU_DEP_1)
	v_add_nc_u32_e32 v4, v2, v4
	v_lshrrev_b32_e32 v5, s6, v4
	s_delay_alu instid0(VALU_DEP_1) | instskip(NEXT) | instid1(VALU_DEP_1)
	v_mul_lo_u32 v4, v5, s4
	v_sub_nc_u32_e32 v2, v2, v4
	s_delay_alu instid0(VALU_DEP_1)
	v_mul_lo_u32 v4, v2, s12
	v_mul_lo_u32 v20, v2, s14
	;; [unrolled: 1-line block ×3, first 2 shown]
	s_cbranch_scc1 .LBB23_1584
; %bb.1582:
	s_clause 0x1
	s_load_b96 s[4:6], s[2:3], 0x10
	s_load_b96 s[12:14], s[2:3], 0xd0
	s_wait_kmcnt 0x0
	v_mul_hi_u32 v2, s5, v5
	s_delay_alu instid0(VALU_DEP_1) | instskip(NEXT) | instid1(VALU_DEP_1)
	v_add_nc_u32_e32 v2, v5, v2
	v_lshrrev_b32_e32 v2, s6, v2
	s_delay_alu instid0(VALU_DEP_1) | instskip(NEXT) | instid1(VALU_DEP_1)
	v_mul_lo_u32 v2, v2, s4
	v_sub_nc_u32_e32 v2, v5, v2
	s_delay_alu instid0(VALU_DEP_1)
	v_mad_u32 v4, v2, s12, v4
	v_mad_u32 v12, v2, s13, v12
	;; [unrolled: 1-line block ×3, first 2 shown]
	s_branch .LBB23_1584
.LBB23_1583:
	v_dual_mov_b32 v20, 0 :: v_dual_mov_b32 v12, 0
	s_wait_loadcnt 0x0
	v_mov_b32_e32 v4, 0
	s_and_not1_b32 vcc_lo, exec_lo, s4
	s_cbranch_vccz .LBB23_1581
.LBB23_1584:
	v_cmp_ne_u32_e32 vcc_lo, 1, v3
	v_add_nc_u32_e32 v0, 0x100, v0
	s_cbranch_vccnz .LBB23_1590
; %bb.1585:
	s_cmp_lg_u32 s28, 0
	s_mov_b32 s4, 0
	s_cbranch_scc0 .LBB23_1594
; %bb.1586:
	s_min_u32 s5, s29, 15
	s_wait_loadcnt 0x0
	v_dual_mov_b32 v2, 0 :: v_dual_mov_b32 v5, v0
	v_dual_mov_b32 v18, 0 :: v_dual_mov_b32 v22, 0
	s_add_co_i32 s6, s5, 1
	s_mov_b64 s[0:1], 0xffffffffffffffe8
	s_and_b32 s6, s6, 30
	s_add_nc_u64 s[0:1], s[2:3], s[0:1]
.LBB23_1587:                            ; =>This Inner Loop Header: Depth=1
	s_clause 0x1
	s_load_b128 s[12:15], s[0:1], 0x1c
	s_load_b64 s[10:11], s[0:1], 0x2c
	s_add_co_i32 s6, s6, -2
	s_delay_alu instid0(SALU_CYCLE_1) | instskip(SKIP_2) | instid1(VALU_DEP_1)
	s_cmp_lg_u32 s6, 0
	s_wait_kmcnt 0x0
	v_mul_hi_u32 v7, s13, v5
	v_add_nc_u32_e32 v7, v5, v7
	s_delay_alu instid0(VALU_DEP_1) | instskip(NEXT) | instid1(VALU_DEP_1)
	v_lshrrev_b32_e32 v7, s14, v7
	v_mul_hi_u32 v9, s10, v7
	v_mul_lo_u32 v10, v7, s12
	s_clause 0x1
	s_load_b128 s[16:19], s[0:1], 0xdc
	s_load_b64 s[12:13], s[0:1], 0xec
	s_wait_xcnt 0x0
	s_add_nc_u64 s[0:1], s[0:1], 24
	s_delay_alu instid0(VALU_DEP_1) | instskip(NEXT) | instid1(VALU_DEP_1)
	v_dual_add_nc_u32 v9, v7, v9 :: v_dual_sub_nc_u32 v10, v5, v10
	v_lshrrev_b32_e32 v5, s11, v9
	s_wait_kmcnt 0x0
	s_delay_alu instid0(VALU_DEP_2) | instskip(NEXT) | instid1(VALU_DEP_2)
	v_mad_u32 v2, v10, s16, v2
	v_mul_lo_u32 v9, v5, s15
	v_mad_u32 v11, v10, s18, v22
	v_mad_u32 v10, v10, s17, v18
	s_delay_alu instid0(VALU_DEP_3) | instskip(NEXT) | instid1(VALU_DEP_1)
	v_sub_nc_u32_e32 v7, v7, v9
	v_mad_u32 v2, v7, s19, v2
	s_delay_alu instid0(VALU_DEP_4) | instskip(NEXT) | instid1(VALU_DEP_4)
	v_mad_u32 v22, v7, s13, v11
	v_mad_u32 v18, v7, s12, v10
	s_cbranch_scc1 .LBB23_1587
; %bb.1588:
	s_bitcmp1_b32 s5, 0
	s_cselect_b32 s5, -1, 0
	s_delay_alu instid0(SALU_CYCLE_1)
	s_and_b32 vcc_lo, exec_lo, s5
	s_cbranch_vccnz .LBB23_1591
; %bb.1589:
	s_clause 0x1
	s_load_b96 s[12:14], s[0:1], 0x1c
	s_load_b96 s[16:18], s[0:1], 0xdc
	s_wait_kmcnt 0x0
	v_mul_hi_u32 v7, s13, v5
	s_delay_alu instid0(VALU_DEP_1) | instskip(NEXT) | instid1(VALU_DEP_1)
	v_add_nc_u32_e32 v7, v5, v7
	v_lshrrev_b32_e32 v7, s14, v7
	s_delay_alu instid0(VALU_DEP_1) | instskip(NEXT) | instid1(VALU_DEP_1)
	v_mul_lo_u32 v7, v7, s12
	v_sub_nc_u32_e32 v5, v5, v7
	s_delay_alu instid0(VALU_DEP_1)
	v_mad_u32 v2, v5, s16, v2
	v_mad_u32 v18, v5, s17, v18
	;; [unrolled: 1-line block ×3, first 2 shown]
	s_and_not1_b32 vcc_lo, exec_lo, s4
	s_cbranch_vccz .LBB23_1592
	s_branch .LBB23_1595
.LBB23_1590:
	s_mov_b32 s4, -1
                                        ; implicit-def: $vgpr22
                                        ; implicit-def: $vgpr18
                                        ; implicit-def: $vgpr2
.LBB23_1591:
	s_delay_alu instid0(SALU_CYCLE_1)
	s_and_not1_b32 vcc_lo, exec_lo, s4
	s_cbranch_vccnz .LBB23_1595
.LBB23_1592:
	s_clause 0x1
	s_load_b96 s[4:6], s[2:3], 0x4
	s_load_b96 s[12:14], s[2:3], 0xc4
	s_cmp_lt_u32 s28, 2
	s_wait_kmcnt 0x0
	v_mul_hi_u32 v2, s5, v0
	s_delay_alu instid0(VALU_DEP_1) | instskip(SKIP_1) | instid1(VALU_DEP_1)
	v_add_nc_u32_e32 v2, v0, v2
	s_wait_loadcnt 0x0
	v_lshrrev_b32_e32 v5, s6, v2
	s_delay_alu instid0(VALU_DEP_1) | instskip(NEXT) | instid1(VALU_DEP_1)
	v_mul_lo_u32 v2, v5, s4
	v_sub_nc_u32_e32 v0, v0, v2
	s_delay_alu instid0(VALU_DEP_1)
	v_mul_lo_u32 v2, v0, s12
	v_mul_lo_u32 v22, v0, s14
	;; [unrolled: 1-line block ×3, first 2 shown]
	s_cbranch_scc1 .LBB23_1595
; %bb.1593:
	s_clause 0x1
	s_load_b96 s[4:6], s[2:3], 0x10
	s_load_b96 s[12:14], s[2:3], 0xd0
	s_wait_kmcnt 0x0
	v_mul_hi_u32 v0, s5, v5
	s_delay_alu instid0(VALU_DEP_1) | instskip(NEXT) | instid1(VALU_DEP_1)
	v_add_nc_u32_e32 v0, v5, v0
	v_lshrrev_b32_e32 v0, s6, v0
	s_delay_alu instid0(VALU_DEP_1) | instskip(NEXT) | instid1(VALU_DEP_1)
	v_mul_lo_u32 v0, v0, s4
	v_sub_nc_u32_e32 v0, v5, v0
	s_delay_alu instid0(VALU_DEP_1)
	v_mad_u32 v2, v0, s12, v2
	v_mad_u32 v18, v0, s13, v18
	v_mad_u32 v22, v0, s14, v22
	s_branch .LBB23_1595
.LBB23_1594:
	v_dual_mov_b32 v22, 0 :: v_dual_mov_b32 v18, 0
	v_mov_b32_e32 v2, 0
	s_and_not1_b32 vcc_lo, exec_lo, s4
	s_cbranch_vccz .LBB23_1592
.LBB23_1595:
	v_cmp_ne_u32_e32 vcc_lo, 1, v3
	s_cbranch_vccnz .LBB23_1601
; %bb.1596:
	s_cmp_lg_u32 s28, 0
	s_mov_b32 s4, 0
	s_cbranch_scc0 .LBB23_1605
; %bb.1597:
	s_min_u32 s5, s29, 15
	v_dual_mov_b32 v0, 0 :: v_dual_mov_b32 v3, v1
	v_dual_mov_b32 v16, 0 :: v_dual_mov_b32 v10, 0
	s_add_co_i32 s6, s5, 1
	s_mov_b64 s[0:1], 0xffffffffffffffe8
	s_and_b32 s6, s6, 30
	s_add_nc_u64 s[0:1], s[2:3], s[0:1]
.LBB23_1598:                            ; =>This Inner Loop Header: Depth=1
	s_clause 0x1
	s_load_b128 s[12:15], s[0:1], 0x1c
	s_load_b64 s[10:11], s[0:1], 0x2c
	s_add_co_i32 s6, s6, -2
	s_delay_alu instid0(SALU_CYCLE_1) | instskip(SKIP_3) | instid1(VALU_DEP_1)
	s_cmp_lg_u32 s6, 0
	s_wait_loadcnt 0x0
	s_wait_kmcnt 0x0
	v_mul_hi_u32 v5, s13, v3
	v_add_nc_u32_e32 v5, v3, v5
	s_delay_alu instid0(VALU_DEP_1) | instskip(NEXT) | instid1(VALU_DEP_1)
	v_lshrrev_b32_e32 v5, s14, v5
	v_mul_hi_u32 v7, s10, v5
	v_mul_lo_u32 v9, v5, s12
	s_clause 0x1
	s_load_b128 s[16:19], s[0:1], 0xdc
	s_load_b64 s[12:13], s[0:1], 0xec
	s_wait_xcnt 0x0
	s_add_nc_u64 s[0:1], s[0:1], 24
	s_delay_alu instid0(VALU_DEP_1) | instskip(NEXT) | instid1(VALU_DEP_1)
	v_dual_add_nc_u32 v7, v5, v7 :: v_dual_sub_nc_u32 v9, v3, v9
	v_lshrrev_b32_e32 v3, s11, v7
	s_wait_kmcnt 0x0
	s_delay_alu instid0(VALU_DEP_2) | instskip(NEXT) | instid1(VALU_DEP_2)
	v_mad_u32 v0, v9, s16, v0
	v_mul_lo_u32 v7, v3, s15
	v_mad_u32 v10, v9, s18, v10
	v_mad_u32 v9, v9, s17, v16
	s_delay_alu instid0(VALU_DEP_3) | instskip(NEXT) | instid1(VALU_DEP_1)
	v_sub_nc_u32_e32 v5, v5, v7
	v_mad_u32 v0, v5, s19, v0
	s_delay_alu instid0(VALU_DEP_4) | instskip(NEXT) | instid1(VALU_DEP_4)
	v_mad_u32 v10, v5, s13, v10
	v_mad_u32 v16, v5, s12, v9
	s_cbranch_scc1 .LBB23_1598
; %bb.1599:
	s_bitcmp1_b32 s5, 0
	s_cselect_b32 s5, -1, 0
	s_delay_alu instid0(SALU_CYCLE_1)
	s_and_b32 vcc_lo, exec_lo, s5
	s_cbranch_vccnz .LBB23_1602
; %bb.1600:
	s_clause 0x1
	s_load_b96 s[12:14], s[0:1], 0x1c
	s_load_b96 s[16:18], s[0:1], 0xdc
	s_wait_kmcnt 0x0
	v_mul_hi_u32 v5, s13, v3
	s_delay_alu instid0(VALU_DEP_1) | instskip(NEXT) | instid1(VALU_DEP_1)
	v_add_nc_u32_e32 v5, v3, v5
	v_lshrrev_b32_e32 v5, s14, v5
	s_delay_alu instid0(VALU_DEP_1) | instskip(NEXT) | instid1(VALU_DEP_1)
	v_mul_lo_u32 v5, v5, s12
	v_sub_nc_u32_e32 v3, v3, v5
	s_delay_alu instid0(VALU_DEP_1)
	v_mad_u32 v0, v3, s16, v0
	v_mad_u32 v16, v3, s17, v16
	;; [unrolled: 1-line block ×3, first 2 shown]
	s_and_not1_b32 vcc_lo, exec_lo, s4
	s_cbranch_vccz .LBB23_1603
	s_branch .LBB23_1606
.LBB23_1601:
	s_mov_b32 s4, -1
                                        ; implicit-def: $vgpr10
                                        ; implicit-def: $vgpr16
                                        ; implicit-def: $vgpr0
.LBB23_1602:
	s_delay_alu instid0(SALU_CYCLE_1)
	s_and_not1_b32 vcc_lo, exec_lo, s4
	s_cbranch_vccnz .LBB23_1606
.LBB23_1603:
	s_clause 0x1
	s_load_b96 s[4:6], s[2:3], 0x4
	s_load_b96 s[12:14], s[2:3], 0xc4
	s_cmp_lt_u32 s28, 2
	s_wait_kmcnt 0x0
	v_mul_hi_u32 v0, s5, v1
	s_delay_alu instid0(VALU_DEP_1) | instskip(NEXT) | instid1(VALU_DEP_1)
	v_add_nc_u32_e32 v0, v1, v0
	v_lshrrev_b32_e32 v3, s6, v0
	s_delay_alu instid0(VALU_DEP_1) | instskip(NEXT) | instid1(VALU_DEP_1)
	v_mul_lo_u32 v0, v3, s4
	v_sub_nc_u32_e32 v1, v1, v0
	s_delay_alu instid0(VALU_DEP_1)
	v_mul_lo_u32 v0, v1, s12
	v_mul_lo_u32 v10, v1, s14
	;; [unrolled: 1-line block ×3, first 2 shown]
	s_cbranch_scc1 .LBB23_1606
; %bb.1604:
	s_clause 0x1
	s_load_b96 s[4:6], s[2:3], 0x10
	s_load_b96 s[12:14], s[2:3], 0xd0
	s_wait_kmcnt 0x0
	v_mul_hi_u32 v1, s5, v3
	s_delay_alu instid0(VALU_DEP_1) | instskip(NEXT) | instid1(VALU_DEP_1)
	v_add_nc_u32_e32 v1, v3, v1
	v_lshrrev_b32_e32 v1, s6, v1
	s_delay_alu instid0(VALU_DEP_1) | instskip(NEXT) | instid1(VALU_DEP_1)
	v_mul_lo_u32 v1, v1, s4
	v_sub_nc_u32_e32 v1, v3, v1
	s_delay_alu instid0(VALU_DEP_1)
	v_mad_u32 v0, v1, s12, v0
	v_mad_u32 v16, v1, s13, v16
	;; [unrolled: 1-line block ×3, first 2 shown]
	s_branch .LBB23_1606
.LBB23_1605:
	v_dual_mov_b32 v10, 0 :: v_dual_mov_b32 v16, 0
	v_mov_b32_e32 v0, 0
	s_and_not1_b32 vcc_lo, exec_lo, s4
	s_cbranch_vccz .LBB23_1603
.LBB23_1606:
	s_wait_loadcnt 0x0
	v_mov_b32_e32 v9, 0
	s_load_b128 s[4:7], s[2:3], 0x188
	global_load_u8 v1, v9, s[2:3] offset:421
	s_wait_kmcnt 0x0
	v_add_nc_u64_e32 v[24:25], s[6:7], v[8:9]
	s_wait_loadcnt 0x0
	v_and_b32_e32 v3, 0xffff, v1
	v_readfirstlane_b32 s11, v1
	s_delay_alu instid0(VALU_DEP_2)
	v_cmp_gt_i32_e32 vcc_lo, 11, v3
	s_cbranch_vccnz .LBB23_1613
; %bb.1607:
	s_and_b32 s0, 0xffff, s11
	s_mov_b32 s12, 0
	s_cmp_gt_i32 s0, 25
	s_cbranch_scc0 .LBB23_1615
; %bb.1608:
	s_cmp_gt_i32 s0, 28
	s_cbranch_scc0 .LBB23_1616
; %bb.1609:
	;; [unrolled: 3-line block ×4, first 2 shown]
	s_cmp_eq_u32 s0, 46
	s_mov_b32 s10, 0
	s_cbranch_scc0 .LBB23_1621
; %bb.1612:
	global_load_b32 v1, v[24:25], off
	s_mov_b32 s1, 0
	s_mov_b32 s13, -1
	s_wait_loadcnt 0x0
	v_lshlrev_b32_e32 v1, 16, v1
	s_delay_alu instid0(VALU_DEP_1)
	v_cvt_i32_f32_e32 v8, v1
	s_branch .LBB23_1623
.LBB23_1613:
	s_mov_b32 s13, 0
	s_mov_b32 s10, s8
                                        ; implicit-def: $vgpr8
	s_cbranch_execnz .LBB23_1681
.LBB23_1614:
	s_and_not1_b32 vcc_lo, exec_lo, s13
	s_cbranch_vccz .LBB23_1726
	s_branch .LBB23_3047
.LBB23_1615:
	s_mov_b32 s13, 0
	s_mov_b32 s1, 0
                                        ; implicit-def: $vgpr8
	s_cbranch_execnz .LBB23_1648
	s_branch .LBB23_1677
.LBB23_1616:
	s_mov_b32 s13, 0
	s_mov_b32 s1, 0
                                        ; implicit-def: $vgpr8
	s_cbranch_execz .LBB23_1647
	s_branch .LBB23_1632
.LBB23_1617:
	s_mov_b32 s13, 0
	s_mov_b32 s1, 0
                                        ; implicit-def: $vgpr8
	s_cbranch_execnz .LBB23_1628
	s_branch .LBB23_1631
.LBB23_1618:
	s_mov_b32 s10, -1
	s_mov_b32 s13, 0
	s_mov_b32 s1, 0
	s_branch .LBB23_1622
.LBB23_1619:
	s_and_not1_saveexec_b32 s10, s10
	s_cbranch_execz .LBB23_1474
.LBB23_1620:
	v_add_f32_e32 v2, 0x46000000, v3
	s_and_not1_b32 s9, s9, exec_lo
	s_delay_alu instid0(VALU_DEP_1) | instskip(NEXT) | instid1(VALU_DEP_1)
	v_and_b32_e32 v2, 0xff, v2
	v_cmp_ne_u32_e32 vcc_lo, 0, v2
	s_and_b32 s11, vcc_lo, exec_lo
	s_delay_alu instid0(SALU_CYCLE_1)
	s_or_b32 s9, s9, s11
	s_or_b32 exec_lo, exec_lo, s10
	v_mov_b32_e32 v4, 0
	s_and_saveexec_b32 s10, s9
	s_cbranch_execnz .LBB23_1475
	s_branch .LBB23_1476
.LBB23_1621:
	s_mov_b32 s1, -1
	s_mov_b32 s13, 0
.LBB23_1622:
                                        ; implicit-def: $vgpr8
.LBB23_1623:
	s_and_b32 vcc_lo, exec_lo, s10
	s_cbranch_vccz .LBB23_1626
; %bb.1624:
	s_cmp_eq_u32 s0, 44
	s_cbranch_scc0 .LBB23_1627
; %bb.1625:
	global_load_u8 v1, v[24:25], off
	s_mov_b32 s1, 0
	s_mov_b32 s13, -1
	s_wait_loadcnt 0x0
	v_lshlrev_b32_e32 v3, 23, v1
	v_cmp_ne_u32_e32 vcc_lo, 0, v1
	s_delay_alu instid0(VALU_DEP_2) | instskip(NEXT) | instid1(VALU_DEP_1)
	v_cvt_i32_f32_e32 v3, v3
	v_cndmask_b32_e32 v8, 0, v3, vcc_lo
.LBB23_1626:
	s_branch .LBB23_1631
.LBB23_1627:
	s_mov_b32 s1, -1
                                        ; implicit-def: $vgpr8
	s_branch .LBB23_1631
.LBB23_1628:
	s_cmp_eq_u32 s0, 29
	s_cbranch_scc0 .LBB23_1630
; %bb.1629:
	global_load_b64 v[8:9], v[24:25], off
	s_mov_b32 s1, 0
	s_mov_b32 s13, -1
	s_branch .LBB23_1631
.LBB23_1630:
	s_mov_b32 s1, -1
                                        ; implicit-def: $vgpr8
.LBB23_1631:
	s_branch .LBB23_1647
.LBB23_1632:
	s_cmp_lt_i32 s0, 27
	s_cbranch_scc1 .LBB23_1635
; %bb.1633:
	s_cmp_gt_i32 s0, 27
	s_cbranch_scc0 .LBB23_1636
; %bb.1634:
	s_wait_loadcnt 0x0
	global_load_b32 v8, v[24:25], off
	s_mov_b32 s10, 0
	s_branch .LBB23_1637
.LBB23_1635:
	s_mov_b32 s10, -1
                                        ; implicit-def: $vgpr8
	s_branch .LBB23_1640
.LBB23_1636:
	s_mov_b32 s10, -1
                                        ; implicit-def: $vgpr8
.LBB23_1637:
	s_delay_alu instid0(SALU_CYCLE_1)
	s_and_not1_b32 vcc_lo, exec_lo, s10
	s_cbranch_vccnz .LBB23_1639
; %bb.1638:
	s_wait_loadcnt 0x0
	global_load_u16 v8, v[24:25], off
.LBB23_1639:
	s_mov_b32 s10, 0
.LBB23_1640:
	s_delay_alu instid0(SALU_CYCLE_1)
	s_and_not1_b32 vcc_lo, exec_lo, s10
	s_cbranch_vccnz .LBB23_1646
; %bb.1641:
	global_load_u8 v1, v[24:25], off
	s_mov_b32 s13, 0
	s_mov_b32 s10, exec_lo
	s_wait_loadcnt 0x0
	v_cmpx_lt_i16_e32 0x7f, v1
	s_xor_b32 s10, exec_lo, s10
	s_cbranch_execz .LBB23_1657
; %bb.1642:
	v_cmp_ne_u16_e32 vcc_lo, 0x80, v1
	s_and_b32 s13, vcc_lo, exec_lo
	s_and_not1_saveexec_b32 s10, s10
	s_cbranch_execnz .LBB23_1658
.LBB23_1643:
	s_or_b32 exec_lo, exec_lo, s10
	v_mov_b32_e32 v8, 0
	s_and_saveexec_b32 s10, s13
	s_cbranch_execz .LBB23_1645
.LBB23_1644:
	v_and_b32_e32 v3, 0xffff, v1
	s_delay_alu instid0(VALU_DEP_1) | instskip(SKIP_1) | instid1(VALU_DEP_2)
	v_dual_lshlrev_b32 v1, 24, v1 :: v_dual_bitop2_b32 v5, 7, v3 bitop3:0x40
	v_bfe_u32 v9, v3, 3, 4
	v_and_b32_e32 v1, 0x80000000, v1
	s_delay_alu instid0(VALU_DEP_3) | instskip(NEXT) | instid1(VALU_DEP_3)
	v_clz_i32_u32_e32 v7, v5
	v_cmp_eq_u32_e32 vcc_lo, 0, v9
	s_delay_alu instid0(VALU_DEP_2) | instskip(NEXT) | instid1(VALU_DEP_1)
	v_min_u32_e32 v7, 32, v7
	v_subrev_nc_u32_e32 v8, 28, v7
	v_sub_nc_u32_e32 v7, 29, v7
	s_delay_alu instid0(VALU_DEP_2) | instskip(NEXT) | instid1(VALU_DEP_2)
	v_lshlrev_b32_e32 v3, v8, v3
	v_cndmask_b32_e32 v7, v9, v7, vcc_lo
	s_delay_alu instid0(VALU_DEP_2) | instskip(NEXT) | instid1(VALU_DEP_1)
	v_and_b32_e32 v3, 7, v3
	v_cndmask_b32_e32 v3, v5, v3, vcc_lo
	s_delay_alu instid0(VALU_DEP_3) | instskip(NEXT) | instid1(VALU_DEP_2)
	v_lshl_add_u32 v5, v7, 23, 0x3b800000
	v_lshlrev_b32_e32 v3, 20, v3
	s_delay_alu instid0(VALU_DEP_1) | instskip(NEXT) | instid1(VALU_DEP_1)
	v_or3_b32 v1, v1, v5, v3
	v_cvt_i32_f32_e32 v8, v1
.LBB23_1645:
	s_or_b32 exec_lo, exec_lo, s10
.LBB23_1646:
	s_mov_b32 s13, -1
.LBB23_1647:
	s_branch .LBB23_1677
.LBB23_1648:
	s_cmp_gt_i32 s0, 22
	s_cbranch_scc0 .LBB23_1656
; %bb.1649:
	s_cmp_lt_i32 s0, 24
	s_cbranch_scc1 .LBB23_1659
; %bb.1650:
	s_cmp_gt_i32 s0, 24
	s_cbranch_scc0 .LBB23_1660
; %bb.1651:
	global_load_u8 v1, v[24:25], off
	s_mov_b32 s10, exec_lo
	s_wait_loadcnt 0x0
	v_cmpx_lt_i16_e32 0x7f, v1
	s_xor_b32 s10, exec_lo, s10
	s_cbranch_execz .LBB23_1671
; %bb.1652:
	v_cmp_ne_u16_e32 vcc_lo, 0x80, v1
	s_and_b32 s12, vcc_lo, exec_lo
	s_and_not1_saveexec_b32 s10, s10
	s_cbranch_execnz .LBB23_1672
.LBB23_1653:
	s_or_b32 exec_lo, exec_lo, s10
	v_mov_b32_e32 v8, 0
	s_and_saveexec_b32 s10, s12
	s_cbranch_execz .LBB23_1655
.LBB23_1654:
	v_and_b32_e32 v3, 0xffff, v1
	s_delay_alu instid0(VALU_DEP_1) | instskip(SKIP_1) | instid1(VALU_DEP_2)
	v_dual_lshlrev_b32 v1, 24, v1 :: v_dual_bitop2_b32 v5, 3, v3 bitop3:0x40
	v_bfe_u32 v9, v3, 2, 5
	v_and_b32_e32 v1, 0x80000000, v1
	s_delay_alu instid0(VALU_DEP_3) | instskip(NEXT) | instid1(VALU_DEP_3)
	v_clz_i32_u32_e32 v7, v5
	v_cmp_eq_u32_e32 vcc_lo, 0, v9
	s_delay_alu instid0(VALU_DEP_2) | instskip(NEXT) | instid1(VALU_DEP_1)
	v_min_u32_e32 v7, 32, v7
	v_subrev_nc_u32_e32 v8, 29, v7
	v_sub_nc_u32_e32 v7, 30, v7
	s_delay_alu instid0(VALU_DEP_2) | instskip(NEXT) | instid1(VALU_DEP_2)
	v_lshlrev_b32_e32 v3, v8, v3
	v_cndmask_b32_e32 v7, v9, v7, vcc_lo
	s_delay_alu instid0(VALU_DEP_2) | instskip(NEXT) | instid1(VALU_DEP_1)
	v_and_b32_e32 v3, 3, v3
	v_cndmask_b32_e32 v3, v5, v3, vcc_lo
	s_delay_alu instid0(VALU_DEP_3) | instskip(NEXT) | instid1(VALU_DEP_2)
	v_lshl_add_u32 v5, v7, 23, 0x37800000
	v_lshlrev_b32_e32 v3, 21, v3
	s_delay_alu instid0(VALU_DEP_1) | instskip(NEXT) | instid1(VALU_DEP_1)
	v_or3_b32 v1, v1, v5, v3
	v_cvt_i32_f32_e32 v8, v1
.LBB23_1655:
	s_or_b32 exec_lo, exec_lo, s10
	s_mov_b32 s10, 0
	s_branch .LBB23_1661
.LBB23_1656:
                                        ; implicit-def: $vgpr8
	s_mov_b32 s12, 0
	s_branch .LBB23_1667
.LBB23_1657:
	s_and_not1_saveexec_b32 s10, s10
	s_cbranch_execz .LBB23_1643
.LBB23_1658:
	v_cmp_ne_u16_e32 vcc_lo, 0, v1
	s_and_not1_b32 s13, s13, exec_lo
	s_and_b32 s14, vcc_lo, exec_lo
	s_delay_alu instid0(SALU_CYCLE_1)
	s_or_b32 s13, s13, s14
	s_or_b32 exec_lo, exec_lo, s10
	v_mov_b32_e32 v8, 0
	s_and_saveexec_b32 s10, s13
	s_cbranch_execnz .LBB23_1644
	s_branch .LBB23_1645
.LBB23_1659:
	s_mov_b32 s10, -1
                                        ; implicit-def: $vgpr8
	s_branch .LBB23_1664
.LBB23_1660:
	s_mov_b32 s10, -1
                                        ; implicit-def: $vgpr8
.LBB23_1661:
	s_delay_alu instid0(SALU_CYCLE_1)
	s_and_b32 vcc_lo, exec_lo, s10
	s_cbranch_vccz .LBB23_1663
; %bb.1662:
	global_load_u8 v1, v[24:25], off
	s_wait_loadcnt 0x0
	v_lshlrev_b32_e32 v1, 24, v1
	s_delay_alu instid0(VALU_DEP_1) | instskip(NEXT) | instid1(VALU_DEP_1)
	v_and_b32_e32 v3, 0x7f000000, v1
	v_clz_i32_u32_e32 v5, v3
	v_cmp_ne_u32_e32 vcc_lo, 0, v3
	v_add_nc_u32_e32 v8, 0x1000000, v3
	s_delay_alu instid0(VALU_DEP_3) | instskip(NEXT) | instid1(VALU_DEP_1)
	v_min_u32_e32 v5, 32, v5
	v_sub_nc_u32_e64 v5, v5, 4 clamp
	s_delay_alu instid0(VALU_DEP_1) | instskip(NEXT) | instid1(VALU_DEP_1)
	v_dual_lshlrev_b32 v7, v5, v3 :: v_dual_lshlrev_b32 v5, 23, v5
	v_lshrrev_b32_e32 v7, 4, v7
	s_delay_alu instid0(VALU_DEP_1) | instskip(NEXT) | instid1(VALU_DEP_1)
	v_dual_sub_nc_u32 v5, v7, v5 :: v_dual_ashrrev_i32 v7, 8, v8
	v_add_nc_u32_e32 v5, 0x3c000000, v5
	s_delay_alu instid0(VALU_DEP_1) | instskip(NEXT) | instid1(VALU_DEP_1)
	v_and_or_b32 v5, 0x7f800000, v7, v5
	v_cndmask_b32_e32 v3, 0, v5, vcc_lo
	s_delay_alu instid0(VALU_DEP_1) | instskip(NEXT) | instid1(VALU_DEP_1)
	v_and_or_b32 v1, 0x80000000, v1, v3
	v_cvt_i32_f32_e32 v8, v1
.LBB23_1663:
	s_mov_b32 s10, 0
.LBB23_1664:
	s_delay_alu instid0(SALU_CYCLE_1)
	s_and_not1_b32 vcc_lo, exec_lo, s10
	s_cbranch_vccnz .LBB23_1666
; %bb.1665:
	global_load_u8 v1, v[24:25], off
	s_wait_loadcnt 0x0
	v_lshlrev_b32_e32 v3, 25, v1
	v_lshlrev_b16 v1, 8, v1
	s_delay_alu instid0(VALU_DEP_1) | instskip(SKIP_1) | instid1(VALU_DEP_2)
	v_and_or_b32 v7, 0x7f00, v1, 0.5
	v_bfe_i32 v1, v1, 0, 16
	v_add_f32_e32 v7, -0.5, v7
	v_lshrrev_b32_e32 v5, 4, v3
	v_cmp_gt_u32_e32 vcc_lo, 0x8000000, v3
	s_delay_alu instid0(VALU_DEP_2) | instskip(NEXT) | instid1(VALU_DEP_1)
	v_or_b32_e32 v5, 0x70000000, v5
	v_mul_f32_e32 v5, 0x7800000, v5
	s_delay_alu instid0(VALU_DEP_1) | instskip(NEXT) | instid1(VALU_DEP_1)
	v_cndmask_b32_e32 v3, v5, v7, vcc_lo
	v_and_or_b32 v1, 0x80000000, v1, v3
	s_delay_alu instid0(VALU_DEP_1)
	v_cvt_i32_f32_e32 v8, v1
.LBB23_1666:
	s_mov_b32 s13, -1
	s_mov_b32 s12, 0
	s_cbranch_execnz .LBB23_1677
.LBB23_1667:
	s_cmp_gt_i32 s0, 14
	s_cbranch_scc0 .LBB23_1670
; %bb.1668:
	s_cmp_eq_u32 s0, 15
	s_cbranch_scc0 .LBB23_1673
; %bb.1669:
	global_load_u16 v1, v[24:25], off
	s_mov_b32 s1, 0
	s_mov_b32 s13, -1
	s_wait_loadcnt 0x0
	v_lshlrev_b32_e32 v1, 16, v1
	s_delay_alu instid0(VALU_DEP_1)
	v_cvt_i32_f32_e32 v8, v1
	s_branch .LBB23_1674
.LBB23_1670:
	s_mov_b32 s10, -1
                                        ; implicit-def: $vgpr8
	s_branch .LBB23_1675
.LBB23_1671:
	s_and_not1_saveexec_b32 s10, s10
	s_cbranch_execz .LBB23_1653
.LBB23_1672:
	v_cmp_ne_u16_e32 vcc_lo, 0, v1
	s_and_not1_b32 s12, s12, exec_lo
	s_and_b32 s13, vcc_lo, exec_lo
	s_delay_alu instid0(SALU_CYCLE_1)
	s_or_b32 s12, s12, s13
	s_or_b32 exec_lo, exec_lo, s10
	v_mov_b32_e32 v8, 0
	s_and_saveexec_b32 s10, s12
	s_cbranch_execnz .LBB23_1654
	s_branch .LBB23_1655
.LBB23_1673:
	s_mov_b32 s1, -1
                                        ; implicit-def: $vgpr8
.LBB23_1674:
	s_mov_b32 s10, 0
.LBB23_1675:
	s_delay_alu instid0(SALU_CYCLE_1)
	s_and_b32 vcc_lo, exec_lo, s10
	s_cbranch_vccz .LBB23_1677
; %bb.1676:
	s_cmp_lg_u32 s0, 11
	s_mov_b32 s12, -1
	s_cselect_b32 s1, -1, 0
.LBB23_1677:
	s_delay_alu instid0(SALU_CYCLE_1)
	s_and_b32 vcc_lo, exec_lo, s1
	s_mov_b32 s10, s8
	s_cbranch_vccnz .LBB23_1738
; %bb.1678:
	s_and_not1_b32 vcc_lo, exec_lo, s12
	s_cbranch_vccnz .LBB23_1680
.LBB23_1679:
	global_load_u8 v1, v[24:25], off
	s_mov_b32 s13, -1
	s_wait_loadcnt 0x0
	v_cmp_ne_u16_e32 vcc_lo, 0, v1
	v_cndmask_b32_e64 v8, 0, 1, vcc_lo
.LBB23_1680:
	s_branch .LBB23_1614
.LBB23_1681:
	s_and_b32 s0, 0xffff, s11
	s_delay_alu instid0(SALU_CYCLE_1)
	s_cmp_lt_i32 s0, 5
	s_cbranch_scc1 .LBB23_1686
; %bb.1682:
	s_cmp_lt_i32 s0, 8
	s_cbranch_scc1 .LBB23_1687
; %bb.1683:
	;; [unrolled: 3-line block ×3, first 2 shown]
	s_cmp_gt_i32 s0, 9
	s_cbranch_scc0 .LBB23_1689
; %bb.1685:
	s_wait_loadcnt 0x0
	global_load_b64 v[8:9], v[24:25], off
	s_mov_b32 s1, 0
	s_wait_loadcnt 0x0
	v_cvt_i32_f64_e32 v8, v[8:9]
	s_branch .LBB23_1690
.LBB23_1686:
                                        ; implicit-def: $vgpr8
	s_branch .LBB23_1707
.LBB23_1687:
                                        ; implicit-def: $vgpr8
	s_branch .LBB23_1696
.LBB23_1688:
	s_mov_b32 s1, -1
                                        ; implicit-def: $vgpr8
	s_branch .LBB23_1693
.LBB23_1689:
	s_mov_b32 s1, -1
                                        ; implicit-def: $vgpr8
.LBB23_1690:
	s_delay_alu instid0(SALU_CYCLE_1)
	s_and_not1_b32 vcc_lo, exec_lo, s1
	s_cbranch_vccnz .LBB23_1692
; %bb.1691:
	global_load_b32 v1, v[24:25], off
	s_wait_loadcnt 0x0
	v_cvt_i32_f32_e32 v8, v1
.LBB23_1692:
	s_mov_b32 s1, 0
.LBB23_1693:
	s_delay_alu instid0(SALU_CYCLE_1)
	s_and_not1_b32 vcc_lo, exec_lo, s1
	s_cbranch_vccnz .LBB23_1695
; %bb.1694:
	global_load_b32 v1, v[24:25], off
	s_wait_loadcnt 0x0
	v_cvt_i16_f16_e32 v8, v1
.LBB23_1695:
	s_cbranch_execnz .LBB23_1706
.LBB23_1696:
	s_cmp_lt_i32 s0, 6
	s_cbranch_scc1 .LBB23_1699
; %bb.1697:
	s_cmp_gt_i32 s0, 6
	s_cbranch_scc0 .LBB23_1700
; %bb.1698:
	s_wait_loadcnt 0x0
	global_load_b64 v[8:9], v[24:25], off
	s_mov_b32 s1, 0
	s_wait_loadcnt 0x0
	v_cvt_i32_f64_e32 v8, v[8:9]
	s_branch .LBB23_1701
.LBB23_1699:
	s_mov_b32 s1, -1
                                        ; implicit-def: $vgpr8
	s_branch .LBB23_1704
.LBB23_1700:
	s_mov_b32 s1, -1
                                        ; implicit-def: $vgpr8
.LBB23_1701:
	s_delay_alu instid0(SALU_CYCLE_1)
	s_and_not1_b32 vcc_lo, exec_lo, s1
	s_cbranch_vccnz .LBB23_1703
; %bb.1702:
	global_load_b32 v1, v[24:25], off
	s_wait_loadcnt 0x0
	v_cvt_i32_f32_e32 v8, v1
.LBB23_1703:
	s_mov_b32 s1, 0
.LBB23_1704:
	s_delay_alu instid0(SALU_CYCLE_1)
	s_and_not1_b32 vcc_lo, exec_lo, s1
	s_cbranch_vccnz .LBB23_1706
; %bb.1705:
	global_load_u16 v1, v[24:25], off
	s_wait_loadcnt 0x0
	v_cvt_i16_f16_e32 v8, v1
.LBB23_1706:
	s_cbranch_execnz .LBB23_1725
.LBB23_1707:
	s_cmp_lt_i32 s0, 2
	s_cbranch_scc1 .LBB23_1711
; %bb.1708:
	s_cmp_lt_i32 s0, 3
	s_cbranch_scc1 .LBB23_1712
; %bb.1709:
	s_cmp_gt_i32 s0, 3
	s_cbranch_scc0 .LBB23_1713
; %bb.1710:
	s_wait_loadcnt 0x0
	global_load_b64 v[8:9], v[24:25], off
	s_mov_b32 s1, 0
	s_branch .LBB23_1714
.LBB23_1711:
                                        ; implicit-def: $vgpr8
	s_branch .LBB23_1720
.LBB23_1712:
	s_mov_b32 s1, -1
                                        ; implicit-def: $vgpr8
	s_branch .LBB23_1717
.LBB23_1713:
	s_mov_b32 s1, -1
                                        ; implicit-def: $vgpr8
.LBB23_1714:
	s_delay_alu instid0(SALU_CYCLE_1)
	s_and_not1_b32 vcc_lo, exec_lo, s1
	s_cbranch_vccnz .LBB23_1716
; %bb.1715:
	s_wait_loadcnt 0x0
	global_load_b32 v8, v[24:25], off
.LBB23_1716:
	s_mov_b32 s1, 0
.LBB23_1717:
	s_delay_alu instid0(SALU_CYCLE_1)
	s_and_not1_b32 vcc_lo, exec_lo, s1
	s_cbranch_vccnz .LBB23_1719
; %bb.1718:
	s_wait_loadcnt 0x0
	global_load_u16 v8, v[24:25], off
.LBB23_1719:
	s_cbranch_execnz .LBB23_1725
.LBB23_1720:
	s_cmp_gt_i32 s0, 0
	s_mov_b32 s0, 0
	s_cbranch_scc0 .LBB23_1722
; %bb.1721:
	s_wait_loadcnt 0x0
	global_load_u8 v8, v[24:25], off
	s_branch .LBB23_1723
.LBB23_1722:
	s_mov_b32 s0, -1
                                        ; implicit-def: $vgpr8
.LBB23_1723:
	s_delay_alu instid0(SALU_CYCLE_1)
	s_and_not1_b32 vcc_lo, exec_lo, s0
	s_cbranch_vccnz .LBB23_1725
; %bb.1724:
	s_wait_loadcnt 0x0
	global_load_u8 v8, v[24:25], off
.LBB23_1725:
.LBB23_1726:
	v_mov_b32_e32 v15, 0
	s_load_b64 s[0:1], s[2:3], 0x198
	global_load_u8 v1, v15, s[2:3] offset:422
	s_wait_kmcnt 0x0
	v_add_nc_u64_e32 v[24:25], s[0:1], v[14:15]
	s_wait_loadcnt 0x0
	v_and_b32_e32 v3, 0xffff, v1
	v_readfirstlane_b32 s12, v1
	s_delay_alu instid0(VALU_DEP_2)
	v_cmp_gt_i32_e32 vcc_lo, 11, v3
	s_cbranch_vccnz .LBB23_1733
; %bb.1727:
	s_and_b32 s13, 0xffff, s12
	s_mov_b32 s15, 0
	s_cmp_gt_i32 s13, 25
	s_cbranch_scc0 .LBB23_1735
; %bb.1728:
	s_cmp_gt_i32 s13, 28
	s_cbranch_scc0 .LBB23_1736
; %bb.1729:
	;; [unrolled: 3-line block ×4, first 2 shown]
	s_cmp_eq_u32 s13, 46
	s_mov_b32 s17, 0
	s_cbranch_scc0 .LBB23_1742
; %bb.1732:
	global_load_b32 v1, v[24:25], off
	s_mov_b32 s14, 0
	s_mov_b32 s16, -1
	s_wait_loadcnt 0x0
	v_lshlrev_b32_e32 v1, 16, v1
	s_delay_alu instid0(VALU_DEP_1)
	v_cvt_i32_f32_e32 v14, v1
	s_branch .LBB23_1744
.LBB23_1733:
	s_mov_b32 s16, 0
                                        ; implicit-def: $vgpr14
	s_cbranch_execnz .LBB23_1805
.LBB23_1734:
	s_and_not1_b32 vcc_lo, exec_lo, s16
	s_cbranch_vccnz .LBB23_3047
	s_branch .LBB23_1852
.LBB23_1735:
	s_mov_b32 s16, 0
	s_mov_b32 s14, 0
                                        ; implicit-def: $vgpr14
	s_cbranch_execnz .LBB23_1771
	s_branch .LBB23_1801
.LBB23_1736:
	s_mov_b32 s17, -1
	s_mov_b32 s16, 0
	s_mov_b32 s14, 0
                                        ; implicit-def: $vgpr14
	s_branch .LBB23_1754
.LBB23_1737:
	s_mov_b32 s17, -1
	s_mov_b32 s16, 0
	s_mov_b32 s14, 0
                                        ; implicit-def: $vgpr14
	s_branch .LBB23_1749
.LBB23_1738:
	s_or_b32 s10, s8, exec_lo
	s_trap 2
	s_cbranch_execz .LBB23_1679
	s_branch .LBB23_1680
.LBB23_1739:
	s_mov_b32 s17, -1
	s_mov_b32 s16, 0
	s_mov_b32 s14, 0
	s_branch .LBB23_1743
.LBB23_1740:
	s_and_not1_saveexec_b32 s11, s11
	s_cbranch_execz .LBB23_1486
.LBB23_1741:
	v_add_f32_e32 v2, 0x42800000, v3
	s_and_not1_b32 s10, s10, exec_lo
	s_delay_alu instid0(VALU_DEP_1) | instskip(NEXT) | instid1(VALU_DEP_1)
	v_and_b32_e32 v2, 0xff, v2
	v_cmp_ne_u32_e32 vcc_lo, 0, v2
	s_and_b32 s12, vcc_lo, exec_lo
	s_delay_alu instid0(SALU_CYCLE_1)
	s_or_b32 s10, s10, s12
	s_or_b32 exec_lo, exec_lo, s11
	v_mov_b32_e32 v4, 0
	s_and_saveexec_b32 s11, s10
	s_cbranch_execnz .LBB23_1487
	s_branch .LBB23_1488
.LBB23_1742:
	s_mov_b32 s14, -1
	s_mov_b32 s16, 0
.LBB23_1743:
                                        ; implicit-def: $vgpr14
.LBB23_1744:
	s_and_b32 vcc_lo, exec_lo, s17
	s_cbranch_vccz .LBB23_1748
; %bb.1745:
	s_cmp_eq_u32 s13, 44
	s_cbranch_scc0 .LBB23_1747
; %bb.1746:
	global_load_u8 v1, v[24:25], off
	s_mov_b32 s14, 0
	s_mov_b32 s16, -1
	s_wait_loadcnt 0x0
	v_lshlrev_b32_e32 v3, 23, v1
	v_cmp_ne_u32_e32 vcc_lo, 0, v1
	s_delay_alu instid0(VALU_DEP_2) | instskip(NEXT) | instid1(VALU_DEP_1)
	v_cvt_i32_f32_e32 v3, v3
	v_cndmask_b32_e32 v14, 0, v3, vcc_lo
	s_branch .LBB23_1748
.LBB23_1747:
	s_mov_b32 s14, -1
                                        ; implicit-def: $vgpr14
.LBB23_1748:
	s_mov_b32 s17, 0
.LBB23_1749:
	s_delay_alu instid0(SALU_CYCLE_1)
	s_and_b32 vcc_lo, exec_lo, s17
	s_cbranch_vccz .LBB23_1753
; %bb.1750:
	s_cmp_eq_u32 s13, 29
	s_cbranch_scc0 .LBB23_1752
; %bb.1751:
	global_load_b64 v[14:15], v[24:25], off
	s_mov_b32 s14, 0
	s_mov_b32 s16, -1
	s_branch .LBB23_1753
.LBB23_1752:
	s_mov_b32 s14, -1
                                        ; implicit-def: $vgpr14
.LBB23_1753:
	s_mov_b32 s17, 0
.LBB23_1754:
	s_delay_alu instid0(SALU_CYCLE_1)
	s_and_b32 vcc_lo, exec_lo, s17
	s_cbranch_vccz .LBB23_1770
; %bb.1755:
	s_cmp_lt_i32 s13, 27
	s_cbranch_scc1 .LBB23_1758
; %bb.1756:
	s_cmp_gt_i32 s13, 27
	s_cbranch_scc0 .LBB23_1759
; %bb.1757:
	s_wait_loadcnt 0x0
	global_load_b32 v14, v[24:25], off
	s_mov_b32 s16, 0
	s_branch .LBB23_1760
.LBB23_1758:
	s_mov_b32 s16, -1
                                        ; implicit-def: $vgpr14
	s_branch .LBB23_1763
.LBB23_1759:
	s_mov_b32 s16, -1
                                        ; implicit-def: $vgpr14
.LBB23_1760:
	s_delay_alu instid0(SALU_CYCLE_1)
	s_and_not1_b32 vcc_lo, exec_lo, s16
	s_cbranch_vccnz .LBB23_1762
; %bb.1761:
	s_wait_loadcnt 0x0
	global_load_u16 v14, v[24:25], off
.LBB23_1762:
	s_mov_b32 s16, 0
.LBB23_1763:
	s_delay_alu instid0(SALU_CYCLE_1)
	s_and_not1_b32 vcc_lo, exec_lo, s16
	s_cbranch_vccnz .LBB23_1769
; %bb.1764:
	global_load_u8 v1, v[24:25], off
	s_mov_b32 s17, 0
	s_mov_b32 s16, exec_lo
	s_wait_loadcnt 0x0
	v_cmpx_lt_i16_e32 0x7f, v1
	s_xor_b32 s16, exec_lo, s16
	s_cbranch_execz .LBB23_1780
; %bb.1765:
	v_cmp_ne_u16_e32 vcc_lo, 0x80, v1
	s_and_b32 s17, vcc_lo, exec_lo
	s_and_not1_saveexec_b32 s16, s16
	s_cbranch_execnz .LBB23_1781
.LBB23_1766:
	s_or_b32 exec_lo, exec_lo, s16
	v_mov_b32_e32 v14, 0
	s_and_saveexec_b32 s16, s17
	s_cbranch_execz .LBB23_1768
.LBB23_1767:
	v_and_b32_e32 v3, 0xffff, v1
	s_delay_alu instid0(VALU_DEP_1) | instskip(SKIP_1) | instid1(VALU_DEP_2)
	v_dual_lshlrev_b32 v1, 24, v1 :: v_dual_bitop2_b32 v5, 7, v3 bitop3:0x40
	v_bfe_u32 v11, v3, 3, 4
	v_and_b32_e32 v1, 0x80000000, v1
	s_delay_alu instid0(VALU_DEP_3) | instskip(NEXT) | instid1(VALU_DEP_3)
	v_clz_i32_u32_e32 v7, v5
	v_cmp_eq_u32_e32 vcc_lo, 0, v11
	s_delay_alu instid0(VALU_DEP_2) | instskip(NEXT) | instid1(VALU_DEP_1)
	v_min_u32_e32 v7, 32, v7
	v_subrev_nc_u32_e32 v9, 28, v7
	v_sub_nc_u32_e32 v7, 29, v7
	s_delay_alu instid0(VALU_DEP_2) | instskip(NEXT) | instid1(VALU_DEP_2)
	v_lshlrev_b32_e32 v3, v9, v3
	v_cndmask_b32_e32 v7, v11, v7, vcc_lo
	s_delay_alu instid0(VALU_DEP_2) | instskip(NEXT) | instid1(VALU_DEP_1)
	v_and_b32_e32 v3, 7, v3
	v_cndmask_b32_e32 v3, v5, v3, vcc_lo
	s_delay_alu instid0(VALU_DEP_3) | instskip(NEXT) | instid1(VALU_DEP_2)
	v_lshl_add_u32 v5, v7, 23, 0x3b800000
	v_lshlrev_b32_e32 v3, 20, v3
	s_delay_alu instid0(VALU_DEP_1) | instskip(NEXT) | instid1(VALU_DEP_1)
	v_or3_b32 v1, v1, v5, v3
	v_cvt_i32_f32_e32 v14, v1
.LBB23_1768:
	s_or_b32 exec_lo, exec_lo, s16
.LBB23_1769:
	s_mov_b32 s16, -1
.LBB23_1770:
	s_branch .LBB23_1801
.LBB23_1771:
	s_cmp_gt_i32 s13, 22
	s_cbranch_scc0 .LBB23_1779
; %bb.1772:
	s_cmp_lt_i32 s13, 24
	s_cbranch_scc1 .LBB23_1782
; %bb.1773:
	s_cmp_gt_i32 s13, 24
	s_cbranch_scc0 .LBB23_1783
; %bb.1774:
	global_load_u8 v1, v[24:25], off
	s_mov_b32 s16, 0
	s_mov_b32 s15, exec_lo
	s_wait_loadcnt 0x0
	v_cmpx_lt_i16_e32 0x7f, v1
	s_xor_b32 s15, exec_lo, s15
	s_cbranch_execz .LBB23_1795
; %bb.1775:
	v_cmp_ne_u16_e32 vcc_lo, 0x80, v1
	s_and_b32 s16, vcc_lo, exec_lo
	s_and_not1_saveexec_b32 s15, s15
	s_cbranch_execnz .LBB23_1796
.LBB23_1776:
	s_or_b32 exec_lo, exec_lo, s15
	v_mov_b32_e32 v14, 0
	s_and_saveexec_b32 s15, s16
	s_cbranch_execz .LBB23_1778
.LBB23_1777:
	v_and_b32_e32 v3, 0xffff, v1
	s_delay_alu instid0(VALU_DEP_1) | instskip(SKIP_1) | instid1(VALU_DEP_2)
	v_dual_lshlrev_b32 v1, 24, v1 :: v_dual_bitop2_b32 v5, 3, v3 bitop3:0x40
	v_bfe_u32 v11, v3, 2, 5
	v_and_b32_e32 v1, 0x80000000, v1
	s_delay_alu instid0(VALU_DEP_3) | instskip(NEXT) | instid1(VALU_DEP_3)
	v_clz_i32_u32_e32 v7, v5
	v_cmp_eq_u32_e32 vcc_lo, 0, v11
	s_delay_alu instid0(VALU_DEP_2) | instskip(NEXT) | instid1(VALU_DEP_1)
	v_min_u32_e32 v7, 32, v7
	v_subrev_nc_u32_e32 v9, 29, v7
	v_sub_nc_u32_e32 v7, 30, v7
	s_delay_alu instid0(VALU_DEP_2) | instskip(NEXT) | instid1(VALU_DEP_2)
	v_lshlrev_b32_e32 v3, v9, v3
	v_cndmask_b32_e32 v7, v11, v7, vcc_lo
	s_delay_alu instid0(VALU_DEP_2) | instskip(NEXT) | instid1(VALU_DEP_1)
	v_and_b32_e32 v3, 3, v3
	v_cndmask_b32_e32 v3, v5, v3, vcc_lo
	s_delay_alu instid0(VALU_DEP_3) | instskip(NEXT) | instid1(VALU_DEP_2)
	v_lshl_add_u32 v5, v7, 23, 0x37800000
	v_lshlrev_b32_e32 v3, 21, v3
	s_delay_alu instid0(VALU_DEP_1) | instskip(NEXT) | instid1(VALU_DEP_1)
	v_or3_b32 v1, v1, v5, v3
	v_cvt_i32_f32_e32 v14, v1
.LBB23_1778:
	s_or_b32 exec_lo, exec_lo, s15
	s_mov_b32 s15, 0
	s_branch .LBB23_1784
.LBB23_1779:
	s_mov_b32 s15, -1
                                        ; implicit-def: $vgpr14
	s_branch .LBB23_1790
.LBB23_1780:
	s_and_not1_saveexec_b32 s16, s16
	s_cbranch_execz .LBB23_1766
.LBB23_1781:
	v_cmp_ne_u16_e32 vcc_lo, 0, v1
	s_and_not1_b32 s17, s17, exec_lo
	s_and_b32 s18, vcc_lo, exec_lo
	s_delay_alu instid0(SALU_CYCLE_1)
	s_or_b32 s17, s17, s18
	s_or_b32 exec_lo, exec_lo, s16
	v_mov_b32_e32 v14, 0
	s_and_saveexec_b32 s16, s17
	s_cbranch_execnz .LBB23_1767
	s_branch .LBB23_1768
.LBB23_1782:
	s_mov_b32 s15, -1
                                        ; implicit-def: $vgpr14
	s_branch .LBB23_1787
.LBB23_1783:
	s_mov_b32 s15, -1
                                        ; implicit-def: $vgpr14
.LBB23_1784:
	s_delay_alu instid0(SALU_CYCLE_1)
	s_and_b32 vcc_lo, exec_lo, s15
	s_cbranch_vccz .LBB23_1786
; %bb.1785:
	global_load_u8 v1, v[24:25], off
	s_wait_loadcnt 0x0
	v_lshlrev_b32_e32 v1, 24, v1
	s_delay_alu instid0(VALU_DEP_1) | instskip(NEXT) | instid1(VALU_DEP_1)
	v_and_b32_e32 v3, 0x7f000000, v1
	v_clz_i32_u32_e32 v5, v3
	v_add_nc_u32_e32 v9, 0x1000000, v3
	v_cmp_ne_u32_e32 vcc_lo, 0, v3
	s_delay_alu instid0(VALU_DEP_3) | instskip(NEXT) | instid1(VALU_DEP_1)
	v_min_u32_e32 v5, 32, v5
	v_sub_nc_u32_e64 v5, v5, 4 clamp
	s_delay_alu instid0(VALU_DEP_1) | instskip(NEXT) | instid1(VALU_DEP_1)
	v_dual_lshlrev_b32 v7, v5, v3 :: v_dual_lshlrev_b32 v5, 23, v5
	v_lshrrev_b32_e32 v7, 4, v7
	s_delay_alu instid0(VALU_DEP_1) | instskip(SKIP_1) | instid1(VALU_DEP_2)
	v_sub_nc_u32_e32 v5, v7, v5
	v_ashrrev_i32_e32 v7, 8, v9
	v_add_nc_u32_e32 v5, 0x3c000000, v5
	s_delay_alu instid0(VALU_DEP_1) | instskip(NEXT) | instid1(VALU_DEP_1)
	v_and_or_b32 v5, 0x7f800000, v7, v5
	v_cndmask_b32_e32 v3, 0, v5, vcc_lo
	s_delay_alu instid0(VALU_DEP_1) | instskip(NEXT) | instid1(VALU_DEP_1)
	v_and_or_b32 v1, 0x80000000, v1, v3
	v_cvt_i32_f32_e32 v14, v1
.LBB23_1786:
	s_mov_b32 s15, 0
.LBB23_1787:
	s_delay_alu instid0(SALU_CYCLE_1)
	s_and_not1_b32 vcc_lo, exec_lo, s15
	s_cbranch_vccnz .LBB23_1789
; %bb.1788:
	global_load_u8 v1, v[24:25], off
	s_wait_loadcnt 0x0
	v_lshlrev_b32_e32 v3, 25, v1
	v_lshlrev_b16 v1, 8, v1
	s_delay_alu instid0(VALU_DEP_1) | instskip(SKIP_1) | instid1(VALU_DEP_2)
	v_and_or_b32 v7, 0x7f00, v1, 0.5
	v_bfe_i32 v1, v1, 0, 16
	v_add_f32_e32 v7, -0.5, v7
	v_lshrrev_b32_e32 v5, 4, v3
	v_cmp_gt_u32_e32 vcc_lo, 0x8000000, v3
	s_delay_alu instid0(VALU_DEP_2) | instskip(NEXT) | instid1(VALU_DEP_1)
	v_or_b32_e32 v5, 0x70000000, v5
	v_mul_f32_e32 v5, 0x7800000, v5
	s_delay_alu instid0(VALU_DEP_1) | instskip(NEXT) | instid1(VALU_DEP_1)
	v_cndmask_b32_e32 v3, v5, v7, vcc_lo
	v_and_or_b32 v1, 0x80000000, v1, v3
	s_delay_alu instid0(VALU_DEP_1)
	v_cvt_i32_f32_e32 v14, v1
.LBB23_1789:
	s_mov_b32 s15, 0
	s_mov_b32 s16, -1
.LBB23_1790:
	s_and_not1_b32 vcc_lo, exec_lo, s15
	s_mov_b32 s15, 0
	s_cbranch_vccnz .LBB23_1801
; %bb.1791:
	s_cmp_gt_i32 s13, 14
	s_cbranch_scc0 .LBB23_1794
; %bb.1792:
	s_cmp_eq_u32 s13, 15
	s_cbranch_scc0 .LBB23_1797
; %bb.1793:
	global_load_u16 v1, v[24:25], off
	s_mov_b32 s14, 0
	s_mov_b32 s16, -1
	s_wait_loadcnt 0x0
	v_lshlrev_b32_e32 v1, 16, v1
	s_delay_alu instid0(VALU_DEP_1)
	v_cvt_i32_f32_e32 v14, v1
	s_branch .LBB23_1799
.LBB23_1794:
	s_mov_b32 s15, -1
	s_branch .LBB23_1798
.LBB23_1795:
	s_and_not1_saveexec_b32 s15, s15
	s_cbranch_execz .LBB23_1776
.LBB23_1796:
	v_cmp_ne_u16_e32 vcc_lo, 0, v1
	s_and_not1_b32 s16, s16, exec_lo
	s_and_b32 s17, vcc_lo, exec_lo
	s_delay_alu instid0(SALU_CYCLE_1)
	s_or_b32 s16, s16, s17
	s_or_b32 exec_lo, exec_lo, s15
	v_mov_b32_e32 v14, 0
	s_and_saveexec_b32 s15, s16
	s_cbranch_execnz .LBB23_1777
	s_branch .LBB23_1778
.LBB23_1797:
	s_mov_b32 s14, -1
.LBB23_1798:
                                        ; implicit-def: $vgpr14
.LBB23_1799:
	s_and_b32 vcc_lo, exec_lo, s15
	s_mov_b32 s15, 0
	s_cbranch_vccz .LBB23_1801
; %bb.1800:
	s_cmp_lg_u32 s13, 11
	s_mov_b32 s15, -1
	s_cselect_b32 s14, -1, 0
.LBB23_1801:
	s_delay_alu instid0(SALU_CYCLE_1)
	s_and_b32 vcc_lo, exec_lo, s14
	s_cbranch_vccnz .LBB23_1864
; %bb.1802:
	s_and_not1_b32 vcc_lo, exec_lo, s15
	s_cbranch_vccnz .LBB23_1804
.LBB23_1803:
	global_load_u8 v1, v[24:25], off
	s_mov_b32 s16, -1
	s_wait_loadcnt 0x0
	v_cmp_ne_u16_e32 vcc_lo, 0, v1
	v_cndmask_b32_e64 v14, 0, 1, vcc_lo
.LBB23_1804:
	s_branch .LBB23_1734
.LBB23_1805:
	s_and_b32 s13, 0xffff, s12
	s_delay_alu instid0(SALU_CYCLE_1)
	s_cmp_lt_i32 s13, 5
	s_cbranch_scc1 .LBB23_1810
; %bb.1806:
	s_cmp_lt_i32 s13, 8
	s_cbranch_scc1 .LBB23_1811
; %bb.1807:
	s_cmp_lt_i32 s13, 9
	s_cbranch_scc1 .LBB23_1812
; %bb.1808:
	s_cmp_gt_i32 s13, 9
	s_cbranch_scc0 .LBB23_1813
; %bb.1809:
	s_wait_loadcnt 0x0
	global_load_b64 v[14:15], v[24:25], off
	s_mov_b32 s14, 0
	s_wait_loadcnt 0x0
	v_cvt_i32_f64_e32 v14, v[14:15]
	s_branch .LBB23_1814
.LBB23_1810:
                                        ; implicit-def: $vgpr14
	s_branch .LBB23_1832
.LBB23_1811:
	s_mov_b32 s14, -1
                                        ; implicit-def: $vgpr14
	s_branch .LBB23_1820
.LBB23_1812:
	s_mov_b32 s14, -1
                                        ; implicit-def: $vgpr14
	s_branch .LBB23_1817
.LBB23_1813:
	s_mov_b32 s14, -1
                                        ; implicit-def: $vgpr14
.LBB23_1814:
	s_delay_alu instid0(SALU_CYCLE_1)
	s_and_not1_b32 vcc_lo, exec_lo, s14
	s_cbranch_vccnz .LBB23_1816
; %bb.1815:
	global_load_b32 v1, v[24:25], off
	s_wait_loadcnt 0x0
	v_cvt_i32_f32_e32 v14, v1
.LBB23_1816:
	s_mov_b32 s14, 0
.LBB23_1817:
	s_delay_alu instid0(SALU_CYCLE_1)
	s_and_not1_b32 vcc_lo, exec_lo, s14
	s_cbranch_vccnz .LBB23_1819
; %bb.1818:
	global_load_b32 v1, v[24:25], off
	s_wait_loadcnt 0x0
	v_cvt_i16_f16_e32 v14, v1
.LBB23_1819:
	s_mov_b32 s14, 0
.LBB23_1820:
	s_delay_alu instid0(SALU_CYCLE_1)
	s_and_not1_b32 vcc_lo, exec_lo, s14
	s_cbranch_vccnz .LBB23_1831
; %bb.1821:
	s_cmp_lt_i32 s13, 6
	s_cbranch_scc1 .LBB23_1824
; %bb.1822:
	s_cmp_gt_i32 s13, 6
	s_cbranch_scc0 .LBB23_1825
; %bb.1823:
	s_wait_loadcnt 0x0
	global_load_b64 v[14:15], v[24:25], off
	s_mov_b32 s14, 0
	s_wait_loadcnt 0x0
	v_cvt_i32_f64_e32 v14, v[14:15]
	s_branch .LBB23_1826
.LBB23_1824:
	s_mov_b32 s14, -1
                                        ; implicit-def: $vgpr14
	s_branch .LBB23_1829
.LBB23_1825:
	s_mov_b32 s14, -1
                                        ; implicit-def: $vgpr14
.LBB23_1826:
	s_delay_alu instid0(SALU_CYCLE_1)
	s_and_not1_b32 vcc_lo, exec_lo, s14
	s_cbranch_vccnz .LBB23_1828
; %bb.1827:
	global_load_b32 v1, v[24:25], off
	s_wait_loadcnt 0x0
	v_cvt_i32_f32_e32 v14, v1
.LBB23_1828:
	s_mov_b32 s14, 0
.LBB23_1829:
	s_delay_alu instid0(SALU_CYCLE_1)
	s_and_not1_b32 vcc_lo, exec_lo, s14
	s_cbranch_vccnz .LBB23_1831
; %bb.1830:
	global_load_u16 v1, v[24:25], off
	s_wait_loadcnt 0x0
	v_cvt_i16_f16_e32 v14, v1
.LBB23_1831:
	s_cbranch_execnz .LBB23_1851
.LBB23_1832:
	s_cmp_lt_i32 s13, 2
	s_cbranch_scc1 .LBB23_1836
; %bb.1833:
	s_cmp_lt_i32 s13, 3
	s_cbranch_scc1 .LBB23_1837
; %bb.1834:
	s_cmp_gt_i32 s13, 3
	s_cbranch_scc0 .LBB23_1838
; %bb.1835:
	s_wait_loadcnt 0x0
	global_load_b64 v[14:15], v[24:25], off
	s_mov_b32 s14, 0
	s_branch .LBB23_1839
.LBB23_1836:
	s_mov_b32 s14, -1
                                        ; implicit-def: $vgpr14
	s_branch .LBB23_1845
.LBB23_1837:
	s_mov_b32 s14, -1
                                        ; implicit-def: $vgpr14
	s_branch .LBB23_1842
.LBB23_1838:
	s_mov_b32 s14, -1
                                        ; implicit-def: $vgpr14
.LBB23_1839:
	s_delay_alu instid0(SALU_CYCLE_1)
	s_and_not1_b32 vcc_lo, exec_lo, s14
	s_cbranch_vccnz .LBB23_1841
; %bb.1840:
	s_wait_loadcnt 0x0
	global_load_b32 v14, v[24:25], off
.LBB23_1841:
	s_mov_b32 s14, 0
.LBB23_1842:
	s_delay_alu instid0(SALU_CYCLE_1)
	s_and_not1_b32 vcc_lo, exec_lo, s14
	s_cbranch_vccnz .LBB23_1844
; %bb.1843:
	s_wait_loadcnt 0x0
	global_load_u16 v14, v[24:25], off
.LBB23_1844:
	s_mov_b32 s14, 0
.LBB23_1845:
	s_delay_alu instid0(SALU_CYCLE_1)
	s_and_not1_b32 vcc_lo, exec_lo, s14
	s_cbranch_vccnz .LBB23_1851
; %bb.1846:
	s_cmp_gt_i32 s13, 0
	s_mov_b32 s13, 0
	s_cbranch_scc0 .LBB23_1848
; %bb.1847:
	s_wait_loadcnt 0x0
	global_load_u8 v14, v[24:25], off
	s_branch .LBB23_1849
.LBB23_1848:
	s_mov_b32 s13, -1
                                        ; implicit-def: $vgpr14
.LBB23_1849:
	s_delay_alu instid0(SALU_CYCLE_1)
	s_and_not1_b32 vcc_lo, exec_lo, s13
	s_cbranch_vccnz .LBB23_1851
; %bb.1850:
	s_wait_loadcnt 0x0
	global_load_u8 v14, v[24:25], off
.LBB23_1851:
.LBB23_1852:
	v_mov_b32_e32 v13, 0
	s_and_b32 s11, 0xffff, s11
	s_delay_alu instid0(SALU_CYCLE_1) | instskip(SKIP_1) | instid1(VALU_DEP_1)
	s_cmp_lt_i32 s11, 11
	s_wait_xcnt 0x0
	v_add_nc_u64_e32 v[24:25], s[6:7], v[12:13]
	s_cbranch_scc1 .LBB23_1859
; %bb.1853:
	s_cmp_gt_i32 s11, 25
	s_mov_b32 s14, 0
	s_cbranch_scc0 .LBB23_1861
; %bb.1854:
	s_cmp_gt_i32 s11, 28
	s_cbranch_scc0 .LBB23_1862
; %bb.1855:
	s_cmp_gt_i32 s11, 43
	;; [unrolled: 3-line block ×3, first 2 shown]
	s_cbranch_scc0 .LBB23_1865
; %bb.1857:
	s_cmp_eq_u32 s11, 46
	s_mov_b32 s16, 0
	s_cbranch_scc0 .LBB23_1866
; %bb.1858:
	global_load_b32 v1, v[24:25], off
	s_mov_b32 s13, 0
	s_mov_b32 s15, -1
	s_wait_loadcnt 0x0
	v_lshlrev_b32_e32 v1, 16, v1
	s_delay_alu instid0(VALU_DEP_1)
	v_cvt_i32_f32_e32 v12, v1
	s_branch .LBB23_1868
.LBB23_1859:
	s_mov_b32 s15, 0
                                        ; implicit-def: $vgpr12
	s_cbranch_execnz .LBB23_1930
.LBB23_1860:
	s_and_not1_b32 vcc_lo, exec_lo, s15
	s_cbranch_vccnz .LBB23_3047
	s_branch .LBB23_1978
.LBB23_1861:
	s_mov_b32 s16, -1
	s_mov_b32 s15, 0
	s_mov_b32 s13, 0
                                        ; implicit-def: $vgpr12
	s_branch .LBB23_1895
.LBB23_1862:
	s_mov_b32 s16, -1
	s_mov_b32 s15, 0
	s_mov_b32 s13, 0
                                        ; implicit-def: $vgpr12
	s_branch .LBB23_1878
.LBB23_1863:
	s_mov_b32 s16, -1
	s_mov_b32 s15, 0
	s_mov_b32 s13, 0
                                        ; implicit-def: $vgpr12
	s_branch .LBB23_1873
.LBB23_1864:
	s_or_b32 s10, s10, exec_lo
	s_trap 2
	s_cbranch_execz .LBB23_1803
	s_branch .LBB23_1804
.LBB23_1865:
	s_mov_b32 s16, -1
	s_mov_b32 s15, 0
	s_mov_b32 s13, 0
	s_branch .LBB23_1867
.LBB23_1866:
	s_mov_b32 s13, -1
	s_mov_b32 s15, 0
.LBB23_1867:
                                        ; implicit-def: $vgpr12
.LBB23_1868:
	s_and_b32 vcc_lo, exec_lo, s16
	s_cbranch_vccz .LBB23_1872
; %bb.1869:
	s_cmp_eq_u32 s11, 44
	s_cbranch_scc0 .LBB23_1871
; %bb.1870:
	global_load_u8 v1, v[24:25], off
	s_mov_b32 s13, 0
	s_mov_b32 s15, -1
	s_wait_loadcnt 0x0
	v_lshlrev_b32_e32 v3, 23, v1
	v_cmp_ne_u32_e32 vcc_lo, 0, v1
	s_delay_alu instid0(VALU_DEP_2) | instskip(NEXT) | instid1(VALU_DEP_1)
	v_cvt_i32_f32_e32 v3, v3
	v_cndmask_b32_e32 v12, 0, v3, vcc_lo
	s_branch .LBB23_1872
.LBB23_1871:
	s_mov_b32 s13, -1
                                        ; implicit-def: $vgpr12
.LBB23_1872:
	s_mov_b32 s16, 0
.LBB23_1873:
	s_delay_alu instid0(SALU_CYCLE_1)
	s_and_b32 vcc_lo, exec_lo, s16
	s_cbranch_vccz .LBB23_1877
; %bb.1874:
	s_cmp_eq_u32 s11, 29
	s_cbranch_scc0 .LBB23_1876
; %bb.1875:
	global_load_b64 v[12:13], v[24:25], off
	s_mov_b32 s13, 0
	s_mov_b32 s15, -1
	s_branch .LBB23_1877
.LBB23_1876:
	s_mov_b32 s13, -1
                                        ; implicit-def: $vgpr12
.LBB23_1877:
	s_mov_b32 s16, 0
.LBB23_1878:
	s_delay_alu instid0(SALU_CYCLE_1)
	s_and_b32 vcc_lo, exec_lo, s16
	s_cbranch_vccz .LBB23_1894
; %bb.1879:
	s_cmp_lt_i32 s11, 27
	s_cbranch_scc1 .LBB23_1882
; %bb.1880:
	s_cmp_gt_i32 s11, 27
	s_cbranch_scc0 .LBB23_1883
; %bb.1881:
	s_wait_loadcnt 0x0
	global_load_b32 v12, v[24:25], off
	s_mov_b32 s15, 0
	s_branch .LBB23_1884
.LBB23_1882:
	s_mov_b32 s15, -1
                                        ; implicit-def: $vgpr12
	s_branch .LBB23_1887
.LBB23_1883:
	s_mov_b32 s15, -1
                                        ; implicit-def: $vgpr12
.LBB23_1884:
	s_delay_alu instid0(SALU_CYCLE_1)
	s_and_not1_b32 vcc_lo, exec_lo, s15
	s_cbranch_vccnz .LBB23_1886
; %bb.1885:
	s_wait_loadcnt 0x0
	global_load_u16 v12, v[24:25], off
.LBB23_1886:
	s_mov_b32 s15, 0
.LBB23_1887:
	s_delay_alu instid0(SALU_CYCLE_1)
	s_and_not1_b32 vcc_lo, exec_lo, s15
	s_cbranch_vccnz .LBB23_1893
; %bb.1888:
	global_load_u8 v1, v[24:25], off
	s_mov_b32 s16, 0
	s_mov_b32 s15, exec_lo
	s_wait_loadcnt 0x0
	v_cmpx_lt_i16_e32 0x7f, v1
	s_xor_b32 s15, exec_lo, s15
	s_cbranch_execz .LBB23_1905
; %bb.1889:
	v_cmp_ne_u16_e32 vcc_lo, 0x80, v1
	s_and_b32 s16, vcc_lo, exec_lo
	s_and_not1_saveexec_b32 s15, s15
	s_cbranch_execnz .LBB23_1906
.LBB23_1890:
	s_or_b32 exec_lo, exec_lo, s15
	v_mov_b32_e32 v12, 0
	s_and_saveexec_b32 s15, s16
	s_cbranch_execz .LBB23_1892
.LBB23_1891:
	v_and_b32_e32 v3, 0xffff, v1
	s_delay_alu instid0(VALU_DEP_1) | instskip(SKIP_1) | instid1(VALU_DEP_2)
	v_dual_lshlrev_b32 v1, 24, v1 :: v_dual_bitop2_b32 v5, 7, v3 bitop3:0x40
	v_bfe_u32 v11, v3, 3, 4
	v_and_b32_e32 v1, 0x80000000, v1
	s_delay_alu instid0(VALU_DEP_3) | instskip(NEXT) | instid1(VALU_DEP_3)
	v_clz_i32_u32_e32 v7, v5
	v_cmp_eq_u32_e32 vcc_lo, 0, v11
	s_delay_alu instid0(VALU_DEP_2) | instskip(NEXT) | instid1(VALU_DEP_1)
	v_min_u32_e32 v7, 32, v7
	v_subrev_nc_u32_e32 v9, 28, v7
	v_sub_nc_u32_e32 v7, 29, v7
	s_delay_alu instid0(VALU_DEP_2) | instskip(NEXT) | instid1(VALU_DEP_2)
	v_lshlrev_b32_e32 v3, v9, v3
	v_cndmask_b32_e32 v7, v11, v7, vcc_lo
	s_delay_alu instid0(VALU_DEP_2) | instskip(NEXT) | instid1(VALU_DEP_1)
	v_and_b32_e32 v3, 7, v3
	v_cndmask_b32_e32 v3, v5, v3, vcc_lo
	s_delay_alu instid0(VALU_DEP_3) | instskip(NEXT) | instid1(VALU_DEP_2)
	v_lshl_add_u32 v5, v7, 23, 0x3b800000
	v_lshlrev_b32_e32 v3, 20, v3
	s_delay_alu instid0(VALU_DEP_1) | instskip(NEXT) | instid1(VALU_DEP_1)
	v_or3_b32 v1, v1, v5, v3
	v_cvt_i32_f32_e32 v12, v1
.LBB23_1892:
	s_or_b32 exec_lo, exec_lo, s15
.LBB23_1893:
	s_mov_b32 s15, -1
.LBB23_1894:
	s_mov_b32 s16, 0
.LBB23_1895:
	s_delay_alu instid0(SALU_CYCLE_1)
	s_and_b32 vcc_lo, exec_lo, s16
	s_cbranch_vccz .LBB23_1926
; %bb.1896:
	s_cmp_gt_i32 s11, 22
	s_cbranch_scc0 .LBB23_1904
; %bb.1897:
	s_cmp_lt_i32 s11, 24
	s_cbranch_scc1 .LBB23_1907
; %bb.1898:
	s_cmp_gt_i32 s11, 24
	s_cbranch_scc0 .LBB23_1908
; %bb.1899:
	global_load_u8 v1, v[24:25], off
	s_mov_b32 s15, 0
	s_mov_b32 s14, exec_lo
	s_wait_loadcnt 0x0
	v_cmpx_lt_i16_e32 0x7f, v1
	s_xor_b32 s14, exec_lo, s14
	s_cbranch_execz .LBB23_1920
; %bb.1900:
	v_cmp_ne_u16_e32 vcc_lo, 0x80, v1
	s_and_b32 s15, vcc_lo, exec_lo
	s_and_not1_saveexec_b32 s14, s14
	s_cbranch_execnz .LBB23_1921
.LBB23_1901:
	s_or_b32 exec_lo, exec_lo, s14
	v_mov_b32_e32 v12, 0
	s_and_saveexec_b32 s14, s15
	s_cbranch_execz .LBB23_1903
.LBB23_1902:
	v_and_b32_e32 v3, 0xffff, v1
	s_delay_alu instid0(VALU_DEP_1) | instskip(SKIP_1) | instid1(VALU_DEP_2)
	v_dual_lshlrev_b32 v1, 24, v1 :: v_dual_bitop2_b32 v5, 3, v3 bitop3:0x40
	v_bfe_u32 v11, v3, 2, 5
	v_and_b32_e32 v1, 0x80000000, v1
	s_delay_alu instid0(VALU_DEP_3) | instskip(NEXT) | instid1(VALU_DEP_3)
	v_clz_i32_u32_e32 v7, v5
	v_cmp_eq_u32_e32 vcc_lo, 0, v11
	s_delay_alu instid0(VALU_DEP_2) | instskip(NEXT) | instid1(VALU_DEP_1)
	v_min_u32_e32 v7, 32, v7
	v_subrev_nc_u32_e32 v9, 29, v7
	v_sub_nc_u32_e32 v7, 30, v7
	s_delay_alu instid0(VALU_DEP_2) | instskip(NEXT) | instid1(VALU_DEP_2)
	v_lshlrev_b32_e32 v3, v9, v3
	v_cndmask_b32_e32 v7, v11, v7, vcc_lo
	s_delay_alu instid0(VALU_DEP_2) | instskip(NEXT) | instid1(VALU_DEP_1)
	v_and_b32_e32 v3, 3, v3
	v_cndmask_b32_e32 v3, v5, v3, vcc_lo
	s_delay_alu instid0(VALU_DEP_3) | instskip(NEXT) | instid1(VALU_DEP_2)
	v_lshl_add_u32 v5, v7, 23, 0x37800000
	v_lshlrev_b32_e32 v3, 21, v3
	s_delay_alu instid0(VALU_DEP_1) | instskip(NEXT) | instid1(VALU_DEP_1)
	v_or3_b32 v1, v1, v5, v3
	v_cvt_i32_f32_e32 v12, v1
.LBB23_1903:
	s_or_b32 exec_lo, exec_lo, s14
	s_mov_b32 s14, 0
	s_branch .LBB23_1909
.LBB23_1904:
	s_mov_b32 s14, -1
                                        ; implicit-def: $vgpr12
	s_branch .LBB23_1915
.LBB23_1905:
	s_and_not1_saveexec_b32 s15, s15
	s_cbranch_execz .LBB23_1890
.LBB23_1906:
	v_cmp_ne_u16_e32 vcc_lo, 0, v1
	s_and_not1_b32 s16, s16, exec_lo
	s_and_b32 s17, vcc_lo, exec_lo
	s_delay_alu instid0(SALU_CYCLE_1)
	s_or_b32 s16, s16, s17
	s_or_b32 exec_lo, exec_lo, s15
	v_mov_b32_e32 v12, 0
	s_and_saveexec_b32 s15, s16
	s_cbranch_execnz .LBB23_1891
	s_branch .LBB23_1892
.LBB23_1907:
	s_mov_b32 s14, -1
                                        ; implicit-def: $vgpr12
	s_branch .LBB23_1912
.LBB23_1908:
	s_mov_b32 s14, -1
                                        ; implicit-def: $vgpr12
.LBB23_1909:
	s_delay_alu instid0(SALU_CYCLE_1)
	s_and_b32 vcc_lo, exec_lo, s14
	s_cbranch_vccz .LBB23_1911
; %bb.1910:
	global_load_u8 v1, v[24:25], off
	s_wait_loadcnt 0x0
	v_lshlrev_b32_e32 v1, 24, v1
	s_delay_alu instid0(VALU_DEP_1) | instskip(NEXT) | instid1(VALU_DEP_1)
	v_and_b32_e32 v3, 0x7f000000, v1
	v_clz_i32_u32_e32 v5, v3
	v_add_nc_u32_e32 v9, 0x1000000, v3
	v_cmp_ne_u32_e32 vcc_lo, 0, v3
	s_delay_alu instid0(VALU_DEP_3) | instskip(NEXT) | instid1(VALU_DEP_1)
	v_min_u32_e32 v5, 32, v5
	v_sub_nc_u32_e64 v5, v5, 4 clamp
	s_delay_alu instid0(VALU_DEP_1) | instskip(NEXT) | instid1(VALU_DEP_1)
	v_dual_lshlrev_b32 v7, v5, v3 :: v_dual_lshlrev_b32 v5, 23, v5
	v_lshrrev_b32_e32 v7, 4, v7
	s_delay_alu instid0(VALU_DEP_1) | instskip(SKIP_1) | instid1(VALU_DEP_2)
	v_sub_nc_u32_e32 v5, v7, v5
	v_ashrrev_i32_e32 v7, 8, v9
	v_add_nc_u32_e32 v5, 0x3c000000, v5
	s_delay_alu instid0(VALU_DEP_1) | instskip(NEXT) | instid1(VALU_DEP_1)
	v_and_or_b32 v5, 0x7f800000, v7, v5
	v_cndmask_b32_e32 v3, 0, v5, vcc_lo
	s_delay_alu instid0(VALU_DEP_1) | instskip(NEXT) | instid1(VALU_DEP_1)
	v_and_or_b32 v1, 0x80000000, v1, v3
	v_cvt_i32_f32_e32 v12, v1
.LBB23_1911:
	s_mov_b32 s14, 0
.LBB23_1912:
	s_delay_alu instid0(SALU_CYCLE_1)
	s_and_not1_b32 vcc_lo, exec_lo, s14
	s_cbranch_vccnz .LBB23_1914
; %bb.1913:
	global_load_u8 v1, v[24:25], off
	s_wait_loadcnt 0x0
	v_lshlrev_b32_e32 v3, 25, v1
	v_lshlrev_b16 v1, 8, v1
	s_delay_alu instid0(VALU_DEP_1) | instskip(SKIP_1) | instid1(VALU_DEP_2)
	v_and_or_b32 v7, 0x7f00, v1, 0.5
	v_bfe_i32 v1, v1, 0, 16
	v_add_f32_e32 v7, -0.5, v7
	v_lshrrev_b32_e32 v5, 4, v3
	v_cmp_gt_u32_e32 vcc_lo, 0x8000000, v3
	s_delay_alu instid0(VALU_DEP_2) | instskip(NEXT) | instid1(VALU_DEP_1)
	v_or_b32_e32 v5, 0x70000000, v5
	v_mul_f32_e32 v5, 0x7800000, v5
	s_delay_alu instid0(VALU_DEP_1) | instskip(NEXT) | instid1(VALU_DEP_1)
	v_cndmask_b32_e32 v3, v5, v7, vcc_lo
	v_and_or_b32 v1, 0x80000000, v1, v3
	s_delay_alu instid0(VALU_DEP_1)
	v_cvt_i32_f32_e32 v12, v1
.LBB23_1914:
	s_mov_b32 s14, 0
	s_mov_b32 s15, -1
.LBB23_1915:
	s_and_not1_b32 vcc_lo, exec_lo, s14
	s_mov_b32 s14, 0
	s_cbranch_vccnz .LBB23_1926
; %bb.1916:
	s_cmp_gt_i32 s11, 14
	s_cbranch_scc0 .LBB23_1919
; %bb.1917:
	s_cmp_eq_u32 s11, 15
	s_cbranch_scc0 .LBB23_1922
; %bb.1918:
	global_load_u16 v1, v[24:25], off
	s_mov_b32 s13, 0
	s_mov_b32 s15, -1
	s_wait_loadcnt 0x0
	v_lshlrev_b32_e32 v1, 16, v1
	s_delay_alu instid0(VALU_DEP_1)
	v_cvt_i32_f32_e32 v12, v1
	s_branch .LBB23_1924
.LBB23_1919:
	s_mov_b32 s14, -1
	s_branch .LBB23_1923
.LBB23_1920:
	s_and_not1_saveexec_b32 s14, s14
	s_cbranch_execz .LBB23_1901
.LBB23_1921:
	v_cmp_ne_u16_e32 vcc_lo, 0, v1
	s_and_not1_b32 s15, s15, exec_lo
	s_and_b32 s16, vcc_lo, exec_lo
	s_delay_alu instid0(SALU_CYCLE_1)
	s_or_b32 s15, s15, s16
	s_or_b32 exec_lo, exec_lo, s14
	v_mov_b32_e32 v12, 0
	s_and_saveexec_b32 s14, s15
	s_cbranch_execnz .LBB23_1902
	s_branch .LBB23_1903
.LBB23_1922:
	s_mov_b32 s13, -1
.LBB23_1923:
                                        ; implicit-def: $vgpr12
.LBB23_1924:
	s_and_b32 vcc_lo, exec_lo, s14
	s_mov_b32 s14, 0
	s_cbranch_vccz .LBB23_1926
; %bb.1925:
	s_cmp_lg_u32 s11, 11
	s_mov_b32 s14, -1
	s_cselect_b32 s13, -1, 0
.LBB23_1926:
	s_delay_alu instid0(SALU_CYCLE_1)
	s_and_b32 vcc_lo, exec_lo, s13
	s_cbranch_vccnz .LBB23_1989
; %bb.1927:
	s_and_not1_b32 vcc_lo, exec_lo, s14
	s_cbranch_vccnz .LBB23_1929
.LBB23_1928:
	global_load_u8 v1, v[24:25], off
	s_mov_b32 s15, -1
	s_wait_loadcnt 0x0
	v_cmp_ne_u16_e32 vcc_lo, 0, v1
	v_cndmask_b32_e64 v12, 0, 1, vcc_lo
.LBB23_1929:
	s_branch .LBB23_1860
.LBB23_1930:
	s_cmp_lt_i32 s11, 5
	s_cbranch_scc1 .LBB23_1935
; %bb.1931:
	s_cmp_lt_i32 s11, 8
	s_cbranch_scc1 .LBB23_1936
; %bb.1932:
	;; [unrolled: 3-line block ×3, first 2 shown]
	s_cmp_gt_i32 s11, 9
	s_cbranch_scc0 .LBB23_1938
; %bb.1934:
	s_wait_loadcnt 0x0
	global_load_b64 v[12:13], v[24:25], off
	s_mov_b32 s13, 0
	s_wait_loadcnt 0x0
	v_cvt_i32_f64_e32 v12, v[12:13]
	s_branch .LBB23_1939
.LBB23_1935:
	s_mov_b32 s13, -1
                                        ; implicit-def: $vgpr12
	s_branch .LBB23_1957
.LBB23_1936:
	s_mov_b32 s13, -1
                                        ; implicit-def: $vgpr12
	s_branch .LBB23_1945
.LBB23_1937:
	s_mov_b32 s13, -1
                                        ; implicit-def: $vgpr12
	s_branch .LBB23_1942
.LBB23_1938:
	s_mov_b32 s13, -1
                                        ; implicit-def: $vgpr12
.LBB23_1939:
	s_delay_alu instid0(SALU_CYCLE_1)
	s_and_not1_b32 vcc_lo, exec_lo, s13
	s_cbranch_vccnz .LBB23_1941
; %bb.1940:
	global_load_b32 v1, v[24:25], off
	s_wait_loadcnt 0x0
	v_cvt_i32_f32_e32 v12, v1
.LBB23_1941:
	s_mov_b32 s13, 0
.LBB23_1942:
	s_delay_alu instid0(SALU_CYCLE_1)
	s_and_not1_b32 vcc_lo, exec_lo, s13
	s_cbranch_vccnz .LBB23_1944
; %bb.1943:
	global_load_b32 v1, v[24:25], off
	s_wait_loadcnt 0x0
	v_cvt_i16_f16_e32 v12, v1
.LBB23_1944:
	s_mov_b32 s13, 0
.LBB23_1945:
	s_delay_alu instid0(SALU_CYCLE_1)
	s_and_not1_b32 vcc_lo, exec_lo, s13
	s_cbranch_vccnz .LBB23_1956
; %bb.1946:
	s_cmp_lt_i32 s11, 6
	s_cbranch_scc1 .LBB23_1949
; %bb.1947:
	s_cmp_gt_i32 s11, 6
	s_cbranch_scc0 .LBB23_1950
; %bb.1948:
	s_wait_loadcnt 0x0
	global_load_b64 v[12:13], v[24:25], off
	s_mov_b32 s13, 0
	s_wait_loadcnt 0x0
	v_cvt_i32_f64_e32 v12, v[12:13]
	s_branch .LBB23_1951
.LBB23_1949:
	s_mov_b32 s13, -1
                                        ; implicit-def: $vgpr12
	s_branch .LBB23_1954
.LBB23_1950:
	s_mov_b32 s13, -1
                                        ; implicit-def: $vgpr12
.LBB23_1951:
	s_delay_alu instid0(SALU_CYCLE_1)
	s_and_not1_b32 vcc_lo, exec_lo, s13
	s_cbranch_vccnz .LBB23_1953
; %bb.1952:
	global_load_b32 v1, v[24:25], off
	s_wait_loadcnt 0x0
	v_cvt_i32_f32_e32 v12, v1
.LBB23_1953:
	s_mov_b32 s13, 0
.LBB23_1954:
	s_delay_alu instid0(SALU_CYCLE_1)
	s_and_not1_b32 vcc_lo, exec_lo, s13
	s_cbranch_vccnz .LBB23_1956
; %bb.1955:
	global_load_u16 v1, v[24:25], off
	s_wait_loadcnt 0x0
	v_cvt_i16_f16_e32 v12, v1
.LBB23_1956:
	s_mov_b32 s13, 0
.LBB23_1957:
	s_delay_alu instid0(SALU_CYCLE_1)
	s_and_not1_b32 vcc_lo, exec_lo, s13
	s_cbranch_vccnz .LBB23_1977
; %bb.1958:
	s_cmp_lt_i32 s11, 2
	s_cbranch_scc1 .LBB23_1962
; %bb.1959:
	s_cmp_lt_i32 s11, 3
	s_cbranch_scc1 .LBB23_1963
; %bb.1960:
	s_cmp_gt_i32 s11, 3
	s_cbranch_scc0 .LBB23_1964
; %bb.1961:
	s_wait_loadcnt 0x0
	global_load_b64 v[12:13], v[24:25], off
	s_mov_b32 s13, 0
	s_branch .LBB23_1965
.LBB23_1962:
	s_mov_b32 s13, -1
                                        ; implicit-def: $vgpr12
	s_branch .LBB23_1971
.LBB23_1963:
	s_mov_b32 s13, -1
                                        ; implicit-def: $vgpr12
	s_branch .LBB23_1968
.LBB23_1964:
	s_mov_b32 s13, -1
                                        ; implicit-def: $vgpr12
.LBB23_1965:
	s_delay_alu instid0(SALU_CYCLE_1)
	s_and_not1_b32 vcc_lo, exec_lo, s13
	s_cbranch_vccnz .LBB23_1967
; %bb.1966:
	s_wait_loadcnt 0x0
	global_load_b32 v12, v[24:25], off
.LBB23_1967:
	s_mov_b32 s13, 0
.LBB23_1968:
	s_delay_alu instid0(SALU_CYCLE_1)
	s_and_not1_b32 vcc_lo, exec_lo, s13
	s_cbranch_vccnz .LBB23_1970
; %bb.1969:
	s_wait_loadcnt 0x0
	global_load_u16 v12, v[24:25], off
.LBB23_1970:
	s_mov_b32 s13, 0
.LBB23_1971:
	s_delay_alu instid0(SALU_CYCLE_1)
	s_and_not1_b32 vcc_lo, exec_lo, s13
	s_cbranch_vccnz .LBB23_1977
; %bb.1972:
	s_cmp_gt_i32 s11, 0
	s_mov_b32 s13, 0
	s_cbranch_scc0 .LBB23_1974
; %bb.1973:
	s_wait_loadcnt 0x0
	global_load_u8 v12, v[24:25], off
	s_branch .LBB23_1975
.LBB23_1974:
	s_mov_b32 s13, -1
                                        ; implicit-def: $vgpr12
.LBB23_1975:
	s_delay_alu instid0(SALU_CYCLE_1)
	s_and_not1_b32 vcc_lo, exec_lo, s13
	s_cbranch_vccnz .LBB23_1977
; %bb.1976:
	s_wait_loadcnt 0x0
	global_load_u8 v12, v[24:25], off
.LBB23_1977:
.LBB23_1978:
	v_mov_b32_e32 v21, 0
	s_and_b32 s12, 0xffff, s12
	s_delay_alu instid0(SALU_CYCLE_1) | instskip(SKIP_1) | instid1(VALU_DEP_1)
	s_cmp_lt_i32 s12, 11
	s_wait_xcnt 0x0
	v_add_nc_u64_e32 v[24:25], s[0:1], v[20:21]
	s_cbranch_scc1 .LBB23_1985
; %bb.1979:
	s_cmp_gt_i32 s12, 25
	s_mov_b32 s14, 0
	s_cbranch_scc0 .LBB23_1986
; %bb.1980:
	s_cmp_gt_i32 s12, 28
	s_cbranch_scc0 .LBB23_1987
; %bb.1981:
	s_cmp_gt_i32 s12, 43
	;; [unrolled: 3-line block ×3, first 2 shown]
	s_cbranch_scc0 .LBB23_1990
; %bb.1983:
	s_cmp_eq_u32 s12, 46
	s_mov_b32 s16, 0
	s_cbranch_scc0 .LBB23_1991
; %bb.1984:
	global_load_b32 v1, v[24:25], off
	s_mov_b32 s13, 0
	s_mov_b32 s15, -1
	s_wait_loadcnt 0x0
	v_lshlrev_b32_e32 v1, 16, v1
	s_delay_alu instid0(VALU_DEP_1)
	v_cvt_i32_f32_e32 v20, v1
	s_branch .LBB23_1993
.LBB23_1985:
	s_mov_b32 s13, -1
	s_mov_b32 s15, 0
                                        ; implicit-def: $vgpr20
	s_branch .LBB23_2055
.LBB23_1986:
	s_mov_b32 s16, -1
	s_mov_b32 s15, 0
	s_mov_b32 s13, 0
                                        ; implicit-def: $vgpr20
	s_branch .LBB23_2020
.LBB23_1987:
	s_mov_b32 s16, -1
	s_mov_b32 s15, 0
	s_mov_b32 s13, 0
                                        ; implicit-def: $vgpr20
	s_branch .LBB23_2003
.LBB23_1988:
	s_mov_b32 s16, -1
	s_mov_b32 s15, 0
	s_mov_b32 s13, 0
                                        ; implicit-def: $vgpr20
	s_branch .LBB23_1998
.LBB23_1989:
	s_or_b32 s10, s10, exec_lo
	s_trap 2
	s_cbranch_execz .LBB23_1928
	s_branch .LBB23_1929
.LBB23_1990:
	s_mov_b32 s16, -1
	s_mov_b32 s15, 0
	s_mov_b32 s13, 0
	s_branch .LBB23_1992
.LBB23_1991:
	s_mov_b32 s13, -1
	s_mov_b32 s15, 0
.LBB23_1992:
                                        ; implicit-def: $vgpr20
.LBB23_1993:
	s_and_b32 vcc_lo, exec_lo, s16
	s_cbranch_vccz .LBB23_1997
; %bb.1994:
	s_cmp_eq_u32 s12, 44
	s_cbranch_scc0 .LBB23_1996
; %bb.1995:
	global_load_u8 v1, v[24:25], off
	s_mov_b32 s13, 0
	s_mov_b32 s15, -1
	s_wait_loadcnt 0x0
	v_lshlrev_b32_e32 v3, 23, v1
	v_cmp_ne_u32_e32 vcc_lo, 0, v1
	s_delay_alu instid0(VALU_DEP_2) | instskip(NEXT) | instid1(VALU_DEP_1)
	v_cvt_i32_f32_e32 v3, v3
	v_cndmask_b32_e32 v20, 0, v3, vcc_lo
	s_branch .LBB23_1997
.LBB23_1996:
	s_mov_b32 s13, -1
                                        ; implicit-def: $vgpr20
.LBB23_1997:
	s_mov_b32 s16, 0
.LBB23_1998:
	s_delay_alu instid0(SALU_CYCLE_1)
	s_and_b32 vcc_lo, exec_lo, s16
	s_cbranch_vccz .LBB23_2002
; %bb.1999:
	s_cmp_eq_u32 s12, 29
	s_cbranch_scc0 .LBB23_2001
; %bb.2000:
	global_load_b64 v[20:21], v[24:25], off
	s_mov_b32 s13, 0
	s_mov_b32 s15, -1
	s_branch .LBB23_2002
.LBB23_2001:
	s_mov_b32 s13, -1
                                        ; implicit-def: $vgpr20
.LBB23_2002:
	s_mov_b32 s16, 0
.LBB23_2003:
	s_delay_alu instid0(SALU_CYCLE_1)
	s_and_b32 vcc_lo, exec_lo, s16
	s_cbranch_vccz .LBB23_2019
; %bb.2004:
	s_cmp_lt_i32 s12, 27
	s_cbranch_scc1 .LBB23_2007
; %bb.2005:
	s_cmp_gt_i32 s12, 27
	s_cbranch_scc0 .LBB23_2008
; %bb.2006:
	s_wait_loadcnt 0x0
	global_load_b32 v20, v[24:25], off
	s_mov_b32 s15, 0
	s_branch .LBB23_2009
.LBB23_2007:
	s_mov_b32 s15, -1
                                        ; implicit-def: $vgpr20
	s_branch .LBB23_2012
.LBB23_2008:
	s_mov_b32 s15, -1
                                        ; implicit-def: $vgpr20
.LBB23_2009:
	s_delay_alu instid0(SALU_CYCLE_1)
	s_and_not1_b32 vcc_lo, exec_lo, s15
	s_cbranch_vccnz .LBB23_2011
; %bb.2010:
	s_wait_loadcnt 0x0
	global_load_u16 v20, v[24:25], off
.LBB23_2011:
	s_mov_b32 s15, 0
.LBB23_2012:
	s_delay_alu instid0(SALU_CYCLE_1)
	s_and_not1_b32 vcc_lo, exec_lo, s15
	s_cbranch_vccnz .LBB23_2018
; %bb.2013:
	global_load_u8 v1, v[24:25], off
	s_mov_b32 s16, 0
	s_mov_b32 s15, exec_lo
	s_wait_loadcnt 0x0
	v_cmpx_lt_i16_e32 0x7f, v1
	s_xor_b32 s15, exec_lo, s15
	s_cbranch_execz .LBB23_2030
; %bb.2014:
	v_cmp_ne_u16_e32 vcc_lo, 0x80, v1
	s_and_b32 s16, vcc_lo, exec_lo
	s_and_not1_saveexec_b32 s15, s15
	s_cbranch_execnz .LBB23_2031
.LBB23_2015:
	s_or_b32 exec_lo, exec_lo, s15
	v_mov_b32_e32 v20, 0
	s_and_saveexec_b32 s15, s16
	s_cbranch_execz .LBB23_2017
.LBB23_2016:
	v_and_b32_e32 v3, 0xffff, v1
	s_delay_alu instid0(VALU_DEP_1) | instskip(SKIP_1) | instid1(VALU_DEP_2)
	v_dual_lshlrev_b32 v1, 24, v1 :: v_dual_bitop2_b32 v5, 7, v3 bitop3:0x40
	v_bfe_u32 v11, v3, 3, 4
	v_and_b32_e32 v1, 0x80000000, v1
	s_delay_alu instid0(VALU_DEP_3) | instskip(NEXT) | instid1(VALU_DEP_3)
	v_clz_i32_u32_e32 v7, v5
	v_cmp_eq_u32_e32 vcc_lo, 0, v11
	s_delay_alu instid0(VALU_DEP_2) | instskip(NEXT) | instid1(VALU_DEP_1)
	v_min_u32_e32 v7, 32, v7
	v_subrev_nc_u32_e32 v9, 28, v7
	v_sub_nc_u32_e32 v7, 29, v7
	s_delay_alu instid0(VALU_DEP_2) | instskip(NEXT) | instid1(VALU_DEP_2)
	v_lshlrev_b32_e32 v3, v9, v3
	v_cndmask_b32_e32 v7, v11, v7, vcc_lo
	s_delay_alu instid0(VALU_DEP_2) | instskip(NEXT) | instid1(VALU_DEP_1)
	v_and_b32_e32 v3, 7, v3
	v_cndmask_b32_e32 v3, v5, v3, vcc_lo
	s_delay_alu instid0(VALU_DEP_3) | instskip(NEXT) | instid1(VALU_DEP_2)
	v_lshl_add_u32 v5, v7, 23, 0x3b800000
	v_lshlrev_b32_e32 v3, 20, v3
	s_delay_alu instid0(VALU_DEP_1) | instskip(NEXT) | instid1(VALU_DEP_1)
	v_or3_b32 v1, v1, v5, v3
	v_cvt_i32_f32_e32 v20, v1
.LBB23_2017:
	s_or_b32 exec_lo, exec_lo, s15
.LBB23_2018:
	s_mov_b32 s15, -1
.LBB23_2019:
	s_mov_b32 s16, 0
.LBB23_2020:
	s_delay_alu instid0(SALU_CYCLE_1)
	s_and_b32 vcc_lo, exec_lo, s16
	s_cbranch_vccz .LBB23_2051
; %bb.2021:
	s_cmp_gt_i32 s12, 22
	s_cbranch_scc0 .LBB23_2029
; %bb.2022:
	s_cmp_lt_i32 s12, 24
	s_cbranch_scc1 .LBB23_2032
; %bb.2023:
	s_cmp_gt_i32 s12, 24
	s_cbranch_scc0 .LBB23_2033
; %bb.2024:
	global_load_u8 v1, v[24:25], off
	s_mov_b32 s15, 0
	s_mov_b32 s14, exec_lo
	s_wait_loadcnt 0x0
	v_cmpx_lt_i16_e32 0x7f, v1
	s_xor_b32 s14, exec_lo, s14
	s_cbranch_execz .LBB23_2045
; %bb.2025:
	v_cmp_ne_u16_e32 vcc_lo, 0x80, v1
	s_and_b32 s15, vcc_lo, exec_lo
	s_and_not1_saveexec_b32 s14, s14
	s_cbranch_execnz .LBB23_2046
.LBB23_2026:
	s_or_b32 exec_lo, exec_lo, s14
	v_mov_b32_e32 v20, 0
	s_and_saveexec_b32 s14, s15
	s_cbranch_execz .LBB23_2028
.LBB23_2027:
	v_and_b32_e32 v3, 0xffff, v1
	s_delay_alu instid0(VALU_DEP_1) | instskip(SKIP_1) | instid1(VALU_DEP_2)
	v_dual_lshlrev_b32 v1, 24, v1 :: v_dual_bitop2_b32 v5, 3, v3 bitop3:0x40
	v_bfe_u32 v11, v3, 2, 5
	v_and_b32_e32 v1, 0x80000000, v1
	s_delay_alu instid0(VALU_DEP_3) | instskip(NEXT) | instid1(VALU_DEP_3)
	v_clz_i32_u32_e32 v7, v5
	v_cmp_eq_u32_e32 vcc_lo, 0, v11
	s_delay_alu instid0(VALU_DEP_2) | instskip(NEXT) | instid1(VALU_DEP_1)
	v_min_u32_e32 v7, 32, v7
	v_subrev_nc_u32_e32 v9, 29, v7
	v_sub_nc_u32_e32 v7, 30, v7
	s_delay_alu instid0(VALU_DEP_2) | instskip(NEXT) | instid1(VALU_DEP_2)
	v_lshlrev_b32_e32 v3, v9, v3
	v_cndmask_b32_e32 v7, v11, v7, vcc_lo
	s_delay_alu instid0(VALU_DEP_2) | instskip(NEXT) | instid1(VALU_DEP_1)
	v_and_b32_e32 v3, 3, v3
	v_cndmask_b32_e32 v3, v5, v3, vcc_lo
	s_delay_alu instid0(VALU_DEP_3) | instskip(NEXT) | instid1(VALU_DEP_2)
	v_lshl_add_u32 v5, v7, 23, 0x37800000
	v_lshlrev_b32_e32 v3, 21, v3
	s_delay_alu instid0(VALU_DEP_1) | instskip(NEXT) | instid1(VALU_DEP_1)
	v_or3_b32 v1, v1, v5, v3
	v_cvt_i32_f32_e32 v20, v1
.LBB23_2028:
	s_or_b32 exec_lo, exec_lo, s14
	s_mov_b32 s14, 0
	s_branch .LBB23_2034
.LBB23_2029:
	s_mov_b32 s14, -1
                                        ; implicit-def: $vgpr20
	s_branch .LBB23_2040
.LBB23_2030:
	s_and_not1_saveexec_b32 s15, s15
	s_cbranch_execz .LBB23_2015
.LBB23_2031:
	v_cmp_ne_u16_e32 vcc_lo, 0, v1
	s_and_not1_b32 s16, s16, exec_lo
	s_and_b32 s17, vcc_lo, exec_lo
	s_delay_alu instid0(SALU_CYCLE_1)
	s_or_b32 s16, s16, s17
	s_or_b32 exec_lo, exec_lo, s15
	v_mov_b32_e32 v20, 0
	s_and_saveexec_b32 s15, s16
	s_cbranch_execnz .LBB23_2016
	s_branch .LBB23_2017
.LBB23_2032:
	s_mov_b32 s14, -1
                                        ; implicit-def: $vgpr20
	s_branch .LBB23_2037
.LBB23_2033:
	s_mov_b32 s14, -1
                                        ; implicit-def: $vgpr20
.LBB23_2034:
	s_delay_alu instid0(SALU_CYCLE_1)
	s_and_b32 vcc_lo, exec_lo, s14
	s_cbranch_vccz .LBB23_2036
; %bb.2035:
	global_load_u8 v1, v[24:25], off
	s_wait_loadcnt 0x0
	v_lshlrev_b32_e32 v1, 24, v1
	s_delay_alu instid0(VALU_DEP_1) | instskip(NEXT) | instid1(VALU_DEP_1)
	v_and_b32_e32 v3, 0x7f000000, v1
	v_clz_i32_u32_e32 v5, v3
	v_add_nc_u32_e32 v9, 0x1000000, v3
	v_cmp_ne_u32_e32 vcc_lo, 0, v3
	s_delay_alu instid0(VALU_DEP_3) | instskip(NEXT) | instid1(VALU_DEP_1)
	v_min_u32_e32 v5, 32, v5
	v_sub_nc_u32_e64 v5, v5, 4 clamp
	s_delay_alu instid0(VALU_DEP_1) | instskip(NEXT) | instid1(VALU_DEP_1)
	v_dual_lshlrev_b32 v7, v5, v3 :: v_dual_lshlrev_b32 v5, 23, v5
	v_lshrrev_b32_e32 v7, 4, v7
	s_delay_alu instid0(VALU_DEP_1) | instskip(SKIP_1) | instid1(VALU_DEP_2)
	v_sub_nc_u32_e32 v5, v7, v5
	v_ashrrev_i32_e32 v7, 8, v9
	v_add_nc_u32_e32 v5, 0x3c000000, v5
	s_delay_alu instid0(VALU_DEP_1) | instskip(NEXT) | instid1(VALU_DEP_1)
	v_and_or_b32 v5, 0x7f800000, v7, v5
	v_cndmask_b32_e32 v3, 0, v5, vcc_lo
	s_delay_alu instid0(VALU_DEP_1) | instskip(NEXT) | instid1(VALU_DEP_1)
	v_and_or_b32 v1, 0x80000000, v1, v3
	v_cvt_i32_f32_e32 v20, v1
.LBB23_2036:
	s_mov_b32 s14, 0
.LBB23_2037:
	s_delay_alu instid0(SALU_CYCLE_1)
	s_and_not1_b32 vcc_lo, exec_lo, s14
	s_cbranch_vccnz .LBB23_2039
; %bb.2038:
	global_load_u8 v1, v[24:25], off
	s_wait_loadcnt 0x0
	v_lshlrev_b32_e32 v3, 25, v1
	v_lshlrev_b16 v1, 8, v1
	s_delay_alu instid0(VALU_DEP_1) | instskip(SKIP_1) | instid1(VALU_DEP_2)
	v_and_or_b32 v7, 0x7f00, v1, 0.5
	v_bfe_i32 v1, v1, 0, 16
	v_add_f32_e32 v7, -0.5, v7
	v_lshrrev_b32_e32 v5, 4, v3
	v_cmp_gt_u32_e32 vcc_lo, 0x8000000, v3
	s_delay_alu instid0(VALU_DEP_2) | instskip(NEXT) | instid1(VALU_DEP_1)
	v_or_b32_e32 v5, 0x70000000, v5
	v_mul_f32_e32 v5, 0x7800000, v5
	s_delay_alu instid0(VALU_DEP_1) | instskip(NEXT) | instid1(VALU_DEP_1)
	v_cndmask_b32_e32 v3, v5, v7, vcc_lo
	v_and_or_b32 v1, 0x80000000, v1, v3
	s_delay_alu instid0(VALU_DEP_1)
	v_cvt_i32_f32_e32 v20, v1
.LBB23_2039:
	s_mov_b32 s14, 0
	s_mov_b32 s15, -1
.LBB23_2040:
	s_and_not1_b32 vcc_lo, exec_lo, s14
	s_mov_b32 s14, 0
	s_cbranch_vccnz .LBB23_2051
; %bb.2041:
	s_cmp_gt_i32 s12, 14
	s_cbranch_scc0 .LBB23_2044
; %bb.2042:
	s_cmp_eq_u32 s12, 15
	s_cbranch_scc0 .LBB23_2047
; %bb.2043:
	global_load_u16 v1, v[24:25], off
	s_mov_b32 s13, 0
	s_mov_b32 s15, -1
	s_wait_loadcnt 0x0
	v_lshlrev_b32_e32 v1, 16, v1
	s_delay_alu instid0(VALU_DEP_1)
	v_cvt_i32_f32_e32 v20, v1
	s_branch .LBB23_2049
.LBB23_2044:
	s_mov_b32 s14, -1
	s_branch .LBB23_2048
.LBB23_2045:
	s_and_not1_saveexec_b32 s14, s14
	s_cbranch_execz .LBB23_2026
.LBB23_2046:
	v_cmp_ne_u16_e32 vcc_lo, 0, v1
	s_and_not1_b32 s15, s15, exec_lo
	s_and_b32 s16, vcc_lo, exec_lo
	s_delay_alu instid0(SALU_CYCLE_1)
	s_or_b32 s15, s15, s16
	s_or_b32 exec_lo, exec_lo, s14
	v_mov_b32_e32 v20, 0
	s_and_saveexec_b32 s14, s15
	s_cbranch_execnz .LBB23_2027
	s_branch .LBB23_2028
.LBB23_2047:
	s_mov_b32 s13, -1
.LBB23_2048:
                                        ; implicit-def: $vgpr20
.LBB23_2049:
	s_and_b32 vcc_lo, exec_lo, s14
	s_mov_b32 s14, 0
	s_cbranch_vccz .LBB23_2051
; %bb.2050:
	s_cmp_lg_u32 s12, 11
	s_mov_b32 s14, -1
	s_cselect_b32 s13, -1, 0
.LBB23_2051:
	s_delay_alu instid0(SALU_CYCLE_1)
	s_and_b32 vcc_lo, exec_lo, s13
	s_cbranch_vccnz .LBB23_2116
; %bb.2052:
	s_and_not1_b32 vcc_lo, exec_lo, s14
	s_cbranch_vccnz .LBB23_2054
.LBB23_2053:
	global_load_u8 v1, v[24:25], off
	s_mov_b32 s15, -1
	s_wait_loadcnt 0x0
	v_cmp_ne_u16_e32 vcc_lo, 0, v1
	v_cndmask_b32_e64 v20, 0, 1, vcc_lo
.LBB23_2054:
	s_mov_b32 s13, 0
.LBB23_2055:
	s_delay_alu instid0(SALU_CYCLE_1)
	s_and_b32 vcc_lo, exec_lo, s13
	s_cbranch_vccz .LBB23_2104
; %bb.2056:
	s_cmp_lt_i32 s12, 5
	s_cbranch_scc1 .LBB23_2061
; %bb.2057:
	s_cmp_lt_i32 s12, 8
	s_cbranch_scc1 .LBB23_2062
	;; [unrolled: 3-line block ×3, first 2 shown]
; %bb.2059:
	s_cmp_gt_i32 s12, 9
	s_cbranch_scc0 .LBB23_2064
; %bb.2060:
	s_wait_loadcnt 0x0
	global_load_b64 v[20:21], v[24:25], off
	s_mov_b32 s13, 0
	s_wait_loadcnt 0x0
	v_cvt_i32_f64_e32 v20, v[20:21]
	s_branch .LBB23_2065
.LBB23_2061:
	s_mov_b32 s13, -1
                                        ; implicit-def: $vgpr20
	s_branch .LBB23_2083
.LBB23_2062:
	s_mov_b32 s13, -1
                                        ; implicit-def: $vgpr20
	s_branch .LBB23_2071
.LBB23_2063:
	s_mov_b32 s13, -1
                                        ; implicit-def: $vgpr20
	s_branch .LBB23_2068
.LBB23_2064:
	s_mov_b32 s13, -1
                                        ; implicit-def: $vgpr20
.LBB23_2065:
	s_delay_alu instid0(SALU_CYCLE_1)
	s_and_not1_b32 vcc_lo, exec_lo, s13
	s_cbranch_vccnz .LBB23_2067
; %bb.2066:
	global_load_b32 v1, v[24:25], off
	s_wait_loadcnt 0x0
	v_cvt_i32_f32_e32 v20, v1
.LBB23_2067:
	s_mov_b32 s13, 0
.LBB23_2068:
	s_delay_alu instid0(SALU_CYCLE_1)
	s_and_not1_b32 vcc_lo, exec_lo, s13
	s_cbranch_vccnz .LBB23_2070
; %bb.2069:
	global_load_b32 v1, v[24:25], off
	s_wait_loadcnt 0x0
	v_cvt_i16_f16_e32 v20, v1
.LBB23_2070:
	s_mov_b32 s13, 0
.LBB23_2071:
	s_delay_alu instid0(SALU_CYCLE_1)
	s_and_not1_b32 vcc_lo, exec_lo, s13
	s_cbranch_vccnz .LBB23_2082
; %bb.2072:
	s_cmp_lt_i32 s12, 6
	s_cbranch_scc1 .LBB23_2075
; %bb.2073:
	s_cmp_gt_i32 s12, 6
	s_cbranch_scc0 .LBB23_2076
; %bb.2074:
	s_wait_loadcnt 0x0
	global_load_b64 v[20:21], v[24:25], off
	s_mov_b32 s13, 0
	s_wait_loadcnt 0x0
	v_cvt_i32_f64_e32 v20, v[20:21]
	s_branch .LBB23_2077
.LBB23_2075:
	s_mov_b32 s13, -1
                                        ; implicit-def: $vgpr20
	s_branch .LBB23_2080
.LBB23_2076:
	s_mov_b32 s13, -1
                                        ; implicit-def: $vgpr20
.LBB23_2077:
	s_delay_alu instid0(SALU_CYCLE_1)
	s_and_not1_b32 vcc_lo, exec_lo, s13
	s_cbranch_vccnz .LBB23_2079
; %bb.2078:
	global_load_b32 v1, v[24:25], off
	s_wait_loadcnt 0x0
	v_cvt_i32_f32_e32 v20, v1
.LBB23_2079:
	s_mov_b32 s13, 0
.LBB23_2080:
	s_delay_alu instid0(SALU_CYCLE_1)
	s_and_not1_b32 vcc_lo, exec_lo, s13
	s_cbranch_vccnz .LBB23_2082
; %bb.2081:
	global_load_u16 v1, v[24:25], off
	s_wait_loadcnt 0x0
	v_cvt_i16_f16_e32 v20, v1
.LBB23_2082:
	s_mov_b32 s13, 0
.LBB23_2083:
	s_delay_alu instid0(SALU_CYCLE_1)
	s_and_not1_b32 vcc_lo, exec_lo, s13
	s_cbranch_vccnz .LBB23_2103
; %bb.2084:
	s_cmp_lt_i32 s12, 2
	s_cbranch_scc1 .LBB23_2088
; %bb.2085:
	s_cmp_lt_i32 s12, 3
	s_cbranch_scc1 .LBB23_2089
; %bb.2086:
	s_cmp_gt_i32 s12, 3
	s_cbranch_scc0 .LBB23_2090
; %bb.2087:
	s_wait_loadcnt 0x0
	global_load_b64 v[20:21], v[24:25], off
	s_mov_b32 s13, 0
	s_branch .LBB23_2091
.LBB23_2088:
	s_mov_b32 s13, -1
                                        ; implicit-def: $vgpr20
	s_branch .LBB23_2097
.LBB23_2089:
	s_mov_b32 s13, -1
                                        ; implicit-def: $vgpr20
	s_branch .LBB23_2094
.LBB23_2090:
	s_mov_b32 s13, -1
                                        ; implicit-def: $vgpr20
.LBB23_2091:
	s_delay_alu instid0(SALU_CYCLE_1)
	s_and_not1_b32 vcc_lo, exec_lo, s13
	s_cbranch_vccnz .LBB23_2093
; %bb.2092:
	s_wait_loadcnt 0x0
	global_load_b32 v20, v[24:25], off
.LBB23_2093:
	s_mov_b32 s13, 0
.LBB23_2094:
	s_delay_alu instid0(SALU_CYCLE_1)
	s_and_not1_b32 vcc_lo, exec_lo, s13
	s_cbranch_vccnz .LBB23_2096
; %bb.2095:
	s_wait_loadcnt 0x0
	global_load_u16 v20, v[24:25], off
.LBB23_2096:
	s_mov_b32 s13, 0
.LBB23_2097:
	s_delay_alu instid0(SALU_CYCLE_1)
	s_and_not1_b32 vcc_lo, exec_lo, s13
	s_cbranch_vccnz .LBB23_2103
; %bb.2098:
	s_cmp_gt_i32 s12, 0
	s_mov_b32 s13, 0
	s_cbranch_scc0 .LBB23_2100
; %bb.2099:
	s_wait_loadcnt 0x0
	global_load_u8 v20, v[24:25], off
	s_branch .LBB23_2101
.LBB23_2100:
	s_mov_b32 s13, -1
                                        ; implicit-def: $vgpr20
.LBB23_2101:
	s_delay_alu instid0(SALU_CYCLE_1)
	s_and_not1_b32 vcc_lo, exec_lo, s13
	s_cbranch_vccnz .LBB23_2103
; %bb.2102:
	s_wait_loadcnt 0x0
	global_load_u8 v20, v[24:25], off
.LBB23_2103:
	s_mov_b32 s15, -1
.LBB23_2104:
	s_delay_alu instid0(SALU_CYCLE_1)
	s_and_not1_b32 vcc_lo, exec_lo, s15
	s_cbranch_vccnz .LBB23_3047
; %bb.2105:
	v_mov_b32_e32 v19, 0
	s_cmp_lt_i32 s11, 11
	s_wait_xcnt 0x0
	s_delay_alu instid0(VALU_DEP_1)
	v_add_nc_u64_e32 v[24:25], s[6:7], v[18:19]
	s_cbranch_scc1 .LBB23_2112
; %bb.2106:
	s_cmp_gt_i32 s11, 25
	s_mov_b32 s14, 0
	s_cbranch_scc0 .LBB23_2113
; %bb.2107:
	s_cmp_gt_i32 s11, 28
	s_cbranch_scc0 .LBB23_2114
; %bb.2108:
	s_cmp_gt_i32 s11, 43
	;; [unrolled: 3-line block ×3, first 2 shown]
	s_cbranch_scc0 .LBB23_2117
; %bb.2110:
	s_cmp_eq_u32 s11, 46
	s_mov_b32 s16, 0
	s_cbranch_scc0 .LBB23_2118
; %bb.2111:
	global_load_b32 v1, v[24:25], off
	s_mov_b32 s13, 0
	s_mov_b32 s15, -1
	s_wait_loadcnt 0x0
	v_lshlrev_b32_e32 v1, 16, v1
	s_delay_alu instid0(VALU_DEP_1)
	v_cvt_i32_f32_e32 v18, v1
	s_branch .LBB23_2120
.LBB23_2112:
	s_mov_b32 s13, -1
	s_mov_b32 s15, 0
                                        ; implicit-def: $vgpr18
	s_branch .LBB23_2182
.LBB23_2113:
	s_mov_b32 s16, -1
	s_mov_b32 s15, 0
	s_mov_b32 s13, 0
                                        ; implicit-def: $vgpr18
	s_branch .LBB23_2147
.LBB23_2114:
	s_mov_b32 s16, -1
	s_mov_b32 s15, 0
	s_mov_b32 s13, 0
                                        ; implicit-def: $vgpr18
	s_branch .LBB23_2130
.LBB23_2115:
	s_mov_b32 s16, -1
	s_mov_b32 s15, 0
	s_mov_b32 s13, 0
                                        ; implicit-def: $vgpr18
	s_branch .LBB23_2125
.LBB23_2116:
	s_or_b32 s10, s10, exec_lo
	s_trap 2
	s_cbranch_execz .LBB23_2053
	s_branch .LBB23_2054
.LBB23_2117:
	s_mov_b32 s16, -1
	s_mov_b32 s15, 0
	s_mov_b32 s13, 0
	s_branch .LBB23_2119
.LBB23_2118:
	s_mov_b32 s13, -1
	s_mov_b32 s15, 0
.LBB23_2119:
                                        ; implicit-def: $vgpr18
.LBB23_2120:
	s_and_b32 vcc_lo, exec_lo, s16
	s_cbranch_vccz .LBB23_2124
; %bb.2121:
	s_cmp_eq_u32 s11, 44
	s_cbranch_scc0 .LBB23_2123
; %bb.2122:
	global_load_u8 v1, v[24:25], off
	s_mov_b32 s13, 0
	s_mov_b32 s15, -1
	s_wait_loadcnt 0x0
	v_lshlrev_b32_e32 v3, 23, v1
	v_cmp_ne_u32_e32 vcc_lo, 0, v1
	s_delay_alu instid0(VALU_DEP_2) | instskip(NEXT) | instid1(VALU_DEP_1)
	v_cvt_i32_f32_e32 v3, v3
	v_cndmask_b32_e32 v18, 0, v3, vcc_lo
	s_branch .LBB23_2124
.LBB23_2123:
	s_mov_b32 s13, -1
                                        ; implicit-def: $vgpr18
.LBB23_2124:
	s_mov_b32 s16, 0
.LBB23_2125:
	s_delay_alu instid0(SALU_CYCLE_1)
	s_and_b32 vcc_lo, exec_lo, s16
	s_cbranch_vccz .LBB23_2129
; %bb.2126:
	s_cmp_eq_u32 s11, 29
	s_cbranch_scc0 .LBB23_2128
; %bb.2127:
	global_load_b64 v[18:19], v[24:25], off
	s_mov_b32 s13, 0
	s_mov_b32 s15, -1
	s_branch .LBB23_2129
.LBB23_2128:
	s_mov_b32 s13, -1
                                        ; implicit-def: $vgpr18
.LBB23_2129:
	s_mov_b32 s16, 0
.LBB23_2130:
	s_delay_alu instid0(SALU_CYCLE_1)
	s_and_b32 vcc_lo, exec_lo, s16
	s_cbranch_vccz .LBB23_2146
; %bb.2131:
	s_cmp_lt_i32 s11, 27
	s_cbranch_scc1 .LBB23_2134
; %bb.2132:
	s_cmp_gt_i32 s11, 27
	s_cbranch_scc0 .LBB23_2135
; %bb.2133:
	s_wait_loadcnt 0x0
	global_load_b32 v18, v[24:25], off
	s_mov_b32 s15, 0
	s_branch .LBB23_2136
.LBB23_2134:
	s_mov_b32 s15, -1
                                        ; implicit-def: $vgpr18
	s_branch .LBB23_2139
.LBB23_2135:
	s_mov_b32 s15, -1
                                        ; implicit-def: $vgpr18
.LBB23_2136:
	s_delay_alu instid0(SALU_CYCLE_1)
	s_and_not1_b32 vcc_lo, exec_lo, s15
	s_cbranch_vccnz .LBB23_2138
; %bb.2137:
	s_wait_loadcnt 0x0
	global_load_u16 v18, v[24:25], off
.LBB23_2138:
	s_mov_b32 s15, 0
.LBB23_2139:
	s_delay_alu instid0(SALU_CYCLE_1)
	s_and_not1_b32 vcc_lo, exec_lo, s15
	s_cbranch_vccnz .LBB23_2145
; %bb.2140:
	global_load_u8 v1, v[24:25], off
	s_mov_b32 s16, 0
	s_mov_b32 s15, exec_lo
	s_wait_loadcnt 0x0
	v_cmpx_lt_i16_e32 0x7f, v1
	s_xor_b32 s15, exec_lo, s15
	s_cbranch_execz .LBB23_2157
; %bb.2141:
	v_cmp_ne_u16_e32 vcc_lo, 0x80, v1
	s_and_b32 s16, vcc_lo, exec_lo
	s_and_not1_saveexec_b32 s15, s15
	s_cbranch_execnz .LBB23_2158
.LBB23_2142:
	s_or_b32 exec_lo, exec_lo, s15
	v_mov_b32_e32 v18, 0
	s_and_saveexec_b32 s15, s16
	s_cbranch_execz .LBB23_2144
.LBB23_2143:
	v_and_b32_e32 v3, 0xffff, v1
	s_delay_alu instid0(VALU_DEP_1) | instskip(SKIP_1) | instid1(VALU_DEP_2)
	v_dual_lshlrev_b32 v1, 24, v1 :: v_dual_bitop2_b32 v5, 7, v3 bitop3:0x40
	v_bfe_u32 v11, v3, 3, 4
	v_and_b32_e32 v1, 0x80000000, v1
	s_delay_alu instid0(VALU_DEP_3) | instskip(NEXT) | instid1(VALU_DEP_3)
	v_clz_i32_u32_e32 v7, v5
	v_cmp_eq_u32_e32 vcc_lo, 0, v11
	s_delay_alu instid0(VALU_DEP_2) | instskip(NEXT) | instid1(VALU_DEP_1)
	v_min_u32_e32 v7, 32, v7
	v_subrev_nc_u32_e32 v9, 28, v7
	v_sub_nc_u32_e32 v7, 29, v7
	s_delay_alu instid0(VALU_DEP_2) | instskip(NEXT) | instid1(VALU_DEP_2)
	v_lshlrev_b32_e32 v3, v9, v3
	v_cndmask_b32_e32 v7, v11, v7, vcc_lo
	s_delay_alu instid0(VALU_DEP_2) | instskip(NEXT) | instid1(VALU_DEP_1)
	v_and_b32_e32 v3, 7, v3
	v_cndmask_b32_e32 v3, v5, v3, vcc_lo
	s_delay_alu instid0(VALU_DEP_3) | instskip(NEXT) | instid1(VALU_DEP_2)
	v_lshl_add_u32 v5, v7, 23, 0x3b800000
	v_lshlrev_b32_e32 v3, 20, v3
	s_delay_alu instid0(VALU_DEP_1) | instskip(NEXT) | instid1(VALU_DEP_1)
	v_or3_b32 v1, v1, v5, v3
	v_cvt_i32_f32_e32 v18, v1
.LBB23_2144:
	s_or_b32 exec_lo, exec_lo, s15
.LBB23_2145:
	s_mov_b32 s15, -1
.LBB23_2146:
	s_mov_b32 s16, 0
.LBB23_2147:
	s_delay_alu instid0(SALU_CYCLE_1)
	s_and_b32 vcc_lo, exec_lo, s16
	s_cbranch_vccz .LBB23_2178
; %bb.2148:
	s_cmp_gt_i32 s11, 22
	s_cbranch_scc0 .LBB23_2156
; %bb.2149:
	s_cmp_lt_i32 s11, 24
	s_cbranch_scc1 .LBB23_2159
; %bb.2150:
	s_cmp_gt_i32 s11, 24
	s_cbranch_scc0 .LBB23_2160
; %bb.2151:
	global_load_u8 v1, v[24:25], off
	s_mov_b32 s15, 0
	s_mov_b32 s14, exec_lo
	s_wait_loadcnt 0x0
	v_cmpx_lt_i16_e32 0x7f, v1
	s_xor_b32 s14, exec_lo, s14
	s_cbranch_execz .LBB23_2172
; %bb.2152:
	v_cmp_ne_u16_e32 vcc_lo, 0x80, v1
	s_and_b32 s15, vcc_lo, exec_lo
	s_and_not1_saveexec_b32 s14, s14
	s_cbranch_execnz .LBB23_2173
.LBB23_2153:
	s_or_b32 exec_lo, exec_lo, s14
	v_mov_b32_e32 v18, 0
	s_and_saveexec_b32 s14, s15
	s_cbranch_execz .LBB23_2155
.LBB23_2154:
	v_and_b32_e32 v3, 0xffff, v1
	s_delay_alu instid0(VALU_DEP_1) | instskip(SKIP_1) | instid1(VALU_DEP_2)
	v_dual_lshlrev_b32 v1, 24, v1 :: v_dual_bitop2_b32 v5, 3, v3 bitop3:0x40
	v_bfe_u32 v11, v3, 2, 5
	v_and_b32_e32 v1, 0x80000000, v1
	s_delay_alu instid0(VALU_DEP_3) | instskip(NEXT) | instid1(VALU_DEP_3)
	v_clz_i32_u32_e32 v7, v5
	v_cmp_eq_u32_e32 vcc_lo, 0, v11
	s_delay_alu instid0(VALU_DEP_2) | instskip(NEXT) | instid1(VALU_DEP_1)
	v_min_u32_e32 v7, 32, v7
	v_subrev_nc_u32_e32 v9, 29, v7
	v_sub_nc_u32_e32 v7, 30, v7
	s_delay_alu instid0(VALU_DEP_2) | instskip(NEXT) | instid1(VALU_DEP_2)
	v_lshlrev_b32_e32 v3, v9, v3
	v_cndmask_b32_e32 v7, v11, v7, vcc_lo
	s_delay_alu instid0(VALU_DEP_2) | instskip(NEXT) | instid1(VALU_DEP_1)
	v_and_b32_e32 v3, 3, v3
	v_cndmask_b32_e32 v3, v5, v3, vcc_lo
	s_delay_alu instid0(VALU_DEP_3) | instskip(NEXT) | instid1(VALU_DEP_2)
	v_lshl_add_u32 v5, v7, 23, 0x37800000
	v_lshlrev_b32_e32 v3, 21, v3
	s_delay_alu instid0(VALU_DEP_1) | instskip(NEXT) | instid1(VALU_DEP_1)
	v_or3_b32 v1, v1, v5, v3
	v_cvt_i32_f32_e32 v18, v1
.LBB23_2155:
	s_or_b32 exec_lo, exec_lo, s14
	s_mov_b32 s14, 0
	s_branch .LBB23_2161
.LBB23_2156:
	s_mov_b32 s14, -1
                                        ; implicit-def: $vgpr18
	s_branch .LBB23_2167
.LBB23_2157:
	s_and_not1_saveexec_b32 s15, s15
	s_cbranch_execz .LBB23_2142
.LBB23_2158:
	v_cmp_ne_u16_e32 vcc_lo, 0, v1
	s_and_not1_b32 s16, s16, exec_lo
	s_and_b32 s17, vcc_lo, exec_lo
	s_delay_alu instid0(SALU_CYCLE_1)
	s_or_b32 s16, s16, s17
	s_or_b32 exec_lo, exec_lo, s15
	v_mov_b32_e32 v18, 0
	s_and_saveexec_b32 s15, s16
	s_cbranch_execnz .LBB23_2143
	s_branch .LBB23_2144
.LBB23_2159:
	s_mov_b32 s14, -1
                                        ; implicit-def: $vgpr18
	s_branch .LBB23_2164
.LBB23_2160:
	s_mov_b32 s14, -1
                                        ; implicit-def: $vgpr18
.LBB23_2161:
	s_delay_alu instid0(SALU_CYCLE_1)
	s_and_b32 vcc_lo, exec_lo, s14
	s_cbranch_vccz .LBB23_2163
; %bb.2162:
	global_load_u8 v1, v[24:25], off
	s_wait_loadcnt 0x0
	v_lshlrev_b32_e32 v1, 24, v1
	s_delay_alu instid0(VALU_DEP_1) | instskip(NEXT) | instid1(VALU_DEP_1)
	v_and_b32_e32 v3, 0x7f000000, v1
	v_clz_i32_u32_e32 v5, v3
	v_add_nc_u32_e32 v9, 0x1000000, v3
	v_cmp_ne_u32_e32 vcc_lo, 0, v3
	s_delay_alu instid0(VALU_DEP_3) | instskip(NEXT) | instid1(VALU_DEP_1)
	v_min_u32_e32 v5, 32, v5
	v_sub_nc_u32_e64 v5, v5, 4 clamp
	s_delay_alu instid0(VALU_DEP_1) | instskip(NEXT) | instid1(VALU_DEP_1)
	v_dual_lshlrev_b32 v7, v5, v3 :: v_dual_lshlrev_b32 v5, 23, v5
	v_lshrrev_b32_e32 v7, 4, v7
	s_delay_alu instid0(VALU_DEP_1) | instskip(SKIP_1) | instid1(VALU_DEP_2)
	v_sub_nc_u32_e32 v5, v7, v5
	v_ashrrev_i32_e32 v7, 8, v9
	v_add_nc_u32_e32 v5, 0x3c000000, v5
	s_delay_alu instid0(VALU_DEP_1) | instskip(NEXT) | instid1(VALU_DEP_1)
	v_and_or_b32 v5, 0x7f800000, v7, v5
	v_cndmask_b32_e32 v3, 0, v5, vcc_lo
	s_delay_alu instid0(VALU_DEP_1) | instskip(NEXT) | instid1(VALU_DEP_1)
	v_and_or_b32 v1, 0x80000000, v1, v3
	v_cvt_i32_f32_e32 v18, v1
.LBB23_2163:
	s_mov_b32 s14, 0
.LBB23_2164:
	s_delay_alu instid0(SALU_CYCLE_1)
	s_and_not1_b32 vcc_lo, exec_lo, s14
	s_cbranch_vccnz .LBB23_2166
; %bb.2165:
	global_load_u8 v1, v[24:25], off
	s_wait_loadcnt 0x0
	v_lshlrev_b32_e32 v3, 25, v1
	v_lshlrev_b16 v1, 8, v1
	s_delay_alu instid0(VALU_DEP_1) | instskip(SKIP_1) | instid1(VALU_DEP_2)
	v_and_or_b32 v7, 0x7f00, v1, 0.5
	v_bfe_i32 v1, v1, 0, 16
	v_add_f32_e32 v7, -0.5, v7
	v_lshrrev_b32_e32 v5, 4, v3
	v_cmp_gt_u32_e32 vcc_lo, 0x8000000, v3
	s_delay_alu instid0(VALU_DEP_2) | instskip(NEXT) | instid1(VALU_DEP_1)
	v_or_b32_e32 v5, 0x70000000, v5
	v_mul_f32_e32 v5, 0x7800000, v5
	s_delay_alu instid0(VALU_DEP_1) | instskip(NEXT) | instid1(VALU_DEP_1)
	v_cndmask_b32_e32 v3, v5, v7, vcc_lo
	v_and_or_b32 v1, 0x80000000, v1, v3
	s_delay_alu instid0(VALU_DEP_1)
	v_cvt_i32_f32_e32 v18, v1
.LBB23_2166:
	s_mov_b32 s14, 0
	s_mov_b32 s15, -1
.LBB23_2167:
	s_and_not1_b32 vcc_lo, exec_lo, s14
	s_mov_b32 s14, 0
	s_cbranch_vccnz .LBB23_2178
; %bb.2168:
	s_cmp_gt_i32 s11, 14
	s_cbranch_scc0 .LBB23_2171
; %bb.2169:
	s_cmp_eq_u32 s11, 15
	s_cbranch_scc0 .LBB23_2174
; %bb.2170:
	global_load_u16 v1, v[24:25], off
	s_mov_b32 s13, 0
	s_mov_b32 s15, -1
	s_wait_loadcnt 0x0
	v_lshlrev_b32_e32 v1, 16, v1
	s_delay_alu instid0(VALU_DEP_1)
	v_cvt_i32_f32_e32 v18, v1
	s_branch .LBB23_2176
.LBB23_2171:
	s_mov_b32 s14, -1
	s_branch .LBB23_2175
.LBB23_2172:
	s_and_not1_saveexec_b32 s14, s14
	s_cbranch_execz .LBB23_2153
.LBB23_2173:
	v_cmp_ne_u16_e32 vcc_lo, 0, v1
	s_and_not1_b32 s15, s15, exec_lo
	s_and_b32 s16, vcc_lo, exec_lo
	s_delay_alu instid0(SALU_CYCLE_1)
	s_or_b32 s15, s15, s16
	s_or_b32 exec_lo, exec_lo, s14
	v_mov_b32_e32 v18, 0
	s_and_saveexec_b32 s14, s15
	s_cbranch_execnz .LBB23_2154
	s_branch .LBB23_2155
.LBB23_2174:
	s_mov_b32 s13, -1
.LBB23_2175:
                                        ; implicit-def: $vgpr18
.LBB23_2176:
	s_and_b32 vcc_lo, exec_lo, s14
	s_mov_b32 s14, 0
	s_cbranch_vccz .LBB23_2178
; %bb.2177:
	s_cmp_lg_u32 s11, 11
	s_mov_b32 s14, -1
	s_cselect_b32 s13, -1, 0
.LBB23_2178:
	s_delay_alu instid0(SALU_CYCLE_1)
	s_and_b32 vcc_lo, exec_lo, s13
	s_cbranch_vccnz .LBB23_2243
; %bb.2179:
	s_and_not1_b32 vcc_lo, exec_lo, s14
	s_cbranch_vccnz .LBB23_2181
.LBB23_2180:
	global_load_u8 v1, v[24:25], off
	s_mov_b32 s15, -1
	s_wait_loadcnt 0x0
	v_cmp_ne_u16_e32 vcc_lo, 0, v1
	v_cndmask_b32_e64 v18, 0, 1, vcc_lo
.LBB23_2181:
	s_mov_b32 s13, 0
.LBB23_2182:
	s_delay_alu instid0(SALU_CYCLE_1)
	s_and_b32 vcc_lo, exec_lo, s13
	s_cbranch_vccz .LBB23_2231
; %bb.2183:
	s_cmp_lt_i32 s11, 5
	s_cbranch_scc1 .LBB23_2188
; %bb.2184:
	s_cmp_lt_i32 s11, 8
	s_cbranch_scc1 .LBB23_2189
; %bb.2185:
	s_cmp_lt_i32 s11, 9
	s_cbranch_scc1 .LBB23_2190
; %bb.2186:
	s_cmp_gt_i32 s11, 9
	s_cbranch_scc0 .LBB23_2191
; %bb.2187:
	s_wait_loadcnt 0x0
	global_load_b64 v[18:19], v[24:25], off
	s_mov_b32 s13, 0
	s_wait_loadcnt 0x0
	v_cvt_i32_f64_e32 v18, v[18:19]
	s_branch .LBB23_2192
.LBB23_2188:
	s_mov_b32 s13, -1
                                        ; implicit-def: $vgpr18
	s_branch .LBB23_2210
.LBB23_2189:
	s_mov_b32 s13, -1
                                        ; implicit-def: $vgpr18
	s_branch .LBB23_2198
.LBB23_2190:
	s_mov_b32 s13, -1
                                        ; implicit-def: $vgpr18
	s_branch .LBB23_2195
.LBB23_2191:
	s_mov_b32 s13, -1
                                        ; implicit-def: $vgpr18
.LBB23_2192:
	s_delay_alu instid0(SALU_CYCLE_1)
	s_and_not1_b32 vcc_lo, exec_lo, s13
	s_cbranch_vccnz .LBB23_2194
; %bb.2193:
	global_load_b32 v1, v[24:25], off
	s_wait_loadcnt 0x0
	v_cvt_i32_f32_e32 v18, v1
.LBB23_2194:
	s_mov_b32 s13, 0
.LBB23_2195:
	s_delay_alu instid0(SALU_CYCLE_1)
	s_and_not1_b32 vcc_lo, exec_lo, s13
	s_cbranch_vccnz .LBB23_2197
; %bb.2196:
	global_load_b32 v1, v[24:25], off
	s_wait_loadcnt 0x0
	v_cvt_i16_f16_e32 v18, v1
.LBB23_2197:
	s_mov_b32 s13, 0
.LBB23_2198:
	s_delay_alu instid0(SALU_CYCLE_1)
	s_and_not1_b32 vcc_lo, exec_lo, s13
	s_cbranch_vccnz .LBB23_2209
; %bb.2199:
	s_cmp_lt_i32 s11, 6
	s_cbranch_scc1 .LBB23_2202
; %bb.2200:
	s_cmp_gt_i32 s11, 6
	s_cbranch_scc0 .LBB23_2203
; %bb.2201:
	s_wait_loadcnt 0x0
	global_load_b64 v[18:19], v[24:25], off
	s_mov_b32 s13, 0
	s_wait_loadcnt 0x0
	v_cvt_i32_f64_e32 v18, v[18:19]
	s_branch .LBB23_2204
.LBB23_2202:
	s_mov_b32 s13, -1
                                        ; implicit-def: $vgpr18
	s_branch .LBB23_2207
.LBB23_2203:
	s_mov_b32 s13, -1
                                        ; implicit-def: $vgpr18
.LBB23_2204:
	s_delay_alu instid0(SALU_CYCLE_1)
	s_and_not1_b32 vcc_lo, exec_lo, s13
	s_cbranch_vccnz .LBB23_2206
; %bb.2205:
	global_load_b32 v1, v[24:25], off
	s_wait_loadcnt 0x0
	v_cvt_i32_f32_e32 v18, v1
.LBB23_2206:
	s_mov_b32 s13, 0
.LBB23_2207:
	s_delay_alu instid0(SALU_CYCLE_1)
	s_and_not1_b32 vcc_lo, exec_lo, s13
	s_cbranch_vccnz .LBB23_2209
; %bb.2208:
	global_load_u16 v1, v[24:25], off
	s_wait_loadcnt 0x0
	v_cvt_i16_f16_e32 v18, v1
.LBB23_2209:
	s_mov_b32 s13, 0
.LBB23_2210:
	s_delay_alu instid0(SALU_CYCLE_1)
	s_and_not1_b32 vcc_lo, exec_lo, s13
	s_cbranch_vccnz .LBB23_2230
; %bb.2211:
	s_cmp_lt_i32 s11, 2
	s_cbranch_scc1 .LBB23_2215
; %bb.2212:
	s_cmp_lt_i32 s11, 3
	s_cbranch_scc1 .LBB23_2216
; %bb.2213:
	s_cmp_gt_i32 s11, 3
	s_cbranch_scc0 .LBB23_2217
; %bb.2214:
	s_wait_loadcnt 0x0
	global_load_b64 v[18:19], v[24:25], off
	s_mov_b32 s13, 0
	s_branch .LBB23_2218
.LBB23_2215:
	s_mov_b32 s13, -1
                                        ; implicit-def: $vgpr18
	s_branch .LBB23_2224
.LBB23_2216:
	s_mov_b32 s13, -1
                                        ; implicit-def: $vgpr18
	s_branch .LBB23_2221
.LBB23_2217:
	s_mov_b32 s13, -1
                                        ; implicit-def: $vgpr18
.LBB23_2218:
	s_delay_alu instid0(SALU_CYCLE_1)
	s_and_not1_b32 vcc_lo, exec_lo, s13
	s_cbranch_vccnz .LBB23_2220
; %bb.2219:
	s_wait_loadcnt 0x0
	global_load_b32 v18, v[24:25], off
.LBB23_2220:
	s_mov_b32 s13, 0
.LBB23_2221:
	s_delay_alu instid0(SALU_CYCLE_1)
	s_and_not1_b32 vcc_lo, exec_lo, s13
	s_cbranch_vccnz .LBB23_2223
; %bb.2222:
	s_wait_loadcnt 0x0
	global_load_u16 v18, v[24:25], off
.LBB23_2223:
	s_mov_b32 s13, 0
.LBB23_2224:
	s_delay_alu instid0(SALU_CYCLE_1)
	s_and_not1_b32 vcc_lo, exec_lo, s13
	s_cbranch_vccnz .LBB23_2230
; %bb.2225:
	s_cmp_gt_i32 s11, 0
	s_mov_b32 s13, 0
	s_cbranch_scc0 .LBB23_2227
; %bb.2226:
	s_wait_loadcnt 0x0
	global_load_u8 v18, v[24:25], off
	s_branch .LBB23_2228
.LBB23_2227:
	s_mov_b32 s13, -1
                                        ; implicit-def: $vgpr18
.LBB23_2228:
	s_delay_alu instid0(SALU_CYCLE_1)
	s_and_not1_b32 vcc_lo, exec_lo, s13
	s_cbranch_vccnz .LBB23_2230
; %bb.2229:
	s_wait_loadcnt 0x0
	global_load_u8 v18, v[24:25], off
.LBB23_2230:
	s_mov_b32 s15, -1
.LBB23_2231:
	s_delay_alu instid0(SALU_CYCLE_1)
	s_and_not1_b32 vcc_lo, exec_lo, s15
	s_cbranch_vccnz .LBB23_3047
; %bb.2232:
	v_mov_b32_e32 v23, 0
	s_cmp_lt_i32 s12, 11
	s_wait_xcnt 0x0
	s_delay_alu instid0(VALU_DEP_1)
	v_add_nc_u64_e32 v[24:25], s[0:1], v[22:23]
	s_cbranch_scc1 .LBB23_2239
; %bb.2233:
	s_cmp_gt_i32 s12, 25
	s_mov_b32 s14, 0
	s_cbranch_scc0 .LBB23_2240
; %bb.2234:
	s_cmp_gt_i32 s12, 28
	s_cbranch_scc0 .LBB23_2241
; %bb.2235:
	s_cmp_gt_i32 s12, 43
	s_cbranch_scc0 .LBB23_2242
; %bb.2236:
	s_cmp_gt_i32 s12, 45
	s_cbranch_scc0 .LBB23_2244
; %bb.2237:
	s_cmp_eq_u32 s12, 46
	s_mov_b32 s16, 0
	s_cbranch_scc0 .LBB23_2247
; %bb.2238:
	global_load_b32 v1, v[24:25], off
	s_mov_b32 s13, 0
	s_mov_b32 s15, -1
	s_wait_loadcnt 0x0
	v_lshlrev_b32_e32 v1, 16, v1
	s_delay_alu instid0(VALU_DEP_1)
	v_cvt_i32_f32_e32 v22, v1
	s_branch .LBB23_2249
.LBB23_2239:
	s_mov_b32 s13, -1
	s_mov_b32 s15, 0
                                        ; implicit-def: $vgpr22
	s_branch .LBB23_2311
.LBB23_2240:
	s_mov_b32 s16, -1
	s_mov_b32 s15, 0
	s_mov_b32 s13, 0
                                        ; implicit-def: $vgpr22
	s_branch .LBB23_2276
.LBB23_2241:
	s_mov_b32 s16, -1
	s_mov_b32 s15, 0
	s_mov_b32 s13, 0
                                        ; implicit-def: $vgpr22
	s_branch .LBB23_2259
.LBB23_2242:
	s_mov_b32 s16, -1
	s_mov_b32 s15, 0
	s_mov_b32 s13, 0
                                        ; implicit-def: $vgpr22
	s_branch .LBB23_2254
.LBB23_2243:
	s_or_b32 s10, s10, exec_lo
	s_trap 2
	s_cbranch_execz .LBB23_2180
	s_branch .LBB23_2181
.LBB23_2244:
	s_mov_b32 s16, -1
	s_mov_b32 s15, 0
	s_mov_b32 s13, 0
	s_branch .LBB23_2248
.LBB23_2245:
	s_and_not1_saveexec_b32 s53, s53
	s_cbranch_execz .LBB23_1097
.LBB23_2246:
	v_add_f32_e32 v1, 0x42800000, v4
	s_and_not1_b32 s52, s52, exec_lo
	s_delay_alu instid0(VALU_DEP_1) | instskip(NEXT) | instid1(VALU_DEP_1)
	v_and_b32_e32 v1, 0xff, v1
	v_cmp_ne_u32_e32 vcc_lo, 0, v1
	s_and_b32 s54, vcc_lo, exec_lo
	s_delay_alu instid0(SALU_CYCLE_1)
	s_or_b32 s52, s52, s54
	s_or_b32 exec_lo, exec_lo, s53
	v_mov_b32_e32 v5, 0
	s_and_saveexec_b32 s53, s52
	s_cbranch_execnz .LBB23_1098
	s_branch .LBB23_1099
.LBB23_2247:
	s_mov_b32 s13, -1
	s_mov_b32 s15, 0
.LBB23_2248:
                                        ; implicit-def: $vgpr22
.LBB23_2249:
	s_and_b32 vcc_lo, exec_lo, s16
	s_cbranch_vccz .LBB23_2253
; %bb.2250:
	s_cmp_eq_u32 s12, 44
	s_cbranch_scc0 .LBB23_2252
; %bb.2251:
	global_load_u8 v1, v[24:25], off
	s_mov_b32 s13, 0
	s_mov_b32 s15, -1
	s_wait_loadcnt 0x0
	v_lshlrev_b32_e32 v3, 23, v1
	v_cmp_ne_u32_e32 vcc_lo, 0, v1
	s_delay_alu instid0(VALU_DEP_2) | instskip(NEXT) | instid1(VALU_DEP_1)
	v_cvt_i32_f32_e32 v3, v3
	v_cndmask_b32_e32 v22, 0, v3, vcc_lo
	s_branch .LBB23_2253
.LBB23_2252:
	s_mov_b32 s13, -1
                                        ; implicit-def: $vgpr22
.LBB23_2253:
	s_mov_b32 s16, 0
.LBB23_2254:
	s_delay_alu instid0(SALU_CYCLE_1)
	s_and_b32 vcc_lo, exec_lo, s16
	s_cbranch_vccz .LBB23_2258
; %bb.2255:
	s_cmp_eq_u32 s12, 29
	s_cbranch_scc0 .LBB23_2257
; %bb.2256:
	global_load_b64 v[22:23], v[24:25], off
	s_mov_b32 s13, 0
	s_mov_b32 s15, -1
	s_branch .LBB23_2258
.LBB23_2257:
	s_mov_b32 s13, -1
                                        ; implicit-def: $vgpr22
.LBB23_2258:
	s_mov_b32 s16, 0
.LBB23_2259:
	s_delay_alu instid0(SALU_CYCLE_1)
	s_and_b32 vcc_lo, exec_lo, s16
	s_cbranch_vccz .LBB23_2275
; %bb.2260:
	s_cmp_lt_i32 s12, 27
	s_cbranch_scc1 .LBB23_2263
; %bb.2261:
	s_cmp_gt_i32 s12, 27
	s_cbranch_scc0 .LBB23_2264
; %bb.2262:
	s_wait_loadcnt 0x0
	global_load_b32 v22, v[24:25], off
	s_mov_b32 s15, 0
	s_branch .LBB23_2265
.LBB23_2263:
	s_mov_b32 s15, -1
                                        ; implicit-def: $vgpr22
	s_branch .LBB23_2268
.LBB23_2264:
	s_mov_b32 s15, -1
                                        ; implicit-def: $vgpr22
.LBB23_2265:
	s_delay_alu instid0(SALU_CYCLE_1)
	s_and_not1_b32 vcc_lo, exec_lo, s15
	s_cbranch_vccnz .LBB23_2267
; %bb.2266:
	s_wait_loadcnt 0x0
	global_load_u16 v22, v[24:25], off
.LBB23_2267:
	s_mov_b32 s15, 0
.LBB23_2268:
	s_delay_alu instid0(SALU_CYCLE_1)
	s_and_not1_b32 vcc_lo, exec_lo, s15
	s_cbranch_vccnz .LBB23_2274
; %bb.2269:
	global_load_u8 v1, v[24:25], off
	s_mov_b32 s16, 0
	s_mov_b32 s15, exec_lo
	s_wait_loadcnt 0x0
	v_cmpx_lt_i16_e32 0x7f, v1
	s_xor_b32 s15, exec_lo, s15
	s_cbranch_execz .LBB23_2286
; %bb.2270:
	v_cmp_ne_u16_e32 vcc_lo, 0x80, v1
	s_and_b32 s16, vcc_lo, exec_lo
	s_and_not1_saveexec_b32 s15, s15
	s_cbranch_execnz .LBB23_2287
.LBB23_2271:
	s_or_b32 exec_lo, exec_lo, s15
	v_mov_b32_e32 v22, 0
	s_and_saveexec_b32 s15, s16
	s_cbranch_execz .LBB23_2273
.LBB23_2272:
	v_and_b32_e32 v3, 0xffff, v1
	s_delay_alu instid0(VALU_DEP_1) | instskip(SKIP_1) | instid1(VALU_DEP_2)
	v_dual_lshlrev_b32 v1, 24, v1 :: v_dual_bitop2_b32 v5, 7, v3 bitop3:0x40
	v_bfe_u32 v11, v3, 3, 4
	v_and_b32_e32 v1, 0x80000000, v1
	s_delay_alu instid0(VALU_DEP_3) | instskip(NEXT) | instid1(VALU_DEP_3)
	v_clz_i32_u32_e32 v7, v5
	v_cmp_eq_u32_e32 vcc_lo, 0, v11
	s_delay_alu instid0(VALU_DEP_2) | instskip(NEXT) | instid1(VALU_DEP_1)
	v_min_u32_e32 v7, 32, v7
	v_subrev_nc_u32_e32 v9, 28, v7
	v_sub_nc_u32_e32 v7, 29, v7
	s_delay_alu instid0(VALU_DEP_2) | instskip(NEXT) | instid1(VALU_DEP_2)
	v_lshlrev_b32_e32 v3, v9, v3
	v_cndmask_b32_e32 v7, v11, v7, vcc_lo
	s_delay_alu instid0(VALU_DEP_2) | instskip(NEXT) | instid1(VALU_DEP_1)
	v_and_b32_e32 v3, 7, v3
	v_cndmask_b32_e32 v3, v5, v3, vcc_lo
	s_delay_alu instid0(VALU_DEP_3) | instskip(NEXT) | instid1(VALU_DEP_2)
	v_lshl_add_u32 v5, v7, 23, 0x3b800000
	v_lshlrev_b32_e32 v3, 20, v3
	s_delay_alu instid0(VALU_DEP_1) | instskip(NEXT) | instid1(VALU_DEP_1)
	v_or3_b32 v1, v1, v5, v3
	v_cvt_i32_f32_e32 v22, v1
.LBB23_2273:
	s_or_b32 exec_lo, exec_lo, s15
.LBB23_2274:
	s_mov_b32 s15, -1
.LBB23_2275:
	s_mov_b32 s16, 0
.LBB23_2276:
	s_delay_alu instid0(SALU_CYCLE_1)
	s_and_b32 vcc_lo, exec_lo, s16
	s_cbranch_vccz .LBB23_2307
; %bb.2277:
	s_cmp_gt_i32 s12, 22
	s_cbranch_scc0 .LBB23_2285
; %bb.2278:
	s_cmp_lt_i32 s12, 24
	s_cbranch_scc1 .LBB23_2288
; %bb.2279:
	s_cmp_gt_i32 s12, 24
	s_cbranch_scc0 .LBB23_2289
; %bb.2280:
	global_load_u8 v1, v[24:25], off
	s_mov_b32 s15, 0
	s_mov_b32 s14, exec_lo
	s_wait_loadcnt 0x0
	v_cmpx_lt_i16_e32 0x7f, v1
	s_xor_b32 s14, exec_lo, s14
	s_cbranch_execz .LBB23_2301
; %bb.2281:
	v_cmp_ne_u16_e32 vcc_lo, 0x80, v1
	s_and_b32 s15, vcc_lo, exec_lo
	s_and_not1_saveexec_b32 s14, s14
	s_cbranch_execnz .LBB23_2302
.LBB23_2282:
	s_or_b32 exec_lo, exec_lo, s14
	v_mov_b32_e32 v22, 0
	s_and_saveexec_b32 s14, s15
	s_cbranch_execz .LBB23_2284
.LBB23_2283:
	v_and_b32_e32 v3, 0xffff, v1
	s_delay_alu instid0(VALU_DEP_1) | instskip(SKIP_1) | instid1(VALU_DEP_2)
	v_dual_lshlrev_b32 v1, 24, v1 :: v_dual_bitop2_b32 v5, 3, v3 bitop3:0x40
	v_bfe_u32 v11, v3, 2, 5
	v_and_b32_e32 v1, 0x80000000, v1
	s_delay_alu instid0(VALU_DEP_3) | instskip(NEXT) | instid1(VALU_DEP_3)
	v_clz_i32_u32_e32 v7, v5
	v_cmp_eq_u32_e32 vcc_lo, 0, v11
	s_delay_alu instid0(VALU_DEP_2) | instskip(NEXT) | instid1(VALU_DEP_1)
	v_min_u32_e32 v7, 32, v7
	v_subrev_nc_u32_e32 v9, 29, v7
	v_sub_nc_u32_e32 v7, 30, v7
	s_delay_alu instid0(VALU_DEP_2) | instskip(NEXT) | instid1(VALU_DEP_2)
	v_lshlrev_b32_e32 v3, v9, v3
	v_cndmask_b32_e32 v7, v11, v7, vcc_lo
	s_delay_alu instid0(VALU_DEP_2) | instskip(NEXT) | instid1(VALU_DEP_1)
	v_and_b32_e32 v3, 3, v3
	v_cndmask_b32_e32 v3, v5, v3, vcc_lo
	s_delay_alu instid0(VALU_DEP_3) | instskip(NEXT) | instid1(VALU_DEP_2)
	v_lshl_add_u32 v5, v7, 23, 0x37800000
	v_lshlrev_b32_e32 v3, 21, v3
	s_delay_alu instid0(VALU_DEP_1) | instskip(NEXT) | instid1(VALU_DEP_1)
	v_or3_b32 v1, v1, v5, v3
	v_cvt_i32_f32_e32 v22, v1
.LBB23_2284:
	s_or_b32 exec_lo, exec_lo, s14
	s_mov_b32 s14, 0
	s_branch .LBB23_2290
.LBB23_2285:
	s_mov_b32 s14, -1
                                        ; implicit-def: $vgpr22
	s_branch .LBB23_2296
.LBB23_2286:
	s_and_not1_saveexec_b32 s15, s15
	s_cbranch_execz .LBB23_2271
.LBB23_2287:
	v_cmp_ne_u16_e32 vcc_lo, 0, v1
	s_and_not1_b32 s16, s16, exec_lo
	s_and_b32 s17, vcc_lo, exec_lo
	s_delay_alu instid0(SALU_CYCLE_1)
	s_or_b32 s16, s16, s17
	s_or_b32 exec_lo, exec_lo, s15
	v_mov_b32_e32 v22, 0
	s_and_saveexec_b32 s15, s16
	s_cbranch_execnz .LBB23_2272
	s_branch .LBB23_2273
.LBB23_2288:
	s_mov_b32 s14, -1
                                        ; implicit-def: $vgpr22
	s_branch .LBB23_2293
.LBB23_2289:
	s_mov_b32 s14, -1
                                        ; implicit-def: $vgpr22
.LBB23_2290:
	s_delay_alu instid0(SALU_CYCLE_1)
	s_and_b32 vcc_lo, exec_lo, s14
	s_cbranch_vccz .LBB23_2292
; %bb.2291:
	global_load_u8 v1, v[24:25], off
	s_wait_loadcnt 0x0
	v_lshlrev_b32_e32 v1, 24, v1
	s_delay_alu instid0(VALU_DEP_1) | instskip(NEXT) | instid1(VALU_DEP_1)
	v_and_b32_e32 v3, 0x7f000000, v1
	v_clz_i32_u32_e32 v5, v3
	v_add_nc_u32_e32 v9, 0x1000000, v3
	v_cmp_ne_u32_e32 vcc_lo, 0, v3
	s_delay_alu instid0(VALU_DEP_3) | instskip(NEXT) | instid1(VALU_DEP_1)
	v_min_u32_e32 v5, 32, v5
	v_sub_nc_u32_e64 v5, v5, 4 clamp
	s_delay_alu instid0(VALU_DEP_1) | instskip(NEXT) | instid1(VALU_DEP_1)
	v_dual_lshlrev_b32 v7, v5, v3 :: v_dual_lshlrev_b32 v5, 23, v5
	v_lshrrev_b32_e32 v7, 4, v7
	s_delay_alu instid0(VALU_DEP_1) | instskip(SKIP_1) | instid1(VALU_DEP_2)
	v_sub_nc_u32_e32 v5, v7, v5
	v_ashrrev_i32_e32 v7, 8, v9
	v_add_nc_u32_e32 v5, 0x3c000000, v5
	s_delay_alu instid0(VALU_DEP_1) | instskip(NEXT) | instid1(VALU_DEP_1)
	v_and_or_b32 v5, 0x7f800000, v7, v5
	v_cndmask_b32_e32 v3, 0, v5, vcc_lo
	s_delay_alu instid0(VALU_DEP_1) | instskip(NEXT) | instid1(VALU_DEP_1)
	v_and_or_b32 v1, 0x80000000, v1, v3
	v_cvt_i32_f32_e32 v22, v1
.LBB23_2292:
	s_mov_b32 s14, 0
.LBB23_2293:
	s_delay_alu instid0(SALU_CYCLE_1)
	s_and_not1_b32 vcc_lo, exec_lo, s14
	s_cbranch_vccnz .LBB23_2295
; %bb.2294:
	global_load_u8 v1, v[24:25], off
	s_wait_loadcnt 0x0
	v_lshlrev_b32_e32 v3, 25, v1
	v_lshlrev_b16 v1, 8, v1
	s_delay_alu instid0(VALU_DEP_1) | instskip(SKIP_1) | instid1(VALU_DEP_2)
	v_and_or_b32 v7, 0x7f00, v1, 0.5
	v_bfe_i32 v1, v1, 0, 16
	v_add_f32_e32 v7, -0.5, v7
	v_lshrrev_b32_e32 v5, 4, v3
	v_cmp_gt_u32_e32 vcc_lo, 0x8000000, v3
	s_delay_alu instid0(VALU_DEP_2) | instskip(NEXT) | instid1(VALU_DEP_1)
	v_or_b32_e32 v5, 0x70000000, v5
	v_mul_f32_e32 v5, 0x7800000, v5
	s_delay_alu instid0(VALU_DEP_1) | instskip(NEXT) | instid1(VALU_DEP_1)
	v_cndmask_b32_e32 v3, v5, v7, vcc_lo
	v_and_or_b32 v1, 0x80000000, v1, v3
	s_delay_alu instid0(VALU_DEP_1)
	v_cvt_i32_f32_e32 v22, v1
.LBB23_2295:
	s_mov_b32 s14, 0
	s_mov_b32 s15, -1
.LBB23_2296:
	s_and_not1_b32 vcc_lo, exec_lo, s14
	s_mov_b32 s14, 0
	s_cbranch_vccnz .LBB23_2307
; %bb.2297:
	s_cmp_gt_i32 s12, 14
	s_cbranch_scc0 .LBB23_2300
; %bb.2298:
	s_cmp_eq_u32 s12, 15
	s_cbranch_scc0 .LBB23_2303
; %bb.2299:
	global_load_u16 v1, v[24:25], off
	s_mov_b32 s13, 0
	s_mov_b32 s15, -1
	s_wait_loadcnt 0x0
	v_lshlrev_b32_e32 v1, 16, v1
	s_delay_alu instid0(VALU_DEP_1)
	v_cvt_i32_f32_e32 v22, v1
	s_branch .LBB23_2305
.LBB23_2300:
	s_mov_b32 s14, -1
	s_branch .LBB23_2304
.LBB23_2301:
	s_and_not1_saveexec_b32 s14, s14
	s_cbranch_execz .LBB23_2282
.LBB23_2302:
	v_cmp_ne_u16_e32 vcc_lo, 0, v1
	s_and_not1_b32 s15, s15, exec_lo
	s_and_b32 s16, vcc_lo, exec_lo
	s_delay_alu instid0(SALU_CYCLE_1)
	s_or_b32 s15, s15, s16
	s_or_b32 exec_lo, exec_lo, s14
	v_mov_b32_e32 v22, 0
	s_and_saveexec_b32 s14, s15
	s_cbranch_execnz .LBB23_2283
	s_branch .LBB23_2284
.LBB23_2303:
	s_mov_b32 s13, -1
.LBB23_2304:
                                        ; implicit-def: $vgpr22
.LBB23_2305:
	s_and_b32 vcc_lo, exec_lo, s14
	s_mov_b32 s14, 0
	s_cbranch_vccz .LBB23_2307
; %bb.2306:
	s_cmp_lg_u32 s12, 11
	s_mov_b32 s14, -1
	s_cselect_b32 s13, -1, 0
.LBB23_2307:
	s_delay_alu instid0(SALU_CYCLE_1)
	s_and_b32 vcc_lo, exec_lo, s13
	s_cbranch_vccnz .LBB23_2372
; %bb.2308:
	s_and_not1_b32 vcc_lo, exec_lo, s14
	s_cbranch_vccnz .LBB23_2310
.LBB23_2309:
	global_load_u8 v1, v[24:25], off
	s_mov_b32 s15, -1
	s_wait_loadcnt 0x0
	v_cmp_ne_u16_e32 vcc_lo, 0, v1
	v_cndmask_b32_e64 v22, 0, 1, vcc_lo
.LBB23_2310:
	s_mov_b32 s13, 0
.LBB23_2311:
	s_delay_alu instid0(SALU_CYCLE_1)
	s_and_b32 vcc_lo, exec_lo, s13
	s_cbranch_vccz .LBB23_2360
; %bb.2312:
	s_cmp_lt_i32 s12, 5
	s_cbranch_scc1 .LBB23_2317
; %bb.2313:
	s_cmp_lt_i32 s12, 8
	s_cbranch_scc1 .LBB23_2318
	;; [unrolled: 3-line block ×3, first 2 shown]
; %bb.2315:
	s_cmp_gt_i32 s12, 9
	s_cbranch_scc0 .LBB23_2320
; %bb.2316:
	s_wait_loadcnt 0x0
	global_load_b64 v[22:23], v[24:25], off
	s_mov_b32 s13, 0
	s_wait_loadcnt 0x0
	v_cvt_i32_f64_e32 v22, v[22:23]
	s_branch .LBB23_2321
.LBB23_2317:
	s_mov_b32 s13, -1
                                        ; implicit-def: $vgpr22
	s_branch .LBB23_2339
.LBB23_2318:
	s_mov_b32 s13, -1
                                        ; implicit-def: $vgpr22
	s_branch .LBB23_2327
.LBB23_2319:
	s_mov_b32 s13, -1
                                        ; implicit-def: $vgpr22
	s_branch .LBB23_2324
.LBB23_2320:
	s_mov_b32 s13, -1
                                        ; implicit-def: $vgpr22
.LBB23_2321:
	s_delay_alu instid0(SALU_CYCLE_1)
	s_and_not1_b32 vcc_lo, exec_lo, s13
	s_cbranch_vccnz .LBB23_2323
; %bb.2322:
	global_load_b32 v1, v[24:25], off
	s_wait_loadcnt 0x0
	v_cvt_i32_f32_e32 v22, v1
.LBB23_2323:
	s_mov_b32 s13, 0
.LBB23_2324:
	s_delay_alu instid0(SALU_CYCLE_1)
	s_and_not1_b32 vcc_lo, exec_lo, s13
	s_cbranch_vccnz .LBB23_2326
; %bb.2325:
	global_load_b32 v1, v[24:25], off
	s_wait_loadcnt 0x0
	v_cvt_i16_f16_e32 v22, v1
.LBB23_2326:
	s_mov_b32 s13, 0
.LBB23_2327:
	s_delay_alu instid0(SALU_CYCLE_1)
	s_and_not1_b32 vcc_lo, exec_lo, s13
	s_cbranch_vccnz .LBB23_2338
; %bb.2328:
	s_cmp_lt_i32 s12, 6
	s_cbranch_scc1 .LBB23_2331
; %bb.2329:
	s_cmp_gt_i32 s12, 6
	s_cbranch_scc0 .LBB23_2332
; %bb.2330:
	s_wait_loadcnt 0x0
	global_load_b64 v[22:23], v[24:25], off
	s_mov_b32 s13, 0
	s_wait_loadcnt 0x0
	v_cvt_i32_f64_e32 v22, v[22:23]
	s_branch .LBB23_2333
.LBB23_2331:
	s_mov_b32 s13, -1
                                        ; implicit-def: $vgpr22
	s_branch .LBB23_2336
.LBB23_2332:
	s_mov_b32 s13, -1
                                        ; implicit-def: $vgpr22
.LBB23_2333:
	s_delay_alu instid0(SALU_CYCLE_1)
	s_and_not1_b32 vcc_lo, exec_lo, s13
	s_cbranch_vccnz .LBB23_2335
; %bb.2334:
	global_load_b32 v1, v[24:25], off
	s_wait_loadcnt 0x0
	v_cvt_i32_f32_e32 v22, v1
.LBB23_2335:
	s_mov_b32 s13, 0
.LBB23_2336:
	s_delay_alu instid0(SALU_CYCLE_1)
	s_and_not1_b32 vcc_lo, exec_lo, s13
	s_cbranch_vccnz .LBB23_2338
; %bb.2337:
	global_load_u16 v1, v[24:25], off
	s_wait_loadcnt 0x0
	v_cvt_i16_f16_e32 v22, v1
.LBB23_2338:
	s_mov_b32 s13, 0
.LBB23_2339:
	s_delay_alu instid0(SALU_CYCLE_1)
	s_and_not1_b32 vcc_lo, exec_lo, s13
	s_cbranch_vccnz .LBB23_2359
; %bb.2340:
	s_cmp_lt_i32 s12, 2
	s_cbranch_scc1 .LBB23_2344
; %bb.2341:
	s_cmp_lt_i32 s12, 3
	s_cbranch_scc1 .LBB23_2345
; %bb.2342:
	s_cmp_gt_i32 s12, 3
	s_cbranch_scc0 .LBB23_2346
; %bb.2343:
	s_wait_loadcnt 0x0
	global_load_b64 v[22:23], v[24:25], off
	s_mov_b32 s13, 0
	s_branch .LBB23_2347
.LBB23_2344:
	s_mov_b32 s13, -1
                                        ; implicit-def: $vgpr22
	s_branch .LBB23_2353
.LBB23_2345:
	s_mov_b32 s13, -1
                                        ; implicit-def: $vgpr22
	s_branch .LBB23_2350
.LBB23_2346:
	s_mov_b32 s13, -1
                                        ; implicit-def: $vgpr22
.LBB23_2347:
	s_delay_alu instid0(SALU_CYCLE_1)
	s_and_not1_b32 vcc_lo, exec_lo, s13
	s_cbranch_vccnz .LBB23_2349
; %bb.2348:
	s_wait_loadcnt 0x0
	global_load_b32 v22, v[24:25], off
.LBB23_2349:
	s_mov_b32 s13, 0
.LBB23_2350:
	s_delay_alu instid0(SALU_CYCLE_1)
	s_and_not1_b32 vcc_lo, exec_lo, s13
	s_cbranch_vccnz .LBB23_2352
; %bb.2351:
	s_wait_loadcnt 0x0
	global_load_u16 v22, v[24:25], off
.LBB23_2352:
	s_mov_b32 s13, 0
.LBB23_2353:
	s_delay_alu instid0(SALU_CYCLE_1)
	s_and_not1_b32 vcc_lo, exec_lo, s13
	s_cbranch_vccnz .LBB23_2359
; %bb.2354:
	s_cmp_gt_i32 s12, 0
	s_mov_b32 s13, 0
	s_cbranch_scc0 .LBB23_2356
; %bb.2355:
	s_wait_loadcnt 0x0
	global_load_u8 v22, v[24:25], off
	s_branch .LBB23_2357
.LBB23_2356:
	s_mov_b32 s13, -1
                                        ; implicit-def: $vgpr22
.LBB23_2357:
	s_delay_alu instid0(SALU_CYCLE_1)
	s_and_not1_b32 vcc_lo, exec_lo, s13
	s_cbranch_vccnz .LBB23_2359
; %bb.2358:
	s_wait_loadcnt 0x0
	global_load_u8 v22, v[24:25], off
.LBB23_2359:
	s_mov_b32 s15, -1
.LBB23_2360:
	s_delay_alu instid0(SALU_CYCLE_1)
	s_and_not1_b32 vcc_lo, exec_lo, s15
	s_cbranch_vccnz .LBB23_3047
; %bb.2361:
	v_mov_b32_e32 v17, 0
	s_cmp_lt_i32 s11, 11
	s_wait_xcnt 0x0
	s_delay_alu instid0(VALU_DEP_1)
	v_add_nc_u64_e32 v[24:25], s[6:7], v[16:17]
	s_cbranch_scc1 .LBB23_2368
; %bb.2362:
	s_cmp_gt_i32 s11, 25
	s_mov_b32 s7, 0
	s_cbranch_scc0 .LBB23_2369
; %bb.2363:
	s_cmp_gt_i32 s11, 28
	s_cbranch_scc0 .LBB23_2370
; %bb.2364:
	s_cmp_gt_i32 s11, 43
	;; [unrolled: 3-line block ×3, first 2 shown]
	s_cbranch_scc0 .LBB23_2373
; %bb.2366:
	s_cmp_eq_u32 s11, 46
	s_mov_b32 s14, 0
	s_cbranch_scc0 .LBB23_2374
; %bb.2367:
	global_load_b32 v1, v[24:25], off
	s_mov_b32 s6, 0
	s_mov_b32 s13, -1
	s_wait_loadcnt 0x0
	v_lshlrev_b32_e32 v1, 16, v1
	s_delay_alu instid0(VALU_DEP_1)
	v_cvt_i32_f32_e32 v16, v1
	s_branch .LBB23_2376
.LBB23_2368:
	s_mov_b32 s6, -1
	s_mov_b32 s13, 0
                                        ; implicit-def: $vgpr16
	s_branch .LBB23_2438
.LBB23_2369:
	s_mov_b32 s14, -1
	s_mov_b32 s13, 0
	s_mov_b32 s6, 0
                                        ; implicit-def: $vgpr16
	s_branch .LBB23_2403
.LBB23_2370:
	s_mov_b32 s14, -1
	s_mov_b32 s13, 0
	s_mov_b32 s6, 0
                                        ; implicit-def: $vgpr16
	s_branch .LBB23_2386
.LBB23_2371:
	s_mov_b32 s14, -1
	s_mov_b32 s13, 0
	s_mov_b32 s6, 0
                                        ; implicit-def: $vgpr16
	s_branch .LBB23_2381
.LBB23_2372:
	s_or_b32 s10, s10, exec_lo
	s_trap 2
	s_cbranch_execz .LBB23_2309
	s_branch .LBB23_2310
.LBB23_2373:
	s_mov_b32 s14, -1
	s_mov_b32 s13, 0
	s_mov_b32 s6, 0
	s_branch .LBB23_2375
.LBB23_2374:
	s_mov_b32 s6, -1
	s_mov_b32 s13, 0
.LBB23_2375:
                                        ; implicit-def: $vgpr16
.LBB23_2376:
	s_and_b32 vcc_lo, exec_lo, s14
	s_cbranch_vccz .LBB23_2380
; %bb.2377:
	s_cmp_eq_u32 s11, 44
	s_cbranch_scc0 .LBB23_2379
; %bb.2378:
	global_load_u8 v1, v[24:25], off
	s_mov_b32 s6, 0
	s_mov_b32 s13, -1
	s_wait_loadcnt 0x0
	v_lshlrev_b32_e32 v3, 23, v1
	v_cmp_ne_u32_e32 vcc_lo, 0, v1
	s_delay_alu instid0(VALU_DEP_2) | instskip(NEXT) | instid1(VALU_DEP_1)
	v_cvt_i32_f32_e32 v3, v3
	v_cndmask_b32_e32 v16, 0, v3, vcc_lo
	s_branch .LBB23_2380
.LBB23_2379:
	s_mov_b32 s6, -1
                                        ; implicit-def: $vgpr16
.LBB23_2380:
	s_mov_b32 s14, 0
.LBB23_2381:
	s_delay_alu instid0(SALU_CYCLE_1)
	s_and_b32 vcc_lo, exec_lo, s14
	s_cbranch_vccz .LBB23_2385
; %bb.2382:
	s_cmp_eq_u32 s11, 29
	s_cbranch_scc0 .LBB23_2384
; %bb.2383:
	global_load_b64 v[16:17], v[24:25], off
	s_mov_b32 s6, 0
	s_mov_b32 s13, -1
	s_branch .LBB23_2385
.LBB23_2384:
	s_mov_b32 s6, -1
                                        ; implicit-def: $vgpr16
.LBB23_2385:
	s_mov_b32 s14, 0
.LBB23_2386:
	s_delay_alu instid0(SALU_CYCLE_1)
	s_and_b32 vcc_lo, exec_lo, s14
	s_cbranch_vccz .LBB23_2402
; %bb.2387:
	s_cmp_lt_i32 s11, 27
	s_cbranch_scc1 .LBB23_2390
; %bb.2388:
	s_cmp_gt_i32 s11, 27
	s_cbranch_scc0 .LBB23_2391
; %bb.2389:
	s_wait_loadcnt 0x0
	global_load_b32 v16, v[24:25], off
	s_mov_b32 s13, 0
	s_branch .LBB23_2392
.LBB23_2390:
	s_mov_b32 s13, -1
                                        ; implicit-def: $vgpr16
	s_branch .LBB23_2395
.LBB23_2391:
	s_mov_b32 s13, -1
                                        ; implicit-def: $vgpr16
.LBB23_2392:
	s_delay_alu instid0(SALU_CYCLE_1)
	s_and_not1_b32 vcc_lo, exec_lo, s13
	s_cbranch_vccnz .LBB23_2394
; %bb.2393:
	s_wait_loadcnt 0x0
	global_load_u16 v16, v[24:25], off
.LBB23_2394:
	s_mov_b32 s13, 0
.LBB23_2395:
	s_delay_alu instid0(SALU_CYCLE_1)
	s_and_not1_b32 vcc_lo, exec_lo, s13
	s_cbranch_vccnz .LBB23_2401
; %bb.2396:
	global_load_u8 v1, v[24:25], off
	s_mov_b32 s14, 0
	s_mov_b32 s13, exec_lo
	s_wait_loadcnt 0x0
	v_cmpx_lt_i16_e32 0x7f, v1
	s_xor_b32 s13, exec_lo, s13
	s_cbranch_execz .LBB23_2413
; %bb.2397:
	v_cmp_ne_u16_e32 vcc_lo, 0x80, v1
	s_and_b32 s14, vcc_lo, exec_lo
	s_and_not1_saveexec_b32 s13, s13
	s_cbranch_execnz .LBB23_2414
.LBB23_2398:
	s_or_b32 exec_lo, exec_lo, s13
	v_mov_b32_e32 v16, 0
	s_and_saveexec_b32 s13, s14
	s_cbranch_execz .LBB23_2400
.LBB23_2399:
	v_and_b32_e32 v3, 0xffff, v1
	s_delay_alu instid0(VALU_DEP_1) | instskip(SKIP_1) | instid1(VALU_DEP_2)
	v_dual_lshlrev_b32 v1, 24, v1 :: v_dual_bitop2_b32 v5, 7, v3 bitop3:0x40
	v_bfe_u32 v11, v3, 3, 4
	v_and_b32_e32 v1, 0x80000000, v1
	s_delay_alu instid0(VALU_DEP_3) | instskip(NEXT) | instid1(VALU_DEP_3)
	v_clz_i32_u32_e32 v7, v5
	v_cmp_eq_u32_e32 vcc_lo, 0, v11
	s_delay_alu instid0(VALU_DEP_2) | instskip(NEXT) | instid1(VALU_DEP_1)
	v_min_u32_e32 v7, 32, v7
	v_subrev_nc_u32_e32 v9, 28, v7
	v_sub_nc_u32_e32 v7, 29, v7
	s_delay_alu instid0(VALU_DEP_2) | instskip(NEXT) | instid1(VALU_DEP_2)
	v_lshlrev_b32_e32 v3, v9, v3
	v_cndmask_b32_e32 v7, v11, v7, vcc_lo
	s_delay_alu instid0(VALU_DEP_2) | instskip(NEXT) | instid1(VALU_DEP_1)
	v_and_b32_e32 v3, 7, v3
	v_cndmask_b32_e32 v3, v5, v3, vcc_lo
	s_delay_alu instid0(VALU_DEP_3) | instskip(NEXT) | instid1(VALU_DEP_2)
	v_lshl_add_u32 v5, v7, 23, 0x3b800000
	v_lshlrev_b32_e32 v3, 20, v3
	s_delay_alu instid0(VALU_DEP_1) | instskip(NEXT) | instid1(VALU_DEP_1)
	v_or3_b32 v1, v1, v5, v3
	v_cvt_i32_f32_e32 v16, v1
.LBB23_2400:
	s_or_b32 exec_lo, exec_lo, s13
.LBB23_2401:
	s_mov_b32 s13, -1
.LBB23_2402:
	s_mov_b32 s14, 0
.LBB23_2403:
	s_delay_alu instid0(SALU_CYCLE_1)
	s_and_b32 vcc_lo, exec_lo, s14
	s_cbranch_vccz .LBB23_2434
; %bb.2404:
	s_cmp_gt_i32 s11, 22
	s_cbranch_scc0 .LBB23_2412
; %bb.2405:
	s_cmp_lt_i32 s11, 24
	s_cbranch_scc1 .LBB23_2415
; %bb.2406:
	s_cmp_gt_i32 s11, 24
	s_cbranch_scc0 .LBB23_2416
; %bb.2407:
	global_load_u8 v1, v[24:25], off
	s_mov_b32 s13, 0
	s_mov_b32 s7, exec_lo
	s_wait_loadcnt 0x0
	v_cmpx_lt_i16_e32 0x7f, v1
	s_xor_b32 s7, exec_lo, s7
	s_cbranch_execz .LBB23_2428
; %bb.2408:
	v_cmp_ne_u16_e32 vcc_lo, 0x80, v1
	s_and_b32 s13, vcc_lo, exec_lo
	s_and_not1_saveexec_b32 s7, s7
	s_cbranch_execnz .LBB23_2429
.LBB23_2409:
	s_or_b32 exec_lo, exec_lo, s7
	v_mov_b32_e32 v16, 0
	s_and_saveexec_b32 s7, s13
	s_cbranch_execz .LBB23_2411
.LBB23_2410:
	v_and_b32_e32 v3, 0xffff, v1
	s_delay_alu instid0(VALU_DEP_1) | instskip(SKIP_1) | instid1(VALU_DEP_2)
	v_dual_lshlrev_b32 v1, 24, v1 :: v_dual_bitop2_b32 v5, 3, v3 bitop3:0x40
	v_bfe_u32 v11, v3, 2, 5
	v_and_b32_e32 v1, 0x80000000, v1
	s_delay_alu instid0(VALU_DEP_3) | instskip(NEXT) | instid1(VALU_DEP_3)
	v_clz_i32_u32_e32 v7, v5
	v_cmp_eq_u32_e32 vcc_lo, 0, v11
	s_delay_alu instid0(VALU_DEP_2) | instskip(NEXT) | instid1(VALU_DEP_1)
	v_min_u32_e32 v7, 32, v7
	v_subrev_nc_u32_e32 v9, 29, v7
	v_sub_nc_u32_e32 v7, 30, v7
	s_delay_alu instid0(VALU_DEP_2) | instskip(NEXT) | instid1(VALU_DEP_2)
	v_lshlrev_b32_e32 v3, v9, v3
	v_cndmask_b32_e32 v7, v11, v7, vcc_lo
	s_delay_alu instid0(VALU_DEP_2) | instskip(NEXT) | instid1(VALU_DEP_1)
	v_and_b32_e32 v3, 3, v3
	v_cndmask_b32_e32 v3, v5, v3, vcc_lo
	s_delay_alu instid0(VALU_DEP_3) | instskip(NEXT) | instid1(VALU_DEP_2)
	v_lshl_add_u32 v5, v7, 23, 0x37800000
	v_lshlrev_b32_e32 v3, 21, v3
	s_delay_alu instid0(VALU_DEP_1) | instskip(NEXT) | instid1(VALU_DEP_1)
	v_or3_b32 v1, v1, v5, v3
	v_cvt_i32_f32_e32 v16, v1
.LBB23_2411:
	s_or_b32 exec_lo, exec_lo, s7
	s_mov_b32 s7, 0
	s_branch .LBB23_2417
.LBB23_2412:
	s_mov_b32 s7, -1
                                        ; implicit-def: $vgpr16
	s_branch .LBB23_2423
.LBB23_2413:
	s_and_not1_saveexec_b32 s13, s13
	s_cbranch_execz .LBB23_2398
.LBB23_2414:
	v_cmp_ne_u16_e32 vcc_lo, 0, v1
	s_and_not1_b32 s14, s14, exec_lo
	s_and_b32 s15, vcc_lo, exec_lo
	s_delay_alu instid0(SALU_CYCLE_1)
	s_or_b32 s14, s14, s15
	s_or_b32 exec_lo, exec_lo, s13
	v_mov_b32_e32 v16, 0
	s_and_saveexec_b32 s13, s14
	s_cbranch_execnz .LBB23_2399
	s_branch .LBB23_2400
.LBB23_2415:
	s_mov_b32 s7, -1
                                        ; implicit-def: $vgpr16
	s_branch .LBB23_2420
.LBB23_2416:
	s_mov_b32 s7, -1
                                        ; implicit-def: $vgpr16
.LBB23_2417:
	s_delay_alu instid0(SALU_CYCLE_1)
	s_and_b32 vcc_lo, exec_lo, s7
	s_cbranch_vccz .LBB23_2419
; %bb.2418:
	global_load_u8 v1, v[24:25], off
	s_wait_loadcnt 0x0
	v_lshlrev_b32_e32 v1, 24, v1
	s_delay_alu instid0(VALU_DEP_1) | instskip(NEXT) | instid1(VALU_DEP_1)
	v_and_b32_e32 v3, 0x7f000000, v1
	v_clz_i32_u32_e32 v5, v3
	v_add_nc_u32_e32 v9, 0x1000000, v3
	v_cmp_ne_u32_e32 vcc_lo, 0, v3
	s_delay_alu instid0(VALU_DEP_3) | instskip(NEXT) | instid1(VALU_DEP_1)
	v_min_u32_e32 v5, 32, v5
	v_sub_nc_u32_e64 v5, v5, 4 clamp
	s_delay_alu instid0(VALU_DEP_1) | instskip(NEXT) | instid1(VALU_DEP_1)
	v_dual_lshlrev_b32 v7, v5, v3 :: v_dual_lshlrev_b32 v5, 23, v5
	v_lshrrev_b32_e32 v7, 4, v7
	s_delay_alu instid0(VALU_DEP_1) | instskip(SKIP_1) | instid1(VALU_DEP_2)
	v_sub_nc_u32_e32 v5, v7, v5
	v_ashrrev_i32_e32 v7, 8, v9
	v_add_nc_u32_e32 v5, 0x3c000000, v5
	s_delay_alu instid0(VALU_DEP_1) | instskip(NEXT) | instid1(VALU_DEP_1)
	v_and_or_b32 v5, 0x7f800000, v7, v5
	v_cndmask_b32_e32 v3, 0, v5, vcc_lo
	s_delay_alu instid0(VALU_DEP_1) | instskip(NEXT) | instid1(VALU_DEP_1)
	v_and_or_b32 v1, 0x80000000, v1, v3
	v_cvt_i32_f32_e32 v16, v1
.LBB23_2419:
	s_mov_b32 s7, 0
.LBB23_2420:
	s_delay_alu instid0(SALU_CYCLE_1)
	s_and_not1_b32 vcc_lo, exec_lo, s7
	s_cbranch_vccnz .LBB23_2422
; %bb.2421:
	global_load_u8 v1, v[24:25], off
	s_wait_loadcnt 0x0
	v_lshlrev_b32_e32 v3, 25, v1
	v_lshlrev_b16 v1, 8, v1
	s_delay_alu instid0(VALU_DEP_1) | instskip(SKIP_1) | instid1(VALU_DEP_2)
	v_and_or_b32 v7, 0x7f00, v1, 0.5
	v_bfe_i32 v1, v1, 0, 16
	v_add_f32_e32 v7, -0.5, v7
	v_lshrrev_b32_e32 v5, 4, v3
	v_cmp_gt_u32_e32 vcc_lo, 0x8000000, v3
	s_delay_alu instid0(VALU_DEP_2) | instskip(NEXT) | instid1(VALU_DEP_1)
	v_or_b32_e32 v5, 0x70000000, v5
	v_mul_f32_e32 v5, 0x7800000, v5
	s_delay_alu instid0(VALU_DEP_1) | instskip(NEXT) | instid1(VALU_DEP_1)
	v_cndmask_b32_e32 v3, v5, v7, vcc_lo
	v_and_or_b32 v1, 0x80000000, v1, v3
	s_delay_alu instid0(VALU_DEP_1)
	v_cvt_i32_f32_e32 v16, v1
.LBB23_2422:
	s_mov_b32 s7, 0
	s_mov_b32 s13, -1
.LBB23_2423:
	s_and_not1_b32 vcc_lo, exec_lo, s7
	s_mov_b32 s7, 0
	s_cbranch_vccnz .LBB23_2434
; %bb.2424:
	s_cmp_gt_i32 s11, 14
	s_cbranch_scc0 .LBB23_2427
; %bb.2425:
	s_cmp_eq_u32 s11, 15
	s_cbranch_scc0 .LBB23_2430
; %bb.2426:
	global_load_u16 v1, v[24:25], off
	s_mov_b32 s6, 0
	s_mov_b32 s13, -1
	s_wait_loadcnt 0x0
	v_lshlrev_b32_e32 v1, 16, v1
	s_delay_alu instid0(VALU_DEP_1)
	v_cvt_i32_f32_e32 v16, v1
	s_branch .LBB23_2432
.LBB23_2427:
	s_mov_b32 s7, -1
	s_branch .LBB23_2431
.LBB23_2428:
	s_and_not1_saveexec_b32 s7, s7
	s_cbranch_execz .LBB23_2409
.LBB23_2429:
	v_cmp_ne_u16_e32 vcc_lo, 0, v1
	s_and_not1_b32 s13, s13, exec_lo
	s_and_b32 s14, vcc_lo, exec_lo
	s_delay_alu instid0(SALU_CYCLE_1)
	s_or_b32 s13, s13, s14
	s_or_b32 exec_lo, exec_lo, s7
	v_mov_b32_e32 v16, 0
	s_and_saveexec_b32 s7, s13
	s_cbranch_execnz .LBB23_2410
	s_branch .LBB23_2411
.LBB23_2430:
	s_mov_b32 s6, -1
.LBB23_2431:
                                        ; implicit-def: $vgpr16
.LBB23_2432:
	s_and_b32 vcc_lo, exec_lo, s7
	s_mov_b32 s7, 0
	s_cbranch_vccz .LBB23_2434
; %bb.2433:
	s_cmp_lg_u32 s11, 11
	s_mov_b32 s7, -1
	s_cselect_b32 s6, -1, 0
.LBB23_2434:
	s_delay_alu instid0(SALU_CYCLE_1)
	s_and_b32 vcc_lo, exec_lo, s6
	s_cbranch_vccnz .LBB23_2499
; %bb.2435:
	s_and_not1_b32 vcc_lo, exec_lo, s7
	s_cbranch_vccnz .LBB23_2437
.LBB23_2436:
	global_load_u8 v1, v[24:25], off
	s_mov_b32 s13, -1
	s_wait_loadcnt 0x0
	v_cmp_ne_u16_e32 vcc_lo, 0, v1
	v_cndmask_b32_e64 v16, 0, 1, vcc_lo
.LBB23_2437:
	s_mov_b32 s6, 0
.LBB23_2438:
	s_delay_alu instid0(SALU_CYCLE_1)
	s_and_b32 vcc_lo, exec_lo, s6
	s_cbranch_vccz .LBB23_2487
; %bb.2439:
	s_cmp_lt_i32 s11, 5
	s_cbranch_scc1 .LBB23_2444
; %bb.2440:
	s_cmp_lt_i32 s11, 8
	s_cbranch_scc1 .LBB23_2445
	;; [unrolled: 3-line block ×3, first 2 shown]
; %bb.2442:
	s_cmp_gt_i32 s11, 9
	s_cbranch_scc0 .LBB23_2447
; %bb.2443:
	s_wait_loadcnt 0x0
	global_load_b64 v[16:17], v[24:25], off
	s_mov_b32 s6, 0
	s_wait_loadcnt 0x0
	v_cvt_i32_f64_e32 v16, v[16:17]
	s_branch .LBB23_2448
.LBB23_2444:
	s_mov_b32 s6, -1
                                        ; implicit-def: $vgpr16
	s_branch .LBB23_2466
.LBB23_2445:
	s_mov_b32 s6, -1
                                        ; implicit-def: $vgpr16
	s_branch .LBB23_2454
.LBB23_2446:
	s_mov_b32 s6, -1
                                        ; implicit-def: $vgpr16
	s_branch .LBB23_2451
.LBB23_2447:
	s_mov_b32 s6, -1
                                        ; implicit-def: $vgpr16
.LBB23_2448:
	s_delay_alu instid0(SALU_CYCLE_1)
	s_and_not1_b32 vcc_lo, exec_lo, s6
	s_cbranch_vccnz .LBB23_2450
; %bb.2449:
	global_load_b32 v1, v[24:25], off
	s_wait_loadcnt 0x0
	v_cvt_i32_f32_e32 v16, v1
.LBB23_2450:
	s_mov_b32 s6, 0
.LBB23_2451:
	s_delay_alu instid0(SALU_CYCLE_1)
	s_and_not1_b32 vcc_lo, exec_lo, s6
	s_cbranch_vccnz .LBB23_2453
; %bb.2452:
	global_load_b32 v1, v[24:25], off
	s_wait_loadcnt 0x0
	v_cvt_i16_f16_e32 v16, v1
.LBB23_2453:
	s_mov_b32 s6, 0
.LBB23_2454:
	s_delay_alu instid0(SALU_CYCLE_1)
	s_and_not1_b32 vcc_lo, exec_lo, s6
	s_cbranch_vccnz .LBB23_2465
; %bb.2455:
	s_cmp_lt_i32 s11, 6
	s_cbranch_scc1 .LBB23_2458
; %bb.2456:
	s_cmp_gt_i32 s11, 6
	s_cbranch_scc0 .LBB23_2459
; %bb.2457:
	s_wait_loadcnt 0x0
	global_load_b64 v[16:17], v[24:25], off
	s_mov_b32 s6, 0
	s_wait_loadcnt 0x0
	v_cvt_i32_f64_e32 v16, v[16:17]
	s_branch .LBB23_2460
.LBB23_2458:
	s_mov_b32 s6, -1
                                        ; implicit-def: $vgpr16
	s_branch .LBB23_2463
.LBB23_2459:
	s_mov_b32 s6, -1
                                        ; implicit-def: $vgpr16
.LBB23_2460:
	s_delay_alu instid0(SALU_CYCLE_1)
	s_and_not1_b32 vcc_lo, exec_lo, s6
	s_cbranch_vccnz .LBB23_2462
; %bb.2461:
	global_load_b32 v1, v[24:25], off
	s_wait_loadcnt 0x0
	v_cvt_i32_f32_e32 v16, v1
.LBB23_2462:
	s_mov_b32 s6, 0
.LBB23_2463:
	s_delay_alu instid0(SALU_CYCLE_1)
	s_and_not1_b32 vcc_lo, exec_lo, s6
	s_cbranch_vccnz .LBB23_2465
; %bb.2464:
	global_load_u16 v1, v[24:25], off
	s_wait_loadcnt 0x0
	v_cvt_i16_f16_e32 v16, v1
.LBB23_2465:
	s_mov_b32 s6, 0
.LBB23_2466:
	s_delay_alu instid0(SALU_CYCLE_1)
	s_and_not1_b32 vcc_lo, exec_lo, s6
	s_cbranch_vccnz .LBB23_2486
; %bb.2467:
	s_cmp_lt_i32 s11, 2
	s_cbranch_scc1 .LBB23_2471
; %bb.2468:
	s_cmp_lt_i32 s11, 3
	s_cbranch_scc1 .LBB23_2472
; %bb.2469:
	s_cmp_gt_i32 s11, 3
	s_cbranch_scc0 .LBB23_2473
; %bb.2470:
	s_wait_loadcnt 0x0
	global_load_b64 v[16:17], v[24:25], off
	s_mov_b32 s6, 0
	s_branch .LBB23_2474
.LBB23_2471:
	s_mov_b32 s6, -1
                                        ; implicit-def: $vgpr16
	s_branch .LBB23_2480
.LBB23_2472:
	s_mov_b32 s6, -1
                                        ; implicit-def: $vgpr16
	s_branch .LBB23_2477
.LBB23_2473:
	s_mov_b32 s6, -1
                                        ; implicit-def: $vgpr16
.LBB23_2474:
	s_delay_alu instid0(SALU_CYCLE_1)
	s_and_not1_b32 vcc_lo, exec_lo, s6
	s_cbranch_vccnz .LBB23_2476
; %bb.2475:
	s_wait_loadcnt 0x0
	global_load_b32 v16, v[24:25], off
.LBB23_2476:
	s_mov_b32 s6, 0
.LBB23_2477:
	s_delay_alu instid0(SALU_CYCLE_1)
	s_and_not1_b32 vcc_lo, exec_lo, s6
	s_cbranch_vccnz .LBB23_2479
; %bb.2478:
	s_wait_loadcnt 0x0
	global_load_u16 v16, v[24:25], off
.LBB23_2479:
	s_mov_b32 s6, 0
.LBB23_2480:
	s_delay_alu instid0(SALU_CYCLE_1)
	s_and_not1_b32 vcc_lo, exec_lo, s6
	s_cbranch_vccnz .LBB23_2486
; %bb.2481:
	s_cmp_gt_i32 s11, 0
	s_mov_b32 s6, 0
	s_cbranch_scc0 .LBB23_2483
; %bb.2482:
	s_wait_loadcnt 0x0
	global_load_u8 v16, v[24:25], off
	s_branch .LBB23_2484
.LBB23_2483:
	s_mov_b32 s6, -1
                                        ; implicit-def: $vgpr16
.LBB23_2484:
	s_delay_alu instid0(SALU_CYCLE_1)
	s_and_not1_b32 vcc_lo, exec_lo, s6
	s_cbranch_vccnz .LBB23_2486
; %bb.2485:
	s_wait_loadcnt 0x0
	global_load_u8 v16, v[24:25], off
.LBB23_2486:
	s_mov_b32 s13, -1
.LBB23_2487:
	s_delay_alu instid0(SALU_CYCLE_1)
	s_and_not1_b32 vcc_lo, exec_lo, s13
	s_cbranch_vccnz .LBB23_3047
; %bb.2488:
	v_mov_b32_e32 v11, 0
	s_cmp_lt_i32 s12, 11
	s_wait_xcnt 0x0
	s_delay_alu instid0(VALU_DEP_1)
	v_add_nc_u64_e32 v[24:25], s[0:1], v[10:11]
	s_cbranch_scc1 .LBB23_2495
; %bb.2489:
	s_cmp_gt_i32 s12, 25
	s_mov_b32 s1, 0
	s_cbranch_scc0 .LBB23_2496
; %bb.2490:
	s_cmp_gt_i32 s12, 28
	s_cbranch_scc0 .LBB23_2497
; %bb.2491:
	s_cmp_gt_i32 s12, 43
	;; [unrolled: 3-line block ×3, first 2 shown]
	s_cbranch_scc0 .LBB23_2500
; %bb.2493:
	s_cmp_eq_u32 s12, 46
	s_mov_b32 s7, 0
	s_cbranch_scc0 .LBB23_2501
; %bb.2494:
	global_load_b32 v1, v[24:25], off
	s_mov_b32 s0, 0
	s_mov_b32 s6, -1
	s_wait_loadcnt 0x0
	v_lshlrev_b32_e32 v1, 16, v1
	s_delay_alu instid0(VALU_DEP_1)
	v_cvt_i32_f32_e32 v10, v1
	s_branch .LBB23_2503
.LBB23_2495:
	s_mov_b32 s0, -1
	s_mov_b32 s6, 0
                                        ; implicit-def: $vgpr10
	s_branch .LBB23_2565
.LBB23_2496:
	s_mov_b32 s7, -1
	s_mov_b32 s6, 0
	s_mov_b32 s0, 0
                                        ; implicit-def: $vgpr10
	s_branch .LBB23_2530
.LBB23_2497:
	s_mov_b32 s7, -1
	s_mov_b32 s6, 0
	s_mov_b32 s0, 0
                                        ; implicit-def: $vgpr10
	s_branch .LBB23_2513
.LBB23_2498:
	s_mov_b32 s7, -1
	s_mov_b32 s6, 0
	s_mov_b32 s0, 0
                                        ; implicit-def: $vgpr10
	s_branch .LBB23_2508
.LBB23_2499:
	s_or_b32 s10, s10, exec_lo
	s_trap 2
	s_cbranch_execz .LBB23_2436
	s_branch .LBB23_2437
.LBB23_2500:
	s_mov_b32 s7, -1
	s_mov_b32 s6, 0
	s_mov_b32 s0, 0
	s_branch .LBB23_2502
.LBB23_2501:
	s_mov_b32 s0, -1
	s_mov_b32 s6, 0
.LBB23_2502:
                                        ; implicit-def: $vgpr10
.LBB23_2503:
	s_and_b32 vcc_lo, exec_lo, s7
	s_cbranch_vccz .LBB23_2507
; %bb.2504:
	s_cmp_eq_u32 s12, 44
	s_cbranch_scc0 .LBB23_2506
; %bb.2505:
	global_load_u8 v1, v[24:25], off
	s_mov_b32 s0, 0
	s_mov_b32 s6, -1
	s_wait_loadcnt 0x0
	v_lshlrev_b32_e32 v3, 23, v1
	v_cmp_ne_u32_e32 vcc_lo, 0, v1
	s_delay_alu instid0(VALU_DEP_2) | instskip(NEXT) | instid1(VALU_DEP_1)
	v_cvt_i32_f32_e32 v3, v3
	v_cndmask_b32_e32 v10, 0, v3, vcc_lo
	s_branch .LBB23_2507
.LBB23_2506:
	s_mov_b32 s0, -1
                                        ; implicit-def: $vgpr10
.LBB23_2507:
	s_mov_b32 s7, 0
.LBB23_2508:
	s_delay_alu instid0(SALU_CYCLE_1)
	s_and_b32 vcc_lo, exec_lo, s7
	s_cbranch_vccz .LBB23_2512
; %bb.2509:
	s_cmp_eq_u32 s12, 29
	s_cbranch_scc0 .LBB23_2511
; %bb.2510:
	global_load_b64 v[10:11], v[24:25], off
	s_mov_b32 s0, 0
	s_mov_b32 s6, -1
	s_branch .LBB23_2512
.LBB23_2511:
	s_mov_b32 s0, -1
                                        ; implicit-def: $vgpr10
.LBB23_2512:
	s_mov_b32 s7, 0
.LBB23_2513:
	s_delay_alu instid0(SALU_CYCLE_1)
	s_and_b32 vcc_lo, exec_lo, s7
	s_cbranch_vccz .LBB23_2529
; %bb.2514:
	s_cmp_lt_i32 s12, 27
	s_cbranch_scc1 .LBB23_2517
; %bb.2515:
	s_cmp_gt_i32 s12, 27
	s_cbranch_scc0 .LBB23_2518
; %bb.2516:
	s_wait_loadcnt 0x0
	global_load_b32 v10, v[24:25], off
	s_mov_b32 s6, 0
	s_branch .LBB23_2519
.LBB23_2517:
	s_mov_b32 s6, -1
                                        ; implicit-def: $vgpr10
	s_branch .LBB23_2522
.LBB23_2518:
	s_mov_b32 s6, -1
                                        ; implicit-def: $vgpr10
.LBB23_2519:
	s_delay_alu instid0(SALU_CYCLE_1)
	s_and_not1_b32 vcc_lo, exec_lo, s6
	s_cbranch_vccnz .LBB23_2521
; %bb.2520:
	s_wait_loadcnt 0x0
	global_load_u16 v10, v[24:25], off
.LBB23_2521:
	s_mov_b32 s6, 0
.LBB23_2522:
	s_delay_alu instid0(SALU_CYCLE_1)
	s_and_not1_b32 vcc_lo, exec_lo, s6
	s_cbranch_vccnz .LBB23_2528
; %bb.2523:
	global_load_u8 v1, v[24:25], off
	s_mov_b32 s7, 0
	s_mov_b32 s6, exec_lo
	s_wait_loadcnt 0x0
	v_cmpx_lt_i16_e32 0x7f, v1
	s_xor_b32 s6, exec_lo, s6
	s_cbranch_execz .LBB23_2540
; %bb.2524:
	v_cmp_ne_u16_e32 vcc_lo, 0x80, v1
	s_and_b32 s7, vcc_lo, exec_lo
	s_and_not1_saveexec_b32 s6, s6
	s_cbranch_execnz .LBB23_2541
.LBB23_2525:
	s_or_b32 exec_lo, exec_lo, s6
	v_mov_b32_e32 v10, 0
	s_and_saveexec_b32 s6, s7
	s_cbranch_execz .LBB23_2527
.LBB23_2526:
	v_and_b32_e32 v3, 0xffff, v1
	s_delay_alu instid0(VALU_DEP_1) | instskip(SKIP_1) | instid1(VALU_DEP_2)
	v_dual_lshlrev_b32 v1, 24, v1 :: v_dual_bitop2_b32 v5, 7, v3 bitop3:0x40
	v_bfe_u32 v10, v3, 3, 4
	v_and_b32_e32 v1, 0x80000000, v1
	s_delay_alu instid0(VALU_DEP_3) | instskip(NEXT) | instid1(VALU_DEP_3)
	v_clz_i32_u32_e32 v7, v5
	v_cmp_eq_u32_e32 vcc_lo, 0, v10
	s_delay_alu instid0(VALU_DEP_2) | instskip(NEXT) | instid1(VALU_DEP_1)
	v_min_u32_e32 v7, 32, v7
	v_subrev_nc_u32_e32 v9, 28, v7
	v_sub_nc_u32_e32 v7, 29, v7
	s_delay_alu instid0(VALU_DEP_2) | instskip(NEXT) | instid1(VALU_DEP_2)
	v_lshlrev_b32_e32 v3, v9, v3
	v_cndmask_b32_e32 v7, v10, v7, vcc_lo
	s_delay_alu instid0(VALU_DEP_2) | instskip(NEXT) | instid1(VALU_DEP_1)
	v_and_b32_e32 v3, 7, v3
	v_cndmask_b32_e32 v3, v5, v3, vcc_lo
	s_delay_alu instid0(VALU_DEP_3) | instskip(NEXT) | instid1(VALU_DEP_2)
	v_lshl_add_u32 v5, v7, 23, 0x3b800000
	v_lshlrev_b32_e32 v3, 20, v3
	s_delay_alu instid0(VALU_DEP_1) | instskip(NEXT) | instid1(VALU_DEP_1)
	v_or3_b32 v1, v1, v5, v3
	v_cvt_i32_f32_e32 v10, v1
.LBB23_2527:
	s_or_b32 exec_lo, exec_lo, s6
.LBB23_2528:
	s_mov_b32 s6, -1
.LBB23_2529:
	s_mov_b32 s7, 0
.LBB23_2530:
	s_delay_alu instid0(SALU_CYCLE_1)
	s_and_b32 vcc_lo, exec_lo, s7
	s_cbranch_vccz .LBB23_2561
; %bb.2531:
	s_cmp_gt_i32 s12, 22
	s_cbranch_scc0 .LBB23_2539
; %bb.2532:
	s_cmp_lt_i32 s12, 24
	s_cbranch_scc1 .LBB23_2542
; %bb.2533:
	s_cmp_gt_i32 s12, 24
	s_cbranch_scc0 .LBB23_2543
; %bb.2534:
	global_load_u8 v1, v[24:25], off
	s_mov_b32 s6, 0
	s_mov_b32 s1, exec_lo
	s_wait_loadcnt 0x0
	v_cmpx_lt_i16_e32 0x7f, v1
	s_xor_b32 s1, exec_lo, s1
	s_cbranch_execz .LBB23_2555
; %bb.2535:
	v_cmp_ne_u16_e32 vcc_lo, 0x80, v1
	s_and_b32 s6, vcc_lo, exec_lo
	s_and_not1_saveexec_b32 s1, s1
	s_cbranch_execnz .LBB23_2556
.LBB23_2536:
	s_or_b32 exec_lo, exec_lo, s1
	v_mov_b32_e32 v10, 0
	s_and_saveexec_b32 s1, s6
	s_cbranch_execz .LBB23_2538
.LBB23_2537:
	v_and_b32_e32 v3, 0xffff, v1
	s_delay_alu instid0(VALU_DEP_1) | instskip(SKIP_1) | instid1(VALU_DEP_2)
	v_dual_lshlrev_b32 v1, 24, v1 :: v_dual_bitop2_b32 v5, 3, v3 bitop3:0x40
	v_bfe_u32 v10, v3, 2, 5
	v_and_b32_e32 v1, 0x80000000, v1
	s_delay_alu instid0(VALU_DEP_3) | instskip(NEXT) | instid1(VALU_DEP_3)
	v_clz_i32_u32_e32 v7, v5
	v_cmp_eq_u32_e32 vcc_lo, 0, v10
	s_delay_alu instid0(VALU_DEP_2) | instskip(NEXT) | instid1(VALU_DEP_1)
	v_min_u32_e32 v7, 32, v7
	v_subrev_nc_u32_e32 v9, 29, v7
	v_sub_nc_u32_e32 v7, 30, v7
	s_delay_alu instid0(VALU_DEP_2) | instskip(NEXT) | instid1(VALU_DEP_2)
	v_lshlrev_b32_e32 v3, v9, v3
	v_cndmask_b32_e32 v7, v10, v7, vcc_lo
	s_delay_alu instid0(VALU_DEP_2) | instskip(NEXT) | instid1(VALU_DEP_1)
	v_and_b32_e32 v3, 3, v3
	v_cndmask_b32_e32 v3, v5, v3, vcc_lo
	s_delay_alu instid0(VALU_DEP_3) | instskip(NEXT) | instid1(VALU_DEP_2)
	v_lshl_add_u32 v5, v7, 23, 0x37800000
	v_lshlrev_b32_e32 v3, 21, v3
	s_delay_alu instid0(VALU_DEP_1) | instskip(NEXT) | instid1(VALU_DEP_1)
	v_or3_b32 v1, v1, v5, v3
	v_cvt_i32_f32_e32 v10, v1
.LBB23_2538:
	s_or_b32 exec_lo, exec_lo, s1
	s_mov_b32 s1, 0
	s_branch .LBB23_2544
.LBB23_2539:
	s_mov_b32 s1, -1
                                        ; implicit-def: $vgpr10
	s_branch .LBB23_2550
.LBB23_2540:
	s_and_not1_saveexec_b32 s6, s6
	s_cbranch_execz .LBB23_2525
.LBB23_2541:
	v_cmp_ne_u16_e32 vcc_lo, 0, v1
	s_and_not1_b32 s7, s7, exec_lo
	s_and_b32 s11, vcc_lo, exec_lo
	s_delay_alu instid0(SALU_CYCLE_1)
	s_or_b32 s7, s7, s11
	s_or_b32 exec_lo, exec_lo, s6
	v_mov_b32_e32 v10, 0
	s_and_saveexec_b32 s6, s7
	s_cbranch_execnz .LBB23_2526
	s_branch .LBB23_2527
.LBB23_2542:
	s_mov_b32 s1, -1
                                        ; implicit-def: $vgpr10
	s_branch .LBB23_2547
.LBB23_2543:
	s_mov_b32 s1, -1
                                        ; implicit-def: $vgpr10
.LBB23_2544:
	s_delay_alu instid0(SALU_CYCLE_1)
	s_and_b32 vcc_lo, exec_lo, s1
	s_cbranch_vccz .LBB23_2546
; %bb.2545:
	global_load_u8 v1, v[24:25], off
	s_wait_loadcnt 0x0
	v_lshlrev_b32_e32 v1, 24, v1
	s_delay_alu instid0(VALU_DEP_1) | instskip(NEXT) | instid1(VALU_DEP_1)
	v_and_b32_e32 v3, 0x7f000000, v1
	v_clz_i32_u32_e32 v5, v3
	v_add_nc_u32_e32 v9, 0x1000000, v3
	v_cmp_ne_u32_e32 vcc_lo, 0, v3
	s_delay_alu instid0(VALU_DEP_3) | instskip(NEXT) | instid1(VALU_DEP_1)
	v_min_u32_e32 v5, 32, v5
	v_sub_nc_u32_e64 v5, v5, 4 clamp
	s_delay_alu instid0(VALU_DEP_1) | instskip(NEXT) | instid1(VALU_DEP_1)
	v_dual_lshlrev_b32 v7, v5, v3 :: v_dual_lshlrev_b32 v5, 23, v5
	v_lshrrev_b32_e32 v7, 4, v7
	s_delay_alu instid0(VALU_DEP_1) | instskip(SKIP_1) | instid1(VALU_DEP_2)
	v_sub_nc_u32_e32 v5, v7, v5
	v_ashrrev_i32_e32 v7, 8, v9
	v_add_nc_u32_e32 v5, 0x3c000000, v5
	s_delay_alu instid0(VALU_DEP_1) | instskip(NEXT) | instid1(VALU_DEP_1)
	v_and_or_b32 v5, 0x7f800000, v7, v5
	v_cndmask_b32_e32 v3, 0, v5, vcc_lo
	s_delay_alu instid0(VALU_DEP_1) | instskip(NEXT) | instid1(VALU_DEP_1)
	v_and_or_b32 v1, 0x80000000, v1, v3
	v_cvt_i32_f32_e32 v10, v1
.LBB23_2546:
	s_mov_b32 s1, 0
.LBB23_2547:
	s_delay_alu instid0(SALU_CYCLE_1)
	s_and_not1_b32 vcc_lo, exec_lo, s1
	s_cbranch_vccnz .LBB23_2549
; %bb.2548:
	global_load_u8 v1, v[24:25], off
	s_wait_loadcnt 0x0
	v_lshlrev_b32_e32 v3, 25, v1
	v_lshlrev_b16 v1, 8, v1
	s_delay_alu instid0(VALU_DEP_1) | instskip(SKIP_1) | instid1(VALU_DEP_2)
	v_and_or_b32 v7, 0x7f00, v1, 0.5
	v_bfe_i32 v1, v1, 0, 16
	v_add_f32_e32 v7, -0.5, v7
	v_lshrrev_b32_e32 v5, 4, v3
	v_cmp_gt_u32_e32 vcc_lo, 0x8000000, v3
	s_delay_alu instid0(VALU_DEP_2) | instskip(NEXT) | instid1(VALU_DEP_1)
	v_or_b32_e32 v5, 0x70000000, v5
	v_mul_f32_e32 v5, 0x7800000, v5
	s_delay_alu instid0(VALU_DEP_1) | instskip(NEXT) | instid1(VALU_DEP_1)
	v_cndmask_b32_e32 v3, v5, v7, vcc_lo
	v_and_or_b32 v1, 0x80000000, v1, v3
	s_delay_alu instid0(VALU_DEP_1)
	v_cvt_i32_f32_e32 v10, v1
.LBB23_2549:
	s_mov_b32 s1, 0
	s_mov_b32 s6, -1
.LBB23_2550:
	s_and_not1_b32 vcc_lo, exec_lo, s1
	s_mov_b32 s1, 0
	s_cbranch_vccnz .LBB23_2561
; %bb.2551:
	s_cmp_gt_i32 s12, 14
	s_cbranch_scc0 .LBB23_2554
; %bb.2552:
	s_cmp_eq_u32 s12, 15
	s_cbranch_scc0 .LBB23_2557
; %bb.2553:
	global_load_u16 v1, v[24:25], off
	s_mov_b32 s0, 0
	s_mov_b32 s6, -1
	s_wait_loadcnt 0x0
	v_lshlrev_b32_e32 v1, 16, v1
	s_delay_alu instid0(VALU_DEP_1)
	v_cvt_i32_f32_e32 v10, v1
	s_branch .LBB23_2559
.LBB23_2554:
	s_mov_b32 s1, -1
	s_branch .LBB23_2558
.LBB23_2555:
	s_and_not1_saveexec_b32 s1, s1
	s_cbranch_execz .LBB23_2536
.LBB23_2556:
	v_cmp_ne_u16_e32 vcc_lo, 0, v1
	s_and_not1_b32 s6, s6, exec_lo
	s_and_b32 s7, vcc_lo, exec_lo
	s_delay_alu instid0(SALU_CYCLE_1)
	s_or_b32 s6, s6, s7
	s_or_b32 exec_lo, exec_lo, s1
	v_mov_b32_e32 v10, 0
	s_and_saveexec_b32 s1, s6
	s_cbranch_execnz .LBB23_2537
	s_branch .LBB23_2538
.LBB23_2557:
	s_mov_b32 s0, -1
.LBB23_2558:
                                        ; implicit-def: $vgpr10
.LBB23_2559:
	s_and_b32 vcc_lo, exec_lo, s1
	s_mov_b32 s1, 0
	s_cbranch_vccz .LBB23_2561
; %bb.2560:
	s_cmp_lg_u32 s12, 11
	s_mov_b32 s1, -1
	s_cselect_b32 s0, -1, 0
.LBB23_2561:
	s_delay_alu instid0(SALU_CYCLE_1)
	s_and_b32 vcc_lo, exec_lo, s0
	s_cbranch_vccnz .LBB23_3093
; %bb.2562:
	s_and_not1_b32 vcc_lo, exec_lo, s1
	s_cbranch_vccnz .LBB23_2564
.LBB23_2563:
	global_load_u8 v1, v[24:25], off
	s_mov_b32 s6, -1
	s_wait_loadcnt 0x0
	v_cmp_ne_u16_e32 vcc_lo, 0, v1
	v_cndmask_b32_e64 v10, 0, 1, vcc_lo
.LBB23_2564:
	s_mov_b32 s0, 0
.LBB23_2565:
	s_delay_alu instid0(SALU_CYCLE_1)
	s_and_b32 vcc_lo, exec_lo, s0
	s_cbranch_vccz .LBB23_2614
; %bb.2566:
	s_cmp_lt_i32 s12, 5
	s_cbranch_scc1 .LBB23_2571
; %bb.2567:
	s_cmp_lt_i32 s12, 8
	s_cbranch_scc1 .LBB23_2572
; %bb.2568:
	s_cmp_lt_i32 s12, 9
	s_cbranch_scc1 .LBB23_2573
; %bb.2569:
	s_cmp_gt_i32 s12, 9
	s_cbranch_scc0 .LBB23_2574
; %bb.2570:
	s_wait_loadcnt 0x0
	global_load_b64 v[10:11], v[24:25], off
	s_mov_b32 s0, 0
	s_wait_loadcnt 0x0
	v_cvt_i32_f64_e32 v10, v[10:11]
	s_branch .LBB23_2575
.LBB23_2571:
	s_mov_b32 s0, -1
                                        ; implicit-def: $vgpr10
	s_branch .LBB23_2593
.LBB23_2572:
	s_mov_b32 s0, -1
                                        ; implicit-def: $vgpr10
	s_branch .LBB23_2581
.LBB23_2573:
	s_mov_b32 s0, -1
                                        ; implicit-def: $vgpr10
	s_branch .LBB23_2578
.LBB23_2574:
	s_mov_b32 s0, -1
                                        ; implicit-def: $vgpr10
.LBB23_2575:
	s_delay_alu instid0(SALU_CYCLE_1)
	s_and_not1_b32 vcc_lo, exec_lo, s0
	s_cbranch_vccnz .LBB23_2577
; %bb.2576:
	global_load_b32 v1, v[24:25], off
	s_wait_loadcnt 0x0
	v_cvt_i32_f32_e32 v10, v1
.LBB23_2577:
	s_mov_b32 s0, 0
.LBB23_2578:
	s_delay_alu instid0(SALU_CYCLE_1)
	s_and_not1_b32 vcc_lo, exec_lo, s0
	s_cbranch_vccnz .LBB23_2580
; %bb.2579:
	global_load_b32 v1, v[24:25], off
	s_wait_loadcnt 0x0
	v_cvt_i16_f16_e32 v10, v1
.LBB23_2580:
	s_mov_b32 s0, 0
.LBB23_2581:
	s_delay_alu instid0(SALU_CYCLE_1)
	s_and_not1_b32 vcc_lo, exec_lo, s0
	s_cbranch_vccnz .LBB23_2592
; %bb.2582:
	s_cmp_lt_i32 s12, 6
	s_cbranch_scc1 .LBB23_2585
; %bb.2583:
	s_cmp_gt_i32 s12, 6
	s_cbranch_scc0 .LBB23_2586
; %bb.2584:
	s_wait_loadcnt 0x0
	global_load_b64 v[10:11], v[24:25], off
	s_mov_b32 s0, 0
	s_wait_loadcnt 0x0
	v_cvt_i32_f64_e32 v10, v[10:11]
	s_branch .LBB23_2587
.LBB23_2585:
	s_mov_b32 s0, -1
                                        ; implicit-def: $vgpr10
	s_branch .LBB23_2590
.LBB23_2586:
	s_mov_b32 s0, -1
                                        ; implicit-def: $vgpr10
.LBB23_2587:
	s_delay_alu instid0(SALU_CYCLE_1)
	s_and_not1_b32 vcc_lo, exec_lo, s0
	s_cbranch_vccnz .LBB23_2589
; %bb.2588:
	global_load_b32 v1, v[24:25], off
	s_wait_loadcnt 0x0
	v_cvt_i32_f32_e32 v10, v1
.LBB23_2589:
	s_mov_b32 s0, 0
.LBB23_2590:
	s_delay_alu instid0(SALU_CYCLE_1)
	s_and_not1_b32 vcc_lo, exec_lo, s0
	s_cbranch_vccnz .LBB23_2592
; %bb.2591:
	global_load_u16 v1, v[24:25], off
	s_wait_loadcnt 0x0
	v_cvt_i16_f16_e32 v10, v1
.LBB23_2592:
	s_mov_b32 s0, 0
.LBB23_2593:
	s_delay_alu instid0(SALU_CYCLE_1)
	s_and_not1_b32 vcc_lo, exec_lo, s0
	s_cbranch_vccnz .LBB23_2613
; %bb.2594:
	s_cmp_lt_i32 s12, 2
	s_cbranch_scc1 .LBB23_2598
; %bb.2595:
	s_cmp_lt_i32 s12, 3
	s_cbranch_scc1 .LBB23_2599
; %bb.2596:
	s_cmp_gt_i32 s12, 3
	s_cbranch_scc0 .LBB23_2600
; %bb.2597:
	s_wait_loadcnt 0x0
	global_load_b64 v[10:11], v[24:25], off
	s_mov_b32 s0, 0
	s_branch .LBB23_2601
.LBB23_2598:
	s_mov_b32 s0, -1
                                        ; implicit-def: $vgpr10
	s_branch .LBB23_2607
.LBB23_2599:
	s_mov_b32 s0, -1
                                        ; implicit-def: $vgpr10
	s_branch .LBB23_2604
.LBB23_2600:
	s_mov_b32 s0, -1
                                        ; implicit-def: $vgpr10
.LBB23_2601:
	s_delay_alu instid0(SALU_CYCLE_1)
	s_and_not1_b32 vcc_lo, exec_lo, s0
	s_cbranch_vccnz .LBB23_2603
; %bb.2602:
	s_wait_loadcnt 0x0
	global_load_b32 v10, v[24:25], off
.LBB23_2603:
	s_mov_b32 s0, 0
.LBB23_2604:
	s_delay_alu instid0(SALU_CYCLE_1)
	s_and_not1_b32 vcc_lo, exec_lo, s0
	s_cbranch_vccnz .LBB23_2606
; %bb.2605:
	s_wait_loadcnt 0x0
	global_load_u16 v10, v[24:25], off
.LBB23_2606:
	s_mov_b32 s0, 0
.LBB23_2607:
	s_delay_alu instid0(SALU_CYCLE_1)
	s_and_not1_b32 vcc_lo, exec_lo, s0
	s_cbranch_vccnz .LBB23_2613
; %bb.2608:
	s_cmp_gt_i32 s12, 0
	s_mov_b32 s0, 0
	s_cbranch_scc0 .LBB23_2610
; %bb.2609:
	s_wait_loadcnt 0x0
	global_load_u8 v10, v[24:25], off
	s_branch .LBB23_2611
.LBB23_2610:
	s_mov_b32 s0, -1
                                        ; implicit-def: $vgpr10
.LBB23_2611:
	s_delay_alu instid0(SALU_CYCLE_1)
	s_and_not1_b32 vcc_lo, exec_lo, s0
	s_cbranch_vccnz .LBB23_2613
; %bb.2612:
	s_wait_loadcnt 0x0
	global_load_u8 v10, v[24:25], off
.LBB23_2613:
	s_mov_b32 s6, -1
.LBB23_2614:
	s_delay_alu instid0(SALU_CYCLE_1)
	s_and_not1_b32 vcc_lo, exec_lo, s6
	s_cbranch_vccnz .LBB23_3047
; %bb.2615:
	s_load_b64 s[0:1], s[2:3], 0x1a0
	s_wait_loadcnt 0x0
	v_and_b32_e32 v1, 0xff, v14
	v_and_b32_e32 v3, 0xff, v8
	v_mov_b32_e32 v7, 0
	s_mov_b32 s11, 0
	s_delay_alu instid0(VALU_DEP_2) | instskip(NEXT) | instid1(VALU_DEP_2)
	v_cmp_ne_u16_e32 vcc_lo, v3, v1
	v_add_nc_u64_e32 v[6:7], s[4:5], v[6:7]
	s_wait_kmcnt 0x0
	s_cmp_eq_u32 s0, 0
	s_mov_b32 s0, -1
	s_cselect_b32 s2, -1, 0
	s_and_b32 s1, s1, 0xff
	s_xor_b32 s3, s2, vcc_lo
	s_cmp_lt_i32 s1, 11
	s_cbranch_scc1 .LBB23_2694
; %bb.2616:
	s_and_b32 s6, 0xffff, s1
	s_mov_b32 s12, -1
	s_mov_b32 s7, 0
	s_cmp_gt_i32 s6, 25
	s_mov_b32 s0, 0
	s_cbranch_scc0 .LBB23_2649
; %bb.2617:
	s_cmp_gt_i32 s6, 28
	s_cbranch_scc0 .LBB23_2632
; %bb.2618:
	s_cmp_gt_i32 s6, 43
	;; [unrolled: 3-line block ×3, first 2 shown]
	s_cbranch_scc0 .LBB23_2622
; %bb.2620:
	s_mov_b32 s0, -1
	s_mov_b32 s12, 0
	s_cmp_eq_u32 s6, 46
	s_cbranch_scc0 .LBB23_2622
; %bb.2621:
	v_cndmask_b32_e64 v1, 0, 1.0, s3
	s_mov_b32 s0, 0
	s_mov_b32 s11, -1
	s_delay_alu instid0(VALU_DEP_1) | instskip(NEXT) | instid1(VALU_DEP_1)
	v_bfe_u32 v3, v1, 16, 1
	v_add3_u32 v1, v1, v3, 0x7fff
	s_delay_alu instid0(VALU_DEP_1)
	v_lshrrev_b32_e32 v1, 16, v1
	global_store_b32 v[6:7], v1, off
.LBB23_2622:
	s_and_b32 vcc_lo, exec_lo, s12
	s_cbranch_vccz .LBB23_2627
; %bb.2623:
	s_cmp_eq_u32 s6, 44
	s_mov_b32 s0, -1
	s_cbranch_scc0 .LBB23_2627
; %bb.2624:
	v_cndmask_b32_e64 v5, 0, 1.0, s3
	v_mov_b32_e32 v3, 0xff
	s_mov_b32 s11, exec_lo
	s_wait_xcnt 0x0
	s_delay_alu instid0(VALU_DEP_2) | instskip(NEXT) | instid1(VALU_DEP_1)
	v_lshrrev_b32_e32 v1, 23, v5
	v_cmpx_ne_u32_e32 0xff, v1
; %bb.2625:
	v_and_b32_e32 v3, 0x400000, v5
	v_and_or_b32 v5, 0x3fffff, v5, v1
	s_delay_alu instid0(VALU_DEP_2) | instskip(NEXT) | instid1(VALU_DEP_2)
	v_cmp_ne_u32_e32 vcc_lo, 0, v3
	v_cmp_ne_u32_e64 s0, 0, v5
	s_and_b32 s0, vcc_lo, s0
	s_delay_alu instid0(SALU_CYCLE_1) | instskip(NEXT) | instid1(VALU_DEP_1)
	v_cndmask_b32_e64 v3, 0, 1, s0
	v_add_nc_u32_e32 v3, v1, v3
; %bb.2626:
	s_or_b32 exec_lo, exec_lo, s11
	s_mov_b32 s0, 0
	s_mov_b32 s11, -1
	global_store_b8 v[6:7], v3, off
.LBB23_2627:
	s_mov_b32 s12, 0
.LBB23_2628:
	s_delay_alu instid0(SALU_CYCLE_1)
	s_and_b32 vcc_lo, exec_lo, s12
	s_cbranch_vccz .LBB23_2631
; %bb.2629:
	s_cmp_eq_u32 s6, 29
	s_mov_b32 s0, -1
	s_cbranch_scc0 .LBB23_2631
; %bb.2630:
	s_mov_b32 s0, 0
	v_cndmask_b32_e64 v8, 0, 1, s3
	v_mov_b32_e32 v9, s0
	s_mov_b32 s11, -1
	global_store_b64 v[6:7], v[8:9], off
.LBB23_2631:
	s_mov_b32 s12, 0
.LBB23_2632:
	s_delay_alu instid0(SALU_CYCLE_1)
	s_and_b32 vcc_lo, exec_lo, s12
	s_cbranch_vccz .LBB23_2648
; %bb.2633:
	s_cmp_lt_i32 s6, 27
	s_mov_b32 s11, -1
	s_cbranch_scc1 .LBB23_2639
; %bb.2634:
	s_cmp_gt_i32 s6, 27
	s_cbranch_scc0 .LBB23_2636
; %bb.2635:
	s_wait_xcnt 0x0
	v_cndmask_b32_e64 v1, 0, 1, s3
	s_mov_b32 s11, 0
	global_store_b32 v[6:7], v1, off
.LBB23_2636:
	s_and_not1_b32 vcc_lo, exec_lo, s11
	s_cbranch_vccnz .LBB23_2638
; %bb.2637:
	s_wait_xcnt 0x0
	v_cndmask_b32_e64 v1, 0, 1, s3
	global_store_b16 v[6:7], v1, off
.LBB23_2638:
	s_mov_b32 s11, 0
.LBB23_2639:
	s_delay_alu instid0(SALU_CYCLE_1)
	s_and_not1_b32 vcc_lo, exec_lo, s11
	s_cbranch_vccnz .LBB23_2647
; %bb.2640:
	s_wait_xcnt 0x0
	v_cndmask_b32_e64 v3, 0, 1.0, s3
	v_mov_b32_e32 v5, 0x80
	s_mov_b32 s11, exec_lo
	s_delay_alu instid0(VALU_DEP_2)
	v_cmpx_gt_u32_e32 0x43800000, v3
	s_cbranch_execz .LBB23_2646
; %bb.2641:
	s_mov_b32 s12, 0
	s_mov_b32 s13, exec_lo
                                        ; implicit-def: $vgpr1
	v_cmpx_lt_u32_e32 0x3bffffff, v3
	s_xor_b32 s13, exec_lo, s13
	s_cbranch_execz .LBB23_3094
; %bb.2642:
	v_bfe_u32 v1, v3, 20, 1
	s_mov_b32 s12, exec_lo
	s_delay_alu instid0(VALU_DEP_1) | instskip(NEXT) | instid1(VALU_DEP_1)
	v_add3_u32 v1, v3, v1, 0x487ffff
                                        ; implicit-def: $vgpr3
	v_lshrrev_b32_e32 v1, 20, v1
	s_and_not1_saveexec_b32 s13, s13
	s_cbranch_execnz .LBB23_3095
.LBB23_2643:
	s_or_b32 exec_lo, exec_lo, s13
	v_mov_b32_e32 v5, 0
	s_and_saveexec_b32 s13, s12
.LBB23_2644:
	v_mov_b32_e32 v5, v1
.LBB23_2645:
	s_or_b32 exec_lo, exec_lo, s13
.LBB23_2646:
	s_delay_alu instid0(SALU_CYCLE_1)
	s_or_b32 exec_lo, exec_lo, s11
	global_store_b8 v[6:7], v5, off
.LBB23_2647:
	s_mov_b32 s11, -1
.LBB23_2648:
	s_mov_b32 s12, 0
.LBB23_2649:
	s_delay_alu instid0(SALU_CYCLE_1)
	s_and_b32 vcc_lo, exec_lo, s12
	s_cbranch_vccz .LBB23_2689
; %bb.2650:
	s_cmp_gt_i32 s6, 22
	s_mov_b32 s7, -1
	s_cbranch_scc0 .LBB23_2682
; %bb.2651:
	s_cmp_lt_i32 s6, 24
	s_cbranch_scc1 .LBB23_2671
; %bb.2652:
	s_cmp_gt_i32 s6, 24
	s_cbranch_scc0 .LBB23_2660
; %bb.2653:
	s_wait_xcnt 0x0
	v_cndmask_b32_e64 v3, 0, 1.0, s3
	v_mov_b32_e32 v5, 0x80
	s_mov_b32 s7, exec_lo
	s_delay_alu instid0(VALU_DEP_2)
	v_cmpx_gt_u32_e32 0x47800000, v3
	s_cbranch_execz .LBB23_2659
; %bb.2654:
	s_mov_b32 s11, 0
	s_mov_b32 s12, exec_lo
                                        ; implicit-def: $vgpr1
	v_cmpx_lt_u32_e32 0x37ffffff, v3
	s_xor_b32 s12, exec_lo, s12
	s_cbranch_execz .LBB23_3097
; %bb.2655:
	v_bfe_u32 v1, v3, 21, 1
	s_mov_b32 s11, exec_lo
	s_delay_alu instid0(VALU_DEP_1) | instskip(NEXT) | instid1(VALU_DEP_1)
	v_add3_u32 v1, v3, v1, 0x88fffff
                                        ; implicit-def: $vgpr3
	v_lshrrev_b32_e32 v1, 21, v1
	s_and_not1_saveexec_b32 s12, s12
	s_cbranch_execnz .LBB23_3098
.LBB23_2656:
	s_or_b32 exec_lo, exec_lo, s12
	v_mov_b32_e32 v5, 0
	s_and_saveexec_b32 s12, s11
.LBB23_2657:
	v_mov_b32_e32 v5, v1
.LBB23_2658:
	s_or_b32 exec_lo, exec_lo, s12
.LBB23_2659:
	s_delay_alu instid0(SALU_CYCLE_1)
	s_or_b32 exec_lo, exec_lo, s7
	s_mov_b32 s7, 0
	global_store_b8 v[6:7], v5, off
.LBB23_2660:
	s_and_b32 vcc_lo, exec_lo, s7
	s_cbranch_vccz .LBB23_2670
; %bb.2661:
	s_wait_xcnt 0x0
	v_cndmask_b32_e64 v3, 0, 1.0, s3
	s_mov_b32 s7, exec_lo
                                        ; implicit-def: $vgpr1
	s_delay_alu instid0(VALU_DEP_1)
	v_cmpx_gt_u32_e32 0x43f00000, v3
	s_xor_b32 s7, exec_lo, s7
	s_cbranch_execz .LBB23_2667
; %bb.2662:
	s_mov_b32 s11, exec_lo
                                        ; implicit-def: $vgpr1
	v_cmpx_lt_u32_e32 0x3c7fffff, v3
	s_xor_b32 s11, exec_lo, s11
; %bb.2663:
	v_bfe_u32 v1, v3, 20, 1
	s_delay_alu instid0(VALU_DEP_1) | instskip(NEXT) | instid1(VALU_DEP_1)
	v_add3_u32 v1, v3, v1, 0x407ffff
	v_and_b32_e32 v3, 0xff00000, v1
	v_lshrrev_b32_e32 v1, 20, v1
	s_delay_alu instid0(VALU_DEP_2) | instskip(NEXT) | instid1(VALU_DEP_2)
	v_cmp_ne_u32_e32 vcc_lo, 0x7f00000, v3
                                        ; implicit-def: $vgpr3
	v_cndmask_b32_e32 v1, 0x7e, v1, vcc_lo
; %bb.2664:
	s_and_not1_saveexec_b32 s11, s11
; %bb.2665:
	v_add_f32_e32 v1, 0x46800000, v3
; %bb.2666:
	s_or_b32 exec_lo, exec_lo, s11
                                        ; implicit-def: $vgpr3
.LBB23_2667:
	s_and_not1_saveexec_b32 s7, s7
; %bb.2668:
	v_mov_b32_e32 v1, 0x7f
	v_cmp_lt_u32_e32 vcc_lo, 0x7f800000, v3
	s_delay_alu instid0(VALU_DEP_2)
	v_cndmask_b32_e32 v1, 0x7e, v1, vcc_lo
; %bb.2669:
	s_or_b32 exec_lo, exec_lo, s7
	global_store_b8 v[6:7], v1, off
.LBB23_2670:
	s_mov_b32 s7, 0
.LBB23_2671:
	s_delay_alu instid0(SALU_CYCLE_1)
	s_and_not1_b32 vcc_lo, exec_lo, s7
	s_cbranch_vccnz .LBB23_2681
; %bb.2672:
	s_wait_xcnt 0x0
	v_cndmask_b32_e64 v3, 0, 1.0, s3
	s_mov_b32 s7, exec_lo
                                        ; implicit-def: $vgpr1
	s_delay_alu instid0(VALU_DEP_1)
	v_cmpx_gt_u32_e32 0x47800000, v3
	s_xor_b32 s7, exec_lo, s7
	s_cbranch_execz .LBB23_2678
; %bb.2673:
	s_mov_b32 s11, exec_lo
                                        ; implicit-def: $vgpr1
	v_cmpx_lt_u32_e32 0x387fffff, v3
	s_xor_b32 s11, exec_lo, s11
; %bb.2674:
	v_bfe_u32 v1, v3, 21, 1
	s_delay_alu instid0(VALU_DEP_1) | instskip(NEXT) | instid1(VALU_DEP_1)
	v_add3_u32 v1, v3, v1, 0x80fffff
                                        ; implicit-def: $vgpr3
	v_lshrrev_b32_e32 v1, 21, v1
; %bb.2675:
	s_and_not1_saveexec_b32 s11, s11
; %bb.2676:
	v_add_f32_e32 v1, 0x43000000, v3
; %bb.2677:
	s_or_b32 exec_lo, exec_lo, s11
                                        ; implicit-def: $vgpr3
.LBB23_2678:
	s_and_not1_saveexec_b32 s7, s7
; %bb.2679:
	v_mov_b32_e32 v1, 0x7f
	v_cmp_lt_u32_e32 vcc_lo, 0x7f800000, v3
	s_delay_alu instid0(VALU_DEP_2)
	v_cndmask_b32_e32 v1, 0x7c, v1, vcc_lo
; %bb.2680:
	s_or_b32 exec_lo, exec_lo, s7
	global_store_b8 v[6:7], v1, off
.LBB23_2681:
	s_mov_b32 s7, 0
	s_mov_b32 s11, -1
.LBB23_2682:
	s_and_not1_b32 vcc_lo, exec_lo, s7
	s_mov_b32 s7, 0
	s_cbranch_vccnz .LBB23_2689
; %bb.2683:
	s_cmp_gt_i32 s6, 14
	s_mov_b32 s7, -1
	s_cbranch_scc0 .LBB23_2687
; %bb.2684:
	s_cmp_eq_u32 s6, 15
	s_mov_b32 s0, -1
	s_cbranch_scc0 .LBB23_2686
; %bb.2685:
	s_wait_xcnt 0x0
	v_cndmask_b32_e64 v1, 0, 1.0, s3
	s_mov_b32 s0, 0
	s_mov_b32 s11, -1
	s_delay_alu instid0(VALU_DEP_1) | instskip(NEXT) | instid1(VALU_DEP_1)
	v_bfe_u32 v3, v1, 16, 1
	v_add3_u32 v1, v1, v3, 0x7fff
	global_store_d16_hi_b16 v[6:7], v1, off
.LBB23_2686:
	s_mov_b32 s7, 0
.LBB23_2687:
	s_delay_alu instid0(SALU_CYCLE_1)
	s_and_b32 vcc_lo, exec_lo, s7
	s_mov_b32 s7, 0
	s_cbranch_vccz .LBB23_2689
; %bb.2688:
	s_cmp_lg_u32 s6, 11
	s_mov_b32 s7, -1
	s_cselect_b32 s0, -1, 0
.LBB23_2689:
	s_delay_alu instid0(SALU_CYCLE_1)
	s_and_b32 vcc_lo, exec_lo, s0
	s_cbranch_vccnz .LBB23_3096
; %bb.2690:
	s_and_not1_b32 vcc_lo, exec_lo, s7
	s_cbranch_vccnz .LBB23_2692
.LBB23_2691:
	s_wait_xcnt 0x0
	v_cndmask_b32_e64 v1, 0, 1, s3
	s_mov_b32 s11, -1
	global_store_b8 v[6:7], v1, off
.LBB23_2692:
.LBB23_2693:
	s_and_not1_b32 vcc_lo, exec_lo, s11
	s_cbranch_vccnz .LBB23_3047
	s_branch .LBB23_2733
.LBB23_2694:
	s_and_b32 vcc_lo, exec_lo, s0
	s_cbranch_vccz .LBB23_2693
; %bb.2695:
	s_and_b32 s0, 0xffff, s1
	s_mov_b32 s6, -1
	s_cmp_lt_i32 s0, 5
	s_cbranch_scc1 .LBB23_2716
; %bb.2696:
	s_cmp_lt_i32 s0, 8
	s_cbranch_scc1 .LBB23_2706
; %bb.2697:
	;; [unrolled: 3-line block ×3, first 2 shown]
	s_cmp_gt_i32 s0, 9
	s_cbranch_scc0 .LBB23_2700
; %bb.2699:
	s_wait_xcnt 0x0
	v_cndmask_b32_e64 v1, 0, 1, s3
	v_mov_b32_e32 v26, 0
	s_mov_b32 s6, 0
	s_delay_alu instid0(VALU_DEP_2) | instskip(NEXT) | instid1(VALU_DEP_2)
	v_cvt_f64_u32_e32 v[24:25], v1
	v_mov_b32_e32 v27, v26
	global_store_b128 v[6:7], v[24:27], off
.LBB23_2700:
	s_and_not1_b32 vcc_lo, exec_lo, s6
	s_cbranch_vccnz .LBB23_2702
; %bb.2701:
	s_wait_xcnt 0x0
	v_cndmask_b32_e64 v8, 0, 1.0, s3
	v_mov_b32_e32 v9, 0
	global_store_b64 v[6:7], v[8:9], off
.LBB23_2702:
	s_mov_b32 s6, 0
.LBB23_2703:
	s_delay_alu instid0(SALU_CYCLE_1)
	s_and_not1_b32 vcc_lo, exec_lo, s6
	s_cbranch_vccnz .LBB23_2705
; %bb.2704:
	s_wait_xcnt 0x0
	v_cndmask_b32_e64 v1, 0, 1.0, s3
	s_delay_alu instid0(VALU_DEP_1) | instskip(NEXT) | instid1(VALU_DEP_1)
	v_cvt_f16_f32_e32 v1, v1
	v_and_b32_e32 v1, 0xffff, v1
	global_store_b32 v[6:7], v1, off
.LBB23_2705:
	s_mov_b32 s6, 0
.LBB23_2706:
	s_delay_alu instid0(SALU_CYCLE_1)
	s_and_not1_b32 vcc_lo, exec_lo, s6
	s_cbranch_vccnz .LBB23_2715
; %bb.2707:
	s_cmp_lt_i32 s0, 6
	s_mov_b32 s6, -1
	s_cbranch_scc1 .LBB23_2713
; %bb.2708:
	s_cmp_gt_i32 s0, 6
	s_cbranch_scc0 .LBB23_2710
; %bb.2709:
	s_wait_xcnt 0x0
	v_cndmask_b32_e64 v1, 0, 1, s3
	s_mov_b32 s6, 0
	s_delay_alu instid0(VALU_DEP_1)
	v_cvt_f64_u32_e32 v[8:9], v1
	global_store_b64 v[6:7], v[8:9], off
.LBB23_2710:
	s_and_not1_b32 vcc_lo, exec_lo, s6
	s_cbranch_vccnz .LBB23_2712
; %bb.2711:
	s_wait_xcnt 0x0
	v_cndmask_b32_e64 v1, 0, 1.0, s3
	global_store_b32 v[6:7], v1, off
.LBB23_2712:
	s_mov_b32 s6, 0
.LBB23_2713:
	s_delay_alu instid0(SALU_CYCLE_1)
	s_and_not1_b32 vcc_lo, exec_lo, s6
	s_cbranch_vccnz .LBB23_2715
; %bb.2714:
	s_wait_xcnt 0x0
	v_cndmask_b32_e64 v1, 0, 1.0, s3
	s_delay_alu instid0(VALU_DEP_1)
	v_cvt_f16_f32_e32 v1, v1
	global_store_b16 v[6:7], v1, off
.LBB23_2715:
	s_mov_b32 s6, 0
.LBB23_2716:
	s_delay_alu instid0(SALU_CYCLE_1)
	s_and_not1_b32 vcc_lo, exec_lo, s6
	s_cbranch_vccnz .LBB23_2732
; %bb.2717:
	s_cmp_lt_i32 s0, 2
	s_mov_b32 s6, -1
	s_cbranch_scc1 .LBB23_2727
; %bb.2718:
	s_cmp_lt_i32 s0, 3
	s_cbranch_scc1 .LBB23_2724
; %bb.2719:
	s_cmp_gt_i32 s0, 3
	s_cbranch_scc0 .LBB23_2721
; %bb.2720:
	s_mov_b32 s6, 0
	s_wait_xcnt 0x0
	v_cndmask_b32_e64 v8, 0, 1, s3
	v_mov_b32_e32 v9, s6
	global_store_b64 v[6:7], v[8:9], off
.LBB23_2721:
	s_and_not1_b32 vcc_lo, exec_lo, s6
	s_cbranch_vccnz .LBB23_2723
; %bb.2722:
	s_wait_xcnt 0x0
	v_cndmask_b32_e64 v1, 0, 1, s3
	global_store_b32 v[6:7], v1, off
.LBB23_2723:
	s_mov_b32 s6, 0
.LBB23_2724:
	s_delay_alu instid0(SALU_CYCLE_1)
	s_and_not1_b32 vcc_lo, exec_lo, s6
	s_cbranch_vccnz .LBB23_2726
; %bb.2725:
	s_wait_xcnt 0x0
	v_cndmask_b32_e64 v1, 0, 1, s3
	global_store_b16 v[6:7], v1, off
.LBB23_2726:
	s_mov_b32 s6, 0
.LBB23_2727:
	s_delay_alu instid0(SALU_CYCLE_1)
	s_and_not1_b32 vcc_lo, exec_lo, s6
	s_cbranch_vccnz .LBB23_2732
; %bb.2728:
	s_wait_xcnt 0x0
	v_cndmask_b32_e64 v1, 0, 1, s3
	s_cmp_gt_i32 s0, 0
	s_mov_b32 s0, -1
	s_cbranch_scc0 .LBB23_2730
; %bb.2729:
	s_mov_b32 s0, 0
	global_store_b8 v[6:7], v1, off
.LBB23_2730:
	s_and_not1_b32 vcc_lo, exec_lo, s0
	s_cbranch_vccnz .LBB23_2732
; %bb.2731:
	global_store_b8 v[6:7], v1, off
.LBB23_2732:
.LBB23_2733:
	s_wait_xcnt 0x0
	v_and_b32_e32 v1, 0xff, v20
	v_and_b32_e32 v3, 0xff, v12
	v_mov_b32_e32 v5, 0
	s_and_b32 s3, 0xffff, s1
	s_delay_alu instid0(VALU_DEP_2) | instskip(NEXT) | instid1(VALU_DEP_2)
	v_cmp_ne_u16_e32 vcc_lo, v3, v1
	v_add_nc_u64_e32 v[4:5], s[4:5], v[4:5]
	s_xor_b32 s6, s2, vcc_lo
	s_cmp_lt_i32 s3, 11
	s_cbranch_scc1 .LBB23_2811
; %bb.2734:
	s_mov_b32 s12, -1
	s_mov_b32 s7, 0
	s_cmp_gt_i32 s3, 25
	s_mov_b32 s11, 0
	s_mov_b32 s0, 0
	s_cbranch_scc0 .LBB23_2767
; %bb.2735:
	s_cmp_gt_i32 s3, 28
	s_cbranch_scc0 .LBB23_2750
; %bb.2736:
	s_cmp_gt_i32 s3, 43
	;; [unrolled: 3-line block ×3, first 2 shown]
	s_cbranch_scc0 .LBB23_2740
; %bb.2738:
	s_mov_b32 s0, -1
	s_mov_b32 s12, 0
	s_cmp_eq_u32 s3, 46
	s_cbranch_scc0 .LBB23_2740
; %bb.2739:
	v_cndmask_b32_e64 v1, 0, 1.0, s6
	s_mov_b32 s0, 0
	s_mov_b32 s11, -1
	s_delay_alu instid0(VALU_DEP_1) | instskip(NEXT) | instid1(VALU_DEP_1)
	v_bfe_u32 v3, v1, 16, 1
	v_add3_u32 v1, v1, v3, 0x7fff
	s_delay_alu instid0(VALU_DEP_1)
	v_lshrrev_b32_e32 v1, 16, v1
	global_store_b32 v[4:5], v1, off
.LBB23_2740:
	s_and_b32 vcc_lo, exec_lo, s12
	s_cbranch_vccz .LBB23_2745
; %bb.2741:
	s_cmp_eq_u32 s3, 44
	s_mov_b32 s0, -1
	s_cbranch_scc0 .LBB23_2745
; %bb.2742:
	v_cndmask_b32_e64 v6, 0, 1.0, s6
	v_mov_b32_e32 v3, 0xff
	s_mov_b32 s11, exec_lo
	s_wait_xcnt 0x0
	s_delay_alu instid0(VALU_DEP_2) | instskip(NEXT) | instid1(VALU_DEP_1)
	v_lshrrev_b32_e32 v1, 23, v6
	v_cmpx_ne_u32_e32 0xff, v1
; %bb.2743:
	v_and_b32_e32 v3, 0x400000, v6
	v_and_or_b32 v6, 0x3fffff, v6, v1
	s_delay_alu instid0(VALU_DEP_2) | instskip(NEXT) | instid1(VALU_DEP_2)
	v_cmp_ne_u32_e32 vcc_lo, 0, v3
	v_cmp_ne_u32_e64 s0, 0, v6
	s_and_b32 s0, vcc_lo, s0
	s_delay_alu instid0(SALU_CYCLE_1) | instskip(NEXT) | instid1(VALU_DEP_1)
	v_cndmask_b32_e64 v3, 0, 1, s0
	v_add_nc_u32_e32 v3, v1, v3
; %bb.2744:
	s_or_b32 exec_lo, exec_lo, s11
	s_mov_b32 s0, 0
	s_mov_b32 s11, -1
	global_store_b8 v[4:5], v3, off
.LBB23_2745:
	s_mov_b32 s12, 0
.LBB23_2746:
	s_delay_alu instid0(SALU_CYCLE_1)
	s_and_b32 vcc_lo, exec_lo, s12
	s_cbranch_vccz .LBB23_2749
; %bb.2747:
	s_cmp_eq_u32 s3, 29
	s_mov_b32 s0, -1
	s_cbranch_scc0 .LBB23_2749
; %bb.2748:
	s_mov_b32 s0, 0
	v_cndmask_b32_e64 v6, 0, 1, s6
	v_mov_b32_e32 v7, s0
	s_mov_b32 s11, -1
	global_store_b64 v[4:5], v[6:7], off
.LBB23_2749:
	s_mov_b32 s12, 0
.LBB23_2750:
	s_delay_alu instid0(SALU_CYCLE_1)
	s_and_b32 vcc_lo, exec_lo, s12
	s_cbranch_vccz .LBB23_2766
; %bb.2751:
	s_cmp_lt_i32 s3, 27
	s_mov_b32 s11, -1
	s_cbranch_scc1 .LBB23_2757
; %bb.2752:
	s_cmp_gt_i32 s3, 27
	s_cbranch_scc0 .LBB23_2754
; %bb.2753:
	s_wait_xcnt 0x0
	v_cndmask_b32_e64 v1, 0, 1, s6
	s_mov_b32 s11, 0
	global_store_b32 v[4:5], v1, off
.LBB23_2754:
	s_and_not1_b32 vcc_lo, exec_lo, s11
	s_cbranch_vccnz .LBB23_2756
; %bb.2755:
	s_wait_xcnt 0x0
	v_cndmask_b32_e64 v1, 0, 1, s6
	global_store_b16 v[4:5], v1, off
.LBB23_2756:
	s_mov_b32 s11, 0
.LBB23_2757:
	s_delay_alu instid0(SALU_CYCLE_1)
	s_and_not1_b32 vcc_lo, exec_lo, s11
	s_cbranch_vccnz .LBB23_2765
; %bb.2758:
	s_wait_xcnt 0x0
	v_cndmask_b32_e64 v3, 0, 1.0, s6
	v_mov_b32_e32 v6, 0x80
	s_mov_b32 s11, exec_lo
	s_delay_alu instid0(VALU_DEP_2)
	v_cmpx_gt_u32_e32 0x43800000, v3
	s_cbranch_execz .LBB23_2764
; %bb.2759:
	s_mov_b32 s12, 0
	s_mov_b32 s13, exec_lo
                                        ; implicit-def: $vgpr1
	v_cmpx_lt_u32_e32 0x3bffffff, v3
	s_xor_b32 s13, exec_lo, s13
	s_cbranch_execz .LBB23_3099
; %bb.2760:
	v_bfe_u32 v1, v3, 20, 1
	s_mov_b32 s12, exec_lo
	s_delay_alu instid0(VALU_DEP_1) | instskip(NEXT) | instid1(VALU_DEP_1)
	v_add3_u32 v1, v3, v1, 0x487ffff
                                        ; implicit-def: $vgpr3
	v_lshrrev_b32_e32 v1, 20, v1
	s_and_not1_saveexec_b32 s13, s13
	s_cbranch_execnz .LBB23_3100
.LBB23_2761:
	s_or_b32 exec_lo, exec_lo, s13
	v_mov_b32_e32 v6, 0
	s_and_saveexec_b32 s13, s12
.LBB23_2762:
	v_mov_b32_e32 v6, v1
.LBB23_2763:
	s_or_b32 exec_lo, exec_lo, s13
.LBB23_2764:
	s_delay_alu instid0(SALU_CYCLE_1)
	s_or_b32 exec_lo, exec_lo, s11
	global_store_b8 v[4:5], v6, off
.LBB23_2765:
	s_mov_b32 s11, -1
.LBB23_2766:
	s_mov_b32 s12, 0
.LBB23_2767:
	s_delay_alu instid0(SALU_CYCLE_1)
	s_and_b32 vcc_lo, exec_lo, s12
	s_cbranch_vccz .LBB23_2807
; %bb.2768:
	s_cmp_gt_i32 s3, 22
	s_mov_b32 s7, -1
	s_cbranch_scc0 .LBB23_2800
; %bb.2769:
	s_cmp_lt_i32 s3, 24
	s_cbranch_scc1 .LBB23_2789
; %bb.2770:
	s_cmp_gt_i32 s3, 24
	s_cbranch_scc0 .LBB23_2778
; %bb.2771:
	s_wait_xcnt 0x0
	v_cndmask_b32_e64 v3, 0, 1.0, s6
	v_mov_b32_e32 v6, 0x80
	s_mov_b32 s7, exec_lo
	s_delay_alu instid0(VALU_DEP_2)
	v_cmpx_gt_u32_e32 0x47800000, v3
	s_cbranch_execz .LBB23_2777
; %bb.2772:
	s_mov_b32 s11, 0
	s_mov_b32 s12, exec_lo
                                        ; implicit-def: $vgpr1
	v_cmpx_lt_u32_e32 0x37ffffff, v3
	s_xor_b32 s12, exec_lo, s12
	s_cbranch_execz .LBB23_3102
; %bb.2773:
	v_bfe_u32 v1, v3, 21, 1
	s_mov_b32 s11, exec_lo
	s_delay_alu instid0(VALU_DEP_1) | instskip(NEXT) | instid1(VALU_DEP_1)
	v_add3_u32 v1, v3, v1, 0x88fffff
                                        ; implicit-def: $vgpr3
	v_lshrrev_b32_e32 v1, 21, v1
	s_and_not1_saveexec_b32 s12, s12
	s_cbranch_execnz .LBB23_3103
.LBB23_2774:
	s_or_b32 exec_lo, exec_lo, s12
	v_mov_b32_e32 v6, 0
	s_and_saveexec_b32 s12, s11
.LBB23_2775:
	v_mov_b32_e32 v6, v1
.LBB23_2776:
	s_or_b32 exec_lo, exec_lo, s12
.LBB23_2777:
	s_delay_alu instid0(SALU_CYCLE_1)
	s_or_b32 exec_lo, exec_lo, s7
	s_mov_b32 s7, 0
	global_store_b8 v[4:5], v6, off
.LBB23_2778:
	s_and_b32 vcc_lo, exec_lo, s7
	s_cbranch_vccz .LBB23_2788
; %bb.2779:
	s_wait_xcnt 0x0
	v_cndmask_b32_e64 v3, 0, 1.0, s6
	s_mov_b32 s7, exec_lo
                                        ; implicit-def: $vgpr1
	s_delay_alu instid0(VALU_DEP_1)
	v_cmpx_gt_u32_e32 0x43f00000, v3
	s_xor_b32 s7, exec_lo, s7
	s_cbranch_execz .LBB23_2785
; %bb.2780:
	s_mov_b32 s11, exec_lo
                                        ; implicit-def: $vgpr1
	v_cmpx_lt_u32_e32 0x3c7fffff, v3
	s_xor_b32 s11, exec_lo, s11
; %bb.2781:
	v_bfe_u32 v1, v3, 20, 1
	s_delay_alu instid0(VALU_DEP_1) | instskip(NEXT) | instid1(VALU_DEP_1)
	v_add3_u32 v1, v3, v1, 0x407ffff
	v_and_b32_e32 v3, 0xff00000, v1
	v_lshrrev_b32_e32 v1, 20, v1
	s_delay_alu instid0(VALU_DEP_2) | instskip(NEXT) | instid1(VALU_DEP_2)
	v_cmp_ne_u32_e32 vcc_lo, 0x7f00000, v3
                                        ; implicit-def: $vgpr3
	v_cndmask_b32_e32 v1, 0x7e, v1, vcc_lo
; %bb.2782:
	s_and_not1_saveexec_b32 s11, s11
; %bb.2783:
	v_add_f32_e32 v1, 0x46800000, v3
; %bb.2784:
	s_or_b32 exec_lo, exec_lo, s11
                                        ; implicit-def: $vgpr3
.LBB23_2785:
	s_and_not1_saveexec_b32 s7, s7
; %bb.2786:
	v_mov_b32_e32 v1, 0x7f
	v_cmp_lt_u32_e32 vcc_lo, 0x7f800000, v3
	s_delay_alu instid0(VALU_DEP_2)
	v_cndmask_b32_e32 v1, 0x7e, v1, vcc_lo
; %bb.2787:
	s_or_b32 exec_lo, exec_lo, s7
	global_store_b8 v[4:5], v1, off
.LBB23_2788:
	s_mov_b32 s7, 0
.LBB23_2789:
	s_delay_alu instid0(SALU_CYCLE_1)
	s_and_not1_b32 vcc_lo, exec_lo, s7
	s_cbranch_vccnz .LBB23_2799
; %bb.2790:
	s_wait_xcnt 0x0
	v_cndmask_b32_e64 v3, 0, 1.0, s6
	s_mov_b32 s7, exec_lo
                                        ; implicit-def: $vgpr1
	s_delay_alu instid0(VALU_DEP_1)
	v_cmpx_gt_u32_e32 0x47800000, v3
	s_xor_b32 s7, exec_lo, s7
	s_cbranch_execz .LBB23_2796
; %bb.2791:
	s_mov_b32 s11, exec_lo
                                        ; implicit-def: $vgpr1
	v_cmpx_lt_u32_e32 0x387fffff, v3
	s_xor_b32 s11, exec_lo, s11
; %bb.2792:
	v_bfe_u32 v1, v3, 21, 1
	s_delay_alu instid0(VALU_DEP_1) | instskip(NEXT) | instid1(VALU_DEP_1)
	v_add3_u32 v1, v3, v1, 0x80fffff
                                        ; implicit-def: $vgpr3
	v_lshrrev_b32_e32 v1, 21, v1
; %bb.2793:
	s_and_not1_saveexec_b32 s11, s11
; %bb.2794:
	v_add_f32_e32 v1, 0x43000000, v3
; %bb.2795:
	s_or_b32 exec_lo, exec_lo, s11
                                        ; implicit-def: $vgpr3
.LBB23_2796:
	s_and_not1_saveexec_b32 s7, s7
; %bb.2797:
	v_mov_b32_e32 v1, 0x7f
	v_cmp_lt_u32_e32 vcc_lo, 0x7f800000, v3
	s_delay_alu instid0(VALU_DEP_2)
	v_cndmask_b32_e32 v1, 0x7c, v1, vcc_lo
; %bb.2798:
	s_or_b32 exec_lo, exec_lo, s7
	global_store_b8 v[4:5], v1, off
.LBB23_2799:
	s_mov_b32 s7, 0
	s_mov_b32 s11, -1
.LBB23_2800:
	s_and_not1_b32 vcc_lo, exec_lo, s7
	s_mov_b32 s7, 0
	s_cbranch_vccnz .LBB23_2807
; %bb.2801:
	s_cmp_gt_i32 s3, 14
	s_mov_b32 s7, -1
	s_cbranch_scc0 .LBB23_2805
; %bb.2802:
	s_cmp_eq_u32 s3, 15
	s_mov_b32 s0, -1
	s_cbranch_scc0 .LBB23_2804
; %bb.2803:
	s_wait_xcnt 0x0
	v_cndmask_b32_e64 v1, 0, 1.0, s6
	s_mov_b32 s0, 0
	s_mov_b32 s11, -1
	s_delay_alu instid0(VALU_DEP_1) | instskip(NEXT) | instid1(VALU_DEP_1)
	v_bfe_u32 v3, v1, 16, 1
	v_add3_u32 v1, v1, v3, 0x7fff
	global_store_d16_hi_b16 v[4:5], v1, off
.LBB23_2804:
	s_mov_b32 s7, 0
.LBB23_2805:
	s_delay_alu instid0(SALU_CYCLE_1)
	s_and_b32 vcc_lo, exec_lo, s7
	s_mov_b32 s7, 0
	s_cbranch_vccz .LBB23_2807
; %bb.2806:
	s_cmp_lg_u32 s3, 11
	s_mov_b32 s7, -1
	s_cselect_b32 s0, -1, 0
.LBB23_2807:
	s_delay_alu instid0(SALU_CYCLE_1)
	s_and_b32 vcc_lo, exec_lo, s0
	s_cbranch_vccnz .LBB23_3101
; %bb.2808:
	s_and_not1_b32 vcc_lo, exec_lo, s7
	s_cbranch_vccnz .LBB23_2810
.LBB23_2809:
	s_wait_xcnt 0x0
	v_cndmask_b32_e64 v1, 0, 1, s6
	s_mov_b32 s11, -1
	global_store_b8 v[4:5], v1, off
.LBB23_2810:
	s_mov_b32 s0, 0
	s_branch .LBB23_2812
.LBB23_2811:
	s_mov_b32 s0, -1
	s_mov_b32 s11, 0
.LBB23_2812:
	s_and_b32 vcc_lo, exec_lo, s0
	s_cbranch_vccz .LBB23_2851
; %bb.2813:
	s_cmp_lt_i32 s3, 5
	s_mov_b32 s0, -1
	s_cbranch_scc1 .LBB23_2834
; %bb.2814:
	s_cmp_lt_i32 s3, 8
	s_cbranch_scc1 .LBB23_2824
; %bb.2815:
	s_cmp_lt_i32 s3, 9
	s_cbranch_scc1 .LBB23_2821
; %bb.2816:
	s_cmp_gt_i32 s3, 9
	s_cbranch_scc0 .LBB23_2818
; %bb.2817:
	s_wait_xcnt 0x0
	v_cndmask_b32_e64 v1, 0, 1, s6
	v_mov_b32_e32 v8, 0
	s_mov_b32 s0, 0
	s_delay_alu instid0(VALU_DEP_2) | instskip(NEXT) | instid1(VALU_DEP_2)
	v_cvt_f64_u32_e32 v[6:7], v1
	v_mov_b32_e32 v9, v8
	global_store_b128 v[4:5], v[6:9], off
.LBB23_2818:
	s_and_not1_b32 vcc_lo, exec_lo, s0
	s_cbranch_vccnz .LBB23_2820
; %bb.2819:
	s_wait_xcnt 0x0
	v_cndmask_b32_e64 v6, 0, 1.0, s6
	v_mov_b32_e32 v7, 0
	global_store_b64 v[4:5], v[6:7], off
.LBB23_2820:
	s_mov_b32 s0, 0
.LBB23_2821:
	s_delay_alu instid0(SALU_CYCLE_1)
	s_and_not1_b32 vcc_lo, exec_lo, s0
	s_cbranch_vccnz .LBB23_2823
; %bb.2822:
	s_wait_xcnt 0x0
	v_cndmask_b32_e64 v1, 0, 1.0, s6
	s_delay_alu instid0(VALU_DEP_1) | instskip(NEXT) | instid1(VALU_DEP_1)
	v_cvt_f16_f32_e32 v1, v1
	v_and_b32_e32 v1, 0xffff, v1
	global_store_b32 v[4:5], v1, off
.LBB23_2823:
	s_mov_b32 s0, 0
.LBB23_2824:
	s_delay_alu instid0(SALU_CYCLE_1)
	s_and_not1_b32 vcc_lo, exec_lo, s0
	s_cbranch_vccnz .LBB23_2833
; %bb.2825:
	s_cmp_lt_i32 s3, 6
	s_mov_b32 s0, -1
	s_cbranch_scc1 .LBB23_2831
; %bb.2826:
	s_cmp_gt_i32 s3, 6
	s_cbranch_scc0 .LBB23_2828
; %bb.2827:
	s_wait_xcnt 0x0
	v_cndmask_b32_e64 v1, 0, 1, s6
	s_mov_b32 s0, 0
	s_delay_alu instid0(VALU_DEP_1)
	v_cvt_f64_u32_e32 v[6:7], v1
	global_store_b64 v[4:5], v[6:7], off
.LBB23_2828:
	s_and_not1_b32 vcc_lo, exec_lo, s0
	s_cbranch_vccnz .LBB23_2830
; %bb.2829:
	s_wait_xcnt 0x0
	v_cndmask_b32_e64 v1, 0, 1.0, s6
	global_store_b32 v[4:5], v1, off
.LBB23_2830:
	s_mov_b32 s0, 0
.LBB23_2831:
	s_delay_alu instid0(SALU_CYCLE_1)
	s_and_not1_b32 vcc_lo, exec_lo, s0
	s_cbranch_vccnz .LBB23_2833
; %bb.2832:
	s_wait_xcnt 0x0
	v_cndmask_b32_e64 v1, 0, 1.0, s6
	s_delay_alu instid0(VALU_DEP_1)
	v_cvt_f16_f32_e32 v1, v1
	global_store_b16 v[4:5], v1, off
.LBB23_2833:
	s_mov_b32 s0, 0
.LBB23_2834:
	s_delay_alu instid0(SALU_CYCLE_1)
	s_and_not1_b32 vcc_lo, exec_lo, s0
	s_cbranch_vccnz .LBB23_2850
; %bb.2835:
	s_cmp_lt_i32 s3, 2
	s_mov_b32 s0, -1
	s_cbranch_scc1 .LBB23_2845
; %bb.2836:
	s_cmp_lt_i32 s3, 3
	s_cbranch_scc1 .LBB23_2842
; %bb.2837:
	s_cmp_gt_i32 s3, 3
	s_cbranch_scc0 .LBB23_2839
; %bb.2838:
	s_mov_b32 s0, 0
	s_wait_xcnt 0x0
	v_cndmask_b32_e64 v6, 0, 1, s6
	v_mov_b32_e32 v7, s0
	global_store_b64 v[4:5], v[6:7], off
.LBB23_2839:
	s_and_not1_b32 vcc_lo, exec_lo, s0
	s_cbranch_vccnz .LBB23_2841
; %bb.2840:
	s_wait_xcnt 0x0
	v_cndmask_b32_e64 v1, 0, 1, s6
	global_store_b32 v[4:5], v1, off
.LBB23_2841:
	s_mov_b32 s0, 0
.LBB23_2842:
	s_delay_alu instid0(SALU_CYCLE_1)
	s_and_not1_b32 vcc_lo, exec_lo, s0
	s_cbranch_vccnz .LBB23_2844
; %bb.2843:
	s_wait_xcnt 0x0
	v_cndmask_b32_e64 v1, 0, 1, s6
	global_store_b16 v[4:5], v1, off
.LBB23_2844:
	s_mov_b32 s0, 0
.LBB23_2845:
	s_delay_alu instid0(SALU_CYCLE_1)
	s_and_not1_b32 vcc_lo, exec_lo, s0
	s_cbranch_vccnz .LBB23_2850
; %bb.2846:
	s_wait_xcnt 0x0
	v_cndmask_b32_e64 v1, 0, 1, s6
	s_cmp_gt_i32 s3, 0
	s_mov_b32 s0, -1
	s_cbranch_scc0 .LBB23_2848
; %bb.2847:
	s_mov_b32 s0, 0
	global_store_b8 v[4:5], v1, off
.LBB23_2848:
	s_and_not1_b32 vcc_lo, exec_lo, s0
	s_cbranch_vccnz .LBB23_2850
; %bb.2849:
	global_store_b8 v[4:5], v1, off
.LBB23_2850:
	s_mov_b32 s11, -1
.LBB23_2851:
	s_delay_alu instid0(SALU_CYCLE_1)
	s_and_not1_b32 vcc_lo, exec_lo, s11
	s_cbranch_vccnz .LBB23_3047
; %bb.2852:
	s_wait_xcnt 0x0
	v_and_b32_e32 v1, 0xff, v22
	v_and_b32_e32 v4, 0xff, v18
	v_mov_b32_e32 v3, 0
	s_delay_alu instid0(VALU_DEP_2) | instskip(NEXT) | instid1(VALU_DEP_2)
	v_cmp_ne_u16_e32 vcc_lo, v4, v1
	v_add_nc_u64_e32 v[2:3], s[4:5], v[2:3]
	s_xor_b32 s6, s2, vcc_lo
	s_cmp_lt_i32 s3, 11
	s_cbranch_scc1 .LBB23_2930
; %bb.2853:
	s_mov_b32 s12, -1
	s_mov_b32 s7, 0
	s_cmp_gt_i32 s3, 25
	s_mov_b32 s11, 0
	s_mov_b32 s0, 0
	s_cbranch_scc0 .LBB23_2886
; %bb.2854:
	s_cmp_gt_i32 s3, 28
	s_cbranch_scc0 .LBB23_2869
; %bb.2855:
	s_cmp_gt_i32 s3, 43
	;; [unrolled: 3-line block ×3, first 2 shown]
	s_cbranch_scc0 .LBB23_2859
; %bb.2857:
	s_mov_b32 s0, -1
	s_mov_b32 s12, 0
	s_cmp_eq_u32 s3, 46
	s_cbranch_scc0 .LBB23_2859
; %bb.2858:
	v_cndmask_b32_e64 v1, 0, 1.0, s6
	s_mov_b32 s0, 0
	s_mov_b32 s11, -1
	s_delay_alu instid0(VALU_DEP_1) | instskip(NEXT) | instid1(VALU_DEP_1)
	v_bfe_u32 v4, v1, 16, 1
	v_add3_u32 v1, v1, v4, 0x7fff
	s_delay_alu instid0(VALU_DEP_1)
	v_lshrrev_b32_e32 v1, 16, v1
	global_store_b32 v[2:3], v1, off
.LBB23_2859:
	s_and_b32 vcc_lo, exec_lo, s12
	s_cbranch_vccz .LBB23_2864
; %bb.2860:
	s_cmp_eq_u32 s3, 44
	s_mov_b32 s0, -1
	s_cbranch_scc0 .LBB23_2864
; %bb.2861:
	v_cndmask_b32_e64 v5, 0, 1.0, s6
	s_mov_b32 s11, exec_lo
	s_wait_xcnt 0x0
	s_delay_alu instid0(VALU_DEP_1) | instskip(NEXT) | instid1(VALU_DEP_1)
	v_dual_mov_b32 v4, 0xff :: v_dual_lshrrev_b32 v1, 23, v5
	v_cmpx_ne_u32_e32 0xff, v1
; %bb.2862:
	v_and_b32_e32 v4, 0x400000, v5
	v_and_or_b32 v5, 0x3fffff, v5, v1
	s_delay_alu instid0(VALU_DEP_2) | instskip(NEXT) | instid1(VALU_DEP_2)
	v_cmp_ne_u32_e32 vcc_lo, 0, v4
	v_cmp_ne_u32_e64 s0, 0, v5
	s_and_b32 s0, vcc_lo, s0
	s_delay_alu instid0(SALU_CYCLE_1) | instskip(NEXT) | instid1(VALU_DEP_1)
	v_cndmask_b32_e64 v4, 0, 1, s0
	v_add_nc_u32_e32 v4, v1, v4
; %bb.2863:
	s_or_b32 exec_lo, exec_lo, s11
	s_mov_b32 s0, 0
	s_mov_b32 s11, -1
	global_store_b8 v[2:3], v4, off
.LBB23_2864:
	s_mov_b32 s12, 0
.LBB23_2865:
	s_delay_alu instid0(SALU_CYCLE_1)
	s_and_b32 vcc_lo, exec_lo, s12
	s_cbranch_vccz .LBB23_2868
; %bb.2866:
	s_cmp_eq_u32 s3, 29
	s_mov_b32 s0, -1
	s_cbranch_scc0 .LBB23_2868
; %bb.2867:
	s_mov_b32 s0, 0
	s_wait_xcnt 0x0
	v_cndmask_b32_e64 v4, 0, 1, s6
	v_mov_b32_e32 v5, s0
	s_mov_b32 s11, -1
	global_store_b64 v[2:3], v[4:5], off
.LBB23_2868:
	s_mov_b32 s12, 0
.LBB23_2869:
	s_delay_alu instid0(SALU_CYCLE_1)
	s_and_b32 vcc_lo, exec_lo, s12
	s_cbranch_vccz .LBB23_2885
; %bb.2870:
	s_cmp_lt_i32 s3, 27
	s_mov_b32 s11, -1
	s_cbranch_scc1 .LBB23_2876
; %bb.2871:
	s_cmp_gt_i32 s3, 27
	s_cbranch_scc0 .LBB23_2873
; %bb.2872:
	s_wait_xcnt 0x0
	v_cndmask_b32_e64 v1, 0, 1, s6
	s_mov_b32 s11, 0
	global_store_b32 v[2:3], v1, off
.LBB23_2873:
	s_and_not1_b32 vcc_lo, exec_lo, s11
	s_cbranch_vccnz .LBB23_2875
; %bb.2874:
	s_wait_xcnt 0x0
	v_cndmask_b32_e64 v1, 0, 1, s6
	global_store_b16 v[2:3], v1, off
.LBB23_2875:
	s_mov_b32 s11, 0
.LBB23_2876:
	s_delay_alu instid0(SALU_CYCLE_1)
	s_and_not1_b32 vcc_lo, exec_lo, s11
	s_cbranch_vccnz .LBB23_2884
; %bb.2877:
	s_wait_xcnt 0x0
	v_cndmask_b32_e64 v4, 0, 1.0, s6
	v_mov_b32_e32 v5, 0x80
	s_mov_b32 s11, exec_lo
	s_delay_alu instid0(VALU_DEP_2)
	v_cmpx_gt_u32_e32 0x43800000, v4
	s_cbranch_execz .LBB23_2883
; %bb.2878:
	s_mov_b32 s12, 0
	s_mov_b32 s13, exec_lo
                                        ; implicit-def: $vgpr1
	v_cmpx_lt_u32_e32 0x3bffffff, v4
	s_xor_b32 s13, exec_lo, s13
	s_cbranch_execz .LBB23_3104
; %bb.2879:
	v_bfe_u32 v1, v4, 20, 1
	s_mov_b32 s12, exec_lo
	s_delay_alu instid0(VALU_DEP_1) | instskip(NEXT) | instid1(VALU_DEP_1)
	v_add3_u32 v1, v4, v1, 0x487ffff
                                        ; implicit-def: $vgpr4
	v_lshrrev_b32_e32 v1, 20, v1
	s_and_not1_saveexec_b32 s13, s13
	s_cbranch_execnz .LBB23_3105
.LBB23_2880:
	s_or_b32 exec_lo, exec_lo, s13
	v_mov_b32_e32 v5, 0
	s_and_saveexec_b32 s13, s12
.LBB23_2881:
	v_mov_b32_e32 v5, v1
.LBB23_2882:
	s_or_b32 exec_lo, exec_lo, s13
.LBB23_2883:
	s_delay_alu instid0(SALU_CYCLE_1)
	s_or_b32 exec_lo, exec_lo, s11
	global_store_b8 v[2:3], v5, off
.LBB23_2884:
	s_mov_b32 s11, -1
.LBB23_2885:
	s_mov_b32 s12, 0
.LBB23_2886:
	s_delay_alu instid0(SALU_CYCLE_1)
	s_and_b32 vcc_lo, exec_lo, s12
	s_cbranch_vccz .LBB23_2926
; %bb.2887:
	s_cmp_gt_i32 s3, 22
	s_mov_b32 s7, -1
	s_cbranch_scc0 .LBB23_2919
; %bb.2888:
	s_cmp_lt_i32 s3, 24
	s_cbranch_scc1 .LBB23_2908
; %bb.2889:
	s_cmp_gt_i32 s3, 24
	s_cbranch_scc0 .LBB23_2897
; %bb.2890:
	s_wait_xcnt 0x0
	v_cndmask_b32_e64 v4, 0, 1.0, s6
	v_mov_b32_e32 v5, 0x80
	s_mov_b32 s7, exec_lo
	s_delay_alu instid0(VALU_DEP_2)
	v_cmpx_gt_u32_e32 0x47800000, v4
	s_cbranch_execz .LBB23_2896
; %bb.2891:
	s_mov_b32 s11, 0
	s_mov_b32 s12, exec_lo
                                        ; implicit-def: $vgpr1
	v_cmpx_lt_u32_e32 0x37ffffff, v4
	s_xor_b32 s12, exec_lo, s12
	s_cbranch_execz .LBB23_3107
; %bb.2892:
	v_bfe_u32 v1, v4, 21, 1
	s_mov_b32 s11, exec_lo
	s_delay_alu instid0(VALU_DEP_1) | instskip(NEXT) | instid1(VALU_DEP_1)
	v_add3_u32 v1, v4, v1, 0x88fffff
                                        ; implicit-def: $vgpr4
	v_lshrrev_b32_e32 v1, 21, v1
	s_and_not1_saveexec_b32 s12, s12
	s_cbranch_execnz .LBB23_3108
.LBB23_2893:
	s_or_b32 exec_lo, exec_lo, s12
	v_mov_b32_e32 v5, 0
	s_and_saveexec_b32 s12, s11
.LBB23_2894:
	v_mov_b32_e32 v5, v1
.LBB23_2895:
	s_or_b32 exec_lo, exec_lo, s12
.LBB23_2896:
	s_delay_alu instid0(SALU_CYCLE_1)
	s_or_b32 exec_lo, exec_lo, s7
	s_mov_b32 s7, 0
	global_store_b8 v[2:3], v5, off
.LBB23_2897:
	s_and_b32 vcc_lo, exec_lo, s7
	s_cbranch_vccz .LBB23_2907
; %bb.2898:
	s_wait_xcnt 0x0
	v_cndmask_b32_e64 v4, 0, 1.0, s6
	s_mov_b32 s7, exec_lo
                                        ; implicit-def: $vgpr1
	s_delay_alu instid0(VALU_DEP_1)
	v_cmpx_gt_u32_e32 0x43f00000, v4
	s_xor_b32 s7, exec_lo, s7
	s_cbranch_execz .LBB23_2904
; %bb.2899:
	s_mov_b32 s11, exec_lo
                                        ; implicit-def: $vgpr1
	v_cmpx_lt_u32_e32 0x3c7fffff, v4
	s_xor_b32 s11, exec_lo, s11
; %bb.2900:
	v_bfe_u32 v1, v4, 20, 1
	s_delay_alu instid0(VALU_DEP_1) | instskip(NEXT) | instid1(VALU_DEP_1)
	v_add3_u32 v1, v4, v1, 0x407ffff
	v_and_b32_e32 v4, 0xff00000, v1
	v_lshrrev_b32_e32 v1, 20, v1
	s_delay_alu instid0(VALU_DEP_2) | instskip(NEXT) | instid1(VALU_DEP_2)
	v_cmp_ne_u32_e32 vcc_lo, 0x7f00000, v4
                                        ; implicit-def: $vgpr4
	v_cndmask_b32_e32 v1, 0x7e, v1, vcc_lo
; %bb.2901:
	s_and_not1_saveexec_b32 s11, s11
; %bb.2902:
	v_add_f32_e32 v1, 0x46800000, v4
; %bb.2903:
	s_or_b32 exec_lo, exec_lo, s11
                                        ; implicit-def: $vgpr4
.LBB23_2904:
	s_and_not1_saveexec_b32 s7, s7
; %bb.2905:
	v_mov_b32_e32 v1, 0x7f
	v_cmp_lt_u32_e32 vcc_lo, 0x7f800000, v4
	s_delay_alu instid0(VALU_DEP_2)
	v_cndmask_b32_e32 v1, 0x7e, v1, vcc_lo
; %bb.2906:
	s_or_b32 exec_lo, exec_lo, s7
	global_store_b8 v[2:3], v1, off
.LBB23_2907:
	s_mov_b32 s7, 0
.LBB23_2908:
	s_delay_alu instid0(SALU_CYCLE_1)
	s_and_not1_b32 vcc_lo, exec_lo, s7
	s_cbranch_vccnz .LBB23_2918
; %bb.2909:
	s_wait_xcnt 0x0
	v_cndmask_b32_e64 v4, 0, 1.0, s6
	s_mov_b32 s7, exec_lo
                                        ; implicit-def: $vgpr1
	s_delay_alu instid0(VALU_DEP_1)
	v_cmpx_gt_u32_e32 0x47800000, v4
	s_xor_b32 s7, exec_lo, s7
	s_cbranch_execz .LBB23_2915
; %bb.2910:
	s_mov_b32 s11, exec_lo
                                        ; implicit-def: $vgpr1
	v_cmpx_lt_u32_e32 0x387fffff, v4
	s_xor_b32 s11, exec_lo, s11
; %bb.2911:
	v_bfe_u32 v1, v4, 21, 1
	s_delay_alu instid0(VALU_DEP_1) | instskip(NEXT) | instid1(VALU_DEP_1)
	v_add3_u32 v1, v4, v1, 0x80fffff
                                        ; implicit-def: $vgpr4
	v_lshrrev_b32_e32 v1, 21, v1
; %bb.2912:
	s_and_not1_saveexec_b32 s11, s11
; %bb.2913:
	v_add_f32_e32 v1, 0x43000000, v4
; %bb.2914:
	s_or_b32 exec_lo, exec_lo, s11
                                        ; implicit-def: $vgpr4
.LBB23_2915:
	s_and_not1_saveexec_b32 s7, s7
; %bb.2916:
	v_mov_b32_e32 v1, 0x7f
	v_cmp_lt_u32_e32 vcc_lo, 0x7f800000, v4
	s_delay_alu instid0(VALU_DEP_2)
	v_cndmask_b32_e32 v1, 0x7c, v1, vcc_lo
; %bb.2917:
	s_or_b32 exec_lo, exec_lo, s7
	global_store_b8 v[2:3], v1, off
.LBB23_2918:
	s_mov_b32 s7, 0
	s_mov_b32 s11, -1
.LBB23_2919:
	s_and_not1_b32 vcc_lo, exec_lo, s7
	s_mov_b32 s7, 0
	s_cbranch_vccnz .LBB23_2926
; %bb.2920:
	s_cmp_gt_i32 s3, 14
	s_mov_b32 s7, -1
	s_cbranch_scc0 .LBB23_2924
; %bb.2921:
	s_cmp_eq_u32 s3, 15
	s_mov_b32 s0, -1
	s_cbranch_scc0 .LBB23_2923
; %bb.2922:
	s_wait_xcnt 0x0
	v_cndmask_b32_e64 v1, 0, 1.0, s6
	s_mov_b32 s0, 0
	s_mov_b32 s11, -1
	s_delay_alu instid0(VALU_DEP_1) | instskip(NEXT) | instid1(VALU_DEP_1)
	v_bfe_u32 v4, v1, 16, 1
	v_add3_u32 v1, v1, v4, 0x7fff
	global_store_d16_hi_b16 v[2:3], v1, off
.LBB23_2923:
	s_mov_b32 s7, 0
.LBB23_2924:
	s_delay_alu instid0(SALU_CYCLE_1)
	s_and_b32 vcc_lo, exec_lo, s7
	s_mov_b32 s7, 0
	s_cbranch_vccz .LBB23_2926
; %bb.2925:
	s_cmp_lg_u32 s3, 11
	s_mov_b32 s7, -1
	s_cselect_b32 s0, -1, 0
.LBB23_2926:
	s_delay_alu instid0(SALU_CYCLE_1)
	s_and_b32 vcc_lo, exec_lo, s0
	s_cbranch_vccnz .LBB23_3106
; %bb.2927:
	s_and_not1_b32 vcc_lo, exec_lo, s7
	s_cbranch_vccnz .LBB23_2929
.LBB23_2928:
	s_wait_xcnt 0x0
	v_cndmask_b32_e64 v1, 0, 1, s6
	s_mov_b32 s11, -1
	global_store_b8 v[2:3], v1, off
.LBB23_2929:
	s_mov_b32 s0, 0
	s_branch .LBB23_2931
.LBB23_2930:
	s_mov_b32 s0, -1
	s_mov_b32 s11, 0
.LBB23_2931:
	s_and_b32 vcc_lo, exec_lo, s0
	s_cbranch_vccz .LBB23_2970
; %bb.2932:
	s_cmp_lt_i32 s3, 5
	s_mov_b32 s0, -1
	s_cbranch_scc1 .LBB23_2953
; %bb.2933:
	s_cmp_lt_i32 s3, 8
	s_cbranch_scc1 .LBB23_2943
; %bb.2934:
	s_cmp_lt_i32 s3, 9
	s_cbranch_scc1 .LBB23_2940
; %bb.2935:
	s_cmp_gt_i32 s3, 9
	s_cbranch_scc0 .LBB23_2937
; %bb.2936:
	s_wait_xcnt 0x0
	v_cndmask_b32_e64 v1, 0, 1, s6
	v_mov_b32_e32 v6, 0
	s_mov_b32 s0, 0
	s_delay_alu instid0(VALU_DEP_2) | instskip(NEXT) | instid1(VALU_DEP_2)
	v_cvt_f64_u32_e32 v[4:5], v1
	v_mov_b32_e32 v7, v6
	global_store_b128 v[2:3], v[4:7], off
.LBB23_2937:
	s_and_not1_b32 vcc_lo, exec_lo, s0
	s_cbranch_vccnz .LBB23_2939
; %bb.2938:
	s_wait_xcnt 0x0
	v_cndmask_b32_e64 v4, 0, 1.0, s6
	v_mov_b32_e32 v5, 0
	global_store_b64 v[2:3], v[4:5], off
.LBB23_2939:
	s_mov_b32 s0, 0
.LBB23_2940:
	s_delay_alu instid0(SALU_CYCLE_1)
	s_and_not1_b32 vcc_lo, exec_lo, s0
	s_cbranch_vccnz .LBB23_2942
; %bb.2941:
	s_wait_xcnt 0x0
	v_cndmask_b32_e64 v1, 0, 1.0, s6
	s_delay_alu instid0(VALU_DEP_1) | instskip(NEXT) | instid1(VALU_DEP_1)
	v_cvt_f16_f32_e32 v1, v1
	v_and_b32_e32 v1, 0xffff, v1
	global_store_b32 v[2:3], v1, off
.LBB23_2942:
	s_mov_b32 s0, 0
.LBB23_2943:
	s_delay_alu instid0(SALU_CYCLE_1)
	s_and_not1_b32 vcc_lo, exec_lo, s0
	s_cbranch_vccnz .LBB23_2952
; %bb.2944:
	s_cmp_lt_i32 s3, 6
	s_mov_b32 s0, -1
	s_cbranch_scc1 .LBB23_2950
; %bb.2945:
	s_cmp_gt_i32 s3, 6
	s_cbranch_scc0 .LBB23_2947
; %bb.2946:
	s_wait_xcnt 0x0
	v_cndmask_b32_e64 v1, 0, 1, s6
	s_mov_b32 s0, 0
	s_delay_alu instid0(VALU_DEP_1)
	v_cvt_f64_u32_e32 v[4:5], v1
	global_store_b64 v[2:3], v[4:5], off
.LBB23_2947:
	s_and_not1_b32 vcc_lo, exec_lo, s0
	s_cbranch_vccnz .LBB23_2949
; %bb.2948:
	s_wait_xcnt 0x0
	v_cndmask_b32_e64 v1, 0, 1.0, s6
	global_store_b32 v[2:3], v1, off
.LBB23_2949:
	s_mov_b32 s0, 0
.LBB23_2950:
	s_delay_alu instid0(SALU_CYCLE_1)
	s_and_not1_b32 vcc_lo, exec_lo, s0
	s_cbranch_vccnz .LBB23_2952
; %bb.2951:
	s_wait_xcnt 0x0
	v_cndmask_b32_e64 v1, 0, 1.0, s6
	s_delay_alu instid0(VALU_DEP_1)
	v_cvt_f16_f32_e32 v1, v1
	global_store_b16 v[2:3], v1, off
.LBB23_2952:
	s_mov_b32 s0, 0
.LBB23_2953:
	s_delay_alu instid0(SALU_CYCLE_1)
	s_and_not1_b32 vcc_lo, exec_lo, s0
	s_cbranch_vccnz .LBB23_2969
; %bb.2954:
	s_cmp_lt_i32 s3, 2
	s_mov_b32 s0, -1
	s_cbranch_scc1 .LBB23_2964
; %bb.2955:
	s_cmp_lt_i32 s3, 3
	s_cbranch_scc1 .LBB23_2961
; %bb.2956:
	s_cmp_gt_i32 s3, 3
	s_cbranch_scc0 .LBB23_2958
; %bb.2957:
	s_mov_b32 s0, 0
	s_wait_xcnt 0x0
	v_cndmask_b32_e64 v4, 0, 1, s6
	v_mov_b32_e32 v5, s0
	global_store_b64 v[2:3], v[4:5], off
.LBB23_2958:
	s_and_not1_b32 vcc_lo, exec_lo, s0
	s_cbranch_vccnz .LBB23_2960
; %bb.2959:
	s_wait_xcnt 0x0
	v_cndmask_b32_e64 v1, 0, 1, s6
	global_store_b32 v[2:3], v1, off
.LBB23_2960:
	s_mov_b32 s0, 0
.LBB23_2961:
	s_delay_alu instid0(SALU_CYCLE_1)
	s_and_not1_b32 vcc_lo, exec_lo, s0
	s_cbranch_vccnz .LBB23_2963
; %bb.2962:
	s_wait_xcnt 0x0
	v_cndmask_b32_e64 v1, 0, 1, s6
	global_store_b16 v[2:3], v1, off
.LBB23_2963:
	s_mov_b32 s0, 0
.LBB23_2964:
	s_delay_alu instid0(SALU_CYCLE_1)
	s_and_not1_b32 vcc_lo, exec_lo, s0
	s_cbranch_vccnz .LBB23_2969
; %bb.2965:
	s_cmp_gt_i32 s3, 0
	s_mov_b32 s0, -1
	s_cbranch_scc0 .LBB23_2967
; %bb.2966:
	s_wait_xcnt 0x0
	v_cndmask_b32_e64 v1, 0, 1, s6
	s_mov_b32 s0, 0
	global_store_b8 v[2:3], v1, off
.LBB23_2967:
	s_and_not1_b32 vcc_lo, exec_lo, s0
	s_cbranch_vccnz .LBB23_2969
; %bb.2968:
	s_wait_xcnt 0x0
	v_cndmask_b32_e64 v1, 0, 1, s6
	global_store_b8 v[2:3], v1, off
.LBB23_2969:
	s_mov_b32 s11, -1
.LBB23_2970:
	s_delay_alu instid0(SALU_CYCLE_1)
	s_and_not1_b32 vcc_lo, exec_lo, s11
	s_cbranch_vccnz .LBB23_3047
; %bb.2971:
	s_wait_xcnt 0x0
	v_and_b32_e32 v2, 0xff, v10
	v_and_b32_e32 v3, 0xff, v16
	v_mov_b32_e32 v1, 0
	s_delay_alu instid0(VALU_DEP_2) | instskip(NEXT) | instid1(VALU_DEP_2)
	v_cmp_ne_u16_e32 vcc_lo, v3, v2
	v_add_nc_u64_e32 v[2:3], s[4:5], v[0:1]
	s_xor_b32 s4, s2, vcc_lo
	s_cmp_lt_i32 s3, 11
	s_cbranch_scc1 .LBB23_3092
; %bb.2972:
	s_mov_b32 s5, -1
	s_mov_b32 s2, 0
	s_cmp_gt_i32 s3, 25
	s_mov_b32 s0, 0
	s_cbranch_scc0 .LBB23_3005
; %bb.2973:
	s_cmp_gt_i32 s3, 28
	s_cbranch_scc0 .LBB23_2989
; %bb.2974:
	s_cmp_gt_i32 s3, 43
	;; [unrolled: 3-line block ×3, first 2 shown]
	s_cbranch_scc0 .LBB23_2979
; %bb.2976:
	s_cmp_eq_u32 s3, 46
	s_mov_b32 s0, -1
	s_cbranch_scc0 .LBB23_2978
; %bb.2977:
	v_cndmask_b32_e64 v0, 0, 1.0, s4
	s_mov_b32 s0, 0
	s_delay_alu instid0(VALU_DEP_1) | instskip(NEXT) | instid1(VALU_DEP_1)
	v_bfe_u32 v1, v0, 16, 1
	v_add3_u32 v0, v0, v1, 0x7fff
	s_delay_alu instid0(VALU_DEP_1)
	v_lshrrev_b32_e32 v0, 16, v0
	global_store_b32 v[2:3], v0, off
.LBB23_2978:
	s_mov_b32 s5, 0
.LBB23_2979:
	s_delay_alu instid0(SALU_CYCLE_1)
	s_and_b32 vcc_lo, exec_lo, s5
	s_cbranch_vccz .LBB23_2984
; %bb.2980:
	s_cmp_eq_u32 s3, 44
	s_mov_b32 s0, -1
	s_cbranch_scc0 .LBB23_2984
; %bb.2981:
	v_cndmask_b32_e64 v4, 0, 1.0, s4
	s_mov_b32 s5, exec_lo
	s_wait_xcnt 0x0
	s_delay_alu instid0(VALU_DEP_1) | instskip(NEXT) | instid1(VALU_DEP_1)
	v_dual_mov_b32 v1, 0xff :: v_dual_lshrrev_b32 v0, 23, v4
	v_cmpx_ne_u32_e32 0xff, v0
; %bb.2982:
	v_and_b32_e32 v1, 0x400000, v4
	v_and_or_b32 v4, 0x3fffff, v4, v0
	s_delay_alu instid0(VALU_DEP_2) | instskip(NEXT) | instid1(VALU_DEP_2)
	v_cmp_ne_u32_e32 vcc_lo, 0, v1
	v_cmp_ne_u32_e64 s0, 0, v4
	s_and_b32 s0, vcc_lo, s0
	s_delay_alu instid0(SALU_CYCLE_1) | instskip(NEXT) | instid1(VALU_DEP_1)
	v_cndmask_b32_e64 v1, 0, 1, s0
	v_add_nc_u32_e32 v1, v0, v1
; %bb.2983:
	s_or_b32 exec_lo, exec_lo, s5
	s_mov_b32 s0, 0
	global_store_b8 v[2:3], v1, off
.LBB23_2984:
	s_mov_b32 s5, 0
.LBB23_2985:
	s_delay_alu instid0(SALU_CYCLE_1)
	s_and_b32 vcc_lo, exec_lo, s5
	s_cbranch_vccz .LBB23_2988
; %bb.2986:
	s_cmp_eq_u32 s3, 29
	s_mov_b32 s0, -1
	s_cbranch_scc0 .LBB23_2988
; %bb.2987:
	s_mov_b32 s0, 0
	s_wait_xcnt 0x0
	v_cndmask_b32_e64 v0, 0, 1, s4
	v_mov_b32_e32 v1, s0
	global_store_b64 v[2:3], v[0:1], off
.LBB23_2988:
	s_mov_b32 s5, 0
.LBB23_2989:
	s_delay_alu instid0(SALU_CYCLE_1)
	s_and_b32 vcc_lo, exec_lo, s5
	s_cbranch_vccz .LBB23_3004
; %bb.2990:
	s_cmp_lt_i32 s3, 27
	s_mov_b32 s5, -1
	s_cbranch_scc1 .LBB23_2996
; %bb.2991:
	s_wait_xcnt 0x0
	v_cndmask_b32_e64 v0, 0, 1, s4
	s_cmp_gt_i32 s3, 27
	s_cbranch_scc0 .LBB23_2993
; %bb.2992:
	s_mov_b32 s5, 0
	global_store_b32 v[2:3], v0, off
.LBB23_2993:
	s_and_not1_b32 vcc_lo, exec_lo, s5
	s_cbranch_vccnz .LBB23_2995
; %bb.2994:
	global_store_b16 v[2:3], v0, off
.LBB23_2995:
	s_mov_b32 s5, 0
.LBB23_2996:
	s_delay_alu instid0(SALU_CYCLE_1)
	s_and_not1_b32 vcc_lo, exec_lo, s5
	s_cbranch_vccnz .LBB23_3004
; %bb.2997:
	s_wait_xcnt 0x0
	v_cndmask_b32_e64 v1, 0, 1.0, s4
	v_mov_b32_e32 v4, 0x80
	s_mov_b32 s5, exec_lo
	s_delay_alu instid0(VALU_DEP_2)
	v_cmpx_gt_u32_e32 0x43800000, v1
	s_cbranch_execz .LBB23_3003
; %bb.2998:
	s_mov_b32 s6, 0
	s_mov_b32 s7, exec_lo
                                        ; implicit-def: $vgpr0
	v_cmpx_lt_u32_e32 0x3bffffff, v1
	s_xor_b32 s7, exec_lo, s7
	s_cbranch_execz .LBB23_3109
; %bb.2999:
	v_bfe_u32 v0, v1, 20, 1
	s_mov_b32 s6, exec_lo
	s_delay_alu instid0(VALU_DEP_1) | instskip(NEXT) | instid1(VALU_DEP_1)
	v_add3_u32 v0, v1, v0, 0x487ffff
                                        ; implicit-def: $vgpr1
	v_lshrrev_b32_e32 v0, 20, v0
	s_and_not1_saveexec_b32 s7, s7
	s_cbranch_execnz .LBB23_3110
.LBB23_3000:
	s_or_b32 exec_lo, exec_lo, s7
	v_mov_b32_e32 v4, 0
	s_and_saveexec_b32 s7, s6
.LBB23_3001:
	v_mov_b32_e32 v4, v0
.LBB23_3002:
	s_or_b32 exec_lo, exec_lo, s7
.LBB23_3003:
	s_delay_alu instid0(SALU_CYCLE_1)
	s_or_b32 exec_lo, exec_lo, s5
	global_store_b8 v[2:3], v4, off
.LBB23_3004:
	s_mov_b32 s5, 0
.LBB23_3005:
	s_delay_alu instid0(SALU_CYCLE_1)
	s_and_b32 vcc_lo, exec_lo, s5
	s_cbranch_vccz .LBB23_3045
; %bb.3006:
	s_cmp_gt_i32 s3, 22
	s_mov_b32 s2, -1
	s_cbranch_scc0 .LBB23_3038
; %bb.3007:
	s_cmp_lt_i32 s3, 24
	s_cbranch_scc1 .LBB23_3027
; %bb.3008:
	s_cmp_gt_i32 s3, 24
	s_cbranch_scc0 .LBB23_3016
; %bb.3009:
	s_wait_xcnt 0x0
	v_cndmask_b32_e64 v1, 0, 1.0, s4
	v_mov_b32_e32 v4, 0x80
	s_mov_b32 s2, exec_lo
	s_delay_alu instid0(VALU_DEP_2)
	v_cmpx_gt_u32_e32 0x47800000, v1
	s_cbranch_execz .LBB23_3015
; %bb.3010:
	s_mov_b32 s5, 0
	s_mov_b32 s6, exec_lo
                                        ; implicit-def: $vgpr0
	v_cmpx_lt_u32_e32 0x37ffffff, v1
	s_xor_b32 s6, exec_lo, s6
	s_cbranch_execz .LBB23_3112
; %bb.3011:
	v_bfe_u32 v0, v1, 21, 1
	s_mov_b32 s5, exec_lo
	s_delay_alu instid0(VALU_DEP_1) | instskip(NEXT) | instid1(VALU_DEP_1)
	v_add3_u32 v0, v1, v0, 0x88fffff
                                        ; implicit-def: $vgpr1
	v_lshrrev_b32_e32 v0, 21, v0
	s_and_not1_saveexec_b32 s6, s6
	s_cbranch_execnz .LBB23_3113
.LBB23_3012:
	s_or_b32 exec_lo, exec_lo, s6
	v_mov_b32_e32 v4, 0
	s_and_saveexec_b32 s6, s5
.LBB23_3013:
	v_mov_b32_e32 v4, v0
.LBB23_3014:
	s_or_b32 exec_lo, exec_lo, s6
.LBB23_3015:
	s_delay_alu instid0(SALU_CYCLE_1)
	s_or_b32 exec_lo, exec_lo, s2
	s_mov_b32 s2, 0
	global_store_b8 v[2:3], v4, off
.LBB23_3016:
	s_and_b32 vcc_lo, exec_lo, s2
	s_cbranch_vccz .LBB23_3026
; %bb.3017:
	s_wait_xcnt 0x0
	v_cndmask_b32_e64 v1, 0, 1.0, s4
	s_mov_b32 s2, exec_lo
                                        ; implicit-def: $vgpr0
	s_delay_alu instid0(VALU_DEP_1)
	v_cmpx_gt_u32_e32 0x43f00000, v1
	s_xor_b32 s2, exec_lo, s2
	s_cbranch_execz .LBB23_3023
; %bb.3018:
	s_mov_b32 s5, exec_lo
                                        ; implicit-def: $vgpr0
	v_cmpx_lt_u32_e32 0x3c7fffff, v1
	s_xor_b32 s5, exec_lo, s5
; %bb.3019:
	v_bfe_u32 v0, v1, 20, 1
	s_delay_alu instid0(VALU_DEP_1) | instskip(NEXT) | instid1(VALU_DEP_1)
	v_add3_u32 v0, v1, v0, 0x407ffff
	v_and_b32_e32 v1, 0xff00000, v0
	v_lshrrev_b32_e32 v0, 20, v0
	s_delay_alu instid0(VALU_DEP_2) | instskip(NEXT) | instid1(VALU_DEP_2)
	v_cmp_ne_u32_e32 vcc_lo, 0x7f00000, v1
                                        ; implicit-def: $vgpr1
	v_cndmask_b32_e32 v0, 0x7e, v0, vcc_lo
; %bb.3020:
	s_and_not1_saveexec_b32 s5, s5
; %bb.3021:
	v_add_f32_e32 v0, 0x46800000, v1
; %bb.3022:
	s_or_b32 exec_lo, exec_lo, s5
                                        ; implicit-def: $vgpr1
.LBB23_3023:
	s_and_not1_saveexec_b32 s2, s2
; %bb.3024:
	v_mov_b32_e32 v0, 0x7f
	v_cmp_lt_u32_e32 vcc_lo, 0x7f800000, v1
	s_delay_alu instid0(VALU_DEP_2)
	v_cndmask_b32_e32 v0, 0x7e, v0, vcc_lo
; %bb.3025:
	s_or_b32 exec_lo, exec_lo, s2
	global_store_b8 v[2:3], v0, off
.LBB23_3026:
	s_mov_b32 s2, 0
.LBB23_3027:
	s_delay_alu instid0(SALU_CYCLE_1)
	s_and_not1_b32 vcc_lo, exec_lo, s2
	s_cbranch_vccnz .LBB23_3037
; %bb.3028:
	s_wait_xcnt 0x0
	v_cndmask_b32_e64 v1, 0, 1.0, s4
	s_mov_b32 s2, exec_lo
                                        ; implicit-def: $vgpr0
	s_delay_alu instid0(VALU_DEP_1)
	v_cmpx_gt_u32_e32 0x47800000, v1
	s_xor_b32 s2, exec_lo, s2
	s_cbranch_execz .LBB23_3034
; %bb.3029:
	s_mov_b32 s5, exec_lo
                                        ; implicit-def: $vgpr0
	v_cmpx_lt_u32_e32 0x387fffff, v1
	s_xor_b32 s5, exec_lo, s5
; %bb.3030:
	v_bfe_u32 v0, v1, 21, 1
	s_delay_alu instid0(VALU_DEP_1) | instskip(NEXT) | instid1(VALU_DEP_1)
	v_add3_u32 v0, v1, v0, 0x80fffff
                                        ; implicit-def: $vgpr1
	v_lshrrev_b32_e32 v0, 21, v0
; %bb.3031:
	s_and_not1_saveexec_b32 s5, s5
; %bb.3032:
	v_add_f32_e32 v0, 0x43000000, v1
; %bb.3033:
	s_or_b32 exec_lo, exec_lo, s5
                                        ; implicit-def: $vgpr1
.LBB23_3034:
	s_and_not1_saveexec_b32 s2, s2
; %bb.3035:
	v_mov_b32_e32 v0, 0x7f
	v_cmp_lt_u32_e32 vcc_lo, 0x7f800000, v1
	s_delay_alu instid0(VALU_DEP_2)
	v_cndmask_b32_e32 v0, 0x7c, v0, vcc_lo
; %bb.3036:
	s_or_b32 exec_lo, exec_lo, s2
	global_store_b8 v[2:3], v0, off
.LBB23_3037:
	s_mov_b32 s2, 0
.LBB23_3038:
	s_delay_alu instid0(SALU_CYCLE_1)
	s_and_not1_b32 vcc_lo, exec_lo, s2
	s_mov_b32 s2, 0
	s_cbranch_vccnz .LBB23_3045
; %bb.3039:
	s_cmp_gt_i32 s3, 14
	s_mov_b32 s2, -1
	s_cbranch_scc0 .LBB23_3043
; %bb.3040:
	s_cmp_eq_u32 s3, 15
	s_mov_b32 s0, -1
	s_cbranch_scc0 .LBB23_3042
; %bb.3041:
	s_wait_xcnt 0x0
	v_cndmask_b32_e64 v0, 0, 1.0, s4
	s_mov_b32 s0, 0
	s_delay_alu instid0(VALU_DEP_1) | instskip(NEXT) | instid1(VALU_DEP_1)
	v_bfe_u32 v1, v0, 16, 1
	v_add3_u32 v0, v0, v1, 0x7fff
	global_store_d16_hi_b16 v[2:3], v0, off
.LBB23_3042:
	s_mov_b32 s2, 0
.LBB23_3043:
	s_delay_alu instid0(SALU_CYCLE_1)
	s_and_b32 vcc_lo, exec_lo, s2
	s_mov_b32 s2, 0
	s_cbranch_vccz .LBB23_3045
; %bb.3044:
	s_cmp_lg_u32 s3, 11
	s_mov_b32 s2, -1
	s_cselect_b32 s0, -1, 0
.LBB23_3045:
	s_delay_alu instid0(SALU_CYCLE_1)
	s_and_b32 vcc_lo, exec_lo, s0
	s_cbranch_vccnz .LBB23_3111
.LBB23_3046:
	s_mov_b32 s0, 0
	s_branch .LBB23_3048
.LBB23_3047:
	s_mov_b32 s0, 0
	s_wait_xcnt 0x0
	s_mov_b32 s2, 0
                                        ; implicit-def: $sgpr4
                                        ; implicit-def: $vgpr2_vgpr3
                                        ; implicit-def: $sgpr1
.LBB23_3048:
	s_and_not1_b32 s3, s8, exec_lo
	s_and_b32 s5, s10, exec_lo
	s_and_b32 s0, s0, exec_lo
	;; [unrolled: 1-line block ×3, first 2 shown]
	s_or_b32 s8, s3, s5
.LBB23_3049:
	s_wait_xcnt 0x0
	s_or_b32 exec_lo, exec_lo, s9
	s_and_saveexec_b32 s2, s8
	s_cbranch_execz .LBB23_3052
; %bb.3050:
	; divergent unreachable
	s_or_b32 exec_lo, exec_lo, s2
	s_and_saveexec_b32 s2, s30
	s_delay_alu instid0(SALU_CYCLE_1)
	s_xor_b32 s2, exec_lo, s2
	s_cbranch_execnz .LBB23_3053
.LBB23_3051:
	s_or_b32 exec_lo, exec_lo, s2
	s_and_saveexec_b32 s2, s0
	s_cbranch_execnz .LBB23_3054
	s_branch .LBB23_3091
.LBB23_3052:
	s_or_b32 exec_lo, exec_lo, s2
	s_and_saveexec_b32 s2, s30
	s_delay_alu instid0(SALU_CYCLE_1)
	s_xor_b32 s2, exec_lo, s2
	s_cbranch_execz .LBB23_3051
.LBB23_3053:
	v_cndmask_b32_e64 v0, 0, 1, s4
	global_store_b8 v[2:3], v0, off
	s_wait_xcnt 0x0
	s_or_b32 exec_lo, exec_lo, s2
	s_and_saveexec_b32 s2, s0
	s_cbranch_execz .LBB23_3091
.LBB23_3054:
	s_sext_i32_i16 s2, s1
	s_mov_b32 s0, -1
	s_cmp_lt_i32 s2, 5
	s_cbranch_scc1 .LBB23_3075
; %bb.3055:
	s_cmp_lt_i32 s2, 8
	s_cbranch_scc1 .LBB23_3065
; %bb.3056:
	;; [unrolled: 3-line block ×3, first 2 shown]
	s_cmp_gt_i32 s2, 9
	s_cbranch_scc0 .LBB23_3059
; %bb.3058:
	v_cndmask_b32_e64 v0, 0, 1, s4
	v_mov_b32_e32 v6, 0
	s_mov_b32 s0, 0
	s_wait_loadcnt 0x0
	s_delay_alu instid0(VALU_DEP_2) | instskip(NEXT) | instid1(VALU_DEP_2)
	v_cvt_f64_u32_e32 v[4:5], v0
	v_mov_b32_e32 v7, v6
	global_store_b128 v[2:3], v[4:7], off
.LBB23_3059:
	s_and_not1_b32 vcc_lo, exec_lo, s0
	s_cbranch_vccnz .LBB23_3061
; %bb.3060:
	v_cndmask_b32_e64 v0, 0, 1.0, s4
	v_mov_b32_e32 v1, 0
	global_store_b64 v[2:3], v[0:1], off
.LBB23_3061:
	s_mov_b32 s0, 0
.LBB23_3062:
	s_delay_alu instid0(SALU_CYCLE_1)
	s_and_not1_b32 vcc_lo, exec_lo, s0
	s_cbranch_vccnz .LBB23_3064
; %bb.3063:
	s_wait_xcnt 0x0
	v_cndmask_b32_e64 v0, 0, 1.0, s4
	s_delay_alu instid0(VALU_DEP_1) | instskip(NEXT) | instid1(VALU_DEP_1)
	v_cvt_f16_f32_e32 v0, v0
	v_and_b32_e32 v0, 0xffff, v0
	global_store_b32 v[2:3], v0, off
.LBB23_3064:
	s_mov_b32 s0, 0
.LBB23_3065:
	s_delay_alu instid0(SALU_CYCLE_1)
	s_and_not1_b32 vcc_lo, exec_lo, s0
	s_cbranch_vccnz .LBB23_3074
; %bb.3066:
	s_sext_i32_i16 s2, s1
	s_mov_b32 s0, -1
	s_cmp_lt_i32 s2, 6
	s_cbranch_scc1 .LBB23_3072
; %bb.3067:
	s_cmp_gt_i32 s2, 6
	s_cbranch_scc0 .LBB23_3069
; %bb.3068:
	s_wait_xcnt 0x0
	v_cndmask_b32_e64 v0, 0, 1, s4
	s_mov_b32 s0, 0
	s_delay_alu instid0(VALU_DEP_1)
	v_cvt_f64_u32_e32 v[0:1], v0
	global_store_b64 v[2:3], v[0:1], off
.LBB23_3069:
	s_and_not1_b32 vcc_lo, exec_lo, s0
	s_cbranch_vccnz .LBB23_3071
; %bb.3070:
	s_wait_xcnt 0x0
	v_cndmask_b32_e64 v0, 0, 1.0, s4
	global_store_b32 v[2:3], v0, off
.LBB23_3071:
	s_mov_b32 s0, 0
.LBB23_3072:
	s_delay_alu instid0(SALU_CYCLE_1)
	s_and_not1_b32 vcc_lo, exec_lo, s0
	s_cbranch_vccnz .LBB23_3074
; %bb.3073:
	s_wait_xcnt 0x0
	v_cndmask_b32_e64 v0, 0, 1.0, s4
	s_delay_alu instid0(VALU_DEP_1)
	v_cvt_f16_f32_e32 v0, v0
	global_store_b16 v[2:3], v0, off
.LBB23_3074:
	s_mov_b32 s0, 0
.LBB23_3075:
	s_delay_alu instid0(SALU_CYCLE_1)
	s_and_not1_b32 vcc_lo, exec_lo, s0
	s_cbranch_vccnz .LBB23_3091
; %bb.3076:
	s_sext_i32_i16 s2, s1
	s_mov_b32 s0, -1
	s_cmp_lt_i32 s2, 2
	s_cbranch_scc1 .LBB23_3086
; %bb.3077:
	s_cmp_lt_i32 s2, 3
	s_cbranch_scc1 .LBB23_3083
; %bb.3078:
	s_cmp_gt_i32 s2, 3
	s_cbranch_scc0 .LBB23_3080
; %bb.3079:
	s_mov_b32 s0, 0
	s_wait_xcnt 0x0
	v_cndmask_b32_e64 v0, 0, 1, s4
	v_mov_b32_e32 v1, s0
	global_store_b64 v[2:3], v[0:1], off
.LBB23_3080:
	s_and_not1_b32 vcc_lo, exec_lo, s0
	s_cbranch_vccnz .LBB23_3082
; %bb.3081:
	s_wait_xcnt 0x0
	v_cndmask_b32_e64 v0, 0, 1, s4
	global_store_b32 v[2:3], v0, off
.LBB23_3082:
	s_mov_b32 s0, 0
.LBB23_3083:
	s_delay_alu instid0(SALU_CYCLE_1)
	s_and_not1_b32 vcc_lo, exec_lo, s0
	s_cbranch_vccnz .LBB23_3085
; %bb.3084:
	s_wait_xcnt 0x0
	v_cndmask_b32_e64 v0, 0, 1, s4
	global_store_b16 v[2:3], v0, off
.LBB23_3085:
	s_mov_b32 s0, 0
.LBB23_3086:
	s_delay_alu instid0(SALU_CYCLE_1)
	s_and_not1_b32 vcc_lo, exec_lo, s0
	s_cbranch_vccnz .LBB23_3091
; %bb.3087:
	s_sext_i32_i16 s0, s1
	s_delay_alu instid0(SALU_CYCLE_1)
	s_cmp_gt_i32 s0, 0
	s_mov_b32 s0, -1
	s_cbranch_scc0 .LBB23_3089
; %bb.3088:
	s_wait_xcnt 0x0
	v_cndmask_b32_e64 v0, 0, 1, s4
	s_mov_b32 s0, 0
	global_store_b8 v[2:3], v0, off
.LBB23_3089:
	s_and_not1_b32 vcc_lo, exec_lo, s0
	s_cbranch_vccnz .LBB23_3091
; %bb.3090:
	s_wait_xcnt 0x0
	v_cndmask_b32_e64 v0, 0, 1, s4
	global_store_b8 v[2:3], v0, off
	s_endpgm
.LBB23_3091:
	s_endpgm
.LBB23_3092:
	s_mov_b32 s2, 0
	s_mov_b32 s0, -1
	s_branch .LBB23_3048
.LBB23_3093:
	s_or_b32 s10, s10, exec_lo
	s_trap 2
	s_cbranch_execz .LBB23_2563
	s_branch .LBB23_2564
.LBB23_3094:
	s_and_not1_saveexec_b32 s13, s13
	s_cbranch_execz .LBB23_2643
.LBB23_3095:
	v_add_f32_e32 v1, 0x46000000, v3
	s_and_not1_b32 s12, s12, exec_lo
	s_delay_alu instid0(VALU_DEP_1) | instskip(NEXT) | instid1(VALU_DEP_1)
	v_and_b32_e32 v1, 0xff, v1
	v_cmp_ne_u32_e32 vcc_lo, 0, v1
	s_and_b32 s14, vcc_lo, exec_lo
	s_delay_alu instid0(SALU_CYCLE_1)
	s_or_b32 s12, s12, s14
	s_or_b32 exec_lo, exec_lo, s13
	v_mov_b32_e32 v5, 0
	s_and_saveexec_b32 s13, s12
	s_cbranch_execnz .LBB23_2644
	s_branch .LBB23_2645
.LBB23_3096:
	s_or_b32 s10, s10, exec_lo
	s_trap 2
	s_cbranch_execz .LBB23_2691
	s_branch .LBB23_2692
.LBB23_3097:
	s_and_not1_saveexec_b32 s12, s12
	s_cbranch_execz .LBB23_2656
.LBB23_3098:
	v_add_f32_e32 v1, 0x42800000, v3
	s_and_not1_b32 s11, s11, exec_lo
	s_delay_alu instid0(VALU_DEP_1) | instskip(NEXT) | instid1(VALU_DEP_1)
	v_and_b32_e32 v1, 0xff, v1
	v_cmp_ne_u32_e32 vcc_lo, 0, v1
	s_and_b32 s13, vcc_lo, exec_lo
	s_delay_alu instid0(SALU_CYCLE_1)
	s_or_b32 s11, s11, s13
	s_or_b32 exec_lo, exec_lo, s12
	v_mov_b32_e32 v5, 0
	s_and_saveexec_b32 s12, s11
	s_cbranch_execnz .LBB23_2657
	s_branch .LBB23_2658
.LBB23_3099:
	s_and_not1_saveexec_b32 s13, s13
	s_cbranch_execz .LBB23_2761
.LBB23_3100:
	v_add_f32_e32 v1, 0x46000000, v3
	s_and_not1_b32 s12, s12, exec_lo
	s_delay_alu instid0(VALU_DEP_1) | instskip(NEXT) | instid1(VALU_DEP_1)
	v_and_b32_e32 v1, 0xff, v1
	v_cmp_ne_u32_e32 vcc_lo, 0, v1
	s_and_b32 s14, vcc_lo, exec_lo
	s_delay_alu instid0(SALU_CYCLE_1)
	s_or_b32 s12, s12, s14
	s_or_b32 exec_lo, exec_lo, s13
	v_mov_b32_e32 v6, 0
	s_and_saveexec_b32 s13, s12
	s_cbranch_execnz .LBB23_2762
	s_branch .LBB23_2763
.LBB23_3101:
	s_or_b32 s10, s10, exec_lo
	s_trap 2
	s_cbranch_execz .LBB23_2809
	s_branch .LBB23_2810
.LBB23_3102:
	s_and_not1_saveexec_b32 s12, s12
	s_cbranch_execz .LBB23_2774
.LBB23_3103:
	v_add_f32_e32 v1, 0x42800000, v3
	s_and_not1_b32 s11, s11, exec_lo
	s_delay_alu instid0(VALU_DEP_1) | instskip(NEXT) | instid1(VALU_DEP_1)
	v_and_b32_e32 v1, 0xff, v1
	v_cmp_ne_u32_e32 vcc_lo, 0, v1
	s_and_b32 s13, vcc_lo, exec_lo
	s_delay_alu instid0(SALU_CYCLE_1)
	s_or_b32 s11, s11, s13
	s_or_b32 exec_lo, exec_lo, s12
	v_mov_b32_e32 v6, 0
	s_and_saveexec_b32 s12, s11
	s_cbranch_execnz .LBB23_2775
	s_branch .LBB23_2776
.LBB23_3104:
	s_and_not1_saveexec_b32 s13, s13
	s_cbranch_execz .LBB23_2880
.LBB23_3105:
	v_add_f32_e32 v1, 0x46000000, v4
	s_and_not1_b32 s12, s12, exec_lo
	s_delay_alu instid0(VALU_DEP_1) | instskip(NEXT) | instid1(VALU_DEP_1)
	v_and_b32_e32 v1, 0xff, v1
	v_cmp_ne_u32_e32 vcc_lo, 0, v1
	s_and_b32 s14, vcc_lo, exec_lo
	s_delay_alu instid0(SALU_CYCLE_1)
	s_or_b32 s12, s12, s14
	s_or_b32 exec_lo, exec_lo, s13
	v_mov_b32_e32 v5, 0
	s_and_saveexec_b32 s13, s12
	s_cbranch_execnz .LBB23_2881
	s_branch .LBB23_2882
.LBB23_3106:
	s_or_b32 s10, s10, exec_lo
	s_trap 2
	s_cbranch_execz .LBB23_2928
	s_branch .LBB23_2929
.LBB23_3107:
	s_and_not1_saveexec_b32 s12, s12
	s_cbranch_execz .LBB23_2893
.LBB23_3108:
	v_add_f32_e32 v1, 0x42800000, v4
	s_and_not1_b32 s11, s11, exec_lo
	s_delay_alu instid0(VALU_DEP_1) | instskip(NEXT) | instid1(VALU_DEP_1)
	v_and_b32_e32 v1, 0xff, v1
	v_cmp_ne_u32_e32 vcc_lo, 0, v1
	s_and_b32 s13, vcc_lo, exec_lo
	s_delay_alu instid0(SALU_CYCLE_1)
	s_or_b32 s11, s11, s13
	s_or_b32 exec_lo, exec_lo, s12
	v_mov_b32_e32 v5, 0
	s_and_saveexec_b32 s12, s11
	s_cbranch_execnz .LBB23_2894
	s_branch .LBB23_2895
.LBB23_3109:
	s_and_not1_saveexec_b32 s7, s7
	s_cbranch_execz .LBB23_3000
.LBB23_3110:
	v_add_f32_e32 v0, 0x46000000, v1
	s_and_not1_b32 s6, s6, exec_lo
	s_delay_alu instid0(VALU_DEP_1) | instskip(NEXT) | instid1(VALU_DEP_1)
	v_and_b32_e32 v0, 0xff, v0
	v_cmp_ne_u32_e32 vcc_lo, 0, v0
	s_and_b32 s11, vcc_lo, exec_lo
	s_delay_alu instid0(SALU_CYCLE_1)
	s_or_b32 s6, s6, s11
	s_or_b32 exec_lo, exec_lo, s7
	v_mov_b32_e32 v4, 0
	s_and_saveexec_b32 s7, s6
	s_cbranch_execnz .LBB23_3001
	s_branch .LBB23_3002
.LBB23_3111:
	s_mov_b32 s2, 0
	s_or_b32 s10, s10, exec_lo
	s_trap 2
	s_branch .LBB23_3046
.LBB23_3112:
	s_and_not1_saveexec_b32 s6, s6
	s_cbranch_execz .LBB23_3012
.LBB23_3113:
	v_add_f32_e32 v0, 0x42800000, v1
	s_and_not1_b32 s5, s5, exec_lo
	s_delay_alu instid0(VALU_DEP_1) | instskip(NEXT) | instid1(VALU_DEP_1)
	v_and_b32_e32 v0, 0xff, v0
	v_cmp_ne_u32_e32 vcc_lo, 0, v0
	s_and_b32 s7, vcc_lo, exec_lo
	s_delay_alu instid0(SALU_CYCLE_1)
	s_or_b32 s5, s5, s7
	s_or_b32 exec_lo, exec_lo, s6
	v_mov_b32_e32 v4, 0
	s_and_saveexec_b32 s6, s5
	s_cbranch_execnz .LBB23_3013
	s_branch .LBB23_3014
	.section	.rodata,"a",@progbits
	.p2align	6, 0x0
	.amdhsa_kernel _ZN2at6native32elementwise_kernel_manual_unrollILi128ELi4EZNS0_15gpu_kernel_implINS0_13BinaryFunctorIaabNS0_12_GLOBAL__N_116CompareEqFunctorIaEEEEEEvRNS_18TensorIteratorBaseERKT_EUlibE0_EEviT1_
		.amdhsa_group_segment_fixed_size 0
		.amdhsa_private_segment_fixed_size 0
		.amdhsa_kernarg_size 432
		.amdhsa_user_sgpr_count 2
		.amdhsa_user_sgpr_dispatch_ptr 0
		.amdhsa_user_sgpr_queue_ptr 0
		.amdhsa_user_sgpr_kernarg_segment_ptr 1
		.amdhsa_user_sgpr_dispatch_id 0
		.amdhsa_user_sgpr_kernarg_preload_length 0
		.amdhsa_user_sgpr_kernarg_preload_offset 0
		.amdhsa_user_sgpr_private_segment_size 0
		.amdhsa_wavefront_size32 1
		.amdhsa_uses_dynamic_stack 0
		.amdhsa_enable_private_segment 0
		.amdhsa_system_sgpr_workgroup_id_x 1
		.amdhsa_system_sgpr_workgroup_id_y 0
		.amdhsa_system_sgpr_workgroup_id_z 0
		.amdhsa_system_sgpr_workgroup_info 0
		.amdhsa_system_vgpr_workitem_id 0
		.amdhsa_next_free_vgpr 28
		.amdhsa_next_free_sgpr 62
		.amdhsa_named_barrier_count 0
		.amdhsa_reserve_vcc 1
		.amdhsa_float_round_mode_32 0
		.amdhsa_float_round_mode_16_64 0
		.amdhsa_float_denorm_mode_32 3
		.amdhsa_float_denorm_mode_16_64 3
		.amdhsa_fp16_overflow 0
		.amdhsa_memory_ordered 1
		.amdhsa_forward_progress 1
		.amdhsa_inst_pref_size 255
		.amdhsa_round_robin_scheduling 0
		.amdhsa_exception_fp_ieee_invalid_op 0
		.amdhsa_exception_fp_denorm_src 0
		.amdhsa_exception_fp_ieee_div_zero 0
		.amdhsa_exception_fp_ieee_overflow 0
		.amdhsa_exception_fp_ieee_underflow 0
		.amdhsa_exception_fp_ieee_inexact 0
		.amdhsa_exception_int_div_zero 0
	.end_amdhsa_kernel
	.section	.text._ZN2at6native32elementwise_kernel_manual_unrollILi128ELi4EZNS0_15gpu_kernel_implINS0_13BinaryFunctorIaabNS0_12_GLOBAL__N_116CompareEqFunctorIaEEEEEEvRNS_18TensorIteratorBaseERKT_EUlibE0_EEviT1_,"axG",@progbits,_ZN2at6native32elementwise_kernel_manual_unrollILi128ELi4EZNS0_15gpu_kernel_implINS0_13BinaryFunctorIaabNS0_12_GLOBAL__N_116CompareEqFunctorIaEEEEEEvRNS_18TensorIteratorBaseERKT_EUlibE0_EEviT1_,comdat
.Lfunc_end23:
	.size	_ZN2at6native32elementwise_kernel_manual_unrollILi128ELi4EZNS0_15gpu_kernel_implINS0_13BinaryFunctorIaabNS0_12_GLOBAL__N_116CompareEqFunctorIaEEEEEEvRNS_18TensorIteratorBaseERKT_EUlibE0_EEviT1_, .Lfunc_end23-_ZN2at6native32elementwise_kernel_manual_unrollILi128ELi4EZNS0_15gpu_kernel_implINS0_13BinaryFunctorIaabNS0_12_GLOBAL__N_116CompareEqFunctorIaEEEEEEvRNS_18TensorIteratorBaseERKT_EUlibE0_EEviT1_
                                        ; -- End function
	.set _ZN2at6native32elementwise_kernel_manual_unrollILi128ELi4EZNS0_15gpu_kernel_implINS0_13BinaryFunctorIaabNS0_12_GLOBAL__N_116CompareEqFunctorIaEEEEEEvRNS_18TensorIteratorBaseERKT_EUlibE0_EEviT1_.num_vgpr, 28
	.set _ZN2at6native32elementwise_kernel_manual_unrollILi128ELi4EZNS0_15gpu_kernel_implINS0_13BinaryFunctorIaabNS0_12_GLOBAL__N_116CompareEqFunctorIaEEEEEEvRNS_18TensorIteratorBaseERKT_EUlibE0_EEviT1_.num_agpr, 0
	.set _ZN2at6native32elementwise_kernel_manual_unrollILi128ELi4EZNS0_15gpu_kernel_implINS0_13BinaryFunctorIaabNS0_12_GLOBAL__N_116CompareEqFunctorIaEEEEEEvRNS_18TensorIteratorBaseERKT_EUlibE0_EEviT1_.numbered_sgpr, 62
	.set _ZN2at6native32elementwise_kernel_manual_unrollILi128ELi4EZNS0_15gpu_kernel_implINS0_13BinaryFunctorIaabNS0_12_GLOBAL__N_116CompareEqFunctorIaEEEEEEvRNS_18TensorIteratorBaseERKT_EUlibE0_EEviT1_.num_named_barrier, 0
	.set _ZN2at6native32elementwise_kernel_manual_unrollILi128ELi4EZNS0_15gpu_kernel_implINS0_13BinaryFunctorIaabNS0_12_GLOBAL__N_116CompareEqFunctorIaEEEEEEvRNS_18TensorIteratorBaseERKT_EUlibE0_EEviT1_.private_seg_size, 0
	.set _ZN2at6native32elementwise_kernel_manual_unrollILi128ELi4EZNS0_15gpu_kernel_implINS0_13BinaryFunctorIaabNS0_12_GLOBAL__N_116CompareEqFunctorIaEEEEEEvRNS_18TensorIteratorBaseERKT_EUlibE0_EEviT1_.uses_vcc, 1
	.set _ZN2at6native32elementwise_kernel_manual_unrollILi128ELi4EZNS0_15gpu_kernel_implINS0_13BinaryFunctorIaabNS0_12_GLOBAL__N_116CompareEqFunctorIaEEEEEEvRNS_18TensorIteratorBaseERKT_EUlibE0_EEviT1_.uses_flat_scratch, 0
	.set _ZN2at6native32elementwise_kernel_manual_unrollILi128ELi4EZNS0_15gpu_kernel_implINS0_13BinaryFunctorIaabNS0_12_GLOBAL__N_116CompareEqFunctorIaEEEEEEvRNS_18TensorIteratorBaseERKT_EUlibE0_EEviT1_.has_dyn_sized_stack, 0
	.set _ZN2at6native32elementwise_kernel_manual_unrollILi128ELi4EZNS0_15gpu_kernel_implINS0_13BinaryFunctorIaabNS0_12_GLOBAL__N_116CompareEqFunctorIaEEEEEEvRNS_18TensorIteratorBaseERKT_EUlibE0_EEviT1_.has_recursion, 0
	.set _ZN2at6native32elementwise_kernel_manual_unrollILi128ELi4EZNS0_15gpu_kernel_implINS0_13BinaryFunctorIaabNS0_12_GLOBAL__N_116CompareEqFunctorIaEEEEEEvRNS_18TensorIteratorBaseERKT_EUlibE0_EEviT1_.has_indirect_call, 0
	.section	.AMDGPU.csdata,"",@progbits
; Kernel info:
; codeLenInByte = 55652
; TotalNumSgprs: 64
; NumVgprs: 28
; ScratchSize: 0
; MemoryBound: 1
; FloatMode: 240
; IeeeMode: 1
; LDSByteSize: 0 bytes/workgroup (compile time only)
; SGPRBlocks: 0
; VGPRBlocks: 1
; NumSGPRsForWavesPerEU: 64
; NumVGPRsForWavesPerEU: 28
; NamedBarCnt: 0
; Occupancy: 16
; WaveLimiterHint : 1
; COMPUTE_PGM_RSRC2:SCRATCH_EN: 0
; COMPUTE_PGM_RSRC2:USER_SGPR: 2
; COMPUTE_PGM_RSRC2:TRAP_HANDLER: 0
; COMPUTE_PGM_RSRC2:TGID_X_EN: 1
; COMPUTE_PGM_RSRC2:TGID_Y_EN: 0
; COMPUTE_PGM_RSRC2:TGID_Z_EN: 0
; COMPUTE_PGM_RSRC2:TIDIG_COMP_CNT: 0
	.section	.text._ZN2at6native29vectorized_elementwise_kernelILi16ENS0_13AUnaryFunctorIaabNS0_12_GLOBAL__N_116CompareEqFunctorIaEEEESt5arrayIPcLm2EEEEviT0_T1_,"axG",@progbits,_ZN2at6native29vectorized_elementwise_kernelILi16ENS0_13AUnaryFunctorIaabNS0_12_GLOBAL__N_116CompareEqFunctorIaEEEESt5arrayIPcLm2EEEEviT0_T1_,comdat
	.globl	_ZN2at6native29vectorized_elementwise_kernelILi16ENS0_13AUnaryFunctorIaabNS0_12_GLOBAL__N_116CompareEqFunctorIaEEEESt5arrayIPcLm2EEEEviT0_T1_ ; -- Begin function _ZN2at6native29vectorized_elementwise_kernelILi16ENS0_13AUnaryFunctorIaabNS0_12_GLOBAL__N_116CompareEqFunctorIaEEEESt5arrayIPcLm2EEEEviT0_T1_
	.p2align	8
	.type	_ZN2at6native29vectorized_elementwise_kernelILi16ENS0_13AUnaryFunctorIaabNS0_12_GLOBAL__N_116CompareEqFunctorIaEEEESt5arrayIPcLm2EEEEviT0_T1_,@function
_ZN2at6native29vectorized_elementwise_kernelILi16ENS0_13AUnaryFunctorIaabNS0_12_GLOBAL__N_116CompareEqFunctorIaEEEESt5arrayIPcLm2EEEEviT0_T1_: ; @_ZN2at6native29vectorized_elementwise_kernelILi16ENS0_13AUnaryFunctorIaabNS0_12_GLOBAL__N_116CompareEqFunctorIaEEEESt5arrayIPcLm2EEEEviT0_T1_
; %bb.0:
	s_clause 0x1
	s_load_b96 s[20:22], s[0:1], 0x0
	s_load_b128 s[16:19], s[0:1], 0x10
	s_wait_xcnt 0x0
	s_bfe_u32 s0, ttmp6, 0x4000c
	s_and_b32 s1, ttmp6, 15
	s_add_co_i32 s0, s0, 1
	s_getreg_b32 s2, hwreg(HW_REG_IB_STS2, 6, 4)
	s_mul_i32 s0, ttmp9, s0
	s_delay_alu instid0(SALU_CYCLE_1) | instskip(SKIP_2) | instid1(SALU_CYCLE_1)
	s_add_co_i32 s1, s1, s0
	s_cmp_eq_u32 s2, 0
	s_cselect_b32 s0, ttmp9, s1
	s_lshl_b32 s24, s0, 12
	s_mov_b32 s0, -1
	s_wait_kmcnt 0x0
	s_sub_co_i32 s15, s20, s24
	s_delay_alu instid0(SALU_CYCLE_1)
	s_cmp_gt_i32 s15, 0xfff
	s_cbranch_scc0 .LBB24_2
; %bb.1:
	s_ashr_i32 s25, s24, 31
	s_cmp_eq_u32 s21, 0
	s_add_nc_u64 s[0:1], s[18:19], s[24:25]
	s_cselect_b32 s20, -1, 0
	global_load_b128 v[2:5], v0, s[0:1] scale_offset
	s_and_b32 s14, s22, 0xff
	s_wait_loadcnt 0x0
	v_and_b32_e32 v16, 0xff, v5
	v_dual_lshrrev_b32 v14, 16, v5 :: v_dual_lshrrev_b32 v15, 24, v5
	v_dual_lshrrev_b32 v11, 16, v4 :: v_dual_lshrrev_b32 v12, 24, v4
	v_and_b32_e32 v13, 0xff, v4
	v_lshrrev_b16 v4, 8, v4
	v_cmp_ne_u16_e64 s0, s14, v16
	v_dual_lshrrev_b32 v1, 16, v2 :: v_dual_lshrrev_b32 v6, 24, v2
	v_and_b32_e32 v7, 0xff, v2
	v_lshrrev_b16 v2, 8, v2
	v_cmp_ne_u16_e64 s1, s14, v15
	;; [unrolled: 4-line block ×3, first 2 shown]
	s_xor_b32 s0, s20, s0
	v_cmp_ne_u16_e64 s3, s14, v13
	v_cmp_ne_u16_e64 s8, s14, v2
	v_cndmask_b32_e64 v2, 0, 1, s0
	s_xor_b32 s0, s20, s1
	v_lshrrev_b16 v5, 8, v5
	v_cmp_ne_u16_e64 s4, s14, v12
	v_cmp_ne_u16_e64 s5, s14, v3
	v_cndmask_b32_e64 v3, 0, 1, s0
	s_xor_b32 s0, s20, s2
	v_cmp_ne_u16_e64 s6, s14, v10
	v_cndmask_b32_e64 v4, 0, 1, s0
	s_xor_b32 s0, s20, s3
	v_cmp_ne_u16_e32 vcc_lo, s14, v5
	v_cndmask_b32_e64 v5, 0, 1, s0
	s_xor_b32 s0, s20, s4
	v_and_b32_e32 v8, 0xff, v8
	v_cmp_ne_u16_e64 s7, s14, v9
	v_cmp_ne_u16_e64 s10, s14, v6
	v_cndmask_b32_e64 v6, 0, 1, s0
	s_xor_b32 s0, s20, s5
	v_and_b32_e32 v14, 0xff, v14
	v_cmp_ne_u16_e64 s9, s14, v7
	v_cndmask_b32_e64 v7, 0, 1, s0
	s_xor_b32 s0, s20, s6
	v_and_b32_e32 v11, 0xff, v11
	v_cmp_ne_u16_e64 s13, s14, v8
	v_cndmask_b32_e64 v8, 0, 1, s0
	s_xor_b32 s0, s20, s7
	v_cmp_ne_u16_e64 s11, s14, v14
	v_cndmask_b32_e64 v9, 0, 1, s0
	s_xor_b32 s0, s20, s8
	v_and_b32_e32 v1, 0xff, v1
	v_cndmask_b32_e64 v10, 0, 1, s0
	s_xor_b32 s0, s20, s9
	v_cmp_ne_u16_e64 s12, s14, v11
	v_cndmask_b32_e64 v11, 0, 1, s0
	s_xor_b32 s0, s20, s10
	v_cmp_ne_u16_e64 s14, s14, v1
	v_cndmask_b32_e64 v12, 0, 1, s0
	s_xor_b32 s0, s20, s11
	s_xor_b32 s23, s20, vcc_lo
	v_cndmask_b32_e64 v13, 0, 1, s0
	s_xor_b32 s0, s20, s12
	v_cndmask_b32_e64 v1, 0, 1, s23
	v_cndmask_b32_e64 v14, 0, 1, s0
	s_xor_b32 s0, s20, s13
	v_lshlrev_b16 v3, 8, v3
	v_cndmask_b32_e64 v15, 0, 1, s0
	s_xor_b32 s0, s20, s14
	v_lshlrev_b16 v1, 8, v1
	v_lshlrev_b16 v4, 8, v4
	;; [unrolled: 1-line block ×7, first 2 shown]
	v_cndmask_b32_e64 v16, 0, 1, s0
	v_or_b32_e32 v1, v2, v1
	v_or_b32_e32 v2, v13, v3
	;; [unrolled: 1-line block ×8, first 2 shown]
	v_and_b32_e32 v9, 0xffff, v5
	v_and_b32_e32 v7, 0xffff, v7
	v_lshlrev_b32_e32 v8, 16, v8
	v_dual_lshlrev_b32 v4, 16, v4 :: v_dual_lshlrev_b32 v2, 16, v2
	v_and_b32_e32 v1, 0xffff, v1
	v_lshlrev_b32_e32 v6, 16, v6
	v_and_b32_e32 v3, 0xffff, v3
	s_add_nc_u64 s[2:3], s[16:17], s[24:25]
	s_mov_b32 s0, 0
	v_or_b32_e32 v5, v1, v2
	v_or_b32_e32 v2, v7, v8
	;; [unrolled: 1-line block ×4, first 2 shown]
	global_store_b128 v0, v[2:5], s[2:3] scale_offset
.LBB24_2:
	s_and_not1_b32 vcc_lo, exec_lo, s0
	s_cbranch_vccnz .LBB24_52
; %bb.3:
	v_cmp_gt_i32_e32 vcc_lo, s15, v0
	v_or_b32_e32 v1, 0x100, v0
	v_dual_mov_b32 v10, 0 :: v_dual_bitop2_b32 v6, s24, v0 bitop3:0x54
	v_dual_mov_b32 v14, 0 :: v_dual_mov_b32 v18, 0
	v_dual_mov_b32 v16, 0 :: v_dual_mov_b32 v7, 0
	v_dual_mov_b32 v8, 0 :: v_dual_mov_b32 v9, 0
	v_dual_mov_b32 v11, 0 :: v_dual_mov_b32 v12, 0
	v_dual_mov_b32 v17, 0 :: v_dual_mov_b32 v19, 0
	s_wait_xcnt 0x0
	v_dual_mov_b32 v20, 0 :: v_dual_mov_b32 v4, 0
	v_dual_mov_b32 v3, 0 :: v_dual_mov_b32 v13, 0
	v_mov_b32_e32 v15, 0
	s_and_saveexec_b32 s1, vcc_lo
	s_cbranch_execz .LBB24_35
; %bb.4:
	global_load_u8 v15, v6, s[18:19]
	v_dual_mov_b32 v13, 0 :: v_dual_mov_b32 v3, 0
	v_dual_mov_b32 v4, 0 :: v_dual_mov_b32 v20, 0
	;; [unrolled: 1-line block ×7, first 2 shown]
	v_mov_b32_e32 v10, 0
	s_mov_b32 s2, exec_lo
	s_wait_xcnt 0x0
	v_cmpx_gt_u32_e64 s15, v1
	s_cbranch_execz .LBB24_34
; %bb.5:
	v_dual_mov_b32 v3, 0 :: v_dual_add_nc_u32 v2, s24, v0
	v_or_b32_e32 v4, 0x200, v0
	v_dual_mov_b32 v19, 0 :: v_dual_mov_b32 v17, 0
	global_load_u8 v13, v2, s[18:19] offset:256
	v_mov_b32_e32 v20, 0
	v_cmp_gt_u32_e64 s0, s15, v4
	v_dual_mov_b32 v4, 0 :: v_dual_mov_b32 v12, 0
	v_dual_mov_b32 v11, 0 :: v_dual_mov_b32 v9, 0
	;; [unrolled: 1-line block ×5, first 2 shown]
	s_wait_xcnt 0x0
	s_and_saveexec_b32 s3, s0
	s_cbranch_execz .LBB24_33
; %bb.6:
	v_add_nc_u64_e32 v[4:5], s[18:19], v[2:3]
	v_or_b32_e32 v7, 0x300, v0
	v_dual_mov_b32 v20, 0 :: v_dual_mov_b32 v19, 0
	v_dual_mov_b32 v17, 0 :: v_dual_mov_b32 v12, 0
	s_delay_alu instid0(VALU_DEP_3)
	v_cmp_gt_u32_e64 s0, s15, v7
	global_load_u8 v2, v[4:5], off offset:512
	v_dual_mov_b32 v11, 0 :: v_dual_mov_b32 v9, 0
	v_dual_mov_b32 v8, 0 :: v_dual_mov_b32 v7, 0
	;; [unrolled: 1-line block ×4, first 2 shown]
	s_wait_xcnt 0x0
	s_and_saveexec_b32 s4, s0
	s_cbranch_execz .LBB24_32
; %bb.7:
	global_load_u8 v3, v[4:5], off offset:768
	v_or_b32_e32 v7, 0x400, v0
	v_dual_mov_b32 v20, 0 :: v_dual_mov_b32 v19, 0
	v_dual_mov_b32 v17, 0 :: v_dual_mov_b32 v12, 0
	s_delay_alu instid0(VALU_DEP_3)
	v_cmp_gt_u32_e64 s0, s15, v7
	v_dual_mov_b32 v11, 0 :: v_dual_mov_b32 v9, 0
	v_dual_mov_b32 v8, 0 :: v_dual_mov_b32 v7, 0
	v_dual_mov_b32 v16, 0 :: v_dual_mov_b32 v18, 0
	v_dual_mov_b32 v14, 0 :: v_dual_mov_b32 v10, 0
	s_wait_xcnt 0x0
	s_and_saveexec_b32 s5, s0
	s_cbranch_execz .LBB24_31
; %bb.8:
	global_load_u8 v20, v[4:5], off offset:1024
	v_or_b32_e32 v7, 0x500, v0
	v_dual_mov_b32 v19, 0 :: v_dual_mov_b32 v17, 0
	v_dual_mov_b32 v12, 0 :: v_dual_mov_b32 v11, 0
	s_delay_alu instid0(VALU_DEP_3)
	v_cmp_gt_u32_e64 s0, s15, v7
	v_dual_mov_b32 v9, 0 :: v_dual_mov_b32 v8, 0
	v_dual_mov_b32 v7, 0 :: v_dual_mov_b32 v16, 0
	;; [unrolled: 1-line block ×3, first 2 shown]
	v_mov_b32_e32 v10, 0
	s_wait_xcnt 0x0
	s_and_saveexec_b32 s6, s0
	s_cbranch_execz .LBB24_30
; %bb.9:
	global_load_u8 v19, v[4:5], off offset:1280
	v_or_b32_e32 v7, 0x600, v0
	v_dual_mov_b32 v17, 0 :: v_dual_mov_b32 v12, 0
	v_dual_mov_b32 v11, 0 :: v_dual_mov_b32 v9, 0
	s_delay_alu instid0(VALU_DEP_3)
	v_cmp_gt_u32_e64 s0, s15, v7
	v_dual_mov_b32 v8, 0 :: v_dual_mov_b32 v7, 0
	v_dual_mov_b32 v16, 0 :: v_dual_mov_b32 v18, 0
	;; [unrolled: 1-line block ×3, first 2 shown]
	s_wait_xcnt 0x0
	s_and_saveexec_b32 s7, s0
	s_cbranch_execz .LBB24_29
; %bb.10:
	global_load_u8 v17, v[4:5], off offset:1536
	v_or_b32_e32 v7, 0x700, v0
	v_dual_mov_b32 v12, 0 :: v_dual_mov_b32 v11, 0
	v_dual_mov_b32 v9, 0 :: v_dual_mov_b32 v8, 0
	s_delay_alu instid0(VALU_DEP_3)
	v_cmp_gt_u32_e64 s0, s15, v7
	v_dual_mov_b32 v7, 0 :: v_dual_mov_b32 v16, 0
	v_dual_mov_b32 v18, 0 :: v_dual_mov_b32 v14, 0
	v_mov_b32_e32 v10, 0
	s_wait_xcnt 0x0
	s_and_saveexec_b32 s8, s0
	s_cbranch_execz .LBB24_28
; %bb.11:
	global_load_u8 v12, v[4:5], off offset:1792
	v_or_b32_e32 v7, 0x800, v0
	v_dual_mov_b32 v11, 0 :: v_dual_mov_b32 v9, 0
	v_dual_mov_b32 v8, 0 :: v_dual_mov_b32 v16, 0
	v_mov_b32_e32 v18, 0
	s_delay_alu instid0(VALU_DEP_4)
	v_cmp_gt_u32_e64 s0, s15, v7
	v_dual_mov_b32 v7, 0 :: v_dual_mov_b32 v14, 0
	v_mov_b32_e32 v10, 0
	s_wait_xcnt 0x0
	s_and_saveexec_b32 s9, s0
	s_cbranch_execz .LBB24_27
; %bb.12:
	global_load_u8 v11, v[4:5], off offset:2048
	v_or_b32_e32 v7, 0x900, v0
	v_dual_mov_b32 v9, 0 :: v_dual_mov_b32 v8, 0
	v_dual_mov_b32 v18, 0 :: v_dual_mov_b32 v14, 0
	s_delay_alu instid0(VALU_DEP_3)
	v_cmp_gt_u32_e64 s0, s15, v7
	v_dual_mov_b32 v7, 0 :: v_dual_mov_b32 v16, 0
	v_mov_b32_e32 v10, 0
	s_wait_xcnt 0x0
	s_and_saveexec_b32 s10, s0
	s_cbranch_execz .LBB24_26
; %bb.13:
	global_load_u8 v9, v[4:5], off offset:2304
	v_or_b32_e32 v7, 0xa00, v0
	v_dual_mov_b32 v8, 0 :: v_dual_mov_b32 v16, 0
	v_dual_mov_b32 v18, 0 :: v_dual_mov_b32 v14, 0
	v_mov_b32_e32 v10, 0
	s_delay_alu instid0(VALU_DEP_4)
	v_cmp_gt_u32_e64 s0, s15, v7
	v_mov_b32_e32 v7, 0
	s_wait_xcnt 0x0
	s_and_saveexec_b32 s11, s0
	s_cbranch_execz .LBB24_25
; %bb.14:
	global_load_u8 v8, v[4:5], off offset:2560
	v_or_b32_e32 v7, 0xb00, v0
	v_dual_mov_b32 v18, 0 :: v_dual_mov_b32 v14, 0
	v_dual_mov_b32 v10, 0 :: v_dual_mov_b32 v16, 0
	s_delay_alu instid0(VALU_DEP_3)
	v_cmp_gt_u32_e64 s0, s15, v7
	v_mov_b32_e32 v7, 0
	s_wait_xcnt 0x0
	s_and_saveexec_b32 s12, s0
	s_cbranch_execz .LBB24_24
; %bb.15:
	global_load_u8 v7, v[4:5], off offset:2816
	v_or_b32_e32 v10, 0xc00, v0
	v_dual_mov_b32 v16, 0 :: v_dual_mov_b32 v18, 0
	v_mov_b32_e32 v14, 0
	s_delay_alu instid0(VALU_DEP_3)
	v_cmp_gt_u32_e64 s0, s15, v10
	v_mov_b32_e32 v10, 0
	s_wait_xcnt 0x0
	s_and_saveexec_b32 s13, s0
	s_cbranch_execz .LBB24_23
; %bb.16:
	global_load_u8 v16, v[4:5], off offset:3072
	v_or_b32_e32 v10, 0xd00, v0
	v_dual_mov_b32 v18, 0 :: v_dual_mov_b32 v14, 0
	s_delay_alu instid0(VALU_DEP_2)
	v_cmp_gt_u32_e64 s0, s15, v10
	v_mov_b32_e32 v10, 0
	s_wait_xcnt 0x0
	s_and_saveexec_b32 s14, s0
	s_cbranch_execz .LBB24_22
; %bb.17:
	global_load_u8 v18, v[4:5], off offset:3328
	v_or_b32_e32 v10, 0xe00, v0
	v_mov_b32_e32 v14, 0
	s_delay_alu instid0(VALU_DEP_2)
	v_cmp_gt_u32_e64 s0, s15, v10
	v_mov_b32_e32 v10, 0
	s_wait_xcnt 0x0
	s_and_saveexec_b32 s18, s0
	s_cbranch_execz .LBB24_21
; %bb.18:
	global_load_u8 v14, v[4:5], off offset:3584
	v_or_b32_e32 v10, 0xf00, v0
	s_delay_alu instid0(VALU_DEP_1)
	v_cmp_gt_u32_e64 s0, s15, v10
	v_mov_b32_e32 v10, 0
	s_wait_xcnt 0x0
	s_and_saveexec_b32 s19, s0
	s_cbranch_execz .LBB24_20
; %bb.19:
	global_load_u8 v10, v[4:5], off offset:3840
.LBB24_20:
	s_wait_xcnt 0x0
	s_or_b32 exec_lo, exec_lo, s19
.LBB24_21:
	s_delay_alu instid0(SALU_CYCLE_1)
	s_or_b32 exec_lo, exec_lo, s18
.LBB24_22:
	s_delay_alu instid0(SALU_CYCLE_1)
	s_or_b32 exec_lo, exec_lo, s14
.LBB24_23:
	s_delay_alu instid0(SALU_CYCLE_1)
	s_or_b32 exec_lo, exec_lo, s13
.LBB24_24:
	s_delay_alu instid0(SALU_CYCLE_1)
	s_or_b32 exec_lo, exec_lo, s12
.LBB24_25:
	s_delay_alu instid0(SALU_CYCLE_1)
	s_or_b32 exec_lo, exec_lo, s11
.LBB24_26:
	s_delay_alu instid0(SALU_CYCLE_1)
	s_or_b32 exec_lo, exec_lo, s10
.LBB24_27:
	s_delay_alu instid0(SALU_CYCLE_1)
	s_or_b32 exec_lo, exec_lo, s9
.LBB24_28:
	s_delay_alu instid0(SALU_CYCLE_1)
	s_or_b32 exec_lo, exec_lo, s8
.LBB24_29:
	s_delay_alu instid0(SALU_CYCLE_1)
	s_or_b32 exec_lo, exec_lo, s7
.LBB24_30:
	s_delay_alu instid0(SALU_CYCLE_1)
	s_or_b32 exec_lo, exec_lo, s6
.LBB24_31:
	s_delay_alu instid0(SALU_CYCLE_1)
	s_or_b32 exec_lo, exec_lo, s5
.LBB24_32:
	s_delay_alu instid0(SALU_CYCLE_1)
	s_or_b32 exec_lo, exec_lo, s4
	s_wait_loadcnt 0x0
	v_dual_mov_b32 v4, v3 :: v_dual_mov_b32 v3, v2
.LBB24_33:
	s_or_b32 exec_lo, exec_lo, s3
.LBB24_34:
	s_delay_alu instid0(SALU_CYCLE_1)
	s_or_b32 exec_lo, exec_lo, s2
.LBB24_35:
	s_delay_alu instid0(SALU_CYCLE_1)
	s_or_b32 exec_lo, exec_lo, s1
	v_and_b32_e32 v2, 0xff, v20
	s_cmp_eq_u32 s21, 0
	v_and_b32_e32 v5, 0xff, v19
	s_cselect_b32 s4, -1, 0
	s_and_b32 s5, s22, 0xff
	s_wait_loadcnt 0x0
	v_and_b32_e32 v13, 0xff, v13
	v_cmp_ne_u16_e64 s0, s5, v2
	v_and_b32_e32 v2, 0xff, v15
	v_and_b32_e32 v3, 0xff, v3
	;; [unrolled: 1-line block ×3, first 2 shown]
	v_cmp_ne_u16_e64 s2, s5, v13
	s_xor_b32 s0, s4, s0
	v_cmp_ne_u16_e64 s1, s5, v2
	v_cndmask_b32_e64 v15, 0, 1, s0
	v_cmp_ne_u16_e64 s0, s5, v5
	v_or_b32_e32 v5, 0x400, v0
	v_and_b32_e32 v4, 0xff, v4
	v_and_b32_e32 v12, 0xff, v12
	v_bitop3_b16 v2, v15, 0, 0xff00 bitop3:0xf8
	s_xor_b32 s0, s4, s0
	v_and_b32_e32 v16, 0xff, v16
	v_cndmask_b32_e64 v13, 0, 1, s0
	s_xor_b32 s0, s4, s1
	v_and_b32_e32 v2, 0xffff, v2
	v_cndmask_b32_e64 v15, 0, 1, s0
	s_xor_b32 s0, s4, s2
	v_lshlrev_b16 v13, 8, v13
	v_cndmask_b32_e64 v19, 0, 1, s0
	v_cmp_gt_i32_e64 s0, s15, v5
	v_cndmask_b32_e32 v5, 0, v15, vcc_lo
	v_cmp_ne_u16_e64 s1, s5, v17
	v_and_b32_e32 v9, 0xff, v9
	v_lshlrev_b16 v15, 8, v19
	v_cndmask_b32_e64 v2, 0, v2, s0
	v_cmp_ne_u16_e64 s0, s5, v3
	v_or_b32_e32 v3, 0x500, v0
	v_cmp_ne_u16_e64 s3, s5, v9
	v_and_b32_e32 v11, 0xff, v11
	v_bitop3_b16 v13, v2, v13, 0xff bitop3:0xec
	s_xor_b32 s0, s4, s0
	v_and_b32_e32 v8, 0xff, v8
	v_cndmask_b32_e64 v17, 0, 1, s0
	v_cmp_gt_i32_e64 s0, s15, v3
	v_and_b32_e32 v13, 0xffff, v13
	v_or_b32_e32 v15, v5, v15
	v_and_b32_e32 v14, 0xff, v14
	v_and_b32_e32 v7, 0xff, v7
	;; [unrolled: 1-line block ×3, first 2 shown]
	v_cndmask_b32_e64 v2, v2, v13, s0
	s_xor_b32 s0, s4, s1
	v_and_b32_e32 v15, 0xffff, v15
	v_cndmask_b32_e64 v3, 0, 1, s0
	v_cmp_gt_i32_e64 s0, s15, v1
	s_delay_alu instid0(VALU_DEP_1) | instskip(SKIP_2) | instid1(VALU_DEP_3)
	v_dual_lshrrev_b32 v13, 16, v2 :: v_dual_cndmask_b32 v5, v5, v15, s0
	v_cmp_ne_u16_e64 s0, s5, v4
	v_or_b32_e32 v4, 0x200, v0
	v_bitop3_b16 v3, v3, v13, 0xff00 bitop3:0xf8
	s_delay_alu instid0(VALU_DEP_4) | instskip(SKIP_4) | instid1(VALU_DEP_2)
	v_lshl_or_b32 v15, v17, 16, v5
	s_xor_b32 s0, s4, s0
	v_or_b32_e32 v17, 0xd00, v0
	v_cndmask_b32_e64 v13, 0, 1, s0
	v_cmp_gt_i32_e64 s0, s15, v4
	v_lshlrev_b16 v13, 8, v13
	s_delay_alu instid0(VALU_DEP_2) | instskip(SKIP_2) | instid1(VALU_DEP_3)
	v_cndmask_b32_e64 v4, v5, v15, s0
	v_cmp_ne_u16_e64 s0, s5, v12
	v_or_b32_e32 v5, 0x600, v0
	v_dual_lshlrev_b32 v3, 16, v3 :: v_dual_lshrrev_b32 v15, 16, v4
	s_xor_b32 s0, s4, s0
	s_delay_alu instid0(VALU_DEP_2)
	v_cmp_gt_i32_e64 s1, s15, v5
	v_cndmask_b32_e64 v5, 0, 1, s0
	v_cmp_ne_u16_e64 s0, s5, v16
	v_and_or_b32 v3, 0xffff, v2, v3
	v_bitop3_b16 v12, v15, v13, 0xff bitop3:0xec
	v_or_b32_e32 v15, 0x800, v0
	v_lshlrev_b16 v5, 8, v5
	s_xor_b32 s0, s4, s0
	s_delay_alu instid0(SALU_CYCLE_1) | instskip(SKIP_4) | instid1(VALU_DEP_3)
	v_cndmask_b32_e64 v9, 0, 1, s0
	v_cndmask_b32_e64 v2, v2, v3, s1
	v_and_b32_e32 v3, 0xff, v18
	v_cmp_ne_u16_e64 s1, s5, v11
	v_lshlrev_b32_e32 v12, 16, v12
	v_cmp_ne_u16_e64 s2, s5, v3
	v_or_b32_e32 v3, 0xc00, v0
	s_delay_alu instid0(VALU_DEP_3) | instskip(SKIP_1) | instid1(SALU_CYCLE_1)
	v_and_or_b32 v12, 0xffff, v4, v12
	s_xor_b32 s0, s4, s2
	v_cndmask_b32_e64 v11, 0, 1, s0
	s_xor_b32 s0, s4, s1
	v_cmp_gt_i32_e64 s1, s15, v17
	v_cndmask_b32_e64 v16, 0, 1, s0
	v_cmp_gt_i32_e64 s0, s15, v3
	s_delay_alu instid0(VALU_DEP_1) | instskip(SKIP_2) | instid1(SALU_CYCLE_1)
	v_cndmask_b32_e64 v3, 0, v9, s0
	v_lshlrev_b16 v9, 8, v11
	s_xor_b32 s0, s4, s3
	v_cndmask_b32_e64 v11, 0, 1, s0
	v_cmp_gt_i32_e64 s0, s15, v15
	s_delay_alu instid0(VALU_DEP_3) | instskip(SKIP_1) | instid1(VALU_DEP_4)
	v_bitop3_b16 v9, v3, v9, 0xff bitop3:0xec
	v_lshrrev_b32_e32 v13, 16, v2
	v_lshlrev_b16 v11, 8, v11
	s_delay_alu instid0(VALU_DEP_4) | instskip(NEXT) | instid1(VALU_DEP_4)
	v_cndmask_b32_e64 v15, 0, v16, s0
	v_and_b32_e32 v9, 0xffff, v9
	v_cmp_ne_u16_e64 s0, s5, v8
	v_or_b32_e32 v16, 0x900, v0
	v_bitop3_b16 v5, v13, v5, 0xff bitop3:0xec
	v_or_b32_e32 v13, 0x300, v0
	v_cndmask_b32_e64 v3, v3, v9, s1
	v_cmp_ne_u16_e64 s1, s5, v14
	s_xor_b32 s0, s4, s0
	s_delay_alu instid0(SALU_CYCLE_1) | instskip(SKIP_1) | instid1(SALU_CYCLE_1)
	v_cndmask_b32_e64 v9, 0, 1, s0
	s_xor_b32 s0, s4, s1
	v_cndmask_b32_e64 v14, 0, 1, s0
	v_cmp_gt_i32_e64 s0, s15, v16
	s_delay_alu instid0(VALU_DEP_3) | instskip(NEXT) | instid1(VALU_DEP_1)
	v_dual_lshlrev_b32 v9, 16, v9 :: v_dual_bitop2_b32 v11, v15, v11 bitop3:0x54
	v_and_b32_e32 v8, 0xffff, v11
	s_delay_alu instid0(VALU_DEP_1) | instskip(SKIP_1) | instid1(VALU_DEP_2)
	v_cndmask_b32_e64 v8, v15, v8, s0
	v_cmp_ne_u16_e64 s0, s5, v7
	v_and_or_b32 v9, 0x1ff, v8, v9
	v_lshrrev_b32_e32 v11, 16, v3
	s_xor_b32 s0, s4, s0
	s_delay_alu instid0(VALU_DEP_1) | instskip(SKIP_1) | instid1(VALU_DEP_1)
	v_bitop3_b16 v11, v14, v11, 0xff00 bitop3:0xf8
	v_or_b32_e32 v14, 0xa00, v0
	v_cmp_gt_i32_e64 s1, s15, v14
	s_delay_alu instid0(VALU_DEP_1) | instskip(SKIP_3) | instid1(VALU_DEP_3)
	v_dual_cndmask_b32 v8, v8, v9, s1 :: v_dual_lshlrev_b32 v7, 16, v11
	v_or_b32_e32 v9, 0xe00, v0
	v_cmp_ne_u16_e64 s1, s5, v10
	v_cndmask_b32_e64 v10, 0, 1, s0
	v_cmp_gt_i32_e64 s0, s15, v9
	v_lshrrev_b32_e32 v9, 16, v8
	v_and_or_b32 v7, 0xffff, v3, v7
	s_delay_alu instid0(VALU_DEP_4) | instskip(NEXT) | instid1(VALU_DEP_2)
	v_lshlrev_b16 v10, 8, v10
	v_cndmask_b32_e64 v7, v3, v7, s0
	s_xor_b32 s0, s4, s1
	s_delay_alu instid0(VALU_DEP_2)
	v_bitop3_b16 v9, v9, v10, 0xff bitop3:0xec
	v_cndmask_b32_e64 v3, 0, 1, s0
	v_lshlrev_b32_e32 v10, 16, v5
	v_cmp_gt_i32_e64 s0, s15, v13
	v_lshrrev_b32_e32 v11, 16, v7
	v_or_b32_e32 v13, 0xf00, v0
	v_lshlrev_b16 v3, 8, v3
	v_and_or_b32 v10, 0xffff, v2, v10
	v_cndmask_b32_e64 v5, v4, v12, s0
	s_delay_alu instid0(VALU_DEP_3) | instskip(SKIP_3) | instid1(VALU_DEP_4)
	v_bitop3_b16 v3, v11, v3, 0xff bitop3:0xec
	v_lshlrev_b32_e32 v4, 16, v9
	v_or_b32_e32 v9, 0x700, v0
	v_or_b32_e32 v11, 0xb00, v0
	v_lshlrev_b32_e32 v3, 16, v3
	s_delay_alu instid0(VALU_DEP_4) | instskip(NEXT) | instid1(VALU_DEP_4)
	v_and_or_b32 v12, 0xffff, v8, v4
	v_cmp_gt_i32_e64 s0, s15, v9
	s_delay_alu instid0(VALU_DEP_3) | instskip(NEXT) | instid1(VALU_DEP_2)
	v_and_or_b32 v14, 0xffff, v7, v3
	v_cndmask_b32_e64 v4, v2, v10, s0
	v_cmp_gt_i32_e64 s0, s15, v11
	s_delay_alu instid0(VALU_DEP_1) | instskip(SKIP_1) | instid1(VALU_DEP_1)
	v_cndmask_b32_e64 v3, v8, v12, s0
	v_cmp_gt_i32_e64 s0, s15, v13
	v_cndmask_b32_e64 v2, v7, v14, s0
	s_and_saveexec_b32 s0, vcc_lo
	s_cbranch_execnz .LBB24_53
; %bb.36:
	s_or_b32 exec_lo, exec_lo, s0
	s_delay_alu instid0(SALU_CYCLE_1)
	s_mov_b32 s0, exec_lo
	v_cmpx_gt_i32_e64 s15, v0
	s_cbranch_execnz .LBB24_54
.LBB24_37:
	s_or_b32 exec_lo, exec_lo, s0
	s_delay_alu instid0(SALU_CYCLE_1)
	s_mov_b32 s0, exec_lo
	v_cmpx_gt_i32_e64 s15, v0
	s_cbranch_execnz .LBB24_55
.LBB24_38:
	s_or_b32 exec_lo, exec_lo, s0
	s_delay_alu instid0(SALU_CYCLE_1)
	s_mov_b32 s0, exec_lo
	v_cmpx_gt_i32_e64 s15, v0
	s_cbranch_execnz .LBB24_56
.LBB24_39:
	s_or_b32 exec_lo, exec_lo, s0
	s_delay_alu instid0(SALU_CYCLE_1)
	s_mov_b32 s0, exec_lo
	v_cmpx_gt_i32_e64 s15, v0
	s_cbranch_execnz .LBB24_57
.LBB24_40:
	s_or_b32 exec_lo, exec_lo, s0
	s_delay_alu instid0(SALU_CYCLE_1)
	s_mov_b32 s0, exec_lo
	v_cmpx_gt_i32_e64 s15, v0
	s_cbranch_execnz .LBB24_58
.LBB24_41:
	s_or_b32 exec_lo, exec_lo, s0
	s_delay_alu instid0(SALU_CYCLE_1)
	s_mov_b32 s0, exec_lo
	v_cmpx_gt_i32_e64 s15, v0
	s_cbranch_execnz .LBB24_59
.LBB24_42:
	s_or_b32 exec_lo, exec_lo, s0
	s_delay_alu instid0(SALU_CYCLE_1)
	s_mov_b32 s0, exec_lo
	v_cmpx_gt_i32_e64 s15, v0
	s_cbranch_execnz .LBB24_60
.LBB24_43:
	s_or_b32 exec_lo, exec_lo, s0
	s_delay_alu instid0(SALU_CYCLE_1)
	s_mov_b32 s0, exec_lo
	v_cmpx_gt_i32_e64 s15, v0
	s_cbranch_execnz .LBB24_61
.LBB24_44:
	s_or_b32 exec_lo, exec_lo, s0
	s_delay_alu instid0(SALU_CYCLE_1)
	s_mov_b32 s0, exec_lo
	v_cmpx_gt_i32_e64 s15, v0
	s_cbranch_execnz .LBB24_62
.LBB24_45:
	s_or_b32 exec_lo, exec_lo, s0
	s_delay_alu instid0(SALU_CYCLE_1)
	s_mov_b32 s0, exec_lo
	v_cmpx_gt_i32_e64 s15, v0
	s_cbranch_execnz .LBB24_63
.LBB24_46:
	s_or_b32 exec_lo, exec_lo, s0
	s_delay_alu instid0(SALU_CYCLE_1)
	s_mov_b32 s0, exec_lo
	v_cmpx_gt_i32_e64 s15, v0
	s_cbranch_execnz .LBB24_64
.LBB24_47:
	s_or_b32 exec_lo, exec_lo, s0
	s_delay_alu instid0(SALU_CYCLE_1)
	s_mov_b32 s0, exec_lo
	v_cmpx_gt_i32_e64 s15, v0
	s_cbranch_execnz .LBB24_65
.LBB24_48:
	s_or_b32 exec_lo, exec_lo, s0
	s_delay_alu instid0(SALU_CYCLE_1)
	s_mov_b32 s0, exec_lo
	v_cmpx_gt_i32_e64 s15, v0
	s_cbranch_execnz .LBB24_66
.LBB24_49:
	s_or_b32 exec_lo, exec_lo, s0
	s_delay_alu instid0(SALU_CYCLE_1)
	s_mov_b32 s0, exec_lo
	v_cmpx_gt_i32_e64 s15, v0
	s_cbranch_execnz .LBB24_67
.LBB24_50:
	s_or_b32 exec_lo, exec_lo, s0
	s_delay_alu instid0(SALU_CYCLE_1)
	s_mov_b32 s0, exec_lo
	v_cmpx_gt_i32_e64 s15, v0
	s_cbranch_execz .LBB24_52
.LBB24_51:
	v_dual_lshrrev_b32 v1, 24, v2 :: v_dual_add_nc_u32 v0, s24, v0
	global_store_b8 v0, v1, s[16:17]
.LBB24_52:
	s_endpgm
.LBB24_53:
	v_mov_b32_e32 v0, v1
	global_store_b8 v6, v5, s[16:17]
	s_wait_xcnt 0x0
	s_or_b32 exec_lo, exec_lo, s0
	s_delay_alu instid0(SALU_CYCLE_1)
	s_mov_b32 s0, exec_lo
	v_cmpx_gt_i32_e64 s15, v0
	s_cbranch_execz .LBB24_37
.LBB24_54:
	v_dual_lshrrev_b32 v1, 8, v5 :: v_dual_add_nc_u32 v6, s24, v0
	v_add_nc_u32_e32 v0, 0x100, v0
	global_store_b8 v6, v1, s[16:17]
	s_wait_xcnt 0x0
	s_or_b32 exec_lo, exec_lo, s0
	s_delay_alu instid0(SALU_CYCLE_1)
	s_mov_b32 s0, exec_lo
	v_cmpx_gt_i32_e64 s15, v0
	s_cbranch_execz .LBB24_38
.LBB24_55:
	v_add_nc_u32_e32 v1, s24, v0
	v_add_nc_u32_e32 v0, 0x100, v0
	global_store_d16_hi_b8 v1, v5, s[16:17]
	s_wait_xcnt 0x0
	s_or_b32 exec_lo, exec_lo, s0
	s_delay_alu instid0(SALU_CYCLE_1)
	s_mov_b32 s0, exec_lo
	v_cmpx_gt_i32_e64 s15, v0
	s_cbranch_execz .LBB24_39
.LBB24_56:
	v_dual_lshrrev_b32 v1, 24, v5 :: v_dual_add_nc_u32 v5, s24, v0
	v_add_nc_u32_e32 v0, 0x100, v0
	global_store_b8 v5, v1, s[16:17]
	s_wait_xcnt 0x0
	s_or_b32 exec_lo, exec_lo, s0
	s_delay_alu instid0(SALU_CYCLE_1)
	s_mov_b32 s0, exec_lo
	v_cmpx_gt_i32_e64 s15, v0
	s_cbranch_execz .LBB24_40
.LBB24_57:
	v_add_nc_u32_e32 v1, s24, v0
	v_add_nc_u32_e32 v0, 0x100, v0
	global_store_b8 v1, v4, s[16:17]
	s_wait_xcnt 0x0
	s_or_b32 exec_lo, exec_lo, s0
	s_delay_alu instid0(SALU_CYCLE_1)
	s_mov_b32 s0, exec_lo
	v_cmpx_gt_i32_e64 s15, v0
	s_cbranch_execz .LBB24_41
.LBB24_58:
	v_lshrrev_b32_e32 v1, 8, v4
	v_add_nc_u32_e32 v5, s24, v0
	v_add_nc_u32_e32 v0, 0x100, v0
	global_store_b8 v5, v1, s[16:17]
	s_wait_xcnt 0x0
	s_or_b32 exec_lo, exec_lo, s0
	s_delay_alu instid0(SALU_CYCLE_1)
	s_mov_b32 s0, exec_lo
	v_cmpx_gt_i32_e64 s15, v0
	s_cbranch_execz .LBB24_42
.LBB24_59:
	v_add_nc_u32_e32 v1, s24, v0
	v_add_nc_u32_e32 v0, 0x100, v0
	global_store_d16_hi_b8 v1, v4, s[16:17]
	s_wait_xcnt 0x0
	s_or_b32 exec_lo, exec_lo, s0
	s_delay_alu instid0(SALU_CYCLE_1)
	s_mov_b32 s0, exec_lo
	v_cmpx_gt_i32_e64 s15, v0
	s_cbranch_execz .LBB24_43
.LBB24_60:
	v_lshrrev_b32_e32 v1, 24, v4
	v_add_nc_u32_e32 v4, s24, v0
	v_add_nc_u32_e32 v0, 0x100, v0
	global_store_b8 v4, v1, s[16:17]
	s_wait_xcnt 0x0
	s_or_b32 exec_lo, exec_lo, s0
	s_delay_alu instid0(SALU_CYCLE_1)
	s_mov_b32 s0, exec_lo
	v_cmpx_gt_i32_e64 s15, v0
	s_cbranch_execz .LBB24_44
.LBB24_61:
	v_add_nc_u32_e32 v1, s24, v0
	v_add_nc_u32_e32 v0, 0x100, v0
	global_store_b8 v1, v3, s[16:17]
	s_wait_xcnt 0x0
	s_or_b32 exec_lo, exec_lo, s0
	s_delay_alu instid0(SALU_CYCLE_1)
	s_mov_b32 s0, exec_lo
	v_cmpx_gt_i32_e64 s15, v0
	s_cbranch_execz .LBB24_45
.LBB24_62:
	v_dual_lshrrev_b32 v1, 8, v3 :: v_dual_add_nc_u32 v4, s24, v0
	v_add_nc_u32_e32 v0, 0x100, v0
	global_store_b8 v4, v1, s[16:17]
	s_wait_xcnt 0x0
	s_or_b32 exec_lo, exec_lo, s0
	s_delay_alu instid0(SALU_CYCLE_1)
	s_mov_b32 s0, exec_lo
	v_cmpx_gt_i32_e64 s15, v0
	s_cbranch_execz .LBB24_46
.LBB24_63:
	v_add_nc_u32_e32 v1, s24, v0
	v_add_nc_u32_e32 v0, 0x100, v0
	global_store_d16_hi_b8 v1, v3, s[16:17]
	s_wait_xcnt 0x0
	s_or_b32 exec_lo, exec_lo, s0
	s_delay_alu instid0(SALU_CYCLE_1)
	s_mov_b32 s0, exec_lo
	v_cmpx_gt_i32_e64 s15, v0
	s_cbranch_execz .LBB24_47
.LBB24_64:
	v_dual_lshrrev_b32 v1, 24, v3 :: v_dual_add_nc_u32 v3, s24, v0
	v_add_nc_u32_e32 v0, 0x100, v0
	global_store_b8 v3, v1, s[16:17]
	s_wait_xcnt 0x0
	s_or_b32 exec_lo, exec_lo, s0
	s_delay_alu instid0(SALU_CYCLE_1)
	s_mov_b32 s0, exec_lo
	v_cmpx_gt_i32_e64 s15, v0
	s_cbranch_execz .LBB24_48
.LBB24_65:
	v_add_nc_u32_e32 v1, s24, v0
	v_add_nc_u32_e32 v0, 0x100, v0
	global_store_b8 v1, v2, s[16:17]
	s_wait_xcnt 0x0
	s_or_b32 exec_lo, exec_lo, s0
	s_delay_alu instid0(SALU_CYCLE_1)
	s_mov_b32 s0, exec_lo
	v_cmpx_gt_i32_e64 s15, v0
	s_cbranch_execz .LBB24_49
.LBB24_66:
	v_dual_lshrrev_b32 v1, 8, v2 :: v_dual_add_nc_u32 v3, s24, v0
	v_add_nc_u32_e32 v0, 0x100, v0
	global_store_b8 v3, v1, s[16:17]
	s_wait_xcnt 0x0
	s_or_b32 exec_lo, exec_lo, s0
	s_delay_alu instid0(SALU_CYCLE_1)
	s_mov_b32 s0, exec_lo
	v_cmpx_gt_i32_e64 s15, v0
	s_cbranch_execz .LBB24_50
.LBB24_67:
	v_add_nc_u32_e32 v1, s24, v0
	v_add_nc_u32_e32 v0, 0x100, v0
	global_store_d16_hi_b8 v1, v2, s[16:17]
	s_wait_xcnt 0x0
	s_or_b32 exec_lo, exec_lo, s0
	s_delay_alu instid0(SALU_CYCLE_1)
	s_mov_b32 s0, exec_lo
	v_cmpx_gt_i32_e64 s15, v0
	s_cbranch_execnz .LBB24_51
	s_branch .LBB24_52
	.section	.rodata,"a",@progbits
	.p2align	6, 0x0
	.amdhsa_kernel _ZN2at6native29vectorized_elementwise_kernelILi16ENS0_13AUnaryFunctorIaabNS0_12_GLOBAL__N_116CompareEqFunctorIaEEEESt5arrayIPcLm2EEEEviT0_T1_
		.amdhsa_group_segment_fixed_size 0
		.amdhsa_private_segment_fixed_size 0
		.amdhsa_kernarg_size 32
		.amdhsa_user_sgpr_count 2
		.amdhsa_user_sgpr_dispatch_ptr 0
		.amdhsa_user_sgpr_queue_ptr 0
		.amdhsa_user_sgpr_kernarg_segment_ptr 1
		.amdhsa_user_sgpr_dispatch_id 0
		.amdhsa_user_sgpr_kernarg_preload_length 0
		.amdhsa_user_sgpr_kernarg_preload_offset 0
		.amdhsa_user_sgpr_private_segment_size 0
		.amdhsa_wavefront_size32 1
		.amdhsa_uses_dynamic_stack 0
		.amdhsa_enable_private_segment 0
		.amdhsa_system_sgpr_workgroup_id_x 1
		.amdhsa_system_sgpr_workgroup_id_y 0
		.amdhsa_system_sgpr_workgroup_id_z 0
		.amdhsa_system_sgpr_workgroup_info 0
		.amdhsa_system_vgpr_workitem_id 0
		.amdhsa_next_free_vgpr 21
		.amdhsa_next_free_sgpr 26
		.amdhsa_named_barrier_count 0
		.amdhsa_reserve_vcc 1
		.amdhsa_float_round_mode_32 0
		.amdhsa_float_round_mode_16_64 0
		.amdhsa_float_denorm_mode_32 3
		.amdhsa_float_denorm_mode_16_64 3
		.amdhsa_fp16_overflow 0
		.amdhsa_memory_ordered 1
		.amdhsa_forward_progress 1
		.amdhsa_inst_pref_size 38
		.amdhsa_round_robin_scheduling 0
		.amdhsa_exception_fp_ieee_invalid_op 0
		.amdhsa_exception_fp_denorm_src 0
		.amdhsa_exception_fp_ieee_div_zero 0
		.amdhsa_exception_fp_ieee_overflow 0
		.amdhsa_exception_fp_ieee_underflow 0
		.amdhsa_exception_fp_ieee_inexact 0
		.amdhsa_exception_int_div_zero 0
	.end_amdhsa_kernel
	.section	.text._ZN2at6native29vectorized_elementwise_kernelILi16ENS0_13AUnaryFunctorIaabNS0_12_GLOBAL__N_116CompareEqFunctorIaEEEESt5arrayIPcLm2EEEEviT0_T1_,"axG",@progbits,_ZN2at6native29vectorized_elementwise_kernelILi16ENS0_13AUnaryFunctorIaabNS0_12_GLOBAL__N_116CompareEqFunctorIaEEEESt5arrayIPcLm2EEEEviT0_T1_,comdat
.Lfunc_end24:
	.size	_ZN2at6native29vectorized_elementwise_kernelILi16ENS0_13AUnaryFunctorIaabNS0_12_GLOBAL__N_116CompareEqFunctorIaEEEESt5arrayIPcLm2EEEEviT0_T1_, .Lfunc_end24-_ZN2at6native29vectorized_elementwise_kernelILi16ENS0_13AUnaryFunctorIaabNS0_12_GLOBAL__N_116CompareEqFunctorIaEEEESt5arrayIPcLm2EEEEviT0_T1_
                                        ; -- End function
	.set _ZN2at6native29vectorized_elementwise_kernelILi16ENS0_13AUnaryFunctorIaabNS0_12_GLOBAL__N_116CompareEqFunctorIaEEEESt5arrayIPcLm2EEEEviT0_T1_.num_vgpr, 21
	.set _ZN2at6native29vectorized_elementwise_kernelILi16ENS0_13AUnaryFunctorIaabNS0_12_GLOBAL__N_116CompareEqFunctorIaEEEESt5arrayIPcLm2EEEEviT0_T1_.num_agpr, 0
	.set _ZN2at6native29vectorized_elementwise_kernelILi16ENS0_13AUnaryFunctorIaabNS0_12_GLOBAL__N_116CompareEqFunctorIaEEEESt5arrayIPcLm2EEEEviT0_T1_.numbered_sgpr, 26
	.set _ZN2at6native29vectorized_elementwise_kernelILi16ENS0_13AUnaryFunctorIaabNS0_12_GLOBAL__N_116CompareEqFunctorIaEEEESt5arrayIPcLm2EEEEviT0_T1_.num_named_barrier, 0
	.set _ZN2at6native29vectorized_elementwise_kernelILi16ENS0_13AUnaryFunctorIaabNS0_12_GLOBAL__N_116CompareEqFunctorIaEEEESt5arrayIPcLm2EEEEviT0_T1_.private_seg_size, 0
	.set _ZN2at6native29vectorized_elementwise_kernelILi16ENS0_13AUnaryFunctorIaabNS0_12_GLOBAL__N_116CompareEqFunctorIaEEEESt5arrayIPcLm2EEEEviT0_T1_.uses_vcc, 1
	.set _ZN2at6native29vectorized_elementwise_kernelILi16ENS0_13AUnaryFunctorIaabNS0_12_GLOBAL__N_116CompareEqFunctorIaEEEESt5arrayIPcLm2EEEEviT0_T1_.uses_flat_scratch, 0
	.set _ZN2at6native29vectorized_elementwise_kernelILi16ENS0_13AUnaryFunctorIaabNS0_12_GLOBAL__N_116CompareEqFunctorIaEEEESt5arrayIPcLm2EEEEviT0_T1_.has_dyn_sized_stack, 0
	.set _ZN2at6native29vectorized_elementwise_kernelILi16ENS0_13AUnaryFunctorIaabNS0_12_GLOBAL__N_116CompareEqFunctorIaEEEESt5arrayIPcLm2EEEEviT0_T1_.has_recursion, 0
	.set _ZN2at6native29vectorized_elementwise_kernelILi16ENS0_13AUnaryFunctorIaabNS0_12_GLOBAL__N_116CompareEqFunctorIaEEEESt5arrayIPcLm2EEEEviT0_T1_.has_indirect_call, 0
	.section	.AMDGPU.csdata,"",@progbits
; Kernel info:
; codeLenInByte = 4792
; TotalNumSgprs: 28
; NumVgprs: 21
; ScratchSize: 0
; MemoryBound: 0
; FloatMode: 240
; IeeeMode: 1
; LDSByteSize: 0 bytes/workgroup (compile time only)
; SGPRBlocks: 0
; VGPRBlocks: 1
; NumSGPRsForWavesPerEU: 28
; NumVGPRsForWavesPerEU: 21
; NamedBarCnt: 0
; Occupancy: 16
; WaveLimiterHint : 0
; COMPUTE_PGM_RSRC2:SCRATCH_EN: 0
; COMPUTE_PGM_RSRC2:USER_SGPR: 2
; COMPUTE_PGM_RSRC2:TRAP_HANDLER: 0
; COMPUTE_PGM_RSRC2:TGID_X_EN: 1
; COMPUTE_PGM_RSRC2:TGID_Y_EN: 0
; COMPUTE_PGM_RSRC2:TGID_Z_EN: 0
; COMPUTE_PGM_RSRC2:TIDIG_COMP_CNT: 0
	.section	.text._ZN2at6native29vectorized_elementwise_kernelILi8ENS0_13AUnaryFunctorIaabNS0_12_GLOBAL__N_116CompareEqFunctorIaEEEESt5arrayIPcLm2EEEEviT0_T1_,"axG",@progbits,_ZN2at6native29vectorized_elementwise_kernelILi8ENS0_13AUnaryFunctorIaabNS0_12_GLOBAL__N_116CompareEqFunctorIaEEEESt5arrayIPcLm2EEEEviT0_T1_,comdat
	.globl	_ZN2at6native29vectorized_elementwise_kernelILi8ENS0_13AUnaryFunctorIaabNS0_12_GLOBAL__N_116CompareEqFunctorIaEEEESt5arrayIPcLm2EEEEviT0_T1_ ; -- Begin function _ZN2at6native29vectorized_elementwise_kernelILi8ENS0_13AUnaryFunctorIaabNS0_12_GLOBAL__N_116CompareEqFunctorIaEEEESt5arrayIPcLm2EEEEviT0_T1_
	.p2align	8
	.type	_ZN2at6native29vectorized_elementwise_kernelILi8ENS0_13AUnaryFunctorIaabNS0_12_GLOBAL__N_116CompareEqFunctorIaEEEESt5arrayIPcLm2EEEEviT0_T1_,@function
_ZN2at6native29vectorized_elementwise_kernelILi8ENS0_13AUnaryFunctorIaabNS0_12_GLOBAL__N_116CompareEqFunctorIaEEEESt5arrayIPcLm2EEEEviT0_T1_: ; @_ZN2at6native29vectorized_elementwise_kernelILi8ENS0_13AUnaryFunctorIaabNS0_12_GLOBAL__N_116CompareEqFunctorIaEEEESt5arrayIPcLm2EEEEviT0_T1_
; %bb.0:
	s_clause 0x1
	s_load_b96 s[12:14], s[0:1], 0x0
	s_load_b128 s[8:11], s[0:1], 0x10
	s_wait_xcnt 0x0
	s_bfe_u32 s0, ttmp6, 0x4000c
	s_and_b32 s1, ttmp6, 15
	s_add_co_i32 s0, s0, 1
	s_getreg_b32 s2, hwreg(HW_REG_IB_STS2, 6, 4)
	s_mul_i32 s0, ttmp9, s0
	s_delay_alu instid0(SALU_CYCLE_1) | instskip(SKIP_2) | instid1(SALU_CYCLE_1)
	s_add_co_i32 s1, s1, s0
	s_cmp_eq_u32 s2, 0
	s_cselect_b32 s0, ttmp9, s1
	s_lshl_b32 s16, s0, 12
	s_mov_b32 s0, -1
	s_wait_kmcnt 0x0
	s_sub_co_i32 s12, s12, s16
	s_delay_alu instid0(SALU_CYCLE_1)
	s_cmp_gt_i32 s12, 0xfff
	s_cbranch_scc0 .LBB25_2
; %bb.1:
	s_ashr_i32 s17, s16, 31
	s_cmp_eq_u32 s13, 0
	s_add_nc_u64 s[0:1], s[10:11], s[16:17]
	s_cselect_b32 s15, -1, 0
	s_clause 0x1
	global_load_b64 v[2:3], v0, s[0:1] scale_offset
	global_load_b64 v[4:5], v0, s[0:1] offset:2048 scale_offset
	s_and_b32 s18, s14, 0xff
	s_wait_loadcnt 0x1
	v_and_b32_e32 v1, 0xff, v2
	v_dual_lshrrev_b32 v6, 8, v2 :: v_dual_lshrrev_b32 v7, 16, v2
	v_dual_lshrrev_b32 v2, 24, v2 :: v_dual_lshrrev_b32 v9, 8, v3
	v_and_b32_e32 v8, 0xff, v3
	v_dual_lshrrev_b32 v10, 16, v3 :: v_dual_lshrrev_b32 v3, 24, v3
	s_wait_xcnt 0x0
	s_delay_alu instid0(VALU_DEP_3)
	v_cmp_ne_u16_e64 s0, s18, v2
	s_wait_loadcnt 0x0
	v_and_b32_e32 v11, 0xff, v4
	v_cmp_ne_u16_e32 vcc_lo, s18, v1
	v_and_b32_e32 v1, 0xff, v6
	v_cmp_ne_u16_e64 s1, s18, v8
	v_dual_lshrrev_b32 v12, 8, v4 :: v_dual_lshrrev_b32 v13, 16, v4
	v_dual_lshrrev_b32 v4, 24, v4 :: v_dual_lshrrev_b32 v15, 8, v5
	v_and_b32_e32 v14, 0xff, v5
	v_dual_lshrrev_b32 v16, 16, v5 :: v_dual_lshrrev_b32 v5, 24, v5
	v_and_b32_e32 v6, 0xff, v7
	v_and_b32_e32 v2, 0xff, v9
	v_cmp_ne_u16_e64 s2, s18, v3
	s_xor_b32 s0, s15, s0
	v_and_b32_e32 v7, 0xff, v10
	v_cmp_ne_u16_e64 s3, s18, v11
	s_xor_b32 s7, s15, vcc_lo
	v_cmp_ne_u16_e32 vcc_lo, s18, v1
	v_cndmask_b32_e64 v1, 0, 1, s0
	s_xor_b32 s0, s15, s1
	v_and_b32_e32 v3, 0xff, v12
	v_cmp_ne_u16_e64 s4, s18, v4
	v_cmp_ne_u16_e64 s6, s18, v5
	v_cndmask_b32_e64 v5, 0, 1, s7
	v_cmp_ne_u16_e64 s7, s18, v6
	v_cndmask_b32_e64 v6, 0, 1, s0
	v_cmp_ne_u16_e64 s0, s18, v2
	s_xor_b32 s2, s15, s2
	v_and_b32_e32 v8, 0xff, v13
	v_cmp_ne_u16_e64 s5, s18, v14
	v_cmp_ne_u16_e64 s1, s18, v7
	v_cndmask_b32_e64 v2, 0, 1, s2
	s_xor_b32 s2, s15, s3
	v_and_b32_e32 v4, 0xff, v15
	v_cndmask_b32_e64 v7, 0, 1, s2
	v_cmp_ne_u16_e64 s2, s18, v3
	s_xor_b32 s4, s15, s4
	s_xor_b32 s0, s15, s0
	v_cmp_ne_u16_e64 s3, s18, v8
	v_cndmask_b32_e64 v3, 0, 1, s4
	s_xor_b32 s4, s15, s5
	v_cndmask_b32_e64 v11, 0, 1, s0
	s_xor_b32 s0, s15, s1
	v_and_b32_e32 v9, 0xff, v16
	v_cndmask_b32_e64 v8, 0, 1, s4
	v_cmp_ne_u16_e64 s4, s18, v4
	v_cndmask_b32_e64 v12, 0, 1, s0
	s_xor_b32 s0, s15, s2
	s_xor_b32 s6, s15, s6
	v_cndmask_b32_e64 v13, 0, 1, s0
	s_xor_b32 s0, s15, s3
	v_cmp_ne_u16_e64 s5, s18, v9
	v_cndmask_b32_e64 v4, 0, 1, s6
	s_xor_b32 s6, s15, vcc_lo
	v_cndmask_b32_e64 v14, 0, 1, s0
	s_xor_b32 s0, s15, s4
	v_cndmask_b32_e64 v9, 0, 1, s6
	v_cndmask_b32_e64 v15, 0, 1, s0
	v_lshlrev_b16 v3, 8, v3
	s_xor_b32 s6, s15, s7
	s_xor_b32 s0, s15, s5
	v_cndmask_b32_e64 v10, 0, 1, s6
	v_cndmask_b32_e64 v16, 0, 1, s0
	v_lshlrev_b16 v4, 8, v4
	v_lshlrev_b16 v2, 8, v2
	;; [unrolled: 1-line block ×4, first 2 shown]
	v_or_b32_e32 v3, v14, v3
	v_lshlrev_b16 v11, 8, v11
	v_lshlrev_b16 v9, 8, v9
	;; [unrolled: 1-line block ×3, first 2 shown]
	v_or_b32_e32 v4, v16, v4
	v_or_b32_e32 v1, v10, v1
	;; [unrolled: 1-line block ×4, first 2 shown]
	v_lshlrev_b32_e32 v10, 16, v3
	v_or_b32_e32 v3, v6, v11
	v_or_b32_e32 v5, v5, v9
	v_dual_lshlrev_b32 v4, 16, v4 :: v_dual_bitop2_b32 v7, v7, v13 bitop3:0x54
	v_dual_lshlrev_b32 v1, 16, v1 :: v_dual_lshlrev_b32 v2, 16, v2
	v_and_b32_e32 v6, 0xffff, v8
	v_and_b32_e32 v8, 0xffff, v3
	v_and_b32_e32 v9, 0xffff, v5
	v_and_b32_e32 v7, 0xffff, v7
	s_add_nc_u64 s[2:3], s[8:9], s[16:17]
	v_or_b32_e32 v3, v6, v4
	v_or_b32_e32 v5, v8, v2
	;; [unrolled: 1-line block ×4, first 2 shown]
	s_mov_b32 s0, 0
	s_clause 0x1
	global_store_b64 v0, v[4:5], s[2:3] scale_offset
	global_store_b64 v0, v[2:3], s[2:3] offset:2048 scale_offset
.LBB25_2:
	s_and_not1_b32 vcc_lo, exec_lo, s0
	s_cbranch_vccnz .LBB25_52
; %bb.3:
	v_cmp_gt_i32_e32 vcc_lo, s12, v0
	v_or_b32_e32 v1, 0x100, v0
	v_dual_mov_b32 v10, 0 :: v_dual_bitop2_b32 v6, s16, v0 bitop3:0x54
	v_dual_mov_b32 v14, 0 :: v_dual_mov_b32 v18, 0
	v_dual_mov_b32 v16, 0 :: v_dual_mov_b32 v7, 0
	;; [unrolled: 1-line block ×5, first 2 shown]
	s_wait_xcnt 0x1
	v_dual_mov_b32 v20, 0 :: v_dual_mov_b32 v4, 0
	s_wait_xcnt 0x0
	v_dual_mov_b32 v3, 0 :: v_dual_mov_b32 v13, 0
	v_mov_b32_e32 v15, 0
	s_and_saveexec_b32 s1, vcc_lo
	s_cbranch_execz .LBB25_35
; %bb.4:
	global_load_u8 v15, v6, s[10:11]
	v_dual_mov_b32 v13, 0 :: v_dual_mov_b32 v3, 0
	v_dual_mov_b32 v4, 0 :: v_dual_mov_b32 v20, 0
	;; [unrolled: 1-line block ×7, first 2 shown]
	v_mov_b32_e32 v10, 0
	s_mov_b32 s2, exec_lo
	s_wait_xcnt 0x0
	v_cmpx_gt_u32_e64 s12, v1
	s_cbranch_execz .LBB25_34
; %bb.5:
	v_dual_mov_b32 v3, 0 :: v_dual_add_nc_u32 v2, s16, v0
	v_or_b32_e32 v4, 0x200, v0
	v_dual_mov_b32 v19, 0 :: v_dual_mov_b32 v17, 0
	global_load_u8 v13, v2, s[10:11] offset:256
	v_mov_b32_e32 v20, 0
	v_cmp_gt_u32_e64 s0, s12, v4
	v_dual_mov_b32 v4, 0 :: v_dual_mov_b32 v12, 0
	v_dual_mov_b32 v11, 0 :: v_dual_mov_b32 v9, 0
	;; [unrolled: 1-line block ×5, first 2 shown]
	s_wait_xcnt 0x0
	s_and_saveexec_b32 s3, s0
	s_cbranch_execz .LBB25_33
; %bb.6:
	v_add_nc_u64_e32 v[4:5], s[10:11], v[2:3]
	v_or_b32_e32 v7, 0x300, v0
	v_dual_mov_b32 v20, 0 :: v_dual_mov_b32 v19, 0
	v_dual_mov_b32 v17, 0 :: v_dual_mov_b32 v12, 0
	s_delay_alu instid0(VALU_DEP_3)
	v_cmp_gt_u32_e64 s0, s12, v7
	global_load_u8 v2, v[4:5], off offset:512
	v_dual_mov_b32 v11, 0 :: v_dual_mov_b32 v9, 0
	v_dual_mov_b32 v8, 0 :: v_dual_mov_b32 v7, 0
	;; [unrolled: 1-line block ×4, first 2 shown]
	s_wait_xcnt 0x0
	s_and_saveexec_b32 s4, s0
	s_cbranch_execz .LBB25_32
; %bb.7:
	global_load_u8 v3, v[4:5], off offset:768
	v_or_b32_e32 v7, 0x400, v0
	v_dual_mov_b32 v20, 0 :: v_dual_mov_b32 v19, 0
	v_dual_mov_b32 v17, 0 :: v_dual_mov_b32 v12, 0
	s_delay_alu instid0(VALU_DEP_3)
	v_cmp_gt_u32_e64 s0, s12, v7
	v_dual_mov_b32 v11, 0 :: v_dual_mov_b32 v9, 0
	v_dual_mov_b32 v8, 0 :: v_dual_mov_b32 v7, 0
	;; [unrolled: 1-line block ×4, first 2 shown]
	s_wait_xcnt 0x0
	s_and_saveexec_b32 s5, s0
	s_cbranch_execz .LBB25_31
; %bb.8:
	global_load_u8 v20, v[4:5], off offset:1024
	v_or_b32_e32 v7, 0x500, v0
	v_dual_mov_b32 v19, 0 :: v_dual_mov_b32 v17, 0
	v_dual_mov_b32 v12, 0 :: v_dual_mov_b32 v11, 0
	s_delay_alu instid0(VALU_DEP_3)
	v_cmp_gt_u32_e64 s0, s12, v7
	v_dual_mov_b32 v9, 0 :: v_dual_mov_b32 v8, 0
	v_dual_mov_b32 v7, 0 :: v_dual_mov_b32 v16, 0
	;; [unrolled: 1-line block ×3, first 2 shown]
	v_mov_b32_e32 v10, 0
	s_wait_xcnt 0x0
	s_and_saveexec_b32 s6, s0
	s_cbranch_execz .LBB25_30
; %bb.9:
	global_load_u8 v19, v[4:5], off offset:1280
	v_or_b32_e32 v7, 0x600, v0
	v_dual_mov_b32 v17, 0 :: v_dual_mov_b32 v12, 0
	v_dual_mov_b32 v11, 0 :: v_dual_mov_b32 v9, 0
	s_delay_alu instid0(VALU_DEP_3)
	v_cmp_gt_u32_e64 s0, s12, v7
	v_dual_mov_b32 v8, 0 :: v_dual_mov_b32 v7, 0
	v_dual_mov_b32 v16, 0 :: v_dual_mov_b32 v18, 0
	;; [unrolled: 1-line block ×3, first 2 shown]
	s_wait_xcnt 0x0
	s_and_saveexec_b32 s7, s0
	s_cbranch_execz .LBB25_29
; %bb.10:
	global_load_u8 v17, v[4:5], off offset:1536
	v_or_b32_e32 v7, 0x700, v0
	v_dual_mov_b32 v12, 0 :: v_dual_mov_b32 v11, 0
	v_dual_mov_b32 v9, 0 :: v_dual_mov_b32 v8, 0
	s_delay_alu instid0(VALU_DEP_3)
	v_cmp_gt_u32_e64 s0, s12, v7
	v_dual_mov_b32 v7, 0 :: v_dual_mov_b32 v16, 0
	v_dual_mov_b32 v18, 0 :: v_dual_mov_b32 v14, 0
	v_mov_b32_e32 v10, 0
	s_wait_xcnt 0x0
	s_and_saveexec_b32 s10, s0
	s_cbranch_execz .LBB25_28
; %bb.11:
	global_load_u8 v12, v[4:5], off offset:1792
	v_or_b32_e32 v7, 0x800, v0
	v_dual_mov_b32 v11, 0 :: v_dual_mov_b32 v9, 0
	v_dual_mov_b32 v8, 0 :: v_dual_mov_b32 v16, 0
	v_mov_b32_e32 v18, 0
	s_delay_alu instid0(VALU_DEP_4)
	v_cmp_gt_u32_e64 s0, s12, v7
	v_dual_mov_b32 v7, 0 :: v_dual_mov_b32 v14, 0
	v_mov_b32_e32 v10, 0
	s_wait_xcnt 0x0
	s_and_saveexec_b32 s11, s0
	s_cbranch_execz .LBB25_27
; %bb.12:
	global_load_u8 v11, v[4:5], off offset:2048
	v_or_b32_e32 v7, 0x900, v0
	v_dual_mov_b32 v9, 0 :: v_dual_mov_b32 v8, 0
	v_dual_mov_b32 v18, 0 :: v_dual_mov_b32 v14, 0
	s_delay_alu instid0(VALU_DEP_3)
	v_cmp_gt_u32_e64 s0, s12, v7
	v_dual_mov_b32 v7, 0 :: v_dual_mov_b32 v16, 0
	v_mov_b32_e32 v10, 0
	s_wait_xcnt 0x0
	s_and_saveexec_b32 s15, s0
	s_cbranch_execz .LBB25_26
; %bb.13:
	global_load_u8 v9, v[4:5], off offset:2304
	v_or_b32_e32 v7, 0xa00, v0
	v_dual_mov_b32 v8, 0 :: v_dual_mov_b32 v16, 0
	v_dual_mov_b32 v18, 0 :: v_dual_mov_b32 v14, 0
	v_mov_b32_e32 v10, 0
	s_delay_alu instid0(VALU_DEP_4)
	v_cmp_gt_u32_e64 s0, s12, v7
	v_mov_b32_e32 v7, 0
	s_wait_xcnt 0x0
	s_and_saveexec_b32 s17, s0
	s_cbranch_execz .LBB25_25
; %bb.14:
	global_load_u8 v8, v[4:5], off offset:2560
	v_or_b32_e32 v7, 0xb00, v0
	v_dual_mov_b32 v18, 0 :: v_dual_mov_b32 v14, 0
	v_dual_mov_b32 v10, 0 :: v_dual_mov_b32 v16, 0
	s_delay_alu instid0(VALU_DEP_3)
	v_cmp_gt_u32_e64 s0, s12, v7
	v_mov_b32_e32 v7, 0
	s_wait_xcnt 0x0
	s_and_saveexec_b32 s18, s0
	s_cbranch_execz .LBB25_24
; %bb.15:
	global_load_u8 v7, v[4:5], off offset:2816
	v_or_b32_e32 v10, 0xc00, v0
	v_dual_mov_b32 v16, 0 :: v_dual_mov_b32 v18, 0
	v_mov_b32_e32 v14, 0
	s_delay_alu instid0(VALU_DEP_3)
	v_cmp_gt_u32_e64 s0, s12, v10
	v_mov_b32_e32 v10, 0
	s_wait_xcnt 0x0
	s_and_saveexec_b32 s19, s0
	s_cbranch_execz .LBB25_23
; %bb.16:
	global_load_u8 v16, v[4:5], off offset:3072
	v_or_b32_e32 v10, 0xd00, v0
	v_dual_mov_b32 v18, 0 :: v_dual_mov_b32 v14, 0
	s_delay_alu instid0(VALU_DEP_2)
	v_cmp_gt_u32_e64 s0, s12, v10
	v_mov_b32_e32 v10, 0
	s_wait_xcnt 0x0
	s_and_saveexec_b32 s20, s0
	s_cbranch_execz .LBB25_22
; %bb.17:
	global_load_u8 v18, v[4:5], off offset:3328
	v_or_b32_e32 v10, 0xe00, v0
	v_mov_b32_e32 v14, 0
	s_delay_alu instid0(VALU_DEP_2)
	v_cmp_gt_u32_e64 s0, s12, v10
	v_mov_b32_e32 v10, 0
	s_wait_xcnt 0x0
	s_and_saveexec_b32 s21, s0
	s_cbranch_execz .LBB25_21
; %bb.18:
	global_load_u8 v14, v[4:5], off offset:3584
	v_or_b32_e32 v10, 0xf00, v0
	s_delay_alu instid0(VALU_DEP_1)
	v_cmp_gt_u32_e64 s0, s12, v10
	v_mov_b32_e32 v10, 0
	s_wait_xcnt 0x0
	s_and_saveexec_b32 s22, s0
	s_cbranch_execz .LBB25_20
; %bb.19:
	global_load_u8 v10, v[4:5], off offset:3840
.LBB25_20:
	s_wait_xcnt 0x0
	s_or_b32 exec_lo, exec_lo, s22
.LBB25_21:
	s_delay_alu instid0(SALU_CYCLE_1)
	s_or_b32 exec_lo, exec_lo, s21
.LBB25_22:
	s_delay_alu instid0(SALU_CYCLE_1)
	s_or_b32 exec_lo, exec_lo, s20
.LBB25_23:
	s_delay_alu instid0(SALU_CYCLE_1)
	s_or_b32 exec_lo, exec_lo, s19
.LBB25_24:
	s_delay_alu instid0(SALU_CYCLE_1)
	s_or_b32 exec_lo, exec_lo, s18
.LBB25_25:
	s_delay_alu instid0(SALU_CYCLE_1)
	s_or_b32 exec_lo, exec_lo, s17
.LBB25_26:
	s_delay_alu instid0(SALU_CYCLE_1)
	s_or_b32 exec_lo, exec_lo, s15
.LBB25_27:
	s_delay_alu instid0(SALU_CYCLE_1)
	s_or_b32 exec_lo, exec_lo, s11
.LBB25_28:
	s_delay_alu instid0(SALU_CYCLE_1)
	s_or_b32 exec_lo, exec_lo, s10
.LBB25_29:
	s_delay_alu instid0(SALU_CYCLE_1)
	s_or_b32 exec_lo, exec_lo, s7
.LBB25_30:
	s_delay_alu instid0(SALU_CYCLE_1)
	s_or_b32 exec_lo, exec_lo, s6
.LBB25_31:
	s_delay_alu instid0(SALU_CYCLE_1)
	s_or_b32 exec_lo, exec_lo, s5
.LBB25_32:
	s_delay_alu instid0(SALU_CYCLE_1)
	s_or_b32 exec_lo, exec_lo, s4
	s_wait_loadcnt 0x0
	v_dual_mov_b32 v4, v3 :: v_dual_mov_b32 v3, v2
.LBB25_33:
	s_or_b32 exec_lo, exec_lo, s3
.LBB25_34:
	s_delay_alu instid0(SALU_CYCLE_1)
	s_or_b32 exec_lo, exec_lo, s2
.LBB25_35:
	s_delay_alu instid0(SALU_CYCLE_1)
	s_or_b32 exec_lo, exec_lo, s1
	v_and_b32_e32 v2, 0xff, v20
	s_cmp_eq_u32 s13, 0
	v_and_b32_e32 v5, 0xff, v19
	s_cselect_b32 s4, -1, 0
	s_and_b32 s5, s14, 0xff
	s_wait_loadcnt 0x0
	v_and_b32_e32 v13, 0xff, v13
	v_cmp_ne_u16_e64 s0, s5, v2
	v_and_b32_e32 v2, 0xff, v15
	v_and_b32_e32 v3, 0xff, v3
	;; [unrolled: 1-line block ×3, first 2 shown]
	v_cmp_ne_u16_e64 s2, s5, v13
	s_xor_b32 s0, s4, s0
	v_cmp_ne_u16_e64 s1, s5, v2
	v_cndmask_b32_e64 v15, 0, 1, s0
	v_cmp_ne_u16_e64 s0, s5, v5
	v_or_b32_e32 v5, 0x400, v0
	v_and_b32_e32 v4, 0xff, v4
	v_and_b32_e32 v12, 0xff, v12
	v_bitop3_b16 v2, v15, 0, 0xff00 bitop3:0xf8
	s_xor_b32 s0, s4, s0
	v_and_b32_e32 v16, 0xff, v16
	v_cndmask_b32_e64 v13, 0, 1, s0
	s_xor_b32 s0, s4, s1
	v_and_b32_e32 v2, 0xffff, v2
	v_cndmask_b32_e64 v15, 0, 1, s0
	s_xor_b32 s0, s4, s2
	v_lshlrev_b16 v13, 8, v13
	v_cndmask_b32_e64 v19, 0, 1, s0
	v_cmp_gt_i32_e64 s0, s12, v5
	v_cndmask_b32_e32 v5, 0, v15, vcc_lo
	v_cmp_ne_u16_e64 s1, s5, v17
	v_and_b32_e32 v9, 0xff, v9
	v_lshlrev_b16 v15, 8, v19
	v_cndmask_b32_e64 v2, 0, v2, s0
	v_cmp_ne_u16_e64 s0, s5, v3
	v_or_b32_e32 v3, 0x500, v0
	v_cmp_ne_u16_e64 s3, s5, v9
	v_and_b32_e32 v11, 0xff, v11
	v_bitop3_b16 v13, v2, v13, 0xff bitop3:0xec
	s_xor_b32 s0, s4, s0
	v_and_b32_e32 v8, 0xff, v8
	v_cndmask_b32_e64 v17, 0, 1, s0
	v_cmp_gt_i32_e64 s0, s12, v3
	v_and_b32_e32 v13, 0xffff, v13
	v_or_b32_e32 v15, v5, v15
	v_and_b32_e32 v14, 0xff, v14
	v_and_b32_e32 v7, 0xff, v7
	;; [unrolled: 1-line block ×3, first 2 shown]
	v_cndmask_b32_e64 v2, v2, v13, s0
	s_xor_b32 s0, s4, s1
	v_and_b32_e32 v15, 0xffff, v15
	v_cndmask_b32_e64 v3, 0, 1, s0
	v_cmp_gt_i32_e64 s0, s12, v1
	s_delay_alu instid0(VALU_DEP_1) | instskip(SKIP_2) | instid1(VALU_DEP_3)
	v_dual_lshrrev_b32 v13, 16, v2 :: v_dual_cndmask_b32 v5, v5, v15, s0
	v_cmp_ne_u16_e64 s0, s5, v4
	v_or_b32_e32 v4, 0x200, v0
	v_bitop3_b16 v3, v3, v13, 0xff00 bitop3:0xf8
	s_delay_alu instid0(VALU_DEP_4) | instskip(SKIP_4) | instid1(VALU_DEP_2)
	v_lshl_or_b32 v15, v17, 16, v5
	s_xor_b32 s0, s4, s0
	v_or_b32_e32 v17, 0xd00, v0
	v_cndmask_b32_e64 v13, 0, 1, s0
	v_cmp_gt_i32_e64 s0, s12, v4
	v_lshlrev_b16 v13, 8, v13
	s_delay_alu instid0(VALU_DEP_2) | instskip(SKIP_2) | instid1(VALU_DEP_3)
	v_cndmask_b32_e64 v4, v5, v15, s0
	v_cmp_ne_u16_e64 s0, s5, v12
	v_or_b32_e32 v5, 0x600, v0
	v_dual_lshlrev_b32 v3, 16, v3 :: v_dual_lshrrev_b32 v15, 16, v4
	s_xor_b32 s0, s4, s0
	s_delay_alu instid0(VALU_DEP_2)
	v_cmp_gt_i32_e64 s1, s12, v5
	v_cndmask_b32_e64 v5, 0, 1, s0
	v_cmp_ne_u16_e64 s0, s5, v16
	v_and_or_b32 v3, 0xffff, v2, v3
	v_bitop3_b16 v12, v15, v13, 0xff bitop3:0xec
	v_or_b32_e32 v15, 0x800, v0
	v_lshlrev_b16 v5, 8, v5
	s_xor_b32 s0, s4, s0
	s_delay_alu instid0(SALU_CYCLE_1) | instskip(SKIP_4) | instid1(VALU_DEP_3)
	v_cndmask_b32_e64 v9, 0, 1, s0
	v_cndmask_b32_e64 v2, v2, v3, s1
	v_and_b32_e32 v3, 0xff, v18
	v_cmp_ne_u16_e64 s1, s5, v11
	v_lshlrev_b32_e32 v12, 16, v12
	v_cmp_ne_u16_e64 s2, s5, v3
	v_or_b32_e32 v3, 0xc00, v0
	s_delay_alu instid0(VALU_DEP_3) | instskip(SKIP_1) | instid1(SALU_CYCLE_1)
	v_and_or_b32 v12, 0xffff, v4, v12
	s_xor_b32 s0, s4, s2
	v_cndmask_b32_e64 v11, 0, 1, s0
	s_xor_b32 s0, s4, s1
	v_cmp_gt_i32_e64 s1, s12, v17
	v_cndmask_b32_e64 v16, 0, 1, s0
	v_cmp_gt_i32_e64 s0, s12, v3
	s_delay_alu instid0(VALU_DEP_1) | instskip(SKIP_2) | instid1(SALU_CYCLE_1)
	v_cndmask_b32_e64 v3, 0, v9, s0
	v_lshlrev_b16 v9, 8, v11
	s_xor_b32 s0, s4, s3
	v_cndmask_b32_e64 v11, 0, 1, s0
	v_cmp_gt_i32_e64 s0, s12, v15
	s_delay_alu instid0(VALU_DEP_3) | instskip(SKIP_1) | instid1(VALU_DEP_4)
	v_bitop3_b16 v9, v3, v9, 0xff bitop3:0xec
	v_lshrrev_b32_e32 v13, 16, v2
	v_lshlrev_b16 v11, 8, v11
	s_delay_alu instid0(VALU_DEP_4) | instskip(NEXT) | instid1(VALU_DEP_4)
	v_cndmask_b32_e64 v15, 0, v16, s0
	v_and_b32_e32 v9, 0xffff, v9
	v_cmp_ne_u16_e64 s0, s5, v8
	v_or_b32_e32 v16, 0x900, v0
	v_bitop3_b16 v5, v13, v5, 0xff bitop3:0xec
	v_or_b32_e32 v13, 0x300, v0
	v_cndmask_b32_e64 v3, v3, v9, s1
	v_cmp_ne_u16_e64 s1, s5, v14
	s_xor_b32 s0, s4, s0
	s_delay_alu instid0(SALU_CYCLE_1) | instskip(SKIP_1) | instid1(SALU_CYCLE_1)
	v_cndmask_b32_e64 v9, 0, 1, s0
	s_xor_b32 s0, s4, s1
	v_cndmask_b32_e64 v14, 0, 1, s0
	v_cmp_gt_i32_e64 s0, s12, v16
	s_delay_alu instid0(VALU_DEP_3) | instskip(NEXT) | instid1(VALU_DEP_1)
	v_dual_lshlrev_b32 v9, 16, v9 :: v_dual_bitop2_b32 v11, v15, v11 bitop3:0x54
	v_and_b32_e32 v8, 0xffff, v11
	s_delay_alu instid0(VALU_DEP_1) | instskip(SKIP_1) | instid1(VALU_DEP_2)
	v_cndmask_b32_e64 v8, v15, v8, s0
	v_cmp_ne_u16_e64 s0, s5, v7
	v_and_or_b32 v9, 0x1ff, v8, v9
	v_lshrrev_b32_e32 v11, 16, v3
	s_xor_b32 s0, s4, s0
	s_delay_alu instid0(VALU_DEP_1) | instskip(SKIP_1) | instid1(VALU_DEP_1)
	v_bitop3_b16 v11, v14, v11, 0xff00 bitop3:0xf8
	v_or_b32_e32 v14, 0xa00, v0
	v_cmp_gt_i32_e64 s1, s12, v14
	s_delay_alu instid0(VALU_DEP_1) | instskip(SKIP_3) | instid1(VALU_DEP_3)
	v_dual_cndmask_b32 v8, v8, v9, s1 :: v_dual_lshlrev_b32 v7, 16, v11
	v_or_b32_e32 v9, 0xe00, v0
	v_cmp_ne_u16_e64 s1, s5, v10
	v_cndmask_b32_e64 v10, 0, 1, s0
	v_cmp_gt_i32_e64 s0, s12, v9
	v_lshrrev_b32_e32 v9, 16, v8
	v_and_or_b32 v7, 0xffff, v3, v7
	s_delay_alu instid0(VALU_DEP_4) | instskip(NEXT) | instid1(VALU_DEP_2)
	v_lshlrev_b16 v10, 8, v10
	v_cndmask_b32_e64 v7, v3, v7, s0
	s_xor_b32 s0, s4, s1
	s_delay_alu instid0(VALU_DEP_2)
	v_bitop3_b16 v9, v9, v10, 0xff bitop3:0xec
	v_cndmask_b32_e64 v3, 0, 1, s0
	v_lshlrev_b32_e32 v10, 16, v5
	v_cmp_gt_i32_e64 s0, s12, v13
	v_lshrrev_b32_e32 v11, 16, v7
	v_or_b32_e32 v13, 0xf00, v0
	v_lshlrev_b16 v3, 8, v3
	v_and_or_b32 v10, 0xffff, v2, v10
	v_cndmask_b32_e64 v5, v4, v12, s0
	s_delay_alu instid0(VALU_DEP_3) | instskip(SKIP_3) | instid1(VALU_DEP_4)
	v_bitop3_b16 v3, v11, v3, 0xff bitop3:0xec
	v_lshlrev_b32_e32 v4, 16, v9
	v_or_b32_e32 v9, 0x700, v0
	v_or_b32_e32 v11, 0xb00, v0
	v_lshlrev_b32_e32 v3, 16, v3
	s_delay_alu instid0(VALU_DEP_4) | instskip(NEXT) | instid1(VALU_DEP_4)
	v_and_or_b32 v12, 0xffff, v8, v4
	v_cmp_gt_i32_e64 s0, s12, v9
	s_delay_alu instid0(VALU_DEP_3) | instskip(NEXT) | instid1(VALU_DEP_2)
	v_and_or_b32 v14, 0xffff, v7, v3
	v_cndmask_b32_e64 v4, v2, v10, s0
	v_cmp_gt_i32_e64 s0, s12, v11
	s_delay_alu instid0(VALU_DEP_1) | instskip(SKIP_1) | instid1(VALU_DEP_1)
	v_cndmask_b32_e64 v3, v8, v12, s0
	v_cmp_gt_i32_e64 s0, s12, v13
	v_cndmask_b32_e64 v2, v7, v14, s0
	s_and_saveexec_b32 s0, vcc_lo
	s_cbranch_execnz .LBB25_53
; %bb.36:
	s_or_b32 exec_lo, exec_lo, s0
	s_delay_alu instid0(SALU_CYCLE_1)
	s_mov_b32 s0, exec_lo
	v_cmpx_gt_i32_e64 s12, v0
	s_cbranch_execnz .LBB25_54
.LBB25_37:
	s_or_b32 exec_lo, exec_lo, s0
	s_delay_alu instid0(SALU_CYCLE_1)
	s_mov_b32 s0, exec_lo
	v_cmpx_gt_i32_e64 s12, v0
	s_cbranch_execnz .LBB25_55
.LBB25_38:
	s_or_b32 exec_lo, exec_lo, s0
	s_delay_alu instid0(SALU_CYCLE_1)
	s_mov_b32 s0, exec_lo
	v_cmpx_gt_i32_e64 s12, v0
	s_cbranch_execnz .LBB25_56
.LBB25_39:
	s_or_b32 exec_lo, exec_lo, s0
	s_delay_alu instid0(SALU_CYCLE_1)
	s_mov_b32 s0, exec_lo
	v_cmpx_gt_i32_e64 s12, v0
	s_cbranch_execnz .LBB25_57
.LBB25_40:
	s_or_b32 exec_lo, exec_lo, s0
	s_delay_alu instid0(SALU_CYCLE_1)
	s_mov_b32 s0, exec_lo
	v_cmpx_gt_i32_e64 s12, v0
	s_cbranch_execnz .LBB25_58
.LBB25_41:
	s_or_b32 exec_lo, exec_lo, s0
	s_delay_alu instid0(SALU_CYCLE_1)
	s_mov_b32 s0, exec_lo
	v_cmpx_gt_i32_e64 s12, v0
	s_cbranch_execnz .LBB25_59
.LBB25_42:
	s_or_b32 exec_lo, exec_lo, s0
	s_delay_alu instid0(SALU_CYCLE_1)
	s_mov_b32 s0, exec_lo
	v_cmpx_gt_i32_e64 s12, v0
	s_cbranch_execnz .LBB25_60
.LBB25_43:
	s_or_b32 exec_lo, exec_lo, s0
	s_delay_alu instid0(SALU_CYCLE_1)
	s_mov_b32 s0, exec_lo
	v_cmpx_gt_i32_e64 s12, v0
	s_cbranch_execnz .LBB25_61
.LBB25_44:
	s_or_b32 exec_lo, exec_lo, s0
	s_delay_alu instid0(SALU_CYCLE_1)
	s_mov_b32 s0, exec_lo
	v_cmpx_gt_i32_e64 s12, v0
	s_cbranch_execnz .LBB25_62
.LBB25_45:
	s_or_b32 exec_lo, exec_lo, s0
	s_delay_alu instid0(SALU_CYCLE_1)
	s_mov_b32 s0, exec_lo
	v_cmpx_gt_i32_e64 s12, v0
	s_cbranch_execnz .LBB25_63
.LBB25_46:
	s_or_b32 exec_lo, exec_lo, s0
	s_delay_alu instid0(SALU_CYCLE_1)
	s_mov_b32 s0, exec_lo
	v_cmpx_gt_i32_e64 s12, v0
	s_cbranch_execnz .LBB25_64
.LBB25_47:
	s_or_b32 exec_lo, exec_lo, s0
	s_delay_alu instid0(SALU_CYCLE_1)
	s_mov_b32 s0, exec_lo
	v_cmpx_gt_i32_e64 s12, v0
	s_cbranch_execnz .LBB25_65
.LBB25_48:
	s_or_b32 exec_lo, exec_lo, s0
	s_delay_alu instid0(SALU_CYCLE_1)
	s_mov_b32 s0, exec_lo
	v_cmpx_gt_i32_e64 s12, v0
	s_cbranch_execnz .LBB25_66
.LBB25_49:
	s_or_b32 exec_lo, exec_lo, s0
	s_delay_alu instid0(SALU_CYCLE_1)
	s_mov_b32 s0, exec_lo
	v_cmpx_gt_i32_e64 s12, v0
	s_cbranch_execnz .LBB25_67
.LBB25_50:
	s_or_b32 exec_lo, exec_lo, s0
	s_delay_alu instid0(SALU_CYCLE_1)
	s_mov_b32 s0, exec_lo
	v_cmpx_gt_i32_e64 s12, v0
	s_cbranch_execz .LBB25_52
.LBB25_51:
	v_dual_lshrrev_b32 v1, 24, v2 :: v_dual_add_nc_u32 v0, s16, v0
	global_store_b8 v0, v1, s[8:9]
.LBB25_52:
	s_endpgm
.LBB25_53:
	v_mov_b32_e32 v0, v1
	global_store_b8 v6, v5, s[8:9]
	s_wait_xcnt 0x0
	s_or_b32 exec_lo, exec_lo, s0
	s_delay_alu instid0(SALU_CYCLE_1)
	s_mov_b32 s0, exec_lo
	v_cmpx_gt_i32_e64 s12, v0
	s_cbranch_execz .LBB25_37
.LBB25_54:
	v_dual_lshrrev_b32 v1, 8, v5 :: v_dual_add_nc_u32 v6, s16, v0
	v_add_nc_u32_e32 v0, 0x100, v0
	global_store_b8 v6, v1, s[8:9]
	s_wait_xcnt 0x0
	s_or_b32 exec_lo, exec_lo, s0
	s_delay_alu instid0(SALU_CYCLE_1)
	s_mov_b32 s0, exec_lo
	v_cmpx_gt_i32_e64 s12, v0
	s_cbranch_execz .LBB25_38
.LBB25_55:
	v_add_nc_u32_e32 v1, s16, v0
	v_add_nc_u32_e32 v0, 0x100, v0
	global_store_d16_hi_b8 v1, v5, s[8:9]
	s_wait_xcnt 0x0
	s_or_b32 exec_lo, exec_lo, s0
	s_delay_alu instid0(SALU_CYCLE_1)
	s_mov_b32 s0, exec_lo
	v_cmpx_gt_i32_e64 s12, v0
	s_cbranch_execz .LBB25_39
.LBB25_56:
	v_dual_lshrrev_b32 v1, 24, v5 :: v_dual_add_nc_u32 v5, s16, v0
	v_add_nc_u32_e32 v0, 0x100, v0
	global_store_b8 v5, v1, s[8:9]
	s_wait_xcnt 0x0
	s_or_b32 exec_lo, exec_lo, s0
	s_delay_alu instid0(SALU_CYCLE_1)
	s_mov_b32 s0, exec_lo
	v_cmpx_gt_i32_e64 s12, v0
	s_cbranch_execz .LBB25_40
.LBB25_57:
	v_add_nc_u32_e32 v1, s16, v0
	v_add_nc_u32_e32 v0, 0x100, v0
	global_store_b8 v1, v4, s[8:9]
	s_wait_xcnt 0x0
	s_or_b32 exec_lo, exec_lo, s0
	s_delay_alu instid0(SALU_CYCLE_1)
	s_mov_b32 s0, exec_lo
	v_cmpx_gt_i32_e64 s12, v0
	s_cbranch_execz .LBB25_41
.LBB25_58:
	v_lshrrev_b32_e32 v1, 8, v4
	v_add_nc_u32_e32 v5, s16, v0
	v_add_nc_u32_e32 v0, 0x100, v0
	global_store_b8 v5, v1, s[8:9]
	s_wait_xcnt 0x0
	s_or_b32 exec_lo, exec_lo, s0
	s_delay_alu instid0(SALU_CYCLE_1)
	s_mov_b32 s0, exec_lo
	v_cmpx_gt_i32_e64 s12, v0
	s_cbranch_execz .LBB25_42
.LBB25_59:
	v_add_nc_u32_e32 v1, s16, v0
	v_add_nc_u32_e32 v0, 0x100, v0
	global_store_d16_hi_b8 v1, v4, s[8:9]
	s_wait_xcnt 0x0
	s_or_b32 exec_lo, exec_lo, s0
	s_delay_alu instid0(SALU_CYCLE_1)
	s_mov_b32 s0, exec_lo
	v_cmpx_gt_i32_e64 s12, v0
	s_cbranch_execz .LBB25_43
.LBB25_60:
	v_lshrrev_b32_e32 v1, 24, v4
	v_add_nc_u32_e32 v4, s16, v0
	v_add_nc_u32_e32 v0, 0x100, v0
	global_store_b8 v4, v1, s[8:9]
	s_wait_xcnt 0x0
	s_or_b32 exec_lo, exec_lo, s0
	s_delay_alu instid0(SALU_CYCLE_1)
	s_mov_b32 s0, exec_lo
	v_cmpx_gt_i32_e64 s12, v0
	s_cbranch_execz .LBB25_44
.LBB25_61:
	v_add_nc_u32_e32 v1, s16, v0
	v_add_nc_u32_e32 v0, 0x100, v0
	global_store_b8 v1, v3, s[8:9]
	s_wait_xcnt 0x0
	s_or_b32 exec_lo, exec_lo, s0
	s_delay_alu instid0(SALU_CYCLE_1)
	s_mov_b32 s0, exec_lo
	v_cmpx_gt_i32_e64 s12, v0
	s_cbranch_execz .LBB25_45
.LBB25_62:
	v_dual_lshrrev_b32 v1, 8, v3 :: v_dual_add_nc_u32 v4, s16, v0
	v_add_nc_u32_e32 v0, 0x100, v0
	global_store_b8 v4, v1, s[8:9]
	s_wait_xcnt 0x0
	s_or_b32 exec_lo, exec_lo, s0
	s_delay_alu instid0(SALU_CYCLE_1)
	s_mov_b32 s0, exec_lo
	v_cmpx_gt_i32_e64 s12, v0
	s_cbranch_execz .LBB25_46
.LBB25_63:
	v_add_nc_u32_e32 v1, s16, v0
	v_add_nc_u32_e32 v0, 0x100, v0
	global_store_d16_hi_b8 v1, v3, s[8:9]
	s_wait_xcnt 0x0
	s_or_b32 exec_lo, exec_lo, s0
	s_delay_alu instid0(SALU_CYCLE_1)
	s_mov_b32 s0, exec_lo
	v_cmpx_gt_i32_e64 s12, v0
	s_cbranch_execz .LBB25_47
.LBB25_64:
	v_dual_lshrrev_b32 v1, 24, v3 :: v_dual_add_nc_u32 v3, s16, v0
	v_add_nc_u32_e32 v0, 0x100, v0
	global_store_b8 v3, v1, s[8:9]
	s_wait_xcnt 0x0
	s_or_b32 exec_lo, exec_lo, s0
	s_delay_alu instid0(SALU_CYCLE_1)
	s_mov_b32 s0, exec_lo
	v_cmpx_gt_i32_e64 s12, v0
	s_cbranch_execz .LBB25_48
.LBB25_65:
	v_add_nc_u32_e32 v1, s16, v0
	v_add_nc_u32_e32 v0, 0x100, v0
	global_store_b8 v1, v2, s[8:9]
	s_wait_xcnt 0x0
	s_or_b32 exec_lo, exec_lo, s0
	s_delay_alu instid0(SALU_CYCLE_1)
	s_mov_b32 s0, exec_lo
	v_cmpx_gt_i32_e64 s12, v0
	s_cbranch_execz .LBB25_49
.LBB25_66:
	v_dual_lshrrev_b32 v1, 8, v2 :: v_dual_add_nc_u32 v3, s16, v0
	v_add_nc_u32_e32 v0, 0x100, v0
	global_store_b8 v3, v1, s[8:9]
	s_wait_xcnt 0x0
	s_or_b32 exec_lo, exec_lo, s0
	s_delay_alu instid0(SALU_CYCLE_1)
	s_mov_b32 s0, exec_lo
	v_cmpx_gt_i32_e64 s12, v0
	s_cbranch_execz .LBB25_50
.LBB25_67:
	v_add_nc_u32_e32 v1, s16, v0
	v_add_nc_u32_e32 v0, 0x100, v0
	global_store_d16_hi_b8 v1, v2, s[8:9]
	s_wait_xcnt 0x0
	s_or_b32 exec_lo, exec_lo, s0
	s_delay_alu instid0(SALU_CYCLE_1)
	s_mov_b32 s0, exec_lo
	v_cmpx_gt_i32_e64 s12, v0
	s_cbranch_execnz .LBB25_51
	s_branch .LBB25_52
	.section	.rodata,"a",@progbits
	.p2align	6, 0x0
	.amdhsa_kernel _ZN2at6native29vectorized_elementwise_kernelILi8ENS0_13AUnaryFunctorIaabNS0_12_GLOBAL__N_116CompareEqFunctorIaEEEESt5arrayIPcLm2EEEEviT0_T1_
		.amdhsa_group_segment_fixed_size 0
		.amdhsa_private_segment_fixed_size 0
		.amdhsa_kernarg_size 32
		.amdhsa_user_sgpr_count 2
		.amdhsa_user_sgpr_dispatch_ptr 0
		.amdhsa_user_sgpr_queue_ptr 0
		.amdhsa_user_sgpr_kernarg_segment_ptr 1
		.amdhsa_user_sgpr_dispatch_id 0
		.amdhsa_user_sgpr_kernarg_preload_length 0
		.amdhsa_user_sgpr_kernarg_preload_offset 0
		.amdhsa_user_sgpr_private_segment_size 0
		.amdhsa_wavefront_size32 1
		.amdhsa_uses_dynamic_stack 0
		.amdhsa_enable_private_segment 0
		.amdhsa_system_sgpr_workgroup_id_x 1
		.amdhsa_system_sgpr_workgroup_id_y 0
		.amdhsa_system_sgpr_workgroup_id_z 0
		.amdhsa_system_sgpr_workgroup_info 0
		.amdhsa_system_vgpr_workitem_id 0
		.amdhsa_next_free_vgpr 21
		.amdhsa_next_free_sgpr 23
		.amdhsa_named_barrier_count 0
		.amdhsa_reserve_vcc 1
		.amdhsa_float_round_mode_32 0
		.amdhsa_float_round_mode_16_64 0
		.amdhsa_float_denorm_mode_32 3
		.amdhsa_float_denorm_mode_16_64 3
		.amdhsa_fp16_overflow 0
		.amdhsa_memory_ordered 1
		.amdhsa_forward_progress 1
		.amdhsa_inst_pref_size 38
		.amdhsa_round_robin_scheduling 0
		.amdhsa_exception_fp_ieee_invalid_op 0
		.amdhsa_exception_fp_denorm_src 0
		.amdhsa_exception_fp_ieee_div_zero 0
		.amdhsa_exception_fp_ieee_overflow 0
		.amdhsa_exception_fp_ieee_underflow 0
		.amdhsa_exception_fp_ieee_inexact 0
		.amdhsa_exception_int_div_zero 0
	.end_amdhsa_kernel
	.section	.text._ZN2at6native29vectorized_elementwise_kernelILi8ENS0_13AUnaryFunctorIaabNS0_12_GLOBAL__N_116CompareEqFunctorIaEEEESt5arrayIPcLm2EEEEviT0_T1_,"axG",@progbits,_ZN2at6native29vectorized_elementwise_kernelILi8ENS0_13AUnaryFunctorIaabNS0_12_GLOBAL__N_116CompareEqFunctorIaEEEESt5arrayIPcLm2EEEEviT0_T1_,comdat
.Lfunc_end25:
	.size	_ZN2at6native29vectorized_elementwise_kernelILi8ENS0_13AUnaryFunctorIaabNS0_12_GLOBAL__N_116CompareEqFunctorIaEEEESt5arrayIPcLm2EEEEviT0_T1_, .Lfunc_end25-_ZN2at6native29vectorized_elementwise_kernelILi8ENS0_13AUnaryFunctorIaabNS0_12_GLOBAL__N_116CompareEqFunctorIaEEEESt5arrayIPcLm2EEEEviT0_T1_
                                        ; -- End function
	.set _ZN2at6native29vectorized_elementwise_kernelILi8ENS0_13AUnaryFunctorIaabNS0_12_GLOBAL__N_116CompareEqFunctorIaEEEESt5arrayIPcLm2EEEEviT0_T1_.num_vgpr, 21
	.set _ZN2at6native29vectorized_elementwise_kernelILi8ENS0_13AUnaryFunctorIaabNS0_12_GLOBAL__N_116CompareEqFunctorIaEEEESt5arrayIPcLm2EEEEviT0_T1_.num_agpr, 0
	.set _ZN2at6native29vectorized_elementwise_kernelILi8ENS0_13AUnaryFunctorIaabNS0_12_GLOBAL__N_116CompareEqFunctorIaEEEESt5arrayIPcLm2EEEEviT0_T1_.numbered_sgpr, 23
	.set _ZN2at6native29vectorized_elementwise_kernelILi8ENS0_13AUnaryFunctorIaabNS0_12_GLOBAL__N_116CompareEqFunctorIaEEEESt5arrayIPcLm2EEEEviT0_T1_.num_named_barrier, 0
	.set _ZN2at6native29vectorized_elementwise_kernelILi8ENS0_13AUnaryFunctorIaabNS0_12_GLOBAL__N_116CompareEqFunctorIaEEEESt5arrayIPcLm2EEEEviT0_T1_.private_seg_size, 0
	.set _ZN2at6native29vectorized_elementwise_kernelILi8ENS0_13AUnaryFunctorIaabNS0_12_GLOBAL__N_116CompareEqFunctorIaEEEESt5arrayIPcLm2EEEEviT0_T1_.uses_vcc, 1
	.set _ZN2at6native29vectorized_elementwise_kernelILi8ENS0_13AUnaryFunctorIaabNS0_12_GLOBAL__N_116CompareEqFunctorIaEEEESt5arrayIPcLm2EEEEviT0_T1_.uses_flat_scratch, 0
	.set _ZN2at6native29vectorized_elementwise_kernelILi8ENS0_13AUnaryFunctorIaabNS0_12_GLOBAL__N_116CompareEqFunctorIaEEEESt5arrayIPcLm2EEEEviT0_T1_.has_dyn_sized_stack, 0
	.set _ZN2at6native29vectorized_elementwise_kernelILi8ENS0_13AUnaryFunctorIaabNS0_12_GLOBAL__N_116CompareEqFunctorIaEEEESt5arrayIPcLm2EEEEviT0_T1_.has_recursion, 0
	.set _ZN2at6native29vectorized_elementwise_kernelILi8ENS0_13AUnaryFunctorIaabNS0_12_GLOBAL__N_116CompareEqFunctorIaEEEESt5arrayIPcLm2EEEEviT0_T1_.has_indirect_call, 0
	.section	.AMDGPU.csdata,"",@progbits
; Kernel info:
; codeLenInByte = 4864
; TotalNumSgprs: 25
; NumVgprs: 21
; ScratchSize: 0
; MemoryBound: 0
; FloatMode: 240
; IeeeMode: 1
; LDSByteSize: 0 bytes/workgroup (compile time only)
; SGPRBlocks: 0
; VGPRBlocks: 1
; NumSGPRsForWavesPerEU: 25
; NumVGPRsForWavesPerEU: 21
; NamedBarCnt: 0
; Occupancy: 16
; WaveLimiterHint : 1
; COMPUTE_PGM_RSRC2:SCRATCH_EN: 0
; COMPUTE_PGM_RSRC2:USER_SGPR: 2
; COMPUTE_PGM_RSRC2:TRAP_HANDLER: 0
; COMPUTE_PGM_RSRC2:TGID_X_EN: 1
; COMPUTE_PGM_RSRC2:TGID_Y_EN: 0
; COMPUTE_PGM_RSRC2:TGID_Z_EN: 0
; COMPUTE_PGM_RSRC2:TIDIG_COMP_CNT: 0
	.section	.text._ZN2at6native29vectorized_elementwise_kernelILi4ENS0_13AUnaryFunctorIaabNS0_12_GLOBAL__N_116CompareEqFunctorIaEEEESt5arrayIPcLm2EEEEviT0_T1_,"axG",@progbits,_ZN2at6native29vectorized_elementwise_kernelILi4ENS0_13AUnaryFunctorIaabNS0_12_GLOBAL__N_116CompareEqFunctorIaEEEESt5arrayIPcLm2EEEEviT0_T1_,comdat
	.globl	_ZN2at6native29vectorized_elementwise_kernelILi4ENS0_13AUnaryFunctorIaabNS0_12_GLOBAL__N_116CompareEqFunctorIaEEEESt5arrayIPcLm2EEEEviT0_T1_ ; -- Begin function _ZN2at6native29vectorized_elementwise_kernelILi4ENS0_13AUnaryFunctorIaabNS0_12_GLOBAL__N_116CompareEqFunctorIaEEEESt5arrayIPcLm2EEEEviT0_T1_
	.p2align	8
	.type	_ZN2at6native29vectorized_elementwise_kernelILi4ENS0_13AUnaryFunctorIaabNS0_12_GLOBAL__N_116CompareEqFunctorIaEEEESt5arrayIPcLm2EEEEviT0_T1_,@function
_ZN2at6native29vectorized_elementwise_kernelILi4ENS0_13AUnaryFunctorIaabNS0_12_GLOBAL__N_116CompareEqFunctorIaEEEESt5arrayIPcLm2EEEEviT0_T1_: ; @_ZN2at6native29vectorized_elementwise_kernelILi4ENS0_13AUnaryFunctorIaabNS0_12_GLOBAL__N_116CompareEqFunctorIaEEEESt5arrayIPcLm2EEEEviT0_T1_
; %bb.0:
	s_clause 0x1
	s_load_b96 s[12:14], s[0:1], 0x0
	s_load_b128 s[8:11], s[0:1], 0x10
	s_wait_xcnt 0x0
	s_bfe_u32 s0, ttmp6, 0x4000c
	s_and_b32 s1, ttmp6, 15
	s_add_co_i32 s0, s0, 1
	s_getreg_b32 s2, hwreg(HW_REG_IB_STS2, 6, 4)
	s_mul_i32 s0, ttmp9, s0
	s_delay_alu instid0(SALU_CYCLE_1) | instskip(SKIP_2) | instid1(SALU_CYCLE_1)
	s_add_co_i32 s1, s1, s0
	s_cmp_eq_u32 s2, 0
	s_cselect_b32 s0, ttmp9, s1
	s_lshl_b32 s16, s0, 12
	s_mov_b32 s0, -1
	s_wait_kmcnt 0x0
	s_sub_co_i32 s12, s12, s16
	s_delay_alu instid0(SALU_CYCLE_1)
	s_cmp_gt_i32 s12, 0xfff
	s_cbranch_scc0 .LBB26_2
; %bb.1:
	s_ashr_i32 s17, s16, 31
	s_cmp_eq_u32 s13, 0
	s_add_nc_u64 s[0:1], s[10:11], s[16:17]
	s_cselect_b32 s15, -1, 0
	s_clause 0x3
	global_load_b32 v1, v0, s[0:1] scale_offset
	global_load_b32 v2, v0, s[0:1] offset:1024 scale_offset
	global_load_b32 v3, v0, s[0:1] offset:2048 scale_offset
	;; [unrolled: 1-line block ×3, first 2 shown]
	s_and_b32 s18, s14, 0xff
	s_wait_loadcnt 0x3
	v_and_b32_e32 v5, 0xff, v1
	v_dual_lshrrev_b32 v6, 8, v1 :: v_dual_lshrrev_b32 v7, 16, v1
	s_wait_loadcnt 0x2
	v_dual_lshrrev_b32 v1, 24, v1 :: v_dual_lshrrev_b32 v9, 8, v2
	v_and_b32_e32 v8, 0xff, v2
	v_dual_lshrrev_b32 v10, 16, v2 :: v_dual_lshrrev_b32 v2, 24, v2
	s_wait_xcnt 0x0
	s_delay_alu instid0(VALU_DEP_3)
	v_cmp_ne_u16_e64 s0, s18, v1
	s_wait_loadcnt 0x1
	v_and_b32_e32 v11, 0xff, v3
	v_cmp_ne_u16_e32 vcc_lo, s18, v5
	v_and_b32_e32 v5, 0xff, v6
	v_cmp_ne_u16_e64 s1, s18, v8
	v_dual_lshrrev_b32 v12, 8, v3 :: v_dual_lshrrev_b32 v13, 16, v3
	s_wait_loadcnt 0x0
	v_dual_lshrrev_b32 v3, 24, v3 :: v_dual_lshrrev_b32 v15, 8, v4
	v_and_b32_e32 v14, 0xff, v4
	v_dual_lshrrev_b32 v16, 16, v4 :: v_dual_lshrrev_b32 v4, 24, v4
	v_and_b32_e32 v6, 0xff, v7
	v_and_b32_e32 v1, 0xff, v9
	v_cmp_ne_u16_e64 s2, s18, v2
	s_xor_b32 s0, s15, s0
	v_and_b32_e32 v7, 0xff, v10
	v_cmp_ne_u16_e64 s3, s18, v11
	s_xor_b32 s7, s15, vcc_lo
	v_cmp_ne_u16_e32 vcc_lo, s18, v5
	v_cndmask_b32_e64 v5, 0, 1, s0
	s_xor_b32 s0, s15, s1
	v_and_b32_e32 v2, 0xff, v12
	v_cmp_ne_u16_e64 s4, s18, v3
	v_cmp_ne_u16_e64 s6, s18, v4
	v_cndmask_b32_e64 v4, 0, 1, s7
	v_cmp_ne_u16_e64 s7, s18, v6
	v_cndmask_b32_e64 v6, 0, 1, s0
	v_cmp_ne_u16_e64 s0, s18, v1
	s_xor_b32 s2, s15, s2
	v_and_b32_e32 v8, 0xff, v13
	v_cmp_ne_u16_e64 s5, s18, v14
	v_cmp_ne_u16_e64 s1, s18, v7
	v_cndmask_b32_e64 v1, 0, 1, s2
	s_xor_b32 s2, s15, s3
	v_and_b32_e32 v3, 0xff, v15
	v_cndmask_b32_e64 v7, 0, 1, s2
	v_cmp_ne_u16_e64 s2, s18, v2
	s_xor_b32 s4, s15, s4
	s_xor_b32 s0, s15, s0
	v_cmp_ne_u16_e64 s3, s18, v8
	v_cndmask_b32_e64 v2, 0, 1, s4
	s_xor_b32 s4, s15, s5
	v_and_b32_e32 v9, 0xff, v16
	v_cndmask_b32_e64 v11, 0, 1, s0
	s_xor_b32 s0, s15, s1
	v_cndmask_b32_e64 v8, 0, 1, s4
	v_cmp_ne_u16_e64 s4, s18, v3
	s_xor_b32 s6, s15, s6
	v_cndmask_b32_e64 v12, 0, 1, s0
	s_xor_b32 s0, s15, s2
	v_cndmask_b32_e64 v3, 0, 1, s6
	s_xor_b32 s6, s15, vcc_lo
	v_cndmask_b32_e64 v13, 0, 1, s0
	s_xor_b32 s0, s15, s3
	v_cmp_ne_u16_e64 s5, s18, v9
	v_cndmask_b32_e64 v9, 0, 1, s6
	v_cndmask_b32_e64 v14, 0, 1, s0
	s_xor_b32 s0, s15, s4
	s_xor_b32 s6, s15, s7
	v_cndmask_b32_e64 v15, 0, 1, s0
	v_cndmask_b32_e64 v10, 0, 1, s6
	v_lshlrev_b16 v5, 8, v5
	v_lshlrev_b16 v9, 8, v9
	s_xor_b32 s0, s15, s5
	v_lshlrev_b16 v1, 8, v1
	v_lshlrev_b16 v11, 8, v11
	;; [unrolled: 1-line block ×4, first 2 shown]
	v_cndmask_b32_e64 v16, 0, 1, s0
	v_lshlrev_b16 v3, 8, v3
	v_lshlrev_b16 v15, 8, v15
	v_or_b32_e32 v5, v10, v5
	v_or_b32_e32 v4, v4, v9
	;; [unrolled: 1-line block ×7, first 2 shown]
	v_dual_lshlrev_b32 v1, 16, v1 :: v_dual_bitop2_b32 v8, v8, v15 bitop3:0x54
	v_lshlrev_b32_e32 v5, 16, v5
	v_and_b32_e32 v4, 0xffff, v4
	v_and_b32_e32 v6, 0xffff, v6
	v_lshlrev_b32_e32 v2, 16, v2
	v_and_b32_e32 v7, 0xffff, v7
	v_lshlrev_b32_e32 v3, 16, v3
	v_and_b32_e32 v8, 0xffff, v8
	v_or_b32_e32 v4, v4, v5
	v_or_b32_e32 v1, v6, v1
	v_or_b32_e32 v2, v7, v2
	s_add_nc_u64 s[2:3], s[8:9], s[16:17]
	v_or_b32_e32 v3, v8, v3
	s_mov_b32 s0, 0
	s_clause 0x3
	global_store_b32 v0, v4, s[2:3] scale_offset
	global_store_b32 v0, v1, s[2:3] offset:1024 scale_offset
	global_store_b32 v0, v2, s[2:3] offset:2048 scale_offset
	;; [unrolled: 1-line block ×3, first 2 shown]
.LBB26_2:
	s_and_not1_b32 vcc_lo, exec_lo, s0
	s_cbranch_vccnz .LBB26_52
; %bb.3:
	v_cmp_gt_i32_e32 vcc_lo, s12, v0
	s_wait_xcnt 0x2
	v_or_b32_e32 v1, 0x100, v0
	v_dual_mov_b32 v10, 0 :: v_dual_bitop2_b32 v6, s16, v0 bitop3:0x54
	v_dual_mov_b32 v14, 0 :: v_dual_mov_b32 v18, 0
	v_dual_mov_b32 v16, 0 :: v_dual_mov_b32 v7, 0
	;; [unrolled: 1-line block ×6, first 2 shown]
	s_wait_xcnt 0x0
	v_dual_mov_b32 v3, 0 :: v_dual_mov_b32 v13, 0
	v_mov_b32_e32 v15, 0
	s_and_saveexec_b32 s1, vcc_lo
	s_cbranch_execz .LBB26_35
; %bb.4:
	global_load_u8 v15, v6, s[10:11]
	v_dual_mov_b32 v13, 0 :: v_dual_mov_b32 v3, 0
	v_dual_mov_b32 v4, 0 :: v_dual_mov_b32 v20, 0
	;; [unrolled: 1-line block ×7, first 2 shown]
	v_mov_b32_e32 v10, 0
	s_mov_b32 s2, exec_lo
	s_wait_xcnt 0x0
	v_cmpx_gt_u32_e64 s12, v1
	s_cbranch_execz .LBB26_34
; %bb.5:
	v_dual_mov_b32 v3, 0 :: v_dual_add_nc_u32 v2, s16, v0
	v_or_b32_e32 v4, 0x200, v0
	v_dual_mov_b32 v19, 0 :: v_dual_mov_b32 v17, 0
	global_load_u8 v13, v2, s[10:11] offset:256
	v_mov_b32_e32 v20, 0
	v_cmp_gt_u32_e64 s0, s12, v4
	v_dual_mov_b32 v4, 0 :: v_dual_mov_b32 v12, 0
	v_dual_mov_b32 v11, 0 :: v_dual_mov_b32 v9, 0
	v_dual_mov_b32 v8, 0 :: v_dual_mov_b32 v7, 0
	v_dual_mov_b32 v16, 0 :: v_dual_mov_b32 v18, 0
	v_dual_mov_b32 v14, 0 :: v_dual_mov_b32 v10, 0
	s_wait_xcnt 0x0
	s_and_saveexec_b32 s3, s0
	s_cbranch_execz .LBB26_33
; %bb.6:
	v_add_nc_u64_e32 v[4:5], s[10:11], v[2:3]
	v_or_b32_e32 v7, 0x300, v0
	v_dual_mov_b32 v20, 0 :: v_dual_mov_b32 v19, 0
	v_dual_mov_b32 v17, 0 :: v_dual_mov_b32 v12, 0
	s_delay_alu instid0(VALU_DEP_3)
	v_cmp_gt_u32_e64 s0, s12, v7
	global_load_u8 v2, v[4:5], off offset:512
	v_dual_mov_b32 v11, 0 :: v_dual_mov_b32 v9, 0
	v_dual_mov_b32 v8, 0 :: v_dual_mov_b32 v7, 0
	;; [unrolled: 1-line block ×4, first 2 shown]
	s_wait_xcnt 0x0
	s_and_saveexec_b32 s4, s0
	s_cbranch_execz .LBB26_32
; %bb.7:
	global_load_u8 v3, v[4:5], off offset:768
	v_or_b32_e32 v7, 0x400, v0
	v_dual_mov_b32 v20, 0 :: v_dual_mov_b32 v19, 0
	v_dual_mov_b32 v17, 0 :: v_dual_mov_b32 v12, 0
	s_delay_alu instid0(VALU_DEP_3)
	v_cmp_gt_u32_e64 s0, s12, v7
	v_dual_mov_b32 v11, 0 :: v_dual_mov_b32 v9, 0
	v_dual_mov_b32 v8, 0 :: v_dual_mov_b32 v7, 0
	;; [unrolled: 1-line block ×4, first 2 shown]
	s_wait_xcnt 0x0
	s_and_saveexec_b32 s5, s0
	s_cbranch_execz .LBB26_31
; %bb.8:
	global_load_u8 v20, v[4:5], off offset:1024
	v_or_b32_e32 v7, 0x500, v0
	v_dual_mov_b32 v19, 0 :: v_dual_mov_b32 v17, 0
	v_dual_mov_b32 v12, 0 :: v_dual_mov_b32 v11, 0
	s_delay_alu instid0(VALU_DEP_3)
	v_cmp_gt_u32_e64 s0, s12, v7
	v_dual_mov_b32 v9, 0 :: v_dual_mov_b32 v8, 0
	v_dual_mov_b32 v7, 0 :: v_dual_mov_b32 v16, 0
	;; [unrolled: 1-line block ×3, first 2 shown]
	v_mov_b32_e32 v10, 0
	s_wait_xcnt 0x0
	s_and_saveexec_b32 s6, s0
	s_cbranch_execz .LBB26_30
; %bb.9:
	global_load_u8 v19, v[4:5], off offset:1280
	v_or_b32_e32 v7, 0x600, v0
	v_dual_mov_b32 v17, 0 :: v_dual_mov_b32 v12, 0
	v_dual_mov_b32 v11, 0 :: v_dual_mov_b32 v9, 0
	s_delay_alu instid0(VALU_DEP_3)
	v_cmp_gt_u32_e64 s0, s12, v7
	v_dual_mov_b32 v8, 0 :: v_dual_mov_b32 v7, 0
	v_dual_mov_b32 v16, 0 :: v_dual_mov_b32 v18, 0
	v_dual_mov_b32 v14, 0 :: v_dual_mov_b32 v10, 0
	s_wait_xcnt 0x0
	s_and_saveexec_b32 s7, s0
	s_cbranch_execz .LBB26_29
; %bb.10:
	global_load_u8 v17, v[4:5], off offset:1536
	v_or_b32_e32 v7, 0x700, v0
	v_dual_mov_b32 v12, 0 :: v_dual_mov_b32 v11, 0
	v_dual_mov_b32 v9, 0 :: v_dual_mov_b32 v8, 0
	s_delay_alu instid0(VALU_DEP_3)
	v_cmp_gt_u32_e64 s0, s12, v7
	v_dual_mov_b32 v7, 0 :: v_dual_mov_b32 v16, 0
	v_dual_mov_b32 v18, 0 :: v_dual_mov_b32 v14, 0
	v_mov_b32_e32 v10, 0
	s_wait_xcnt 0x0
	s_and_saveexec_b32 s10, s0
	s_cbranch_execz .LBB26_28
; %bb.11:
	global_load_u8 v12, v[4:5], off offset:1792
	v_or_b32_e32 v7, 0x800, v0
	v_dual_mov_b32 v11, 0 :: v_dual_mov_b32 v9, 0
	v_dual_mov_b32 v8, 0 :: v_dual_mov_b32 v16, 0
	v_mov_b32_e32 v18, 0
	s_delay_alu instid0(VALU_DEP_4)
	v_cmp_gt_u32_e64 s0, s12, v7
	v_dual_mov_b32 v7, 0 :: v_dual_mov_b32 v14, 0
	v_mov_b32_e32 v10, 0
	s_wait_xcnt 0x0
	s_and_saveexec_b32 s11, s0
	s_cbranch_execz .LBB26_27
; %bb.12:
	global_load_u8 v11, v[4:5], off offset:2048
	v_or_b32_e32 v7, 0x900, v0
	v_dual_mov_b32 v9, 0 :: v_dual_mov_b32 v8, 0
	v_dual_mov_b32 v18, 0 :: v_dual_mov_b32 v14, 0
	s_delay_alu instid0(VALU_DEP_3)
	v_cmp_gt_u32_e64 s0, s12, v7
	v_dual_mov_b32 v7, 0 :: v_dual_mov_b32 v16, 0
	v_mov_b32_e32 v10, 0
	s_wait_xcnt 0x0
	s_and_saveexec_b32 s15, s0
	s_cbranch_execz .LBB26_26
; %bb.13:
	global_load_u8 v9, v[4:5], off offset:2304
	v_or_b32_e32 v7, 0xa00, v0
	v_dual_mov_b32 v8, 0 :: v_dual_mov_b32 v16, 0
	v_dual_mov_b32 v18, 0 :: v_dual_mov_b32 v14, 0
	v_mov_b32_e32 v10, 0
	s_delay_alu instid0(VALU_DEP_4)
	v_cmp_gt_u32_e64 s0, s12, v7
	v_mov_b32_e32 v7, 0
	s_wait_xcnt 0x0
	s_and_saveexec_b32 s17, s0
	s_cbranch_execz .LBB26_25
; %bb.14:
	global_load_u8 v8, v[4:5], off offset:2560
	v_or_b32_e32 v7, 0xb00, v0
	v_dual_mov_b32 v18, 0 :: v_dual_mov_b32 v14, 0
	v_dual_mov_b32 v10, 0 :: v_dual_mov_b32 v16, 0
	s_delay_alu instid0(VALU_DEP_3)
	v_cmp_gt_u32_e64 s0, s12, v7
	v_mov_b32_e32 v7, 0
	s_wait_xcnt 0x0
	s_and_saveexec_b32 s18, s0
	s_cbranch_execz .LBB26_24
; %bb.15:
	global_load_u8 v7, v[4:5], off offset:2816
	v_or_b32_e32 v10, 0xc00, v0
	v_dual_mov_b32 v16, 0 :: v_dual_mov_b32 v18, 0
	v_mov_b32_e32 v14, 0
	s_delay_alu instid0(VALU_DEP_3)
	v_cmp_gt_u32_e64 s0, s12, v10
	v_mov_b32_e32 v10, 0
	s_wait_xcnt 0x0
	s_and_saveexec_b32 s19, s0
	s_cbranch_execz .LBB26_23
; %bb.16:
	global_load_u8 v16, v[4:5], off offset:3072
	v_or_b32_e32 v10, 0xd00, v0
	v_dual_mov_b32 v18, 0 :: v_dual_mov_b32 v14, 0
	s_delay_alu instid0(VALU_DEP_2)
	v_cmp_gt_u32_e64 s0, s12, v10
	v_mov_b32_e32 v10, 0
	s_wait_xcnt 0x0
	s_and_saveexec_b32 s20, s0
	s_cbranch_execz .LBB26_22
; %bb.17:
	global_load_u8 v18, v[4:5], off offset:3328
	v_or_b32_e32 v10, 0xe00, v0
	v_mov_b32_e32 v14, 0
	s_delay_alu instid0(VALU_DEP_2)
	v_cmp_gt_u32_e64 s0, s12, v10
	v_mov_b32_e32 v10, 0
	s_wait_xcnt 0x0
	s_and_saveexec_b32 s21, s0
	s_cbranch_execz .LBB26_21
; %bb.18:
	global_load_u8 v14, v[4:5], off offset:3584
	v_or_b32_e32 v10, 0xf00, v0
	s_delay_alu instid0(VALU_DEP_1)
	v_cmp_gt_u32_e64 s0, s12, v10
	v_mov_b32_e32 v10, 0
	s_wait_xcnt 0x0
	s_and_saveexec_b32 s22, s0
	s_cbranch_execz .LBB26_20
; %bb.19:
	global_load_u8 v10, v[4:5], off offset:3840
.LBB26_20:
	s_wait_xcnt 0x0
	s_or_b32 exec_lo, exec_lo, s22
.LBB26_21:
	s_delay_alu instid0(SALU_CYCLE_1)
	s_or_b32 exec_lo, exec_lo, s21
.LBB26_22:
	s_delay_alu instid0(SALU_CYCLE_1)
	s_or_b32 exec_lo, exec_lo, s20
.LBB26_23:
	s_delay_alu instid0(SALU_CYCLE_1)
	s_or_b32 exec_lo, exec_lo, s19
.LBB26_24:
	s_delay_alu instid0(SALU_CYCLE_1)
	s_or_b32 exec_lo, exec_lo, s18
.LBB26_25:
	s_delay_alu instid0(SALU_CYCLE_1)
	s_or_b32 exec_lo, exec_lo, s17
.LBB26_26:
	s_delay_alu instid0(SALU_CYCLE_1)
	s_or_b32 exec_lo, exec_lo, s15
.LBB26_27:
	s_delay_alu instid0(SALU_CYCLE_1)
	s_or_b32 exec_lo, exec_lo, s11
.LBB26_28:
	s_delay_alu instid0(SALU_CYCLE_1)
	s_or_b32 exec_lo, exec_lo, s10
.LBB26_29:
	s_delay_alu instid0(SALU_CYCLE_1)
	s_or_b32 exec_lo, exec_lo, s7
.LBB26_30:
	s_delay_alu instid0(SALU_CYCLE_1)
	s_or_b32 exec_lo, exec_lo, s6
.LBB26_31:
	s_delay_alu instid0(SALU_CYCLE_1)
	s_or_b32 exec_lo, exec_lo, s5
.LBB26_32:
	s_delay_alu instid0(SALU_CYCLE_1)
	s_or_b32 exec_lo, exec_lo, s4
	s_wait_loadcnt 0x0
	v_dual_mov_b32 v4, v3 :: v_dual_mov_b32 v3, v2
.LBB26_33:
	s_or_b32 exec_lo, exec_lo, s3
.LBB26_34:
	s_delay_alu instid0(SALU_CYCLE_1)
	s_or_b32 exec_lo, exec_lo, s2
.LBB26_35:
	s_delay_alu instid0(SALU_CYCLE_1)
	s_or_b32 exec_lo, exec_lo, s1
	v_and_b32_e32 v2, 0xff, v20
	s_cmp_eq_u32 s13, 0
	v_and_b32_e32 v5, 0xff, v19
	s_cselect_b32 s4, -1, 0
	s_and_b32 s5, s14, 0xff
	s_wait_loadcnt 0x0
	v_and_b32_e32 v13, 0xff, v13
	v_cmp_ne_u16_e64 s0, s5, v2
	v_and_b32_e32 v2, 0xff, v15
	v_and_b32_e32 v3, 0xff, v3
	;; [unrolled: 1-line block ×3, first 2 shown]
	v_cmp_ne_u16_e64 s2, s5, v13
	s_xor_b32 s0, s4, s0
	v_cmp_ne_u16_e64 s1, s5, v2
	v_cndmask_b32_e64 v15, 0, 1, s0
	v_cmp_ne_u16_e64 s0, s5, v5
	v_or_b32_e32 v5, 0x400, v0
	v_and_b32_e32 v4, 0xff, v4
	v_and_b32_e32 v12, 0xff, v12
	v_bitop3_b16 v2, v15, 0, 0xff00 bitop3:0xf8
	s_xor_b32 s0, s4, s0
	v_and_b32_e32 v16, 0xff, v16
	v_cndmask_b32_e64 v13, 0, 1, s0
	s_xor_b32 s0, s4, s1
	v_and_b32_e32 v2, 0xffff, v2
	v_cndmask_b32_e64 v15, 0, 1, s0
	s_xor_b32 s0, s4, s2
	v_lshlrev_b16 v13, 8, v13
	v_cndmask_b32_e64 v19, 0, 1, s0
	v_cmp_gt_i32_e64 s0, s12, v5
	v_cndmask_b32_e32 v5, 0, v15, vcc_lo
	v_cmp_ne_u16_e64 s1, s5, v17
	v_and_b32_e32 v9, 0xff, v9
	v_lshlrev_b16 v15, 8, v19
	v_cndmask_b32_e64 v2, 0, v2, s0
	v_cmp_ne_u16_e64 s0, s5, v3
	v_or_b32_e32 v3, 0x500, v0
	v_cmp_ne_u16_e64 s3, s5, v9
	v_and_b32_e32 v11, 0xff, v11
	v_bitop3_b16 v13, v2, v13, 0xff bitop3:0xec
	s_xor_b32 s0, s4, s0
	v_and_b32_e32 v8, 0xff, v8
	v_cndmask_b32_e64 v17, 0, 1, s0
	v_cmp_gt_i32_e64 s0, s12, v3
	v_and_b32_e32 v13, 0xffff, v13
	v_or_b32_e32 v15, v5, v15
	v_and_b32_e32 v14, 0xff, v14
	v_and_b32_e32 v7, 0xff, v7
	;; [unrolled: 1-line block ×3, first 2 shown]
	v_cndmask_b32_e64 v2, v2, v13, s0
	s_xor_b32 s0, s4, s1
	v_and_b32_e32 v15, 0xffff, v15
	v_cndmask_b32_e64 v3, 0, 1, s0
	v_cmp_gt_i32_e64 s0, s12, v1
	s_delay_alu instid0(VALU_DEP_1) | instskip(SKIP_2) | instid1(VALU_DEP_3)
	v_dual_lshrrev_b32 v13, 16, v2 :: v_dual_cndmask_b32 v5, v5, v15, s0
	v_cmp_ne_u16_e64 s0, s5, v4
	v_or_b32_e32 v4, 0x200, v0
	v_bitop3_b16 v3, v3, v13, 0xff00 bitop3:0xf8
	s_delay_alu instid0(VALU_DEP_4) | instskip(SKIP_4) | instid1(VALU_DEP_2)
	v_lshl_or_b32 v15, v17, 16, v5
	s_xor_b32 s0, s4, s0
	v_or_b32_e32 v17, 0xd00, v0
	v_cndmask_b32_e64 v13, 0, 1, s0
	v_cmp_gt_i32_e64 s0, s12, v4
	v_lshlrev_b16 v13, 8, v13
	s_delay_alu instid0(VALU_DEP_2) | instskip(SKIP_2) | instid1(VALU_DEP_3)
	v_cndmask_b32_e64 v4, v5, v15, s0
	v_cmp_ne_u16_e64 s0, s5, v12
	v_or_b32_e32 v5, 0x600, v0
	v_dual_lshlrev_b32 v3, 16, v3 :: v_dual_lshrrev_b32 v15, 16, v4
	s_xor_b32 s0, s4, s0
	s_delay_alu instid0(VALU_DEP_2)
	v_cmp_gt_i32_e64 s1, s12, v5
	v_cndmask_b32_e64 v5, 0, 1, s0
	v_cmp_ne_u16_e64 s0, s5, v16
	v_and_or_b32 v3, 0xffff, v2, v3
	v_bitop3_b16 v12, v15, v13, 0xff bitop3:0xec
	v_or_b32_e32 v15, 0x800, v0
	v_lshlrev_b16 v5, 8, v5
	s_xor_b32 s0, s4, s0
	s_delay_alu instid0(SALU_CYCLE_1) | instskip(SKIP_4) | instid1(VALU_DEP_3)
	v_cndmask_b32_e64 v9, 0, 1, s0
	v_cndmask_b32_e64 v2, v2, v3, s1
	v_and_b32_e32 v3, 0xff, v18
	v_cmp_ne_u16_e64 s1, s5, v11
	v_lshlrev_b32_e32 v12, 16, v12
	v_cmp_ne_u16_e64 s2, s5, v3
	v_or_b32_e32 v3, 0xc00, v0
	s_delay_alu instid0(VALU_DEP_3) | instskip(SKIP_1) | instid1(SALU_CYCLE_1)
	v_and_or_b32 v12, 0xffff, v4, v12
	s_xor_b32 s0, s4, s2
	v_cndmask_b32_e64 v11, 0, 1, s0
	s_xor_b32 s0, s4, s1
	v_cmp_gt_i32_e64 s1, s12, v17
	v_cndmask_b32_e64 v16, 0, 1, s0
	v_cmp_gt_i32_e64 s0, s12, v3
	s_delay_alu instid0(VALU_DEP_1) | instskip(SKIP_2) | instid1(SALU_CYCLE_1)
	v_cndmask_b32_e64 v3, 0, v9, s0
	v_lshlrev_b16 v9, 8, v11
	s_xor_b32 s0, s4, s3
	v_cndmask_b32_e64 v11, 0, 1, s0
	v_cmp_gt_i32_e64 s0, s12, v15
	s_delay_alu instid0(VALU_DEP_3) | instskip(SKIP_1) | instid1(VALU_DEP_4)
	v_bitop3_b16 v9, v3, v9, 0xff bitop3:0xec
	v_lshrrev_b32_e32 v13, 16, v2
	v_lshlrev_b16 v11, 8, v11
	s_delay_alu instid0(VALU_DEP_4) | instskip(NEXT) | instid1(VALU_DEP_4)
	v_cndmask_b32_e64 v15, 0, v16, s0
	v_and_b32_e32 v9, 0xffff, v9
	v_cmp_ne_u16_e64 s0, s5, v8
	v_or_b32_e32 v16, 0x900, v0
	v_bitop3_b16 v5, v13, v5, 0xff bitop3:0xec
	v_or_b32_e32 v13, 0x300, v0
	v_cndmask_b32_e64 v3, v3, v9, s1
	v_cmp_ne_u16_e64 s1, s5, v14
	s_xor_b32 s0, s4, s0
	s_delay_alu instid0(SALU_CYCLE_1) | instskip(SKIP_1) | instid1(SALU_CYCLE_1)
	v_cndmask_b32_e64 v9, 0, 1, s0
	s_xor_b32 s0, s4, s1
	v_cndmask_b32_e64 v14, 0, 1, s0
	v_cmp_gt_i32_e64 s0, s12, v16
	s_delay_alu instid0(VALU_DEP_3) | instskip(NEXT) | instid1(VALU_DEP_1)
	v_dual_lshlrev_b32 v9, 16, v9 :: v_dual_bitop2_b32 v11, v15, v11 bitop3:0x54
	v_and_b32_e32 v8, 0xffff, v11
	s_delay_alu instid0(VALU_DEP_1) | instskip(SKIP_1) | instid1(VALU_DEP_2)
	v_cndmask_b32_e64 v8, v15, v8, s0
	v_cmp_ne_u16_e64 s0, s5, v7
	v_and_or_b32 v9, 0x1ff, v8, v9
	v_lshrrev_b32_e32 v11, 16, v3
	s_xor_b32 s0, s4, s0
	s_delay_alu instid0(VALU_DEP_1) | instskip(SKIP_1) | instid1(VALU_DEP_1)
	v_bitop3_b16 v11, v14, v11, 0xff00 bitop3:0xf8
	v_or_b32_e32 v14, 0xa00, v0
	v_cmp_gt_i32_e64 s1, s12, v14
	s_delay_alu instid0(VALU_DEP_1) | instskip(SKIP_3) | instid1(VALU_DEP_3)
	v_dual_cndmask_b32 v8, v8, v9, s1 :: v_dual_lshlrev_b32 v7, 16, v11
	v_or_b32_e32 v9, 0xe00, v0
	v_cmp_ne_u16_e64 s1, s5, v10
	v_cndmask_b32_e64 v10, 0, 1, s0
	v_cmp_gt_i32_e64 s0, s12, v9
	v_lshrrev_b32_e32 v9, 16, v8
	v_and_or_b32 v7, 0xffff, v3, v7
	s_delay_alu instid0(VALU_DEP_4) | instskip(NEXT) | instid1(VALU_DEP_2)
	v_lshlrev_b16 v10, 8, v10
	v_cndmask_b32_e64 v7, v3, v7, s0
	s_xor_b32 s0, s4, s1
	s_delay_alu instid0(VALU_DEP_2)
	v_bitop3_b16 v9, v9, v10, 0xff bitop3:0xec
	v_cndmask_b32_e64 v3, 0, 1, s0
	v_lshlrev_b32_e32 v10, 16, v5
	v_cmp_gt_i32_e64 s0, s12, v13
	v_lshrrev_b32_e32 v11, 16, v7
	v_or_b32_e32 v13, 0xf00, v0
	v_lshlrev_b16 v3, 8, v3
	v_and_or_b32 v10, 0xffff, v2, v10
	v_cndmask_b32_e64 v5, v4, v12, s0
	s_delay_alu instid0(VALU_DEP_3) | instskip(SKIP_3) | instid1(VALU_DEP_4)
	v_bitop3_b16 v3, v11, v3, 0xff bitop3:0xec
	v_lshlrev_b32_e32 v4, 16, v9
	v_or_b32_e32 v9, 0x700, v0
	v_or_b32_e32 v11, 0xb00, v0
	v_lshlrev_b32_e32 v3, 16, v3
	s_delay_alu instid0(VALU_DEP_4) | instskip(NEXT) | instid1(VALU_DEP_4)
	v_and_or_b32 v12, 0xffff, v8, v4
	v_cmp_gt_i32_e64 s0, s12, v9
	s_delay_alu instid0(VALU_DEP_3) | instskip(NEXT) | instid1(VALU_DEP_2)
	v_and_or_b32 v14, 0xffff, v7, v3
	v_cndmask_b32_e64 v4, v2, v10, s0
	v_cmp_gt_i32_e64 s0, s12, v11
	s_delay_alu instid0(VALU_DEP_1) | instskip(SKIP_1) | instid1(VALU_DEP_1)
	v_cndmask_b32_e64 v3, v8, v12, s0
	v_cmp_gt_i32_e64 s0, s12, v13
	v_cndmask_b32_e64 v2, v7, v14, s0
	s_and_saveexec_b32 s0, vcc_lo
	s_cbranch_execnz .LBB26_53
; %bb.36:
	s_or_b32 exec_lo, exec_lo, s0
	s_delay_alu instid0(SALU_CYCLE_1)
	s_mov_b32 s0, exec_lo
	v_cmpx_gt_i32_e64 s12, v0
	s_cbranch_execnz .LBB26_54
.LBB26_37:
	s_or_b32 exec_lo, exec_lo, s0
	s_delay_alu instid0(SALU_CYCLE_1)
	s_mov_b32 s0, exec_lo
	v_cmpx_gt_i32_e64 s12, v0
	s_cbranch_execnz .LBB26_55
.LBB26_38:
	s_or_b32 exec_lo, exec_lo, s0
	s_delay_alu instid0(SALU_CYCLE_1)
	s_mov_b32 s0, exec_lo
	v_cmpx_gt_i32_e64 s12, v0
	s_cbranch_execnz .LBB26_56
.LBB26_39:
	s_or_b32 exec_lo, exec_lo, s0
	s_delay_alu instid0(SALU_CYCLE_1)
	s_mov_b32 s0, exec_lo
	v_cmpx_gt_i32_e64 s12, v0
	s_cbranch_execnz .LBB26_57
.LBB26_40:
	s_or_b32 exec_lo, exec_lo, s0
	s_delay_alu instid0(SALU_CYCLE_1)
	s_mov_b32 s0, exec_lo
	v_cmpx_gt_i32_e64 s12, v0
	s_cbranch_execnz .LBB26_58
.LBB26_41:
	s_or_b32 exec_lo, exec_lo, s0
	s_delay_alu instid0(SALU_CYCLE_1)
	s_mov_b32 s0, exec_lo
	v_cmpx_gt_i32_e64 s12, v0
	s_cbranch_execnz .LBB26_59
.LBB26_42:
	s_or_b32 exec_lo, exec_lo, s0
	s_delay_alu instid0(SALU_CYCLE_1)
	s_mov_b32 s0, exec_lo
	v_cmpx_gt_i32_e64 s12, v0
	s_cbranch_execnz .LBB26_60
.LBB26_43:
	s_or_b32 exec_lo, exec_lo, s0
	s_delay_alu instid0(SALU_CYCLE_1)
	s_mov_b32 s0, exec_lo
	v_cmpx_gt_i32_e64 s12, v0
	s_cbranch_execnz .LBB26_61
.LBB26_44:
	s_or_b32 exec_lo, exec_lo, s0
	s_delay_alu instid0(SALU_CYCLE_1)
	s_mov_b32 s0, exec_lo
	v_cmpx_gt_i32_e64 s12, v0
	s_cbranch_execnz .LBB26_62
.LBB26_45:
	s_or_b32 exec_lo, exec_lo, s0
	s_delay_alu instid0(SALU_CYCLE_1)
	s_mov_b32 s0, exec_lo
	v_cmpx_gt_i32_e64 s12, v0
	s_cbranch_execnz .LBB26_63
.LBB26_46:
	s_or_b32 exec_lo, exec_lo, s0
	s_delay_alu instid0(SALU_CYCLE_1)
	s_mov_b32 s0, exec_lo
	v_cmpx_gt_i32_e64 s12, v0
	s_cbranch_execnz .LBB26_64
.LBB26_47:
	s_or_b32 exec_lo, exec_lo, s0
	s_delay_alu instid0(SALU_CYCLE_1)
	s_mov_b32 s0, exec_lo
	v_cmpx_gt_i32_e64 s12, v0
	s_cbranch_execnz .LBB26_65
.LBB26_48:
	s_or_b32 exec_lo, exec_lo, s0
	s_delay_alu instid0(SALU_CYCLE_1)
	s_mov_b32 s0, exec_lo
	v_cmpx_gt_i32_e64 s12, v0
	s_cbranch_execnz .LBB26_66
.LBB26_49:
	s_or_b32 exec_lo, exec_lo, s0
	s_delay_alu instid0(SALU_CYCLE_1)
	s_mov_b32 s0, exec_lo
	v_cmpx_gt_i32_e64 s12, v0
	s_cbranch_execnz .LBB26_67
.LBB26_50:
	s_or_b32 exec_lo, exec_lo, s0
	s_delay_alu instid0(SALU_CYCLE_1)
	s_mov_b32 s0, exec_lo
	v_cmpx_gt_i32_e64 s12, v0
	s_cbranch_execz .LBB26_52
.LBB26_51:
	v_dual_lshrrev_b32 v1, 24, v2 :: v_dual_add_nc_u32 v0, s16, v0
	global_store_b8 v0, v1, s[8:9]
.LBB26_52:
	s_endpgm
.LBB26_53:
	v_mov_b32_e32 v0, v1
	global_store_b8 v6, v5, s[8:9]
	s_wait_xcnt 0x0
	s_or_b32 exec_lo, exec_lo, s0
	s_delay_alu instid0(SALU_CYCLE_1)
	s_mov_b32 s0, exec_lo
	v_cmpx_gt_i32_e64 s12, v0
	s_cbranch_execz .LBB26_37
.LBB26_54:
	v_dual_lshrrev_b32 v1, 8, v5 :: v_dual_add_nc_u32 v6, s16, v0
	v_add_nc_u32_e32 v0, 0x100, v0
	global_store_b8 v6, v1, s[8:9]
	s_wait_xcnt 0x0
	s_or_b32 exec_lo, exec_lo, s0
	s_delay_alu instid0(SALU_CYCLE_1)
	s_mov_b32 s0, exec_lo
	v_cmpx_gt_i32_e64 s12, v0
	s_cbranch_execz .LBB26_38
.LBB26_55:
	v_add_nc_u32_e32 v1, s16, v0
	v_add_nc_u32_e32 v0, 0x100, v0
	global_store_d16_hi_b8 v1, v5, s[8:9]
	s_wait_xcnt 0x0
	s_or_b32 exec_lo, exec_lo, s0
	s_delay_alu instid0(SALU_CYCLE_1)
	s_mov_b32 s0, exec_lo
	v_cmpx_gt_i32_e64 s12, v0
	s_cbranch_execz .LBB26_39
.LBB26_56:
	v_dual_lshrrev_b32 v1, 24, v5 :: v_dual_add_nc_u32 v5, s16, v0
	v_add_nc_u32_e32 v0, 0x100, v0
	global_store_b8 v5, v1, s[8:9]
	s_wait_xcnt 0x0
	s_or_b32 exec_lo, exec_lo, s0
	s_delay_alu instid0(SALU_CYCLE_1)
	s_mov_b32 s0, exec_lo
	v_cmpx_gt_i32_e64 s12, v0
	s_cbranch_execz .LBB26_40
.LBB26_57:
	v_add_nc_u32_e32 v1, s16, v0
	v_add_nc_u32_e32 v0, 0x100, v0
	global_store_b8 v1, v4, s[8:9]
	s_wait_xcnt 0x0
	s_or_b32 exec_lo, exec_lo, s0
	s_delay_alu instid0(SALU_CYCLE_1)
	s_mov_b32 s0, exec_lo
	v_cmpx_gt_i32_e64 s12, v0
	s_cbranch_execz .LBB26_41
.LBB26_58:
	v_lshrrev_b32_e32 v1, 8, v4
	v_add_nc_u32_e32 v5, s16, v0
	v_add_nc_u32_e32 v0, 0x100, v0
	global_store_b8 v5, v1, s[8:9]
	s_wait_xcnt 0x0
	s_or_b32 exec_lo, exec_lo, s0
	s_delay_alu instid0(SALU_CYCLE_1)
	s_mov_b32 s0, exec_lo
	v_cmpx_gt_i32_e64 s12, v0
	s_cbranch_execz .LBB26_42
.LBB26_59:
	v_add_nc_u32_e32 v1, s16, v0
	v_add_nc_u32_e32 v0, 0x100, v0
	global_store_d16_hi_b8 v1, v4, s[8:9]
	s_wait_xcnt 0x0
	s_or_b32 exec_lo, exec_lo, s0
	s_delay_alu instid0(SALU_CYCLE_1)
	s_mov_b32 s0, exec_lo
	v_cmpx_gt_i32_e64 s12, v0
	s_cbranch_execz .LBB26_43
.LBB26_60:
	v_lshrrev_b32_e32 v1, 24, v4
	v_add_nc_u32_e32 v4, s16, v0
	v_add_nc_u32_e32 v0, 0x100, v0
	global_store_b8 v4, v1, s[8:9]
	s_wait_xcnt 0x0
	s_or_b32 exec_lo, exec_lo, s0
	s_delay_alu instid0(SALU_CYCLE_1)
	s_mov_b32 s0, exec_lo
	v_cmpx_gt_i32_e64 s12, v0
	s_cbranch_execz .LBB26_44
.LBB26_61:
	v_add_nc_u32_e32 v1, s16, v0
	v_add_nc_u32_e32 v0, 0x100, v0
	global_store_b8 v1, v3, s[8:9]
	s_wait_xcnt 0x0
	s_or_b32 exec_lo, exec_lo, s0
	s_delay_alu instid0(SALU_CYCLE_1)
	s_mov_b32 s0, exec_lo
	v_cmpx_gt_i32_e64 s12, v0
	s_cbranch_execz .LBB26_45
.LBB26_62:
	v_dual_lshrrev_b32 v1, 8, v3 :: v_dual_add_nc_u32 v4, s16, v0
	v_add_nc_u32_e32 v0, 0x100, v0
	global_store_b8 v4, v1, s[8:9]
	s_wait_xcnt 0x0
	s_or_b32 exec_lo, exec_lo, s0
	s_delay_alu instid0(SALU_CYCLE_1)
	s_mov_b32 s0, exec_lo
	v_cmpx_gt_i32_e64 s12, v0
	s_cbranch_execz .LBB26_46
.LBB26_63:
	v_add_nc_u32_e32 v1, s16, v0
	v_add_nc_u32_e32 v0, 0x100, v0
	global_store_d16_hi_b8 v1, v3, s[8:9]
	s_wait_xcnt 0x0
	s_or_b32 exec_lo, exec_lo, s0
	s_delay_alu instid0(SALU_CYCLE_1)
	s_mov_b32 s0, exec_lo
	v_cmpx_gt_i32_e64 s12, v0
	s_cbranch_execz .LBB26_47
.LBB26_64:
	v_dual_lshrrev_b32 v1, 24, v3 :: v_dual_add_nc_u32 v3, s16, v0
	v_add_nc_u32_e32 v0, 0x100, v0
	global_store_b8 v3, v1, s[8:9]
	s_wait_xcnt 0x0
	s_or_b32 exec_lo, exec_lo, s0
	s_delay_alu instid0(SALU_CYCLE_1)
	s_mov_b32 s0, exec_lo
	v_cmpx_gt_i32_e64 s12, v0
	s_cbranch_execz .LBB26_48
.LBB26_65:
	v_add_nc_u32_e32 v1, s16, v0
	v_add_nc_u32_e32 v0, 0x100, v0
	global_store_b8 v1, v2, s[8:9]
	s_wait_xcnt 0x0
	s_or_b32 exec_lo, exec_lo, s0
	s_delay_alu instid0(SALU_CYCLE_1)
	s_mov_b32 s0, exec_lo
	v_cmpx_gt_i32_e64 s12, v0
	s_cbranch_execz .LBB26_49
.LBB26_66:
	v_dual_lshrrev_b32 v1, 8, v2 :: v_dual_add_nc_u32 v3, s16, v0
	v_add_nc_u32_e32 v0, 0x100, v0
	global_store_b8 v3, v1, s[8:9]
	s_wait_xcnt 0x0
	s_or_b32 exec_lo, exec_lo, s0
	s_delay_alu instid0(SALU_CYCLE_1)
	s_mov_b32 s0, exec_lo
	v_cmpx_gt_i32_e64 s12, v0
	s_cbranch_execz .LBB26_50
.LBB26_67:
	v_add_nc_u32_e32 v1, s16, v0
	v_add_nc_u32_e32 v0, 0x100, v0
	global_store_d16_hi_b8 v1, v2, s[8:9]
	s_wait_xcnt 0x0
	s_or_b32 exec_lo, exec_lo, s0
	s_delay_alu instid0(SALU_CYCLE_1)
	s_mov_b32 s0, exec_lo
	v_cmpx_gt_i32_e64 s12, v0
	s_cbranch_execnz .LBB26_51
	s_branch .LBB26_52
	.section	.rodata,"a",@progbits
	.p2align	6, 0x0
	.amdhsa_kernel _ZN2at6native29vectorized_elementwise_kernelILi4ENS0_13AUnaryFunctorIaabNS0_12_GLOBAL__N_116CompareEqFunctorIaEEEESt5arrayIPcLm2EEEEviT0_T1_
		.amdhsa_group_segment_fixed_size 0
		.amdhsa_private_segment_fixed_size 0
		.amdhsa_kernarg_size 32
		.amdhsa_user_sgpr_count 2
		.amdhsa_user_sgpr_dispatch_ptr 0
		.amdhsa_user_sgpr_queue_ptr 0
		.amdhsa_user_sgpr_kernarg_segment_ptr 1
		.amdhsa_user_sgpr_dispatch_id 0
		.amdhsa_user_sgpr_kernarg_preload_length 0
		.amdhsa_user_sgpr_kernarg_preload_offset 0
		.amdhsa_user_sgpr_private_segment_size 0
		.amdhsa_wavefront_size32 1
		.amdhsa_uses_dynamic_stack 0
		.amdhsa_enable_private_segment 0
		.amdhsa_system_sgpr_workgroup_id_x 1
		.amdhsa_system_sgpr_workgroup_id_y 0
		.amdhsa_system_sgpr_workgroup_id_z 0
		.amdhsa_system_sgpr_workgroup_info 0
		.amdhsa_system_vgpr_workitem_id 0
		.amdhsa_next_free_vgpr 21
		.amdhsa_next_free_sgpr 23
		.amdhsa_named_barrier_count 0
		.amdhsa_reserve_vcc 1
		.amdhsa_float_round_mode_32 0
		.amdhsa_float_round_mode_16_64 0
		.amdhsa_float_denorm_mode_32 3
		.amdhsa_float_denorm_mode_16_64 3
		.amdhsa_fp16_overflow 0
		.amdhsa_memory_ordered 1
		.amdhsa_forward_progress 1
		.amdhsa_inst_pref_size 39
		.amdhsa_round_robin_scheduling 0
		.amdhsa_exception_fp_ieee_invalid_op 0
		.amdhsa_exception_fp_denorm_src 0
		.amdhsa_exception_fp_ieee_div_zero 0
		.amdhsa_exception_fp_ieee_overflow 0
		.amdhsa_exception_fp_ieee_underflow 0
		.amdhsa_exception_fp_ieee_inexact 0
		.amdhsa_exception_int_div_zero 0
	.end_amdhsa_kernel
	.section	.text._ZN2at6native29vectorized_elementwise_kernelILi4ENS0_13AUnaryFunctorIaabNS0_12_GLOBAL__N_116CompareEqFunctorIaEEEESt5arrayIPcLm2EEEEviT0_T1_,"axG",@progbits,_ZN2at6native29vectorized_elementwise_kernelILi4ENS0_13AUnaryFunctorIaabNS0_12_GLOBAL__N_116CompareEqFunctorIaEEEESt5arrayIPcLm2EEEEviT0_T1_,comdat
.Lfunc_end26:
	.size	_ZN2at6native29vectorized_elementwise_kernelILi4ENS0_13AUnaryFunctorIaabNS0_12_GLOBAL__N_116CompareEqFunctorIaEEEESt5arrayIPcLm2EEEEviT0_T1_, .Lfunc_end26-_ZN2at6native29vectorized_elementwise_kernelILi4ENS0_13AUnaryFunctorIaabNS0_12_GLOBAL__N_116CompareEqFunctorIaEEEESt5arrayIPcLm2EEEEviT0_T1_
                                        ; -- End function
	.set _ZN2at6native29vectorized_elementwise_kernelILi4ENS0_13AUnaryFunctorIaabNS0_12_GLOBAL__N_116CompareEqFunctorIaEEEESt5arrayIPcLm2EEEEviT0_T1_.num_vgpr, 21
	.set _ZN2at6native29vectorized_elementwise_kernelILi4ENS0_13AUnaryFunctorIaabNS0_12_GLOBAL__N_116CompareEqFunctorIaEEEESt5arrayIPcLm2EEEEviT0_T1_.num_agpr, 0
	.set _ZN2at6native29vectorized_elementwise_kernelILi4ENS0_13AUnaryFunctorIaabNS0_12_GLOBAL__N_116CompareEqFunctorIaEEEESt5arrayIPcLm2EEEEviT0_T1_.numbered_sgpr, 23
	.set _ZN2at6native29vectorized_elementwise_kernelILi4ENS0_13AUnaryFunctorIaabNS0_12_GLOBAL__N_116CompareEqFunctorIaEEEESt5arrayIPcLm2EEEEviT0_T1_.num_named_barrier, 0
	.set _ZN2at6native29vectorized_elementwise_kernelILi4ENS0_13AUnaryFunctorIaabNS0_12_GLOBAL__N_116CompareEqFunctorIaEEEESt5arrayIPcLm2EEEEviT0_T1_.private_seg_size, 0
	.set _ZN2at6native29vectorized_elementwise_kernelILi4ENS0_13AUnaryFunctorIaabNS0_12_GLOBAL__N_116CompareEqFunctorIaEEEESt5arrayIPcLm2EEEEviT0_T1_.uses_vcc, 1
	.set _ZN2at6native29vectorized_elementwise_kernelILi4ENS0_13AUnaryFunctorIaabNS0_12_GLOBAL__N_116CompareEqFunctorIaEEEESt5arrayIPcLm2EEEEviT0_T1_.uses_flat_scratch, 0
	.set _ZN2at6native29vectorized_elementwise_kernelILi4ENS0_13AUnaryFunctorIaabNS0_12_GLOBAL__N_116CompareEqFunctorIaEEEESt5arrayIPcLm2EEEEviT0_T1_.has_dyn_sized_stack, 0
	.set _ZN2at6native29vectorized_elementwise_kernelILi4ENS0_13AUnaryFunctorIaabNS0_12_GLOBAL__N_116CompareEqFunctorIaEEEESt5arrayIPcLm2EEEEviT0_T1_.has_recursion, 0
	.set _ZN2at6native29vectorized_elementwise_kernelILi4ENS0_13AUnaryFunctorIaabNS0_12_GLOBAL__N_116CompareEqFunctorIaEEEESt5arrayIPcLm2EEEEviT0_T1_.has_indirect_call, 0
	.section	.AMDGPU.csdata,"",@progbits
; Kernel info:
; codeLenInByte = 4916
; TotalNumSgprs: 25
; NumVgprs: 21
; ScratchSize: 0
; MemoryBound: 0
; FloatMode: 240
; IeeeMode: 1
; LDSByteSize: 0 bytes/workgroup (compile time only)
; SGPRBlocks: 0
; VGPRBlocks: 1
; NumSGPRsForWavesPerEU: 25
; NumVGPRsForWavesPerEU: 21
; NamedBarCnt: 0
; Occupancy: 16
; WaveLimiterHint : 1
; COMPUTE_PGM_RSRC2:SCRATCH_EN: 0
; COMPUTE_PGM_RSRC2:USER_SGPR: 2
; COMPUTE_PGM_RSRC2:TRAP_HANDLER: 0
; COMPUTE_PGM_RSRC2:TGID_X_EN: 1
; COMPUTE_PGM_RSRC2:TGID_Y_EN: 0
; COMPUTE_PGM_RSRC2:TGID_Z_EN: 0
; COMPUTE_PGM_RSRC2:TIDIG_COMP_CNT: 0
	.section	.text._ZN2at6native29vectorized_elementwise_kernelILi2ENS0_13AUnaryFunctorIaabNS0_12_GLOBAL__N_116CompareEqFunctorIaEEEESt5arrayIPcLm2EEEEviT0_T1_,"axG",@progbits,_ZN2at6native29vectorized_elementwise_kernelILi2ENS0_13AUnaryFunctorIaabNS0_12_GLOBAL__N_116CompareEqFunctorIaEEEESt5arrayIPcLm2EEEEviT0_T1_,comdat
	.globl	_ZN2at6native29vectorized_elementwise_kernelILi2ENS0_13AUnaryFunctorIaabNS0_12_GLOBAL__N_116CompareEqFunctorIaEEEESt5arrayIPcLm2EEEEviT0_T1_ ; -- Begin function _ZN2at6native29vectorized_elementwise_kernelILi2ENS0_13AUnaryFunctorIaabNS0_12_GLOBAL__N_116CompareEqFunctorIaEEEESt5arrayIPcLm2EEEEviT0_T1_
	.p2align	8
	.type	_ZN2at6native29vectorized_elementwise_kernelILi2ENS0_13AUnaryFunctorIaabNS0_12_GLOBAL__N_116CompareEqFunctorIaEEEESt5arrayIPcLm2EEEEviT0_T1_,@function
_ZN2at6native29vectorized_elementwise_kernelILi2ENS0_13AUnaryFunctorIaabNS0_12_GLOBAL__N_116CompareEqFunctorIaEEEESt5arrayIPcLm2EEEEviT0_T1_: ; @_ZN2at6native29vectorized_elementwise_kernelILi2ENS0_13AUnaryFunctorIaabNS0_12_GLOBAL__N_116CompareEqFunctorIaEEEESt5arrayIPcLm2EEEEviT0_T1_
; %bb.0:
	s_clause 0x1
	s_load_b96 s[20:22], s[0:1], 0x0
	s_load_b128 s[16:19], s[0:1], 0x10
	s_wait_xcnt 0x0
	s_bfe_u32 s0, ttmp6, 0x4000c
	s_and_b32 s1, ttmp6, 15
	s_add_co_i32 s0, s0, 1
	s_getreg_b32 s2, hwreg(HW_REG_IB_STS2, 6, 4)
	s_mul_i32 s0, ttmp9, s0
	s_delay_alu instid0(SALU_CYCLE_1) | instskip(SKIP_2) | instid1(SALU_CYCLE_1)
	s_add_co_i32 s1, s1, s0
	s_cmp_eq_u32 s2, 0
	s_cselect_b32 s0, ttmp9, s1
	s_lshl_b32 s24, s0, 12
	s_wait_kmcnt 0x0
	s_sub_co_i32 s15, s20, s24
	s_mov_b32 s20, -1
	s_cmp_gt_i32 s15, 0xfff
	s_cbranch_scc0 .LBB27_2
; %bb.1:
	s_ashr_i32 s25, s24, 31
	s_cmp_eq_u32 s21, 0
	s_add_nc_u64 s[0:1], s[18:19], s[24:25]
	s_cselect_b32 s23, -1, 0
	s_clause 0x7
	global_load_u16 v1, v0, s[0:1] scale_offset
	global_load_u16 v2, v0, s[0:1] offset:512 scale_offset
	global_load_u16 v3, v0, s[0:1] offset:1024 scale_offset
	;; [unrolled: 1-line block ×7, first 2 shown]
	s_and_b32 s14, s22, 0xff
	s_add_nc_u64 s[26:27], s[16:17], s[24:25]
	s_mov_b32 s20, 0
	s_wait_loadcnt 0x7
	v_and_b32_e32 v9, 0xff, v1
	v_lshrrev_b16 v1, 8, v1
	s_wait_loadcnt 0x6
	v_and_b32_e32 v10, 0xff, v2
	v_lshrrev_b16 v2, 8, v2
	;; [unrolled: 3-line block ×3, first 2 shown]
	s_wait_xcnt 0x0
	v_cmp_ne_u16_e64 s0, s14, v1
	v_cmp_ne_u16_e64 s1, s14, v10
	;; [unrolled: 1-line block ×3, first 2 shown]
	s_wait_loadcnt 0x4
	v_and_b32_e32 v12, 0xff, v4
	v_lshrrev_b16 v4, 8, v4
	s_xor_b32 s0, s23, s0
	v_cmp_ne_u16_e64 s3, s14, v11
	v_cndmask_b32_e64 v2, 0, 1, s0
	s_xor_b32 s0, s23, s1
	s_wait_loadcnt 0x3
	v_and_b32_e32 v13, 0xff, v5
	v_lshrrev_b16 v5, 8, v5
	v_cmp_ne_u16_e64 s4, s14, v3
	v_cndmask_b32_e64 v3, 0, 1, s0
	s_xor_b32 s0, s23, s2
	s_wait_loadcnt 0x2
	v_and_b32_e32 v14, 0xff, v6
	v_lshrrev_b16 v6, 8, v6
	v_cmp_ne_u16_e64 s5, s14, v12
	v_cmp_ne_u16_e64 s6, s14, v4
	v_cndmask_b32_e64 v4, 0, 1, s0
	s_xor_b32 s0, s23, s3
	s_wait_loadcnt 0x1
	v_and_b32_e32 v15, 0xff, v7
	v_lshrrev_b16 v7, 8, v7
	v_cmp_ne_u16_e64 s8, s14, v5
	v_cndmask_b32_e64 v5, 0, 1, s0
	s_xor_b32 s0, s23, s4
	s_wait_loadcnt 0x0
	v_and_b32_e32 v16, 0xff, v8
	v_lshrrev_b16 v8, 8, v8
	v_cmp_ne_u16_e64 s7, s14, v13
	v_cmp_ne_u16_e64 s10, s14, v6
	v_cndmask_b32_e64 v6, 0, 1, s0
	s_xor_b32 s0, s23, s5
	v_cmp_ne_u16_e64 s12, s14, v7
	v_cndmask_b32_e64 v7, 0, 1, s0
	s_xor_b32 s0, s23, s6
	v_cmp_ne_u16_e64 s9, s14, v14
	v_cmp_ne_u16_e32 vcc_lo, s14, v9
	v_cmp_ne_u16_e64 s11, s14, v15
	v_cmp_ne_u16_e64 s13, s14, v16
	;; [unrolled: 1-line block ×3, first 2 shown]
	v_cndmask_b32_e64 v8, 0, 1, s0
	s_xor_b32 s0, s23, s7
	s_xor_b32 s25, s23, vcc_lo
	v_cndmask_b32_e64 v9, 0, 1, s0
	s_xor_b32 s0, s23, s8
	v_cndmask_b32_e64 v1, 0, 1, s25
	v_cndmask_b32_e64 v10, 0, 1, s0
	s_xor_b32 s0, s23, s9
	v_lshlrev_b16 v2, 8, v2
	v_cndmask_b32_e64 v11, 0, 1, s0
	s_xor_b32 s0, s23, s10
	v_lshlrev_b16 v4, 8, v4
	;; [unrolled: 3-line block ×6, first 2 shown]
	v_cndmask_b32_e64 v16, 0, 1, s0
	v_lshlrev_b16 v13, 8, v13
	v_lshlrev_b16 v12, 8, v12
	v_or_b32_e32 v1, v1, v2
	v_or_b32_e32 v2, v3, v4
	;; [unrolled: 1-line block ×8, first 2 shown]
	s_clause 0x7
	global_store_b16 v0, v1, s[26:27] scale_offset
	global_store_b16 v0, v2, s[26:27] offset:512 scale_offset
	global_store_b16 v0, v3, s[26:27] offset:1024 scale_offset
	;; [unrolled: 1-line block ×7, first 2 shown]
.LBB27_2:
	s_and_not1_b32 vcc_lo, exec_lo, s20
	s_cbranch_vccnz .LBB27_52
; %bb.3:
	v_cmp_gt_i32_e32 vcc_lo, s15, v0
	s_wait_xcnt 0x7
	v_or_b32_e32 v1, 0x100, v0
	v_dual_mov_b32 v10, 0 :: v_dual_bitop2_b32 v6, s24, v0 bitop3:0x54
	s_wait_xcnt 0x0
	v_dual_mov_b32 v14, 0 :: v_dual_mov_b32 v18, 0
	v_dual_mov_b32 v16, 0 :: v_dual_mov_b32 v7, 0
	;; [unrolled: 1-line block ×7, first 2 shown]
	v_mov_b32_e32 v15, 0
	s_and_saveexec_b32 s1, vcc_lo
	s_cbranch_execz .LBB27_35
; %bb.4:
	global_load_u8 v15, v6, s[18:19]
	v_dual_mov_b32 v13, 0 :: v_dual_mov_b32 v3, 0
	v_dual_mov_b32 v4, 0 :: v_dual_mov_b32 v20, 0
	;; [unrolled: 1-line block ×7, first 2 shown]
	v_mov_b32_e32 v10, 0
	s_mov_b32 s2, exec_lo
	s_wait_xcnt 0x0
	v_cmpx_gt_u32_e64 s15, v1
	s_cbranch_execz .LBB27_34
; %bb.5:
	v_dual_mov_b32 v3, 0 :: v_dual_add_nc_u32 v2, s24, v0
	v_or_b32_e32 v4, 0x200, v0
	v_dual_mov_b32 v19, 0 :: v_dual_mov_b32 v17, 0
	global_load_u8 v13, v2, s[18:19] offset:256
	v_mov_b32_e32 v20, 0
	v_cmp_gt_u32_e64 s0, s15, v4
	v_dual_mov_b32 v4, 0 :: v_dual_mov_b32 v12, 0
	v_dual_mov_b32 v11, 0 :: v_dual_mov_b32 v9, 0
	;; [unrolled: 1-line block ×5, first 2 shown]
	s_wait_xcnt 0x0
	s_and_saveexec_b32 s3, s0
	s_cbranch_execz .LBB27_33
; %bb.6:
	v_add_nc_u64_e32 v[4:5], s[18:19], v[2:3]
	v_or_b32_e32 v7, 0x300, v0
	v_dual_mov_b32 v20, 0 :: v_dual_mov_b32 v19, 0
	v_dual_mov_b32 v17, 0 :: v_dual_mov_b32 v12, 0
	s_delay_alu instid0(VALU_DEP_3)
	v_cmp_gt_u32_e64 s0, s15, v7
	global_load_u8 v2, v[4:5], off offset:512
	v_dual_mov_b32 v11, 0 :: v_dual_mov_b32 v9, 0
	v_dual_mov_b32 v8, 0 :: v_dual_mov_b32 v7, 0
	v_dual_mov_b32 v16, 0 :: v_dual_mov_b32 v18, 0
	v_dual_mov_b32 v14, 0 :: v_dual_mov_b32 v10, 0
	s_wait_xcnt 0x0
	s_and_saveexec_b32 s4, s0
	s_cbranch_execz .LBB27_32
; %bb.7:
	global_load_u8 v3, v[4:5], off offset:768
	v_or_b32_e32 v7, 0x400, v0
	v_dual_mov_b32 v20, 0 :: v_dual_mov_b32 v19, 0
	v_dual_mov_b32 v17, 0 :: v_dual_mov_b32 v12, 0
	s_delay_alu instid0(VALU_DEP_3)
	v_cmp_gt_u32_e64 s0, s15, v7
	v_dual_mov_b32 v11, 0 :: v_dual_mov_b32 v9, 0
	v_dual_mov_b32 v8, 0 :: v_dual_mov_b32 v7, 0
	;; [unrolled: 1-line block ×4, first 2 shown]
	s_wait_xcnt 0x0
	s_and_saveexec_b32 s5, s0
	s_cbranch_execz .LBB27_31
; %bb.8:
	global_load_u8 v20, v[4:5], off offset:1024
	v_or_b32_e32 v7, 0x500, v0
	v_dual_mov_b32 v19, 0 :: v_dual_mov_b32 v17, 0
	v_dual_mov_b32 v12, 0 :: v_dual_mov_b32 v11, 0
	s_delay_alu instid0(VALU_DEP_3)
	v_cmp_gt_u32_e64 s0, s15, v7
	v_dual_mov_b32 v9, 0 :: v_dual_mov_b32 v8, 0
	v_dual_mov_b32 v7, 0 :: v_dual_mov_b32 v16, 0
	;; [unrolled: 1-line block ×3, first 2 shown]
	v_mov_b32_e32 v10, 0
	s_wait_xcnt 0x0
	s_and_saveexec_b32 s6, s0
	s_cbranch_execz .LBB27_30
; %bb.9:
	global_load_u8 v19, v[4:5], off offset:1280
	v_or_b32_e32 v7, 0x600, v0
	v_dual_mov_b32 v17, 0 :: v_dual_mov_b32 v12, 0
	v_dual_mov_b32 v11, 0 :: v_dual_mov_b32 v9, 0
	s_delay_alu instid0(VALU_DEP_3)
	v_cmp_gt_u32_e64 s0, s15, v7
	v_dual_mov_b32 v8, 0 :: v_dual_mov_b32 v7, 0
	v_dual_mov_b32 v16, 0 :: v_dual_mov_b32 v18, 0
	;; [unrolled: 1-line block ×3, first 2 shown]
	s_wait_xcnt 0x0
	s_and_saveexec_b32 s7, s0
	s_cbranch_execz .LBB27_29
; %bb.10:
	global_load_u8 v17, v[4:5], off offset:1536
	v_or_b32_e32 v7, 0x700, v0
	v_dual_mov_b32 v12, 0 :: v_dual_mov_b32 v11, 0
	v_dual_mov_b32 v9, 0 :: v_dual_mov_b32 v8, 0
	s_delay_alu instid0(VALU_DEP_3)
	v_cmp_gt_u32_e64 s0, s15, v7
	v_dual_mov_b32 v7, 0 :: v_dual_mov_b32 v16, 0
	v_dual_mov_b32 v18, 0 :: v_dual_mov_b32 v14, 0
	v_mov_b32_e32 v10, 0
	s_wait_xcnt 0x0
	s_and_saveexec_b32 s8, s0
	s_cbranch_execz .LBB27_28
; %bb.11:
	global_load_u8 v12, v[4:5], off offset:1792
	v_or_b32_e32 v7, 0x800, v0
	v_dual_mov_b32 v11, 0 :: v_dual_mov_b32 v9, 0
	v_dual_mov_b32 v8, 0 :: v_dual_mov_b32 v16, 0
	v_mov_b32_e32 v18, 0
	s_delay_alu instid0(VALU_DEP_4)
	v_cmp_gt_u32_e64 s0, s15, v7
	v_dual_mov_b32 v7, 0 :: v_dual_mov_b32 v14, 0
	v_mov_b32_e32 v10, 0
	s_wait_xcnt 0x0
	s_and_saveexec_b32 s9, s0
	s_cbranch_execz .LBB27_27
; %bb.12:
	global_load_u8 v11, v[4:5], off offset:2048
	v_or_b32_e32 v7, 0x900, v0
	v_dual_mov_b32 v9, 0 :: v_dual_mov_b32 v8, 0
	v_dual_mov_b32 v18, 0 :: v_dual_mov_b32 v14, 0
	s_delay_alu instid0(VALU_DEP_3)
	v_cmp_gt_u32_e64 s0, s15, v7
	v_dual_mov_b32 v7, 0 :: v_dual_mov_b32 v16, 0
	v_mov_b32_e32 v10, 0
	s_wait_xcnt 0x0
	s_and_saveexec_b32 s10, s0
	s_cbranch_execz .LBB27_26
; %bb.13:
	global_load_u8 v9, v[4:5], off offset:2304
	v_or_b32_e32 v7, 0xa00, v0
	v_dual_mov_b32 v8, 0 :: v_dual_mov_b32 v16, 0
	v_dual_mov_b32 v18, 0 :: v_dual_mov_b32 v14, 0
	v_mov_b32_e32 v10, 0
	s_delay_alu instid0(VALU_DEP_4)
	v_cmp_gt_u32_e64 s0, s15, v7
	v_mov_b32_e32 v7, 0
	s_wait_xcnt 0x0
	s_and_saveexec_b32 s11, s0
	s_cbranch_execz .LBB27_25
; %bb.14:
	global_load_u8 v8, v[4:5], off offset:2560
	v_or_b32_e32 v7, 0xb00, v0
	v_dual_mov_b32 v18, 0 :: v_dual_mov_b32 v14, 0
	v_dual_mov_b32 v10, 0 :: v_dual_mov_b32 v16, 0
	s_delay_alu instid0(VALU_DEP_3)
	v_cmp_gt_u32_e64 s0, s15, v7
	v_mov_b32_e32 v7, 0
	s_wait_xcnt 0x0
	s_and_saveexec_b32 s12, s0
	s_cbranch_execz .LBB27_24
; %bb.15:
	global_load_u8 v7, v[4:5], off offset:2816
	v_or_b32_e32 v10, 0xc00, v0
	v_dual_mov_b32 v16, 0 :: v_dual_mov_b32 v18, 0
	v_mov_b32_e32 v14, 0
	s_delay_alu instid0(VALU_DEP_3)
	v_cmp_gt_u32_e64 s0, s15, v10
	v_mov_b32_e32 v10, 0
	s_wait_xcnt 0x0
	s_and_saveexec_b32 s13, s0
	s_cbranch_execz .LBB27_23
; %bb.16:
	global_load_u8 v16, v[4:5], off offset:3072
	v_or_b32_e32 v10, 0xd00, v0
	v_dual_mov_b32 v18, 0 :: v_dual_mov_b32 v14, 0
	s_delay_alu instid0(VALU_DEP_2)
	v_cmp_gt_u32_e64 s0, s15, v10
	v_mov_b32_e32 v10, 0
	s_wait_xcnt 0x0
	s_and_saveexec_b32 s14, s0
	s_cbranch_execz .LBB27_22
; %bb.17:
	global_load_u8 v18, v[4:5], off offset:3328
	v_or_b32_e32 v10, 0xe00, v0
	v_mov_b32_e32 v14, 0
	s_delay_alu instid0(VALU_DEP_2)
	v_cmp_gt_u32_e64 s0, s15, v10
	v_mov_b32_e32 v10, 0
	s_wait_xcnt 0x0
	s_and_saveexec_b32 s18, s0
	s_cbranch_execz .LBB27_21
; %bb.18:
	global_load_u8 v14, v[4:5], off offset:3584
	v_or_b32_e32 v10, 0xf00, v0
	s_delay_alu instid0(VALU_DEP_1)
	v_cmp_gt_u32_e64 s0, s15, v10
	v_mov_b32_e32 v10, 0
	s_wait_xcnt 0x0
	s_and_saveexec_b32 s19, s0
	s_cbranch_execz .LBB27_20
; %bb.19:
	global_load_u8 v10, v[4:5], off offset:3840
.LBB27_20:
	s_wait_xcnt 0x0
	s_or_b32 exec_lo, exec_lo, s19
.LBB27_21:
	s_delay_alu instid0(SALU_CYCLE_1)
	s_or_b32 exec_lo, exec_lo, s18
.LBB27_22:
	s_delay_alu instid0(SALU_CYCLE_1)
	s_or_b32 exec_lo, exec_lo, s14
.LBB27_23:
	s_delay_alu instid0(SALU_CYCLE_1)
	s_or_b32 exec_lo, exec_lo, s13
.LBB27_24:
	s_delay_alu instid0(SALU_CYCLE_1)
	s_or_b32 exec_lo, exec_lo, s12
.LBB27_25:
	s_delay_alu instid0(SALU_CYCLE_1)
	s_or_b32 exec_lo, exec_lo, s11
.LBB27_26:
	s_delay_alu instid0(SALU_CYCLE_1)
	s_or_b32 exec_lo, exec_lo, s10
.LBB27_27:
	s_delay_alu instid0(SALU_CYCLE_1)
	s_or_b32 exec_lo, exec_lo, s9
.LBB27_28:
	s_delay_alu instid0(SALU_CYCLE_1)
	s_or_b32 exec_lo, exec_lo, s8
.LBB27_29:
	s_delay_alu instid0(SALU_CYCLE_1)
	s_or_b32 exec_lo, exec_lo, s7
.LBB27_30:
	s_delay_alu instid0(SALU_CYCLE_1)
	s_or_b32 exec_lo, exec_lo, s6
.LBB27_31:
	s_delay_alu instid0(SALU_CYCLE_1)
	s_or_b32 exec_lo, exec_lo, s5
.LBB27_32:
	s_delay_alu instid0(SALU_CYCLE_1)
	s_or_b32 exec_lo, exec_lo, s4
	s_wait_loadcnt 0x0
	v_dual_mov_b32 v4, v3 :: v_dual_mov_b32 v3, v2
.LBB27_33:
	s_or_b32 exec_lo, exec_lo, s3
.LBB27_34:
	s_delay_alu instid0(SALU_CYCLE_1)
	s_or_b32 exec_lo, exec_lo, s2
.LBB27_35:
	s_delay_alu instid0(SALU_CYCLE_1)
	s_or_b32 exec_lo, exec_lo, s1
	v_and_b32_e32 v2, 0xff, v20
	s_cmp_eq_u32 s21, 0
	v_and_b32_e32 v5, 0xff, v19
	s_cselect_b32 s4, -1, 0
	s_and_b32 s5, s22, 0xff
	s_wait_loadcnt 0x0
	v_and_b32_e32 v13, 0xff, v13
	v_cmp_ne_u16_e64 s0, s5, v2
	v_and_b32_e32 v2, 0xff, v15
	v_and_b32_e32 v3, 0xff, v3
	;; [unrolled: 1-line block ×3, first 2 shown]
	v_cmp_ne_u16_e64 s2, s5, v13
	s_xor_b32 s0, s4, s0
	v_cmp_ne_u16_e64 s1, s5, v2
	v_cndmask_b32_e64 v15, 0, 1, s0
	v_cmp_ne_u16_e64 s0, s5, v5
	v_or_b32_e32 v5, 0x400, v0
	v_and_b32_e32 v4, 0xff, v4
	v_and_b32_e32 v12, 0xff, v12
	v_bitop3_b16 v2, v15, 0, 0xff00 bitop3:0xf8
	s_xor_b32 s0, s4, s0
	v_and_b32_e32 v16, 0xff, v16
	v_cndmask_b32_e64 v13, 0, 1, s0
	s_xor_b32 s0, s4, s1
	v_and_b32_e32 v2, 0xffff, v2
	v_cndmask_b32_e64 v15, 0, 1, s0
	s_xor_b32 s0, s4, s2
	v_lshlrev_b16 v13, 8, v13
	v_cndmask_b32_e64 v19, 0, 1, s0
	v_cmp_gt_i32_e64 s0, s15, v5
	v_cndmask_b32_e32 v5, 0, v15, vcc_lo
	v_cmp_ne_u16_e64 s1, s5, v17
	v_and_b32_e32 v9, 0xff, v9
	v_lshlrev_b16 v15, 8, v19
	v_cndmask_b32_e64 v2, 0, v2, s0
	v_cmp_ne_u16_e64 s0, s5, v3
	v_or_b32_e32 v3, 0x500, v0
	v_cmp_ne_u16_e64 s3, s5, v9
	v_and_b32_e32 v11, 0xff, v11
	v_bitop3_b16 v13, v2, v13, 0xff bitop3:0xec
	s_xor_b32 s0, s4, s0
	v_and_b32_e32 v8, 0xff, v8
	v_cndmask_b32_e64 v17, 0, 1, s0
	v_cmp_gt_i32_e64 s0, s15, v3
	v_and_b32_e32 v13, 0xffff, v13
	v_or_b32_e32 v15, v5, v15
	v_and_b32_e32 v14, 0xff, v14
	v_and_b32_e32 v7, 0xff, v7
	;; [unrolled: 1-line block ×3, first 2 shown]
	v_cndmask_b32_e64 v2, v2, v13, s0
	s_xor_b32 s0, s4, s1
	v_and_b32_e32 v15, 0xffff, v15
	v_cndmask_b32_e64 v3, 0, 1, s0
	v_cmp_gt_i32_e64 s0, s15, v1
	s_delay_alu instid0(VALU_DEP_1) | instskip(SKIP_2) | instid1(VALU_DEP_3)
	v_dual_lshrrev_b32 v13, 16, v2 :: v_dual_cndmask_b32 v5, v5, v15, s0
	v_cmp_ne_u16_e64 s0, s5, v4
	v_or_b32_e32 v4, 0x200, v0
	v_bitop3_b16 v3, v3, v13, 0xff00 bitop3:0xf8
	s_delay_alu instid0(VALU_DEP_4) | instskip(SKIP_4) | instid1(VALU_DEP_2)
	v_lshl_or_b32 v15, v17, 16, v5
	s_xor_b32 s0, s4, s0
	v_or_b32_e32 v17, 0xd00, v0
	v_cndmask_b32_e64 v13, 0, 1, s0
	v_cmp_gt_i32_e64 s0, s15, v4
	v_lshlrev_b16 v13, 8, v13
	s_delay_alu instid0(VALU_DEP_2) | instskip(SKIP_2) | instid1(VALU_DEP_3)
	v_cndmask_b32_e64 v4, v5, v15, s0
	v_cmp_ne_u16_e64 s0, s5, v12
	v_or_b32_e32 v5, 0x600, v0
	v_dual_lshlrev_b32 v3, 16, v3 :: v_dual_lshrrev_b32 v15, 16, v4
	s_xor_b32 s0, s4, s0
	s_delay_alu instid0(VALU_DEP_2)
	v_cmp_gt_i32_e64 s1, s15, v5
	v_cndmask_b32_e64 v5, 0, 1, s0
	v_cmp_ne_u16_e64 s0, s5, v16
	v_and_or_b32 v3, 0xffff, v2, v3
	v_bitop3_b16 v12, v15, v13, 0xff bitop3:0xec
	v_or_b32_e32 v15, 0x800, v0
	v_lshlrev_b16 v5, 8, v5
	s_xor_b32 s0, s4, s0
	s_delay_alu instid0(SALU_CYCLE_1) | instskip(SKIP_4) | instid1(VALU_DEP_3)
	v_cndmask_b32_e64 v9, 0, 1, s0
	v_cndmask_b32_e64 v2, v2, v3, s1
	v_and_b32_e32 v3, 0xff, v18
	v_cmp_ne_u16_e64 s1, s5, v11
	v_lshlrev_b32_e32 v12, 16, v12
	v_cmp_ne_u16_e64 s2, s5, v3
	v_or_b32_e32 v3, 0xc00, v0
	s_delay_alu instid0(VALU_DEP_3) | instskip(SKIP_1) | instid1(SALU_CYCLE_1)
	v_and_or_b32 v12, 0xffff, v4, v12
	s_xor_b32 s0, s4, s2
	v_cndmask_b32_e64 v11, 0, 1, s0
	s_xor_b32 s0, s4, s1
	v_cmp_gt_i32_e64 s1, s15, v17
	v_cndmask_b32_e64 v16, 0, 1, s0
	v_cmp_gt_i32_e64 s0, s15, v3
	s_delay_alu instid0(VALU_DEP_1) | instskip(SKIP_2) | instid1(SALU_CYCLE_1)
	v_cndmask_b32_e64 v3, 0, v9, s0
	v_lshlrev_b16 v9, 8, v11
	s_xor_b32 s0, s4, s3
	v_cndmask_b32_e64 v11, 0, 1, s0
	v_cmp_gt_i32_e64 s0, s15, v15
	s_delay_alu instid0(VALU_DEP_3) | instskip(SKIP_1) | instid1(VALU_DEP_4)
	v_bitop3_b16 v9, v3, v9, 0xff bitop3:0xec
	v_lshrrev_b32_e32 v13, 16, v2
	v_lshlrev_b16 v11, 8, v11
	s_delay_alu instid0(VALU_DEP_4) | instskip(NEXT) | instid1(VALU_DEP_4)
	v_cndmask_b32_e64 v15, 0, v16, s0
	v_and_b32_e32 v9, 0xffff, v9
	v_cmp_ne_u16_e64 s0, s5, v8
	v_or_b32_e32 v16, 0x900, v0
	v_bitop3_b16 v5, v13, v5, 0xff bitop3:0xec
	v_or_b32_e32 v13, 0x300, v0
	v_cndmask_b32_e64 v3, v3, v9, s1
	v_cmp_ne_u16_e64 s1, s5, v14
	s_xor_b32 s0, s4, s0
	s_delay_alu instid0(SALU_CYCLE_1) | instskip(SKIP_1) | instid1(SALU_CYCLE_1)
	v_cndmask_b32_e64 v9, 0, 1, s0
	s_xor_b32 s0, s4, s1
	v_cndmask_b32_e64 v14, 0, 1, s0
	v_cmp_gt_i32_e64 s0, s15, v16
	s_delay_alu instid0(VALU_DEP_3) | instskip(NEXT) | instid1(VALU_DEP_1)
	v_dual_lshlrev_b32 v9, 16, v9 :: v_dual_bitop2_b32 v11, v15, v11 bitop3:0x54
	v_and_b32_e32 v8, 0xffff, v11
	s_delay_alu instid0(VALU_DEP_1) | instskip(SKIP_1) | instid1(VALU_DEP_2)
	v_cndmask_b32_e64 v8, v15, v8, s0
	v_cmp_ne_u16_e64 s0, s5, v7
	v_and_or_b32 v9, 0x1ff, v8, v9
	v_lshrrev_b32_e32 v11, 16, v3
	s_xor_b32 s0, s4, s0
	s_delay_alu instid0(VALU_DEP_1) | instskip(SKIP_1) | instid1(VALU_DEP_1)
	v_bitop3_b16 v11, v14, v11, 0xff00 bitop3:0xf8
	v_or_b32_e32 v14, 0xa00, v0
	v_cmp_gt_i32_e64 s1, s15, v14
	s_delay_alu instid0(VALU_DEP_1) | instskip(SKIP_3) | instid1(VALU_DEP_3)
	v_dual_cndmask_b32 v8, v8, v9, s1 :: v_dual_lshlrev_b32 v7, 16, v11
	v_or_b32_e32 v9, 0xe00, v0
	v_cmp_ne_u16_e64 s1, s5, v10
	v_cndmask_b32_e64 v10, 0, 1, s0
	v_cmp_gt_i32_e64 s0, s15, v9
	v_lshrrev_b32_e32 v9, 16, v8
	v_and_or_b32 v7, 0xffff, v3, v7
	s_delay_alu instid0(VALU_DEP_4) | instskip(NEXT) | instid1(VALU_DEP_2)
	v_lshlrev_b16 v10, 8, v10
	v_cndmask_b32_e64 v7, v3, v7, s0
	s_xor_b32 s0, s4, s1
	s_delay_alu instid0(VALU_DEP_2)
	v_bitop3_b16 v9, v9, v10, 0xff bitop3:0xec
	v_cndmask_b32_e64 v3, 0, 1, s0
	v_lshlrev_b32_e32 v10, 16, v5
	v_cmp_gt_i32_e64 s0, s15, v13
	v_lshrrev_b32_e32 v11, 16, v7
	v_or_b32_e32 v13, 0xf00, v0
	v_lshlrev_b16 v3, 8, v3
	v_and_or_b32 v10, 0xffff, v2, v10
	v_cndmask_b32_e64 v5, v4, v12, s0
	s_delay_alu instid0(VALU_DEP_3) | instskip(SKIP_3) | instid1(VALU_DEP_4)
	v_bitop3_b16 v3, v11, v3, 0xff bitop3:0xec
	v_lshlrev_b32_e32 v4, 16, v9
	v_or_b32_e32 v9, 0x700, v0
	v_or_b32_e32 v11, 0xb00, v0
	v_lshlrev_b32_e32 v3, 16, v3
	s_delay_alu instid0(VALU_DEP_4) | instskip(NEXT) | instid1(VALU_DEP_4)
	v_and_or_b32 v12, 0xffff, v8, v4
	v_cmp_gt_i32_e64 s0, s15, v9
	s_delay_alu instid0(VALU_DEP_3) | instskip(NEXT) | instid1(VALU_DEP_2)
	v_and_or_b32 v14, 0xffff, v7, v3
	v_cndmask_b32_e64 v4, v2, v10, s0
	v_cmp_gt_i32_e64 s0, s15, v11
	s_delay_alu instid0(VALU_DEP_1) | instskip(SKIP_1) | instid1(VALU_DEP_1)
	v_cndmask_b32_e64 v3, v8, v12, s0
	v_cmp_gt_i32_e64 s0, s15, v13
	v_cndmask_b32_e64 v2, v7, v14, s0
	s_and_saveexec_b32 s0, vcc_lo
	s_cbranch_execnz .LBB27_53
; %bb.36:
	s_or_b32 exec_lo, exec_lo, s0
	s_delay_alu instid0(SALU_CYCLE_1)
	s_mov_b32 s0, exec_lo
	v_cmpx_gt_i32_e64 s15, v0
	s_cbranch_execnz .LBB27_54
.LBB27_37:
	s_or_b32 exec_lo, exec_lo, s0
	s_delay_alu instid0(SALU_CYCLE_1)
	s_mov_b32 s0, exec_lo
	v_cmpx_gt_i32_e64 s15, v0
	s_cbranch_execnz .LBB27_55
.LBB27_38:
	s_or_b32 exec_lo, exec_lo, s0
	s_delay_alu instid0(SALU_CYCLE_1)
	s_mov_b32 s0, exec_lo
	v_cmpx_gt_i32_e64 s15, v0
	s_cbranch_execnz .LBB27_56
.LBB27_39:
	s_or_b32 exec_lo, exec_lo, s0
	s_delay_alu instid0(SALU_CYCLE_1)
	s_mov_b32 s0, exec_lo
	v_cmpx_gt_i32_e64 s15, v0
	s_cbranch_execnz .LBB27_57
.LBB27_40:
	s_or_b32 exec_lo, exec_lo, s0
	s_delay_alu instid0(SALU_CYCLE_1)
	s_mov_b32 s0, exec_lo
	v_cmpx_gt_i32_e64 s15, v0
	s_cbranch_execnz .LBB27_58
.LBB27_41:
	s_or_b32 exec_lo, exec_lo, s0
	s_delay_alu instid0(SALU_CYCLE_1)
	s_mov_b32 s0, exec_lo
	v_cmpx_gt_i32_e64 s15, v0
	s_cbranch_execnz .LBB27_59
.LBB27_42:
	s_or_b32 exec_lo, exec_lo, s0
	s_delay_alu instid0(SALU_CYCLE_1)
	s_mov_b32 s0, exec_lo
	v_cmpx_gt_i32_e64 s15, v0
	s_cbranch_execnz .LBB27_60
.LBB27_43:
	s_or_b32 exec_lo, exec_lo, s0
	s_delay_alu instid0(SALU_CYCLE_1)
	s_mov_b32 s0, exec_lo
	v_cmpx_gt_i32_e64 s15, v0
	s_cbranch_execnz .LBB27_61
.LBB27_44:
	s_or_b32 exec_lo, exec_lo, s0
	s_delay_alu instid0(SALU_CYCLE_1)
	s_mov_b32 s0, exec_lo
	v_cmpx_gt_i32_e64 s15, v0
	s_cbranch_execnz .LBB27_62
.LBB27_45:
	s_or_b32 exec_lo, exec_lo, s0
	s_delay_alu instid0(SALU_CYCLE_1)
	s_mov_b32 s0, exec_lo
	v_cmpx_gt_i32_e64 s15, v0
	s_cbranch_execnz .LBB27_63
.LBB27_46:
	s_or_b32 exec_lo, exec_lo, s0
	s_delay_alu instid0(SALU_CYCLE_1)
	s_mov_b32 s0, exec_lo
	v_cmpx_gt_i32_e64 s15, v0
	s_cbranch_execnz .LBB27_64
.LBB27_47:
	s_or_b32 exec_lo, exec_lo, s0
	s_delay_alu instid0(SALU_CYCLE_1)
	s_mov_b32 s0, exec_lo
	v_cmpx_gt_i32_e64 s15, v0
	s_cbranch_execnz .LBB27_65
.LBB27_48:
	s_or_b32 exec_lo, exec_lo, s0
	s_delay_alu instid0(SALU_CYCLE_1)
	s_mov_b32 s0, exec_lo
	v_cmpx_gt_i32_e64 s15, v0
	s_cbranch_execnz .LBB27_66
.LBB27_49:
	s_or_b32 exec_lo, exec_lo, s0
	s_delay_alu instid0(SALU_CYCLE_1)
	s_mov_b32 s0, exec_lo
	v_cmpx_gt_i32_e64 s15, v0
	s_cbranch_execnz .LBB27_67
.LBB27_50:
	s_or_b32 exec_lo, exec_lo, s0
	s_delay_alu instid0(SALU_CYCLE_1)
	s_mov_b32 s0, exec_lo
	v_cmpx_gt_i32_e64 s15, v0
	s_cbranch_execz .LBB27_52
.LBB27_51:
	v_dual_lshrrev_b32 v1, 24, v2 :: v_dual_add_nc_u32 v0, s24, v0
	global_store_b8 v0, v1, s[16:17]
.LBB27_52:
	s_endpgm
.LBB27_53:
	v_mov_b32_e32 v0, v1
	global_store_b8 v6, v5, s[16:17]
	s_wait_xcnt 0x0
	s_or_b32 exec_lo, exec_lo, s0
	s_delay_alu instid0(SALU_CYCLE_1)
	s_mov_b32 s0, exec_lo
	v_cmpx_gt_i32_e64 s15, v0
	s_cbranch_execz .LBB27_37
.LBB27_54:
	v_dual_lshrrev_b32 v1, 8, v5 :: v_dual_add_nc_u32 v6, s24, v0
	v_add_nc_u32_e32 v0, 0x100, v0
	global_store_b8 v6, v1, s[16:17]
	s_wait_xcnt 0x0
	s_or_b32 exec_lo, exec_lo, s0
	s_delay_alu instid0(SALU_CYCLE_1)
	s_mov_b32 s0, exec_lo
	v_cmpx_gt_i32_e64 s15, v0
	s_cbranch_execz .LBB27_38
.LBB27_55:
	v_add_nc_u32_e32 v1, s24, v0
	v_add_nc_u32_e32 v0, 0x100, v0
	global_store_d16_hi_b8 v1, v5, s[16:17]
	s_wait_xcnt 0x0
	s_or_b32 exec_lo, exec_lo, s0
	s_delay_alu instid0(SALU_CYCLE_1)
	s_mov_b32 s0, exec_lo
	v_cmpx_gt_i32_e64 s15, v0
	s_cbranch_execz .LBB27_39
.LBB27_56:
	v_dual_lshrrev_b32 v1, 24, v5 :: v_dual_add_nc_u32 v5, s24, v0
	v_add_nc_u32_e32 v0, 0x100, v0
	global_store_b8 v5, v1, s[16:17]
	s_wait_xcnt 0x0
	s_or_b32 exec_lo, exec_lo, s0
	s_delay_alu instid0(SALU_CYCLE_1)
	s_mov_b32 s0, exec_lo
	v_cmpx_gt_i32_e64 s15, v0
	s_cbranch_execz .LBB27_40
.LBB27_57:
	v_add_nc_u32_e32 v1, s24, v0
	v_add_nc_u32_e32 v0, 0x100, v0
	global_store_b8 v1, v4, s[16:17]
	s_wait_xcnt 0x0
	s_or_b32 exec_lo, exec_lo, s0
	s_delay_alu instid0(SALU_CYCLE_1)
	s_mov_b32 s0, exec_lo
	v_cmpx_gt_i32_e64 s15, v0
	s_cbranch_execz .LBB27_41
.LBB27_58:
	v_lshrrev_b32_e32 v1, 8, v4
	v_add_nc_u32_e32 v5, s24, v0
	v_add_nc_u32_e32 v0, 0x100, v0
	global_store_b8 v5, v1, s[16:17]
	s_wait_xcnt 0x0
	s_or_b32 exec_lo, exec_lo, s0
	s_delay_alu instid0(SALU_CYCLE_1)
	s_mov_b32 s0, exec_lo
	v_cmpx_gt_i32_e64 s15, v0
	s_cbranch_execz .LBB27_42
.LBB27_59:
	v_add_nc_u32_e32 v1, s24, v0
	v_add_nc_u32_e32 v0, 0x100, v0
	global_store_d16_hi_b8 v1, v4, s[16:17]
	s_wait_xcnt 0x0
	s_or_b32 exec_lo, exec_lo, s0
	s_delay_alu instid0(SALU_CYCLE_1)
	s_mov_b32 s0, exec_lo
	v_cmpx_gt_i32_e64 s15, v0
	s_cbranch_execz .LBB27_43
.LBB27_60:
	v_lshrrev_b32_e32 v1, 24, v4
	v_add_nc_u32_e32 v4, s24, v0
	v_add_nc_u32_e32 v0, 0x100, v0
	global_store_b8 v4, v1, s[16:17]
	s_wait_xcnt 0x0
	s_or_b32 exec_lo, exec_lo, s0
	s_delay_alu instid0(SALU_CYCLE_1)
	s_mov_b32 s0, exec_lo
	v_cmpx_gt_i32_e64 s15, v0
	s_cbranch_execz .LBB27_44
.LBB27_61:
	v_add_nc_u32_e32 v1, s24, v0
	v_add_nc_u32_e32 v0, 0x100, v0
	global_store_b8 v1, v3, s[16:17]
	s_wait_xcnt 0x0
	s_or_b32 exec_lo, exec_lo, s0
	s_delay_alu instid0(SALU_CYCLE_1)
	s_mov_b32 s0, exec_lo
	v_cmpx_gt_i32_e64 s15, v0
	s_cbranch_execz .LBB27_45
.LBB27_62:
	v_dual_lshrrev_b32 v1, 8, v3 :: v_dual_add_nc_u32 v4, s24, v0
	v_add_nc_u32_e32 v0, 0x100, v0
	global_store_b8 v4, v1, s[16:17]
	s_wait_xcnt 0x0
	s_or_b32 exec_lo, exec_lo, s0
	s_delay_alu instid0(SALU_CYCLE_1)
	s_mov_b32 s0, exec_lo
	v_cmpx_gt_i32_e64 s15, v0
	s_cbranch_execz .LBB27_46
.LBB27_63:
	v_add_nc_u32_e32 v1, s24, v0
	v_add_nc_u32_e32 v0, 0x100, v0
	global_store_d16_hi_b8 v1, v3, s[16:17]
	s_wait_xcnt 0x0
	s_or_b32 exec_lo, exec_lo, s0
	s_delay_alu instid0(SALU_CYCLE_1)
	s_mov_b32 s0, exec_lo
	v_cmpx_gt_i32_e64 s15, v0
	s_cbranch_execz .LBB27_47
.LBB27_64:
	v_dual_lshrrev_b32 v1, 24, v3 :: v_dual_add_nc_u32 v3, s24, v0
	v_add_nc_u32_e32 v0, 0x100, v0
	global_store_b8 v3, v1, s[16:17]
	s_wait_xcnt 0x0
	s_or_b32 exec_lo, exec_lo, s0
	s_delay_alu instid0(SALU_CYCLE_1)
	s_mov_b32 s0, exec_lo
	v_cmpx_gt_i32_e64 s15, v0
	s_cbranch_execz .LBB27_48
.LBB27_65:
	v_add_nc_u32_e32 v1, s24, v0
	v_add_nc_u32_e32 v0, 0x100, v0
	global_store_b8 v1, v2, s[16:17]
	s_wait_xcnt 0x0
	s_or_b32 exec_lo, exec_lo, s0
	s_delay_alu instid0(SALU_CYCLE_1)
	s_mov_b32 s0, exec_lo
	v_cmpx_gt_i32_e64 s15, v0
	s_cbranch_execz .LBB27_49
.LBB27_66:
	v_dual_lshrrev_b32 v1, 8, v2 :: v_dual_add_nc_u32 v3, s24, v0
	v_add_nc_u32_e32 v0, 0x100, v0
	global_store_b8 v3, v1, s[16:17]
	s_wait_xcnt 0x0
	s_or_b32 exec_lo, exec_lo, s0
	s_delay_alu instid0(SALU_CYCLE_1)
	s_mov_b32 s0, exec_lo
	v_cmpx_gt_i32_e64 s15, v0
	s_cbranch_execz .LBB27_50
.LBB27_67:
	v_add_nc_u32_e32 v1, s24, v0
	v_add_nc_u32_e32 v0, 0x100, v0
	global_store_d16_hi_b8 v1, v2, s[16:17]
	s_wait_xcnt 0x0
	s_or_b32 exec_lo, exec_lo, s0
	s_delay_alu instid0(SALU_CYCLE_1)
	s_mov_b32 s0, exec_lo
	v_cmpx_gt_i32_e64 s15, v0
	s_cbranch_execnz .LBB27_51
	s_branch .LBB27_52
	.section	.rodata,"a",@progbits
	.p2align	6, 0x0
	.amdhsa_kernel _ZN2at6native29vectorized_elementwise_kernelILi2ENS0_13AUnaryFunctorIaabNS0_12_GLOBAL__N_116CompareEqFunctorIaEEEESt5arrayIPcLm2EEEEviT0_T1_
		.amdhsa_group_segment_fixed_size 0
		.amdhsa_private_segment_fixed_size 0
		.amdhsa_kernarg_size 32
		.amdhsa_user_sgpr_count 2
		.amdhsa_user_sgpr_dispatch_ptr 0
		.amdhsa_user_sgpr_queue_ptr 0
		.amdhsa_user_sgpr_kernarg_segment_ptr 1
		.amdhsa_user_sgpr_dispatch_id 0
		.amdhsa_user_sgpr_kernarg_preload_length 0
		.amdhsa_user_sgpr_kernarg_preload_offset 0
		.amdhsa_user_sgpr_private_segment_size 0
		.amdhsa_wavefront_size32 1
		.amdhsa_uses_dynamic_stack 0
		.amdhsa_enable_private_segment 0
		.amdhsa_system_sgpr_workgroup_id_x 1
		.amdhsa_system_sgpr_workgroup_id_y 0
		.amdhsa_system_sgpr_workgroup_id_z 0
		.amdhsa_system_sgpr_workgroup_info 0
		.amdhsa_system_vgpr_workitem_id 0
		.amdhsa_next_free_vgpr 21
		.amdhsa_next_free_sgpr 28
		.amdhsa_named_barrier_count 0
		.amdhsa_reserve_vcc 1
		.amdhsa_float_round_mode_32 0
		.amdhsa_float_round_mode_16_64 0
		.amdhsa_float_denorm_mode_32 3
		.amdhsa_float_denorm_mode_16_64 3
		.amdhsa_fp16_overflow 0
		.amdhsa_memory_ordered 1
		.amdhsa_forward_progress 1
		.amdhsa_inst_pref_size 39
		.amdhsa_round_robin_scheduling 0
		.amdhsa_exception_fp_ieee_invalid_op 0
		.amdhsa_exception_fp_denorm_src 0
		.amdhsa_exception_fp_ieee_div_zero 0
		.amdhsa_exception_fp_ieee_overflow 0
		.amdhsa_exception_fp_ieee_underflow 0
		.amdhsa_exception_fp_ieee_inexact 0
		.amdhsa_exception_int_div_zero 0
	.end_amdhsa_kernel
	.section	.text._ZN2at6native29vectorized_elementwise_kernelILi2ENS0_13AUnaryFunctorIaabNS0_12_GLOBAL__N_116CompareEqFunctorIaEEEESt5arrayIPcLm2EEEEviT0_T1_,"axG",@progbits,_ZN2at6native29vectorized_elementwise_kernelILi2ENS0_13AUnaryFunctorIaabNS0_12_GLOBAL__N_116CompareEqFunctorIaEEEESt5arrayIPcLm2EEEEviT0_T1_,comdat
.Lfunc_end27:
	.size	_ZN2at6native29vectorized_elementwise_kernelILi2ENS0_13AUnaryFunctorIaabNS0_12_GLOBAL__N_116CompareEqFunctorIaEEEESt5arrayIPcLm2EEEEviT0_T1_, .Lfunc_end27-_ZN2at6native29vectorized_elementwise_kernelILi2ENS0_13AUnaryFunctorIaabNS0_12_GLOBAL__N_116CompareEqFunctorIaEEEESt5arrayIPcLm2EEEEviT0_T1_
                                        ; -- End function
	.set _ZN2at6native29vectorized_elementwise_kernelILi2ENS0_13AUnaryFunctorIaabNS0_12_GLOBAL__N_116CompareEqFunctorIaEEEESt5arrayIPcLm2EEEEviT0_T1_.num_vgpr, 21
	.set _ZN2at6native29vectorized_elementwise_kernelILi2ENS0_13AUnaryFunctorIaabNS0_12_GLOBAL__N_116CompareEqFunctorIaEEEESt5arrayIPcLm2EEEEviT0_T1_.num_agpr, 0
	.set _ZN2at6native29vectorized_elementwise_kernelILi2ENS0_13AUnaryFunctorIaabNS0_12_GLOBAL__N_116CompareEqFunctorIaEEEESt5arrayIPcLm2EEEEviT0_T1_.numbered_sgpr, 28
	.set _ZN2at6native29vectorized_elementwise_kernelILi2ENS0_13AUnaryFunctorIaabNS0_12_GLOBAL__N_116CompareEqFunctorIaEEEESt5arrayIPcLm2EEEEviT0_T1_.num_named_barrier, 0
	.set _ZN2at6native29vectorized_elementwise_kernelILi2ENS0_13AUnaryFunctorIaabNS0_12_GLOBAL__N_116CompareEqFunctorIaEEEESt5arrayIPcLm2EEEEviT0_T1_.private_seg_size, 0
	.set _ZN2at6native29vectorized_elementwise_kernelILi2ENS0_13AUnaryFunctorIaabNS0_12_GLOBAL__N_116CompareEqFunctorIaEEEESt5arrayIPcLm2EEEEviT0_T1_.uses_vcc, 1
	.set _ZN2at6native29vectorized_elementwise_kernelILi2ENS0_13AUnaryFunctorIaabNS0_12_GLOBAL__N_116CompareEqFunctorIaEEEESt5arrayIPcLm2EEEEviT0_T1_.uses_flat_scratch, 0
	.set _ZN2at6native29vectorized_elementwise_kernelILi2ENS0_13AUnaryFunctorIaabNS0_12_GLOBAL__N_116CompareEqFunctorIaEEEESt5arrayIPcLm2EEEEviT0_T1_.has_dyn_sized_stack, 0
	.set _ZN2at6native29vectorized_elementwise_kernelILi2ENS0_13AUnaryFunctorIaabNS0_12_GLOBAL__N_116CompareEqFunctorIaEEEESt5arrayIPcLm2EEEEviT0_T1_.has_recursion, 0
	.set _ZN2at6native29vectorized_elementwise_kernelILi2ENS0_13AUnaryFunctorIaabNS0_12_GLOBAL__N_116CompareEqFunctorIaEEEESt5arrayIPcLm2EEEEviT0_T1_.has_indirect_call, 0
	.section	.AMDGPU.csdata,"",@progbits
; Kernel info:
; codeLenInByte = 4916
; TotalNumSgprs: 30
; NumVgprs: 21
; ScratchSize: 0
; MemoryBound: 0
; FloatMode: 240
; IeeeMode: 1
; LDSByteSize: 0 bytes/workgroup (compile time only)
; SGPRBlocks: 0
; VGPRBlocks: 1
; NumSGPRsForWavesPerEU: 30
; NumVGPRsForWavesPerEU: 21
; NamedBarCnt: 0
; Occupancy: 16
; WaveLimiterHint : 1
; COMPUTE_PGM_RSRC2:SCRATCH_EN: 0
; COMPUTE_PGM_RSRC2:USER_SGPR: 2
; COMPUTE_PGM_RSRC2:TRAP_HANDLER: 0
; COMPUTE_PGM_RSRC2:TGID_X_EN: 1
; COMPUTE_PGM_RSRC2:TGID_Y_EN: 0
; COMPUTE_PGM_RSRC2:TGID_Z_EN: 0
; COMPUTE_PGM_RSRC2:TIDIG_COMP_CNT: 0
	.section	.text._ZN2at6native27unrolled_elementwise_kernelINS0_13AUnaryFunctorIaabNS0_12_GLOBAL__N_116CompareEqFunctorIaEEEESt5arrayIPcLm2EELi4E23TrivialOffsetCalculatorILi1EjESB_NS0_6memory15LoadWithoutCastENSC_16StoreWithoutCastEEEviT_T0_T2_T3_T4_T5_,"axG",@progbits,_ZN2at6native27unrolled_elementwise_kernelINS0_13AUnaryFunctorIaabNS0_12_GLOBAL__N_116CompareEqFunctorIaEEEESt5arrayIPcLm2EELi4E23TrivialOffsetCalculatorILi1EjESB_NS0_6memory15LoadWithoutCastENSC_16StoreWithoutCastEEEviT_T0_T2_T3_T4_T5_,comdat
	.globl	_ZN2at6native27unrolled_elementwise_kernelINS0_13AUnaryFunctorIaabNS0_12_GLOBAL__N_116CompareEqFunctorIaEEEESt5arrayIPcLm2EELi4E23TrivialOffsetCalculatorILi1EjESB_NS0_6memory15LoadWithoutCastENSC_16StoreWithoutCastEEEviT_T0_T2_T3_T4_T5_ ; -- Begin function _ZN2at6native27unrolled_elementwise_kernelINS0_13AUnaryFunctorIaabNS0_12_GLOBAL__N_116CompareEqFunctorIaEEEESt5arrayIPcLm2EELi4E23TrivialOffsetCalculatorILi1EjESB_NS0_6memory15LoadWithoutCastENSC_16StoreWithoutCastEEEviT_T0_T2_T3_T4_T5_
	.p2align	8
	.type	_ZN2at6native27unrolled_elementwise_kernelINS0_13AUnaryFunctorIaabNS0_12_GLOBAL__N_116CompareEqFunctorIaEEEESt5arrayIPcLm2EELi4E23TrivialOffsetCalculatorILi1EjESB_NS0_6memory15LoadWithoutCastENSC_16StoreWithoutCastEEEviT_T0_T2_T3_T4_T5_,@function
_ZN2at6native27unrolled_elementwise_kernelINS0_13AUnaryFunctorIaabNS0_12_GLOBAL__N_116CompareEqFunctorIaEEEESt5arrayIPcLm2EELi4E23TrivialOffsetCalculatorILi1EjESB_NS0_6memory15LoadWithoutCastENSC_16StoreWithoutCastEEEviT_T0_T2_T3_T4_T5_: ; @_ZN2at6native27unrolled_elementwise_kernelINS0_13AUnaryFunctorIaabNS0_12_GLOBAL__N_116CompareEqFunctorIaEEEESt5arrayIPcLm2EELi4E23TrivialOffsetCalculatorILi1EjESB_NS0_6memory15LoadWithoutCastENSC_16StoreWithoutCastEEEviT_T0_T2_T3_T4_T5_
; %bb.0:
	s_clause 0x1
	s_load_b96 s[8:10], s[0:1], 0x0
	s_load_b128 s[4:7], s[0:1], 0x10
	s_bfe_u32 s3, ttmp6, 0x4000c
	s_and_b32 s2, ttmp6, 15
	s_add_co_i32 s3, s3, 1
	s_wait_xcnt 0x0
	s_getreg_b32 s0, hwreg(HW_REG_IB_STS2, 6, 4)
	s_mul_i32 s1, ttmp9, s3
	v_dual_mov_b32 v3, 0 :: v_dual_mov_b32 v4, 0
	s_add_co_i32 s2, s2, s1
	s_cmp_eq_u32 s0, 0
	v_or_b32_e32 v1, 0x100, v0
	s_cselect_b32 s0, ttmp9, s2
	v_mov_b32_e32 v6, 0
	s_lshl_b32 s2, s0, 10
	s_delay_alu instid0(SALU_CYCLE_1) | instskip(SKIP_2) | instid1(SALU_CYCLE_1)
	v_dual_mov_b32 v5, 0 :: v_dual_bitop2_b32 v2, s2, v0 bitop3:0x54
	s_wait_kmcnt 0x0
	s_sub_co_i32 s3, s8, s2
	v_cmp_gt_i32_e32 vcc_lo, s3, v0
	s_and_saveexec_b32 s1, vcc_lo
	s_cbranch_execz .LBB28_8
; %bb.1:
	global_load_u8 v6, v2, s[6:7]
	v_dual_mov_b32 v5, 0 :: v_dual_mov_b32 v4, 0
	v_mov_b32_e32 v3, 0
	s_mov_b32 s8, exec_lo
	s_wait_xcnt 0x0
	v_cmpx_gt_u32_e64 s3, v1
	s_cbranch_execz .LBB28_7
; %bb.2:
	v_dual_mov_b32 v4, 0 :: v_dual_add_nc_u32 v3, s2, v1
	v_or_b32_e32 v7, 0x200, v0
	s_mov_b32 s11, exec_lo
	global_load_u8 v5, v3, s[6:7]
	s_wait_xcnt 0x0
	v_mov_b32_e32 v3, 0
	v_cmpx_gt_u32_e64 s3, v7
	s_cbranch_execz .LBB28_6
; %bb.3:
	v_add_nc_u32_e32 v3, s2, v7
	v_or_b32_e32 v7, 0x300, v0
	s_mov_b32 s12, exec_lo
	global_load_u8 v4, v3, s[6:7]
	s_wait_xcnt 0x0
	v_mov_b32_e32 v3, 0
	v_cmpx_gt_u32_e64 s3, v7
	s_cbranch_execz .LBB28_5
; %bb.4:
	v_add_nc_u32_e32 v3, s2, v7
	global_load_u8 v3, v3, s[6:7]
.LBB28_5:
	s_wait_xcnt 0x0
	s_or_b32 exec_lo, exec_lo, s12
.LBB28_6:
	s_delay_alu instid0(SALU_CYCLE_1)
	s_or_b32 exec_lo, exec_lo, s11
.LBB28_7:
	s_delay_alu instid0(SALU_CYCLE_1)
	s_or_b32 exec_lo, exec_lo, s8
.LBB28_8:
	s_delay_alu instid0(SALU_CYCLE_1)
	s_or_b32 exec_lo, exec_lo, s1
	s_wait_loadcnt 0x0
	v_and_b32_e32 v6, 0xff, v6
	v_and_b32_e32 v5, 0xff, v5
	s_and_b32 s6, s10, 0xff
	s_cmp_eq_u32 s9, 0
	v_and_b32_e32 v4, 0xff, v4
	v_cmp_ne_u16_e64 s0, s6, v6
	v_cmp_ne_u16_e64 s1, s6, v5
	s_cselect_b32 s7, -1, 0
	v_and_b32_e32 v3, 0xff, v3
	s_xor_b32 s0, s7, s0
	s_delay_alu instid0(SALU_CYCLE_1) | instskip(SKIP_1) | instid1(SALU_CYCLE_1)
	v_cndmask_b32_e64 v5, 0, 1, s0
	s_xor_b32 s0, s7, s1
	v_cndmask_b32_e64 v6, 0, 1, s0
	v_cmp_ne_u16_e64 s0, s6, v4
	s_delay_alu instid0(VALU_DEP_3) | instskip(NEXT) | instid1(VALU_DEP_3)
	v_cndmask_b32_e32 v5, 0, v5, vcc_lo
	v_lshlrev_b16 v6, 8, v6
	s_xor_b32 s0, s7, s0
	s_delay_alu instid0(VALU_DEP_1) | instskip(SKIP_2) | instid1(VALU_DEP_3)
	v_or_b32_e32 v4, v5, v6
	v_cndmask_b32_e64 v6, 0, 1, s0
	v_cmp_gt_i32_e64 s0, s3, v1
	v_and_b32_e32 v4, 0xffff, v4
	s_delay_alu instid0(VALU_DEP_1) | instskip(SKIP_2) | instid1(VALU_DEP_3)
	v_dual_lshlrev_b32 v6, 16, v6 :: v_dual_cndmask_b32 v4, v5, v4, s0
	v_or_b32_e32 v5, 0x200, v0
	v_cmp_ne_u16_e64 s0, s6, v3
	v_or_b32_e32 v6, v4, v6
	s_delay_alu instid0(VALU_DEP_3) | instskip(SKIP_3) | instid1(VALU_DEP_2)
	v_cmp_gt_i32_e64 s1, s3, v5
	s_xor_b32 s0, s7, s0
	v_cndmask_b32_e64 v3, v4, v6, s1
	v_cndmask_b32_e64 v4, 0, 1, s0
	v_lshrrev_b32_e32 v5, 16, v3
	s_delay_alu instid0(VALU_DEP_2) | instskip(NEXT) | instid1(VALU_DEP_1)
	v_lshlrev_b16 v4, 8, v4
	v_bitop3_b16 v4, v5, v4, 0xff bitop3:0xec
	v_or_b32_e32 v5, 0x300, v0
	s_delay_alu instid0(VALU_DEP_2) | instskip(NEXT) | instid1(VALU_DEP_2)
	v_lshlrev_b32_e32 v4, 16, v4
	v_cmp_gt_i32_e64 s0, s3, v5
	s_delay_alu instid0(VALU_DEP_2) | instskip(NEXT) | instid1(VALU_DEP_1)
	v_and_or_b32 v4, 0xffff, v3, v4
	v_cndmask_b32_e64 v3, v3, v4, s0
	s_and_saveexec_b32 s0, vcc_lo
	s_cbranch_execnz .LBB28_13
; %bb.9:
	s_or_b32 exec_lo, exec_lo, s0
	s_delay_alu instid0(SALU_CYCLE_1)
	s_mov_b32 s0, exec_lo
	v_cmpx_gt_i32_e64 s3, v0
	s_cbranch_execnz .LBB28_14
.LBB28_10:
	s_or_b32 exec_lo, exec_lo, s0
	s_delay_alu instid0(SALU_CYCLE_1)
	s_mov_b32 s0, exec_lo
	v_cmpx_gt_i32_e64 s3, v0
	s_cbranch_execnz .LBB28_15
.LBB28_11:
	s_or_b32 exec_lo, exec_lo, s0
	s_delay_alu instid0(SALU_CYCLE_1)
	s_mov_b32 s0, exec_lo
	v_cmpx_gt_i32_e64 s3, v0
	s_cbranch_execnz .LBB28_16
.LBB28_12:
	s_endpgm
.LBB28_13:
	v_mov_b32_e32 v0, v1
	global_store_b8 v2, v3, s[4:5]
	s_wait_xcnt 0x0
	s_or_b32 exec_lo, exec_lo, s0
	s_delay_alu instid0(SALU_CYCLE_1)
	s_mov_b32 s0, exec_lo
	v_cmpx_gt_i32_e64 s3, v0
	s_cbranch_execz .LBB28_10
.LBB28_14:
	v_add_nc_u32_e32 v1, 0x100, v0
	v_dual_add_nc_u32 v2, s2, v0 :: v_dual_lshrrev_b32 v4, 8, v3
	s_delay_alu instid0(VALU_DEP_2) | instskip(SKIP_3) | instid1(SALU_CYCLE_1)
	v_mov_b32_e32 v0, v1
	global_store_b8 v2, v4, s[4:5]
	s_wait_xcnt 0x0
	s_or_b32 exec_lo, exec_lo, s0
	s_mov_b32 s0, exec_lo
	v_cmpx_gt_i32_e64 s3, v0
	s_cbranch_execz .LBB28_11
.LBB28_15:
	v_add_nc_u32_e32 v1, 0x100, v0
	s_delay_alu instid0(VALU_DEP_1) | instskip(SKIP_3) | instid1(SALU_CYCLE_1)
	v_dual_add_nc_u32 v2, s2, v0 :: v_dual_mov_b32 v0, v1
	global_store_d16_hi_b8 v2, v3, s[4:5]
	s_wait_xcnt 0x0
	s_or_b32 exec_lo, exec_lo, s0
	s_mov_b32 s0, exec_lo
	v_cmpx_gt_i32_e64 s3, v0
	s_cbranch_execz .LBB28_12
.LBB28_16:
	v_dual_add_nc_u32 v0, s2, v0 :: v_dual_lshrrev_b32 v1, 24, v3
	global_store_b8 v0, v1, s[4:5]
	s_endpgm
	.section	.rodata,"a",@progbits
	.p2align	6, 0x0
	.amdhsa_kernel _ZN2at6native27unrolled_elementwise_kernelINS0_13AUnaryFunctorIaabNS0_12_GLOBAL__N_116CompareEqFunctorIaEEEESt5arrayIPcLm2EELi4E23TrivialOffsetCalculatorILi1EjESB_NS0_6memory15LoadWithoutCastENSC_16StoreWithoutCastEEEviT_T0_T2_T3_T4_T5_
		.amdhsa_group_segment_fixed_size 0
		.amdhsa_private_segment_fixed_size 0
		.amdhsa_kernarg_size 36
		.amdhsa_user_sgpr_count 2
		.amdhsa_user_sgpr_dispatch_ptr 0
		.amdhsa_user_sgpr_queue_ptr 0
		.amdhsa_user_sgpr_kernarg_segment_ptr 1
		.amdhsa_user_sgpr_dispatch_id 0
		.amdhsa_user_sgpr_kernarg_preload_length 0
		.amdhsa_user_sgpr_kernarg_preload_offset 0
		.amdhsa_user_sgpr_private_segment_size 0
		.amdhsa_wavefront_size32 1
		.amdhsa_uses_dynamic_stack 0
		.amdhsa_enable_private_segment 0
		.amdhsa_system_sgpr_workgroup_id_x 1
		.amdhsa_system_sgpr_workgroup_id_y 0
		.amdhsa_system_sgpr_workgroup_id_z 0
		.amdhsa_system_sgpr_workgroup_info 0
		.amdhsa_system_vgpr_workitem_id 0
		.amdhsa_next_free_vgpr 8
		.amdhsa_next_free_sgpr 13
		.amdhsa_named_barrier_count 0
		.amdhsa_reserve_vcc 1
		.amdhsa_float_round_mode_32 0
		.amdhsa_float_round_mode_16_64 0
		.amdhsa_float_denorm_mode_32 3
		.amdhsa_float_denorm_mode_16_64 3
		.amdhsa_fp16_overflow 0
		.amdhsa_memory_ordered 1
		.amdhsa_forward_progress 1
		.amdhsa_inst_pref_size 7
		.amdhsa_round_robin_scheduling 0
		.amdhsa_exception_fp_ieee_invalid_op 0
		.amdhsa_exception_fp_denorm_src 0
		.amdhsa_exception_fp_ieee_div_zero 0
		.amdhsa_exception_fp_ieee_overflow 0
		.amdhsa_exception_fp_ieee_underflow 0
		.amdhsa_exception_fp_ieee_inexact 0
		.amdhsa_exception_int_div_zero 0
	.end_amdhsa_kernel
	.section	.text._ZN2at6native27unrolled_elementwise_kernelINS0_13AUnaryFunctorIaabNS0_12_GLOBAL__N_116CompareEqFunctorIaEEEESt5arrayIPcLm2EELi4E23TrivialOffsetCalculatorILi1EjESB_NS0_6memory15LoadWithoutCastENSC_16StoreWithoutCastEEEviT_T0_T2_T3_T4_T5_,"axG",@progbits,_ZN2at6native27unrolled_elementwise_kernelINS0_13AUnaryFunctorIaabNS0_12_GLOBAL__N_116CompareEqFunctorIaEEEESt5arrayIPcLm2EELi4E23TrivialOffsetCalculatorILi1EjESB_NS0_6memory15LoadWithoutCastENSC_16StoreWithoutCastEEEviT_T0_T2_T3_T4_T5_,comdat
.Lfunc_end28:
	.size	_ZN2at6native27unrolled_elementwise_kernelINS0_13AUnaryFunctorIaabNS0_12_GLOBAL__N_116CompareEqFunctorIaEEEESt5arrayIPcLm2EELi4E23TrivialOffsetCalculatorILi1EjESB_NS0_6memory15LoadWithoutCastENSC_16StoreWithoutCastEEEviT_T0_T2_T3_T4_T5_, .Lfunc_end28-_ZN2at6native27unrolled_elementwise_kernelINS0_13AUnaryFunctorIaabNS0_12_GLOBAL__N_116CompareEqFunctorIaEEEESt5arrayIPcLm2EELi4E23TrivialOffsetCalculatorILi1EjESB_NS0_6memory15LoadWithoutCastENSC_16StoreWithoutCastEEEviT_T0_T2_T3_T4_T5_
                                        ; -- End function
	.set _ZN2at6native27unrolled_elementwise_kernelINS0_13AUnaryFunctorIaabNS0_12_GLOBAL__N_116CompareEqFunctorIaEEEESt5arrayIPcLm2EELi4E23TrivialOffsetCalculatorILi1EjESB_NS0_6memory15LoadWithoutCastENSC_16StoreWithoutCastEEEviT_T0_T2_T3_T4_T5_.num_vgpr, 8
	.set _ZN2at6native27unrolled_elementwise_kernelINS0_13AUnaryFunctorIaabNS0_12_GLOBAL__N_116CompareEqFunctorIaEEEESt5arrayIPcLm2EELi4E23TrivialOffsetCalculatorILi1EjESB_NS0_6memory15LoadWithoutCastENSC_16StoreWithoutCastEEEviT_T0_T2_T3_T4_T5_.num_agpr, 0
	.set _ZN2at6native27unrolled_elementwise_kernelINS0_13AUnaryFunctorIaabNS0_12_GLOBAL__N_116CompareEqFunctorIaEEEESt5arrayIPcLm2EELi4E23TrivialOffsetCalculatorILi1EjESB_NS0_6memory15LoadWithoutCastENSC_16StoreWithoutCastEEEviT_T0_T2_T3_T4_T5_.numbered_sgpr, 13
	.set _ZN2at6native27unrolled_elementwise_kernelINS0_13AUnaryFunctorIaabNS0_12_GLOBAL__N_116CompareEqFunctorIaEEEESt5arrayIPcLm2EELi4E23TrivialOffsetCalculatorILi1EjESB_NS0_6memory15LoadWithoutCastENSC_16StoreWithoutCastEEEviT_T0_T2_T3_T4_T5_.num_named_barrier, 0
	.set _ZN2at6native27unrolled_elementwise_kernelINS0_13AUnaryFunctorIaabNS0_12_GLOBAL__N_116CompareEqFunctorIaEEEESt5arrayIPcLm2EELi4E23TrivialOffsetCalculatorILi1EjESB_NS0_6memory15LoadWithoutCastENSC_16StoreWithoutCastEEEviT_T0_T2_T3_T4_T5_.private_seg_size, 0
	.set _ZN2at6native27unrolled_elementwise_kernelINS0_13AUnaryFunctorIaabNS0_12_GLOBAL__N_116CompareEqFunctorIaEEEESt5arrayIPcLm2EELi4E23TrivialOffsetCalculatorILi1EjESB_NS0_6memory15LoadWithoutCastENSC_16StoreWithoutCastEEEviT_T0_T2_T3_T4_T5_.uses_vcc, 1
	.set _ZN2at6native27unrolled_elementwise_kernelINS0_13AUnaryFunctorIaabNS0_12_GLOBAL__N_116CompareEqFunctorIaEEEESt5arrayIPcLm2EELi4E23TrivialOffsetCalculatorILi1EjESB_NS0_6memory15LoadWithoutCastENSC_16StoreWithoutCastEEEviT_T0_T2_T3_T4_T5_.uses_flat_scratch, 0
	.set _ZN2at6native27unrolled_elementwise_kernelINS0_13AUnaryFunctorIaabNS0_12_GLOBAL__N_116CompareEqFunctorIaEEEESt5arrayIPcLm2EELi4E23TrivialOffsetCalculatorILi1EjESB_NS0_6memory15LoadWithoutCastENSC_16StoreWithoutCastEEEviT_T0_T2_T3_T4_T5_.has_dyn_sized_stack, 0
	.set _ZN2at6native27unrolled_elementwise_kernelINS0_13AUnaryFunctorIaabNS0_12_GLOBAL__N_116CompareEqFunctorIaEEEESt5arrayIPcLm2EELi4E23TrivialOffsetCalculatorILi1EjESB_NS0_6memory15LoadWithoutCastENSC_16StoreWithoutCastEEEviT_T0_T2_T3_T4_T5_.has_recursion, 0
	.set _ZN2at6native27unrolled_elementwise_kernelINS0_13AUnaryFunctorIaabNS0_12_GLOBAL__N_116CompareEqFunctorIaEEEESt5arrayIPcLm2EELi4E23TrivialOffsetCalculatorILi1EjESB_NS0_6memory15LoadWithoutCastENSC_16StoreWithoutCastEEEviT_T0_T2_T3_T4_T5_.has_indirect_call, 0
	.section	.AMDGPU.csdata,"",@progbits
; Kernel info:
; codeLenInByte = 892
; TotalNumSgprs: 15
; NumVgprs: 8
; ScratchSize: 0
; MemoryBound: 0
; FloatMode: 240
; IeeeMode: 1
; LDSByteSize: 0 bytes/workgroup (compile time only)
; SGPRBlocks: 0
; VGPRBlocks: 0
; NumSGPRsForWavesPerEU: 15
; NumVGPRsForWavesPerEU: 8
; NamedBarCnt: 0
; Occupancy: 16
; WaveLimiterHint : 0
; COMPUTE_PGM_RSRC2:SCRATCH_EN: 0
; COMPUTE_PGM_RSRC2:USER_SGPR: 2
; COMPUTE_PGM_RSRC2:TRAP_HANDLER: 0
; COMPUTE_PGM_RSRC2:TGID_X_EN: 1
; COMPUTE_PGM_RSRC2:TGID_Y_EN: 0
; COMPUTE_PGM_RSRC2:TGID_Z_EN: 0
; COMPUTE_PGM_RSRC2:TIDIG_COMP_CNT: 0
	.section	.text._ZN2at6native32elementwise_kernel_manual_unrollILi128ELi8EZNS0_22gpu_kernel_impl_nocastINS0_13AUnaryFunctorIaabNS0_12_GLOBAL__N_116CompareEqFunctorIaEEEEEEvRNS_18TensorIteratorBaseERKT_EUlibE_EEviT1_,"axG",@progbits,_ZN2at6native32elementwise_kernel_manual_unrollILi128ELi8EZNS0_22gpu_kernel_impl_nocastINS0_13AUnaryFunctorIaabNS0_12_GLOBAL__N_116CompareEqFunctorIaEEEEEEvRNS_18TensorIteratorBaseERKT_EUlibE_EEviT1_,comdat
	.globl	_ZN2at6native32elementwise_kernel_manual_unrollILi128ELi8EZNS0_22gpu_kernel_impl_nocastINS0_13AUnaryFunctorIaabNS0_12_GLOBAL__N_116CompareEqFunctorIaEEEEEEvRNS_18TensorIteratorBaseERKT_EUlibE_EEviT1_ ; -- Begin function _ZN2at6native32elementwise_kernel_manual_unrollILi128ELi8EZNS0_22gpu_kernel_impl_nocastINS0_13AUnaryFunctorIaabNS0_12_GLOBAL__N_116CompareEqFunctorIaEEEEEEvRNS_18TensorIteratorBaseERKT_EUlibE_EEviT1_
	.p2align	8
	.type	_ZN2at6native32elementwise_kernel_manual_unrollILi128ELi8EZNS0_22gpu_kernel_impl_nocastINS0_13AUnaryFunctorIaabNS0_12_GLOBAL__N_116CompareEqFunctorIaEEEEEEvRNS_18TensorIteratorBaseERKT_EUlibE_EEviT1_,@function
_ZN2at6native32elementwise_kernel_manual_unrollILi128ELi8EZNS0_22gpu_kernel_impl_nocastINS0_13AUnaryFunctorIaabNS0_12_GLOBAL__N_116CompareEqFunctorIaEEEEEEvRNS_18TensorIteratorBaseERKT_EUlibE_EEviT1_: ; @_ZN2at6native32elementwise_kernel_manual_unrollILi128ELi8EZNS0_22gpu_kernel_impl_nocastINS0_13AUnaryFunctorIaabNS0_12_GLOBAL__N_116CompareEqFunctorIaEEEEEEvRNS_18TensorIteratorBaseERKT_EUlibE_EEviT1_
; %bb.0:
	s_clause 0x1
	s_load_b32 s30, s[0:1], 0x8
	s_load_b32 s36, s[0:1], 0x0
	s_bfe_u32 s2, ttmp6, 0x4000c
	s_and_b32 s3, ttmp6, 15
	s_add_co_i32 s2, s2, 1
	s_getreg_b32 s4, hwreg(HW_REG_IB_STS2, 6, 4)
	s_mul_i32 s2, ttmp9, s2
	s_add_nc_u64 s[12:13], s[0:1], 8
	s_add_co_i32 s3, s3, s2
	s_cmp_eq_u32 s4, 0
	s_mov_b32 s19, 0
	s_cselect_b32 s2, ttmp9, s3
	s_wait_xcnt 0x0
	s_mov_b32 s0, exec_lo
	v_lshl_or_b32 v0, s2, 10, v0
	s_delay_alu instid0(VALU_DEP_1) | instskip(SKIP_2) | instid1(SALU_CYCLE_1)
	v_or_b32_e32 v16, 0x380, v0
	s_wait_kmcnt 0x0
	s_add_co_i32 s31, s30, -1
	s_cmp_gt_u32 s31, 1
	s_cselect_b32 s33, -1, 0
	v_cmpx_le_i32_e64 s36, v16
	s_xor_b32 s34, exec_lo, s0
	s_cbranch_execz .LBB29_7
; %bb.1:
	s_clause 0x4
	s_load_b128 s[4:7], s[12:13], 0x4
	s_load_b64 s[16:17], s[12:13], 0x14
	s_load_b64 s[14:15], s[12:13], 0x158
	s_load_b128 s[8:11], s[12:13], 0xc4
	s_load_b128 s[0:3], s[12:13], 0x148
	s_cmp_lg_u32 s30, 0
	s_add_nc_u64 s[22:23], s[12:13], 0xc4
	s_cselect_b32 s38, -1, 0
	s_min_u32 s37, s31, 15
	s_cmp_gt_u32 s30, 1
	s_mov_b32 s21, s19
	s_cselect_b32 s35, -1, 0
	s_wait_kmcnt 0x0
	s_mov_b32 s18, s5
	s_mov_b32 s20, s16
	s_cmp_eq_u32 s14, 0
	s_mov_b32 s14, exec_lo
	s_cselect_b32 s5, -1, 0
	v_cmpx_gt_i32_e64 s36, v0
	s_cbranch_execz .LBB29_14
; %bb.2:
	s_and_not1_b32 vcc_lo, exec_lo, s33
	s_cbranch_vccnz .LBB29_21
; %bb.3:
	s_and_not1_b32 vcc_lo, exec_lo, s38
	s_cbranch_vccnz .LBB29_129
; %bb.4:
	s_add_co_i32 s16, s37, 1
	s_cmp_eq_u32 s31, 2
	s_cbranch_scc1 .LBB29_131
; %bb.5:
	v_dual_mov_b32 v2, 0 :: v_dual_mov_b32 v3, 0
	v_mov_b32_e32 v1, v0
	s_and_b32 s24, s16, 28
	s_mov_b32 s25, 0
	s_mov_b64 s[26:27], s[12:13]
	s_mov_b64 s[28:29], s[22:23]
.LBB29_6:                               ; =>This Inner Loop Header: Depth=1
	s_clause 0x1
	s_load_b256 s[40:47], s[26:27], 0x4
	s_load_b128 s[56:59], s[26:27], 0x24
	s_load_b256 s[48:55], s[28:29], 0x0
	s_add_co_i32 s25, s25, 4
	s_wait_xcnt 0x0
	s_add_nc_u64 s[26:27], s[26:27], 48
	s_cmp_lg_u32 s24, s25
	s_add_nc_u64 s[28:29], s[28:29], 32
	s_wait_kmcnt 0x0
	v_mul_hi_u32 v4, s41, v1
	s_delay_alu instid0(VALU_DEP_1) | instskip(NEXT) | instid1(VALU_DEP_1)
	v_add_nc_u32_e32 v4, v1, v4
	v_lshrrev_b32_e32 v4, s42, v4
	s_delay_alu instid0(VALU_DEP_1) | instskip(NEXT) | instid1(VALU_DEP_1)
	v_mul_hi_u32 v5, s44, v4
	v_add_nc_u32_e32 v5, v4, v5
	s_delay_alu instid0(VALU_DEP_1) | instskip(NEXT) | instid1(VALU_DEP_1)
	v_lshrrev_b32_e32 v5, s45, v5
	v_mul_hi_u32 v6, s47, v5
	s_delay_alu instid0(VALU_DEP_1) | instskip(SKIP_1) | instid1(VALU_DEP_1)
	v_add_nc_u32_e32 v6, v5, v6
	v_mul_lo_u32 v7, v4, s40
	v_sub_nc_u32_e32 v1, v1, v7
	v_mul_lo_u32 v7, v5, s43
	s_delay_alu instid0(VALU_DEP_4) | instskip(NEXT) | instid1(VALU_DEP_3)
	v_lshrrev_b32_e32 v6, s56, v6
	v_mad_u32 v3, v1, s49, v3
	v_mad_u32 v1, v1, s48, v2
	s_delay_alu instid0(VALU_DEP_4) | instskip(NEXT) | instid1(VALU_DEP_4)
	v_sub_nc_u32_e32 v2, v4, v7
	v_mul_hi_u32 v8, s58, v6
	v_mul_lo_u32 v4, v6, s46
	s_delay_alu instid0(VALU_DEP_3) | instskip(SKIP_1) | instid1(VALU_DEP_4)
	v_mad_u32 v3, v2, s51, v3
	v_mad_u32 v2, v2, s50, v1
	v_add_nc_u32_e32 v7, v6, v8
	s_delay_alu instid0(VALU_DEP_1) | instskip(NEXT) | instid1(VALU_DEP_1)
	v_dual_sub_nc_u32 v4, v5, v4 :: v_dual_lshrrev_b32 v1, s59, v7
	v_mad_u32 v3, v4, s53, v3
	s_delay_alu instid0(VALU_DEP_4) | instskip(NEXT) | instid1(VALU_DEP_3)
	v_mad_u32 v2, v4, s52, v2
	v_mul_lo_u32 v5, v1, s57
	s_delay_alu instid0(VALU_DEP_1) | instskip(NEXT) | instid1(VALU_DEP_1)
	v_sub_nc_u32_e32 v4, v6, v5
	v_mad_u32 v3, v4, s55, v3
	s_delay_alu instid0(VALU_DEP_4)
	v_mad_u32 v2, v4, s54, v2
	s_cbranch_scc1 .LBB29_6
	s_branch .LBB29_132
.LBB29_7:
	s_and_not1_saveexec_b32 s0, s34
	s_cbranch_execz .LBB29_221
.LBB29_8:
	v_cndmask_b32_e64 v14, 0, 1, s33
	s_and_not1_b32 vcc_lo, exec_lo, s33
	s_cbranch_vccnz .LBB29_20
; %bb.9:
	s_cmp_lg_u32 s30, 0
	s_mov_b32 s6, 0
	s_cbranch_scc0 .LBB29_23
; %bb.10:
	s_min_u32 s1, s31, 15
	s_delay_alu instid0(SALU_CYCLE_1)
	s_add_co_i32 s1, s1, 1
	s_cmp_eq_u32 s31, 2
	s_cbranch_scc1 .LBB29_24
; %bb.11:
	v_dual_mov_b32 v2, 0 :: v_dual_mov_b32 v3, 0
	v_mov_b32_e32 v1, v0
	s_and_b32 s0, s1, 28
	s_add_nc_u64 s[2:3], s[12:13], 0xc4
	s_mov_b32 s7, 0
	s_mov_b64 s[4:5], s[12:13]
.LBB29_12:                              ; =>This Inner Loop Header: Depth=1
	s_clause 0x1
	s_load_b256 s[16:23], s[4:5], 0x4
	s_load_b128 s[8:11], s[4:5], 0x24
	s_load_b256 s[36:43], s[2:3], 0x0
	s_add_co_i32 s7, s7, 4
	s_wait_xcnt 0x0
	s_add_nc_u64 s[4:5], s[4:5], 48
	s_cmp_lg_u32 s0, s7
	s_add_nc_u64 s[2:3], s[2:3], 32
	s_wait_kmcnt 0x0
	v_mul_hi_u32 v4, s17, v1
	s_delay_alu instid0(VALU_DEP_1) | instskip(NEXT) | instid1(VALU_DEP_1)
	v_add_nc_u32_e32 v4, v1, v4
	v_lshrrev_b32_e32 v4, s18, v4
	s_delay_alu instid0(VALU_DEP_1) | instskip(NEXT) | instid1(VALU_DEP_1)
	v_mul_hi_u32 v5, s20, v4
	v_add_nc_u32_e32 v5, v4, v5
	s_delay_alu instid0(VALU_DEP_1) | instskip(NEXT) | instid1(VALU_DEP_1)
	v_lshrrev_b32_e32 v5, s21, v5
	v_mul_hi_u32 v6, s23, v5
	s_delay_alu instid0(VALU_DEP_1) | instskip(SKIP_1) | instid1(VALU_DEP_1)
	v_add_nc_u32_e32 v6, v5, v6
	v_mul_lo_u32 v7, v4, s16
	v_sub_nc_u32_e32 v1, v1, v7
	v_mul_lo_u32 v7, v5, s19
	s_delay_alu instid0(VALU_DEP_4) | instskip(NEXT) | instid1(VALU_DEP_3)
	v_lshrrev_b32_e32 v6, s8, v6
	v_mad_u32 v3, v1, s37, v3
	v_mad_u32 v1, v1, s36, v2
	s_delay_alu instid0(VALU_DEP_4) | instskip(NEXT) | instid1(VALU_DEP_4)
	v_sub_nc_u32_e32 v2, v4, v7
	v_mul_hi_u32 v8, s10, v6
	v_mul_lo_u32 v4, v6, s22
	s_delay_alu instid0(VALU_DEP_3) | instskip(SKIP_1) | instid1(VALU_DEP_4)
	v_mad_u32 v3, v2, s39, v3
	v_mad_u32 v2, v2, s38, v1
	v_add_nc_u32_e32 v7, v6, v8
	s_delay_alu instid0(VALU_DEP_1) | instskip(NEXT) | instid1(VALU_DEP_1)
	v_dual_sub_nc_u32 v4, v5, v4 :: v_dual_lshrrev_b32 v1, s11, v7
	v_mad_u32 v3, v4, s41, v3
	s_delay_alu instid0(VALU_DEP_4) | instskip(NEXT) | instid1(VALU_DEP_3)
	v_mad_u32 v2, v4, s40, v2
	v_mul_lo_u32 v5, v1, s9
	s_delay_alu instid0(VALU_DEP_1) | instskip(NEXT) | instid1(VALU_DEP_1)
	v_sub_nc_u32_e32 v4, v6, v5
	v_mad_u32 v3, v4, s43, v3
	s_delay_alu instid0(VALU_DEP_4)
	v_mad_u32 v2, v4, s42, v2
	s_cbranch_scc1 .LBB29_12
; %bb.13:
	s_and_b32 s4, s1, 3
	s_mov_b32 s1, 0
	s_cmp_eq_u32 s4, 0
	s_cbranch_scc0 .LBB29_25
	s_branch .LBB29_27
.LBB29_14:
	s_or_b32 exec_lo, exec_lo, s14
	s_delay_alu instid0(SALU_CYCLE_1)
	s_mov_b32 s14, exec_lo
	v_cmpx_gt_i32_e64 s36, v0
	s_cbranch_execz .LBB29_139
.LBB29_15:
	s_and_not1_b32 vcc_lo, exec_lo, s33
	s_cbranch_vccnz .LBB29_22
; %bb.16:
	s_and_not1_b32 vcc_lo, exec_lo, s38
	s_cbranch_vccnz .LBB29_130
; %bb.17:
	s_add_co_i32 s16, s37, 1
	s_cmp_eq_u32 s31, 2
	s_cbranch_scc1 .LBB29_147
; %bb.18:
	v_dual_mov_b32 v2, 0 :: v_dual_mov_b32 v3, 0
	v_mov_b32_e32 v1, v0
	s_and_b32 s24, s16, 28
	s_mov_b32 s25, 0
	s_mov_b64 s[26:27], s[12:13]
	s_mov_b64 s[28:29], s[22:23]
.LBB29_19:                              ; =>This Inner Loop Header: Depth=1
	s_clause 0x1
	s_load_b256 s[40:47], s[26:27], 0x4
	s_load_b128 s[56:59], s[26:27], 0x24
	s_load_b256 s[48:55], s[28:29], 0x0
	s_add_co_i32 s25, s25, 4
	s_wait_xcnt 0x0
	s_add_nc_u64 s[26:27], s[26:27], 48
	s_cmp_eq_u32 s24, s25
	s_add_nc_u64 s[28:29], s[28:29], 32
	s_wait_kmcnt 0x0
	v_mul_hi_u32 v4, s41, v1
	s_delay_alu instid0(VALU_DEP_1) | instskip(NEXT) | instid1(VALU_DEP_1)
	v_add_nc_u32_e32 v4, v1, v4
	v_lshrrev_b32_e32 v4, s42, v4
	s_delay_alu instid0(VALU_DEP_1) | instskip(NEXT) | instid1(VALU_DEP_1)
	v_mul_hi_u32 v5, s44, v4
	v_add_nc_u32_e32 v5, v4, v5
	s_delay_alu instid0(VALU_DEP_1) | instskip(NEXT) | instid1(VALU_DEP_1)
	v_lshrrev_b32_e32 v5, s45, v5
	v_mul_hi_u32 v6, s47, v5
	s_delay_alu instid0(VALU_DEP_1) | instskip(SKIP_1) | instid1(VALU_DEP_1)
	v_add_nc_u32_e32 v6, v5, v6
	v_mul_lo_u32 v7, v4, s40
	v_sub_nc_u32_e32 v1, v1, v7
	v_mul_lo_u32 v7, v5, s43
	s_delay_alu instid0(VALU_DEP_4) | instskip(NEXT) | instid1(VALU_DEP_3)
	v_lshrrev_b32_e32 v6, s56, v6
	v_mad_u32 v3, v1, s49, v3
	v_mad_u32 v1, v1, s48, v2
	s_delay_alu instid0(VALU_DEP_4) | instskip(NEXT) | instid1(VALU_DEP_4)
	v_sub_nc_u32_e32 v2, v4, v7
	v_mul_hi_u32 v8, s58, v6
	v_mul_lo_u32 v4, v6, s46
	s_delay_alu instid0(VALU_DEP_3) | instskip(SKIP_1) | instid1(VALU_DEP_4)
	v_mad_u32 v3, v2, s51, v3
	v_mad_u32 v2, v2, s50, v1
	v_add_nc_u32_e32 v7, v6, v8
	s_delay_alu instid0(VALU_DEP_1) | instskip(NEXT) | instid1(VALU_DEP_1)
	v_dual_sub_nc_u32 v4, v5, v4 :: v_dual_lshrrev_b32 v1, s59, v7
	v_mad_u32 v3, v4, s53, v3
	s_delay_alu instid0(VALU_DEP_4) | instskip(NEXT) | instid1(VALU_DEP_3)
	v_mad_u32 v2, v4, s52, v2
	v_mul_lo_u32 v5, v1, s57
	s_delay_alu instid0(VALU_DEP_1) | instskip(NEXT) | instid1(VALU_DEP_1)
	v_sub_nc_u32_e32 v4, v6, v5
	v_mad_u32 v3, v4, s55, v3
	s_delay_alu instid0(VALU_DEP_4)
	v_mad_u32 v2, v4, s54, v2
	s_cbranch_scc0 .LBB29_19
	s_branch .LBB29_148
.LBB29_20:
	s_mov_b32 s6, -1
                                        ; implicit-def: $vgpr3
	s_branch .LBB29_27
.LBB29_21:
                                        ; implicit-def: $vgpr3
	s_branch .LBB29_136
.LBB29_22:
                                        ; implicit-def: $vgpr3
	s_branch .LBB29_152
.LBB29_23:
	v_dual_mov_b32 v3, 0 :: v_dual_mov_b32 v2, 0
	s_branch .LBB29_27
.LBB29_24:
	v_mov_b64_e32 v[2:3], 0
	v_mov_b32_e32 v1, v0
	s_mov_b32 s0, 0
	s_and_b32 s4, s1, 3
	s_mov_b32 s1, 0
	s_cmp_eq_u32 s4, 0
	s_cbranch_scc1 .LBB29_27
.LBB29_25:
	s_lshl_b32 s2, s0, 3
	s_mov_b32 s3, s1
	s_mul_u64 s[8:9], s[0:1], 12
	s_add_nc_u64 s[2:3], s[12:13], s[2:3]
	s_delay_alu instid0(SALU_CYCLE_1)
	s_add_nc_u64 s[0:1], s[2:3], 0xc4
	s_add_nc_u64 s[2:3], s[12:13], s[8:9]
.LBB29_26:                              ; =>This Inner Loop Header: Depth=1
	s_load_b96 s[8:10], s[2:3], 0x4
	s_add_co_i32 s4, s4, -1
	s_wait_xcnt 0x0
	s_add_nc_u64 s[2:3], s[2:3], 12
	s_cmp_lg_u32 s4, 0
	s_wait_kmcnt 0x0
	v_mul_hi_u32 v4, s9, v1
	s_delay_alu instid0(VALU_DEP_1) | instskip(NEXT) | instid1(VALU_DEP_1)
	v_add_nc_u32_e32 v4, v1, v4
	v_lshrrev_b32_e32 v4, s10, v4
	s_load_b64 s[10:11], s[0:1], 0x0
	s_wait_xcnt 0x0
	s_add_nc_u64 s[0:1], s[0:1], 8
	s_delay_alu instid0(VALU_DEP_1) | instskip(NEXT) | instid1(VALU_DEP_1)
	v_mul_lo_u32 v5, v4, s8
	v_sub_nc_u32_e32 v1, v1, v5
	s_wait_kmcnt 0x0
	s_delay_alu instid0(VALU_DEP_1)
	v_mad_u32 v3, v1, s11, v3
	v_mad_u32 v2, v1, s10, v2
	v_mov_b32_e32 v1, v4
	s_cbranch_scc1 .LBB29_26
.LBB29_27:
	s_and_not1_b32 vcc_lo, exec_lo, s6
	s_cbranch_vccnz .LBB29_30
; %bb.28:
	s_clause 0x1
	s_load_b96 s[0:2], s[12:13], 0x4
	s_load_b64 s[4:5], s[12:13], 0xc4
	s_cmp_lt_u32 s30, 2
	s_wait_kmcnt 0x0
	v_mul_hi_u32 v1, s1, v0
	s_delay_alu instid0(VALU_DEP_1) | instskip(NEXT) | instid1(VALU_DEP_1)
	v_add_nc_u32_e32 v1, v0, v1
	v_lshrrev_b32_e32 v1, s2, v1
	s_delay_alu instid0(VALU_DEP_1) | instskip(NEXT) | instid1(VALU_DEP_1)
	v_mul_lo_u32 v2, v1, s0
	v_sub_nc_u32_e32 v2, v0, v2
	s_delay_alu instid0(VALU_DEP_1)
	v_mul_lo_u32 v3, v2, s5
	v_mul_lo_u32 v2, v2, s4
	s_cbranch_scc1 .LBB29_30
; %bb.29:
	s_clause 0x1
	s_load_b96 s[0:2], s[12:13], 0x10
	s_load_b64 s[4:5], s[12:13], 0xcc
	s_wait_kmcnt 0x0
	v_mul_hi_u32 v4, s1, v1
	s_delay_alu instid0(VALU_DEP_1) | instskip(NEXT) | instid1(VALU_DEP_1)
	v_add_nc_u32_e32 v4, v1, v4
	v_lshrrev_b32_e32 v4, s2, v4
	s_delay_alu instid0(VALU_DEP_1) | instskip(NEXT) | instid1(VALU_DEP_1)
	v_mul_lo_u32 v4, v4, s0
	v_sub_nc_u32_e32 v1, v1, v4
	s_delay_alu instid0(VALU_DEP_1)
	v_mad_u32 v2, v1, s4, v2
	v_mad_u32 v3, v1, s5, v3
.LBB29_30:
	v_cmp_ne_u32_e32 vcc_lo, 1, v14
	v_add_nc_u32_e32 v1, 0x80, v0
	s_cbranch_vccnz .LBB29_36
; %bb.31:
	s_cmp_lg_u32 s30, 0
	s_mov_b32 s6, 0
	s_cbranch_scc0 .LBB29_37
; %bb.32:
	s_min_u32 s1, s31, 15
	s_delay_alu instid0(SALU_CYCLE_1)
	s_add_co_i32 s1, s1, 1
	s_cmp_eq_u32 s31, 2
	s_cbranch_scc1 .LBB29_38
; %bb.33:
	v_dual_mov_b32 v4, 0 :: v_dual_mov_b32 v5, 0
	v_mov_b32_e32 v6, v1
	s_and_b32 s0, s1, 28
	s_add_nc_u64 s[2:3], s[12:13], 0xc4
	s_mov_b32 s7, 0
	s_mov_b64 s[4:5], s[12:13]
.LBB29_34:                              ; =>This Inner Loop Header: Depth=1
	s_clause 0x1
	s_load_b256 s[16:23], s[4:5], 0x4
	s_load_b128 s[8:11], s[4:5], 0x24
	s_load_b256 s[36:43], s[2:3], 0x0
	s_add_co_i32 s7, s7, 4
	s_wait_xcnt 0x0
	s_add_nc_u64 s[4:5], s[4:5], 48
	s_cmp_lg_u32 s0, s7
	s_add_nc_u64 s[2:3], s[2:3], 32
	s_wait_kmcnt 0x0
	v_mul_hi_u32 v7, s17, v6
	s_delay_alu instid0(VALU_DEP_1) | instskip(NEXT) | instid1(VALU_DEP_1)
	v_add_nc_u32_e32 v7, v6, v7
	v_lshrrev_b32_e32 v7, s18, v7
	s_delay_alu instid0(VALU_DEP_1) | instskip(NEXT) | instid1(VALU_DEP_1)
	v_mul_hi_u32 v8, s20, v7
	v_add_nc_u32_e32 v8, v7, v8
	s_delay_alu instid0(VALU_DEP_1) | instskip(NEXT) | instid1(VALU_DEP_1)
	v_lshrrev_b32_e32 v8, s21, v8
	v_mul_hi_u32 v9, s23, v8
	s_delay_alu instid0(VALU_DEP_1) | instskip(SKIP_1) | instid1(VALU_DEP_1)
	v_add_nc_u32_e32 v9, v8, v9
	v_mul_lo_u32 v10, v7, s16
	v_sub_nc_u32_e32 v6, v6, v10
	v_mul_lo_u32 v10, v8, s19
	s_delay_alu instid0(VALU_DEP_4) | instskip(NEXT) | instid1(VALU_DEP_3)
	v_lshrrev_b32_e32 v9, s8, v9
	v_mad_u32 v5, v6, s37, v5
	v_mad_u32 v4, v6, s36, v4
	s_delay_alu instid0(VALU_DEP_4) | instskip(NEXT) | instid1(VALU_DEP_4)
	v_sub_nc_u32_e32 v6, v7, v10
	v_mul_hi_u32 v11, s10, v9
	v_mul_lo_u32 v7, v9, s22
	s_delay_alu instid0(VALU_DEP_3) | instskip(SKIP_1) | instid1(VALU_DEP_4)
	v_mad_u32 v5, v6, s39, v5
	v_mad_u32 v4, v6, s38, v4
	v_add_nc_u32_e32 v10, v9, v11
	s_delay_alu instid0(VALU_DEP_1) | instskip(NEXT) | instid1(VALU_DEP_1)
	v_dual_sub_nc_u32 v7, v8, v7 :: v_dual_lshrrev_b32 v6, s11, v10
	v_mad_u32 v5, v7, s41, v5
	s_delay_alu instid0(VALU_DEP_4) | instskip(NEXT) | instid1(VALU_DEP_3)
	v_mad_u32 v4, v7, s40, v4
	v_mul_lo_u32 v8, v6, s9
	s_delay_alu instid0(VALU_DEP_1) | instskip(NEXT) | instid1(VALU_DEP_1)
	v_sub_nc_u32_e32 v7, v9, v8
	v_mad_u32 v5, v7, s43, v5
	s_delay_alu instid0(VALU_DEP_4)
	v_mad_u32 v4, v7, s42, v4
	s_cbranch_scc1 .LBB29_34
; %bb.35:
	s_and_b32 s4, s1, 3
	s_mov_b32 s1, 0
	s_cmp_eq_u32 s4, 0
	s_cbranch_scc0 .LBB29_39
	s_branch .LBB29_41
.LBB29_36:
	s_mov_b32 s6, -1
                                        ; implicit-def: $vgpr5
	s_branch .LBB29_41
.LBB29_37:
	v_dual_mov_b32 v5, 0 :: v_dual_mov_b32 v4, 0
	s_branch .LBB29_41
.LBB29_38:
	v_mov_b64_e32 v[4:5], 0
	v_mov_b32_e32 v6, v1
	s_mov_b32 s0, 0
	s_and_b32 s4, s1, 3
	s_mov_b32 s1, 0
	s_cmp_eq_u32 s4, 0
	s_cbranch_scc1 .LBB29_41
.LBB29_39:
	s_lshl_b32 s2, s0, 3
	s_mov_b32 s3, s1
	s_mul_u64 s[8:9], s[0:1], 12
	s_add_nc_u64 s[2:3], s[12:13], s[2:3]
	s_delay_alu instid0(SALU_CYCLE_1)
	s_add_nc_u64 s[0:1], s[2:3], 0xc4
	s_add_nc_u64 s[2:3], s[12:13], s[8:9]
.LBB29_40:                              ; =>This Inner Loop Header: Depth=1
	s_load_b96 s[8:10], s[2:3], 0x4
	s_add_co_i32 s4, s4, -1
	s_wait_xcnt 0x0
	s_add_nc_u64 s[2:3], s[2:3], 12
	s_cmp_lg_u32 s4, 0
	s_wait_kmcnt 0x0
	v_mul_hi_u32 v7, s9, v6
	s_delay_alu instid0(VALU_DEP_1) | instskip(NEXT) | instid1(VALU_DEP_1)
	v_add_nc_u32_e32 v7, v6, v7
	v_lshrrev_b32_e32 v7, s10, v7
	s_load_b64 s[10:11], s[0:1], 0x0
	s_wait_xcnt 0x0
	s_add_nc_u64 s[0:1], s[0:1], 8
	s_delay_alu instid0(VALU_DEP_1) | instskip(NEXT) | instid1(VALU_DEP_1)
	v_mul_lo_u32 v8, v7, s8
	v_sub_nc_u32_e32 v6, v6, v8
	s_wait_kmcnt 0x0
	s_delay_alu instid0(VALU_DEP_1)
	v_mad_u32 v5, v6, s11, v5
	v_mad_u32 v4, v6, s10, v4
	v_mov_b32_e32 v6, v7
	s_cbranch_scc1 .LBB29_40
.LBB29_41:
	s_and_not1_b32 vcc_lo, exec_lo, s6
	s_cbranch_vccnz .LBB29_44
; %bb.42:
	s_clause 0x1
	s_load_b96 s[0:2], s[12:13], 0x4
	s_load_b64 s[4:5], s[12:13], 0xc4
	s_cmp_lt_u32 s30, 2
	s_wait_kmcnt 0x0
	v_mul_hi_u32 v4, s1, v1
	s_delay_alu instid0(VALU_DEP_1) | instskip(NEXT) | instid1(VALU_DEP_1)
	v_add_nc_u32_e32 v4, v1, v4
	v_lshrrev_b32_e32 v6, s2, v4
	s_delay_alu instid0(VALU_DEP_1) | instskip(NEXT) | instid1(VALU_DEP_1)
	v_mul_lo_u32 v4, v6, s0
	v_sub_nc_u32_e32 v1, v1, v4
	s_delay_alu instid0(VALU_DEP_1)
	v_mul_lo_u32 v5, v1, s5
	v_mul_lo_u32 v4, v1, s4
	s_cbranch_scc1 .LBB29_44
; %bb.43:
	s_clause 0x1
	s_load_b96 s[0:2], s[12:13], 0x10
	s_load_b64 s[4:5], s[12:13], 0xcc
	s_wait_kmcnt 0x0
	v_mul_hi_u32 v1, s1, v6
	s_delay_alu instid0(VALU_DEP_1) | instskip(NEXT) | instid1(VALU_DEP_1)
	v_add_nc_u32_e32 v1, v6, v1
	v_lshrrev_b32_e32 v1, s2, v1
	s_delay_alu instid0(VALU_DEP_1) | instskip(NEXT) | instid1(VALU_DEP_1)
	v_mul_lo_u32 v1, v1, s0
	v_sub_nc_u32_e32 v1, v6, v1
	s_delay_alu instid0(VALU_DEP_1)
	v_mad_u32 v4, v1, s4, v4
	v_mad_u32 v5, v1, s5, v5
.LBB29_44:
	v_cmp_ne_u32_e32 vcc_lo, 1, v14
	v_add_nc_u32_e32 v1, 0x100, v0
	s_cbranch_vccnz .LBB29_50
; %bb.45:
	s_cmp_lg_u32 s30, 0
	s_mov_b32 s6, 0
	s_cbranch_scc0 .LBB29_51
; %bb.46:
	s_min_u32 s1, s31, 15
	s_delay_alu instid0(SALU_CYCLE_1)
	s_add_co_i32 s1, s1, 1
	s_cmp_eq_u32 s31, 2
	s_cbranch_scc1 .LBB29_52
; %bb.47:
	v_dual_mov_b32 v6, 0 :: v_dual_mov_b32 v7, 0
	v_mov_b32_e32 v8, v1
	s_and_b32 s0, s1, 28
	s_add_nc_u64 s[2:3], s[12:13], 0xc4
	s_mov_b32 s7, 0
	s_mov_b64 s[4:5], s[12:13]
.LBB29_48:                              ; =>This Inner Loop Header: Depth=1
	s_clause 0x1
	s_load_b256 s[16:23], s[4:5], 0x4
	s_load_b128 s[8:11], s[4:5], 0x24
	s_load_b256 s[36:43], s[2:3], 0x0
	s_add_co_i32 s7, s7, 4
	s_wait_xcnt 0x0
	s_add_nc_u64 s[4:5], s[4:5], 48
	s_cmp_lg_u32 s0, s7
	s_add_nc_u64 s[2:3], s[2:3], 32
	s_wait_kmcnt 0x0
	v_mul_hi_u32 v9, s17, v8
	s_delay_alu instid0(VALU_DEP_1) | instskip(NEXT) | instid1(VALU_DEP_1)
	v_add_nc_u32_e32 v9, v8, v9
	v_lshrrev_b32_e32 v9, s18, v9
	s_delay_alu instid0(VALU_DEP_1) | instskip(NEXT) | instid1(VALU_DEP_1)
	v_mul_hi_u32 v10, s20, v9
	v_add_nc_u32_e32 v10, v9, v10
	s_delay_alu instid0(VALU_DEP_1) | instskip(NEXT) | instid1(VALU_DEP_1)
	v_lshrrev_b32_e32 v10, s21, v10
	v_mul_hi_u32 v11, s23, v10
	s_delay_alu instid0(VALU_DEP_1) | instskip(SKIP_1) | instid1(VALU_DEP_1)
	v_add_nc_u32_e32 v11, v10, v11
	v_mul_lo_u32 v12, v9, s16
	v_sub_nc_u32_e32 v8, v8, v12
	v_mul_lo_u32 v12, v10, s19
	s_delay_alu instid0(VALU_DEP_4) | instskip(NEXT) | instid1(VALU_DEP_3)
	v_lshrrev_b32_e32 v11, s8, v11
	v_mad_u32 v7, v8, s37, v7
	v_mad_u32 v6, v8, s36, v6
	s_delay_alu instid0(VALU_DEP_4) | instskip(NEXT) | instid1(VALU_DEP_4)
	v_sub_nc_u32_e32 v8, v9, v12
	v_mul_hi_u32 v13, s10, v11
	v_mul_lo_u32 v9, v11, s22
	s_delay_alu instid0(VALU_DEP_3) | instskip(SKIP_1) | instid1(VALU_DEP_4)
	v_mad_u32 v7, v8, s39, v7
	v_mad_u32 v6, v8, s38, v6
	v_add_nc_u32_e32 v12, v11, v13
	s_delay_alu instid0(VALU_DEP_1) | instskip(NEXT) | instid1(VALU_DEP_1)
	v_dual_sub_nc_u32 v9, v10, v9 :: v_dual_lshrrev_b32 v8, s11, v12
	v_mad_u32 v7, v9, s41, v7
	s_delay_alu instid0(VALU_DEP_4) | instskip(NEXT) | instid1(VALU_DEP_3)
	v_mad_u32 v6, v9, s40, v6
	v_mul_lo_u32 v10, v8, s9
	s_delay_alu instid0(VALU_DEP_1) | instskip(NEXT) | instid1(VALU_DEP_1)
	v_sub_nc_u32_e32 v9, v11, v10
	v_mad_u32 v7, v9, s43, v7
	s_delay_alu instid0(VALU_DEP_4)
	v_mad_u32 v6, v9, s42, v6
	s_cbranch_scc1 .LBB29_48
; %bb.49:
	s_and_b32 s4, s1, 3
	s_mov_b32 s1, 0
	s_cmp_eq_u32 s4, 0
	s_cbranch_scc0 .LBB29_53
	s_branch .LBB29_55
.LBB29_50:
	s_mov_b32 s6, -1
                                        ; implicit-def: $vgpr7
	s_branch .LBB29_55
.LBB29_51:
	v_dual_mov_b32 v7, 0 :: v_dual_mov_b32 v6, 0
	s_branch .LBB29_55
.LBB29_52:
	v_mov_b64_e32 v[6:7], 0
	v_mov_b32_e32 v8, v1
	s_mov_b32 s0, 0
	s_and_b32 s4, s1, 3
	s_mov_b32 s1, 0
	s_cmp_eq_u32 s4, 0
	s_cbranch_scc1 .LBB29_55
.LBB29_53:
	s_lshl_b32 s2, s0, 3
	s_mov_b32 s3, s1
	s_mul_u64 s[8:9], s[0:1], 12
	s_add_nc_u64 s[2:3], s[12:13], s[2:3]
	s_delay_alu instid0(SALU_CYCLE_1)
	s_add_nc_u64 s[0:1], s[2:3], 0xc4
	s_add_nc_u64 s[2:3], s[12:13], s[8:9]
.LBB29_54:                              ; =>This Inner Loop Header: Depth=1
	s_load_b96 s[8:10], s[2:3], 0x4
	s_add_co_i32 s4, s4, -1
	s_wait_xcnt 0x0
	s_add_nc_u64 s[2:3], s[2:3], 12
	s_cmp_lg_u32 s4, 0
	s_wait_kmcnt 0x0
	v_mul_hi_u32 v9, s9, v8
	s_delay_alu instid0(VALU_DEP_1) | instskip(NEXT) | instid1(VALU_DEP_1)
	v_add_nc_u32_e32 v9, v8, v9
	v_lshrrev_b32_e32 v9, s10, v9
	s_load_b64 s[10:11], s[0:1], 0x0
	s_wait_xcnt 0x0
	s_add_nc_u64 s[0:1], s[0:1], 8
	s_delay_alu instid0(VALU_DEP_1) | instskip(NEXT) | instid1(VALU_DEP_1)
	v_mul_lo_u32 v10, v9, s8
	v_sub_nc_u32_e32 v8, v8, v10
	s_wait_kmcnt 0x0
	s_delay_alu instid0(VALU_DEP_1)
	v_mad_u32 v7, v8, s11, v7
	v_mad_u32 v6, v8, s10, v6
	v_mov_b32_e32 v8, v9
	s_cbranch_scc1 .LBB29_54
.LBB29_55:
	s_and_not1_b32 vcc_lo, exec_lo, s6
	s_cbranch_vccnz .LBB29_58
; %bb.56:
	s_clause 0x1
	s_load_b96 s[0:2], s[12:13], 0x4
	s_load_b64 s[4:5], s[12:13], 0xc4
	s_cmp_lt_u32 s30, 2
	s_wait_kmcnt 0x0
	v_mul_hi_u32 v6, s1, v1
	s_delay_alu instid0(VALU_DEP_1) | instskip(NEXT) | instid1(VALU_DEP_1)
	v_add_nc_u32_e32 v6, v1, v6
	v_lshrrev_b32_e32 v8, s2, v6
	s_delay_alu instid0(VALU_DEP_1) | instskip(NEXT) | instid1(VALU_DEP_1)
	v_mul_lo_u32 v6, v8, s0
	v_sub_nc_u32_e32 v1, v1, v6
	s_delay_alu instid0(VALU_DEP_1)
	v_mul_lo_u32 v7, v1, s5
	v_mul_lo_u32 v6, v1, s4
	s_cbranch_scc1 .LBB29_58
; %bb.57:
	s_clause 0x1
	s_load_b96 s[0:2], s[12:13], 0x10
	s_load_b64 s[4:5], s[12:13], 0xcc
	s_wait_kmcnt 0x0
	v_mul_hi_u32 v1, s1, v8
	s_delay_alu instid0(VALU_DEP_1) | instskip(NEXT) | instid1(VALU_DEP_1)
	v_add_nc_u32_e32 v1, v8, v1
	v_lshrrev_b32_e32 v1, s2, v1
	s_delay_alu instid0(VALU_DEP_1) | instskip(NEXT) | instid1(VALU_DEP_1)
	v_mul_lo_u32 v1, v1, s0
	v_sub_nc_u32_e32 v1, v8, v1
	s_delay_alu instid0(VALU_DEP_1)
	v_mad_u32 v6, v1, s4, v6
	v_mad_u32 v7, v1, s5, v7
.LBB29_58:
	v_cmp_ne_u32_e32 vcc_lo, 1, v14
	v_add_nc_u32_e32 v1, 0x180, v0
	s_cbranch_vccnz .LBB29_64
; %bb.59:
	s_cmp_lg_u32 s30, 0
	s_mov_b32 s6, 0
	s_cbranch_scc0 .LBB29_65
; %bb.60:
	s_min_u32 s1, s31, 15
	s_delay_alu instid0(SALU_CYCLE_1)
	s_add_co_i32 s1, s1, 1
	s_cmp_eq_u32 s31, 2
	s_cbranch_scc1 .LBB29_66
; %bb.61:
	v_dual_mov_b32 v8, 0 :: v_dual_mov_b32 v9, 0
	v_mov_b32_e32 v10, v1
	s_and_b32 s0, s1, 28
	s_add_nc_u64 s[2:3], s[12:13], 0xc4
	s_mov_b32 s7, 0
	s_mov_b64 s[4:5], s[12:13]
.LBB29_62:                              ; =>This Inner Loop Header: Depth=1
	s_clause 0x1
	s_load_b256 s[16:23], s[4:5], 0x4
	s_load_b128 s[8:11], s[4:5], 0x24
	s_load_b256 s[36:43], s[2:3], 0x0
	s_add_co_i32 s7, s7, 4
	s_wait_xcnt 0x0
	s_add_nc_u64 s[4:5], s[4:5], 48
	s_cmp_lg_u32 s0, s7
	s_add_nc_u64 s[2:3], s[2:3], 32
	s_wait_kmcnt 0x0
	v_mul_hi_u32 v11, s17, v10
	s_delay_alu instid0(VALU_DEP_1) | instskip(NEXT) | instid1(VALU_DEP_1)
	v_add_nc_u32_e32 v11, v10, v11
	v_lshrrev_b32_e32 v11, s18, v11
	s_delay_alu instid0(VALU_DEP_1) | instskip(NEXT) | instid1(VALU_DEP_1)
	v_mul_hi_u32 v12, s20, v11
	v_add_nc_u32_e32 v12, v11, v12
	s_delay_alu instid0(VALU_DEP_1) | instskip(NEXT) | instid1(VALU_DEP_1)
	v_lshrrev_b32_e32 v12, s21, v12
	v_mul_hi_u32 v13, s23, v12
	s_delay_alu instid0(VALU_DEP_1) | instskip(SKIP_1) | instid1(VALU_DEP_1)
	v_add_nc_u32_e32 v13, v12, v13
	v_mul_lo_u32 v15, v11, s16
	v_sub_nc_u32_e32 v10, v10, v15
	v_mul_lo_u32 v15, v12, s19
	s_delay_alu instid0(VALU_DEP_4) | instskip(NEXT) | instid1(VALU_DEP_3)
	v_lshrrev_b32_e32 v13, s8, v13
	v_mad_u32 v9, v10, s37, v9
	v_mad_u32 v8, v10, s36, v8
	s_delay_alu instid0(VALU_DEP_4) | instskip(NEXT) | instid1(VALU_DEP_4)
	v_sub_nc_u32_e32 v10, v11, v15
	v_mul_hi_u32 v17, s10, v13
	v_mul_lo_u32 v11, v13, s22
	s_delay_alu instid0(VALU_DEP_3) | instskip(SKIP_1) | instid1(VALU_DEP_3)
	v_mad_u32 v9, v10, s39, v9
	v_mad_u32 v8, v10, s38, v8
	v_dual_add_nc_u32 v15, v13, v17 :: v_dual_sub_nc_u32 v11, v12, v11
	s_delay_alu instid0(VALU_DEP_1) | instskip(NEXT) | instid1(VALU_DEP_2)
	v_lshrrev_b32_e32 v10, s11, v15
	v_mad_u32 v9, v11, s41, v9
	s_delay_alu instid0(VALU_DEP_4) | instskip(NEXT) | instid1(VALU_DEP_3)
	v_mad_u32 v8, v11, s40, v8
	v_mul_lo_u32 v12, v10, s9
	s_delay_alu instid0(VALU_DEP_1) | instskip(NEXT) | instid1(VALU_DEP_1)
	v_sub_nc_u32_e32 v11, v13, v12
	v_mad_u32 v9, v11, s43, v9
	s_delay_alu instid0(VALU_DEP_4)
	v_mad_u32 v8, v11, s42, v8
	s_cbranch_scc1 .LBB29_62
; %bb.63:
	s_and_b32 s4, s1, 3
	s_mov_b32 s1, 0
	s_cmp_eq_u32 s4, 0
	s_cbranch_scc0 .LBB29_67
	s_branch .LBB29_69
.LBB29_64:
	s_mov_b32 s6, -1
                                        ; implicit-def: $vgpr9
	s_branch .LBB29_69
.LBB29_65:
	v_dual_mov_b32 v9, 0 :: v_dual_mov_b32 v8, 0
	s_branch .LBB29_69
.LBB29_66:
	v_mov_b64_e32 v[8:9], 0
	v_mov_b32_e32 v10, v1
	s_mov_b32 s0, 0
	s_and_b32 s4, s1, 3
	s_mov_b32 s1, 0
	s_cmp_eq_u32 s4, 0
	s_cbranch_scc1 .LBB29_69
.LBB29_67:
	s_lshl_b32 s2, s0, 3
	s_mov_b32 s3, s1
	s_mul_u64 s[8:9], s[0:1], 12
	s_add_nc_u64 s[2:3], s[12:13], s[2:3]
	s_delay_alu instid0(SALU_CYCLE_1)
	s_add_nc_u64 s[0:1], s[2:3], 0xc4
	s_add_nc_u64 s[2:3], s[12:13], s[8:9]
.LBB29_68:                              ; =>This Inner Loop Header: Depth=1
	s_load_b96 s[8:10], s[2:3], 0x4
	s_add_co_i32 s4, s4, -1
	s_wait_xcnt 0x0
	s_add_nc_u64 s[2:3], s[2:3], 12
	s_cmp_lg_u32 s4, 0
	s_wait_kmcnt 0x0
	v_mul_hi_u32 v11, s9, v10
	s_delay_alu instid0(VALU_DEP_1) | instskip(NEXT) | instid1(VALU_DEP_1)
	v_add_nc_u32_e32 v11, v10, v11
	v_lshrrev_b32_e32 v11, s10, v11
	s_load_b64 s[10:11], s[0:1], 0x0
	s_wait_xcnt 0x0
	s_add_nc_u64 s[0:1], s[0:1], 8
	s_delay_alu instid0(VALU_DEP_1) | instskip(NEXT) | instid1(VALU_DEP_1)
	v_mul_lo_u32 v12, v11, s8
	v_sub_nc_u32_e32 v10, v10, v12
	s_wait_kmcnt 0x0
	s_delay_alu instid0(VALU_DEP_1)
	v_mad_u32 v9, v10, s11, v9
	v_mad_u32 v8, v10, s10, v8
	v_mov_b32_e32 v10, v11
	s_cbranch_scc1 .LBB29_68
.LBB29_69:
	s_and_not1_b32 vcc_lo, exec_lo, s6
	s_cbranch_vccnz .LBB29_72
; %bb.70:
	s_clause 0x1
	s_load_b96 s[0:2], s[12:13], 0x4
	s_load_b64 s[4:5], s[12:13], 0xc4
	s_cmp_lt_u32 s30, 2
	s_wait_kmcnt 0x0
	v_mul_hi_u32 v8, s1, v1
	s_delay_alu instid0(VALU_DEP_1) | instskip(NEXT) | instid1(VALU_DEP_1)
	v_add_nc_u32_e32 v8, v1, v8
	v_lshrrev_b32_e32 v10, s2, v8
	s_delay_alu instid0(VALU_DEP_1) | instskip(NEXT) | instid1(VALU_DEP_1)
	v_mul_lo_u32 v8, v10, s0
	v_sub_nc_u32_e32 v1, v1, v8
	s_delay_alu instid0(VALU_DEP_1)
	v_mul_lo_u32 v9, v1, s5
	v_mul_lo_u32 v8, v1, s4
	s_cbranch_scc1 .LBB29_72
; %bb.71:
	s_clause 0x1
	s_load_b96 s[0:2], s[12:13], 0x10
	s_load_b64 s[4:5], s[12:13], 0xcc
	s_wait_kmcnt 0x0
	v_mul_hi_u32 v1, s1, v10
	s_delay_alu instid0(VALU_DEP_1) | instskip(NEXT) | instid1(VALU_DEP_1)
	v_add_nc_u32_e32 v1, v10, v1
	v_lshrrev_b32_e32 v1, s2, v1
	s_delay_alu instid0(VALU_DEP_1) | instskip(NEXT) | instid1(VALU_DEP_1)
	v_mul_lo_u32 v1, v1, s0
	v_sub_nc_u32_e32 v1, v10, v1
	s_delay_alu instid0(VALU_DEP_1)
	v_mad_u32 v8, v1, s4, v8
	v_mad_u32 v9, v1, s5, v9
.LBB29_72:
	v_cmp_ne_u32_e32 vcc_lo, 1, v14
	v_add_nc_u32_e32 v1, 0x200, v0
	s_cbranch_vccnz .LBB29_78
; %bb.73:
	s_cmp_lg_u32 s30, 0
	s_mov_b32 s6, 0
	s_cbranch_scc0 .LBB29_79
; %bb.74:
	s_min_u32 s1, s31, 15
	s_delay_alu instid0(SALU_CYCLE_1)
	s_add_co_i32 s1, s1, 1
	s_cmp_eq_u32 s31, 2
	s_cbranch_scc1 .LBB29_80
; %bb.75:
	v_dual_mov_b32 v10, 0 :: v_dual_mov_b32 v11, 0
	v_mov_b32_e32 v12, v1
	s_and_b32 s0, s1, 28
	s_add_nc_u64 s[2:3], s[12:13], 0xc4
	s_mov_b32 s7, 0
	s_mov_b64 s[4:5], s[12:13]
.LBB29_76:                              ; =>This Inner Loop Header: Depth=1
	s_clause 0x1
	s_load_b256 s[16:23], s[4:5], 0x4
	s_load_b128 s[8:11], s[4:5], 0x24
	s_load_b256 s[36:43], s[2:3], 0x0
	s_add_co_i32 s7, s7, 4
	s_wait_xcnt 0x0
	s_add_nc_u64 s[4:5], s[4:5], 48
	s_cmp_lg_u32 s0, s7
	s_add_nc_u64 s[2:3], s[2:3], 32
	s_wait_kmcnt 0x0
	v_mul_hi_u32 v13, s17, v12
	s_delay_alu instid0(VALU_DEP_1) | instskip(NEXT) | instid1(VALU_DEP_1)
	v_add_nc_u32_e32 v13, v12, v13
	v_lshrrev_b32_e32 v13, s18, v13
	s_delay_alu instid0(VALU_DEP_1) | instskip(NEXT) | instid1(VALU_DEP_1)
	v_mul_lo_u32 v18, v13, s16
	v_sub_nc_u32_e32 v12, v12, v18
	v_mul_hi_u32 v15, s20, v13
	s_delay_alu instid0(VALU_DEP_2) | instskip(SKIP_1) | instid1(VALU_DEP_3)
	v_mad_u32 v11, v12, s37, v11
	v_mad_u32 v10, v12, s36, v10
	v_add_nc_u32_e32 v15, v13, v15
	s_delay_alu instid0(VALU_DEP_1) | instskip(NEXT) | instid1(VALU_DEP_1)
	v_lshrrev_b32_e32 v15, s21, v15
	v_mul_hi_u32 v17, s23, v15
	v_mul_lo_u32 v18, v15, s19
	s_delay_alu instid0(VALU_DEP_1) | instskip(NEXT) | instid1(VALU_DEP_1)
	v_dual_add_nc_u32 v17, v15, v17 :: v_dual_sub_nc_u32 v12, v13, v18
	v_lshrrev_b32_e32 v17, s8, v17
	s_delay_alu instid0(VALU_DEP_2) | instskip(SKIP_1) | instid1(VALU_DEP_3)
	v_mad_u32 v11, v12, s39, v11
	v_mad_u32 v10, v12, s38, v10
	v_mul_hi_u32 v19, s10, v17
	v_mul_lo_u32 v13, v17, s22
	s_delay_alu instid0(VALU_DEP_1) | instskip(NEXT) | instid1(VALU_DEP_1)
	v_dual_add_nc_u32 v18, v17, v19 :: v_dual_sub_nc_u32 v13, v15, v13
	v_lshrrev_b32_e32 v12, s11, v18
	s_delay_alu instid0(VALU_DEP_2) | instskip(SKIP_1) | instid1(VALU_DEP_3)
	v_mad_u32 v11, v13, s41, v11
	v_mad_u32 v10, v13, s40, v10
	v_mul_lo_u32 v15, v12, s9
	s_delay_alu instid0(VALU_DEP_1) | instskip(NEXT) | instid1(VALU_DEP_1)
	v_sub_nc_u32_e32 v13, v17, v15
	v_mad_u32 v11, v13, s43, v11
	s_delay_alu instid0(VALU_DEP_4)
	v_mad_u32 v10, v13, s42, v10
	s_cbranch_scc1 .LBB29_76
; %bb.77:
	s_and_b32 s4, s1, 3
	s_mov_b32 s1, 0
	s_cmp_eq_u32 s4, 0
	s_cbranch_scc0 .LBB29_81
	s_branch .LBB29_83
.LBB29_78:
	s_mov_b32 s6, -1
                                        ; implicit-def: $vgpr11
	s_branch .LBB29_83
.LBB29_79:
	v_dual_mov_b32 v11, 0 :: v_dual_mov_b32 v10, 0
	s_branch .LBB29_83
.LBB29_80:
	v_mov_b64_e32 v[10:11], 0
	v_mov_b32_e32 v12, v1
	s_mov_b32 s0, 0
	s_and_b32 s4, s1, 3
	s_mov_b32 s1, 0
	s_cmp_eq_u32 s4, 0
	s_cbranch_scc1 .LBB29_83
.LBB29_81:
	s_lshl_b32 s2, s0, 3
	s_mov_b32 s3, s1
	s_mul_u64 s[8:9], s[0:1], 12
	s_add_nc_u64 s[2:3], s[12:13], s[2:3]
	s_delay_alu instid0(SALU_CYCLE_1)
	s_add_nc_u64 s[0:1], s[2:3], 0xc4
	s_add_nc_u64 s[2:3], s[12:13], s[8:9]
.LBB29_82:                              ; =>This Inner Loop Header: Depth=1
	s_load_b96 s[8:10], s[2:3], 0x4
	s_add_co_i32 s4, s4, -1
	s_wait_xcnt 0x0
	s_add_nc_u64 s[2:3], s[2:3], 12
	s_cmp_lg_u32 s4, 0
	s_wait_kmcnt 0x0
	v_mul_hi_u32 v13, s9, v12
	s_delay_alu instid0(VALU_DEP_1) | instskip(NEXT) | instid1(VALU_DEP_1)
	v_add_nc_u32_e32 v13, v12, v13
	v_lshrrev_b32_e32 v13, s10, v13
	s_load_b64 s[10:11], s[0:1], 0x0
	s_wait_xcnt 0x0
	s_add_nc_u64 s[0:1], s[0:1], 8
	s_delay_alu instid0(VALU_DEP_1) | instskip(NEXT) | instid1(VALU_DEP_1)
	v_mul_lo_u32 v15, v13, s8
	v_sub_nc_u32_e32 v12, v12, v15
	s_wait_kmcnt 0x0
	s_delay_alu instid0(VALU_DEP_1)
	v_mad_u32 v11, v12, s11, v11
	v_mad_u32 v10, v12, s10, v10
	v_mov_b32_e32 v12, v13
	s_cbranch_scc1 .LBB29_82
.LBB29_83:
	s_and_not1_b32 vcc_lo, exec_lo, s6
	s_cbranch_vccnz .LBB29_86
; %bb.84:
	s_clause 0x1
	s_load_b96 s[0:2], s[12:13], 0x4
	s_load_b64 s[4:5], s[12:13], 0xc4
	s_cmp_lt_u32 s30, 2
	s_wait_kmcnt 0x0
	v_mul_hi_u32 v10, s1, v1
	s_delay_alu instid0(VALU_DEP_1) | instskip(NEXT) | instid1(VALU_DEP_1)
	v_add_nc_u32_e32 v10, v1, v10
	v_lshrrev_b32_e32 v12, s2, v10
	s_delay_alu instid0(VALU_DEP_1) | instskip(NEXT) | instid1(VALU_DEP_1)
	v_mul_lo_u32 v10, v12, s0
	v_sub_nc_u32_e32 v1, v1, v10
	s_delay_alu instid0(VALU_DEP_1)
	v_mul_lo_u32 v11, v1, s5
	v_mul_lo_u32 v10, v1, s4
	s_cbranch_scc1 .LBB29_86
; %bb.85:
	s_clause 0x1
	s_load_b96 s[0:2], s[12:13], 0x10
	s_load_b64 s[4:5], s[12:13], 0xcc
	s_wait_kmcnt 0x0
	v_mul_hi_u32 v1, s1, v12
	s_delay_alu instid0(VALU_DEP_1) | instskip(NEXT) | instid1(VALU_DEP_1)
	v_add_nc_u32_e32 v1, v12, v1
	v_lshrrev_b32_e32 v1, s2, v1
	s_delay_alu instid0(VALU_DEP_1) | instskip(NEXT) | instid1(VALU_DEP_1)
	v_mul_lo_u32 v1, v1, s0
	v_sub_nc_u32_e32 v1, v12, v1
	s_delay_alu instid0(VALU_DEP_1)
	v_mad_u32 v10, v1, s4, v10
	v_mad_u32 v11, v1, s5, v11
.LBB29_86:
	v_cmp_ne_u32_e32 vcc_lo, 1, v14
	v_add_nc_u32_e32 v1, 0x280, v0
	s_cbranch_vccnz .LBB29_92
; %bb.87:
	s_cmp_lg_u32 s30, 0
	s_mov_b32 s6, 0
	s_cbranch_scc0 .LBB29_93
; %bb.88:
	s_min_u32 s1, s31, 15
	s_delay_alu instid0(SALU_CYCLE_1)
	s_add_co_i32 s1, s1, 1
	s_cmp_eq_u32 s31, 2
	s_cbranch_scc1 .LBB29_94
; %bb.89:
	v_dual_mov_b32 v12, 0 :: v_dual_mov_b32 v13, 0
	v_mov_b32_e32 v15, v1
	s_and_b32 s0, s1, 28
	s_add_nc_u64 s[2:3], s[12:13], 0xc4
	s_mov_b32 s7, 0
	s_mov_b64 s[4:5], s[12:13]
.LBB29_90:                              ; =>This Inner Loop Header: Depth=1
	s_clause 0x1
	s_load_b256 s[16:23], s[4:5], 0x4
	s_load_b128 s[8:11], s[4:5], 0x24
	s_load_b256 s[36:43], s[2:3], 0x0
	s_add_co_i32 s7, s7, 4
	s_wait_xcnt 0x0
	s_add_nc_u64 s[4:5], s[4:5], 48
	s_cmp_lg_u32 s0, s7
	s_add_nc_u64 s[2:3], s[2:3], 32
	s_wait_kmcnt 0x0
	v_mul_hi_u32 v17, s17, v15
	s_delay_alu instid0(VALU_DEP_1) | instskip(NEXT) | instid1(VALU_DEP_1)
	v_add_nc_u32_e32 v17, v15, v17
	v_lshrrev_b32_e32 v17, s18, v17
	s_delay_alu instid0(VALU_DEP_1) | instskip(NEXT) | instid1(VALU_DEP_1)
	v_mul_hi_u32 v18, s20, v17
	v_add_nc_u32_e32 v18, v17, v18
	s_delay_alu instid0(VALU_DEP_1) | instskip(NEXT) | instid1(VALU_DEP_1)
	v_lshrrev_b32_e32 v18, s21, v18
	v_mul_hi_u32 v19, s23, v18
	s_delay_alu instid0(VALU_DEP_1) | instskip(SKIP_1) | instid1(VALU_DEP_1)
	v_add_nc_u32_e32 v19, v18, v19
	v_mul_lo_u32 v20, v17, s16
	v_sub_nc_u32_e32 v15, v15, v20
	v_mul_lo_u32 v20, v18, s19
	s_delay_alu instid0(VALU_DEP_4) | instskip(NEXT) | instid1(VALU_DEP_3)
	v_lshrrev_b32_e32 v19, s8, v19
	v_mad_u32 v13, v15, s37, v13
	v_mad_u32 v12, v15, s36, v12
	s_delay_alu instid0(VALU_DEP_4) | instskip(NEXT) | instid1(VALU_DEP_4)
	v_sub_nc_u32_e32 v15, v17, v20
	v_mul_hi_u32 v21, s10, v19
	v_mul_lo_u32 v17, v19, s22
	s_delay_alu instid0(VALU_DEP_3) | instskip(SKIP_1) | instid1(VALU_DEP_4)
	v_mad_u32 v13, v15, s39, v13
	v_mad_u32 v12, v15, s38, v12
	v_add_nc_u32_e32 v20, v19, v21
	s_delay_alu instid0(VALU_DEP_1) | instskip(NEXT) | instid1(VALU_DEP_1)
	v_dual_sub_nc_u32 v17, v18, v17 :: v_dual_lshrrev_b32 v15, s11, v20
	v_mad_u32 v13, v17, s41, v13
	s_delay_alu instid0(VALU_DEP_4) | instskip(NEXT) | instid1(VALU_DEP_3)
	v_mad_u32 v12, v17, s40, v12
	v_mul_lo_u32 v18, v15, s9
	s_delay_alu instid0(VALU_DEP_1) | instskip(NEXT) | instid1(VALU_DEP_1)
	v_sub_nc_u32_e32 v17, v19, v18
	v_mad_u32 v13, v17, s43, v13
	s_delay_alu instid0(VALU_DEP_4)
	v_mad_u32 v12, v17, s42, v12
	s_cbranch_scc1 .LBB29_90
; %bb.91:
	s_and_b32 s4, s1, 3
	s_mov_b32 s1, 0
	s_cmp_eq_u32 s4, 0
	s_cbranch_scc0 .LBB29_95
	s_branch .LBB29_97
.LBB29_92:
	s_mov_b32 s6, -1
                                        ; implicit-def: $vgpr13
	s_branch .LBB29_97
.LBB29_93:
	v_dual_mov_b32 v13, 0 :: v_dual_mov_b32 v12, 0
	s_branch .LBB29_97
.LBB29_94:
	v_mov_b64_e32 v[12:13], 0
	v_mov_b32_e32 v15, v1
	s_mov_b32 s0, 0
	s_and_b32 s4, s1, 3
	s_mov_b32 s1, 0
	s_cmp_eq_u32 s4, 0
	s_cbranch_scc1 .LBB29_97
.LBB29_95:
	s_lshl_b32 s2, s0, 3
	s_mov_b32 s3, s1
	s_mul_u64 s[8:9], s[0:1], 12
	s_add_nc_u64 s[2:3], s[12:13], s[2:3]
	s_delay_alu instid0(SALU_CYCLE_1)
	s_add_nc_u64 s[0:1], s[2:3], 0xc4
	s_add_nc_u64 s[2:3], s[12:13], s[8:9]
.LBB29_96:                              ; =>This Inner Loop Header: Depth=1
	s_load_b96 s[8:10], s[2:3], 0x4
	s_add_co_i32 s4, s4, -1
	s_wait_xcnt 0x0
	s_add_nc_u64 s[2:3], s[2:3], 12
	s_cmp_lg_u32 s4, 0
	s_wait_kmcnt 0x0
	v_mul_hi_u32 v17, s9, v15
	s_delay_alu instid0(VALU_DEP_1) | instskip(NEXT) | instid1(VALU_DEP_1)
	v_add_nc_u32_e32 v17, v15, v17
	v_lshrrev_b32_e32 v17, s10, v17
	s_load_b64 s[10:11], s[0:1], 0x0
	s_wait_xcnt 0x0
	s_add_nc_u64 s[0:1], s[0:1], 8
	s_delay_alu instid0(VALU_DEP_1) | instskip(NEXT) | instid1(VALU_DEP_1)
	v_mul_lo_u32 v18, v17, s8
	v_sub_nc_u32_e32 v15, v15, v18
	s_wait_kmcnt 0x0
	s_delay_alu instid0(VALU_DEP_1)
	v_mad_u32 v13, v15, s11, v13
	v_mad_u32 v12, v15, s10, v12
	v_mov_b32_e32 v15, v17
	s_cbranch_scc1 .LBB29_96
.LBB29_97:
	s_and_not1_b32 vcc_lo, exec_lo, s6
	s_cbranch_vccnz .LBB29_100
; %bb.98:
	s_clause 0x1
	s_load_b96 s[0:2], s[12:13], 0x4
	s_load_b64 s[4:5], s[12:13], 0xc4
	s_cmp_lt_u32 s30, 2
	s_wait_kmcnt 0x0
	v_mul_hi_u32 v12, s1, v1
	s_delay_alu instid0(VALU_DEP_1) | instskip(NEXT) | instid1(VALU_DEP_1)
	v_add_nc_u32_e32 v12, v1, v12
	v_lshrrev_b32_e32 v15, s2, v12
	s_delay_alu instid0(VALU_DEP_1) | instskip(NEXT) | instid1(VALU_DEP_1)
	v_mul_lo_u32 v12, v15, s0
	v_sub_nc_u32_e32 v1, v1, v12
	s_delay_alu instid0(VALU_DEP_1)
	v_mul_lo_u32 v13, v1, s5
	v_mul_lo_u32 v12, v1, s4
	s_cbranch_scc1 .LBB29_100
; %bb.99:
	s_clause 0x1
	s_load_b96 s[0:2], s[12:13], 0x10
	s_load_b64 s[4:5], s[12:13], 0xcc
	s_wait_kmcnt 0x0
	v_mul_hi_u32 v1, s1, v15
	s_delay_alu instid0(VALU_DEP_1) | instskip(NEXT) | instid1(VALU_DEP_1)
	v_add_nc_u32_e32 v1, v15, v1
	v_lshrrev_b32_e32 v1, s2, v1
	s_delay_alu instid0(VALU_DEP_1) | instskip(NEXT) | instid1(VALU_DEP_1)
	v_mul_lo_u32 v1, v1, s0
	v_sub_nc_u32_e32 v1, v15, v1
	s_delay_alu instid0(VALU_DEP_1)
	v_mad_u32 v12, v1, s4, v12
	v_mad_u32 v13, v1, s5, v13
.LBB29_100:
	v_cmp_ne_u32_e32 vcc_lo, 1, v14
	v_add_nc_u32_e32 v15, 0x300, v0
	s_cbranch_vccnz .LBB29_106
; %bb.101:
	s_cmp_lg_u32 s30, 0
	s_mov_b32 s6, 0
	s_cbranch_scc0 .LBB29_107
; %bb.102:
	s_min_u32 s1, s31, 15
	s_delay_alu instid0(SALU_CYCLE_1)
	s_add_co_i32 s1, s1, 1
	s_cmp_eq_u32 s31, 2
	s_cbranch_scc1 .LBB29_108
; %bb.103:
	v_dual_mov_b32 v0, 0 :: v_dual_mov_b32 v1, 0
	v_mov_b32_e32 v17, v15
	s_and_b32 s0, s1, 28
	s_add_nc_u64 s[2:3], s[12:13], 0xc4
	s_mov_b32 s7, 0
	s_mov_b64 s[4:5], s[12:13]
.LBB29_104:                             ; =>This Inner Loop Header: Depth=1
	s_clause 0x1
	s_load_b256 s[16:23], s[4:5], 0x4
	s_load_b128 s[8:11], s[4:5], 0x24
	s_load_b256 s[36:43], s[2:3], 0x0
	s_add_co_i32 s7, s7, 4
	s_wait_xcnt 0x0
	s_add_nc_u64 s[4:5], s[4:5], 48
	s_cmp_lg_u32 s0, s7
	s_add_nc_u64 s[2:3], s[2:3], 32
	s_wait_kmcnt 0x0
	v_mul_hi_u32 v18, s17, v17
	s_delay_alu instid0(VALU_DEP_1) | instskip(NEXT) | instid1(VALU_DEP_1)
	v_add_nc_u32_e32 v18, v17, v18
	v_lshrrev_b32_e32 v18, s18, v18
	s_delay_alu instid0(VALU_DEP_1) | instskip(NEXT) | instid1(VALU_DEP_1)
	v_mul_hi_u32 v19, s20, v18
	v_add_nc_u32_e32 v19, v18, v19
	s_delay_alu instid0(VALU_DEP_1) | instskip(NEXT) | instid1(VALU_DEP_1)
	v_lshrrev_b32_e32 v19, s21, v19
	v_mul_hi_u32 v20, s23, v19
	s_delay_alu instid0(VALU_DEP_1) | instskip(SKIP_1) | instid1(VALU_DEP_1)
	v_add_nc_u32_e32 v20, v19, v20
	v_mul_lo_u32 v21, v18, s16
	v_sub_nc_u32_e32 v17, v17, v21
	v_mul_lo_u32 v21, v19, s19
	s_delay_alu instid0(VALU_DEP_4) | instskip(NEXT) | instid1(VALU_DEP_3)
	v_lshrrev_b32_e32 v20, s8, v20
	v_mad_u32 v1, v17, s37, v1
	v_mad_u32 v0, v17, s36, v0
	s_delay_alu instid0(VALU_DEP_4) | instskip(NEXT) | instid1(VALU_DEP_4)
	v_sub_nc_u32_e32 v17, v18, v21
	v_mul_hi_u32 v22, s10, v20
	v_mul_lo_u32 v18, v20, s22
	s_delay_alu instid0(VALU_DEP_3) | instskip(SKIP_1) | instid1(VALU_DEP_4)
	v_mad_u32 v1, v17, s39, v1
	v_mad_u32 v0, v17, s38, v0
	v_add_nc_u32_e32 v21, v20, v22
	s_delay_alu instid0(VALU_DEP_1) | instskip(NEXT) | instid1(VALU_DEP_1)
	v_dual_sub_nc_u32 v18, v19, v18 :: v_dual_lshrrev_b32 v17, s11, v21
	v_mad_u32 v1, v18, s41, v1
	s_delay_alu instid0(VALU_DEP_4) | instskip(NEXT) | instid1(VALU_DEP_3)
	v_mad_u32 v0, v18, s40, v0
	v_mul_lo_u32 v19, v17, s9
	s_delay_alu instid0(VALU_DEP_1) | instskip(NEXT) | instid1(VALU_DEP_1)
	v_sub_nc_u32_e32 v18, v20, v19
	v_mad_u32 v1, v18, s43, v1
	s_delay_alu instid0(VALU_DEP_4)
	v_mad_u32 v0, v18, s42, v0
	s_cbranch_scc1 .LBB29_104
; %bb.105:
	s_and_b32 s4, s1, 3
	s_mov_b32 s1, 0
	s_cmp_eq_u32 s4, 0
	s_cbranch_scc0 .LBB29_109
	s_branch .LBB29_111
.LBB29_106:
	s_mov_b32 s6, -1
                                        ; implicit-def: $vgpr1
	s_branch .LBB29_111
.LBB29_107:
	v_dual_mov_b32 v1, 0 :: v_dual_mov_b32 v0, 0
	s_branch .LBB29_111
.LBB29_108:
	v_mov_b64_e32 v[0:1], 0
	v_mov_b32_e32 v17, v15
	s_mov_b32 s0, 0
	s_and_b32 s4, s1, 3
	s_mov_b32 s1, 0
	s_cmp_eq_u32 s4, 0
	s_cbranch_scc1 .LBB29_111
.LBB29_109:
	s_lshl_b32 s2, s0, 3
	s_mov_b32 s3, s1
	s_mul_u64 s[8:9], s[0:1], 12
	s_add_nc_u64 s[2:3], s[12:13], s[2:3]
	s_delay_alu instid0(SALU_CYCLE_1)
	s_add_nc_u64 s[0:1], s[2:3], 0xc4
	s_add_nc_u64 s[2:3], s[12:13], s[8:9]
.LBB29_110:                             ; =>This Inner Loop Header: Depth=1
	s_load_b96 s[8:10], s[2:3], 0x4
	s_add_co_i32 s4, s4, -1
	s_wait_xcnt 0x0
	s_add_nc_u64 s[2:3], s[2:3], 12
	s_cmp_lg_u32 s4, 0
	s_wait_kmcnt 0x0
	v_mul_hi_u32 v18, s9, v17
	s_delay_alu instid0(VALU_DEP_1) | instskip(NEXT) | instid1(VALU_DEP_1)
	v_add_nc_u32_e32 v18, v17, v18
	v_lshrrev_b32_e32 v18, s10, v18
	s_load_b64 s[10:11], s[0:1], 0x0
	s_wait_xcnt 0x0
	s_add_nc_u64 s[0:1], s[0:1], 8
	s_delay_alu instid0(VALU_DEP_1) | instskip(NEXT) | instid1(VALU_DEP_1)
	v_mul_lo_u32 v19, v18, s8
	v_sub_nc_u32_e32 v17, v17, v19
	s_wait_kmcnt 0x0
	s_delay_alu instid0(VALU_DEP_1)
	v_mad_u32 v1, v17, s11, v1
	v_mad_u32 v0, v17, s10, v0
	v_mov_b32_e32 v17, v18
	s_cbranch_scc1 .LBB29_110
.LBB29_111:
	s_and_not1_b32 vcc_lo, exec_lo, s6
	s_cbranch_vccnz .LBB29_114
; %bb.112:
	s_clause 0x1
	s_load_b96 s[0:2], s[12:13], 0x4
	s_load_b64 s[4:5], s[12:13], 0xc4
	s_cmp_lt_u32 s30, 2
	s_wait_kmcnt 0x0
	v_mul_hi_u32 v0, s1, v15
	s_delay_alu instid0(VALU_DEP_1) | instskip(NEXT) | instid1(VALU_DEP_1)
	v_add_nc_u32_e32 v0, v15, v0
	v_lshrrev_b32_e32 v17, s2, v0
	s_delay_alu instid0(VALU_DEP_1) | instskip(NEXT) | instid1(VALU_DEP_1)
	v_mul_lo_u32 v0, v17, s0
	v_sub_nc_u32_e32 v0, v15, v0
	s_delay_alu instid0(VALU_DEP_1)
	v_mul_lo_u32 v1, v0, s5
	v_mul_lo_u32 v0, v0, s4
	s_cbranch_scc1 .LBB29_114
; %bb.113:
	s_clause 0x1
	s_load_b96 s[0:2], s[12:13], 0x10
	s_load_b64 s[4:5], s[12:13], 0xcc
	s_wait_kmcnt 0x0
	v_mul_hi_u32 v15, s1, v17
	s_delay_alu instid0(VALU_DEP_1) | instskip(NEXT) | instid1(VALU_DEP_1)
	v_add_nc_u32_e32 v15, v17, v15
	v_lshrrev_b32_e32 v15, s2, v15
	s_delay_alu instid0(VALU_DEP_1) | instskip(NEXT) | instid1(VALU_DEP_1)
	v_mul_lo_u32 v15, v15, s0
	v_sub_nc_u32_e32 v15, v17, v15
	s_delay_alu instid0(VALU_DEP_1)
	v_mad_u32 v0, v15, s4, v0
	v_mad_u32 v1, v15, s5, v1
.LBB29_114:
	v_cmp_ne_u32_e32 vcc_lo, 1, v14
	s_cbranch_vccnz .LBB29_120
; %bb.115:
	s_cmp_lg_u32 s30, 0
	s_mov_b32 s6, 0
	s_cbranch_scc0 .LBB29_121
; %bb.116:
	s_min_u32 s1, s31, 15
	s_delay_alu instid0(SALU_CYCLE_1)
	s_add_co_i32 s1, s1, 1
	s_cmp_eq_u32 s31, 2
	s_cbranch_scc1 .LBB29_122
; %bb.117:
	v_dual_mov_b32 v14, 0 :: v_dual_mov_b32 v15, 0
	v_mov_b32_e32 v17, v16
	s_and_b32 s0, s1, 28
	s_add_nc_u64 s[2:3], s[12:13], 0xc4
	s_mov_b32 s7, 0
	s_mov_b64 s[4:5], s[12:13]
.LBB29_118:                             ; =>This Inner Loop Header: Depth=1
	s_clause 0x1
	s_load_b256 s[16:23], s[4:5], 0x4
	s_load_b128 s[8:11], s[4:5], 0x24
	s_load_b256 s[36:43], s[2:3], 0x0
	s_add_co_i32 s7, s7, 4
	s_wait_xcnt 0x0
	s_add_nc_u64 s[4:5], s[4:5], 48
	s_cmp_lg_u32 s0, s7
	s_add_nc_u64 s[2:3], s[2:3], 32
	s_wait_kmcnt 0x0
	v_mul_hi_u32 v18, s17, v17
	s_delay_alu instid0(VALU_DEP_1) | instskip(NEXT) | instid1(VALU_DEP_1)
	v_add_nc_u32_e32 v18, v17, v18
	v_lshrrev_b32_e32 v18, s18, v18
	s_delay_alu instid0(VALU_DEP_1) | instskip(NEXT) | instid1(VALU_DEP_1)
	v_mul_hi_u32 v19, s20, v18
	v_add_nc_u32_e32 v19, v18, v19
	s_delay_alu instid0(VALU_DEP_1) | instskip(NEXT) | instid1(VALU_DEP_1)
	v_lshrrev_b32_e32 v19, s21, v19
	v_mul_hi_u32 v20, s23, v19
	s_delay_alu instid0(VALU_DEP_1) | instskip(SKIP_1) | instid1(VALU_DEP_1)
	v_add_nc_u32_e32 v20, v19, v20
	v_mul_lo_u32 v21, v18, s16
	v_sub_nc_u32_e32 v17, v17, v21
	v_mul_lo_u32 v21, v19, s19
	s_delay_alu instid0(VALU_DEP_4) | instskip(NEXT) | instid1(VALU_DEP_3)
	v_lshrrev_b32_e32 v20, s8, v20
	v_mad_u32 v15, v17, s37, v15
	v_mad_u32 v14, v17, s36, v14
	s_delay_alu instid0(VALU_DEP_4) | instskip(NEXT) | instid1(VALU_DEP_4)
	v_sub_nc_u32_e32 v17, v18, v21
	v_mul_hi_u32 v22, s10, v20
	v_mul_lo_u32 v18, v20, s22
	s_delay_alu instid0(VALU_DEP_3) | instskip(SKIP_1) | instid1(VALU_DEP_4)
	v_mad_u32 v15, v17, s39, v15
	v_mad_u32 v14, v17, s38, v14
	v_add_nc_u32_e32 v21, v20, v22
	s_delay_alu instid0(VALU_DEP_1) | instskip(NEXT) | instid1(VALU_DEP_1)
	v_dual_sub_nc_u32 v18, v19, v18 :: v_dual_lshrrev_b32 v17, s11, v21
	v_mad_u32 v15, v18, s41, v15
	s_delay_alu instid0(VALU_DEP_4) | instskip(NEXT) | instid1(VALU_DEP_3)
	v_mad_u32 v14, v18, s40, v14
	v_mul_lo_u32 v19, v17, s9
	s_delay_alu instid0(VALU_DEP_1) | instskip(NEXT) | instid1(VALU_DEP_1)
	v_sub_nc_u32_e32 v18, v20, v19
	v_mad_u32 v15, v18, s43, v15
	s_delay_alu instid0(VALU_DEP_4)
	v_mad_u32 v14, v18, s42, v14
	s_cbranch_scc1 .LBB29_118
; %bb.119:
	s_and_b32 s4, s1, 3
	s_mov_b32 s1, 0
	s_cmp_eq_u32 s4, 0
	s_cbranch_scc0 .LBB29_123
	s_branch .LBB29_125
.LBB29_120:
	s_mov_b32 s6, -1
                                        ; implicit-def: $vgpr15
	s_branch .LBB29_125
.LBB29_121:
	v_dual_mov_b32 v15, 0 :: v_dual_mov_b32 v14, 0
	s_branch .LBB29_125
.LBB29_122:
	v_mov_b64_e32 v[14:15], 0
	v_mov_b32_e32 v17, v16
	s_mov_b32 s0, 0
	s_and_b32 s4, s1, 3
	s_mov_b32 s1, 0
	s_cmp_eq_u32 s4, 0
	s_cbranch_scc1 .LBB29_125
.LBB29_123:
	s_lshl_b32 s2, s0, 3
	s_mov_b32 s3, s1
	s_mul_u64 s[8:9], s[0:1], 12
	s_add_nc_u64 s[2:3], s[12:13], s[2:3]
	s_delay_alu instid0(SALU_CYCLE_1)
	s_add_nc_u64 s[0:1], s[2:3], 0xc4
	s_add_nc_u64 s[2:3], s[12:13], s[8:9]
.LBB29_124:                             ; =>This Inner Loop Header: Depth=1
	s_load_b96 s[8:10], s[2:3], 0x4
	s_add_co_i32 s4, s4, -1
	s_wait_xcnt 0x0
	s_add_nc_u64 s[2:3], s[2:3], 12
	s_cmp_lg_u32 s4, 0
	s_wait_kmcnt 0x0
	v_mul_hi_u32 v18, s9, v17
	s_delay_alu instid0(VALU_DEP_1) | instskip(NEXT) | instid1(VALU_DEP_1)
	v_add_nc_u32_e32 v18, v17, v18
	v_lshrrev_b32_e32 v18, s10, v18
	s_load_b64 s[10:11], s[0:1], 0x0
	s_wait_xcnt 0x0
	s_add_nc_u64 s[0:1], s[0:1], 8
	s_delay_alu instid0(VALU_DEP_1) | instskip(NEXT) | instid1(VALU_DEP_1)
	v_mul_lo_u32 v19, v18, s8
	v_sub_nc_u32_e32 v17, v17, v19
	s_wait_kmcnt 0x0
	s_delay_alu instid0(VALU_DEP_1)
	v_mad_u32 v15, v17, s11, v15
	v_mad_u32 v14, v17, s10, v14
	v_mov_b32_e32 v17, v18
	s_cbranch_scc1 .LBB29_124
.LBB29_125:
	s_and_not1_b32 vcc_lo, exec_lo, s6
	s_cbranch_vccnz .LBB29_128
; %bb.126:
	s_clause 0x1
	s_load_b96 s[0:2], s[12:13], 0x4
	s_load_b64 s[4:5], s[12:13], 0xc4
	s_cmp_lt_u32 s30, 2
	s_wait_kmcnt 0x0
	v_mul_hi_u32 v14, s1, v16
	s_delay_alu instid0(VALU_DEP_1) | instskip(NEXT) | instid1(VALU_DEP_1)
	v_add_nc_u32_e32 v14, v16, v14
	v_lshrrev_b32_e32 v17, s2, v14
	s_delay_alu instid0(VALU_DEP_1) | instskip(NEXT) | instid1(VALU_DEP_1)
	v_mul_lo_u32 v14, v17, s0
	v_sub_nc_u32_e32 v14, v16, v14
	s_delay_alu instid0(VALU_DEP_1)
	v_mul_lo_u32 v15, v14, s5
	v_mul_lo_u32 v14, v14, s4
	s_cbranch_scc1 .LBB29_128
; %bb.127:
	s_clause 0x1
	s_load_b96 s[0:2], s[12:13], 0x10
	s_load_b64 s[4:5], s[12:13], 0xcc
	s_wait_kmcnt 0x0
	v_mul_hi_u32 v16, s1, v17
	s_delay_alu instid0(VALU_DEP_1) | instskip(NEXT) | instid1(VALU_DEP_1)
	v_add_nc_u32_e32 v16, v17, v16
	v_lshrrev_b32_e32 v16, s2, v16
	s_delay_alu instid0(VALU_DEP_1) | instskip(NEXT) | instid1(VALU_DEP_1)
	v_mul_lo_u32 v16, v16, s0
	v_sub_nc_u32_e32 v16, v17, v16
	s_delay_alu instid0(VALU_DEP_1)
	v_mad_u32 v14, v16, s4, v14
	v_mad_u32 v15, v16, s5, v15
.LBB29_128:
	s_clause 0x1
	s_load_b128 s[8:11], s[12:13], 0x148
	s_load_b64 s[0:1], s[12:13], 0x158
	s_wait_kmcnt 0x0
	s_clause 0x7
	global_load_u8 v16, v3, s[10:11]
	global_load_u8 v17, v5, s[10:11]
	;; [unrolled: 1-line block ×8, first 2 shown]
	s_and_b32 s6, s1, 0xff
	s_cmp_eq_u32 s0, 0
	s_cselect_b32 s7, -1, 0
	s_wait_loadcnt 0x7
	v_cmp_ne_u16_e32 vcc_lo, s6, v16
	s_wait_loadcnt 0x6
	v_cmp_ne_u16_e64 s0, s6, v17
	s_wait_loadcnt 0x5
	v_cmp_ne_u16_e64 s1, s6, v18
	;; [unrolled: 2-line block ×5, first 2 shown]
	s_xor_b32 s0, s7, s0
	s_wait_loadcnt 0x1
	v_cmp_ne_u16_e64 s5, s6, v22
	s_wait_xcnt 0x7
	v_cndmask_b32_e64 v3, 0, 1, s0
	s_xor_b32 s0, s7, s1
	s_wait_loadcnt 0x0
	v_cmp_ne_u16_e64 s6, s6, v23
	s_wait_xcnt 0x6
	v_cndmask_b32_e64 v5, 0, 1, s0
	s_xor_b32 s0, s7, s2
	s_wait_xcnt 0x0
	s_xor_b32 s10, s7, vcc_lo
	v_cndmask_b32_e64 v7, 0, 1, s0
	s_xor_b32 s0, s7, s3
	v_cndmask_b32_e64 v1, 0, 1, s10
	v_cndmask_b32_e64 v9, 0, 1, s0
	s_xor_b32 s0, s7, s4
	s_delay_alu instid0(SALU_CYCLE_1) | instskip(SKIP_1) | instid1(SALU_CYCLE_1)
	v_cndmask_b32_e64 v11, 0, 1, s0
	s_xor_b32 s0, s7, s5
	v_cndmask_b32_e64 v13, 0, 1, s0
	s_xor_b32 s0, s7, s6
	s_delay_alu instid0(SALU_CYCLE_1)
	v_cndmask_b32_e64 v15, 0, 1, s0
	s_clause 0x7
	global_store_b8 v2, v1, s[8:9]
	global_store_b8 v4, v3, s[8:9]
	;; [unrolled: 1-line block ×8, first 2 shown]
	s_endpgm
.LBB29_129:
	v_dual_mov_b32 v3, 0 :: v_dual_mov_b32 v2, 0
	s_branch .LBB29_135
.LBB29_130:
	v_dual_mov_b32 v3, 0 :: v_dual_mov_b32 v2, 0
	s_branch .LBB29_151
.LBB29_131:
	v_mov_b64_e32 v[2:3], 0
	v_mov_b32_e32 v1, v0
	s_mov_b32 s24, 0
.LBB29_132:
	s_and_b32 s16, s16, 3
	s_mov_b32 s25, 0
	s_cmp_eq_u32 s16, 0
	s_cbranch_scc1 .LBB29_135
; %bb.133:
	s_lshl_b32 s26, s24, 3
	s_mov_b32 s27, s25
	s_mul_u64 s[28:29], s[24:25], 12
	s_add_nc_u64 s[26:27], s[12:13], s[26:27]
	s_delay_alu instid0(SALU_CYCLE_1)
	s_add_nc_u64 s[24:25], s[26:27], 0xc4
	s_add_nc_u64 s[26:27], s[12:13], s[28:29]
.LBB29_134:                             ; =>This Inner Loop Header: Depth=1
	s_load_b96 s[40:42], s[26:27], 0x4
	s_load_b64 s[28:29], s[24:25], 0x0
	s_add_co_i32 s16, s16, -1
	s_wait_xcnt 0x0
	s_add_nc_u64 s[26:27], s[26:27], 12
	s_cmp_lg_u32 s16, 0
	s_add_nc_u64 s[24:25], s[24:25], 8
	s_wait_kmcnt 0x0
	v_mul_hi_u32 v4, s41, v1
	s_delay_alu instid0(VALU_DEP_1) | instskip(NEXT) | instid1(VALU_DEP_1)
	v_add_nc_u32_e32 v4, v1, v4
	v_lshrrev_b32_e32 v4, s42, v4
	s_delay_alu instid0(VALU_DEP_1) | instskip(NEXT) | instid1(VALU_DEP_1)
	v_mul_lo_u32 v5, v4, s40
	v_sub_nc_u32_e32 v1, v1, v5
	s_delay_alu instid0(VALU_DEP_1)
	v_mad_u32 v3, v1, s29, v3
	v_mad_u32 v2, v1, s28, v2
	v_mov_b32_e32 v1, v4
	s_cbranch_scc1 .LBB29_134
.LBB29_135:
	s_cbranch_execnz .LBB29_138
.LBB29_136:
	v_mov_b32_e32 v1, 0
	s_and_not1_b32 vcc_lo, exec_lo, s35
	s_delay_alu instid0(VALU_DEP_1) | instskip(NEXT) | instid1(VALU_DEP_1)
	v_mul_u64_e32 v[2:3], s[18:19], v[0:1]
	v_add_nc_u32_e32 v2, v0, v3
	s_delay_alu instid0(VALU_DEP_1) | instskip(NEXT) | instid1(VALU_DEP_1)
	v_lshrrev_b32_e32 v4, s6, v2
	v_mul_lo_u32 v2, v4, s4
	s_delay_alu instid0(VALU_DEP_1) | instskip(NEXT) | instid1(VALU_DEP_1)
	v_sub_nc_u32_e32 v2, v0, v2
	v_mul_lo_u32 v3, v2, s9
	v_mul_lo_u32 v2, v2, s8
	s_cbranch_vccnz .LBB29_138
; %bb.137:
	v_mov_b32_e32 v5, v1
	s_delay_alu instid0(VALU_DEP_1) | instskip(NEXT) | instid1(VALU_DEP_1)
	v_mul_u64_e32 v[6:7], s[20:21], v[4:5]
	v_add_nc_u32_e32 v1, v4, v7
	s_delay_alu instid0(VALU_DEP_1) | instskip(NEXT) | instid1(VALU_DEP_1)
	v_lshrrev_b32_e32 v1, s17, v1
	v_mul_lo_u32 v1, v1, s7
	s_delay_alu instid0(VALU_DEP_1) | instskip(NEXT) | instid1(VALU_DEP_1)
	v_sub_nc_u32_e32 v1, v4, v1
	v_mad_u32 v2, v1, s10, v2
	v_mad_u32 v3, v1, s11, v3
.LBB29_138:
	global_load_u8 v1, v3, s[2:3]
	s_and_b32 s16, s15, 0xff
	v_add_nc_u32_e32 v0, 0x80, v0
	s_wait_loadcnt 0x0
	v_cmp_ne_u16_e32 vcc_lo, s16, v1
	s_xor_b32 s16, s5, vcc_lo
	s_delay_alu instid0(SALU_CYCLE_1) | instskip(SKIP_3) | instid1(SALU_CYCLE_1)
	v_cndmask_b32_e64 v1, 0, 1, s16
	global_store_b8 v2, v1, s[0:1]
	s_wait_xcnt 0x0
	s_or_b32 exec_lo, exec_lo, s14
	s_mov_b32 s14, exec_lo
	v_cmpx_gt_i32_e64 s36, v0
	s_cbranch_execnz .LBB29_15
.LBB29_139:
	s_or_b32 exec_lo, exec_lo, s14
	s_delay_alu instid0(SALU_CYCLE_1)
	s_mov_b32 s14, exec_lo
	v_cmpx_gt_i32_e64 s36, v0
	s_cbranch_execz .LBB29_155
.LBB29_140:
	s_and_not1_b32 vcc_lo, exec_lo, s33
	s_cbranch_vccnz .LBB29_145
; %bb.141:
	s_and_not1_b32 vcc_lo, exec_lo, s38
	s_cbranch_vccnz .LBB29_146
; %bb.142:
	s_add_co_i32 s16, s37, 1
	s_cmp_eq_u32 s31, 2
	s_cbranch_scc1 .LBB29_163
; %bb.143:
	v_dual_mov_b32 v2, 0 :: v_dual_mov_b32 v3, 0
	v_mov_b32_e32 v1, v0
	s_and_b32 s24, s16, 28
	s_mov_b32 s25, 0
	s_mov_b64 s[26:27], s[12:13]
	s_mov_b64 s[28:29], s[22:23]
.LBB29_144:                             ; =>This Inner Loop Header: Depth=1
	s_clause 0x1
	s_load_b256 s[40:47], s[26:27], 0x4
	s_load_b128 s[56:59], s[26:27], 0x24
	s_load_b256 s[48:55], s[28:29], 0x0
	s_add_co_i32 s25, s25, 4
	s_wait_xcnt 0x0
	s_add_nc_u64 s[26:27], s[26:27], 48
	s_cmp_eq_u32 s24, s25
	s_add_nc_u64 s[28:29], s[28:29], 32
	s_wait_kmcnt 0x0
	v_mul_hi_u32 v4, s41, v1
	s_delay_alu instid0(VALU_DEP_1) | instskip(NEXT) | instid1(VALU_DEP_1)
	v_add_nc_u32_e32 v4, v1, v4
	v_lshrrev_b32_e32 v4, s42, v4
	s_delay_alu instid0(VALU_DEP_1) | instskip(NEXT) | instid1(VALU_DEP_1)
	v_mul_hi_u32 v5, s44, v4
	v_add_nc_u32_e32 v5, v4, v5
	s_delay_alu instid0(VALU_DEP_1) | instskip(NEXT) | instid1(VALU_DEP_1)
	v_lshrrev_b32_e32 v5, s45, v5
	v_mul_hi_u32 v6, s47, v5
	s_delay_alu instid0(VALU_DEP_1) | instskip(SKIP_1) | instid1(VALU_DEP_1)
	v_add_nc_u32_e32 v6, v5, v6
	v_mul_lo_u32 v7, v4, s40
	v_sub_nc_u32_e32 v1, v1, v7
	v_mul_lo_u32 v7, v5, s43
	s_delay_alu instid0(VALU_DEP_4) | instskip(NEXT) | instid1(VALU_DEP_3)
	v_lshrrev_b32_e32 v6, s56, v6
	v_mad_u32 v3, v1, s49, v3
	v_mad_u32 v1, v1, s48, v2
	s_delay_alu instid0(VALU_DEP_4) | instskip(NEXT) | instid1(VALU_DEP_4)
	v_sub_nc_u32_e32 v2, v4, v7
	v_mul_hi_u32 v8, s58, v6
	v_mul_lo_u32 v4, v6, s46
	s_delay_alu instid0(VALU_DEP_3) | instskip(SKIP_1) | instid1(VALU_DEP_4)
	v_mad_u32 v3, v2, s51, v3
	v_mad_u32 v2, v2, s50, v1
	v_add_nc_u32_e32 v7, v6, v8
	s_delay_alu instid0(VALU_DEP_1) | instskip(NEXT) | instid1(VALU_DEP_1)
	v_dual_sub_nc_u32 v4, v5, v4 :: v_dual_lshrrev_b32 v1, s59, v7
	v_mad_u32 v3, v4, s53, v3
	s_delay_alu instid0(VALU_DEP_4) | instskip(NEXT) | instid1(VALU_DEP_3)
	v_mad_u32 v2, v4, s52, v2
	v_mul_lo_u32 v5, v1, s57
	s_delay_alu instid0(VALU_DEP_1) | instskip(NEXT) | instid1(VALU_DEP_1)
	v_sub_nc_u32_e32 v4, v6, v5
	v_mad_u32 v3, v4, s55, v3
	s_delay_alu instid0(VALU_DEP_4)
	v_mad_u32 v2, v4, s54, v2
	s_cbranch_scc0 .LBB29_144
	s_branch .LBB29_164
.LBB29_145:
                                        ; implicit-def: $vgpr3
	s_branch .LBB29_168
.LBB29_146:
	v_dual_mov_b32 v3, 0 :: v_dual_mov_b32 v2, 0
	s_branch .LBB29_167
.LBB29_147:
	v_mov_b64_e32 v[2:3], 0
	v_mov_b32_e32 v1, v0
	s_mov_b32 s24, 0
.LBB29_148:
	s_and_b32 s16, s16, 3
	s_mov_b32 s25, 0
	s_cmp_eq_u32 s16, 0
	s_cbranch_scc1 .LBB29_151
; %bb.149:
	s_lshl_b32 s26, s24, 3
	s_mov_b32 s27, s25
	s_mul_u64 s[28:29], s[24:25], 12
	s_add_nc_u64 s[26:27], s[12:13], s[26:27]
	s_delay_alu instid0(SALU_CYCLE_1)
	s_add_nc_u64 s[24:25], s[26:27], 0xc4
	s_add_nc_u64 s[26:27], s[12:13], s[28:29]
.LBB29_150:                             ; =>This Inner Loop Header: Depth=1
	s_load_b96 s[40:42], s[26:27], 0x4
	s_load_b64 s[28:29], s[24:25], 0x0
	s_add_co_i32 s16, s16, -1
	s_wait_xcnt 0x0
	s_add_nc_u64 s[26:27], s[26:27], 12
	s_cmp_lg_u32 s16, 0
	s_add_nc_u64 s[24:25], s[24:25], 8
	s_wait_kmcnt 0x0
	v_mul_hi_u32 v4, s41, v1
	s_delay_alu instid0(VALU_DEP_1) | instskip(NEXT) | instid1(VALU_DEP_1)
	v_add_nc_u32_e32 v4, v1, v4
	v_lshrrev_b32_e32 v4, s42, v4
	s_delay_alu instid0(VALU_DEP_1) | instskip(NEXT) | instid1(VALU_DEP_1)
	v_mul_lo_u32 v5, v4, s40
	v_sub_nc_u32_e32 v1, v1, v5
	s_delay_alu instid0(VALU_DEP_1)
	v_mad_u32 v3, v1, s29, v3
	v_mad_u32 v2, v1, s28, v2
	v_mov_b32_e32 v1, v4
	s_cbranch_scc1 .LBB29_150
.LBB29_151:
	s_cbranch_execnz .LBB29_154
.LBB29_152:
	v_mov_b32_e32 v1, 0
	s_and_not1_b32 vcc_lo, exec_lo, s35
	s_delay_alu instid0(VALU_DEP_1) | instskip(NEXT) | instid1(VALU_DEP_1)
	v_mul_u64_e32 v[2:3], s[18:19], v[0:1]
	v_add_nc_u32_e32 v2, v0, v3
	s_delay_alu instid0(VALU_DEP_1) | instskip(NEXT) | instid1(VALU_DEP_1)
	v_lshrrev_b32_e32 v4, s6, v2
	v_mul_lo_u32 v2, v4, s4
	s_delay_alu instid0(VALU_DEP_1) | instskip(NEXT) | instid1(VALU_DEP_1)
	v_sub_nc_u32_e32 v2, v0, v2
	v_mul_lo_u32 v3, v2, s9
	v_mul_lo_u32 v2, v2, s8
	s_cbranch_vccnz .LBB29_154
; %bb.153:
	v_mov_b32_e32 v5, v1
	s_delay_alu instid0(VALU_DEP_1) | instskip(NEXT) | instid1(VALU_DEP_1)
	v_mul_u64_e32 v[6:7], s[20:21], v[4:5]
	v_add_nc_u32_e32 v1, v4, v7
	s_delay_alu instid0(VALU_DEP_1) | instskip(NEXT) | instid1(VALU_DEP_1)
	v_lshrrev_b32_e32 v1, s17, v1
	v_mul_lo_u32 v1, v1, s7
	s_delay_alu instid0(VALU_DEP_1) | instskip(NEXT) | instid1(VALU_DEP_1)
	v_sub_nc_u32_e32 v1, v4, v1
	v_mad_u32 v2, v1, s10, v2
	v_mad_u32 v3, v1, s11, v3
.LBB29_154:
	global_load_u8 v1, v3, s[2:3]
	s_and_b32 s16, s15, 0xff
	v_add_nc_u32_e32 v0, 0x80, v0
	s_wait_loadcnt 0x0
	v_cmp_ne_u16_e32 vcc_lo, s16, v1
	s_xor_b32 s16, s5, vcc_lo
	s_delay_alu instid0(SALU_CYCLE_1) | instskip(SKIP_3) | instid1(SALU_CYCLE_1)
	v_cndmask_b32_e64 v1, 0, 1, s16
	global_store_b8 v2, v1, s[0:1]
	s_wait_xcnt 0x0
	s_or_b32 exec_lo, exec_lo, s14
	s_mov_b32 s14, exec_lo
	v_cmpx_gt_i32_e64 s36, v0
	s_cbranch_execnz .LBB29_140
.LBB29_155:
	s_or_b32 exec_lo, exec_lo, s14
	s_delay_alu instid0(SALU_CYCLE_1)
	s_mov_b32 s14, exec_lo
	v_cmpx_gt_i32_e64 s36, v0
	s_cbranch_execz .LBB29_171
.LBB29_156:
	s_and_not1_b32 vcc_lo, exec_lo, s33
	s_cbranch_vccnz .LBB29_161
; %bb.157:
	s_and_not1_b32 vcc_lo, exec_lo, s38
	s_cbranch_vccnz .LBB29_162
; %bb.158:
	s_add_co_i32 s16, s37, 1
	s_cmp_eq_u32 s31, 2
	s_cbranch_scc1 .LBB29_179
; %bb.159:
	v_dual_mov_b32 v2, 0 :: v_dual_mov_b32 v3, 0
	v_mov_b32_e32 v1, v0
	s_and_b32 s24, s16, 28
	s_mov_b32 s25, 0
	s_mov_b64 s[26:27], s[12:13]
	s_mov_b64 s[28:29], s[22:23]
.LBB29_160:                             ; =>This Inner Loop Header: Depth=1
	s_clause 0x1
	s_load_b256 s[40:47], s[26:27], 0x4
	s_load_b128 s[56:59], s[26:27], 0x24
	s_load_b256 s[48:55], s[28:29], 0x0
	s_add_co_i32 s25, s25, 4
	s_wait_xcnt 0x0
	s_add_nc_u64 s[26:27], s[26:27], 48
	s_cmp_eq_u32 s24, s25
	s_add_nc_u64 s[28:29], s[28:29], 32
	s_wait_kmcnt 0x0
	v_mul_hi_u32 v4, s41, v1
	s_delay_alu instid0(VALU_DEP_1) | instskip(NEXT) | instid1(VALU_DEP_1)
	v_add_nc_u32_e32 v4, v1, v4
	v_lshrrev_b32_e32 v4, s42, v4
	s_delay_alu instid0(VALU_DEP_1) | instskip(NEXT) | instid1(VALU_DEP_1)
	v_mul_hi_u32 v5, s44, v4
	v_add_nc_u32_e32 v5, v4, v5
	s_delay_alu instid0(VALU_DEP_1) | instskip(NEXT) | instid1(VALU_DEP_1)
	v_lshrrev_b32_e32 v5, s45, v5
	v_mul_hi_u32 v6, s47, v5
	s_delay_alu instid0(VALU_DEP_1) | instskip(SKIP_1) | instid1(VALU_DEP_1)
	v_add_nc_u32_e32 v6, v5, v6
	v_mul_lo_u32 v7, v4, s40
	v_sub_nc_u32_e32 v1, v1, v7
	v_mul_lo_u32 v7, v5, s43
	s_delay_alu instid0(VALU_DEP_4) | instskip(NEXT) | instid1(VALU_DEP_3)
	v_lshrrev_b32_e32 v6, s56, v6
	v_mad_u32 v3, v1, s49, v3
	v_mad_u32 v1, v1, s48, v2
	s_delay_alu instid0(VALU_DEP_4) | instskip(NEXT) | instid1(VALU_DEP_4)
	v_sub_nc_u32_e32 v2, v4, v7
	v_mul_hi_u32 v8, s58, v6
	v_mul_lo_u32 v4, v6, s46
	s_delay_alu instid0(VALU_DEP_3) | instskip(SKIP_1) | instid1(VALU_DEP_4)
	v_mad_u32 v3, v2, s51, v3
	v_mad_u32 v2, v2, s50, v1
	v_add_nc_u32_e32 v7, v6, v8
	s_delay_alu instid0(VALU_DEP_1) | instskip(NEXT) | instid1(VALU_DEP_1)
	v_dual_sub_nc_u32 v4, v5, v4 :: v_dual_lshrrev_b32 v1, s59, v7
	v_mad_u32 v3, v4, s53, v3
	s_delay_alu instid0(VALU_DEP_4) | instskip(NEXT) | instid1(VALU_DEP_3)
	v_mad_u32 v2, v4, s52, v2
	v_mul_lo_u32 v5, v1, s57
	s_delay_alu instid0(VALU_DEP_1) | instskip(NEXT) | instid1(VALU_DEP_1)
	v_sub_nc_u32_e32 v4, v6, v5
	v_mad_u32 v3, v4, s55, v3
	s_delay_alu instid0(VALU_DEP_4)
	v_mad_u32 v2, v4, s54, v2
	s_cbranch_scc0 .LBB29_160
	s_branch .LBB29_180
.LBB29_161:
                                        ; implicit-def: $vgpr3
	s_branch .LBB29_184
.LBB29_162:
	v_dual_mov_b32 v3, 0 :: v_dual_mov_b32 v2, 0
	s_branch .LBB29_183
.LBB29_163:
	v_mov_b64_e32 v[2:3], 0
	v_mov_b32_e32 v1, v0
	s_mov_b32 s24, 0
.LBB29_164:
	s_and_b32 s16, s16, 3
	s_mov_b32 s25, 0
	s_cmp_eq_u32 s16, 0
	s_cbranch_scc1 .LBB29_167
; %bb.165:
	s_lshl_b32 s26, s24, 3
	s_mov_b32 s27, s25
	s_mul_u64 s[28:29], s[24:25], 12
	s_add_nc_u64 s[26:27], s[12:13], s[26:27]
	s_delay_alu instid0(SALU_CYCLE_1)
	s_add_nc_u64 s[24:25], s[26:27], 0xc4
	s_add_nc_u64 s[26:27], s[12:13], s[28:29]
.LBB29_166:                             ; =>This Inner Loop Header: Depth=1
	s_load_b96 s[40:42], s[26:27], 0x4
	s_load_b64 s[28:29], s[24:25], 0x0
	s_add_co_i32 s16, s16, -1
	s_wait_xcnt 0x0
	s_add_nc_u64 s[26:27], s[26:27], 12
	s_cmp_lg_u32 s16, 0
	s_add_nc_u64 s[24:25], s[24:25], 8
	s_wait_kmcnt 0x0
	v_mul_hi_u32 v4, s41, v1
	s_delay_alu instid0(VALU_DEP_1) | instskip(NEXT) | instid1(VALU_DEP_1)
	v_add_nc_u32_e32 v4, v1, v4
	v_lshrrev_b32_e32 v4, s42, v4
	s_delay_alu instid0(VALU_DEP_1) | instskip(NEXT) | instid1(VALU_DEP_1)
	v_mul_lo_u32 v5, v4, s40
	v_sub_nc_u32_e32 v1, v1, v5
	s_delay_alu instid0(VALU_DEP_1)
	v_mad_u32 v3, v1, s29, v3
	v_mad_u32 v2, v1, s28, v2
	v_mov_b32_e32 v1, v4
	s_cbranch_scc1 .LBB29_166
.LBB29_167:
	s_cbranch_execnz .LBB29_170
.LBB29_168:
	v_mov_b32_e32 v1, 0
	s_and_not1_b32 vcc_lo, exec_lo, s35
	s_delay_alu instid0(VALU_DEP_1) | instskip(NEXT) | instid1(VALU_DEP_1)
	v_mul_u64_e32 v[2:3], s[18:19], v[0:1]
	v_add_nc_u32_e32 v2, v0, v3
	s_delay_alu instid0(VALU_DEP_1) | instskip(NEXT) | instid1(VALU_DEP_1)
	v_lshrrev_b32_e32 v4, s6, v2
	v_mul_lo_u32 v2, v4, s4
	s_delay_alu instid0(VALU_DEP_1) | instskip(NEXT) | instid1(VALU_DEP_1)
	v_sub_nc_u32_e32 v2, v0, v2
	v_mul_lo_u32 v3, v2, s9
	v_mul_lo_u32 v2, v2, s8
	s_cbranch_vccnz .LBB29_170
; %bb.169:
	v_mov_b32_e32 v5, v1
	s_delay_alu instid0(VALU_DEP_1) | instskip(NEXT) | instid1(VALU_DEP_1)
	v_mul_u64_e32 v[6:7], s[20:21], v[4:5]
	v_add_nc_u32_e32 v1, v4, v7
	s_delay_alu instid0(VALU_DEP_1) | instskip(NEXT) | instid1(VALU_DEP_1)
	v_lshrrev_b32_e32 v1, s17, v1
	v_mul_lo_u32 v1, v1, s7
	s_delay_alu instid0(VALU_DEP_1) | instskip(NEXT) | instid1(VALU_DEP_1)
	v_sub_nc_u32_e32 v1, v4, v1
	v_mad_u32 v2, v1, s10, v2
	v_mad_u32 v3, v1, s11, v3
.LBB29_170:
	global_load_u8 v1, v3, s[2:3]
	s_and_b32 s16, s15, 0xff
	v_add_nc_u32_e32 v0, 0x80, v0
	s_wait_loadcnt 0x0
	v_cmp_ne_u16_e32 vcc_lo, s16, v1
	s_xor_b32 s16, s5, vcc_lo
	s_delay_alu instid0(SALU_CYCLE_1) | instskip(SKIP_3) | instid1(SALU_CYCLE_1)
	v_cndmask_b32_e64 v1, 0, 1, s16
	global_store_b8 v2, v1, s[0:1]
	s_wait_xcnt 0x0
	s_or_b32 exec_lo, exec_lo, s14
	s_mov_b32 s14, exec_lo
	v_cmpx_gt_i32_e64 s36, v0
	s_cbranch_execnz .LBB29_156
.LBB29_171:
	s_or_b32 exec_lo, exec_lo, s14
	s_delay_alu instid0(SALU_CYCLE_1)
	s_mov_b32 s14, exec_lo
	v_cmpx_gt_i32_e64 s36, v0
	s_cbranch_execz .LBB29_187
.LBB29_172:
	s_and_not1_b32 vcc_lo, exec_lo, s33
	s_cbranch_vccnz .LBB29_177
; %bb.173:
	s_and_not1_b32 vcc_lo, exec_lo, s38
	s_cbranch_vccnz .LBB29_178
; %bb.174:
	s_add_co_i32 s16, s37, 1
	s_cmp_eq_u32 s31, 2
	s_cbranch_scc1 .LBB29_195
; %bb.175:
	v_dual_mov_b32 v2, 0 :: v_dual_mov_b32 v3, 0
	v_mov_b32_e32 v1, v0
	s_and_b32 s24, s16, 28
	s_mov_b32 s25, 0
	s_mov_b64 s[26:27], s[12:13]
	s_mov_b64 s[28:29], s[22:23]
.LBB29_176:                             ; =>This Inner Loop Header: Depth=1
	s_clause 0x1
	s_load_b256 s[40:47], s[26:27], 0x4
	s_load_b128 s[56:59], s[26:27], 0x24
	s_load_b256 s[48:55], s[28:29], 0x0
	s_add_co_i32 s25, s25, 4
	s_wait_xcnt 0x0
	s_add_nc_u64 s[26:27], s[26:27], 48
	s_cmp_eq_u32 s24, s25
	s_add_nc_u64 s[28:29], s[28:29], 32
	s_wait_kmcnt 0x0
	v_mul_hi_u32 v4, s41, v1
	s_delay_alu instid0(VALU_DEP_1) | instskip(NEXT) | instid1(VALU_DEP_1)
	v_add_nc_u32_e32 v4, v1, v4
	v_lshrrev_b32_e32 v4, s42, v4
	s_delay_alu instid0(VALU_DEP_1) | instskip(NEXT) | instid1(VALU_DEP_1)
	v_mul_hi_u32 v5, s44, v4
	v_add_nc_u32_e32 v5, v4, v5
	s_delay_alu instid0(VALU_DEP_1) | instskip(NEXT) | instid1(VALU_DEP_1)
	v_lshrrev_b32_e32 v5, s45, v5
	v_mul_hi_u32 v6, s47, v5
	s_delay_alu instid0(VALU_DEP_1) | instskip(SKIP_1) | instid1(VALU_DEP_1)
	v_add_nc_u32_e32 v6, v5, v6
	v_mul_lo_u32 v7, v4, s40
	v_sub_nc_u32_e32 v1, v1, v7
	v_mul_lo_u32 v7, v5, s43
	s_delay_alu instid0(VALU_DEP_4) | instskip(NEXT) | instid1(VALU_DEP_3)
	v_lshrrev_b32_e32 v6, s56, v6
	v_mad_u32 v3, v1, s49, v3
	v_mad_u32 v1, v1, s48, v2
	s_delay_alu instid0(VALU_DEP_4) | instskip(NEXT) | instid1(VALU_DEP_4)
	v_sub_nc_u32_e32 v2, v4, v7
	v_mul_hi_u32 v8, s58, v6
	v_mul_lo_u32 v4, v6, s46
	s_delay_alu instid0(VALU_DEP_3) | instskip(SKIP_1) | instid1(VALU_DEP_4)
	v_mad_u32 v3, v2, s51, v3
	v_mad_u32 v2, v2, s50, v1
	v_add_nc_u32_e32 v7, v6, v8
	s_delay_alu instid0(VALU_DEP_1) | instskip(NEXT) | instid1(VALU_DEP_1)
	v_dual_sub_nc_u32 v4, v5, v4 :: v_dual_lshrrev_b32 v1, s59, v7
	v_mad_u32 v3, v4, s53, v3
	s_delay_alu instid0(VALU_DEP_4) | instskip(NEXT) | instid1(VALU_DEP_3)
	v_mad_u32 v2, v4, s52, v2
	v_mul_lo_u32 v5, v1, s57
	s_delay_alu instid0(VALU_DEP_1) | instskip(NEXT) | instid1(VALU_DEP_1)
	v_sub_nc_u32_e32 v4, v6, v5
	v_mad_u32 v3, v4, s55, v3
	s_delay_alu instid0(VALU_DEP_4)
	v_mad_u32 v2, v4, s54, v2
	s_cbranch_scc0 .LBB29_176
	s_branch .LBB29_196
.LBB29_177:
                                        ; implicit-def: $vgpr3
	s_branch .LBB29_200
.LBB29_178:
	v_dual_mov_b32 v3, 0 :: v_dual_mov_b32 v2, 0
	s_branch .LBB29_199
.LBB29_179:
	v_mov_b64_e32 v[2:3], 0
	v_mov_b32_e32 v1, v0
	s_mov_b32 s24, 0
.LBB29_180:
	s_and_b32 s16, s16, 3
	s_mov_b32 s25, 0
	s_cmp_eq_u32 s16, 0
	s_cbranch_scc1 .LBB29_183
; %bb.181:
	s_lshl_b32 s26, s24, 3
	s_mov_b32 s27, s25
	s_mul_u64 s[28:29], s[24:25], 12
	s_add_nc_u64 s[26:27], s[12:13], s[26:27]
	s_delay_alu instid0(SALU_CYCLE_1)
	s_add_nc_u64 s[24:25], s[26:27], 0xc4
	s_add_nc_u64 s[26:27], s[12:13], s[28:29]
.LBB29_182:                             ; =>This Inner Loop Header: Depth=1
	s_load_b96 s[40:42], s[26:27], 0x4
	s_load_b64 s[28:29], s[24:25], 0x0
	s_add_co_i32 s16, s16, -1
	s_wait_xcnt 0x0
	s_add_nc_u64 s[26:27], s[26:27], 12
	s_cmp_lg_u32 s16, 0
	s_add_nc_u64 s[24:25], s[24:25], 8
	s_wait_kmcnt 0x0
	v_mul_hi_u32 v4, s41, v1
	s_delay_alu instid0(VALU_DEP_1) | instskip(NEXT) | instid1(VALU_DEP_1)
	v_add_nc_u32_e32 v4, v1, v4
	v_lshrrev_b32_e32 v4, s42, v4
	s_delay_alu instid0(VALU_DEP_1) | instskip(NEXT) | instid1(VALU_DEP_1)
	v_mul_lo_u32 v5, v4, s40
	v_sub_nc_u32_e32 v1, v1, v5
	s_delay_alu instid0(VALU_DEP_1)
	v_mad_u32 v3, v1, s29, v3
	v_mad_u32 v2, v1, s28, v2
	v_mov_b32_e32 v1, v4
	s_cbranch_scc1 .LBB29_182
.LBB29_183:
	s_cbranch_execnz .LBB29_186
.LBB29_184:
	v_mov_b32_e32 v1, 0
	s_and_not1_b32 vcc_lo, exec_lo, s35
	s_delay_alu instid0(VALU_DEP_1) | instskip(NEXT) | instid1(VALU_DEP_1)
	v_mul_u64_e32 v[2:3], s[18:19], v[0:1]
	v_add_nc_u32_e32 v2, v0, v3
	s_delay_alu instid0(VALU_DEP_1) | instskip(NEXT) | instid1(VALU_DEP_1)
	v_lshrrev_b32_e32 v4, s6, v2
	v_mul_lo_u32 v2, v4, s4
	s_delay_alu instid0(VALU_DEP_1) | instskip(NEXT) | instid1(VALU_DEP_1)
	v_sub_nc_u32_e32 v2, v0, v2
	v_mul_lo_u32 v3, v2, s9
	v_mul_lo_u32 v2, v2, s8
	s_cbranch_vccnz .LBB29_186
; %bb.185:
	v_mov_b32_e32 v5, v1
	s_delay_alu instid0(VALU_DEP_1) | instskip(NEXT) | instid1(VALU_DEP_1)
	v_mul_u64_e32 v[6:7], s[20:21], v[4:5]
	v_add_nc_u32_e32 v1, v4, v7
	s_delay_alu instid0(VALU_DEP_1) | instskip(NEXT) | instid1(VALU_DEP_1)
	v_lshrrev_b32_e32 v1, s17, v1
	v_mul_lo_u32 v1, v1, s7
	s_delay_alu instid0(VALU_DEP_1) | instskip(NEXT) | instid1(VALU_DEP_1)
	v_sub_nc_u32_e32 v1, v4, v1
	v_mad_u32 v2, v1, s10, v2
	v_mad_u32 v3, v1, s11, v3
.LBB29_186:
	global_load_u8 v1, v3, s[2:3]
	s_and_b32 s16, s15, 0xff
	v_add_nc_u32_e32 v0, 0x80, v0
	s_wait_loadcnt 0x0
	v_cmp_ne_u16_e32 vcc_lo, s16, v1
	s_xor_b32 s16, s5, vcc_lo
	s_delay_alu instid0(SALU_CYCLE_1) | instskip(SKIP_3) | instid1(SALU_CYCLE_1)
	v_cndmask_b32_e64 v1, 0, 1, s16
	global_store_b8 v2, v1, s[0:1]
	s_wait_xcnt 0x0
	s_or_b32 exec_lo, exec_lo, s14
	s_mov_b32 s14, exec_lo
	v_cmpx_gt_i32_e64 s36, v0
	s_cbranch_execnz .LBB29_172
.LBB29_187:
	s_or_b32 exec_lo, exec_lo, s14
	s_delay_alu instid0(SALU_CYCLE_1)
	s_mov_b32 s14, exec_lo
	v_cmpx_gt_i32_e64 s36, v0
	s_cbranch_execz .LBB29_203
.LBB29_188:
	s_and_not1_b32 vcc_lo, exec_lo, s33
	s_cbranch_vccnz .LBB29_193
; %bb.189:
	s_and_not1_b32 vcc_lo, exec_lo, s38
	s_cbranch_vccnz .LBB29_194
; %bb.190:
	s_add_co_i32 s16, s37, 1
	s_cmp_eq_u32 s31, 2
	s_cbranch_scc1 .LBB29_211
; %bb.191:
	v_dual_mov_b32 v2, 0 :: v_dual_mov_b32 v3, 0
	v_mov_b32_e32 v1, v0
	s_and_b32 s24, s16, 28
	s_mov_b32 s25, 0
	s_mov_b64 s[26:27], s[12:13]
	s_mov_b64 s[28:29], s[22:23]
.LBB29_192:                             ; =>This Inner Loop Header: Depth=1
	s_clause 0x1
	s_load_b256 s[40:47], s[26:27], 0x4
	s_load_b128 s[56:59], s[26:27], 0x24
	s_load_b256 s[48:55], s[28:29], 0x0
	s_add_co_i32 s25, s25, 4
	s_wait_xcnt 0x0
	s_add_nc_u64 s[26:27], s[26:27], 48
	s_cmp_eq_u32 s24, s25
	s_add_nc_u64 s[28:29], s[28:29], 32
	s_wait_kmcnt 0x0
	v_mul_hi_u32 v4, s41, v1
	s_delay_alu instid0(VALU_DEP_1) | instskip(NEXT) | instid1(VALU_DEP_1)
	v_add_nc_u32_e32 v4, v1, v4
	v_lshrrev_b32_e32 v4, s42, v4
	s_delay_alu instid0(VALU_DEP_1) | instskip(NEXT) | instid1(VALU_DEP_1)
	v_mul_hi_u32 v5, s44, v4
	v_add_nc_u32_e32 v5, v4, v5
	s_delay_alu instid0(VALU_DEP_1) | instskip(NEXT) | instid1(VALU_DEP_1)
	v_lshrrev_b32_e32 v5, s45, v5
	v_mul_hi_u32 v6, s47, v5
	s_delay_alu instid0(VALU_DEP_1) | instskip(SKIP_1) | instid1(VALU_DEP_1)
	v_add_nc_u32_e32 v6, v5, v6
	v_mul_lo_u32 v7, v4, s40
	v_sub_nc_u32_e32 v1, v1, v7
	v_mul_lo_u32 v7, v5, s43
	s_delay_alu instid0(VALU_DEP_4) | instskip(NEXT) | instid1(VALU_DEP_3)
	v_lshrrev_b32_e32 v6, s56, v6
	v_mad_u32 v3, v1, s49, v3
	v_mad_u32 v1, v1, s48, v2
	s_delay_alu instid0(VALU_DEP_4) | instskip(NEXT) | instid1(VALU_DEP_4)
	v_sub_nc_u32_e32 v2, v4, v7
	v_mul_hi_u32 v8, s58, v6
	v_mul_lo_u32 v4, v6, s46
	s_delay_alu instid0(VALU_DEP_3) | instskip(SKIP_1) | instid1(VALU_DEP_4)
	v_mad_u32 v3, v2, s51, v3
	v_mad_u32 v2, v2, s50, v1
	v_add_nc_u32_e32 v7, v6, v8
	s_delay_alu instid0(VALU_DEP_1) | instskip(NEXT) | instid1(VALU_DEP_1)
	v_dual_sub_nc_u32 v4, v5, v4 :: v_dual_lshrrev_b32 v1, s59, v7
	v_mad_u32 v3, v4, s53, v3
	s_delay_alu instid0(VALU_DEP_4) | instskip(NEXT) | instid1(VALU_DEP_3)
	v_mad_u32 v2, v4, s52, v2
	v_mul_lo_u32 v5, v1, s57
	s_delay_alu instid0(VALU_DEP_1) | instskip(NEXT) | instid1(VALU_DEP_1)
	v_sub_nc_u32_e32 v4, v6, v5
	v_mad_u32 v3, v4, s55, v3
	s_delay_alu instid0(VALU_DEP_4)
	v_mad_u32 v2, v4, s54, v2
	s_cbranch_scc0 .LBB29_192
	s_branch .LBB29_212
.LBB29_193:
                                        ; implicit-def: $vgpr3
	s_branch .LBB29_216
.LBB29_194:
	v_dual_mov_b32 v3, 0 :: v_dual_mov_b32 v2, 0
	s_branch .LBB29_215
.LBB29_195:
	v_mov_b64_e32 v[2:3], 0
	v_mov_b32_e32 v1, v0
	s_mov_b32 s24, 0
.LBB29_196:
	s_and_b32 s16, s16, 3
	s_mov_b32 s25, 0
	s_cmp_eq_u32 s16, 0
	s_cbranch_scc1 .LBB29_199
; %bb.197:
	s_lshl_b32 s26, s24, 3
	s_mov_b32 s27, s25
	s_mul_u64 s[28:29], s[24:25], 12
	s_add_nc_u64 s[26:27], s[12:13], s[26:27]
	s_delay_alu instid0(SALU_CYCLE_1)
	s_add_nc_u64 s[24:25], s[26:27], 0xc4
	s_add_nc_u64 s[26:27], s[12:13], s[28:29]
.LBB29_198:                             ; =>This Inner Loop Header: Depth=1
	s_load_b96 s[40:42], s[26:27], 0x4
	s_load_b64 s[28:29], s[24:25], 0x0
	s_add_co_i32 s16, s16, -1
	s_wait_xcnt 0x0
	s_add_nc_u64 s[26:27], s[26:27], 12
	s_cmp_lg_u32 s16, 0
	s_add_nc_u64 s[24:25], s[24:25], 8
	s_wait_kmcnt 0x0
	v_mul_hi_u32 v4, s41, v1
	s_delay_alu instid0(VALU_DEP_1) | instskip(NEXT) | instid1(VALU_DEP_1)
	v_add_nc_u32_e32 v4, v1, v4
	v_lshrrev_b32_e32 v4, s42, v4
	s_delay_alu instid0(VALU_DEP_1) | instskip(NEXT) | instid1(VALU_DEP_1)
	v_mul_lo_u32 v5, v4, s40
	v_sub_nc_u32_e32 v1, v1, v5
	s_delay_alu instid0(VALU_DEP_1)
	v_mad_u32 v3, v1, s29, v3
	v_mad_u32 v2, v1, s28, v2
	v_mov_b32_e32 v1, v4
	s_cbranch_scc1 .LBB29_198
.LBB29_199:
	s_cbranch_execnz .LBB29_202
.LBB29_200:
	v_mov_b32_e32 v1, 0
	s_and_not1_b32 vcc_lo, exec_lo, s35
	s_delay_alu instid0(VALU_DEP_1) | instskip(NEXT) | instid1(VALU_DEP_1)
	v_mul_u64_e32 v[2:3], s[18:19], v[0:1]
	v_add_nc_u32_e32 v2, v0, v3
	s_delay_alu instid0(VALU_DEP_1) | instskip(NEXT) | instid1(VALU_DEP_1)
	v_lshrrev_b32_e32 v4, s6, v2
	v_mul_lo_u32 v2, v4, s4
	s_delay_alu instid0(VALU_DEP_1) | instskip(NEXT) | instid1(VALU_DEP_1)
	v_sub_nc_u32_e32 v2, v0, v2
	v_mul_lo_u32 v3, v2, s9
	v_mul_lo_u32 v2, v2, s8
	s_cbranch_vccnz .LBB29_202
; %bb.201:
	v_mov_b32_e32 v5, v1
	s_delay_alu instid0(VALU_DEP_1) | instskip(NEXT) | instid1(VALU_DEP_1)
	v_mul_u64_e32 v[6:7], s[20:21], v[4:5]
	v_add_nc_u32_e32 v1, v4, v7
	s_delay_alu instid0(VALU_DEP_1) | instskip(NEXT) | instid1(VALU_DEP_1)
	v_lshrrev_b32_e32 v1, s17, v1
	v_mul_lo_u32 v1, v1, s7
	s_delay_alu instid0(VALU_DEP_1) | instskip(NEXT) | instid1(VALU_DEP_1)
	v_sub_nc_u32_e32 v1, v4, v1
	v_mad_u32 v2, v1, s10, v2
	v_mad_u32 v3, v1, s11, v3
.LBB29_202:
	global_load_u8 v1, v3, s[2:3]
	s_and_b32 s16, s15, 0xff
	v_add_nc_u32_e32 v0, 0x80, v0
	s_wait_loadcnt 0x0
	v_cmp_ne_u16_e32 vcc_lo, s16, v1
	s_xor_b32 s16, s5, vcc_lo
	s_delay_alu instid0(SALU_CYCLE_1) | instskip(SKIP_3) | instid1(SALU_CYCLE_1)
	v_cndmask_b32_e64 v1, 0, 1, s16
	global_store_b8 v2, v1, s[0:1]
	s_wait_xcnt 0x0
	s_or_b32 exec_lo, exec_lo, s14
	s_mov_b32 s14, exec_lo
	v_cmpx_gt_i32_e64 s36, v0
	s_cbranch_execnz .LBB29_188
.LBB29_203:
	s_or_b32 exec_lo, exec_lo, s14
	s_delay_alu instid0(SALU_CYCLE_1)
	s_mov_b32 s14, exec_lo
	v_cmpx_gt_i32_e64 s36, v0
	s_cbranch_execz .LBB29_219
.LBB29_204:
	s_and_not1_b32 vcc_lo, exec_lo, s33
	s_cbranch_vccnz .LBB29_209
; %bb.205:
	s_and_not1_b32 vcc_lo, exec_lo, s38
	s_cbranch_vccnz .LBB29_210
; %bb.206:
	s_add_co_i32 s16, s37, 1
	s_cmp_eq_u32 s31, 2
	s_cbranch_scc1 .LBB29_222
; %bb.207:
	v_dual_mov_b32 v2, 0 :: v_dual_mov_b32 v3, 0
	v_mov_b32_e32 v1, v0
	s_and_b32 s24, s16, 28
	s_mov_b32 s25, 0
	s_mov_b64 s[26:27], s[12:13]
	s_mov_b64 s[28:29], s[22:23]
.LBB29_208:                             ; =>This Inner Loop Header: Depth=1
	s_clause 0x1
	s_load_b256 s[40:47], s[26:27], 0x4
	s_load_b128 s[56:59], s[26:27], 0x24
	s_load_b256 s[48:55], s[28:29], 0x0
	s_add_co_i32 s25, s25, 4
	s_wait_xcnt 0x0
	s_add_nc_u64 s[26:27], s[26:27], 48
	s_cmp_eq_u32 s24, s25
	s_add_nc_u64 s[28:29], s[28:29], 32
	s_wait_kmcnt 0x0
	v_mul_hi_u32 v4, s41, v1
	s_delay_alu instid0(VALU_DEP_1) | instskip(NEXT) | instid1(VALU_DEP_1)
	v_add_nc_u32_e32 v4, v1, v4
	v_lshrrev_b32_e32 v4, s42, v4
	s_delay_alu instid0(VALU_DEP_1) | instskip(NEXT) | instid1(VALU_DEP_1)
	v_mul_hi_u32 v5, s44, v4
	v_add_nc_u32_e32 v5, v4, v5
	s_delay_alu instid0(VALU_DEP_1) | instskip(NEXT) | instid1(VALU_DEP_1)
	v_lshrrev_b32_e32 v5, s45, v5
	v_mul_hi_u32 v6, s47, v5
	s_delay_alu instid0(VALU_DEP_1) | instskip(SKIP_1) | instid1(VALU_DEP_1)
	v_add_nc_u32_e32 v6, v5, v6
	v_mul_lo_u32 v7, v4, s40
	v_sub_nc_u32_e32 v1, v1, v7
	v_mul_lo_u32 v7, v5, s43
	s_delay_alu instid0(VALU_DEP_4) | instskip(NEXT) | instid1(VALU_DEP_3)
	v_lshrrev_b32_e32 v6, s56, v6
	v_mad_u32 v3, v1, s49, v3
	v_mad_u32 v1, v1, s48, v2
	s_delay_alu instid0(VALU_DEP_4) | instskip(NEXT) | instid1(VALU_DEP_4)
	v_sub_nc_u32_e32 v2, v4, v7
	v_mul_hi_u32 v8, s58, v6
	v_mul_lo_u32 v4, v6, s46
	s_delay_alu instid0(VALU_DEP_3) | instskip(SKIP_1) | instid1(VALU_DEP_4)
	v_mad_u32 v3, v2, s51, v3
	v_mad_u32 v2, v2, s50, v1
	v_add_nc_u32_e32 v7, v6, v8
	s_delay_alu instid0(VALU_DEP_1) | instskip(NEXT) | instid1(VALU_DEP_1)
	v_dual_sub_nc_u32 v4, v5, v4 :: v_dual_lshrrev_b32 v1, s59, v7
	v_mad_u32 v3, v4, s53, v3
	s_delay_alu instid0(VALU_DEP_4) | instskip(NEXT) | instid1(VALU_DEP_3)
	v_mad_u32 v2, v4, s52, v2
	v_mul_lo_u32 v5, v1, s57
	s_delay_alu instid0(VALU_DEP_1) | instskip(NEXT) | instid1(VALU_DEP_1)
	v_sub_nc_u32_e32 v4, v6, v5
	v_mad_u32 v3, v4, s55, v3
	s_delay_alu instid0(VALU_DEP_4)
	v_mad_u32 v2, v4, s54, v2
	s_cbranch_scc0 .LBB29_208
	s_branch .LBB29_223
.LBB29_209:
                                        ; implicit-def: $vgpr3
	s_branch .LBB29_227
.LBB29_210:
	v_dual_mov_b32 v3, 0 :: v_dual_mov_b32 v2, 0
	s_branch .LBB29_226
.LBB29_211:
	v_mov_b64_e32 v[2:3], 0
	v_mov_b32_e32 v1, v0
	s_mov_b32 s24, 0
.LBB29_212:
	s_and_b32 s16, s16, 3
	s_mov_b32 s25, 0
	s_cmp_eq_u32 s16, 0
	s_cbranch_scc1 .LBB29_215
; %bb.213:
	s_lshl_b32 s26, s24, 3
	s_mov_b32 s27, s25
	s_mul_u64 s[28:29], s[24:25], 12
	s_add_nc_u64 s[26:27], s[12:13], s[26:27]
	s_delay_alu instid0(SALU_CYCLE_1)
	s_add_nc_u64 s[24:25], s[26:27], 0xc4
	s_add_nc_u64 s[26:27], s[12:13], s[28:29]
.LBB29_214:                             ; =>This Inner Loop Header: Depth=1
	s_load_b96 s[40:42], s[26:27], 0x4
	s_load_b64 s[28:29], s[24:25], 0x0
	s_add_co_i32 s16, s16, -1
	s_wait_xcnt 0x0
	s_add_nc_u64 s[26:27], s[26:27], 12
	s_cmp_lg_u32 s16, 0
	s_add_nc_u64 s[24:25], s[24:25], 8
	s_wait_kmcnt 0x0
	v_mul_hi_u32 v4, s41, v1
	s_delay_alu instid0(VALU_DEP_1) | instskip(NEXT) | instid1(VALU_DEP_1)
	v_add_nc_u32_e32 v4, v1, v4
	v_lshrrev_b32_e32 v4, s42, v4
	s_delay_alu instid0(VALU_DEP_1) | instskip(NEXT) | instid1(VALU_DEP_1)
	v_mul_lo_u32 v5, v4, s40
	v_sub_nc_u32_e32 v1, v1, v5
	s_delay_alu instid0(VALU_DEP_1)
	v_mad_u32 v3, v1, s29, v3
	v_mad_u32 v2, v1, s28, v2
	v_mov_b32_e32 v1, v4
	s_cbranch_scc1 .LBB29_214
.LBB29_215:
	s_cbranch_execnz .LBB29_218
.LBB29_216:
	v_mov_b32_e32 v1, 0
	s_and_not1_b32 vcc_lo, exec_lo, s35
	s_delay_alu instid0(VALU_DEP_1) | instskip(NEXT) | instid1(VALU_DEP_1)
	v_mul_u64_e32 v[2:3], s[18:19], v[0:1]
	v_add_nc_u32_e32 v2, v0, v3
	s_delay_alu instid0(VALU_DEP_1) | instskip(NEXT) | instid1(VALU_DEP_1)
	v_lshrrev_b32_e32 v4, s6, v2
	v_mul_lo_u32 v2, v4, s4
	s_delay_alu instid0(VALU_DEP_1) | instskip(NEXT) | instid1(VALU_DEP_1)
	v_sub_nc_u32_e32 v2, v0, v2
	v_mul_lo_u32 v3, v2, s9
	v_mul_lo_u32 v2, v2, s8
	s_cbranch_vccnz .LBB29_218
; %bb.217:
	v_mov_b32_e32 v5, v1
	s_delay_alu instid0(VALU_DEP_1) | instskip(NEXT) | instid1(VALU_DEP_1)
	v_mul_u64_e32 v[6:7], s[20:21], v[4:5]
	v_add_nc_u32_e32 v1, v4, v7
	s_delay_alu instid0(VALU_DEP_1) | instskip(NEXT) | instid1(VALU_DEP_1)
	v_lshrrev_b32_e32 v1, s17, v1
	v_mul_lo_u32 v1, v1, s7
	s_delay_alu instid0(VALU_DEP_1) | instskip(NEXT) | instid1(VALU_DEP_1)
	v_sub_nc_u32_e32 v1, v4, v1
	v_mad_u32 v2, v1, s10, v2
	v_mad_u32 v3, v1, s11, v3
.LBB29_218:
	global_load_u8 v1, v3, s[2:3]
	s_and_b32 s16, s15, 0xff
	v_add_nc_u32_e32 v0, 0x80, v0
	s_wait_loadcnt 0x0
	v_cmp_ne_u16_e32 vcc_lo, s16, v1
	s_xor_b32 s16, s5, vcc_lo
	s_delay_alu instid0(SALU_CYCLE_1) | instskip(SKIP_3) | instid1(SALU_CYCLE_1)
	v_cndmask_b32_e64 v1, 0, 1, s16
	global_store_b8 v2, v1, s[0:1]
	s_wait_xcnt 0x0
	s_or_b32 exec_lo, exec_lo, s14
	s_mov_b32 s14, exec_lo
	v_cmpx_gt_i32_e64 s36, v0
	s_cbranch_execnz .LBB29_204
.LBB29_219:
	s_or_b32 exec_lo, exec_lo, s14
	s_delay_alu instid0(SALU_CYCLE_1)
	s_mov_b32 s14, exec_lo
	v_cmpx_gt_i32_e64 s36, v0
	s_cbranch_execnz .LBB29_230
.LBB29_220:
	s_or_b32 exec_lo, exec_lo, s14
                                        ; implicit-def: $vgpr16
                                        ; implicit-def: $vgpr0
	s_and_not1_saveexec_b32 s0, s34
	s_cbranch_execnz .LBB29_8
.LBB29_221:
	s_endpgm
.LBB29_222:
	v_mov_b64_e32 v[2:3], 0
	v_mov_b32_e32 v1, v0
	s_mov_b32 s24, 0
.LBB29_223:
	s_and_b32 s16, s16, 3
	s_mov_b32 s25, 0
	s_cmp_eq_u32 s16, 0
	s_cbranch_scc1 .LBB29_226
; %bb.224:
	s_lshl_b32 s26, s24, 3
	s_mov_b32 s27, s25
	s_mul_u64 s[28:29], s[24:25], 12
	s_add_nc_u64 s[26:27], s[12:13], s[26:27]
	s_delay_alu instid0(SALU_CYCLE_1)
	s_add_nc_u64 s[24:25], s[26:27], 0xc4
	s_add_nc_u64 s[26:27], s[12:13], s[28:29]
.LBB29_225:                             ; =>This Inner Loop Header: Depth=1
	s_load_b96 s[40:42], s[26:27], 0x4
	s_load_b64 s[28:29], s[24:25], 0x0
	s_add_co_i32 s16, s16, -1
	s_wait_xcnt 0x0
	s_add_nc_u64 s[26:27], s[26:27], 12
	s_cmp_lg_u32 s16, 0
	s_add_nc_u64 s[24:25], s[24:25], 8
	s_wait_kmcnt 0x0
	v_mul_hi_u32 v4, s41, v1
	s_delay_alu instid0(VALU_DEP_1) | instskip(NEXT) | instid1(VALU_DEP_1)
	v_add_nc_u32_e32 v4, v1, v4
	v_lshrrev_b32_e32 v4, s42, v4
	s_delay_alu instid0(VALU_DEP_1) | instskip(NEXT) | instid1(VALU_DEP_1)
	v_mul_lo_u32 v5, v4, s40
	v_sub_nc_u32_e32 v1, v1, v5
	s_delay_alu instid0(VALU_DEP_1)
	v_mad_u32 v3, v1, s29, v3
	v_mad_u32 v2, v1, s28, v2
	v_mov_b32_e32 v1, v4
	s_cbranch_scc1 .LBB29_225
.LBB29_226:
	s_cbranch_execnz .LBB29_229
.LBB29_227:
	v_mov_b32_e32 v1, 0
	s_and_not1_b32 vcc_lo, exec_lo, s35
	s_delay_alu instid0(VALU_DEP_1) | instskip(NEXT) | instid1(VALU_DEP_1)
	v_mul_u64_e32 v[2:3], s[18:19], v[0:1]
	v_add_nc_u32_e32 v2, v0, v3
	s_delay_alu instid0(VALU_DEP_1) | instskip(NEXT) | instid1(VALU_DEP_1)
	v_lshrrev_b32_e32 v4, s6, v2
	v_mul_lo_u32 v2, v4, s4
	s_delay_alu instid0(VALU_DEP_1) | instskip(NEXT) | instid1(VALU_DEP_1)
	v_sub_nc_u32_e32 v2, v0, v2
	v_mul_lo_u32 v3, v2, s9
	v_mul_lo_u32 v2, v2, s8
	s_cbranch_vccnz .LBB29_229
; %bb.228:
	v_mov_b32_e32 v5, v1
	s_delay_alu instid0(VALU_DEP_1) | instskip(NEXT) | instid1(VALU_DEP_1)
	v_mul_u64_e32 v[6:7], s[20:21], v[4:5]
	v_add_nc_u32_e32 v1, v4, v7
	s_delay_alu instid0(VALU_DEP_1) | instskip(NEXT) | instid1(VALU_DEP_1)
	v_lshrrev_b32_e32 v1, s17, v1
	v_mul_lo_u32 v1, v1, s7
	s_delay_alu instid0(VALU_DEP_1) | instskip(NEXT) | instid1(VALU_DEP_1)
	v_sub_nc_u32_e32 v1, v4, v1
	v_mad_u32 v2, v1, s10, v2
	v_mad_u32 v3, v1, s11, v3
.LBB29_229:
	global_load_u8 v1, v3, s[2:3]
	s_and_b32 s16, s15, 0xff
	v_add_nc_u32_e32 v0, 0x80, v0
	s_wait_loadcnt 0x0
	v_cmp_ne_u16_e32 vcc_lo, s16, v1
	s_xor_b32 s16, s5, vcc_lo
	s_delay_alu instid0(SALU_CYCLE_1) | instskip(SKIP_3) | instid1(SALU_CYCLE_1)
	v_cndmask_b32_e64 v1, 0, 1, s16
	global_store_b8 v2, v1, s[0:1]
	s_wait_xcnt 0x0
	s_or_b32 exec_lo, exec_lo, s14
	s_mov_b32 s14, exec_lo
	v_cmpx_gt_i32_e64 s36, v0
	s_cbranch_execz .LBB29_220
.LBB29_230:
	s_and_not1_b32 vcc_lo, exec_lo, s33
	s_cbranch_vccnz .LBB29_235
; %bb.231:
	s_and_not1_b32 vcc_lo, exec_lo, s38
	s_cbranch_vccnz .LBB29_236
; %bb.232:
	s_add_co_i32 s37, s37, 1
	s_cmp_eq_u32 s31, 2
	s_cbranch_scc1 .LBB29_237
; %bb.233:
	v_dual_mov_b32 v2, 0 :: v_dual_mov_b32 v3, 0
	v_mov_b32_e32 v1, v0
	s_and_b32 s24, s37, 28
	s_mov_b32 s16, 0
	s_mov_b64 s[26:27], s[12:13]
.LBB29_234:                             ; =>This Inner Loop Header: Depth=1
	s_clause 0x1
	s_load_b256 s[40:47], s[26:27], 0x4
	s_load_b128 s[56:59], s[26:27], 0x24
	s_load_b256 s[48:55], s[22:23], 0x0
	s_add_co_i32 s16, s16, 4
	s_wait_xcnt 0x0
	s_add_nc_u64 s[26:27], s[26:27], 48
	s_cmp_eq_u32 s24, s16
	s_add_nc_u64 s[22:23], s[22:23], 32
	s_wait_kmcnt 0x0
	v_mul_hi_u32 v4, s41, v1
	s_delay_alu instid0(VALU_DEP_1) | instskip(NEXT) | instid1(VALU_DEP_1)
	v_add_nc_u32_e32 v4, v1, v4
	v_lshrrev_b32_e32 v4, s42, v4
	s_delay_alu instid0(VALU_DEP_1) | instskip(NEXT) | instid1(VALU_DEP_1)
	v_mul_hi_u32 v5, s44, v4
	v_add_nc_u32_e32 v5, v4, v5
	s_delay_alu instid0(VALU_DEP_1) | instskip(NEXT) | instid1(VALU_DEP_1)
	v_lshrrev_b32_e32 v5, s45, v5
	v_mul_hi_u32 v6, s47, v5
	s_delay_alu instid0(VALU_DEP_1) | instskip(SKIP_1) | instid1(VALU_DEP_1)
	v_add_nc_u32_e32 v6, v5, v6
	v_mul_lo_u32 v7, v4, s40
	v_sub_nc_u32_e32 v1, v1, v7
	v_mul_lo_u32 v7, v5, s43
	s_delay_alu instid0(VALU_DEP_4) | instskip(NEXT) | instid1(VALU_DEP_3)
	v_lshrrev_b32_e32 v6, s56, v6
	v_mad_u32 v3, v1, s49, v3
	v_mad_u32 v1, v1, s48, v2
	s_delay_alu instid0(VALU_DEP_4) | instskip(NEXT) | instid1(VALU_DEP_4)
	v_sub_nc_u32_e32 v2, v4, v7
	v_mul_hi_u32 v8, s58, v6
	v_mul_lo_u32 v4, v6, s46
	s_delay_alu instid0(VALU_DEP_3) | instskip(SKIP_1) | instid1(VALU_DEP_4)
	v_mad_u32 v3, v2, s51, v3
	v_mad_u32 v2, v2, s50, v1
	v_add_nc_u32_e32 v7, v6, v8
	s_delay_alu instid0(VALU_DEP_1) | instskip(NEXT) | instid1(VALU_DEP_1)
	v_dual_sub_nc_u32 v4, v5, v4 :: v_dual_lshrrev_b32 v1, s59, v7
	v_mad_u32 v3, v4, s53, v3
	s_delay_alu instid0(VALU_DEP_4) | instskip(NEXT) | instid1(VALU_DEP_3)
	v_mad_u32 v2, v4, s52, v2
	v_mul_lo_u32 v5, v1, s57
	s_delay_alu instid0(VALU_DEP_1) | instskip(NEXT) | instid1(VALU_DEP_1)
	v_sub_nc_u32_e32 v4, v6, v5
	v_mad_u32 v3, v4, s55, v3
	s_delay_alu instid0(VALU_DEP_4)
	v_mad_u32 v2, v4, s54, v2
	s_cbranch_scc0 .LBB29_234
	s_branch .LBB29_238
.LBB29_235:
                                        ; implicit-def: $vgpr3
	s_branch .LBB29_242
.LBB29_236:
	v_dual_mov_b32 v3, 0 :: v_dual_mov_b32 v2, 0
	s_branch .LBB29_241
.LBB29_237:
	v_mov_b64_e32 v[2:3], 0
	v_mov_b32_e32 v1, v0
	s_mov_b32 s24, 0
.LBB29_238:
	s_and_b32 s16, s37, 3
	s_mov_b32 s25, 0
	s_cmp_eq_u32 s16, 0
	s_cbranch_scc1 .LBB29_241
; %bb.239:
	s_lshl_b32 s22, s24, 3
	s_mov_b32 s23, s25
	s_mul_u64 s[24:25], s[24:25], 12
	s_add_nc_u64 s[22:23], s[12:13], s[22:23]
	s_add_nc_u64 s[24:25], s[12:13], s[24:25]
	;; [unrolled: 1-line block ×3, first 2 shown]
.LBB29_240:                             ; =>This Inner Loop Header: Depth=1
	s_load_b96 s[36:38], s[24:25], 0x4
	s_load_b64 s[26:27], s[22:23], 0x0
	s_add_co_i32 s16, s16, -1
	s_wait_xcnt 0x0
	s_add_nc_u64 s[24:25], s[24:25], 12
	s_cmp_lg_u32 s16, 0
	s_add_nc_u64 s[22:23], s[22:23], 8
	s_wait_kmcnt 0x0
	v_mul_hi_u32 v4, s37, v1
	s_delay_alu instid0(VALU_DEP_1) | instskip(NEXT) | instid1(VALU_DEP_1)
	v_add_nc_u32_e32 v4, v1, v4
	v_lshrrev_b32_e32 v4, s38, v4
	s_delay_alu instid0(VALU_DEP_1) | instskip(NEXT) | instid1(VALU_DEP_1)
	v_mul_lo_u32 v5, v4, s36
	v_sub_nc_u32_e32 v1, v1, v5
	s_delay_alu instid0(VALU_DEP_1)
	v_mad_u32 v3, v1, s27, v3
	v_mad_u32 v2, v1, s26, v2
	v_mov_b32_e32 v1, v4
	s_cbranch_scc1 .LBB29_240
.LBB29_241:
	s_cbranch_execnz .LBB29_244
.LBB29_242:
	v_mov_b32_e32 v1, 0
	s_and_not1_b32 vcc_lo, exec_lo, s35
	s_delay_alu instid0(VALU_DEP_1) | instskip(NEXT) | instid1(VALU_DEP_1)
	v_mul_u64_e32 v[2:3], s[18:19], v[0:1]
	v_add_nc_u32_e32 v2, v0, v3
	s_delay_alu instid0(VALU_DEP_1) | instskip(NEXT) | instid1(VALU_DEP_1)
	v_lshrrev_b32_e32 v4, s6, v2
	v_mul_lo_u32 v2, v4, s4
	s_delay_alu instid0(VALU_DEP_1) | instskip(NEXT) | instid1(VALU_DEP_1)
	v_sub_nc_u32_e32 v0, v0, v2
	v_mul_lo_u32 v3, v0, s9
	v_mul_lo_u32 v2, v0, s8
	s_cbranch_vccnz .LBB29_244
; %bb.243:
	v_mov_b32_e32 v5, v1
	s_delay_alu instid0(VALU_DEP_1) | instskip(NEXT) | instid1(VALU_DEP_1)
	v_mul_u64_e32 v[0:1], s[20:21], v[4:5]
	v_add_nc_u32_e32 v0, v4, v1
	s_delay_alu instid0(VALU_DEP_1) | instskip(NEXT) | instid1(VALU_DEP_1)
	v_lshrrev_b32_e32 v0, s17, v0
	v_mul_lo_u32 v0, v0, s7
	s_delay_alu instid0(VALU_DEP_1) | instskip(NEXT) | instid1(VALU_DEP_1)
	v_sub_nc_u32_e32 v0, v4, v0
	v_mad_u32 v2, v0, s10, v2
	v_mad_u32 v3, v0, s11, v3
.LBB29_244:
	global_load_u8 v0, v3, s[2:3]
	s_wait_xcnt 0x0
	s_and_b32 s2, s15, 0xff
	s_wait_loadcnt 0x0
	v_cmp_ne_u16_e32 vcc_lo, s2, v0
	s_xor_b32 s2, s5, vcc_lo
	s_delay_alu instid0(SALU_CYCLE_1)
	v_cndmask_b32_e64 v0, 0, 1, s2
	global_store_b8 v2, v0, s[0:1]
	s_wait_xcnt 0x0
	s_or_b32 exec_lo, exec_lo, s14
                                        ; implicit-def: $vgpr16
                                        ; implicit-def: $vgpr0
	s_and_not1_saveexec_b32 s0, s34
	s_cbranch_execz .LBB29_221
	s_branch .LBB29_8
	.section	.rodata,"a",@progbits
	.p2align	6, 0x0
	.amdhsa_kernel _ZN2at6native32elementwise_kernel_manual_unrollILi128ELi8EZNS0_22gpu_kernel_impl_nocastINS0_13AUnaryFunctorIaabNS0_12_GLOBAL__N_116CompareEqFunctorIaEEEEEEvRNS_18TensorIteratorBaseERKT_EUlibE_EEviT1_
		.amdhsa_group_segment_fixed_size 0
		.amdhsa_private_segment_fixed_size 0
		.amdhsa_kernarg_size 360
		.amdhsa_user_sgpr_count 2
		.amdhsa_user_sgpr_dispatch_ptr 0
		.amdhsa_user_sgpr_queue_ptr 0
		.amdhsa_user_sgpr_kernarg_segment_ptr 1
		.amdhsa_user_sgpr_dispatch_id 0
		.amdhsa_user_sgpr_kernarg_preload_length 0
		.amdhsa_user_sgpr_kernarg_preload_offset 0
		.amdhsa_user_sgpr_private_segment_size 0
		.amdhsa_wavefront_size32 1
		.amdhsa_uses_dynamic_stack 0
		.amdhsa_enable_private_segment 0
		.amdhsa_system_sgpr_workgroup_id_x 1
		.amdhsa_system_sgpr_workgroup_id_y 0
		.amdhsa_system_sgpr_workgroup_id_z 0
		.amdhsa_system_sgpr_workgroup_info 0
		.amdhsa_system_vgpr_workitem_id 0
		.amdhsa_next_free_vgpr 24
		.amdhsa_next_free_sgpr 60
		.amdhsa_named_barrier_count 0
		.amdhsa_reserve_vcc 1
		.amdhsa_float_round_mode_32 0
		.amdhsa_float_round_mode_16_64 0
		.amdhsa_float_denorm_mode_32 3
		.amdhsa_float_denorm_mode_16_64 3
		.amdhsa_fp16_overflow 0
		.amdhsa_memory_ordered 1
		.amdhsa_forward_progress 1
		.amdhsa_inst_pref_size 100
		.amdhsa_round_robin_scheduling 0
		.amdhsa_exception_fp_ieee_invalid_op 0
		.amdhsa_exception_fp_denorm_src 0
		.amdhsa_exception_fp_ieee_div_zero 0
		.amdhsa_exception_fp_ieee_overflow 0
		.amdhsa_exception_fp_ieee_underflow 0
		.amdhsa_exception_fp_ieee_inexact 0
		.amdhsa_exception_int_div_zero 0
	.end_amdhsa_kernel
	.section	.text._ZN2at6native32elementwise_kernel_manual_unrollILi128ELi8EZNS0_22gpu_kernel_impl_nocastINS0_13AUnaryFunctorIaabNS0_12_GLOBAL__N_116CompareEqFunctorIaEEEEEEvRNS_18TensorIteratorBaseERKT_EUlibE_EEviT1_,"axG",@progbits,_ZN2at6native32elementwise_kernel_manual_unrollILi128ELi8EZNS0_22gpu_kernel_impl_nocastINS0_13AUnaryFunctorIaabNS0_12_GLOBAL__N_116CompareEqFunctorIaEEEEEEvRNS_18TensorIteratorBaseERKT_EUlibE_EEviT1_,comdat
.Lfunc_end29:
	.size	_ZN2at6native32elementwise_kernel_manual_unrollILi128ELi8EZNS0_22gpu_kernel_impl_nocastINS0_13AUnaryFunctorIaabNS0_12_GLOBAL__N_116CompareEqFunctorIaEEEEEEvRNS_18TensorIteratorBaseERKT_EUlibE_EEviT1_, .Lfunc_end29-_ZN2at6native32elementwise_kernel_manual_unrollILi128ELi8EZNS0_22gpu_kernel_impl_nocastINS0_13AUnaryFunctorIaabNS0_12_GLOBAL__N_116CompareEqFunctorIaEEEEEEvRNS_18TensorIteratorBaseERKT_EUlibE_EEviT1_
                                        ; -- End function
	.set _ZN2at6native32elementwise_kernel_manual_unrollILi128ELi8EZNS0_22gpu_kernel_impl_nocastINS0_13AUnaryFunctorIaabNS0_12_GLOBAL__N_116CompareEqFunctorIaEEEEEEvRNS_18TensorIteratorBaseERKT_EUlibE_EEviT1_.num_vgpr, 24
	.set _ZN2at6native32elementwise_kernel_manual_unrollILi128ELi8EZNS0_22gpu_kernel_impl_nocastINS0_13AUnaryFunctorIaabNS0_12_GLOBAL__N_116CompareEqFunctorIaEEEEEEvRNS_18TensorIteratorBaseERKT_EUlibE_EEviT1_.num_agpr, 0
	.set _ZN2at6native32elementwise_kernel_manual_unrollILi128ELi8EZNS0_22gpu_kernel_impl_nocastINS0_13AUnaryFunctorIaabNS0_12_GLOBAL__N_116CompareEqFunctorIaEEEEEEvRNS_18TensorIteratorBaseERKT_EUlibE_EEviT1_.numbered_sgpr, 60
	.set _ZN2at6native32elementwise_kernel_manual_unrollILi128ELi8EZNS0_22gpu_kernel_impl_nocastINS0_13AUnaryFunctorIaabNS0_12_GLOBAL__N_116CompareEqFunctorIaEEEEEEvRNS_18TensorIteratorBaseERKT_EUlibE_EEviT1_.num_named_barrier, 0
	.set _ZN2at6native32elementwise_kernel_manual_unrollILi128ELi8EZNS0_22gpu_kernel_impl_nocastINS0_13AUnaryFunctorIaabNS0_12_GLOBAL__N_116CompareEqFunctorIaEEEEEEvRNS_18TensorIteratorBaseERKT_EUlibE_EEviT1_.private_seg_size, 0
	.set _ZN2at6native32elementwise_kernel_manual_unrollILi128ELi8EZNS0_22gpu_kernel_impl_nocastINS0_13AUnaryFunctorIaabNS0_12_GLOBAL__N_116CompareEqFunctorIaEEEEEEvRNS_18TensorIteratorBaseERKT_EUlibE_EEviT1_.uses_vcc, 1
	.set _ZN2at6native32elementwise_kernel_manual_unrollILi128ELi8EZNS0_22gpu_kernel_impl_nocastINS0_13AUnaryFunctorIaabNS0_12_GLOBAL__N_116CompareEqFunctorIaEEEEEEvRNS_18TensorIteratorBaseERKT_EUlibE_EEviT1_.uses_flat_scratch, 0
	.set _ZN2at6native32elementwise_kernel_manual_unrollILi128ELi8EZNS0_22gpu_kernel_impl_nocastINS0_13AUnaryFunctorIaabNS0_12_GLOBAL__N_116CompareEqFunctorIaEEEEEEvRNS_18TensorIteratorBaseERKT_EUlibE_EEviT1_.has_dyn_sized_stack, 0
	.set _ZN2at6native32elementwise_kernel_manual_unrollILi128ELi8EZNS0_22gpu_kernel_impl_nocastINS0_13AUnaryFunctorIaabNS0_12_GLOBAL__N_116CompareEqFunctorIaEEEEEEvRNS_18TensorIteratorBaseERKT_EUlibE_EEviT1_.has_recursion, 0
	.set _ZN2at6native32elementwise_kernel_manual_unrollILi128ELi8EZNS0_22gpu_kernel_impl_nocastINS0_13AUnaryFunctorIaabNS0_12_GLOBAL__N_116CompareEqFunctorIaEEEEEEvRNS_18TensorIteratorBaseERKT_EUlibE_EEviT1_.has_indirect_call, 0
	.section	.AMDGPU.csdata,"",@progbits
; Kernel info:
; codeLenInByte = 12696
; TotalNumSgprs: 62
; NumVgprs: 24
; ScratchSize: 0
; MemoryBound: 0
; FloatMode: 240
; IeeeMode: 1
; LDSByteSize: 0 bytes/workgroup (compile time only)
; SGPRBlocks: 0
; VGPRBlocks: 1
; NumSGPRsForWavesPerEU: 62
; NumVGPRsForWavesPerEU: 24
; NamedBarCnt: 0
; Occupancy: 16
; WaveLimiterHint : 1
; COMPUTE_PGM_RSRC2:SCRATCH_EN: 0
; COMPUTE_PGM_RSRC2:USER_SGPR: 2
; COMPUTE_PGM_RSRC2:TRAP_HANDLER: 0
; COMPUTE_PGM_RSRC2:TGID_X_EN: 1
; COMPUTE_PGM_RSRC2:TGID_Y_EN: 0
; COMPUTE_PGM_RSRC2:TGID_Z_EN: 0
; COMPUTE_PGM_RSRC2:TIDIG_COMP_CNT: 0
	.section	.text._ZN2at6native32elementwise_kernel_manual_unrollILi128ELi4EZNS0_15gpu_kernel_implINS0_13AUnaryFunctorIaabNS0_12_GLOBAL__N_116CompareEqFunctorIaEEEEEEvRNS_18TensorIteratorBaseERKT_EUlibE_EEviT1_,"axG",@progbits,_ZN2at6native32elementwise_kernel_manual_unrollILi128ELi4EZNS0_15gpu_kernel_implINS0_13AUnaryFunctorIaabNS0_12_GLOBAL__N_116CompareEqFunctorIaEEEEEEvRNS_18TensorIteratorBaseERKT_EUlibE_EEviT1_,comdat
	.globl	_ZN2at6native32elementwise_kernel_manual_unrollILi128ELi4EZNS0_15gpu_kernel_implINS0_13AUnaryFunctorIaabNS0_12_GLOBAL__N_116CompareEqFunctorIaEEEEEEvRNS_18TensorIteratorBaseERKT_EUlibE_EEviT1_ ; -- Begin function _ZN2at6native32elementwise_kernel_manual_unrollILi128ELi4EZNS0_15gpu_kernel_implINS0_13AUnaryFunctorIaabNS0_12_GLOBAL__N_116CompareEqFunctorIaEEEEEEvRNS_18TensorIteratorBaseERKT_EUlibE_EEviT1_
	.p2align	8
	.type	_ZN2at6native32elementwise_kernel_manual_unrollILi128ELi4EZNS0_15gpu_kernel_implINS0_13AUnaryFunctorIaabNS0_12_GLOBAL__N_116CompareEqFunctorIaEEEEEEvRNS_18TensorIteratorBaseERKT_EUlibE_EEviT1_,@function
_ZN2at6native32elementwise_kernel_manual_unrollILi128ELi4EZNS0_15gpu_kernel_implINS0_13AUnaryFunctorIaabNS0_12_GLOBAL__N_116CompareEqFunctorIaEEEEEEvRNS_18TensorIteratorBaseERKT_EUlibE_EEviT1_: ; @_ZN2at6native32elementwise_kernel_manual_unrollILi128ELi4EZNS0_15gpu_kernel_implINS0_13AUnaryFunctorIaabNS0_12_GLOBAL__N_116CompareEqFunctorIaEEEEEEvRNS_18TensorIteratorBaseERKT_EUlibE_EEviT1_
; %bb.0:
	s_load_b32 s2, s[0:1], 0x28
	s_bfe_u32 s3, ttmp6, 0x4000c
	s_clause 0x1
	s_load_b32 s14, s[0:1], 0x0
	s_load_b256 s[4:11], s[0:1], 0x8
	s_add_co_i32 s3, s3, 1
	s_and_b32 s12, ttmp6, 15
	s_wait_xcnt 0x0
	s_mul_i32 s0, ttmp9, s3
	s_getreg_b32 s13, hwreg(HW_REG_IB_STS2, 6, 4)
	s_add_co_i32 s12, s12, s0
	s_mov_b32 s1, 0
	s_wait_kmcnt 0x0
	s_bfe_u32 s3, s2, 0x80008
	s_cmp_eq_u32 s13, 0
	s_mov_b32 s13, 0
	s_cselect_b32 s0, ttmp9, s12
	s_delay_alu instid0(SALU_CYCLE_1) | instskip(SKIP_1) | instid1(VALU_DEP_1)
	v_lshl_or_b32 v10, s0, 9, v0
	s_mov_b32 s0, exec_lo
	v_or_b32_e32 v0, 0x180, v10
	s_delay_alu instid0(VALU_DEP_1)
	v_cmpx_le_i32_e64 s14, v0
	s_xor_b32 s12, exec_lo, s0
	s_cbranch_execz .LBB30_1015
; %bb.1:
	s_cmp_eq_u32 s10, 0
	s_mov_b32 s18, 0
	s_cselect_b32 s13, -1, 0
	s_mov_b32 s20, -1
	s_mov_b32 s16, 0
	s_mov_b32 s15, 0
	s_mov_b32 s17, exec_lo
	v_cmpx_gt_i32_e64 s14, v10
	s_cbranch_execz .LBB30_248
; %bb.2:
	v_mul_lo_u32 v0, v10, s9
	s_and_b32 s0, 0xffff, s3
	s_delay_alu instid0(SALU_CYCLE_1) | instskip(NEXT) | instid1(VALU_DEP_1)
	s_cmp_lt_i32 s0, 11
	v_ashrrev_i32_e32 v1, 31, v0
	s_delay_alu instid0(VALU_DEP_1)
	v_add_nc_u64_e32 v[0:1], s[6:7], v[0:1]
	s_cbranch_scc1 .LBB30_9
; %bb.3:
	s_cmp_gt_i32 s0, 25
	s_cbranch_scc0 .LBB30_18
; %bb.4:
	s_cmp_gt_i32 s0, 28
	s_cbranch_scc0 .LBB30_21
	;; [unrolled: 3-line block ×4, first 2 shown]
; %bb.7:
	s_cmp_eq_u32 s0, 46
	s_mov_b32 s19, 0
	s_cbranch_scc0 .LBB30_27
; %bb.8:
	global_load_b32 v2, v[0:1], off
	s_mov_b32 s15, -1
	s_wait_loadcnt 0x0
	v_lshlrev_b32_e32 v2, 16, v2
	s_delay_alu instid0(VALU_DEP_1)
	v_cvt_i32_f32_e32 v2, v2
	s_branch .LBB30_29
.LBB30_9:
                                        ; implicit-def: $vgpr2
	s_cbranch_execnz .LBB30_198
.LBB30_10:
	s_and_not1_b32 vcc_lo, exec_lo, s15
	s_cbranch_vccnz .LBB30_245
.LBB30_11:
	s_wait_xcnt 0x0
	v_mul_lo_u32 v0, v10, s8
	s_wait_loadcnt 0x0
	s_delay_alu instid0(VALU_DEP_2) | instskip(SKIP_2) | instid1(VALU_DEP_1)
	v_and_b32_e32 v2, 0xff, v2
	s_and_b32 s0, s11, 0xff
	s_and_b32 s19, s2, 0xff
	v_cmp_ne_u16_e32 vcc_lo, s0, v2
	s_xor_b32 s15, s13, vcc_lo
	s_delay_alu instid0(VALU_DEP_3) | instskip(SKIP_1) | instid1(VALU_DEP_1)
	v_ashrrev_i32_e32 v1, 31, v0
	s_cmp_lt_i32 s19, 11
	v_add_nc_u64_e32 v[0:1], s[4:5], v[0:1]
	s_cbranch_scc1 .LBB30_19
; %bb.12:
	s_and_b32 s20, 0xffff, s19
	s_delay_alu instid0(SALU_CYCLE_1)
	s_cmp_gt_i32 s20, 25
	s_cbranch_scc0 .LBB30_22
; %bb.13:
	s_cmp_gt_i32 s20, 28
	s_cbranch_scc0 .LBB30_24
; %bb.14:
	;; [unrolled: 3-line block ×4, first 2 shown]
	s_mov_b32 s22, 0
	s_mov_b32 s0, -1
	s_cmp_eq_u32 s20, 46
	s_mov_b32 s21, 0
	s_cbranch_scc0 .LBB30_33
; %bb.17:
	v_cndmask_b32_e64 v2, 0, 1.0, s15
	s_mov_b32 s21, -1
	s_mov_b32 s0, 0
	s_delay_alu instid0(VALU_DEP_1) | instskip(NEXT) | instid1(VALU_DEP_1)
	v_bfe_u32 v3, v2, 16, 1
	v_add3_u32 v2, v2, v3, 0x7fff
	s_delay_alu instid0(VALU_DEP_1)
	v_lshrrev_b32_e32 v2, 16, v2
	global_store_b32 v[0:1], v2, off
	s_branch .LBB30_33
.LBB30_18:
                                        ; implicit-def: $vgpr2
	s_cbranch_execnz .LBB30_165
	s_branch .LBB30_197
.LBB30_19:
	s_mov_b32 s0, 0
	s_mov_b32 s21, 0
	s_cbranch_execnz .LBB30_102
.LBB30_20:
	s_and_not1_b32 vcc_lo, exec_lo, s21
	s_cbranch_vccnz .LBB30_246
	s_branch .LBB30_140
.LBB30_21:
	s_mov_b32 s19, -1
                                        ; implicit-def: $vgpr2
	s_branch .LBB30_148
.LBB30_22:
	s_mov_b32 s22, -1
	s_mov_b32 s0, 0
	s_mov_b32 s21, 0
	s_branch .LBB30_60
.LBB30_23:
	s_mov_b32 s19, -1
                                        ; implicit-def: $vgpr2
	s_branch .LBB30_143
.LBB30_24:
	s_mov_b32 s22, -1
	s_mov_b32 s0, 0
	s_mov_b32 s21, 0
	s_branch .LBB30_43
.LBB30_25:
	s_mov_b32 s19, -1
	s_branch .LBB30_28
.LBB30_26:
	s_mov_b32 s22, -1
	s_mov_b32 s0, 0
	s_mov_b32 s21, 0
	s_branch .LBB30_39
.LBB30_27:
	s_mov_b32 s16, -1
.LBB30_28:
                                        ; implicit-def: $vgpr2
.LBB30_29:
	s_and_b32 vcc_lo, exec_lo, s19
	s_cbranch_vccz .LBB30_142
; %bb.30:
	s_cmp_eq_u32 s0, 44
	s_cbranch_scc0 .LBB30_141
; %bb.31:
	global_load_u8 v2, v[0:1], off
	s_mov_b32 s16, 0
	s_mov_b32 s15, -1
	s_wait_loadcnt 0x0
	v_lshlrev_b32_e32 v3, 23, v2
	v_cmp_ne_u32_e32 vcc_lo, 0, v2
	s_delay_alu instid0(VALU_DEP_2) | instskip(NEXT) | instid1(VALU_DEP_1)
	v_cvt_i32_f32_e32 v3, v3
	v_cndmask_b32_e32 v2, 0, v3, vcc_lo
	s_branch .LBB30_142
.LBB30_32:
	s_mov_b32 s22, -1
	s_mov_b32 s0, 0
	s_mov_b32 s21, 0
.LBB30_33:
	s_and_b32 vcc_lo, exec_lo, s22
	s_cbranch_vccz .LBB30_38
; %bb.34:
	s_cmp_eq_u32 s20, 44
	s_mov_b32 s0, -1
	s_cbranch_scc0 .LBB30_38
; %bb.35:
	v_cndmask_b32_e64 v4, 0, 1.0, s15
	s_mov_b32 s21, exec_lo
	s_wait_xcnt 0x0
	s_delay_alu instid0(VALU_DEP_1) | instskip(NEXT) | instid1(VALU_DEP_1)
	v_dual_mov_b32 v3, 0xff :: v_dual_lshrrev_b32 v2, 23, v4
	v_cmpx_ne_u32_e32 0xff, v2
; %bb.36:
	v_and_b32_e32 v3, 0x400000, v4
	v_and_or_b32 v4, 0x3fffff, v4, v2
	s_delay_alu instid0(VALU_DEP_2) | instskip(NEXT) | instid1(VALU_DEP_2)
	v_cmp_ne_u32_e32 vcc_lo, 0, v3
	v_cmp_ne_u32_e64 s0, 0, v4
	s_and_b32 s0, vcc_lo, s0
	s_delay_alu instid0(SALU_CYCLE_1) | instskip(NEXT) | instid1(VALU_DEP_1)
	v_cndmask_b32_e64 v3, 0, 1, s0
	v_add_nc_u32_e32 v3, v2, v3
; %bb.37:
	s_or_b32 exec_lo, exec_lo, s21
	s_mov_b32 s21, -1
	s_mov_b32 s0, 0
	global_store_b8 v[0:1], v3, off
.LBB30_38:
	s_mov_b32 s22, 0
.LBB30_39:
	s_delay_alu instid0(SALU_CYCLE_1)
	s_and_b32 vcc_lo, exec_lo, s22
	s_cbranch_vccz .LBB30_42
; %bb.40:
	s_cmp_eq_u32 s20, 29
	s_mov_b32 s0, -1
	s_cbranch_scc0 .LBB30_42
; %bb.41:
	s_mov_b32 s0, 0
	s_wait_xcnt 0x0
	v_cndmask_b32_e64 v2, 0, 1, s15
	v_mov_b32_e32 v3, s0
	s_mov_b32 s21, -1
	s_mov_b32 s22, 0
	global_store_b64 v[0:1], v[2:3], off
	s_branch .LBB30_43
.LBB30_42:
	s_mov_b32 s22, 0
.LBB30_43:
	s_delay_alu instid0(SALU_CYCLE_1)
	s_and_b32 vcc_lo, exec_lo, s22
	s_cbranch_vccz .LBB30_59
; %bb.44:
	s_cmp_lt_i32 s20, 27
	s_mov_b32 s21, -1
	s_cbranch_scc1 .LBB30_50
; %bb.45:
	s_cmp_gt_i32 s20, 27
	s_cbranch_scc0 .LBB30_47
; %bb.46:
	s_wait_xcnt 0x0
	v_cndmask_b32_e64 v2, 0, 1, s15
	s_mov_b32 s21, 0
	global_store_b32 v[0:1], v2, off
.LBB30_47:
	s_and_not1_b32 vcc_lo, exec_lo, s21
	s_cbranch_vccnz .LBB30_49
; %bb.48:
	s_wait_xcnt 0x0
	v_cndmask_b32_e64 v2, 0, 1, s15
	global_store_b16 v[0:1], v2, off
.LBB30_49:
	s_mov_b32 s21, 0
.LBB30_50:
	s_delay_alu instid0(SALU_CYCLE_1)
	s_and_not1_b32 vcc_lo, exec_lo, s21
	s_cbranch_vccnz .LBB30_58
; %bb.51:
	s_wait_xcnt 0x0
	v_cndmask_b32_e64 v3, 0, 1.0, s15
	v_mov_b32_e32 v4, 0x80
	s_mov_b32 s21, exec_lo
	s_delay_alu instid0(VALU_DEP_2)
	v_cmpx_gt_u32_e32 0x43800000, v3
	s_cbranch_execz .LBB30_57
; %bb.52:
	s_mov_b32 s22, 0
	s_mov_b32 s23, exec_lo
                                        ; implicit-def: $vgpr2
	v_cmpx_lt_u32_e32 0x3bffffff, v3
	s_xor_b32 s23, exec_lo, s23
	s_cbranch_execz .LBB30_275
; %bb.53:
	v_bfe_u32 v2, v3, 20, 1
	s_mov_b32 s22, exec_lo
	s_delay_alu instid0(VALU_DEP_1) | instskip(NEXT) | instid1(VALU_DEP_1)
	v_add3_u32 v2, v3, v2, 0x487ffff
                                        ; implicit-def: $vgpr3
	v_lshrrev_b32_e32 v2, 20, v2
	s_and_not1_saveexec_b32 s23, s23
	s_cbranch_execnz .LBB30_276
.LBB30_54:
	s_or_b32 exec_lo, exec_lo, s23
	v_mov_b32_e32 v4, 0
	s_and_saveexec_b32 s23, s22
.LBB30_55:
	v_mov_b32_e32 v4, v2
.LBB30_56:
	s_or_b32 exec_lo, exec_lo, s23
.LBB30_57:
	s_delay_alu instid0(SALU_CYCLE_1)
	s_or_b32 exec_lo, exec_lo, s21
	global_store_b8 v[0:1], v4, off
.LBB30_58:
	s_mov_b32 s21, -1
.LBB30_59:
	s_mov_b32 s22, 0
.LBB30_60:
	s_delay_alu instid0(SALU_CYCLE_1)
	s_and_b32 vcc_lo, exec_lo, s22
	s_cbranch_vccz .LBB30_101
; %bb.61:
	s_cmp_gt_i32 s20, 22
	s_mov_b32 s22, -1
	s_cbranch_scc0 .LBB30_93
; %bb.62:
	s_cmp_lt_i32 s20, 24
	s_mov_b32 s21, -1
	s_cbranch_scc1 .LBB30_82
; %bb.63:
	s_cmp_gt_i32 s20, 24
	s_cbranch_scc0 .LBB30_71
; %bb.64:
	s_wait_xcnt 0x0
	v_cndmask_b32_e64 v3, 0, 1.0, s15
	v_mov_b32_e32 v4, 0x80
	s_mov_b32 s21, exec_lo
	s_delay_alu instid0(VALU_DEP_2)
	v_cmpx_gt_u32_e32 0x47800000, v3
	s_cbranch_execz .LBB30_70
; %bb.65:
	s_mov_b32 s22, 0
	s_mov_b32 s23, exec_lo
                                        ; implicit-def: $vgpr2
	v_cmpx_lt_u32_e32 0x37ffffff, v3
	s_xor_b32 s23, exec_lo, s23
	s_cbranch_execz .LBB30_279
; %bb.66:
	v_bfe_u32 v2, v3, 21, 1
	s_mov_b32 s22, exec_lo
	s_delay_alu instid0(VALU_DEP_1) | instskip(NEXT) | instid1(VALU_DEP_1)
	v_add3_u32 v2, v3, v2, 0x88fffff
                                        ; implicit-def: $vgpr3
	v_lshrrev_b32_e32 v2, 21, v2
	s_and_not1_saveexec_b32 s23, s23
	s_cbranch_execnz .LBB30_280
.LBB30_67:
	s_or_b32 exec_lo, exec_lo, s23
	v_mov_b32_e32 v4, 0
	s_and_saveexec_b32 s23, s22
.LBB30_68:
	v_mov_b32_e32 v4, v2
.LBB30_69:
	s_or_b32 exec_lo, exec_lo, s23
.LBB30_70:
	s_delay_alu instid0(SALU_CYCLE_1)
	s_or_b32 exec_lo, exec_lo, s21
	s_mov_b32 s21, 0
	global_store_b8 v[0:1], v4, off
.LBB30_71:
	s_and_b32 vcc_lo, exec_lo, s21
	s_cbranch_vccz .LBB30_81
; %bb.72:
	s_wait_xcnt 0x0
	v_cndmask_b32_e64 v3, 0, 1.0, s15
	s_mov_b32 s21, exec_lo
                                        ; implicit-def: $vgpr2
	s_delay_alu instid0(VALU_DEP_1)
	v_cmpx_gt_u32_e32 0x43f00000, v3
	s_xor_b32 s21, exec_lo, s21
	s_cbranch_execz .LBB30_78
; %bb.73:
	s_mov_b32 s22, exec_lo
                                        ; implicit-def: $vgpr2
	v_cmpx_lt_u32_e32 0x3c7fffff, v3
	s_xor_b32 s22, exec_lo, s22
; %bb.74:
	v_bfe_u32 v2, v3, 20, 1
	s_delay_alu instid0(VALU_DEP_1) | instskip(NEXT) | instid1(VALU_DEP_1)
	v_add3_u32 v2, v3, v2, 0x407ffff
	v_and_b32_e32 v3, 0xff00000, v2
	v_lshrrev_b32_e32 v2, 20, v2
	s_delay_alu instid0(VALU_DEP_2) | instskip(NEXT) | instid1(VALU_DEP_2)
	v_cmp_ne_u32_e32 vcc_lo, 0x7f00000, v3
                                        ; implicit-def: $vgpr3
	v_cndmask_b32_e32 v2, 0x7e, v2, vcc_lo
; %bb.75:
	s_and_not1_saveexec_b32 s22, s22
; %bb.76:
	v_add_f32_e32 v2, 0x46800000, v3
; %bb.77:
	s_or_b32 exec_lo, exec_lo, s22
                                        ; implicit-def: $vgpr3
.LBB30_78:
	s_and_not1_saveexec_b32 s21, s21
; %bb.79:
	v_mov_b32_e32 v2, 0x7f
	v_cmp_lt_u32_e32 vcc_lo, 0x7f800000, v3
	s_delay_alu instid0(VALU_DEP_2)
	v_cndmask_b32_e32 v2, 0x7e, v2, vcc_lo
; %bb.80:
	s_or_b32 exec_lo, exec_lo, s21
	global_store_b8 v[0:1], v2, off
.LBB30_81:
	s_mov_b32 s21, 0
.LBB30_82:
	s_delay_alu instid0(SALU_CYCLE_1)
	s_and_not1_b32 vcc_lo, exec_lo, s21
	s_cbranch_vccnz .LBB30_92
; %bb.83:
	s_wait_xcnt 0x0
	v_cndmask_b32_e64 v3, 0, 1.0, s15
	s_mov_b32 s21, exec_lo
                                        ; implicit-def: $vgpr2
	s_delay_alu instid0(VALU_DEP_1)
	v_cmpx_gt_u32_e32 0x47800000, v3
	s_xor_b32 s21, exec_lo, s21
	s_cbranch_execz .LBB30_89
; %bb.84:
	s_mov_b32 s22, exec_lo
                                        ; implicit-def: $vgpr2
	v_cmpx_lt_u32_e32 0x387fffff, v3
	s_xor_b32 s22, exec_lo, s22
; %bb.85:
	v_bfe_u32 v2, v3, 21, 1
	s_delay_alu instid0(VALU_DEP_1) | instskip(NEXT) | instid1(VALU_DEP_1)
	v_add3_u32 v2, v3, v2, 0x80fffff
                                        ; implicit-def: $vgpr3
	v_lshrrev_b32_e32 v2, 21, v2
; %bb.86:
	s_and_not1_saveexec_b32 s22, s22
; %bb.87:
	v_add_f32_e32 v2, 0x43000000, v3
; %bb.88:
	s_or_b32 exec_lo, exec_lo, s22
                                        ; implicit-def: $vgpr3
.LBB30_89:
	s_and_not1_saveexec_b32 s21, s21
; %bb.90:
	v_mov_b32_e32 v2, 0x7f
	v_cmp_lt_u32_e32 vcc_lo, 0x7f800000, v3
	s_delay_alu instid0(VALU_DEP_2)
	v_cndmask_b32_e32 v2, 0x7c, v2, vcc_lo
; %bb.91:
	s_or_b32 exec_lo, exec_lo, s21
	global_store_b8 v[0:1], v2, off
.LBB30_92:
	s_mov_b32 s22, 0
	s_mov_b32 s21, -1
.LBB30_93:
	s_and_not1_b32 vcc_lo, exec_lo, s22
	s_cbranch_vccnz .LBB30_101
; %bb.94:
	s_cmp_gt_i32 s20, 14
	s_mov_b32 s22, -1
	s_cbranch_scc0 .LBB30_98
; %bb.95:
	s_cmp_eq_u32 s20, 15
	s_mov_b32 s0, -1
	s_cbranch_scc0 .LBB30_97
; %bb.96:
	s_wait_xcnt 0x0
	v_cndmask_b32_e64 v2, 0, 1.0, s15
	s_mov_b32 s21, -1
	s_mov_b32 s0, 0
	s_delay_alu instid0(VALU_DEP_1) | instskip(NEXT) | instid1(VALU_DEP_1)
	v_bfe_u32 v3, v2, 16, 1
	v_add3_u32 v2, v2, v3, 0x7fff
	global_store_d16_hi_b16 v[0:1], v2, off
.LBB30_97:
	s_mov_b32 s22, 0
.LBB30_98:
	s_delay_alu instid0(SALU_CYCLE_1)
	s_and_b32 vcc_lo, exec_lo, s22
	s_cbranch_vccz .LBB30_101
; %bb.99:
	s_cmp_eq_u32 s20, 11
	s_mov_b32 s0, -1
	s_cbranch_scc0 .LBB30_101
; %bb.100:
	s_wait_xcnt 0x0
	v_cndmask_b32_e64 v2, 0, 1, s15
	s_mov_b32 s21, -1
	s_mov_b32 s0, 0
	global_store_b8 v[0:1], v2, off
.LBB30_101:
	s_branch .LBB30_20
.LBB30_102:
	s_and_b32 s19, 0xffff, s19
	s_mov_b32 s20, -1
	s_cmp_lt_i32 s19, 5
	s_cbranch_scc1 .LBB30_123
; %bb.103:
	s_cmp_lt_i32 s19, 8
	s_cbranch_scc1 .LBB30_113
; %bb.104:
	;; [unrolled: 3-line block ×3, first 2 shown]
	s_cmp_gt_i32 s19, 9
	s_cbranch_scc0 .LBB30_107
; %bb.106:
	s_wait_xcnt 0x0
	v_cndmask_b32_e64 v2, 0, 1, s15
	v_mov_b32_e32 v4, 0
	s_mov_b32 s20, 0
	s_delay_alu instid0(VALU_DEP_2) | instskip(NEXT) | instid1(VALU_DEP_2)
	v_cvt_f64_u32_e32 v[2:3], v2
	v_mov_b32_e32 v5, v4
	global_store_b128 v[0:1], v[2:5], off
.LBB30_107:
	s_and_not1_b32 vcc_lo, exec_lo, s20
	s_cbranch_vccnz .LBB30_109
; %bb.108:
	s_wait_xcnt 0x0
	v_cndmask_b32_e64 v2, 0, 1.0, s15
	v_mov_b32_e32 v3, 0
	global_store_b64 v[0:1], v[2:3], off
.LBB30_109:
	s_mov_b32 s20, 0
.LBB30_110:
	s_delay_alu instid0(SALU_CYCLE_1)
	s_and_not1_b32 vcc_lo, exec_lo, s20
	s_cbranch_vccnz .LBB30_112
; %bb.111:
	s_wait_xcnt 0x0
	v_cndmask_b32_e64 v2, 0, 1.0, s15
	s_delay_alu instid0(VALU_DEP_1) | instskip(NEXT) | instid1(VALU_DEP_1)
	v_cvt_f16_f32_e32 v2, v2
	v_and_b32_e32 v2, 0xffff, v2
	global_store_b32 v[0:1], v2, off
.LBB30_112:
	s_mov_b32 s20, 0
.LBB30_113:
	s_delay_alu instid0(SALU_CYCLE_1)
	s_and_not1_b32 vcc_lo, exec_lo, s20
	s_cbranch_vccnz .LBB30_122
; %bb.114:
	s_cmp_lt_i32 s19, 6
	s_mov_b32 s20, -1
	s_cbranch_scc1 .LBB30_120
; %bb.115:
	s_cmp_gt_i32 s19, 6
	s_cbranch_scc0 .LBB30_117
; %bb.116:
	s_wait_xcnt 0x0
	v_cndmask_b32_e64 v2, 0, 1, s15
	s_mov_b32 s20, 0
	s_delay_alu instid0(VALU_DEP_1)
	v_cvt_f64_u32_e32 v[2:3], v2
	global_store_b64 v[0:1], v[2:3], off
.LBB30_117:
	s_and_not1_b32 vcc_lo, exec_lo, s20
	s_cbranch_vccnz .LBB30_119
; %bb.118:
	s_wait_xcnt 0x0
	v_cndmask_b32_e64 v2, 0, 1.0, s15
	global_store_b32 v[0:1], v2, off
.LBB30_119:
	s_mov_b32 s20, 0
.LBB30_120:
	s_delay_alu instid0(SALU_CYCLE_1)
	s_and_not1_b32 vcc_lo, exec_lo, s20
	s_cbranch_vccnz .LBB30_122
; %bb.121:
	s_wait_xcnt 0x0
	v_cndmask_b32_e64 v2, 0, 1.0, s15
	s_delay_alu instid0(VALU_DEP_1)
	v_cvt_f16_f32_e32 v2, v2
	global_store_b16 v[0:1], v2, off
.LBB30_122:
	s_mov_b32 s20, 0
.LBB30_123:
	s_delay_alu instid0(SALU_CYCLE_1)
	s_and_not1_b32 vcc_lo, exec_lo, s20
	s_cbranch_vccnz .LBB30_139
; %bb.124:
	s_cmp_lt_i32 s19, 2
	s_mov_b32 s20, -1
	s_cbranch_scc1 .LBB30_134
; %bb.125:
	s_cmp_lt_i32 s19, 3
	s_cbranch_scc1 .LBB30_131
; %bb.126:
	s_cmp_gt_i32 s19, 3
	s_cbranch_scc0 .LBB30_128
; %bb.127:
	s_mov_b32 s20, 0
	s_wait_xcnt 0x0
	v_cndmask_b32_e64 v2, 0, 1, s15
	v_mov_b32_e32 v3, s20
	global_store_b64 v[0:1], v[2:3], off
.LBB30_128:
	s_and_not1_b32 vcc_lo, exec_lo, s20
	s_cbranch_vccnz .LBB30_130
; %bb.129:
	s_wait_xcnt 0x0
	v_cndmask_b32_e64 v2, 0, 1, s15
	global_store_b32 v[0:1], v2, off
.LBB30_130:
	s_mov_b32 s20, 0
.LBB30_131:
	s_delay_alu instid0(SALU_CYCLE_1)
	s_and_not1_b32 vcc_lo, exec_lo, s20
	s_cbranch_vccnz .LBB30_133
; %bb.132:
	s_wait_xcnt 0x0
	v_cndmask_b32_e64 v2, 0, 1, s15
	global_store_b16 v[0:1], v2, off
.LBB30_133:
	s_mov_b32 s20, 0
.LBB30_134:
	s_delay_alu instid0(SALU_CYCLE_1)
	s_and_not1_b32 vcc_lo, exec_lo, s20
	s_cbranch_vccnz .LBB30_139
; %bb.135:
	s_wait_xcnt 0x0
	v_cndmask_b32_e64 v2, 0, 1, s15
	s_cmp_gt_i32 s19, 0
	s_mov_b32 s15, -1
	s_cbranch_scc0 .LBB30_137
; %bb.136:
	s_mov_b32 s15, 0
	global_store_b8 v[0:1], v2, off
.LBB30_137:
	s_and_not1_b32 vcc_lo, exec_lo, s15
	s_cbranch_vccnz .LBB30_139
; %bb.138:
	global_store_b8 v[0:1], v2, off
.LBB30_139:
.LBB30_140:
	v_add_nc_u32_e32 v10, 0x80, v10
	s_mov_b32 s19, -1
	s_branch .LBB30_247
.LBB30_141:
	s_mov_b32 s16, -1
                                        ; implicit-def: $vgpr2
.LBB30_142:
	s_mov_b32 s19, 0
.LBB30_143:
	s_delay_alu instid0(SALU_CYCLE_1)
	s_and_b32 vcc_lo, exec_lo, s19
	s_cbranch_vccz .LBB30_147
; %bb.144:
	s_cmp_eq_u32 s0, 29
	s_cbranch_scc0 .LBB30_146
; %bb.145:
	global_load_b64 v[2:3], v[0:1], off
	s_mov_b32 s15, -1
	s_mov_b32 s16, 0
	s_branch .LBB30_147
.LBB30_146:
	s_mov_b32 s16, -1
                                        ; implicit-def: $vgpr2
.LBB30_147:
	s_mov_b32 s19, 0
.LBB30_148:
	s_delay_alu instid0(SALU_CYCLE_1)
	s_and_b32 vcc_lo, exec_lo, s19
	s_cbranch_vccz .LBB30_164
; %bb.149:
	s_cmp_lt_i32 s0, 27
	s_cbranch_scc1 .LBB30_152
; %bb.150:
	s_cmp_gt_i32 s0, 27
	s_cbranch_scc0 .LBB30_153
; %bb.151:
	s_wait_loadcnt 0x0
	global_load_b32 v2, v[0:1], off
	s_mov_b32 s15, 0
	s_branch .LBB30_154
.LBB30_152:
	s_mov_b32 s15, -1
                                        ; implicit-def: $vgpr2
	s_branch .LBB30_157
.LBB30_153:
	s_mov_b32 s15, -1
                                        ; implicit-def: $vgpr2
.LBB30_154:
	s_delay_alu instid0(SALU_CYCLE_1)
	s_and_not1_b32 vcc_lo, exec_lo, s15
	s_cbranch_vccnz .LBB30_156
; %bb.155:
	s_wait_loadcnt 0x0
	global_load_u16 v2, v[0:1], off
.LBB30_156:
	s_mov_b32 s15, 0
.LBB30_157:
	s_delay_alu instid0(SALU_CYCLE_1)
	s_and_not1_b32 vcc_lo, exec_lo, s15
	s_cbranch_vccnz .LBB30_163
; %bb.158:
	s_wait_loadcnt 0x0
	global_load_u8 v3, v[0:1], off
	s_mov_b32 s19, 0
	s_mov_b32 s15, exec_lo
	s_wait_loadcnt 0x0
	v_cmpx_lt_i16_e32 0x7f, v3
	s_xor_b32 s15, exec_lo, s15
	s_cbranch_execz .LBB30_174
; %bb.159:
	v_cmp_ne_u16_e32 vcc_lo, 0x80, v3
	s_and_b32 s19, vcc_lo, exec_lo
	s_and_not1_saveexec_b32 s15, s15
	s_cbranch_execnz .LBB30_175
.LBB30_160:
	s_or_b32 exec_lo, exec_lo, s15
	v_mov_b32_e32 v2, 0
	s_and_saveexec_b32 s15, s19
	s_cbranch_execz .LBB30_162
.LBB30_161:
	v_and_b32_e32 v2, 0xffff, v3
	s_delay_alu instid0(VALU_DEP_1) | instskip(SKIP_1) | instid1(VALU_DEP_2)
	v_and_b32_e32 v4, 7, v2
	v_bfe_u32 v7, v2, 3, 4
	v_clz_i32_u32_e32 v5, v4
	s_delay_alu instid0(VALU_DEP_2) | instskip(NEXT) | instid1(VALU_DEP_2)
	v_cmp_eq_u32_e32 vcc_lo, 0, v7
	v_min_u32_e32 v5, 32, v5
	s_delay_alu instid0(VALU_DEP_1) | instskip(NEXT) | instid1(VALU_DEP_1)
	v_subrev_nc_u32_e32 v6, 28, v5
	v_dual_lshlrev_b32 v2, v6, v2 :: v_dual_sub_nc_u32 v5, 29, v5
	s_delay_alu instid0(VALU_DEP_1) | instskip(NEXT) | instid1(VALU_DEP_1)
	v_dual_lshlrev_b32 v3, 24, v3 :: v_dual_bitop2_b32 v2, 7, v2 bitop3:0x40
	v_dual_cndmask_b32 v5, v7, v5 :: v_dual_cndmask_b32 v2, v4, v2
	s_delay_alu instid0(VALU_DEP_2) | instskip(NEXT) | instid1(VALU_DEP_2)
	v_and_b32_e32 v3, 0x80000000, v3
	v_lshl_add_u32 v4, v5, 23, 0x3b800000
	s_delay_alu instid0(VALU_DEP_3) | instskip(NEXT) | instid1(VALU_DEP_1)
	v_lshlrev_b32_e32 v2, 20, v2
	v_or3_b32 v2, v3, v4, v2
	s_delay_alu instid0(VALU_DEP_1)
	v_cvt_i32_f32_e32 v2, v2
.LBB30_162:
	s_or_b32 exec_lo, exec_lo, s15
.LBB30_163:
	s_mov_b32 s15, -1
.LBB30_164:
	s_branch .LBB30_197
.LBB30_165:
	s_cmp_gt_i32 s0, 22
	s_cbranch_scc0 .LBB30_173
; %bb.166:
	s_cmp_lt_i32 s0, 24
	s_cbranch_scc1 .LBB30_176
; %bb.167:
	s_cmp_gt_i32 s0, 24
	s_cbranch_scc0 .LBB30_177
; %bb.168:
	s_wait_loadcnt 0x0
	global_load_u8 v3, v[0:1], off
	s_mov_b32 s19, 0
	s_mov_b32 s15, exec_lo
	s_wait_loadcnt 0x0
	v_cmpx_lt_i16_e32 0x7f, v3
	s_xor_b32 s15, exec_lo, s15
	s_cbranch_execz .LBB30_189
; %bb.169:
	v_cmp_ne_u16_e32 vcc_lo, 0x80, v3
	s_and_b32 s19, vcc_lo, exec_lo
	s_and_not1_saveexec_b32 s15, s15
	s_cbranch_execnz .LBB30_190
.LBB30_170:
	s_or_b32 exec_lo, exec_lo, s15
	v_mov_b32_e32 v2, 0
	s_and_saveexec_b32 s15, s19
	s_cbranch_execz .LBB30_172
.LBB30_171:
	v_and_b32_e32 v2, 0xffff, v3
	s_delay_alu instid0(VALU_DEP_1) | instskip(SKIP_1) | instid1(VALU_DEP_2)
	v_and_b32_e32 v4, 3, v2
	v_bfe_u32 v7, v2, 2, 5
	v_clz_i32_u32_e32 v5, v4
	s_delay_alu instid0(VALU_DEP_2) | instskip(NEXT) | instid1(VALU_DEP_2)
	v_cmp_eq_u32_e32 vcc_lo, 0, v7
	v_min_u32_e32 v5, 32, v5
	s_delay_alu instid0(VALU_DEP_1) | instskip(NEXT) | instid1(VALU_DEP_1)
	v_subrev_nc_u32_e32 v6, 29, v5
	v_dual_lshlrev_b32 v2, v6, v2 :: v_dual_sub_nc_u32 v5, 30, v5
	s_delay_alu instid0(VALU_DEP_1) | instskip(NEXT) | instid1(VALU_DEP_1)
	v_dual_lshlrev_b32 v3, 24, v3 :: v_dual_bitop2_b32 v2, 3, v2 bitop3:0x40
	v_dual_cndmask_b32 v5, v7, v5 :: v_dual_cndmask_b32 v2, v4, v2
	s_delay_alu instid0(VALU_DEP_2) | instskip(NEXT) | instid1(VALU_DEP_2)
	v_and_b32_e32 v3, 0x80000000, v3
	v_lshl_add_u32 v4, v5, 23, 0x37800000
	s_delay_alu instid0(VALU_DEP_3) | instskip(NEXT) | instid1(VALU_DEP_1)
	v_lshlrev_b32_e32 v2, 21, v2
	v_or3_b32 v2, v3, v4, v2
	s_delay_alu instid0(VALU_DEP_1)
	v_cvt_i32_f32_e32 v2, v2
.LBB30_172:
	s_or_b32 exec_lo, exec_lo, s15
	s_mov_b32 s15, 0
	s_branch .LBB30_178
.LBB30_173:
	s_mov_b32 s19, -1
                                        ; implicit-def: $vgpr2
	s_branch .LBB30_184
.LBB30_174:
	s_and_not1_saveexec_b32 s15, s15
	s_cbranch_execz .LBB30_160
.LBB30_175:
	v_cmp_ne_u16_e32 vcc_lo, 0, v3
	s_and_not1_b32 s19, s19, exec_lo
	s_and_b32 s20, vcc_lo, exec_lo
	s_delay_alu instid0(SALU_CYCLE_1)
	s_or_b32 s19, s19, s20
	s_or_b32 exec_lo, exec_lo, s15
	v_mov_b32_e32 v2, 0
	s_and_saveexec_b32 s15, s19
	s_cbranch_execnz .LBB30_161
	s_branch .LBB30_162
.LBB30_176:
	s_mov_b32 s15, -1
                                        ; implicit-def: $vgpr2
	s_branch .LBB30_181
.LBB30_177:
	s_mov_b32 s15, -1
                                        ; implicit-def: $vgpr2
.LBB30_178:
	s_delay_alu instid0(SALU_CYCLE_1)
	s_and_b32 vcc_lo, exec_lo, s15
	s_cbranch_vccz .LBB30_180
; %bb.179:
	s_wait_loadcnt 0x0
	global_load_u8 v2, v[0:1], off
	s_wait_loadcnt 0x0
	v_lshlrev_b32_e32 v2, 24, v2
	s_delay_alu instid0(VALU_DEP_1) | instskip(NEXT) | instid1(VALU_DEP_1)
	v_and_b32_e32 v3, 0x7f000000, v2
	v_clz_i32_u32_e32 v4, v3
	v_cmp_ne_u32_e32 vcc_lo, 0, v3
	v_add_nc_u32_e32 v6, 0x1000000, v3
	s_delay_alu instid0(VALU_DEP_3) | instskip(NEXT) | instid1(VALU_DEP_1)
	v_min_u32_e32 v4, 32, v4
	v_sub_nc_u32_e64 v4, v4, 4 clamp
	s_delay_alu instid0(VALU_DEP_1) | instskip(NEXT) | instid1(VALU_DEP_1)
	v_dual_lshlrev_b32 v5, v4, v3 :: v_dual_lshlrev_b32 v4, 23, v4
	v_lshrrev_b32_e32 v5, 4, v5
	s_delay_alu instid0(VALU_DEP_1) | instskip(NEXT) | instid1(VALU_DEP_1)
	v_dual_sub_nc_u32 v4, v5, v4 :: v_dual_ashrrev_i32 v5, 8, v6
	v_add_nc_u32_e32 v4, 0x3c000000, v4
	s_delay_alu instid0(VALU_DEP_1) | instskip(NEXT) | instid1(VALU_DEP_1)
	v_and_or_b32 v4, 0x7f800000, v5, v4
	v_cndmask_b32_e32 v3, 0, v4, vcc_lo
	s_delay_alu instid0(VALU_DEP_1) | instskip(NEXT) | instid1(VALU_DEP_1)
	v_and_or_b32 v2, 0x80000000, v2, v3
	v_cvt_i32_f32_e32 v2, v2
.LBB30_180:
	s_mov_b32 s15, 0
.LBB30_181:
	s_delay_alu instid0(SALU_CYCLE_1)
	s_and_not1_b32 vcc_lo, exec_lo, s15
	s_cbranch_vccnz .LBB30_183
; %bb.182:
	s_wait_loadcnt 0x0
	global_load_u8 v2, v[0:1], off
	s_wait_loadcnt 0x0
	v_lshlrev_b32_e32 v3, 25, v2
	v_lshlrev_b16 v2, 8, v2
	s_delay_alu instid0(VALU_DEP_1) | instskip(SKIP_1) | instid1(VALU_DEP_2)
	v_and_or_b32 v5, 0x7f00, v2, 0.5
	v_bfe_i32 v2, v2, 0, 16
	v_dual_add_f32 v5, -0.5, v5 :: v_dual_lshrrev_b32 v4, 4, v3
	v_cmp_gt_u32_e32 vcc_lo, 0x8000000, v3
	s_delay_alu instid0(VALU_DEP_2) | instskip(NEXT) | instid1(VALU_DEP_1)
	v_or_b32_e32 v4, 0x70000000, v4
	v_mul_f32_e32 v4, 0x7800000, v4
	s_delay_alu instid0(VALU_DEP_1) | instskip(NEXT) | instid1(VALU_DEP_1)
	v_cndmask_b32_e32 v3, v4, v5, vcc_lo
	v_and_or_b32 v2, 0x80000000, v2, v3
	s_delay_alu instid0(VALU_DEP_1)
	v_cvt_i32_f32_e32 v2, v2
.LBB30_183:
	s_mov_b32 s19, 0
	s_mov_b32 s15, -1
.LBB30_184:
	s_and_not1_b32 vcc_lo, exec_lo, s19
	s_cbranch_vccnz .LBB30_197
; %bb.185:
	s_cmp_gt_i32 s0, 14
	s_cbranch_scc0 .LBB30_188
; %bb.186:
	s_cmp_eq_u32 s0, 15
	s_cbranch_scc0 .LBB30_191
; %bb.187:
	s_wait_loadcnt 0x0
	global_load_u16 v2, v[0:1], off
	s_mov_b32 s15, -1
	s_mov_b32 s16, 0
	s_wait_loadcnt 0x0
	v_lshlrev_b32_e32 v2, 16, v2
	s_delay_alu instid0(VALU_DEP_1)
	v_cvt_i32_f32_e32 v2, v2
	s_branch .LBB30_192
.LBB30_188:
	s_mov_b32 s19, -1
                                        ; implicit-def: $vgpr2
	s_branch .LBB30_193
.LBB30_189:
	s_and_not1_saveexec_b32 s15, s15
	s_cbranch_execz .LBB30_170
.LBB30_190:
	v_cmp_ne_u16_e32 vcc_lo, 0, v3
	s_and_not1_b32 s19, s19, exec_lo
	s_and_b32 s20, vcc_lo, exec_lo
	s_delay_alu instid0(SALU_CYCLE_1)
	s_or_b32 s19, s19, s20
	s_or_b32 exec_lo, exec_lo, s15
	v_mov_b32_e32 v2, 0
	s_and_saveexec_b32 s15, s19
	s_cbranch_execnz .LBB30_171
	s_branch .LBB30_172
.LBB30_191:
	s_mov_b32 s16, -1
                                        ; implicit-def: $vgpr2
.LBB30_192:
	s_mov_b32 s19, 0
.LBB30_193:
	s_delay_alu instid0(SALU_CYCLE_1)
	s_and_b32 vcc_lo, exec_lo, s19
	s_cbranch_vccz .LBB30_197
; %bb.194:
	s_cmp_eq_u32 s0, 11
	s_cbranch_scc0 .LBB30_196
; %bb.195:
	s_wait_loadcnt 0x0
	global_load_u8 v2, v[0:1], off
	s_mov_b32 s16, 0
	s_mov_b32 s15, -1
	s_wait_loadcnt 0x0
	v_cmp_ne_u16_e32 vcc_lo, 0, v2
	v_cndmask_b32_e64 v2, 0, 1, vcc_lo
	s_branch .LBB30_197
.LBB30_196:
	s_mov_b32 s16, -1
                                        ; implicit-def: $vgpr2
.LBB30_197:
	s_branch .LBB30_10
.LBB30_198:
	s_cmp_lt_i32 s0, 5
	s_cbranch_scc1 .LBB30_203
; %bb.199:
	s_cmp_lt_i32 s0, 8
	s_cbranch_scc1 .LBB30_204
; %bb.200:
	;; [unrolled: 3-line block ×3, first 2 shown]
	s_cmp_gt_i32 s0, 9
	s_cbranch_scc0 .LBB30_206
; %bb.202:
	s_wait_loadcnt 0x0
	global_load_b64 v[2:3], v[0:1], off
	s_mov_b32 s15, 0
	s_wait_loadcnt 0x0
	v_cvt_i32_f64_e32 v2, v[2:3]
	s_branch .LBB30_207
.LBB30_203:
                                        ; implicit-def: $vgpr2
	s_branch .LBB30_225
.LBB30_204:
	s_mov_b32 s15, -1
                                        ; implicit-def: $vgpr2
	s_branch .LBB30_213
.LBB30_205:
	s_mov_b32 s15, -1
                                        ; implicit-def: $vgpr2
	s_branch .LBB30_210
.LBB30_206:
	s_mov_b32 s15, -1
                                        ; implicit-def: $vgpr2
.LBB30_207:
	s_delay_alu instid0(SALU_CYCLE_1)
	s_and_not1_b32 vcc_lo, exec_lo, s15
	s_cbranch_vccnz .LBB30_209
; %bb.208:
	s_wait_loadcnt 0x0
	global_load_b32 v2, v[0:1], off
	s_wait_loadcnt 0x0
	v_cvt_i32_f32_e32 v2, v2
.LBB30_209:
	s_mov_b32 s15, 0
.LBB30_210:
	s_delay_alu instid0(SALU_CYCLE_1)
	s_and_not1_b32 vcc_lo, exec_lo, s15
	s_cbranch_vccnz .LBB30_212
; %bb.211:
	s_wait_loadcnt 0x0
	global_load_b32 v2, v[0:1], off
	s_wait_loadcnt 0x0
	v_cvt_i16_f16_e32 v2, v2
.LBB30_212:
	s_mov_b32 s15, 0
.LBB30_213:
	s_delay_alu instid0(SALU_CYCLE_1)
	s_and_not1_b32 vcc_lo, exec_lo, s15
	s_cbranch_vccnz .LBB30_224
; %bb.214:
	s_cmp_lt_i32 s0, 6
	s_cbranch_scc1 .LBB30_217
; %bb.215:
	s_cmp_gt_i32 s0, 6
	s_cbranch_scc0 .LBB30_218
; %bb.216:
	s_wait_loadcnt 0x0
	global_load_b64 v[2:3], v[0:1], off
	s_mov_b32 s15, 0
	s_wait_loadcnt 0x0
	v_cvt_i32_f64_e32 v2, v[2:3]
	s_branch .LBB30_219
.LBB30_217:
	s_mov_b32 s15, -1
                                        ; implicit-def: $vgpr2
	s_branch .LBB30_222
.LBB30_218:
	s_mov_b32 s15, -1
                                        ; implicit-def: $vgpr2
.LBB30_219:
	s_delay_alu instid0(SALU_CYCLE_1)
	s_and_not1_b32 vcc_lo, exec_lo, s15
	s_cbranch_vccnz .LBB30_221
; %bb.220:
	s_wait_loadcnt 0x0
	global_load_b32 v2, v[0:1], off
	s_wait_loadcnt 0x0
	v_cvt_i32_f32_e32 v2, v2
.LBB30_221:
	s_mov_b32 s15, 0
.LBB30_222:
	s_delay_alu instid0(SALU_CYCLE_1)
	s_and_not1_b32 vcc_lo, exec_lo, s15
	s_cbranch_vccnz .LBB30_224
; %bb.223:
	s_wait_loadcnt 0x0
	global_load_u16 v2, v[0:1], off
	s_wait_loadcnt 0x0
	v_cvt_i16_f16_e32 v2, v2
.LBB30_224:
	s_cbranch_execnz .LBB30_244
.LBB30_225:
	s_cmp_lt_i32 s0, 2
	s_cbranch_scc1 .LBB30_229
; %bb.226:
	s_cmp_lt_i32 s0, 3
	s_cbranch_scc1 .LBB30_230
; %bb.227:
	s_cmp_gt_i32 s0, 3
	s_cbranch_scc0 .LBB30_231
; %bb.228:
	s_wait_loadcnt 0x0
	global_load_b64 v[2:3], v[0:1], off
	s_mov_b32 s15, 0
	s_branch .LBB30_232
.LBB30_229:
	s_mov_b32 s15, -1
                                        ; implicit-def: $vgpr2
	s_branch .LBB30_238
.LBB30_230:
	s_mov_b32 s15, -1
                                        ; implicit-def: $vgpr2
	s_branch .LBB30_235
.LBB30_231:
	s_mov_b32 s15, -1
                                        ; implicit-def: $vgpr2
.LBB30_232:
	s_delay_alu instid0(SALU_CYCLE_1)
	s_and_not1_b32 vcc_lo, exec_lo, s15
	s_cbranch_vccnz .LBB30_234
; %bb.233:
	s_wait_loadcnt 0x0
	global_load_b32 v2, v[0:1], off
.LBB30_234:
	s_mov_b32 s15, 0
.LBB30_235:
	s_delay_alu instid0(SALU_CYCLE_1)
	s_and_not1_b32 vcc_lo, exec_lo, s15
	s_cbranch_vccnz .LBB30_237
; %bb.236:
	s_wait_loadcnt 0x0
	global_load_u16 v2, v[0:1], off
.LBB30_237:
	s_mov_b32 s15, 0
.LBB30_238:
	s_delay_alu instid0(SALU_CYCLE_1)
	s_and_not1_b32 vcc_lo, exec_lo, s15
	s_cbranch_vccnz .LBB30_244
; %bb.239:
	s_cmp_gt_i32 s0, 0
	s_mov_b32 s0, 0
	s_cbranch_scc0 .LBB30_241
; %bb.240:
	s_wait_loadcnt 0x0
	global_load_u8 v2, v[0:1], off
	s_branch .LBB30_242
.LBB30_241:
	s_mov_b32 s0, -1
                                        ; implicit-def: $vgpr2
.LBB30_242:
	s_delay_alu instid0(SALU_CYCLE_1)
	s_and_not1_b32 vcc_lo, exec_lo, s0
	s_cbranch_vccnz .LBB30_244
; %bb.243:
	s_wait_loadcnt 0x0
	global_load_u8 v2, v[0:1], off
.LBB30_244:
	s_branch .LBB30_11
.LBB30_245:
	s_mov_b32 s0, 0
.LBB30_246:
	s_mov_b32 s19, 0
                                        ; implicit-def: $vgpr10
.LBB30_247:
	s_and_b32 s15, s0, exec_lo
	s_and_b32 s16, s16, exec_lo
	s_or_not1_b32 s20, s19, exec_lo
.LBB30_248:
	s_wait_xcnt 0x0
	s_or_b32 exec_lo, exec_lo, s17
	s_mov_b32 s19, 0
	s_mov_b32 s0, 0
                                        ; implicit-def: $vgpr0_vgpr1
                                        ; implicit-def: $vgpr2
	s_and_saveexec_b32 s17, s20
	s_cbranch_execz .LBB30_257
; %bb.249:
	s_mov_b32 s0, -1
	s_mov_b32 s18, s16
	s_mov_b32 s19, s15
	s_mov_b32 s20, exec_lo
	v_cmpx_gt_i32_e64 s14, v10
	s_cbranch_execz .LBB30_507
; %bb.250:
	v_mul_lo_u32 v0, v10, s9
	s_and_b32 s0, 0xffff, s3
	s_delay_alu instid0(SALU_CYCLE_1) | instskip(NEXT) | instid1(VALU_DEP_1)
	s_cmp_lt_i32 s0, 11
	v_ashrrev_i32_e32 v1, 31, v0
	s_delay_alu instid0(VALU_DEP_1)
	v_add_nc_u64_e32 v[0:1], s[6:7], v[0:1]
	s_cbranch_scc1 .LBB30_260
; %bb.251:
	s_cmp_gt_i32 s0, 25
	s_cbranch_scc0 .LBB30_269
; %bb.252:
	s_cmp_gt_i32 s0, 28
	s_cbranch_scc0 .LBB30_271
	;; [unrolled: 3-line block ×4, first 2 shown]
; %bb.255:
	s_cmp_eq_u32 s0, 46
	s_mov_b32 s21, 0
	s_cbranch_scc0 .LBB30_281
; %bb.256:
	s_wait_loadcnt 0x0
	global_load_b32 v2, v[0:1], off
	s_mov_b32 s19, -1
	s_mov_b32 s18, 0
	s_wait_loadcnt 0x0
	v_lshlrev_b32_e32 v2, 16, v2
	s_delay_alu instid0(VALU_DEP_1)
	v_cvt_i32_f32_e32 v2, v2
	s_branch .LBB30_283
.LBB30_257:
	s_or_b32 exec_lo, exec_lo, s17
	s_mov_b32 s14, 0
	s_and_saveexec_b32 s17, s16
	s_cbranch_execnz .LBB30_847
.LBB30_258:
	s_or_b32 exec_lo, exec_lo, s17
	s_and_saveexec_b32 s16, s18
	s_delay_alu instid0(SALU_CYCLE_1)
	s_xor_b32 s16, exec_lo, s16
	s_cbranch_execz .LBB30_848
.LBB30_259:
	s_wait_loadcnt 0x0
	global_load_u8 v2, v[0:1], off
	s_or_b32 s0, s0, exec_lo
	s_wait_loadcnt 0x0
	v_cmp_ne_u16_e32 vcc_lo, 0, v2
	v_cndmask_b32_e64 v2, 0, 1, vcc_lo
	s_wait_xcnt 0x0
	s_or_b32 exec_lo, exec_lo, s16
	s_and_saveexec_b32 s16, s19
	s_cbranch_execz .LBB30_894
	s_branch .LBB30_849
.LBB30_260:
	s_mov_b32 s19, 0
	s_mov_b32 s18, s16
                                        ; implicit-def: $vgpr2
	s_cbranch_execnz .LBB30_456
.LBB30_261:
	s_and_not1_b32 vcc_lo, exec_lo, s19
	s_cbranch_vccnz .LBB30_504
.LBB30_262:
	s_wait_xcnt 0x0
	v_mul_lo_u32 v0, v10, s8
	s_wait_loadcnt 0x0
	s_delay_alu instid0(VALU_DEP_2) | instskip(SKIP_2) | instid1(VALU_DEP_1)
	v_and_b32_e32 v2, 0xff, v2
	s_and_b32 s0, s11, 0xff
	s_and_b32 s21, s2, 0xff
	v_cmp_ne_u16_e32 vcc_lo, s0, v2
	s_xor_b32 s19, s13, vcc_lo
	s_delay_alu instid0(VALU_DEP_3) | instskip(SKIP_1) | instid1(VALU_DEP_1)
	v_ashrrev_i32_e32 v1, 31, v0
	s_cmp_lt_i32 s21, 11
	v_add_nc_u64_e32 v[0:1], s[4:5], v[0:1]
	s_cbranch_scc1 .LBB30_270
; %bb.263:
	s_and_b32 s22, 0xffff, s21
	s_delay_alu instid0(SALU_CYCLE_1)
	s_cmp_gt_i32 s22, 25
	s_cbranch_scc0 .LBB30_272
; %bb.264:
	s_cmp_gt_i32 s22, 28
	s_cbranch_scc0 .LBB30_274
; %bb.265:
	;; [unrolled: 3-line block ×4, first 2 shown]
	s_mov_b32 s24, 0
	s_mov_b32 s0, -1
	s_cmp_eq_u32 s22, 46
	s_mov_b32 s23, 0
	s_cbranch_scc0 .LBB30_287
; %bb.268:
	v_cndmask_b32_e64 v2, 0, 1.0, s19
	s_mov_b32 s23, -1
	s_mov_b32 s0, 0
	s_delay_alu instid0(VALU_DEP_1) | instskip(NEXT) | instid1(VALU_DEP_1)
	v_bfe_u32 v3, v2, 16, 1
	v_add3_u32 v2, v2, v3, 0x7fff
	s_delay_alu instid0(VALU_DEP_1)
	v_lshrrev_b32_e32 v2, 16, v2
	global_store_b32 v[0:1], v2, off
	s_branch .LBB30_287
.LBB30_269:
	s_mov_b32 s21, -1
	s_mov_b32 s19, 0
	s_mov_b32 s18, s16
                                        ; implicit-def: $vgpr2
	s_branch .LBB30_422
.LBB30_270:
	s_mov_b32 s22, -1
	s_mov_b32 s23, 0
	s_mov_b32 s0, s15
	s_branch .LBB30_356
.LBB30_271:
	s_mov_b32 s21, -1
	s_mov_b32 s19, 0
	s_mov_b32 s18, s16
                                        ; implicit-def: $vgpr2
	s_branch .LBB30_405
.LBB30_272:
	s_mov_b32 s24, -1
	s_mov_b32 s23, 0
	s_mov_b32 s0, s15
	s_branch .LBB30_314
.LBB30_273:
	s_mov_b32 s21, -1
	s_mov_b32 s19, 0
	s_mov_b32 s18, s16
                                        ; implicit-def: $vgpr2
	s_branch .LBB30_400
.LBB30_274:
	s_mov_b32 s24, -1
	s_mov_b32 s23, 0
	s_mov_b32 s0, s15
	s_branch .LBB30_297
.LBB30_275:
	s_and_not1_saveexec_b32 s23, s23
	s_cbranch_execz .LBB30_54
.LBB30_276:
	v_add_f32_e32 v2, 0x46000000, v3
	s_and_not1_b32 s22, s22, exec_lo
	s_delay_alu instid0(VALU_DEP_1) | instskip(NEXT) | instid1(VALU_DEP_1)
	v_and_b32_e32 v2, 0xff, v2
	v_cmp_ne_u32_e32 vcc_lo, 0, v2
	s_and_b32 s24, vcc_lo, exec_lo
	s_delay_alu instid0(SALU_CYCLE_1)
	s_or_b32 s22, s22, s24
	s_or_b32 exec_lo, exec_lo, s23
	v_mov_b32_e32 v4, 0
	s_and_saveexec_b32 s23, s22
	s_cbranch_execnz .LBB30_55
	s_branch .LBB30_56
.LBB30_277:
	s_mov_b32 s21, -1
	s_mov_b32 s19, 0
	s_mov_b32 s18, s16
	s_branch .LBB30_282
.LBB30_278:
	s_mov_b32 s24, -1
	s_mov_b32 s23, 0
	s_mov_b32 s0, s15
	s_branch .LBB30_293
.LBB30_279:
	s_and_not1_saveexec_b32 s23, s23
	s_cbranch_execz .LBB30_67
.LBB30_280:
	v_add_f32_e32 v2, 0x42800000, v3
	s_and_not1_b32 s22, s22, exec_lo
	s_delay_alu instid0(VALU_DEP_1) | instskip(NEXT) | instid1(VALU_DEP_1)
	v_and_b32_e32 v2, 0xff, v2
	v_cmp_ne_u32_e32 vcc_lo, 0, v2
	s_and_b32 s24, vcc_lo, exec_lo
	s_delay_alu instid0(SALU_CYCLE_1)
	s_or_b32 s22, s22, s24
	s_or_b32 exec_lo, exec_lo, s23
	v_mov_b32_e32 v4, 0
	s_and_saveexec_b32 s23, s22
	s_cbranch_execnz .LBB30_68
	s_branch .LBB30_69
.LBB30_281:
	s_mov_b32 s18, -1
	s_mov_b32 s19, 0
.LBB30_282:
                                        ; implicit-def: $vgpr2
.LBB30_283:
	s_and_b32 vcc_lo, exec_lo, s21
	s_cbranch_vccz .LBB30_399
; %bb.284:
	s_cmp_eq_u32 s0, 44
	s_cbranch_scc0 .LBB30_398
; %bb.285:
	s_wait_loadcnt 0x0
	global_load_u8 v2, v[0:1], off
	s_mov_b32 s18, 0
	s_mov_b32 s19, -1
	s_wait_loadcnt 0x0
	v_lshlrev_b32_e32 v3, 23, v2
	v_cmp_ne_u32_e32 vcc_lo, 0, v2
	s_delay_alu instid0(VALU_DEP_2) | instskip(NEXT) | instid1(VALU_DEP_1)
	v_cvt_i32_f32_e32 v3, v3
	v_cndmask_b32_e32 v2, 0, v3, vcc_lo
	s_branch .LBB30_399
.LBB30_286:
	s_mov_b32 s24, -1
	s_mov_b32 s23, 0
	s_mov_b32 s0, s15
.LBB30_287:
	s_and_b32 vcc_lo, exec_lo, s24
	s_cbranch_vccz .LBB30_292
; %bb.288:
	s_cmp_eq_u32 s22, 44
	s_mov_b32 s0, -1
	s_cbranch_scc0 .LBB30_292
; %bb.289:
	v_cndmask_b32_e64 v4, 0, 1.0, s19
	s_mov_b32 s23, exec_lo
	s_wait_xcnt 0x0
	s_delay_alu instid0(VALU_DEP_1) | instskip(NEXT) | instid1(VALU_DEP_1)
	v_dual_mov_b32 v3, 0xff :: v_dual_lshrrev_b32 v2, 23, v4
	v_cmpx_ne_u32_e32 0xff, v2
; %bb.290:
	v_and_b32_e32 v3, 0x400000, v4
	v_and_or_b32 v4, 0x3fffff, v4, v2
	s_delay_alu instid0(VALU_DEP_2) | instskip(NEXT) | instid1(VALU_DEP_2)
	v_cmp_ne_u32_e32 vcc_lo, 0, v3
	v_cmp_ne_u32_e64 s0, 0, v4
	s_and_b32 s0, vcc_lo, s0
	s_delay_alu instid0(SALU_CYCLE_1) | instskip(NEXT) | instid1(VALU_DEP_1)
	v_cndmask_b32_e64 v3, 0, 1, s0
	v_add_nc_u32_e32 v3, v2, v3
; %bb.291:
	s_or_b32 exec_lo, exec_lo, s23
	s_mov_b32 s23, -1
	s_mov_b32 s0, 0
	global_store_b8 v[0:1], v3, off
.LBB30_292:
	s_mov_b32 s24, 0
.LBB30_293:
	s_delay_alu instid0(SALU_CYCLE_1)
	s_and_b32 vcc_lo, exec_lo, s24
	s_cbranch_vccz .LBB30_296
; %bb.294:
	s_cmp_eq_u32 s22, 29
	s_mov_b32 s0, -1
	s_cbranch_scc0 .LBB30_296
; %bb.295:
	s_mov_b32 s0, 0
	s_wait_xcnt 0x0
	v_cndmask_b32_e64 v2, 0, 1, s19
	v_mov_b32_e32 v3, s0
	s_mov_b32 s23, -1
	s_mov_b32 s24, 0
	global_store_b64 v[0:1], v[2:3], off
	s_branch .LBB30_297
.LBB30_296:
	s_mov_b32 s24, 0
.LBB30_297:
	s_delay_alu instid0(SALU_CYCLE_1)
	s_and_b32 vcc_lo, exec_lo, s24
	s_cbranch_vccz .LBB30_313
; %bb.298:
	s_cmp_lt_i32 s22, 27
	s_mov_b32 s23, -1
	s_cbranch_scc1 .LBB30_304
; %bb.299:
	s_cmp_gt_i32 s22, 27
	s_cbranch_scc0 .LBB30_301
; %bb.300:
	s_wait_xcnt 0x0
	v_cndmask_b32_e64 v2, 0, 1, s19
	s_mov_b32 s23, 0
	global_store_b32 v[0:1], v2, off
.LBB30_301:
	s_and_not1_b32 vcc_lo, exec_lo, s23
	s_cbranch_vccnz .LBB30_303
; %bb.302:
	s_wait_xcnt 0x0
	v_cndmask_b32_e64 v2, 0, 1, s19
	global_store_b16 v[0:1], v2, off
.LBB30_303:
	s_mov_b32 s23, 0
.LBB30_304:
	s_delay_alu instid0(SALU_CYCLE_1)
	s_and_not1_b32 vcc_lo, exec_lo, s23
	s_cbranch_vccnz .LBB30_312
; %bb.305:
	s_wait_xcnt 0x0
	v_cndmask_b32_e64 v3, 0, 1.0, s19
	v_mov_b32_e32 v4, 0x80
	s_mov_b32 s23, exec_lo
	s_delay_alu instid0(VALU_DEP_2)
	v_cmpx_gt_u32_e32 0x43800000, v3
	s_cbranch_execz .LBB30_311
; %bb.306:
	s_mov_b32 s24, 0
	s_mov_b32 s25, exec_lo
                                        ; implicit-def: $vgpr2
	v_cmpx_lt_u32_e32 0x3bffffff, v3
	s_xor_b32 s25, exec_lo, s25
	s_cbranch_execz .LBB30_520
; %bb.307:
	v_bfe_u32 v2, v3, 20, 1
	s_mov_b32 s24, exec_lo
	s_delay_alu instid0(VALU_DEP_1) | instskip(NEXT) | instid1(VALU_DEP_1)
	v_add3_u32 v2, v3, v2, 0x487ffff
                                        ; implicit-def: $vgpr3
	v_lshrrev_b32_e32 v2, 20, v2
	s_and_not1_saveexec_b32 s25, s25
	s_cbranch_execnz .LBB30_521
.LBB30_308:
	s_or_b32 exec_lo, exec_lo, s25
	v_mov_b32_e32 v4, 0
	s_and_saveexec_b32 s25, s24
.LBB30_309:
	v_mov_b32_e32 v4, v2
.LBB30_310:
	s_or_b32 exec_lo, exec_lo, s25
.LBB30_311:
	s_delay_alu instid0(SALU_CYCLE_1)
	s_or_b32 exec_lo, exec_lo, s23
	global_store_b8 v[0:1], v4, off
.LBB30_312:
	s_mov_b32 s23, -1
.LBB30_313:
	s_mov_b32 s24, 0
.LBB30_314:
	s_delay_alu instid0(SALU_CYCLE_1)
	s_and_b32 vcc_lo, exec_lo, s24
	s_cbranch_vccz .LBB30_355
; %bb.315:
	s_cmp_gt_i32 s22, 22
	s_mov_b32 s24, -1
	s_cbranch_scc0 .LBB30_347
; %bb.316:
	s_cmp_lt_i32 s22, 24
	s_mov_b32 s23, -1
	s_cbranch_scc1 .LBB30_336
; %bb.317:
	s_cmp_gt_i32 s22, 24
	s_cbranch_scc0 .LBB30_325
; %bb.318:
	s_wait_xcnt 0x0
	v_cndmask_b32_e64 v3, 0, 1.0, s19
	v_mov_b32_e32 v4, 0x80
	s_mov_b32 s23, exec_lo
	s_delay_alu instid0(VALU_DEP_2)
	v_cmpx_gt_u32_e32 0x47800000, v3
	s_cbranch_execz .LBB30_324
; %bb.319:
	s_mov_b32 s24, 0
	s_mov_b32 s25, exec_lo
                                        ; implicit-def: $vgpr2
	v_cmpx_lt_u32_e32 0x37ffffff, v3
	s_xor_b32 s25, exec_lo, s25
	s_cbranch_execz .LBB30_523
; %bb.320:
	v_bfe_u32 v2, v3, 21, 1
	s_mov_b32 s24, exec_lo
	s_delay_alu instid0(VALU_DEP_1) | instskip(NEXT) | instid1(VALU_DEP_1)
	v_add3_u32 v2, v3, v2, 0x88fffff
                                        ; implicit-def: $vgpr3
	v_lshrrev_b32_e32 v2, 21, v2
	s_and_not1_saveexec_b32 s25, s25
	s_cbranch_execnz .LBB30_524
.LBB30_321:
	s_or_b32 exec_lo, exec_lo, s25
	v_mov_b32_e32 v4, 0
	s_and_saveexec_b32 s25, s24
.LBB30_322:
	v_mov_b32_e32 v4, v2
.LBB30_323:
	s_or_b32 exec_lo, exec_lo, s25
.LBB30_324:
	s_delay_alu instid0(SALU_CYCLE_1)
	s_or_b32 exec_lo, exec_lo, s23
	s_mov_b32 s23, 0
	global_store_b8 v[0:1], v4, off
.LBB30_325:
	s_and_b32 vcc_lo, exec_lo, s23
	s_cbranch_vccz .LBB30_335
; %bb.326:
	s_wait_xcnt 0x0
	v_cndmask_b32_e64 v3, 0, 1.0, s19
	s_mov_b32 s23, exec_lo
                                        ; implicit-def: $vgpr2
	s_delay_alu instid0(VALU_DEP_1)
	v_cmpx_gt_u32_e32 0x43f00000, v3
	s_xor_b32 s23, exec_lo, s23
	s_cbranch_execz .LBB30_332
; %bb.327:
	s_mov_b32 s24, exec_lo
                                        ; implicit-def: $vgpr2
	v_cmpx_lt_u32_e32 0x3c7fffff, v3
	s_xor_b32 s24, exec_lo, s24
; %bb.328:
	v_bfe_u32 v2, v3, 20, 1
	s_delay_alu instid0(VALU_DEP_1) | instskip(NEXT) | instid1(VALU_DEP_1)
	v_add3_u32 v2, v3, v2, 0x407ffff
	v_and_b32_e32 v3, 0xff00000, v2
	v_lshrrev_b32_e32 v2, 20, v2
	s_delay_alu instid0(VALU_DEP_2) | instskip(NEXT) | instid1(VALU_DEP_2)
	v_cmp_ne_u32_e32 vcc_lo, 0x7f00000, v3
                                        ; implicit-def: $vgpr3
	v_cndmask_b32_e32 v2, 0x7e, v2, vcc_lo
; %bb.329:
	s_and_not1_saveexec_b32 s24, s24
; %bb.330:
	v_add_f32_e32 v2, 0x46800000, v3
; %bb.331:
	s_or_b32 exec_lo, exec_lo, s24
                                        ; implicit-def: $vgpr3
.LBB30_332:
	s_and_not1_saveexec_b32 s23, s23
; %bb.333:
	v_mov_b32_e32 v2, 0x7f
	v_cmp_lt_u32_e32 vcc_lo, 0x7f800000, v3
	s_delay_alu instid0(VALU_DEP_2)
	v_cndmask_b32_e32 v2, 0x7e, v2, vcc_lo
; %bb.334:
	s_or_b32 exec_lo, exec_lo, s23
	global_store_b8 v[0:1], v2, off
.LBB30_335:
	s_mov_b32 s23, 0
.LBB30_336:
	s_delay_alu instid0(SALU_CYCLE_1)
	s_and_not1_b32 vcc_lo, exec_lo, s23
	s_cbranch_vccnz .LBB30_346
; %bb.337:
	s_wait_xcnt 0x0
	v_cndmask_b32_e64 v3, 0, 1.0, s19
	s_mov_b32 s23, exec_lo
                                        ; implicit-def: $vgpr2
	s_delay_alu instid0(VALU_DEP_1)
	v_cmpx_gt_u32_e32 0x47800000, v3
	s_xor_b32 s23, exec_lo, s23
	s_cbranch_execz .LBB30_343
; %bb.338:
	s_mov_b32 s24, exec_lo
                                        ; implicit-def: $vgpr2
	v_cmpx_lt_u32_e32 0x387fffff, v3
	s_xor_b32 s24, exec_lo, s24
; %bb.339:
	v_bfe_u32 v2, v3, 21, 1
	s_delay_alu instid0(VALU_DEP_1) | instskip(NEXT) | instid1(VALU_DEP_1)
	v_add3_u32 v2, v3, v2, 0x80fffff
                                        ; implicit-def: $vgpr3
	v_lshrrev_b32_e32 v2, 21, v2
; %bb.340:
	s_and_not1_saveexec_b32 s24, s24
; %bb.341:
	v_add_f32_e32 v2, 0x43000000, v3
; %bb.342:
	s_or_b32 exec_lo, exec_lo, s24
                                        ; implicit-def: $vgpr3
.LBB30_343:
	s_and_not1_saveexec_b32 s23, s23
; %bb.344:
	v_mov_b32_e32 v2, 0x7f
	v_cmp_lt_u32_e32 vcc_lo, 0x7f800000, v3
	s_delay_alu instid0(VALU_DEP_2)
	v_cndmask_b32_e32 v2, 0x7c, v2, vcc_lo
; %bb.345:
	s_or_b32 exec_lo, exec_lo, s23
	global_store_b8 v[0:1], v2, off
.LBB30_346:
	s_mov_b32 s24, 0
	s_mov_b32 s23, -1
.LBB30_347:
	s_and_not1_b32 vcc_lo, exec_lo, s24
	s_cbranch_vccnz .LBB30_355
; %bb.348:
	s_cmp_gt_i32 s22, 14
	s_mov_b32 s24, -1
	s_cbranch_scc0 .LBB30_352
; %bb.349:
	s_cmp_eq_u32 s22, 15
	s_mov_b32 s0, -1
	s_cbranch_scc0 .LBB30_351
; %bb.350:
	s_wait_xcnt 0x0
	v_cndmask_b32_e64 v2, 0, 1.0, s19
	s_mov_b32 s23, -1
	s_mov_b32 s0, 0
	s_delay_alu instid0(VALU_DEP_1) | instskip(NEXT) | instid1(VALU_DEP_1)
	v_bfe_u32 v3, v2, 16, 1
	v_add3_u32 v2, v2, v3, 0x7fff
	global_store_d16_hi_b16 v[0:1], v2, off
.LBB30_351:
	s_mov_b32 s24, 0
.LBB30_352:
	s_delay_alu instid0(SALU_CYCLE_1)
	s_and_b32 vcc_lo, exec_lo, s24
	s_cbranch_vccz .LBB30_355
; %bb.353:
	s_cmp_eq_u32 s22, 11
	s_mov_b32 s0, -1
	s_cbranch_scc0 .LBB30_355
; %bb.354:
	s_wait_xcnt 0x0
	v_cndmask_b32_e64 v2, 0, 1, s19
	s_mov_b32 s23, -1
	s_mov_b32 s0, 0
	global_store_b8 v[0:1], v2, off
.LBB30_355:
	s_mov_b32 s22, 0
.LBB30_356:
	s_delay_alu instid0(SALU_CYCLE_1)
	s_and_b32 vcc_lo, exec_lo, s22
	s_cbranch_vccz .LBB30_395
; %bb.357:
	s_and_b32 s21, 0xffff, s21
	s_mov_b32 s22, -1
	s_cmp_lt_i32 s21, 5
	s_cbranch_scc1 .LBB30_378
; %bb.358:
	s_cmp_lt_i32 s21, 8
	s_cbranch_scc1 .LBB30_368
; %bb.359:
	;; [unrolled: 3-line block ×3, first 2 shown]
	s_cmp_gt_i32 s21, 9
	s_cbranch_scc0 .LBB30_362
; %bb.361:
	s_wait_xcnt 0x0
	v_cndmask_b32_e64 v2, 0, 1, s19
	v_mov_b32_e32 v4, 0
	s_mov_b32 s22, 0
	s_delay_alu instid0(VALU_DEP_2) | instskip(NEXT) | instid1(VALU_DEP_2)
	v_cvt_f64_u32_e32 v[2:3], v2
	v_mov_b32_e32 v5, v4
	global_store_b128 v[0:1], v[2:5], off
.LBB30_362:
	s_and_not1_b32 vcc_lo, exec_lo, s22
	s_cbranch_vccnz .LBB30_364
; %bb.363:
	s_wait_xcnt 0x0
	v_cndmask_b32_e64 v2, 0, 1.0, s19
	v_mov_b32_e32 v3, 0
	global_store_b64 v[0:1], v[2:3], off
.LBB30_364:
	s_mov_b32 s22, 0
.LBB30_365:
	s_delay_alu instid0(SALU_CYCLE_1)
	s_and_not1_b32 vcc_lo, exec_lo, s22
	s_cbranch_vccnz .LBB30_367
; %bb.366:
	s_wait_xcnt 0x0
	v_cndmask_b32_e64 v2, 0, 1.0, s19
	s_delay_alu instid0(VALU_DEP_1) | instskip(NEXT) | instid1(VALU_DEP_1)
	v_cvt_f16_f32_e32 v2, v2
	v_and_b32_e32 v2, 0xffff, v2
	global_store_b32 v[0:1], v2, off
.LBB30_367:
	s_mov_b32 s22, 0
.LBB30_368:
	s_delay_alu instid0(SALU_CYCLE_1)
	s_and_not1_b32 vcc_lo, exec_lo, s22
	s_cbranch_vccnz .LBB30_377
; %bb.369:
	s_cmp_lt_i32 s21, 6
	s_mov_b32 s22, -1
	s_cbranch_scc1 .LBB30_375
; %bb.370:
	s_cmp_gt_i32 s21, 6
	s_cbranch_scc0 .LBB30_372
; %bb.371:
	s_wait_xcnt 0x0
	v_cndmask_b32_e64 v2, 0, 1, s19
	s_mov_b32 s22, 0
	s_delay_alu instid0(VALU_DEP_1)
	v_cvt_f64_u32_e32 v[2:3], v2
	global_store_b64 v[0:1], v[2:3], off
.LBB30_372:
	s_and_not1_b32 vcc_lo, exec_lo, s22
	s_cbranch_vccnz .LBB30_374
; %bb.373:
	s_wait_xcnt 0x0
	v_cndmask_b32_e64 v2, 0, 1.0, s19
	global_store_b32 v[0:1], v2, off
.LBB30_374:
	s_mov_b32 s22, 0
.LBB30_375:
	s_delay_alu instid0(SALU_CYCLE_1)
	s_and_not1_b32 vcc_lo, exec_lo, s22
	s_cbranch_vccnz .LBB30_377
; %bb.376:
	s_wait_xcnt 0x0
	v_cndmask_b32_e64 v2, 0, 1.0, s19
	s_delay_alu instid0(VALU_DEP_1)
	v_cvt_f16_f32_e32 v2, v2
	global_store_b16 v[0:1], v2, off
.LBB30_377:
	s_mov_b32 s22, 0
.LBB30_378:
	s_delay_alu instid0(SALU_CYCLE_1)
	s_and_not1_b32 vcc_lo, exec_lo, s22
	s_cbranch_vccnz .LBB30_394
; %bb.379:
	s_cmp_lt_i32 s21, 2
	s_mov_b32 s22, -1
	s_cbranch_scc1 .LBB30_389
; %bb.380:
	s_cmp_lt_i32 s21, 3
	s_cbranch_scc1 .LBB30_386
; %bb.381:
	s_cmp_gt_i32 s21, 3
	s_cbranch_scc0 .LBB30_383
; %bb.382:
	s_mov_b32 s22, 0
	s_wait_xcnt 0x0
	v_cndmask_b32_e64 v2, 0, 1, s19
	v_mov_b32_e32 v3, s22
	global_store_b64 v[0:1], v[2:3], off
.LBB30_383:
	s_and_not1_b32 vcc_lo, exec_lo, s22
	s_cbranch_vccnz .LBB30_385
; %bb.384:
	s_wait_xcnt 0x0
	v_cndmask_b32_e64 v2, 0, 1, s19
	global_store_b32 v[0:1], v2, off
.LBB30_385:
	s_mov_b32 s22, 0
.LBB30_386:
	s_delay_alu instid0(SALU_CYCLE_1)
	s_and_not1_b32 vcc_lo, exec_lo, s22
	s_cbranch_vccnz .LBB30_388
; %bb.387:
	s_wait_xcnt 0x0
	v_cndmask_b32_e64 v2, 0, 1, s19
	global_store_b16 v[0:1], v2, off
.LBB30_388:
	s_mov_b32 s22, 0
.LBB30_389:
	s_delay_alu instid0(SALU_CYCLE_1)
	s_and_not1_b32 vcc_lo, exec_lo, s22
	s_cbranch_vccnz .LBB30_394
; %bb.390:
	s_wait_xcnt 0x0
	v_cndmask_b32_e64 v2, 0, 1, s19
	s_cmp_gt_i32 s21, 0
	s_mov_b32 s19, -1
	s_cbranch_scc0 .LBB30_392
; %bb.391:
	s_mov_b32 s19, 0
	global_store_b8 v[0:1], v2, off
.LBB30_392:
	s_and_not1_b32 vcc_lo, exec_lo, s19
	s_cbranch_vccnz .LBB30_394
; %bb.393:
	global_store_b8 v[0:1], v2, off
.LBB30_394:
	s_mov_b32 s23, -1
.LBB30_395:
	s_delay_alu instid0(SALU_CYCLE_1)
	s_and_not1_b32 vcc_lo, exec_lo, s23
	s_cbranch_vccnz .LBB30_397
; %bb.396:
	v_add_nc_u32_e32 v10, 0x80, v10
	s_mov_b32 s21, -1
	s_branch .LBB30_506
.LBB30_397:
	s_mov_b32 s21, 0
	s_branch .LBB30_505
.LBB30_398:
	s_mov_b32 s18, -1
                                        ; implicit-def: $vgpr2
.LBB30_399:
	s_mov_b32 s21, 0
.LBB30_400:
	s_delay_alu instid0(SALU_CYCLE_1)
	s_and_b32 vcc_lo, exec_lo, s21
	s_cbranch_vccz .LBB30_404
; %bb.401:
	s_cmp_eq_u32 s0, 29
	s_cbranch_scc0 .LBB30_403
; %bb.402:
	s_wait_loadcnt 0x0
	global_load_b64 v[2:3], v[0:1], off
	s_mov_b32 s19, -1
	s_mov_b32 s18, 0
	s_branch .LBB30_404
.LBB30_403:
	s_mov_b32 s18, -1
                                        ; implicit-def: $vgpr2
.LBB30_404:
	s_mov_b32 s21, 0
.LBB30_405:
	s_delay_alu instid0(SALU_CYCLE_1)
	s_and_b32 vcc_lo, exec_lo, s21
	s_cbranch_vccz .LBB30_421
; %bb.406:
	s_cmp_lt_i32 s0, 27
	s_cbranch_scc1 .LBB30_409
; %bb.407:
	s_cmp_gt_i32 s0, 27
	s_cbranch_scc0 .LBB30_410
; %bb.408:
	s_wait_loadcnt 0x0
	global_load_b32 v2, v[0:1], off
	s_mov_b32 s19, 0
	s_branch .LBB30_411
.LBB30_409:
	s_mov_b32 s19, -1
                                        ; implicit-def: $vgpr2
	s_branch .LBB30_414
.LBB30_410:
	s_mov_b32 s19, -1
                                        ; implicit-def: $vgpr2
.LBB30_411:
	s_delay_alu instid0(SALU_CYCLE_1)
	s_and_not1_b32 vcc_lo, exec_lo, s19
	s_cbranch_vccnz .LBB30_413
; %bb.412:
	s_wait_loadcnt 0x0
	global_load_u16 v2, v[0:1], off
.LBB30_413:
	s_mov_b32 s19, 0
.LBB30_414:
	s_delay_alu instid0(SALU_CYCLE_1)
	s_and_not1_b32 vcc_lo, exec_lo, s19
	s_cbranch_vccnz .LBB30_420
; %bb.415:
	s_wait_loadcnt 0x0
	global_load_u8 v3, v[0:1], off
	s_mov_b32 s21, 0
	s_mov_b32 s19, exec_lo
	s_wait_loadcnt 0x0
	v_cmpx_lt_i16_e32 0x7f, v3
	s_xor_b32 s19, exec_lo, s19
	s_cbranch_execz .LBB30_432
; %bb.416:
	v_cmp_ne_u16_e32 vcc_lo, 0x80, v3
	s_and_b32 s21, vcc_lo, exec_lo
	s_and_not1_saveexec_b32 s19, s19
	s_cbranch_execnz .LBB30_433
.LBB30_417:
	s_or_b32 exec_lo, exec_lo, s19
	v_mov_b32_e32 v2, 0
	s_and_saveexec_b32 s19, s21
	s_cbranch_execz .LBB30_419
.LBB30_418:
	v_and_b32_e32 v2, 0xffff, v3
	s_delay_alu instid0(VALU_DEP_1) | instskip(SKIP_1) | instid1(VALU_DEP_2)
	v_and_b32_e32 v4, 7, v2
	v_bfe_u32 v7, v2, 3, 4
	v_clz_i32_u32_e32 v5, v4
	s_delay_alu instid0(VALU_DEP_2) | instskip(NEXT) | instid1(VALU_DEP_2)
	v_cmp_eq_u32_e32 vcc_lo, 0, v7
	v_min_u32_e32 v5, 32, v5
	s_delay_alu instid0(VALU_DEP_1) | instskip(NEXT) | instid1(VALU_DEP_1)
	v_subrev_nc_u32_e32 v6, 28, v5
	v_dual_lshlrev_b32 v2, v6, v2 :: v_dual_sub_nc_u32 v5, 29, v5
	s_delay_alu instid0(VALU_DEP_1) | instskip(NEXT) | instid1(VALU_DEP_1)
	v_dual_lshlrev_b32 v3, 24, v3 :: v_dual_bitop2_b32 v2, 7, v2 bitop3:0x40
	v_dual_cndmask_b32 v5, v7, v5 :: v_dual_cndmask_b32 v2, v4, v2
	s_delay_alu instid0(VALU_DEP_2) | instskip(NEXT) | instid1(VALU_DEP_2)
	v_and_b32_e32 v3, 0x80000000, v3
	v_lshl_add_u32 v4, v5, 23, 0x3b800000
	s_delay_alu instid0(VALU_DEP_3) | instskip(NEXT) | instid1(VALU_DEP_1)
	v_lshlrev_b32_e32 v2, 20, v2
	v_or3_b32 v2, v3, v4, v2
	s_delay_alu instid0(VALU_DEP_1)
	v_cvt_i32_f32_e32 v2, v2
.LBB30_419:
	s_or_b32 exec_lo, exec_lo, s19
.LBB30_420:
	s_mov_b32 s19, -1
.LBB30_421:
	s_mov_b32 s21, 0
.LBB30_422:
	s_delay_alu instid0(SALU_CYCLE_1)
	s_and_b32 vcc_lo, exec_lo, s21
	s_cbranch_vccz .LBB30_455
; %bb.423:
	s_cmp_gt_i32 s0, 22
	s_cbranch_scc0 .LBB30_431
; %bb.424:
	s_cmp_lt_i32 s0, 24
	s_cbranch_scc1 .LBB30_434
; %bb.425:
	s_cmp_gt_i32 s0, 24
	s_cbranch_scc0 .LBB30_435
; %bb.426:
	s_wait_loadcnt 0x0
	global_load_u8 v3, v[0:1], off
	s_mov_b32 s21, 0
	s_mov_b32 s19, exec_lo
	s_wait_loadcnt 0x0
	v_cmpx_lt_i16_e32 0x7f, v3
	s_xor_b32 s19, exec_lo, s19
	s_cbranch_execz .LBB30_447
; %bb.427:
	v_cmp_ne_u16_e32 vcc_lo, 0x80, v3
	s_and_b32 s21, vcc_lo, exec_lo
	s_and_not1_saveexec_b32 s19, s19
	s_cbranch_execnz .LBB30_448
.LBB30_428:
	s_or_b32 exec_lo, exec_lo, s19
	v_mov_b32_e32 v2, 0
	s_and_saveexec_b32 s19, s21
	s_cbranch_execz .LBB30_430
.LBB30_429:
	v_and_b32_e32 v2, 0xffff, v3
	s_delay_alu instid0(VALU_DEP_1) | instskip(SKIP_1) | instid1(VALU_DEP_2)
	v_and_b32_e32 v4, 3, v2
	v_bfe_u32 v7, v2, 2, 5
	v_clz_i32_u32_e32 v5, v4
	s_delay_alu instid0(VALU_DEP_2) | instskip(NEXT) | instid1(VALU_DEP_2)
	v_cmp_eq_u32_e32 vcc_lo, 0, v7
	v_min_u32_e32 v5, 32, v5
	s_delay_alu instid0(VALU_DEP_1) | instskip(NEXT) | instid1(VALU_DEP_1)
	v_subrev_nc_u32_e32 v6, 29, v5
	v_dual_lshlrev_b32 v2, v6, v2 :: v_dual_sub_nc_u32 v5, 30, v5
	s_delay_alu instid0(VALU_DEP_1) | instskip(NEXT) | instid1(VALU_DEP_1)
	v_dual_lshlrev_b32 v3, 24, v3 :: v_dual_bitop2_b32 v2, 3, v2 bitop3:0x40
	v_dual_cndmask_b32 v5, v7, v5 :: v_dual_cndmask_b32 v2, v4, v2
	s_delay_alu instid0(VALU_DEP_2) | instskip(NEXT) | instid1(VALU_DEP_2)
	v_and_b32_e32 v3, 0x80000000, v3
	v_lshl_add_u32 v4, v5, 23, 0x37800000
	s_delay_alu instid0(VALU_DEP_3) | instskip(NEXT) | instid1(VALU_DEP_1)
	v_lshlrev_b32_e32 v2, 21, v2
	v_or3_b32 v2, v3, v4, v2
	s_delay_alu instid0(VALU_DEP_1)
	v_cvt_i32_f32_e32 v2, v2
.LBB30_430:
	s_or_b32 exec_lo, exec_lo, s19
	s_mov_b32 s19, 0
	s_branch .LBB30_436
.LBB30_431:
	s_mov_b32 s21, -1
                                        ; implicit-def: $vgpr2
	s_branch .LBB30_442
.LBB30_432:
	s_and_not1_saveexec_b32 s19, s19
	s_cbranch_execz .LBB30_417
.LBB30_433:
	v_cmp_ne_u16_e32 vcc_lo, 0, v3
	s_and_not1_b32 s21, s21, exec_lo
	s_and_b32 s22, vcc_lo, exec_lo
	s_delay_alu instid0(SALU_CYCLE_1)
	s_or_b32 s21, s21, s22
	s_or_b32 exec_lo, exec_lo, s19
	v_mov_b32_e32 v2, 0
	s_and_saveexec_b32 s19, s21
	s_cbranch_execnz .LBB30_418
	s_branch .LBB30_419
.LBB30_434:
	s_mov_b32 s19, -1
                                        ; implicit-def: $vgpr2
	s_branch .LBB30_439
.LBB30_435:
	s_mov_b32 s19, -1
                                        ; implicit-def: $vgpr2
.LBB30_436:
	s_delay_alu instid0(SALU_CYCLE_1)
	s_and_b32 vcc_lo, exec_lo, s19
	s_cbranch_vccz .LBB30_438
; %bb.437:
	s_wait_loadcnt 0x0
	global_load_u8 v2, v[0:1], off
	s_wait_loadcnt 0x0
	v_lshlrev_b32_e32 v2, 24, v2
	s_delay_alu instid0(VALU_DEP_1) | instskip(NEXT) | instid1(VALU_DEP_1)
	v_and_b32_e32 v3, 0x7f000000, v2
	v_clz_i32_u32_e32 v4, v3
	v_cmp_ne_u32_e32 vcc_lo, 0, v3
	v_add_nc_u32_e32 v6, 0x1000000, v3
	s_delay_alu instid0(VALU_DEP_3) | instskip(NEXT) | instid1(VALU_DEP_1)
	v_min_u32_e32 v4, 32, v4
	v_sub_nc_u32_e64 v4, v4, 4 clamp
	s_delay_alu instid0(VALU_DEP_1) | instskip(NEXT) | instid1(VALU_DEP_1)
	v_dual_lshlrev_b32 v5, v4, v3 :: v_dual_lshlrev_b32 v4, 23, v4
	v_lshrrev_b32_e32 v5, 4, v5
	s_delay_alu instid0(VALU_DEP_1) | instskip(NEXT) | instid1(VALU_DEP_1)
	v_dual_sub_nc_u32 v4, v5, v4 :: v_dual_ashrrev_i32 v5, 8, v6
	v_add_nc_u32_e32 v4, 0x3c000000, v4
	s_delay_alu instid0(VALU_DEP_1) | instskip(NEXT) | instid1(VALU_DEP_1)
	v_and_or_b32 v4, 0x7f800000, v5, v4
	v_cndmask_b32_e32 v3, 0, v4, vcc_lo
	s_delay_alu instid0(VALU_DEP_1) | instskip(NEXT) | instid1(VALU_DEP_1)
	v_and_or_b32 v2, 0x80000000, v2, v3
	v_cvt_i32_f32_e32 v2, v2
.LBB30_438:
	s_mov_b32 s19, 0
.LBB30_439:
	s_delay_alu instid0(SALU_CYCLE_1)
	s_and_not1_b32 vcc_lo, exec_lo, s19
	s_cbranch_vccnz .LBB30_441
; %bb.440:
	s_wait_loadcnt 0x0
	global_load_u8 v2, v[0:1], off
	s_wait_loadcnt 0x0
	v_lshlrev_b32_e32 v3, 25, v2
	v_lshlrev_b16 v2, 8, v2
	s_delay_alu instid0(VALU_DEP_1) | instskip(SKIP_1) | instid1(VALU_DEP_2)
	v_and_or_b32 v5, 0x7f00, v2, 0.5
	v_bfe_i32 v2, v2, 0, 16
	v_dual_add_f32 v5, -0.5, v5 :: v_dual_lshrrev_b32 v4, 4, v3
	v_cmp_gt_u32_e32 vcc_lo, 0x8000000, v3
	s_delay_alu instid0(VALU_DEP_2) | instskip(NEXT) | instid1(VALU_DEP_1)
	v_or_b32_e32 v4, 0x70000000, v4
	v_mul_f32_e32 v4, 0x7800000, v4
	s_delay_alu instid0(VALU_DEP_1) | instskip(NEXT) | instid1(VALU_DEP_1)
	v_cndmask_b32_e32 v3, v4, v5, vcc_lo
	v_and_or_b32 v2, 0x80000000, v2, v3
	s_delay_alu instid0(VALU_DEP_1)
	v_cvt_i32_f32_e32 v2, v2
.LBB30_441:
	s_mov_b32 s21, 0
	s_mov_b32 s19, -1
.LBB30_442:
	s_and_not1_b32 vcc_lo, exec_lo, s21
	s_cbranch_vccnz .LBB30_455
; %bb.443:
	s_cmp_gt_i32 s0, 14
	s_cbranch_scc0 .LBB30_446
; %bb.444:
	s_cmp_eq_u32 s0, 15
	s_cbranch_scc0 .LBB30_449
; %bb.445:
	s_wait_loadcnt 0x0
	global_load_u16 v2, v[0:1], off
	s_mov_b32 s19, -1
	s_mov_b32 s18, 0
	s_wait_loadcnt 0x0
	v_lshlrev_b32_e32 v2, 16, v2
	s_delay_alu instid0(VALU_DEP_1)
	v_cvt_i32_f32_e32 v2, v2
	s_branch .LBB30_450
.LBB30_446:
	s_mov_b32 s21, -1
                                        ; implicit-def: $vgpr2
	s_branch .LBB30_451
.LBB30_447:
	s_and_not1_saveexec_b32 s19, s19
	s_cbranch_execz .LBB30_428
.LBB30_448:
	v_cmp_ne_u16_e32 vcc_lo, 0, v3
	s_and_not1_b32 s21, s21, exec_lo
	s_and_b32 s22, vcc_lo, exec_lo
	s_delay_alu instid0(SALU_CYCLE_1)
	s_or_b32 s21, s21, s22
	s_or_b32 exec_lo, exec_lo, s19
	v_mov_b32_e32 v2, 0
	s_and_saveexec_b32 s19, s21
	s_cbranch_execnz .LBB30_429
	s_branch .LBB30_430
.LBB30_449:
	s_mov_b32 s18, -1
                                        ; implicit-def: $vgpr2
.LBB30_450:
	s_mov_b32 s21, 0
.LBB30_451:
	s_delay_alu instid0(SALU_CYCLE_1)
	s_and_b32 vcc_lo, exec_lo, s21
	s_cbranch_vccz .LBB30_455
; %bb.452:
	s_cmp_eq_u32 s0, 11
	s_cbranch_scc0 .LBB30_454
; %bb.453:
	s_wait_loadcnt 0x0
	global_load_u8 v2, v[0:1], off
	s_mov_b32 s18, 0
	s_mov_b32 s19, -1
	s_wait_loadcnt 0x0
	v_cmp_ne_u16_e32 vcc_lo, 0, v2
	v_cndmask_b32_e64 v2, 0, 1, vcc_lo
	s_branch .LBB30_455
.LBB30_454:
	s_mov_b32 s18, -1
                                        ; implicit-def: $vgpr2
.LBB30_455:
	s_branch .LBB30_261
.LBB30_456:
	s_cmp_lt_i32 s0, 5
	s_cbranch_scc1 .LBB30_461
; %bb.457:
	s_cmp_lt_i32 s0, 8
	s_cbranch_scc1 .LBB30_462
; %bb.458:
	;; [unrolled: 3-line block ×3, first 2 shown]
	s_cmp_gt_i32 s0, 9
	s_cbranch_scc0 .LBB30_464
; %bb.460:
	s_wait_loadcnt 0x0
	global_load_b64 v[2:3], v[0:1], off
	s_mov_b32 s19, 0
	s_wait_loadcnt 0x0
	v_cvt_i32_f64_e32 v2, v[2:3]
	s_branch .LBB30_465
.LBB30_461:
	s_mov_b32 s19, -1
                                        ; implicit-def: $vgpr2
	s_branch .LBB30_483
.LBB30_462:
	s_mov_b32 s19, -1
                                        ; implicit-def: $vgpr2
	s_branch .LBB30_471
.LBB30_463:
	s_mov_b32 s19, -1
                                        ; implicit-def: $vgpr2
	s_branch .LBB30_468
.LBB30_464:
	s_mov_b32 s19, -1
                                        ; implicit-def: $vgpr2
.LBB30_465:
	s_delay_alu instid0(SALU_CYCLE_1)
	s_and_not1_b32 vcc_lo, exec_lo, s19
	s_cbranch_vccnz .LBB30_467
; %bb.466:
	s_wait_loadcnt 0x0
	global_load_b32 v2, v[0:1], off
	s_wait_loadcnt 0x0
	v_cvt_i32_f32_e32 v2, v2
.LBB30_467:
	s_mov_b32 s19, 0
.LBB30_468:
	s_delay_alu instid0(SALU_CYCLE_1)
	s_and_not1_b32 vcc_lo, exec_lo, s19
	s_cbranch_vccnz .LBB30_470
; %bb.469:
	s_wait_loadcnt 0x0
	global_load_b32 v2, v[0:1], off
	s_wait_loadcnt 0x0
	v_cvt_i16_f16_e32 v2, v2
.LBB30_470:
	s_mov_b32 s19, 0
.LBB30_471:
	s_delay_alu instid0(SALU_CYCLE_1)
	s_and_not1_b32 vcc_lo, exec_lo, s19
	s_cbranch_vccnz .LBB30_482
; %bb.472:
	s_cmp_lt_i32 s0, 6
	s_cbranch_scc1 .LBB30_475
; %bb.473:
	s_cmp_gt_i32 s0, 6
	s_cbranch_scc0 .LBB30_476
; %bb.474:
	s_wait_loadcnt 0x0
	global_load_b64 v[2:3], v[0:1], off
	s_mov_b32 s19, 0
	s_wait_loadcnt 0x0
	v_cvt_i32_f64_e32 v2, v[2:3]
	s_branch .LBB30_477
.LBB30_475:
	s_mov_b32 s19, -1
                                        ; implicit-def: $vgpr2
	s_branch .LBB30_480
.LBB30_476:
	s_mov_b32 s19, -1
                                        ; implicit-def: $vgpr2
.LBB30_477:
	s_delay_alu instid0(SALU_CYCLE_1)
	s_and_not1_b32 vcc_lo, exec_lo, s19
	s_cbranch_vccnz .LBB30_479
; %bb.478:
	s_wait_loadcnt 0x0
	global_load_b32 v2, v[0:1], off
	s_wait_loadcnt 0x0
	v_cvt_i32_f32_e32 v2, v2
.LBB30_479:
	s_mov_b32 s19, 0
.LBB30_480:
	s_delay_alu instid0(SALU_CYCLE_1)
	s_and_not1_b32 vcc_lo, exec_lo, s19
	s_cbranch_vccnz .LBB30_482
; %bb.481:
	s_wait_loadcnt 0x0
	global_load_u16 v2, v[0:1], off
	s_wait_loadcnt 0x0
	v_cvt_i16_f16_e32 v2, v2
.LBB30_482:
	s_mov_b32 s19, 0
.LBB30_483:
	s_delay_alu instid0(SALU_CYCLE_1)
	s_and_not1_b32 vcc_lo, exec_lo, s19
	s_cbranch_vccnz .LBB30_503
; %bb.484:
	s_cmp_lt_i32 s0, 2
	s_cbranch_scc1 .LBB30_488
; %bb.485:
	s_cmp_lt_i32 s0, 3
	s_cbranch_scc1 .LBB30_489
; %bb.486:
	s_cmp_gt_i32 s0, 3
	s_cbranch_scc0 .LBB30_490
; %bb.487:
	s_wait_loadcnt 0x0
	global_load_b64 v[2:3], v[0:1], off
	s_mov_b32 s19, 0
	s_branch .LBB30_491
.LBB30_488:
	s_mov_b32 s19, -1
                                        ; implicit-def: $vgpr2
	s_branch .LBB30_497
.LBB30_489:
	s_mov_b32 s19, -1
                                        ; implicit-def: $vgpr2
	s_branch .LBB30_494
.LBB30_490:
	s_mov_b32 s19, -1
                                        ; implicit-def: $vgpr2
.LBB30_491:
	s_delay_alu instid0(SALU_CYCLE_1)
	s_and_not1_b32 vcc_lo, exec_lo, s19
	s_cbranch_vccnz .LBB30_493
; %bb.492:
	s_wait_loadcnt 0x0
	global_load_b32 v2, v[0:1], off
.LBB30_493:
	s_mov_b32 s19, 0
.LBB30_494:
	s_delay_alu instid0(SALU_CYCLE_1)
	s_and_not1_b32 vcc_lo, exec_lo, s19
	s_cbranch_vccnz .LBB30_496
; %bb.495:
	s_wait_loadcnt 0x0
	global_load_u16 v2, v[0:1], off
.LBB30_496:
	s_mov_b32 s19, 0
.LBB30_497:
	s_delay_alu instid0(SALU_CYCLE_1)
	s_and_not1_b32 vcc_lo, exec_lo, s19
	s_cbranch_vccnz .LBB30_503
; %bb.498:
	s_cmp_gt_i32 s0, 0
	s_mov_b32 s0, 0
	s_cbranch_scc0 .LBB30_500
; %bb.499:
	s_wait_loadcnt 0x0
	global_load_u8 v2, v[0:1], off
	s_branch .LBB30_501
.LBB30_500:
	s_mov_b32 s0, -1
                                        ; implicit-def: $vgpr2
.LBB30_501:
	s_delay_alu instid0(SALU_CYCLE_1)
	s_and_not1_b32 vcc_lo, exec_lo, s0
	s_cbranch_vccnz .LBB30_503
; %bb.502:
	s_wait_loadcnt 0x0
	global_load_u8 v2, v[0:1], off
.LBB30_503:
	s_branch .LBB30_262
.LBB30_504:
	s_mov_b32 s21, 0
	s_mov_b32 s0, s15
.LBB30_505:
                                        ; implicit-def: $vgpr10
.LBB30_506:
	s_and_not1_b32 s19, s15, exec_lo
	s_and_b32 s0, s0, exec_lo
	s_and_not1_b32 s22, s16, exec_lo
	s_and_b32 s18, s18, exec_lo
	s_or_b32 s19, s19, s0
	s_or_b32 s18, s22, s18
	s_or_not1_b32 s0, s21, exec_lo
.LBB30_507:
	s_wait_xcnt 0x0
	s_or_b32 exec_lo, exec_lo, s20
	s_mov_b32 s21, 0
	s_mov_b32 s22, 0
	;; [unrolled: 1-line block ×3, first 2 shown]
                                        ; implicit-def: $vgpr0_vgpr1
                                        ; implicit-def: $vgpr2
	s_and_saveexec_b32 s20, s0
	s_cbranch_execz .LBB30_846
; %bb.508:
	s_mov_b32 s23, -1
	s_mov_b32 s0, s18
	s_mov_b32 s22, s19
	s_mov_b32 s21, exec_lo
	v_cmpx_gt_i32_e64 s14, v10
	s_cbranch_execz .LBB30_764
; %bb.509:
	v_mul_lo_u32 v0, v10, s9
	s_and_b32 s0, 0xffff, s3
	s_delay_alu instid0(SALU_CYCLE_1) | instskip(NEXT) | instid1(VALU_DEP_1)
	s_cmp_lt_i32 s0, 11
	v_ashrrev_i32_e32 v1, 31, v0
	s_delay_alu instid0(VALU_DEP_1)
	v_add_nc_u64_e32 v[0:1], s[6:7], v[0:1]
	s_cbranch_scc1 .LBB30_516
; %bb.510:
	s_cmp_gt_i32 s0, 25
	s_cbranch_scc0 .LBB30_517
; %bb.511:
	s_cmp_gt_i32 s0, 28
	s_cbranch_scc0 .LBB30_518
	;; [unrolled: 3-line block ×4, first 2 shown]
; %bb.514:
	s_cmp_eq_u32 s0, 46
	s_mov_b32 s24, 0
	s_cbranch_scc0 .LBB30_525
; %bb.515:
	s_wait_loadcnt 0x0
	global_load_b32 v2, v[0:1], off
	s_mov_b32 s22, 0
	s_wait_loadcnt 0x0
	v_lshlrev_b32_e32 v2, 16, v2
	s_delay_alu instid0(VALU_DEP_1)
	v_cvt_i32_f32_e32 v2, v2
	s_branch .LBB30_527
.LBB30_516:
	s_mov_b32 s24, -1
	s_mov_b32 s23, 0
	s_mov_b32 s22, s18
                                        ; implicit-def: $vgpr2
	s_branch .LBB30_588
.LBB30_517:
	s_mov_b32 s24, -1
	s_mov_b32 s23, 0
	s_mov_b32 s22, s18
                                        ; implicit-def: $vgpr2
	s_branch .LBB30_554
.LBB30_518:
	s_mov_b32 s24, -1
	s_mov_b32 s23, 0
	s_mov_b32 s22, s18
                                        ; implicit-def: $vgpr2
	s_branch .LBB30_537
.LBB30_519:
	s_mov_b32 s24, -1
	s_mov_b32 s23, 0
	s_mov_b32 s22, s18
                                        ; implicit-def: $vgpr2
	s_branch .LBB30_532
.LBB30_520:
	s_and_not1_saveexec_b32 s25, s25
	s_cbranch_execz .LBB30_308
.LBB30_521:
	v_add_f32_e32 v2, 0x46000000, v3
	s_and_not1_b32 s24, s24, exec_lo
	s_delay_alu instid0(VALU_DEP_1) | instskip(NEXT) | instid1(VALU_DEP_1)
	v_and_b32_e32 v2, 0xff, v2
	v_cmp_ne_u32_e32 vcc_lo, 0, v2
	s_and_b32 s26, vcc_lo, exec_lo
	s_delay_alu instid0(SALU_CYCLE_1)
	s_or_b32 s24, s24, s26
	s_or_b32 exec_lo, exec_lo, s25
	v_mov_b32_e32 v4, 0
	s_and_saveexec_b32 s25, s24
	s_cbranch_execnz .LBB30_309
	s_branch .LBB30_310
.LBB30_522:
	s_mov_b32 s24, -1
	s_mov_b32 s23, 0
	s_mov_b32 s22, s18
	s_branch .LBB30_526
.LBB30_523:
	s_and_not1_saveexec_b32 s25, s25
	s_cbranch_execz .LBB30_321
.LBB30_524:
	v_add_f32_e32 v2, 0x42800000, v3
	s_and_not1_b32 s24, s24, exec_lo
	s_delay_alu instid0(VALU_DEP_1) | instskip(NEXT) | instid1(VALU_DEP_1)
	v_and_b32_e32 v2, 0xff, v2
	v_cmp_ne_u32_e32 vcc_lo, 0, v2
	s_and_b32 s26, vcc_lo, exec_lo
	s_delay_alu instid0(SALU_CYCLE_1)
	s_or_b32 s24, s24, s26
	s_or_b32 exec_lo, exec_lo, s25
	v_mov_b32_e32 v4, 0
	s_and_saveexec_b32 s25, s24
	s_cbranch_execnz .LBB30_322
	s_branch .LBB30_323
.LBB30_525:
	s_mov_b32 s22, -1
	s_mov_b32 s23, 0
.LBB30_526:
                                        ; implicit-def: $vgpr2
.LBB30_527:
	s_and_b32 vcc_lo, exec_lo, s24
	s_cbranch_vccz .LBB30_531
; %bb.528:
	s_cmp_eq_u32 s0, 44
	s_cbranch_scc0 .LBB30_530
; %bb.529:
	s_wait_loadcnt 0x0
	global_load_u8 v2, v[0:1], off
	s_mov_b32 s22, 0
	s_mov_b32 s23, -1
	s_wait_loadcnt 0x0
	v_lshlrev_b32_e32 v3, 23, v2
	v_cmp_ne_u32_e32 vcc_lo, 0, v2
	s_delay_alu instid0(VALU_DEP_2) | instskip(NEXT) | instid1(VALU_DEP_1)
	v_cvt_i32_f32_e32 v3, v3
	v_cndmask_b32_e32 v2, 0, v3, vcc_lo
	s_branch .LBB30_531
.LBB30_530:
	s_mov_b32 s22, -1
                                        ; implicit-def: $vgpr2
.LBB30_531:
	s_mov_b32 s24, 0
.LBB30_532:
	s_delay_alu instid0(SALU_CYCLE_1)
	s_and_b32 vcc_lo, exec_lo, s24
	s_cbranch_vccz .LBB30_536
; %bb.533:
	s_cmp_eq_u32 s0, 29
	s_cbranch_scc0 .LBB30_535
; %bb.534:
	s_wait_loadcnt 0x0
	global_load_b64 v[2:3], v[0:1], off
	s_mov_b32 s23, -1
	s_mov_b32 s22, 0
	s_branch .LBB30_536
.LBB30_535:
	s_mov_b32 s22, -1
                                        ; implicit-def: $vgpr2
.LBB30_536:
	s_mov_b32 s24, 0
.LBB30_537:
	s_delay_alu instid0(SALU_CYCLE_1)
	s_and_b32 vcc_lo, exec_lo, s24
	s_cbranch_vccz .LBB30_553
; %bb.538:
	s_cmp_lt_i32 s0, 27
	s_cbranch_scc1 .LBB30_541
; %bb.539:
	s_cmp_gt_i32 s0, 27
	s_cbranch_scc0 .LBB30_542
; %bb.540:
	s_wait_loadcnt 0x0
	global_load_b32 v2, v[0:1], off
	s_mov_b32 s23, 0
	s_branch .LBB30_543
.LBB30_541:
	s_mov_b32 s23, -1
                                        ; implicit-def: $vgpr2
	s_branch .LBB30_546
.LBB30_542:
	s_mov_b32 s23, -1
                                        ; implicit-def: $vgpr2
.LBB30_543:
	s_delay_alu instid0(SALU_CYCLE_1)
	s_and_not1_b32 vcc_lo, exec_lo, s23
	s_cbranch_vccnz .LBB30_545
; %bb.544:
	s_wait_loadcnt 0x0
	global_load_u16 v2, v[0:1], off
.LBB30_545:
	s_mov_b32 s23, 0
.LBB30_546:
	s_delay_alu instid0(SALU_CYCLE_1)
	s_and_not1_b32 vcc_lo, exec_lo, s23
	s_cbranch_vccnz .LBB30_552
; %bb.547:
	s_wait_loadcnt 0x0
	global_load_u8 v3, v[0:1], off
	s_mov_b32 s24, 0
	s_mov_b32 s23, exec_lo
	s_wait_loadcnt 0x0
	v_cmpx_lt_i16_e32 0x7f, v3
	s_xor_b32 s23, exec_lo, s23
	s_cbranch_execz .LBB30_564
; %bb.548:
	v_cmp_ne_u16_e32 vcc_lo, 0x80, v3
	s_and_b32 s24, vcc_lo, exec_lo
	s_and_not1_saveexec_b32 s23, s23
	s_cbranch_execnz .LBB30_565
.LBB30_549:
	s_or_b32 exec_lo, exec_lo, s23
	v_mov_b32_e32 v2, 0
	s_and_saveexec_b32 s23, s24
	s_cbranch_execz .LBB30_551
.LBB30_550:
	v_and_b32_e32 v2, 0xffff, v3
	s_delay_alu instid0(VALU_DEP_1) | instskip(SKIP_1) | instid1(VALU_DEP_2)
	v_and_b32_e32 v4, 7, v2
	v_bfe_u32 v7, v2, 3, 4
	v_clz_i32_u32_e32 v5, v4
	s_delay_alu instid0(VALU_DEP_2) | instskip(NEXT) | instid1(VALU_DEP_2)
	v_cmp_eq_u32_e32 vcc_lo, 0, v7
	v_min_u32_e32 v5, 32, v5
	s_delay_alu instid0(VALU_DEP_1) | instskip(NEXT) | instid1(VALU_DEP_1)
	v_subrev_nc_u32_e32 v6, 28, v5
	v_dual_lshlrev_b32 v2, v6, v2 :: v_dual_sub_nc_u32 v5, 29, v5
	s_delay_alu instid0(VALU_DEP_1) | instskip(NEXT) | instid1(VALU_DEP_1)
	v_dual_lshlrev_b32 v3, 24, v3 :: v_dual_bitop2_b32 v2, 7, v2 bitop3:0x40
	v_dual_cndmask_b32 v5, v7, v5 :: v_dual_cndmask_b32 v2, v4, v2
	s_delay_alu instid0(VALU_DEP_2) | instskip(NEXT) | instid1(VALU_DEP_2)
	v_and_b32_e32 v3, 0x80000000, v3
	v_lshl_add_u32 v4, v5, 23, 0x3b800000
	s_delay_alu instid0(VALU_DEP_3) | instskip(NEXT) | instid1(VALU_DEP_1)
	v_lshlrev_b32_e32 v2, 20, v2
	v_or3_b32 v2, v3, v4, v2
	s_delay_alu instid0(VALU_DEP_1)
	v_cvt_i32_f32_e32 v2, v2
.LBB30_551:
	s_or_b32 exec_lo, exec_lo, s23
.LBB30_552:
	s_mov_b32 s23, -1
.LBB30_553:
	s_mov_b32 s24, 0
.LBB30_554:
	s_delay_alu instid0(SALU_CYCLE_1)
	s_and_b32 vcc_lo, exec_lo, s24
	s_cbranch_vccz .LBB30_587
; %bb.555:
	s_cmp_gt_i32 s0, 22
	s_cbranch_scc0 .LBB30_563
; %bb.556:
	s_cmp_lt_i32 s0, 24
	s_cbranch_scc1 .LBB30_566
; %bb.557:
	s_cmp_gt_i32 s0, 24
	s_cbranch_scc0 .LBB30_567
; %bb.558:
	s_wait_loadcnt 0x0
	global_load_u8 v3, v[0:1], off
	s_mov_b32 s24, 0
	s_mov_b32 s23, exec_lo
	s_wait_loadcnt 0x0
	v_cmpx_lt_i16_e32 0x7f, v3
	s_xor_b32 s23, exec_lo, s23
	s_cbranch_execz .LBB30_579
; %bb.559:
	v_cmp_ne_u16_e32 vcc_lo, 0x80, v3
	s_and_b32 s24, vcc_lo, exec_lo
	s_and_not1_saveexec_b32 s23, s23
	s_cbranch_execnz .LBB30_580
.LBB30_560:
	s_or_b32 exec_lo, exec_lo, s23
	v_mov_b32_e32 v2, 0
	s_and_saveexec_b32 s23, s24
	s_cbranch_execz .LBB30_562
.LBB30_561:
	v_and_b32_e32 v2, 0xffff, v3
	s_delay_alu instid0(VALU_DEP_1) | instskip(SKIP_1) | instid1(VALU_DEP_2)
	v_and_b32_e32 v4, 3, v2
	v_bfe_u32 v7, v2, 2, 5
	v_clz_i32_u32_e32 v5, v4
	s_delay_alu instid0(VALU_DEP_2) | instskip(NEXT) | instid1(VALU_DEP_2)
	v_cmp_eq_u32_e32 vcc_lo, 0, v7
	v_min_u32_e32 v5, 32, v5
	s_delay_alu instid0(VALU_DEP_1) | instskip(NEXT) | instid1(VALU_DEP_1)
	v_subrev_nc_u32_e32 v6, 29, v5
	v_dual_lshlrev_b32 v2, v6, v2 :: v_dual_sub_nc_u32 v5, 30, v5
	s_delay_alu instid0(VALU_DEP_1) | instskip(NEXT) | instid1(VALU_DEP_1)
	v_dual_lshlrev_b32 v3, 24, v3 :: v_dual_bitop2_b32 v2, 3, v2 bitop3:0x40
	v_dual_cndmask_b32 v5, v7, v5 :: v_dual_cndmask_b32 v2, v4, v2
	s_delay_alu instid0(VALU_DEP_2) | instskip(NEXT) | instid1(VALU_DEP_2)
	v_and_b32_e32 v3, 0x80000000, v3
	v_lshl_add_u32 v4, v5, 23, 0x37800000
	s_delay_alu instid0(VALU_DEP_3) | instskip(NEXT) | instid1(VALU_DEP_1)
	v_lshlrev_b32_e32 v2, 21, v2
	v_or3_b32 v2, v3, v4, v2
	s_delay_alu instid0(VALU_DEP_1)
	v_cvt_i32_f32_e32 v2, v2
.LBB30_562:
	s_or_b32 exec_lo, exec_lo, s23
	s_mov_b32 s23, 0
	s_branch .LBB30_568
.LBB30_563:
	s_mov_b32 s24, -1
                                        ; implicit-def: $vgpr2
	s_branch .LBB30_574
.LBB30_564:
	s_and_not1_saveexec_b32 s23, s23
	s_cbranch_execz .LBB30_549
.LBB30_565:
	v_cmp_ne_u16_e32 vcc_lo, 0, v3
	s_and_not1_b32 s24, s24, exec_lo
	s_and_b32 s25, vcc_lo, exec_lo
	s_delay_alu instid0(SALU_CYCLE_1)
	s_or_b32 s24, s24, s25
	s_or_b32 exec_lo, exec_lo, s23
	v_mov_b32_e32 v2, 0
	s_and_saveexec_b32 s23, s24
	s_cbranch_execnz .LBB30_550
	s_branch .LBB30_551
.LBB30_566:
	s_mov_b32 s23, -1
                                        ; implicit-def: $vgpr2
	s_branch .LBB30_571
.LBB30_567:
	s_mov_b32 s23, -1
                                        ; implicit-def: $vgpr2
.LBB30_568:
	s_delay_alu instid0(SALU_CYCLE_1)
	s_and_b32 vcc_lo, exec_lo, s23
	s_cbranch_vccz .LBB30_570
; %bb.569:
	s_wait_loadcnt 0x0
	global_load_u8 v2, v[0:1], off
	s_wait_loadcnt 0x0
	v_lshlrev_b32_e32 v2, 24, v2
	s_delay_alu instid0(VALU_DEP_1) | instskip(NEXT) | instid1(VALU_DEP_1)
	v_and_b32_e32 v3, 0x7f000000, v2
	v_clz_i32_u32_e32 v4, v3
	v_cmp_ne_u32_e32 vcc_lo, 0, v3
	v_add_nc_u32_e32 v6, 0x1000000, v3
	s_delay_alu instid0(VALU_DEP_3) | instskip(NEXT) | instid1(VALU_DEP_1)
	v_min_u32_e32 v4, 32, v4
	v_sub_nc_u32_e64 v4, v4, 4 clamp
	s_delay_alu instid0(VALU_DEP_1) | instskip(NEXT) | instid1(VALU_DEP_1)
	v_dual_lshlrev_b32 v5, v4, v3 :: v_dual_lshlrev_b32 v4, 23, v4
	v_lshrrev_b32_e32 v5, 4, v5
	s_delay_alu instid0(VALU_DEP_1) | instskip(NEXT) | instid1(VALU_DEP_1)
	v_dual_sub_nc_u32 v4, v5, v4 :: v_dual_ashrrev_i32 v5, 8, v6
	v_add_nc_u32_e32 v4, 0x3c000000, v4
	s_delay_alu instid0(VALU_DEP_1) | instskip(NEXT) | instid1(VALU_DEP_1)
	v_and_or_b32 v4, 0x7f800000, v5, v4
	v_cndmask_b32_e32 v3, 0, v4, vcc_lo
	s_delay_alu instid0(VALU_DEP_1) | instskip(NEXT) | instid1(VALU_DEP_1)
	v_and_or_b32 v2, 0x80000000, v2, v3
	v_cvt_i32_f32_e32 v2, v2
.LBB30_570:
	s_mov_b32 s23, 0
.LBB30_571:
	s_delay_alu instid0(SALU_CYCLE_1)
	s_and_not1_b32 vcc_lo, exec_lo, s23
	s_cbranch_vccnz .LBB30_573
; %bb.572:
	s_wait_loadcnt 0x0
	global_load_u8 v2, v[0:1], off
	s_wait_loadcnt 0x0
	v_lshlrev_b32_e32 v3, 25, v2
	v_lshlrev_b16 v2, 8, v2
	s_delay_alu instid0(VALU_DEP_1) | instskip(SKIP_1) | instid1(VALU_DEP_2)
	v_and_or_b32 v5, 0x7f00, v2, 0.5
	v_bfe_i32 v2, v2, 0, 16
	v_dual_add_f32 v5, -0.5, v5 :: v_dual_lshrrev_b32 v4, 4, v3
	v_cmp_gt_u32_e32 vcc_lo, 0x8000000, v3
	s_delay_alu instid0(VALU_DEP_2) | instskip(NEXT) | instid1(VALU_DEP_1)
	v_or_b32_e32 v4, 0x70000000, v4
	v_mul_f32_e32 v4, 0x7800000, v4
	s_delay_alu instid0(VALU_DEP_1) | instskip(NEXT) | instid1(VALU_DEP_1)
	v_cndmask_b32_e32 v3, v4, v5, vcc_lo
	v_and_or_b32 v2, 0x80000000, v2, v3
	s_delay_alu instid0(VALU_DEP_1)
	v_cvt_i32_f32_e32 v2, v2
.LBB30_573:
	s_mov_b32 s24, 0
	s_mov_b32 s23, -1
.LBB30_574:
	s_and_not1_b32 vcc_lo, exec_lo, s24
	s_cbranch_vccnz .LBB30_587
; %bb.575:
	s_cmp_gt_i32 s0, 14
	s_cbranch_scc0 .LBB30_578
; %bb.576:
	s_cmp_eq_u32 s0, 15
	s_cbranch_scc0 .LBB30_581
; %bb.577:
	s_wait_loadcnt 0x0
	global_load_u16 v2, v[0:1], off
	s_mov_b32 s23, -1
	s_mov_b32 s22, 0
	s_wait_loadcnt 0x0
	v_lshlrev_b32_e32 v2, 16, v2
	s_delay_alu instid0(VALU_DEP_1)
	v_cvt_i32_f32_e32 v2, v2
	s_branch .LBB30_582
.LBB30_578:
	s_mov_b32 s24, -1
                                        ; implicit-def: $vgpr2
	s_branch .LBB30_583
.LBB30_579:
	s_and_not1_saveexec_b32 s23, s23
	s_cbranch_execz .LBB30_560
.LBB30_580:
	v_cmp_ne_u16_e32 vcc_lo, 0, v3
	s_and_not1_b32 s24, s24, exec_lo
	s_and_b32 s25, vcc_lo, exec_lo
	s_delay_alu instid0(SALU_CYCLE_1)
	s_or_b32 s24, s24, s25
	s_or_b32 exec_lo, exec_lo, s23
	v_mov_b32_e32 v2, 0
	s_and_saveexec_b32 s23, s24
	s_cbranch_execnz .LBB30_561
	s_branch .LBB30_562
.LBB30_581:
	s_mov_b32 s22, -1
                                        ; implicit-def: $vgpr2
.LBB30_582:
	s_mov_b32 s24, 0
.LBB30_583:
	s_delay_alu instid0(SALU_CYCLE_1)
	s_and_b32 vcc_lo, exec_lo, s24
	s_cbranch_vccz .LBB30_587
; %bb.584:
	s_cmp_eq_u32 s0, 11
	s_cbranch_scc0 .LBB30_586
; %bb.585:
	s_wait_loadcnt 0x0
	global_load_u8 v2, v[0:1], off
	s_mov_b32 s22, 0
	s_mov_b32 s23, -1
	s_wait_loadcnt 0x0
	v_cmp_ne_u16_e32 vcc_lo, 0, v2
	v_cndmask_b32_e64 v2, 0, 1, vcc_lo
	s_branch .LBB30_587
.LBB30_586:
	s_mov_b32 s22, -1
                                        ; implicit-def: $vgpr2
.LBB30_587:
	s_mov_b32 s24, 0
.LBB30_588:
	s_delay_alu instid0(SALU_CYCLE_1)
	s_and_b32 vcc_lo, exec_lo, s24
	s_cbranch_vccz .LBB30_637
; %bb.589:
	s_cmp_lt_i32 s0, 5
	s_cbranch_scc1 .LBB30_594
; %bb.590:
	s_cmp_lt_i32 s0, 8
	s_cbranch_scc1 .LBB30_595
; %bb.591:
	s_cmp_lt_i32 s0, 9
	s_cbranch_scc1 .LBB30_596
; %bb.592:
	s_cmp_gt_i32 s0, 9
	s_cbranch_scc0 .LBB30_597
; %bb.593:
	s_wait_loadcnt 0x0
	global_load_b64 v[2:3], v[0:1], off
	s_mov_b32 s23, 0
	s_wait_loadcnt 0x0
	v_cvt_i32_f64_e32 v2, v[2:3]
	s_branch .LBB30_598
.LBB30_594:
	s_mov_b32 s23, -1
                                        ; implicit-def: $vgpr2
	s_branch .LBB30_616
.LBB30_595:
	s_mov_b32 s23, -1
                                        ; implicit-def: $vgpr2
	s_branch .LBB30_604
.LBB30_596:
	s_mov_b32 s23, -1
                                        ; implicit-def: $vgpr2
	s_branch .LBB30_601
.LBB30_597:
	s_mov_b32 s23, -1
                                        ; implicit-def: $vgpr2
.LBB30_598:
	s_delay_alu instid0(SALU_CYCLE_1)
	s_and_not1_b32 vcc_lo, exec_lo, s23
	s_cbranch_vccnz .LBB30_600
; %bb.599:
	s_wait_loadcnt 0x0
	global_load_b32 v2, v[0:1], off
	s_wait_loadcnt 0x0
	v_cvt_i32_f32_e32 v2, v2
.LBB30_600:
	s_mov_b32 s23, 0
.LBB30_601:
	s_delay_alu instid0(SALU_CYCLE_1)
	s_and_not1_b32 vcc_lo, exec_lo, s23
	s_cbranch_vccnz .LBB30_603
; %bb.602:
	s_wait_loadcnt 0x0
	global_load_b32 v2, v[0:1], off
	s_wait_loadcnt 0x0
	v_cvt_i16_f16_e32 v2, v2
.LBB30_603:
	s_mov_b32 s23, 0
.LBB30_604:
	s_delay_alu instid0(SALU_CYCLE_1)
	s_and_not1_b32 vcc_lo, exec_lo, s23
	s_cbranch_vccnz .LBB30_615
; %bb.605:
	s_cmp_lt_i32 s0, 6
	s_cbranch_scc1 .LBB30_608
; %bb.606:
	s_cmp_gt_i32 s0, 6
	s_cbranch_scc0 .LBB30_609
; %bb.607:
	s_wait_loadcnt 0x0
	global_load_b64 v[2:3], v[0:1], off
	s_mov_b32 s23, 0
	s_wait_loadcnt 0x0
	v_cvt_i32_f64_e32 v2, v[2:3]
	s_branch .LBB30_610
.LBB30_608:
	s_mov_b32 s23, -1
                                        ; implicit-def: $vgpr2
	s_branch .LBB30_613
.LBB30_609:
	s_mov_b32 s23, -1
                                        ; implicit-def: $vgpr2
.LBB30_610:
	s_delay_alu instid0(SALU_CYCLE_1)
	s_and_not1_b32 vcc_lo, exec_lo, s23
	s_cbranch_vccnz .LBB30_612
; %bb.611:
	s_wait_loadcnt 0x0
	global_load_b32 v2, v[0:1], off
	s_wait_loadcnt 0x0
	v_cvt_i32_f32_e32 v2, v2
.LBB30_612:
	s_mov_b32 s23, 0
.LBB30_613:
	s_delay_alu instid0(SALU_CYCLE_1)
	s_and_not1_b32 vcc_lo, exec_lo, s23
	s_cbranch_vccnz .LBB30_615
; %bb.614:
	s_wait_loadcnt 0x0
	global_load_u16 v2, v[0:1], off
	s_wait_loadcnt 0x0
	v_cvt_i16_f16_e32 v2, v2
.LBB30_615:
	s_mov_b32 s23, 0
.LBB30_616:
	s_delay_alu instid0(SALU_CYCLE_1)
	s_and_not1_b32 vcc_lo, exec_lo, s23
	s_cbranch_vccnz .LBB30_636
; %bb.617:
	s_cmp_lt_i32 s0, 2
	s_cbranch_scc1 .LBB30_621
; %bb.618:
	s_cmp_lt_i32 s0, 3
	s_cbranch_scc1 .LBB30_622
; %bb.619:
	s_cmp_gt_i32 s0, 3
	s_cbranch_scc0 .LBB30_623
; %bb.620:
	s_wait_loadcnt 0x0
	global_load_b64 v[2:3], v[0:1], off
	s_mov_b32 s23, 0
	s_branch .LBB30_624
.LBB30_621:
	s_mov_b32 s23, -1
                                        ; implicit-def: $vgpr2
	s_branch .LBB30_630
.LBB30_622:
	s_mov_b32 s23, -1
                                        ; implicit-def: $vgpr2
	s_branch .LBB30_627
.LBB30_623:
	s_mov_b32 s23, -1
                                        ; implicit-def: $vgpr2
.LBB30_624:
	s_delay_alu instid0(SALU_CYCLE_1)
	s_and_not1_b32 vcc_lo, exec_lo, s23
	s_cbranch_vccnz .LBB30_626
; %bb.625:
	s_wait_loadcnt 0x0
	global_load_b32 v2, v[0:1], off
.LBB30_626:
	s_mov_b32 s23, 0
.LBB30_627:
	s_delay_alu instid0(SALU_CYCLE_1)
	s_and_not1_b32 vcc_lo, exec_lo, s23
	s_cbranch_vccnz .LBB30_629
; %bb.628:
	s_wait_loadcnt 0x0
	global_load_u16 v2, v[0:1], off
.LBB30_629:
	s_mov_b32 s23, 0
.LBB30_630:
	s_delay_alu instid0(SALU_CYCLE_1)
	s_and_not1_b32 vcc_lo, exec_lo, s23
	s_cbranch_vccnz .LBB30_636
; %bb.631:
	s_cmp_gt_i32 s0, 0
	s_mov_b32 s0, 0
	s_cbranch_scc0 .LBB30_633
; %bb.632:
	s_wait_loadcnt 0x0
	global_load_u8 v2, v[0:1], off
	s_branch .LBB30_634
.LBB30_633:
	s_mov_b32 s0, -1
                                        ; implicit-def: $vgpr2
.LBB30_634:
	s_delay_alu instid0(SALU_CYCLE_1)
	s_and_not1_b32 vcc_lo, exec_lo, s0
	s_cbranch_vccnz .LBB30_636
; %bb.635:
	s_wait_loadcnt 0x0
	global_load_u8 v2, v[0:1], off
.LBB30_636:
	s_mov_b32 s23, -1
.LBB30_637:
	s_delay_alu instid0(SALU_CYCLE_1)
	s_and_not1_b32 vcc_lo, exec_lo, s23
	s_cbranch_vccnz .LBB30_645
; %bb.638:
	s_wait_xcnt 0x0
	v_mul_lo_u32 v0, v10, s8
	s_wait_loadcnt 0x0
	s_delay_alu instid0(VALU_DEP_2) | instskip(SKIP_2) | instid1(VALU_DEP_1)
	v_and_b32_e32 v2, 0xff, v2
	s_and_b32 s0, s11, 0xff
	s_and_b32 s24, s2, 0xff
	v_cmp_ne_u16_e32 vcc_lo, s0, v2
	s_xor_b32 s23, s13, vcc_lo
	s_delay_alu instid0(VALU_DEP_3) | instskip(SKIP_1) | instid1(VALU_DEP_1)
	v_ashrrev_i32_e32 v1, 31, v0
	s_cmp_lt_i32 s24, 11
	v_add_nc_u64_e32 v[0:1], s[4:5], v[0:1]
	s_cbranch_scc1 .LBB30_646
; %bb.639:
	s_and_b32 s25, 0xffff, s24
	s_delay_alu instid0(SALU_CYCLE_1)
	s_cmp_gt_i32 s25, 25
	s_cbranch_scc0 .LBB30_647
; %bb.640:
	s_cmp_gt_i32 s25, 28
	s_cbranch_scc0 .LBB30_648
; %bb.641:
	;; [unrolled: 3-line block ×4, first 2 shown]
	s_mov_b32 s27, 0
	s_mov_b32 s0, -1
	s_cmp_eq_u32 s25, 46
	s_mov_b32 s26, 0
	s_cbranch_scc0 .LBB30_651
; %bb.644:
	v_cndmask_b32_e64 v2, 0, 1.0, s23
	s_mov_b32 s26, -1
	s_mov_b32 s0, 0
	s_delay_alu instid0(VALU_DEP_1) | instskip(NEXT) | instid1(VALU_DEP_1)
	v_bfe_u32 v3, v2, 16, 1
	v_add3_u32 v2, v2, v3, 0x7fff
	s_delay_alu instid0(VALU_DEP_1)
	v_lshrrev_b32_e32 v2, 16, v2
	global_store_b32 v[0:1], v2, off
	s_branch .LBB30_651
.LBB30_645:
	s_mov_b32 s23, 0
	s_mov_b32 s0, s19
	s_branch .LBB30_762
.LBB30_646:
	s_mov_b32 s25, -1
	s_mov_b32 s26, 0
	s_mov_b32 s0, s19
	s_branch .LBB30_720
.LBB30_647:
	s_mov_b32 s27, -1
	s_mov_b32 s26, 0
	s_mov_b32 s0, s19
	s_branch .LBB30_678
.LBB30_648:
	s_mov_b32 s27, -1
	s_mov_b32 s26, 0
	s_mov_b32 s0, s19
	s_branch .LBB30_661
.LBB30_649:
	s_mov_b32 s27, -1
	s_mov_b32 s26, 0
	s_mov_b32 s0, s19
	s_branch .LBB30_657
.LBB30_650:
	s_mov_b32 s27, -1
	s_mov_b32 s26, 0
	s_mov_b32 s0, s19
.LBB30_651:
	s_and_b32 vcc_lo, exec_lo, s27
	s_cbranch_vccz .LBB30_656
; %bb.652:
	s_cmp_eq_u32 s25, 44
	s_mov_b32 s0, -1
	s_cbranch_scc0 .LBB30_656
; %bb.653:
	v_cndmask_b32_e64 v4, 0, 1.0, s23
	s_mov_b32 s26, exec_lo
	s_wait_xcnt 0x0
	s_delay_alu instid0(VALU_DEP_1) | instskip(NEXT) | instid1(VALU_DEP_1)
	v_dual_mov_b32 v3, 0xff :: v_dual_lshrrev_b32 v2, 23, v4
	v_cmpx_ne_u32_e32 0xff, v2
; %bb.654:
	v_and_b32_e32 v3, 0x400000, v4
	v_and_or_b32 v4, 0x3fffff, v4, v2
	s_delay_alu instid0(VALU_DEP_2) | instskip(NEXT) | instid1(VALU_DEP_2)
	v_cmp_ne_u32_e32 vcc_lo, 0, v3
	v_cmp_ne_u32_e64 s0, 0, v4
	s_and_b32 s0, vcc_lo, s0
	s_delay_alu instid0(SALU_CYCLE_1) | instskip(NEXT) | instid1(VALU_DEP_1)
	v_cndmask_b32_e64 v3, 0, 1, s0
	v_add_nc_u32_e32 v3, v2, v3
; %bb.655:
	s_or_b32 exec_lo, exec_lo, s26
	s_mov_b32 s26, -1
	s_mov_b32 s0, 0
	global_store_b8 v[0:1], v3, off
.LBB30_656:
	s_mov_b32 s27, 0
.LBB30_657:
	s_delay_alu instid0(SALU_CYCLE_1)
	s_and_b32 vcc_lo, exec_lo, s27
	s_cbranch_vccz .LBB30_660
; %bb.658:
	s_cmp_eq_u32 s25, 29
	s_mov_b32 s0, -1
	s_cbranch_scc0 .LBB30_660
; %bb.659:
	s_mov_b32 s0, 0
	s_wait_xcnt 0x0
	v_cndmask_b32_e64 v2, 0, 1, s23
	v_mov_b32_e32 v3, s0
	s_mov_b32 s26, -1
	s_mov_b32 s27, 0
	global_store_b64 v[0:1], v[2:3], off
	s_branch .LBB30_661
.LBB30_660:
	s_mov_b32 s27, 0
.LBB30_661:
	s_delay_alu instid0(SALU_CYCLE_1)
	s_and_b32 vcc_lo, exec_lo, s27
	s_cbranch_vccz .LBB30_677
; %bb.662:
	s_cmp_lt_i32 s25, 27
	s_mov_b32 s26, -1
	s_cbranch_scc1 .LBB30_668
; %bb.663:
	s_cmp_gt_i32 s25, 27
	s_cbranch_scc0 .LBB30_665
; %bb.664:
	s_wait_xcnt 0x0
	v_cndmask_b32_e64 v2, 0, 1, s23
	s_mov_b32 s26, 0
	global_store_b32 v[0:1], v2, off
.LBB30_665:
	s_and_not1_b32 vcc_lo, exec_lo, s26
	s_cbranch_vccnz .LBB30_667
; %bb.666:
	s_wait_xcnt 0x0
	v_cndmask_b32_e64 v2, 0, 1, s23
	global_store_b16 v[0:1], v2, off
.LBB30_667:
	s_mov_b32 s26, 0
.LBB30_668:
	s_delay_alu instid0(SALU_CYCLE_1)
	s_and_not1_b32 vcc_lo, exec_lo, s26
	s_cbranch_vccnz .LBB30_676
; %bb.669:
	s_wait_xcnt 0x0
	v_cndmask_b32_e64 v3, 0, 1.0, s23
	v_mov_b32_e32 v4, 0x80
	s_mov_b32 s26, exec_lo
	s_delay_alu instid0(VALU_DEP_2)
	v_cmpx_gt_u32_e32 0x43800000, v3
	s_cbranch_execz .LBB30_675
; %bb.670:
	s_mov_b32 s27, 0
	s_mov_b32 s28, exec_lo
                                        ; implicit-def: $vgpr2
	v_cmpx_lt_u32_e32 0x3bffffff, v3
	s_xor_b32 s28, exec_lo, s28
	s_cbranch_execz .LBB30_777
; %bb.671:
	v_bfe_u32 v2, v3, 20, 1
	s_mov_b32 s27, exec_lo
	s_delay_alu instid0(VALU_DEP_1) | instskip(NEXT) | instid1(VALU_DEP_1)
	v_add3_u32 v2, v3, v2, 0x487ffff
                                        ; implicit-def: $vgpr3
	v_lshrrev_b32_e32 v2, 20, v2
	s_and_not1_saveexec_b32 s28, s28
	s_cbranch_execnz .LBB30_778
.LBB30_672:
	s_or_b32 exec_lo, exec_lo, s28
	v_mov_b32_e32 v4, 0
	s_and_saveexec_b32 s28, s27
.LBB30_673:
	v_mov_b32_e32 v4, v2
.LBB30_674:
	s_or_b32 exec_lo, exec_lo, s28
.LBB30_675:
	s_delay_alu instid0(SALU_CYCLE_1)
	s_or_b32 exec_lo, exec_lo, s26
	global_store_b8 v[0:1], v4, off
.LBB30_676:
	s_mov_b32 s26, -1
.LBB30_677:
	s_mov_b32 s27, 0
.LBB30_678:
	s_delay_alu instid0(SALU_CYCLE_1)
	s_and_b32 vcc_lo, exec_lo, s27
	s_cbranch_vccz .LBB30_719
; %bb.679:
	s_cmp_gt_i32 s25, 22
	s_mov_b32 s27, -1
	s_cbranch_scc0 .LBB30_711
; %bb.680:
	s_cmp_lt_i32 s25, 24
	s_mov_b32 s26, -1
	s_cbranch_scc1 .LBB30_700
; %bb.681:
	s_cmp_gt_i32 s25, 24
	s_cbranch_scc0 .LBB30_689
; %bb.682:
	s_wait_xcnt 0x0
	v_cndmask_b32_e64 v3, 0, 1.0, s23
	v_mov_b32_e32 v4, 0x80
	s_mov_b32 s26, exec_lo
	s_delay_alu instid0(VALU_DEP_2)
	v_cmpx_gt_u32_e32 0x47800000, v3
	s_cbranch_execz .LBB30_688
; %bb.683:
	s_mov_b32 s27, 0
	s_mov_b32 s28, exec_lo
                                        ; implicit-def: $vgpr2
	v_cmpx_lt_u32_e32 0x37ffffff, v3
	s_xor_b32 s28, exec_lo, s28
	s_cbranch_execz .LBB30_780
; %bb.684:
	v_bfe_u32 v2, v3, 21, 1
	s_mov_b32 s27, exec_lo
	s_delay_alu instid0(VALU_DEP_1) | instskip(NEXT) | instid1(VALU_DEP_1)
	v_add3_u32 v2, v3, v2, 0x88fffff
                                        ; implicit-def: $vgpr3
	v_lshrrev_b32_e32 v2, 21, v2
	s_and_not1_saveexec_b32 s28, s28
	s_cbranch_execnz .LBB30_781
.LBB30_685:
	s_or_b32 exec_lo, exec_lo, s28
	v_mov_b32_e32 v4, 0
	s_and_saveexec_b32 s28, s27
.LBB30_686:
	v_mov_b32_e32 v4, v2
.LBB30_687:
	s_or_b32 exec_lo, exec_lo, s28
.LBB30_688:
	s_delay_alu instid0(SALU_CYCLE_1)
	s_or_b32 exec_lo, exec_lo, s26
	s_mov_b32 s26, 0
	global_store_b8 v[0:1], v4, off
.LBB30_689:
	s_and_b32 vcc_lo, exec_lo, s26
	s_cbranch_vccz .LBB30_699
; %bb.690:
	s_wait_xcnt 0x0
	v_cndmask_b32_e64 v3, 0, 1.0, s23
	s_mov_b32 s26, exec_lo
                                        ; implicit-def: $vgpr2
	s_delay_alu instid0(VALU_DEP_1)
	v_cmpx_gt_u32_e32 0x43f00000, v3
	s_xor_b32 s26, exec_lo, s26
	s_cbranch_execz .LBB30_696
; %bb.691:
	s_mov_b32 s27, exec_lo
                                        ; implicit-def: $vgpr2
	v_cmpx_lt_u32_e32 0x3c7fffff, v3
	s_xor_b32 s27, exec_lo, s27
; %bb.692:
	v_bfe_u32 v2, v3, 20, 1
	s_delay_alu instid0(VALU_DEP_1) | instskip(NEXT) | instid1(VALU_DEP_1)
	v_add3_u32 v2, v3, v2, 0x407ffff
	v_and_b32_e32 v3, 0xff00000, v2
	v_lshrrev_b32_e32 v2, 20, v2
	s_delay_alu instid0(VALU_DEP_2) | instskip(NEXT) | instid1(VALU_DEP_2)
	v_cmp_ne_u32_e32 vcc_lo, 0x7f00000, v3
                                        ; implicit-def: $vgpr3
	v_cndmask_b32_e32 v2, 0x7e, v2, vcc_lo
; %bb.693:
	s_and_not1_saveexec_b32 s27, s27
; %bb.694:
	v_add_f32_e32 v2, 0x46800000, v3
; %bb.695:
	s_or_b32 exec_lo, exec_lo, s27
                                        ; implicit-def: $vgpr3
.LBB30_696:
	s_and_not1_saveexec_b32 s26, s26
; %bb.697:
	v_mov_b32_e32 v2, 0x7f
	v_cmp_lt_u32_e32 vcc_lo, 0x7f800000, v3
	s_delay_alu instid0(VALU_DEP_2)
	v_cndmask_b32_e32 v2, 0x7e, v2, vcc_lo
; %bb.698:
	s_or_b32 exec_lo, exec_lo, s26
	global_store_b8 v[0:1], v2, off
.LBB30_699:
	s_mov_b32 s26, 0
.LBB30_700:
	s_delay_alu instid0(SALU_CYCLE_1)
	s_and_not1_b32 vcc_lo, exec_lo, s26
	s_cbranch_vccnz .LBB30_710
; %bb.701:
	s_wait_xcnt 0x0
	v_cndmask_b32_e64 v3, 0, 1.0, s23
	s_mov_b32 s26, exec_lo
                                        ; implicit-def: $vgpr2
	s_delay_alu instid0(VALU_DEP_1)
	v_cmpx_gt_u32_e32 0x47800000, v3
	s_xor_b32 s26, exec_lo, s26
	s_cbranch_execz .LBB30_707
; %bb.702:
	s_mov_b32 s27, exec_lo
                                        ; implicit-def: $vgpr2
	v_cmpx_lt_u32_e32 0x387fffff, v3
	s_xor_b32 s27, exec_lo, s27
; %bb.703:
	v_bfe_u32 v2, v3, 21, 1
	s_delay_alu instid0(VALU_DEP_1) | instskip(NEXT) | instid1(VALU_DEP_1)
	v_add3_u32 v2, v3, v2, 0x80fffff
                                        ; implicit-def: $vgpr3
	v_lshrrev_b32_e32 v2, 21, v2
; %bb.704:
	s_and_not1_saveexec_b32 s27, s27
; %bb.705:
	v_add_f32_e32 v2, 0x43000000, v3
; %bb.706:
	s_or_b32 exec_lo, exec_lo, s27
                                        ; implicit-def: $vgpr3
.LBB30_707:
	s_and_not1_saveexec_b32 s26, s26
; %bb.708:
	v_mov_b32_e32 v2, 0x7f
	v_cmp_lt_u32_e32 vcc_lo, 0x7f800000, v3
	s_delay_alu instid0(VALU_DEP_2)
	v_cndmask_b32_e32 v2, 0x7c, v2, vcc_lo
; %bb.709:
	s_or_b32 exec_lo, exec_lo, s26
	global_store_b8 v[0:1], v2, off
.LBB30_710:
	s_mov_b32 s27, 0
	s_mov_b32 s26, -1
.LBB30_711:
	s_and_not1_b32 vcc_lo, exec_lo, s27
	s_cbranch_vccnz .LBB30_719
; %bb.712:
	s_cmp_gt_i32 s25, 14
	s_mov_b32 s27, -1
	s_cbranch_scc0 .LBB30_716
; %bb.713:
	s_cmp_eq_u32 s25, 15
	s_mov_b32 s0, -1
	s_cbranch_scc0 .LBB30_715
; %bb.714:
	s_wait_xcnt 0x0
	v_cndmask_b32_e64 v2, 0, 1.0, s23
	s_mov_b32 s26, -1
	s_mov_b32 s0, 0
	s_delay_alu instid0(VALU_DEP_1) | instskip(NEXT) | instid1(VALU_DEP_1)
	v_bfe_u32 v3, v2, 16, 1
	v_add3_u32 v2, v2, v3, 0x7fff
	global_store_d16_hi_b16 v[0:1], v2, off
.LBB30_715:
	s_mov_b32 s27, 0
.LBB30_716:
	s_delay_alu instid0(SALU_CYCLE_1)
	s_and_b32 vcc_lo, exec_lo, s27
	s_cbranch_vccz .LBB30_719
; %bb.717:
	s_cmp_eq_u32 s25, 11
	s_mov_b32 s0, -1
	s_cbranch_scc0 .LBB30_719
; %bb.718:
	s_wait_xcnt 0x0
	v_cndmask_b32_e64 v2, 0, 1, s23
	s_mov_b32 s26, -1
	s_mov_b32 s0, 0
	global_store_b8 v[0:1], v2, off
.LBB30_719:
	s_mov_b32 s25, 0
.LBB30_720:
	s_delay_alu instid0(SALU_CYCLE_1)
	s_and_b32 vcc_lo, exec_lo, s25
	s_cbranch_vccz .LBB30_759
; %bb.721:
	s_and_b32 s24, 0xffff, s24
	s_mov_b32 s25, -1
	s_cmp_lt_i32 s24, 5
	s_cbranch_scc1 .LBB30_742
; %bb.722:
	s_cmp_lt_i32 s24, 8
	s_cbranch_scc1 .LBB30_732
; %bb.723:
	s_cmp_lt_i32 s24, 9
	s_cbranch_scc1 .LBB30_729
; %bb.724:
	s_cmp_gt_i32 s24, 9
	s_cbranch_scc0 .LBB30_726
; %bb.725:
	s_wait_xcnt 0x0
	v_cndmask_b32_e64 v2, 0, 1, s23
	v_mov_b32_e32 v4, 0
	s_mov_b32 s25, 0
	s_delay_alu instid0(VALU_DEP_2) | instskip(NEXT) | instid1(VALU_DEP_2)
	v_cvt_f64_u32_e32 v[2:3], v2
	v_mov_b32_e32 v5, v4
	global_store_b128 v[0:1], v[2:5], off
.LBB30_726:
	s_and_not1_b32 vcc_lo, exec_lo, s25
	s_cbranch_vccnz .LBB30_728
; %bb.727:
	s_wait_xcnt 0x0
	v_cndmask_b32_e64 v2, 0, 1.0, s23
	v_mov_b32_e32 v3, 0
	global_store_b64 v[0:1], v[2:3], off
.LBB30_728:
	s_mov_b32 s25, 0
.LBB30_729:
	s_delay_alu instid0(SALU_CYCLE_1)
	s_and_not1_b32 vcc_lo, exec_lo, s25
	s_cbranch_vccnz .LBB30_731
; %bb.730:
	s_wait_xcnt 0x0
	v_cndmask_b32_e64 v2, 0, 1.0, s23
	s_delay_alu instid0(VALU_DEP_1) | instskip(NEXT) | instid1(VALU_DEP_1)
	v_cvt_f16_f32_e32 v2, v2
	v_and_b32_e32 v2, 0xffff, v2
	global_store_b32 v[0:1], v2, off
.LBB30_731:
	s_mov_b32 s25, 0
.LBB30_732:
	s_delay_alu instid0(SALU_CYCLE_1)
	s_and_not1_b32 vcc_lo, exec_lo, s25
	s_cbranch_vccnz .LBB30_741
; %bb.733:
	s_cmp_lt_i32 s24, 6
	s_mov_b32 s25, -1
	s_cbranch_scc1 .LBB30_739
; %bb.734:
	s_cmp_gt_i32 s24, 6
	s_cbranch_scc0 .LBB30_736
; %bb.735:
	s_wait_xcnt 0x0
	v_cndmask_b32_e64 v2, 0, 1, s23
	s_mov_b32 s25, 0
	s_delay_alu instid0(VALU_DEP_1)
	v_cvt_f64_u32_e32 v[2:3], v2
	global_store_b64 v[0:1], v[2:3], off
.LBB30_736:
	s_and_not1_b32 vcc_lo, exec_lo, s25
	s_cbranch_vccnz .LBB30_738
; %bb.737:
	s_wait_xcnt 0x0
	v_cndmask_b32_e64 v2, 0, 1.0, s23
	global_store_b32 v[0:1], v2, off
.LBB30_738:
	s_mov_b32 s25, 0
.LBB30_739:
	s_delay_alu instid0(SALU_CYCLE_1)
	s_and_not1_b32 vcc_lo, exec_lo, s25
	s_cbranch_vccnz .LBB30_741
; %bb.740:
	s_wait_xcnt 0x0
	v_cndmask_b32_e64 v2, 0, 1.0, s23
	s_delay_alu instid0(VALU_DEP_1)
	v_cvt_f16_f32_e32 v2, v2
	global_store_b16 v[0:1], v2, off
.LBB30_741:
	s_mov_b32 s25, 0
.LBB30_742:
	s_delay_alu instid0(SALU_CYCLE_1)
	s_and_not1_b32 vcc_lo, exec_lo, s25
	s_cbranch_vccnz .LBB30_758
; %bb.743:
	s_cmp_lt_i32 s24, 2
	s_mov_b32 s25, -1
	s_cbranch_scc1 .LBB30_753
; %bb.744:
	s_cmp_lt_i32 s24, 3
	s_cbranch_scc1 .LBB30_750
; %bb.745:
	s_cmp_gt_i32 s24, 3
	s_cbranch_scc0 .LBB30_747
; %bb.746:
	s_mov_b32 s25, 0
	s_wait_xcnt 0x0
	v_cndmask_b32_e64 v2, 0, 1, s23
	v_mov_b32_e32 v3, s25
	global_store_b64 v[0:1], v[2:3], off
.LBB30_747:
	s_and_not1_b32 vcc_lo, exec_lo, s25
	s_cbranch_vccnz .LBB30_749
; %bb.748:
	s_wait_xcnt 0x0
	v_cndmask_b32_e64 v2, 0, 1, s23
	global_store_b32 v[0:1], v2, off
.LBB30_749:
	s_mov_b32 s25, 0
.LBB30_750:
	s_delay_alu instid0(SALU_CYCLE_1)
	s_and_not1_b32 vcc_lo, exec_lo, s25
	s_cbranch_vccnz .LBB30_752
; %bb.751:
	s_wait_xcnt 0x0
	v_cndmask_b32_e64 v2, 0, 1, s23
	global_store_b16 v[0:1], v2, off
.LBB30_752:
	s_mov_b32 s25, 0
.LBB30_753:
	s_delay_alu instid0(SALU_CYCLE_1)
	s_and_not1_b32 vcc_lo, exec_lo, s25
	s_cbranch_vccnz .LBB30_758
; %bb.754:
	s_wait_xcnt 0x0
	v_cndmask_b32_e64 v2, 0, 1, s23
	s_cmp_gt_i32 s24, 0
	s_mov_b32 s23, -1
	s_cbranch_scc0 .LBB30_756
; %bb.755:
	s_mov_b32 s23, 0
	global_store_b8 v[0:1], v2, off
.LBB30_756:
	s_and_not1_b32 vcc_lo, exec_lo, s23
	s_cbranch_vccnz .LBB30_758
; %bb.757:
	global_store_b8 v[0:1], v2, off
.LBB30_758:
	s_mov_b32 s26, -1
.LBB30_759:
	s_delay_alu instid0(SALU_CYCLE_1)
	s_and_not1_b32 vcc_lo, exec_lo, s26
	s_cbranch_vccnz .LBB30_761
; %bb.760:
	v_add_nc_u32_e32 v10, 0x80, v10
	s_mov_b32 s23, -1
	s_branch .LBB30_763
.LBB30_761:
	s_mov_b32 s23, 0
.LBB30_762:
                                        ; implicit-def: $vgpr10
.LBB30_763:
	s_and_not1_b32 s24, s19, exec_lo
	s_and_b32 s0, s0, exec_lo
	s_and_not1_b32 s25, s18, exec_lo
	s_and_b32 s26, s22, exec_lo
	s_or_b32 s22, s24, s0
	s_or_b32 s0, s25, s26
	s_or_not1_b32 s23, s23, exec_lo
.LBB30_764:
	s_wait_xcnt 0x0
	s_or_b32 exec_lo, exec_lo, s21
	s_mov_b32 s24, 0
	s_mov_b32 s25, 0
	;; [unrolled: 1-line block ×3, first 2 shown]
                                        ; implicit-def: $vgpr0_vgpr1
                                        ; implicit-def: $vgpr2
	s_and_saveexec_b32 s21, s23
	s_cbranch_execz .LBB30_845
; %bb.765:
	v_cmp_gt_i32_e32 vcc_lo, s14, v10
	s_mov_b32 s23, 0
	s_mov_b32 s24, s0
	;; [unrolled: 1-line block ×3, first 2 shown]
                                        ; implicit-def: $vgpr0_vgpr1
                                        ; implicit-def: $vgpr2
	s_and_saveexec_b32 s14, vcc_lo
	s_cbranch_execz .LBB30_844
; %bb.766:
	v_mul_lo_u32 v0, v10, s9
	s_and_b32 s23, 0xffff, s3
	s_delay_alu instid0(SALU_CYCLE_1) | instskip(NEXT) | instid1(VALU_DEP_1)
	s_cmp_lt_i32 s23, 11
	v_ashrrev_i32_e32 v1, 31, v0
	s_delay_alu instid0(VALU_DEP_1)
	v_add_nc_u64_e32 v[0:1], s[6:7], v[0:1]
	s_cbranch_scc1 .LBB30_773
; %bb.767:
	s_cmp_gt_i32 s23, 25
	s_cbranch_scc0 .LBB30_774
; %bb.768:
	s_cmp_gt_i32 s23, 28
	s_cbranch_scc0 .LBB30_775
	;; [unrolled: 3-line block ×4, first 2 shown]
; %bb.771:
	s_cmp_eq_u32 s23, 46
	s_cbranch_scc0 .LBB30_782
; %bb.772:
	s_wait_loadcnt 0x0
	global_load_b32 v2, v[0:1], off
	s_mov_b32 s24, 0
	s_mov_b32 s26, -1
	s_wait_loadcnt 0x0
	v_lshlrev_b32_e32 v2, 16, v2
	s_delay_alu instid0(VALU_DEP_1)
	v_cvt_i32_f32_e32 v2, v2
	s_branch .LBB30_784
.LBB30_773:
	s_mov_b32 s23, -1
	s_mov_b32 s24, s0
                                        ; implicit-def: $vgpr2
	s_branch .LBB30_843
.LBB30_774:
	s_mov_b32 s27, -1
	s_mov_b32 s24, s0
                                        ; implicit-def: $vgpr2
	s_branch .LBB30_811
.LBB30_775:
	s_mov_b32 s27, -1
	s_mov_b32 s24, s0
                                        ; implicit-def: $vgpr2
	s_branch .LBB30_794
.LBB30_776:
	s_mov_b32 s27, -1
	s_mov_b32 s24, s0
                                        ; implicit-def: $vgpr2
	s_branch .LBB30_789
.LBB30_777:
	s_and_not1_saveexec_b32 s28, s28
	s_cbranch_execz .LBB30_672
.LBB30_778:
	v_add_f32_e32 v2, 0x46000000, v3
	s_and_not1_b32 s27, s27, exec_lo
	s_delay_alu instid0(VALU_DEP_1) | instskip(NEXT) | instid1(VALU_DEP_1)
	v_and_b32_e32 v2, 0xff, v2
	v_cmp_ne_u32_e32 vcc_lo, 0, v2
	s_and_b32 s29, vcc_lo, exec_lo
	s_delay_alu instid0(SALU_CYCLE_1)
	s_or_b32 s27, s27, s29
	s_or_b32 exec_lo, exec_lo, s28
	v_mov_b32_e32 v4, 0
	s_and_saveexec_b32 s28, s27
	s_cbranch_execnz .LBB30_673
	s_branch .LBB30_674
.LBB30_779:
	s_mov_b32 s27, -1
	s_mov_b32 s24, s0
	s_branch .LBB30_783
.LBB30_780:
	s_and_not1_saveexec_b32 s28, s28
	s_cbranch_execz .LBB30_685
.LBB30_781:
	v_add_f32_e32 v2, 0x42800000, v3
	s_and_not1_b32 s27, s27, exec_lo
	s_delay_alu instid0(VALU_DEP_1) | instskip(NEXT) | instid1(VALU_DEP_1)
	v_and_b32_e32 v2, 0xff, v2
	v_cmp_ne_u32_e32 vcc_lo, 0, v2
	s_and_b32 s29, vcc_lo, exec_lo
	s_delay_alu instid0(SALU_CYCLE_1)
	s_or_b32 s27, s27, s29
	s_or_b32 exec_lo, exec_lo, s28
	v_mov_b32_e32 v4, 0
	s_and_saveexec_b32 s28, s27
	s_cbranch_execnz .LBB30_686
	s_branch .LBB30_687
.LBB30_782:
	s_mov_b32 s24, -1
.LBB30_783:
                                        ; implicit-def: $vgpr2
.LBB30_784:
	s_and_b32 vcc_lo, exec_lo, s27
	s_cbranch_vccz .LBB30_788
; %bb.785:
	s_cmp_eq_u32 s23, 44
	s_cbranch_scc0 .LBB30_787
; %bb.786:
	s_wait_loadcnt 0x0
	global_load_u8 v2, v[0:1], off
	s_mov_b32 s24, 0
	s_mov_b32 s26, -1
	s_wait_loadcnt 0x0
	v_lshlrev_b32_e32 v3, 23, v2
	v_cmp_ne_u32_e32 vcc_lo, 0, v2
	s_delay_alu instid0(VALU_DEP_2) | instskip(NEXT) | instid1(VALU_DEP_1)
	v_cvt_i32_f32_e32 v3, v3
	v_cndmask_b32_e32 v2, 0, v3, vcc_lo
	s_branch .LBB30_788
.LBB30_787:
	s_mov_b32 s24, -1
                                        ; implicit-def: $vgpr2
.LBB30_788:
	s_mov_b32 s27, 0
.LBB30_789:
	s_delay_alu instid0(SALU_CYCLE_1)
	s_and_b32 vcc_lo, exec_lo, s27
	s_cbranch_vccz .LBB30_793
; %bb.790:
	s_cmp_eq_u32 s23, 29
	s_cbranch_scc0 .LBB30_792
; %bb.791:
	s_wait_loadcnt 0x0
	global_load_b64 v[2:3], v[0:1], off
	s_mov_b32 s24, 0
	s_mov_b32 s26, -1
	s_branch .LBB30_793
.LBB30_792:
	s_mov_b32 s24, -1
                                        ; implicit-def: $vgpr2
.LBB30_793:
	s_mov_b32 s27, 0
.LBB30_794:
	s_delay_alu instid0(SALU_CYCLE_1)
	s_and_b32 vcc_lo, exec_lo, s27
	s_cbranch_vccz .LBB30_810
; %bb.795:
	s_cmp_lt_i32 s23, 27
	s_cbranch_scc1 .LBB30_798
; %bb.796:
	s_cmp_gt_i32 s23, 27
	s_cbranch_scc0 .LBB30_799
; %bb.797:
	s_wait_loadcnt 0x0
	global_load_b32 v2, v[0:1], off
	s_mov_b32 s26, 0
	s_branch .LBB30_800
.LBB30_798:
	s_mov_b32 s26, -1
                                        ; implicit-def: $vgpr2
	s_branch .LBB30_803
.LBB30_799:
	s_mov_b32 s26, -1
                                        ; implicit-def: $vgpr2
.LBB30_800:
	s_delay_alu instid0(SALU_CYCLE_1)
	s_and_not1_b32 vcc_lo, exec_lo, s26
	s_cbranch_vccnz .LBB30_802
; %bb.801:
	s_wait_loadcnt 0x0
	global_load_u16 v2, v[0:1], off
.LBB30_802:
	s_mov_b32 s26, 0
.LBB30_803:
	s_delay_alu instid0(SALU_CYCLE_1)
	s_and_not1_b32 vcc_lo, exec_lo, s26
	s_cbranch_vccnz .LBB30_809
; %bb.804:
	s_wait_loadcnt 0x0
	global_load_u8 v3, v[0:1], off
	s_mov_b32 s27, 0
	s_mov_b32 s26, exec_lo
	s_wait_loadcnt 0x0
	v_cmpx_lt_i16_e32 0x7f, v3
	s_xor_b32 s26, exec_lo, s26
	s_cbranch_execz .LBB30_821
; %bb.805:
	v_cmp_ne_u16_e32 vcc_lo, 0x80, v3
	s_and_b32 s27, vcc_lo, exec_lo
	s_and_not1_saveexec_b32 s26, s26
	s_cbranch_execnz .LBB30_822
.LBB30_806:
	s_or_b32 exec_lo, exec_lo, s26
	v_mov_b32_e32 v2, 0
	s_and_saveexec_b32 s26, s27
	s_cbranch_execz .LBB30_808
.LBB30_807:
	v_and_b32_e32 v2, 0xffff, v3
	s_delay_alu instid0(VALU_DEP_1) | instskip(SKIP_1) | instid1(VALU_DEP_2)
	v_and_b32_e32 v4, 7, v2
	v_bfe_u32 v7, v2, 3, 4
	v_clz_i32_u32_e32 v5, v4
	s_delay_alu instid0(VALU_DEP_2) | instskip(NEXT) | instid1(VALU_DEP_2)
	v_cmp_eq_u32_e32 vcc_lo, 0, v7
	v_min_u32_e32 v5, 32, v5
	s_delay_alu instid0(VALU_DEP_1) | instskip(NEXT) | instid1(VALU_DEP_1)
	v_subrev_nc_u32_e32 v6, 28, v5
	v_dual_lshlrev_b32 v2, v6, v2 :: v_dual_sub_nc_u32 v5, 29, v5
	s_delay_alu instid0(VALU_DEP_1) | instskip(NEXT) | instid1(VALU_DEP_1)
	v_dual_lshlrev_b32 v3, 24, v3 :: v_dual_bitop2_b32 v2, 7, v2 bitop3:0x40
	v_dual_cndmask_b32 v5, v7, v5 :: v_dual_cndmask_b32 v2, v4, v2
	s_delay_alu instid0(VALU_DEP_2) | instskip(NEXT) | instid1(VALU_DEP_2)
	v_and_b32_e32 v3, 0x80000000, v3
	v_lshl_add_u32 v4, v5, 23, 0x3b800000
	s_delay_alu instid0(VALU_DEP_3) | instskip(NEXT) | instid1(VALU_DEP_1)
	v_lshlrev_b32_e32 v2, 20, v2
	v_or3_b32 v2, v3, v4, v2
	s_delay_alu instid0(VALU_DEP_1)
	v_cvt_i32_f32_e32 v2, v2
.LBB30_808:
	s_or_b32 exec_lo, exec_lo, s26
.LBB30_809:
	s_mov_b32 s26, -1
.LBB30_810:
	s_mov_b32 s27, 0
.LBB30_811:
	s_delay_alu instid0(SALU_CYCLE_1)
	s_and_b32 vcc_lo, exec_lo, s27
	s_cbranch_vccz .LBB30_842
; %bb.812:
	s_cmp_gt_i32 s23, 22
	s_cbranch_scc0 .LBB30_820
; %bb.813:
	s_cmp_lt_i32 s23, 24
	s_cbranch_scc1 .LBB30_823
; %bb.814:
	s_cmp_gt_i32 s23, 24
	s_cbranch_scc0 .LBB30_824
; %bb.815:
	s_wait_loadcnt 0x0
	global_load_u8 v3, v[0:1], off
	s_mov_b32 s26, 0
	s_mov_b32 s25, exec_lo
	s_wait_loadcnt 0x0
	v_cmpx_lt_i16_e32 0x7f, v3
	s_xor_b32 s25, exec_lo, s25
	s_cbranch_execz .LBB30_836
; %bb.816:
	v_cmp_ne_u16_e32 vcc_lo, 0x80, v3
	s_and_b32 s26, vcc_lo, exec_lo
	s_and_not1_saveexec_b32 s25, s25
	s_cbranch_execnz .LBB30_837
.LBB30_817:
	s_or_b32 exec_lo, exec_lo, s25
	v_mov_b32_e32 v2, 0
	s_and_saveexec_b32 s25, s26
	s_cbranch_execz .LBB30_819
.LBB30_818:
	v_and_b32_e32 v2, 0xffff, v3
	s_delay_alu instid0(VALU_DEP_1) | instskip(SKIP_1) | instid1(VALU_DEP_2)
	v_and_b32_e32 v4, 3, v2
	v_bfe_u32 v7, v2, 2, 5
	v_clz_i32_u32_e32 v5, v4
	s_delay_alu instid0(VALU_DEP_2) | instskip(NEXT) | instid1(VALU_DEP_2)
	v_cmp_eq_u32_e32 vcc_lo, 0, v7
	v_min_u32_e32 v5, 32, v5
	s_delay_alu instid0(VALU_DEP_1) | instskip(NEXT) | instid1(VALU_DEP_1)
	v_subrev_nc_u32_e32 v6, 29, v5
	v_dual_lshlrev_b32 v2, v6, v2 :: v_dual_sub_nc_u32 v5, 30, v5
	s_delay_alu instid0(VALU_DEP_1) | instskip(NEXT) | instid1(VALU_DEP_1)
	v_dual_lshlrev_b32 v3, 24, v3 :: v_dual_bitop2_b32 v2, 3, v2 bitop3:0x40
	v_dual_cndmask_b32 v5, v7, v5 :: v_dual_cndmask_b32 v2, v4, v2
	s_delay_alu instid0(VALU_DEP_2) | instskip(NEXT) | instid1(VALU_DEP_2)
	v_and_b32_e32 v3, 0x80000000, v3
	v_lshl_add_u32 v4, v5, 23, 0x37800000
	s_delay_alu instid0(VALU_DEP_3) | instskip(NEXT) | instid1(VALU_DEP_1)
	v_lshlrev_b32_e32 v2, 21, v2
	v_or3_b32 v2, v3, v4, v2
	s_delay_alu instid0(VALU_DEP_1)
	v_cvt_i32_f32_e32 v2, v2
.LBB30_819:
	s_or_b32 exec_lo, exec_lo, s25
	s_mov_b32 s25, 0
	s_branch .LBB30_825
.LBB30_820:
	s_mov_b32 s25, -1
                                        ; implicit-def: $vgpr2
	s_branch .LBB30_831
.LBB30_821:
	s_and_not1_saveexec_b32 s26, s26
	s_cbranch_execz .LBB30_806
.LBB30_822:
	v_cmp_ne_u16_e32 vcc_lo, 0, v3
	s_and_not1_b32 s27, s27, exec_lo
	s_and_b32 s28, vcc_lo, exec_lo
	s_delay_alu instid0(SALU_CYCLE_1)
	s_or_b32 s27, s27, s28
	s_or_b32 exec_lo, exec_lo, s26
	v_mov_b32_e32 v2, 0
	s_and_saveexec_b32 s26, s27
	s_cbranch_execnz .LBB30_807
	s_branch .LBB30_808
.LBB30_823:
	s_mov_b32 s25, -1
                                        ; implicit-def: $vgpr2
	s_branch .LBB30_828
.LBB30_824:
	s_mov_b32 s25, -1
                                        ; implicit-def: $vgpr2
.LBB30_825:
	s_delay_alu instid0(SALU_CYCLE_1)
	s_and_b32 vcc_lo, exec_lo, s25
	s_cbranch_vccz .LBB30_827
; %bb.826:
	s_wait_loadcnt 0x0
	global_load_u8 v2, v[0:1], off
	s_wait_loadcnt 0x0
	v_lshlrev_b32_e32 v2, 24, v2
	s_delay_alu instid0(VALU_DEP_1) | instskip(NEXT) | instid1(VALU_DEP_1)
	v_and_b32_e32 v3, 0x7f000000, v2
	v_clz_i32_u32_e32 v4, v3
	v_cmp_ne_u32_e32 vcc_lo, 0, v3
	v_add_nc_u32_e32 v6, 0x1000000, v3
	s_delay_alu instid0(VALU_DEP_3) | instskip(NEXT) | instid1(VALU_DEP_1)
	v_min_u32_e32 v4, 32, v4
	v_sub_nc_u32_e64 v4, v4, 4 clamp
	s_delay_alu instid0(VALU_DEP_1) | instskip(NEXT) | instid1(VALU_DEP_1)
	v_dual_lshlrev_b32 v5, v4, v3 :: v_dual_lshlrev_b32 v4, 23, v4
	v_lshrrev_b32_e32 v5, 4, v5
	s_delay_alu instid0(VALU_DEP_1) | instskip(NEXT) | instid1(VALU_DEP_1)
	v_dual_sub_nc_u32 v4, v5, v4 :: v_dual_ashrrev_i32 v5, 8, v6
	v_add_nc_u32_e32 v4, 0x3c000000, v4
	s_delay_alu instid0(VALU_DEP_1) | instskip(NEXT) | instid1(VALU_DEP_1)
	v_and_or_b32 v4, 0x7f800000, v5, v4
	v_cndmask_b32_e32 v3, 0, v4, vcc_lo
	s_delay_alu instid0(VALU_DEP_1) | instskip(NEXT) | instid1(VALU_DEP_1)
	v_and_or_b32 v2, 0x80000000, v2, v3
	v_cvt_i32_f32_e32 v2, v2
.LBB30_827:
	s_mov_b32 s25, 0
.LBB30_828:
	s_delay_alu instid0(SALU_CYCLE_1)
	s_and_not1_b32 vcc_lo, exec_lo, s25
	s_cbranch_vccnz .LBB30_830
; %bb.829:
	s_wait_loadcnt 0x0
	global_load_u8 v2, v[0:1], off
	s_wait_loadcnt 0x0
	v_lshlrev_b32_e32 v3, 25, v2
	v_lshlrev_b16 v2, 8, v2
	s_delay_alu instid0(VALU_DEP_1) | instskip(SKIP_1) | instid1(VALU_DEP_2)
	v_and_or_b32 v5, 0x7f00, v2, 0.5
	v_bfe_i32 v2, v2, 0, 16
	v_dual_add_f32 v5, -0.5, v5 :: v_dual_lshrrev_b32 v4, 4, v3
	v_cmp_gt_u32_e32 vcc_lo, 0x8000000, v3
	s_delay_alu instid0(VALU_DEP_2) | instskip(NEXT) | instid1(VALU_DEP_1)
	v_or_b32_e32 v4, 0x70000000, v4
	v_mul_f32_e32 v4, 0x7800000, v4
	s_delay_alu instid0(VALU_DEP_1) | instskip(NEXT) | instid1(VALU_DEP_1)
	v_cndmask_b32_e32 v3, v4, v5, vcc_lo
	v_and_or_b32 v2, 0x80000000, v2, v3
	s_delay_alu instid0(VALU_DEP_1)
	v_cvt_i32_f32_e32 v2, v2
.LBB30_830:
	s_mov_b32 s25, 0
	s_mov_b32 s26, -1
.LBB30_831:
	s_and_not1_b32 vcc_lo, exec_lo, s25
	s_mov_b32 s25, 0
	s_cbranch_vccnz .LBB30_842
; %bb.832:
	s_cmp_gt_i32 s23, 14
	s_cbranch_scc0 .LBB30_835
; %bb.833:
	s_cmp_eq_u32 s23, 15
	s_cbranch_scc0 .LBB30_838
; %bb.834:
	s_wait_loadcnt 0x0
	global_load_u16 v2, v[0:1], off
	s_mov_b32 s24, 0
	s_mov_b32 s26, -1
	s_wait_loadcnt 0x0
	v_lshlrev_b32_e32 v2, 16, v2
	s_delay_alu instid0(VALU_DEP_1)
	v_cvt_i32_f32_e32 v2, v2
	s_branch .LBB30_840
.LBB30_835:
	s_mov_b32 s25, -1
	s_branch .LBB30_839
.LBB30_836:
	s_and_not1_saveexec_b32 s25, s25
	s_cbranch_execz .LBB30_817
.LBB30_837:
	v_cmp_ne_u16_e32 vcc_lo, 0, v3
	s_and_not1_b32 s26, s26, exec_lo
	s_and_b32 s27, vcc_lo, exec_lo
	s_delay_alu instid0(SALU_CYCLE_1)
	s_or_b32 s26, s26, s27
	s_or_b32 exec_lo, exec_lo, s25
	v_mov_b32_e32 v2, 0
	s_and_saveexec_b32 s25, s26
	s_cbranch_execnz .LBB30_818
	s_branch .LBB30_819
.LBB30_838:
	s_mov_b32 s24, -1
.LBB30_839:
                                        ; implicit-def: $vgpr2
.LBB30_840:
	s_and_b32 vcc_lo, exec_lo, s25
	s_mov_b32 s25, 0
	s_cbranch_vccz .LBB30_842
; %bb.841:
	s_cmp_lg_u32 s23, 11
	s_mov_b32 s25, -1
	s_cselect_b32 s23, -1, 0
	s_and_not1_b32 s24, s24, exec_lo
	s_and_b32 s23, s23, exec_lo
	s_delay_alu instid0(SALU_CYCLE_1)
	s_or_b32 s24, s24, s23
.LBB30_842:
	s_mov_b32 s23, 0
.LBB30_843:
	s_and_not1_b32 s28, s0, exec_lo
	s_and_b32 s24, s24, exec_lo
	s_and_b32 s26, s26, exec_lo
	;; [unrolled: 1-line block ×4, first 2 shown]
	s_or_b32 s24, s28, s24
.LBB30_844:
	s_wait_xcnt 0x0
	s_or_b32 exec_lo, exec_lo, s14
	s_delay_alu instid0(SALU_CYCLE_1)
	s_and_not1_b32 s0, s0, exec_lo
	s_and_b32 s14, s24, exec_lo
	s_and_b32 s26, s26, exec_lo
	;; [unrolled: 1-line block ×4, first 2 shown]
	s_or_b32 s0, s0, s14
.LBB30_845:
	s_or_b32 exec_lo, exec_lo, s21
	s_delay_alu instid0(SALU_CYCLE_1)
	s_and_not1_b32 s14, s19, exec_lo
	s_and_b32 s19, s22, exec_lo
	s_and_b32 s0, s0, exec_lo
	s_or_b32 s19, s14, s19
	s_and_not1_b32 s14, s18, exec_lo
	s_and_b32 s23, s26, exec_lo
	s_and_b32 s22, s25, exec_lo
	;; [unrolled: 1-line block ×3, first 2 shown]
	s_or_b32 s18, s14, s0
.LBB30_846:
	s_or_b32 exec_lo, exec_lo, s20
	s_delay_alu instid0(SALU_CYCLE_1)
	s_and_not1_b32 s0, s15, exec_lo
	s_and_b32 s14, s19, exec_lo
	s_and_b32 s19, s22, exec_lo
	s_or_b32 s15, s0, s14
	s_and_not1_b32 s14, s16, exec_lo
	s_and_b32 s16, s18, exec_lo
	s_and_b32 s0, s23, exec_lo
	;; [unrolled: 1-line block ×3, first 2 shown]
	s_or_b32 s16, s14, s16
	s_or_b32 exec_lo, exec_lo, s17
	s_mov_b32 s14, 0
	s_and_saveexec_b32 s17, s16
	s_cbranch_execz .LBB30_258
.LBB30_847:
	s_mov_b32 s14, exec_lo
	s_and_not1_b32 s18, s18, exec_lo
	s_trap 2
	s_or_b32 exec_lo, exec_lo, s17
	s_and_saveexec_b32 s16, s18
	s_delay_alu instid0(SALU_CYCLE_1)
	s_xor_b32 s16, exec_lo, s16
	s_cbranch_execnz .LBB30_259
.LBB30_848:
	s_or_b32 exec_lo, exec_lo, s16
	s_and_saveexec_b32 s16, s19
	s_cbranch_execz .LBB30_894
.LBB30_849:
	s_sext_i32_i16 s17, s3
	s_delay_alu instid0(SALU_CYCLE_1)
	s_cmp_lt_i32 s17, 5
	s_cbranch_scc1 .LBB30_854
; %bb.850:
	s_cmp_lt_i32 s17, 8
	s_cbranch_scc1 .LBB30_855
; %bb.851:
	;; [unrolled: 3-line block ×3, first 2 shown]
	s_cmp_gt_i32 s17, 9
	s_cbranch_scc0 .LBB30_857
; %bb.853:
	s_wait_loadcnt 0x0
	global_load_b64 v[2:3], v[0:1], off
	s_mov_b32 s17, 0
	s_wait_loadcnt 0x0
	v_cvt_i32_f64_e32 v2, v[2:3]
	s_branch .LBB30_858
.LBB30_854:
                                        ; implicit-def: $vgpr2
	s_branch .LBB30_875
.LBB30_855:
                                        ; implicit-def: $vgpr2
	s_branch .LBB30_864
.LBB30_856:
	s_mov_b32 s17, -1
                                        ; implicit-def: $vgpr2
	s_branch .LBB30_861
.LBB30_857:
	s_mov_b32 s17, -1
                                        ; implicit-def: $vgpr2
.LBB30_858:
	s_delay_alu instid0(SALU_CYCLE_1)
	s_and_not1_b32 vcc_lo, exec_lo, s17
	s_cbranch_vccnz .LBB30_860
; %bb.859:
	s_wait_loadcnt 0x0
	global_load_b32 v2, v[0:1], off
	s_wait_loadcnt 0x0
	v_cvt_i32_f32_e32 v2, v2
.LBB30_860:
	s_mov_b32 s17, 0
.LBB30_861:
	s_delay_alu instid0(SALU_CYCLE_1)
	s_and_not1_b32 vcc_lo, exec_lo, s17
	s_cbranch_vccnz .LBB30_863
; %bb.862:
	s_wait_loadcnt 0x0
	global_load_b32 v2, v[0:1], off
	s_wait_loadcnt 0x0
	v_cvt_i16_f16_e32 v2, v2
.LBB30_863:
	s_cbranch_execnz .LBB30_874
.LBB30_864:
	s_sext_i32_i16 s17, s3
	s_delay_alu instid0(SALU_CYCLE_1)
	s_cmp_lt_i32 s17, 6
	s_cbranch_scc1 .LBB30_867
; %bb.865:
	s_cmp_gt_i32 s17, 6
	s_cbranch_scc0 .LBB30_868
; %bb.866:
	s_wait_loadcnt 0x0
	global_load_b64 v[2:3], v[0:1], off
	s_mov_b32 s17, 0
	s_wait_loadcnt 0x0
	v_cvt_i32_f64_e32 v2, v[2:3]
	s_branch .LBB30_869
.LBB30_867:
	s_mov_b32 s17, -1
                                        ; implicit-def: $vgpr2
	s_branch .LBB30_872
.LBB30_868:
	s_mov_b32 s17, -1
                                        ; implicit-def: $vgpr2
.LBB30_869:
	s_delay_alu instid0(SALU_CYCLE_1)
	s_and_not1_b32 vcc_lo, exec_lo, s17
	s_cbranch_vccnz .LBB30_871
; %bb.870:
	s_wait_loadcnt 0x0
	global_load_b32 v2, v[0:1], off
	s_wait_loadcnt 0x0
	v_cvt_i32_f32_e32 v2, v2
.LBB30_871:
	s_mov_b32 s17, 0
.LBB30_872:
	s_delay_alu instid0(SALU_CYCLE_1)
	s_and_not1_b32 vcc_lo, exec_lo, s17
	s_cbranch_vccnz .LBB30_874
; %bb.873:
	s_wait_loadcnt 0x0
	global_load_u16 v2, v[0:1], off
	s_wait_loadcnt 0x0
	v_cvt_i16_f16_e32 v2, v2
.LBB30_874:
	s_cbranch_execnz .LBB30_893
.LBB30_875:
	s_sext_i32_i16 s17, s3
	s_delay_alu instid0(SALU_CYCLE_1)
	s_cmp_lt_i32 s17, 2
	s_cbranch_scc1 .LBB30_879
; %bb.876:
	s_cmp_lt_i32 s17, 3
	s_cbranch_scc1 .LBB30_880
; %bb.877:
	s_cmp_gt_i32 s17, 3
	s_cbranch_scc0 .LBB30_881
; %bb.878:
	s_wait_loadcnt 0x0
	global_load_b64 v[2:3], v[0:1], off
	s_mov_b32 s17, 0
	s_branch .LBB30_882
.LBB30_879:
                                        ; implicit-def: $vgpr2
	s_branch .LBB30_888
.LBB30_880:
	s_mov_b32 s17, -1
                                        ; implicit-def: $vgpr2
	s_branch .LBB30_885
.LBB30_881:
	s_mov_b32 s17, -1
                                        ; implicit-def: $vgpr2
.LBB30_882:
	s_delay_alu instid0(SALU_CYCLE_1)
	s_and_not1_b32 vcc_lo, exec_lo, s17
	s_cbranch_vccnz .LBB30_884
; %bb.883:
	s_wait_loadcnt 0x0
	global_load_b32 v2, v[0:1], off
.LBB30_884:
	s_mov_b32 s17, 0
.LBB30_885:
	s_delay_alu instid0(SALU_CYCLE_1)
	s_and_not1_b32 vcc_lo, exec_lo, s17
	s_cbranch_vccnz .LBB30_887
; %bb.886:
	s_wait_loadcnt 0x0
	global_load_u16 v2, v[0:1], off
.LBB30_887:
	s_cbranch_execnz .LBB30_893
.LBB30_888:
	s_sext_i32_i16 s17, s3
	s_delay_alu instid0(SALU_CYCLE_1)
	s_cmp_gt_i32 s17, 0
	s_mov_b32 s17, 0
	s_cbranch_scc0 .LBB30_890
; %bb.889:
	s_wait_loadcnt 0x0
	global_load_u8 v2, v[0:1], off
	s_branch .LBB30_891
.LBB30_890:
	s_mov_b32 s17, -1
                                        ; implicit-def: $vgpr2
.LBB30_891:
	s_delay_alu instid0(SALU_CYCLE_1)
	s_and_not1_b32 vcc_lo, exec_lo, s17
	s_cbranch_vccnz .LBB30_893
; %bb.892:
	s_wait_loadcnt 0x0
	global_load_u8 v2, v[0:1], off
.LBB30_893:
	s_or_b32 s0, s0, exec_lo
.LBB30_894:
	s_wait_xcnt 0x0
	s_or_b32 exec_lo, exec_lo, s16
	s_mov_b32 s20, 0
	s_mov_b32 s19, 0
                                        ; implicit-def: $sgpr16
                                        ; implicit-def: $sgpr17
                                        ; implicit-def: $vgpr0_vgpr1
	s_and_saveexec_b32 s18, s0
	s_cbranch_execz .LBB30_902
; %bb.895:
	v_mul_lo_u32 v0, v10, s8
	s_wait_loadcnt 0x0
	s_delay_alu instid0(VALU_DEP_2) | instskip(SKIP_2) | instid1(VALU_DEP_1)
	v_and_b32_e32 v2, 0xff, v2
	s_and_b32 s0, s11, 0xff
	s_and_b32 s17, s2, 0xff
	v_cmp_ne_u16_e32 vcc_lo, s0, v2
	s_xor_b32 s16, s13, vcc_lo
	s_delay_alu instid0(VALU_DEP_3) | instskip(SKIP_1) | instid1(VALU_DEP_1)
	v_ashrrev_i32_e32 v1, 31, v0
	s_cmp_lt_i32 s17, 11
	v_add_nc_u64_e32 v[0:1], s[4:5], v[0:1]
	s_cbranch_scc1 .LBB30_905
; %bb.896:
	s_and_b32 s13, 0xffff, s17
	s_mov_b32 s19, -1
	s_cmp_gt_i32 s13, 25
	s_mov_b32 s0, s15
	s_cbranch_scc0 .LBB30_933
; %bb.897:
	s_cmp_gt_i32 s13, 28
	s_mov_b32 s0, s15
	s_cbranch_scc0 .LBB30_917
; %bb.898:
	;; [unrolled: 4-line block ×4, first 2 shown]
	s_cmp_eq_u32 s13, 46
	s_mov_b32 s0, -1
	s_cbranch_scc0 .LBB30_906
; %bb.901:
	v_cndmask_b32_e64 v2, 0, 1.0, s16
	s_mov_b32 s0, 0
	s_mov_b32 s19, 0
	s_delay_alu instid0(VALU_DEP_1) | instskip(NEXT) | instid1(VALU_DEP_1)
	v_bfe_u32 v3, v2, 16, 1
	v_add3_u32 v2, v2, v3, 0x7fff
	s_delay_alu instid0(VALU_DEP_1)
	v_lshrrev_b32_e32 v2, 16, v2
	global_store_b32 v[0:1], v2, off
	s_branch .LBB30_907
.LBB30_902:
	s_or_b32 exec_lo, exec_lo, s18
	s_and_saveexec_b32 s0, s15
	s_cbranch_execnz .LBB30_975
.LBB30_903:
	s_or_b32 exec_lo, exec_lo, s0
	s_and_saveexec_b32 s0, s20
	s_delay_alu instid0(SALU_CYCLE_1)
	s_xor_b32 s0, exec_lo, s0
	s_cbranch_execz .LBB30_976
.LBB30_904:
	s_wait_loadcnt 0x0
	v_cndmask_b32_e64 v2, 0, 1, s16
	global_store_b8 v[0:1], v2, off
	s_wait_xcnt 0x0
	s_or_b32 exec_lo, exec_lo, s0
	s_and_saveexec_b32 s0, s19
	s_delay_alu instid0(SALU_CYCLE_1)
	s_xor_b32 s0, exec_lo, s0
	s_cbranch_execz .LBB30_1014
	s_branch .LBB30_977
.LBB30_905:
	s_mov_b32 s19, -1
	s_mov_b32 s0, s15
	s_branch .LBB30_974
.LBB30_906:
	s_mov_b32 s19, 0
.LBB30_907:
	s_delay_alu instid0(SALU_CYCLE_1)
	s_and_b32 vcc_lo, exec_lo, s19
	s_cbranch_vccz .LBB30_912
; %bb.908:
	s_cmp_eq_u32 s13, 44
	s_mov_b32 s0, -1
	s_cbranch_scc0 .LBB30_912
; %bb.909:
	v_cndmask_b32_e64 v4, 0, 1.0, s16
	s_mov_b32 s19, exec_lo
	s_wait_xcnt 0x0
	s_delay_alu instid0(VALU_DEP_1) | instskip(NEXT) | instid1(VALU_DEP_1)
	v_dual_mov_b32 v3, 0xff :: v_dual_lshrrev_b32 v2, 23, v4
	v_cmpx_ne_u32_e32 0xff, v2
; %bb.910:
	v_and_b32_e32 v3, 0x400000, v4
	v_and_or_b32 v4, 0x3fffff, v4, v2
	s_delay_alu instid0(VALU_DEP_2) | instskip(NEXT) | instid1(VALU_DEP_2)
	v_cmp_ne_u32_e32 vcc_lo, 0, v3
	v_cmp_ne_u32_e64 s0, 0, v4
	s_and_b32 s0, vcc_lo, s0
	s_delay_alu instid0(SALU_CYCLE_1) | instskip(NEXT) | instid1(VALU_DEP_1)
	v_cndmask_b32_e64 v3, 0, 1, s0
	v_add_nc_u32_e32 v3, v2, v3
; %bb.911:
	s_or_b32 exec_lo, exec_lo, s19
	s_mov_b32 s0, 0
	global_store_b8 v[0:1], v3, off
.LBB30_912:
	s_mov_b32 s19, 0
.LBB30_913:
	s_delay_alu instid0(SALU_CYCLE_1)
	s_and_b32 vcc_lo, exec_lo, s19
	s_cbranch_vccz .LBB30_916
; %bb.914:
	s_cmp_eq_u32 s13, 29
	s_mov_b32 s0, -1
	s_cbranch_scc0 .LBB30_916
; %bb.915:
	s_mov_b32 s0, 0
	s_wait_xcnt 0x0
	v_cndmask_b32_e64 v2, 0, 1, s16
	v_mov_b32_e32 v3, s0
	s_mov_b32 s19, 0
	global_store_b64 v[0:1], v[2:3], off
	s_branch .LBB30_917
.LBB30_916:
	s_mov_b32 s19, 0
.LBB30_917:
	s_delay_alu instid0(SALU_CYCLE_1)
	s_and_b32 vcc_lo, exec_lo, s19
	s_cbranch_vccz .LBB30_932
; %bb.918:
	s_cmp_lt_i32 s13, 27
	s_mov_b32 s19, -1
	s_cbranch_scc1 .LBB30_924
; %bb.919:
	s_wait_xcnt 0x0
	v_cndmask_b32_e64 v2, 0, 1, s16
	s_cmp_gt_i32 s13, 27
	s_cbranch_scc0 .LBB30_921
; %bb.920:
	s_mov_b32 s19, 0
	global_store_b32 v[0:1], v2, off
.LBB30_921:
	s_and_not1_b32 vcc_lo, exec_lo, s19
	s_cbranch_vccnz .LBB30_923
; %bb.922:
	global_store_b16 v[0:1], v2, off
.LBB30_923:
	s_mov_b32 s19, 0
.LBB30_924:
	s_delay_alu instid0(SALU_CYCLE_1)
	s_and_not1_b32 vcc_lo, exec_lo, s19
	s_cbranch_vccnz .LBB30_932
; %bb.925:
	s_wait_xcnt 0x0
	v_cndmask_b32_e64 v3, 0, 1.0, s16
	v_mov_b32_e32 v4, 0x80
	s_mov_b32 s19, exec_lo
	s_delay_alu instid0(VALU_DEP_2)
	v_cmpx_gt_u32_e32 0x43800000, v3
	s_cbranch_execz .LBB30_931
; %bb.926:
	s_mov_b32 s21, exec_lo
                                        ; implicit-def: $vgpr2
	v_cmpx_lt_u32_e32 0x3bffffff, v3
	s_xor_b32 s21, exec_lo, s21
	s_cbranch_execz .LBB30_1029
; %bb.927:
	v_bfe_u32 v2, v3, 20, 1
	s_mov_b32 s20, exec_lo
	s_delay_alu instid0(VALU_DEP_1) | instskip(NEXT) | instid1(VALU_DEP_1)
	v_add3_u32 v2, v3, v2, 0x487ffff
                                        ; implicit-def: $vgpr3
	v_lshrrev_b32_e32 v2, 20, v2
	s_and_not1_saveexec_b32 s21, s21
	s_cbranch_execnz .LBB30_1030
.LBB30_928:
	s_or_b32 exec_lo, exec_lo, s21
	v_mov_b32_e32 v4, 0
	s_and_saveexec_b32 s21, s20
.LBB30_929:
	v_mov_b32_e32 v4, v2
.LBB30_930:
	s_or_b32 exec_lo, exec_lo, s21
.LBB30_931:
	s_delay_alu instid0(SALU_CYCLE_1)
	s_or_b32 exec_lo, exec_lo, s19
	global_store_b8 v[0:1], v4, off
.LBB30_932:
	s_mov_b32 s19, 0
.LBB30_933:
	s_delay_alu instid0(SALU_CYCLE_1)
	s_and_b32 vcc_lo, exec_lo, s19
	s_mov_b32 s19, 0
	s_cbranch_vccz .LBB30_973
; %bb.934:
	s_cmp_gt_i32 s13, 22
	s_mov_b32 s20, -1
	s_cbranch_scc0 .LBB30_966
; %bb.935:
	s_cmp_lt_i32 s13, 24
	s_cbranch_scc1 .LBB30_955
; %bb.936:
	s_cmp_gt_i32 s13, 24
	s_cbranch_scc0 .LBB30_944
; %bb.937:
	s_wait_xcnt 0x0
	v_cndmask_b32_e64 v3, 0, 1.0, s16
	v_mov_b32_e32 v4, 0x80
	s_mov_b32 s20, exec_lo
	s_delay_alu instid0(VALU_DEP_2)
	v_cmpx_gt_u32_e32 0x47800000, v3
	s_cbranch_execz .LBB30_943
; %bb.938:
	s_mov_b32 s21, 0
	s_mov_b32 s22, exec_lo
                                        ; implicit-def: $vgpr2
	v_cmpx_lt_u32_e32 0x37ffffff, v3
	s_xor_b32 s22, exec_lo, s22
	s_cbranch_execz .LBB30_1150
; %bb.939:
	v_bfe_u32 v2, v3, 21, 1
	s_mov_b32 s21, exec_lo
	s_delay_alu instid0(VALU_DEP_1) | instskip(NEXT) | instid1(VALU_DEP_1)
	v_add3_u32 v2, v3, v2, 0x88fffff
                                        ; implicit-def: $vgpr3
	v_lshrrev_b32_e32 v2, 21, v2
	s_and_not1_saveexec_b32 s22, s22
	s_cbranch_execnz .LBB30_1151
.LBB30_940:
	s_or_b32 exec_lo, exec_lo, s22
	v_mov_b32_e32 v4, 0
	s_and_saveexec_b32 s22, s21
.LBB30_941:
	v_mov_b32_e32 v4, v2
.LBB30_942:
	s_or_b32 exec_lo, exec_lo, s22
.LBB30_943:
	s_delay_alu instid0(SALU_CYCLE_1)
	s_or_b32 exec_lo, exec_lo, s20
	s_mov_b32 s20, 0
	global_store_b8 v[0:1], v4, off
.LBB30_944:
	s_and_b32 vcc_lo, exec_lo, s20
	s_cbranch_vccz .LBB30_954
; %bb.945:
	s_wait_xcnt 0x0
	v_cndmask_b32_e64 v3, 0, 1.0, s16
	s_mov_b32 s20, exec_lo
                                        ; implicit-def: $vgpr2
	s_delay_alu instid0(VALU_DEP_1)
	v_cmpx_gt_u32_e32 0x43f00000, v3
	s_xor_b32 s20, exec_lo, s20
	s_cbranch_execz .LBB30_951
; %bb.946:
	s_mov_b32 s21, exec_lo
                                        ; implicit-def: $vgpr2
	v_cmpx_lt_u32_e32 0x3c7fffff, v3
	s_xor_b32 s21, exec_lo, s21
; %bb.947:
	v_bfe_u32 v2, v3, 20, 1
	s_delay_alu instid0(VALU_DEP_1) | instskip(NEXT) | instid1(VALU_DEP_1)
	v_add3_u32 v2, v3, v2, 0x407ffff
	v_and_b32_e32 v3, 0xff00000, v2
	v_lshrrev_b32_e32 v2, 20, v2
	s_delay_alu instid0(VALU_DEP_2) | instskip(NEXT) | instid1(VALU_DEP_2)
	v_cmp_ne_u32_e32 vcc_lo, 0x7f00000, v3
                                        ; implicit-def: $vgpr3
	v_cndmask_b32_e32 v2, 0x7e, v2, vcc_lo
; %bb.948:
	s_and_not1_saveexec_b32 s21, s21
; %bb.949:
	v_add_f32_e32 v2, 0x46800000, v3
; %bb.950:
	s_or_b32 exec_lo, exec_lo, s21
                                        ; implicit-def: $vgpr3
.LBB30_951:
	s_and_not1_saveexec_b32 s20, s20
; %bb.952:
	v_mov_b32_e32 v2, 0x7f
	v_cmp_lt_u32_e32 vcc_lo, 0x7f800000, v3
	s_delay_alu instid0(VALU_DEP_2)
	v_cndmask_b32_e32 v2, 0x7e, v2, vcc_lo
; %bb.953:
	s_or_b32 exec_lo, exec_lo, s20
	global_store_b8 v[0:1], v2, off
.LBB30_954:
	s_mov_b32 s20, 0
.LBB30_955:
	s_delay_alu instid0(SALU_CYCLE_1)
	s_and_not1_b32 vcc_lo, exec_lo, s20
	s_cbranch_vccnz .LBB30_965
; %bb.956:
	s_wait_xcnt 0x0
	v_cndmask_b32_e64 v3, 0, 1.0, s16
	s_mov_b32 s20, exec_lo
                                        ; implicit-def: $vgpr2
	s_delay_alu instid0(VALU_DEP_1)
	v_cmpx_gt_u32_e32 0x47800000, v3
	s_xor_b32 s20, exec_lo, s20
	s_cbranch_execz .LBB30_962
; %bb.957:
	s_mov_b32 s21, exec_lo
                                        ; implicit-def: $vgpr2
	v_cmpx_lt_u32_e32 0x387fffff, v3
	s_xor_b32 s21, exec_lo, s21
; %bb.958:
	v_bfe_u32 v2, v3, 21, 1
	s_delay_alu instid0(VALU_DEP_1) | instskip(NEXT) | instid1(VALU_DEP_1)
	v_add3_u32 v2, v3, v2, 0x80fffff
                                        ; implicit-def: $vgpr3
	v_lshrrev_b32_e32 v2, 21, v2
; %bb.959:
	s_and_not1_saveexec_b32 s21, s21
; %bb.960:
	v_add_f32_e32 v2, 0x43000000, v3
; %bb.961:
	s_or_b32 exec_lo, exec_lo, s21
                                        ; implicit-def: $vgpr3
.LBB30_962:
	s_and_not1_saveexec_b32 s20, s20
; %bb.963:
	v_mov_b32_e32 v2, 0x7f
	v_cmp_lt_u32_e32 vcc_lo, 0x7f800000, v3
	s_delay_alu instid0(VALU_DEP_2)
	v_cndmask_b32_e32 v2, 0x7c, v2, vcc_lo
; %bb.964:
	s_or_b32 exec_lo, exec_lo, s20
	global_store_b8 v[0:1], v2, off
.LBB30_965:
	s_mov_b32 s20, 0
.LBB30_966:
	s_delay_alu instid0(SALU_CYCLE_1)
	s_and_not1_b32 vcc_lo, exec_lo, s20
	s_mov_b32 s20, 0
	s_cbranch_vccnz .LBB30_974
; %bb.967:
	s_cmp_gt_i32 s13, 14
	s_mov_b32 s20, -1
	s_cbranch_scc0 .LBB30_971
; %bb.968:
	s_cmp_eq_u32 s13, 15
	s_mov_b32 s0, -1
	s_cbranch_scc0 .LBB30_970
; %bb.969:
	s_wait_xcnt 0x0
	v_cndmask_b32_e64 v2, 0, 1.0, s16
	s_mov_b32 s0, 0
	s_delay_alu instid0(VALU_DEP_1) | instskip(NEXT) | instid1(VALU_DEP_1)
	v_bfe_u32 v3, v2, 16, 1
	v_add3_u32 v2, v2, v3, 0x7fff
	global_store_d16_hi_b16 v[0:1], v2, off
.LBB30_970:
	s_mov_b32 s20, 0
.LBB30_971:
	s_delay_alu instid0(SALU_CYCLE_1)
	s_and_b32 vcc_lo, exec_lo, s20
	s_mov_b32 s20, 0
	s_cbranch_vccz .LBB30_974
; %bb.972:
	s_cmp_lg_u32 s13, 11
	s_mov_b32 s20, -1
	s_cselect_b32 s13, -1, 0
	s_and_not1_b32 s0, s0, exec_lo
	s_and_b32 s13, s13, exec_lo
	s_delay_alu instid0(SALU_CYCLE_1)
	s_or_b32 s0, s0, s13
	s_branch .LBB30_974
.LBB30_973:
	s_mov_b32 s20, 0
.LBB30_974:
	s_and_not1_b32 s13, s15, exec_lo
	s_and_b32 s0, s0, exec_lo
	s_and_b32 s19, s19, exec_lo
	;; [unrolled: 1-line block ×3, first 2 shown]
	s_or_b32 s15, s13, s0
	s_wait_xcnt 0x0
	s_or_b32 exec_lo, exec_lo, s18
	s_and_saveexec_b32 s0, s15
	s_cbranch_execz .LBB30_903
.LBB30_975:
	s_or_b32 s14, s14, exec_lo
	s_and_not1_b32 s20, s20, exec_lo
	s_trap 2
	s_or_b32 exec_lo, exec_lo, s0
	s_and_saveexec_b32 s0, s20
	s_delay_alu instid0(SALU_CYCLE_1)
	s_xor_b32 s0, exec_lo, s0
	s_cbranch_execnz .LBB30_904
.LBB30_976:
	s_or_b32 exec_lo, exec_lo, s0
	s_and_saveexec_b32 s0, s19
	s_delay_alu instid0(SALU_CYCLE_1)
	s_xor_b32 s0, exec_lo, s0
	s_cbranch_execz .LBB30_1014
.LBB30_977:
	s_sext_i32_i16 s15, s17
	s_mov_b32 s13, -1
	s_cmp_lt_i32 s15, 5
	s_cbranch_scc1 .LBB30_998
; %bb.978:
	s_cmp_lt_i32 s15, 8
	s_cbranch_scc1 .LBB30_988
; %bb.979:
	;; [unrolled: 3-line block ×3, first 2 shown]
	s_cmp_gt_i32 s15, 9
	s_cbranch_scc0 .LBB30_982
; %bb.981:
	s_wait_loadcnt 0x0
	v_cndmask_b32_e64 v2, 0, 1, s16
	v_mov_b32_e32 v4, 0
	s_mov_b32 s13, 0
	s_delay_alu instid0(VALU_DEP_2) | instskip(NEXT) | instid1(VALU_DEP_2)
	v_cvt_f64_u32_e32 v[2:3], v2
	v_mov_b32_e32 v5, v4
	global_store_b128 v[0:1], v[2:5], off
.LBB30_982:
	s_and_not1_b32 vcc_lo, exec_lo, s13
	s_cbranch_vccnz .LBB30_984
; %bb.983:
	s_wait_loadcnt 0x0
	v_cndmask_b32_e64 v2, 0, 1.0, s16
	v_mov_b32_e32 v3, 0
	global_store_b64 v[0:1], v[2:3], off
.LBB30_984:
	s_mov_b32 s13, 0
.LBB30_985:
	s_delay_alu instid0(SALU_CYCLE_1)
	s_and_not1_b32 vcc_lo, exec_lo, s13
	s_cbranch_vccnz .LBB30_987
; %bb.986:
	s_wait_loadcnt 0x0
	v_cndmask_b32_e64 v2, 0, 1.0, s16
	s_delay_alu instid0(VALU_DEP_1) | instskip(NEXT) | instid1(VALU_DEP_1)
	v_cvt_f16_f32_e32 v2, v2
	v_and_b32_e32 v2, 0xffff, v2
	global_store_b32 v[0:1], v2, off
.LBB30_987:
	s_mov_b32 s13, 0
.LBB30_988:
	s_delay_alu instid0(SALU_CYCLE_1)
	s_and_not1_b32 vcc_lo, exec_lo, s13
	s_cbranch_vccnz .LBB30_997
; %bb.989:
	s_sext_i32_i16 s15, s17
	s_mov_b32 s13, -1
	s_cmp_lt_i32 s15, 6
	s_cbranch_scc1 .LBB30_995
; %bb.990:
	s_cmp_gt_i32 s15, 6
	s_cbranch_scc0 .LBB30_992
; %bb.991:
	s_wait_loadcnt 0x0
	v_cndmask_b32_e64 v2, 0, 1, s16
	s_mov_b32 s13, 0
	s_delay_alu instid0(VALU_DEP_1)
	v_cvt_f64_u32_e32 v[2:3], v2
	global_store_b64 v[0:1], v[2:3], off
.LBB30_992:
	s_and_not1_b32 vcc_lo, exec_lo, s13
	s_cbranch_vccnz .LBB30_994
; %bb.993:
	s_wait_loadcnt 0x0
	v_cndmask_b32_e64 v2, 0, 1.0, s16
	global_store_b32 v[0:1], v2, off
.LBB30_994:
	s_mov_b32 s13, 0
.LBB30_995:
	s_delay_alu instid0(SALU_CYCLE_1)
	s_and_not1_b32 vcc_lo, exec_lo, s13
	s_cbranch_vccnz .LBB30_997
; %bb.996:
	s_wait_loadcnt 0x0
	v_cndmask_b32_e64 v2, 0, 1.0, s16
	s_delay_alu instid0(VALU_DEP_1)
	v_cvt_f16_f32_e32 v2, v2
	global_store_b16 v[0:1], v2, off
.LBB30_997:
	s_mov_b32 s13, 0
.LBB30_998:
	s_delay_alu instid0(SALU_CYCLE_1)
	s_and_not1_b32 vcc_lo, exec_lo, s13
	s_cbranch_vccnz .LBB30_1014
; %bb.999:
	s_sext_i32_i16 s15, s17
	s_mov_b32 s13, -1
	s_cmp_lt_i32 s15, 2
	s_cbranch_scc1 .LBB30_1009
; %bb.1000:
	s_cmp_lt_i32 s15, 3
	s_cbranch_scc1 .LBB30_1006
; %bb.1001:
	s_cmp_gt_i32 s15, 3
	s_cbranch_scc0 .LBB30_1003
; %bb.1002:
	s_mov_b32 s13, 0
	s_wait_loadcnt 0x0
	v_cndmask_b32_e64 v2, 0, 1, s16
	v_mov_b32_e32 v3, s13
	global_store_b64 v[0:1], v[2:3], off
.LBB30_1003:
	s_and_not1_b32 vcc_lo, exec_lo, s13
	s_cbranch_vccnz .LBB30_1005
; %bb.1004:
	s_wait_loadcnt 0x0
	v_cndmask_b32_e64 v2, 0, 1, s16
	global_store_b32 v[0:1], v2, off
.LBB30_1005:
	s_mov_b32 s13, 0
.LBB30_1006:
	s_delay_alu instid0(SALU_CYCLE_1)
	s_and_not1_b32 vcc_lo, exec_lo, s13
	s_cbranch_vccnz .LBB30_1008
; %bb.1007:
	s_wait_loadcnt 0x0
	v_cndmask_b32_e64 v2, 0, 1, s16
	global_store_b16 v[0:1], v2, off
.LBB30_1008:
	s_mov_b32 s13, 0
.LBB30_1009:
	s_delay_alu instid0(SALU_CYCLE_1)
	s_and_not1_b32 vcc_lo, exec_lo, s13
	s_cbranch_vccnz .LBB30_1014
; %bb.1010:
	s_wait_loadcnt 0x0
	v_cndmask_b32_e64 v2, 0, 1, s16
	s_sext_i32_i16 s13, s17
	s_delay_alu instid0(SALU_CYCLE_1)
	s_cmp_gt_i32 s13, 0
	s_mov_b32 s13, -1
	s_cbranch_scc0 .LBB30_1012
; %bb.1011:
	s_mov_b32 s13, 0
	global_store_b8 v[0:1], v2, off
.LBB30_1012:
	s_and_not1_b32 vcc_lo, exec_lo, s13
	s_cbranch_vccnz .LBB30_1014
; %bb.1013:
	global_store_b8 v[0:1], v2, off
.LBB30_1014:
	s_wait_xcnt 0x0
	s_or_b32 exec_lo, exec_lo, s0
	s_delay_alu instid0(SALU_CYCLE_1)
	s_and_b32 s13, s14, exec_lo
                                        ; implicit-def: $vgpr10
.LBB30_1015:
	s_or_saveexec_b32 s12, s12
	s_mov_b32 s0, 0
                                        ; implicit-def: $sgpr15
                                        ; implicit-def: $sgpr14
                                        ; implicit-def: $vgpr0_vgpr1
	s_xor_b32 exec_lo, exec_lo, s12
	s_cbranch_execz .LBB30_1949
; %bb.1016:
	v_mul_lo_u32 v0, s9, v10
	s_and_b32 s0, 0xffff, s3
	s_delay_alu instid0(SALU_CYCLE_1) | instskip(NEXT) | instid1(VALU_DEP_1)
	s_cmp_lt_i32 s0, 11
	v_ashrrev_i32_e32 v1, 31, v0
	s_wait_loadcnt 0x0
	s_delay_alu instid0(VALU_DEP_1)
	v_add_nc_u64_e32 v[2:3], s[6:7], v[0:1]
	s_cbranch_scc1 .LBB30_1023
; %bb.1017:
	s_cmp_gt_i32 s0, 25
	s_mov_b32 s3, 0
	s_cbranch_scc0 .LBB30_1025
; %bb.1018:
	s_cmp_gt_i32 s0, 28
	s_cbranch_scc0 .LBB30_1026
; %bb.1019:
	s_cmp_gt_i32 s0, 43
	s_cbranch_scc0 .LBB30_1027
; %bb.1020:
	s_cmp_gt_i32 s0, 45
	s_cbranch_scc0 .LBB30_1028
; %bb.1021:
	s_cmp_eq_u32 s0, 46
	s_mov_b32 s15, 0
	s_cbranch_scc0 .LBB30_1031
; %bb.1022:
	global_load_b32 v1, v[2:3], off
	s_mov_b32 s14, -1
	s_wait_loadcnt 0x0
	v_lshlrev_b32_e32 v1, 16, v1
	s_delay_alu instid0(VALU_DEP_1)
	v_cvt_i32_f32_e32 v6, v1
	s_branch .LBB30_1033
.LBB30_1023:
	s_mov_b32 s14, 0
	s_mov_b32 s1, s13
                                        ; implicit-def: $vgpr6
	s_cbranch_execnz .LBB30_1091
.LBB30_1024:
	s_and_not1_b32 vcc_lo, exec_lo, s14
	s_cbranch_vccz .LBB30_1136
	s_branch .LBB30_1947
.LBB30_1025:
	s_mov_b32 s14, 0
                                        ; implicit-def: $vgpr6
	s_cbranch_execnz .LBB30_1058
	s_branch .LBB30_1087
.LBB30_1026:
	s_mov_b32 s14, 0
                                        ; implicit-def: $vgpr6
	s_cbranch_execz .LBB30_1057
	s_branch .LBB30_1042
.LBB30_1027:
	s_mov_b32 s14, 0
                                        ; implicit-def: $vgpr6
	s_cbranch_execnz .LBB30_1038
	s_branch .LBB30_1041
.LBB30_1028:
	s_mov_b32 s15, -1
	s_branch .LBB30_1032
.LBB30_1029:
	s_and_not1_saveexec_b32 s21, s21
	s_cbranch_execz .LBB30_928
.LBB30_1030:
	v_add_f32_e32 v2, 0x46000000, v3
	s_and_not1_b32 s20, s20, exec_lo
	s_delay_alu instid0(VALU_DEP_1) | instskip(NEXT) | instid1(VALU_DEP_1)
	v_and_b32_e32 v2, 0xff, v2
	v_cmp_ne_u32_e32 vcc_lo, 0, v2
	s_and_b32 s22, vcc_lo, exec_lo
	s_delay_alu instid0(SALU_CYCLE_1)
	s_or_b32 s20, s20, s22
	s_or_b32 exec_lo, exec_lo, s21
	v_mov_b32_e32 v4, 0
	s_and_saveexec_b32 s21, s20
	s_cbranch_execnz .LBB30_929
	s_branch .LBB30_930
.LBB30_1031:
	s_mov_b32 s1, -1
.LBB30_1032:
	s_mov_b32 s14, 0
                                        ; implicit-def: $vgpr6
.LBB30_1033:
	s_and_b32 vcc_lo, exec_lo, s15
	s_cbranch_vccz .LBB30_1036
; %bb.1034:
	s_cmp_eq_u32 s0, 44
	s_cbranch_scc0 .LBB30_1037
; %bb.1035:
	global_load_u8 v1, v[2:3], off
	s_mov_b32 s1, 0
	s_mov_b32 s14, -1
	s_wait_loadcnt 0x0
	v_lshlrev_b32_e32 v4, 23, v1
	v_cmp_ne_u32_e32 vcc_lo, 0, v1
	s_delay_alu instid0(VALU_DEP_2) | instskip(NEXT) | instid1(VALU_DEP_1)
	v_cvt_i32_f32_e32 v4, v4
	v_cndmask_b32_e32 v6, 0, v4, vcc_lo
.LBB30_1036:
	s_branch .LBB30_1041
.LBB30_1037:
	s_mov_b32 s1, -1
                                        ; implicit-def: $vgpr6
	s_branch .LBB30_1041
.LBB30_1038:
	s_cmp_eq_u32 s0, 29
	s_cbranch_scc0 .LBB30_1040
; %bb.1039:
	global_load_b64 v[6:7], v[2:3], off
	s_mov_b32 s1, 0
	s_mov_b32 s14, -1
	s_branch .LBB30_1041
.LBB30_1040:
	s_mov_b32 s1, -1
                                        ; implicit-def: $vgpr6
.LBB30_1041:
	s_branch .LBB30_1057
.LBB30_1042:
	s_cmp_lt_i32 s0, 27
	s_cbranch_scc1 .LBB30_1045
; %bb.1043:
	s_cmp_gt_i32 s0, 27
	s_cbranch_scc0 .LBB30_1046
; %bb.1044:
	s_wait_loadcnt 0x0
	global_load_b32 v6, v[2:3], off
	s_mov_b32 s14, 0
	s_branch .LBB30_1047
.LBB30_1045:
	s_mov_b32 s14, -1
                                        ; implicit-def: $vgpr6
	s_branch .LBB30_1050
.LBB30_1046:
	s_mov_b32 s14, -1
                                        ; implicit-def: $vgpr6
.LBB30_1047:
	s_delay_alu instid0(SALU_CYCLE_1)
	s_and_not1_b32 vcc_lo, exec_lo, s14
	s_cbranch_vccnz .LBB30_1049
; %bb.1048:
	s_wait_loadcnt 0x0
	global_load_u16 v6, v[2:3], off
.LBB30_1049:
	s_mov_b32 s14, 0
.LBB30_1050:
	s_delay_alu instid0(SALU_CYCLE_1)
	s_and_not1_b32 vcc_lo, exec_lo, s14
	s_cbranch_vccnz .LBB30_1056
; %bb.1051:
	global_load_u8 v1, v[2:3], off
	s_mov_b32 s15, 0
	s_mov_b32 s14, exec_lo
	s_wait_loadcnt 0x0
	v_cmpx_lt_i16_e32 0x7f, v1
	s_xor_b32 s14, exec_lo, s14
	s_cbranch_execz .LBB30_1067
; %bb.1052:
	v_cmp_ne_u16_e32 vcc_lo, 0x80, v1
	s_and_b32 s15, vcc_lo, exec_lo
	s_and_not1_saveexec_b32 s14, s14
	s_cbranch_execnz .LBB30_1068
.LBB30_1053:
	s_or_b32 exec_lo, exec_lo, s14
	v_mov_b32_e32 v6, 0
	s_and_saveexec_b32 s14, s15
	s_cbranch_execz .LBB30_1055
.LBB30_1054:
	v_and_b32_e32 v4, 0xffff, v1
	s_delay_alu instid0(VALU_DEP_1) | instskip(SKIP_1) | instid1(VALU_DEP_2)
	v_and_b32_e32 v5, 7, v4
	v_bfe_u32 v8, v4, 3, 4
	v_clz_i32_u32_e32 v6, v5
	s_delay_alu instid0(VALU_DEP_2) | instskip(NEXT) | instid1(VALU_DEP_2)
	v_cmp_eq_u32_e32 vcc_lo, 0, v8
	v_min_u32_e32 v6, 32, v6
	s_delay_alu instid0(VALU_DEP_1) | instskip(NEXT) | instid1(VALU_DEP_1)
	v_subrev_nc_u32_e32 v7, 28, v6
	v_dual_lshlrev_b32 v4, v7, v4 :: v_dual_sub_nc_u32 v6, 29, v6
	s_delay_alu instid0(VALU_DEP_1) | instskip(NEXT) | instid1(VALU_DEP_1)
	v_dual_lshlrev_b32 v1, 24, v1 :: v_dual_bitop2_b32 v4, 7, v4 bitop3:0x40
	v_dual_cndmask_b32 v6, v8, v6, vcc_lo :: v_dual_cndmask_b32 v4, v5, v4, vcc_lo
	s_delay_alu instid0(VALU_DEP_2) | instskip(NEXT) | instid1(VALU_DEP_2)
	v_and_b32_e32 v1, 0x80000000, v1
	v_lshl_add_u32 v5, v6, 23, 0x3b800000
	s_delay_alu instid0(VALU_DEP_3) | instskip(NEXT) | instid1(VALU_DEP_1)
	v_lshlrev_b32_e32 v4, 20, v4
	v_or3_b32 v1, v1, v5, v4
	s_delay_alu instid0(VALU_DEP_1)
	v_cvt_i32_f32_e32 v6, v1
.LBB30_1055:
	s_or_b32 exec_lo, exec_lo, s14
.LBB30_1056:
	s_mov_b32 s14, -1
.LBB30_1057:
	s_branch .LBB30_1087
.LBB30_1058:
	s_cmp_gt_i32 s0, 22
	s_cbranch_scc0 .LBB30_1066
; %bb.1059:
	s_cmp_lt_i32 s0, 24
	s_cbranch_scc1 .LBB30_1069
; %bb.1060:
	s_cmp_gt_i32 s0, 24
	s_cbranch_scc0 .LBB30_1070
; %bb.1061:
	global_load_u8 v1, v[2:3], off
	s_mov_b32 s14, 0
	s_mov_b32 s3, exec_lo
	s_wait_loadcnt 0x0
	v_cmpx_lt_i16_e32 0x7f, v1
	s_xor_b32 s3, exec_lo, s3
	s_cbranch_execz .LBB30_1081
; %bb.1062:
	v_cmp_ne_u16_e32 vcc_lo, 0x80, v1
	s_and_b32 s14, vcc_lo, exec_lo
	s_and_not1_saveexec_b32 s3, s3
	s_cbranch_execnz .LBB30_1082
.LBB30_1063:
	s_or_b32 exec_lo, exec_lo, s3
	v_mov_b32_e32 v6, 0
	s_and_saveexec_b32 s3, s14
	s_cbranch_execz .LBB30_1065
.LBB30_1064:
	v_and_b32_e32 v4, 0xffff, v1
	s_delay_alu instid0(VALU_DEP_1) | instskip(SKIP_1) | instid1(VALU_DEP_2)
	v_and_b32_e32 v5, 3, v4
	v_bfe_u32 v8, v4, 2, 5
	v_clz_i32_u32_e32 v6, v5
	s_delay_alu instid0(VALU_DEP_2) | instskip(NEXT) | instid1(VALU_DEP_2)
	v_cmp_eq_u32_e32 vcc_lo, 0, v8
	v_min_u32_e32 v6, 32, v6
	s_delay_alu instid0(VALU_DEP_1) | instskip(NEXT) | instid1(VALU_DEP_1)
	v_subrev_nc_u32_e32 v7, 29, v6
	v_dual_lshlrev_b32 v4, v7, v4 :: v_dual_sub_nc_u32 v6, 30, v6
	s_delay_alu instid0(VALU_DEP_1) | instskip(NEXT) | instid1(VALU_DEP_1)
	v_dual_lshlrev_b32 v1, 24, v1 :: v_dual_bitop2_b32 v4, 3, v4 bitop3:0x40
	v_dual_cndmask_b32 v6, v8, v6, vcc_lo :: v_dual_cndmask_b32 v4, v5, v4, vcc_lo
	s_delay_alu instid0(VALU_DEP_2) | instskip(NEXT) | instid1(VALU_DEP_2)
	v_and_b32_e32 v1, 0x80000000, v1
	v_lshl_add_u32 v5, v6, 23, 0x37800000
	s_delay_alu instid0(VALU_DEP_3) | instskip(NEXT) | instid1(VALU_DEP_1)
	v_lshlrev_b32_e32 v4, 21, v4
	v_or3_b32 v1, v1, v5, v4
	s_delay_alu instid0(VALU_DEP_1)
	v_cvt_i32_f32_e32 v6, v1
.LBB30_1065:
	s_or_b32 exec_lo, exec_lo, s3
	s_mov_b32 s3, 0
	s_branch .LBB30_1071
.LBB30_1066:
                                        ; implicit-def: $vgpr6
	s_mov_b32 s3, 0
	s_branch .LBB30_1077
.LBB30_1067:
	s_and_not1_saveexec_b32 s14, s14
	s_cbranch_execz .LBB30_1053
.LBB30_1068:
	v_cmp_ne_u16_e32 vcc_lo, 0, v1
	s_and_not1_b32 s15, s15, exec_lo
	s_and_b32 s16, vcc_lo, exec_lo
	s_delay_alu instid0(SALU_CYCLE_1)
	s_or_b32 s15, s15, s16
	s_or_b32 exec_lo, exec_lo, s14
	v_mov_b32_e32 v6, 0
	s_and_saveexec_b32 s14, s15
	s_cbranch_execnz .LBB30_1054
	s_branch .LBB30_1055
.LBB30_1069:
	s_mov_b32 s3, -1
                                        ; implicit-def: $vgpr6
	s_branch .LBB30_1074
.LBB30_1070:
	s_mov_b32 s3, -1
                                        ; implicit-def: $vgpr6
.LBB30_1071:
	s_delay_alu instid0(SALU_CYCLE_1)
	s_and_b32 vcc_lo, exec_lo, s3
	s_cbranch_vccz .LBB30_1073
; %bb.1072:
	global_load_u8 v1, v[2:3], off
	s_wait_loadcnt 0x0
	v_lshlrev_b32_e32 v1, 24, v1
	s_delay_alu instid0(VALU_DEP_1) | instskip(NEXT) | instid1(VALU_DEP_1)
	v_and_b32_e32 v4, 0x7f000000, v1
	v_clz_i32_u32_e32 v5, v4
	v_cmp_ne_u32_e32 vcc_lo, 0, v4
	v_add_nc_u32_e32 v7, 0x1000000, v4
	s_delay_alu instid0(VALU_DEP_3) | instskip(NEXT) | instid1(VALU_DEP_1)
	v_min_u32_e32 v5, 32, v5
	v_sub_nc_u32_e64 v5, v5, 4 clamp
	s_delay_alu instid0(VALU_DEP_1) | instskip(NEXT) | instid1(VALU_DEP_1)
	v_dual_lshlrev_b32 v6, v5, v4 :: v_dual_lshlrev_b32 v5, 23, v5
	v_lshrrev_b32_e32 v6, 4, v6
	s_delay_alu instid0(VALU_DEP_1) | instskip(NEXT) | instid1(VALU_DEP_1)
	v_dual_sub_nc_u32 v5, v6, v5 :: v_dual_ashrrev_i32 v6, 8, v7
	v_add_nc_u32_e32 v5, 0x3c000000, v5
	s_delay_alu instid0(VALU_DEP_1) | instskip(NEXT) | instid1(VALU_DEP_1)
	v_and_or_b32 v5, 0x7f800000, v6, v5
	v_cndmask_b32_e32 v4, 0, v5, vcc_lo
	s_delay_alu instid0(VALU_DEP_1) | instskip(NEXT) | instid1(VALU_DEP_1)
	v_and_or_b32 v1, 0x80000000, v1, v4
	v_cvt_i32_f32_e32 v6, v1
.LBB30_1073:
	s_mov_b32 s3, 0
.LBB30_1074:
	s_delay_alu instid0(SALU_CYCLE_1)
	s_and_not1_b32 vcc_lo, exec_lo, s3
	s_cbranch_vccnz .LBB30_1076
; %bb.1075:
	global_load_u8 v1, v[2:3], off
	s_wait_loadcnt 0x0
	v_lshlrev_b32_e32 v4, 25, v1
	v_lshlrev_b16 v1, 8, v1
	s_delay_alu instid0(VALU_DEP_1) | instskip(SKIP_1) | instid1(VALU_DEP_2)
	v_and_or_b32 v6, 0x7f00, v1, 0.5
	v_bfe_i32 v1, v1, 0, 16
	v_dual_add_f32 v6, -0.5, v6 :: v_dual_lshrrev_b32 v5, 4, v4
	v_cmp_gt_u32_e32 vcc_lo, 0x8000000, v4
	s_delay_alu instid0(VALU_DEP_2) | instskip(NEXT) | instid1(VALU_DEP_1)
	v_or_b32_e32 v5, 0x70000000, v5
	v_mul_f32_e32 v5, 0x7800000, v5
	s_delay_alu instid0(VALU_DEP_1) | instskip(NEXT) | instid1(VALU_DEP_1)
	v_cndmask_b32_e32 v4, v5, v6, vcc_lo
	v_and_or_b32 v1, 0x80000000, v1, v4
	s_delay_alu instid0(VALU_DEP_1)
	v_cvt_i32_f32_e32 v6, v1
.LBB30_1076:
	s_mov_b32 s14, -1
	s_mov_b32 s3, 0
	s_cbranch_execnz .LBB30_1087
.LBB30_1077:
	s_cmp_gt_i32 s0, 14
	s_cbranch_scc0 .LBB30_1080
; %bb.1078:
	s_cmp_eq_u32 s0, 15
	s_cbranch_scc0 .LBB30_1083
; %bb.1079:
	global_load_u16 v1, v[2:3], off
	s_mov_b32 s1, 0
	s_mov_b32 s14, -1
	s_wait_loadcnt 0x0
	v_lshlrev_b32_e32 v1, 16, v1
	s_delay_alu instid0(VALU_DEP_1)
	v_cvt_i32_f32_e32 v6, v1
	s_branch .LBB30_1085
.LBB30_1080:
	s_mov_b32 s3, -1
	s_branch .LBB30_1084
.LBB30_1081:
	s_and_not1_saveexec_b32 s3, s3
	s_cbranch_execz .LBB30_1063
.LBB30_1082:
	v_cmp_ne_u16_e32 vcc_lo, 0, v1
	s_and_not1_b32 s14, s14, exec_lo
	s_and_b32 s15, vcc_lo, exec_lo
	s_delay_alu instid0(SALU_CYCLE_1)
	s_or_b32 s14, s14, s15
	s_or_b32 exec_lo, exec_lo, s3
	v_mov_b32_e32 v6, 0
	s_and_saveexec_b32 s3, s14
	s_cbranch_execnz .LBB30_1064
	s_branch .LBB30_1065
.LBB30_1083:
	s_mov_b32 s1, -1
.LBB30_1084:
                                        ; implicit-def: $vgpr6
.LBB30_1085:
	s_and_b32 vcc_lo, exec_lo, s3
	s_mov_b32 s3, 0
	s_cbranch_vccz .LBB30_1087
; %bb.1086:
	s_cmp_lg_u32 s0, 11
	s_mov_b32 s3, -1
	s_cselect_b32 s1, -1, 0
.LBB30_1087:
	s_delay_alu instid0(SALU_CYCLE_1)
	s_and_b32 vcc_lo, exec_lo, s1
	s_mov_b32 s1, s13
	s_cbranch_vccnz .LBB30_1148
; %bb.1088:
	s_and_not1_b32 vcc_lo, exec_lo, s3
	s_cbranch_vccnz .LBB30_1090
.LBB30_1089:
	global_load_u8 v1, v[2:3], off
	s_mov_b32 s14, -1
	s_wait_loadcnt 0x0
	v_cmp_ne_u16_e32 vcc_lo, 0, v1
	v_cndmask_b32_e64 v6, 0, 1, vcc_lo
.LBB30_1090:
	s_branch .LBB30_1024
.LBB30_1091:
	s_cmp_lt_i32 s0, 5
	s_cbranch_scc1 .LBB30_1096
; %bb.1092:
	s_cmp_lt_i32 s0, 8
	s_cbranch_scc1 .LBB30_1097
; %bb.1093:
	;; [unrolled: 3-line block ×3, first 2 shown]
	s_cmp_gt_i32 s0, 9
	s_cbranch_scc0 .LBB30_1099
; %bb.1095:
	global_load_b64 v[4:5], v[2:3], off
	s_mov_b32 s3, 0
	s_wait_loadcnt 0x0
	v_cvt_i32_f64_e32 v6, v[4:5]
	s_branch .LBB30_1100
.LBB30_1096:
                                        ; implicit-def: $vgpr6
	s_branch .LBB30_1117
.LBB30_1097:
                                        ; implicit-def: $vgpr6
	s_branch .LBB30_1106
.LBB30_1098:
	s_mov_b32 s3, -1
                                        ; implicit-def: $vgpr6
	s_branch .LBB30_1103
.LBB30_1099:
	s_mov_b32 s3, -1
                                        ; implicit-def: $vgpr6
.LBB30_1100:
	s_delay_alu instid0(SALU_CYCLE_1)
	s_and_not1_b32 vcc_lo, exec_lo, s3
	s_cbranch_vccnz .LBB30_1102
; %bb.1101:
	global_load_b32 v1, v[2:3], off
	s_wait_loadcnt 0x0
	v_cvt_i32_f32_e32 v6, v1
.LBB30_1102:
	s_mov_b32 s3, 0
.LBB30_1103:
	s_delay_alu instid0(SALU_CYCLE_1)
	s_and_not1_b32 vcc_lo, exec_lo, s3
	s_cbranch_vccnz .LBB30_1105
; %bb.1104:
	global_load_b32 v1, v[2:3], off
	s_wait_loadcnt 0x0
	v_cvt_i16_f16_e32 v6, v1
.LBB30_1105:
	s_cbranch_execnz .LBB30_1116
.LBB30_1106:
	s_cmp_lt_i32 s0, 6
	s_cbranch_scc1 .LBB30_1109
; %bb.1107:
	s_cmp_gt_i32 s0, 6
	s_cbranch_scc0 .LBB30_1110
; %bb.1108:
	global_load_b64 v[4:5], v[2:3], off
	s_mov_b32 s3, 0
	s_wait_loadcnt 0x0
	v_cvt_i32_f64_e32 v6, v[4:5]
	s_branch .LBB30_1111
.LBB30_1109:
	s_mov_b32 s3, -1
                                        ; implicit-def: $vgpr6
	s_branch .LBB30_1114
.LBB30_1110:
	s_mov_b32 s3, -1
                                        ; implicit-def: $vgpr6
.LBB30_1111:
	s_delay_alu instid0(SALU_CYCLE_1)
	s_and_not1_b32 vcc_lo, exec_lo, s3
	s_cbranch_vccnz .LBB30_1113
; %bb.1112:
	global_load_b32 v1, v[2:3], off
	s_wait_loadcnt 0x0
	v_cvt_i32_f32_e32 v6, v1
.LBB30_1113:
	s_mov_b32 s3, 0
.LBB30_1114:
	s_delay_alu instid0(SALU_CYCLE_1)
	s_and_not1_b32 vcc_lo, exec_lo, s3
	s_cbranch_vccnz .LBB30_1116
; %bb.1115:
	global_load_u16 v1, v[2:3], off
	s_wait_loadcnt 0x0
	v_cvt_i16_f16_e32 v6, v1
.LBB30_1116:
	s_cbranch_execnz .LBB30_1135
.LBB30_1117:
	s_cmp_lt_i32 s0, 2
	s_cbranch_scc1 .LBB30_1121
; %bb.1118:
	s_cmp_lt_i32 s0, 3
	s_cbranch_scc1 .LBB30_1122
; %bb.1119:
	s_cmp_gt_i32 s0, 3
	s_cbranch_scc0 .LBB30_1123
; %bb.1120:
	s_wait_loadcnt 0x0
	global_load_b64 v[6:7], v[2:3], off
	s_mov_b32 s3, 0
	s_branch .LBB30_1124
.LBB30_1121:
                                        ; implicit-def: $vgpr6
	s_branch .LBB30_1130
.LBB30_1122:
	s_mov_b32 s3, -1
                                        ; implicit-def: $vgpr6
	s_branch .LBB30_1127
.LBB30_1123:
	s_mov_b32 s3, -1
                                        ; implicit-def: $vgpr6
.LBB30_1124:
	s_delay_alu instid0(SALU_CYCLE_1)
	s_and_not1_b32 vcc_lo, exec_lo, s3
	s_cbranch_vccnz .LBB30_1126
; %bb.1125:
	s_wait_loadcnt 0x0
	global_load_b32 v6, v[2:3], off
.LBB30_1126:
	s_mov_b32 s3, 0
.LBB30_1127:
	s_delay_alu instid0(SALU_CYCLE_1)
	s_and_not1_b32 vcc_lo, exec_lo, s3
	s_cbranch_vccnz .LBB30_1129
; %bb.1128:
	s_wait_loadcnt 0x0
	global_load_u16 v6, v[2:3], off
.LBB30_1129:
	s_cbranch_execnz .LBB30_1135
.LBB30_1130:
	s_cmp_gt_i32 s0, 0
	s_mov_b32 s3, 0
	s_cbranch_scc0 .LBB30_1132
; %bb.1131:
	s_wait_loadcnt 0x0
	global_load_u8 v6, v[2:3], off
	s_branch .LBB30_1133
.LBB30_1132:
	s_mov_b32 s3, -1
                                        ; implicit-def: $vgpr6
.LBB30_1133:
	s_delay_alu instid0(SALU_CYCLE_1)
	s_and_not1_b32 vcc_lo, exec_lo, s3
	s_cbranch_vccnz .LBB30_1135
; %bb.1134:
	s_wait_loadcnt 0x0
	global_load_u8 v6, v[2:3], off
.LBB30_1135:
.LBB30_1136:
	s_lshl_b32 s3, s9, 7
	s_cmp_lt_i32 s0, 11
	v_add_nc_u32_e32 v0, s3, v0
	s_delay_alu instid0(VALU_DEP_1) | instskip(SKIP_1) | instid1(VALU_DEP_1)
	v_ashrrev_i32_e32 v1, 31, v0
	s_wait_xcnt 0x0
	v_add_nc_u64_e32 v[2:3], s[6:7], v[0:1]
	s_cbranch_scc1 .LBB30_1143
; %bb.1137:
	s_cmp_gt_i32 s0, 25
	s_mov_b32 s14, 0
	s_cbranch_scc0 .LBB30_1145
; %bb.1138:
	s_cmp_gt_i32 s0, 28
	s_cbranch_scc0 .LBB30_1146
; %bb.1139:
	s_cmp_gt_i32 s0, 43
	s_cbranch_scc0 .LBB30_1147
; %bb.1140:
	s_cmp_gt_i32 s0, 45
	s_cbranch_scc0 .LBB30_1149
; %bb.1141:
	s_cmp_eq_u32 s0, 46
	s_mov_b32 s16, 0
	s_cbranch_scc0 .LBB30_1152
; %bb.1142:
	global_load_b32 v1, v[2:3], off
	s_mov_b32 s9, 0
	s_mov_b32 s15, -1
	s_wait_loadcnt 0x0
	v_lshlrev_b32_e32 v1, 16, v1
	s_delay_alu instid0(VALU_DEP_1)
	v_cvt_i32_f32_e32 v4, v1
	s_branch .LBB30_1154
.LBB30_1143:
	s_mov_b32 s15, 0
                                        ; implicit-def: $vgpr4
	s_cbranch_execnz .LBB30_1215
.LBB30_1144:
	s_and_not1_b32 vcc_lo, exec_lo, s15
	s_cbranch_vccnz .LBB30_1947
	s_branch .LBB30_1262
.LBB30_1145:
	s_mov_b32 s15, 0
	s_mov_b32 s9, 0
                                        ; implicit-def: $vgpr4
	s_cbranch_execnz .LBB30_1181
	s_branch .LBB30_1211
.LBB30_1146:
	s_mov_b32 s16, -1
	s_mov_b32 s15, 0
	s_mov_b32 s9, 0
                                        ; implicit-def: $vgpr4
	s_branch .LBB30_1164
.LBB30_1147:
	s_mov_b32 s16, -1
	s_mov_b32 s15, 0
	s_mov_b32 s9, 0
                                        ; implicit-def: $vgpr4
	s_branch .LBB30_1159
.LBB30_1148:
	s_or_b32 s1, s13, exec_lo
	s_trap 2
	s_cbranch_execz .LBB30_1089
	s_branch .LBB30_1090
.LBB30_1149:
	s_mov_b32 s16, -1
	s_mov_b32 s15, 0
	s_mov_b32 s9, 0
	s_branch .LBB30_1153
.LBB30_1150:
	s_and_not1_saveexec_b32 s22, s22
	s_cbranch_execz .LBB30_940
.LBB30_1151:
	v_add_f32_e32 v2, 0x42800000, v3
	s_and_not1_b32 s21, s21, exec_lo
	s_delay_alu instid0(VALU_DEP_1) | instskip(NEXT) | instid1(VALU_DEP_1)
	v_and_b32_e32 v2, 0xff, v2
	v_cmp_ne_u32_e32 vcc_lo, 0, v2
	s_and_b32 s23, vcc_lo, exec_lo
	s_delay_alu instid0(SALU_CYCLE_1)
	s_or_b32 s21, s21, s23
	s_or_b32 exec_lo, exec_lo, s22
	v_mov_b32_e32 v4, 0
	s_and_saveexec_b32 s22, s21
	s_cbranch_execnz .LBB30_941
	s_branch .LBB30_942
.LBB30_1152:
	s_mov_b32 s9, -1
	s_mov_b32 s15, 0
.LBB30_1153:
                                        ; implicit-def: $vgpr4
.LBB30_1154:
	s_and_b32 vcc_lo, exec_lo, s16
	s_cbranch_vccz .LBB30_1158
; %bb.1155:
	s_cmp_eq_u32 s0, 44
	s_cbranch_scc0 .LBB30_1157
; %bb.1156:
	global_load_u8 v1, v[2:3], off
	s_mov_b32 s9, 0
	s_mov_b32 s15, -1
	s_wait_loadcnt 0x0
	v_lshlrev_b32_e32 v4, 23, v1
	v_cmp_ne_u32_e32 vcc_lo, 0, v1
	s_delay_alu instid0(VALU_DEP_2) | instskip(NEXT) | instid1(VALU_DEP_1)
	v_cvt_i32_f32_e32 v4, v4
	v_cndmask_b32_e32 v4, 0, v4, vcc_lo
	s_branch .LBB30_1158
.LBB30_1157:
	s_mov_b32 s9, -1
                                        ; implicit-def: $vgpr4
.LBB30_1158:
	s_mov_b32 s16, 0
.LBB30_1159:
	s_delay_alu instid0(SALU_CYCLE_1)
	s_and_b32 vcc_lo, exec_lo, s16
	s_cbranch_vccz .LBB30_1163
; %bb.1160:
	s_cmp_eq_u32 s0, 29
	s_cbranch_scc0 .LBB30_1162
; %bb.1161:
	global_load_b64 v[4:5], v[2:3], off
	s_mov_b32 s9, 0
	s_mov_b32 s15, -1
	s_branch .LBB30_1163
.LBB30_1162:
	s_mov_b32 s9, -1
                                        ; implicit-def: $vgpr4
.LBB30_1163:
	s_mov_b32 s16, 0
.LBB30_1164:
	s_delay_alu instid0(SALU_CYCLE_1)
	s_and_b32 vcc_lo, exec_lo, s16
	s_cbranch_vccz .LBB30_1180
; %bb.1165:
	s_cmp_lt_i32 s0, 27
	s_cbranch_scc1 .LBB30_1168
; %bb.1166:
	s_cmp_gt_i32 s0, 27
	s_cbranch_scc0 .LBB30_1169
; %bb.1167:
	s_wait_loadcnt 0x0
	global_load_b32 v4, v[2:3], off
	s_mov_b32 s15, 0
	s_branch .LBB30_1170
.LBB30_1168:
	s_mov_b32 s15, -1
                                        ; implicit-def: $vgpr4
	s_branch .LBB30_1173
.LBB30_1169:
	s_mov_b32 s15, -1
                                        ; implicit-def: $vgpr4
.LBB30_1170:
	s_delay_alu instid0(SALU_CYCLE_1)
	s_and_not1_b32 vcc_lo, exec_lo, s15
	s_cbranch_vccnz .LBB30_1172
; %bb.1171:
	s_wait_loadcnt 0x0
	global_load_u16 v4, v[2:3], off
.LBB30_1172:
	s_mov_b32 s15, 0
.LBB30_1173:
	s_delay_alu instid0(SALU_CYCLE_1)
	s_and_not1_b32 vcc_lo, exec_lo, s15
	s_cbranch_vccnz .LBB30_1179
; %bb.1174:
	global_load_u8 v1, v[2:3], off
	s_mov_b32 s16, 0
	s_mov_b32 s15, exec_lo
	s_wait_loadcnt 0x0
	v_cmpx_lt_i16_e32 0x7f, v1
	s_xor_b32 s15, exec_lo, s15
	s_cbranch_execz .LBB30_1190
; %bb.1175:
	v_cmp_ne_u16_e32 vcc_lo, 0x80, v1
	s_and_b32 s16, vcc_lo, exec_lo
	s_and_not1_saveexec_b32 s15, s15
	s_cbranch_execnz .LBB30_1191
.LBB30_1176:
	s_or_b32 exec_lo, exec_lo, s15
	v_mov_b32_e32 v4, 0
	s_and_saveexec_b32 s15, s16
	s_cbranch_execz .LBB30_1178
.LBB30_1177:
	v_and_b32_e32 v4, 0xffff, v1
	s_delay_alu instid0(VALU_DEP_1) | instskip(SKIP_1) | instid1(VALU_DEP_2)
	v_and_b32_e32 v5, 7, v4
	v_bfe_u32 v9, v4, 3, 4
	v_clz_i32_u32_e32 v7, v5
	s_delay_alu instid0(VALU_DEP_2) | instskip(NEXT) | instid1(VALU_DEP_2)
	v_cmp_eq_u32_e32 vcc_lo, 0, v9
	v_min_u32_e32 v7, 32, v7
	s_delay_alu instid0(VALU_DEP_1) | instskip(NEXT) | instid1(VALU_DEP_1)
	v_subrev_nc_u32_e32 v8, 28, v7
	v_dual_lshlrev_b32 v4, v8, v4 :: v_dual_sub_nc_u32 v7, 29, v7
	s_delay_alu instid0(VALU_DEP_1) | instskip(NEXT) | instid1(VALU_DEP_2)
	v_dual_lshlrev_b32 v1, 24, v1 :: v_dual_bitop2_b32 v4, 7, v4 bitop3:0x40
	v_cndmask_b32_e32 v7, v9, v7, vcc_lo
	s_delay_alu instid0(VALU_DEP_2) | instskip(NEXT) | instid1(VALU_DEP_3)
	v_cndmask_b32_e32 v4, v5, v4, vcc_lo
	v_and_b32_e32 v1, 0x80000000, v1
	s_delay_alu instid0(VALU_DEP_3) | instskip(NEXT) | instid1(VALU_DEP_3)
	v_lshl_add_u32 v5, v7, 23, 0x3b800000
	v_lshlrev_b32_e32 v4, 20, v4
	s_delay_alu instid0(VALU_DEP_1) | instskip(NEXT) | instid1(VALU_DEP_1)
	v_or3_b32 v1, v1, v5, v4
	v_cvt_i32_f32_e32 v4, v1
.LBB30_1178:
	s_or_b32 exec_lo, exec_lo, s15
.LBB30_1179:
	s_mov_b32 s15, -1
.LBB30_1180:
	s_branch .LBB30_1211
.LBB30_1181:
	s_cmp_gt_i32 s0, 22
	s_cbranch_scc0 .LBB30_1189
; %bb.1182:
	s_cmp_lt_i32 s0, 24
	s_cbranch_scc1 .LBB30_1192
; %bb.1183:
	s_cmp_gt_i32 s0, 24
	s_cbranch_scc0 .LBB30_1193
; %bb.1184:
	global_load_u8 v1, v[2:3], off
	s_mov_b32 s15, 0
	s_mov_b32 s14, exec_lo
	s_wait_loadcnt 0x0
	v_cmpx_lt_i16_e32 0x7f, v1
	s_xor_b32 s14, exec_lo, s14
	s_cbranch_execz .LBB30_1205
; %bb.1185:
	v_cmp_ne_u16_e32 vcc_lo, 0x80, v1
	s_and_b32 s15, vcc_lo, exec_lo
	s_and_not1_saveexec_b32 s14, s14
	s_cbranch_execnz .LBB30_1206
.LBB30_1186:
	s_or_b32 exec_lo, exec_lo, s14
	v_mov_b32_e32 v4, 0
	s_and_saveexec_b32 s14, s15
	s_cbranch_execz .LBB30_1188
.LBB30_1187:
	v_and_b32_e32 v4, 0xffff, v1
	s_delay_alu instid0(VALU_DEP_1) | instskip(SKIP_1) | instid1(VALU_DEP_2)
	v_and_b32_e32 v5, 3, v4
	v_bfe_u32 v9, v4, 2, 5
	v_clz_i32_u32_e32 v7, v5
	s_delay_alu instid0(VALU_DEP_2) | instskip(NEXT) | instid1(VALU_DEP_2)
	v_cmp_eq_u32_e32 vcc_lo, 0, v9
	v_min_u32_e32 v7, 32, v7
	s_delay_alu instid0(VALU_DEP_1) | instskip(NEXT) | instid1(VALU_DEP_1)
	v_subrev_nc_u32_e32 v8, 29, v7
	v_dual_lshlrev_b32 v4, v8, v4 :: v_dual_sub_nc_u32 v7, 30, v7
	s_delay_alu instid0(VALU_DEP_1) | instskip(NEXT) | instid1(VALU_DEP_2)
	v_dual_lshlrev_b32 v1, 24, v1 :: v_dual_bitop2_b32 v4, 3, v4 bitop3:0x40
	v_cndmask_b32_e32 v7, v9, v7, vcc_lo
	s_delay_alu instid0(VALU_DEP_2) | instskip(NEXT) | instid1(VALU_DEP_3)
	v_cndmask_b32_e32 v4, v5, v4, vcc_lo
	v_and_b32_e32 v1, 0x80000000, v1
	s_delay_alu instid0(VALU_DEP_3) | instskip(NEXT) | instid1(VALU_DEP_3)
	v_lshl_add_u32 v5, v7, 23, 0x37800000
	v_lshlrev_b32_e32 v4, 21, v4
	s_delay_alu instid0(VALU_DEP_1) | instskip(NEXT) | instid1(VALU_DEP_1)
	v_or3_b32 v1, v1, v5, v4
	v_cvt_i32_f32_e32 v4, v1
.LBB30_1188:
	s_or_b32 exec_lo, exec_lo, s14
	s_mov_b32 s14, 0
	s_branch .LBB30_1194
.LBB30_1189:
	s_mov_b32 s14, -1
                                        ; implicit-def: $vgpr4
	s_branch .LBB30_1200
.LBB30_1190:
	s_and_not1_saveexec_b32 s15, s15
	s_cbranch_execz .LBB30_1176
.LBB30_1191:
	v_cmp_ne_u16_e32 vcc_lo, 0, v1
	s_and_not1_b32 s16, s16, exec_lo
	s_and_b32 s17, vcc_lo, exec_lo
	s_delay_alu instid0(SALU_CYCLE_1)
	s_or_b32 s16, s16, s17
	s_or_b32 exec_lo, exec_lo, s15
	v_mov_b32_e32 v4, 0
	s_and_saveexec_b32 s15, s16
	s_cbranch_execnz .LBB30_1177
	s_branch .LBB30_1178
.LBB30_1192:
	s_mov_b32 s14, -1
                                        ; implicit-def: $vgpr4
	s_branch .LBB30_1197
.LBB30_1193:
	s_mov_b32 s14, -1
                                        ; implicit-def: $vgpr4
.LBB30_1194:
	s_delay_alu instid0(SALU_CYCLE_1)
	s_and_b32 vcc_lo, exec_lo, s14
	s_cbranch_vccz .LBB30_1196
; %bb.1195:
	global_load_u8 v1, v[2:3], off
	s_wait_loadcnt 0x0
	v_lshlrev_b32_e32 v1, 24, v1
	s_delay_alu instid0(VALU_DEP_1) | instskip(NEXT) | instid1(VALU_DEP_1)
	v_and_b32_e32 v4, 0x7f000000, v1
	v_clz_i32_u32_e32 v5, v4
	v_add_nc_u32_e32 v8, 0x1000000, v4
	v_cmp_ne_u32_e32 vcc_lo, 0, v4
	s_delay_alu instid0(VALU_DEP_3) | instskip(NEXT) | instid1(VALU_DEP_1)
	v_min_u32_e32 v5, 32, v5
	v_sub_nc_u32_e64 v5, v5, 4 clamp
	s_delay_alu instid0(VALU_DEP_1) | instskip(NEXT) | instid1(VALU_DEP_1)
	v_dual_lshlrev_b32 v7, v5, v4 :: v_dual_lshlrev_b32 v5, 23, v5
	v_lshrrev_b32_e32 v7, 4, v7
	s_delay_alu instid0(VALU_DEP_1) | instskip(NEXT) | instid1(VALU_DEP_1)
	v_dual_sub_nc_u32 v5, v7, v5 :: v_dual_ashrrev_i32 v7, 8, v8
	v_add_nc_u32_e32 v5, 0x3c000000, v5
	s_delay_alu instid0(VALU_DEP_1) | instskip(NEXT) | instid1(VALU_DEP_1)
	v_and_or_b32 v5, 0x7f800000, v7, v5
	v_cndmask_b32_e32 v4, 0, v5, vcc_lo
	s_delay_alu instid0(VALU_DEP_1) | instskip(NEXT) | instid1(VALU_DEP_1)
	v_and_or_b32 v1, 0x80000000, v1, v4
	v_cvt_i32_f32_e32 v4, v1
.LBB30_1196:
	s_mov_b32 s14, 0
.LBB30_1197:
	s_delay_alu instid0(SALU_CYCLE_1)
	s_and_not1_b32 vcc_lo, exec_lo, s14
	s_cbranch_vccnz .LBB30_1199
; %bb.1198:
	global_load_u8 v1, v[2:3], off
	s_wait_loadcnt 0x0
	v_lshlrev_b32_e32 v4, 25, v1
	v_lshlrev_b16 v1, 8, v1
	s_delay_alu instid0(VALU_DEP_1) | instskip(SKIP_1) | instid1(VALU_DEP_2)
	v_and_or_b32 v7, 0x7f00, v1, 0.5
	v_bfe_i32 v1, v1, 0, 16
	v_dual_add_f32 v7, -0.5, v7 :: v_dual_lshrrev_b32 v5, 4, v4
	v_cmp_gt_u32_e32 vcc_lo, 0x8000000, v4
	s_delay_alu instid0(VALU_DEP_2) | instskip(NEXT) | instid1(VALU_DEP_1)
	v_or_b32_e32 v5, 0x70000000, v5
	v_mul_f32_e32 v5, 0x7800000, v5
	s_delay_alu instid0(VALU_DEP_1) | instskip(NEXT) | instid1(VALU_DEP_1)
	v_cndmask_b32_e32 v4, v5, v7, vcc_lo
	v_and_or_b32 v1, 0x80000000, v1, v4
	s_delay_alu instid0(VALU_DEP_1)
	v_cvt_i32_f32_e32 v4, v1
.LBB30_1199:
	s_mov_b32 s14, 0
	s_mov_b32 s15, -1
.LBB30_1200:
	s_and_not1_b32 vcc_lo, exec_lo, s14
	s_mov_b32 s14, 0
	s_cbranch_vccnz .LBB30_1211
; %bb.1201:
	s_cmp_gt_i32 s0, 14
	s_cbranch_scc0 .LBB30_1204
; %bb.1202:
	s_cmp_eq_u32 s0, 15
	s_cbranch_scc0 .LBB30_1207
; %bb.1203:
	global_load_u16 v1, v[2:3], off
	s_mov_b32 s9, 0
	s_mov_b32 s15, -1
	s_wait_loadcnt 0x0
	v_lshlrev_b32_e32 v1, 16, v1
	s_delay_alu instid0(VALU_DEP_1)
	v_cvt_i32_f32_e32 v4, v1
	s_branch .LBB30_1209
.LBB30_1204:
	s_mov_b32 s14, -1
	s_branch .LBB30_1208
.LBB30_1205:
	s_and_not1_saveexec_b32 s14, s14
	s_cbranch_execz .LBB30_1186
.LBB30_1206:
	v_cmp_ne_u16_e32 vcc_lo, 0, v1
	s_and_not1_b32 s15, s15, exec_lo
	s_and_b32 s16, vcc_lo, exec_lo
	s_delay_alu instid0(SALU_CYCLE_1)
	s_or_b32 s15, s15, s16
	s_or_b32 exec_lo, exec_lo, s14
	v_mov_b32_e32 v4, 0
	s_and_saveexec_b32 s14, s15
	s_cbranch_execnz .LBB30_1187
	s_branch .LBB30_1188
.LBB30_1207:
	s_mov_b32 s9, -1
.LBB30_1208:
                                        ; implicit-def: $vgpr4
.LBB30_1209:
	s_and_b32 vcc_lo, exec_lo, s14
	s_mov_b32 s14, 0
	s_cbranch_vccz .LBB30_1211
; %bb.1210:
	s_cmp_lg_u32 s0, 11
	s_mov_b32 s14, -1
	s_cselect_b32 s9, -1, 0
.LBB30_1211:
	s_delay_alu instid0(SALU_CYCLE_1)
	s_and_b32 vcc_lo, exec_lo, s9
	s_cbranch_vccnz .LBB30_1274
; %bb.1212:
	s_and_not1_b32 vcc_lo, exec_lo, s14
	s_cbranch_vccnz .LBB30_1214
.LBB30_1213:
	global_load_u8 v1, v[2:3], off
	s_mov_b32 s15, -1
	s_wait_loadcnt 0x0
	v_cmp_ne_u16_e32 vcc_lo, 0, v1
	v_cndmask_b32_e64 v4, 0, 1, vcc_lo
.LBB30_1214:
	s_branch .LBB30_1144
.LBB30_1215:
	s_cmp_lt_i32 s0, 5
	s_cbranch_scc1 .LBB30_1220
; %bb.1216:
	s_cmp_lt_i32 s0, 8
	s_cbranch_scc1 .LBB30_1221
; %bb.1217:
	;; [unrolled: 3-line block ×3, first 2 shown]
	s_cmp_gt_i32 s0, 9
	s_cbranch_scc0 .LBB30_1223
; %bb.1219:
	s_wait_loadcnt 0x0
	global_load_b64 v[4:5], v[2:3], off
	s_mov_b32 s9, 0
	s_wait_loadcnt 0x0
	v_cvt_i32_f64_e32 v4, v[4:5]
	s_branch .LBB30_1224
.LBB30_1220:
                                        ; implicit-def: $vgpr4
	s_branch .LBB30_1242
.LBB30_1221:
	s_mov_b32 s9, -1
                                        ; implicit-def: $vgpr4
	s_branch .LBB30_1230
.LBB30_1222:
	s_mov_b32 s9, -1
                                        ; implicit-def: $vgpr4
	s_branch .LBB30_1227
.LBB30_1223:
	s_mov_b32 s9, -1
                                        ; implicit-def: $vgpr4
.LBB30_1224:
	s_delay_alu instid0(SALU_CYCLE_1)
	s_and_not1_b32 vcc_lo, exec_lo, s9
	s_cbranch_vccnz .LBB30_1226
; %bb.1225:
	global_load_b32 v1, v[2:3], off
	s_wait_loadcnt 0x0
	v_cvt_i32_f32_e32 v4, v1
.LBB30_1226:
	s_mov_b32 s9, 0
.LBB30_1227:
	s_delay_alu instid0(SALU_CYCLE_1)
	s_and_not1_b32 vcc_lo, exec_lo, s9
	s_cbranch_vccnz .LBB30_1229
; %bb.1228:
	global_load_b32 v1, v[2:3], off
	s_wait_loadcnt 0x0
	v_cvt_i16_f16_e32 v4, v1
.LBB30_1229:
	s_mov_b32 s9, 0
.LBB30_1230:
	s_delay_alu instid0(SALU_CYCLE_1)
	s_and_not1_b32 vcc_lo, exec_lo, s9
	s_cbranch_vccnz .LBB30_1241
; %bb.1231:
	s_cmp_lt_i32 s0, 6
	s_cbranch_scc1 .LBB30_1234
; %bb.1232:
	s_cmp_gt_i32 s0, 6
	s_cbranch_scc0 .LBB30_1235
; %bb.1233:
	s_wait_loadcnt 0x0
	global_load_b64 v[4:5], v[2:3], off
	s_mov_b32 s9, 0
	s_wait_loadcnt 0x0
	v_cvt_i32_f64_e32 v4, v[4:5]
	s_branch .LBB30_1236
.LBB30_1234:
	s_mov_b32 s9, -1
                                        ; implicit-def: $vgpr4
	s_branch .LBB30_1239
.LBB30_1235:
	s_mov_b32 s9, -1
                                        ; implicit-def: $vgpr4
.LBB30_1236:
	s_delay_alu instid0(SALU_CYCLE_1)
	s_and_not1_b32 vcc_lo, exec_lo, s9
	s_cbranch_vccnz .LBB30_1238
; %bb.1237:
	global_load_b32 v1, v[2:3], off
	s_wait_loadcnt 0x0
	v_cvt_i32_f32_e32 v4, v1
.LBB30_1238:
	s_mov_b32 s9, 0
.LBB30_1239:
	s_delay_alu instid0(SALU_CYCLE_1)
	s_and_not1_b32 vcc_lo, exec_lo, s9
	s_cbranch_vccnz .LBB30_1241
; %bb.1240:
	global_load_u16 v1, v[2:3], off
	s_wait_loadcnt 0x0
	v_cvt_i16_f16_e32 v4, v1
.LBB30_1241:
	s_cbranch_execnz .LBB30_1261
.LBB30_1242:
	s_cmp_lt_i32 s0, 2
	s_cbranch_scc1 .LBB30_1246
; %bb.1243:
	s_cmp_lt_i32 s0, 3
	s_cbranch_scc1 .LBB30_1247
; %bb.1244:
	s_cmp_gt_i32 s0, 3
	s_cbranch_scc0 .LBB30_1248
; %bb.1245:
	s_wait_loadcnt 0x0
	global_load_b64 v[4:5], v[2:3], off
	s_mov_b32 s9, 0
	s_branch .LBB30_1249
.LBB30_1246:
	s_mov_b32 s9, -1
                                        ; implicit-def: $vgpr4
	s_branch .LBB30_1255
.LBB30_1247:
	s_mov_b32 s9, -1
                                        ; implicit-def: $vgpr4
	s_branch .LBB30_1252
.LBB30_1248:
	s_mov_b32 s9, -1
                                        ; implicit-def: $vgpr4
.LBB30_1249:
	s_delay_alu instid0(SALU_CYCLE_1)
	s_and_not1_b32 vcc_lo, exec_lo, s9
	s_cbranch_vccnz .LBB30_1251
; %bb.1250:
	s_wait_loadcnt 0x0
	global_load_b32 v4, v[2:3], off
.LBB30_1251:
	s_mov_b32 s9, 0
.LBB30_1252:
	s_delay_alu instid0(SALU_CYCLE_1)
	s_and_not1_b32 vcc_lo, exec_lo, s9
	s_cbranch_vccnz .LBB30_1254
; %bb.1253:
	s_wait_loadcnt 0x0
	global_load_u16 v4, v[2:3], off
.LBB30_1254:
	s_mov_b32 s9, 0
.LBB30_1255:
	s_delay_alu instid0(SALU_CYCLE_1)
	s_and_not1_b32 vcc_lo, exec_lo, s9
	s_cbranch_vccnz .LBB30_1261
; %bb.1256:
	s_cmp_gt_i32 s0, 0
	s_mov_b32 s9, 0
	s_cbranch_scc0 .LBB30_1258
; %bb.1257:
	s_wait_loadcnt 0x0
	global_load_u8 v4, v[2:3], off
	s_branch .LBB30_1259
.LBB30_1258:
	s_mov_b32 s9, -1
                                        ; implicit-def: $vgpr4
.LBB30_1259:
	s_delay_alu instid0(SALU_CYCLE_1)
	s_and_not1_b32 vcc_lo, exec_lo, s9
	s_cbranch_vccnz .LBB30_1261
; %bb.1260:
	s_wait_loadcnt 0x0
	global_load_u8 v4, v[2:3], off
.LBB30_1261:
.LBB30_1262:
	v_add_nc_u32_e32 v0, s3, v0
	s_cmp_lt_i32 s0, 11
	s_delay_alu instid0(VALU_DEP_1) | instskip(NEXT) | instid1(VALU_DEP_1)
	v_ashrrev_i32_e32 v1, 31, v0
	v_add_nc_u64_e32 v[8:9], s[6:7], v[0:1]
	s_cbranch_scc1 .LBB30_1269
; %bb.1263:
	s_cmp_gt_i32 s0, 25
	s_mov_b32 s14, 0
	s_cbranch_scc0 .LBB30_1271
; %bb.1264:
	s_cmp_gt_i32 s0, 28
	s_cbranch_scc0 .LBB30_1272
; %bb.1265:
	s_cmp_gt_i32 s0, 43
	;; [unrolled: 3-line block ×3, first 2 shown]
	s_cbranch_scc0 .LBB30_1275
; %bb.1267:
	s_cmp_eq_u32 s0, 46
	s_mov_b32 s16, 0
	s_cbranch_scc0 .LBB30_1276
; %bb.1268:
	global_load_b32 v1, v[8:9], off
	s_mov_b32 s9, 0
	s_mov_b32 s15, -1
	s_wait_loadcnt 0x0
	v_lshlrev_b32_e32 v1, 16, v1
	s_wait_xcnt 0x1
	s_delay_alu instid0(VALU_DEP_1)
	v_cvt_i32_f32_e32 v2, v1
	s_branch .LBB30_1278
.LBB30_1269:
	s_mov_b32 s15, 0
                                        ; implicit-def: $vgpr2
	s_cbranch_execnz .LBB30_1340
.LBB30_1270:
	s_and_not1_b32 vcc_lo, exec_lo, s15
	s_cbranch_vccnz .LBB30_1947
	s_branch .LBB30_1388
.LBB30_1271:
	s_mov_b32 s16, -1
	s_mov_b32 s15, 0
	s_mov_b32 s9, 0
                                        ; implicit-def: $vgpr2
	s_branch .LBB30_1305
.LBB30_1272:
	s_mov_b32 s16, -1
	s_mov_b32 s15, 0
	s_mov_b32 s9, 0
                                        ; implicit-def: $vgpr2
	s_branch .LBB30_1288
.LBB30_1273:
	s_mov_b32 s16, -1
	s_mov_b32 s15, 0
	s_mov_b32 s9, 0
                                        ; implicit-def: $vgpr2
	s_branch .LBB30_1283
.LBB30_1274:
	s_or_b32 s1, s1, exec_lo
	s_trap 2
	s_cbranch_execz .LBB30_1213
	s_branch .LBB30_1214
.LBB30_1275:
	s_mov_b32 s16, -1
	s_mov_b32 s15, 0
	s_mov_b32 s9, 0
	s_branch .LBB30_1277
.LBB30_1276:
	s_mov_b32 s9, -1
	s_mov_b32 s15, 0
.LBB30_1277:
                                        ; implicit-def: $vgpr2
.LBB30_1278:
	s_and_b32 vcc_lo, exec_lo, s16
	s_cbranch_vccz .LBB30_1282
; %bb.1279:
	s_cmp_eq_u32 s0, 44
	s_cbranch_scc0 .LBB30_1281
; %bb.1280:
	global_load_u8 v1, v[8:9], off
	s_mov_b32 s9, 0
	s_mov_b32 s15, -1
	s_wait_loadcnt 0x0
	s_wait_xcnt 0x1
	v_lshlrev_b32_e32 v2, 23, v1
	v_cmp_ne_u32_e32 vcc_lo, 0, v1
	s_delay_alu instid0(VALU_DEP_2) | instskip(NEXT) | instid1(VALU_DEP_1)
	v_cvt_i32_f32_e32 v2, v2
	v_cndmask_b32_e32 v2, 0, v2, vcc_lo
	s_branch .LBB30_1282
.LBB30_1281:
	s_mov_b32 s9, -1
                                        ; implicit-def: $vgpr2
.LBB30_1282:
	s_mov_b32 s16, 0
.LBB30_1283:
	s_delay_alu instid0(SALU_CYCLE_1)
	s_and_b32 vcc_lo, exec_lo, s16
	s_cbranch_vccz .LBB30_1287
; %bb.1284:
	s_cmp_eq_u32 s0, 29
	s_cbranch_scc0 .LBB30_1286
; %bb.1285:
	global_load_b64 v[2:3], v[8:9], off
	s_mov_b32 s9, 0
	s_mov_b32 s15, -1
	s_branch .LBB30_1287
.LBB30_1286:
	s_mov_b32 s9, -1
                                        ; implicit-def: $vgpr2
.LBB30_1287:
	s_mov_b32 s16, 0
.LBB30_1288:
	s_delay_alu instid0(SALU_CYCLE_1)
	s_and_b32 vcc_lo, exec_lo, s16
	s_cbranch_vccz .LBB30_1304
; %bb.1289:
	s_cmp_lt_i32 s0, 27
	s_cbranch_scc1 .LBB30_1292
; %bb.1290:
	s_cmp_gt_i32 s0, 27
	s_cbranch_scc0 .LBB30_1293
; %bb.1291:
	s_wait_loadcnt 0x0
	global_load_b32 v2, v[8:9], off
	s_mov_b32 s15, 0
	s_branch .LBB30_1294
.LBB30_1292:
	s_mov_b32 s15, -1
                                        ; implicit-def: $vgpr2
	s_branch .LBB30_1297
.LBB30_1293:
	s_mov_b32 s15, -1
                                        ; implicit-def: $vgpr2
.LBB30_1294:
	s_delay_alu instid0(SALU_CYCLE_1)
	s_and_not1_b32 vcc_lo, exec_lo, s15
	s_cbranch_vccnz .LBB30_1296
; %bb.1295:
	s_wait_loadcnt 0x0
	global_load_u16 v2, v[8:9], off
.LBB30_1296:
	s_mov_b32 s15, 0
.LBB30_1297:
	s_delay_alu instid0(SALU_CYCLE_1)
	s_and_not1_b32 vcc_lo, exec_lo, s15
	s_cbranch_vccnz .LBB30_1303
; %bb.1298:
	global_load_u8 v1, v[8:9], off
	s_mov_b32 s16, 0
	s_mov_b32 s15, exec_lo
	s_wait_loadcnt 0x0
	v_cmpx_lt_i16_e32 0x7f, v1
	s_xor_b32 s15, exec_lo, s15
	s_cbranch_execz .LBB30_1315
; %bb.1299:
	v_cmp_ne_u16_e32 vcc_lo, 0x80, v1
	s_and_b32 s16, vcc_lo, exec_lo
	s_and_not1_saveexec_b32 s15, s15
	s_cbranch_execnz .LBB30_1316
.LBB30_1300:
	s_or_b32 exec_lo, exec_lo, s15
	v_mov_b32_e32 v2, 0
	s_and_saveexec_b32 s15, s16
	s_cbranch_execz .LBB30_1302
.LBB30_1301:
	v_and_b32_e32 v2, 0xffff, v1
	s_delay_alu instid0(VALU_DEP_1) | instskip(SKIP_1) | instid1(VALU_DEP_2)
	v_and_b32_e32 v3, 7, v2
	v_bfe_u32 v11, v2, 3, 4
	v_clz_i32_u32_e32 v5, v3
	s_delay_alu instid0(VALU_DEP_2) | instskip(NEXT) | instid1(VALU_DEP_2)
	v_cmp_eq_u32_e32 vcc_lo, 0, v11
	v_min_u32_e32 v5, 32, v5
	s_delay_alu instid0(VALU_DEP_1) | instskip(NEXT) | instid1(VALU_DEP_1)
	v_subrev_nc_u32_e32 v7, 28, v5
	v_dual_lshlrev_b32 v2, v7, v2 :: v_dual_sub_nc_u32 v5, 29, v5
	s_delay_alu instid0(VALU_DEP_1) | instskip(NEXT) | instid1(VALU_DEP_1)
	v_dual_lshlrev_b32 v1, 24, v1 :: v_dual_bitop2_b32 v2, 7, v2 bitop3:0x40
	v_cndmask_b32_e32 v2, v3, v2, vcc_lo
	s_delay_alu instid0(VALU_DEP_3) | instskip(NEXT) | instid1(VALU_DEP_3)
	v_cndmask_b32_e32 v5, v11, v5, vcc_lo
	v_and_b32_e32 v1, 0x80000000, v1
	s_delay_alu instid0(VALU_DEP_3) | instskip(NEXT) | instid1(VALU_DEP_3)
	v_lshlrev_b32_e32 v2, 20, v2
	v_lshl_add_u32 v3, v5, 23, 0x3b800000
	s_delay_alu instid0(VALU_DEP_1) | instskip(NEXT) | instid1(VALU_DEP_1)
	v_or3_b32 v1, v1, v3, v2
	v_cvt_i32_f32_e32 v2, v1
.LBB30_1302:
	s_or_b32 exec_lo, exec_lo, s15
.LBB30_1303:
	s_mov_b32 s15, -1
.LBB30_1304:
	s_mov_b32 s16, 0
.LBB30_1305:
	s_delay_alu instid0(SALU_CYCLE_1)
	s_and_b32 vcc_lo, exec_lo, s16
	s_cbranch_vccz .LBB30_1336
; %bb.1306:
	s_cmp_gt_i32 s0, 22
	s_cbranch_scc0 .LBB30_1314
; %bb.1307:
	s_cmp_lt_i32 s0, 24
	s_cbranch_scc1 .LBB30_1317
; %bb.1308:
	s_cmp_gt_i32 s0, 24
	s_cbranch_scc0 .LBB30_1318
; %bb.1309:
	global_load_u8 v1, v[8:9], off
	s_mov_b32 s15, 0
	s_mov_b32 s14, exec_lo
	s_wait_loadcnt 0x0
	v_cmpx_lt_i16_e32 0x7f, v1
	s_xor_b32 s14, exec_lo, s14
	s_cbranch_execz .LBB30_1330
; %bb.1310:
	v_cmp_ne_u16_e32 vcc_lo, 0x80, v1
	s_and_b32 s15, vcc_lo, exec_lo
	s_and_not1_saveexec_b32 s14, s14
	s_cbranch_execnz .LBB30_1331
.LBB30_1311:
	s_or_b32 exec_lo, exec_lo, s14
	v_mov_b32_e32 v2, 0
	s_and_saveexec_b32 s14, s15
	s_cbranch_execz .LBB30_1313
.LBB30_1312:
	v_and_b32_e32 v2, 0xffff, v1
	s_delay_alu instid0(VALU_DEP_1) | instskip(SKIP_1) | instid1(VALU_DEP_2)
	v_and_b32_e32 v3, 3, v2
	v_bfe_u32 v11, v2, 2, 5
	v_clz_i32_u32_e32 v5, v3
	s_delay_alu instid0(VALU_DEP_2) | instskip(NEXT) | instid1(VALU_DEP_2)
	v_cmp_eq_u32_e32 vcc_lo, 0, v11
	v_min_u32_e32 v5, 32, v5
	s_delay_alu instid0(VALU_DEP_1) | instskip(NEXT) | instid1(VALU_DEP_1)
	v_subrev_nc_u32_e32 v7, 29, v5
	v_dual_lshlrev_b32 v2, v7, v2 :: v_dual_sub_nc_u32 v5, 30, v5
	s_delay_alu instid0(VALU_DEP_1) | instskip(NEXT) | instid1(VALU_DEP_1)
	v_dual_lshlrev_b32 v1, 24, v1 :: v_dual_bitop2_b32 v2, 3, v2 bitop3:0x40
	v_cndmask_b32_e32 v2, v3, v2, vcc_lo
	s_delay_alu instid0(VALU_DEP_3) | instskip(NEXT) | instid1(VALU_DEP_3)
	v_cndmask_b32_e32 v5, v11, v5, vcc_lo
	v_and_b32_e32 v1, 0x80000000, v1
	s_delay_alu instid0(VALU_DEP_3) | instskip(NEXT) | instid1(VALU_DEP_3)
	v_lshlrev_b32_e32 v2, 21, v2
	v_lshl_add_u32 v3, v5, 23, 0x37800000
	s_delay_alu instid0(VALU_DEP_1) | instskip(NEXT) | instid1(VALU_DEP_1)
	v_or3_b32 v1, v1, v3, v2
	v_cvt_i32_f32_e32 v2, v1
.LBB30_1313:
	s_or_b32 exec_lo, exec_lo, s14
	s_mov_b32 s14, 0
	s_branch .LBB30_1319
.LBB30_1314:
	s_mov_b32 s14, -1
                                        ; implicit-def: $vgpr2
	s_branch .LBB30_1325
.LBB30_1315:
	s_and_not1_saveexec_b32 s15, s15
	s_cbranch_execz .LBB30_1300
.LBB30_1316:
	v_cmp_ne_u16_e32 vcc_lo, 0, v1
	s_and_not1_b32 s16, s16, exec_lo
	s_and_b32 s17, vcc_lo, exec_lo
	s_delay_alu instid0(SALU_CYCLE_1)
	s_or_b32 s16, s16, s17
	s_or_b32 exec_lo, exec_lo, s15
	v_mov_b32_e32 v2, 0
	s_and_saveexec_b32 s15, s16
	s_cbranch_execnz .LBB30_1301
	s_branch .LBB30_1302
.LBB30_1317:
	s_mov_b32 s14, -1
                                        ; implicit-def: $vgpr2
	s_branch .LBB30_1322
.LBB30_1318:
	s_mov_b32 s14, -1
                                        ; implicit-def: $vgpr2
.LBB30_1319:
	s_delay_alu instid0(SALU_CYCLE_1)
	s_and_b32 vcc_lo, exec_lo, s14
	s_cbranch_vccz .LBB30_1321
; %bb.1320:
	global_load_u8 v1, v[8:9], off
	s_wait_loadcnt 0x0
	v_lshlrev_b32_e32 v1, 24, v1
	s_wait_xcnt 0x1
	s_delay_alu instid0(VALU_DEP_1) | instskip(NEXT) | instid1(VALU_DEP_1)
	v_and_b32_e32 v2, 0x7f000000, v1
	v_clz_i32_u32_e32 v3, v2
	v_cmp_ne_u32_e32 vcc_lo, 0, v2
	v_add_nc_u32_e32 v7, 0x1000000, v2
	s_delay_alu instid0(VALU_DEP_3) | instskip(NEXT) | instid1(VALU_DEP_1)
	v_min_u32_e32 v3, 32, v3
	v_sub_nc_u32_e64 v3, v3, 4 clamp
	s_delay_alu instid0(VALU_DEP_1) | instskip(NEXT) | instid1(VALU_DEP_1)
	v_dual_lshlrev_b32 v5, v3, v2 :: v_dual_lshlrev_b32 v3, 23, v3
	v_lshrrev_b32_e32 v5, 4, v5
	s_delay_alu instid0(VALU_DEP_1) | instskip(SKIP_1) | instid1(VALU_DEP_2)
	v_sub_nc_u32_e32 v3, v5, v3
	v_ashrrev_i32_e32 v5, 8, v7
	v_add_nc_u32_e32 v3, 0x3c000000, v3
	s_delay_alu instid0(VALU_DEP_1) | instskip(NEXT) | instid1(VALU_DEP_1)
	v_and_or_b32 v3, 0x7f800000, v5, v3
	v_cndmask_b32_e32 v2, 0, v3, vcc_lo
	s_delay_alu instid0(VALU_DEP_1) | instskip(NEXT) | instid1(VALU_DEP_1)
	v_and_or_b32 v1, 0x80000000, v1, v2
	v_cvt_i32_f32_e32 v2, v1
.LBB30_1321:
	s_mov_b32 s14, 0
.LBB30_1322:
	s_delay_alu instid0(SALU_CYCLE_1)
	s_and_not1_b32 vcc_lo, exec_lo, s14
	s_cbranch_vccnz .LBB30_1324
; %bb.1323:
	global_load_u8 v1, v[8:9], off
	s_wait_loadcnt 0x0
	s_wait_xcnt 0x1
	v_lshlrev_b32_e32 v2, 25, v1
	v_lshlrev_b16 v1, 8, v1
	s_delay_alu instid0(VALU_DEP_1) | instskip(NEXT) | instid1(VALU_DEP_3)
	v_and_or_b32 v5, 0x7f00, v1, 0.5
	v_lshrrev_b32_e32 v3, 4, v2
	v_bfe_i32 v1, v1, 0, 16
	s_delay_alu instid0(VALU_DEP_3) | instskip(NEXT) | instid1(VALU_DEP_3)
	v_add_f32_e32 v5, -0.5, v5
	v_or_b32_e32 v3, 0x70000000, v3
	s_delay_alu instid0(VALU_DEP_1) | instskip(SKIP_1) | instid1(VALU_DEP_2)
	v_mul_f32_e32 v3, 0x7800000, v3
	v_cmp_gt_u32_e32 vcc_lo, 0x8000000, v2
	v_cndmask_b32_e32 v2, v3, v5, vcc_lo
	s_delay_alu instid0(VALU_DEP_1) | instskip(NEXT) | instid1(VALU_DEP_1)
	v_and_or_b32 v1, 0x80000000, v1, v2
	v_cvt_i32_f32_e32 v2, v1
.LBB30_1324:
	s_mov_b32 s14, 0
	s_mov_b32 s15, -1
.LBB30_1325:
	s_and_not1_b32 vcc_lo, exec_lo, s14
	s_mov_b32 s14, 0
	s_cbranch_vccnz .LBB30_1336
; %bb.1326:
	s_cmp_gt_i32 s0, 14
	s_cbranch_scc0 .LBB30_1329
; %bb.1327:
	s_cmp_eq_u32 s0, 15
	s_cbranch_scc0 .LBB30_1332
; %bb.1328:
	global_load_u16 v1, v[8:9], off
	s_mov_b32 s9, 0
	s_mov_b32 s15, -1
	s_wait_loadcnt 0x0
	v_lshlrev_b32_e32 v1, 16, v1
	s_wait_xcnt 0x1
	s_delay_alu instid0(VALU_DEP_1)
	v_cvt_i32_f32_e32 v2, v1
	s_branch .LBB30_1334
.LBB30_1329:
	s_mov_b32 s14, -1
	s_branch .LBB30_1333
.LBB30_1330:
	s_and_not1_saveexec_b32 s14, s14
	s_cbranch_execz .LBB30_1311
.LBB30_1331:
	v_cmp_ne_u16_e32 vcc_lo, 0, v1
	s_and_not1_b32 s15, s15, exec_lo
	s_and_b32 s16, vcc_lo, exec_lo
	s_delay_alu instid0(SALU_CYCLE_1)
	s_or_b32 s15, s15, s16
	s_or_b32 exec_lo, exec_lo, s14
	v_mov_b32_e32 v2, 0
	s_and_saveexec_b32 s14, s15
	s_cbranch_execnz .LBB30_1312
	s_branch .LBB30_1313
.LBB30_1332:
	s_mov_b32 s9, -1
.LBB30_1333:
                                        ; implicit-def: $vgpr2
.LBB30_1334:
	s_and_b32 vcc_lo, exec_lo, s14
	s_mov_b32 s14, 0
	s_cbranch_vccz .LBB30_1336
; %bb.1335:
	s_cmp_lg_u32 s0, 11
	s_mov_b32 s14, -1
	s_cselect_b32 s9, -1, 0
.LBB30_1336:
	s_delay_alu instid0(SALU_CYCLE_1)
	s_and_b32 vcc_lo, exec_lo, s9
	s_cbranch_vccnz .LBB30_1399
; %bb.1337:
	s_and_not1_b32 vcc_lo, exec_lo, s14
	s_cbranch_vccnz .LBB30_1339
.LBB30_1338:
	global_load_u8 v1, v[8:9], off
	s_mov_b32 s15, -1
	s_wait_loadcnt 0x0
	v_cmp_ne_u16_e32 vcc_lo, 0, v1
	s_wait_xcnt 0x1
	v_cndmask_b32_e64 v2, 0, 1, vcc_lo
.LBB30_1339:
	s_branch .LBB30_1270
.LBB30_1340:
	s_cmp_lt_i32 s0, 5
	s_cbranch_scc1 .LBB30_1345
; %bb.1341:
	s_cmp_lt_i32 s0, 8
	s_cbranch_scc1 .LBB30_1346
; %bb.1342:
	;; [unrolled: 3-line block ×3, first 2 shown]
	s_cmp_gt_i32 s0, 9
	s_cbranch_scc0 .LBB30_1348
; %bb.1344:
	s_wait_loadcnt 0x0
	global_load_b64 v[2:3], v[8:9], off
	s_mov_b32 s9, 0
	s_wait_loadcnt 0x0
	v_cvt_i32_f64_e32 v2, v[2:3]
	s_branch .LBB30_1349
.LBB30_1345:
	s_mov_b32 s9, -1
                                        ; implicit-def: $vgpr2
	s_branch .LBB30_1367
.LBB30_1346:
	s_mov_b32 s9, -1
                                        ; implicit-def: $vgpr2
	s_branch .LBB30_1355
.LBB30_1347:
	s_mov_b32 s9, -1
                                        ; implicit-def: $vgpr2
	s_branch .LBB30_1352
.LBB30_1348:
	s_mov_b32 s9, -1
                                        ; implicit-def: $vgpr2
.LBB30_1349:
	s_delay_alu instid0(SALU_CYCLE_1)
	s_and_not1_b32 vcc_lo, exec_lo, s9
	s_cbranch_vccnz .LBB30_1351
; %bb.1350:
	global_load_b32 v1, v[8:9], off
	s_wait_loadcnt 0x0
	s_wait_xcnt 0x1
	v_cvt_i32_f32_e32 v2, v1
.LBB30_1351:
	s_mov_b32 s9, 0
.LBB30_1352:
	s_delay_alu instid0(SALU_CYCLE_1)
	s_and_not1_b32 vcc_lo, exec_lo, s9
	s_cbranch_vccnz .LBB30_1354
; %bb.1353:
	global_load_b32 v1, v[8:9], off
	s_wait_loadcnt 0x0
	s_wait_xcnt 0x1
	v_cvt_i16_f16_e32 v2, v1
.LBB30_1354:
	s_mov_b32 s9, 0
.LBB30_1355:
	s_delay_alu instid0(SALU_CYCLE_1)
	s_and_not1_b32 vcc_lo, exec_lo, s9
	s_cbranch_vccnz .LBB30_1366
; %bb.1356:
	s_cmp_lt_i32 s0, 6
	s_cbranch_scc1 .LBB30_1359
; %bb.1357:
	s_cmp_gt_i32 s0, 6
	s_cbranch_scc0 .LBB30_1360
; %bb.1358:
	s_wait_loadcnt 0x0
	global_load_b64 v[2:3], v[8:9], off
	s_mov_b32 s9, 0
	s_wait_loadcnt 0x0
	v_cvt_i32_f64_e32 v2, v[2:3]
	s_branch .LBB30_1361
.LBB30_1359:
	s_mov_b32 s9, -1
                                        ; implicit-def: $vgpr2
	s_branch .LBB30_1364
.LBB30_1360:
	s_mov_b32 s9, -1
                                        ; implicit-def: $vgpr2
.LBB30_1361:
	s_delay_alu instid0(SALU_CYCLE_1)
	s_and_not1_b32 vcc_lo, exec_lo, s9
	s_cbranch_vccnz .LBB30_1363
; %bb.1362:
	global_load_b32 v1, v[8:9], off
	s_wait_loadcnt 0x0
	s_wait_xcnt 0x1
	v_cvt_i32_f32_e32 v2, v1
.LBB30_1363:
	s_mov_b32 s9, 0
.LBB30_1364:
	s_delay_alu instid0(SALU_CYCLE_1)
	s_and_not1_b32 vcc_lo, exec_lo, s9
	s_cbranch_vccnz .LBB30_1366
; %bb.1365:
	global_load_u16 v1, v[8:9], off
	s_wait_loadcnt 0x0
	s_wait_xcnt 0x1
	v_cvt_i16_f16_e32 v2, v1
.LBB30_1366:
	s_mov_b32 s9, 0
.LBB30_1367:
	s_delay_alu instid0(SALU_CYCLE_1)
	s_and_not1_b32 vcc_lo, exec_lo, s9
	s_cbranch_vccnz .LBB30_1387
; %bb.1368:
	s_cmp_lt_i32 s0, 2
	s_cbranch_scc1 .LBB30_1372
; %bb.1369:
	s_cmp_lt_i32 s0, 3
	s_cbranch_scc1 .LBB30_1373
; %bb.1370:
	s_cmp_gt_i32 s0, 3
	s_cbranch_scc0 .LBB30_1374
; %bb.1371:
	s_wait_loadcnt 0x0
	global_load_b64 v[2:3], v[8:9], off
	s_mov_b32 s9, 0
	s_branch .LBB30_1375
.LBB30_1372:
	s_mov_b32 s9, -1
                                        ; implicit-def: $vgpr2
	s_branch .LBB30_1381
.LBB30_1373:
	s_mov_b32 s9, -1
                                        ; implicit-def: $vgpr2
	s_branch .LBB30_1378
.LBB30_1374:
	s_mov_b32 s9, -1
                                        ; implicit-def: $vgpr2
.LBB30_1375:
	s_delay_alu instid0(SALU_CYCLE_1)
	s_and_not1_b32 vcc_lo, exec_lo, s9
	s_cbranch_vccnz .LBB30_1377
; %bb.1376:
	s_wait_loadcnt 0x0
	global_load_b32 v2, v[8:9], off
.LBB30_1377:
	s_mov_b32 s9, 0
.LBB30_1378:
	s_delay_alu instid0(SALU_CYCLE_1)
	s_and_not1_b32 vcc_lo, exec_lo, s9
	s_cbranch_vccnz .LBB30_1380
; %bb.1379:
	s_wait_loadcnt 0x0
	global_load_u16 v2, v[8:9], off
.LBB30_1380:
	s_mov_b32 s9, 0
.LBB30_1381:
	s_delay_alu instid0(SALU_CYCLE_1)
	s_and_not1_b32 vcc_lo, exec_lo, s9
	s_cbranch_vccnz .LBB30_1387
; %bb.1382:
	s_cmp_gt_i32 s0, 0
	s_mov_b32 s9, 0
	s_cbranch_scc0 .LBB30_1384
; %bb.1383:
	s_wait_loadcnt 0x0
	global_load_u8 v2, v[8:9], off
	s_branch .LBB30_1385
.LBB30_1384:
	s_mov_b32 s9, -1
                                        ; implicit-def: $vgpr2
.LBB30_1385:
	s_delay_alu instid0(SALU_CYCLE_1)
	s_and_not1_b32 vcc_lo, exec_lo, s9
	s_cbranch_vccnz .LBB30_1387
; %bb.1386:
	s_wait_loadcnt 0x0
	global_load_u8 v2, v[8:9], off
.LBB30_1387:
.LBB30_1388:
	v_add_nc_u32_e32 v0, s3, v0
	s_cmp_lt_i32 s0, 11
	s_delay_alu instid0(VALU_DEP_1) | instskip(SKIP_1) | instid1(VALU_DEP_1)
	v_ashrrev_i32_e32 v1, 31, v0
	s_wait_xcnt 0x0
	v_add_nc_u64_e32 v[8:9], s[6:7], v[0:1]
	s_cbranch_scc1 .LBB30_1395
; %bb.1389:
	s_cmp_gt_i32 s0, 25
	s_mov_b32 s6, 0
	s_cbranch_scc0 .LBB30_1396
; %bb.1390:
	s_cmp_gt_i32 s0, 28
	s_cbranch_scc0 .LBB30_1397
; %bb.1391:
	s_cmp_gt_i32 s0, 43
	;; [unrolled: 3-line block ×3, first 2 shown]
	s_cbranch_scc0 .LBB30_1400
; %bb.1393:
	s_cmp_eq_u32 s0, 46
	s_mov_b32 s9, 0
	s_cbranch_scc0 .LBB30_1401
; %bb.1394:
	global_load_b32 v0, v[8:9], off
	s_mov_b32 s3, 0
	s_mov_b32 s7, -1
	s_wait_loadcnt 0x0
	v_lshlrev_b32_e32 v0, 16, v0
	s_delay_alu instid0(VALU_DEP_1)
	v_cvt_i32_f32_e32 v0, v0
	s_branch .LBB30_1403
.LBB30_1395:
	s_mov_b32 s3, -1
	s_mov_b32 s7, 0
                                        ; implicit-def: $vgpr0
	s_branch .LBB30_1465
.LBB30_1396:
	s_mov_b32 s9, -1
	s_mov_b32 s7, 0
	s_mov_b32 s3, 0
                                        ; implicit-def: $vgpr0
	s_branch .LBB30_1430
.LBB30_1397:
	s_mov_b32 s9, -1
	s_mov_b32 s7, 0
	s_mov_b32 s3, 0
                                        ; implicit-def: $vgpr0
	s_branch .LBB30_1413
.LBB30_1398:
	s_mov_b32 s9, -1
	s_mov_b32 s7, 0
	s_mov_b32 s3, 0
                                        ; implicit-def: $vgpr0
	s_branch .LBB30_1408
.LBB30_1399:
	s_or_b32 s1, s1, exec_lo
	s_trap 2
	s_cbranch_execz .LBB30_1338
	s_branch .LBB30_1339
.LBB30_1400:
	s_mov_b32 s9, -1
	s_mov_b32 s7, 0
	s_mov_b32 s3, 0
	s_branch .LBB30_1402
.LBB30_1401:
	s_mov_b32 s3, -1
	s_mov_b32 s7, 0
.LBB30_1402:
                                        ; implicit-def: $vgpr0
.LBB30_1403:
	s_and_b32 vcc_lo, exec_lo, s9
	s_cbranch_vccz .LBB30_1407
; %bb.1404:
	s_cmp_eq_u32 s0, 44
	s_cbranch_scc0 .LBB30_1406
; %bb.1405:
	global_load_u8 v0, v[8:9], off
	s_mov_b32 s3, 0
	s_mov_b32 s7, -1
	s_wait_loadcnt 0x0
	v_lshlrev_b32_e32 v1, 23, v0
	v_cmp_ne_u32_e32 vcc_lo, 0, v0
	s_delay_alu instid0(VALU_DEP_2) | instskip(NEXT) | instid1(VALU_DEP_1)
	v_cvt_i32_f32_e32 v1, v1
	v_cndmask_b32_e32 v0, 0, v1, vcc_lo
	s_branch .LBB30_1407
.LBB30_1406:
	s_mov_b32 s3, -1
                                        ; implicit-def: $vgpr0
.LBB30_1407:
	s_mov_b32 s9, 0
.LBB30_1408:
	s_delay_alu instid0(SALU_CYCLE_1)
	s_and_b32 vcc_lo, exec_lo, s9
	s_cbranch_vccz .LBB30_1412
; %bb.1409:
	s_cmp_eq_u32 s0, 29
	s_cbranch_scc0 .LBB30_1411
; %bb.1410:
	global_load_b64 v[0:1], v[8:9], off
	s_mov_b32 s3, 0
	s_mov_b32 s7, -1
	s_branch .LBB30_1412
.LBB30_1411:
	s_mov_b32 s3, -1
                                        ; implicit-def: $vgpr0
.LBB30_1412:
	s_mov_b32 s9, 0
.LBB30_1413:
	s_delay_alu instid0(SALU_CYCLE_1)
	s_and_b32 vcc_lo, exec_lo, s9
	s_cbranch_vccz .LBB30_1429
; %bb.1414:
	s_cmp_lt_i32 s0, 27
	s_cbranch_scc1 .LBB30_1417
; %bb.1415:
	s_cmp_gt_i32 s0, 27
	s_cbranch_scc0 .LBB30_1418
; %bb.1416:
	s_wait_loadcnt 0x0
	global_load_b32 v0, v[8:9], off
	s_mov_b32 s7, 0
	s_branch .LBB30_1419
.LBB30_1417:
	s_mov_b32 s7, -1
                                        ; implicit-def: $vgpr0
	s_branch .LBB30_1422
.LBB30_1418:
	s_mov_b32 s7, -1
                                        ; implicit-def: $vgpr0
.LBB30_1419:
	s_delay_alu instid0(SALU_CYCLE_1)
	s_and_not1_b32 vcc_lo, exec_lo, s7
	s_cbranch_vccnz .LBB30_1421
; %bb.1420:
	s_wait_loadcnt 0x0
	global_load_u16 v0, v[8:9], off
.LBB30_1421:
	s_mov_b32 s7, 0
.LBB30_1422:
	s_delay_alu instid0(SALU_CYCLE_1)
	s_and_not1_b32 vcc_lo, exec_lo, s7
	s_cbranch_vccnz .LBB30_1428
; %bb.1423:
	s_wait_loadcnt 0x0
	global_load_u8 v1, v[8:9], off
	s_mov_b32 s9, 0
	s_mov_b32 s7, exec_lo
	s_wait_loadcnt 0x0
	v_cmpx_lt_i16_e32 0x7f, v1
	s_xor_b32 s7, exec_lo, s7
	s_cbranch_execz .LBB30_1440
; %bb.1424:
	v_cmp_ne_u16_e32 vcc_lo, 0x80, v1
	s_and_b32 s9, vcc_lo, exec_lo
	s_and_not1_saveexec_b32 s7, s7
	s_cbranch_execnz .LBB30_1441
.LBB30_1425:
	s_or_b32 exec_lo, exec_lo, s7
	v_mov_b32_e32 v0, 0
	s_and_saveexec_b32 s7, s9
	s_cbranch_execz .LBB30_1427
.LBB30_1426:
	v_and_b32_e32 v0, 0xffff, v1
	s_delay_alu instid0(VALU_DEP_1) | instskip(SKIP_1) | instid1(VALU_DEP_2)
	v_and_b32_e32 v3, 7, v0
	v_bfe_u32 v11, v0, 3, 4
	v_clz_i32_u32_e32 v5, v3
	s_delay_alu instid0(VALU_DEP_2) | instskip(NEXT) | instid1(VALU_DEP_2)
	v_cmp_eq_u32_e32 vcc_lo, 0, v11
	v_min_u32_e32 v5, 32, v5
	s_delay_alu instid0(VALU_DEP_1) | instskip(NEXT) | instid1(VALU_DEP_1)
	v_subrev_nc_u32_e32 v7, 28, v5
	v_dual_lshlrev_b32 v0, v7, v0 :: v_dual_sub_nc_u32 v5, 29, v5
	s_delay_alu instid0(VALU_DEP_1) | instskip(NEXT) | instid1(VALU_DEP_1)
	v_dual_lshlrev_b32 v1, 24, v1 :: v_dual_bitop2_b32 v0, 7, v0 bitop3:0x40
	v_cndmask_b32_e32 v0, v3, v0, vcc_lo
	s_delay_alu instid0(VALU_DEP_3) | instskip(NEXT) | instid1(VALU_DEP_3)
	v_cndmask_b32_e32 v5, v11, v5, vcc_lo
	v_and_b32_e32 v1, 0x80000000, v1
	s_delay_alu instid0(VALU_DEP_3) | instskip(NEXT) | instid1(VALU_DEP_3)
	v_lshlrev_b32_e32 v0, 20, v0
	v_lshl_add_u32 v3, v5, 23, 0x3b800000
	s_delay_alu instid0(VALU_DEP_1) | instskip(NEXT) | instid1(VALU_DEP_1)
	v_or3_b32 v0, v1, v3, v0
	v_cvt_i32_f32_e32 v0, v0
.LBB30_1427:
	s_or_b32 exec_lo, exec_lo, s7
.LBB30_1428:
	s_mov_b32 s7, -1
.LBB30_1429:
	s_mov_b32 s9, 0
.LBB30_1430:
	s_delay_alu instid0(SALU_CYCLE_1)
	s_and_b32 vcc_lo, exec_lo, s9
	s_cbranch_vccz .LBB30_1461
; %bb.1431:
	s_cmp_gt_i32 s0, 22
	s_cbranch_scc0 .LBB30_1439
; %bb.1432:
	s_cmp_lt_i32 s0, 24
	s_cbranch_scc1 .LBB30_1442
; %bb.1433:
	s_cmp_gt_i32 s0, 24
	s_cbranch_scc0 .LBB30_1443
; %bb.1434:
	s_wait_loadcnt 0x0
	global_load_u8 v1, v[8:9], off
	s_mov_b32 s7, 0
	s_mov_b32 s6, exec_lo
	s_wait_loadcnt 0x0
	v_cmpx_lt_i16_e32 0x7f, v1
	s_xor_b32 s6, exec_lo, s6
	s_cbranch_execz .LBB30_1455
; %bb.1435:
	v_cmp_ne_u16_e32 vcc_lo, 0x80, v1
	s_and_b32 s7, vcc_lo, exec_lo
	s_and_not1_saveexec_b32 s6, s6
	s_cbranch_execnz .LBB30_1456
.LBB30_1436:
	s_or_b32 exec_lo, exec_lo, s6
	v_mov_b32_e32 v0, 0
	s_and_saveexec_b32 s6, s7
	s_cbranch_execz .LBB30_1438
.LBB30_1437:
	v_and_b32_e32 v0, 0xffff, v1
	s_delay_alu instid0(VALU_DEP_1) | instskip(SKIP_1) | instid1(VALU_DEP_2)
	v_and_b32_e32 v3, 3, v0
	v_bfe_u32 v11, v0, 2, 5
	v_clz_i32_u32_e32 v5, v3
	s_delay_alu instid0(VALU_DEP_2) | instskip(NEXT) | instid1(VALU_DEP_2)
	v_cmp_eq_u32_e32 vcc_lo, 0, v11
	v_min_u32_e32 v5, 32, v5
	s_delay_alu instid0(VALU_DEP_1) | instskip(NEXT) | instid1(VALU_DEP_1)
	v_subrev_nc_u32_e32 v7, 29, v5
	v_dual_lshlrev_b32 v0, v7, v0 :: v_dual_sub_nc_u32 v5, 30, v5
	s_delay_alu instid0(VALU_DEP_1) | instskip(NEXT) | instid1(VALU_DEP_1)
	v_dual_lshlrev_b32 v1, 24, v1 :: v_dual_bitop2_b32 v0, 3, v0 bitop3:0x40
	v_cndmask_b32_e32 v0, v3, v0, vcc_lo
	s_delay_alu instid0(VALU_DEP_3) | instskip(NEXT) | instid1(VALU_DEP_3)
	v_cndmask_b32_e32 v5, v11, v5, vcc_lo
	v_and_b32_e32 v1, 0x80000000, v1
	s_delay_alu instid0(VALU_DEP_3) | instskip(NEXT) | instid1(VALU_DEP_3)
	v_lshlrev_b32_e32 v0, 21, v0
	v_lshl_add_u32 v3, v5, 23, 0x37800000
	s_delay_alu instid0(VALU_DEP_1) | instskip(NEXT) | instid1(VALU_DEP_1)
	v_or3_b32 v0, v1, v3, v0
	v_cvt_i32_f32_e32 v0, v0
.LBB30_1438:
	s_or_b32 exec_lo, exec_lo, s6
	s_mov_b32 s6, 0
	s_branch .LBB30_1444
.LBB30_1439:
	s_mov_b32 s6, -1
                                        ; implicit-def: $vgpr0
	s_branch .LBB30_1450
.LBB30_1440:
	s_and_not1_saveexec_b32 s7, s7
	s_cbranch_execz .LBB30_1425
.LBB30_1441:
	v_cmp_ne_u16_e32 vcc_lo, 0, v1
	s_and_not1_b32 s9, s9, exec_lo
	s_and_b32 s14, vcc_lo, exec_lo
	s_delay_alu instid0(SALU_CYCLE_1)
	s_or_b32 s9, s9, s14
	s_or_b32 exec_lo, exec_lo, s7
	v_mov_b32_e32 v0, 0
	s_and_saveexec_b32 s7, s9
	s_cbranch_execnz .LBB30_1426
	s_branch .LBB30_1427
.LBB30_1442:
	s_mov_b32 s6, -1
                                        ; implicit-def: $vgpr0
	s_branch .LBB30_1447
.LBB30_1443:
	s_mov_b32 s6, -1
                                        ; implicit-def: $vgpr0
.LBB30_1444:
	s_delay_alu instid0(SALU_CYCLE_1)
	s_and_b32 vcc_lo, exec_lo, s6
	s_cbranch_vccz .LBB30_1446
; %bb.1445:
	s_wait_loadcnt 0x0
	global_load_u8 v0, v[8:9], off
	s_wait_loadcnt 0x0
	v_lshlrev_b32_e32 v0, 24, v0
	s_delay_alu instid0(VALU_DEP_1) | instskip(NEXT) | instid1(VALU_DEP_1)
	v_and_b32_e32 v1, 0x7f000000, v0
	v_clz_i32_u32_e32 v3, v1
	v_add_nc_u32_e32 v7, 0x1000000, v1
	v_cmp_ne_u32_e32 vcc_lo, 0, v1
	s_delay_alu instid0(VALU_DEP_3) | instskip(NEXT) | instid1(VALU_DEP_1)
	v_min_u32_e32 v3, 32, v3
	v_sub_nc_u32_e64 v3, v3, 4 clamp
	s_delay_alu instid0(VALU_DEP_1) | instskip(NEXT) | instid1(VALU_DEP_1)
	v_dual_lshlrev_b32 v5, v3, v1 :: v_dual_lshlrev_b32 v3, 23, v3
	v_lshrrev_b32_e32 v5, 4, v5
	s_delay_alu instid0(VALU_DEP_1) | instskip(SKIP_1) | instid1(VALU_DEP_2)
	v_sub_nc_u32_e32 v3, v5, v3
	v_ashrrev_i32_e32 v5, 8, v7
	v_add_nc_u32_e32 v3, 0x3c000000, v3
	s_delay_alu instid0(VALU_DEP_1) | instskip(NEXT) | instid1(VALU_DEP_1)
	v_and_or_b32 v3, 0x7f800000, v5, v3
	v_cndmask_b32_e32 v1, 0, v3, vcc_lo
	s_delay_alu instid0(VALU_DEP_1) | instskip(NEXT) | instid1(VALU_DEP_1)
	v_and_or_b32 v0, 0x80000000, v0, v1
	v_cvt_i32_f32_e32 v0, v0
.LBB30_1446:
	s_mov_b32 s6, 0
.LBB30_1447:
	s_delay_alu instid0(SALU_CYCLE_1)
	s_and_not1_b32 vcc_lo, exec_lo, s6
	s_cbranch_vccnz .LBB30_1449
; %bb.1448:
	s_wait_loadcnt 0x0
	global_load_u8 v0, v[8:9], off
	s_wait_loadcnt 0x0
	v_lshlrev_b32_e32 v1, 25, v0
	v_lshlrev_b16 v0, 8, v0
	s_delay_alu instid0(VALU_DEP_1) | instskip(SKIP_1) | instid1(VALU_DEP_2)
	v_and_or_b32 v5, 0x7f00, v0, 0.5
	v_bfe_i32 v0, v0, 0, 16
	v_add_f32_e32 v5, -0.5, v5
	v_lshrrev_b32_e32 v3, 4, v1
	v_cmp_gt_u32_e32 vcc_lo, 0x8000000, v1
	s_delay_alu instid0(VALU_DEP_2) | instskip(NEXT) | instid1(VALU_DEP_1)
	v_or_b32_e32 v3, 0x70000000, v3
	v_mul_f32_e32 v3, 0x7800000, v3
	s_delay_alu instid0(VALU_DEP_1) | instskip(NEXT) | instid1(VALU_DEP_1)
	v_cndmask_b32_e32 v1, v3, v5, vcc_lo
	v_and_or_b32 v0, 0x80000000, v0, v1
	s_delay_alu instid0(VALU_DEP_1)
	v_cvt_i32_f32_e32 v0, v0
.LBB30_1449:
	s_mov_b32 s6, 0
	s_mov_b32 s7, -1
.LBB30_1450:
	s_and_not1_b32 vcc_lo, exec_lo, s6
	s_mov_b32 s6, 0
	s_cbranch_vccnz .LBB30_1461
; %bb.1451:
	s_cmp_gt_i32 s0, 14
	s_cbranch_scc0 .LBB30_1454
; %bb.1452:
	s_cmp_eq_u32 s0, 15
	s_cbranch_scc0 .LBB30_1457
; %bb.1453:
	s_wait_loadcnt 0x0
	global_load_u16 v0, v[8:9], off
	s_mov_b32 s3, 0
	s_mov_b32 s7, -1
	s_wait_loadcnt 0x0
	v_lshlrev_b32_e32 v0, 16, v0
	s_delay_alu instid0(VALU_DEP_1)
	v_cvt_i32_f32_e32 v0, v0
	s_branch .LBB30_1459
.LBB30_1454:
	s_mov_b32 s6, -1
	s_branch .LBB30_1458
.LBB30_1455:
	s_and_not1_saveexec_b32 s6, s6
	s_cbranch_execz .LBB30_1436
.LBB30_1456:
	v_cmp_ne_u16_e32 vcc_lo, 0, v1
	s_and_not1_b32 s7, s7, exec_lo
	s_and_b32 s9, vcc_lo, exec_lo
	s_delay_alu instid0(SALU_CYCLE_1)
	s_or_b32 s7, s7, s9
	s_or_b32 exec_lo, exec_lo, s6
	v_mov_b32_e32 v0, 0
	s_and_saveexec_b32 s6, s7
	s_cbranch_execnz .LBB30_1437
	s_branch .LBB30_1438
.LBB30_1457:
	s_mov_b32 s3, -1
.LBB30_1458:
                                        ; implicit-def: $vgpr0
.LBB30_1459:
	s_and_b32 vcc_lo, exec_lo, s6
	s_mov_b32 s6, 0
	s_cbranch_vccz .LBB30_1461
; %bb.1460:
	s_cmp_lg_u32 s0, 11
	s_mov_b32 s6, -1
	s_cselect_b32 s3, -1, 0
.LBB30_1461:
	s_delay_alu instid0(SALU_CYCLE_1)
	s_and_b32 vcc_lo, exec_lo, s3
	s_cbranch_vccnz .LBB30_1993
; %bb.1462:
	s_and_not1_b32 vcc_lo, exec_lo, s6
	s_cbranch_vccnz .LBB30_1464
.LBB30_1463:
	s_wait_loadcnt 0x0
	global_load_u8 v0, v[8:9], off
	s_mov_b32 s7, -1
	s_wait_loadcnt 0x0
	v_cmp_ne_u16_e32 vcc_lo, 0, v0
	v_cndmask_b32_e64 v0, 0, 1, vcc_lo
.LBB30_1464:
	s_mov_b32 s3, 0
.LBB30_1465:
	s_delay_alu instid0(SALU_CYCLE_1)
	s_and_b32 vcc_lo, exec_lo, s3
	s_cbranch_vccz .LBB30_1514
; %bb.1466:
	s_cmp_lt_i32 s0, 5
	s_cbranch_scc1 .LBB30_1471
; %bb.1467:
	s_cmp_lt_i32 s0, 8
	s_cbranch_scc1 .LBB30_1472
	;; [unrolled: 3-line block ×3, first 2 shown]
; %bb.1469:
	s_cmp_gt_i32 s0, 9
	s_cbranch_scc0 .LBB30_1474
; %bb.1470:
	s_wait_loadcnt 0x0
	global_load_b64 v[0:1], v[8:9], off
	s_mov_b32 s3, 0
	s_wait_loadcnt 0x0
	v_cvt_i32_f64_e32 v0, v[0:1]
	s_branch .LBB30_1475
.LBB30_1471:
	s_mov_b32 s3, -1
                                        ; implicit-def: $vgpr0
	s_branch .LBB30_1493
.LBB30_1472:
	s_mov_b32 s3, -1
                                        ; implicit-def: $vgpr0
	s_branch .LBB30_1481
.LBB30_1473:
	s_mov_b32 s3, -1
                                        ; implicit-def: $vgpr0
	s_branch .LBB30_1478
.LBB30_1474:
	s_mov_b32 s3, -1
                                        ; implicit-def: $vgpr0
.LBB30_1475:
	s_delay_alu instid0(SALU_CYCLE_1)
	s_and_not1_b32 vcc_lo, exec_lo, s3
	s_cbranch_vccnz .LBB30_1477
; %bb.1476:
	s_wait_loadcnt 0x0
	global_load_b32 v0, v[8:9], off
	s_wait_loadcnt 0x0
	v_cvt_i32_f32_e32 v0, v0
.LBB30_1477:
	s_mov_b32 s3, 0
.LBB30_1478:
	s_delay_alu instid0(SALU_CYCLE_1)
	s_and_not1_b32 vcc_lo, exec_lo, s3
	s_cbranch_vccnz .LBB30_1480
; %bb.1479:
	s_wait_loadcnt 0x0
	global_load_b32 v0, v[8:9], off
	s_wait_loadcnt 0x0
	v_cvt_i16_f16_e32 v0, v0
.LBB30_1480:
	s_mov_b32 s3, 0
.LBB30_1481:
	s_delay_alu instid0(SALU_CYCLE_1)
	s_and_not1_b32 vcc_lo, exec_lo, s3
	s_cbranch_vccnz .LBB30_1492
; %bb.1482:
	s_cmp_lt_i32 s0, 6
	s_cbranch_scc1 .LBB30_1485
; %bb.1483:
	s_cmp_gt_i32 s0, 6
	s_cbranch_scc0 .LBB30_1486
; %bb.1484:
	s_wait_loadcnt 0x0
	global_load_b64 v[0:1], v[8:9], off
	s_mov_b32 s3, 0
	s_wait_loadcnt 0x0
	v_cvt_i32_f64_e32 v0, v[0:1]
	s_branch .LBB30_1487
.LBB30_1485:
	s_mov_b32 s3, -1
                                        ; implicit-def: $vgpr0
	s_branch .LBB30_1490
.LBB30_1486:
	s_mov_b32 s3, -1
                                        ; implicit-def: $vgpr0
.LBB30_1487:
	s_delay_alu instid0(SALU_CYCLE_1)
	s_and_not1_b32 vcc_lo, exec_lo, s3
	s_cbranch_vccnz .LBB30_1489
; %bb.1488:
	s_wait_loadcnt 0x0
	global_load_b32 v0, v[8:9], off
	s_wait_loadcnt 0x0
	v_cvt_i32_f32_e32 v0, v0
.LBB30_1489:
	s_mov_b32 s3, 0
.LBB30_1490:
	s_delay_alu instid0(SALU_CYCLE_1)
	s_and_not1_b32 vcc_lo, exec_lo, s3
	s_cbranch_vccnz .LBB30_1492
; %bb.1491:
	s_wait_loadcnt 0x0
	global_load_u16 v0, v[8:9], off
	s_wait_loadcnt 0x0
	v_cvt_i16_f16_e32 v0, v0
.LBB30_1492:
	s_mov_b32 s3, 0
.LBB30_1493:
	s_delay_alu instid0(SALU_CYCLE_1)
	s_and_not1_b32 vcc_lo, exec_lo, s3
	s_cbranch_vccnz .LBB30_1513
; %bb.1494:
	s_cmp_lt_i32 s0, 2
	s_cbranch_scc1 .LBB30_1498
; %bb.1495:
	s_cmp_lt_i32 s0, 3
	s_cbranch_scc1 .LBB30_1499
; %bb.1496:
	s_cmp_gt_i32 s0, 3
	s_cbranch_scc0 .LBB30_1500
; %bb.1497:
	s_wait_loadcnt 0x0
	global_load_b64 v[0:1], v[8:9], off
	s_mov_b32 s3, 0
	s_branch .LBB30_1501
.LBB30_1498:
	s_mov_b32 s3, -1
                                        ; implicit-def: $vgpr0
	s_branch .LBB30_1507
.LBB30_1499:
	s_mov_b32 s3, -1
                                        ; implicit-def: $vgpr0
	s_branch .LBB30_1504
.LBB30_1500:
	s_mov_b32 s3, -1
                                        ; implicit-def: $vgpr0
.LBB30_1501:
	s_delay_alu instid0(SALU_CYCLE_1)
	s_and_not1_b32 vcc_lo, exec_lo, s3
	s_cbranch_vccnz .LBB30_1503
; %bb.1502:
	s_wait_loadcnt 0x0
	global_load_b32 v0, v[8:9], off
.LBB30_1503:
	s_mov_b32 s3, 0
.LBB30_1504:
	s_delay_alu instid0(SALU_CYCLE_1)
	s_and_not1_b32 vcc_lo, exec_lo, s3
	s_cbranch_vccnz .LBB30_1506
; %bb.1505:
	s_wait_loadcnt 0x0
	global_load_u16 v0, v[8:9], off
.LBB30_1506:
	s_mov_b32 s3, 0
.LBB30_1507:
	s_delay_alu instid0(SALU_CYCLE_1)
	s_and_not1_b32 vcc_lo, exec_lo, s3
	s_cbranch_vccnz .LBB30_1513
; %bb.1508:
	s_cmp_gt_i32 s0, 0
	s_mov_b32 s0, 0
	s_cbranch_scc0 .LBB30_1510
; %bb.1509:
	s_wait_loadcnt 0x0
	global_load_u8 v0, v[8:9], off
	s_branch .LBB30_1511
.LBB30_1510:
	s_mov_b32 s0, -1
                                        ; implicit-def: $vgpr0
.LBB30_1511:
	s_delay_alu instid0(SALU_CYCLE_1)
	s_and_not1_b32 vcc_lo, exec_lo, s0
	s_cbranch_vccnz .LBB30_1513
; %bb.1512:
	s_wait_loadcnt 0x0
	global_load_u8 v0, v[8:9], off
.LBB30_1513:
	s_mov_b32 s7, -1
.LBB30_1514:
	s_delay_alu instid0(SALU_CYCLE_1)
	s_and_not1_b32 vcc_lo, exec_lo, s7
	s_cbranch_vccnz .LBB30_1947
; %bb.1515:
	s_wait_xcnt 0x0
	v_mul_lo_u32 v8, s8, v10
	s_wait_loadcnt 0x0
	v_and_b32_e32 v1, 0xff, v6
	s_cmp_eq_u32 s10, 0
	s_mov_b32 s10, 0
	s_cselect_b32 s3, -1, 0
	s_and_b32 s6, s11, 0xff
	s_and_b32 s14, s2, 0xff
	v_cmp_ne_u16_e32 vcc_lo, s6, v1
	s_mov_b32 s0, -1
	s_delay_alu instid0(VALU_DEP_3) | instskip(SKIP_2) | instid1(VALU_DEP_1)
	v_ashrrev_i32_e32 v9, 31, v8
	s_xor_b32 s2, s3, vcc_lo
	s_cmp_lt_i32 s14, 11
	v_add_nc_u64_e32 v[6:7], s[4:5], v[8:9]
	s_cbranch_scc1 .LBB30_1594
; %bb.1516:
	s_and_b32 s7, 0xffff, s14
	s_mov_b32 s11, -1
	s_mov_b32 s9, 0
	s_cmp_gt_i32 s7, 25
	s_mov_b32 s0, 0
	s_cbranch_scc0 .LBB30_1549
; %bb.1517:
	s_cmp_gt_i32 s7, 28
	s_cbranch_scc0 .LBB30_1532
; %bb.1518:
	s_cmp_gt_i32 s7, 43
	;; [unrolled: 3-line block ×3, first 2 shown]
	s_cbranch_scc0 .LBB30_1522
; %bb.1520:
	s_mov_b32 s0, -1
	s_mov_b32 s11, 0
	s_cmp_eq_u32 s7, 46
	s_cbranch_scc0 .LBB30_1522
; %bb.1521:
	v_cndmask_b32_e64 v1, 0, 1.0, s2
	s_mov_b32 s0, 0
	s_mov_b32 s10, -1
	s_delay_alu instid0(VALU_DEP_1) | instskip(NEXT) | instid1(VALU_DEP_1)
	v_bfe_u32 v3, v1, 16, 1
	v_add3_u32 v1, v1, v3, 0x7fff
	s_delay_alu instid0(VALU_DEP_1)
	v_lshrrev_b32_e32 v1, 16, v1
	global_store_b32 v[6:7], v1, off
.LBB30_1522:
	s_and_b32 vcc_lo, exec_lo, s11
	s_cbranch_vccz .LBB30_1527
; %bb.1523:
	s_cmp_eq_u32 s7, 44
	s_mov_b32 s0, -1
	s_cbranch_scc0 .LBB30_1527
; %bb.1524:
	v_cndmask_b32_e64 v5, 0, 1.0, s2
	v_mov_b32_e32 v3, 0xff
	s_mov_b32 s10, exec_lo
	s_wait_xcnt 0x0
	s_delay_alu instid0(VALU_DEP_2) | instskip(NEXT) | instid1(VALU_DEP_1)
	v_lshrrev_b32_e32 v1, 23, v5
	v_cmpx_ne_u32_e32 0xff, v1
; %bb.1525:
	v_and_b32_e32 v3, 0x400000, v5
	v_and_or_b32 v5, 0x3fffff, v5, v1
	s_delay_alu instid0(VALU_DEP_2) | instskip(NEXT) | instid1(VALU_DEP_2)
	v_cmp_ne_u32_e32 vcc_lo, 0, v3
	v_cmp_ne_u32_e64 s0, 0, v5
	s_and_b32 s0, vcc_lo, s0
	s_delay_alu instid0(SALU_CYCLE_1) | instskip(NEXT) | instid1(VALU_DEP_1)
	v_cndmask_b32_e64 v3, 0, 1, s0
	v_add_nc_u32_e32 v3, v1, v3
; %bb.1526:
	s_or_b32 exec_lo, exec_lo, s10
	s_mov_b32 s0, 0
	s_mov_b32 s10, -1
	global_store_b8 v[6:7], v3, off
.LBB30_1527:
	s_mov_b32 s11, 0
.LBB30_1528:
	s_delay_alu instid0(SALU_CYCLE_1)
	s_and_b32 vcc_lo, exec_lo, s11
	s_cbranch_vccz .LBB30_1531
; %bb.1529:
	s_cmp_eq_u32 s7, 29
	s_mov_b32 s0, -1
	s_cbranch_scc0 .LBB30_1531
; %bb.1530:
	s_mov_b32 s0, 0
	v_cndmask_b32_e64 v10, 0, 1, s2
	v_mov_b32_e32 v11, s0
	s_mov_b32 s10, -1
	global_store_b64 v[6:7], v[10:11], off
.LBB30_1531:
	s_mov_b32 s11, 0
.LBB30_1532:
	s_delay_alu instid0(SALU_CYCLE_1)
	s_and_b32 vcc_lo, exec_lo, s11
	s_cbranch_vccz .LBB30_1548
; %bb.1533:
	s_cmp_lt_i32 s7, 27
	s_mov_b32 s10, -1
	s_cbranch_scc1 .LBB30_1539
; %bb.1534:
	s_cmp_gt_i32 s7, 27
	s_cbranch_scc0 .LBB30_1536
; %bb.1535:
	s_wait_xcnt 0x0
	v_cndmask_b32_e64 v1, 0, 1, s2
	s_mov_b32 s10, 0
	global_store_b32 v[6:7], v1, off
.LBB30_1536:
	s_and_not1_b32 vcc_lo, exec_lo, s10
	s_cbranch_vccnz .LBB30_1538
; %bb.1537:
	s_wait_xcnt 0x0
	v_cndmask_b32_e64 v1, 0, 1, s2
	global_store_b16 v[6:7], v1, off
.LBB30_1538:
	s_mov_b32 s10, 0
.LBB30_1539:
	s_delay_alu instid0(SALU_CYCLE_1)
	s_and_not1_b32 vcc_lo, exec_lo, s10
	s_cbranch_vccnz .LBB30_1547
; %bb.1540:
	s_wait_xcnt 0x0
	v_cndmask_b32_e64 v3, 0, 1.0, s2
	v_mov_b32_e32 v5, 0x80
	s_mov_b32 s10, exec_lo
	s_delay_alu instid0(VALU_DEP_2)
	v_cmpx_gt_u32_e32 0x43800000, v3
	s_cbranch_execz .LBB30_1546
; %bb.1541:
	s_mov_b32 s11, 0
	s_mov_b32 s15, exec_lo
                                        ; implicit-def: $vgpr1
	v_cmpx_lt_u32_e32 0x3bffffff, v3
	s_xor_b32 s15, exec_lo, s15
	s_cbranch_execz .LBB30_1994
; %bb.1542:
	v_bfe_u32 v1, v3, 20, 1
	s_mov_b32 s11, exec_lo
	s_delay_alu instid0(VALU_DEP_1) | instskip(NEXT) | instid1(VALU_DEP_1)
	v_add3_u32 v1, v3, v1, 0x487ffff
                                        ; implicit-def: $vgpr3
	v_lshrrev_b32_e32 v1, 20, v1
	s_and_not1_saveexec_b32 s15, s15
	s_cbranch_execnz .LBB30_1995
.LBB30_1543:
	s_or_b32 exec_lo, exec_lo, s15
	v_mov_b32_e32 v5, 0
	s_and_saveexec_b32 s15, s11
.LBB30_1544:
	v_mov_b32_e32 v5, v1
.LBB30_1545:
	s_or_b32 exec_lo, exec_lo, s15
.LBB30_1546:
	s_delay_alu instid0(SALU_CYCLE_1)
	s_or_b32 exec_lo, exec_lo, s10
	global_store_b8 v[6:7], v5, off
.LBB30_1547:
	s_mov_b32 s10, -1
.LBB30_1548:
	s_mov_b32 s11, 0
.LBB30_1549:
	s_delay_alu instid0(SALU_CYCLE_1)
	s_and_b32 vcc_lo, exec_lo, s11
	s_cbranch_vccz .LBB30_1589
; %bb.1550:
	s_cmp_gt_i32 s7, 22
	s_mov_b32 s9, -1
	s_cbranch_scc0 .LBB30_1582
; %bb.1551:
	s_cmp_lt_i32 s7, 24
	s_cbranch_scc1 .LBB30_1571
; %bb.1552:
	s_cmp_gt_i32 s7, 24
	s_cbranch_scc0 .LBB30_1560
; %bb.1553:
	s_wait_xcnt 0x0
	v_cndmask_b32_e64 v3, 0, 1.0, s2
	v_mov_b32_e32 v5, 0x80
	s_mov_b32 s9, exec_lo
	s_delay_alu instid0(VALU_DEP_2)
	v_cmpx_gt_u32_e32 0x47800000, v3
	s_cbranch_execz .LBB30_1559
; %bb.1554:
	s_mov_b32 s10, 0
	s_mov_b32 s11, exec_lo
                                        ; implicit-def: $vgpr1
	v_cmpx_lt_u32_e32 0x37ffffff, v3
	s_xor_b32 s11, exec_lo, s11
	s_cbranch_execz .LBB30_1997
; %bb.1555:
	v_bfe_u32 v1, v3, 21, 1
	s_mov_b32 s10, exec_lo
	s_delay_alu instid0(VALU_DEP_1) | instskip(NEXT) | instid1(VALU_DEP_1)
	v_add3_u32 v1, v3, v1, 0x88fffff
                                        ; implicit-def: $vgpr3
	v_lshrrev_b32_e32 v1, 21, v1
	s_and_not1_saveexec_b32 s11, s11
	s_cbranch_execnz .LBB30_1998
.LBB30_1556:
	s_or_b32 exec_lo, exec_lo, s11
	v_mov_b32_e32 v5, 0
	s_and_saveexec_b32 s11, s10
.LBB30_1557:
	v_mov_b32_e32 v5, v1
.LBB30_1558:
	s_or_b32 exec_lo, exec_lo, s11
.LBB30_1559:
	s_delay_alu instid0(SALU_CYCLE_1)
	s_or_b32 exec_lo, exec_lo, s9
	s_mov_b32 s9, 0
	global_store_b8 v[6:7], v5, off
.LBB30_1560:
	s_and_b32 vcc_lo, exec_lo, s9
	s_cbranch_vccz .LBB30_1570
; %bb.1561:
	s_wait_xcnt 0x0
	v_cndmask_b32_e64 v3, 0, 1.0, s2
	s_mov_b32 s9, exec_lo
                                        ; implicit-def: $vgpr1
	s_delay_alu instid0(VALU_DEP_1)
	v_cmpx_gt_u32_e32 0x43f00000, v3
	s_xor_b32 s9, exec_lo, s9
	s_cbranch_execz .LBB30_1567
; %bb.1562:
	s_mov_b32 s10, exec_lo
                                        ; implicit-def: $vgpr1
	v_cmpx_lt_u32_e32 0x3c7fffff, v3
	s_xor_b32 s10, exec_lo, s10
; %bb.1563:
	v_bfe_u32 v1, v3, 20, 1
	s_delay_alu instid0(VALU_DEP_1) | instskip(NEXT) | instid1(VALU_DEP_1)
	v_add3_u32 v1, v3, v1, 0x407ffff
	v_and_b32_e32 v3, 0xff00000, v1
	v_lshrrev_b32_e32 v1, 20, v1
	s_delay_alu instid0(VALU_DEP_2) | instskip(NEXT) | instid1(VALU_DEP_2)
	v_cmp_ne_u32_e32 vcc_lo, 0x7f00000, v3
                                        ; implicit-def: $vgpr3
	v_cndmask_b32_e32 v1, 0x7e, v1, vcc_lo
; %bb.1564:
	s_and_not1_saveexec_b32 s10, s10
; %bb.1565:
	v_add_f32_e32 v1, 0x46800000, v3
; %bb.1566:
	s_or_b32 exec_lo, exec_lo, s10
                                        ; implicit-def: $vgpr3
.LBB30_1567:
	s_and_not1_saveexec_b32 s9, s9
; %bb.1568:
	v_mov_b32_e32 v1, 0x7f
	v_cmp_lt_u32_e32 vcc_lo, 0x7f800000, v3
	s_delay_alu instid0(VALU_DEP_2)
	v_cndmask_b32_e32 v1, 0x7e, v1, vcc_lo
; %bb.1569:
	s_or_b32 exec_lo, exec_lo, s9
	global_store_b8 v[6:7], v1, off
.LBB30_1570:
	s_mov_b32 s9, 0
.LBB30_1571:
	s_delay_alu instid0(SALU_CYCLE_1)
	s_and_not1_b32 vcc_lo, exec_lo, s9
	s_cbranch_vccnz .LBB30_1581
; %bb.1572:
	s_wait_xcnt 0x0
	v_cndmask_b32_e64 v3, 0, 1.0, s2
	s_mov_b32 s9, exec_lo
                                        ; implicit-def: $vgpr1
	s_delay_alu instid0(VALU_DEP_1)
	v_cmpx_gt_u32_e32 0x47800000, v3
	s_xor_b32 s9, exec_lo, s9
	s_cbranch_execz .LBB30_1578
; %bb.1573:
	s_mov_b32 s10, exec_lo
                                        ; implicit-def: $vgpr1
	v_cmpx_lt_u32_e32 0x387fffff, v3
	s_xor_b32 s10, exec_lo, s10
; %bb.1574:
	v_bfe_u32 v1, v3, 21, 1
	s_delay_alu instid0(VALU_DEP_1) | instskip(NEXT) | instid1(VALU_DEP_1)
	v_add3_u32 v1, v3, v1, 0x80fffff
                                        ; implicit-def: $vgpr3
	v_lshrrev_b32_e32 v1, 21, v1
; %bb.1575:
	s_and_not1_saveexec_b32 s10, s10
; %bb.1576:
	v_add_f32_e32 v1, 0x43000000, v3
; %bb.1577:
	s_or_b32 exec_lo, exec_lo, s10
                                        ; implicit-def: $vgpr3
.LBB30_1578:
	s_and_not1_saveexec_b32 s9, s9
; %bb.1579:
	v_mov_b32_e32 v1, 0x7f
	v_cmp_lt_u32_e32 vcc_lo, 0x7f800000, v3
	s_delay_alu instid0(VALU_DEP_2)
	v_cndmask_b32_e32 v1, 0x7c, v1, vcc_lo
; %bb.1580:
	s_or_b32 exec_lo, exec_lo, s9
	global_store_b8 v[6:7], v1, off
.LBB30_1581:
	s_mov_b32 s9, 0
	s_mov_b32 s10, -1
.LBB30_1582:
	s_and_not1_b32 vcc_lo, exec_lo, s9
	s_mov_b32 s9, 0
	s_cbranch_vccnz .LBB30_1589
; %bb.1583:
	s_cmp_gt_i32 s7, 14
	s_mov_b32 s9, -1
	s_cbranch_scc0 .LBB30_1587
; %bb.1584:
	s_cmp_eq_u32 s7, 15
	s_mov_b32 s0, -1
	s_cbranch_scc0 .LBB30_1586
; %bb.1585:
	s_wait_xcnt 0x0
	v_cndmask_b32_e64 v1, 0, 1.0, s2
	s_mov_b32 s0, 0
	s_mov_b32 s10, -1
	s_delay_alu instid0(VALU_DEP_1) | instskip(NEXT) | instid1(VALU_DEP_1)
	v_bfe_u32 v3, v1, 16, 1
	v_add3_u32 v1, v1, v3, 0x7fff
	global_store_d16_hi_b16 v[6:7], v1, off
.LBB30_1586:
	s_mov_b32 s9, 0
.LBB30_1587:
	s_delay_alu instid0(SALU_CYCLE_1)
	s_and_b32 vcc_lo, exec_lo, s9
	s_mov_b32 s9, 0
	s_cbranch_vccz .LBB30_1589
; %bb.1588:
	s_cmp_lg_u32 s7, 11
	s_mov_b32 s9, -1
	s_cselect_b32 s0, -1, 0
.LBB30_1589:
	s_delay_alu instid0(SALU_CYCLE_1)
	s_and_b32 vcc_lo, exec_lo, s0
	s_cbranch_vccnz .LBB30_1996
; %bb.1590:
	s_and_not1_b32 vcc_lo, exec_lo, s9
	s_cbranch_vccnz .LBB30_1592
.LBB30_1591:
	s_wait_xcnt 0x0
	v_cndmask_b32_e64 v1, 0, 1, s2
	s_mov_b32 s10, -1
	global_store_b8 v[6:7], v1, off
.LBB30_1592:
.LBB30_1593:
	s_and_not1_b32 vcc_lo, exec_lo, s10
	s_cbranch_vccnz .LBB30_1947
	s_branch .LBB30_1633
.LBB30_1594:
	s_and_b32 vcc_lo, exec_lo, s0
	s_cbranch_vccz .LBB30_1593
; %bb.1595:
	s_and_b32 s0, 0xffff, s14
	s_mov_b32 s7, -1
	s_cmp_lt_i32 s0, 5
	s_cbranch_scc1 .LBB30_1616
; %bb.1596:
	s_cmp_lt_i32 s0, 8
	s_cbranch_scc1 .LBB30_1606
; %bb.1597:
	;; [unrolled: 3-line block ×3, first 2 shown]
	s_cmp_gt_i32 s0, 9
	s_cbranch_scc0 .LBB30_1600
; %bb.1599:
	s_wait_xcnt 0x0
	v_cndmask_b32_e64 v1, 0, 1, s2
	v_mov_b32_e32 v12, 0
	s_mov_b32 s7, 0
	s_delay_alu instid0(VALU_DEP_2) | instskip(NEXT) | instid1(VALU_DEP_2)
	v_cvt_f64_u32_e32 v[10:11], v1
	v_mov_b32_e32 v13, v12
	global_store_b128 v[6:7], v[10:13], off
.LBB30_1600:
	s_and_not1_b32 vcc_lo, exec_lo, s7
	s_cbranch_vccnz .LBB30_1602
; %bb.1601:
	s_wait_xcnt 0x0
	v_cndmask_b32_e64 v10, 0, 1.0, s2
	v_mov_b32_e32 v11, 0
	global_store_b64 v[6:7], v[10:11], off
.LBB30_1602:
	s_mov_b32 s7, 0
.LBB30_1603:
	s_delay_alu instid0(SALU_CYCLE_1)
	s_and_not1_b32 vcc_lo, exec_lo, s7
	s_cbranch_vccnz .LBB30_1605
; %bb.1604:
	s_wait_xcnt 0x0
	v_cndmask_b32_e64 v1, 0, 1.0, s2
	s_delay_alu instid0(VALU_DEP_1) | instskip(NEXT) | instid1(VALU_DEP_1)
	v_cvt_f16_f32_e32 v1, v1
	v_and_b32_e32 v1, 0xffff, v1
	global_store_b32 v[6:7], v1, off
.LBB30_1605:
	s_mov_b32 s7, 0
.LBB30_1606:
	s_delay_alu instid0(SALU_CYCLE_1)
	s_and_not1_b32 vcc_lo, exec_lo, s7
	s_cbranch_vccnz .LBB30_1615
; %bb.1607:
	s_cmp_lt_i32 s0, 6
	s_mov_b32 s7, -1
	s_cbranch_scc1 .LBB30_1613
; %bb.1608:
	s_cmp_gt_i32 s0, 6
	s_cbranch_scc0 .LBB30_1610
; %bb.1609:
	s_wait_xcnt 0x0
	v_cndmask_b32_e64 v1, 0, 1, s2
	s_mov_b32 s7, 0
	s_delay_alu instid0(VALU_DEP_1)
	v_cvt_f64_u32_e32 v[10:11], v1
	global_store_b64 v[6:7], v[10:11], off
.LBB30_1610:
	s_and_not1_b32 vcc_lo, exec_lo, s7
	s_cbranch_vccnz .LBB30_1612
; %bb.1611:
	s_wait_xcnt 0x0
	v_cndmask_b32_e64 v1, 0, 1.0, s2
	global_store_b32 v[6:7], v1, off
.LBB30_1612:
	s_mov_b32 s7, 0
.LBB30_1613:
	s_delay_alu instid0(SALU_CYCLE_1)
	s_and_not1_b32 vcc_lo, exec_lo, s7
	s_cbranch_vccnz .LBB30_1615
; %bb.1614:
	s_wait_xcnt 0x0
	v_cndmask_b32_e64 v1, 0, 1.0, s2
	s_delay_alu instid0(VALU_DEP_1)
	v_cvt_f16_f32_e32 v1, v1
	global_store_b16 v[6:7], v1, off
.LBB30_1615:
	s_mov_b32 s7, 0
.LBB30_1616:
	s_delay_alu instid0(SALU_CYCLE_1)
	s_and_not1_b32 vcc_lo, exec_lo, s7
	s_cbranch_vccnz .LBB30_1632
; %bb.1617:
	s_cmp_lt_i32 s0, 2
	s_mov_b32 s7, -1
	s_cbranch_scc1 .LBB30_1627
; %bb.1618:
	s_cmp_lt_i32 s0, 3
	s_cbranch_scc1 .LBB30_1624
; %bb.1619:
	s_cmp_gt_i32 s0, 3
	s_cbranch_scc0 .LBB30_1621
; %bb.1620:
	s_mov_b32 s7, 0
	s_wait_xcnt 0x0
	v_cndmask_b32_e64 v10, 0, 1, s2
	v_mov_b32_e32 v11, s7
	global_store_b64 v[6:7], v[10:11], off
.LBB30_1621:
	s_and_not1_b32 vcc_lo, exec_lo, s7
	s_cbranch_vccnz .LBB30_1623
; %bb.1622:
	s_wait_xcnt 0x0
	v_cndmask_b32_e64 v1, 0, 1, s2
	global_store_b32 v[6:7], v1, off
.LBB30_1623:
	s_mov_b32 s7, 0
.LBB30_1624:
	s_delay_alu instid0(SALU_CYCLE_1)
	s_and_not1_b32 vcc_lo, exec_lo, s7
	s_cbranch_vccnz .LBB30_1626
; %bb.1625:
	s_wait_xcnt 0x0
	v_cndmask_b32_e64 v1, 0, 1, s2
	global_store_b16 v[6:7], v1, off
.LBB30_1626:
	s_mov_b32 s7, 0
.LBB30_1627:
	s_delay_alu instid0(SALU_CYCLE_1)
	s_and_not1_b32 vcc_lo, exec_lo, s7
	s_cbranch_vccnz .LBB30_1632
; %bb.1628:
	s_wait_xcnt 0x0
	v_cndmask_b32_e64 v1, 0, 1, s2
	s_cmp_gt_i32 s0, 0
	s_mov_b32 s0, -1
	s_cbranch_scc0 .LBB30_1630
; %bb.1629:
	s_mov_b32 s0, 0
	global_store_b8 v[6:7], v1, off
.LBB30_1630:
	s_and_not1_b32 vcc_lo, exec_lo, s0
	s_cbranch_vccnz .LBB30_1632
; %bb.1631:
	global_store_b8 v[6:7], v1, off
.LBB30_1632:
.LBB30_1633:
	s_lshl_b32 s2, s8, 7
	s_wait_xcnt 0x0
	v_and_b32_e32 v1, 0xff, v4
	v_add_nc_u32_e32 v6, s2, v8
	s_delay_alu instid0(VALU_DEP_2) | instskip(NEXT) | instid1(VALU_DEP_2)
	v_cmp_ne_u16_e32 vcc_lo, s6, v1
	v_ashrrev_i32_e32 v7, 31, v6
	s_xor_b32 s7, s3, vcc_lo
	s_delay_alu instid0(VALU_DEP_1)
	v_add_nc_u64_e32 v[4:5], s[4:5], v[6:7]
	s_cmp_lt_i32 s14, 11
	s_cbranch_scc1 .LBB30_1711
; %bb.1634:
	s_and_b32 s8, 0xffff, s14
	s_mov_b32 s11, -1
	s_mov_b32 s9, 0
	s_cmp_gt_i32 s8, 25
	s_mov_b32 s10, 0
	s_mov_b32 s0, 0
	s_cbranch_scc0 .LBB30_1667
; %bb.1635:
	s_cmp_gt_i32 s8, 28
	s_cbranch_scc0 .LBB30_1650
; %bb.1636:
	s_cmp_gt_i32 s8, 43
	s_cbranch_scc0 .LBB30_1646
; %bb.1637:
	s_cmp_gt_i32 s8, 45
	s_cbranch_scc0 .LBB30_1640
; %bb.1638:
	s_mov_b32 s0, -1
	s_mov_b32 s11, 0
	s_cmp_eq_u32 s8, 46
	s_cbranch_scc0 .LBB30_1640
; %bb.1639:
	v_cndmask_b32_e64 v1, 0, 1.0, s7
	s_mov_b32 s0, 0
	s_mov_b32 s10, -1
	s_delay_alu instid0(VALU_DEP_1) | instskip(NEXT) | instid1(VALU_DEP_1)
	v_bfe_u32 v3, v1, 16, 1
	v_add3_u32 v1, v1, v3, 0x7fff
	s_delay_alu instid0(VALU_DEP_1)
	v_lshrrev_b32_e32 v1, 16, v1
	global_store_b32 v[4:5], v1, off
.LBB30_1640:
	s_and_b32 vcc_lo, exec_lo, s11
	s_cbranch_vccz .LBB30_1645
; %bb.1641:
	s_cmp_eq_u32 s8, 44
	s_mov_b32 s0, -1
	s_cbranch_scc0 .LBB30_1645
; %bb.1642:
	v_cndmask_b32_e64 v7, 0, 1.0, s7
	v_mov_b32_e32 v3, 0xff
	s_mov_b32 s10, exec_lo
	s_wait_xcnt 0x0
	s_delay_alu instid0(VALU_DEP_2) | instskip(NEXT) | instid1(VALU_DEP_1)
	v_lshrrev_b32_e32 v1, 23, v7
	v_cmpx_ne_u32_e32 0xff, v1
; %bb.1643:
	v_and_b32_e32 v3, 0x400000, v7
	v_and_or_b32 v7, 0x3fffff, v7, v1
	s_delay_alu instid0(VALU_DEP_2) | instskip(NEXT) | instid1(VALU_DEP_2)
	v_cmp_ne_u32_e32 vcc_lo, 0, v3
	v_cmp_ne_u32_e64 s0, 0, v7
	s_and_b32 s0, vcc_lo, s0
	s_delay_alu instid0(SALU_CYCLE_1) | instskip(NEXT) | instid1(VALU_DEP_1)
	v_cndmask_b32_e64 v3, 0, 1, s0
	v_add_nc_u32_e32 v3, v1, v3
; %bb.1644:
	s_or_b32 exec_lo, exec_lo, s10
	s_mov_b32 s0, 0
	s_mov_b32 s10, -1
	global_store_b8 v[4:5], v3, off
.LBB30_1645:
	s_mov_b32 s11, 0
.LBB30_1646:
	s_delay_alu instid0(SALU_CYCLE_1)
	s_and_b32 vcc_lo, exec_lo, s11
	s_cbranch_vccz .LBB30_1649
; %bb.1647:
	s_cmp_eq_u32 s8, 29
	s_mov_b32 s0, -1
	s_cbranch_scc0 .LBB30_1649
; %bb.1648:
	s_mov_b32 s0, 0
	v_cndmask_b32_e64 v8, 0, 1, s7
	v_mov_b32_e32 v9, s0
	s_mov_b32 s10, -1
	global_store_b64 v[4:5], v[8:9], off
.LBB30_1649:
	s_mov_b32 s11, 0
.LBB30_1650:
	s_delay_alu instid0(SALU_CYCLE_1)
	s_and_b32 vcc_lo, exec_lo, s11
	s_cbranch_vccz .LBB30_1666
; %bb.1651:
	s_cmp_lt_i32 s8, 27
	s_mov_b32 s10, -1
	s_cbranch_scc1 .LBB30_1657
; %bb.1652:
	s_cmp_gt_i32 s8, 27
	s_cbranch_scc0 .LBB30_1654
; %bb.1653:
	s_wait_xcnt 0x0
	v_cndmask_b32_e64 v1, 0, 1, s7
	s_mov_b32 s10, 0
	global_store_b32 v[4:5], v1, off
.LBB30_1654:
	s_and_not1_b32 vcc_lo, exec_lo, s10
	s_cbranch_vccnz .LBB30_1656
; %bb.1655:
	s_wait_xcnt 0x0
	v_cndmask_b32_e64 v1, 0, 1, s7
	global_store_b16 v[4:5], v1, off
.LBB30_1656:
	s_mov_b32 s10, 0
.LBB30_1657:
	s_delay_alu instid0(SALU_CYCLE_1)
	s_and_not1_b32 vcc_lo, exec_lo, s10
	s_cbranch_vccnz .LBB30_1665
; %bb.1658:
	s_wait_xcnt 0x0
	v_cndmask_b32_e64 v3, 0, 1.0, s7
	v_mov_b32_e32 v7, 0x80
	s_mov_b32 s10, exec_lo
	s_delay_alu instid0(VALU_DEP_2)
	v_cmpx_gt_u32_e32 0x43800000, v3
	s_cbranch_execz .LBB30_1664
; %bb.1659:
	s_mov_b32 s11, 0
	s_mov_b32 s15, exec_lo
                                        ; implicit-def: $vgpr1
	v_cmpx_lt_u32_e32 0x3bffffff, v3
	s_xor_b32 s15, exec_lo, s15
	s_cbranch_execz .LBB30_1999
; %bb.1660:
	v_bfe_u32 v1, v3, 20, 1
	s_mov_b32 s11, exec_lo
	s_delay_alu instid0(VALU_DEP_1) | instskip(NEXT) | instid1(VALU_DEP_1)
	v_add3_u32 v1, v3, v1, 0x487ffff
                                        ; implicit-def: $vgpr3
	v_lshrrev_b32_e32 v1, 20, v1
	s_and_not1_saveexec_b32 s15, s15
	s_cbranch_execnz .LBB30_2000
.LBB30_1661:
	s_or_b32 exec_lo, exec_lo, s15
	v_mov_b32_e32 v7, 0
	s_and_saveexec_b32 s15, s11
.LBB30_1662:
	v_mov_b32_e32 v7, v1
.LBB30_1663:
	s_or_b32 exec_lo, exec_lo, s15
.LBB30_1664:
	s_delay_alu instid0(SALU_CYCLE_1)
	s_or_b32 exec_lo, exec_lo, s10
	global_store_b8 v[4:5], v7, off
.LBB30_1665:
	s_mov_b32 s10, -1
.LBB30_1666:
	s_mov_b32 s11, 0
.LBB30_1667:
	s_delay_alu instid0(SALU_CYCLE_1)
	s_and_b32 vcc_lo, exec_lo, s11
	s_cbranch_vccz .LBB30_1707
; %bb.1668:
	s_cmp_gt_i32 s8, 22
	s_mov_b32 s9, -1
	s_cbranch_scc0 .LBB30_1700
; %bb.1669:
	s_cmp_lt_i32 s8, 24
	s_cbranch_scc1 .LBB30_1689
; %bb.1670:
	s_cmp_gt_i32 s8, 24
	s_cbranch_scc0 .LBB30_1678
; %bb.1671:
	s_wait_xcnt 0x0
	v_cndmask_b32_e64 v3, 0, 1.0, s7
	v_mov_b32_e32 v7, 0x80
	s_mov_b32 s9, exec_lo
	s_delay_alu instid0(VALU_DEP_2)
	v_cmpx_gt_u32_e32 0x47800000, v3
	s_cbranch_execz .LBB30_1677
; %bb.1672:
	s_mov_b32 s10, 0
	s_mov_b32 s11, exec_lo
                                        ; implicit-def: $vgpr1
	v_cmpx_lt_u32_e32 0x37ffffff, v3
	s_xor_b32 s11, exec_lo, s11
	s_cbranch_execz .LBB30_2002
; %bb.1673:
	v_bfe_u32 v1, v3, 21, 1
	s_mov_b32 s10, exec_lo
	s_delay_alu instid0(VALU_DEP_1) | instskip(NEXT) | instid1(VALU_DEP_1)
	v_add3_u32 v1, v3, v1, 0x88fffff
                                        ; implicit-def: $vgpr3
	v_lshrrev_b32_e32 v1, 21, v1
	s_and_not1_saveexec_b32 s11, s11
	s_cbranch_execnz .LBB30_2003
.LBB30_1674:
	s_or_b32 exec_lo, exec_lo, s11
	v_mov_b32_e32 v7, 0
	s_and_saveexec_b32 s11, s10
.LBB30_1675:
	v_mov_b32_e32 v7, v1
.LBB30_1676:
	s_or_b32 exec_lo, exec_lo, s11
.LBB30_1677:
	s_delay_alu instid0(SALU_CYCLE_1)
	s_or_b32 exec_lo, exec_lo, s9
	s_mov_b32 s9, 0
	global_store_b8 v[4:5], v7, off
.LBB30_1678:
	s_and_b32 vcc_lo, exec_lo, s9
	s_cbranch_vccz .LBB30_1688
; %bb.1679:
	s_wait_xcnt 0x0
	v_cndmask_b32_e64 v3, 0, 1.0, s7
	s_mov_b32 s9, exec_lo
                                        ; implicit-def: $vgpr1
	s_delay_alu instid0(VALU_DEP_1)
	v_cmpx_gt_u32_e32 0x43f00000, v3
	s_xor_b32 s9, exec_lo, s9
	s_cbranch_execz .LBB30_1685
; %bb.1680:
	s_mov_b32 s10, exec_lo
                                        ; implicit-def: $vgpr1
	v_cmpx_lt_u32_e32 0x3c7fffff, v3
	s_xor_b32 s10, exec_lo, s10
; %bb.1681:
	v_bfe_u32 v1, v3, 20, 1
	s_delay_alu instid0(VALU_DEP_1) | instskip(NEXT) | instid1(VALU_DEP_1)
	v_add3_u32 v1, v3, v1, 0x407ffff
	v_and_b32_e32 v3, 0xff00000, v1
	v_lshrrev_b32_e32 v1, 20, v1
	s_delay_alu instid0(VALU_DEP_2) | instskip(NEXT) | instid1(VALU_DEP_2)
	v_cmp_ne_u32_e32 vcc_lo, 0x7f00000, v3
                                        ; implicit-def: $vgpr3
	v_cndmask_b32_e32 v1, 0x7e, v1, vcc_lo
; %bb.1682:
	s_and_not1_saveexec_b32 s10, s10
; %bb.1683:
	v_add_f32_e32 v1, 0x46800000, v3
; %bb.1684:
	s_or_b32 exec_lo, exec_lo, s10
                                        ; implicit-def: $vgpr3
.LBB30_1685:
	s_and_not1_saveexec_b32 s9, s9
; %bb.1686:
	v_mov_b32_e32 v1, 0x7f
	v_cmp_lt_u32_e32 vcc_lo, 0x7f800000, v3
	s_delay_alu instid0(VALU_DEP_2)
	v_cndmask_b32_e32 v1, 0x7e, v1, vcc_lo
; %bb.1687:
	s_or_b32 exec_lo, exec_lo, s9
	global_store_b8 v[4:5], v1, off
.LBB30_1688:
	s_mov_b32 s9, 0
.LBB30_1689:
	s_delay_alu instid0(SALU_CYCLE_1)
	s_and_not1_b32 vcc_lo, exec_lo, s9
	s_cbranch_vccnz .LBB30_1699
; %bb.1690:
	s_wait_xcnt 0x0
	v_cndmask_b32_e64 v3, 0, 1.0, s7
	s_mov_b32 s9, exec_lo
                                        ; implicit-def: $vgpr1
	s_delay_alu instid0(VALU_DEP_1)
	v_cmpx_gt_u32_e32 0x47800000, v3
	s_xor_b32 s9, exec_lo, s9
	s_cbranch_execz .LBB30_1696
; %bb.1691:
	s_mov_b32 s10, exec_lo
                                        ; implicit-def: $vgpr1
	v_cmpx_lt_u32_e32 0x387fffff, v3
	s_xor_b32 s10, exec_lo, s10
; %bb.1692:
	v_bfe_u32 v1, v3, 21, 1
	s_delay_alu instid0(VALU_DEP_1) | instskip(NEXT) | instid1(VALU_DEP_1)
	v_add3_u32 v1, v3, v1, 0x80fffff
                                        ; implicit-def: $vgpr3
	v_lshrrev_b32_e32 v1, 21, v1
; %bb.1693:
	s_and_not1_saveexec_b32 s10, s10
; %bb.1694:
	v_add_f32_e32 v1, 0x43000000, v3
; %bb.1695:
	s_or_b32 exec_lo, exec_lo, s10
                                        ; implicit-def: $vgpr3
.LBB30_1696:
	s_and_not1_saveexec_b32 s9, s9
; %bb.1697:
	v_mov_b32_e32 v1, 0x7f
	v_cmp_lt_u32_e32 vcc_lo, 0x7f800000, v3
	s_delay_alu instid0(VALU_DEP_2)
	v_cndmask_b32_e32 v1, 0x7c, v1, vcc_lo
; %bb.1698:
	s_or_b32 exec_lo, exec_lo, s9
	global_store_b8 v[4:5], v1, off
.LBB30_1699:
	s_mov_b32 s9, 0
	s_mov_b32 s10, -1
.LBB30_1700:
	s_and_not1_b32 vcc_lo, exec_lo, s9
	s_mov_b32 s9, 0
	s_cbranch_vccnz .LBB30_1707
; %bb.1701:
	s_cmp_gt_i32 s8, 14
	s_mov_b32 s9, -1
	s_cbranch_scc0 .LBB30_1705
; %bb.1702:
	s_cmp_eq_u32 s8, 15
	s_mov_b32 s0, -1
	s_cbranch_scc0 .LBB30_1704
; %bb.1703:
	s_wait_xcnt 0x0
	v_cndmask_b32_e64 v1, 0, 1.0, s7
	s_mov_b32 s0, 0
	s_mov_b32 s10, -1
	s_delay_alu instid0(VALU_DEP_1) | instskip(NEXT) | instid1(VALU_DEP_1)
	v_bfe_u32 v3, v1, 16, 1
	v_add3_u32 v1, v1, v3, 0x7fff
	global_store_d16_hi_b16 v[4:5], v1, off
.LBB30_1704:
	s_mov_b32 s9, 0
.LBB30_1705:
	s_delay_alu instid0(SALU_CYCLE_1)
	s_and_b32 vcc_lo, exec_lo, s9
	s_mov_b32 s9, 0
	s_cbranch_vccz .LBB30_1707
; %bb.1706:
	s_cmp_lg_u32 s8, 11
	s_mov_b32 s9, -1
	s_cselect_b32 s0, -1, 0
.LBB30_1707:
	s_delay_alu instid0(SALU_CYCLE_1)
	s_and_b32 vcc_lo, exec_lo, s0
	s_cbranch_vccnz .LBB30_2001
; %bb.1708:
	s_and_not1_b32 vcc_lo, exec_lo, s9
	s_cbranch_vccnz .LBB30_1710
.LBB30_1709:
	s_wait_xcnt 0x0
	v_cndmask_b32_e64 v1, 0, 1, s7
	s_mov_b32 s10, -1
	global_store_b8 v[4:5], v1, off
.LBB30_1710:
	s_mov_b32 s0, 0
	s_branch .LBB30_1712
.LBB30_1711:
	s_mov_b32 s0, -1
	s_mov_b32 s10, 0
.LBB30_1712:
	s_and_b32 vcc_lo, exec_lo, s0
	s_cbranch_vccz .LBB30_1751
; %bb.1713:
	s_and_b32 s0, 0xffff, s14
	s_mov_b32 s8, -1
	s_cmp_lt_i32 s0, 5
	s_cbranch_scc1 .LBB30_1734
; %bb.1714:
	s_cmp_lt_i32 s0, 8
	s_cbranch_scc1 .LBB30_1724
; %bb.1715:
	;; [unrolled: 3-line block ×3, first 2 shown]
	s_cmp_gt_i32 s0, 9
	s_cbranch_scc0 .LBB30_1718
; %bb.1717:
	s_wait_xcnt 0x0
	v_cndmask_b32_e64 v1, 0, 1, s7
	v_mov_b32_e32 v10, 0
	s_mov_b32 s8, 0
	s_delay_alu instid0(VALU_DEP_2) | instskip(NEXT) | instid1(VALU_DEP_2)
	v_cvt_f64_u32_e32 v[8:9], v1
	v_mov_b32_e32 v11, v10
	global_store_b128 v[4:5], v[8:11], off
.LBB30_1718:
	s_and_not1_b32 vcc_lo, exec_lo, s8
	s_cbranch_vccnz .LBB30_1720
; %bb.1719:
	s_wait_xcnt 0x0
	v_cndmask_b32_e64 v8, 0, 1.0, s7
	v_mov_b32_e32 v9, 0
	global_store_b64 v[4:5], v[8:9], off
.LBB30_1720:
	s_mov_b32 s8, 0
.LBB30_1721:
	s_delay_alu instid0(SALU_CYCLE_1)
	s_and_not1_b32 vcc_lo, exec_lo, s8
	s_cbranch_vccnz .LBB30_1723
; %bb.1722:
	s_wait_xcnt 0x0
	v_cndmask_b32_e64 v1, 0, 1.0, s7
	s_delay_alu instid0(VALU_DEP_1) | instskip(NEXT) | instid1(VALU_DEP_1)
	v_cvt_f16_f32_e32 v1, v1
	v_and_b32_e32 v1, 0xffff, v1
	global_store_b32 v[4:5], v1, off
.LBB30_1723:
	s_mov_b32 s8, 0
.LBB30_1724:
	s_delay_alu instid0(SALU_CYCLE_1)
	s_and_not1_b32 vcc_lo, exec_lo, s8
	s_cbranch_vccnz .LBB30_1733
; %bb.1725:
	s_cmp_lt_i32 s0, 6
	s_mov_b32 s8, -1
	s_cbranch_scc1 .LBB30_1731
; %bb.1726:
	s_cmp_gt_i32 s0, 6
	s_cbranch_scc0 .LBB30_1728
; %bb.1727:
	s_wait_xcnt 0x0
	v_cndmask_b32_e64 v1, 0, 1, s7
	s_mov_b32 s8, 0
	s_delay_alu instid0(VALU_DEP_1)
	v_cvt_f64_u32_e32 v[8:9], v1
	global_store_b64 v[4:5], v[8:9], off
.LBB30_1728:
	s_and_not1_b32 vcc_lo, exec_lo, s8
	s_cbranch_vccnz .LBB30_1730
; %bb.1729:
	s_wait_xcnt 0x0
	v_cndmask_b32_e64 v1, 0, 1.0, s7
	global_store_b32 v[4:5], v1, off
.LBB30_1730:
	s_mov_b32 s8, 0
.LBB30_1731:
	s_delay_alu instid0(SALU_CYCLE_1)
	s_and_not1_b32 vcc_lo, exec_lo, s8
	s_cbranch_vccnz .LBB30_1733
; %bb.1732:
	s_wait_xcnt 0x0
	v_cndmask_b32_e64 v1, 0, 1.0, s7
	s_delay_alu instid0(VALU_DEP_1)
	v_cvt_f16_f32_e32 v1, v1
	global_store_b16 v[4:5], v1, off
.LBB30_1733:
	s_mov_b32 s8, 0
.LBB30_1734:
	s_delay_alu instid0(SALU_CYCLE_1)
	s_and_not1_b32 vcc_lo, exec_lo, s8
	s_cbranch_vccnz .LBB30_1750
; %bb.1735:
	s_cmp_lt_i32 s0, 2
	s_mov_b32 s8, -1
	s_cbranch_scc1 .LBB30_1745
; %bb.1736:
	s_cmp_lt_i32 s0, 3
	s_cbranch_scc1 .LBB30_1742
; %bb.1737:
	s_cmp_gt_i32 s0, 3
	s_cbranch_scc0 .LBB30_1739
; %bb.1738:
	s_mov_b32 s8, 0
	s_wait_xcnt 0x0
	v_cndmask_b32_e64 v8, 0, 1, s7
	v_mov_b32_e32 v9, s8
	global_store_b64 v[4:5], v[8:9], off
.LBB30_1739:
	s_and_not1_b32 vcc_lo, exec_lo, s8
	s_cbranch_vccnz .LBB30_1741
; %bb.1740:
	s_wait_xcnt 0x0
	v_cndmask_b32_e64 v1, 0, 1, s7
	global_store_b32 v[4:5], v1, off
.LBB30_1741:
	s_mov_b32 s8, 0
.LBB30_1742:
	s_delay_alu instid0(SALU_CYCLE_1)
	s_and_not1_b32 vcc_lo, exec_lo, s8
	s_cbranch_vccnz .LBB30_1744
; %bb.1743:
	s_wait_xcnt 0x0
	v_cndmask_b32_e64 v1, 0, 1, s7
	global_store_b16 v[4:5], v1, off
.LBB30_1744:
	s_mov_b32 s8, 0
.LBB30_1745:
	s_delay_alu instid0(SALU_CYCLE_1)
	s_and_not1_b32 vcc_lo, exec_lo, s8
	s_cbranch_vccnz .LBB30_1750
; %bb.1746:
	s_wait_xcnt 0x0
	v_cndmask_b32_e64 v1, 0, 1, s7
	s_cmp_gt_i32 s0, 0
	s_mov_b32 s0, -1
	s_cbranch_scc0 .LBB30_1748
; %bb.1747:
	s_mov_b32 s0, 0
	global_store_b8 v[4:5], v1, off
.LBB30_1748:
	s_and_not1_b32 vcc_lo, exec_lo, s0
	s_cbranch_vccnz .LBB30_1750
; %bb.1749:
	global_store_b8 v[4:5], v1, off
.LBB30_1750:
	s_mov_b32 s10, -1
.LBB30_1751:
	s_delay_alu instid0(SALU_CYCLE_1)
	s_and_not1_b32 vcc_lo, exec_lo, s10
	s_cbranch_vccnz .LBB30_1947
; %bb.1752:
	s_wait_xcnt 0x0
	v_add_nc_u32_e32 v4, s2, v6
	v_and_b32_e32 v1, 0xff, v2
	s_delay_alu instid0(VALU_DEP_2) | instskip(NEXT) | instid1(VALU_DEP_2)
	v_ashrrev_i32_e32 v5, 31, v4
	v_cmp_ne_u16_e32 vcc_lo, s6, v1
	s_delay_alu instid0(VALU_DEP_2)
	v_add_nc_u64_e32 v[2:3], s[4:5], v[4:5]
	s_xor_b32 s7, s3, vcc_lo
	s_cmp_lt_i32 s14, 11
	s_cbranch_scc1 .LBB30_1830
; %bb.1753:
	s_and_b32 s8, 0xffff, s14
	s_mov_b32 s11, -1
	s_mov_b32 s9, 0
	s_cmp_gt_i32 s8, 25
	s_mov_b32 s10, 0
	s_mov_b32 s0, 0
	s_cbranch_scc0 .LBB30_1786
; %bb.1754:
	s_cmp_gt_i32 s8, 28
	s_cbranch_scc0 .LBB30_1769
; %bb.1755:
	s_cmp_gt_i32 s8, 43
	;; [unrolled: 3-line block ×3, first 2 shown]
	s_cbranch_scc0 .LBB30_1759
; %bb.1757:
	s_mov_b32 s0, -1
	s_mov_b32 s11, 0
	s_cmp_eq_u32 s8, 46
	s_cbranch_scc0 .LBB30_1759
; %bb.1758:
	v_cndmask_b32_e64 v1, 0, 1.0, s7
	s_mov_b32 s0, 0
	s_mov_b32 s10, -1
	s_delay_alu instid0(VALU_DEP_1) | instskip(NEXT) | instid1(VALU_DEP_1)
	v_bfe_u32 v5, v1, 16, 1
	v_add3_u32 v1, v1, v5, 0x7fff
	s_delay_alu instid0(VALU_DEP_1)
	v_lshrrev_b32_e32 v1, 16, v1
	global_store_b32 v[2:3], v1, off
.LBB30_1759:
	s_and_b32 vcc_lo, exec_lo, s11
	s_cbranch_vccz .LBB30_1764
; %bb.1760:
	s_cmp_eq_u32 s8, 44
	s_mov_b32 s0, -1
	s_cbranch_scc0 .LBB30_1764
; %bb.1761:
	v_cndmask_b32_e64 v6, 0, 1.0, s7
	v_mov_b32_e32 v5, 0xff
	s_mov_b32 s10, exec_lo
	s_wait_xcnt 0x0
	s_delay_alu instid0(VALU_DEP_2) | instskip(NEXT) | instid1(VALU_DEP_1)
	v_lshrrev_b32_e32 v1, 23, v6
	v_cmpx_ne_u32_e32 0xff, v1
; %bb.1762:
	v_and_b32_e32 v5, 0x400000, v6
	v_and_or_b32 v6, 0x3fffff, v6, v1
	s_delay_alu instid0(VALU_DEP_2) | instskip(NEXT) | instid1(VALU_DEP_2)
	v_cmp_ne_u32_e32 vcc_lo, 0, v5
	v_cmp_ne_u32_e64 s0, 0, v6
	s_and_b32 s0, vcc_lo, s0
	s_delay_alu instid0(SALU_CYCLE_1) | instskip(NEXT) | instid1(VALU_DEP_1)
	v_cndmask_b32_e64 v5, 0, 1, s0
	v_add_nc_u32_e32 v5, v1, v5
; %bb.1763:
	s_or_b32 exec_lo, exec_lo, s10
	s_mov_b32 s0, 0
	s_mov_b32 s10, -1
	global_store_b8 v[2:3], v5, off
.LBB30_1764:
	s_mov_b32 s11, 0
.LBB30_1765:
	s_delay_alu instid0(SALU_CYCLE_1)
	s_and_b32 vcc_lo, exec_lo, s11
	s_cbranch_vccz .LBB30_1768
; %bb.1766:
	s_cmp_eq_u32 s8, 29
	s_mov_b32 s0, -1
	s_cbranch_scc0 .LBB30_1768
; %bb.1767:
	s_mov_b32 s0, 0
	v_cndmask_b32_e64 v6, 0, 1, s7
	v_mov_b32_e32 v7, s0
	s_mov_b32 s10, -1
	global_store_b64 v[2:3], v[6:7], off
.LBB30_1768:
	s_mov_b32 s11, 0
.LBB30_1769:
	s_delay_alu instid0(SALU_CYCLE_1)
	s_and_b32 vcc_lo, exec_lo, s11
	s_cbranch_vccz .LBB30_1785
; %bb.1770:
	s_cmp_lt_i32 s8, 27
	s_mov_b32 s10, -1
	s_cbranch_scc1 .LBB30_1776
; %bb.1771:
	s_cmp_gt_i32 s8, 27
	s_cbranch_scc0 .LBB30_1773
; %bb.1772:
	s_wait_xcnt 0x0
	v_cndmask_b32_e64 v1, 0, 1, s7
	s_mov_b32 s10, 0
	global_store_b32 v[2:3], v1, off
.LBB30_1773:
	s_and_not1_b32 vcc_lo, exec_lo, s10
	s_cbranch_vccnz .LBB30_1775
; %bb.1774:
	s_wait_xcnt 0x0
	v_cndmask_b32_e64 v1, 0, 1, s7
	global_store_b16 v[2:3], v1, off
.LBB30_1775:
	s_mov_b32 s10, 0
.LBB30_1776:
	s_delay_alu instid0(SALU_CYCLE_1)
	s_and_not1_b32 vcc_lo, exec_lo, s10
	s_cbranch_vccnz .LBB30_1784
; %bb.1777:
	s_wait_xcnt 0x0
	v_cndmask_b32_e64 v5, 0, 1.0, s7
	v_mov_b32_e32 v6, 0x80
	s_mov_b32 s10, exec_lo
	s_delay_alu instid0(VALU_DEP_2)
	v_cmpx_gt_u32_e32 0x43800000, v5
	s_cbranch_execz .LBB30_1783
; %bb.1778:
	s_mov_b32 s11, 0
	s_mov_b32 s15, exec_lo
                                        ; implicit-def: $vgpr1
	v_cmpx_lt_u32_e32 0x3bffffff, v5
	s_xor_b32 s15, exec_lo, s15
	s_cbranch_execz .LBB30_2004
; %bb.1779:
	v_bfe_u32 v1, v5, 20, 1
	s_mov_b32 s11, exec_lo
	s_delay_alu instid0(VALU_DEP_1) | instskip(NEXT) | instid1(VALU_DEP_1)
	v_add3_u32 v1, v5, v1, 0x487ffff
                                        ; implicit-def: $vgpr5
	v_lshrrev_b32_e32 v1, 20, v1
	s_and_not1_saveexec_b32 s15, s15
	s_cbranch_execnz .LBB30_2005
.LBB30_1780:
	s_or_b32 exec_lo, exec_lo, s15
	v_mov_b32_e32 v6, 0
	s_and_saveexec_b32 s15, s11
.LBB30_1781:
	v_mov_b32_e32 v6, v1
.LBB30_1782:
	s_or_b32 exec_lo, exec_lo, s15
.LBB30_1783:
	s_delay_alu instid0(SALU_CYCLE_1)
	s_or_b32 exec_lo, exec_lo, s10
	global_store_b8 v[2:3], v6, off
.LBB30_1784:
	s_mov_b32 s10, -1
.LBB30_1785:
	s_mov_b32 s11, 0
.LBB30_1786:
	s_delay_alu instid0(SALU_CYCLE_1)
	s_and_b32 vcc_lo, exec_lo, s11
	s_cbranch_vccz .LBB30_1826
; %bb.1787:
	s_cmp_gt_i32 s8, 22
	s_mov_b32 s9, -1
	s_cbranch_scc0 .LBB30_1819
; %bb.1788:
	s_cmp_lt_i32 s8, 24
	s_cbranch_scc1 .LBB30_1808
; %bb.1789:
	s_cmp_gt_i32 s8, 24
	s_cbranch_scc0 .LBB30_1797
; %bb.1790:
	s_wait_xcnt 0x0
	v_cndmask_b32_e64 v5, 0, 1.0, s7
	v_mov_b32_e32 v6, 0x80
	s_mov_b32 s9, exec_lo
	s_delay_alu instid0(VALU_DEP_2)
	v_cmpx_gt_u32_e32 0x47800000, v5
	s_cbranch_execz .LBB30_1796
; %bb.1791:
	s_mov_b32 s10, 0
	s_mov_b32 s11, exec_lo
                                        ; implicit-def: $vgpr1
	v_cmpx_lt_u32_e32 0x37ffffff, v5
	s_xor_b32 s11, exec_lo, s11
	s_cbranch_execz .LBB30_2007
; %bb.1792:
	v_bfe_u32 v1, v5, 21, 1
	s_mov_b32 s10, exec_lo
	s_delay_alu instid0(VALU_DEP_1) | instskip(NEXT) | instid1(VALU_DEP_1)
	v_add3_u32 v1, v5, v1, 0x88fffff
                                        ; implicit-def: $vgpr5
	v_lshrrev_b32_e32 v1, 21, v1
	s_and_not1_saveexec_b32 s11, s11
	s_cbranch_execnz .LBB30_2008
.LBB30_1793:
	s_or_b32 exec_lo, exec_lo, s11
	v_mov_b32_e32 v6, 0
	s_and_saveexec_b32 s11, s10
.LBB30_1794:
	v_mov_b32_e32 v6, v1
.LBB30_1795:
	s_or_b32 exec_lo, exec_lo, s11
.LBB30_1796:
	s_delay_alu instid0(SALU_CYCLE_1)
	s_or_b32 exec_lo, exec_lo, s9
	s_mov_b32 s9, 0
	global_store_b8 v[2:3], v6, off
.LBB30_1797:
	s_and_b32 vcc_lo, exec_lo, s9
	s_cbranch_vccz .LBB30_1807
; %bb.1798:
	s_wait_xcnt 0x0
	v_cndmask_b32_e64 v5, 0, 1.0, s7
	s_mov_b32 s9, exec_lo
                                        ; implicit-def: $vgpr1
	s_delay_alu instid0(VALU_DEP_1)
	v_cmpx_gt_u32_e32 0x43f00000, v5
	s_xor_b32 s9, exec_lo, s9
	s_cbranch_execz .LBB30_1804
; %bb.1799:
	s_mov_b32 s10, exec_lo
                                        ; implicit-def: $vgpr1
	v_cmpx_lt_u32_e32 0x3c7fffff, v5
	s_xor_b32 s10, exec_lo, s10
; %bb.1800:
	v_bfe_u32 v1, v5, 20, 1
	s_delay_alu instid0(VALU_DEP_1) | instskip(NEXT) | instid1(VALU_DEP_1)
	v_add3_u32 v1, v5, v1, 0x407ffff
	v_and_b32_e32 v5, 0xff00000, v1
	v_lshrrev_b32_e32 v1, 20, v1
	s_delay_alu instid0(VALU_DEP_2) | instskip(NEXT) | instid1(VALU_DEP_2)
	v_cmp_ne_u32_e32 vcc_lo, 0x7f00000, v5
                                        ; implicit-def: $vgpr5
	v_cndmask_b32_e32 v1, 0x7e, v1, vcc_lo
; %bb.1801:
	s_and_not1_saveexec_b32 s10, s10
; %bb.1802:
	v_add_f32_e32 v1, 0x46800000, v5
; %bb.1803:
	s_or_b32 exec_lo, exec_lo, s10
                                        ; implicit-def: $vgpr5
.LBB30_1804:
	s_and_not1_saveexec_b32 s9, s9
; %bb.1805:
	v_mov_b32_e32 v1, 0x7f
	v_cmp_lt_u32_e32 vcc_lo, 0x7f800000, v5
	s_delay_alu instid0(VALU_DEP_2)
	v_cndmask_b32_e32 v1, 0x7e, v1, vcc_lo
; %bb.1806:
	s_or_b32 exec_lo, exec_lo, s9
	global_store_b8 v[2:3], v1, off
.LBB30_1807:
	s_mov_b32 s9, 0
.LBB30_1808:
	s_delay_alu instid0(SALU_CYCLE_1)
	s_and_not1_b32 vcc_lo, exec_lo, s9
	s_cbranch_vccnz .LBB30_1818
; %bb.1809:
	s_wait_xcnt 0x0
	v_cndmask_b32_e64 v5, 0, 1.0, s7
	s_mov_b32 s9, exec_lo
                                        ; implicit-def: $vgpr1
	s_delay_alu instid0(VALU_DEP_1)
	v_cmpx_gt_u32_e32 0x47800000, v5
	s_xor_b32 s9, exec_lo, s9
	s_cbranch_execz .LBB30_1815
; %bb.1810:
	s_mov_b32 s10, exec_lo
                                        ; implicit-def: $vgpr1
	v_cmpx_lt_u32_e32 0x387fffff, v5
	s_xor_b32 s10, exec_lo, s10
; %bb.1811:
	v_bfe_u32 v1, v5, 21, 1
	s_delay_alu instid0(VALU_DEP_1) | instskip(NEXT) | instid1(VALU_DEP_1)
	v_add3_u32 v1, v5, v1, 0x80fffff
                                        ; implicit-def: $vgpr5
	v_lshrrev_b32_e32 v1, 21, v1
; %bb.1812:
	s_and_not1_saveexec_b32 s10, s10
; %bb.1813:
	v_add_f32_e32 v1, 0x43000000, v5
; %bb.1814:
	s_or_b32 exec_lo, exec_lo, s10
                                        ; implicit-def: $vgpr5
.LBB30_1815:
	s_and_not1_saveexec_b32 s9, s9
; %bb.1816:
	v_mov_b32_e32 v1, 0x7f
	v_cmp_lt_u32_e32 vcc_lo, 0x7f800000, v5
	s_delay_alu instid0(VALU_DEP_2)
	v_cndmask_b32_e32 v1, 0x7c, v1, vcc_lo
; %bb.1817:
	s_or_b32 exec_lo, exec_lo, s9
	global_store_b8 v[2:3], v1, off
.LBB30_1818:
	s_mov_b32 s9, 0
	s_mov_b32 s10, -1
.LBB30_1819:
	s_and_not1_b32 vcc_lo, exec_lo, s9
	s_mov_b32 s9, 0
	s_cbranch_vccnz .LBB30_1826
; %bb.1820:
	s_cmp_gt_i32 s8, 14
	s_mov_b32 s9, -1
	s_cbranch_scc0 .LBB30_1824
; %bb.1821:
	s_cmp_eq_u32 s8, 15
	s_mov_b32 s0, -1
	s_cbranch_scc0 .LBB30_1823
; %bb.1822:
	s_wait_xcnt 0x0
	v_cndmask_b32_e64 v1, 0, 1.0, s7
	s_mov_b32 s0, 0
	s_mov_b32 s10, -1
	s_delay_alu instid0(VALU_DEP_1) | instskip(NEXT) | instid1(VALU_DEP_1)
	v_bfe_u32 v5, v1, 16, 1
	v_add3_u32 v1, v1, v5, 0x7fff
	global_store_d16_hi_b16 v[2:3], v1, off
.LBB30_1823:
	s_mov_b32 s9, 0
.LBB30_1824:
	s_delay_alu instid0(SALU_CYCLE_1)
	s_and_b32 vcc_lo, exec_lo, s9
	s_mov_b32 s9, 0
	s_cbranch_vccz .LBB30_1826
; %bb.1825:
	s_cmp_lg_u32 s8, 11
	s_mov_b32 s9, -1
	s_cselect_b32 s0, -1, 0
.LBB30_1826:
	s_delay_alu instid0(SALU_CYCLE_1)
	s_and_b32 vcc_lo, exec_lo, s0
	s_cbranch_vccnz .LBB30_2006
; %bb.1827:
	s_and_not1_b32 vcc_lo, exec_lo, s9
	s_cbranch_vccnz .LBB30_1829
.LBB30_1828:
	s_wait_xcnt 0x0
	v_cndmask_b32_e64 v1, 0, 1, s7
	s_mov_b32 s10, -1
	global_store_b8 v[2:3], v1, off
.LBB30_1829:
	s_mov_b32 s0, 0
	s_branch .LBB30_1831
.LBB30_1830:
	s_mov_b32 s0, -1
	s_mov_b32 s10, 0
.LBB30_1831:
	s_and_b32 vcc_lo, exec_lo, s0
	s_cbranch_vccz .LBB30_1870
; %bb.1832:
	s_and_b32 s0, 0xffff, s14
	s_mov_b32 s8, -1
	s_cmp_lt_i32 s0, 5
	s_cbranch_scc1 .LBB30_1853
; %bb.1833:
	s_cmp_lt_i32 s0, 8
	s_cbranch_scc1 .LBB30_1843
; %bb.1834:
	s_cmp_lt_i32 s0, 9
	s_cbranch_scc1 .LBB30_1840
; %bb.1835:
	s_cmp_gt_i32 s0, 9
	s_cbranch_scc0 .LBB30_1837
; %bb.1836:
	s_wait_xcnt 0x0
	v_cndmask_b32_e64 v1, 0, 1, s7
	v_mov_b32_e32 v8, 0
	s_mov_b32 s8, 0
	s_delay_alu instid0(VALU_DEP_2) | instskip(NEXT) | instid1(VALU_DEP_2)
	v_cvt_f64_u32_e32 v[6:7], v1
	v_mov_b32_e32 v9, v8
	global_store_b128 v[2:3], v[6:9], off
.LBB30_1837:
	s_and_not1_b32 vcc_lo, exec_lo, s8
	s_cbranch_vccnz .LBB30_1839
; %bb.1838:
	s_wait_xcnt 0x0
	v_cndmask_b32_e64 v6, 0, 1.0, s7
	v_mov_b32_e32 v7, 0
	global_store_b64 v[2:3], v[6:7], off
.LBB30_1839:
	s_mov_b32 s8, 0
.LBB30_1840:
	s_delay_alu instid0(SALU_CYCLE_1)
	s_and_not1_b32 vcc_lo, exec_lo, s8
	s_cbranch_vccnz .LBB30_1842
; %bb.1841:
	s_wait_xcnt 0x0
	v_cndmask_b32_e64 v1, 0, 1.0, s7
	s_delay_alu instid0(VALU_DEP_1) | instskip(NEXT) | instid1(VALU_DEP_1)
	v_cvt_f16_f32_e32 v1, v1
	v_and_b32_e32 v1, 0xffff, v1
	global_store_b32 v[2:3], v1, off
.LBB30_1842:
	s_mov_b32 s8, 0
.LBB30_1843:
	s_delay_alu instid0(SALU_CYCLE_1)
	s_and_not1_b32 vcc_lo, exec_lo, s8
	s_cbranch_vccnz .LBB30_1852
; %bb.1844:
	s_cmp_lt_i32 s0, 6
	s_mov_b32 s8, -1
	s_cbranch_scc1 .LBB30_1850
; %bb.1845:
	s_cmp_gt_i32 s0, 6
	s_cbranch_scc0 .LBB30_1847
; %bb.1846:
	s_wait_xcnt 0x0
	v_cndmask_b32_e64 v1, 0, 1, s7
	s_mov_b32 s8, 0
	s_delay_alu instid0(VALU_DEP_1)
	v_cvt_f64_u32_e32 v[6:7], v1
	global_store_b64 v[2:3], v[6:7], off
.LBB30_1847:
	s_and_not1_b32 vcc_lo, exec_lo, s8
	s_cbranch_vccnz .LBB30_1849
; %bb.1848:
	s_wait_xcnt 0x0
	v_cndmask_b32_e64 v1, 0, 1.0, s7
	global_store_b32 v[2:3], v1, off
.LBB30_1849:
	s_mov_b32 s8, 0
.LBB30_1850:
	s_delay_alu instid0(SALU_CYCLE_1)
	s_and_not1_b32 vcc_lo, exec_lo, s8
	s_cbranch_vccnz .LBB30_1852
; %bb.1851:
	s_wait_xcnt 0x0
	v_cndmask_b32_e64 v1, 0, 1.0, s7
	s_delay_alu instid0(VALU_DEP_1)
	v_cvt_f16_f32_e32 v1, v1
	global_store_b16 v[2:3], v1, off
.LBB30_1852:
	s_mov_b32 s8, 0
.LBB30_1853:
	s_delay_alu instid0(SALU_CYCLE_1)
	s_and_not1_b32 vcc_lo, exec_lo, s8
	s_cbranch_vccnz .LBB30_1869
; %bb.1854:
	s_cmp_lt_i32 s0, 2
	s_mov_b32 s8, -1
	s_cbranch_scc1 .LBB30_1864
; %bb.1855:
	s_cmp_lt_i32 s0, 3
	s_cbranch_scc1 .LBB30_1861
; %bb.1856:
	s_cmp_gt_i32 s0, 3
	s_cbranch_scc0 .LBB30_1858
; %bb.1857:
	s_mov_b32 s8, 0
	s_wait_xcnt 0x0
	v_cndmask_b32_e64 v6, 0, 1, s7
	v_mov_b32_e32 v7, s8
	global_store_b64 v[2:3], v[6:7], off
.LBB30_1858:
	s_and_not1_b32 vcc_lo, exec_lo, s8
	s_cbranch_vccnz .LBB30_1860
; %bb.1859:
	s_wait_xcnt 0x0
	v_cndmask_b32_e64 v1, 0, 1, s7
	global_store_b32 v[2:3], v1, off
.LBB30_1860:
	s_mov_b32 s8, 0
.LBB30_1861:
	s_delay_alu instid0(SALU_CYCLE_1)
	s_and_not1_b32 vcc_lo, exec_lo, s8
	s_cbranch_vccnz .LBB30_1863
; %bb.1862:
	s_wait_xcnt 0x0
	v_cndmask_b32_e64 v1, 0, 1, s7
	global_store_b16 v[2:3], v1, off
.LBB30_1863:
	s_mov_b32 s8, 0
.LBB30_1864:
	s_delay_alu instid0(SALU_CYCLE_1)
	s_and_not1_b32 vcc_lo, exec_lo, s8
	s_cbranch_vccnz .LBB30_1869
; %bb.1865:
	s_wait_xcnt 0x0
	v_cndmask_b32_e64 v1, 0, 1, s7
	s_cmp_gt_i32 s0, 0
	s_mov_b32 s0, -1
	s_cbranch_scc0 .LBB30_1867
; %bb.1866:
	s_mov_b32 s0, 0
	global_store_b8 v[2:3], v1, off
.LBB30_1867:
	s_and_not1_b32 vcc_lo, exec_lo, s0
	s_cbranch_vccnz .LBB30_1869
; %bb.1868:
	global_store_b8 v[2:3], v1, off
.LBB30_1869:
	s_mov_b32 s10, -1
.LBB30_1870:
	s_delay_alu instid0(SALU_CYCLE_1)
	s_and_not1_b32 vcc_lo, exec_lo, s10
	s_cbranch_vccnz .LBB30_1947
; %bb.1871:
	s_wait_xcnt 0x0
	v_add_nc_u32_e32 v2, s2, v4
	v_and_b32_e32 v0, 0xff, v0
	s_delay_alu instid0(VALU_DEP_2) | instskip(NEXT) | instid1(VALU_DEP_2)
	v_ashrrev_i32_e32 v3, 31, v2
	v_cmp_ne_u16_e32 vcc_lo, s6, v0
	s_delay_alu instid0(VALU_DEP_2)
	v_add_nc_u64_e32 v[0:1], s[4:5], v[2:3]
	s_xor_b32 s15, s3, vcc_lo
	s_cmp_lt_i32 s14, 11
	s_cbranch_scc1 .LBB30_1992
; %bb.1872:
	s_and_b32 s2, 0xffff, s14
	s_mov_b32 s4, -1
	s_mov_b32 s3, 0
	s_cmp_gt_i32 s2, 25
	s_mov_b32 s0, 0
	s_cbranch_scc0 .LBB30_1905
; %bb.1873:
	s_cmp_gt_i32 s2, 28
	s_cbranch_scc0 .LBB30_1889
; %bb.1874:
	s_cmp_gt_i32 s2, 43
	s_cbranch_scc0 .LBB30_1885
; %bb.1875:
	s_cmp_gt_i32 s2, 45
	s_cbranch_scc0 .LBB30_1879
; %bb.1876:
	s_cmp_eq_u32 s2, 46
	s_mov_b32 s0, -1
	s_cbranch_scc0 .LBB30_1878
; %bb.1877:
	v_cndmask_b32_e64 v2, 0, 1.0, s15
	s_mov_b32 s0, 0
	s_delay_alu instid0(VALU_DEP_1) | instskip(NEXT) | instid1(VALU_DEP_1)
	v_bfe_u32 v3, v2, 16, 1
	v_add3_u32 v2, v2, v3, 0x7fff
	s_delay_alu instid0(VALU_DEP_1)
	v_lshrrev_b32_e32 v2, 16, v2
	global_store_b32 v[0:1], v2, off
.LBB30_1878:
	s_mov_b32 s4, 0
.LBB30_1879:
	s_delay_alu instid0(SALU_CYCLE_1)
	s_and_b32 vcc_lo, exec_lo, s4
	s_cbranch_vccz .LBB30_1884
; %bb.1880:
	s_cmp_eq_u32 s2, 44
	s_mov_b32 s0, -1
	s_cbranch_scc0 .LBB30_1884
; %bb.1881:
	v_cndmask_b32_e64 v4, 0, 1.0, s15
	s_mov_b32 s4, exec_lo
	s_wait_xcnt 0x0
	s_delay_alu instid0(VALU_DEP_1) | instskip(NEXT) | instid1(VALU_DEP_1)
	v_dual_mov_b32 v3, 0xff :: v_dual_lshrrev_b32 v2, 23, v4
	v_cmpx_ne_u32_e32 0xff, v2
; %bb.1882:
	v_and_b32_e32 v3, 0x400000, v4
	v_and_or_b32 v4, 0x3fffff, v4, v2
	s_delay_alu instid0(VALU_DEP_2) | instskip(NEXT) | instid1(VALU_DEP_2)
	v_cmp_ne_u32_e32 vcc_lo, 0, v3
	v_cmp_ne_u32_e64 s0, 0, v4
	s_and_b32 s0, vcc_lo, s0
	s_delay_alu instid0(SALU_CYCLE_1) | instskip(NEXT) | instid1(VALU_DEP_1)
	v_cndmask_b32_e64 v3, 0, 1, s0
	v_add_nc_u32_e32 v3, v2, v3
; %bb.1883:
	s_or_b32 exec_lo, exec_lo, s4
	s_mov_b32 s0, 0
	global_store_b8 v[0:1], v3, off
.LBB30_1884:
	s_mov_b32 s4, 0
.LBB30_1885:
	s_delay_alu instid0(SALU_CYCLE_1)
	s_and_b32 vcc_lo, exec_lo, s4
	s_cbranch_vccz .LBB30_1888
; %bb.1886:
	s_cmp_eq_u32 s2, 29
	s_mov_b32 s0, -1
	s_cbranch_scc0 .LBB30_1888
; %bb.1887:
	s_mov_b32 s0, 0
	s_wait_xcnt 0x0
	v_cndmask_b32_e64 v2, 0, 1, s15
	v_mov_b32_e32 v3, s0
	global_store_b64 v[0:1], v[2:3], off
.LBB30_1888:
	s_mov_b32 s4, 0
.LBB30_1889:
	s_delay_alu instid0(SALU_CYCLE_1)
	s_and_b32 vcc_lo, exec_lo, s4
	s_cbranch_vccz .LBB30_1904
; %bb.1890:
	s_cmp_lt_i32 s2, 27
	s_mov_b32 s4, -1
	s_cbranch_scc1 .LBB30_1896
; %bb.1891:
	s_wait_xcnt 0x0
	v_cndmask_b32_e64 v2, 0, 1, s15
	s_cmp_gt_i32 s2, 27
	s_cbranch_scc0 .LBB30_1893
; %bb.1892:
	s_mov_b32 s4, 0
	global_store_b32 v[0:1], v2, off
.LBB30_1893:
	s_and_not1_b32 vcc_lo, exec_lo, s4
	s_cbranch_vccnz .LBB30_1895
; %bb.1894:
	global_store_b16 v[0:1], v2, off
.LBB30_1895:
	s_mov_b32 s4, 0
.LBB30_1896:
	s_delay_alu instid0(SALU_CYCLE_1)
	s_and_not1_b32 vcc_lo, exec_lo, s4
	s_cbranch_vccnz .LBB30_1904
; %bb.1897:
	s_wait_xcnt 0x0
	v_cndmask_b32_e64 v3, 0, 1.0, s15
	v_mov_b32_e32 v4, 0x80
	s_mov_b32 s4, exec_lo
	s_delay_alu instid0(VALU_DEP_2)
	v_cmpx_gt_u32_e32 0x43800000, v3
	s_cbranch_execz .LBB30_1903
; %bb.1898:
	s_mov_b32 s5, 0
	s_mov_b32 s6, exec_lo
                                        ; implicit-def: $vgpr2
	v_cmpx_lt_u32_e32 0x3bffffff, v3
	s_xor_b32 s6, exec_lo, s6
	s_cbranch_execz .LBB30_2009
; %bb.1899:
	v_bfe_u32 v2, v3, 20, 1
	s_mov_b32 s5, exec_lo
	s_delay_alu instid0(VALU_DEP_1) | instskip(NEXT) | instid1(VALU_DEP_1)
	v_add3_u32 v2, v3, v2, 0x487ffff
                                        ; implicit-def: $vgpr3
	v_lshrrev_b32_e32 v2, 20, v2
	s_and_not1_saveexec_b32 s6, s6
	s_cbranch_execnz .LBB30_2010
.LBB30_1900:
	s_or_b32 exec_lo, exec_lo, s6
	v_mov_b32_e32 v4, 0
	s_and_saveexec_b32 s6, s5
.LBB30_1901:
	v_mov_b32_e32 v4, v2
.LBB30_1902:
	s_or_b32 exec_lo, exec_lo, s6
.LBB30_1903:
	s_delay_alu instid0(SALU_CYCLE_1)
	s_or_b32 exec_lo, exec_lo, s4
	global_store_b8 v[0:1], v4, off
.LBB30_1904:
	s_mov_b32 s4, 0
.LBB30_1905:
	s_delay_alu instid0(SALU_CYCLE_1)
	s_and_b32 vcc_lo, exec_lo, s4
	s_cbranch_vccz .LBB30_1945
; %bb.1906:
	s_cmp_gt_i32 s2, 22
	s_mov_b32 s3, -1
	s_cbranch_scc0 .LBB30_1938
; %bb.1907:
	s_cmp_lt_i32 s2, 24
	s_cbranch_scc1 .LBB30_1927
; %bb.1908:
	s_cmp_gt_i32 s2, 24
	s_cbranch_scc0 .LBB30_1916
; %bb.1909:
	s_wait_xcnt 0x0
	v_cndmask_b32_e64 v3, 0, 1.0, s15
	v_mov_b32_e32 v4, 0x80
	s_mov_b32 s3, exec_lo
	s_delay_alu instid0(VALU_DEP_2)
	v_cmpx_gt_u32_e32 0x47800000, v3
	s_cbranch_execz .LBB30_1915
; %bb.1910:
	s_mov_b32 s4, 0
	s_mov_b32 s5, exec_lo
                                        ; implicit-def: $vgpr2
	v_cmpx_lt_u32_e32 0x37ffffff, v3
	s_xor_b32 s5, exec_lo, s5
	s_cbranch_execz .LBB30_2012
; %bb.1911:
	v_bfe_u32 v2, v3, 21, 1
	s_mov_b32 s4, exec_lo
	s_delay_alu instid0(VALU_DEP_1) | instskip(NEXT) | instid1(VALU_DEP_1)
	v_add3_u32 v2, v3, v2, 0x88fffff
                                        ; implicit-def: $vgpr3
	v_lshrrev_b32_e32 v2, 21, v2
	s_and_not1_saveexec_b32 s5, s5
	s_cbranch_execnz .LBB30_2013
.LBB30_1912:
	s_or_b32 exec_lo, exec_lo, s5
	v_mov_b32_e32 v4, 0
	s_and_saveexec_b32 s5, s4
.LBB30_1913:
	v_mov_b32_e32 v4, v2
.LBB30_1914:
	s_or_b32 exec_lo, exec_lo, s5
.LBB30_1915:
	s_delay_alu instid0(SALU_CYCLE_1)
	s_or_b32 exec_lo, exec_lo, s3
	s_mov_b32 s3, 0
	global_store_b8 v[0:1], v4, off
.LBB30_1916:
	s_and_b32 vcc_lo, exec_lo, s3
	s_cbranch_vccz .LBB30_1926
; %bb.1917:
	s_wait_xcnt 0x0
	v_cndmask_b32_e64 v3, 0, 1.0, s15
	s_mov_b32 s3, exec_lo
                                        ; implicit-def: $vgpr2
	s_delay_alu instid0(VALU_DEP_1)
	v_cmpx_gt_u32_e32 0x43f00000, v3
	s_xor_b32 s3, exec_lo, s3
	s_cbranch_execz .LBB30_1923
; %bb.1918:
	s_mov_b32 s4, exec_lo
                                        ; implicit-def: $vgpr2
	v_cmpx_lt_u32_e32 0x3c7fffff, v3
	s_xor_b32 s4, exec_lo, s4
; %bb.1919:
	v_bfe_u32 v2, v3, 20, 1
	s_delay_alu instid0(VALU_DEP_1) | instskip(NEXT) | instid1(VALU_DEP_1)
	v_add3_u32 v2, v3, v2, 0x407ffff
	v_and_b32_e32 v3, 0xff00000, v2
	v_lshrrev_b32_e32 v2, 20, v2
	s_delay_alu instid0(VALU_DEP_2) | instskip(NEXT) | instid1(VALU_DEP_2)
	v_cmp_ne_u32_e32 vcc_lo, 0x7f00000, v3
                                        ; implicit-def: $vgpr3
	v_cndmask_b32_e32 v2, 0x7e, v2, vcc_lo
; %bb.1920:
	s_and_not1_saveexec_b32 s4, s4
; %bb.1921:
	v_add_f32_e32 v2, 0x46800000, v3
; %bb.1922:
	s_or_b32 exec_lo, exec_lo, s4
                                        ; implicit-def: $vgpr3
.LBB30_1923:
	s_and_not1_saveexec_b32 s3, s3
; %bb.1924:
	v_mov_b32_e32 v2, 0x7f
	v_cmp_lt_u32_e32 vcc_lo, 0x7f800000, v3
	s_delay_alu instid0(VALU_DEP_2)
	v_cndmask_b32_e32 v2, 0x7e, v2, vcc_lo
; %bb.1925:
	s_or_b32 exec_lo, exec_lo, s3
	global_store_b8 v[0:1], v2, off
.LBB30_1926:
	s_mov_b32 s3, 0
.LBB30_1927:
	s_delay_alu instid0(SALU_CYCLE_1)
	s_and_not1_b32 vcc_lo, exec_lo, s3
	s_cbranch_vccnz .LBB30_1937
; %bb.1928:
	s_wait_xcnt 0x0
	v_cndmask_b32_e64 v3, 0, 1.0, s15
	s_mov_b32 s3, exec_lo
                                        ; implicit-def: $vgpr2
	s_delay_alu instid0(VALU_DEP_1)
	v_cmpx_gt_u32_e32 0x47800000, v3
	s_xor_b32 s3, exec_lo, s3
	s_cbranch_execz .LBB30_1934
; %bb.1929:
	s_mov_b32 s4, exec_lo
                                        ; implicit-def: $vgpr2
	v_cmpx_lt_u32_e32 0x387fffff, v3
	s_xor_b32 s4, exec_lo, s4
; %bb.1930:
	v_bfe_u32 v2, v3, 21, 1
	s_delay_alu instid0(VALU_DEP_1) | instskip(NEXT) | instid1(VALU_DEP_1)
	v_add3_u32 v2, v3, v2, 0x80fffff
                                        ; implicit-def: $vgpr3
	v_lshrrev_b32_e32 v2, 21, v2
; %bb.1931:
	s_and_not1_saveexec_b32 s4, s4
; %bb.1932:
	v_add_f32_e32 v2, 0x43000000, v3
; %bb.1933:
	s_or_b32 exec_lo, exec_lo, s4
                                        ; implicit-def: $vgpr3
.LBB30_1934:
	s_and_not1_saveexec_b32 s3, s3
; %bb.1935:
	v_mov_b32_e32 v2, 0x7f
	v_cmp_lt_u32_e32 vcc_lo, 0x7f800000, v3
	s_delay_alu instid0(VALU_DEP_2)
	v_cndmask_b32_e32 v2, 0x7c, v2, vcc_lo
; %bb.1936:
	s_or_b32 exec_lo, exec_lo, s3
	global_store_b8 v[0:1], v2, off
.LBB30_1937:
	s_mov_b32 s3, 0
.LBB30_1938:
	s_delay_alu instid0(SALU_CYCLE_1)
	s_and_not1_b32 vcc_lo, exec_lo, s3
	s_mov_b32 s3, 0
	s_cbranch_vccnz .LBB30_1945
; %bb.1939:
	s_cmp_gt_i32 s2, 14
	s_mov_b32 s3, -1
	s_cbranch_scc0 .LBB30_1943
; %bb.1940:
	s_cmp_eq_u32 s2, 15
	s_mov_b32 s0, -1
	s_cbranch_scc0 .LBB30_1942
; %bb.1941:
	s_wait_xcnt 0x0
	v_cndmask_b32_e64 v2, 0, 1.0, s15
	s_mov_b32 s0, 0
	s_delay_alu instid0(VALU_DEP_1) | instskip(NEXT) | instid1(VALU_DEP_1)
	v_bfe_u32 v3, v2, 16, 1
	v_add3_u32 v2, v2, v3, 0x7fff
	global_store_d16_hi_b16 v[0:1], v2, off
.LBB30_1942:
	s_mov_b32 s3, 0
.LBB30_1943:
	s_delay_alu instid0(SALU_CYCLE_1)
	s_and_b32 vcc_lo, exec_lo, s3
	s_mov_b32 s3, 0
	s_cbranch_vccz .LBB30_1945
; %bb.1944:
	s_cmp_lg_u32 s2, 11
	s_mov_b32 s3, -1
	s_cselect_b32 s0, -1, 0
.LBB30_1945:
	s_delay_alu instid0(SALU_CYCLE_1)
	s_and_b32 vcc_lo, exec_lo, s0
	s_cbranch_vccnz .LBB30_2011
.LBB30_1946:
	s_mov_b32 s0, 0
	s_branch .LBB30_1948
.LBB30_1947:
	s_mov_b32 s0, 0
	s_mov_b32 s3, 0
                                        ; implicit-def: $sgpr15
                                        ; implicit-def: $sgpr14
                                        ; implicit-def: $vgpr0_vgpr1
.LBB30_1948:
	s_and_not1_b32 s2, s13, exec_lo
	s_and_b32 s4, s1, exec_lo
	s_and_b32 s0, s0, exec_lo
	;; [unrolled: 1-line block ×3, first 2 shown]
	s_or_b32 s13, s2, s4
.LBB30_1949:
	s_wait_xcnt 0x0
	s_or_b32 exec_lo, exec_lo, s12
	s_and_saveexec_b32 s2, s13
	s_cbranch_execz .LBB30_1952
; %bb.1950:
	; divergent unreachable
	s_or_b32 exec_lo, exec_lo, s2
	s_and_saveexec_b32 s2, s1
	s_delay_alu instid0(SALU_CYCLE_1)
	s_xor_b32 s1, exec_lo, s2
	s_cbranch_execnz .LBB30_1953
.LBB30_1951:
	s_or_b32 exec_lo, exec_lo, s1
	s_and_saveexec_b32 s1, s0
	s_cbranch_execnz .LBB30_1954
	s_branch .LBB30_1991
.LBB30_1952:
	s_or_b32 exec_lo, exec_lo, s2
	s_and_saveexec_b32 s2, s1
	s_delay_alu instid0(SALU_CYCLE_1)
	s_xor_b32 s1, exec_lo, s2
	s_cbranch_execz .LBB30_1951
.LBB30_1953:
	s_wait_loadcnt 0x0
	v_cndmask_b32_e64 v2, 0, 1, s15
	global_store_b8 v[0:1], v2, off
	s_wait_xcnt 0x0
	s_or_b32 exec_lo, exec_lo, s1
	s_and_saveexec_b32 s1, s0
	s_cbranch_execz .LBB30_1991
.LBB30_1954:
	s_sext_i32_i16 s1, s14
	s_mov_b32 s0, -1
	s_cmp_lt_i32 s1, 5
	s_cbranch_scc1 .LBB30_1975
; %bb.1955:
	s_cmp_lt_i32 s1, 8
	s_cbranch_scc1 .LBB30_1965
; %bb.1956:
	;; [unrolled: 3-line block ×3, first 2 shown]
	s_cmp_gt_i32 s1, 9
	s_cbranch_scc0 .LBB30_1959
; %bb.1958:
	s_wait_loadcnt 0x0
	v_cndmask_b32_e64 v2, 0, 1, s15
	v_mov_b32_e32 v4, 0
	s_mov_b32 s0, 0
	s_delay_alu instid0(VALU_DEP_2) | instskip(NEXT) | instid1(VALU_DEP_2)
	v_cvt_f64_u32_e32 v[2:3], v2
	v_mov_b32_e32 v5, v4
	global_store_b128 v[0:1], v[2:5], off
.LBB30_1959:
	s_and_not1_b32 vcc_lo, exec_lo, s0
	s_cbranch_vccnz .LBB30_1961
; %bb.1960:
	s_wait_loadcnt 0x0
	v_cndmask_b32_e64 v2, 0, 1.0, s15
	v_mov_b32_e32 v3, 0
	global_store_b64 v[0:1], v[2:3], off
.LBB30_1961:
	s_mov_b32 s0, 0
.LBB30_1962:
	s_delay_alu instid0(SALU_CYCLE_1)
	s_and_not1_b32 vcc_lo, exec_lo, s0
	s_cbranch_vccnz .LBB30_1964
; %bb.1963:
	s_wait_loadcnt 0x0
	v_cndmask_b32_e64 v2, 0, 1.0, s15
	s_delay_alu instid0(VALU_DEP_1) | instskip(NEXT) | instid1(VALU_DEP_1)
	v_cvt_f16_f32_e32 v2, v2
	v_and_b32_e32 v2, 0xffff, v2
	global_store_b32 v[0:1], v2, off
.LBB30_1964:
	s_mov_b32 s0, 0
.LBB30_1965:
	s_delay_alu instid0(SALU_CYCLE_1)
	s_and_not1_b32 vcc_lo, exec_lo, s0
	s_cbranch_vccnz .LBB30_1974
; %bb.1966:
	s_sext_i32_i16 s1, s14
	s_mov_b32 s0, -1
	s_cmp_lt_i32 s1, 6
	s_cbranch_scc1 .LBB30_1972
; %bb.1967:
	s_cmp_gt_i32 s1, 6
	s_cbranch_scc0 .LBB30_1969
; %bb.1968:
	s_wait_loadcnt 0x0
	v_cndmask_b32_e64 v2, 0, 1, s15
	s_mov_b32 s0, 0
	s_delay_alu instid0(VALU_DEP_1)
	v_cvt_f64_u32_e32 v[2:3], v2
	global_store_b64 v[0:1], v[2:3], off
.LBB30_1969:
	s_and_not1_b32 vcc_lo, exec_lo, s0
	s_cbranch_vccnz .LBB30_1971
; %bb.1970:
	s_wait_loadcnt 0x0
	v_cndmask_b32_e64 v2, 0, 1.0, s15
	global_store_b32 v[0:1], v2, off
.LBB30_1971:
	s_mov_b32 s0, 0
.LBB30_1972:
	s_delay_alu instid0(SALU_CYCLE_1)
	s_and_not1_b32 vcc_lo, exec_lo, s0
	s_cbranch_vccnz .LBB30_1974
; %bb.1973:
	s_wait_loadcnt 0x0
	v_cndmask_b32_e64 v2, 0, 1.0, s15
	s_delay_alu instid0(VALU_DEP_1)
	v_cvt_f16_f32_e32 v2, v2
	global_store_b16 v[0:1], v2, off
.LBB30_1974:
	s_mov_b32 s0, 0
.LBB30_1975:
	s_delay_alu instid0(SALU_CYCLE_1)
	s_and_not1_b32 vcc_lo, exec_lo, s0
	s_cbranch_vccnz .LBB30_1991
; %bb.1976:
	s_sext_i32_i16 s1, s14
	s_mov_b32 s0, -1
	s_cmp_lt_i32 s1, 2
	s_cbranch_scc1 .LBB30_1986
; %bb.1977:
	s_cmp_lt_i32 s1, 3
	s_cbranch_scc1 .LBB30_1983
; %bb.1978:
	s_cmp_gt_i32 s1, 3
	s_cbranch_scc0 .LBB30_1980
; %bb.1979:
	s_mov_b32 s0, 0
	s_wait_loadcnt 0x0
	v_cndmask_b32_e64 v2, 0, 1, s15
	v_mov_b32_e32 v3, s0
	global_store_b64 v[0:1], v[2:3], off
.LBB30_1980:
	s_and_not1_b32 vcc_lo, exec_lo, s0
	s_cbranch_vccnz .LBB30_1982
; %bb.1981:
	s_wait_loadcnt 0x0
	v_cndmask_b32_e64 v2, 0, 1, s15
	global_store_b32 v[0:1], v2, off
.LBB30_1982:
	s_mov_b32 s0, 0
.LBB30_1983:
	s_delay_alu instid0(SALU_CYCLE_1)
	s_and_not1_b32 vcc_lo, exec_lo, s0
	s_cbranch_vccnz .LBB30_1985
; %bb.1984:
	s_wait_loadcnt 0x0
	v_cndmask_b32_e64 v2, 0, 1, s15
	global_store_b16 v[0:1], v2, off
.LBB30_1985:
	s_mov_b32 s0, 0
.LBB30_1986:
	s_delay_alu instid0(SALU_CYCLE_1)
	s_and_not1_b32 vcc_lo, exec_lo, s0
	s_cbranch_vccnz .LBB30_1991
; %bb.1987:
	s_wait_loadcnt 0x0
	v_cndmask_b32_e64 v2, 0, 1, s15
	s_sext_i32_i16 s0, s14
	s_delay_alu instid0(SALU_CYCLE_1)
	s_cmp_gt_i32 s0, 0
	s_mov_b32 s0, -1
	s_cbranch_scc0 .LBB30_1989
; %bb.1988:
	s_mov_b32 s0, 0
	global_store_b8 v[0:1], v2, off
.LBB30_1989:
	s_and_not1_b32 vcc_lo, exec_lo, s0
	s_cbranch_vccnz .LBB30_1991
; %bb.1990:
	global_store_b8 v[0:1], v2, off
	s_endpgm
.LBB30_1991:
	s_endpgm
.LBB30_1992:
	s_mov_b32 s3, 0
	s_mov_b32 s0, -1
	s_branch .LBB30_1948
.LBB30_1993:
	s_or_b32 s1, s1, exec_lo
	s_trap 2
	s_cbranch_execz .LBB30_1463
	s_branch .LBB30_1464
.LBB30_1994:
	s_and_not1_saveexec_b32 s15, s15
	s_cbranch_execz .LBB30_1543
.LBB30_1995:
	v_add_f32_e32 v1, 0x46000000, v3
	s_and_not1_b32 s11, s11, exec_lo
	s_delay_alu instid0(VALU_DEP_1) | instskip(NEXT) | instid1(VALU_DEP_1)
	v_and_b32_e32 v1, 0xff, v1
	v_cmp_ne_u32_e32 vcc_lo, 0, v1
	s_and_b32 s16, vcc_lo, exec_lo
	s_delay_alu instid0(SALU_CYCLE_1)
	s_or_b32 s11, s11, s16
	s_or_b32 exec_lo, exec_lo, s15
	v_mov_b32_e32 v5, 0
	s_and_saveexec_b32 s15, s11
	s_cbranch_execnz .LBB30_1544
	s_branch .LBB30_1545
.LBB30_1996:
	s_or_b32 s1, s1, exec_lo
	s_trap 2
	s_cbranch_execz .LBB30_1591
	s_branch .LBB30_1592
.LBB30_1997:
	s_and_not1_saveexec_b32 s11, s11
	s_cbranch_execz .LBB30_1556
.LBB30_1998:
	v_add_f32_e32 v1, 0x42800000, v3
	s_and_not1_b32 s10, s10, exec_lo
	s_delay_alu instid0(VALU_DEP_1) | instskip(NEXT) | instid1(VALU_DEP_1)
	v_and_b32_e32 v1, 0xff, v1
	v_cmp_ne_u32_e32 vcc_lo, 0, v1
	s_and_b32 s15, vcc_lo, exec_lo
	s_delay_alu instid0(SALU_CYCLE_1)
	s_or_b32 s10, s10, s15
	s_or_b32 exec_lo, exec_lo, s11
	v_mov_b32_e32 v5, 0
	s_and_saveexec_b32 s11, s10
	s_cbranch_execnz .LBB30_1557
	s_branch .LBB30_1558
.LBB30_1999:
	s_and_not1_saveexec_b32 s15, s15
	s_cbranch_execz .LBB30_1661
.LBB30_2000:
	v_add_f32_e32 v1, 0x46000000, v3
	s_and_not1_b32 s11, s11, exec_lo
	s_delay_alu instid0(VALU_DEP_1) | instskip(NEXT) | instid1(VALU_DEP_1)
	v_and_b32_e32 v1, 0xff, v1
	v_cmp_ne_u32_e32 vcc_lo, 0, v1
	s_and_b32 s16, vcc_lo, exec_lo
	s_delay_alu instid0(SALU_CYCLE_1)
	s_or_b32 s11, s11, s16
	s_or_b32 exec_lo, exec_lo, s15
	v_mov_b32_e32 v7, 0
	s_and_saveexec_b32 s15, s11
	s_cbranch_execnz .LBB30_1662
	s_branch .LBB30_1663
.LBB30_2001:
	s_or_b32 s1, s1, exec_lo
	s_trap 2
	s_cbranch_execz .LBB30_1709
	s_branch .LBB30_1710
.LBB30_2002:
	s_and_not1_saveexec_b32 s11, s11
	s_cbranch_execz .LBB30_1674
.LBB30_2003:
	v_add_f32_e32 v1, 0x42800000, v3
	s_and_not1_b32 s10, s10, exec_lo
	s_delay_alu instid0(VALU_DEP_1) | instskip(NEXT) | instid1(VALU_DEP_1)
	v_and_b32_e32 v1, 0xff, v1
	v_cmp_ne_u32_e32 vcc_lo, 0, v1
	s_and_b32 s15, vcc_lo, exec_lo
	s_delay_alu instid0(SALU_CYCLE_1)
	s_or_b32 s10, s10, s15
	s_or_b32 exec_lo, exec_lo, s11
	v_mov_b32_e32 v7, 0
	s_and_saveexec_b32 s11, s10
	s_cbranch_execnz .LBB30_1675
	s_branch .LBB30_1676
.LBB30_2004:
	s_and_not1_saveexec_b32 s15, s15
	s_cbranch_execz .LBB30_1780
.LBB30_2005:
	v_add_f32_e32 v1, 0x46000000, v5
	s_and_not1_b32 s11, s11, exec_lo
	s_delay_alu instid0(VALU_DEP_1) | instskip(NEXT) | instid1(VALU_DEP_1)
	v_and_b32_e32 v1, 0xff, v1
	v_cmp_ne_u32_e32 vcc_lo, 0, v1
	s_and_b32 s16, vcc_lo, exec_lo
	s_delay_alu instid0(SALU_CYCLE_1)
	s_or_b32 s11, s11, s16
	s_or_b32 exec_lo, exec_lo, s15
	v_mov_b32_e32 v6, 0
	s_and_saveexec_b32 s15, s11
	s_cbranch_execnz .LBB30_1781
	s_branch .LBB30_1782
.LBB30_2006:
	s_or_b32 s1, s1, exec_lo
	s_trap 2
	s_cbranch_execz .LBB30_1828
	s_branch .LBB30_1829
.LBB30_2007:
	s_and_not1_saveexec_b32 s11, s11
	s_cbranch_execz .LBB30_1793
.LBB30_2008:
	v_add_f32_e32 v1, 0x42800000, v5
	s_and_not1_b32 s10, s10, exec_lo
	s_delay_alu instid0(VALU_DEP_1) | instskip(NEXT) | instid1(VALU_DEP_1)
	v_and_b32_e32 v1, 0xff, v1
	v_cmp_ne_u32_e32 vcc_lo, 0, v1
	s_and_b32 s15, vcc_lo, exec_lo
	s_delay_alu instid0(SALU_CYCLE_1)
	s_or_b32 s10, s10, s15
	s_or_b32 exec_lo, exec_lo, s11
	v_mov_b32_e32 v6, 0
	s_and_saveexec_b32 s11, s10
	s_cbranch_execnz .LBB30_1794
	s_branch .LBB30_1795
.LBB30_2009:
	s_and_not1_saveexec_b32 s6, s6
	s_cbranch_execz .LBB30_1900
.LBB30_2010:
	v_add_f32_e32 v2, 0x46000000, v3
	s_and_not1_b32 s5, s5, exec_lo
	s_delay_alu instid0(VALU_DEP_1) | instskip(NEXT) | instid1(VALU_DEP_1)
	v_and_b32_e32 v2, 0xff, v2
	v_cmp_ne_u32_e32 vcc_lo, 0, v2
	s_and_b32 s7, vcc_lo, exec_lo
	s_delay_alu instid0(SALU_CYCLE_1)
	s_or_b32 s5, s5, s7
	s_or_b32 exec_lo, exec_lo, s6
	v_mov_b32_e32 v4, 0
	s_and_saveexec_b32 s6, s5
	s_cbranch_execnz .LBB30_1901
	s_branch .LBB30_1902
.LBB30_2011:
	s_mov_b32 s3, 0
	s_or_b32 s1, s1, exec_lo
	s_trap 2
	s_branch .LBB30_1946
.LBB30_2012:
	s_and_not1_saveexec_b32 s5, s5
	s_cbranch_execz .LBB30_1912
.LBB30_2013:
	v_add_f32_e32 v2, 0x42800000, v3
	s_and_not1_b32 s4, s4, exec_lo
	s_delay_alu instid0(VALU_DEP_1) | instskip(NEXT) | instid1(VALU_DEP_1)
	v_and_b32_e32 v2, 0xff, v2
	v_cmp_ne_u32_e32 vcc_lo, 0, v2
	s_and_b32 s6, vcc_lo, exec_lo
	s_delay_alu instid0(SALU_CYCLE_1)
	s_or_b32 s4, s4, s6
	s_or_b32 exec_lo, exec_lo, s5
	v_mov_b32_e32 v4, 0
	s_and_saveexec_b32 s5, s4
	s_cbranch_execnz .LBB30_1913
	s_branch .LBB30_1914
	.section	.rodata,"a",@progbits
	.p2align	6, 0x0
	.amdhsa_kernel _ZN2at6native32elementwise_kernel_manual_unrollILi128ELi4EZNS0_15gpu_kernel_implINS0_13AUnaryFunctorIaabNS0_12_GLOBAL__N_116CompareEqFunctorIaEEEEEEvRNS_18TensorIteratorBaseERKT_EUlibE_EEviT1_
		.amdhsa_group_segment_fixed_size 0
		.amdhsa_private_segment_fixed_size 0
		.amdhsa_kernarg_size 48
		.amdhsa_user_sgpr_count 2
		.amdhsa_user_sgpr_dispatch_ptr 0
		.amdhsa_user_sgpr_queue_ptr 0
		.amdhsa_user_sgpr_kernarg_segment_ptr 1
		.amdhsa_user_sgpr_dispatch_id 0
		.amdhsa_user_sgpr_kernarg_preload_length 0
		.amdhsa_user_sgpr_kernarg_preload_offset 0
		.amdhsa_user_sgpr_private_segment_size 0
		.amdhsa_wavefront_size32 1
		.amdhsa_uses_dynamic_stack 0
		.amdhsa_enable_private_segment 0
		.amdhsa_system_sgpr_workgroup_id_x 1
		.amdhsa_system_sgpr_workgroup_id_y 0
		.amdhsa_system_sgpr_workgroup_id_z 0
		.amdhsa_system_sgpr_workgroup_info 0
		.amdhsa_system_vgpr_workitem_id 0
		.amdhsa_next_free_vgpr 14
		.amdhsa_next_free_sgpr 30
		.amdhsa_named_barrier_count 0
		.amdhsa_reserve_vcc 1
		.amdhsa_float_round_mode_32 0
		.amdhsa_float_round_mode_16_64 0
		.amdhsa_float_denorm_mode_32 3
		.amdhsa_float_denorm_mode_16_64 3
		.amdhsa_fp16_overflow 0
		.amdhsa_memory_ordered 1
		.amdhsa_forward_progress 1
		.amdhsa_inst_pref_size 255
		.amdhsa_round_robin_scheduling 0
		.amdhsa_exception_fp_ieee_invalid_op 0
		.amdhsa_exception_fp_denorm_src 0
		.amdhsa_exception_fp_ieee_div_zero 0
		.amdhsa_exception_fp_ieee_overflow 0
		.amdhsa_exception_fp_ieee_underflow 0
		.amdhsa_exception_fp_ieee_inexact 0
		.amdhsa_exception_int_div_zero 0
	.end_amdhsa_kernel
	.section	.text._ZN2at6native32elementwise_kernel_manual_unrollILi128ELi4EZNS0_15gpu_kernel_implINS0_13AUnaryFunctorIaabNS0_12_GLOBAL__N_116CompareEqFunctorIaEEEEEEvRNS_18TensorIteratorBaseERKT_EUlibE_EEviT1_,"axG",@progbits,_ZN2at6native32elementwise_kernel_manual_unrollILi128ELi4EZNS0_15gpu_kernel_implINS0_13AUnaryFunctorIaabNS0_12_GLOBAL__N_116CompareEqFunctorIaEEEEEEvRNS_18TensorIteratorBaseERKT_EUlibE_EEviT1_,comdat
.Lfunc_end30:
	.size	_ZN2at6native32elementwise_kernel_manual_unrollILi128ELi4EZNS0_15gpu_kernel_implINS0_13AUnaryFunctorIaabNS0_12_GLOBAL__N_116CompareEqFunctorIaEEEEEEvRNS_18TensorIteratorBaseERKT_EUlibE_EEviT1_, .Lfunc_end30-_ZN2at6native32elementwise_kernel_manual_unrollILi128ELi4EZNS0_15gpu_kernel_implINS0_13AUnaryFunctorIaabNS0_12_GLOBAL__N_116CompareEqFunctorIaEEEEEEvRNS_18TensorIteratorBaseERKT_EUlibE_EEviT1_
                                        ; -- End function
	.set _ZN2at6native32elementwise_kernel_manual_unrollILi128ELi4EZNS0_15gpu_kernel_implINS0_13AUnaryFunctorIaabNS0_12_GLOBAL__N_116CompareEqFunctorIaEEEEEEvRNS_18TensorIteratorBaseERKT_EUlibE_EEviT1_.num_vgpr, 14
	.set _ZN2at6native32elementwise_kernel_manual_unrollILi128ELi4EZNS0_15gpu_kernel_implINS0_13AUnaryFunctorIaabNS0_12_GLOBAL__N_116CompareEqFunctorIaEEEEEEvRNS_18TensorIteratorBaseERKT_EUlibE_EEviT1_.num_agpr, 0
	.set _ZN2at6native32elementwise_kernel_manual_unrollILi128ELi4EZNS0_15gpu_kernel_implINS0_13AUnaryFunctorIaabNS0_12_GLOBAL__N_116CompareEqFunctorIaEEEEEEvRNS_18TensorIteratorBaseERKT_EUlibE_EEviT1_.numbered_sgpr, 30
	.set _ZN2at6native32elementwise_kernel_manual_unrollILi128ELi4EZNS0_15gpu_kernel_implINS0_13AUnaryFunctorIaabNS0_12_GLOBAL__N_116CompareEqFunctorIaEEEEEEvRNS_18TensorIteratorBaseERKT_EUlibE_EEviT1_.num_named_barrier, 0
	.set _ZN2at6native32elementwise_kernel_manual_unrollILi128ELi4EZNS0_15gpu_kernel_implINS0_13AUnaryFunctorIaabNS0_12_GLOBAL__N_116CompareEqFunctorIaEEEEEEvRNS_18TensorIteratorBaseERKT_EUlibE_EEviT1_.private_seg_size, 0
	.set _ZN2at6native32elementwise_kernel_manual_unrollILi128ELi4EZNS0_15gpu_kernel_implINS0_13AUnaryFunctorIaabNS0_12_GLOBAL__N_116CompareEqFunctorIaEEEEEEvRNS_18TensorIteratorBaseERKT_EUlibE_EEviT1_.uses_vcc, 1
	.set _ZN2at6native32elementwise_kernel_manual_unrollILi128ELi4EZNS0_15gpu_kernel_implINS0_13AUnaryFunctorIaabNS0_12_GLOBAL__N_116CompareEqFunctorIaEEEEEEvRNS_18TensorIteratorBaseERKT_EUlibE_EEviT1_.uses_flat_scratch, 0
	.set _ZN2at6native32elementwise_kernel_manual_unrollILi128ELi4EZNS0_15gpu_kernel_implINS0_13AUnaryFunctorIaabNS0_12_GLOBAL__N_116CompareEqFunctorIaEEEEEEvRNS_18TensorIteratorBaseERKT_EUlibE_EEviT1_.has_dyn_sized_stack, 0
	.set _ZN2at6native32elementwise_kernel_manual_unrollILi128ELi4EZNS0_15gpu_kernel_implINS0_13AUnaryFunctorIaabNS0_12_GLOBAL__N_116CompareEqFunctorIaEEEEEEvRNS_18TensorIteratorBaseERKT_EUlibE_EEviT1_.has_recursion, 0
	.set _ZN2at6native32elementwise_kernel_manual_unrollILi128ELi4EZNS0_15gpu_kernel_implINS0_13AUnaryFunctorIaabNS0_12_GLOBAL__N_116CompareEqFunctorIaEEEEEEvRNS_18TensorIteratorBaseERKT_EUlibE_EEviT1_.has_indirect_call, 0
	.section	.AMDGPU.csdata,"",@progbits
; Kernel info:
; codeLenInByte = 34300
; TotalNumSgprs: 32
; NumVgprs: 14
; ScratchSize: 0
; MemoryBound: 1
; FloatMode: 240
; IeeeMode: 1
; LDSByteSize: 0 bytes/workgroup (compile time only)
; SGPRBlocks: 0
; VGPRBlocks: 0
; NumSGPRsForWavesPerEU: 32
; NumVGPRsForWavesPerEU: 14
; NamedBarCnt: 0
; Occupancy: 16
; WaveLimiterHint : 0
; COMPUTE_PGM_RSRC2:SCRATCH_EN: 0
; COMPUTE_PGM_RSRC2:USER_SGPR: 2
; COMPUTE_PGM_RSRC2:TRAP_HANDLER: 0
; COMPUTE_PGM_RSRC2:TGID_X_EN: 1
; COMPUTE_PGM_RSRC2:TGID_Y_EN: 0
; COMPUTE_PGM_RSRC2:TGID_Z_EN: 0
; COMPUTE_PGM_RSRC2:TIDIG_COMP_CNT: 0
	.section	.text._ZN2at6native32elementwise_kernel_manual_unrollILi128ELi4EZNS0_15gpu_kernel_implINS0_13AUnaryFunctorIaabNS0_12_GLOBAL__N_116CompareEqFunctorIaEEEEEEvRNS_18TensorIteratorBaseERKT_EUlibE0_EEviT1_,"axG",@progbits,_ZN2at6native32elementwise_kernel_manual_unrollILi128ELi4EZNS0_15gpu_kernel_implINS0_13AUnaryFunctorIaabNS0_12_GLOBAL__N_116CompareEqFunctorIaEEEEEEvRNS_18TensorIteratorBaseERKT_EUlibE0_EEviT1_,comdat
	.globl	_ZN2at6native32elementwise_kernel_manual_unrollILi128ELi4EZNS0_15gpu_kernel_implINS0_13AUnaryFunctorIaabNS0_12_GLOBAL__N_116CompareEqFunctorIaEEEEEEvRNS_18TensorIteratorBaseERKT_EUlibE0_EEviT1_ ; -- Begin function _ZN2at6native32elementwise_kernel_manual_unrollILi128ELi4EZNS0_15gpu_kernel_implINS0_13AUnaryFunctorIaabNS0_12_GLOBAL__N_116CompareEqFunctorIaEEEEEEvRNS_18TensorIteratorBaseERKT_EUlibE0_EEviT1_
	.p2align	8
	.type	_ZN2at6native32elementwise_kernel_manual_unrollILi128ELi4EZNS0_15gpu_kernel_implINS0_13AUnaryFunctorIaabNS0_12_GLOBAL__N_116CompareEqFunctorIaEEEEEEvRNS_18TensorIteratorBaseERKT_EUlibE0_EEviT1_,@function
_ZN2at6native32elementwise_kernel_manual_unrollILi128ELi4EZNS0_15gpu_kernel_implINS0_13AUnaryFunctorIaabNS0_12_GLOBAL__N_116CompareEqFunctorIaEEEEEEvRNS_18TensorIteratorBaseERKT_EUlibE0_EEviT1_: ; @_ZN2at6native32elementwise_kernel_manual_unrollILi128ELi4EZNS0_15gpu_kernel_implINS0_13AUnaryFunctorIaabNS0_12_GLOBAL__N_116CompareEqFunctorIaEEEEEEvRNS_18TensorIteratorBaseERKT_EUlibE0_EEviT1_
; %bb.0:
	s_clause 0x1
	s_load_b32 s33, s[0:1], 0x8
	s_load_b32 s39, s[0:1], 0x0
	s_bfe_u32 s2, ttmp6, 0x4000c
	s_and_b32 s3, ttmp6, 15
	s_add_co_i32 s2, s2, 1
	s_getreg_b32 s4, hwreg(HW_REG_IB_STS2, 6, 4)
	s_mul_i32 s2, ttmp9, s2
	s_mov_b32 s26, -1
	s_add_co_i32 s3, s3, s2
	s_cmp_eq_u32 s4, 0
	s_add_nc_u64 s[16:17], s[0:1], 8
	s_cselect_b32 s2, ttmp9, s3
	s_mov_b32 s3, 0
	v_lshl_or_b32 v0, s2, 9, v0
	s_mov_b32 s8, 0
	s_wait_xcnt 0x0
	s_mov_b32 s0, exec_lo
	s_delay_alu instid0(VALU_DEP_1) | instskip(SKIP_2) | instid1(SALU_CYCLE_1)
	v_or_b32_e32 v9, 0x180, v0
	s_wait_kmcnt 0x0
	s_add_co_i32 s34, s33, -1
	s_cmp_gt_u32 s34, 1
	s_cselect_b32 s35, -1, 0
	v_cmpx_le_i32_e64 s39, v9
	s_xor_b32 s36, exec_lo, s0
	s_cbranch_execz .LBB31_1080
; %bb.1:
	s_clause 0x4
	s_load_b128 s[8:11], s[16:17], 0x4
	s_load_b96 s[0:2], s[16:17], 0x158
	s_load_b64 s[20:21], s[16:17], 0x14
	s_load_b128 s[12:15], s[16:17], 0xc4
	s_load_b128 s[4:7], s[16:17], 0x148
	s_cmp_lg_u32 s33, 0
	s_mov_b32 s19, 0
	s_cselect_b32 s41, -1, 0
	s_min_u32 s40, s34, 15
	s_cmp_gt_u32 s33, 1
	s_add_nc_u64 s[24:25], s[16:17], 0xc4
	s_cselect_b32 s38, -1, 0
	s_mov_b32 s23, s19
	s_mov_b32 s42, s19
	s_mov_b32 s43, exec_lo
	s_wait_kmcnt 0x0
	s_mov_b32 s18, s9
	s_bfe_u32 s37, s2, 0x80008
	s_cmp_eq_u32 s0, 0
	s_mov_b32 s22, s20
	s_cselect_b32 s9, -1, 0
	s_mov_b32 s20, s19
	v_cmpx_gt_i32_e64 s39, v0
	s_cbranch_execz .LBB31_263
; %bb.2:
	s_and_not1_b32 vcc_lo, exec_lo, s35
	s_cbranch_vccnz .LBB31_8
; %bb.3:
	s_and_not1_b32 vcc_lo, exec_lo, s41
	s_cbranch_vccnz .LBB31_9
; %bb.4:
	s_add_co_i32 s0, s40, 1
	s_cmp_eq_u32 s34, 2
	s_cbranch_scc1 .LBB31_10
; %bb.5:
	v_dual_mov_b32 v2, 0 :: v_dual_mov_b32 v4, 0
	v_mov_b32_e32 v1, v0
	s_and_b32 s26, s0, 28
	s_mov_b32 s20, 0
	s_mov_b64 s[28:29], s[16:17]
	s_mov_b64 s[30:31], s[24:25]
.LBB31_6:                               ; =>This Inner Loop Header: Depth=1
	s_clause 0x1
	s_load_b256 s[44:51], s[28:29], 0x4
	s_load_b128 s[60:63], s[28:29], 0x24
	s_load_b256 s[52:59], s[30:31], 0x0
	s_add_co_i32 s20, s20, 4
	s_wait_xcnt 0x0
	s_add_nc_u64 s[28:29], s[28:29], 48
	s_cmp_lg_u32 s26, s20
	s_add_nc_u64 s[30:31], s[30:31], 32
	s_wait_kmcnt 0x0
	v_mul_hi_u32 v3, s45, v1
	s_delay_alu instid0(VALU_DEP_1) | instskip(NEXT) | instid1(VALU_DEP_1)
	v_add_nc_u32_e32 v3, v1, v3
	v_lshrrev_b32_e32 v3, s46, v3
	s_delay_alu instid0(VALU_DEP_1) | instskip(NEXT) | instid1(VALU_DEP_1)
	v_mul_hi_u32 v5, s48, v3
	v_add_nc_u32_e32 v5, v3, v5
	s_delay_alu instid0(VALU_DEP_1) | instskip(NEXT) | instid1(VALU_DEP_1)
	v_lshrrev_b32_e32 v5, s49, v5
	v_mul_hi_u32 v6, s51, v5
	s_delay_alu instid0(VALU_DEP_1) | instskip(SKIP_1) | instid1(VALU_DEP_1)
	v_add_nc_u32_e32 v6, v5, v6
	v_mul_lo_u32 v7, v3, s44
	v_sub_nc_u32_e32 v1, v1, v7
	v_mul_lo_u32 v7, v5, s47
	s_delay_alu instid0(VALU_DEP_4) | instskip(NEXT) | instid1(VALU_DEP_3)
	v_lshrrev_b32_e32 v6, s60, v6
	v_mad_u32 v4, v1, s53, v4
	v_mad_u32 v1, v1, s52, v2
	s_delay_alu instid0(VALU_DEP_4) | instskip(NEXT) | instid1(VALU_DEP_4)
	v_sub_nc_u32_e32 v2, v3, v7
	v_mul_hi_u32 v8, s62, v6
	v_mul_lo_u32 v3, v6, s50
	s_delay_alu instid0(VALU_DEP_3) | instskip(SKIP_1) | instid1(VALU_DEP_3)
	v_mad_u32 v4, v2, s55, v4
	v_mad_u32 v2, v2, s54, v1
	v_dual_add_nc_u32 v7, v6, v8 :: v_dual_sub_nc_u32 v3, v5, v3
	s_delay_alu instid0(VALU_DEP_1) | instskip(NEXT) | instid1(VALU_DEP_2)
	v_lshrrev_b32_e32 v1, s63, v7
	v_mad_u32 v4, v3, s57, v4
	s_delay_alu instid0(VALU_DEP_4) | instskip(NEXT) | instid1(VALU_DEP_3)
	v_mad_u32 v2, v3, s56, v2
	v_mul_lo_u32 v5, v1, s61
	s_delay_alu instid0(VALU_DEP_1) | instskip(NEXT) | instid1(VALU_DEP_1)
	v_sub_nc_u32_e32 v3, v6, v5
	v_mad_u32 v4, v3, s59, v4
	s_delay_alu instid0(VALU_DEP_4)
	v_mad_u32 v2, v3, s58, v2
	s_cbranch_scc1 .LBB31_6
; %bb.7:
	s_delay_alu instid0(VALU_DEP_2)
	v_mov_b32_e32 v3, v4
	s_and_b32 s0, s0, 3
	s_mov_b32 s27, 0
	s_cmp_eq_u32 s0, 0
	s_cbranch_scc0 .LBB31_11
	s_branch .LBB31_14
.LBB31_8:
                                        ; implicit-def: $vgpr4
                                        ; implicit-def: $vgpr2
	s_branch .LBB31_15
.LBB31_9:
	v_dual_mov_b32 v4, 0 :: v_dual_mov_b32 v2, 0
	s_branch .LBB31_14
.LBB31_10:
	v_mov_b64_e32 v[2:3], 0
	v_mov_b32_e32 v1, v0
	s_mov_b32 s26, 0
                                        ; implicit-def: $vgpr4
	s_and_b32 s0, s0, 3
	s_mov_b32 s27, 0
	s_cmp_eq_u32 s0, 0
	s_cbranch_scc1 .LBB31_14
.LBB31_11:
	s_lshl_b32 s28, s26, 3
	s_mov_b32 s29, s27
	s_mul_u64 s[30:31], s[26:27], 12
	s_add_nc_u64 s[28:29], s[16:17], s[28:29]
	s_delay_alu instid0(SALU_CYCLE_1)
	s_add_nc_u64 s[26:27], s[28:29], 0xc4
	s_add_nc_u64 s[28:29], s[16:17], s[30:31]
.LBB31_12:                              ; =>This Inner Loop Header: Depth=1
	s_load_b96 s[44:46], s[28:29], 0x4
	s_load_b64 s[30:31], s[26:27], 0x0
	s_add_co_i32 s0, s0, -1
	s_wait_xcnt 0x0
	s_add_nc_u64 s[28:29], s[28:29], 12
	s_cmp_lg_u32 s0, 0
	s_add_nc_u64 s[26:27], s[26:27], 8
	s_wait_kmcnt 0x0
	v_mul_hi_u32 v4, s45, v1
	s_delay_alu instid0(VALU_DEP_1) | instskip(NEXT) | instid1(VALU_DEP_1)
	v_add_nc_u32_e32 v4, v1, v4
	v_lshrrev_b32_e32 v4, s46, v4
	s_delay_alu instid0(VALU_DEP_1) | instskip(NEXT) | instid1(VALU_DEP_1)
	v_mul_lo_u32 v5, v4, s44
	v_sub_nc_u32_e32 v1, v1, v5
	s_delay_alu instid0(VALU_DEP_1)
	v_mad_u32 v3, v1, s31, v3
	v_mad_u32 v2, v1, s30, v2
	v_mov_b32_e32 v1, v4
	s_cbranch_scc1 .LBB31_12
; %bb.13:
	s_delay_alu instid0(VALU_DEP_3)
	v_mov_b32_e32 v4, v3
.LBB31_14:
	s_cbranch_execnz .LBB31_17
.LBB31_15:
	v_mov_b32_e32 v1, 0
	s_and_not1_b32 vcc_lo, exec_lo, s38
	s_delay_alu instid0(VALU_DEP_1) | instskip(NEXT) | instid1(VALU_DEP_1)
	v_mul_u64_e32 v[2:3], s[18:19], v[0:1]
	v_add_nc_u32_e32 v2, v0, v3
	s_delay_alu instid0(VALU_DEP_1) | instskip(NEXT) | instid1(VALU_DEP_1)
	v_lshrrev_b32_e32 v6, s10, v2
	v_mul_lo_u32 v2, v6, s8
	s_delay_alu instid0(VALU_DEP_1) | instskip(NEXT) | instid1(VALU_DEP_1)
	v_sub_nc_u32_e32 v2, v0, v2
	v_mul_lo_u32 v4, v2, s13
	v_mul_lo_u32 v2, v2, s12
	s_cbranch_vccnz .LBB31_17
; %bb.16:
	v_mov_b32_e32 v7, v1
	s_delay_alu instid0(VALU_DEP_1) | instskip(NEXT) | instid1(VALU_DEP_1)
	v_mul_u64_e32 v[8:9], s[22:23], v[6:7]
	v_add_nc_u32_e32 v1, v6, v9
	s_delay_alu instid0(VALU_DEP_1) | instskip(NEXT) | instid1(VALU_DEP_1)
	v_lshrrev_b32_e32 v1, s21, v1
	v_mul_lo_u32 v1, v1, s11
	s_delay_alu instid0(VALU_DEP_1) | instskip(NEXT) | instid1(VALU_DEP_1)
	v_sub_nc_u32_e32 v1, v6, v1
	v_mad_u32 v2, v1, s14, v2
	v_mad_u32 v4, v1, s15, v4
.LBB31_17:
	v_mov_b32_e32 v5, 0
	s_and_b32 s0, 0xffff, s37
	s_delay_alu instid0(SALU_CYCLE_1) | instskip(NEXT) | instid1(VALU_DEP_1)
	s_cmp_lt_i32 s0, 11
	v_add_nc_u64_e32 v[4:5], s[6:7], v[4:5]
	s_cbranch_scc1 .LBB31_24
; %bb.18:
	s_cmp_gt_i32 s0, 25
	s_cbranch_scc0 .LBB31_33
; %bb.19:
	s_cmp_gt_i32 s0, 28
	s_cbranch_scc0 .LBB31_36
	;; [unrolled: 3-line block ×4, first 2 shown]
; %bb.22:
	s_cmp_eq_u32 s0, 46
	s_mov_b32 s27, 0
	s_cbranch_scc0 .LBB31_42
; %bb.23:
	global_load_b32 v1, v[4:5], off
	s_mov_b32 s20, -1
	s_mov_b32 s26, 0
	s_wait_loadcnt 0x0
	v_lshlrev_b32_e32 v1, 16, v1
	s_delay_alu instid0(VALU_DEP_1)
	v_cvt_i32_f32_e32 v6, v1
	s_branch .LBB31_44
.LBB31_24:
	s_mov_b32 s26, 0
	s_mov_b32 s20, 0
                                        ; implicit-def: $vgpr6
	s_cbranch_execnz .LBB31_213
.LBB31_25:
	s_and_not1_b32 vcc_lo, exec_lo, s20
	s_cbranch_vccnz .LBB31_260
.LBB31_26:
	s_wait_loadcnt 0x0
	s_delay_alu instid0(VALU_DEP_1) | instskip(SKIP_3) | instid1(VALU_DEP_2)
	v_and_b32_e32 v1, 0xff, v6
	v_mov_b32_e32 v3, 0
	s_and_b32 s0, s1, 0xff
	s_and_b32 s27, s2, 0xff
	v_cmp_ne_u16_e32 vcc_lo, s0, v1
	s_delay_alu instid0(VALU_DEP_2)
	v_add_nc_u64_e32 v[2:3], s[4:5], v[2:3]
	s_xor_b32 s20, s9, vcc_lo
	s_cmp_lt_i32 s27, 11
	s_cbranch_scc1 .LBB31_34
; %bb.27:
	s_and_b32 s28, 0xffff, s27
	s_delay_alu instid0(SALU_CYCLE_1)
	s_cmp_gt_i32 s28, 25
	s_cbranch_scc0 .LBB31_37
; %bb.28:
	s_cmp_gt_i32 s28, 28
	s_cbranch_scc0 .LBB31_39
; %bb.29:
	;; [unrolled: 3-line block ×4, first 2 shown]
	s_mov_b32 s30, 0
	s_mov_b32 s0, -1
	s_cmp_eq_u32 s28, 46
	s_mov_b32 s29, 0
	s_cbranch_scc0 .LBB31_48
; %bb.32:
	v_cndmask_b32_e64 v1, 0, 1.0, s20
	s_mov_b32 s29, -1
	s_mov_b32 s0, 0
	s_delay_alu instid0(VALU_DEP_1) | instskip(NEXT) | instid1(VALU_DEP_1)
	v_bfe_u32 v4, v1, 16, 1
	v_add3_u32 v1, v1, v4, 0x7fff
	s_delay_alu instid0(VALU_DEP_1)
	v_lshrrev_b32_e32 v1, 16, v1
	global_store_b32 v[2:3], v1, off
	s_branch .LBB31_48
.LBB31_33:
	s_mov_b32 s26, 0
	s_mov_b32 s20, 0
                                        ; implicit-def: $vgpr6
	s_cbranch_execnz .LBB31_180
	s_branch .LBB31_212
.LBB31_34:
	s_mov_b32 s0, 0
	s_mov_b32 s29, 0
	s_cbranch_execnz .LBB31_117
.LBB31_35:
	s_and_not1_b32 vcc_lo, exec_lo, s29
	s_cbranch_vccz .LBB31_155
	s_branch .LBB31_261
.LBB31_36:
	s_mov_b32 s27, -1
	s_mov_b32 s26, 0
	s_mov_b32 s20, 0
                                        ; implicit-def: $vgpr6
	s_branch .LBB31_163
.LBB31_37:
	s_mov_b32 s30, -1
	s_mov_b32 s0, 0
	s_mov_b32 s29, 0
	s_branch .LBB31_75
.LBB31_38:
	s_mov_b32 s27, -1
	s_mov_b32 s26, 0
	s_mov_b32 s20, 0
                                        ; implicit-def: $vgpr6
	s_branch .LBB31_158
.LBB31_39:
	s_mov_b32 s30, -1
	s_mov_b32 s0, 0
	s_mov_b32 s29, 0
	s_branch .LBB31_58
.LBB31_40:
	s_mov_b32 s27, -1
	s_mov_b32 s26, 0
	s_branch .LBB31_43
.LBB31_41:
	s_mov_b32 s30, -1
	s_mov_b32 s0, 0
	s_mov_b32 s29, 0
	s_branch .LBB31_54
.LBB31_42:
	s_mov_b32 s26, -1
.LBB31_43:
	s_mov_b32 s20, 0
                                        ; implicit-def: $vgpr6
.LBB31_44:
	s_and_b32 vcc_lo, exec_lo, s27
	s_cbranch_vccz .LBB31_157
; %bb.45:
	s_cmp_eq_u32 s0, 44
	s_cbranch_scc0 .LBB31_156
; %bb.46:
	global_load_u8 v1, v[4:5], off
	s_mov_b32 s26, 0
	s_mov_b32 s20, -1
	s_wait_loadcnt 0x0
	v_lshlrev_b32_e32 v3, 23, v1
	v_cmp_ne_u32_e32 vcc_lo, 0, v1
	s_delay_alu instid0(VALU_DEP_2) | instskip(NEXT) | instid1(VALU_DEP_1)
	v_cvt_i32_f32_e32 v3, v3
	v_cndmask_b32_e32 v6, 0, v3, vcc_lo
	s_branch .LBB31_157
.LBB31_47:
	s_mov_b32 s30, -1
	s_mov_b32 s0, 0
	s_mov_b32 s29, 0
.LBB31_48:
	s_and_b32 vcc_lo, exec_lo, s30
	s_cbranch_vccz .LBB31_53
; %bb.49:
	s_cmp_eq_u32 s28, 44
	s_mov_b32 s0, -1
	s_cbranch_scc0 .LBB31_53
; %bb.50:
	v_cndmask_b32_e64 v5, 0, 1.0, s20
	s_mov_b32 s29, exec_lo
	s_wait_xcnt 0x0
	s_delay_alu instid0(VALU_DEP_1) | instskip(NEXT) | instid1(VALU_DEP_1)
	v_dual_mov_b32 v4, 0xff :: v_dual_lshrrev_b32 v1, 23, v5
	v_cmpx_ne_u32_e32 0xff, v1
; %bb.51:
	v_and_b32_e32 v4, 0x400000, v5
	v_and_or_b32 v5, 0x3fffff, v5, v1
	s_delay_alu instid0(VALU_DEP_2) | instskip(NEXT) | instid1(VALU_DEP_2)
	v_cmp_ne_u32_e32 vcc_lo, 0, v4
	v_cmp_ne_u32_e64 s0, 0, v5
	s_and_b32 s0, vcc_lo, s0
	s_delay_alu instid0(SALU_CYCLE_1) | instskip(NEXT) | instid1(VALU_DEP_1)
	v_cndmask_b32_e64 v4, 0, 1, s0
	v_add_nc_u32_e32 v4, v1, v4
; %bb.52:
	s_or_b32 exec_lo, exec_lo, s29
	s_mov_b32 s29, -1
	s_mov_b32 s0, 0
	global_store_b8 v[2:3], v4, off
.LBB31_53:
	s_mov_b32 s30, 0
.LBB31_54:
	s_delay_alu instid0(SALU_CYCLE_1)
	s_and_b32 vcc_lo, exec_lo, s30
	s_cbranch_vccz .LBB31_57
; %bb.55:
	s_cmp_eq_u32 s28, 29
	s_mov_b32 s0, -1
	s_cbranch_scc0 .LBB31_57
; %bb.56:
	s_mov_b32 s0, 0
	s_wait_xcnt 0x0
	v_cndmask_b32_e64 v4, 0, 1, s20
	v_mov_b32_e32 v5, s0
	s_mov_b32 s29, -1
	s_mov_b32 s30, 0
	global_store_b64 v[2:3], v[4:5], off
	s_branch .LBB31_58
.LBB31_57:
	s_mov_b32 s30, 0
.LBB31_58:
	s_delay_alu instid0(SALU_CYCLE_1)
	s_and_b32 vcc_lo, exec_lo, s30
	s_cbranch_vccz .LBB31_74
; %bb.59:
	s_cmp_lt_i32 s28, 27
	s_mov_b32 s29, -1
	s_cbranch_scc1 .LBB31_65
; %bb.60:
	s_cmp_gt_i32 s28, 27
	s_cbranch_scc0 .LBB31_62
; %bb.61:
	s_wait_xcnt 0x0
	v_cndmask_b32_e64 v1, 0, 1, s20
	s_mov_b32 s29, 0
	global_store_b32 v[2:3], v1, off
.LBB31_62:
	s_and_not1_b32 vcc_lo, exec_lo, s29
	s_cbranch_vccnz .LBB31_64
; %bb.63:
	s_wait_xcnt 0x0
	v_cndmask_b32_e64 v1, 0, 1, s20
	global_store_b16 v[2:3], v1, off
.LBB31_64:
	s_mov_b32 s29, 0
.LBB31_65:
	s_delay_alu instid0(SALU_CYCLE_1)
	s_and_not1_b32 vcc_lo, exec_lo, s29
	s_cbranch_vccnz .LBB31_73
; %bb.66:
	s_wait_xcnt 0x0
	v_cndmask_b32_e64 v4, 0, 1.0, s20
	v_mov_b32_e32 v5, 0x80
	s_mov_b32 s29, exec_lo
	s_delay_alu instid0(VALU_DEP_2)
	v_cmpx_gt_u32_e32 0x43800000, v4
	s_cbranch_execz .LBB31_72
; %bb.67:
	s_mov_b32 s30, 0
	s_mov_b32 s31, exec_lo
                                        ; implicit-def: $vgpr1
	v_cmpx_lt_u32_e32 0x3bffffff, v4
	s_xor_b32 s31, exec_lo, s31
	s_cbranch_execz .LBB31_306
; %bb.68:
	v_bfe_u32 v1, v4, 20, 1
	s_mov_b32 s30, exec_lo
	s_delay_alu instid0(VALU_DEP_1) | instskip(NEXT) | instid1(VALU_DEP_1)
	v_add3_u32 v1, v4, v1, 0x487ffff
                                        ; implicit-def: $vgpr4
	v_lshrrev_b32_e32 v1, 20, v1
	s_and_not1_saveexec_b32 s31, s31
	s_cbranch_execnz .LBB31_307
.LBB31_69:
	s_or_b32 exec_lo, exec_lo, s31
	v_mov_b32_e32 v5, 0
	s_and_saveexec_b32 s31, s30
.LBB31_70:
	v_mov_b32_e32 v5, v1
.LBB31_71:
	s_or_b32 exec_lo, exec_lo, s31
.LBB31_72:
	s_delay_alu instid0(SALU_CYCLE_1)
	s_or_b32 exec_lo, exec_lo, s29
	global_store_b8 v[2:3], v5, off
.LBB31_73:
	s_mov_b32 s29, -1
.LBB31_74:
	s_mov_b32 s30, 0
.LBB31_75:
	s_delay_alu instid0(SALU_CYCLE_1)
	s_and_b32 vcc_lo, exec_lo, s30
	s_cbranch_vccz .LBB31_116
; %bb.76:
	s_cmp_gt_i32 s28, 22
	s_mov_b32 s30, -1
	s_cbranch_scc0 .LBB31_108
; %bb.77:
	s_cmp_lt_i32 s28, 24
	s_mov_b32 s29, -1
	s_cbranch_scc1 .LBB31_97
; %bb.78:
	s_cmp_gt_i32 s28, 24
	s_cbranch_scc0 .LBB31_86
; %bb.79:
	s_wait_xcnt 0x0
	v_cndmask_b32_e64 v4, 0, 1.0, s20
	v_mov_b32_e32 v5, 0x80
	s_mov_b32 s29, exec_lo
	s_delay_alu instid0(VALU_DEP_2)
	v_cmpx_gt_u32_e32 0x47800000, v4
	s_cbranch_execz .LBB31_85
; %bb.80:
	s_mov_b32 s30, 0
	s_mov_b32 s31, exec_lo
                                        ; implicit-def: $vgpr1
	v_cmpx_lt_u32_e32 0x37ffffff, v4
	s_xor_b32 s31, exec_lo, s31
	s_cbranch_execz .LBB31_310
; %bb.81:
	v_bfe_u32 v1, v4, 21, 1
	s_mov_b32 s30, exec_lo
	s_delay_alu instid0(VALU_DEP_1) | instskip(NEXT) | instid1(VALU_DEP_1)
	v_add3_u32 v1, v4, v1, 0x88fffff
                                        ; implicit-def: $vgpr4
	v_lshrrev_b32_e32 v1, 21, v1
	s_and_not1_saveexec_b32 s31, s31
	s_cbranch_execnz .LBB31_311
.LBB31_82:
	s_or_b32 exec_lo, exec_lo, s31
	v_mov_b32_e32 v5, 0
	s_and_saveexec_b32 s31, s30
.LBB31_83:
	v_mov_b32_e32 v5, v1
.LBB31_84:
	s_or_b32 exec_lo, exec_lo, s31
.LBB31_85:
	s_delay_alu instid0(SALU_CYCLE_1)
	s_or_b32 exec_lo, exec_lo, s29
	s_mov_b32 s29, 0
	global_store_b8 v[2:3], v5, off
.LBB31_86:
	s_and_b32 vcc_lo, exec_lo, s29
	s_cbranch_vccz .LBB31_96
; %bb.87:
	s_wait_xcnt 0x0
	v_cndmask_b32_e64 v4, 0, 1.0, s20
	s_mov_b32 s29, exec_lo
                                        ; implicit-def: $vgpr1
	s_delay_alu instid0(VALU_DEP_1)
	v_cmpx_gt_u32_e32 0x43f00000, v4
	s_xor_b32 s29, exec_lo, s29
	s_cbranch_execz .LBB31_93
; %bb.88:
	s_mov_b32 s30, exec_lo
                                        ; implicit-def: $vgpr1
	v_cmpx_lt_u32_e32 0x3c7fffff, v4
	s_xor_b32 s30, exec_lo, s30
; %bb.89:
	v_bfe_u32 v1, v4, 20, 1
	s_delay_alu instid0(VALU_DEP_1) | instskip(NEXT) | instid1(VALU_DEP_1)
	v_add3_u32 v1, v4, v1, 0x407ffff
	v_and_b32_e32 v4, 0xff00000, v1
	v_lshrrev_b32_e32 v1, 20, v1
	s_delay_alu instid0(VALU_DEP_2) | instskip(NEXT) | instid1(VALU_DEP_2)
	v_cmp_ne_u32_e32 vcc_lo, 0x7f00000, v4
                                        ; implicit-def: $vgpr4
	v_cndmask_b32_e32 v1, 0x7e, v1, vcc_lo
; %bb.90:
	s_and_not1_saveexec_b32 s30, s30
; %bb.91:
	v_add_f32_e32 v1, 0x46800000, v4
; %bb.92:
	s_or_b32 exec_lo, exec_lo, s30
                                        ; implicit-def: $vgpr4
.LBB31_93:
	s_and_not1_saveexec_b32 s29, s29
; %bb.94:
	v_mov_b32_e32 v1, 0x7f
	v_cmp_lt_u32_e32 vcc_lo, 0x7f800000, v4
	s_delay_alu instid0(VALU_DEP_2)
	v_cndmask_b32_e32 v1, 0x7e, v1, vcc_lo
; %bb.95:
	s_or_b32 exec_lo, exec_lo, s29
	global_store_b8 v[2:3], v1, off
.LBB31_96:
	s_mov_b32 s29, 0
.LBB31_97:
	s_delay_alu instid0(SALU_CYCLE_1)
	s_and_not1_b32 vcc_lo, exec_lo, s29
	s_cbranch_vccnz .LBB31_107
; %bb.98:
	s_wait_xcnt 0x0
	v_cndmask_b32_e64 v4, 0, 1.0, s20
	s_mov_b32 s29, exec_lo
                                        ; implicit-def: $vgpr1
	s_delay_alu instid0(VALU_DEP_1)
	v_cmpx_gt_u32_e32 0x47800000, v4
	s_xor_b32 s29, exec_lo, s29
	s_cbranch_execz .LBB31_104
; %bb.99:
	s_mov_b32 s30, exec_lo
                                        ; implicit-def: $vgpr1
	v_cmpx_lt_u32_e32 0x387fffff, v4
	s_xor_b32 s30, exec_lo, s30
; %bb.100:
	v_bfe_u32 v1, v4, 21, 1
	s_delay_alu instid0(VALU_DEP_1) | instskip(NEXT) | instid1(VALU_DEP_1)
	v_add3_u32 v1, v4, v1, 0x80fffff
                                        ; implicit-def: $vgpr4
	v_lshrrev_b32_e32 v1, 21, v1
; %bb.101:
	s_and_not1_saveexec_b32 s30, s30
; %bb.102:
	v_add_f32_e32 v1, 0x43000000, v4
; %bb.103:
	s_or_b32 exec_lo, exec_lo, s30
                                        ; implicit-def: $vgpr4
.LBB31_104:
	s_and_not1_saveexec_b32 s29, s29
; %bb.105:
	v_mov_b32_e32 v1, 0x7f
	v_cmp_lt_u32_e32 vcc_lo, 0x7f800000, v4
	s_delay_alu instid0(VALU_DEP_2)
	v_cndmask_b32_e32 v1, 0x7c, v1, vcc_lo
; %bb.106:
	s_or_b32 exec_lo, exec_lo, s29
	global_store_b8 v[2:3], v1, off
.LBB31_107:
	s_mov_b32 s30, 0
	s_mov_b32 s29, -1
.LBB31_108:
	s_and_not1_b32 vcc_lo, exec_lo, s30
	s_cbranch_vccnz .LBB31_116
; %bb.109:
	s_cmp_gt_i32 s28, 14
	s_mov_b32 s30, -1
	s_cbranch_scc0 .LBB31_113
; %bb.110:
	s_cmp_eq_u32 s28, 15
	s_mov_b32 s0, -1
	s_cbranch_scc0 .LBB31_112
; %bb.111:
	s_wait_xcnt 0x0
	v_cndmask_b32_e64 v1, 0, 1.0, s20
	s_mov_b32 s29, -1
	s_mov_b32 s0, 0
	s_delay_alu instid0(VALU_DEP_1) | instskip(NEXT) | instid1(VALU_DEP_1)
	v_bfe_u32 v4, v1, 16, 1
	v_add3_u32 v1, v1, v4, 0x7fff
	global_store_d16_hi_b16 v[2:3], v1, off
.LBB31_112:
	s_mov_b32 s30, 0
.LBB31_113:
	s_delay_alu instid0(SALU_CYCLE_1)
	s_and_b32 vcc_lo, exec_lo, s30
	s_cbranch_vccz .LBB31_116
; %bb.114:
	s_cmp_eq_u32 s28, 11
	s_mov_b32 s0, -1
	s_cbranch_scc0 .LBB31_116
; %bb.115:
	s_wait_xcnt 0x0
	v_cndmask_b32_e64 v1, 0, 1, s20
	s_mov_b32 s29, -1
	s_mov_b32 s0, 0
	global_store_b8 v[2:3], v1, off
.LBB31_116:
	s_branch .LBB31_35
.LBB31_117:
	s_and_b32 s27, 0xffff, s27
	s_mov_b32 s28, -1
	s_cmp_lt_i32 s27, 5
	s_cbranch_scc1 .LBB31_138
; %bb.118:
	s_cmp_lt_i32 s27, 8
	s_cbranch_scc1 .LBB31_128
; %bb.119:
	;; [unrolled: 3-line block ×3, first 2 shown]
	s_cmp_gt_i32 s27, 9
	s_cbranch_scc0 .LBB31_122
; %bb.121:
	s_wait_xcnt 0x0
	v_cndmask_b32_e64 v1, 0, 1, s20
	v_mov_b32_e32 v6, 0
	s_mov_b32 s28, 0
	s_delay_alu instid0(VALU_DEP_2) | instskip(NEXT) | instid1(VALU_DEP_2)
	v_cvt_f64_u32_e32 v[4:5], v1
	v_mov_b32_e32 v7, v6
	global_store_b128 v[2:3], v[4:7], off
.LBB31_122:
	s_and_not1_b32 vcc_lo, exec_lo, s28
	s_cbranch_vccnz .LBB31_124
; %bb.123:
	s_wait_xcnt 0x0
	v_cndmask_b32_e64 v4, 0, 1.0, s20
	v_mov_b32_e32 v5, 0
	global_store_b64 v[2:3], v[4:5], off
.LBB31_124:
	s_mov_b32 s28, 0
.LBB31_125:
	s_delay_alu instid0(SALU_CYCLE_1)
	s_and_not1_b32 vcc_lo, exec_lo, s28
	s_cbranch_vccnz .LBB31_127
; %bb.126:
	s_wait_xcnt 0x0
	v_cndmask_b32_e64 v1, 0, 1.0, s20
	s_delay_alu instid0(VALU_DEP_1) | instskip(NEXT) | instid1(VALU_DEP_1)
	v_cvt_f16_f32_e32 v1, v1
	v_and_b32_e32 v1, 0xffff, v1
	global_store_b32 v[2:3], v1, off
.LBB31_127:
	s_mov_b32 s28, 0
.LBB31_128:
	s_delay_alu instid0(SALU_CYCLE_1)
	s_and_not1_b32 vcc_lo, exec_lo, s28
	s_cbranch_vccnz .LBB31_137
; %bb.129:
	s_cmp_lt_i32 s27, 6
	s_mov_b32 s28, -1
	s_cbranch_scc1 .LBB31_135
; %bb.130:
	s_cmp_gt_i32 s27, 6
	s_cbranch_scc0 .LBB31_132
; %bb.131:
	s_wait_xcnt 0x0
	v_cndmask_b32_e64 v1, 0, 1, s20
	s_mov_b32 s28, 0
	s_delay_alu instid0(VALU_DEP_1)
	v_cvt_f64_u32_e32 v[4:5], v1
	global_store_b64 v[2:3], v[4:5], off
.LBB31_132:
	s_and_not1_b32 vcc_lo, exec_lo, s28
	s_cbranch_vccnz .LBB31_134
; %bb.133:
	s_wait_xcnt 0x0
	v_cndmask_b32_e64 v1, 0, 1.0, s20
	global_store_b32 v[2:3], v1, off
.LBB31_134:
	s_mov_b32 s28, 0
.LBB31_135:
	s_delay_alu instid0(SALU_CYCLE_1)
	s_and_not1_b32 vcc_lo, exec_lo, s28
	s_cbranch_vccnz .LBB31_137
; %bb.136:
	s_wait_xcnt 0x0
	v_cndmask_b32_e64 v1, 0, 1.0, s20
	s_delay_alu instid0(VALU_DEP_1)
	v_cvt_f16_f32_e32 v1, v1
	global_store_b16 v[2:3], v1, off
.LBB31_137:
	s_mov_b32 s28, 0
.LBB31_138:
	s_delay_alu instid0(SALU_CYCLE_1)
	s_and_not1_b32 vcc_lo, exec_lo, s28
	s_cbranch_vccnz .LBB31_154
; %bb.139:
	s_cmp_lt_i32 s27, 2
	s_mov_b32 s28, -1
	s_cbranch_scc1 .LBB31_149
; %bb.140:
	s_cmp_lt_i32 s27, 3
	s_cbranch_scc1 .LBB31_146
; %bb.141:
	s_cmp_gt_i32 s27, 3
	s_cbranch_scc0 .LBB31_143
; %bb.142:
	s_mov_b32 s28, 0
	s_wait_xcnt 0x0
	v_cndmask_b32_e64 v4, 0, 1, s20
	v_mov_b32_e32 v5, s28
	global_store_b64 v[2:3], v[4:5], off
.LBB31_143:
	s_and_not1_b32 vcc_lo, exec_lo, s28
	s_cbranch_vccnz .LBB31_145
; %bb.144:
	s_wait_xcnt 0x0
	v_cndmask_b32_e64 v1, 0, 1, s20
	global_store_b32 v[2:3], v1, off
.LBB31_145:
	s_mov_b32 s28, 0
.LBB31_146:
	s_delay_alu instid0(SALU_CYCLE_1)
	s_and_not1_b32 vcc_lo, exec_lo, s28
	s_cbranch_vccnz .LBB31_148
; %bb.147:
	s_wait_xcnt 0x0
	v_cndmask_b32_e64 v1, 0, 1, s20
	global_store_b16 v[2:3], v1, off
.LBB31_148:
	s_mov_b32 s28, 0
.LBB31_149:
	s_delay_alu instid0(SALU_CYCLE_1)
	s_and_not1_b32 vcc_lo, exec_lo, s28
	s_cbranch_vccnz .LBB31_154
; %bb.150:
	s_cmp_gt_i32 s27, 0
	s_mov_b32 s27, -1
	s_cbranch_scc0 .LBB31_152
; %bb.151:
	s_wait_xcnt 0x0
	v_cndmask_b32_e64 v1, 0, 1, s20
	s_mov_b32 s27, 0
	global_store_b8 v[2:3], v1, off
.LBB31_152:
	s_and_not1_b32 vcc_lo, exec_lo, s27
	s_cbranch_vccnz .LBB31_154
; %bb.153:
	s_wait_xcnt 0x0
	v_cndmask_b32_e64 v1, 0, 1, s20
	global_store_b8 v[2:3], v1, off
.LBB31_154:
.LBB31_155:
	v_add_nc_u32_e32 v0, 0x80, v0
	s_mov_b32 s27, -1
	s_branch .LBB31_262
.LBB31_156:
	s_mov_b32 s26, -1
                                        ; implicit-def: $vgpr6
.LBB31_157:
	s_mov_b32 s27, 0
.LBB31_158:
	s_delay_alu instid0(SALU_CYCLE_1)
	s_and_b32 vcc_lo, exec_lo, s27
	s_cbranch_vccz .LBB31_162
; %bb.159:
	s_cmp_eq_u32 s0, 29
	s_cbranch_scc0 .LBB31_161
; %bb.160:
	global_load_b64 v[6:7], v[4:5], off
	s_mov_b32 s20, -1
	s_mov_b32 s26, 0
	s_branch .LBB31_162
.LBB31_161:
	s_mov_b32 s26, -1
                                        ; implicit-def: $vgpr6
.LBB31_162:
	s_mov_b32 s27, 0
.LBB31_163:
	s_delay_alu instid0(SALU_CYCLE_1)
	s_and_b32 vcc_lo, exec_lo, s27
	s_cbranch_vccz .LBB31_179
; %bb.164:
	s_cmp_lt_i32 s0, 27
	s_cbranch_scc1 .LBB31_167
; %bb.165:
	s_cmp_gt_i32 s0, 27
	s_cbranch_scc0 .LBB31_168
; %bb.166:
	s_wait_loadcnt 0x0
	global_load_b32 v6, v[4:5], off
	s_mov_b32 s20, 0
	s_branch .LBB31_169
.LBB31_167:
	s_mov_b32 s20, -1
                                        ; implicit-def: $vgpr6
	s_branch .LBB31_172
.LBB31_168:
	s_mov_b32 s20, -1
                                        ; implicit-def: $vgpr6
.LBB31_169:
	s_delay_alu instid0(SALU_CYCLE_1)
	s_and_not1_b32 vcc_lo, exec_lo, s20
	s_cbranch_vccnz .LBB31_171
; %bb.170:
	s_wait_loadcnt 0x0
	global_load_u16 v6, v[4:5], off
.LBB31_171:
	s_mov_b32 s20, 0
.LBB31_172:
	s_delay_alu instid0(SALU_CYCLE_1)
	s_and_not1_b32 vcc_lo, exec_lo, s20
	s_cbranch_vccnz .LBB31_178
; %bb.173:
	global_load_u8 v1, v[4:5], off
	s_mov_b32 s27, 0
	s_mov_b32 s20, exec_lo
	s_wait_loadcnt 0x0
	v_cmpx_lt_i16_e32 0x7f, v1
	s_xor_b32 s20, exec_lo, s20
	s_cbranch_execz .LBB31_189
; %bb.174:
	v_cmp_ne_u16_e32 vcc_lo, 0x80, v1
	s_and_b32 s27, vcc_lo, exec_lo
	s_and_not1_saveexec_b32 s20, s20
	s_cbranch_execnz .LBB31_190
.LBB31_175:
	s_or_b32 exec_lo, exec_lo, s20
	v_mov_b32_e32 v6, 0
	s_and_saveexec_b32 s20, s27
	s_cbranch_execz .LBB31_177
.LBB31_176:
	v_and_b32_e32 v3, 0xffff, v1
	s_delay_alu instid0(VALU_DEP_1) | instskip(SKIP_1) | instid1(VALU_DEP_2)
	v_dual_lshlrev_b32 v1, 24, v1 :: v_dual_bitop2_b32 v6, 7, v3 bitop3:0x40
	v_bfe_u32 v9, v3, 3, 4
	v_and_b32_e32 v1, 0x80000000, v1
	s_delay_alu instid0(VALU_DEP_3) | instskip(NEXT) | instid1(VALU_DEP_3)
	v_clz_i32_u32_e32 v7, v6
	v_cmp_eq_u32_e32 vcc_lo, 0, v9
	s_delay_alu instid0(VALU_DEP_2) | instskip(NEXT) | instid1(VALU_DEP_1)
	v_min_u32_e32 v7, 32, v7
	v_subrev_nc_u32_e32 v8, 28, v7
	v_sub_nc_u32_e32 v7, 29, v7
	s_delay_alu instid0(VALU_DEP_2) | instskip(NEXT) | instid1(VALU_DEP_2)
	v_lshlrev_b32_e32 v3, v8, v3
	v_cndmask_b32_e32 v7, v9, v7, vcc_lo
	s_delay_alu instid0(VALU_DEP_2) | instskip(NEXT) | instid1(VALU_DEP_1)
	v_and_b32_e32 v3, 7, v3
	v_cndmask_b32_e32 v3, v6, v3, vcc_lo
	s_delay_alu instid0(VALU_DEP_3) | instskip(NEXT) | instid1(VALU_DEP_2)
	v_lshl_add_u32 v6, v7, 23, 0x3b800000
	v_lshlrev_b32_e32 v3, 20, v3
	s_delay_alu instid0(VALU_DEP_1) | instskip(NEXT) | instid1(VALU_DEP_1)
	v_or3_b32 v1, v1, v6, v3
	v_cvt_i32_f32_e32 v6, v1
.LBB31_177:
	s_or_b32 exec_lo, exec_lo, s20
.LBB31_178:
	s_mov_b32 s20, -1
.LBB31_179:
	s_branch .LBB31_212
.LBB31_180:
	s_cmp_gt_i32 s0, 22
	s_cbranch_scc0 .LBB31_188
; %bb.181:
	s_cmp_lt_i32 s0, 24
	s_cbranch_scc1 .LBB31_191
; %bb.182:
	s_cmp_gt_i32 s0, 24
	s_cbranch_scc0 .LBB31_192
; %bb.183:
	global_load_u8 v1, v[4:5], off
	s_mov_b32 s27, 0
	s_mov_b32 s20, exec_lo
	s_wait_loadcnt 0x0
	v_cmpx_lt_i16_e32 0x7f, v1
	s_xor_b32 s20, exec_lo, s20
	s_cbranch_execz .LBB31_204
; %bb.184:
	v_cmp_ne_u16_e32 vcc_lo, 0x80, v1
	s_and_b32 s27, vcc_lo, exec_lo
	s_and_not1_saveexec_b32 s20, s20
	s_cbranch_execnz .LBB31_205
.LBB31_185:
	s_or_b32 exec_lo, exec_lo, s20
	v_mov_b32_e32 v6, 0
	s_and_saveexec_b32 s20, s27
	s_cbranch_execz .LBB31_187
.LBB31_186:
	v_and_b32_e32 v3, 0xffff, v1
	s_delay_alu instid0(VALU_DEP_1) | instskip(SKIP_1) | instid1(VALU_DEP_2)
	v_dual_lshlrev_b32 v1, 24, v1 :: v_dual_bitop2_b32 v6, 3, v3 bitop3:0x40
	v_bfe_u32 v9, v3, 2, 5
	v_and_b32_e32 v1, 0x80000000, v1
	s_delay_alu instid0(VALU_DEP_3) | instskip(NEXT) | instid1(VALU_DEP_3)
	v_clz_i32_u32_e32 v7, v6
	v_cmp_eq_u32_e32 vcc_lo, 0, v9
	s_delay_alu instid0(VALU_DEP_2) | instskip(NEXT) | instid1(VALU_DEP_1)
	v_min_u32_e32 v7, 32, v7
	v_subrev_nc_u32_e32 v8, 29, v7
	v_sub_nc_u32_e32 v7, 30, v7
	s_delay_alu instid0(VALU_DEP_2) | instskip(NEXT) | instid1(VALU_DEP_2)
	v_lshlrev_b32_e32 v3, v8, v3
	v_cndmask_b32_e32 v7, v9, v7, vcc_lo
	s_delay_alu instid0(VALU_DEP_2) | instskip(NEXT) | instid1(VALU_DEP_1)
	v_and_b32_e32 v3, 3, v3
	v_cndmask_b32_e32 v3, v6, v3, vcc_lo
	s_delay_alu instid0(VALU_DEP_3) | instskip(NEXT) | instid1(VALU_DEP_2)
	v_lshl_add_u32 v6, v7, 23, 0x37800000
	v_lshlrev_b32_e32 v3, 21, v3
	s_delay_alu instid0(VALU_DEP_1) | instskip(NEXT) | instid1(VALU_DEP_1)
	v_or3_b32 v1, v1, v6, v3
	v_cvt_i32_f32_e32 v6, v1
.LBB31_187:
	s_or_b32 exec_lo, exec_lo, s20
	s_mov_b32 s20, 0
	s_branch .LBB31_193
.LBB31_188:
	s_mov_b32 s27, -1
                                        ; implicit-def: $vgpr6
	s_branch .LBB31_199
.LBB31_189:
	s_and_not1_saveexec_b32 s20, s20
	s_cbranch_execz .LBB31_175
.LBB31_190:
	v_cmp_ne_u16_e32 vcc_lo, 0, v1
	s_and_not1_b32 s27, s27, exec_lo
	s_and_b32 s28, vcc_lo, exec_lo
	s_delay_alu instid0(SALU_CYCLE_1)
	s_or_b32 s27, s27, s28
	s_or_b32 exec_lo, exec_lo, s20
	v_mov_b32_e32 v6, 0
	s_and_saveexec_b32 s20, s27
	s_cbranch_execnz .LBB31_176
	s_branch .LBB31_177
.LBB31_191:
	s_mov_b32 s20, -1
                                        ; implicit-def: $vgpr6
	s_branch .LBB31_196
.LBB31_192:
	s_mov_b32 s20, -1
                                        ; implicit-def: $vgpr6
.LBB31_193:
	s_delay_alu instid0(SALU_CYCLE_1)
	s_and_b32 vcc_lo, exec_lo, s20
	s_cbranch_vccz .LBB31_195
; %bb.194:
	global_load_u8 v1, v[4:5], off
	s_wait_loadcnt 0x0
	v_lshlrev_b32_e32 v1, 24, v1
	s_delay_alu instid0(VALU_DEP_1) | instskip(NEXT) | instid1(VALU_DEP_1)
	v_and_b32_e32 v3, 0x7f000000, v1
	v_clz_i32_u32_e32 v6, v3
	v_cmp_ne_u32_e32 vcc_lo, 0, v3
	v_add_nc_u32_e32 v8, 0x1000000, v3
	s_delay_alu instid0(VALU_DEP_3) | instskip(NEXT) | instid1(VALU_DEP_1)
	v_min_u32_e32 v6, 32, v6
	v_sub_nc_u32_e64 v6, v6, 4 clamp
	s_delay_alu instid0(VALU_DEP_1) | instskip(NEXT) | instid1(VALU_DEP_1)
	v_dual_lshlrev_b32 v7, v6, v3 :: v_dual_lshlrev_b32 v6, 23, v6
	v_lshrrev_b32_e32 v7, 4, v7
	s_delay_alu instid0(VALU_DEP_1) | instskip(NEXT) | instid1(VALU_DEP_1)
	v_dual_sub_nc_u32 v6, v7, v6 :: v_dual_ashrrev_i32 v7, 8, v8
	v_add_nc_u32_e32 v6, 0x3c000000, v6
	s_delay_alu instid0(VALU_DEP_1) | instskip(NEXT) | instid1(VALU_DEP_1)
	v_and_or_b32 v6, 0x7f800000, v7, v6
	v_cndmask_b32_e32 v3, 0, v6, vcc_lo
	s_delay_alu instid0(VALU_DEP_1) | instskip(NEXT) | instid1(VALU_DEP_1)
	v_and_or_b32 v1, 0x80000000, v1, v3
	v_cvt_i32_f32_e32 v6, v1
.LBB31_195:
	s_mov_b32 s20, 0
.LBB31_196:
	s_delay_alu instid0(SALU_CYCLE_1)
	s_and_not1_b32 vcc_lo, exec_lo, s20
	s_cbranch_vccnz .LBB31_198
; %bb.197:
	global_load_u8 v1, v[4:5], off
	s_wait_loadcnt 0x0
	v_lshlrev_b32_e32 v3, 25, v1
	v_lshlrev_b16 v1, 8, v1
	s_delay_alu instid0(VALU_DEP_1) | instskip(SKIP_1) | instid1(VALU_DEP_2)
	v_and_or_b32 v7, 0x7f00, v1, 0.5
	v_bfe_i32 v1, v1, 0, 16
	v_add_f32_e32 v7, -0.5, v7
	v_lshrrev_b32_e32 v6, 4, v3
	v_cmp_gt_u32_e32 vcc_lo, 0x8000000, v3
	s_delay_alu instid0(VALU_DEP_2) | instskip(NEXT) | instid1(VALU_DEP_1)
	v_or_b32_e32 v6, 0x70000000, v6
	v_mul_f32_e32 v6, 0x7800000, v6
	s_delay_alu instid0(VALU_DEP_1) | instskip(NEXT) | instid1(VALU_DEP_1)
	v_cndmask_b32_e32 v3, v6, v7, vcc_lo
	v_and_or_b32 v1, 0x80000000, v1, v3
	s_delay_alu instid0(VALU_DEP_1)
	v_cvt_i32_f32_e32 v6, v1
.LBB31_198:
	s_mov_b32 s27, 0
	s_mov_b32 s20, -1
.LBB31_199:
	s_and_not1_b32 vcc_lo, exec_lo, s27
	s_cbranch_vccnz .LBB31_212
; %bb.200:
	s_cmp_gt_i32 s0, 14
	s_cbranch_scc0 .LBB31_203
; %bb.201:
	s_cmp_eq_u32 s0, 15
	s_cbranch_scc0 .LBB31_206
; %bb.202:
	global_load_u16 v1, v[4:5], off
	s_mov_b32 s20, -1
	s_mov_b32 s26, 0
	s_wait_loadcnt 0x0
	v_lshlrev_b32_e32 v1, 16, v1
	s_delay_alu instid0(VALU_DEP_1)
	v_cvt_i32_f32_e32 v6, v1
	s_branch .LBB31_207
.LBB31_203:
	s_mov_b32 s27, -1
                                        ; implicit-def: $vgpr6
	s_branch .LBB31_208
.LBB31_204:
	s_and_not1_saveexec_b32 s20, s20
	s_cbranch_execz .LBB31_185
.LBB31_205:
	v_cmp_ne_u16_e32 vcc_lo, 0, v1
	s_and_not1_b32 s27, s27, exec_lo
	s_and_b32 s28, vcc_lo, exec_lo
	s_delay_alu instid0(SALU_CYCLE_1)
	s_or_b32 s27, s27, s28
	s_or_b32 exec_lo, exec_lo, s20
	v_mov_b32_e32 v6, 0
	s_and_saveexec_b32 s20, s27
	s_cbranch_execnz .LBB31_186
	s_branch .LBB31_187
.LBB31_206:
	s_mov_b32 s26, -1
                                        ; implicit-def: $vgpr6
.LBB31_207:
	s_mov_b32 s27, 0
.LBB31_208:
	s_delay_alu instid0(SALU_CYCLE_1)
	s_and_b32 vcc_lo, exec_lo, s27
	s_cbranch_vccz .LBB31_212
; %bb.209:
	s_cmp_eq_u32 s0, 11
	s_cbranch_scc0 .LBB31_211
; %bb.210:
	global_load_u8 v1, v[4:5], off
	s_mov_b32 s26, 0
	s_mov_b32 s20, -1
	s_wait_loadcnt 0x0
	v_cmp_ne_u16_e32 vcc_lo, 0, v1
	v_cndmask_b32_e64 v6, 0, 1, vcc_lo
	s_branch .LBB31_212
.LBB31_211:
	s_mov_b32 s26, -1
                                        ; implicit-def: $vgpr6
.LBB31_212:
	s_branch .LBB31_25
.LBB31_213:
	s_cmp_lt_i32 s0, 5
	s_cbranch_scc1 .LBB31_218
; %bb.214:
	s_cmp_lt_i32 s0, 8
	s_cbranch_scc1 .LBB31_219
; %bb.215:
	;; [unrolled: 3-line block ×3, first 2 shown]
	s_cmp_gt_i32 s0, 9
	s_cbranch_scc0 .LBB31_221
; %bb.217:
	s_wait_loadcnt 0x0
	global_load_b64 v[6:7], v[4:5], off
	s_mov_b32 s20, 0
	s_wait_loadcnt 0x0
	v_cvt_i32_f64_e32 v6, v[6:7]
	s_branch .LBB31_222
.LBB31_218:
                                        ; implicit-def: $vgpr6
	s_branch .LBB31_240
.LBB31_219:
	s_mov_b32 s20, -1
                                        ; implicit-def: $vgpr6
	s_branch .LBB31_228
.LBB31_220:
	s_mov_b32 s20, -1
                                        ; implicit-def: $vgpr6
	s_branch .LBB31_225
.LBB31_221:
	s_mov_b32 s20, -1
                                        ; implicit-def: $vgpr6
.LBB31_222:
	s_delay_alu instid0(SALU_CYCLE_1)
	s_and_not1_b32 vcc_lo, exec_lo, s20
	s_cbranch_vccnz .LBB31_224
; %bb.223:
	global_load_b32 v1, v[4:5], off
	s_wait_loadcnt 0x0
	v_cvt_i32_f32_e32 v6, v1
.LBB31_224:
	s_mov_b32 s20, 0
.LBB31_225:
	s_delay_alu instid0(SALU_CYCLE_1)
	s_and_not1_b32 vcc_lo, exec_lo, s20
	s_cbranch_vccnz .LBB31_227
; %bb.226:
	global_load_b32 v1, v[4:5], off
	s_wait_loadcnt 0x0
	v_cvt_i16_f16_e32 v6, v1
.LBB31_227:
	s_mov_b32 s20, 0
.LBB31_228:
	s_delay_alu instid0(SALU_CYCLE_1)
	s_and_not1_b32 vcc_lo, exec_lo, s20
	s_cbranch_vccnz .LBB31_239
; %bb.229:
	s_cmp_lt_i32 s0, 6
	s_cbranch_scc1 .LBB31_232
; %bb.230:
	s_cmp_gt_i32 s0, 6
	s_cbranch_scc0 .LBB31_233
; %bb.231:
	s_wait_loadcnt 0x0
	global_load_b64 v[6:7], v[4:5], off
	s_mov_b32 s20, 0
	s_wait_loadcnt 0x0
	v_cvt_i32_f64_e32 v6, v[6:7]
	s_branch .LBB31_234
.LBB31_232:
	s_mov_b32 s20, -1
                                        ; implicit-def: $vgpr6
	s_branch .LBB31_237
.LBB31_233:
	s_mov_b32 s20, -1
                                        ; implicit-def: $vgpr6
.LBB31_234:
	s_delay_alu instid0(SALU_CYCLE_1)
	s_and_not1_b32 vcc_lo, exec_lo, s20
	s_cbranch_vccnz .LBB31_236
; %bb.235:
	global_load_b32 v1, v[4:5], off
	s_wait_loadcnt 0x0
	v_cvt_i32_f32_e32 v6, v1
.LBB31_236:
	s_mov_b32 s20, 0
.LBB31_237:
	s_delay_alu instid0(SALU_CYCLE_1)
	s_and_not1_b32 vcc_lo, exec_lo, s20
	s_cbranch_vccnz .LBB31_239
; %bb.238:
	global_load_u16 v1, v[4:5], off
	s_wait_loadcnt 0x0
	v_cvt_i16_f16_e32 v6, v1
.LBB31_239:
	s_cbranch_execnz .LBB31_259
.LBB31_240:
	s_cmp_lt_i32 s0, 2
	s_cbranch_scc1 .LBB31_244
; %bb.241:
	s_cmp_lt_i32 s0, 3
	s_cbranch_scc1 .LBB31_245
; %bb.242:
	s_cmp_gt_i32 s0, 3
	s_cbranch_scc0 .LBB31_246
; %bb.243:
	s_wait_loadcnt 0x0
	global_load_b64 v[6:7], v[4:5], off
	s_mov_b32 s20, 0
	s_branch .LBB31_247
.LBB31_244:
	s_mov_b32 s20, -1
                                        ; implicit-def: $vgpr6
	s_branch .LBB31_253
.LBB31_245:
	s_mov_b32 s20, -1
                                        ; implicit-def: $vgpr6
	s_branch .LBB31_250
.LBB31_246:
	s_mov_b32 s20, -1
                                        ; implicit-def: $vgpr6
.LBB31_247:
	s_delay_alu instid0(SALU_CYCLE_1)
	s_and_not1_b32 vcc_lo, exec_lo, s20
	s_cbranch_vccnz .LBB31_249
; %bb.248:
	s_wait_loadcnt 0x0
	global_load_b32 v6, v[4:5], off
.LBB31_249:
	s_mov_b32 s20, 0
.LBB31_250:
	s_delay_alu instid0(SALU_CYCLE_1)
	s_and_not1_b32 vcc_lo, exec_lo, s20
	s_cbranch_vccnz .LBB31_252
; %bb.251:
	s_wait_loadcnt 0x0
	global_load_u16 v6, v[4:5], off
.LBB31_252:
	s_mov_b32 s20, 0
.LBB31_253:
	s_delay_alu instid0(SALU_CYCLE_1)
	s_and_not1_b32 vcc_lo, exec_lo, s20
	s_cbranch_vccnz .LBB31_259
; %bb.254:
	s_cmp_gt_i32 s0, 0
	s_mov_b32 s0, 0
	s_cbranch_scc0 .LBB31_256
; %bb.255:
	s_wait_loadcnt 0x0
	global_load_u8 v6, v[4:5], off
	s_branch .LBB31_257
.LBB31_256:
	s_mov_b32 s0, -1
                                        ; implicit-def: $vgpr6
.LBB31_257:
	s_delay_alu instid0(SALU_CYCLE_1)
	s_and_not1_b32 vcc_lo, exec_lo, s0
	s_cbranch_vccnz .LBB31_259
; %bb.258:
	s_wait_loadcnt 0x0
	global_load_u8 v6, v[4:5], off
.LBB31_259:
	s_branch .LBB31_26
.LBB31_260:
	s_mov_b32 s0, 0
.LBB31_261:
	s_mov_b32 s27, 0
                                        ; implicit-def: $vgpr0
.LBB31_262:
	s_and_b32 s20, s0, exec_lo
	s_and_b32 s42, s26, exec_lo
	s_or_not1_b32 s26, s27, exec_lo
.LBB31_263:
	s_wait_xcnt 0x0
	s_or_b32 exec_lo, exec_lo, s43
	s_mov_b32 s27, 0
	s_mov_b32 s0, 0
                                        ; implicit-def: $vgpr4_vgpr5
                                        ; implicit-def: $vgpr2
                                        ; implicit-def: $vgpr6
	s_and_saveexec_b32 s43, s26
	s_cbranch_execz .LBB31_271
; %bb.264:
	s_mov_b32 s0, -1
	s_mov_b32 s44, s42
	s_mov_b32 s45, s20
	s_mov_b32 s46, exec_lo
	v_cmpx_gt_i32_e64 s39, v0
	s_cbranch_execz .LBB31_538
; %bb.265:
	s_and_not1_b32 vcc_lo, exec_lo, s35
	s_cbranch_vccnz .LBB31_274
; %bb.266:
	s_and_not1_b32 vcc_lo, exec_lo, s41
	s_cbranch_vccnz .LBB31_275
; %bb.267:
	s_add_co_i32 s0, s40, 1
	s_cmp_eq_u32 s34, 2
	s_cbranch_scc1 .LBB31_276
; %bb.268:
	v_dual_mov_b32 v2, 0 :: v_dual_mov_b32 v4, 0
	v_mov_b32_e32 v1, v0
	s_and_b32 s26, s0, 28
	s_mov_b64 s[28:29], s[16:17]
	s_mov_b64 s[30:31], s[24:25]
.LBB31_269:                             ; =>This Inner Loop Header: Depth=1
	s_clause 0x1
	s_load_b256 s[48:55], s[28:29], 0x4
	s_load_b128 s[64:67], s[28:29], 0x24
	s_load_b256 s[56:63], s[30:31], 0x0
	s_add_co_i32 s27, s27, 4
	s_wait_xcnt 0x0
	s_add_nc_u64 s[28:29], s[28:29], 48
	s_cmp_eq_u32 s26, s27
	s_add_nc_u64 s[30:31], s[30:31], 32
	s_wait_kmcnt 0x0
	v_mul_hi_u32 v3, s49, v1
	s_delay_alu instid0(VALU_DEP_1) | instskip(NEXT) | instid1(VALU_DEP_1)
	v_add_nc_u32_e32 v3, v1, v3
	v_lshrrev_b32_e32 v3, s50, v3
	s_delay_alu instid0(VALU_DEP_1) | instskip(NEXT) | instid1(VALU_DEP_1)
	v_mul_hi_u32 v5, s52, v3
	v_add_nc_u32_e32 v5, v3, v5
	s_delay_alu instid0(VALU_DEP_1) | instskip(SKIP_1) | instid1(VALU_DEP_1)
	v_lshrrev_b32_e32 v5, s53, v5
	s_wait_loadcnt 0x0
	v_mul_hi_u32 v6, s55, v5
	s_delay_alu instid0(VALU_DEP_1) | instskip(SKIP_1) | instid1(VALU_DEP_1)
	v_add_nc_u32_e32 v6, v5, v6
	v_mul_lo_u32 v7, v3, s48
	v_sub_nc_u32_e32 v1, v1, v7
	v_mul_lo_u32 v7, v5, s51
	s_delay_alu instid0(VALU_DEP_4) | instskip(NEXT) | instid1(VALU_DEP_3)
	v_lshrrev_b32_e32 v6, s64, v6
	v_mad_u32 v4, v1, s57, v4
	v_mad_u32 v1, v1, s56, v2
	s_delay_alu instid0(VALU_DEP_4) | instskip(NEXT) | instid1(VALU_DEP_4)
	v_sub_nc_u32_e32 v2, v3, v7
	v_mul_hi_u32 v8, s66, v6
	v_mul_lo_u32 v3, v6, s54
	s_delay_alu instid0(VALU_DEP_3) | instskip(SKIP_1) | instid1(VALU_DEP_3)
	v_mad_u32 v4, v2, s59, v4
	v_mad_u32 v2, v2, s58, v1
	v_dual_add_nc_u32 v7, v6, v8 :: v_dual_sub_nc_u32 v3, v5, v3
	s_delay_alu instid0(VALU_DEP_1) | instskip(NEXT) | instid1(VALU_DEP_2)
	v_lshrrev_b32_e32 v1, s67, v7
	v_mad_u32 v4, v3, s61, v4
	s_delay_alu instid0(VALU_DEP_4) | instskip(NEXT) | instid1(VALU_DEP_3)
	v_mad_u32 v2, v3, s60, v2
	v_mul_lo_u32 v5, v1, s65
	s_delay_alu instid0(VALU_DEP_1) | instskip(NEXT) | instid1(VALU_DEP_1)
	v_sub_nc_u32_e32 v3, v6, v5
	v_mad_u32 v4, v3, s63, v4
	s_delay_alu instid0(VALU_DEP_4)
	v_mad_u32 v2, v3, s62, v2
	s_cbranch_scc0 .LBB31_269
; %bb.270:
	s_delay_alu instid0(VALU_DEP_2)
	v_mov_b32_e32 v3, v4
	s_branch .LBB31_277
.LBB31_271:
	s_or_b32 exec_lo, exec_lo, s43
	s_mov_b32 s6, 0
	s_and_saveexec_b32 s7, s42
	s_cbranch_execnz .LBB31_912
.LBB31_272:
	s_or_b32 exec_lo, exec_lo, s7
	s_and_saveexec_b32 s7, s19
	s_delay_alu instid0(SALU_CYCLE_1)
	s_xor_b32 s7, exec_lo, s7
	s_cbranch_execz .LBB31_913
.LBB31_273:
	global_load_u8 v0, v[4:5], off
	s_or_b32 s0, s0, exec_lo
	s_wait_loadcnt 0x0
	v_cmp_ne_u16_e32 vcc_lo, 0, v0
	v_cndmask_b32_e64 v6, 0, 1, vcc_lo
	s_wait_xcnt 0x0
	s_or_b32 exec_lo, exec_lo, s7
	s_and_saveexec_b32 s7, s27
	s_cbranch_execz .LBB31_959
	s_branch .LBB31_914
.LBB31_274:
                                        ; implicit-def: $vgpr4
                                        ; implicit-def: $vgpr2
	s_and_not1_b32 vcc_lo, exec_lo, s0
	s_cbranch_vccnz .LBB31_284
	s_branch .LBB31_282
.LBB31_275:
	v_dual_mov_b32 v4, 0 :: v_dual_mov_b32 v2, 0
	s_branch .LBB31_281
.LBB31_276:
	v_mov_b64_e32 v[2:3], 0
	v_mov_b32_e32 v1, v0
	s_mov_b32 s26, 0
                                        ; implicit-def: $vgpr4
.LBB31_277:
	s_and_b32 s0, s0, 3
	s_mov_b32 s27, 0
	s_cmp_eq_u32 s0, 0
	s_cbranch_scc1 .LBB31_281
; %bb.278:
	s_lshl_b32 s28, s26, 3
	s_mov_b32 s29, s27
	s_mul_u64 s[30:31], s[26:27], 12
	s_add_nc_u64 s[28:29], s[16:17], s[28:29]
	s_delay_alu instid0(SALU_CYCLE_1)
	s_add_nc_u64 s[26:27], s[28:29], 0xc4
	s_add_nc_u64 s[28:29], s[16:17], s[30:31]
.LBB31_279:                             ; =>This Inner Loop Header: Depth=1
	s_load_b96 s[48:50], s[28:29], 0x4
	s_load_b64 s[30:31], s[26:27], 0x0
	s_add_co_i32 s0, s0, -1
	s_wait_xcnt 0x0
	s_add_nc_u64 s[28:29], s[28:29], 12
	s_cmp_lg_u32 s0, 0
	s_add_nc_u64 s[26:27], s[26:27], 8
	s_wait_kmcnt 0x0
	v_mul_hi_u32 v4, s49, v1
	s_delay_alu instid0(VALU_DEP_1) | instskip(NEXT) | instid1(VALU_DEP_1)
	v_add_nc_u32_e32 v4, v1, v4
	v_lshrrev_b32_e32 v4, s50, v4
	s_delay_alu instid0(VALU_DEP_1) | instskip(NEXT) | instid1(VALU_DEP_1)
	v_mul_lo_u32 v5, v4, s48
	v_sub_nc_u32_e32 v1, v1, v5
	s_delay_alu instid0(VALU_DEP_1)
	v_mad_u32 v3, v1, s31, v3
	v_mad_u32 v2, v1, s30, v2
	v_mov_b32_e32 v1, v4
	s_cbranch_scc1 .LBB31_279
; %bb.280:
	s_delay_alu instid0(VALU_DEP_3)
	v_mov_b32_e32 v4, v3
.LBB31_281:
	s_cbranch_execnz .LBB31_284
.LBB31_282:
	v_mov_b32_e32 v1, 0
	s_and_not1_b32 vcc_lo, exec_lo, s38
	s_delay_alu instid0(VALU_DEP_1) | instskip(NEXT) | instid1(VALU_DEP_1)
	v_mul_u64_e32 v[2:3], s[18:19], v[0:1]
	v_add_nc_u32_e32 v2, v0, v3
	s_wait_loadcnt 0x0
	s_delay_alu instid0(VALU_DEP_1) | instskip(NEXT) | instid1(VALU_DEP_1)
	v_lshrrev_b32_e32 v6, s10, v2
	v_mul_lo_u32 v2, v6, s8
	s_delay_alu instid0(VALU_DEP_1) | instskip(NEXT) | instid1(VALU_DEP_1)
	v_sub_nc_u32_e32 v2, v0, v2
	v_mul_lo_u32 v4, v2, s13
	v_mul_lo_u32 v2, v2, s12
	s_cbranch_vccnz .LBB31_284
; %bb.283:
	v_mov_b32_e32 v7, v1
	s_delay_alu instid0(VALU_DEP_1) | instskip(NEXT) | instid1(VALU_DEP_1)
	v_mul_u64_e32 v[8:9], s[22:23], v[6:7]
	v_add_nc_u32_e32 v1, v6, v9
	s_delay_alu instid0(VALU_DEP_1) | instskip(NEXT) | instid1(VALU_DEP_1)
	v_lshrrev_b32_e32 v1, s21, v1
	v_mul_lo_u32 v1, v1, s11
	s_delay_alu instid0(VALU_DEP_1) | instskip(NEXT) | instid1(VALU_DEP_1)
	v_sub_nc_u32_e32 v1, v6, v1
	v_mad_u32 v2, v1, s14, v2
	v_mad_u32 v4, v1, s15, v4
.LBB31_284:
	v_mov_b32_e32 v5, 0
	s_and_b32 s0, 0xffff, s37
	s_delay_alu instid0(SALU_CYCLE_1) | instskip(NEXT) | instid1(VALU_DEP_1)
	s_cmp_lt_i32 s0, 11
	v_add_nc_u64_e32 v[4:5], s[6:7], v[4:5]
	s_cbranch_scc1 .LBB31_291
; %bb.285:
	s_cmp_gt_i32 s0, 25
	s_cbranch_scc0 .LBB31_300
; %bb.286:
	s_cmp_gt_i32 s0, 28
	s_cbranch_scc0 .LBB31_302
	;; [unrolled: 3-line block ×4, first 2 shown]
; %bb.289:
	s_cmp_eq_u32 s0, 46
	s_mov_b32 s28, 0
	s_cbranch_scc0 .LBB31_312
; %bb.290:
	global_load_b32 v1, v[4:5], off
	s_mov_b32 s27, -1
	s_mov_b32 s26, 0
	s_wait_loadcnt 0x0
	v_lshlrev_b32_e32 v1, 16, v1
	s_delay_alu instid0(VALU_DEP_1)
	v_cvt_i32_f32_e32 v6, v1
	s_branch .LBB31_314
.LBB31_291:
	s_mov_b32 s27, 0
	s_mov_b32 s26, s42
                                        ; implicit-def: $vgpr6
	s_cbranch_execnz .LBB31_487
.LBB31_292:
	s_and_not1_b32 vcc_lo, exec_lo, s27
	s_cbranch_vccnz .LBB31_535
.LBB31_293:
	s_wait_loadcnt 0x0
	s_delay_alu instid0(VALU_DEP_1) | instskip(SKIP_3) | instid1(VALU_DEP_2)
	v_and_b32_e32 v1, 0xff, v6
	v_mov_b32_e32 v3, 0
	s_and_b32 s0, s1, 0xff
	s_and_b32 s28, s2, 0xff
	v_cmp_ne_u16_e32 vcc_lo, s0, v1
	s_delay_alu instid0(VALU_DEP_2)
	v_add_nc_u64_e32 v[2:3], s[4:5], v[2:3]
	s_xor_b32 s27, s9, vcc_lo
	s_cmp_lt_i32 s28, 11
	s_cbranch_scc1 .LBB31_301
; %bb.294:
	s_and_b32 s29, 0xffff, s28
	s_delay_alu instid0(SALU_CYCLE_1)
	s_cmp_gt_i32 s29, 25
	s_cbranch_scc0 .LBB31_303
; %bb.295:
	s_cmp_gt_i32 s29, 28
	s_cbranch_scc0 .LBB31_305
; %bb.296:
	;; [unrolled: 3-line block ×4, first 2 shown]
	s_mov_b32 s31, 0
	s_mov_b32 s0, -1
	s_cmp_eq_u32 s29, 46
	s_mov_b32 s30, 0
	s_cbranch_scc0 .LBB31_318
; %bb.299:
	v_cndmask_b32_e64 v1, 0, 1.0, s27
	s_mov_b32 s30, -1
	s_mov_b32 s0, 0
	s_wait_xcnt 0x0
	s_delay_alu instid0(VALU_DEP_1) | instskip(NEXT) | instid1(VALU_DEP_1)
	v_bfe_u32 v4, v1, 16, 1
	v_add3_u32 v1, v1, v4, 0x7fff
	s_delay_alu instid0(VALU_DEP_1)
	v_lshrrev_b32_e32 v1, 16, v1
	global_store_b32 v[2:3], v1, off
	s_branch .LBB31_318
.LBB31_300:
	s_mov_b32 s28, -1
	s_mov_b32 s27, 0
	s_mov_b32 s26, s42
                                        ; implicit-def: $vgpr6
	s_branch .LBB31_453
.LBB31_301:
	s_mov_b32 s29, -1
	s_mov_b32 s30, 0
	s_mov_b32 s0, s20
	s_branch .LBB31_387
.LBB31_302:
	s_mov_b32 s28, -1
	s_mov_b32 s27, 0
	s_mov_b32 s26, s42
                                        ; implicit-def: $vgpr6
	s_branch .LBB31_436
.LBB31_303:
	s_mov_b32 s31, -1
	s_mov_b32 s30, 0
	s_mov_b32 s0, s20
	s_branch .LBB31_345
.LBB31_304:
	s_mov_b32 s28, -1
	s_mov_b32 s27, 0
	s_mov_b32 s26, s42
                                        ; implicit-def: $vgpr6
	s_branch .LBB31_431
.LBB31_305:
	s_mov_b32 s31, -1
	s_mov_b32 s30, 0
	s_mov_b32 s0, s20
	s_branch .LBB31_328
.LBB31_306:
	s_and_not1_saveexec_b32 s31, s31
	s_cbranch_execz .LBB31_69
.LBB31_307:
	v_add_f32_e32 v1, 0x46000000, v4
	s_and_not1_b32 s30, s30, exec_lo
	s_delay_alu instid0(VALU_DEP_1) | instskip(NEXT) | instid1(VALU_DEP_1)
	v_and_b32_e32 v1, 0xff, v1
	v_cmp_ne_u32_e32 vcc_lo, 0, v1
	s_and_b32 s42, vcc_lo, exec_lo
	s_delay_alu instid0(SALU_CYCLE_1)
	s_or_b32 s30, s30, s42
	s_or_b32 exec_lo, exec_lo, s31
	v_mov_b32_e32 v5, 0
	s_and_saveexec_b32 s31, s30
	s_cbranch_execnz .LBB31_70
	s_branch .LBB31_71
.LBB31_308:
	s_mov_b32 s28, -1
	s_mov_b32 s27, 0
	s_mov_b32 s26, s42
	s_branch .LBB31_313
.LBB31_309:
	s_mov_b32 s31, -1
	s_mov_b32 s30, 0
	s_mov_b32 s0, s20
	s_branch .LBB31_324
.LBB31_310:
	s_and_not1_saveexec_b32 s31, s31
	s_cbranch_execz .LBB31_82
.LBB31_311:
	v_add_f32_e32 v1, 0x42800000, v4
	s_and_not1_b32 s30, s30, exec_lo
	s_delay_alu instid0(VALU_DEP_1) | instskip(NEXT) | instid1(VALU_DEP_1)
	v_and_b32_e32 v1, 0xff, v1
	v_cmp_ne_u32_e32 vcc_lo, 0, v1
	s_and_b32 s42, vcc_lo, exec_lo
	s_delay_alu instid0(SALU_CYCLE_1)
	s_or_b32 s30, s30, s42
	s_or_b32 exec_lo, exec_lo, s31
	v_mov_b32_e32 v5, 0
	s_and_saveexec_b32 s31, s30
	s_cbranch_execnz .LBB31_83
	s_branch .LBB31_84
.LBB31_312:
	s_mov_b32 s26, -1
	s_mov_b32 s27, 0
.LBB31_313:
                                        ; implicit-def: $vgpr6
.LBB31_314:
	s_and_b32 vcc_lo, exec_lo, s28
	s_cbranch_vccz .LBB31_430
; %bb.315:
	s_cmp_eq_u32 s0, 44
	s_cbranch_scc0 .LBB31_429
; %bb.316:
	global_load_u8 v1, v[4:5], off
	s_mov_b32 s26, 0
	s_mov_b32 s27, -1
	s_wait_loadcnt 0x0
	v_lshlrev_b32_e32 v3, 23, v1
	v_cmp_ne_u32_e32 vcc_lo, 0, v1
	s_delay_alu instid0(VALU_DEP_2) | instskip(NEXT) | instid1(VALU_DEP_1)
	v_cvt_i32_f32_e32 v3, v3
	v_cndmask_b32_e32 v6, 0, v3, vcc_lo
	s_branch .LBB31_430
.LBB31_317:
	s_mov_b32 s31, -1
	s_mov_b32 s30, 0
	s_mov_b32 s0, s20
.LBB31_318:
	s_and_b32 vcc_lo, exec_lo, s31
	s_cbranch_vccz .LBB31_323
; %bb.319:
	s_cmp_eq_u32 s29, 44
	s_mov_b32 s0, -1
	s_cbranch_scc0 .LBB31_323
; %bb.320:
	s_wait_xcnt 0x0
	v_cndmask_b32_e64 v5, 0, 1.0, s27
	s_mov_b32 s30, exec_lo
	s_delay_alu instid0(VALU_DEP_1) | instskip(NEXT) | instid1(VALU_DEP_1)
	v_dual_mov_b32 v4, 0xff :: v_dual_lshrrev_b32 v1, 23, v5
	v_cmpx_ne_u32_e32 0xff, v1
; %bb.321:
	v_and_b32_e32 v4, 0x400000, v5
	v_and_or_b32 v5, 0x3fffff, v5, v1
	s_delay_alu instid0(VALU_DEP_2) | instskip(NEXT) | instid1(VALU_DEP_2)
	v_cmp_ne_u32_e32 vcc_lo, 0, v4
	v_cmp_ne_u32_e64 s0, 0, v5
	s_and_b32 s0, vcc_lo, s0
	s_delay_alu instid0(SALU_CYCLE_1) | instskip(NEXT) | instid1(VALU_DEP_1)
	v_cndmask_b32_e64 v4, 0, 1, s0
	v_add_nc_u32_e32 v4, v1, v4
; %bb.322:
	s_or_b32 exec_lo, exec_lo, s30
	s_mov_b32 s30, -1
	s_mov_b32 s0, 0
	global_store_b8 v[2:3], v4, off
.LBB31_323:
	s_mov_b32 s31, 0
.LBB31_324:
	s_delay_alu instid0(SALU_CYCLE_1)
	s_and_b32 vcc_lo, exec_lo, s31
	s_cbranch_vccz .LBB31_327
; %bb.325:
	s_cmp_eq_u32 s29, 29
	s_mov_b32 s0, -1
	s_cbranch_scc0 .LBB31_327
; %bb.326:
	s_mov_b32 s0, 0
	s_wait_xcnt 0x0
	v_cndmask_b32_e64 v4, 0, 1, s27
	v_mov_b32_e32 v5, s0
	s_mov_b32 s30, -1
	s_mov_b32 s31, 0
	global_store_b64 v[2:3], v[4:5], off
	s_branch .LBB31_328
.LBB31_327:
	s_mov_b32 s31, 0
.LBB31_328:
	s_delay_alu instid0(SALU_CYCLE_1)
	s_and_b32 vcc_lo, exec_lo, s31
	s_cbranch_vccz .LBB31_344
; %bb.329:
	s_cmp_lt_i32 s29, 27
	s_mov_b32 s30, -1
	s_cbranch_scc1 .LBB31_335
; %bb.330:
	s_cmp_gt_i32 s29, 27
	s_cbranch_scc0 .LBB31_332
; %bb.331:
	s_wait_xcnt 0x0
	v_cndmask_b32_e64 v1, 0, 1, s27
	s_mov_b32 s30, 0
	global_store_b32 v[2:3], v1, off
.LBB31_332:
	s_and_not1_b32 vcc_lo, exec_lo, s30
	s_cbranch_vccnz .LBB31_334
; %bb.333:
	s_wait_xcnt 0x0
	v_cndmask_b32_e64 v1, 0, 1, s27
	global_store_b16 v[2:3], v1, off
.LBB31_334:
	s_mov_b32 s30, 0
.LBB31_335:
	s_delay_alu instid0(SALU_CYCLE_1)
	s_and_not1_b32 vcc_lo, exec_lo, s30
	s_cbranch_vccnz .LBB31_343
; %bb.336:
	s_wait_xcnt 0x0
	v_cndmask_b32_e64 v4, 0, 1.0, s27
	v_mov_b32_e32 v5, 0x80
	s_mov_b32 s30, exec_lo
	s_delay_alu instid0(VALU_DEP_2)
	v_cmpx_gt_u32_e32 0x43800000, v4
	s_cbranch_execz .LBB31_342
; %bb.337:
	s_mov_b32 s31, 0
	s_mov_b32 s44, exec_lo
                                        ; implicit-def: $vgpr1
	v_cmpx_lt_u32_e32 0x3bffffff, v4
	s_xor_b32 s44, exec_lo, s44
	s_cbranch_execz .LBB31_568
; %bb.338:
	v_bfe_u32 v1, v4, 20, 1
	s_mov_b32 s31, exec_lo
	s_delay_alu instid0(VALU_DEP_1) | instskip(NEXT) | instid1(VALU_DEP_1)
	v_add3_u32 v1, v4, v1, 0x487ffff
                                        ; implicit-def: $vgpr4
	v_lshrrev_b32_e32 v1, 20, v1
	s_and_not1_saveexec_b32 s44, s44
	s_cbranch_execnz .LBB31_569
.LBB31_339:
	s_or_b32 exec_lo, exec_lo, s44
	v_mov_b32_e32 v5, 0
	s_and_saveexec_b32 s44, s31
.LBB31_340:
	v_mov_b32_e32 v5, v1
.LBB31_341:
	s_or_b32 exec_lo, exec_lo, s44
.LBB31_342:
	s_delay_alu instid0(SALU_CYCLE_1)
	s_or_b32 exec_lo, exec_lo, s30
	global_store_b8 v[2:3], v5, off
.LBB31_343:
	s_mov_b32 s30, -1
.LBB31_344:
	s_mov_b32 s31, 0
.LBB31_345:
	s_delay_alu instid0(SALU_CYCLE_1)
	s_and_b32 vcc_lo, exec_lo, s31
	s_cbranch_vccz .LBB31_386
; %bb.346:
	s_cmp_gt_i32 s29, 22
	s_mov_b32 s31, -1
	s_cbranch_scc0 .LBB31_378
; %bb.347:
	s_cmp_lt_i32 s29, 24
	s_mov_b32 s30, -1
	s_cbranch_scc1 .LBB31_367
; %bb.348:
	s_cmp_gt_i32 s29, 24
	s_cbranch_scc0 .LBB31_356
; %bb.349:
	s_wait_xcnt 0x0
	v_cndmask_b32_e64 v4, 0, 1.0, s27
	v_mov_b32_e32 v5, 0x80
	s_mov_b32 s30, exec_lo
	s_delay_alu instid0(VALU_DEP_2)
	v_cmpx_gt_u32_e32 0x47800000, v4
	s_cbranch_execz .LBB31_355
; %bb.350:
	s_mov_b32 s31, 0
	s_mov_b32 s44, exec_lo
                                        ; implicit-def: $vgpr1
	v_cmpx_lt_u32_e32 0x37ffffff, v4
	s_xor_b32 s44, exec_lo, s44
	s_cbranch_execz .LBB31_571
; %bb.351:
	v_bfe_u32 v1, v4, 21, 1
	s_mov_b32 s31, exec_lo
	s_delay_alu instid0(VALU_DEP_1) | instskip(NEXT) | instid1(VALU_DEP_1)
	v_add3_u32 v1, v4, v1, 0x88fffff
                                        ; implicit-def: $vgpr4
	v_lshrrev_b32_e32 v1, 21, v1
	s_and_not1_saveexec_b32 s44, s44
	s_cbranch_execnz .LBB31_572
.LBB31_352:
	s_or_b32 exec_lo, exec_lo, s44
	v_mov_b32_e32 v5, 0
	s_and_saveexec_b32 s44, s31
.LBB31_353:
	v_mov_b32_e32 v5, v1
.LBB31_354:
	s_or_b32 exec_lo, exec_lo, s44
.LBB31_355:
	s_delay_alu instid0(SALU_CYCLE_1)
	s_or_b32 exec_lo, exec_lo, s30
	s_mov_b32 s30, 0
	global_store_b8 v[2:3], v5, off
.LBB31_356:
	s_and_b32 vcc_lo, exec_lo, s30
	s_cbranch_vccz .LBB31_366
; %bb.357:
	s_wait_xcnt 0x0
	v_cndmask_b32_e64 v4, 0, 1.0, s27
	s_mov_b32 s30, exec_lo
                                        ; implicit-def: $vgpr1
	s_delay_alu instid0(VALU_DEP_1)
	v_cmpx_gt_u32_e32 0x43f00000, v4
	s_xor_b32 s30, exec_lo, s30
	s_cbranch_execz .LBB31_363
; %bb.358:
	s_mov_b32 s31, exec_lo
                                        ; implicit-def: $vgpr1
	v_cmpx_lt_u32_e32 0x3c7fffff, v4
	s_xor_b32 s31, exec_lo, s31
; %bb.359:
	v_bfe_u32 v1, v4, 20, 1
	s_delay_alu instid0(VALU_DEP_1) | instskip(NEXT) | instid1(VALU_DEP_1)
	v_add3_u32 v1, v4, v1, 0x407ffff
	v_and_b32_e32 v4, 0xff00000, v1
	v_lshrrev_b32_e32 v1, 20, v1
	s_delay_alu instid0(VALU_DEP_2) | instskip(NEXT) | instid1(VALU_DEP_2)
	v_cmp_ne_u32_e32 vcc_lo, 0x7f00000, v4
                                        ; implicit-def: $vgpr4
	v_cndmask_b32_e32 v1, 0x7e, v1, vcc_lo
; %bb.360:
	s_and_not1_saveexec_b32 s31, s31
; %bb.361:
	v_add_f32_e32 v1, 0x46800000, v4
; %bb.362:
	s_or_b32 exec_lo, exec_lo, s31
                                        ; implicit-def: $vgpr4
.LBB31_363:
	s_and_not1_saveexec_b32 s30, s30
; %bb.364:
	v_mov_b32_e32 v1, 0x7f
	v_cmp_lt_u32_e32 vcc_lo, 0x7f800000, v4
	s_delay_alu instid0(VALU_DEP_2)
	v_cndmask_b32_e32 v1, 0x7e, v1, vcc_lo
; %bb.365:
	s_or_b32 exec_lo, exec_lo, s30
	global_store_b8 v[2:3], v1, off
.LBB31_366:
	s_mov_b32 s30, 0
.LBB31_367:
	s_delay_alu instid0(SALU_CYCLE_1)
	s_and_not1_b32 vcc_lo, exec_lo, s30
	s_cbranch_vccnz .LBB31_377
; %bb.368:
	s_wait_xcnt 0x0
	v_cndmask_b32_e64 v4, 0, 1.0, s27
	s_mov_b32 s30, exec_lo
                                        ; implicit-def: $vgpr1
	s_delay_alu instid0(VALU_DEP_1)
	v_cmpx_gt_u32_e32 0x47800000, v4
	s_xor_b32 s30, exec_lo, s30
	s_cbranch_execz .LBB31_374
; %bb.369:
	s_mov_b32 s31, exec_lo
                                        ; implicit-def: $vgpr1
	v_cmpx_lt_u32_e32 0x387fffff, v4
	s_xor_b32 s31, exec_lo, s31
; %bb.370:
	v_bfe_u32 v1, v4, 21, 1
	s_delay_alu instid0(VALU_DEP_1) | instskip(NEXT) | instid1(VALU_DEP_1)
	v_add3_u32 v1, v4, v1, 0x80fffff
                                        ; implicit-def: $vgpr4
	v_lshrrev_b32_e32 v1, 21, v1
; %bb.371:
	s_and_not1_saveexec_b32 s31, s31
; %bb.372:
	v_add_f32_e32 v1, 0x43000000, v4
; %bb.373:
	s_or_b32 exec_lo, exec_lo, s31
                                        ; implicit-def: $vgpr4
.LBB31_374:
	s_and_not1_saveexec_b32 s30, s30
; %bb.375:
	v_mov_b32_e32 v1, 0x7f
	v_cmp_lt_u32_e32 vcc_lo, 0x7f800000, v4
	s_delay_alu instid0(VALU_DEP_2)
	v_cndmask_b32_e32 v1, 0x7c, v1, vcc_lo
; %bb.376:
	s_or_b32 exec_lo, exec_lo, s30
	global_store_b8 v[2:3], v1, off
.LBB31_377:
	s_mov_b32 s31, 0
	s_mov_b32 s30, -1
.LBB31_378:
	s_and_not1_b32 vcc_lo, exec_lo, s31
	s_cbranch_vccnz .LBB31_386
; %bb.379:
	s_cmp_gt_i32 s29, 14
	s_mov_b32 s31, -1
	s_cbranch_scc0 .LBB31_383
; %bb.380:
	s_cmp_eq_u32 s29, 15
	s_mov_b32 s0, -1
	s_cbranch_scc0 .LBB31_382
; %bb.381:
	s_wait_xcnt 0x0
	v_cndmask_b32_e64 v1, 0, 1.0, s27
	s_mov_b32 s30, -1
	s_mov_b32 s0, 0
	s_delay_alu instid0(VALU_DEP_1) | instskip(NEXT) | instid1(VALU_DEP_1)
	v_bfe_u32 v4, v1, 16, 1
	v_add3_u32 v1, v1, v4, 0x7fff
	global_store_d16_hi_b16 v[2:3], v1, off
.LBB31_382:
	s_mov_b32 s31, 0
.LBB31_383:
	s_delay_alu instid0(SALU_CYCLE_1)
	s_and_b32 vcc_lo, exec_lo, s31
	s_cbranch_vccz .LBB31_386
; %bb.384:
	s_cmp_eq_u32 s29, 11
	s_mov_b32 s0, -1
	s_cbranch_scc0 .LBB31_386
; %bb.385:
	s_wait_xcnt 0x0
	v_cndmask_b32_e64 v1, 0, 1, s27
	s_mov_b32 s30, -1
	s_mov_b32 s0, 0
	global_store_b8 v[2:3], v1, off
.LBB31_386:
	s_mov_b32 s29, 0
.LBB31_387:
	s_delay_alu instid0(SALU_CYCLE_1)
	s_and_b32 vcc_lo, exec_lo, s29
	s_cbranch_vccz .LBB31_426
; %bb.388:
	s_and_b32 s28, 0xffff, s28
	s_mov_b32 s29, -1
	s_cmp_lt_i32 s28, 5
	s_cbranch_scc1 .LBB31_409
; %bb.389:
	s_cmp_lt_i32 s28, 8
	s_cbranch_scc1 .LBB31_399
; %bb.390:
	;; [unrolled: 3-line block ×3, first 2 shown]
	s_cmp_gt_i32 s28, 9
	s_cbranch_scc0 .LBB31_393
; %bb.392:
	s_wait_xcnt 0x0
	v_cndmask_b32_e64 v1, 0, 1, s27
	v_mov_b32_e32 v6, 0
	s_mov_b32 s29, 0
	s_delay_alu instid0(VALU_DEP_2) | instskip(NEXT) | instid1(VALU_DEP_2)
	v_cvt_f64_u32_e32 v[4:5], v1
	v_mov_b32_e32 v7, v6
	global_store_b128 v[2:3], v[4:7], off
.LBB31_393:
	s_and_not1_b32 vcc_lo, exec_lo, s29
	s_cbranch_vccnz .LBB31_395
; %bb.394:
	s_wait_xcnt 0x0
	v_cndmask_b32_e64 v4, 0, 1.0, s27
	v_mov_b32_e32 v5, 0
	global_store_b64 v[2:3], v[4:5], off
.LBB31_395:
	s_mov_b32 s29, 0
.LBB31_396:
	s_delay_alu instid0(SALU_CYCLE_1)
	s_and_not1_b32 vcc_lo, exec_lo, s29
	s_cbranch_vccnz .LBB31_398
; %bb.397:
	s_wait_xcnt 0x0
	v_cndmask_b32_e64 v1, 0, 1.0, s27
	s_delay_alu instid0(VALU_DEP_1) | instskip(NEXT) | instid1(VALU_DEP_1)
	v_cvt_f16_f32_e32 v1, v1
	v_and_b32_e32 v1, 0xffff, v1
	global_store_b32 v[2:3], v1, off
.LBB31_398:
	s_mov_b32 s29, 0
.LBB31_399:
	s_delay_alu instid0(SALU_CYCLE_1)
	s_and_not1_b32 vcc_lo, exec_lo, s29
	s_cbranch_vccnz .LBB31_408
; %bb.400:
	s_cmp_lt_i32 s28, 6
	s_mov_b32 s29, -1
	s_cbranch_scc1 .LBB31_406
; %bb.401:
	s_cmp_gt_i32 s28, 6
	s_cbranch_scc0 .LBB31_403
; %bb.402:
	s_wait_xcnt 0x0
	v_cndmask_b32_e64 v1, 0, 1, s27
	s_mov_b32 s29, 0
	s_delay_alu instid0(VALU_DEP_1)
	v_cvt_f64_u32_e32 v[4:5], v1
	global_store_b64 v[2:3], v[4:5], off
.LBB31_403:
	s_and_not1_b32 vcc_lo, exec_lo, s29
	s_cbranch_vccnz .LBB31_405
; %bb.404:
	s_wait_xcnt 0x0
	v_cndmask_b32_e64 v1, 0, 1.0, s27
	global_store_b32 v[2:3], v1, off
.LBB31_405:
	s_mov_b32 s29, 0
.LBB31_406:
	s_delay_alu instid0(SALU_CYCLE_1)
	s_and_not1_b32 vcc_lo, exec_lo, s29
	s_cbranch_vccnz .LBB31_408
; %bb.407:
	s_wait_xcnt 0x0
	v_cndmask_b32_e64 v1, 0, 1.0, s27
	s_delay_alu instid0(VALU_DEP_1)
	v_cvt_f16_f32_e32 v1, v1
	global_store_b16 v[2:3], v1, off
.LBB31_408:
	s_mov_b32 s29, 0
.LBB31_409:
	s_delay_alu instid0(SALU_CYCLE_1)
	s_and_not1_b32 vcc_lo, exec_lo, s29
	s_cbranch_vccnz .LBB31_425
; %bb.410:
	s_cmp_lt_i32 s28, 2
	s_mov_b32 s29, -1
	s_cbranch_scc1 .LBB31_420
; %bb.411:
	s_cmp_lt_i32 s28, 3
	s_cbranch_scc1 .LBB31_417
; %bb.412:
	s_cmp_gt_i32 s28, 3
	s_cbranch_scc0 .LBB31_414
; %bb.413:
	s_mov_b32 s29, 0
	s_wait_xcnt 0x0
	v_cndmask_b32_e64 v4, 0, 1, s27
	v_mov_b32_e32 v5, s29
	global_store_b64 v[2:3], v[4:5], off
.LBB31_414:
	s_and_not1_b32 vcc_lo, exec_lo, s29
	s_cbranch_vccnz .LBB31_416
; %bb.415:
	s_wait_xcnt 0x0
	v_cndmask_b32_e64 v1, 0, 1, s27
	global_store_b32 v[2:3], v1, off
.LBB31_416:
	s_mov_b32 s29, 0
.LBB31_417:
	s_delay_alu instid0(SALU_CYCLE_1)
	s_and_not1_b32 vcc_lo, exec_lo, s29
	s_cbranch_vccnz .LBB31_419
; %bb.418:
	s_wait_xcnt 0x0
	v_cndmask_b32_e64 v1, 0, 1, s27
	global_store_b16 v[2:3], v1, off
.LBB31_419:
	s_mov_b32 s29, 0
.LBB31_420:
	s_delay_alu instid0(SALU_CYCLE_1)
	s_and_not1_b32 vcc_lo, exec_lo, s29
	s_cbranch_vccnz .LBB31_425
; %bb.421:
	s_wait_xcnt 0x0
	v_cndmask_b32_e64 v1, 0, 1, s27
	s_cmp_gt_i32 s28, 0
	s_mov_b32 s27, -1
	s_cbranch_scc0 .LBB31_423
; %bb.422:
	s_mov_b32 s27, 0
	global_store_b8 v[2:3], v1, off
.LBB31_423:
	s_and_not1_b32 vcc_lo, exec_lo, s27
	s_cbranch_vccnz .LBB31_425
; %bb.424:
	global_store_b8 v[2:3], v1, off
.LBB31_425:
	s_mov_b32 s30, -1
.LBB31_426:
	s_delay_alu instid0(SALU_CYCLE_1)
	s_and_not1_b32 vcc_lo, exec_lo, s30
	s_cbranch_vccnz .LBB31_428
; %bb.427:
	v_add_nc_u32_e32 v0, 0x80, v0
	s_mov_b32 s27, -1
	s_branch .LBB31_537
.LBB31_428:
	s_mov_b32 s27, 0
	s_branch .LBB31_536
.LBB31_429:
	s_mov_b32 s26, -1
                                        ; implicit-def: $vgpr6
.LBB31_430:
	s_mov_b32 s28, 0
.LBB31_431:
	s_delay_alu instid0(SALU_CYCLE_1)
	s_and_b32 vcc_lo, exec_lo, s28
	s_cbranch_vccz .LBB31_435
; %bb.432:
	s_cmp_eq_u32 s0, 29
	s_cbranch_scc0 .LBB31_434
; %bb.433:
	s_wait_loadcnt 0x0
	global_load_b64 v[6:7], v[4:5], off
	s_mov_b32 s27, -1
	s_mov_b32 s26, 0
	s_branch .LBB31_435
.LBB31_434:
	s_mov_b32 s26, -1
                                        ; implicit-def: $vgpr6
.LBB31_435:
	s_mov_b32 s28, 0
.LBB31_436:
	s_delay_alu instid0(SALU_CYCLE_1)
	s_and_b32 vcc_lo, exec_lo, s28
	s_cbranch_vccz .LBB31_452
; %bb.437:
	s_cmp_lt_i32 s0, 27
	s_cbranch_scc1 .LBB31_440
; %bb.438:
	s_cmp_gt_i32 s0, 27
	s_cbranch_scc0 .LBB31_441
; %bb.439:
	s_wait_loadcnt 0x0
	global_load_b32 v6, v[4:5], off
	s_mov_b32 s27, 0
	s_branch .LBB31_442
.LBB31_440:
	s_mov_b32 s27, -1
                                        ; implicit-def: $vgpr6
	s_branch .LBB31_445
.LBB31_441:
	s_mov_b32 s27, -1
                                        ; implicit-def: $vgpr6
.LBB31_442:
	s_delay_alu instid0(SALU_CYCLE_1)
	s_and_not1_b32 vcc_lo, exec_lo, s27
	s_cbranch_vccnz .LBB31_444
; %bb.443:
	s_wait_loadcnt 0x0
	global_load_u16 v6, v[4:5], off
.LBB31_444:
	s_mov_b32 s27, 0
.LBB31_445:
	s_delay_alu instid0(SALU_CYCLE_1)
	s_and_not1_b32 vcc_lo, exec_lo, s27
	s_cbranch_vccnz .LBB31_451
; %bb.446:
	global_load_u8 v1, v[4:5], off
	s_mov_b32 s28, 0
	s_mov_b32 s27, exec_lo
	s_wait_loadcnt 0x0
	v_cmpx_lt_i16_e32 0x7f, v1
	s_xor_b32 s27, exec_lo, s27
	s_cbranch_execz .LBB31_463
; %bb.447:
	v_cmp_ne_u16_e32 vcc_lo, 0x80, v1
	s_and_b32 s28, vcc_lo, exec_lo
	s_and_not1_saveexec_b32 s27, s27
	s_cbranch_execnz .LBB31_464
.LBB31_448:
	s_or_b32 exec_lo, exec_lo, s27
	v_mov_b32_e32 v6, 0
	s_and_saveexec_b32 s27, s28
	s_cbranch_execz .LBB31_450
.LBB31_449:
	v_and_b32_e32 v3, 0xffff, v1
	s_delay_alu instid0(VALU_DEP_1) | instskip(SKIP_1) | instid1(VALU_DEP_2)
	v_dual_lshlrev_b32 v1, 24, v1 :: v_dual_bitop2_b32 v6, 7, v3 bitop3:0x40
	v_bfe_u32 v9, v3, 3, 4
	v_and_b32_e32 v1, 0x80000000, v1
	s_delay_alu instid0(VALU_DEP_3) | instskip(NEXT) | instid1(VALU_DEP_3)
	v_clz_i32_u32_e32 v7, v6
	v_cmp_eq_u32_e32 vcc_lo, 0, v9
	s_delay_alu instid0(VALU_DEP_2) | instskip(NEXT) | instid1(VALU_DEP_1)
	v_min_u32_e32 v7, 32, v7
	v_subrev_nc_u32_e32 v8, 28, v7
	v_sub_nc_u32_e32 v7, 29, v7
	s_delay_alu instid0(VALU_DEP_2) | instskip(NEXT) | instid1(VALU_DEP_2)
	v_lshlrev_b32_e32 v3, v8, v3
	v_cndmask_b32_e32 v7, v9, v7, vcc_lo
	s_delay_alu instid0(VALU_DEP_2) | instskip(NEXT) | instid1(VALU_DEP_1)
	v_and_b32_e32 v3, 7, v3
	v_cndmask_b32_e32 v3, v6, v3, vcc_lo
	s_delay_alu instid0(VALU_DEP_3) | instskip(NEXT) | instid1(VALU_DEP_2)
	v_lshl_add_u32 v6, v7, 23, 0x3b800000
	v_lshlrev_b32_e32 v3, 20, v3
	s_delay_alu instid0(VALU_DEP_1) | instskip(NEXT) | instid1(VALU_DEP_1)
	v_or3_b32 v1, v1, v6, v3
	v_cvt_i32_f32_e32 v6, v1
.LBB31_450:
	s_or_b32 exec_lo, exec_lo, s27
.LBB31_451:
	s_mov_b32 s27, -1
.LBB31_452:
	s_mov_b32 s28, 0
.LBB31_453:
	s_delay_alu instid0(SALU_CYCLE_1)
	s_and_b32 vcc_lo, exec_lo, s28
	s_cbranch_vccz .LBB31_486
; %bb.454:
	s_cmp_gt_i32 s0, 22
	s_cbranch_scc0 .LBB31_462
; %bb.455:
	s_cmp_lt_i32 s0, 24
	s_cbranch_scc1 .LBB31_465
; %bb.456:
	s_cmp_gt_i32 s0, 24
	s_cbranch_scc0 .LBB31_466
; %bb.457:
	global_load_u8 v1, v[4:5], off
	s_mov_b32 s28, 0
	s_mov_b32 s27, exec_lo
	s_wait_loadcnt 0x0
	v_cmpx_lt_i16_e32 0x7f, v1
	s_xor_b32 s27, exec_lo, s27
	s_cbranch_execz .LBB31_478
; %bb.458:
	v_cmp_ne_u16_e32 vcc_lo, 0x80, v1
	s_and_b32 s28, vcc_lo, exec_lo
	s_and_not1_saveexec_b32 s27, s27
	s_cbranch_execnz .LBB31_479
.LBB31_459:
	s_or_b32 exec_lo, exec_lo, s27
	v_mov_b32_e32 v6, 0
	s_and_saveexec_b32 s27, s28
	s_cbranch_execz .LBB31_461
.LBB31_460:
	v_and_b32_e32 v3, 0xffff, v1
	s_delay_alu instid0(VALU_DEP_1) | instskip(SKIP_1) | instid1(VALU_DEP_2)
	v_dual_lshlrev_b32 v1, 24, v1 :: v_dual_bitop2_b32 v6, 3, v3 bitop3:0x40
	v_bfe_u32 v9, v3, 2, 5
	v_and_b32_e32 v1, 0x80000000, v1
	s_delay_alu instid0(VALU_DEP_3) | instskip(NEXT) | instid1(VALU_DEP_3)
	v_clz_i32_u32_e32 v7, v6
	v_cmp_eq_u32_e32 vcc_lo, 0, v9
	s_delay_alu instid0(VALU_DEP_2) | instskip(NEXT) | instid1(VALU_DEP_1)
	v_min_u32_e32 v7, 32, v7
	v_subrev_nc_u32_e32 v8, 29, v7
	v_sub_nc_u32_e32 v7, 30, v7
	s_delay_alu instid0(VALU_DEP_2) | instskip(NEXT) | instid1(VALU_DEP_2)
	v_lshlrev_b32_e32 v3, v8, v3
	v_cndmask_b32_e32 v7, v9, v7, vcc_lo
	s_delay_alu instid0(VALU_DEP_2) | instskip(NEXT) | instid1(VALU_DEP_1)
	v_and_b32_e32 v3, 3, v3
	v_cndmask_b32_e32 v3, v6, v3, vcc_lo
	s_delay_alu instid0(VALU_DEP_3) | instskip(NEXT) | instid1(VALU_DEP_2)
	v_lshl_add_u32 v6, v7, 23, 0x37800000
	v_lshlrev_b32_e32 v3, 21, v3
	s_delay_alu instid0(VALU_DEP_1) | instskip(NEXT) | instid1(VALU_DEP_1)
	v_or3_b32 v1, v1, v6, v3
	v_cvt_i32_f32_e32 v6, v1
.LBB31_461:
	s_or_b32 exec_lo, exec_lo, s27
	s_mov_b32 s27, 0
	s_branch .LBB31_467
.LBB31_462:
	s_mov_b32 s28, -1
                                        ; implicit-def: $vgpr6
	s_branch .LBB31_473
.LBB31_463:
	s_and_not1_saveexec_b32 s27, s27
	s_cbranch_execz .LBB31_448
.LBB31_464:
	v_cmp_ne_u16_e32 vcc_lo, 0, v1
	s_and_not1_b32 s28, s28, exec_lo
	s_and_b32 s29, vcc_lo, exec_lo
	s_delay_alu instid0(SALU_CYCLE_1)
	s_or_b32 s28, s28, s29
	s_or_b32 exec_lo, exec_lo, s27
	v_mov_b32_e32 v6, 0
	s_and_saveexec_b32 s27, s28
	s_cbranch_execnz .LBB31_449
	s_branch .LBB31_450
.LBB31_465:
	s_mov_b32 s27, -1
                                        ; implicit-def: $vgpr6
	s_branch .LBB31_470
.LBB31_466:
	s_mov_b32 s27, -1
                                        ; implicit-def: $vgpr6
.LBB31_467:
	s_delay_alu instid0(SALU_CYCLE_1)
	s_and_b32 vcc_lo, exec_lo, s27
	s_cbranch_vccz .LBB31_469
; %bb.468:
	global_load_u8 v1, v[4:5], off
	s_wait_loadcnt 0x0
	v_lshlrev_b32_e32 v1, 24, v1
	s_delay_alu instid0(VALU_DEP_1) | instskip(NEXT) | instid1(VALU_DEP_1)
	v_and_b32_e32 v3, 0x7f000000, v1
	v_clz_i32_u32_e32 v6, v3
	v_cmp_ne_u32_e32 vcc_lo, 0, v3
	v_add_nc_u32_e32 v8, 0x1000000, v3
	s_delay_alu instid0(VALU_DEP_3) | instskip(NEXT) | instid1(VALU_DEP_1)
	v_min_u32_e32 v6, 32, v6
	v_sub_nc_u32_e64 v6, v6, 4 clamp
	s_delay_alu instid0(VALU_DEP_1) | instskip(NEXT) | instid1(VALU_DEP_1)
	v_dual_lshlrev_b32 v7, v6, v3 :: v_dual_lshlrev_b32 v6, 23, v6
	v_lshrrev_b32_e32 v7, 4, v7
	s_delay_alu instid0(VALU_DEP_1) | instskip(NEXT) | instid1(VALU_DEP_1)
	v_dual_sub_nc_u32 v6, v7, v6 :: v_dual_ashrrev_i32 v7, 8, v8
	v_add_nc_u32_e32 v6, 0x3c000000, v6
	s_delay_alu instid0(VALU_DEP_1) | instskip(NEXT) | instid1(VALU_DEP_1)
	v_and_or_b32 v6, 0x7f800000, v7, v6
	v_cndmask_b32_e32 v3, 0, v6, vcc_lo
	s_delay_alu instid0(VALU_DEP_1) | instskip(NEXT) | instid1(VALU_DEP_1)
	v_and_or_b32 v1, 0x80000000, v1, v3
	v_cvt_i32_f32_e32 v6, v1
.LBB31_469:
	s_mov_b32 s27, 0
.LBB31_470:
	s_delay_alu instid0(SALU_CYCLE_1)
	s_and_not1_b32 vcc_lo, exec_lo, s27
	s_cbranch_vccnz .LBB31_472
; %bb.471:
	global_load_u8 v1, v[4:5], off
	s_wait_loadcnt 0x0
	v_lshlrev_b32_e32 v3, 25, v1
	v_lshlrev_b16 v1, 8, v1
	s_delay_alu instid0(VALU_DEP_1) | instskip(SKIP_1) | instid1(VALU_DEP_2)
	v_and_or_b32 v7, 0x7f00, v1, 0.5
	v_bfe_i32 v1, v1, 0, 16
	v_add_f32_e32 v7, -0.5, v7
	v_lshrrev_b32_e32 v6, 4, v3
	v_cmp_gt_u32_e32 vcc_lo, 0x8000000, v3
	s_delay_alu instid0(VALU_DEP_2) | instskip(NEXT) | instid1(VALU_DEP_1)
	v_or_b32_e32 v6, 0x70000000, v6
	v_mul_f32_e32 v6, 0x7800000, v6
	s_delay_alu instid0(VALU_DEP_1) | instskip(NEXT) | instid1(VALU_DEP_1)
	v_cndmask_b32_e32 v3, v6, v7, vcc_lo
	v_and_or_b32 v1, 0x80000000, v1, v3
	s_delay_alu instid0(VALU_DEP_1)
	v_cvt_i32_f32_e32 v6, v1
.LBB31_472:
	s_mov_b32 s28, 0
	s_mov_b32 s27, -1
.LBB31_473:
	s_and_not1_b32 vcc_lo, exec_lo, s28
	s_cbranch_vccnz .LBB31_486
; %bb.474:
	s_cmp_gt_i32 s0, 14
	s_cbranch_scc0 .LBB31_477
; %bb.475:
	s_cmp_eq_u32 s0, 15
	s_cbranch_scc0 .LBB31_480
; %bb.476:
	global_load_u16 v1, v[4:5], off
	s_mov_b32 s27, -1
	s_mov_b32 s26, 0
	s_wait_loadcnt 0x0
	v_lshlrev_b32_e32 v1, 16, v1
	s_delay_alu instid0(VALU_DEP_1)
	v_cvt_i32_f32_e32 v6, v1
	s_branch .LBB31_481
.LBB31_477:
	s_mov_b32 s28, -1
                                        ; implicit-def: $vgpr6
	s_branch .LBB31_482
.LBB31_478:
	s_and_not1_saveexec_b32 s27, s27
	s_cbranch_execz .LBB31_459
.LBB31_479:
	v_cmp_ne_u16_e32 vcc_lo, 0, v1
	s_and_not1_b32 s28, s28, exec_lo
	s_and_b32 s29, vcc_lo, exec_lo
	s_delay_alu instid0(SALU_CYCLE_1)
	s_or_b32 s28, s28, s29
	s_or_b32 exec_lo, exec_lo, s27
	v_mov_b32_e32 v6, 0
	s_and_saveexec_b32 s27, s28
	s_cbranch_execnz .LBB31_460
	s_branch .LBB31_461
.LBB31_480:
	s_mov_b32 s26, -1
                                        ; implicit-def: $vgpr6
.LBB31_481:
	s_mov_b32 s28, 0
.LBB31_482:
	s_delay_alu instid0(SALU_CYCLE_1)
	s_and_b32 vcc_lo, exec_lo, s28
	s_cbranch_vccz .LBB31_486
; %bb.483:
	s_cmp_eq_u32 s0, 11
	s_cbranch_scc0 .LBB31_485
; %bb.484:
	global_load_u8 v1, v[4:5], off
	s_mov_b32 s26, 0
	s_mov_b32 s27, -1
	s_wait_loadcnt 0x0
	v_cmp_ne_u16_e32 vcc_lo, 0, v1
	v_cndmask_b32_e64 v6, 0, 1, vcc_lo
	s_branch .LBB31_486
.LBB31_485:
	s_mov_b32 s26, -1
                                        ; implicit-def: $vgpr6
.LBB31_486:
	s_branch .LBB31_292
.LBB31_487:
	s_cmp_lt_i32 s0, 5
	s_cbranch_scc1 .LBB31_492
; %bb.488:
	s_cmp_lt_i32 s0, 8
	s_cbranch_scc1 .LBB31_493
; %bb.489:
	;; [unrolled: 3-line block ×3, first 2 shown]
	s_cmp_gt_i32 s0, 9
	s_cbranch_scc0 .LBB31_495
; %bb.491:
	s_wait_loadcnt 0x0
	global_load_b64 v[6:7], v[4:5], off
	s_mov_b32 s27, 0
	s_wait_loadcnt 0x0
	v_cvt_i32_f64_e32 v6, v[6:7]
	s_branch .LBB31_496
.LBB31_492:
	s_mov_b32 s27, -1
                                        ; implicit-def: $vgpr6
	s_branch .LBB31_514
.LBB31_493:
	s_mov_b32 s27, -1
                                        ; implicit-def: $vgpr6
	s_branch .LBB31_502
.LBB31_494:
	s_mov_b32 s27, -1
                                        ; implicit-def: $vgpr6
	s_branch .LBB31_499
.LBB31_495:
	s_mov_b32 s27, -1
                                        ; implicit-def: $vgpr6
.LBB31_496:
	s_delay_alu instid0(SALU_CYCLE_1)
	s_and_not1_b32 vcc_lo, exec_lo, s27
	s_cbranch_vccnz .LBB31_498
; %bb.497:
	global_load_b32 v1, v[4:5], off
	s_wait_loadcnt 0x0
	v_cvt_i32_f32_e32 v6, v1
.LBB31_498:
	s_mov_b32 s27, 0
.LBB31_499:
	s_delay_alu instid0(SALU_CYCLE_1)
	s_and_not1_b32 vcc_lo, exec_lo, s27
	s_cbranch_vccnz .LBB31_501
; %bb.500:
	global_load_b32 v1, v[4:5], off
	s_wait_loadcnt 0x0
	v_cvt_i16_f16_e32 v6, v1
.LBB31_501:
	s_mov_b32 s27, 0
.LBB31_502:
	s_delay_alu instid0(SALU_CYCLE_1)
	s_and_not1_b32 vcc_lo, exec_lo, s27
	s_cbranch_vccnz .LBB31_513
; %bb.503:
	s_cmp_lt_i32 s0, 6
	s_cbranch_scc1 .LBB31_506
; %bb.504:
	s_cmp_gt_i32 s0, 6
	s_cbranch_scc0 .LBB31_507
; %bb.505:
	s_wait_loadcnt 0x0
	global_load_b64 v[6:7], v[4:5], off
	s_mov_b32 s27, 0
	s_wait_loadcnt 0x0
	v_cvt_i32_f64_e32 v6, v[6:7]
	s_branch .LBB31_508
.LBB31_506:
	s_mov_b32 s27, -1
                                        ; implicit-def: $vgpr6
	s_branch .LBB31_511
.LBB31_507:
	s_mov_b32 s27, -1
                                        ; implicit-def: $vgpr6
.LBB31_508:
	s_delay_alu instid0(SALU_CYCLE_1)
	s_and_not1_b32 vcc_lo, exec_lo, s27
	s_cbranch_vccnz .LBB31_510
; %bb.509:
	global_load_b32 v1, v[4:5], off
	s_wait_loadcnt 0x0
	v_cvt_i32_f32_e32 v6, v1
.LBB31_510:
	s_mov_b32 s27, 0
.LBB31_511:
	s_delay_alu instid0(SALU_CYCLE_1)
	s_and_not1_b32 vcc_lo, exec_lo, s27
	s_cbranch_vccnz .LBB31_513
; %bb.512:
	global_load_u16 v1, v[4:5], off
	s_wait_loadcnt 0x0
	v_cvt_i16_f16_e32 v6, v1
.LBB31_513:
	s_mov_b32 s27, 0
.LBB31_514:
	s_delay_alu instid0(SALU_CYCLE_1)
	s_and_not1_b32 vcc_lo, exec_lo, s27
	s_cbranch_vccnz .LBB31_534
; %bb.515:
	s_cmp_lt_i32 s0, 2
	s_cbranch_scc1 .LBB31_519
; %bb.516:
	s_cmp_lt_i32 s0, 3
	s_cbranch_scc1 .LBB31_520
; %bb.517:
	s_cmp_gt_i32 s0, 3
	s_cbranch_scc0 .LBB31_521
; %bb.518:
	s_wait_loadcnt 0x0
	global_load_b64 v[6:7], v[4:5], off
	s_mov_b32 s27, 0
	s_branch .LBB31_522
.LBB31_519:
	s_mov_b32 s27, -1
                                        ; implicit-def: $vgpr6
	s_branch .LBB31_528
.LBB31_520:
	s_mov_b32 s27, -1
                                        ; implicit-def: $vgpr6
	s_branch .LBB31_525
.LBB31_521:
	s_mov_b32 s27, -1
                                        ; implicit-def: $vgpr6
.LBB31_522:
	s_delay_alu instid0(SALU_CYCLE_1)
	s_and_not1_b32 vcc_lo, exec_lo, s27
	s_cbranch_vccnz .LBB31_524
; %bb.523:
	s_wait_loadcnt 0x0
	global_load_b32 v6, v[4:5], off
.LBB31_524:
	s_mov_b32 s27, 0
.LBB31_525:
	s_delay_alu instid0(SALU_CYCLE_1)
	s_and_not1_b32 vcc_lo, exec_lo, s27
	s_cbranch_vccnz .LBB31_527
; %bb.526:
	s_wait_loadcnt 0x0
	global_load_u16 v6, v[4:5], off
.LBB31_527:
	s_mov_b32 s27, 0
.LBB31_528:
	s_delay_alu instid0(SALU_CYCLE_1)
	s_and_not1_b32 vcc_lo, exec_lo, s27
	s_cbranch_vccnz .LBB31_534
; %bb.529:
	s_cmp_gt_i32 s0, 0
	s_mov_b32 s0, 0
	s_cbranch_scc0 .LBB31_531
; %bb.530:
	s_wait_loadcnt 0x0
	global_load_u8 v6, v[4:5], off
	s_branch .LBB31_532
.LBB31_531:
	s_mov_b32 s0, -1
                                        ; implicit-def: $vgpr6
.LBB31_532:
	s_delay_alu instid0(SALU_CYCLE_1)
	s_and_not1_b32 vcc_lo, exec_lo, s0
	s_cbranch_vccnz .LBB31_534
; %bb.533:
	s_wait_loadcnt 0x0
	global_load_u8 v6, v[4:5], off
.LBB31_534:
	s_branch .LBB31_293
.LBB31_535:
	s_mov_b32 s27, 0
	s_mov_b32 s0, s20
.LBB31_536:
                                        ; implicit-def: $vgpr0
.LBB31_537:
	s_and_not1_b32 s28, s20, exec_lo
	s_and_b32 s0, s0, exec_lo
	s_and_not1_b32 s29, s42, exec_lo
	s_and_b32 s26, s26, exec_lo
	s_or_b32 s45, s28, s0
	s_or_b32 s44, s29, s26
	s_or_not1_b32 s0, s27, exec_lo
.LBB31_538:
	s_wait_xcnt 0x0
	s_or_b32 exec_lo, exec_lo, s46
	s_mov_b32 s26, 0
	s_mov_b32 s27, 0
	;; [unrolled: 1-line block ×3, first 2 shown]
                                        ; implicit-def: $vgpr4_vgpr5
                                        ; implicit-def: $vgpr2
                                        ; implicit-def: $vgpr6
	s_and_saveexec_b32 s46, s0
	s_cbranch_execz .LBB31_911
; %bb.539:
	s_mov_b32 s29, -1
	s_mov_b32 s0, s44
	s_mov_b32 s30, s45
	s_mov_b32 s47, exec_lo
	v_cmpx_gt_i32_e64 s39, v0
	s_cbranch_execz .LBB31_812
; %bb.540:
	s_and_not1_b32 vcc_lo, exec_lo, s35
	s_cbranch_vccnz .LBB31_546
; %bb.541:
	s_and_not1_b32 vcc_lo, exec_lo, s41
	s_cbranch_vccnz .LBB31_547
; %bb.542:
	s_add_co_i32 s0, s40, 1
	s_cmp_eq_u32 s34, 2
	s_cbranch_scc1 .LBB31_548
; %bb.543:
	v_dual_mov_b32 v2, 0 :: v_dual_mov_b32 v4, 0
	v_mov_b32_e32 v1, v0
	s_and_b32 s26, s0, 28
	s_mov_b64 s[28:29], s[16:17]
	s_mov_b64 s[30:31], s[24:25]
.LBB31_544:                             ; =>This Inner Loop Header: Depth=1
	s_clause 0x1
	s_load_b256 s[48:55], s[28:29], 0x4
	s_load_b128 s[64:67], s[28:29], 0x24
	s_load_b256 s[56:63], s[30:31], 0x0
	s_add_co_i32 s27, s27, 4
	s_wait_xcnt 0x0
	s_add_nc_u64 s[28:29], s[28:29], 48
	s_cmp_eq_u32 s26, s27
	s_add_nc_u64 s[30:31], s[30:31], 32
	s_wait_kmcnt 0x0
	v_mul_hi_u32 v3, s49, v1
	s_delay_alu instid0(VALU_DEP_1) | instskip(NEXT) | instid1(VALU_DEP_1)
	v_add_nc_u32_e32 v3, v1, v3
	v_lshrrev_b32_e32 v3, s50, v3
	s_delay_alu instid0(VALU_DEP_1) | instskip(NEXT) | instid1(VALU_DEP_1)
	v_mul_hi_u32 v5, s52, v3
	v_add_nc_u32_e32 v5, v3, v5
	s_delay_alu instid0(VALU_DEP_1) | instskip(SKIP_1) | instid1(VALU_DEP_1)
	v_lshrrev_b32_e32 v5, s53, v5
	s_wait_loadcnt 0x0
	v_mul_hi_u32 v6, s55, v5
	s_delay_alu instid0(VALU_DEP_1) | instskip(SKIP_1) | instid1(VALU_DEP_1)
	v_add_nc_u32_e32 v6, v5, v6
	v_mul_lo_u32 v7, v3, s48
	v_sub_nc_u32_e32 v1, v1, v7
	v_mul_lo_u32 v7, v5, s51
	s_delay_alu instid0(VALU_DEP_4) | instskip(NEXT) | instid1(VALU_DEP_3)
	v_lshrrev_b32_e32 v6, s64, v6
	v_mad_u32 v4, v1, s57, v4
	v_mad_u32 v1, v1, s56, v2
	s_delay_alu instid0(VALU_DEP_4) | instskip(NEXT) | instid1(VALU_DEP_4)
	v_sub_nc_u32_e32 v2, v3, v7
	v_mul_hi_u32 v8, s66, v6
	v_mul_lo_u32 v3, v6, s54
	s_delay_alu instid0(VALU_DEP_3) | instskip(SKIP_1) | instid1(VALU_DEP_3)
	v_mad_u32 v4, v2, s59, v4
	v_mad_u32 v2, v2, s58, v1
	v_dual_add_nc_u32 v7, v6, v8 :: v_dual_sub_nc_u32 v3, v5, v3
	s_delay_alu instid0(VALU_DEP_1) | instskip(NEXT) | instid1(VALU_DEP_2)
	v_lshrrev_b32_e32 v1, s67, v7
	v_mad_u32 v4, v3, s61, v4
	s_delay_alu instid0(VALU_DEP_4) | instskip(NEXT) | instid1(VALU_DEP_3)
	v_mad_u32 v2, v3, s60, v2
	v_mul_lo_u32 v5, v1, s65
	s_delay_alu instid0(VALU_DEP_1) | instskip(NEXT) | instid1(VALU_DEP_1)
	v_sub_nc_u32_e32 v3, v6, v5
	v_mad_u32 v4, v3, s63, v4
	s_delay_alu instid0(VALU_DEP_4)
	v_mad_u32 v2, v3, s62, v2
	s_cbranch_scc0 .LBB31_544
; %bb.545:
	s_delay_alu instid0(VALU_DEP_2)
	v_mov_b32_e32 v3, v4
	s_branch .LBB31_549
.LBB31_546:
	s_mov_b32 s0, -1
                                        ; implicit-def: $vgpr4
                                        ; implicit-def: $vgpr2
	s_branch .LBB31_554
.LBB31_547:
	v_dual_mov_b32 v4, 0 :: v_dual_mov_b32 v2, 0
	s_branch .LBB31_553
.LBB31_548:
	v_mov_b64_e32 v[2:3], 0
	v_mov_b32_e32 v1, v0
                                        ; implicit-def: $vgpr4
.LBB31_549:
	s_and_b32 s0, s0, 3
	s_mov_b32 s27, 0
	s_cmp_eq_u32 s0, 0
	s_cbranch_scc1 .LBB31_553
; %bb.550:
	s_lshl_b32 s28, s26, 3
	s_mov_b32 s29, s27
	s_mul_u64 s[30:31], s[26:27], 12
	s_add_nc_u64 s[28:29], s[16:17], s[28:29]
	s_delay_alu instid0(SALU_CYCLE_1)
	s_add_nc_u64 s[26:27], s[28:29], 0xc4
	s_add_nc_u64 s[28:29], s[16:17], s[30:31]
.LBB31_551:                             ; =>This Inner Loop Header: Depth=1
	s_load_b96 s[48:50], s[28:29], 0x4
	s_load_b64 s[30:31], s[26:27], 0x0
	s_add_co_i32 s0, s0, -1
	s_wait_xcnt 0x0
	s_add_nc_u64 s[28:29], s[28:29], 12
	s_cmp_lg_u32 s0, 0
	s_add_nc_u64 s[26:27], s[26:27], 8
	s_wait_kmcnt 0x0
	v_mul_hi_u32 v4, s49, v1
	s_delay_alu instid0(VALU_DEP_1) | instskip(NEXT) | instid1(VALU_DEP_1)
	v_add_nc_u32_e32 v4, v1, v4
	v_lshrrev_b32_e32 v4, s50, v4
	s_delay_alu instid0(VALU_DEP_1) | instskip(NEXT) | instid1(VALU_DEP_1)
	v_mul_lo_u32 v5, v4, s48
	v_sub_nc_u32_e32 v1, v1, v5
	s_delay_alu instid0(VALU_DEP_1)
	v_mad_u32 v3, v1, s31, v3
	v_mad_u32 v2, v1, s30, v2
	v_mov_b32_e32 v1, v4
	s_cbranch_scc1 .LBB31_551
; %bb.552:
	s_delay_alu instid0(VALU_DEP_3)
	v_mov_b32_e32 v4, v3
.LBB31_553:
	s_mov_b32 s0, 0
.LBB31_554:
	s_delay_alu instid0(SALU_CYCLE_1)
	s_and_not1_b32 vcc_lo, exec_lo, s0
	s_cbranch_vccnz .LBB31_557
; %bb.555:
	v_mov_b32_e32 v1, 0
	s_and_not1_b32 vcc_lo, exec_lo, s38
	s_delay_alu instid0(VALU_DEP_1) | instskip(NEXT) | instid1(VALU_DEP_1)
	v_mul_u64_e32 v[2:3], s[18:19], v[0:1]
	v_add_nc_u32_e32 v2, v0, v3
	s_wait_loadcnt 0x0
	s_delay_alu instid0(VALU_DEP_1) | instskip(NEXT) | instid1(VALU_DEP_1)
	v_lshrrev_b32_e32 v6, s10, v2
	v_mul_lo_u32 v2, v6, s8
	s_delay_alu instid0(VALU_DEP_1) | instskip(NEXT) | instid1(VALU_DEP_1)
	v_sub_nc_u32_e32 v2, v0, v2
	v_mul_lo_u32 v4, v2, s13
	v_mul_lo_u32 v2, v2, s12
	s_cbranch_vccnz .LBB31_557
; %bb.556:
	v_mov_b32_e32 v7, v1
	s_delay_alu instid0(VALU_DEP_1) | instskip(NEXT) | instid1(VALU_DEP_1)
	v_mul_u64_e32 v[8:9], s[22:23], v[6:7]
	v_add_nc_u32_e32 v1, v6, v9
	s_delay_alu instid0(VALU_DEP_1) | instskip(NEXT) | instid1(VALU_DEP_1)
	v_lshrrev_b32_e32 v1, s21, v1
	v_mul_lo_u32 v1, v1, s11
	s_delay_alu instid0(VALU_DEP_1) | instskip(NEXT) | instid1(VALU_DEP_1)
	v_sub_nc_u32_e32 v1, v6, v1
	v_mad_u32 v2, v1, s14, v2
	v_mad_u32 v4, v1, s15, v4
.LBB31_557:
	v_mov_b32_e32 v5, 0
	s_and_b32 s0, 0xffff, s37
	s_delay_alu instid0(SALU_CYCLE_1) | instskip(NEXT) | instid1(VALU_DEP_1)
	s_cmp_lt_i32 s0, 11
	v_add_nc_u64_e32 v[4:5], s[6:7], v[4:5]
	s_cbranch_scc1 .LBB31_564
; %bb.558:
	s_cmp_gt_i32 s0, 25
	s_cbranch_scc0 .LBB31_565
; %bb.559:
	s_cmp_gt_i32 s0, 28
	s_cbranch_scc0 .LBB31_566
	;; [unrolled: 3-line block ×4, first 2 shown]
; %bb.562:
	s_cmp_eq_u32 s0, 46
	s_mov_b32 s28, 0
	s_cbranch_scc0 .LBB31_573
; %bb.563:
	global_load_b32 v1, v[4:5], off
	s_mov_b32 s27, -1
	s_mov_b32 s26, 0
	s_wait_loadcnt 0x0
	v_lshlrev_b32_e32 v1, 16, v1
	s_delay_alu instid0(VALU_DEP_1)
	v_cvt_i32_f32_e32 v6, v1
	s_branch .LBB31_575
.LBB31_564:
	s_mov_b32 s28, -1
	s_mov_b32 s27, 0
	s_mov_b32 s26, s44
                                        ; implicit-def: $vgpr6
	s_branch .LBB31_636
.LBB31_565:
	s_mov_b32 s28, -1
	s_mov_b32 s27, 0
	s_mov_b32 s26, s44
                                        ; implicit-def: $vgpr6
	s_branch .LBB31_602
.LBB31_566:
	s_mov_b32 s28, -1
	s_mov_b32 s27, 0
	s_mov_b32 s26, s44
                                        ; implicit-def: $vgpr6
	s_branch .LBB31_585
.LBB31_567:
	s_mov_b32 s28, -1
	s_mov_b32 s27, 0
	s_mov_b32 s26, s44
                                        ; implicit-def: $vgpr6
	s_branch .LBB31_580
.LBB31_568:
	s_and_not1_saveexec_b32 s44, s44
	s_cbranch_execz .LBB31_339
.LBB31_569:
	v_add_f32_e32 v1, 0x46000000, v4
	s_and_not1_b32 s31, s31, exec_lo
	s_delay_alu instid0(VALU_DEP_1) | instskip(NEXT) | instid1(VALU_DEP_1)
	v_and_b32_e32 v1, 0xff, v1
	v_cmp_ne_u32_e32 vcc_lo, 0, v1
	s_and_b32 s45, vcc_lo, exec_lo
	s_delay_alu instid0(SALU_CYCLE_1)
	s_or_b32 s31, s31, s45
	s_or_b32 exec_lo, exec_lo, s44
	v_mov_b32_e32 v5, 0
	s_and_saveexec_b32 s44, s31
	s_cbranch_execnz .LBB31_340
	s_branch .LBB31_341
.LBB31_570:
	s_mov_b32 s28, -1
	s_mov_b32 s27, 0
	s_mov_b32 s26, s44
	s_branch .LBB31_574
.LBB31_571:
	s_and_not1_saveexec_b32 s44, s44
	s_cbranch_execz .LBB31_352
.LBB31_572:
	v_add_f32_e32 v1, 0x42800000, v4
	s_and_not1_b32 s31, s31, exec_lo
	s_delay_alu instid0(VALU_DEP_1) | instskip(NEXT) | instid1(VALU_DEP_1)
	v_and_b32_e32 v1, 0xff, v1
	v_cmp_ne_u32_e32 vcc_lo, 0, v1
	s_and_b32 s45, vcc_lo, exec_lo
	s_delay_alu instid0(SALU_CYCLE_1)
	s_or_b32 s31, s31, s45
	s_or_b32 exec_lo, exec_lo, s44
	v_mov_b32_e32 v5, 0
	s_and_saveexec_b32 s44, s31
	s_cbranch_execnz .LBB31_353
	s_branch .LBB31_354
.LBB31_573:
	s_mov_b32 s26, -1
	s_mov_b32 s27, 0
.LBB31_574:
                                        ; implicit-def: $vgpr6
.LBB31_575:
	s_and_b32 vcc_lo, exec_lo, s28
	s_cbranch_vccz .LBB31_579
; %bb.576:
	s_cmp_eq_u32 s0, 44
	s_cbranch_scc0 .LBB31_578
; %bb.577:
	global_load_u8 v1, v[4:5], off
	s_mov_b32 s26, 0
	s_mov_b32 s27, -1
	s_wait_loadcnt 0x0
	v_lshlrev_b32_e32 v3, 23, v1
	v_cmp_ne_u32_e32 vcc_lo, 0, v1
	s_delay_alu instid0(VALU_DEP_2) | instskip(NEXT) | instid1(VALU_DEP_1)
	v_cvt_i32_f32_e32 v3, v3
	v_cndmask_b32_e32 v6, 0, v3, vcc_lo
	s_branch .LBB31_579
.LBB31_578:
	s_mov_b32 s26, -1
                                        ; implicit-def: $vgpr6
.LBB31_579:
	s_mov_b32 s28, 0
.LBB31_580:
	s_delay_alu instid0(SALU_CYCLE_1)
	s_and_b32 vcc_lo, exec_lo, s28
	s_cbranch_vccz .LBB31_584
; %bb.581:
	s_cmp_eq_u32 s0, 29
	s_cbranch_scc0 .LBB31_583
; %bb.582:
	s_wait_loadcnt 0x0
	global_load_b64 v[6:7], v[4:5], off
	s_mov_b32 s27, -1
	s_mov_b32 s26, 0
	s_branch .LBB31_584
.LBB31_583:
	s_mov_b32 s26, -1
                                        ; implicit-def: $vgpr6
.LBB31_584:
	s_mov_b32 s28, 0
.LBB31_585:
	s_delay_alu instid0(SALU_CYCLE_1)
	s_and_b32 vcc_lo, exec_lo, s28
	s_cbranch_vccz .LBB31_601
; %bb.586:
	s_cmp_lt_i32 s0, 27
	s_cbranch_scc1 .LBB31_589
; %bb.587:
	s_cmp_gt_i32 s0, 27
	s_cbranch_scc0 .LBB31_590
; %bb.588:
	s_wait_loadcnt 0x0
	global_load_b32 v6, v[4:5], off
	s_mov_b32 s27, 0
	s_branch .LBB31_591
.LBB31_589:
	s_mov_b32 s27, -1
                                        ; implicit-def: $vgpr6
	s_branch .LBB31_594
.LBB31_590:
	s_mov_b32 s27, -1
                                        ; implicit-def: $vgpr6
.LBB31_591:
	s_delay_alu instid0(SALU_CYCLE_1)
	s_and_not1_b32 vcc_lo, exec_lo, s27
	s_cbranch_vccnz .LBB31_593
; %bb.592:
	s_wait_loadcnt 0x0
	global_load_u16 v6, v[4:5], off
.LBB31_593:
	s_mov_b32 s27, 0
.LBB31_594:
	s_delay_alu instid0(SALU_CYCLE_1)
	s_and_not1_b32 vcc_lo, exec_lo, s27
	s_cbranch_vccnz .LBB31_600
; %bb.595:
	global_load_u8 v1, v[4:5], off
	s_mov_b32 s28, 0
	s_mov_b32 s27, exec_lo
	s_wait_loadcnt 0x0
	v_cmpx_lt_i16_e32 0x7f, v1
	s_xor_b32 s27, exec_lo, s27
	s_cbranch_execz .LBB31_612
; %bb.596:
	v_cmp_ne_u16_e32 vcc_lo, 0x80, v1
	s_and_b32 s28, vcc_lo, exec_lo
	s_and_not1_saveexec_b32 s27, s27
	s_cbranch_execnz .LBB31_613
.LBB31_597:
	s_or_b32 exec_lo, exec_lo, s27
	v_mov_b32_e32 v6, 0
	s_and_saveexec_b32 s27, s28
	s_cbranch_execz .LBB31_599
.LBB31_598:
	v_and_b32_e32 v3, 0xffff, v1
	s_delay_alu instid0(VALU_DEP_1) | instskip(SKIP_1) | instid1(VALU_DEP_2)
	v_dual_lshlrev_b32 v1, 24, v1 :: v_dual_bitop2_b32 v6, 7, v3 bitop3:0x40
	v_bfe_u32 v9, v3, 3, 4
	v_and_b32_e32 v1, 0x80000000, v1
	s_delay_alu instid0(VALU_DEP_3) | instskip(NEXT) | instid1(VALU_DEP_3)
	v_clz_i32_u32_e32 v7, v6
	v_cmp_eq_u32_e32 vcc_lo, 0, v9
	s_delay_alu instid0(VALU_DEP_2) | instskip(NEXT) | instid1(VALU_DEP_1)
	v_min_u32_e32 v7, 32, v7
	v_subrev_nc_u32_e32 v8, 28, v7
	v_sub_nc_u32_e32 v7, 29, v7
	s_delay_alu instid0(VALU_DEP_2) | instskip(NEXT) | instid1(VALU_DEP_2)
	v_lshlrev_b32_e32 v3, v8, v3
	v_cndmask_b32_e32 v7, v9, v7, vcc_lo
	s_delay_alu instid0(VALU_DEP_2) | instskip(NEXT) | instid1(VALU_DEP_1)
	v_and_b32_e32 v3, 7, v3
	v_cndmask_b32_e32 v3, v6, v3, vcc_lo
	s_delay_alu instid0(VALU_DEP_3) | instskip(NEXT) | instid1(VALU_DEP_2)
	v_lshl_add_u32 v6, v7, 23, 0x3b800000
	v_lshlrev_b32_e32 v3, 20, v3
	s_delay_alu instid0(VALU_DEP_1) | instskip(NEXT) | instid1(VALU_DEP_1)
	v_or3_b32 v1, v1, v6, v3
	v_cvt_i32_f32_e32 v6, v1
.LBB31_599:
	s_or_b32 exec_lo, exec_lo, s27
.LBB31_600:
	s_mov_b32 s27, -1
.LBB31_601:
	s_mov_b32 s28, 0
.LBB31_602:
	s_delay_alu instid0(SALU_CYCLE_1)
	s_and_b32 vcc_lo, exec_lo, s28
	s_cbranch_vccz .LBB31_635
; %bb.603:
	s_cmp_gt_i32 s0, 22
	s_cbranch_scc0 .LBB31_611
; %bb.604:
	s_cmp_lt_i32 s0, 24
	s_cbranch_scc1 .LBB31_614
; %bb.605:
	s_cmp_gt_i32 s0, 24
	s_cbranch_scc0 .LBB31_615
; %bb.606:
	global_load_u8 v1, v[4:5], off
	s_mov_b32 s28, 0
	s_mov_b32 s27, exec_lo
	s_wait_loadcnt 0x0
	v_cmpx_lt_i16_e32 0x7f, v1
	s_xor_b32 s27, exec_lo, s27
	s_cbranch_execz .LBB31_627
; %bb.607:
	v_cmp_ne_u16_e32 vcc_lo, 0x80, v1
	s_and_b32 s28, vcc_lo, exec_lo
	s_and_not1_saveexec_b32 s27, s27
	s_cbranch_execnz .LBB31_628
.LBB31_608:
	s_or_b32 exec_lo, exec_lo, s27
	v_mov_b32_e32 v6, 0
	s_and_saveexec_b32 s27, s28
	s_cbranch_execz .LBB31_610
.LBB31_609:
	v_and_b32_e32 v3, 0xffff, v1
	s_delay_alu instid0(VALU_DEP_1) | instskip(SKIP_1) | instid1(VALU_DEP_2)
	v_dual_lshlrev_b32 v1, 24, v1 :: v_dual_bitop2_b32 v6, 3, v3 bitop3:0x40
	v_bfe_u32 v9, v3, 2, 5
	v_and_b32_e32 v1, 0x80000000, v1
	s_delay_alu instid0(VALU_DEP_3) | instskip(NEXT) | instid1(VALU_DEP_3)
	v_clz_i32_u32_e32 v7, v6
	v_cmp_eq_u32_e32 vcc_lo, 0, v9
	s_delay_alu instid0(VALU_DEP_2) | instskip(NEXT) | instid1(VALU_DEP_1)
	v_min_u32_e32 v7, 32, v7
	v_subrev_nc_u32_e32 v8, 29, v7
	v_sub_nc_u32_e32 v7, 30, v7
	s_delay_alu instid0(VALU_DEP_2) | instskip(NEXT) | instid1(VALU_DEP_2)
	v_lshlrev_b32_e32 v3, v8, v3
	v_cndmask_b32_e32 v7, v9, v7, vcc_lo
	s_delay_alu instid0(VALU_DEP_2) | instskip(NEXT) | instid1(VALU_DEP_1)
	v_and_b32_e32 v3, 3, v3
	v_cndmask_b32_e32 v3, v6, v3, vcc_lo
	s_delay_alu instid0(VALU_DEP_3) | instskip(NEXT) | instid1(VALU_DEP_2)
	v_lshl_add_u32 v6, v7, 23, 0x37800000
	v_lshlrev_b32_e32 v3, 21, v3
	s_delay_alu instid0(VALU_DEP_1) | instskip(NEXT) | instid1(VALU_DEP_1)
	v_or3_b32 v1, v1, v6, v3
	v_cvt_i32_f32_e32 v6, v1
.LBB31_610:
	s_or_b32 exec_lo, exec_lo, s27
	s_mov_b32 s27, 0
	s_branch .LBB31_616
.LBB31_611:
	s_mov_b32 s28, -1
                                        ; implicit-def: $vgpr6
	s_branch .LBB31_622
.LBB31_612:
	s_and_not1_saveexec_b32 s27, s27
	s_cbranch_execz .LBB31_597
.LBB31_613:
	v_cmp_ne_u16_e32 vcc_lo, 0, v1
	s_and_not1_b32 s28, s28, exec_lo
	s_and_b32 s29, vcc_lo, exec_lo
	s_delay_alu instid0(SALU_CYCLE_1)
	s_or_b32 s28, s28, s29
	s_or_b32 exec_lo, exec_lo, s27
	v_mov_b32_e32 v6, 0
	s_and_saveexec_b32 s27, s28
	s_cbranch_execnz .LBB31_598
	s_branch .LBB31_599
.LBB31_614:
	s_mov_b32 s27, -1
                                        ; implicit-def: $vgpr6
	s_branch .LBB31_619
.LBB31_615:
	s_mov_b32 s27, -1
                                        ; implicit-def: $vgpr6
.LBB31_616:
	s_delay_alu instid0(SALU_CYCLE_1)
	s_and_b32 vcc_lo, exec_lo, s27
	s_cbranch_vccz .LBB31_618
; %bb.617:
	global_load_u8 v1, v[4:5], off
	s_wait_loadcnt 0x0
	v_lshlrev_b32_e32 v1, 24, v1
	s_delay_alu instid0(VALU_DEP_1) | instskip(NEXT) | instid1(VALU_DEP_1)
	v_and_b32_e32 v3, 0x7f000000, v1
	v_clz_i32_u32_e32 v6, v3
	v_cmp_ne_u32_e32 vcc_lo, 0, v3
	v_add_nc_u32_e32 v8, 0x1000000, v3
	s_delay_alu instid0(VALU_DEP_3) | instskip(NEXT) | instid1(VALU_DEP_1)
	v_min_u32_e32 v6, 32, v6
	v_sub_nc_u32_e64 v6, v6, 4 clamp
	s_delay_alu instid0(VALU_DEP_1) | instskip(NEXT) | instid1(VALU_DEP_1)
	v_dual_lshlrev_b32 v7, v6, v3 :: v_dual_lshlrev_b32 v6, 23, v6
	v_lshrrev_b32_e32 v7, 4, v7
	s_delay_alu instid0(VALU_DEP_1) | instskip(NEXT) | instid1(VALU_DEP_1)
	v_dual_sub_nc_u32 v6, v7, v6 :: v_dual_ashrrev_i32 v7, 8, v8
	v_add_nc_u32_e32 v6, 0x3c000000, v6
	s_delay_alu instid0(VALU_DEP_1) | instskip(NEXT) | instid1(VALU_DEP_1)
	v_and_or_b32 v6, 0x7f800000, v7, v6
	v_cndmask_b32_e32 v3, 0, v6, vcc_lo
	s_delay_alu instid0(VALU_DEP_1) | instskip(NEXT) | instid1(VALU_DEP_1)
	v_and_or_b32 v1, 0x80000000, v1, v3
	v_cvt_i32_f32_e32 v6, v1
.LBB31_618:
	s_mov_b32 s27, 0
.LBB31_619:
	s_delay_alu instid0(SALU_CYCLE_1)
	s_and_not1_b32 vcc_lo, exec_lo, s27
	s_cbranch_vccnz .LBB31_621
; %bb.620:
	global_load_u8 v1, v[4:5], off
	s_wait_loadcnt 0x0
	v_lshlrev_b32_e32 v3, 25, v1
	v_lshlrev_b16 v1, 8, v1
	s_delay_alu instid0(VALU_DEP_1) | instskip(SKIP_1) | instid1(VALU_DEP_2)
	v_and_or_b32 v7, 0x7f00, v1, 0.5
	v_bfe_i32 v1, v1, 0, 16
	v_add_f32_e32 v7, -0.5, v7
	v_lshrrev_b32_e32 v6, 4, v3
	v_cmp_gt_u32_e32 vcc_lo, 0x8000000, v3
	s_delay_alu instid0(VALU_DEP_2) | instskip(NEXT) | instid1(VALU_DEP_1)
	v_or_b32_e32 v6, 0x70000000, v6
	v_mul_f32_e32 v6, 0x7800000, v6
	s_delay_alu instid0(VALU_DEP_1) | instskip(NEXT) | instid1(VALU_DEP_1)
	v_cndmask_b32_e32 v3, v6, v7, vcc_lo
	v_and_or_b32 v1, 0x80000000, v1, v3
	s_delay_alu instid0(VALU_DEP_1)
	v_cvt_i32_f32_e32 v6, v1
.LBB31_621:
	s_mov_b32 s28, 0
	s_mov_b32 s27, -1
.LBB31_622:
	s_and_not1_b32 vcc_lo, exec_lo, s28
	s_cbranch_vccnz .LBB31_635
; %bb.623:
	s_cmp_gt_i32 s0, 14
	s_cbranch_scc0 .LBB31_626
; %bb.624:
	s_cmp_eq_u32 s0, 15
	s_cbranch_scc0 .LBB31_629
; %bb.625:
	global_load_u16 v1, v[4:5], off
	s_mov_b32 s27, -1
	s_mov_b32 s26, 0
	s_wait_loadcnt 0x0
	v_lshlrev_b32_e32 v1, 16, v1
	s_delay_alu instid0(VALU_DEP_1)
	v_cvt_i32_f32_e32 v6, v1
	s_branch .LBB31_630
.LBB31_626:
	s_mov_b32 s28, -1
                                        ; implicit-def: $vgpr6
	s_branch .LBB31_631
.LBB31_627:
	s_and_not1_saveexec_b32 s27, s27
	s_cbranch_execz .LBB31_608
.LBB31_628:
	v_cmp_ne_u16_e32 vcc_lo, 0, v1
	s_and_not1_b32 s28, s28, exec_lo
	s_and_b32 s29, vcc_lo, exec_lo
	s_delay_alu instid0(SALU_CYCLE_1)
	s_or_b32 s28, s28, s29
	s_or_b32 exec_lo, exec_lo, s27
	v_mov_b32_e32 v6, 0
	s_and_saveexec_b32 s27, s28
	s_cbranch_execnz .LBB31_609
	s_branch .LBB31_610
.LBB31_629:
	s_mov_b32 s26, -1
                                        ; implicit-def: $vgpr6
.LBB31_630:
	s_mov_b32 s28, 0
.LBB31_631:
	s_delay_alu instid0(SALU_CYCLE_1)
	s_and_b32 vcc_lo, exec_lo, s28
	s_cbranch_vccz .LBB31_635
; %bb.632:
	s_cmp_eq_u32 s0, 11
	s_cbranch_scc0 .LBB31_634
; %bb.633:
	global_load_u8 v1, v[4:5], off
	s_mov_b32 s26, 0
	s_mov_b32 s27, -1
	s_wait_loadcnt 0x0
	v_cmp_ne_u16_e32 vcc_lo, 0, v1
	v_cndmask_b32_e64 v6, 0, 1, vcc_lo
	s_branch .LBB31_635
.LBB31_634:
	s_mov_b32 s26, -1
                                        ; implicit-def: $vgpr6
.LBB31_635:
	s_mov_b32 s28, 0
.LBB31_636:
	s_delay_alu instid0(SALU_CYCLE_1)
	s_and_b32 vcc_lo, exec_lo, s28
	s_cbranch_vccz .LBB31_685
; %bb.637:
	s_cmp_lt_i32 s0, 5
	s_cbranch_scc1 .LBB31_642
; %bb.638:
	s_cmp_lt_i32 s0, 8
	s_cbranch_scc1 .LBB31_643
	;; [unrolled: 3-line block ×3, first 2 shown]
; %bb.640:
	s_cmp_gt_i32 s0, 9
	s_cbranch_scc0 .LBB31_645
; %bb.641:
	s_wait_loadcnt 0x0
	global_load_b64 v[6:7], v[4:5], off
	s_mov_b32 s27, 0
	s_wait_loadcnt 0x0
	v_cvt_i32_f64_e32 v6, v[6:7]
	s_branch .LBB31_646
.LBB31_642:
	s_mov_b32 s27, -1
                                        ; implicit-def: $vgpr6
	s_branch .LBB31_664
.LBB31_643:
	s_mov_b32 s27, -1
                                        ; implicit-def: $vgpr6
	s_branch .LBB31_652
.LBB31_644:
	s_mov_b32 s27, -1
                                        ; implicit-def: $vgpr6
	s_branch .LBB31_649
.LBB31_645:
	s_mov_b32 s27, -1
                                        ; implicit-def: $vgpr6
.LBB31_646:
	s_delay_alu instid0(SALU_CYCLE_1)
	s_and_not1_b32 vcc_lo, exec_lo, s27
	s_cbranch_vccnz .LBB31_648
; %bb.647:
	global_load_b32 v1, v[4:5], off
	s_wait_loadcnt 0x0
	v_cvt_i32_f32_e32 v6, v1
.LBB31_648:
	s_mov_b32 s27, 0
.LBB31_649:
	s_delay_alu instid0(SALU_CYCLE_1)
	s_and_not1_b32 vcc_lo, exec_lo, s27
	s_cbranch_vccnz .LBB31_651
; %bb.650:
	global_load_b32 v1, v[4:5], off
	s_wait_loadcnt 0x0
	v_cvt_i16_f16_e32 v6, v1
.LBB31_651:
	s_mov_b32 s27, 0
.LBB31_652:
	s_delay_alu instid0(SALU_CYCLE_1)
	s_and_not1_b32 vcc_lo, exec_lo, s27
	s_cbranch_vccnz .LBB31_663
; %bb.653:
	s_cmp_lt_i32 s0, 6
	s_cbranch_scc1 .LBB31_656
; %bb.654:
	s_cmp_gt_i32 s0, 6
	s_cbranch_scc0 .LBB31_657
; %bb.655:
	s_wait_loadcnt 0x0
	global_load_b64 v[6:7], v[4:5], off
	s_mov_b32 s27, 0
	s_wait_loadcnt 0x0
	v_cvt_i32_f64_e32 v6, v[6:7]
	s_branch .LBB31_658
.LBB31_656:
	s_mov_b32 s27, -1
                                        ; implicit-def: $vgpr6
	s_branch .LBB31_661
.LBB31_657:
	s_mov_b32 s27, -1
                                        ; implicit-def: $vgpr6
.LBB31_658:
	s_delay_alu instid0(SALU_CYCLE_1)
	s_and_not1_b32 vcc_lo, exec_lo, s27
	s_cbranch_vccnz .LBB31_660
; %bb.659:
	global_load_b32 v1, v[4:5], off
	s_wait_loadcnt 0x0
	v_cvt_i32_f32_e32 v6, v1
.LBB31_660:
	s_mov_b32 s27, 0
.LBB31_661:
	s_delay_alu instid0(SALU_CYCLE_1)
	s_and_not1_b32 vcc_lo, exec_lo, s27
	s_cbranch_vccnz .LBB31_663
; %bb.662:
	global_load_u16 v1, v[4:5], off
	s_wait_loadcnt 0x0
	v_cvt_i16_f16_e32 v6, v1
.LBB31_663:
	s_mov_b32 s27, 0
.LBB31_664:
	s_delay_alu instid0(SALU_CYCLE_1)
	s_and_not1_b32 vcc_lo, exec_lo, s27
	s_cbranch_vccnz .LBB31_684
; %bb.665:
	s_cmp_lt_i32 s0, 2
	s_cbranch_scc1 .LBB31_669
; %bb.666:
	s_cmp_lt_i32 s0, 3
	s_cbranch_scc1 .LBB31_670
; %bb.667:
	s_cmp_gt_i32 s0, 3
	s_cbranch_scc0 .LBB31_671
; %bb.668:
	s_wait_loadcnt 0x0
	global_load_b64 v[6:7], v[4:5], off
	s_mov_b32 s27, 0
	s_branch .LBB31_672
.LBB31_669:
	s_mov_b32 s27, -1
                                        ; implicit-def: $vgpr6
	s_branch .LBB31_678
.LBB31_670:
	s_mov_b32 s27, -1
                                        ; implicit-def: $vgpr6
	s_branch .LBB31_675
.LBB31_671:
	s_mov_b32 s27, -1
                                        ; implicit-def: $vgpr6
.LBB31_672:
	s_delay_alu instid0(SALU_CYCLE_1)
	s_and_not1_b32 vcc_lo, exec_lo, s27
	s_cbranch_vccnz .LBB31_674
; %bb.673:
	s_wait_loadcnt 0x0
	global_load_b32 v6, v[4:5], off
.LBB31_674:
	s_mov_b32 s27, 0
.LBB31_675:
	s_delay_alu instid0(SALU_CYCLE_1)
	s_and_not1_b32 vcc_lo, exec_lo, s27
	s_cbranch_vccnz .LBB31_677
; %bb.676:
	s_wait_loadcnt 0x0
	global_load_u16 v6, v[4:5], off
.LBB31_677:
	s_mov_b32 s27, 0
.LBB31_678:
	s_delay_alu instid0(SALU_CYCLE_1)
	s_and_not1_b32 vcc_lo, exec_lo, s27
	s_cbranch_vccnz .LBB31_684
; %bb.679:
	s_cmp_gt_i32 s0, 0
	s_mov_b32 s0, 0
	s_cbranch_scc0 .LBB31_681
; %bb.680:
	s_wait_loadcnt 0x0
	global_load_u8 v6, v[4:5], off
	s_branch .LBB31_682
.LBB31_681:
	s_mov_b32 s0, -1
                                        ; implicit-def: $vgpr6
.LBB31_682:
	s_delay_alu instid0(SALU_CYCLE_1)
	s_and_not1_b32 vcc_lo, exec_lo, s0
	s_cbranch_vccnz .LBB31_684
; %bb.683:
	s_wait_loadcnt 0x0
	global_load_u8 v6, v[4:5], off
.LBB31_684:
	s_mov_b32 s27, -1
.LBB31_685:
	s_delay_alu instid0(SALU_CYCLE_1)
	s_and_not1_b32 vcc_lo, exec_lo, s27
	s_cbranch_vccnz .LBB31_693
; %bb.686:
	s_wait_loadcnt 0x0
	s_delay_alu instid0(VALU_DEP_1) | instskip(SKIP_3) | instid1(VALU_DEP_2)
	v_and_b32_e32 v1, 0xff, v6
	v_mov_b32_e32 v3, 0
	s_and_b32 s0, s1, 0xff
	s_and_b32 s28, s2, 0xff
	v_cmp_ne_u16_e32 vcc_lo, s0, v1
	s_delay_alu instid0(VALU_DEP_2)
	v_add_nc_u64_e32 v[2:3], s[4:5], v[2:3]
	s_xor_b32 s27, s9, vcc_lo
	s_cmp_lt_i32 s28, 11
	s_cbranch_scc1 .LBB31_694
; %bb.687:
	s_and_b32 s29, 0xffff, s28
	s_delay_alu instid0(SALU_CYCLE_1)
	s_cmp_gt_i32 s29, 25
	s_cbranch_scc0 .LBB31_695
; %bb.688:
	s_cmp_gt_i32 s29, 28
	s_cbranch_scc0 .LBB31_696
; %bb.689:
	;; [unrolled: 3-line block ×4, first 2 shown]
	s_mov_b32 s31, 0
	s_mov_b32 s0, -1
	s_cmp_eq_u32 s29, 46
	s_mov_b32 s30, 0
	s_cbranch_scc0 .LBB31_699
; %bb.692:
	v_cndmask_b32_e64 v1, 0, 1.0, s27
	s_mov_b32 s30, -1
	s_mov_b32 s0, 0
	s_wait_xcnt 0x0
	s_delay_alu instid0(VALU_DEP_1) | instskip(NEXT) | instid1(VALU_DEP_1)
	v_bfe_u32 v4, v1, 16, 1
	v_add3_u32 v1, v1, v4, 0x7fff
	s_delay_alu instid0(VALU_DEP_1)
	v_lshrrev_b32_e32 v1, 16, v1
	global_store_b32 v[2:3], v1, off
	s_branch .LBB31_699
.LBB31_693:
	s_mov_b32 s27, 0
	s_mov_b32 s0, s45
	s_branch .LBB31_810
.LBB31_694:
	s_mov_b32 s29, -1
	s_mov_b32 s30, 0
	s_mov_b32 s0, s45
	s_branch .LBB31_768
.LBB31_695:
	s_mov_b32 s31, -1
	s_mov_b32 s30, 0
	s_mov_b32 s0, s45
	s_branch .LBB31_726
.LBB31_696:
	s_mov_b32 s31, -1
	s_mov_b32 s30, 0
	s_mov_b32 s0, s45
	s_branch .LBB31_709
.LBB31_697:
	s_mov_b32 s31, -1
	s_mov_b32 s30, 0
	s_mov_b32 s0, s45
	s_branch .LBB31_705
.LBB31_698:
	s_mov_b32 s31, -1
	s_mov_b32 s30, 0
	s_mov_b32 s0, s45
.LBB31_699:
	s_and_b32 vcc_lo, exec_lo, s31
	s_cbranch_vccz .LBB31_704
; %bb.700:
	s_cmp_eq_u32 s29, 44
	s_mov_b32 s0, -1
	s_cbranch_scc0 .LBB31_704
; %bb.701:
	s_wait_xcnt 0x0
	v_cndmask_b32_e64 v5, 0, 1.0, s27
	s_mov_b32 s30, exec_lo
	s_delay_alu instid0(VALU_DEP_1) | instskip(NEXT) | instid1(VALU_DEP_1)
	v_dual_mov_b32 v4, 0xff :: v_dual_lshrrev_b32 v1, 23, v5
	v_cmpx_ne_u32_e32 0xff, v1
; %bb.702:
	v_and_b32_e32 v4, 0x400000, v5
	v_and_or_b32 v5, 0x3fffff, v5, v1
	s_delay_alu instid0(VALU_DEP_2) | instskip(NEXT) | instid1(VALU_DEP_2)
	v_cmp_ne_u32_e32 vcc_lo, 0, v4
	v_cmp_ne_u32_e64 s0, 0, v5
	s_and_b32 s0, vcc_lo, s0
	s_delay_alu instid0(SALU_CYCLE_1) | instskip(NEXT) | instid1(VALU_DEP_1)
	v_cndmask_b32_e64 v4, 0, 1, s0
	v_add_nc_u32_e32 v4, v1, v4
; %bb.703:
	s_or_b32 exec_lo, exec_lo, s30
	s_mov_b32 s30, -1
	s_mov_b32 s0, 0
	global_store_b8 v[2:3], v4, off
.LBB31_704:
	s_mov_b32 s31, 0
.LBB31_705:
	s_delay_alu instid0(SALU_CYCLE_1)
	s_and_b32 vcc_lo, exec_lo, s31
	s_cbranch_vccz .LBB31_708
; %bb.706:
	s_cmp_eq_u32 s29, 29
	s_mov_b32 s0, -1
	s_cbranch_scc0 .LBB31_708
; %bb.707:
	s_mov_b32 s0, 0
	s_wait_xcnt 0x0
	v_cndmask_b32_e64 v4, 0, 1, s27
	v_mov_b32_e32 v5, s0
	s_mov_b32 s30, -1
	s_mov_b32 s31, 0
	global_store_b64 v[2:3], v[4:5], off
	s_branch .LBB31_709
.LBB31_708:
	s_mov_b32 s31, 0
.LBB31_709:
	s_delay_alu instid0(SALU_CYCLE_1)
	s_and_b32 vcc_lo, exec_lo, s31
	s_cbranch_vccz .LBB31_725
; %bb.710:
	s_cmp_lt_i32 s29, 27
	s_mov_b32 s30, -1
	s_cbranch_scc1 .LBB31_716
; %bb.711:
	s_cmp_gt_i32 s29, 27
	s_cbranch_scc0 .LBB31_713
; %bb.712:
	s_wait_xcnt 0x0
	v_cndmask_b32_e64 v1, 0, 1, s27
	s_mov_b32 s30, 0
	global_store_b32 v[2:3], v1, off
.LBB31_713:
	s_and_not1_b32 vcc_lo, exec_lo, s30
	s_cbranch_vccnz .LBB31_715
; %bb.714:
	s_wait_xcnt 0x0
	v_cndmask_b32_e64 v1, 0, 1, s27
	global_store_b16 v[2:3], v1, off
.LBB31_715:
	s_mov_b32 s30, 0
.LBB31_716:
	s_delay_alu instid0(SALU_CYCLE_1)
	s_and_not1_b32 vcc_lo, exec_lo, s30
	s_cbranch_vccnz .LBB31_724
; %bb.717:
	s_wait_xcnt 0x0
	v_cndmask_b32_e64 v4, 0, 1.0, s27
	v_mov_b32_e32 v5, 0x80
	s_mov_b32 s30, exec_lo
	s_delay_alu instid0(VALU_DEP_2)
	v_cmpx_gt_u32_e32 0x43800000, v4
	s_cbranch_execz .LBB31_723
; %bb.718:
	s_mov_b32 s31, 0
	s_mov_b32 s48, exec_lo
                                        ; implicit-def: $vgpr1
	v_cmpx_lt_u32_e32 0x3bffffff, v4
	s_xor_b32 s48, exec_lo, s48
	s_cbranch_execz .LBB31_842
; %bb.719:
	v_bfe_u32 v1, v4, 20, 1
	s_mov_b32 s31, exec_lo
	s_delay_alu instid0(VALU_DEP_1) | instskip(NEXT) | instid1(VALU_DEP_1)
	v_add3_u32 v1, v4, v1, 0x487ffff
                                        ; implicit-def: $vgpr4
	v_lshrrev_b32_e32 v1, 20, v1
	s_and_not1_saveexec_b32 s48, s48
	s_cbranch_execnz .LBB31_843
.LBB31_720:
	s_or_b32 exec_lo, exec_lo, s48
	v_mov_b32_e32 v5, 0
	s_and_saveexec_b32 s48, s31
.LBB31_721:
	v_mov_b32_e32 v5, v1
.LBB31_722:
	s_or_b32 exec_lo, exec_lo, s48
.LBB31_723:
	s_delay_alu instid0(SALU_CYCLE_1)
	s_or_b32 exec_lo, exec_lo, s30
	global_store_b8 v[2:3], v5, off
.LBB31_724:
	s_mov_b32 s30, -1
.LBB31_725:
	s_mov_b32 s31, 0
.LBB31_726:
	s_delay_alu instid0(SALU_CYCLE_1)
	s_and_b32 vcc_lo, exec_lo, s31
	s_cbranch_vccz .LBB31_767
; %bb.727:
	s_cmp_gt_i32 s29, 22
	s_mov_b32 s31, -1
	s_cbranch_scc0 .LBB31_759
; %bb.728:
	s_cmp_lt_i32 s29, 24
	s_mov_b32 s30, -1
	s_cbranch_scc1 .LBB31_748
; %bb.729:
	s_cmp_gt_i32 s29, 24
	s_cbranch_scc0 .LBB31_737
; %bb.730:
	s_wait_xcnt 0x0
	v_cndmask_b32_e64 v4, 0, 1.0, s27
	v_mov_b32_e32 v5, 0x80
	s_mov_b32 s30, exec_lo
	s_delay_alu instid0(VALU_DEP_2)
	v_cmpx_gt_u32_e32 0x47800000, v4
	s_cbranch_execz .LBB31_736
; %bb.731:
	s_mov_b32 s31, 0
	s_mov_b32 s48, exec_lo
                                        ; implicit-def: $vgpr1
	v_cmpx_lt_u32_e32 0x37ffffff, v4
	s_xor_b32 s48, exec_lo, s48
	s_cbranch_execz .LBB31_845
; %bb.732:
	v_bfe_u32 v1, v4, 21, 1
	s_mov_b32 s31, exec_lo
	s_delay_alu instid0(VALU_DEP_1) | instskip(NEXT) | instid1(VALU_DEP_1)
	v_add3_u32 v1, v4, v1, 0x88fffff
                                        ; implicit-def: $vgpr4
	v_lshrrev_b32_e32 v1, 21, v1
	s_and_not1_saveexec_b32 s48, s48
	s_cbranch_execnz .LBB31_846
.LBB31_733:
	s_or_b32 exec_lo, exec_lo, s48
	v_mov_b32_e32 v5, 0
	s_and_saveexec_b32 s48, s31
.LBB31_734:
	v_mov_b32_e32 v5, v1
.LBB31_735:
	s_or_b32 exec_lo, exec_lo, s48
.LBB31_736:
	s_delay_alu instid0(SALU_CYCLE_1)
	s_or_b32 exec_lo, exec_lo, s30
	s_mov_b32 s30, 0
	global_store_b8 v[2:3], v5, off
.LBB31_737:
	s_and_b32 vcc_lo, exec_lo, s30
	s_cbranch_vccz .LBB31_747
; %bb.738:
	s_wait_xcnt 0x0
	v_cndmask_b32_e64 v4, 0, 1.0, s27
	s_mov_b32 s30, exec_lo
                                        ; implicit-def: $vgpr1
	s_delay_alu instid0(VALU_DEP_1)
	v_cmpx_gt_u32_e32 0x43f00000, v4
	s_xor_b32 s30, exec_lo, s30
	s_cbranch_execz .LBB31_744
; %bb.739:
	s_mov_b32 s31, exec_lo
                                        ; implicit-def: $vgpr1
	v_cmpx_lt_u32_e32 0x3c7fffff, v4
	s_xor_b32 s31, exec_lo, s31
; %bb.740:
	v_bfe_u32 v1, v4, 20, 1
	s_delay_alu instid0(VALU_DEP_1) | instskip(NEXT) | instid1(VALU_DEP_1)
	v_add3_u32 v1, v4, v1, 0x407ffff
	v_and_b32_e32 v4, 0xff00000, v1
	v_lshrrev_b32_e32 v1, 20, v1
	s_delay_alu instid0(VALU_DEP_2) | instskip(NEXT) | instid1(VALU_DEP_2)
	v_cmp_ne_u32_e32 vcc_lo, 0x7f00000, v4
                                        ; implicit-def: $vgpr4
	v_cndmask_b32_e32 v1, 0x7e, v1, vcc_lo
; %bb.741:
	s_and_not1_saveexec_b32 s31, s31
; %bb.742:
	v_add_f32_e32 v1, 0x46800000, v4
; %bb.743:
	s_or_b32 exec_lo, exec_lo, s31
                                        ; implicit-def: $vgpr4
.LBB31_744:
	s_and_not1_saveexec_b32 s30, s30
; %bb.745:
	v_mov_b32_e32 v1, 0x7f
	v_cmp_lt_u32_e32 vcc_lo, 0x7f800000, v4
	s_delay_alu instid0(VALU_DEP_2)
	v_cndmask_b32_e32 v1, 0x7e, v1, vcc_lo
; %bb.746:
	s_or_b32 exec_lo, exec_lo, s30
	global_store_b8 v[2:3], v1, off
.LBB31_747:
	s_mov_b32 s30, 0
.LBB31_748:
	s_delay_alu instid0(SALU_CYCLE_1)
	s_and_not1_b32 vcc_lo, exec_lo, s30
	s_cbranch_vccnz .LBB31_758
; %bb.749:
	s_wait_xcnt 0x0
	v_cndmask_b32_e64 v4, 0, 1.0, s27
	s_mov_b32 s30, exec_lo
                                        ; implicit-def: $vgpr1
	s_delay_alu instid0(VALU_DEP_1)
	v_cmpx_gt_u32_e32 0x47800000, v4
	s_xor_b32 s30, exec_lo, s30
	s_cbranch_execz .LBB31_755
; %bb.750:
	s_mov_b32 s31, exec_lo
                                        ; implicit-def: $vgpr1
	v_cmpx_lt_u32_e32 0x387fffff, v4
	s_xor_b32 s31, exec_lo, s31
; %bb.751:
	v_bfe_u32 v1, v4, 21, 1
	s_delay_alu instid0(VALU_DEP_1) | instskip(NEXT) | instid1(VALU_DEP_1)
	v_add3_u32 v1, v4, v1, 0x80fffff
                                        ; implicit-def: $vgpr4
	v_lshrrev_b32_e32 v1, 21, v1
; %bb.752:
	s_and_not1_saveexec_b32 s31, s31
; %bb.753:
	v_add_f32_e32 v1, 0x43000000, v4
; %bb.754:
	s_or_b32 exec_lo, exec_lo, s31
                                        ; implicit-def: $vgpr4
.LBB31_755:
	s_and_not1_saveexec_b32 s30, s30
; %bb.756:
	v_mov_b32_e32 v1, 0x7f
	v_cmp_lt_u32_e32 vcc_lo, 0x7f800000, v4
	s_delay_alu instid0(VALU_DEP_2)
	v_cndmask_b32_e32 v1, 0x7c, v1, vcc_lo
; %bb.757:
	s_or_b32 exec_lo, exec_lo, s30
	global_store_b8 v[2:3], v1, off
.LBB31_758:
	s_mov_b32 s31, 0
	s_mov_b32 s30, -1
.LBB31_759:
	s_and_not1_b32 vcc_lo, exec_lo, s31
	s_cbranch_vccnz .LBB31_767
; %bb.760:
	s_cmp_gt_i32 s29, 14
	s_mov_b32 s31, -1
	s_cbranch_scc0 .LBB31_764
; %bb.761:
	s_cmp_eq_u32 s29, 15
	s_mov_b32 s0, -1
	s_cbranch_scc0 .LBB31_763
; %bb.762:
	s_wait_xcnt 0x0
	v_cndmask_b32_e64 v1, 0, 1.0, s27
	s_mov_b32 s30, -1
	s_mov_b32 s0, 0
	s_delay_alu instid0(VALU_DEP_1) | instskip(NEXT) | instid1(VALU_DEP_1)
	v_bfe_u32 v4, v1, 16, 1
	v_add3_u32 v1, v1, v4, 0x7fff
	global_store_d16_hi_b16 v[2:3], v1, off
.LBB31_763:
	s_mov_b32 s31, 0
.LBB31_764:
	s_delay_alu instid0(SALU_CYCLE_1)
	s_and_b32 vcc_lo, exec_lo, s31
	s_cbranch_vccz .LBB31_767
; %bb.765:
	s_cmp_eq_u32 s29, 11
	s_mov_b32 s0, -1
	s_cbranch_scc0 .LBB31_767
; %bb.766:
	s_wait_xcnt 0x0
	v_cndmask_b32_e64 v1, 0, 1, s27
	s_mov_b32 s30, -1
	s_mov_b32 s0, 0
	global_store_b8 v[2:3], v1, off
.LBB31_767:
	s_mov_b32 s29, 0
.LBB31_768:
	s_delay_alu instid0(SALU_CYCLE_1)
	s_and_b32 vcc_lo, exec_lo, s29
	s_cbranch_vccz .LBB31_807
; %bb.769:
	s_and_b32 s28, 0xffff, s28
	s_mov_b32 s29, -1
	s_cmp_lt_i32 s28, 5
	s_cbranch_scc1 .LBB31_790
; %bb.770:
	s_cmp_lt_i32 s28, 8
	s_cbranch_scc1 .LBB31_780
; %bb.771:
	;; [unrolled: 3-line block ×3, first 2 shown]
	s_cmp_gt_i32 s28, 9
	s_cbranch_scc0 .LBB31_774
; %bb.773:
	s_wait_xcnt 0x0
	v_cndmask_b32_e64 v1, 0, 1, s27
	v_mov_b32_e32 v6, 0
	s_mov_b32 s29, 0
	s_delay_alu instid0(VALU_DEP_2) | instskip(NEXT) | instid1(VALU_DEP_2)
	v_cvt_f64_u32_e32 v[4:5], v1
	v_mov_b32_e32 v7, v6
	global_store_b128 v[2:3], v[4:7], off
.LBB31_774:
	s_and_not1_b32 vcc_lo, exec_lo, s29
	s_cbranch_vccnz .LBB31_776
; %bb.775:
	s_wait_xcnt 0x0
	v_cndmask_b32_e64 v4, 0, 1.0, s27
	v_mov_b32_e32 v5, 0
	global_store_b64 v[2:3], v[4:5], off
.LBB31_776:
	s_mov_b32 s29, 0
.LBB31_777:
	s_delay_alu instid0(SALU_CYCLE_1)
	s_and_not1_b32 vcc_lo, exec_lo, s29
	s_cbranch_vccnz .LBB31_779
; %bb.778:
	s_wait_xcnt 0x0
	v_cndmask_b32_e64 v1, 0, 1.0, s27
	s_delay_alu instid0(VALU_DEP_1) | instskip(NEXT) | instid1(VALU_DEP_1)
	v_cvt_f16_f32_e32 v1, v1
	v_and_b32_e32 v1, 0xffff, v1
	global_store_b32 v[2:3], v1, off
.LBB31_779:
	s_mov_b32 s29, 0
.LBB31_780:
	s_delay_alu instid0(SALU_CYCLE_1)
	s_and_not1_b32 vcc_lo, exec_lo, s29
	s_cbranch_vccnz .LBB31_789
; %bb.781:
	s_cmp_lt_i32 s28, 6
	s_mov_b32 s29, -1
	s_cbranch_scc1 .LBB31_787
; %bb.782:
	s_cmp_gt_i32 s28, 6
	s_cbranch_scc0 .LBB31_784
; %bb.783:
	s_wait_xcnt 0x0
	v_cndmask_b32_e64 v1, 0, 1, s27
	s_mov_b32 s29, 0
	s_delay_alu instid0(VALU_DEP_1)
	v_cvt_f64_u32_e32 v[4:5], v1
	global_store_b64 v[2:3], v[4:5], off
.LBB31_784:
	s_and_not1_b32 vcc_lo, exec_lo, s29
	s_cbranch_vccnz .LBB31_786
; %bb.785:
	s_wait_xcnt 0x0
	v_cndmask_b32_e64 v1, 0, 1.0, s27
	global_store_b32 v[2:3], v1, off
.LBB31_786:
	s_mov_b32 s29, 0
.LBB31_787:
	s_delay_alu instid0(SALU_CYCLE_1)
	s_and_not1_b32 vcc_lo, exec_lo, s29
	s_cbranch_vccnz .LBB31_789
; %bb.788:
	s_wait_xcnt 0x0
	v_cndmask_b32_e64 v1, 0, 1.0, s27
	s_delay_alu instid0(VALU_DEP_1)
	v_cvt_f16_f32_e32 v1, v1
	global_store_b16 v[2:3], v1, off
.LBB31_789:
	s_mov_b32 s29, 0
.LBB31_790:
	s_delay_alu instid0(SALU_CYCLE_1)
	s_and_not1_b32 vcc_lo, exec_lo, s29
	s_cbranch_vccnz .LBB31_806
; %bb.791:
	s_cmp_lt_i32 s28, 2
	s_mov_b32 s29, -1
	s_cbranch_scc1 .LBB31_801
; %bb.792:
	s_cmp_lt_i32 s28, 3
	s_cbranch_scc1 .LBB31_798
; %bb.793:
	s_cmp_gt_i32 s28, 3
	s_cbranch_scc0 .LBB31_795
; %bb.794:
	s_mov_b32 s29, 0
	s_wait_xcnt 0x0
	v_cndmask_b32_e64 v4, 0, 1, s27
	v_mov_b32_e32 v5, s29
	global_store_b64 v[2:3], v[4:5], off
.LBB31_795:
	s_and_not1_b32 vcc_lo, exec_lo, s29
	s_cbranch_vccnz .LBB31_797
; %bb.796:
	s_wait_xcnt 0x0
	v_cndmask_b32_e64 v1, 0, 1, s27
	global_store_b32 v[2:3], v1, off
.LBB31_797:
	s_mov_b32 s29, 0
.LBB31_798:
	s_delay_alu instid0(SALU_CYCLE_1)
	s_and_not1_b32 vcc_lo, exec_lo, s29
	s_cbranch_vccnz .LBB31_800
; %bb.799:
	s_wait_xcnt 0x0
	v_cndmask_b32_e64 v1, 0, 1, s27
	global_store_b16 v[2:3], v1, off
.LBB31_800:
	s_mov_b32 s29, 0
.LBB31_801:
	s_delay_alu instid0(SALU_CYCLE_1)
	s_and_not1_b32 vcc_lo, exec_lo, s29
	s_cbranch_vccnz .LBB31_806
; %bb.802:
	s_wait_xcnt 0x0
	v_cndmask_b32_e64 v1, 0, 1, s27
	s_cmp_gt_i32 s28, 0
	s_mov_b32 s27, -1
	s_cbranch_scc0 .LBB31_804
; %bb.803:
	s_mov_b32 s27, 0
	global_store_b8 v[2:3], v1, off
.LBB31_804:
	s_and_not1_b32 vcc_lo, exec_lo, s27
	s_cbranch_vccnz .LBB31_806
; %bb.805:
	global_store_b8 v[2:3], v1, off
.LBB31_806:
	s_mov_b32 s30, -1
.LBB31_807:
	s_delay_alu instid0(SALU_CYCLE_1)
	s_and_not1_b32 vcc_lo, exec_lo, s30
	s_cbranch_vccnz .LBB31_809
; %bb.808:
	v_add_nc_u32_e32 v0, 0x80, v0
	s_mov_b32 s27, -1
	s_branch .LBB31_811
.LBB31_809:
	s_mov_b32 s27, 0
.LBB31_810:
                                        ; implicit-def: $vgpr0
.LBB31_811:
	s_and_not1_b32 s28, s45, exec_lo
	s_and_b32 s0, s0, exec_lo
	s_and_not1_b32 s29, s44, exec_lo
	s_and_b32 s26, s26, exec_lo
	s_or_b32 s30, s28, s0
	s_or_b32 s0, s29, s26
	s_or_not1_b32 s29, s27, exec_lo
.LBB31_812:
	s_wait_xcnt 0x0
	s_or_b32 exec_lo, exec_lo, s47
	s_mov_b32 s26, 0
	s_mov_b32 s27, 0
	;; [unrolled: 1-line block ×3, first 2 shown]
                                        ; implicit-def: $vgpr4_vgpr5
                                        ; implicit-def: $vgpr2
                                        ; implicit-def: $vgpr6
	s_and_saveexec_b32 s31, s29
	s_cbranch_execz .LBB31_910
; %bb.813:
	v_cmp_gt_i32_e32 vcc_lo, s39, v0
	s_mov_b32 s29, s0
                                        ; implicit-def: $vgpr4_vgpr5
                                        ; implicit-def: $vgpr2
                                        ; implicit-def: $vgpr6
	s_and_saveexec_b32 s39, vcc_lo
	s_cbranch_execz .LBB31_909
; %bb.814:
	s_and_not1_b32 vcc_lo, exec_lo, s35
	s_cbranch_vccnz .LBB31_820
; %bb.815:
	s_and_not1_b32 vcc_lo, exec_lo, s41
	s_cbranch_vccnz .LBB31_821
; %bb.816:
	s_add_co_i32 s40, s40, 1
	s_cmp_eq_u32 s34, 2
	s_cbranch_scc1 .LBB31_822
; %bb.817:
	v_dual_mov_b32 v2, 0 :: v_dual_mov_b32 v4, 0
	v_mov_b32_e32 v1, v0
	s_and_b32 s26, s40, 28
	s_mov_b64 s[28:29], s[16:17]
.LBB31_818:                             ; =>This Inner Loop Header: Depth=1
	s_clause 0x1
	s_load_b256 s[48:55], s[28:29], 0x4
	s_load_b128 s[64:67], s[28:29], 0x24
	s_load_b256 s[56:63], s[24:25], 0x0
	s_add_co_i32 s27, s27, 4
	s_wait_xcnt 0x0
	s_add_nc_u64 s[28:29], s[28:29], 48
	s_cmp_eq_u32 s26, s27
	s_add_nc_u64 s[24:25], s[24:25], 32
	s_wait_kmcnt 0x0
	v_mul_hi_u32 v3, s49, v1
	s_delay_alu instid0(VALU_DEP_1) | instskip(NEXT) | instid1(VALU_DEP_1)
	v_add_nc_u32_e32 v3, v1, v3
	v_lshrrev_b32_e32 v3, s50, v3
	s_delay_alu instid0(VALU_DEP_1) | instskip(NEXT) | instid1(VALU_DEP_1)
	v_mul_hi_u32 v5, s52, v3
	v_add_nc_u32_e32 v5, v3, v5
	s_delay_alu instid0(VALU_DEP_1) | instskip(SKIP_1) | instid1(VALU_DEP_1)
	v_lshrrev_b32_e32 v5, s53, v5
	s_wait_loadcnt 0x0
	v_mul_hi_u32 v6, s55, v5
	s_delay_alu instid0(VALU_DEP_1) | instskip(SKIP_1) | instid1(VALU_DEP_1)
	v_add_nc_u32_e32 v6, v5, v6
	v_mul_lo_u32 v7, v3, s48
	v_sub_nc_u32_e32 v1, v1, v7
	v_mul_lo_u32 v7, v5, s51
	s_delay_alu instid0(VALU_DEP_4) | instskip(NEXT) | instid1(VALU_DEP_3)
	v_lshrrev_b32_e32 v6, s64, v6
	v_mad_u32 v4, v1, s57, v4
	v_mad_u32 v1, v1, s56, v2
	s_delay_alu instid0(VALU_DEP_4) | instskip(NEXT) | instid1(VALU_DEP_4)
	v_sub_nc_u32_e32 v2, v3, v7
	v_mul_hi_u32 v8, s66, v6
	v_mul_lo_u32 v3, v6, s54
	s_delay_alu instid0(VALU_DEP_3) | instskip(SKIP_1) | instid1(VALU_DEP_3)
	v_mad_u32 v4, v2, s59, v4
	v_mad_u32 v2, v2, s58, v1
	v_dual_add_nc_u32 v7, v6, v8 :: v_dual_sub_nc_u32 v3, v5, v3
	s_delay_alu instid0(VALU_DEP_1) | instskip(NEXT) | instid1(VALU_DEP_2)
	v_lshrrev_b32_e32 v1, s67, v7
	v_mad_u32 v4, v3, s61, v4
	s_delay_alu instid0(VALU_DEP_4) | instskip(NEXT) | instid1(VALU_DEP_3)
	v_mad_u32 v2, v3, s60, v2
	v_mul_lo_u32 v5, v1, s65
	s_delay_alu instid0(VALU_DEP_1) | instskip(NEXT) | instid1(VALU_DEP_1)
	v_sub_nc_u32_e32 v3, v6, v5
	v_mad_u32 v4, v3, s63, v4
	s_delay_alu instid0(VALU_DEP_4)
	v_mad_u32 v2, v3, s62, v2
	s_cbranch_scc0 .LBB31_818
; %bb.819:
	s_delay_alu instid0(VALU_DEP_2)
	v_mov_b32_e32 v3, v4
	s_branch .LBB31_823
.LBB31_820:
	s_mov_b32 s24, -1
                                        ; implicit-def: $vgpr4
                                        ; implicit-def: $vgpr2
	s_branch .LBB31_828
.LBB31_821:
	v_dual_mov_b32 v4, 0 :: v_dual_mov_b32 v2, 0
	s_branch .LBB31_827
.LBB31_822:
	v_mov_b64_e32 v[2:3], 0
	v_mov_b32_e32 v1, v0
                                        ; implicit-def: $vgpr4
.LBB31_823:
	s_and_b32 s28, s40, 3
	s_mov_b32 s27, 0
	s_cmp_eq_u32 s28, 0
	s_cbranch_scc1 .LBB31_827
; %bb.824:
	s_lshl_b32 s24, s26, 3
	s_mov_b32 s25, s27
	s_mul_u64 s[26:27], s[26:27], 12
	s_add_nc_u64 s[24:25], s[16:17], s[24:25]
	s_add_nc_u64 s[26:27], s[16:17], s[26:27]
	s_add_nc_u64 s[24:25], s[24:25], 0xc4
.LBB31_825:                             ; =>This Inner Loop Header: Depth=1
	s_load_b96 s[48:50], s[26:27], 0x4
	s_load_b64 s[40:41], s[24:25], 0x0
	s_add_co_i32 s28, s28, -1
	s_wait_xcnt 0x0
	s_add_nc_u64 s[26:27], s[26:27], 12
	s_cmp_lg_u32 s28, 0
	s_add_nc_u64 s[24:25], s[24:25], 8
	s_wait_kmcnt 0x0
	v_mul_hi_u32 v4, s49, v1
	s_delay_alu instid0(VALU_DEP_1) | instskip(NEXT) | instid1(VALU_DEP_1)
	v_add_nc_u32_e32 v4, v1, v4
	v_lshrrev_b32_e32 v4, s50, v4
	s_delay_alu instid0(VALU_DEP_1) | instskip(NEXT) | instid1(VALU_DEP_1)
	v_mul_lo_u32 v5, v4, s48
	v_sub_nc_u32_e32 v1, v1, v5
	s_delay_alu instid0(VALU_DEP_1)
	v_mad_u32 v3, v1, s41, v3
	v_mad_u32 v2, v1, s40, v2
	v_mov_b32_e32 v1, v4
	s_cbranch_scc1 .LBB31_825
; %bb.826:
	s_delay_alu instid0(VALU_DEP_3)
	v_mov_b32_e32 v4, v3
.LBB31_827:
	s_mov_b32 s24, 0
.LBB31_828:
	s_delay_alu instid0(SALU_CYCLE_1)
	s_and_not1_b32 vcc_lo, exec_lo, s24
	s_cbranch_vccnz .LBB31_831
; %bb.829:
	v_mov_b32_e32 v1, 0
	s_and_not1_b32 vcc_lo, exec_lo, s38
	s_delay_alu instid0(VALU_DEP_1) | instskip(NEXT) | instid1(VALU_DEP_1)
	v_mul_u64_e32 v[2:3], s[18:19], v[0:1]
	v_add_nc_u32_e32 v2, v0, v3
	s_wait_loadcnt 0x0
	s_delay_alu instid0(VALU_DEP_1) | instskip(NEXT) | instid1(VALU_DEP_1)
	v_lshrrev_b32_e32 v6, s10, v2
	v_mul_lo_u32 v2, v6, s8
	s_delay_alu instid0(VALU_DEP_1) | instskip(NEXT) | instid1(VALU_DEP_1)
	v_sub_nc_u32_e32 v0, v0, v2
	v_mul_lo_u32 v4, v0, s13
	v_mul_lo_u32 v2, v0, s12
	s_cbranch_vccnz .LBB31_831
; %bb.830:
	v_mov_b32_e32 v7, v1
	s_delay_alu instid0(VALU_DEP_1) | instskip(NEXT) | instid1(VALU_DEP_1)
	v_mul_u64_e32 v[0:1], s[22:23], v[6:7]
	v_add_nc_u32_e32 v0, v6, v1
	s_delay_alu instid0(VALU_DEP_1) | instskip(NEXT) | instid1(VALU_DEP_1)
	v_lshrrev_b32_e32 v0, s21, v0
	v_mul_lo_u32 v0, v0, s11
	s_delay_alu instid0(VALU_DEP_1) | instskip(NEXT) | instid1(VALU_DEP_1)
	v_sub_nc_u32_e32 v0, v6, v0
	v_mad_u32 v2, v0, s14, v2
	v_mad_u32 v4, v0, s15, v4
.LBB31_831:
	v_mov_b32_e32 v5, 0
	s_delay_alu instid0(VALU_DEP_1) | instskip(SKIP_1) | instid1(SALU_CYCLE_1)
	v_add_nc_u64_e32 v[4:5], s[6:7], v[4:5]
	s_and_b32 s6, 0xffff, s37
	s_cmp_lt_i32 s6, 11
	s_cbranch_scc1 .LBB31_838
; %bb.832:
	s_cmp_gt_i32 s6, 25
	s_mov_b32 s8, 0
	s_cbranch_scc0 .LBB31_839
; %bb.833:
	s_cmp_gt_i32 s6, 28
	s_cbranch_scc0 .LBB31_840
; %bb.834:
	s_cmp_gt_i32 s6, 43
	;; [unrolled: 3-line block ×3, first 2 shown]
	s_cbranch_scc0 .LBB31_844
; %bb.836:
	s_cmp_eq_u32 s6, 46
	s_mov_b32 s11, 0
	s_cbranch_scc0 .LBB31_847
; %bb.837:
	global_load_b32 v0, v[4:5], off
	s_mov_b32 s7, 0
	s_mov_b32 s10, -1
	s_wait_loadcnt 0x0
	v_lshlrev_b32_e32 v0, 16, v0
	s_delay_alu instid0(VALU_DEP_1)
	v_cvt_i32_f32_e32 v6, v0
	s_branch .LBB31_849
.LBB31_838:
	s_mov_b32 s6, -1
	s_mov_b32 s10, 0
	s_mov_b32 s8, 0
	;; [unrolled: 1-line block ×3, first 2 shown]
                                        ; implicit-def: $vgpr6
	s_branch .LBB31_908
.LBB31_839:
	s_mov_b32 s11, -1
	s_mov_b32 s10, 0
	s_mov_b32 s7, s0
                                        ; implicit-def: $vgpr6
	s_branch .LBB31_876
.LBB31_840:
	s_mov_b32 s11, -1
	s_mov_b32 s10, 0
	s_mov_b32 s7, s0
                                        ; implicit-def: $vgpr6
	s_branch .LBB31_859
.LBB31_841:
	s_mov_b32 s11, -1
	s_mov_b32 s10, 0
	s_mov_b32 s7, s0
                                        ; implicit-def: $vgpr6
	s_branch .LBB31_854
.LBB31_842:
	s_and_not1_saveexec_b32 s48, s48
	s_cbranch_execz .LBB31_720
.LBB31_843:
	v_add_f32_e32 v1, 0x46000000, v4
	s_and_not1_b32 s31, s31, exec_lo
	s_delay_alu instid0(VALU_DEP_1) | instskip(NEXT) | instid1(VALU_DEP_1)
	v_and_b32_e32 v1, 0xff, v1
	v_cmp_ne_u32_e32 vcc_lo, 0, v1
	s_and_b32 s49, vcc_lo, exec_lo
	s_delay_alu instid0(SALU_CYCLE_1)
	s_or_b32 s31, s31, s49
	s_or_b32 exec_lo, exec_lo, s48
	v_mov_b32_e32 v5, 0
	s_and_saveexec_b32 s48, s31
	s_cbranch_execnz .LBB31_721
	s_branch .LBB31_722
.LBB31_844:
	s_mov_b32 s11, -1
	s_mov_b32 s10, 0
	s_mov_b32 s7, s0
	s_branch .LBB31_848
.LBB31_845:
	s_and_not1_saveexec_b32 s48, s48
	s_cbranch_execz .LBB31_733
.LBB31_846:
	v_add_f32_e32 v1, 0x42800000, v4
	s_and_not1_b32 s31, s31, exec_lo
	s_delay_alu instid0(VALU_DEP_1) | instskip(NEXT) | instid1(VALU_DEP_1)
	v_and_b32_e32 v1, 0xff, v1
	v_cmp_ne_u32_e32 vcc_lo, 0, v1
	s_and_b32 s49, vcc_lo, exec_lo
	s_delay_alu instid0(SALU_CYCLE_1)
	s_or_b32 s31, s31, s49
	s_or_b32 exec_lo, exec_lo, s48
	v_mov_b32_e32 v5, 0
	s_and_saveexec_b32 s48, s31
	s_cbranch_execnz .LBB31_734
	s_branch .LBB31_735
.LBB31_847:
	s_mov_b32 s7, -1
	s_mov_b32 s10, 0
.LBB31_848:
                                        ; implicit-def: $vgpr6
.LBB31_849:
	s_and_b32 vcc_lo, exec_lo, s11
	s_cbranch_vccz .LBB31_853
; %bb.850:
	s_cmp_eq_u32 s6, 44
	s_cbranch_scc0 .LBB31_852
; %bb.851:
	global_load_u8 v0, v[4:5], off
	s_mov_b32 s7, 0
	s_mov_b32 s10, -1
	s_wait_loadcnt 0x0
	v_lshlrev_b32_e32 v1, 23, v0
	v_cmp_ne_u32_e32 vcc_lo, 0, v0
	s_delay_alu instid0(VALU_DEP_2) | instskip(NEXT) | instid1(VALU_DEP_1)
	v_cvt_i32_f32_e32 v1, v1
	v_cndmask_b32_e32 v6, 0, v1, vcc_lo
	s_branch .LBB31_853
.LBB31_852:
	s_mov_b32 s7, -1
                                        ; implicit-def: $vgpr6
.LBB31_853:
	s_mov_b32 s11, 0
.LBB31_854:
	s_delay_alu instid0(SALU_CYCLE_1)
	s_and_b32 vcc_lo, exec_lo, s11
	s_cbranch_vccz .LBB31_858
; %bb.855:
	s_cmp_eq_u32 s6, 29
	s_cbranch_scc0 .LBB31_857
; %bb.856:
	s_wait_loadcnt 0x0
	global_load_b64 v[6:7], v[4:5], off
	s_mov_b32 s7, 0
	s_mov_b32 s10, -1
	s_branch .LBB31_858
.LBB31_857:
	s_mov_b32 s7, -1
                                        ; implicit-def: $vgpr6
.LBB31_858:
	s_mov_b32 s11, 0
.LBB31_859:
	s_delay_alu instid0(SALU_CYCLE_1)
	s_and_b32 vcc_lo, exec_lo, s11
	s_cbranch_vccz .LBB31_875
; %bb.860:
	s_cmp_lt_i32 s6, 27
	s_cbranch_scc1 .LBB31_863
; %bb.861:
	s_cmp_gt_i32 s6, 27
	s_cbranch_scc0 .LBB31_864
; %bb.862:
	s_wait_loadcnt 0x0
	global_load_b32 v6, v[4:5], off
	s_mov_b32 s10, 0
	s_branch .LBB31_865
.LBB31_863:
	s_mov_b32 s10, -1
                                        ; implicit-def: $vgpr6
	s_branch .LBB31_868
.LBB31_864:
	s_mov_b32 s10, -1
                                        ; implicit-def: $vgpr6
.LBB31_865:
	s_delay_alu instid0(SALU_CYCLE_1)
	s_and_not1_b32 vcc_lo, exec_lo, s10
	s_cbranch_vccnz .LBB31_867
; %bb.866:
	s_wait_loadcnt 0x0
	global_load_u16 v6, v[4:5], off
.LBB31_867:
	s_mov_b32 s10, 0
.LBB31_868:
	s_delay_alu instid0(SALU_CYCLE_1)
	s_and_not1_b32 vcc_lo, exec_lo, s10
	s_cbranch_vccnz .LBB31_874
; %bb.869:
	global_load_u8 v0, v[4:5], off
	s_mov_b32 s11, 0
	s_mov_b32 s10, exec_lo
	s_wait_loadcnt 0x0
	v_cmpx_lt_i16_e32 0x7f, v0
	s_xor_b32 s10, exec_lo, s10
	s_cbranch_execz .LBB31_886
; %bb.870:
	v_cmp_ne_u16_e32 vcc_lo, 0x80, v0
	s_and_b32 s11, vcc_lo, exec_lo
	s_and_not1_saveexec_b32 s10, s10
	s_cbranch_execnz .LBB31_887
.LBB31_871:
	s_or_b32 exec_lo, exec_lo, s10
	v_mov_b32_e32 v6, 0
	s_and_saveexec_b32 s10, s11
	s_cbranch_execz .LBB31_873
.LBB31_872:
	v_and_b32_e32 v1, 0xffff, v0
	s_delay_alu instid0(VALU_DEP_1) | instskip(SKIP_1) | instid1(VALU_DEP_2)
	v_and_b32_e32 v3, 7, v1
	v_bfe_u32 v8, v1, 3, 4
	v_clz_i32_u32_e32 v6, v3
	s_delay_alu instid0(VALU_DEP_2) | instskip(NEXT) | instid1(VALU_DEP_2)
	v_cmp_eq_u32_e32 vcc_lo, 0, v8
	v_min_u32_e32 v6, 32, v6
	s_delay_alu instid0(VALU_DEP_1) | instskip(NEXT) | instid1(VALU_DEP_1)
	v_subrev_nc_u32_e32 v7, 28, v6
	v_dual_lshlrev_b32 v1, v7, v1 :: v_dual_sub_nc_u32 v6, 29, v6
	s_delay_alu instid0(VALU_DEP_1) | instskip(NEXT) | instid1(VALU_DEP_1)
	v_dual_lshlrev_b32 v0, 24, v0 :: v_dual_bitop2_b32 v1, 7, v1 bitop3:0x40
	v_dual_cndmask_b32 v6, v8, v6 :: v_dual_cndmask_b32 v1, v3, v1
	s_delay_alu instid0(VALU_DEP_2) | instskip(NEXT) | instid1(VALU_DEP_2)
	v_and_b32_e32 v0, 0x80000000, v0
	v_lshl_add_u32 v3, v6, 23, 0x3b800000
	s_delay_alu instid0(VALU_DEP_3) | instskip(NEXT) | instid1(VALU_DEP_1)
	v_lshlrev_b32_e32 v1, 20, v1
	v_or3_b32 v0, v0, v3, v1
	s_delay_alu instid0(VALU_DEP_1)
	v_cvt_i32_f32_e32 v6, v0
.LBB31_873:
	s_or_b32 exec_lo, exec_lo, s10
.LBB31_874:
	s_mov_b32 s10, -1
.LBB31_875:
	s_mov_b32 s11, 0
.LBB31_876:
	s_delay_alu instid0(SALU_CYCLE_1)
	s_and_b32 vcc_lo, exec_lo, s11
	s_cbranch_vccz .LBB31_907
; %bb.877:
	s_cmp_gt_i32 s6, 22
	s_cbranch_scc0 .LBB31_885
; %bb.878:
	s_cmp_lt_i32 s6, 24
	s_cbranch_scc1 .LBB31_888
; %bb.879:
	s_cmp_gt_i32 s6, 24
	s_cbranch_scc0 .LBB31_889
; %bb.880:
	global_load_u8 v0, v[4:5], off
	s_mov_b32 s10, 0
	s_mov_b32 s8, exec_lo
	s_wait_loadcnt 0x0
	v_cmpx_lt_i16_e32 0x7f, v0
	s_xor_b32 s8, exec_lo, s8
	s_cbranch_execz .LBB31_901
; %bb.881:
	v_cmp_ne_u16_e32 vcc_lo, 0x80, v0
	s_and_b32 s10, vcc_lo, exec_lo
	s_and_not1_saveexec_b32 s8, s8
	s_cbranch_execnz .LBB31_902
.LBB31_882:
	s_or_b32 exec_lo, exec_lo, s8
	v_mov_b32_e32 v6, 0
	s_and_saveexec_b32 s8, s10
	s_cbranch_execz .LBB31_884
.LBB31_883:
	v_and_b32_e32 v1, 0xffff, v0
	s_delay_alu instid0(VALU_DEP_1) | instskip(SKIP_1) | instid1(VALU_DEP_2)
	v_and_b32_e32 v3, 3, v1
	v_bfe_u32 v8, v1, 2, 5
	v_clz_i32_u32_e32 v6, v3
	s_delay_alu instid0(VALU_DEP_2) | instskip(NEXT) | instid1(VALU_DEP_2)
	v_cmp_eq_u32_e32 vcc_lo, 0, v8
	v_min_u32_e32 v6, 32, v6
	s_delay_alu instid0(VALU_DEP_1) | instskip(NEXT) | instid1(VALU_DEP_1)
	v_subrev_nc_u32_e32 v7, 29, v6
	v_dual_lshlrev_b32 v1, v7, v1 :: v_dual_sub_nc_u32 v6, 30, v6
	s_delay_alu instid0(VALU_DEP_1) | instskip(NEXT) | instid1(VALU_DEP_1)
	v_dual_lshlrev_b32 v0, 24, v0 :: v_dual_bitop2_b32 v1, 3, v1 bitop3:0x40
	v_dual_cndmask_b32 v6, v8, v6 :: v_dual_cndmask_b32 v1, v3, v1
	s_delay_alu instid0(VALU_DEP_2) | instskip(NEXT) | instid1(VALU_DEP_2)
	v_and_b32_e32 v0, 0x80000000, v0
	v_lshl_add_u32 v3, v6, 23, 0x37800000
	s_delay_alu instid0(VALU_DEP_3) | instskip(NEXT) | instid1(VALU_DEP_1)
	v_lshlrev_b32_e32 v1, 21, v1
	v_or3_b32 v0, v0, v3, v1
	s_delay_alu instid0(VALU_DEP_1)
	v_cvt_i32_f32_e32 v6, v0
.LBB31_884:
	s_or_b32 exec_lo, exec_lo, s8
	s_mov_b32 s8, 0
	s_branch .LBB31_890
.LBB31_885:
	s_mov_b32 s8, -1
                                        ; implicit-def: $vgpr6
	s_branch .LBB31_896
.LBB31_886:
	s_and_not1_saveexec_b32 s10, s10
	s_cbranch_execz .LBB31_871
.LBB31_887:
	v_cmp_ne_u16_e32 vcc_lo, 0, v0
	s_and_not1_b32 s11, s11, exec_lo
	s_and_b32 s12, vcc_lo, exec_lo
	s_delay_alu instid0(SALU_CYCLE_1)
	s_or_b32 s11, s11, s12
	s_or_b32 exec_lo, exec_lo, s10
	v_mov_b32_e32 v6, 0
	s_and_saveexec_b32 s10, s11
	s_cbranch_execnz .LBB31_872
	s_branch .LBB31_873
.LBB31_888:
	s_mov_b32 s8, -1
                                        ; implicit-def: $vgpr6
	s_branch .LBB31_893
.LBB31_889:
	s_mov_b32 s8, -1
                                        ; implicit-def: $vgpr6
.LBB31_890:
	s_delay_alu instid0(SALU_CYCLE_1)
	s_and_b32 vcc_lo, exec_lo, s8
	s_cbranch_vccz .LBB31_892
; %bb.891:
	global_load_u8 v0, v[4:5], off
	s_wait_loadcnt 0x0
	v_lshlrev_b32_e32 v0, 24, v0
	s_delay_alu instid0(VALU_DEP_1) | instskip(NEXT) | instid1(VALU_DEP_1)
	v_and_b32_e32 v1, 0x7f000000, v0
	v_clz_i32_u32_e32 v3, v1
	v_add_nc_u32_e32 v7, 0x1000000, v1
	v_cmp_ne_u32_e32 vcc_lo, 0, v1
	s_delay_alu instid0(VALU_DEP_3) | instskip(NEXT) | instid1(VALU_DEP_1)
	v_min_u32_e32 v3, 32, v3
	v_sub_nc_u32_e64 v3, v3, 4 clamp
	s_delay_alu instid0(VALU_DEP_1) | instskip(NEXT) | instid1(VALU_DEP_1)
	v_dual_lshlrev_b32 v6, v3, v1 :: v_dual_lshlrev_b32 v3, 23, v3
	v_lshrrev_b32_e32 v6, 4, v6
	s_delay_alu instid0(VALU_DEP_1) | instskip(SKIP_1) | instid1(VALU_DEP_2)
	v_sub_nc_u32_e32 v3, v6, v3
	v_ashrrev_i32_e32 v6, 8, v7
	v_add_nc_u32_e32 v3, 0x3c000000, v3
	s_delay_alu instid0(VALU_DEP_1) | instskip(NEXT) | instid1(VALU_DEP_1)
	v_and_or_b32 v3, 0x7f800000, v6, v3
	v_cndmask_b32_e32 v1, 0, v3, vcc_lo
	s_delay_alu instid0(VALU_DEP_1) | instskip(NEXT) | instid1(VALU_DEP_1)
	v_and_or_b32 v0, 0x80000000, v0, v1
	v_cvt_i32_f32_e32 v6, v0
.LBB31_892:
	s_mov_b32 s8, 0
.LBB31_893:
	s_delay_alu instid0(SALU_CYCLE_1)
	s_and_not1_b32 vcc_lo, exec_lo, s8
	s_cbranch_vccnz .LBB31_895
; %bb.894:
	global_load_u8 v0, v[4:5], off
	s_wait_loadcnt 0x0
	v_lshlrev_b32_e32 v1, 25, v0
	v_lshlrev_b16 v0, 8, v0
	s_delay_alu instid0(VALU_DEP_1) | instskip(SKIP_1) | instid1(VALU_DEP_2)
	v_and_or_b32 v6, 0x7f00, v0, 0.5
	v_bfe_i32 v0, v0, 0, 16
	v_dual_add_f32 v6, -0.5, v6 :: v_dual_lshrrev_b32 v3, 4, v1
	v_cmp_gt_u32_e32 vcc_lo, 0x8000000, v1
	s_delay_alu instid0(VALU_DEP_2) | instskip(NEXT) | instid1(VALU_DEP_1)
	v_or_b32_e32 v3, 0x70000000, v3
	v_mul_f32_e32 v3, 0x7800000, v3
	s_delay_alu instid0(VALU_DEP_1) | instskip(NEXT) | instid1(VALU_DEP_1)
	v_cndmask_b32_e32 v1, v3, v6, vcc_lo
	v_and_or_b32 v0, 0x80000000, v0, v1
	s_delay_alu instid0(VALU_DEP_1)
	v_cvt_i32_f32_e32 v6, v0
.LBB31_895:
	s_mov_b32 s8, 0
	s_mov_b32 s10, -1
.LBB31_896:
	s_and_not1_b32 vcc_lo, exec_lo, s8
	s_mov_b32 s8, 0
	s_cbranch_vccnz .LBB31_907
; %bb.897:
	s_cmp_gt_i32 s6, 14
	s_cbranch_scc0 .LBB31_900
; %bb.898:
	s_cmp_eq_u32 s6, 15
	s_cbranch_scc0 .LBB31_903
; %bb.899:
	global_load_u16 v0, v[4:5], off
	s_mov_b32 s7, 0
	s_mov_b32 s10, -1
	s_wait_loadcnt 0x0
	v_lshlrev_b32_e32 v0, 16, v0
	s_delay_alu instid0(VALU_DEP_1)
	v_cvt_i32_f32_e32 v6, v0
	s_branch .LBB31_905
.LBB31_900:
	s_mov_b32 s8, -1
	s_branch .LBB31_904
.LBB31_901:
	s_and_not1_saveexec_b32 s8, s8
	s_cbranch_execz .LBB31_882
.LBB31_902:
	v_cmp_ne_u16_e32 vcc_lo, 0, v0
	s_and_not1_b32 s10, s10, exec_lo
	s_and_b32 s11, vcc_lo, exec_lo
	s_delay_alu instid0(SALU_CYCLE_1)
	s_or_b32 s10, s10, s11
	s_or_b32 exec_lo, exec_lo, s8
	v_mov_b32_e32 v6, 0
	s_and_saveexec_b32 s8, s10
	s_cbranch_execnz .LBB31_883
	s_branch .LBB31_884
.LBB31_903:
	s_mov_b32 s7, -1
.LBB31_904:
                                        ; implicit-def: $vgpr6
.LBB31_905:
	s_and_b32 vcc_lo, exec_lo, s8
	s_mov_b32 s8, 0
	s_cbranch_vccz .LBB31_907
; %bb.906:
	s_cmp_lg_u32 s6, 11
	s_mov_b32 s8, -1
	s_cselect_b32 s6, -1, 0
	s_and_not1_b32 s7, s7, exec_lo
	s_and_b32 s6, s6, exec_lo
	s_delay_alu instid0(SALU_CYCLE_1)
	s_or_b32 s7, s7, s6
.LBB31_907:
	s_mov_b32 s6, 0
.LBB31_908:
	s_delay_alu instid0(SALU_CYCLE_1)
	s_and_b32 s27, s6, exec_lo
	s_and_not1_b32 s6, s0, exec_lo
	s_and_b32 s7, s7, exec_lo
	s_and_b32 s28, s10, exec_lo
	;; [unrolled: 1-line block ×3, first 2 shown]
	s_or_b32 s29, s6, s7
.LBB31_909:
	s_wait_xcnt 0x0
	s_or_b32 exec_lo, exec_lo, s39
	s_delay_alu instid0(SALU_CYCLE_1)
	s_and_not1_b32 s0, s0, exec_lo
	s_and_b32 s6, s29, exec_lo
	s_and_b32 s28, s28, exec_lo
	s_and_b32 s27, s27, exec_lo
	s_and_b32 s26, s26, exec_lo
	s_or_b32 s0, s0, s6
.LBB31_910:
	s_or_b32 exec_lo, exec_lo, s31
	s_delay_alu instid0(SALU_CYCLE_1)
	s_and_not1_b32 s6, s45, exec_lo
	s_and_b32 s7, s30, exec_lo
	s_and_b32 s0, s0, exec_lo
	s_or_b32 s45, s6, s7
	s_and_not1_b32 s6, s44, exec_lo
	s_and_b32 s28, s28, exec_lo
	s_and_b32 s27, s27, exec_lo
	;; [unrolled: 1-line block ×3, first 2 shown]
	s_or_b32 s44, s6, s0
.LBB31_911:
	s_or_b32 exec_lo, exec_lo, s46
	s_delay_alu instid0(SALU_CYCLE_1)
	s_and_not1_b32 s0, s20, exec_lo
	s_and_b32 s6, s45, exec_lo
	s_and_b32 s7, s44, exec_lo
	s_or_b32 s20, s0, s6
	s_and_not1_b32 s6, s42, exec_lo
	s_and_b32 s0, s28, exec_lo
	s_and_b32 s27, s27, exec_lo
	;; [unrolled: 1-line block ×3, first 2 shown]
	s_or_b32 s42, s6, s7
	s_or_b32 exec_lo, exec_lo, s43
	s_mov_b32 s6, 0
	s_and_saveexec_b32 s7, s42
	s_cbranch_execz .LBB31_272
.LBB31_912:
	s_mov_b32 s6, exec_lo
	s_and_not1_b32 s19, s19, exec_lo
	s_trap 2
	s_or_b32 exec_lo, exec_lo, s7
	s_and_saveexec_b32 s7, s19
	s_delay_alu instid0(SALU_CYCLE_1)
	s_xor_b32 s7, exec_lo, s7
	s_cbranch_execnz .LBB31_273
.LBB31_913:
	s_or_b32 exec_lo, exec_lo, s7
	s_and_saveexec_b32 s7, s27
	s_cbranch_execz .LBB31_959
.LBB31_914:
	s_sext_i32_i16 s8, s37
	s_delay_alu instid0(SALU_CYCLE_1)
	s_cmp_lt_i32 s8, 5
	s_cbranch_scc1 .LBB31_919
; %bb.915:
	s_cmp_lt_i32 s8, 8
	s_cbranch_scc1 .LBB31_920
; %bb.916:
	;; [unrolled: 3-line block ×3, first 2 shown]
	s_cmp_gt_i32 s8, 9
	s_cbranch_scc0 .LBB31_922
; %bb.918:
	global_load_b64 v[0:1], v[4:5], off
	s_mov_b32 s8, 0
	s_wait_loadcnt 0x0
	v_cvt_i32_f64_e32 v6, v[0:1]
	s_branch .LBB31_923
.LBB31_919:
                                        ; implicit-def: $vgpr6
	s_branch .LBB31_940
.LBB31_920:
                                        ; implicit-def: $vgpr6
	s_branch .LBB31_929
.LBB31_921:
	s_mov_b32 s8, -1
                                        ; implicit-def: $vgpr6
	s_branch .LBB31_926
.LBB31_922:
	s_mov_b32 s8, -1
                                        ; implicit-def: $vgpr6
.LBB31_923:
	s_delay_alu instid0(SALU_CYCLE_1)
	s_and_not1_b32 vcc_lo, exec_lo, s8
	s_cbranch_vccnz .LBB31_925
; %bb.924:
	global_load_b32 v0, v[4:5], off
	s_wait_loadcnt 0x0
	v_cvt_i32_f32_e32 v6, v0
.LBB31_925:
	s_mov_b32 s8, 0
.LBB31_926:
	s_delay_alu instid0(SALU_CYCLE_1)
	s_and_not1_b32 vcc_lo, exec_lo, s8
	s_cbranch_vccnz .LBB31_928
; %bb.927:
	global_load_b32 v0, v[4:5], off
	s_wait_loadcnt 0x0
	v_cvt_i16_f16_e32 v6, v0
.LBB31_928:
	s_cbranch_execnz .LBB31_939
.LBB31_929:
	s_sext_i32_i16 s8, s37
	s_delay_alu instid0(SALU_CYCLE_1)
	s_cmp_lt_i32 s8, 6
	s_cbranch_scc1 .LBB31_932
; %bb.930:
	s_cmp_gt_i32 s8, 6
	s_cbranch_scc0 .LBB31_933
; %bb.931:
	global_load_b64 v[0:1], v[4:5], off
	s_mov_b32 s8, 0
	s_wait_loadcnt 0x0
	v_cvt_i32_f64_e32 v6, v[0:1]
	s_branch .LBB31_934
.LBB31_932:
	s_mov_b32 s8, -1
                                        ; implicit-def: $vgpr6
	s_branch .LBB31_937
.LBB31_933:
	s_mov_b32 s8, -1
                                        ; implicit-def: $vgpr6
.LBB31_934:
	s_delay_alu instid0(SALU_CYCLE_1)
	s_and_not1_b32 vcc_lo, exec_lo, s8
	s_cbranch_vccnz .LBB31_936
; %bb.935:
	global_load_b32 v0, v[4:5], off
	s_wait_loadcnt 0x0
	v_cvt_i32_f32_e32 v6, v0
.LBB31_936:
	s_mov_b32 s8, 0
.LBB31_937:
	s_delay_alu instid0(SALU_CYCLE_1)
	s_and_not1_b32 vcc_lo, exec_lo, s8
	s_cbranch_vccnz .LBB31_939
; %bb.938:
	global_load_u16 v0, v[4:5], off
	s_wait_loadcnt 0x0
	v_cvt_i16_f16_e32 v6, v0
.LBB31_939:
	s_cbranch_execnz .LBB31_958
.LBB31_940:
	s_sext_i32_i16 s8, s37
	s_delay_alu instid0(SALU_CYCLE_1)
	s_cmp_lt_i32 s8, 2
	s_cbranch_scc1 .LBB31_944
; %bb.941:
	s_cmp_lt_i32 s8, 3
	s_cbranch_scc1 .LBB31_945
; %bb.942:
	s_cmp_gt_i32 s8, 3
	s_cbranch_scc0 .LBB31_946
; %bb.943:
	s_wait_loadcnt 0x0
	global_load_b64 v[6:7], v[4:5], off
	s_mov_b32 s8, 0
	s_branch .LBB31_947
.LBB31_944:
                                        ; implicit-def: $vgpr6
	s_branch .LBB31_953
.LBB31_945:
	s_mov_b32 s8, -1
                                        ; implicit-def: $vgpr6
	s_branch .LBB31_950
.LBB31_946:
	s_mov_b32 s8, -1
                                        ; implicit-def: $vgpr6
.LBB31_947:
	s_delay_alu instid0(SALU_CYCLE_1)
	s_and_not1_b32 vcc_lo, exec_lo, s8
	s_cbranch_vccnz .LBB31_949
; %bb.948:
	s_wait_loadcnt 0x0
	global_load_b32 v6, v[4:5], off
.LBB31_949:
	s_mov_b32 s8, 0
.LBB31_950:
	s_delay_alu instid0(SALU_CYCLE_1)
	s_and_not1_b32 vcc_lo, exec_lo, s8
	s_cbranch_vccnz .LBB31_952
; %bb.951:
	s_wait_loadcnt 0x0
	global_load_u16 v6, v[4:5], off
.LBB31_952:
	s_cbranch_execnz .LBB31_958
.LBB31_953:
	s_sext_i32_i16 s8, s37
	s_delay_alu instid0(SALU_CYCLE_1)
	s_cmp_gt_i32 s8, 0
	s_mov_b32 s8, 0
	s_cbranch_scc0 .LBB31_955
; %bb.954:
	s_wait_loadcnt 0x0
	global_load_u8 v6, v[4:5], off
	s_branch .LBB31_956
.LBB31_955:
	s_mov_b32 s8, -1
                                        ; implicit-def: $vgpr6
.LBB31_956:
	s_delay_alu instid0(SALU_CYCLE_1)
	s_and_not1_b32 vcc_lo, exec_lo, s8
	s_cbranch_vccnz .LBB31_958
; %bb.957:
	s_wait_loadcnt 0x0
	global_load_u8 v6, v[4:5], off
.LBB31_958:
	s_or_b32 s0, s0, exec_lo
.LBB31_959:
	s_wait_xcnt 0x0
	s_or_b32 exec_lo, exec_lo, s7
	s_mov_b32 s12, 0
	s_mov_b32 s11, 0
                                        ; implicit-def: $sgpr7
                                        ; implicit-def: $sgpr8
                                        ; implicit-def: $vgpr0_vgpr1
	s_and_saveexec_b32 s10, s0
	s_cbranch_execz .LBB31_967
; %bb.960:
	s_wait_loadcnt 0x0
	s_delay_alu instid0(VALU_DEP_1) | instskip(SKIP_3) | instid1(VALU_DEP_2)
	v_and_b32_e32 v0, 0xff, v6
	v_mov_b32_e32 v3, 0
	s_and_b32 s0, s1, 0xff
	s_and_b32 s8, s2, 0xff
	v_cmp_ne_u16_e32 vcc_lo, s0, v0
	s_delay_alu instid0(VALU_DEP_2)
	v_add_nc_u64_e32 v[0:1], s[4:5], v[2:3]
	s_xor_b32 s7, s9, vcc_lo
	s_cmp_lt_i32 s8, 11
	s_cbranch_scc1 .LBB31_970
; %bb.961:
	s_and_b32 s1, 0xffff, s8
	s_mov_b32 s2, -1
	s_cmp_gt_i32 s1, 25
	s_mov_b32 s0, s20
	s_cbranch_scc0 .LBB31_998
; %bb.962:
	s_cmp_gt_i32 s1, 28
	s_mov_b32 s0, s20
	s_cbranch_scc0 .LBB31_982
; %bb.963:
	;; [unrolled: 4-line block ×4, first 2 shown]
	s_cmp_eq_u32 s1, 46
	s_mov_b32 s0, -1
	s_cbranch_scc0 .LBB31_971
; %bb.966:
	v_cndmask_b32_e64 v2, 0, 1.0, s7
	s_mov_b32 s0, 0
	s_mov_b32 s2, 0
	s_delay_alu instid0(VALU_DEP_1) | instskip(NEXT) | instid1(VALU_DEP_1)
	v_bfe_u32 v3, v2, 16, 1
	v_add3_u32 v2, v2, v3, 0x7fff
	s_delay_alu instid0(VALU_DEP_1)
	v_lshrrev_b32_e32 v2, 16, v2
	global_store_b32 v[0:1], v2, off
	s_branch .LBB31_972
.LBB31_967:
	s_or_b32 exec_lo, exec_lo, s10
	s_and_saveexec_b32 s0, s20
	s_cbranch_execnz .LBB31_1040
.LBB31_968:
	s_or_b32 exec_lo, exec_lo, s0
	s_and_saveexec_b32 s0, s12
	s_delay_alu instid0(SALU_CYCLE_1)
	s_xor_b32 s0, exec_lo, s0
	s_cbranch_execz .LBB31_1041
.LBB31_969:
	v_cndmask_b32_e64 v2, 0, 1, s7
	global_store_b8 v[0:1], v2, off
	s_wait_xcnt 0x0
	s_or_b32 exec_lo, exec_lo, s0
	s_and_saveexec_b32 s0, s11
	s_delay_alu instid0(SALU_CYCLE_1)
	s_xor_b32 s0, exec_lo, s0
	s_cbranch_execz .LBB31_1079
	s_branch .LBB31_1042
.LBB31_970:
	s_mov_b32 s4, 0
	s_mov_b32 s2, -1
	s_mov_b32 s0, s20
	s_branch .LBB31_1039
.LBB31_971:
	s_mov_b32 s2, 0
.LBB31_972:
	s_delay_alu instid0(SALU_CYCLE_1)
	s_and_b32 vcc_lo, exec_lo, s2
	s_cbranch_vccz .LBB31_977
; %bb.973:
	s_cmp_eq_u32 s1, 44
	s_mov_b32 s0, -1
	s_cbranch_scc0 .LBB31_977
; %bb.974:
	v_cndmask_b32_e64 v4, 0, 1.0, s7
	s_mov_b32 s2, exec_lo
	s_wait_xcnt 0x0
	s_delay_alu instid0(VALU_DEP_1) | instskip(NEXT) | instid1(VALU_DEP_1)
	v_dual_mov_b32 v3, 0xff :: v_dual_lshrrev_b32 v2, 23, v4
	v_cmpx_ne_u32_e32 0xff, v2
; %bb.975:
	v_and_b32_e32 v3, 0x400000, v4
	v_and_or_b32 v4, 0x3fffff, v4, v2
	s_delay_alu instid0(VALU_DEP_2) | instskip(NEXT) | instid1(VALU_DEP_2)
	v_cmp_ne_u32_e32 vcc_lo, 0, v3
	v_cmp_ne_u32_e64 s0, 0, v4
	s_and_b32 s0, vcc_lo, s0
	s_delay_alu instid0(SALU_CYCLE_1) | instskip(NEXT) | instid1(VALU_DEP_1)
	v_cndmask_b32_e64 v3, 0, 1, s0
	v_add_nc_u32_e32 v3, v2, v3
; %bb.976:
	s_or_b32 exec_lo, exec_lo, s2
	s_mov_b32 s0, 0
	global_store_b8 v[0:1], v3, off
.LBB31_977:
	s_mov_b32 s2, 0
.LBB31_978:
	s_delay_alu instid0(SALU_CYCLE_1)
	s_and_b32 vcc_lo, exec_lo, s2
	s_cbranch_vccz .LBB31_981
; %bb.979:
	s_cmp_eq_u32 s1, 29
	s_mov_b32 s0, -1
	s_cbranch_scc0 .LBB31_981
; %bb.980:
	s_mov_b32 s0, 0
	s_wait_xcnt 0x0
	v_cndmask_b32_e64 v2, 0, 1, s7
	v_mov_b32_e32 v3, s0
	s_mov_b32 s2, 0
	global_store_b64 v[0:1], v[2:3], off
	s_branch .LBB31_982
.LBB31_981:
	s_mov_b32 s2, 0
.LBB31_982:
	s_delay_alu instid0(SALU_CYCLE_1)
	s_and_b32 vcc_lo, exec_lo, s2
	s_cbranch_vccz .LBB31_997
; %bb.983:
	s_cmp_lt_i32 s1, 27
	s_mov_b32 s2, -1
	s_cbranch_scc1 .LBB31_989
; %bb.984:
	s_cmp_gt_i32 s1, 27
	s_cbranch_scc0 .LBB31_986
; %bb.985:
	s_wait_xcnt 0x0
	v_cndmask_b32_e64 v2, 0, 1, s7
	s_mov_b32 s2, 0
	global_store_b32 v[0:1], v2, off
.LBB31_986:
	s_and_not1_b32 vcc_lo, exec_lo, s2
	s_cbranch_vccnz .LBB31_988
; %bb.987:
	s_wait_xcnt 0x0
	v_cndmask_b32_e64 v2, 0, 1, s7
	global_store_b16 v[0:1], v2, off
.LBB31_988:
	s_mov_b32 s2, 0
.LBB31_989:
	s_delay_alu instid0(SALU_CYCLE_1)
	s_and_not1_b32 vcc_lo, exec_lo, s2
	s_cbranch_vccnz .LBB31_997
; %bb.990:
	s_wait_xcnt 0x0
	v_cndmask_b32_e64 v3, 0, 1.0, s7
	v_mov_b32_e32 v4, 0x80
	s_mov_b32 s2, exec_lo
	s_delay_alu instid0(VALU_DEP_2)
	v_cmpx_gt_u32_e32 0x43800000, v3
	s_cbranch_execz .LBB31_996
; %bb.991:
	s_mov_b32 s4, 0
	s_mov_b32 s5, exec_lo
                                        ; implicit-def: $vgpr2
	v_cmpx_lt_u32_e32 0x3bffffff, v3
	s_xor_b32 s5, exec_lo, s5
	s_cbranch_execz .LBB31_1154
; %bb.992:
	v_bfe_u32 v2, v3, 20, 1
	s_mov_b32 s4, exec_lo
	s_delay_alu instid0(VALU_DEP_1) | instskip(NEXT) | instid1(VALU_DEP_1)
	v_add3_u32 v2, v3, v2, 0x487ffff
                                        ; implicit-def: $vgpr3
	v_lshrrev_b32_e32 v2, 20, v2
	s_and_not1_saveexec_b32 s5, s5
	s_cbranch_execnz .LBB31_1155
.LBB31_993:
	s_or_b32 exec_lo, exec_lo, s5
	v_mov_b32_e32 v4, 0
	s_and_saveexec_b32 s5, s4
.LBB31_994:
	v_mov_b32_e32 v4, v2
.LBB31_995:
	s_or_b32 exec_lo, exec_lo, s5
.LBB31_996:
	s_delay_alu instid0(SALU_CYCLE_1)
	s_or_b32 exec_lo, exec_lo, s2
	global_store_b8 v[0:1], v4, off
.LBB31_997:
	s_mov_b32 s2, 0
.LBB31_998:
	s_delay_alu instid0(SALU_CYCLE_1)
	s_and_b32 vcc_lo, exec_lo, s2
	s_mov_b32 s2, 0
	s_cbranch_vccz .LBB31_1038
; %bb.999:
	s_cmp_gt_i32 s1, 22
	s_mov_b32 s4, -1
	s_cbranch_scc0 .LBB31_1031
; %bb.1000:
	s_cmp_lt_i32 s1, 24
	s_cbranch_scc1 .LBB31_1020
; %bb.1001:
	s_cmp_gt_i32 s1, 24
	s_cbranch_scc0 .LBB31_1009
; %bb.1002:
	s_wait_xcnt 0x0
	v_cndmask_b32_e64 v3, 0, 1.0, s7
	v_mov_b32_e32 v4, 0x80
	s_mov_b32 s4, exec_lo
	s_delay_alu instid0(VALU_DEP_2)
	v_cmpx_gt_u32_e32 0x47800000, v3
	s_cbranch_execz .LBB31_1008
; %bb.1003:
	s_mov_b32 s5, 0
	s_mov_b32 s9, exec_lo
                                        ; implicit-def: $vgpr2
	v_cmpx_lt_u32_e32 0x37ffffff, v3
	s_xor_b32 s9, exec_lo, s9
	s_cbranch_execz .LBB31_1275
; %bb.1004:
	v_bfe_u32 v2, v3, 21, 1
	s_mov_b32 s5, exec_lo
	s_delay_alu instid0(VALU_DEP_1) | instskip(NEXT) | instid1(VALU_DEP_1)
	v_add3_u32 v2, v3, v2, 0x88fffff
                                        ; implicit-def: $vgpr3
	v_lshrrev_b32_e32 v2, 21, v2
	s_and_not1_saveexec_b32 s9, s9
	s_cbranch_execnz .LBB31_1276
.LBB31_1005:
	s_or_b32 exec_lo, exec_lo, s9
	v_mov_b32_e32 v4, 0
	s_and_saveexec_b32 s9, s5
.LBB31_1006:
	v_mov_b32_e32 v4, v2
.LBB31_1007:
	s_or_b32 exec_lo, exec_lo, s9
.LBB31_1008:
	s_delay_alu instid0(SALU_CYCLE_1)
	s_or_b32 exec_lo, exec_lo, s4
	s_mov_b32 s4, 0
	global_store_b8 v[0:1], v4, off
.LBB31_1009:
	s_and_b32 vcc_lo, exec_lo, s4
	s_cbranch_vccz .LBB31_1019
; %bb.1010:
	s_wait_xcnt 0x0
	v_cndmask_b32_e64 v3, 0, 1.0, s7
	s_mov_b32 s4, exec_lo
                                        ; implicit-def: $vgpr2
	s_delay_alu instid0(VALU_DEP_1)
	v_cmpx_gt_u32_e32 0x43f00000, v3
	s_xor_b32 s4, exec_lo, s4
	s_cbranch_execz .LBB31_1016
; %bb.1011:
	s_mov_b32 s5, exec_lo
                                        ; implicit-def: $vgpr2
	v_cmpx_lt_u32_e32 0x3c7fffff, v3
	s_xor_b32 s5, exec_lo, s5
; %bb.1012:
	v_bfe_u32 v2, v3, 20, 1
	s_delay_alu instid0(VALU_DEP_1) | instskip(NEXT) | instid1(VALU_DEP_1)
	v_add3_u32 v2, v3, v2, 0x407ffff
	v_and_b32_e32 v3, 0xff00000, v2
	v_lshrrev_b32_e32 v2, 20, v2
	s_delay_alu instid0(VALU_DEP_2) | instskip(NEXT) | instid1(VALU_DEP_2)
	v_cmp_ne_u32_e32 vcc_lo, 0x7f00000, v3
                                        ; implicit-def: $vgpr3
	v_cndmask_b32_e32 v2, 0x7e, v2, vcc_lo
; %bb.1013:
	s_and_not1_saveexec_b32 s5, s5
; %bb.1014:
	v_add_f32_e32 v2, 0x46800000, v3
; %bb.1015:
	s_or_b32 exec_lo, exec_lo, s5
                                        ; implicit-def: $vgpr3
.LBB31_1016:
	s_and_not1_saveexec_b32 s4, s4
; %bb.1017:
	v_mov_b32_e32 v2, 0x7f
	v_cmp_lt_u32_e32 vcc_lo, 0x7f800000, v3
	s_delay_alu instid0(VALU_DEP_2)
	v_cndmask_b32_e32 v2, 0x7e, v2, vcc_lo
; %bb.1018:
	s_or_b32 exec_lo, exec_lo, s4
	global_store_b8 v[0:1], v2, off
.LBB31_1019:
	s_mov_b32 s4, 0
.LBB31_1020:
	s_delay_alu instid0(SALU_CYCLE_1)
	s_and_not1_b32 vcc_lo, exec_lo, s4
	s_cbranch_vccnz .LBB31_1030
; %bb.1021:
	s_wait_xcnt 0x0
	v_cndmask_b32_e64 v3, 0, 1.0, s7
	s_mov_b32 s4, exec_lo
                                        ; implicit-def: $vgpr2
	s_delay_alu instid0(VALU_DEP_1)
	v_cmpx_gt_u32_e32 0x47800000, v3
	s_xor_b32 s4, exec_lo, s4
	s_cbranch_execz .LBB31_1027
; %bb.1022:
	s_mov_b32 s5, exec_lo
                                        ; implicit-def: $vgpr2
	v_cmpx_lt_u32_e32 0x387fffff, v3
	s_xor_b32 s5, exec_lo, s5
; %bb.1023:
	v_bfe_u32 v2, v3, 21, 1
	s_delay_alu instid0(VALU_DEP_1) | instskip(NEXT) | instid1(VALU_DEP_1)
	v_add3_u32 v2, v3, v2, 0x80fffff
                                        ; implicit-def: $vgpr3
	v_lshrrev_b32_e32 v2, 21, v2
; %bb.1024:
	s_and_not1_saveexec_b32 s5, s5
; %bb.1025:
	v_add_f32_e32 v2, 0x43000000, v3
; %bb.1026:
	s_or_b32 exec_lo, exec_lo, s5
                                        ; implicit-def: $vgpr3
.LBB31_1027:
	s_and_not1_saveexec_b32 s4, s4
; %bb.1028:
	v_mov_b32_e32 v2, 0x7f
	v_cmp_lt_u32_e32 vcc_lo, 0x7f800000, v3
	s_delay_alu instid0(VALU_DEP_2)
	v_cndmask_b32_e32 v2, 0x7c, v2, vcc_lo
; %bb.1029:
	s_or_b32 exec_lo, exec_lo, s4
	global_store_b8 v[0:1], v2, off
.LBB31_1030:
	s_mov_b32 s4, 0
.LBB31_1031:
	s_delay_alu instid0(SALU_CYCLE_1)
	s_and_not1_b32 vcc_lo, exec_lo, s4
	s_mov_b32 s4, 0
	s_cbranch_vccnz .LBB31_1039
; %bb.1032:
	s_cmp_gt_i32 s1, 14
	s_mov_b32 s4, -1
	s_cbranch_scc0 .LBB31_1036
; %bb.1033:
	s_cmp_eq_u32 s1, 15
	s_mov_b32 s0, -1
	s_cbranch_scc0 .LBB31_1035
; %bb.1034:
	s_wait_xcnt 0x0
	v_cndmask_b32_e64 v2, 0, 1.0, s7
	s_mov_b32 s0, 0
	s_delay_alu instid0(VALU_DEP_1) | instskip(NEXT) | instid1(VALU_DEP_1)
	v_bfe_u32 v3, v2, 16, 1
	v_add3_u32 v2, v2, v3, 0x7fff
	global_store_d16_hi_b16 v[0:1], v2, off
.LBB31_1035:
	s_mov_b32 s4, 0
.LBB31_1036:
	s_delay_alu instid0(SALU_CYCLE_1)
	s_and_b32 vcc_lo, exec_lo, s4
	s_mov_b32 s4, 0
	s_cbranch_vccz .LBB31_1039
; %bb.1037:
	s_cmp_lg_u32 s1, 11
	s_mov_b32 s4, -1
	s_cselect_b32 s1, -1, 0
	s_and_not1_b32 s0, s0, exec_lo
	s_and_b32 s1, s1, exec_lo
	s_delay_alu instid0(SALU_CYCLE_1)
	s_or_b32 s0, s0, s1
	s_branch .LBB31_1039
.LBB31_1038:
	s_mov_b32 s4, 0
.LBB31_1039:
	s_and_not1_b32 s1, s20, exec_lo
	s_and_b32 s0, s0, exec_lo
	s_and_b32 s11, s2, exec_lo
	;; [unrolled: 1-line block ×3, first 2 shown]
	s_or_b32 s20, s1, s0
	s_wait_xcnt 0x0
	s_or_b32 exec_lo, exec_lo, s10
	s_and_saveexec_b32 s0, s20
	s_cbranch_execz .LBB31_968
.LBB31_1040:
	s_or_b32 s6, s6, exec_lo
	s_and_not1_b32 s12, s12, exec_lo
	s_trap 2
	s_or_b32 exec_lo, exec_lo, s0
	s_and_saveexec_b32 s0, s12
	s_delay_alu instid0(SALU_CYCLE_1)
	s_xor_b32 s0, exec_lo, s0
	s_cbranch_execnz .LBB31_969
.LBB31_1041:
	s_or_b32 exec_lo, exec_lo, s0
	s_and_saveexec_b32 s0, s11
	s_delay_alu instid0(SALU_CYCLE_1)
	s_xor_b32 s0, exec_lo, s0
	s_cbranch_execz .LBB31_1079
.LBB31_1042:
	s_sext_i32_i16 s2, s8
	s_mov_b32 s1, -1
	s_cmp_lt_i32 s2, 5
	s_cbranch_scc1 .LBB31_1063
; %bb.1043:
	s_cmp_lt_i32 s2, 8
	s_cbranch_scc1 .LBB31_1053
; %bb.1044:
	;; [unrolled: 3-line block ×3, first 2 shown]
	s_cmp_gt_i32 s2, 9
	s_cbranch_scc0 .LBB31_1047
; %bb.1046:
	v_cndmask_b32_e64 v2, 0, 1, s7
	v_mov_b32_e32 v4, 0
	s_mov_b32 s1, 0
	s_delay_alu instid0(VALU_DEP_2) | instskip(NEXT) | instid1(VALU_DEP_2)
	v_cvt_f64_u32_e32 v[2:3], v2
	v_mov_b32_e32 v5, v4
	global_store_b128 v[0:1], v[2:5], off
.LBB31_1047:
	s_and_not1_b32 vcc_lo, exec_lo, s1
	s_cbranch_vccnz .LBB31_1049
; %bb.1048:
	s_wait_xcnt 0x0
	v_cndmask_b32_e64 v2, 0, 1.0, s7
	v_mov_b32_e32 v3, 0
	global_store_b64 v[0:1], v[2:3], off
.LBB31_1049:
	s_mov_b32 s1, 0
.LBB31_1050:
	s_delay_alu instid0(SALU_CYCLE_1)
	s_and_not1_b32 vcc_lo, exec_lo, s1
	s_cbranch_vccnz .LBB31_1052
; %bb.1051:
	s_wait_xcnt 0x0
	v_cndmask_b32_e64 v2, 0, 1.0, s7
	s_delay_alu instid0(VALU_DEP_1) | instskip(NEXT) | instid1(VALU_DEP_1)
	v_cvt_f16_f32_e32 v2, v2
	v_and_b32_e32 v2, 0xffff, v2
	global_store_b32 v[0:1], v2, off
.LBB31_1052:
	s_mov_b32 s1, 0
.LBB31_1053:
	s_delay_alu instid0(SALU_CYCLE_1)
	s_and_not1_b32 vcc_lo, exec_lo, s1
	s_cbranch_vccnz .LBB31_1062
; %bb.1054:
	s_sext_i32_i16 s2, s8
	s_mov_b32 s1, -1
	s_cmp_lt_i32 s2, 6
	s_cbranch_scc1 .LBB31_1060
; %bb.1055:
	s_cmp_gt_i32 s2, 6
	s_cbranch_scc0 .LBB31_1057
; %bb.1056:
	s_wait_xcnt 0x0
	v_cndmask_b32_e64 v2, 0, 1, s7
	s_mov_b32 s1, 0
	s_delay_alu instid0(VALU_DEP_1)
	v_cvt_f64_u32_e32 v[2:3], v2
	global_store_b64 v[0:1], v[2:3], off
.LBB31_1057:
	s_and_not1_b32 vcc_lo, exec_lo, s1
	s_cbranch_vccnz .LBB31_1059
; %bb.1058:
	s_wait_xcnt 0x0
	v_cndmask_b32_e64 v2, 0, 1.0, s7
	global_store_b32 v[0:1], v2, off
.LBB31_1059:
	s_mov_b32 s1, 0
.LBB31_1060:
	s_delay_alu instid0(SALU_CYCLE_1)
	s_and_not1_b32 vcc_lo, exec_lo, s1
	s_cbranch_vccnz .LBB31_1062
; %bb.1061:
	s_wait_xcnt 0x0
	v_cndmask_b32_e64 v2, 0, 1.0, s7
	s_delay_alu instid0(VALU_DEP_1)
	v_cvt_f16_f32_e32 v2, v2
	global_store_b16 v[0:1], v2, off
.LBB31_1062:
	s_mov_b32 s1, 0
.LBB31_1063:
	s_delay_alu instid0(SALU_CYCLE_1)
	s_and_not1_b32 vcc_lo, exec_lo, s1
	s_cbranch_vccnz .LBB31_1079
; %bb.1064:
	s_sext_i32_i16 s2, s8
	s_mov_b32 s1, -1
	s_cmp_lt_i32 s2, 2
	s_cbranch_scc1 .LBB31_1074
; %bb.1065:
	s_cmp_lt_i32 s2, 3
	s_cbranch_scc1 .LBB31_1071
; %bb.1066:
	s_cmp_gt_i32 s2, 3
	s_cbranch_scc0 .LBB31_1068
; %bb.1067:
	s_mov_b32 s1, 0
	s_wait_xcnt 0x0
	v_cndmask_b32_e64 v2, 0, 1, s7
	v_mov_b32_e32 v3, s1
	global_store_b64 v[0:1], v[2:3], off
.LBB31_1068:
	s_and_not1_b32 vcc_lo, exec_lo, s1
	s_cbranch_vccnz .LBB31_1070
; %bb.1069:
	s_wait_xcnt 0x0
	v_cndmask_b32_e64 v2, 0, 1, s7
	global_store_b32 v[0:1], v2, off
.LBB31_1070:
	s_mov_b32 s1, 0
.LBB31_1071:
	s_delay_alu instid0(SALU_CYCLE_1)
	s_and_not1_b32 vcc_lo, exec_lo, s1
	s_cbranch_vccnz .LBB31_1073
; %bb.1072:
	s_wait_xcnt 0x0
	v_cndmask_b32_e64 v2, 0, 1, s7
	global_store_b16 v[0:1], v2, off
.LBB31_1073:
	s_mov_b32 s1, 0
.LBB31_1074:
	s_delay_alu instid0(SALU_CYCLE_1)
	s_and_not1_b32 vcc_lo, exec_lo, s1
	s_cbranch_vccnz .LBB31_1079
; %bb.1075:
	s_sext_i32_i16 s1, s8
	s_delay_alu instid0(SALU_CYCLE_1)
	s_cmp_gt_i32 s1, 0
	s_mov_b32 s1, -1
	s_cbranch_scc0 .LBB31_1077
; %bb.1076:
	s_wait_xcnt 0x0
	v_cndmask_b32_e64 v2, 0, 1, s7
	s_mov_b32 s1, 0
	global_store_b8 v[0:1], v2, off
.LBB31_1077:
	s_and_not1_b32 vcc_lo, exec_lo, s1
	s_cbranch_vccnz .LBB31_1079
; %bb.1078:
	s_wait_xcnt 0x0
	v_cndmask_b32_e64 v2, 0, 1, s7
	global_store_b8 v[0:1], v2, off
.LBB31_1079:
	s_wait_xcnt 0x0
	s_or_b32 exec_lo, exec_lo, s0
	s_delay_alu instid0(SALU_CYCLE_1)
	s_and_b32 s8, s6, exec_lo
                                        ; implicit-def: $vgpr9
                                        ; implicit-def: $vgpr0
.LBB31_1080:
	s_or_saveexec_b32 s9, s36
	s_mov_b32 s0, 0
                                        ; implicit-def: $sgpr4
                                        ; implicit-def: $vgpr2_vgpr3
                                        ; implicit-def: $sgpr2
	s_xor_b32 exec_lo, exec_lo, s9
	s_cbranch_execz .LBB31_2074
; %bb.1081:
	v_cndmask_b32_e64 v1, 0, 1, s35
	s_and_not1_b32 vcc_lo, exec_lo, s35
	s_cbranch_vccnz .LBB31_1087
; %bb.1082:
	s_cmp_lg_u32 s33, 0
	s_mov_b32 s6, 0
	s_cbranch_scc0 .LBB31_1088
; %bb.1083:
	s_min_u32 s1, s34, 15
	s_delay_alu instid0(SALU_CYCLE_1)
	s_add_co_i32 s1, s1, 1
	s_cmp_eq_u32 s34, 2
	s_cbranch_scc1 .LBB31_1089
; %bb.1084:
	s_wait_loadcnt 0x0
	v_dual_mov_b32 v6, 0 :: v_dual_mov_b32 v14, 0
	v_mov_b32_e32 v2, v0
	s_and_b32 s0, s1, 28
	s_add_nc_u64 s[2:3], s[16:17], 0xc4
	s_mov_b32 s7, 0
	s_mov_b64 s[4:5], s[16:17]
.LBB31_1085:                            ; =>This Inner Loop Header: Depth=1
	s_clause 0x1
	s_load_b256 s[20:27], s[4:5], 0x4
	s_load_b128 s[12:15], s[4:5], 0x24
	s_load_b256 s[36:43], s[2:3], 0x0
	s_add_co_i32 s7, s7, 4
	s_wait_xcnt 0x0
	s_add_nc_u64 s[4:5], s[4:5], 48
	s_cmp_lg_u32 s0, s7
	s_add_nc_u64 s[2:3], s[2:3], 32
	s_wait_kmcnt 0x0
	v_mul_hi_u32 v3, s21, v2
	s_delay_alu instid0(VALU_DEP_1) | instskip(NEXT) | instid1(VALU_DEP_1)
	v_add_nc_u32_e32 v3, v2, v3
	v_lshrrev_b32_e32 v3, s22, v3
	s_delay_alu instid0(VALU_DEP_1) | instskip(NEXT) | instid1(VALU_DEP_1)
	v_mul_hi_u32 v4, s24, v3
	v_add_nc_u32_e32 v4, v3, v4
	s_delay_alu instid0(VALU_DEP_1) | instskip(NEXT) | instid1(VALU_DEP_1)
	v_lshrrev_b32_e32 v4, s25, v4
	v_mul_hi_u32 v5, s27, v4
	s_delay_alu instid0(VALU_DEP_1) | instskip(SKIP_1) | instid1(VALU_DEP_1)
	v_add_nc_u32_e32 v5, v4, v5
	v_mul_lo_u32 v7, v3, s20
	v_sub_nc_u32_e32 v2, v2, v7
	v_mul_lo_u32 v7, v4, s23
	s_delay_alu instid0(VALU_DEP_4) | instskip(NEXT) | instid1(VALU_DEP_3)
	v_lshrrev_b32_e32 v5, s12, v5
	v_mad_u32 v10, v2, s37, v14
	v_mad_u32 v2, v2, s36, v6
	s_delay_alu instid0(VALU_DEP_4) | instskip(NEXT) | instid1(VALU_DEP_4)
	v_sub_nc_u32_e32 v3, v3, v7
	v_mul_hi_u32 v8, s14, v5
	v_mul_lo_u32 v6, v5, s26
	s_delay_alu instid0(VALU_DEP_1) | instskip(NEXT) | instid1(VALU_DEP_4)
	v_dual_add_nc_u32 v7, v5, v8 :: v_dual_sub_nc_u32 v4, v4, v6
	v_mad_u32 v8, v3, s39, v10
	v_mad_u32 v3, v3, s38, v2
	s_delay_alu instid0(VALU_DEP_3) | instskip(NEXT) | instid1(VALU_DEP_1)
	v_lshrrev_b32_e32 v2, s15, v7
	v_mul_lo_u32 v6, v2, s13
	s_delay_alu instid0(VALU_DEP_4) | instskip(NEXT) | instid1(VALU_DEP_4)
	v_mad_u32 v7, v4, s41, v8
	v_mad_u32 v3, v4, s40, v3
	s_delay_alu instid0(VALU_DEP_3) | instskip(NEXT) | instid1(VALU_DEP_1)
	v_sub_nc_u32_e32 v4, v5, v6
	v_mad_u32 v14, v4, s43, v7
	s_delay_alu instid0(VALU_DEP_3)
	v_mad_u32 v6, v4, s42, v3
	s_cbranch_scc1 .LBB31_1085
; %bb.1086:
	s_delay_alu instid0(VALU_DEP_2)
	v_mov_b32_e32 v7, v14
	s_and_b32 s4, s1, 3
	s_mov_b32 s1, 0
	s_cmp_eq_u32 s4, 0
	s_cbranch_scc0 .LBB31_1090
	s_branch .LBB31_1093
.LBB31_1087:
	s_mov_b32 s6, -1
                                        ; implicit-def: $vgpr14
                                        ; implicit-def: $vgpr6
	s_branch .LBB31_1093
.LBB31_1088:
	s_wait_loadcnt 0x0
	v_dual_mov_b32 v14, 0 :: v_dual_mov_b32 v6, 0
	s_branch .LBB31_1093
.LBB31_1089:
	s_wait_loadcnt 0x0
	v_mov_b64_e32 v[6:7], 0
	v_mov_b32_e32 v2, v0
                                        ; implicit-def: $vgpr14
	s_and_b32 s4, s1, 3
	s_mov_b32 s1, 0
	s_cmp_eq_u32 s4, 0
	s_cbranch_scc1 .LBB31_1093
.LBB31_1090:
	s_lshl_b32 s2, s0, 3
	s_mov_b32 s3, s1
	s_mul_u64 s[10:11], s[0:1], 12
	s_add_nc_u64 s[2:3], s[16:17], s[2:3]
	s_delay_alu instid0(SALU_CYCLE_1)
	s_add_nc_u64 s[0:1], s[2:3], 0xc4
	s_add_nc_u64 s[2:3], s[16:17], s[10:11]
.LBB31_1091:                            ; =>This Inner Loop Header: Depth=1
	s_load_b96 s[12:14], s[2:3], 0x4
	s_load_b64 s[10:11], s[0:1], 0x0
	s_add_co_i32 s4, s4, -1
	s_wait_xcnt 0x0
	s_add_nc_u64 s[2:3], s[2:3], 12
	s_cmp_lg_u32 s4, 0
	s_add_nc_u64 s[0:1], s[0:1], 8
	s_wait_kmcnt 0x0
	v_mul_hi_u32 v3, s13, v2
	s_delay_alu instid0(VALU_DEP_1) | instskip(NEXT) | instid1(VALU_DEP_1)
	v_add_nc_u32_e32 v3, v2, v3
	v_lshrrev_b32_e32 v3, s14, v3
	s_delay_alu instid0(VALU_DEP_1) | instskip(NEXT) | instid1(VALU_DEP_1)
	v_mul_lo_u32 v4, v3, s12
	v_sub_nc_u32_e32 v2, v2, v4
	s_delay_alu instid0(VALU_DEP_1)
	v_mad_u32 v7, v2, s11, v7
	v_mad_u32 v6, v2, s10, v6
	v_mov_b32_e32 v2, v3
	s_cbranch_scc1 .LBB31_1091
; %bb.1092:
	s_delay_alu instid0(VALU_DEP_3)
	v_mov_b32_e32 v14, v7
.LBB31_1093:
	s_and_not1_b32 vcc_lo, exec_lo, s6
	s_cbranch_vccnz .LBB31_1096
; %bb.1094:
	s_clause 0x1
	s_load_b96 s[0:2], s[16:17], 0x4
	s_load_b64 s[4:5], s[16:17], 0xc4
	s_cmp_lt_u32 s33, 2
	s_wait_kmcnt 0x0
	v_mul_hi_u32 v2, s1, v0
	s_delay_alu instid0(VALU_DEP_1) | instskip(NEXT) | instid1(VALU_DEP_1)
	v_add_nc_u32_e32 v2, v0, v2
	v_lshrrev_b32_e32 v2, s2, v2
	s_delay_alu instid0(VALU_DEP_1) | instskip(NEXT) | instid1(VALU_DEP_1)
	v_mul_lo_u32 v3, v2, s0
	v_sub_nc_u32_e32 v3, v0, v3
	s_delay_alu instid0(VALU_DEP_1)
	v_mul_lo_u32 v14, v3, s5
	s_wait_loadcnt 0x0
	v_mul_lo_u32 v6, v3, s4
	s_cbranch_scc1 .LBB31_1096
; %bb.1095:
	s_clause 0x1
	s_load_b96 s[0:2], s[16:17], 0x10
	s_load_b64 s[4:5], s[16:17], 0xcc
	s_wait_kmcnt 0x0
	v_mul_hi_u32 v3, s1, v2
	s_delay_alu instid0(VALU_DEP_1) | instskip(NEXT) | instid1(VALU_DEP_1)
	v_add_nc_u32_e32 v3, v2, v3
	v_lshrrev_b32_e32 v3, s2, v3
	s_delay_alu instid0(VALU_DEP_1) | instskip(NEXT) | instid1(VALU_DEP_1)
	v_mul_lo_u32 v3, v3, s0
	v_sub_nc_u32_e32 v2, v2, v3
	s_delay_alu instid0(VALU_DEP_1)
	v_mad_u32 v6, v2, s4, v6
	v_mad_u32 v14, v2, s5, v14
.LBB31_1096:
	v_cmp_ne_u32_e32 vcc_lo, 1, v1
	v_add_nc_u32_e32 v2, 0x80, v0
	s_cbranch_vccnz .LBB31_1102
; %bb.1097:
	s_cmp_lg_u32 s33, 0
	s_mov_b32 s6, 0
	s_cbranch_scc0 .LBB31_1103
; %bb.1098:
	s_min_u32 s1, s34, 15
	s_delay_alu instid0(SALU_CYCLE_1)
	s_add_co_i32 s1, s1, 1
	s_cmp_eq_u32 s34, 2
	s_cbranch_scc1 .LBB31_1104
; %bb.1099:
	v_dual_mov_b32 v4, 0 :: v_dual_mov_b32 v12, 0
	v_mov_b32_e32 v3, v2
	s_and_b32 s0, s1, 28
	s_add_nc_u64 s[2:3], s[16:17], 0xc4
	s_mov_b32 s7, 0
	s_mov_b64 s[4:5], s[16:17]
.LBB31_1100:                            ; =>This Inner Loop Header: Depth=1
	s_clause 0x1
	s_load_b256 s[20:27], s[4:5], 0x4
	s_load_b128 s[12:15], s[4:5], 0x24
	s_load_b256 s[36:43], s[2:3], 0x0
	s_add_co_i32 s7, s7, 4
	s_wait_xcnt 0x0
	s_add_nc_u64 s[4:5], s[4:5], 48
	s_cmp_lg_u32 s0, s7
	s_add_nc_u64 s[2:3], s[2:3], 32
	s_wait_kmcnt 0x0
	v_mul_hi_u32 v5, s21, v3
	s_delay_alu instid0(VALU_DEP_1) | instskip(NEXT) | instid1(VALU_DEP_1)
	v_add_nc_u32_e32 v5, v3, v5
	v_lshrrev_b32_e32 v5, s22, v5
	s_wait_loadcnt 0x0
	s_delay_alu instid0(VALU_DEP_1) | instskip(NEXT) | instid1(VALU_DEP_1)
	v_mul_hi_u32 v7, s24, v5
	v_add_nc_u32_e32 v7, v5, v7
	s_delay_alu instid0(VALU_DEP_1) | instskip(NEXT) | instid1(VALU_DEP_1)
	v_lshrrev_b32_e32 v7, s25, v7
	v_mul_hi_u32 v8, s27, v7
	s_delay_alu instid0(VALU_DEP_1) | instskip(SKIP_1) | instid1(VALU_DEP_1)
	v_add_nc_u32_e32 v8, v7, v8
	v_mul_lo_u32 v10, v5, s20
	v_sub_nc_u32_e32 v3, v3, v10
	v_mul_lo_u32 v10, v7, s23
	s_delay_alu instid0(VALU_DEP_4) | instskip(NEXT) | instid1(VALU_DEP_3)
	v_lshrrev_b32_e32 v8, s12, v8
	v_mad_u32 v12, v3, s37, v12
	v_mad_u32 v3, v3, s36, v4
	s_delay_alu instid0(VALU_DEP_4) | instskip(NEXT) | instid1(VALU_DEP_4)
	v_sub_nc_u32_e32 v4, v5, v10
	v_mul_hi_u32 v11, s14, v8
	v_mul_lo_u32 v5, v8, s26
	s_delay_alu instid0(VALU_DEP_1) | instskip(NEXT) | instid1(VALU_DEP_4)
	v_dual_add_nc_u32 v10, v8, v11 :: v_dual_sub_nc_u32 v5, v7, v5
	v_mad_u32 v11, v4, s39, v12
	v_mad_u32 v4, v4, s38, v3
	s_delay_alu instid0(VALU_DEP_3) | instskip(NEXT) | instid1(VALU_DEP_1)
	v_lshrrev_b32_e32 v3, s15, v10
	v_mul_lo_u32 v7, v3, s13
	s_delay_alu instid0(VALU_DEP_4) | instskip(NEXT) | instid1(VALU_DEP_4)
	v_mad_u32 v10, v5, s41, v11
	v_mad_u32 v4, v5, s40, v4
	s_delay_alu instid0(VALU_DEP_3) | instskip(NEXT) | instid1(VALU_DEP_1)
	v_sub_nc_u32_e32 v5, v8, v7
	v_mad_u32 v12, v5, s43, v10
	s_delay_alu instid0(VALU_DEP_3)
	v_mad_u32 v4, v5, s42, v4
	s_cbranch_scc1 .LBB31_1100
; %bb.1101:
	s_delay_alu instid0(VALU_DEP_2)
	v_mov_b32_e32 v5, v12
	s_and_b32 s4, s1, 3
	s_mov_b32 s1, 0
	s_cmp_eq_u32 s4, 0
	s_cbranch_scc0 .LBB31_1105
	s_branch .LBB31_1108
.LBB31_1102:
	s_mov_b32 s6, -1
                                        ; implicit-def: $vgpr12
                                        ; implicit-def: $vgpr4
	s_branch .LBB31_1108
.LBB31_1103:
	v_dual_mov_b32 v12, 0 :: v_dual_mov_b32 v4, 0
	s_branch .LBB31_1108
.LBB31_1104:
	v_mov_b64_e32 v[4:5], 0
	v_mov_b32_e32 v3, v2
	s_mov_b32 s0, 0
                                        ; implicit-def: $vgpr12
	s_and_b32 s4, s1, 3
	s_mov_b32 s1, 0
	s_cmp_eq_u32 s4, 0
	s_cbranch_scc1 .LBB31_1108
.LBB31_1105:
	s_lshl_b32 s2, s0, 3
	s_mov_b32 s3, s1
	s_mul_u64 s[10:11], s[0:1], 12
	s_add_nc_u64 s[2:3], s[16:17], s[2:3]
	s_delay_alu instid0(SALU_CYCLE_1)
	s_add_nc_u64 s[0:1], s[2:3], 0xc4
	s_add_nc_u64 s[2:3], s[16:17], s[10:11]
.LBB31_1106:                            ; =>This Inner Loop Header: Depth=1
	s_load_b96 s[12:14], s[2:3], 0x4
	s_load_b64 s[10:11], s[0:1], 0x0
	s_add_co_i32 s4, s4, -1
	s_wait_xcnt 0x0
	s_add_nc_u64 s[2:3], s[2:3], 12
	s_cmp_lg_u32 s4, 0
	s_add_nc_u64 s[0:1], s[0:1], 8
	s_wait_loadcnt 0x0
	s_wait_kmcnt 0x0
	v_mul_hi_u32 v7, s13, v3
	s_delay_alu instid0(VALU_DEP_1) | instskip(NEXT) | instid1(VALU_DEP_1)
	v_add_nc_u32_e32 v7, v3, v7
	v_lshrrev_b32_e32 v7, s14, v7
	s_delay_alu instid0(VALU_DEP_1) | instskip(NEXT) | instid1(VALU_DEP_1)
	v_mul_lo_u32 v8, v7, s12
	v_sub_nc_u32_e32 v3, v3, v8
	s_delay_alu instid0(VALU_DEP_1)
	v_mad_u32 v5, v3, s11, v5
	v_mad_u32 v4, v3, s10, v4
	v_mov_b32_e32 v3, v7
	s_cbranch_scc1 .LBB31_1106
; %bb.1107:
	s_delay_alu instid0(VALU_DEP_3)
	v_mov_b32_e32 v12, v5
.LBB31_1108:
	s_and_not1_b32 vcc_lo, exec_lo, s6
	s_cbranch_vccnz .LBB31_1111
; %bb.1109:
	s_clause 0x1
	s_load_b96 s[0:2], s[16:17], 0x4
	s_load_b64 s[4:5], s[16:17], 0xc4
	s_cmp_lt_u32 s33, 2
	s_wait_kmcnt 0x0
	v_mul_hi_u32 v3, s1, v2
	s_delay_alu instid0(VALU_DEP_1) | instskip(NEXT) | instid1(VALU_DEP_1)
	v_add_nc_u32_e32 v3, v2, v3
	v_lshrrev_b32_e32 v3, s2, v3
	s_delay_alu instid0(VALU_DEP_1) | instskip(NEXT) | instid1(VALU_DEP_1)
	v_mul_lo_u32 v4, v3, s0
	v_sub_nc_u32_e32 v2, v2, v4
	s_delay_alu instid0(VALU_DEP_1)
	v_mul_lo_u32 v12, v2, s5
	v_mul_lo_u32 v4, v2, s4
	s_cbranch_scc1 .LBB31_1111
; %bb.1110:
	s_clause 0x1
	s_load_b96 s[0:2], s[16:17], 0x10
	s_load_b64 s[4:5], s[16:17], 0xcc
	s_wait_kmcnt 0x0
	v_mul_hi_u32 v2, s1, v3
	s_delay_alu instid0(VALU_DEP_1) | instskip(NEXT) | instid1(VALU_DEP_1)
	v_add_nc_u32_e32 v2, v3, v2
	v_lshrrev_b32_e32 v2, s2, v2
	s_delay_alu instid0(VALU_DEP_1) | instskip(NEXT) | instid1(VALU_DEP_1)
	v_mul_lo_u32 v2, v2, s0
	v_sub_nc_u32_e32 v2, v3, v2
	s_delay_alu instid0(VALU_DEP_1)
	v_mad_u32 v4, v2, s4, v4
	v_mad_u32 v12, v2, s5, v12
.LBB31_1111:
	v_cmp_ne_u32_e32 vcc_lo, 1, v1
	v_add_nc_u32_e32 v0, 0x100, v0
	s_cbranch_vccnz .LBB31_1117
; %bb.1112:
	s_cmp_lg_u32 s33, 0
	s_mov_b32 s6, 0
	s_cbranch_scc0 .LBB31_1118
; %bb.1113:
	s_min_u32 s1, s34, 15
	s_delay_alu instid0(SALU_CYCLE_1)
	s_add_co_i32 s1, s1, 1
	s_cmp_eq_u32 s34, 2
	s_cbranch_scc1 .LBB31_1119
; %bb.1114:
	v_dual_mov_b32 v2, 0 :: v_dual_mov_b32 v10, 0
	v_mov_b32_e32 v5, v0
	s_and_b32 s0, s1, 28
	s_add_nc_u64 s[2:3], s[16:17], 0xc4
	s_mov_b32 s7, 0
	s_mov_b64 s[4:5], s[16:17]
.LBB31_1115:                            ; =>This Inner Loop Header: Depth=1
	s_clause 0x1
	s_load_b256 s[20:27], s[4:5], 0x4
	s_load_b128 s[12:15], s[4:5], 0x24
	s_load_b256 s[36:43], s[2:3], 0x0
	s_add_co_i32 s7, s7, 4
	s_wait_xcnt 0x0
	s_add_nc_u64 s[4:5], s[4:5], 48
	s_cmp_lg_u32 s0, s7
	s_add_nc_u64 s[2:3], s[2:3], 32
	s_wait_kmcnt 0x0
	v_mul_hi_u32 v3, s21, v5
	s_delay_alu instid0(VALU_DEP_1) | instskip(NEXT) | instid1(VALU_DEP_1)
	v_add_nc_u32_e32 v3, v5, v3
	v_lshrrev_b32_e32 v3, s22, v3
	s_wait_loadcnt 0x0
	s_delay_alu instid0(VALU_DEP_1) | instskip(NEXT) | instid1(VALU_DEP_1)
	v_mul_hi_u32 v7, s24, v3
	v_add_nc_u32_e32 v7, v3, v7
	s_delay_alu instid0(VALU_DEP_1) | instskip(NEXT) | instid1(VALU_DEP_1)
	v_lshrrev_b32_e32 v7, s25, v7
	v_mul_hi_u32 v8, s27, v7
	s_delay_alu instid0(VALU_DEP_1) | instskip(NEXT) | instid1(VALU_DEP_1)
	v_add_nc_u32_e32 v8, v7, v8
	v_lshrrev_b32_e32 v8, s12, v8
	v_mul_lo_u32 v11, v3, s20
	s_delay_alu instid0(VALU_DEP_2) | instskip(NEXT) | instid1(VALU_DEP_2)
	v_mul_hi_u32 v13, s14, v8
	v_sub_nc_u32_e32 v5, v5, v11
	s_delay_alu instid0(VALU_DEP_1) | instskip(SKIP_1) | instid1(VALU_DEP_4)
	v_mad_u32 v10, v5, s37, v10
	v_mad_u32 v2, v5, s36, v2
	v_add_nc_u32_e32 v5, v8, v13
	s_delay_alu instid0(VALU_DEP_1) | instskip(SKIP_1) | instid1(VALU_DEP_1)
	v_lshrrev_b32_e32 v5, s15, v5
	v_mul_lo_u32 v11, v7, s23
	v_sub_nc_u32_e32 v3, v3, v11
	v_mul_lo_u32 v11, v8, s26
	s_delay_alu instid0(VALU_DEP_2) | instskip(SKIP_1) | instid1(VALU_DEP_3)
	v_mad_u32 v10, v3, s39, v10
	v_mad_u32 v2, v3, s38, v2
	v_sub_nc_u32_e32 v3, v7, v11
	v_mul_lo_u32 v7, v5, s13
	s_delay_alu instid0(VALU_DEP_2) | instskip(NEXT) | instid1(VALU_DEP_4)
	v_mad_u32 v10, v3, s41, v10
	v_mad_u32 v2, v3, s40, v2
	s_delay_alu instid0(VALU_DEP_3) | instskip(NEXT) | instid1(VALU_DEP_1)
	v_sub_nc_u32_e32 v3, v8, v7
	v_mad_u32 v10, v3, s43, v10
	s_delay_alu instid0(VALU_DEP_3)
	v_mad_u32 v2, v3, s42, v2
	s_cbranch_scc1 .LBB31_1115
; %bb.1116:
	s_delay_alu instid0(VALU_DEP_2)
	v_mov_b32_e32 v3, v10
	s_and_b32 s4, s1, 3
	s_mov_b32 s1, 0
	s_cmp_eq_u32 s4, 0
	s_cbranch_scc0 .LBB31_1120
	s_branch .LBB31_1123
.LBB31_1117:
	s_mov_b32 s6, -1
                                        ; implicit-def: $vgpr10
                                        ; implicit-def: $vgpr2
	s_branch .LBB31_1123
.LBB31_1118:
	v_dual_mov_b32 v10, 0 :: v_dual_mov_b32 v2, 0
	s_branch .LBB31_1123
.LBB31_1119:
	v_mov_b64_e32 v[2:3], 0
	v_mov_b32_e32 v5, v0
	s_mov_b32 s0, 0
                                        ; implicit-def: $vgpr10
	s_and_b32 s4, s1, 3
	s_mov_b32 s1, 0
	s_cmp_eq_u32 s4, 0
	s_cbranch_scc1 .LBB31_1123
.LBB31_1120:
	s_lshl_b32 s2, s0, 3
	s_mov_b32 s3, s1
	s_mul_u64 s[10:11], s[0:1], 12
	s_add_nc_u64 s[2:3], s[16:17], s[2:3]
	s_delay_alu instid0(SALU_CYCLE_1)
	s_add_nc_u64 s[0:1], s[2:3], 0xc4
	s_add_nc_u64 s[2:3], s[16:17], s[10:11]
.LBB31_1121:                            ; =>This Inner Loop Header: Depth=1
	s_load_b96 s[12:14], s[2:3], 0x4
	s_load_b64 s[10:11], s[0:1], 0x0
	s_add_co_i32 s4, s4, -1
	s_wait_xcnt 0x0
	s_add_nc_u64 s[2:3], s[2:3], 12
	s_cmp_lg_u32 s4, 0
	s_add_nc_u64 s[0:1], s[0:1], 8
	s_wait_loadcnt 0x0
	s_wait_kmcnt 0x0
	v_mul_hi_u32 v7, s13, v5
	s_delay_alu instid0(VALU_DEP_1) | instskip(NEXT) | instid1(VALU_DEP_1)
	v_add_nc_u32_e32 v7, v5, v7
	v_lshrrev_b32_e32 v7, s14, v7
	s_delay_alu instid0(VALU_DEP_1) | instskip(NEXT) | instid1(VALU_DEP_1)
	v_mul_lo_u32 v8, v7, s12
	v_sub_nc_u32_e32 v5, v5, v8
	s_delay_alu instid0(VALU_DEP_1)
	v_mad_u32 v3, v5, s11, v3
	v_mad_u32 v2, v5, s10, v2
	v_mov_b32_e32 v5, v7
	s_cbranch_scc1 .LBB31_1121
; %bb.1122:
	s_delay_alu instid0(VALU_DEP_3)
	v_mov_b32_e32 v10, v3
.LBB31_1123:
	s_and_not1_b32 vcc_lo, exec_lo, s6
	s_cbranch_vccnz .LBB31_1126
; %bb.1124:
	s_clause 0x1
	s_load_b96 s[0:2], s[16:17], 0x4
	s_load_b64 s[4:5], s[16:17], 0xc4
	s_cmp_lt_u32 s33, 2
	s_wait_kmcnt 0x0
	v_mul_hi_u32 v2, s1, v0
	s_delay_alu instid0(VALU_DEP_1) | instskip(NEXT) | instid1(VALU_DEP_1)
	v_add_nc_u32_e32 v2, v0, v2
	v_lshrrev_b32_e32 v3, s2, v2
	s_delay_alu instid0(VALU_DEP_1) | instskip(NEXT) | instid1(VALU_DEP_1)
	v_mul_lo_u32 v2, v3, s0
	v_sub_nc_u32_e32 v0, v0, v2
	s_delay_alu instid0(VALU_DEP_1)
	v_mul_lo_u32 v10, v0, s5
	v_mul_lo_u32 v2, v0, s4
	s_cbranch_scc1 .LBB31_1126
; %bb.1125:
	s_clause 0x1
	s_load_b96 s[0:2], s[16:17], 0x10
	s_load_b64 s[4:5], s[16:17], 0xcc
	s_wait_kmcnt 0x0
	v_mul_hi_u32 v0, s1, v3
	s_delay_alu instid0(VALU_DEP_1) | instskip(NEXT) | instid1(VALU_DEP_1)
	v_add_nc_u32_e32 v0, v3, v0
	v_lshrrev_b32_e32 v0, s2, v0
	s_delay_alu instid0(VALU_DEP_1) | instskip(NEXT) | instid1(VALU_DEP_1)
	v_mul_lo_u32 v0, v0, s0
	v_sub_nc_u32_e32 v0, v3, v0
	s_delay_alu instid0(VALU_DEP_1)
	v_mad_u32 v2, v0, s4, v2
	v_mad_u32 v10, v0, s5, v10
.LBB31_1126:
	v_cmp_ne_u32_e32 vcc_lo, 1, v1
	s_cbranch_vccnz .LBB31_1132
; %bb.1127:
	s_cmp_lg_u32 s33, 0
	s_mov_b32 s6, 0
	s_cbranch_scc0 .LBB31_1133
; %bb.1128:
	s_min_u32 s1, s34, 15
	s_delay_alu instid0(SALU_CYCLE_1)
	s_add_co_i32 s1, s1, 1
	s_cmp_eq_u32 s34, 2
	s_cbranch_scc1 .LBB31_1134
; %bb.1129:
	v_dual_mov_b32 v0, 0 :: v_dual_mov_b32 v8, 0
	v_mov_b32_e32 v3, v9
	s_and_b32 s0, s1, 28
	s_add_nc_u64 s[2:3], s[16:17], 0xc4
	s_mov_b32 s7, 0
	s_mov_b64 s[4:5], s[16:17]
.LBB31_1130:                            ; =>This Inner Loop Header: Depth=1
	s_clause 0x1
	s_load_b256 s[20:27], s[4:5], 0x4
	s_load_b128 s[12:15], s[4:5], 0x24
	s_load_b256 s[36:43], s[2:3], 0x0
	s_add_co_i32 s7, s7, 4
	s_wait_xcnt 0x0
	s_add_nc_u64 s[4:5], s[4:5], 48
	s_cmp_lg_u32 s0, s7
	s_add_nc_u64 s[2:3], s[2:3], 32
	s_wait_kmcnt 0x0
	v_mul_hi_u32 v1, s21, v3
	s_delay_alu instid0(VALU_DEP_1) | instskip(NEXT) | instid1(VALU_DEP_1)
	v_add_nc_u32_e32 v1, v3, v1
	v_lshrrev_b32_e32 v1, s22, v1
	s_delay_alu instid0(VALU_DEP_1) | instskip(NEXT) | instid1(VALU_DEP_1)
	v_mul_lo_u32 v11, v1, s20
	v_sub_nc_u32_e32 v3, v3, v11
	v_mul_hi_u32 v5, s24, v1
	s_delay_alu instid0(VALU_DEP_2) | instskip(SKIP_1) | instid1(VALU_DEP_3)
	v_mad_u32 v8, v3, s37, v8
	v_mad_u32 v0, v3, s36, v0
	v_add_nc_u32_e32 v5, v1, v5
	s_delay_alu instid0(VALU_DEP_1) | instskip(NEXT) | instid1(VALU_DEP_1)
	v_lshrrev_b32_e32 v5, s25, v5
	v_mul_lo_u32 v11, v5, s23
	s_delay_alu instid0(VALU_DEP_1) | instskip(SKIP_2) | instid1(VALU_DEP_2)
	v_sub_nc_u32_e32 v1, v1, v11
	s_wait_loadcnt 0x0
	v_mul_hi_u32 v7, s27, v5
	v_mad_u32 v8, v1, s39, v8
	v_mad_u32 v0, v1, s38, v0
	s_delay_alu instid0(VALU_DEP_3) | instskip(NEXT) | instid1(VALU_DEP_1)
	v_add_nc_u32_e32 v7, v5, v7
	v_lshrrev_b32_e32 v7, s12, v7
	s_delay_alu instid0(VALU_DEP_1) | instskip(SKIP_1) | instid1(VALU_DEP_1)
	v_mul_hi_u32 v13, s14, v7
	v_mul_lo_u32 v11, v7, s26
	v_dual_add_nc_u32 v3, v7, v13 :: v_dual_sub_nc_u32 v1, v5, v11
	s_delay_alu instid0(VALU_DEP_1) | instskip(NEXT) | instid1(VALU_DEP_2)
	v_lshrrev_b32_e32 v3, s15, v3
	v_mad_u32 v8, v1, s41, v8
	v_mad_u32 v0, v1, s40, v0
	s_delay_alu instid0(VALU_DEP_3) | instskip(NEXT) | instid1(VALU_DEP_1)
	v_mul_lo_u32 v5, v3, s13
	v_sub_nc_u32_e32 v1, v7, v5
	s_delay_alu instid0(VALU_DEP_1) | instskip(NEXT) | instid1(VALU_DEP_4)
	v_mad_u32 v8, v1, s43, v8
	v_mad_u32 v0, v1, s42, v0
	s_cbranch_scc1 .LBB31_1130
; %bb.1131:
	s_delay_alu instid0(VALU_DEP_2)
	v_mov_b32_e32 v1, v8
	s_and_b32 s4, s1, 3
	s_mov_b32 s1, 0
	s_cmp_eq_u32 s4, 0
	s_cbranch_scc0 .LBB31_1135
	s_branch .LBB31_1138
.LBB31_1132:
	s_mov_b32 s6, -1
                                        ; implicit-def: $vgpr8
                                        ; implicit-def: $vgpr0
	s_branch .LBB31_1138
.LBB31_1133:
	v_dual_mov_b32 v8, 0 :: v_dual_mov_b32 v0, 0
	s_branch .LBB31_1138
.LBB31_1134:
	v_mov_b64_e32 v[0:1], 0
	v_mov_b32_e32 v3, v9
	s_mov_b32 s0, 0
                                        ; implicit-def: $vgpr8
	s_and_b32 s4, s1, 3
	s_mov_b32 s1, 0
	s_cmp_eq_u32 s4, 0
	s_cbranch_scc1 .LBB31_1138
.LBB31_1135:
	s_lshl_b32 s2, s0, 3
	s_mov_b32 s3, s1
	s_mul_u64 s[10:11], s[0:1], 12
	s_add_nc_u64 s[2:3], s[16:17], s[2:3]
	s_delay_alu instid0(SALU_CYCLE_1)
	s_add_nc_u64 s[0:1], s[2:3], 0xc4
	s_add_nc_u64 s[2:3], s[16:17], s[10:11]
.LBB31_1136:                            ; =>This Inner Loop Header: Depth=1
	s_load_b96 s[12:14], s[2:3], 0x4
	s_load_b64 s[10:11], s[0:1], 0x0
	s_add_co_i32 s4, s4, -1
	s_wait_xcnt 0x0
	s_add_nc_u64 s[2:3], s[2:3], 12
	s_cmp_lg_u32 s4, 0
	s_add_nc_u64 s[0:1], s[0:1], 8
	s_wait_kmcnt 0x0
	v_mul_hi_u32 v5, s13, v3
	s_delay_alu instid0(VALU_DEP_1) | instskip(NEXT) | instid1(VALU_DEP_1)
	v_add_nc_u32_e32 v5, v3, v5
	v_lshrrev_b32_e32 v5, s14, v5
	s_wait_loadcnt 0x0
	s_delay_alu instid0(VALU_DEP_1) | instskip(NEXT) | instid1(VALU_DEP_1)
	v_mul_lo_u32 v7, v5, s12
	v_sub_nc_u32_e32 v3, v3, v7
	s_delay_alu instid0(VALU_DEP_1)
	v_mad_u32 v1, v3, s11, v1
	v_mad_u32 v0, v3, s10, v0
	v_mov_b32_e32 v3, v5
	s_cbranch_scc1 .LBB31_1136
; %bb.1137:
	s_delay_alu instid0(VALU_DEP_3)
	v_mov_b32_e32 v8, v1
.LBB31_1138:
	s_and_not1_b32 vcc_lo, exec_lo, s6
	s_cbranch_vccnz .LBB31_1141
; %bb.1139:
	s_clause 0x1
	s_load_b96 s[0:2], s[16:17], 0x4
	s_load_b64 s[4:5], s[16:17], 0xc4
	s_cmp_lt_u32 s33, 2
	s_wait_kmcnt 0x0
	v_mul_hi_u32 v0, s1, v9
	s_delay_alu instid0(VALU_DEP_1) | instskip(NEXT) | instid1(VALU_DEP_1)
	v_add_nc_u32_e32 v0, v9, v0
	v_lshrrev_b32_e32 v1, s2, v0
	s_delay_alu instid0(VALU_DEP_1) | instskip(NEXT) | instid1(VALU_DEP_1)
	v_mul_lo_u32 v0, v1, s0
	v_sub_nc_u32_e32 v0, v9, v0
	s_delay_alu instid0(VALU_DEP_1)
	v_mul_lo_u32 v8, v0, s5
	v_mul_lo_u32 v0, v0, s4
	s_cbranch_scc1 .LBB31_1141
; %bb.1140:
	s_clause 0x1
	s_load_b96 s[0:2], s[16:17], 0x10
	s_load_b64 s[4:5], s[16:17], 0xcc
	s_wait_kmcnt 0x0
	v_mul_hi_u32 v3, s1, v1
	s_delay_alu instid0(VALU_DEP_1) | instskip(NEXT) | instid1(VALU_DEP_1)
	v_add_nc_u32_e32 v3, v1, v3
	v_lshrrev_b32_e32 v3, s2, v3
	s_delay_alu instid0(VALU_DEP_1) | instskip(NEXT) | instid1(VALU_DEP_1)
	v_mul_lo_u32 v3, v3, s0
	v_sub_nc_u32_e32 v1, v1, v3
	s_delay_alu instid0(VALU_DEP_1)
	v_mad_u32 v0, v1, s4, v0
	v_mad_u32 v8, v1, s5, v8
.LBB31_1141:
	v_mov_b32_e32 v15, 0
	s_load_b128 s[4:7], s[16:17], 0x148
	global_load_u8 v1, v15, s[16:17] offset:353
	s_wait_kmcnt 0x0
	v_add_nc_u64_e32 v[16:17], s[6:7], v[14:15]
	s_wait_loadcnt 0x0
	v_and_b32_e32 v3, 0xffff, v1
	v_readfirstlane_b32 s0, v1
	s_delay_alu instid0(VALU_DEP_2)
	v_cmp_gt_i32_e32 vcc_lo, 11, v3
	s_cbranch_vccnz .LBB31_1148
; %bb.1142:
	s_and_b32 s1, 0xffff, s0
	s_mov_b32 s3, 0
	s_cmp_gt_i32 s1, 25
	s_cbranch_scc0 .LBB31_1150
; %bb.1143:
	s_cmp_gt_i32 s1, 28
	s_cbranch_scc0 .LBB31_1151
; %bb.1144:
	;; [unrolled: 3-line block ×4, first 2 shown]
	s_cmp_eq_u32 s1, 46
	s_mov_b32 s11, 0
	s_cbranch_scc0 .LBB31_1156
; %bb.1147:
	global_load_b32 v1, v[16:17], off
	s_mov_b32 s2, 0
	s_mov_b32 s10, -1
	s_wait_loadcnt 0x0
	v_lshlrev_b32_e32 v1, 16, v1
	s_delay_alu instid0(VALU_DEP_1)
	v_cvt_i32_f32_e32 v14, v1
	s_branch .LBB31_1158
.LBB31_1148:
	s_mov_b32 s10, 0
	s_mov_b32 s1, s8
                                        ; implicit-def: $vgpr14
	s_cbranch_execnz .LBB31_1216
.LBB31_1149:
	s_and_not1_b32 vcc_lo, exec_lo, s10
	s_cbranch_vccz .LBB31_1261
	s_branch .LBB31_2072
.LBB31_1150:
	s_mov_b32 s10, 0
	s_mov_b32 s2, 0
                                        ; implicit-def: $vgpr14
	s_cbranch_execnz .LBB31_1183
	s_branch .LBB31_1212
.LBB31_1151:
	s_mov_b32 s10, 0
	s_mov_b32 s2, 0
                                        ; implicit-def: $vgpr14
	s_cbranch_execz .LBB31_1182
	s_branch .LBB31_1167
.LBB31_1152:
	s_mov_b32 s10, 0
	s_mov_b32 s2, 0
                                        ; implicit-def: $vgpr14
	s_cbranch_execnz .LBB31_1163
	s_branch .LBB31_1166
.LBB31_1153:
	s_mov_b32 s11, -1
	s_mov_b32 s10, 0
	s_mov_b32 s2, 0
	s_branch .LBB31_1157
.LBB31_1154:
	s_and_not1_saveexec_b32 s5, s5
	s_cbranch_execz .LBB31_993
.LBB31_1155:
	v_add_f32_e32 v2, 0x46000000, v3
	s_and_not1_b32 s4, s4, exec_lo
	s_delay_alu instid0(VALU_DEP_1) | instskip(NEXT) | instid1(VALU_DEP_1)
	v_and_b32_e32 v2, 0xff, v2
	v_cmp_ne_u32_e32 vcc_lo, 0, v2
	s_and_b32 s9, vcc_lo, exec_lo
	s_delay_alu instid0(SALU_CYCLE_1)
	s_or_b32 s4, s4, s9
	s_or_b32 exec_lo, exec_lo, s5
	v_mov_b32_e32 v4, 0
	s_and_saveexec_b32 s5, s4
	s_cbranch_execnz .LBB31_994
	s_branch .LBB31_995
.LBB31_1156:
	s_mov_b32 s2, -1
	s_mov_b32 s10, 0
.LBB31_1157:
                                        ; implicit-def: $vgpr14
.LBB31_1158:
	s_and_b32 vcc_lo, exec_lo, s11
	s_cbranch_vccz .LBB31_1161
; %bb.1159:
	s_cmp_eq_u32 s1, 44
	s_cbranch_scc0 .LBB31_1162
; %bb.1160:
	global_load_u8 v1, v[16:17], off
	s_mov_b32 s2, 0
	s_mov_b32 s10, -1
	s_wait_loadcnt 0x0
	v_lshlrev_b32_e32 v3, 23, v1
	v_cmp_ne_u32_e32 vcc_lo, 0, v1
	s_delay_alu instid0(VALU_DEP_2) | instskip(NEXT) | instid1(VALU_DEP_1)
	v_cvt_i32_f32_e32 v3, v3
	v_cndmask_b32_e32 v14, 0, v3, vcc_lo
.LBB31_1161:
	s_branch .LBB31_1166
.LBB31_1162:
	s_mov_b32 s2, -1
                                        ; implicit-def: $vgpr14
	s_branch .LBB31_1166
.LBB31_1163:
	s_cmp_eq_u32 s1, 29
	s_cbranch_scc0 .LBB31_1165
; %bb.1164:
	global_load_b64 v[14:15], v[16:17], off
	s_mov_b32 s2, 0
	s_mov_b32 s10, -1
	s_branch .LBB31_1166
.LBB31_1165:
	s_mov_b32 s2, -1
                                        ; implicit-def: $vgpr14
.LBB31_1166:
	s_branch .LBB31_1182
.LBB31_1167:
	s_cmp_lt_i32 s1, 27
	s_cbranch_scc1 .LBB31_1170
; %bb.1168:
	s_cmp_gt_i32 s1, 27
	s_cbranch_scc0 .LBB31_1171
; %bb.1169:
	s_wait_loadcnt 0x0
	global_load_b32 v14, v[16:17], off
	s_mov_b32 s10, 0
	s_branch .LBB31_1172
.LBB31_1170:
	s_mov_b32 s10, -1
                                        ; implicit-def: $vgpr14
	s_branch .LBB31_1175
.LBB31_1171:
	s_mov_b32 s10, -1
                                        ; implicit-def: $vgpr14
.LBB31_1172:
	s_delay_alu instid0(SALU_CYCLE_1)
	s_and_not1_b32 vcc_lo, exec_lo, s10
	s_cbranch_vccnz .LBB31_1174
; %bb.1173:
	s_wait_loadcnt 0x0
	global_load_u16 v14, v[16:17], off
.LBB31_1174:
	s_mov_b32 s10, 0
.LBB31_1175:
	s_delay_alu instid0(SALU_CYCLE_1)
	s_and_not1_b32 vcc_lo, exec_lo, s10
	s_cbranch_vccnz .LBB31_1181
; %bb.1176:
	global_load_u8 v1, v[16:17], off
	s_mov_b32 s11, 0
	s_mov_b32 s10, exec_lo
	s_wait_loadcnt 0x0
	v_cmpx_lt_i16_e32 0x7f, v1
	s_xor_b32 s10, exec_lo, s10
	s_cbranch_execz .LBB31_1192
; %bb.1177:
	v_cmp_ne_u16_e32 vcc_lo, 0x80, v1
	s_and_b32 s11, vcc_lo, exec_lo
	s_and_not1_saveexec_b32 s10, s10
	s_cbranch_execnz .LBB31_1193
.LBB31_1178:
	s_or_b32 exec_lo, exec_lo, s10
	v_mov_b32_e32 v14, 0
	s_and_saveexec_b32 s10, s11
	s_cbranch_execz .LBB31_1180
.LBB31_1179:
	v_and_b32_e32 v3, 0xffff, v1
	s_delay_alu instid0(VALU_DEP_1) | instskip(SKIP_1) | instid1(VALU_DEP_2)
	v_dual_lshlrev_b32 v1, 24, v1 :: v_dual_bitop2_b32 v5, 7, v3 bitop3:0x40
	v_bfe_u32 v11, v3, 3, 4
	v_and_b32_e32 v1, 0x80000000, v1
	s_delay_alu instid0(VALU_DEP_3) | instskip(NEXT) | instid1(VALU_DEP_3)
	v_clz_i32_u32_e32 v7, v5
	v_cmp_eq_u32_e32 vcc_lo, 0, v11
	s_delay_alu instid0(VALU_DEP_2) | instskip(NEXT) | instid1(VALU_DEP_1)
	v_min_u32_e32 v7, 32, v7
	v_subrev_nc_u32_e32 v9, 28, v7
	v_sub_nc_u32_e32 v7, 29, v7
	s_delay_alu instid0(VALU_DEP_2) | instskip(NEXT) | instid1(VALU_DEP_2)
	v_lshlrev_b32_e32 v3, v9, v3
	v_cndmask_b32_e32 v7, v11, v7, vcc_lo
	s_delay_alu instid0(VALU_DEP_2) | instskip(NEXT) | instid1(VALU_DEP_1)
	v_and_b32_e32 v3, 7, v3
	v_cndmask_b32_e32 v3, v5, v3, vcc_lo
	s_delay_alu instid0(VALU_DEP_3) | instskip(NEXT) | instid1(VALU_DEP_2)
	v_lshl_add_u32 v5, v7, 23, 0x3b800000
	v_lshlrev_b32_e32 v3, 20, v3
	s_delay_alu instid0(VALU_DEP_1) | instskip(NEXT) | instid1(VALU_DEP_1)
	v_or3_b32 v1, v1, v5, v3
	v_cvt_i32_f32_e32 v14, v1
.LBB31_1180:
	s_or_b32 exec_lo, exec_lo, s10
.LBB31_1181:
	s_mov_b32 s10, -1
.LBB31_1182:
	s_branch .LBB31_1212
.LBB31_1183:
	s_cmp_gt_i32 s1, 22
	s_cbranch_scc0 .LBB31_1191
; %bb.1184:
	s_cmp_lt_i32 s1, 24
	s_cbranch_scc1 .LBB31_1194
; %bb.1185:
	s_cmp_gt_i32 s1, 24
	s_cbranch_scc0 .LBB31_1195
; %bb.1186:
	global_load_u8 v1, v[16:17], off
	s_mov_b32 s10, 0
	s_mov_b32 s3, exec_lo
	s_wait_loadcnt 0x0
	v_cmpx_lt_i16_e32 0x7f, v1
	s_xor_b32 s3, exec_lo, s3
	s_cbranch_execz .LBB31_1206
; %bb.1187:
	v_cmp_ne_u16_e32 vcc_lo, 0x80, v1
	s_and_b32 s10, vcc_lo, exec_lo
	s_and_not1_saveexec_b32 s3, s3
	s_cbranch_execnz .LBB31_1207
.LBB31_1188:
	s_or_b32 exec_lo, exec_lo, s3
	v_mov_b32_e32 v14, 0
	s_and_saveexec_b32 s3, s10
	s_cbranch_execz .LBB31_1190
.LBB31_1189:
	v_and_b32_e32 v3, 0xffff, v1
	s_delay_alu instid0(VALU_DEP_1) | instskip(SKIP_1) | instid1(VALU_DEP_2)
	v_dual_lshlrev_b32 v1, 24, v1 :: v_dual_bitop2_b32 v5, 3, v3 bitop3:0x40
	v_bfe_u32 v11, v3, 2, 5
	v_and_b32_e32 v1, 0x80000000, v1
	s_delay_alu instid0(VALU_DEP_3) | instskip(NEXT) | instid1(VALU_DEP_3)
	v_clz_i32_u32_e32 v7, v5
	v_cmp_eq_u32_e32 vcc_lo, 0, v11
	s_delay_alu instid0(VALU_DEP_2) | instskip(NEXT) | instid1(VALU_DEP_1)
	v_min_u32_e32 v7, 32, v7
	v_subrev_nc_u32_e32 v9, 29, v7
	v_sub_nc_u32_e32 v7, 30, v7
	s_delay_alu instid0(VALU_DEP_2) | instskip(NEXT) | instid1(VALU_DEP_2)
	v_lshlrev_b32_e32 v3, v9, v3
	v_cndmask_b32_e32 v7, v11, v7, vcc_lo
	s_delay_alu instid0(VALU_DEP_2) | instskip(NEXT) | instid1(VALU_DEP_1)
	v_and_b32_e32 v3, 3, v3
	v_cndmask_b32_e32 v3, v5, v3, vcc_lo
	s_delay_alu instid0(VALU_DEP_3) | instskip(NEXT) | instid1(VALU_DEP_2)
	v_lshl_add_u32 v5, v7, 23, 0x37800000
	v_lshlrev_b32_e32 v3, 21, v3
	s_delay_alu instid0(VALU_DEP_1) | instskip(NEXT) | instid1(VALU_DEP_1)
	v_or3_b32 v1, v1, v5, v3
	v_cvt_i32_f32_e32 v14, v1
.LBB31_1190:
	s_or_b32 exec_lo, exec_lo, s3
	s_mov_b32 s3, 0
	s_branch .LBB31_1196
.LBB31_1191:
                                        ; implicit-def: $vgpr14
	s_mov_b32 s3, 0
	s_branch .LBB31_1202
.LBB31_1192:
	s_and_not1_saveexec_b32 s10, s10
	s_cbranch_execz .LBB31_1178
.LBB31_1193:
	v_cmp_ne_u16_e32 vcc_lo, 0, v1
	s_and_not1_b32 s11, s11, exec_lo
	s_and_b32 s12, vcc_lo, exec_lo
	s_delay_alu instid0(SALU_CYCLE_1)
	s_or_b32 s11, s11, s12
	s_or_b32 exec_lo, exec_lo, s10
	v_mov_b32_e32 v14, 0
	s_and_saveexec_b32 s10, s11
	s_cbranch_execnz .LBB31_1179
	s_branch .LBB31_1180
.LBB31_1194:
	s_mov_b32 s3, -1
                                        ; implicit-def: $vgpr14
	s_branch .LBB31_1199
.LBB31_1195:
	s_mov_b32 s3, -1
                                        ; implicit-def: $vgpr14
.LBB31_1196:
	s_delay_alu instid0(SALU_CYCLE_1)
	s_and_b32 vcc_lo, exec_lo, s3
	s_cbranch_vccz .LBB31_1198
; %bb.1197:
	global_load_u8 v1, v[16:17], off
	s_wait_loadcnt 0x0
	v_lshlrev_b32_e32 v1, 24, v1
	s_delay_alu instid0(VALU_DEP_1) | instskip(NEXT) | instid1(VALU_DEP_1)
	v_and_b32_e32 v3, 0x7f000000, v1
	v_clz_i32_u32_e32 v5, v3
	v_add_nc_u32_e32 v9, 0x1000000, v3
	v_cmp_ne_u32_e32 vcc_lo, 0, v3
	s_delay_alu instid0(VALU_DEP_3) | instskip(NEXT) | instid1(VALU_DEP_1)
	v_min_u32_e32 v5, 32, v5
	v_sub_nc_u32_e64 v5, v5, 4 clamp
	s_delay_alu instid0(VALU_DEP_1) | instskip(NEXT) | instid1(VALU_DEP_1)
	v_dual_lshlrev_b32 v7, v5, v3 :: v_dual_lshlrev_b32 v5, 23, v5
	v_lshrrev_b32_e32 v7, 4, v7
	s_delay_alu instid0(VALU_DEP_1) | instskip(SKIP_1) | instid1(VALU_DEP_2)
	v_sub_nc_u32_e32 v5, v7, v5
	v_ashrrev_i32_e32 v7, 8, v9
	v_add_nc_u32_e32 v5, 0x3c000000, v5
	s_delay_alu instid0(VALU_DEP_1) | instskip(NEXT) | instid1(VALU_DEP_1)
	v_and_or_b32 v5, 0x7f800000, v7, v5
	v_cndmask_b32_e32 v3, 0, v5, vcc_lo
	s_delay_alu instid0(VALU_DEP_1) | instskip(NEXT) | instid1(VALU_DEP_1)
	v_and_or_b32 v1, 0x80000000, v1, v3
	v_cvt_i32_f32_e32 v14, v1
.LBB31_1198:
	s_mov_b32 s3, 0
.LBB31_1199:
	s_delay_alu instid0(SALU_CYCLE_1)
	s_and_not1_b32 vcc_lo, exec_lo, s3
	s_cbranch_vccnz .LBB31_1201
; %bb.1200:
	global_load_u8 v1, v[16:17], off
	s_wait_loadcnt 0x0
	v_lshlrev_b32_e32 v3, 25, v1
	v_lshlrev_b16 v1, 8, v1
	s_delay_alu instid0(VALU_DEP_1) | instskip(SKIP_1) | instid1(VALU_DEP_2)
	v_and_or_b32 v7, 0x7f00, v1, 0.5
	v_bfe_i32 v1, v1, 0, 16
	v_add_f32_e32 v7, -0.5, v7
	v_lshrrev_b32_e32 v5, 4, v3
	v_cmp_gt_u32_e32 vcc_lo, 0x8000000, v3
	s_delay_alu instid0(VALU_DEP_2) | instskip(NEXT) | instid1(VALU_DEP_1)
	v_or_b32_e32 v5, 0x70000000, v5
	v_mul_f32_e32 v5, 0x7800000, v5
	s_delay_alu instid0(VALU_DEP_1) | instskip(NEXT) | instid1(VALU_DEP_1)
	v_cndmask_b32_e32 v3, v5, v7, vcc_lo
	v_and_or_b32 v1, 0x80000000, v1, v3
	s_delay_alu instid0(VALU_DEP_1)
	v_cvt_i32_f32_e32 v14, v1
.LBB31_1201:
	s_mov_b32 s10, -1
	s_mov_b32 s3, 0
	s_cbranch_execnz .LBB31_1212
.LBB31_1202:
	s_cmp_gt_i32 s1, 14
	s_cbranch_scc0 .LBB31_1205
; %bb.1203:
	s_cmp_eq_u32 s1, 15
	s_cbranch_scc0 .LBB31_1208
; %bb.1204:
	global_load_u16 v1, v[16:17], off
	s_mov_b32 s2, 0
	s_mov_b32 s10, -1
	s_wait_loadcnt 0x0
	v_lshlrev_b32_e32 v1, 16, v1
	s_delay_alu instid0(VALU_DEP_1)
	v_cvt_i32_f32_e32 v14, v1
	s_branch .LBB31_1210
.LBB31_1205:
	s_mov_b32 s3, -1
	s_branch .LBB31_1209
.LBB31_1206:
	s_and_not1_saveexec_b32 s3, s3
	s_cbranch_execz .LBB31_1188
.LBB31_1207:
	v_cmp_ne_u16_e32 vcc_lo, 0, v1
	s_and_not1_b32 s10, s10, exec_lo
	s_and_b32 s11, vcc_lo, exec_lo
	s_delay_alu instid0(SALU_CYCLE_1)
	s_or_b32 s10, s10, s11
	s_or_b32 exec_lo, exec_lo, s3
	v_mov_b32_e32 v14, 0
	s_and_saveexec_b32 s3, s10
	s_cbranch_execnz .LBB31_1189
	s_branch .LBB31_1190
.LBB31_1208:
	s_mov_b32 s2, -1
.LBB31_1209:
                                        ; implicit-def: $vgpr14
.LBB31_1210:
	s_and_b32 vcc_lo, exec_lo, s3
	s_mov_b32 s3, 0
	s_cbranch_vccz .LBB31_1212
; %bb.1211:
	s_cmp_lg_u32 s1, 11
	s_mov_b32 s3, -1
	s_cselect_b32 s2, -1, 0
.LBB31_1212:
	s_delay_alu instid0(SALU_CYCLE_1)
	s_and_b32 vcc_lo, exec_lo, s2
	s_mov_b32 s1, s8
	s_cbranch_vccnz .LBB31_1273
; %bb.1213:
	s_and_not1_b32 vcc_lo, exec_lo, s3
	s_cbranch_vccnz .LBB31_1215
.LBB31_1214:
	global_load_u8 v1, v[16:17], off
	s_mov_b32 s10, -1
	s_wait_loadcnt 0x0
	v_cmp_ne_u16_e32 vcc_lo, 0, v1
	v_cndmask_b32_e64 v14, 0, 1, vcc_lo
.LBB31_1215:
	s_branch .LBB31_1149
.LBB31_1216:
	s_and_b32 s2, 0xffff, s0
	s_delay_alu instid0(SALU_CYCLE_1)
	s_cmp_lt_i32 s2, 5
	s_cbranch_scc1 .LBB31_1221
; %bb.1217:
	s_cmp_lt_i32 s2, 8
	s_cbranch_scc1 .LBB31_1222
; %bb.1218:
	;; [unrolled: 3-line block ×3, first 2 shown]
	s_cmp_gt_i32 s2, 9
	s_cbranch_scc0 .LBB31_1224
; %bb.1220:
	s_wait_loadcnt 0x0
	global_load_b64 v[14:15], v[16:17], off
	s_mov_b32 s3, 0
	s_wait_loadcnt 0x0
	v_cvt_i32_f64_e32 v14, v[14:15]
	s_branch .LBB31_1225
.LBB31_1221:
                                        ; implicit-def: $vgpr14
	s_branch .LBB31_1242
.LBB31_1222:
                                        ; implicit-def: $vgpr14
	s_branch .LBB31_1231
.LBB31_1223:
	s_mov_b32 s3, -1
                                        ; implicit-def: $vgpr14
	s_branch .LBB31_1228
.LBB31_1224:
	s_mov_b32 s3, -1
                                        ; implicit-def: $vgpr14
.LBB31_1225:
	s_delay_alu instid0(SALU_CYCLE_1)
	s_and_not1_b32 vcc_lo, exec_lo, s3
	s_cbranch_vccnz .LBB31_1227
; %bb.1226:
	global_load_b32 v1, v[16:17], off
	s_wait_loadcnt 0x0
	v_cvt_i32_f32_e32 v14, v1
.LBB31_1227:
	s_mov_b32 s3, 0
.LBB31_1228:
	s_delay_alu instid0(SALU_CYCLE_1)
	s_and_not1_b32 vcc_lo, exec_lo, s3
	s_cbranch_vccnz .LBB31_1230
; %bb.1229:
	global_load_b32 v1, v[16:17], off
	s_wait_loadcnt 0x0
	v_cvt_i16_f16_e32 v14, v1
.LBB31_1230:
	s_cbranch_execnz .LBB31_1241
.LBB31_1231:
	s_cmp_lt_i32 s2, 6
	s_cbranch_scc1 .LBB31_1234
; %bb.1232:
	s_cmp_gt_i32 s2, 6
	s_cbranch_scc0 .LBB31_1235
; %bb.1233:
	s_wait_loadcnt 0x0
	global_load_b64 v[14:15], v[16:17], off
	s_mov_b32 s3, 0
	s_wait_loadcnt 0x0
	v_cvt_i32_f64_e32 v14, v[14:15]
	s_branch .LBB31_1236
.LBB31_1234:
	s_mov_b32 s3, -1
                                        ; implicit-def: $vgpr14
	s_branch .LBB31_1239
.LBB31_1235:
	s_mov_b32 s3, -1
                                        ; implicit-def: $vgpr14
.LBB31_1236:
	s_delay_alu instid0(SALU_CYCLE_1)
	s_and_not1_b32 vcc_lo, exec_lo, s3
	s_cbranch_vccnz .LBB31_1238
; %bb.1237:
	global_load_b32 v1, v[16:17], off
	s_wait_loadcnt 0x0
	v_cvt_i32_f32_e32 v14, v1
.LBB31_1238:
	s_mov_b32 s3, 0
.LBB31_1239:
	s_delay_alu instid0(SALU_CYCLE_1)
	s_and_not1_b32 vcc_lo, exec_lo, s3
	s_cbranch_vccnz .LBB31_1241
; %bb.1240:
	global_load_u16 v1, v[16:17], off
	s_wait_loadcnt 0x0
	v_cvt_i16_f16_e32 v14, v1
.LBB31_1241:
	s_cbranch_execnz .LBB31_1260
.LBB31_1242:
	s_cmp_lt_i32 s2, 2
	s_cbranch_scc1 .LBB31_1246
; %bb.1243:
	s_cmp_lt_i32 s2, 3
	s_cbranch_scc1 .LBB31_1247
; %bb.1244:
	s_cmp_gt_i32 s2, 3
	s_cbranch_scc0 .LBB31_1248
; %bb.1245:
	s_wait_loadcnt 0x0
	global_load_b64 v[14:15], v[16:17], off
	s_mov_b32 s3, 0
	s_branch .LBB31_1249
.LBB31_1246:
                                        ; implicit-def: $vgpr14
	s_branch .LBB31_1255
.LBB31_1247:
	s_mov_b32 s3, -1
                                        ; implicit-def: $vgpr14
	s_branch .LBB31_1252
.LBB31_1248:
	s_mov_b32 s3, -1
                                        ; implicit-def: $vgpr14
.LBB31_1249:
	s_delay_alu instid0(SALU_CYCLE_1)
	s_and_not1_b32 vcc_lo, exec_lo, s3
	s_cbranch_vccnz .LBB31_1251
; %bb.1250:
	s_wait_loadcnt 0x0
	global_load_b32 v14, v[16:17], off
.LBB31_1251:
	s_mov_b32 s3, 0
.LBB31_1252:
	s_delay_alu instid0(SALU_CYCLE_1)
	s_and_not1_b32 vcc_lo, exec_lo, s3
	s_cbranch_vccnz .LBB31_1254
; %bb.1253:
	s_wait_loadcnt 0x0
	global_load_u16 v14, v[16:17], off
.LBB31_1254:
	s_cbranch_execnz .LBB31_1260
.LBB31_1255:
	s_cmp_gt_i32 s2, 0
	s_mov_b32 s2, 0
	s_cbranch_scc0 .LBB31_1257
; %bb.1256:
	s_wait_loadcnt 0x0
	global_load_u8 v14, v[16:17], off
	s_branch .LBB31_1258
.LBB31_1257:
	s_mov_b32 s2, -1
                                        ; implicit-def: $vgpr14
.LBB31_1258:
	s_delay_alu instid0(SALU_CYCLE_1)
	s_and_not1_b32 vcc_lo, exec_lo, s2
	s_cbranch_vccnz .LBB31_1260
; %bb.1259:
	s_wait_loadcnt 0x0
	global_load_u8 v14, v[16:17], off
.LBB31_1260:
.LBB31_1261:
	v_mov_b32_e32 v13, 0
	s_and_b32 s0, 0xffff, s0
	s_delay_alu instid0(SALU_CYCLE_1) | instskip(SKIP_1) | instid1(VALU_DEP_1)
	s_cmp_lt_i32 s0, 11
	s_wait_xcnt 0x0
	v_add_nc_u64_e32 v[16:17], s[6:7], v[12:13]
	s_cbranch_scc1 .LBB31_1268
; %bb.1262:
	s_cmp_gt_i32 s0, 25
	s_mov_b32 s3, 0
	s_cbranch_scc0 .LBB31_1270
; %bb.1263:
	s_cmp_gt_i32 s0, 28
	s_cbranch_scc0 .LBB31_1271
; %bb.1264:
	s_cmp_gt_i32 s0, 43
	s_cbranch_scc0 .LBB31_1272
; %bb.1265:
	s_cmp_gt_i32 s0, 45
	s_cbranch_scc0 .LBB31_1274
; %bb.1266:
	s_cmp_eq_u32 s0, 46
	s_mov_b32 s11, 0
	s_cbranch_scc0 .LBB31_1277
; %bb.1267:
	global_load_b32 v1, v[16:17], off
	s_mov_b32 s2, 0
	s_mov_b32 s10, -1
	s_wait_loadcnt 0x0
	v_lshlrev_b32_e32 v1, 16, v1
	s_delay_alu instid0(VALU_DEP_1)
	v_cvt_i32_f32_e32 v12, v1
	s_branch .LBB31_1279
.LBB31_1268:
	s_mov_b32 s10, 0
                                        ; implicit-def: $vgpr12
	s_cbranch_execnz .LBB31_1340
.LBB31_1269:
	s_and_not1_b32 vcc_lo, exec_lo, s10
	s_cbranch_vccnz .LBB31_2072
	s_branch .LBB31_1387
.LBB31_1270:
	s_mov_b32 s10, 0
	s_mov_b32 s2, 0
                                        ; implicit-def: $vgpr12
	s_cbranch_execnz .LBB31_1306
	s_branch .LBB31_1336
.LBB31_1271:
	s_mov_b32 s11, -1
	s_mov_b32 s10, 0
	s_mov_b32 s2, 0
                                        ; implicit-def: $vgpr12
	s_branch .LBB31_1289
.LBB31_1272:
	s_mov_b32 s11, -1
	s_mov_b32 s10, 0
	s_mov_b32 s2, 0
                                        ; implicit-def: $vgpr12
	s_branch .LBB31_1284
.LBB31_1273:
	s_or_b32 s1, s8, exec_lo
	s_trap 2
	s_cbranch_execz .LBB31_1214
	s_branch .LBB31_1215
.LBB31_1274:
	s_mov_b32 s11, -1
	s_mov_b32 s10, 0
	s_mov_b32 s2, 0
	s_branch .LBB31_1278
.LBB31_1275:
	s_and_not1_saveexec_b32 s9, s9
	s_cbranch_execz .LBB31_1005
.LBB31_1276:
	v_add_f32_e32 v2, 0x42800000, v3
	s_and_not1_b32 s5, s5, exec_lo
	s_delay_alu instid0(VALU_DEP_1) | instskip(NEXT) | instid1(VALU_DEP_1)
	v_and_b32_e32 v2, 0xff, v2
	v_cmp_ne_u32_e32 vcc_lo, 0, v2
	s_and_b32 s11, vcc_lo, exec_lo
	s_delay_alu instid0(SALU_CYCLE_1)
	s_or_b32 s5, s5, s11
	s_or_b32 exec_lo, exec_lo, s9
	v_mov_b32_e32 v4, 0
	s_and_saveexec_b32 s9, s5
	s_cbranch_execnz .LBB31_1006
	s_branch .LBB31_1007
.LBB31_1277:
	s_mov_b32 s2, -1
	s_mov_b32 s10, 0
.LBB31_1278:
                                        ; implicit-def: $vgpr12
.LBB31_1279:
	s_and_b32 vcc_lo, exec_lo, s11
	s_cbranch_vccz .LBB31_1283
; %bb.1280:
	s_cmp_eq_u32 s0, 44
	s_cbranch_scc0 .LBB31_1282
; %bb.1281:
	global_load_u8 v1, v[16:17], off
	s_mov_b32 s2, 0
	s_mov_b32 s10, -1
	s_wait_loadcnt 0x0
	v_lshlrev_b32_e32 v3, 23, v1
	v_cmp_ne_u32_e32 vcc_lo, 0, v1
	s_delay_alu instid0(VALU_DEP_2) | instskip(NEXT) | instid1(VALU_DEP_1)
	v_cvt_i32_f32_e32 v3, v3
	v_cndmask_b32_e32 v12, 0, v3, vcc_lo
	s_branch .LBB31_1283
.LBB31_1282:
	s_mov_b32 s2, -1
                                        ; implicit-def: $vgpr12
.LBB31_1283:
	s_mov_b32 s11, 0
.LBB31_1284:
	s_delay_alu instid0(SALU_CYCLE_1)
	s_and_b32 vcc_lo, exec_lo, s11
	s_cbranch_vccz .LBB31_1288
; %bb.1285:
	s_cmp_eq_u32 s0, 29
	s_cbranch_scc0 .LBB31_1287
; %bb.1286:
	global_load_b64 v[12:13], v[16:17], off
	s_mov_b32 s2, 0
	s_mov_b32 s10, -1
	s_branch .LBB31_1288
.LBB31_1287:
	s_mov_b32 s2, -1
                                        ; implicit-def: $vgpr12
.LBB31_1288:
	s_mov_b32 s11, 0
.LBB31_1289:
	s_delay_alu instid0(SALU_CYCLE_1)
	s_and_b32 vcc_lo, exec_lo, s11
	s_cbranch_vccz .LBB31_1305
; %bb.1290:
	s_cmp_lt_i32 s0, 27
	s_cbranch_scc1 .LBB31_1293
; %bb.1291:
	s_cmp_gt_i32 s0, 27
	s_cbranch_scc0 .LBB31_1294
; %bb.1292:
	s_wait_loadcnt 0x0
	global_load_b32 v12, v[16:17], off
	s_mov_b32 s10, 0
	s_branch .LBB31_1295
.LBB31_1293:
	s_mov_b32 s10, -1
                                        ; implicit-def: $vgpr12
	s_branch .LBB31_1298
.LBB31_1294:
	s_mov_b32 s10, -1
                                        ; implicit-def: $vgpr12
.LBB31_1295:
	s_delay_alu instid0(SALU_CYCLE_1)
	s_and_not1_b32 vcc_lo, exec_lo, s10
	s_cbranch_vccnz .LBB31_1297
; %bb.1296:
	s_wait_loadcnt 0x0
	global_load_u16 v12, v[16:17], off
.LBB31_1297:
	s_mov_b32 s10, 0
.LBB31_1298:
	s_delay_alu instid0(SALU_CYCLE_1)
	s_and_not1_b32 vcc_lo, exec_lo, s10
	s_cbranch_vccnz .LBB31_1304
; %bb.1299:
	global_load_u8 v1, v[16:17], off
	s_mov_b32 s11, 0
	s_mov_b32 s10, exec_lo
	s_wait_loadcnt 0x0
	v_cmpx_lt_i16_e32 0x7f, v1
	s_xor_b32 s10, exec_lo, s10
	s_cbranch_execz .LBB31_1315
; %bb.1300:
	v_cmp_ne_u16_e32 vcc_lo, 0x80, v1
	s_and_b32 s11, vcc_lo, exec_lo
	s_and_not1_saveexec_b32 s10, s10
	s_cbranch_execnz .LBB31_1316
.LBB31_1301:
	s_or_b32 exec_lo, exec_lo, s10
	v_mov_b32_e32 v12, 0
	s_and_saveexec_b32 s10, s11
	s_cbranch_execz .LBB31_1303
.LBB31_1302:
	v_and_b32_e32 v3, 0xffff, v1
	s_delay_alu instid0(VALU_DEP_1) | instskip(SKIP_1) | instid1(VALU_DEP_2)
	v_dual_lshlrev_b32 v1, 24, v1 :: v_dual_bitop2_b32 v5, 7, v3 bitop3:0x40
	v_bfe_u32 v11, v3, 3, 4
	v_and_b32_e32 v1, 0x80000000, v1
	s_delay_alu instid0(VALU_DEP_3) | instskip(NEXT) | instid1(VALU_DEP_3)
	v_clz_i32_u32_e32 v7, v5
	v_cmp_eq_u32_e32 vcc_lo, 0, v11
	s_delay_alu instid0(VALU_DEP_2) | instskip(NEXT) | instid1(VALU_DEP_1)
	v_min_u32_e32 v7, 32, v7
	v_subrev_nc_u32_e32 v9, 28, v7
	v_sub_nc_u32_e32 v7, 29, v7
	s_delay_alu instid0(VALU_DEP_2) | instskip(NEXT) | instid1(VALU_DEP_2)
	v_lshlrev_b32_e32 v3, v9, v3
	v_cndmask_b32_e32 v7, v11, v7, vcc_lo
	s_delay_alu instid0(VALU_DEP_2) | instskip(NEXT) | instid1(VALU_DEP_1)
	v_and_b32_e32 v3, 7, v3
	v_cndmask_b32_e32 v3, v5, v3, vcc_lo
	s_delay_alu instid0(VALU_DEP_3) | instskip(NEXT) | instid1(VALU_DEP_2)
	v_lshl_add_u32 v5, v7, 23, 0x3b800000
	v_lshlrev_b32_e32 v3, 20, v3
	s_delay_alu instid0(VALU_DEP_1) | instskip(NEXT) | instid1(VALU_DEP_1)
	v_or3_b32 v1, v1, v5, v3
	v_cvt_i32_f32_e32 v12, v1
.LBB31_1303:
	s_or_b32 exec_lo, exec_lo, s10
.LBB31_1304:
	s_mov_b32 s10, -1
.LBB31_1305:
	s_branch .LBB31_1336
.LBB31_1306:
	s_cmp_gt_i32 s0, 22
	s_cbranch_scc0 .LBB31_1314
; %bb.1307:
	s_cmp_lt_i32 s0, 24
	s_cbranch_scc1 .LBB31_1317
; %bb.1308:
	s_cmp_gt_i32 s0, 24
	s_cbranch_scc0 .LBB31_1318
; %bb.1309:
	global_load_u8 v1, v[16:17], off
	s_mov_b32 s10, 0
	s_mov_b32 s3, exec_lo
	s_wait_loadcnt 0x0
	v_cmpx_lt_i16_e32 0x7f, v1
	s_xor_b32 s3, exec_lo, s3
	s_cbranch_execz .LBB31_1330
; %bb.1310:
	v_cmp_ne_u16_e32 vcc_lo, 0x80, v1
	s_and_b32 s10, vcc_lo, exec_lo
	s_and_not1_saveexec_b32 s3, s3
	s_cbranch_execnz .LBB31_1331
.LBB31_1311:
	s_or_b32 exec_lo, exec_lo, s3
	v_mov_b32_e32 v12, 0
	s_and_saveexec_b32 s3, s10
	s_cbranch_execz .LBB31_1313
.LBB31_1312:
	v_and_b32_e32 v3, 0xffff, v1
	s_delay_alu instid0(VALU_DEP_1) | instskip(SKIP_1) | instid1(VALU_DEP_2)
	v_dual_lshlrev_b32 v1, 24, v1 :: v_dual_bitop2_b32 v5, 3, v3 bitop3:0x40
	v_bfe_u32 v11, v3, 2, 5
	v_and_b32_e32 v1, 0x80000000, v1
	s_delay_alu instid0(VALU_DEP_3) | instskip(NEXT) | instid1(VALU_DEP_3)
	v_clz_i32_u32_e32 v7, v5
	v_cmp_eq_u32_e32 vcc_lo, 0, v11
	s_delay_alu instid0(VALU_DEP_2) | instskip(NEXT) | instid1(VALU_DEP_1)
	v_min_u32_e32 v7, 32, v7
	v_subrev_nc_u32_e32 v9, 29, v7
	v_sub_nc_u32_e32 v7, 30, v7
	s_delay_alu instid0(VALU_DEP_2) | instskip(NEXT) | instid1(VALU_DEP_2)
	v_lshlrev_b32_e32 v3, v9, v3
	v_cndmask_b32_e32 v7, v11, v7, vcc_lo
	s_delay_alu instid0(VALU_DEP_2) | instskip(NEXT) | instid1(VALU_DEP_1)
	v_and_b32_e32 v3, 3, v3
	v_cndmask_b32_e32 v3, v5, v3, vcc_lo
	s_delay_alu instid0(VALU_DEP_3) | instskip(NEXT) | instid1(VALU_DEP_2)
	v_lshl_add_u32 v5, v7, 23, 0x37800000
	v_lshlrev_b32_e32 v3, 21, v3
	s_delay_alu instid0(VALU_DEP_1) | instskip(NEXT) | instid1(VALU_DEP_1)
	v_or3_b32 v1, v1, v5, v3
	v_cvt_i32_f32_e32 v12, v1
.LBB31_1313:
	s_or_b32 exec_lo, exec_lo, s3
	s_mov_b32 s3, 0
	s_branch .LBB31_1319
.LBB31_1314:
	s_mov_b32 s3, -1
                                        ; implicit-def: $vgpr12
	s_branch .LBB31_1325
.LBB31_1315:
	s_and_not1_saveexec_b32 s10, s10
	s_cbranch_execz .LBB31_1301
.LBB31_1316:
	v_cmp_ne_u16_e32 vcc_lo, 0, v1
	s_and_not1_b32 s11, s11, exec_lo
	s_and_b32 s12, vcc_lo, exec_lo
	s_delay_alu instid0(SALU_CYCLE_1)
	s_or_b32 s11, s11, s12
	s_or_b32 exec_lo, exec_lo, s10
	v_mov_b32_e32 v12, 0
	s_and_saveexec_b32 s10, s11
	s_cbranch_execnz .LBB31_1302
	s_branch .LBB31_1303
.LBB31_1317:
	s_mov_b32 s3, -1
                                        ; implicit-def: $vgpr12
	s_branch .LBB31_1322
.LBB31_1318:
	s_mov_b32 s3, -1
                                        ; implicit-def: $vgpr12
.LBB31_1319:
	s_delay_alu instid0(SALU_CYCLE_1)
	s_and_b32 vcc_lo, exec_lo, s3
	s_cbranch_vccz .LBB31_1321
; %bb.1320:
	global_load_u8 v1, v[16:17], off
	s_wait_loadcnt 0x0
	v_lshlrev_b32_e32 v1, 24, v1
	s_delay_alu instid0(VALU_DEP_1) | instskip(NEXT) | instid1(VALU_DEP_1)
	v_and_b32_e32 v3, 0x7f000000, v1
	v_clz_i32_u32_e32 v5, v3
	v_add_nc_u32_e32 v9, 0x1000000, v3
	v_cmp_ne_u32_e32 vcc_lo, 0, v3
	s_delay_alu instid0(VALU_DEP_3) | instskip(NEXT) | instid1(VALU_DEP_1)
	v_min_u32_e32 v5, 32, v5
	v_sub_nc_u32_e64 v5, v5, 4 clamp
	s_delay_alu instid0(VALU_DEP_1) | instskip(NEXT) | instid1(VALU_DEP_1)
	v_dual_lshlrev_b32 v7, v5, v3 :: v_dual_lshlrev_b32 v5, 23, v5
	v_lshrrev_b32_e32 v7, 4, v7
	s_delay_alu instid0(VALU_DEP_1) | instskip(SKIP_1) | instid1(VALU_DEP_2)
	v_sub_nc_u32_e32 v5, v7, v5
	v_ashrrev_i32_e32 v7, 8, v9
	v_add_nc_u32_e32 v5, 0x3c000000, v5
	s_delay_alu instid0(VALU_DEP_1) | instskip(NEXT) | instid1(VALU_DEP_1)
	v_and_or_b32 v5, 0x7f800000, v7, v5
	v_cndmask_b32_e32 v3, 0, v5, vcc_lo
	s_delay_alu instid0(VALU_DEP_1) | instskip(NEXT) | instid1(VALU_DEP_1)
	v_and_or_b32 v1, 0x80000000, v1, v3
	v_cvt_i32_f32_e32 v12, v1
.LBB31_1321:
	s_mov_b32 s3, 0
.LBB31_1322:
	s_delay_alu instid0(SALU_CYCLE_1)
	s_and_not1_b32 vcc_lo, exec_lo, s3
	s_cbranch_vccnz .LBB31_1324
; %bb.1323:
	global_load_u8 v1, v[16:17], off
	s_wait_loadcnt 0x0
	v_lshlrev_b32_e32 v3, 25, v1
	v_lshlrev_b16 v1, 8, v1
	s_delay_alu instid0(VALU_DEP_1) | instskip(SKIP_1) | instid1(VALU_DEP_2)
	v_and_or_b32 v7, 0x7f00, v1, 0.5
	v_bfe_i32 v1, v1, 0, 16
	v_add_f32_e32 v7, -0.5, v7
	v_lshrrev_b32_e32 v5, 4, v3
	v_cmp_gt_u32_e32 vcc_lo, 0x8000000, v3
	s_delay_alu instid0(VALU_DEP_2) | instskip(NEXT) | instid1(VALU_DEP_1)
	v_or_b32_e32 v5, 0x70000000, v5
	v_mul_f32_e32 v5, 0x7800000, v5
	s_delay_alu instid0(VALU_DEP_1) | instskip(NEXT) | instid1(VALU_DEP_1)
	v_cndmask_b32_e32 v3, v5, v7, vcc_lo
	v_and_or_b32 v1, 0x80000000, v1, v3
	s_delay_alu instid0(VALU_DEP_1)
	v_cvt_i32_f32_e32 v12, v1
.LBB31_1324:
	s_mov_b32 s3, 0
	s_mov_b32 s10, -1
.LBB31_1325:
	s_and_not1_b32 vcc_lo, exec_lo, s3
	s_mov_b32 s3, 0
	s_cbranch_vccnz .LBB31_1336
; %bb.1326:
	s_cmp_gt_i32 s0, 14
	s_cbranch_scc0 .LBB31_1329
; %bb.1327:
	s_cmp_eq_u32 s0, 15
	s_cbranch_scc0 .LBB31_1332
; %bb.1328:
	global_load_u16 v1, v[16:17], off
	s_mov_b32 s2, 0
	s_mov_b32 s10, -1
	s_wait_loadcnt 0x0
	v_lshlrev_b32_e32 v1, 16, v1
	s_delay_alu instid0(VALU_DEP_1)
	v_cvt_i32_f32_e32 v12, v1
	s_branch .LBB31_1334
.LBB31_1329:
	s_mov_b32 s3, -1
	s_branch .LBB31_1333
.LBB31_1330:
	s_and_not1_saveexec_b32 s3, s3
	s_cbranch_execz .LBB31_1311
.LBB31_1331:
	v_cmp_ne_u16_e32 vcc_lo, 0, v1
	s_and_not1_b32 s10, s10, exec_lo
	s_and_b32 s11, vcc_lo, exec_lo
	s_delay_alu instid0(SALU_CYCLE_1)
	s_or_b32 s10, s10, s11
	s_or_b32 exec_lo, exec_lo, s3
	v_mov_b32_e32 v12, 0
	s_and_saveexec_b32 s3, s10
	s_cbranch_execnz .LBB31_1312
	s_branch .LBB31_1313
.LBB31_1332:
	s_mov_b32 s2, -1
.LBB31_1333:
                                        ; implicit-def: $vgpr12
.LBB31_1334:
	s_and_b32 vcc_lo, exec_lo, s3
	s_mov_b32 s3, 0
	s_cbranch_vccz .LBB31_1336
; %bb.1335:
	s_cmp_lg_u32 s0, 11
	s_mov_b32 s3, -1
	s_cselect_b32 s2, -1, 0
.LBB31_1336:
	s_delay_alu instid0(SALU_CYCLE_1)
	s_and_b32 vcc_lo, exec_lo, s2
	s_cbranch_vccnz .LBB31_1399
; %bb.1337:
	s_and_not1_b32 vcc_lo, exec_lo, s3
	s_cbranch_vccnz .LBB31_1339
.LBB31_1338:
	global_load_u8 v1, v[16:17], off
	s_mov_b32 s10, -1
	s_wait_loadcnt 0x0
	v_cmp_ne_u16_e32 vcc_lo, 0, v1
	v_cndmask_b32_e64 v12, 0, 1, vcc_lo
.LBB31_1339:
	s_branch .LBB31_1269
.LBB31_1340:
	s_cmp_lt_i32 s0, 5
	s_cbranch_scc1 .LBB31_1345
; %bb.1341:
	s_cmp_lt_i32 s0, 8
	s_cbranch_scc1 .LBB31_1346
; %bb.1342:
	;; [unrolled: 3-line block ×3, first 2 shown]
	s_cmp_gt_i32 s0, 9
	s_cbranch_scc0 .LBB31_1348
; %bb.1344:
	s_wait_loadcnt 0x0
	global_load_b64 v[12:13], v[16:17], off
	s_mov_b32 s2, 0
	s_wait_loadcnt 0x0
	v_cvt_i32_f64_e32 v12, v[12:13]
	s_branch .LBB31_1349
.LBB31_1345:
                                        ; implicit-def: $vgpr12
	s_branch .LBB31_1367
.LBB31_1346:
	s_mov_b32 s2, -1
                                        ; implicit-def: $vgpr12
	s_branch .LBB31_1355
.LBB31_1347:
	s_mov_b32 s2, -1
                                        ; implicit-def: $vgpr12
	s_branch .LBB31_1352
.LBB31_1348:
	s_mov_b32 s2, -1
                                        ; implicit-def: $vgpr12
.LBB31_1349:
	s_delay_alu instid0(SALU_CYCLE_1)
	s_and_not1_b32 vcc_lo, exec_lo, s2
	s_cbranch_vccnz .LBB31_1351
; %bb.1350:
	global_load_b32 v1, v[16:17], off
	s_wait_loadcnt 0x0
	v_cvt_i32_f32_e32 v12, v1
.LBB31_1351:
	s_mov_b32 s2, 0
.LBB31_1352:
	s_delay_alu instid0(SALU_CYCLE_1)
	s_and_not1_b32 vcc_lo, exec_lo, s2
	s_cbranch_vccnz .LBB31_1354
; %bb.1353:
	global_load_b32 v1, v[16:17], off
	s_wait_loadcnt 0x0
	v_cvt_i16_f16_e32 v12, v1
.LBB31_1354:
	s_mov_b32 s2, 0
.LBB31_1355:
	s_delay_alu instid0(SALU_CYCLE_1)
	s_and_not1_b32 vcc_lo, exec_lo, s2
	s_cbranch_vccnz .LBB31_1366
; %bb.1356:
	s_cmp_lt_i32 s0, 6
	s_cbranch_scc1 .LBB31_1359
; %bb.1357:
	s_cmp_gt_i32 s0, 6
	s_cbranch_scc0 .LBB31_1360
; %bb.1358:
	s_wait_loadcnt 0x0
	global_load_b64 v[12:13], v[16:17], off
	s_mov_b32 s2, 0
	s_wait_loadcnt 0x0
	v_cvt_i32_f64_e32 v12, v[12:13]
	s_branch .LBB31_1361
.LBB31_1359:
	s_mov_b32 s2, -1
                                        ; implicit-def: $vgpr12
	s_branch .LBB31_1364
.LBB31_1360:
	s_mov_b32 s2, -1
                                        ; implicit-def: $vgpr12
.LBB31_1361:
	s_delay_alu instid0(SALU_CYCLE_1)
	s_and_not1_b32 vcc_lo, exec_lo, s2
	s_cbranch_vccnz .LBB31_1363
; %bb.1362:
	global_load_b32 v1, v[16:17], off
	s_wait_loadcnt 0x0
	v_cvt_i32_f32_e32 v12, v1
.LBB31_1363:
	s_mov_b32 s2, 0
.LBB31_1364:
	s_delay_alu instid0(SALU_CYCLE_1)
	s_and_not1_b32 vcc_lo, exec_lo, s2
	s_cbranch_vccnz .LBB31_1366
; %bb.1365:
	global_load_u16 v1, v[16:17], off
	s_wait_loadcnt 0x0
	v_cvt_i16_f16_e32 v12, v1
.LBB31_1366:
	s_cbranch_execnz .LBB31_1386
.LBB31_1367:
	s_cmp_lt_i32 s0, 2
	s_cbranch_scc1 .LBB31_1371
; %bb.1368:
	s_cmp_lt_i32 s0, 3
	s_cbranch_scc1 .LBB31_1372
; %bb.1369:
	s_cmp_gt_i32 s0, 3
	s_cbranch_scc0 .LBB31_1373
; %bb.1370:
	s_wait_loadcnt 0x0
	global_load_b64 v[12:13], v[16:17], off
	s_mov_b32 s2, 0
	s_branch .LBB31_1374
.LBB31_1371:
	s_mov_b32 s2, -1
                                        ; implicit-def: $vgpr12
	s_branch .LBB31_1380
.LBB31_1372:
	s_mov_b32 s2, -1
                                        ; implicit-def: $vgpr12
	s_branch .LBB31_1377
.LBB31_1373:
	s_mov_b32 s2, -1
                                        ; implicit-def: $vgpr12
.LBB31_1374:
	s_delay_alu instid0(SALU_CYCLE_1)
	s_and_not1_b32 vcc_lo, exec_lo, s2
	s_cbranch_vccnz .LBB31_1376
; %bb.1375:
	s_wait_loadcnt 0x0
	global_load_b32 v12, v[16:17], off
.LBB31_1376:
	s_mov_b32 s2, 0
.LBB31_1377:
	s_delay_alu instid0(SALU_CYCLE_1)
	s_and_not1_b32 vcc_lo, exec_lo, s2
	s_cbranch_vccnz .LBB31_1379
; %bb.1378:
	s_wait_loadcnt 0x0
	global_load_u16 v12, v[16:17], off
.LBB31_1379:
	s_mov_b32 s2, 0
.LBB31_1380:
	s_delay_alu instid0(SALU_CYCLE_1)
	s_and_not1_b32 vcc_lo, exec_lo, s2
	s_cbranch_vccnz .LBB31_1386
; %bb.1381:
	s_cmp_gt_i32 s0, 0
	s_mov_b32 s2, 0
	s_cbranch_scc0 .LBB31_1383
; %bb.1382:
	s_wait_loadcnt 0x0
	global_load_u8 v12, v[16:17], off
	s_branch .LBB31_1384
.LBB31_1383:
	s_mov_b32 s2, -1
                                        ; implicit-def: $vgpr12
.LBB31_1384:
	s_delay_alu instid0(SALU_CYCLE_1)
	s_and_not1_b32 vcc_lo, exec_lo, s2
	s_cbranch_vccnz .LBB31_1386
; %bb.1385:
	s_wait_loadcnt 0x0
	global_load_u8 v12, v[16:17], off
.LBB31_1386:
.LBB31_1387:
	v_mov_b32_e32 v11, 0
	s_cmp_lt_i32 s0, 11
	s_wait_xcnt 0x0
	s_delay_alu instid0(VALU_DEP_1)
	v_add_nc_u64_e32 v[16:17], s[6:7], v[10:11]
	s_cbranch_scc1 .LBB31_1394
; %bb.1388:
	s_cmp_gt_i32 s0, 25
	s_mov_b32 s3, 0
	s_cbranch_scc0 .LBB31_1396
; %bb.1389:
	s_cmp_gt_i32 s0, 28
	s_cbranch_scc0 .LBB31_1397
; %bb.1390:
	s_cmp_gt_i32 s0, 43
	;; [unrolled: 3-line block ×3, first 2 shown]
	s_cbranch_scc0 .LBB31_1400
; %bb.1392:
	s_cmp_eq_u32 s0, 46
	s_mov_b32 s11, 0
	s_cbranch_scc0 .LBB31_1401
; %bb.1393:
	global_load_b32 v1, v[16:17], off
	s_mov_b32 s2, 0
	s_mov_b32 s10, -1
	s_wait_loadcnt 0x0
	v_lshlrev_b32_e32 v1, 16, v1
	s_delay_alu instid0(VALU_DEP_1)
	v_cvt_i32_f32_e32 v10, v1
	s_branch .LBB31_1403
.LBB31_1394:
	s_mov_b32 s10, 0
                                        ; implicit-def: $vgpr10
	s_cbranch_execnz .LBB31_1465
.LBB31_1395:
	s_and_not1_b32 vcc_lo, exec_lo, s10
	s_cbranch_vccnz .LBB31_2072
	s_branch .LBB31_1513
.LBB31_1396:
	s_mov_b32 s11, -1
	s_mov_b32 s10, 0
	s_mov_b32 s2, 0
                                        ; implicit-def: $vgpr10
	s_branch .LBB31_1430
.LBB31_1397:
	s_mov_b32 s11, -1
	s_mov_b32 s10, 0
	s_mov_b32 s2, 0
                                        ; implicit-def: $vgpr10
	s_branch .LBB31_1413
.LBB31_1398:
	s_mov_b32 s11, -1
	s_mov_b32 s10, 0
	s_mov_b32 s2, 0
                                        ; implicit-def: $vgpr10
	s_branch .LBB31_1408
.LBB31_1399:
	s_or_b32 s1, s1, exec_lo
	s_trap 2
	s_cbranch_execz .LBB31_1338
	s_branch .LBB31_1339
.LBB31_1400:
	s_mov_b32 s11, -1
	s_mov_b32 s10, 0
	s_mov_b32 s2, 0
	s_branch .LBB31_1402
.LBB31_1401:
	s_mov_b32 s2, -1
	s_mov_b32 s10, 0
.LBB31_1402:
                                        ; implicit-def: $vgpr10
.LBB31_1403:
	s_and_b32 vcc_lo, exec_lo, s11
	s_cbranch_vccz .LBB31_1407
; %bb.1404:
	s_cmp_eq_u32 s0, 44
	s_cbranch_scc0 .LBB31_1406
; %bb.1405:
	global_load_u8 v1, v[16:17], off
	s_mov_b32 s2, 0
	s_mov_b32 s10, -1
	s_wait_loadcnt 0x0
	v_lshlrev_b32_e32 v3, 23, v1
	v_cmp_ne_u32_e32 vcc_lo, 0, v1
	s_delay_alu instid0(VALU_DEP_2) | instskip(NEXT) | instid1(VALU_DEP_1)
	v_cvt_i32_f32_e32 v3, v3
	v_cndmask_b32_e32 v10, 0, v3, vcc_lo
	s_branch .LBB31_1407
.LBB31_1406:
	s_mov_b32 s2, -1
                                        ; implicit-def: $vgpr10
.LBB31_1407:
	s_mov_b32 s11, 0
.LBB31_1408:
	s_delay_alu instid0(SALU_CYCLE_1)
	s_and_b32 vcc_lo, exec_lo, s11
	s_cbranch_vccz .LBB31_1412
; %bb.1409:
	s_cmp_eq_u32 s0, 29
	s_cbranch_scc0 .LBB31_1411
; %bb.1410:
	global_load_b64 v[10:11], v[16:17], off
	s_mov_b32 s2, 0
	s_mov_b32 s10, -1
	s_branch .LBB31_1412
.LBB31_1411:
	s_mov_b32 s2, -1
                                        ; implicit-def: $vgpr10
.LBB31_1412:
	s_mov_b32 s11, 0
.LBB31_1413:
	s_delay_alu instid0(SALU_CYCLE_1)
	s_and_b32 vcc_lo, exec_lo, s11
	s_cbranch_vccz .LBB31_1429
; %bb.1414:
	s_cmp_lt_i32 s0, 27
	s_cbranch_scc1 .LBB31_1417
; %bb.1415:
	s_cmp_gt_i32 s0, 27
	s_cbranch_scc0 .LBB31_1418
; %bb.1416:
	s_wait_loadcnt 0x0
	global_load_b32 v10, v[16:17], off
	s_mov_b32 s10, 0
	s_branch .LBB31_1419
.LBB31_1417:
	s_mov_b32 s10, -1
                                        ; implicit-def: $vgpr10
	s_branch .LBB31_1422
.LBB31_1418:
	s_mov_b32 s10, -1
                                        ; implicit-def: $vgpr10
.LBB31_1419:
	s_delay_alu instid0(SALU_CYCLE_1)
	s_and_not1_b32 vcc_lo, exec_lo, s10
	s_cbranch_vccnz .LBB31_1421
; %bb.1420:
	s_wait_loadcnt 0x0
	global_load_u16 v10, v[16:17], off
.LBB31_1421:
	s_mov_b32 s10, 0
.LBB31_1422:
	s_delay_alu instid0(SALU_CYCLE_1)
	s_and_not1_b32 vcc_lo, exec_lo, s10
	s_cbranch_vccnz .LBB31_1428
; %bb.1423:
	global_load_u8 v1, v[16:17], off
	s_mov_b32 s11, 0
	s_mov_b32 s10, exec_lo
	s_wait_loadcnt 0x0
	v_cmpx_lt_i16_e32 0x7f, v1
	s_xor_b32 s10, exec_lo, s10
	s_cbranch_execz .LBB31_1440
; %bb.1424:
	v_cmp_ne_u16_e32 vcc_lo, 0x80, v1
	s_and_b32 s11, vcc_lo, exec_lo
	s_and_not1_saveexec_b32 s10, s10
	s_cbranch_execnz .LBB31_1441
.LBB31_1425:
	s_or_b32 exec_lo, exec_lo, s10
	v_mov_b32_e32 v10, 0
	s_and_saveexec_b32 s10, s11
	s_cbranch_execz .LBB31_1427
.LBB31_1426:
	v_and_b32_e32 v3, 0xffff, v1
	s_delay_alu instid0(VALU_DEP_1) | instskip(SKIP_1) | instid1(VALU_DEP_2)
	v_dual_lshlrev_b32 v1, 24, v1 :: v_dual_bitop2_b32 v5, 7, v3 bitop3:0x40
	v_bfe_u32 v10, v3, 3, 4
	v_and_b32_e32 v1, 0x80000000, v1
	s_delay_alu instid0(VALU_DEP_3) | instskip(NEXT) | instid1(VALU_DEP_3)
	v_clz_i32_u32_e32 v7, v5
	v_cmp_eq_u32_e32 vcc_lo, 0, v10
	s_delay_alu instid0(VALU_DEP_2) | instskip(NEXT) | instid1(VALU_DEP_1)
	v_min_u32_e32 v7, 32, v7
	v_subrev_nc_u32_e32 v9, 28, v7
	v_sub_nc_u32_e32 v7, 29, v7
	s_delay_alu instid0(VALU_DEP_2) | instskip(NEXT) | instid1(VALU_DEP_2)
	v_lshlrev_b32_e32 v3, v9, v3
	v_cndmask_b32_e32 v7, v10, v7, vcc_lo
	s_delay_alu instid0(VALU_DEP_2) | instskip(NEXT) | instid1(VALU_DEP_1)
	v_and_b32_e32 v3, 7, v3
	v_cndmask_b32_e32 v3, v5, v3, vcc_lo
	s_delay_alu instid0(VALU_DEP_3) | instskip(NEXT) | instid1(VALU_DEP_2)
	v_lshl_add_u32 v5, v7, 23, 0x3b800000
	v_lshlrev_b32_e32 v3, 20, v3
	s_delay_alu instid0(VALU_DEP_1) | instskip(NEXT) | instid1(VALU_DEP_1)
	v_or3_b32 v1, v1, v5, v3
	v_cvt_i32_f32_e32 v10, v1
.LBB31_1427:
	s_or_b32 exec_lo, exec_lo, s10
.LBB31_1428:
	s_mov_b32 s10, -1
.LBB31_1429:
	s_mov_b32 s11, 0
.LBB31_1430:
	s_delay_alu instid0(SALU_CYCLE_1)
	s_and_b32 vcc_lo, exec_lo, s11
	s_cbranch_vccz .LBB31_1461
; %bb.1431:
	s_cmp_gt_i32 s0, 22
	s_cbranch_scc0 .LBB31_1439
; %bb.1432:
	s_cmp_lt_i32 s0, 24
	s_cbranch_scc1 .LBB31_1442
; %bb.1433:
	s_cmp_gt_i32 s0, 24
	s_cbranch_scc0 .LBB31_1443
; %bb.1434:
	global_load_u8 v1, v[16:17], off
	s_mov_b32 s10, 0
	s_mov_b32 s3, exec_lo
	s_wait_loadcnt 0x0
	v_cmpx_lt_i16_e32 0x7f, v1
	s_xor_b32 s3, exec_lo, s3
	s_cbranch_execz .LBB31_1455
; %bb.1435:
	v_cmp_ne_u16_e32 vcc_lo, 0x80, v1
	s_and_b32 s10, vcc_lo, exec_lo
	s_and_not1_saveexec_b32 s3, s3
	s_cbranch_execnz .LBB31_1456
.LBB31_1436:
	s_or_b32 exec_lo, exec_lo, s3
	v_mov_b32_e32 v10, 0
	s_and_saveexec_b32 s3, s10
	s_cbranch_execz .LBB31_1438
.LBB31_1437:
	v_and_b32_e32 v3, 0xffff, v1
	s_delay_alu instid0(VALU_DEP_1) | instskip(SKIP_1) | instid1(VALU_DEP_2)
	v_dual_lshlrev_b32 v1, 24, v1 :: v_dual_bitop2_b32 v5, 3, v3 bitop3:0x40
	v_bfe_u32 v10, v3, 2, 5
	v_and_b32_e32 v1, 0x80000000, v1
	s_delay_alu instid0(VALU_DEP_3) | instskip(NEXT) | instid1(VALU_DEP_3)
	v_clz_i32_u32_e32 v7, v5
	v_cmp_eq_u32_e32 vcc_lo, 0, v10
	s_delay_alu instid0(VALU_DEP_2) | instskip(NEXT) | instid1(VALU_DEP_1)
	v_min_u32_e32 v7, 32, v7
	v_subrev_nc_u32_e32 v9, 29, v7
	v_sub_nc_u32_e32 v7, 30, v7
	s_delay_alu instid0(VALU_DEP_2) | instskip(NEXT) | instid1(VALU_DEP_2)
	v_lshlrev_b32_e32 v3, v9, v3
	v_cndmask_b32_e32 v7, v10, v7, vcc_lo
	s_delay_alu instid0(VALU_DEP_2) | instskip(NEXT) | instid1(VALU_DEP_1)
	v_and_b32_e32 v3, 3, v3
	v_cndmask_b32_e32 v3, v5, v3, vcc_lo
	s_delay_alu instid0(VALU_DEP_3) | instskip(NEXT) | instid1(VALU_DEP_2)
	v_lshl_add_u32 v5, v7, 23, 0x37800000
	v_lshlrev_b32_e32 v3, 21, v3
	s_delay_alu instid0(VALU_DEP_1) | instskip(NEXT) | instid1(VALU_DEP_1)
	v_or3_b32 v1, v1, v5, v3
	v_cvt_i32_f32_e32 v10, v1
.LBB31_1438:
	s_or_b32 exec_lo, exec_lo, s3
	s_mov_b32 s3, 0
	s_branch .LBB31_1444
.LBB31_1439:
	s_mov_b32 s3, -1
                                        ; implicit-def: $vgpr10
	s_branch .LBB31_1450
.LBB31_1440:
	s_and_not1_saveexec_b32 s10, s10
	s_cbranch_execz .LBB31_1425
.LBB31_1441:
	v_cmp_ne_u16_e32 vcc_lo, 0, v1
	s_and_not1_b32 s11, s11, exec_lo
	s_and_b32 s12, vcc_lo, exec_lo
	s_delay_alu instid0(SALU_CYCLE_1)
	s_or_b32 s11, s11, s12
	s_or_b32 exec_lo, exec_lo, s10
	v_mov_b32_e32 v10, 0
	s_and_saveexec_b32 s10, s11
	s_cbranch_execnz .LBB31_1426
	s_branch .LBB31_1427
.LBB31_1442:
	s_mov_b32 s3, -1
                                        ; implicit-def: $vgpr10
	s_branch .LBB31_1447
.LBB31_1443:
	s_mov_b32 s3, -1
                                        ; implicit-def: $vgpr10
.LBB31_1444:
	s_delay_alu instid0(SALU_CYCLE_1)
	s_and_b32 vcc_lo, exec_lo, s3
	s_cbranch_vccz .LBB31_1446
; %bb.1445:
	global_load_u8 v1, v[16:17], off
	s_wait_loadcnt 0x0
	v_lshlrev_b32_e32 v1, 24, v1
	s_delay_alu instid0(VALU_DEP_1) | instskip(NEXT) | instid1(VALU_DEP_1)
	v_and_b32_e32 v3, 0x7f000000, v1
	v_clz_i32_u32_e32 v5, v3
	v_add_nc_u32_e32 v9, 0x1000000, v3
	v_cmp_ne_u32_e32 vcc_lo, 0, v3
	s_delay_alu instid0(VALU_DEP_3) | instskip(NEXT) | instid1(VALU_DEP_1)
	v_min_u32_e32 v5, 32, v5
	v_sub_nc_u32_e64 v5, v5, 4 clamp
	s_delay_alu instid0(VALU_DEP_1) | instskip(NEXT) | instid1(VALU_DEP_1)
	v_dual_lshlrev_b32 v7, v5, v3 :: v_dual_lshlrev_b32 v5, 23, v5
	v_lshrrev_b32_e32 v7, 4, v7
	s_delay_alu instid0(VALU_DEP_1) | instskip(SKIP_1) | instid1(VALU_DEP_2)
	v_sub_nc_u32_e32 v5, v7, v5
	v_ashrrev_i32_e32 v7, 8, v9
	v_add_nc_u32_e32 v5, 0x3c000000, v5
	s_delay_alu instid0(VALU_DEP_1) | instskip(NEXT) | instid1(VALU_DEP_1)
	v_and_or_b32 v5, 0x7f800000, v7, v5
	v_cndmask_b32_e32 v3, 0, v5, vcc_lo
	s_delay_alu instid0(VALU_DEP_1) | instskip(NEXT) | instid1(VALU_DEP_1)
	v_and_or_b32 v1, 0x80000000, v1, v3
	v_cvt_i32_f32_e32 v10, v1
.LBB31_1446:
	s_mov_b32 s3, 0
.LBB31_1447:
	s_delay_alu instid0(SALU_CYCLE_1)
	s_and_not1_b32 vcc_lo, exec_lo, s3
	s_cbranch_vccnz .LBB31_1449
; %bb.1448:
	global_load_u8 v1, v[16:17], off
	s_wait_loadcnt 0x0
	v_lshlrev_b32_e32 v3, 25, v1
	v_lshlrev_b16 v1, 8, v1
	s_delay_alu instid0(VALU_DEP_1) | instskip(SKIP_1) | instid1(VALU_DEP_2)
	v_and_or_b32 v7, 0x7f00, v1, 0.5
	v_bfe_i32 v1, v1, 0, 16
	v_add_f32_e32 v7, -0.5, v7
	v_lshrrev_b32_e32 v5, 4, v3
	v_cmp_gt_u32_e32 vcc_lo, 0x8000000, v3
	s_delay_alu instid0(VALU_DEP_2) | instskip(NEXT) | instid1(VALU_DEP_1)
	v_or_b32_e32 v5, 0x70000000, v5
	v_mul_f32_e32 v5, 0x7800000, v5
	s_delay_alu instid0(VALU_DEP_1) | instskip(NEXT) | instid1(VALU_DEP_1)
	v_cndmask_b32_e32 v3, v5, v7, vcc_lo
	v_and_or_b32 v1, 0x80000000, v1, v3
	s_delay_alu instid0(VALU_DEP_1)
	v_cvt_i32_f32_e32 v10, v1
.LBB31_1449:
	s_mov_b32 s3, 0
	s_mov_b32 s10, -1
.LBB31_1450:
	s_and_not1_b32 vcc_lo, exec_lo, s3
	s_mov_b32 s3, 0
	s_cbranch_vccnz .LBB31_1461
; %bb.1451:
	s_cmp_gt_i32 s0, 14
	s_cbranch_scc0 .LBB31_1454
; %bb.1452:
	s_cmp_eq_u32 s0, 15
	s_cbranch_scc0 .LBB31_1457
; %bb.1453:
	global_load_u16 v1, v[16:17], off
	s_mov_b32 s2, 0
	s_mov_b32 s10, -1
	s_wait_loadcnt 0x0
	v_lshlrev_b32_e32 v1, 16, v1
	s_delay_alu instid0(VALU_DEP_1)
	v_cvt_i32_f32_e32 v10, v1
	s_branch .LBB31_1459
.LBB31_1454:
	s_mov_b32 s3, -1
	s_branch .LBB31_1458
.LBB31_1455:
	s_and_not1_saveexec_b32 s3, s3
	s_cbranch_execz .LBB31_1436
.LBB31_1456:
	v_cmp_ne_u16_e32 vcc_lo, 0, v1
	s_and_not1_b32 s10, s10, exec_lo
	s_and_b32 s11, vcc_lo, exec_lo
	s_delay_alu instid0(SALU_CYCLE_1)
	s_or_b32 s10, s10, s11
	s_or_b32 exec_lo, exec_lo, s3
	v_mov_b32_e32 v10, 0
	s_and_saveexec_b32 s3, s10
	s_cbranch_execnz .LBB31_1437
	s_branch .LBB31_1438
.LBB31_1457:
	s_mov_b32 s2, -1
.LBB31_1458:
                                        ; implicit-def: $vgpr10
.LBB31_1459:
	s_and_b32 vcc_lo, exec_lo, s3
	s_mov_b32 s3, 0
	s_cbranch_vccz .LBB31_1461
; %bb.1460:
	s_cmp_lg_u32 s0, 11
	s_mov_b32 s3, -1
	s_cselect_b32 s2, -1, 0
.LBB31_1461:
	s_delay_alu instid0(SALU_CYCLE_1)
	s_and_b32 vcc_lo, exec_lo, s2
	s_cbranch_vccnz .LBB31_1524
; %bb.1462:
	s_and_not1_b32 vcc_lo, exec_lo, s3
	s_cbranch_vccnz .LBB31_1464
.LBB31_1463:
	global_load_u8 v1, v[16:17], off
	s_mov_b32 s10, -1
	s_wait_loadcnt 0x0
	v_cmp_ne_u16_e32 vcc_lo, 0, v1
	v_cndmask_b32_e64 v10, 0, 1, vcc_lo
.LBB31_1464:
	s_branch .LBB31_1395
.LBB31_1465:
	s_cmp_lt_i32 s0, 5
	s_cbranch_scc1 .LBB31_1470
; %bb.1466:
	s_cmp_lt_i32 s0, 8
	s_cbranch_scc1 .LBB31_1471
; %bb.1467:
	;; [unrolled: 3-line block ×3, first 2 shown]
	s_cmp_gt_i32 s0, 9
	s_cbranch_scc0 .LBB31_1473
; %bb.1469:
	s_wait_loadcnt 0x0
	global_load_b64 v[10:11], v[16:17], off
	s_mov_b32 s2, 0
	s_wait_loadcnt 0x0
	v_cvt_i32_f64_e32 v10, v[10:11]
	s_branch .LBB31_1474
.LBB31_1470:
	s_mov_b32 s2, -1
                                        ; implicit-def: $vgpr10
	s_branch .LBB31_1492
.LBB31_1471:
	s_mov_b32 s2, -1
                                        ; implicit-def: $vgpr10
	s_branch .LBB31_1480
.LBB31_1472:
	s_mov_b32 s2, -1
                                        ; implicit-def: $vgpr10
	s_branch .LBB31_1477
.LBB31_1473:
	s_mov_b32 s2, -1
                                        ; implicit-def: $vgpr10
.LBB31_1474:
	s_delay_alu instid0(SALU_CYCLE_1)
	s_and_not1_b32 vcc_lo, exec_lo, s2
	s_cbranch_vccnz .LBB31_1476
; %bb.1475:
	global_load_b32 v1, v[16:17], off
	s_wait_loadcnt 0x0
	v_cvt_i32_f32_e32 v10, v1
.LBB31_1476:
	s_mov_b32 s2, 0
.LBB31_1477:
	s_delay_alu instid0(SALU_CYCLE_1)
	s_and_not1_b32 vcc_lo, exec_lo, s2
	s_cbranch_vccnz .LBB31_1479
; %bb.1478:
	global_load_b32 v1, v[16:17], off
	s_wait_loadcnt 0x0
	v_cvt_i16_f16_e32 v10, v1
.LBB31_1479:
	s_mov_b32 s2, 0
.LBB31_1480:
	s_delay_alu instid0(SALU_CYCLE_1)
	s_and_not1_b32 vcc_lo, exec_lo, s2
	s_cbranch_vccnz .LBB31_1491
; %bb.1481:
	s_cmp_lt_i32 s0, 6
	s_cbranch_scc1 .LBB31_1484
; %bb.1482:
	s_cmp_gt_i32 s0, 6
	s_cbranch_scc0 .LBB31_1485
; %bb.1483:
	s_wait_loadcnt 0x0
	global_load_b64 v[10:11], v[16:17], off
	s_mov_b32 s2, 0
	s_wait_loadcnt 0x0
	v_cvt_i32_f64_e32 v10, v[10:11]
	s_branch .LBB31_1486
.LBB31_1484:
	s_mov_b32 s2, -1
                                        ; implicit-def: $vgpr10
	s_branch .LBB31_1489
.LBB31_1485:
	s_mov_b32 s2, -1
                                        ; implicit-def: $vgpr10
.LBB31_1486:
	s_delay_alu instid0(SALU_CYCLE_1)
	s_and_not1_b32 vcc_lo, exec_lo, s2
	s_cbranch_vccnz .LBB31_1488
; %bb.1487:
	global_load_b32 v1, v[16:17], off
	s_wait_loadcnt 0x0
	v_cvt_i32_f32_e32 v10, v1
.LBB31_1488:
	s_mov_b32 s2, 0
.LBB31_1489:
	s_delay_alu instid0(SALU_CYCLE_1)
	s_and_not1_b32 vcc_lo, exec_lo, s2
	s_cbranch_vccnz .LBB31_1491
; %bb.1490:
	global_load_u16 v1, v[16:17], off
	s_wait_loadcnt 0x0
	v_cvt_i16_f16_e32 v10, v1
.LBB31_1491:
	s_mov_b32 s2, 0
.LBB31_1492:
	s_delay_alu instid0(SALU_CYCLE_1)
	s_and_not1_b32 vcc_lo, exec_lo, s2
	s_cbranch_vccnz .LBB31_1512
; %bb.1493:
	s_cmp_lt_i32 s0, 2
	s_cbranch_scc1 .LBB31_1497
; %bb.1494:
	s_cmp_lt_i32 s0, 3
	s_cbranch_scc1 .LBB31_1498
; %bb.1495:
	s_cmp_gt_i32 s0, 3
	s_cbranch_scc0 .LBB31_1499
; %bb.1496:
	s_wait_loadcnt 0x0
	global_load_b64 v[10:11], v[16:17], off
	s_mov_b32 s2, 0
	s_branch .LBB31_1500
.LBB31_1497:
	s_mov_b32 s2, -1
                                        ; implicit-def: $vgpr10
	s_branch .LBB31_1506
.LBB31_1498:
	s_mov_b32 s2, -1
                                        ; implicit-def: $vgpr10
	s_branch .LBB31_1503
.LBB31_1499:
	s_mov_b32 s2, -1
                                        ; implicit-def: $vgpr10
.LBB31_1500:
	s_delay_alu instid0(SALU_CYCLE_1)
	s_and_not1_b32 vcc_lo, exec_lo, s2
	s_cbranch_vccnz .LBB31_1502
; %bb.1501:
	s_wait_loadcnt 0x0
	global_load_b32 v10, v[16:17], off
.LBB31_1502:
	s_mov_b32 s2, 0
.LBB31_1503:
	s_delay_alu instid0(SALU_CYCLE_1)
	s_and_not1_b32 vcc_lo, exec_lo, s2
	s_cbranch_vccnz .LBB31_1505
; %bb.1504:
	s_wait_loadcnt 0x0
	global_load_u16 v10, v[16:17], off
.LBB31_1505:
	s_mov_b32 s2, 0
.LBB31_1506:
	s_delay_alu instid0(SALU_CYCLE_1)
	s_and_not1_b32 vcc_lo, exec_lo, s2
	s_cbranch_vccnz .LBB31_1512
; %bb.1507:
	s_cmp_gt_i32 s0, 0
	s_mov_b32 s2, 0
	s_cbranch_scc0 .LBB31_1509
; %bb.1508:
	s_wait_loadcnt 0x0
	global_load_u8 v10, v[16:17], off
	s_branch .LBB31_1510
.LBB31_1509:
	s_mov_b32 s2, -1
                                        ; implicit-def: $vgpr10
.LBB31_1510:
	s_delay_alu instid0(SALU_CYCLE_1)
	s_and_not1_b32 vcc_lo, exec_lo, s2
	s_cbranch_vccnz .LBB31_1512
; %bb.1511:
	s_wait_loadcnt 0x0
	global_load_u8 v10, v[16:17], off
.LBB31_1512:
.LBB31_1513:
	v_mov_b32_e32 v9, 0
	s_cmp_lt_i32 s0, 11
	s_wait_xcnt 0x0
	s_delay_alu instid0(VALU_DEP_1)
	v_add_nc_u64_e32 v[16:17], s[6:7], v[8:9]
	s_cbranch_scc1 .LBB31_1520
; %bb.1514:
	s_cmp_gt_i32 s0, 25
	s_mov_b32 s3, 0
	s_cbranch_scc0 .LBB31_1521
; %bb.1515:
	s_cmp_gt_i32 s0, 28
	s_cbranch_scc0 .LBB31_1522
; %bb.1516:
	s_cmp_gt_i32 s0, 43
	;; [unrolled: 3-line block ×3, first 2 shown]
	s_cbranch_scc0 .LBB31_1525
; %bb.1518:
	s_cmp_eq_u32 s0, 46
	s_mov_b32 s7, 0
	s_cbranch_scc0 .LBB31_1526
; %bb.1519:
	global_load_b32 v1, v[16:17], off
	s_mov_b32 s2, 0
	s_mov_b32 s6, -1
	s_wait_loadcnt 0x0
	v_lshlrev_b32_e32 v1, 16, v1
	s_delay_alu instid0(VALU_DEP_1)
	v_cvt_i32_f32_e32 v8, v1
	s_branch .LBB31_1528
.LBB31_1520:
	s_mov_b32 s2, -1
	s_mov_b32 s6, 0
                                        ; implicit-def: $vgpr8
	s_branch .LBB31_1590
.LBB31_1521:
	s_mov_b32 s7, -1
	s_mov_b32 s6, 0
	s_mov_b32 s2, 0
                                        ; implicit-def: $vgpr8
	s_branch .LBB31_1555
.LBB31_1522:
	s_mov_b32 s7, -1
	s_mov_b32 s6, 0
	s_mov_b32 s2, 0
                                        ; implicit-def: $vgpr8
	s_branch .LBB31_1538
.LBB31_1523:
	s_mov_b32 s7, -1
	s_mov_b32 s6, 0
	s_mov_b32 s2, 0
                                        ; implicit-def: $vgpr8
	s_branch .LBB31_1533
.LBB31_1524:
	s_or_b32 s1, s1, exec_lo
	s_trap 2
	s_cbranch_execz .LBB31_1463
	s_branch .LBB31_1464
.LBB31_1525:
	s_mov_b32 s7, -1
	s_mov_b32 s6, 0
	s_mov_b32 s2, 0
	s_branch .LBB31_1527
.LBB31_1526:
	s_mov_b32 s2, -1
	s_mov_b32 s6, 0
.LBB31_1527:
                                        ; implicit-def: $vgpr8
.LBB31_1528:
	s_and_b32 vcc_lo, exec_lo, s7
	s_cbranch_vccz .LBB31_1532
; %bb.1529:
	s_cmp_eq_u32 s0, 44
	s_cbranch_scc0 .LBB31_1531
; %bb.1530:
	global_load_u8 v1, v[16:17], off
	s_mov_b32 s2, 0
	s_mov_b32 s6, -1
	s_wait_loadcnt 0x0
	v_lshlrev_b32_e32 v3, 23, v1
	v_cmp_ne_u32_e32 vcc_lo, 0, v1
	s_delay_alu instid0(VALU_DEP_2) | instskip(NEXT) | instid1(VALU_DEP_1)
	v_cvt_i32_f32_e32 v3, v3
	v_cndmask_b32_e32 v8, 0, v3, vcc_lo
	s_branch .LBB31_1532
.LBB31_1531:
	s_mov_b32 s2, -1
                                        ; implicit-def: $vgpr8
.LBB31_1532:
	s_mov_b32 s7, 0
.LBB31_1533:
	s_delay_alu instid0(SALU_CYCLE_1)
	s_and_b32 vcc_lo, exec_lo, s7
	s_cbranch_vccz .LBB31_1537
; %bb.1534:
	s_cmp_eq_u32 s0, 29
	s_cbranch_scc0 .LBB31_1536
; %bb.1535:
	global_load_b64 v[8:9], v[16:17], off
	s_mov_b32 s2, 0
	s_mov_b32 s6, -1
	s_branch .LBB31_1537
.LBB31_1536:
	s_mov_b32 s2, -1
                                        ; implicit-def: $vgpr8
.LBB31_1537:
	s_mov_b32 s7, 0
.LBB31_1538:
	s_delay_alu instid0(SALU_CYCLE_1)
	s_and_b32 vcc_lo, exec_lo, s7
	s_cbranch_vccz .LBB31_1554
; %bb.1539:
	s_cmp_lt_i32 s0, 27
	s_cbranch_scc1 .LBB31_1542
; %bb.1540:
	s_cmp_gt_i32 s0, 27
	s_cbranch_scc0 .LBB31_1543
; %bb.1541:
	s_wait_loadcnt 0x0
	global_load_b32 v8, v[16:17], off
	s_mov_b32 s6, 0
	s_branch .LBB31_1544
.LBB31_1542:
	s_mov_b32 s6, -1
                                        ; implicit-def: $vgpr8
	s_branch .LBB31_1547
.LBB31_1543:
	s_mov_b32 s6, -1
                                        ; implicit-def: $vgpr8
.LBB31_1544:
	s_delay_alu instid0(SALU_CYCLE_1)
	s_and_not1_b32 vcc_lo, exec_lo, s6
	s_cbranch_vccnz .LBB31_1546
; %bb.1545:
	s_wait_loadcnt 0x0
	global_load_u16 v8, v[16:17], off
.LBB31_1546:
	s_mov_b32 s6, 0
.LBB31_1547:
	s_delay_alu instid0(SALU_CYCLE_1)
	s_and_not1_b32 vcc_lo, exec_lo, s6
	s_cbranch_vccnz .LBB31_1553
; %bb.1548:
	global_load_u8 v1, v[16:17], off
	s_mov_b32 s7, 0
	s_mov_b32 s6, exec_lo
	s_wait_loadcnt 0x0
	v_cmpx_lt_i16_e32 0x7f, v1
	s_xor_b32 s6, exec_lo, s6
	s_cbranch_execz .LBB31_1565
; %bb.1549:
	v_cmp_ne_u16_e32 vcc_lo, 0x80, v1
	s_and_b32 s7, vcc_lo, exec_lo
	s_and_not1_saveexec_b32 s6, s6
	s_cbranch_execnz .LBB31_1566
.LBB31_1550:
	s_or_b32 exec_lo, exec_lo, s6
	v_mov_b32_e32 v8, 0
	s_and_saveexec_b32 s6, s7
	s_cbranch_execz .LBB31_1552
.LBB31_1551:
	v_and_b32_e32 v3, 0xffff, v1
	s_delay_alu instid0(VALU_DEP_1) | instskip(SKIP_1) | instid1(VALU_DEP_2)
	v_dual_lshlrev_b32 v1, 24, v1 :: v_dual_bitop2_b32 v5, 7, v3 bitop3:0x40
	v_bfe_u32 v9, v3, 3, 4
	v_and_b32_e32 v1, 0x80000000, v1
	s_delay_alu instid0(VALU_DEP_3) | instskip(NEXT) | instid1(VALU_DEP_3)
	v_clz_i32_u32_e32 v7, v5
	v_cmp_eq_u32_e32 vcc_lo, 0, v9
	s_delay_alu instid0(VALU_DEP_2) | instskip(NEXT) | instid1(VALU_DEP_1)
	v_min_u32_e32 v7, 32, v7
	v_subrev_nc_u32_e32 v8, 28, v7
	v_sub_nc_u32_e32 v7, 29, v7
	s_delay_alu instid0(VALU_DEP_2) | instskip(NEXT) | instid1(VALU_DEP_2)
	v_lshlrev_b32_e32 v3, v8, v3
	v_cndmask_b32_e32 v7, v9, v7, vcc_lo
	s_delay_alu instid0(VALU_DEP_2) | instskip(NEXT) | instid1(VALU_DEP_1)
	v_and_b32_e32 v3, 7, v3
	v_cndmask_b32_e32 v3, v5, v3, vcc_lo
	s_delay_alu instid0(VALU_DEP_3) | instskip(NEXT) | instid1(VALU_DEP_2)
	v_lshl_add_u32 v5, v7, 23, 0x3b800000
	v_lshlrev_b32_e32 v3, 20, v3
	s_delay_alu instid0(VALU_DEP_1) | instskip(NEXT) | instid1(VALU_DEP_1)
	v_or3_b32 v1, v1, v5, v3
	v_cvt_i32_f32_e32 v8, v1
.LBB31_1552:
	s_or_b32 exec_lo, exec_lo, s6
.LBB31_1553:
	s_mov_b32 s6, -1
.LBB31_1554:
	s_mov_b32 s7, 0
.LBB31_1555:
	s_delay_alu instid0(SALU_CYCLE_1)
	s_and_b32 vcc_lo, exec_lo, s7
	s_cbranch_vccz .LBB31_1586
; %bb.1556:
	s_cmp_gt_i32 s0, 22
	s_cbranch_scc0 .LBB31_1564
; %bb.1557:
	s_cmp_lt_i32 s0, 24
	s_cbranch_scc1 .LBB31_1567
; %bb.1558:
	s_cmp_gt_i32 s0, 24
	s_cbranch_scc0 .LBB31_1568
; %bb.1559:
	global_load_u8 v1, v[16:17], off
	s_mov_b32 s6, 0
	s_mov_b32 s3, exec_lo
	s_wait_loadcnt 0x0
	v_cmpx_lt_i16_e32 0x7f, v1
	s_xor_b32 s3, exec_lo, s3
	s_cbranch_execz .LBB31_1580
; %bb.1560:
	v_cmp_ne_u16_e32 vcc_lo, 0x80, v1
	s_and_b32 s6, vcc_lo, exec_lo
	s_and_not1_saveexec_b32 s3, s3
	s_cbranch_execnz .LBB31_1581
.LBB31_1561:
	s_or_b32 exec_lo, exec_lo, s3
	v_mov_b32_e32 v8, 0
	s_and_saveexec_b32 s3, s6
	s_cbranch_execz .LBB31_1563
.LBB31_1562:
	v_and_b32_e32 v3, 0xffff, v1
	s_delay_alu instid0(VALU_DEP_1) | instskip(SKIP_1) | instid1(VALU_DEP_2)
	v_dual_lshlrev_b32 v1, 24, v1 :: v_dual_bitop2_b32 v5, 3, v3 bitop3:0x40
	v_bfe_u32 v9, v3, 2, 5
	v_and_b32_e32 v1, 0x80000000, v1
	s_delay_alu instid0(VALU_DEP_3) | instskip(NEXT) | instid1(VALU_DEP_3)
	v_clz_i32_u32_e32 v7, v5
	v_cmp_eq_u32_e32 vcc_lo, 0, v9
	s_delay_alu instid0(VALU_DEP_2) | instskip(NEXT) | instid1(VALU_DEP_1)
	v_min_u32_e32 v7, 32, v7
	v_subrev_nc_u32_e32 v8, 29, v7
	v_sub_nc_u32_e32 v7, 30, v7
	s_delay_alu instid0(VALU_DEP_2) | instskip(NEXT) | instid1(VALU_DEP_2)
	v_lshlrev_b32_e32 v3, v8, v3
	v_cndmask_b32_e32 v7, v9, v7, vcc_lo
	s_delay_alu instid0(VALU_DEP_2) | instskip(NEXT) | instid1(VALU_DEP_1)
	v_and_b32_e32 v3, 3, v3
	v_cndmask_b32_e32 v3, v5, v3, vcc_lo
	s_delay_alu instid0(VALU_DEP_3) | instskip(NEXT) | instid1(VALU_DEP_2)
	v_lshl_add_u32 v5, v7, 23, 0x37800000
	v_lshlrev_b32_e32 v3, 21, v3
	s_delay_alu instid0(VALU_DEP_1) | instskip(NEXT) | instid1(VALU_DEP_1)
	v_or3_b32 v1, v1, v5, v3
	v_cvt_i32_f32_e32 v8, v1
.LBB31_1563:
	s_or_b32 exec_lo, exec_lo, s3
	s_mov_b32 s3, 0
	s_branch .LBB31_1569
.LBB31_1564:
	s_mov_b32 s3, -1
                                        ; implicit-def: $vgpr8
	s_branch .LBB31_1575
.LBB31_1565:
	s_and_not1_saveexec_b32 s6, s6
	s_cbranch_execz .LBB31_1550
.LBB31_1566:
	v_cmp_ne_u16_e32 vcc_lo, 0, v1
	s_and_not1_b32 s7, s7, exec_lo
	s_and_b32 s10, vcc_lo, exec_lo
	s_delay_alu instid0(SALU_CYCLE_1)
	s_or_b32 s7, s7, s10
	s_or_b32 exec_lo, exec_lo, s6
	v_mov_b32_e32 v8, 0
	s_and_saveexec_b32 s6, s7
	s_cbranch_execnz .LBB31_1551
	s_branch .LBB31_1552
.LBB31_1567:
	s_mov_b32 s3, -1
                                        ; implicit-def: $vgpr8
	s_branch .LBB31_1572
.LBB31_1568:
	s_mov_b32 s3, -1
                                        ; implicit-def: $vgpr8
.LBB31_1569:
	s_delay_alu instid0(SALU_CYCLE_1)
	s_and_b32 vcc_lo, exec_lo, s3
	s_cbranch_vccz .LBB31_1571
; %bb.1570:
	global_load_u8 v1, v[16:17], off
	s_wait_loadcnt 0x0
	v_lshlrev_b32_e32 v1, 24, v1
	s_delay_alu instid0(VALU_DEP_1) | instskip(NEXT) | instid1(VALU_DEP_1)
	v_and_b32_e32 v3, 0x7f000000, v1
	v_clz_i32_u32_e32 v5, v3
	v_cmp_ne_u32_e32 vcc_lo, 0, v3
	v_add_nc_u32_e32 v8, 0x1000000, v3
	s_delay_alu instid0(VALU_DEP_3) | instskip(NEXT) | instid1(VALU_DEP_1)
	v_min_u32_e32 v5, 32, v5
	v_sub_nc_u32_e64 v5, v5, 4 clamp
	s_delay_alu instid0(VALU_DEP_1) | instskip(NEXT) | instid1(VALU_DEP_1)
	v_dual_lshlrev_b32 v7, v5, v3 :: v_dual_lshlrev_b32 v5, 23, v5
	v_lshrrev_b32_e32 v7, 4, v7
	s_delay_alu instid0(VALU_DEP_1) | instskip(NEXT) | instid1(VALU_DEP_1)
	v_dual_sub_nc_u32 v5, v7, v5 :: v_dual_ashrrev_i32 v7, 8, v8
	v_add_nc_u32_e32 v5, 0x3c000000, v5
	s_delay_alu instid0(VALU_DEP_1) | instskip(NEXT) | instid1(VALU_DEP_1)
	v_and_or_b32 v5, 0x7f800000, v7, v5
	v_cndmask_b32_e32 v3, 0, v5, vcc_lo
	s_delay_alu instid0(VALU_DEP_1) | instskip(NEXT) | instid1(VALU_DEP_1)
	v_and_or_b32 v1, 0x80000000, v1, v3
	v_cvt_i32_f32_e32 v8, v1
.LBB31_1571:
	s_mov_b32 s3, 0
.LBB31_1572:
	s_delay_alu instid0(SALU_CYCLE_1)
	s_and_not1_b32 vcc_lo, exec_lo, s3
	s_cbranch_vccnz .LBB31_1574
; %bb.1573:
	global_load_u8 v1, v[16:17], off
	s_wait_loadcnt 0x0
	v_lshlrev_b32_e32 v3, 25, v1
	v_lshlrev_b16 v1, 8, v1
	s_delay_alu instid0(VALU_DEP_1) | instskip(SKIP_1) | instid1(VALU_DEP_2)
	v_and_or_b32 v7, 0x7f00, v1, 0.5
	v_bfe_i32 v1, v1, 0, 16
	v_add_f32_e32 v7, -0.5, v7
	v_lshrrev_b32_e32 v5, 4, v3
	v_cmp_gt_u32_e32 vcc_lo, 0x8000000, v3
	s_delay_alu instid0(VALU_DEP_2) | instskip(NEXT) | instid1(VALU_DEP_1)
	v_or_b32_e32 v5, 0x70000000, v5
	v_mul_f32_e32 v5, 0x7800000, v5
	s_delay_alu instid0(VALU_DEP_1) | instskip(NEXT) | instid1(VALU_DEP_1)
	v_cndmask_b32_e32 v3, v5, v7, vcc_lo
	v_and_or_b32 v1, 0x80000000, v1, v3
	s_delay_alu instid0(VALU_DEP_1)
	v_cvt_i32_f32_e32 v8, v1
.LBB31_1574:
	s_mov_b32 s3, 0
	s_mov_b32 s6, -1
.LBB31_1575:
	s_and_not1_b32 vcc_lo, exec_lo, s3
	s_mov_b32 s3, 0
	s_cbranch_vccnz .LBB31_1586
; %bb.1576:
	s_cmp_gt_i32 s0, 14
	s_cbranch_scc0 .LBB31_1579
; %bb.1577:
	s_cmp_eq_u32 s0, 15
	s_cbranch_scc0 .LBB31_1582
; %bb.1578:
	global_load_u16 v1, v[16:17], off
	s_mov_b32 s2, 0
	s_mov_b32 s6, -1
	s_wait_loadcnt 0x0
	v_lshlrev_b32_e32 v1, 16, v1
	s_delay_alu instid0(VALU_DEP_1)
	v_cvt_i32_f32_e32 v8, v1
	s_branch .LBB31_1584
.LBB31_1579:
	s_mov_b32 s3, -1
	s_branch .LBB31_1583
.LBB31_1580:
	s_and_not1_saveexec_b32 s3, s3
	s_cbranch_execz .LBB31_1561
.LBB31_1581:
	v_cmp_ne_u16_e32 vcc_lo, 0, v1
	s_and_not1_b32 s6, s6, exec_lo
	s_and_b32 s7, vcc_lo, exec_lo
	s_delay_alu instid0(SALU_CYCLE_1)
	s_or_b32 s6, s6, s7
	s_or_b32 exec_lo, exec_lo, s3
	v_mov_b32_e32 v8, 0
	s_and_saveexec_b32 s3, s6
	s_cbranch_execnz .LBB31_1562
	s_branch .LBB31_1563
.LBB31_1582:
	s_mov_b32 s2, -1
.LBB31_1583:
                                        ; implicit-def: $vgpr8
.LBB31_1584:
	s_and_b32 vcc_lo, exec_lo, s3
	s_mov_b32 s3, 0
	s_cbranch_vccz .LBB31_1586
; %bb.1585:
	s_cmp_lg_u32 s0, 11
	s_mov_b32 s3, -1
	s_cselect_b32 s2, -1, 0
.LBB31_1586:
	s_delay_alu instid0(SALU_CYCLE_1)
	s_and_b32 vcc_lo, exec_lo, s2
	s_cbranch_vccnz .LBB31_2118
; %bb.1587:
	s_and_not1_b32 vcc_lo, exec_lo, s3
	s_cbranch_vccnz .LBB31_1589
.LBB31_1588:
	global_load_u8 v1, v[16:17], off
	s_mov_b32 s6, -1
	s_wait_loadcnt 0x0
	v_cmp_ne_u16_e32 vcc_lo, 0, v1
	v_cndmask_b32_e64 v8, 0, 1, vcc_lo
.LBB31_1589:
	s_mov_b32 s2, 0
.LBB31_1590:
	s_delay_alu instid0(SALU_CYCLE_1)
	s_and_b32 vcc_lo, exec_lo, s2
	s_cbranch_vccz .LBB31_1639
; %bb.1591:
	s_cmp_lt_i32 s0, 5
	s_cbranch_scc1 .LBB31_1596
; %bb.1592:
	s_cmp_lt_i32 s0, 8
	s_cbranch_scc1 .LBB31_1597
	;; [unrolled: 3-line block ×3, first 2 shown]
; %bb.1594:
	s_cmp_gt_i32 s0, 9
	s_cbranch_scc0 .LBB31_1599
; %bb.1595:
	s_wait_loadcnt 0x0
	global_load_b64 v[8:9], v[16:17], off
	s_mov_b32 s2, 0
	s_wait_loadcnt 0x0
	v_cvt_i32_f64_e32 v8, v[8:9]
	s_branch .LBB31_1600
.LBB31_1596:
	s_mov_b32 s2, -1
                                        ; implicit-def: $vgpr8
	s_branch .LBB31_1618
.LBB31_1597:
	s_mov_b32 s2, -1
                                        ; implicit-def: $vgpr8
	s_branch .LBB31_1606
.LBB31_1598:
	s_mov_b32 s2, -1
                                        ; implicit-def: $vgpr8
	s_branch .LBB31_1603
.LBB31_1599:
	s_mov_b32 s2, -1
                                        ; implicit-def: $vgpr8
.LBB31_1600:
	s_delay_alu instid0(SALU_CYCLE_1)
	s_and_not1_b32 vcc_lo, exec_lo, s2
	s_cbranch_vccnz .LBB31_1602
; %bb.1601:
	global_load_b32 v1, v[16:17], off
	s_wait_loadcnt 0x0
	v_cvt_i32_f32_e32 v8, v1
.LBB31_1602:
	s_mov_b32 s2, 0
.LBB31_1603:
	s_delay_alu instid0(SALU_CYCLE_1)
	s_and_not1_b32 vcc_lo, exec_lo, s2
	s_cbranch_vccnz .LBB31_1605
; %bb.1604:
	global_load_b32 v1, v[16:17], off
	s_wait_loadcnt 0x0
	v_cvt_i16_f16_e32 v8, v1
.LBB31_1605:
	s_mov_b32 s2, 0
.LBB31_1606:
	s_delay_alu instid0(SALU_CYCLE_1)
	s_and_not1_b32 vcc_lo, exec_lo, s2
	s_cbranch_vccnz .LBB31_1617
; %bb.1607:
	s_cmp_lt_i32 s0, 6
	s_cbranch_scc1 .LBB31_1610
; %bb.1608:
	s_cmp_gt_i32 s0, 6
	s_cbranch_scc0 .LBB31_1611
; %bb.1609:
	s_wait_loadcnt 0x0
	global_load_b64 v[8:9], v[16:17], off
	s_mov_b32 s2, 0
	s_wait_loadcnt 0x0
	v_cvt_i32_f64_e32 v8, v[8:9]
	s_branch .LBB31_1612
.LBB31_1610:
	s_mov_b32 s2, -1
                                        ; implicit-def: $vgpr8
	s_branch .LBB31_1615
.LBB31_1611:
	s_mov_b32 s2, -1
                                        ; implicit-def: $vgpr8
.LBB31_1612:
	s_delay_alu instid0(SALU_CYCLE_1)
	s_and_not1_b32 vcc_lo, exec_lo, s2
	s_cbranch_vccnz .LBB31_1614
; %bb.1613:
	global_load_b32 v1, v[16:17], off
	s_wait_loadcnt 0x0
	v_cvt_i32_f32_e32 v8, v1
.LBB31_1614:
	s_mov_b32 s2, 0
.LBB31_1615:
	s_delay_alu instid0(SALU_CYCLE_1)
	s_and_not1_b32 vcc_lo, exec_lo, s2
	s_cbranch_vccnz .LBB31_1617
; %bb.1616:
	global_load_u16 v1, v[16:17], off
	s_wait_loadcnt 0x0
	v_cvt_i16_f16_e32 v8, v1
.LBB31_1617:
	s_mov_b32 s2, 0
.LBB31_1618:
	s_delay_alu instid0(SALU_CYCLE_1)
	s_and_not1_b32 vcc_lo, exec_lo, s2
	s_cbranch_vccnz .LBB31_1638
; %bb.1619:
	s_cmp_lt_i32 s0, 2
	s_cbranch_scc1 .LBB31_1623
; %bb.1620:
	s_cmp_lt_i32 s0, 3
	s_cbranch_scc1 .LBB31_1624
; %bb.1621:
	s_cmp_gt_i32 s0, 3
	s_cbranch_scc0 .LBB31_1625
; %bb.1622:
	s_wait_loadcnt 0x0
	global_load_b64 v[8:9], v[16:17], off
	s_mov_b32 s2, 0
	s_branch .LBB31_1626
.LBB31_1623:
	s_mov_b32 s2, -1
                                        ; implicit-def: $vgpr8
	s_branch .LBB31_1632
.LBB31_1624:
	s_mov_b32 s2, -1
                                        ; implicit-def: $vgpr8
	s_branch .LBB31_1629
.LBB31_1625:
	s_mov_b32 s2, -1
                                        ; implicit-def: $vgpr8
.LBB31_1626:
	s_delay_alu instid0(SALU_CYCLE_1)
	s_and_not1_b32 vcc_lo, exec_lo, s2
	s_cbranch_vccnz .LBB31_1628
; %bb.1627:
	s_wait_loadcnt 0x0
	global_load_b32 v8, v[16:17], off
.LBB31_1628:
	s_mov_b32 s2, 0
.LBB31_1629:
	s_delay_alu instid0(SALU_CYCLE_1)
	s_and_not1_b32 vcc_lo, exec_lo, s2
	s_cbranch_vccnz .LBB31_1631
; %bb.1630:
	s_wait_loadcnt 0x0
	global_load_u16 v8, v[16:17], off
.LBB31_1631:
	s_mov_b32 s2, 0
.LBB31_1632:
	s_delay_alu instid0(SALU_CYCLE_1)
	s_and_not1_b32 vcc_lo, exec_lo, s2
	s_cbranch_vccnz .LBB31_1638
; %bb.1633:
	s_cmp_gt_i32 s0, 0
	s_mov_b32 s0, 0
	s_cbranch_scc0 .LBB31_1635
; %bb.1634:
	s_wait_loadcnt 0x0
	global_load_u8 v8, v[16:17], off
	s_branch .LBB31_1636
.LBB31_1635:
	s_mov_b32 s0, -1
                                        ; implicit-def: $vgpr8
.LBB31_1636:
	s_delay_alu instid0(SALU_CYCLE_1)
	s_and_not1_b32 vcc_lo, exec_lo, s0
	s_cbranch_vccnz .LBB31_1638
; %bb.1637:
	s_wait_loadcnt 0x0
	global_load_u8 v8, v[16:17], off
.LBB31_1638:
	s_mov_b32 s6, -1
.LBB31_1639:
	s_delay_alu instid0(SALU_CYCLE_1)
	s_and_not1_b32 vcc_lo, exec_lo, s6
	s_cbranch_vccnz .LBB31_2072
; %bb.1640:
	s_load_b96 s[12:14], s[16:17], 0x158
	s_wait_loadcnt 0x0
	v_and_b32_e32 v1, 0xff, v14
	v_mov_b32_e32 v7, 0
	s_mov_b32 s0, -1
	s_delay_alu instid0(VALU_DEP_1)
	v_add_nc_u64_e32 v[6:7], s[4:5], v[6:7]
	s_wait_kmcnt 0x0
	s_cmp_eq_u32 s12, 0
	s_mov_b32 s12, 0
	s_cselect_b32 s3, -1, 0
	s_and_b32 s6, s13, 0xff
	s_and_b32 s2, s14, 0xff
	v_cmp_ne_u16_e32 vcc_lo, s6, v1
	s_xor_b32 s7, s3, vcc_lo
	s_cmp_lt_i32 s2, 11
	s_cbranch_scc1 .LBB31_1719
; %bb.1641:
	s_and_b32 s10, 0xffff, s2
	s_mov_b32 s13, -1
	s_mov_b32 s11, 0
	s_cmp_gt_i32 s10, 25
	s_mov_b32 s0, 0
	s_cbranch_scc0 .LBB31_1674
; %bb.1642:
	s_cmp_gt_i32 s10, 28
	s_cbranch_scc0 .LBB31_1657
; %bb.1643:
	s_cmp_gt_i32 s10, 43
	;; [unrolled: 3-line block ×3, first 2 shown]
	s_cbranch_scc0 .LBB31_1647
; %bb.1645:
	s_mov_b32 s0, -1
	s_mov_b32 s13, 0
	s_cmp_eq_u32 s10, 46
	s_cbranch_scc0 .LBB31_1647
; %bb.1646:
	v_cndmask_b32_e64 v1, 0, 1.0, s7
	s_mov_b32 s0, 0
	s_mov_b32 s12, -1
	s_delay_alu instid0(VALU_DEP_1) | instskip(NEXT) | instid1(VALU_DEP_1)
	v_bfe_u32 v3, v1, 16, 1
	v_add3_u32 v1, v1, v3, 0x7fff
	s_delay_alu instid0(VALU_DEP_1)
	v_lshrrev_b32_e32 v1, 16, v1
	global_store_b32 v[6:7], v1, off
.LBB31_1647:
	s_and_b32 vcc_lo, exec_lo, s13
	s_cbranch_vccz .LBB31_1652
; %bb.1648:
	s_cmp_eq_u32 s10, 44
	s_mov_b32 s0, -1
	s_cbranch_scc0 .LBB31_1652
; %bb.1649:
	v_cndmask_b32_e64 v5, 0, 1.0, s7
	v_mov_b32_e32 v3, 0xff
	s_mov_b32 s12, exec_lo
	s_wait_xcnt 0x0
	s_delay_alu instid0(VALU_DEP_2) | instskip(NEXT) | instid1(VALU_DEP_1)
	v_lshrrev_b32_e32 v1, 23, v5
	v_cmpx_ne_u32_e32 0xff, v1
; %bb.1650:
	v_and_b32_e32 v3, 0x400000, v5
	v_and_or_b32 v5, 0x3fffff, v5, v1
	s_delay_alu instid0(VALU_DEP_2) | instskip(NEXT) | instid1(VALU_DEP_2)
	v_cmp_ne_u32_e32 vcc_lo, 0, v3
	v_cmp_ne_u32_e64 s0, 0, v5
	s_and_b32 s0, vcc_lo, s0
	s_delay_alu instid0(SALU_CYCLE_1) | instskip(NEXT) | instid1(VALU_DEP_1)
	v_cndmask_b32_e64 v3, 0, 1, s0
	v_add_nc_u32_e32 v3, v1, v3
; %bb.1651:
	s_or_b32 exec_lo, exec_lo, s12
	s_mov_b32 s0, 0
	s_mov_b32 s12, -1
	global_store_b8 v[6:7], v3, off
.LBB31_1652:
	s_mov_b32 s13, 0
.LBB31_1653:
	s_delay_alu instid0(SALU_CYCLE_1)
	s_and_b32 vcc_lo, exec_lo, s13
	s_cbranch_vccz .LBB31_1656
; %bb.1654:
	s_cmp_eq_u32 s10, 29
	s_mov_b32 s0, -1
	s_cbranch_scc0 .LBB31_1656
; %bb.1655:
	s_mov_b32 s0, 0
	v_cndmask_b32_e64 v14, 0, 1, s7
	v_mov_b32_e32 v15, s0
	s_mov_b32 s12, -1
	global_store_b64 v[6:7], v[14:15], off
.LBB31_1656:
	s_mov_b32 s13, 0
.LBB31_1657:
	s_delay_alu instid0(SALU_CYCLE_1)
	s_and_b32 vcc_lo, exec_lo, s13
	s_cbranch_vccz .LBB31_1673
; %bb.1658:
	s_cmp_lt_i32 s10, 27
	s_mov_b32 s12, -1
	s_cbranch_scc1 .LBB31_1664
; %bb.1659:
	s_cmp_gt_i32 s10, 27
	s_cbranch_scc0 .LBB31_1661
; %bb.1660:
	s_wait_xcnt 0x0
	v_cndmask_b32_e64 v1, 0, 1, s7
	s_mov_b32 s12, 0
	global_store_b32 v[6:7], v1, off
.LBB31_1661:
	s_and_not1_b32 vcc_lo, exec_lo, s12
	s_cbranch_vccnz .LBB31_1663
; %bb.1662:
	s_wait_xcnt 0x0
	v_cndmask_b32_e64 v1, 0, 1, s7
	global_store_b16 v[6:7], v1, off
.LBB31_1663:
	s_mov_b32 s12, 0
.LBB31_1664:
	s_delay_alu instid0(SALU_CYCLE_1)
	s_and_not1_b32 vcc_lo, exec_lo, s12
	s_cbranch_vccnz .LBB31_1672
; %bb.1665:
	s_wait_xcnt 0x0
	v_cndmask_b32_e64 v3, 0, 1.0, s7
	v_mov_b32_e32 v5, 0x80
	s_mov_b32 s12, exec_lo
	s_delay_alu instid0(VALU_DEP_2)
	v_cmpx_gt_u32_e32 0x43800000, v3
	s_cbranch_execz .LBB31_1671
; %bb.1666:
	s_mov_b32 s13, 0
	s_mov_b32 s14, exec_lo
                                        ; implicit-def: $vgpr1
	v_cmpx_lt_u32_e32 0x3bffffff, v3
	s_xor_b32 s14, exec_lo, s14
	s_cbranch_execz .LBB31_2119
; %bb.1667:
	v_bfe_u32 v1, v3, 20, 1
	s_mov_b32 s13, exec_lo
	s_delay_alu instid0(VALU_DEP_1) | instskip(NEXT) | instid1(VALU_DEP_1)
	v_add3_u32 v1, v3, v1, 0x487ffff
                                        ; implicit-def: $vgpr3
	v_lshrrev_b32_e32 v1, 20, v1
	s_and_not1_saveexec_b32 s14, s14
	s_cbranch_execnz .LBB31_2120
.LBB31_1668:
	s_or_b32 exec_lo, exec_lo, s14
	v_mov_b32_e32 v5, 0
	s_and_saveexec_b32 s14, s13
.LBB31_1669:
	v_mov_b32_e32 v5, v1
.LBB31_1670:
	s_or_b32 exec_lo, exec_lo, s14
.LBB31_1671:
	s_delay_alu instid0(SALU_CYCLE_1)
	s_or_b32 exec_lo, exec_lo, s12
	global_store_b8 v[6:7], v5, off
.LBB31_1672:
	s_mov_b32 s12, -1
.LBB31_1673:
	s_mov_b32 s13, 0
.LBB31_1674:
	s_delay_alu instid0(SALU_CYCLE_1)
	s_and_b32 vcc_lo, exec_lo, s13
	s_cbranch_vccz .LBB31_1714
; %bb.1675:
	s_cmp_gt_i32 s10, 22
	s_mov_b32 s11, -1
	s_cbranch_scc0 .LBB31_1707
; %bb.1676:
	s_cmp_lt_i32 s10, 24
	s_cbranch_scc1 .LBB31_1696
; %bb.1677:
	s_cmp_gt_i32 s10, 24
	s_cbranch_scc0 .LBB31_1685
; %bb.1678:
	s_wait_xcnt 0x0
	v_cndmask_b32_e64 v3, 0, 1.0, s7
	v_mov_b32_e32 v5, 0x80
	s_mov_b32 s11, exec_lo
	s_delay_alu instid0(VALU_DEP_2)
	v_cmpx_gt_u32_e32 0x47800000, v3
	s_cbranch_execz .LBB31_1684
; %bb.1679:
	s_mov_b32 s12, 0
	s_mov_b32 s13, exec_lo
                                        ; implicit-def: $vgpr1
	v_cmpx_lt_u32_e32 0x37ffffff, v3
	s_xor_b32 s13, exec_lo, s13
	s_cbranch_execz .LBB31_2122
; %bb.1680:
	v_bfe_u32 v1, v3, 21, 1
	s_mov_b32 s12, exec_lo
	s_delay_alu instid0(VALU_DEP_1) | instskip(NEXT) | instid1(VALU_DEP_1)
	v_add3_u32 v1, v3, v1, 0x88fffff
                                        ; implicit-def: $vgpr3
	v_lshrrev_b32_e32 v1, 21, v1
	s_and_not1_saveexec_b32 s13, s13
	s_cbranch_execnz .LBB31_2123
.LBB31_1681:
	s_or_b32 exec_lo, exec_lo, s13
	v_mov_b32_e32 v5, 0
	s_and_saveexec_b32 s13, s12
.LBB31_1682:
	v_mov_b32_e32 v5, v1
.LBB31_1683:
	s_or_b32 exec_lo, exec_lo, s13
.LBB31_1684:
	s_delay_alu instid0(SALU_CYCLE_1)
	s_or_b32 exec_lo, exec_lo, s11
	s_mov_b32 s11, 0
	global_store_b8 v[6:7], v5, off
.LBB31_1685:
	s_and_b32 vcc_lo, exec_lo, s11
	s_cbranch_vccz .LBB31_1695
; %bb.1686:
	s_wait_xcnt 0x0
	v_cndmask_b32_e64 v3, 0, 1.0, s7
	s_mov_b32 s11, exec_lo
                                        ; implicit-def: $vgpr1
	s_delay_alu instid0(VALU_DEP_1)
	v_cmpx_gt_u32_e32 0x43f00000, v3
	s_xor_b32 s11, exec_lo, s11
	s_cbranch_execz .LBB31_1692
; %bb.1687:
	s_mov_b32 s12, exec_lo
                                        ; implicit-def: $vgpr1
	v_cmpx_lt_u32_e32 0x3c7fffff, v3
	s_xor_b32 s12, exec_lo, s12
; %bb.1688:
	v_bfe_u32 v1, v3, 20, 1
	s_delay_alu instid0(VALU_DEP_1) | instskip(NEXT) | instid1(VALU_DEP_1)
	v_add3_u32 v1, v3, v1, 0x407ffff
	v_and_b32_e32 v3, 0xff00000, v1
	v_lshrrev_b32_e32 v1, 20, v1
	s_delay_alu instid0(VALU_DEP_2) | instskip(NEXT) | instid1(VALU_DEP_2)
	v_cmp_ne_u32_e32 vcc_lo, 0x7f00000, v3
                                        ; implicit-def: $vgpr3
	v_cndmask_b32_e32 v1, 0x7e, v1, vcc_lo
; %bb.1689:
	s_and_not1_saveexec_b32 s12, s12
; %bb.1690:
	v_add_f32_e32 v1, 0x46800000, v3
; %bb.1691:
	s_or_b32 exec_lo, exec_lo, s12
                                        ; implicit-def: $vgpr3
.LBB31_1692:
	s_and_not1_saveexec_b32 s11, s11
; %bb.1693:
	v_mov_b32_e32 v1, 0x7f
	v_cmp_lt_u32_e32 vcc_lo, 0x7f800000, v3
	s_delay_alu instid0(VALU_DEP_2)
	v_cndmask_b32_e32 v1, 0x7e, v1, vcc_lo
; %bb.1694:
	s_or_b32 exec_lo, exec_lo, s11
	global_store_b8 v[6:7], v1, off
.LBB31_1695:
	s_mov_b32 s11, 0
.LBB31_1696:
	s_delay_alu instid0(SALU_CYCLE_1)
	s_and_not1_b32 vcc_lo, exec_lo, s11
	s_cbranch_vccnz .LBB31_1706
; %bb.1697:
	s_wait_xcnt 0x0
	v_cndmask_b32_e64 v3, 0, 1.0, s7
	s_mov_b32 s11, exec_lo
                                        ; implicit-def: $vgpr1
	s_delay_alu instid0(VALU_DEP_1)
	v_cmpx_gt_u32_e32 0x47800000, v3
	s_xor_b32 s11, exec_lo, s11
	s_cbranch_execz .LBB31_1703
; %bb.1698:
	s_mov_b32 s12, exec_lo
                                        ; implicit-def: $vgpr1
	v_cmpx_lt_u32_e32 0x387fffff, v3
	s_xor_b32 s12, exec_lo, s12
; %bb.1699:
	v_bfe_u32 v1, v3, 21, 1
	s_delay_alu instid0(VALU_DEP_1) | instskip(NEXT) | instid1(VALU_DEP_1)
	v_add3_u32 v1, v3, v1, 0x80fffff
                                        ; implicit-def: $vgpr3
	v_lshrrev_b32_e32 v1, 21, v1
; %bb.1700:
	s_and_not1_saveexec_b32 s12, s12
; %bb.1701:
	v_add_f32_e32 v1, 0x43000000, v3
; %bb.1702:
	s_or_b32 exec_lo, exec_lo, s12
                                        ; implicit-def: $vgpr3
.LBB31_1703:
	s_and_not1_saveexec_b32 s11, s11
; %bb.1704:
	v_mov_b32_e32 v1, 0x7f
	v_cmp_lt_u32_e32 vcc_lo, 0x7f800000, v3
	s_delay_alu instid0(VALU_DEP_2)
	v_cndmask_b32_e32 v1, 0x7c, v1, vcc_lo
; %bb.1705:
	s_or_b32 exec_lo, exec_lo, s11
	global_store_b8 v[6:7], v1, off
.LBB31_1706:
	s_mov_b32 s11, 0
	s_mov_b32 s12, -1
.LBB31_1707:
	s_and_not1_b32 vcc_lo, exec_lo, s11
	s_mov_b32 s11, 0
	s_cbranch_vccnz .LBB31_1714
; %bb.1708:
	s_cmp_gt_i32 s10, 14
	s_mov_b32 s11, -1
	s_cbranch_scc0 .LBB31_1712
; %bb.1709:
	s_cmp_eq_u32 s10, 15
	s_mov_b32 s0, -1
	s_cbranch_scc0 .LBB31_1711
; %bb.1710:
	s_wait_xcnt 0x0
	v_cndmask_b32_e64 v1, 0, 1.0, s7
	s_mov_b32 s0, 0
	s_mov_b32 s12, -1
	s_delay_alu instid0(VALU_DEP_1) | instskip(NEXT) | instid1(VALU_DEP_1)
	v_bfe_u32 v3, v1, 16, 1
	v_add3_u32 v1, v1, v3, 0x7fff
	global_store_d16_hi_b16 v[6:7], v1, off
.LBB31_1711:
	s_mov_b32 s11, 0
.LBB31_1712:
	s_delay_alu instid0(SALU_CYCLE_1)
	s_and_b32 vcc_lo, exec_lo, s11
	s_mov_b32 s11, 0
	s_cbranch_vccz .LBB31_1714
; %bb.1713:
	s_cmp_lg_u32 s10, 11
	s_mov_b32 s11, -1
	s_cselect_b32 s0, -1, 0
.LBB31_1714:
	s_delay_alu instid0(SALU_CYCLE_1)
	s_and_b32 vcc_lo, exec_lo, s0
	s_cbranch_vccnz .LBB31_2121
; %bb.1715:
	s_and_not1_b32 vcc_lo, exec_lo, s11
	s_cbranch_vccnz .LBB31_1717
.LBB31_1716:
	s_wait_xcnt 0x0
	v_cndmask_b32_e64 v1, 0, 1, s7
	s_mov_b32 s12, -1
	global_store_b8 v[6:7], v1, off
.LBB31_1717:
.LBB31_1718:
	s_and_not1_b32 vcc_lo, exec_lo, s12
	s_cbranch_vccnz .LBB31_2072
	s_branch .LBB31_1758
.LBB31_1719:
	s_and_b32 vcc_lo, exec_lo, s0
	s_cbranch_vccz .LBB31_1718
; %bb.1720:
	s_and_b32 s0, 0xffff, s2
	s_mov_b32 s10, -1
	s_cmp_lt_i32 s0, 5
	s_cbranch_scc1 .LBB31_1741
; %bb.1721:
	s_cmp_lt_i32 s0, 8
	s_cbranch_scc1 .LBB31_1731
; %bb.1722:
	;; [unrolled: 3-line block ×3, first 2 shown]
	s_cmp_gt_i32 s0, 9
	s_cbranch_scc0 .LBB31_1725
; %bb.1724:
	s_wait_xcnt 0x0
	v_cndmask_b32_e64 v1, 0, 1, s7
	v_mov_b32_e32 v16, 0
	s_mov_b32 s10, 0
	s_delay_alu instid0(VALU_DEP_2) | instskip(NEXT) | instid1(VALU_DEP_2)
	v_cvt_f64_u32_e32 v[14:15], v1
	v_mov_b32_e32 v17, v16
	global_store_b128 v[6:7], v[14:17], off
.LBB31_1725:
	s_and_not1_b32 vcc_lo, exec_lo, s10
	s_cbranch_vccnz .LBB31_1727
; %bb.1726:
	s_wait_xcnt 0x0
	v_cndmask_b32_e64 v14, 0, 1.0, s7
	v_mov_b32_e32 v15, 0
	global_store_b64 v[6:7], v[14:15], off
.LBB31_1727:
	s_mov_b32 s10, 0
.LBB31_1728:
	s_delay_alu instid0(SALU_CYCLE_1)
	s_and_not1_b32 vcc_lo, exec_lo, s10
	s_cbranch_vccnz .LBB31_1730
; %bb.1729:
	s_wait_xcnt 0x0
	v_cndmask_b32_e64 v1, 0, 1.0, s7
	s_delay_alu instid0(VALU_DEP_1) | instskip(NEXT) | instid1(VALU_DEP_1)
	v_cvt_f16_f32_e32 v1, v1
	v_and_b32_e32 v1, 0xffff, v1
	global_store_b32 v[6:7], v1, off
.LBB31_1730:
	s_mov_b32 s10, 0
.LBB31_1731:
	s_delay_alu instid0(SALU_CYCLE_1)
	s_and_not1_b32 vcc_lo, exec_lo, s10
	s_cbranch_vccnz .LBB31_1740
; %bb.1732:
	s_cmp_lt_i32 s0, 6
	s_mov_b32 s10, -1
	s_cbranch_scc1 .LBB31_1738
; %bb.1733:
	s_cmp_gt_i32 s0, 6
	s_cbranch_scc0 .LBB31_1735
; %bb.1734:
	s_wait_xcnt 0x0
	v_cndmask_b32_e64 v1, 0, 1, s7
	s_mov_b32 s10, 0
	s_delay_alu instid0(VALU_DEP_1)
	v_cvt_f64_u32_e32 v[14:15], v1
	global_store_b64 v[6:7], v[14:15], off
.LBB31_1735:
	s_and_not1_b32 vcc_lo, exec_lo, s10
	s_cbranch_vccnz .LBB31_1737
; %bb.1736:
	s_wait_xcnt 0x0
	v_cndmask_b32_e64 v1, 0, 1.0, s7
	global_store_b32 v[6:7], v1, off
.LBB31_1737:
	s_mov_b32 s10, 0
.LBB31_1738:
	s_delay_alu instid0(SALU_CYCLE_1)
	s_and_not1_b32 vcc_lo, exec_lo, s10
	s_cbranch_vccnz .LBB31_1740
; %bb.1739:
	s_wait_xcnt 0x0
	v_cndmask_b32_e64 v1, 0, 1.0, s7
	s_delay_alu instid0(VALU_DEP_1)
	v_cvt_f16_f32_e32 v1, v1
	global_store_b16 v[6:7], v1, off
.LBB31_1740:
	s_mov_b32 s10, 0
.LBB31_1741:
	s_delay_alu instid0(SALU_CYCLE_1)
	s_and_not1_b32 vcc_lo, exec_lo, s10
	s_cbranch_vccnz .LBB31_1757
; %bb.1742:
	s_cmp_lt_i32 s0, 2
	s_mov_b32 s10, -1
	s_cbranch_scc1 .LBB31_1752
; %bb.1743:
	s_cmp_lt_i32 s0, 3
	s_cbranch_scc1 .LBB31_1749
; %bb.1744:
	s_cmp_gt_i32 s0, 3
	s_cbranch_scc0 .LBB31_1746
; %bb.1745:
	s_mov_b32 s10, 0
	s_wait_xcnt 0x0
	v_cndmask_b32_e64 v14, 0, 1, s7
	v_mov_b32_e32 v15, s10
	global_store_b64 v[6:7], v[14:15], off
.LBB31_1746:
	s_and_not1_b32 vcc_lo, exec_lo, s10
	s_cbranch_vccnz .LBB31_1748
; %bb.1747:
	s_wait_xcnt 0x0
	v_cndmask_b32_e64 v1, 0, 1, s7
	global_store_b32 v[6:7], v1, off
.LBB31_1748:
	s_mov_b32 s10, 0
.LBB31_1749:
	s_delay_alu instid0(SALU_CYCLE_1)
	s_and_not1_b32 vcc_lo, exec_lo, s10
	s_cbranch_vccnz .LBB31_1751
; %bb.1750:
	s_wait_xcnt 0x0
	v_cndmask_b32_e64 v1, 0, 1, s7
	global_store_b16 v[6:7], v1, off
.LBB31_1751:
	s_mov_b32 s10, 0
.LBB31_1752:
	s_delay_alu instid0(SALU_CYCLE_1)
	s_and_not1_b32 vcc_lo, exec_lo, s10
	s_cbranch_vccnz .LBB31_1757
; %bb.1753:
	s_wait_xcnt 0x0
	v_cndmask_b32_e64 v1, 0, 1, s7
	s_cmp_gt_i32 s0, 0
	s_mov_b32 s0, -1
	s_cbranch_scc0 .LBB31_1755
; %bb.1754:
	s_mov_b32 s0, 0
	global_store_b8 v[6:7], v1, off
.LBB31_1755:
	s_and_not1_b32 vcc_lo, exec_lo, s0
	s_cbranch_vccnz .LBB31_1757
; %bb.1756:
	global_store_b8 v[6:7], v1, off
.LBB31_1757:
.LBB31_1758:
	s_wait_xcnt 0x0
	v_and_b32_e32 v1, 0xff, v12
	v_mov_b32_e32 v5, 0
	s_and_b32 s7, 0xffff, s2
	s_delay_alu instid0(VALU_DEP_2) | instskip(NEXT) | instid1(VALU_DEP_2)
	v_cmp_ne_u16_e32 vcc_lo, s6, v1
	v_add_nc_u64_e32 v[4:5], s[4:5], v[4:5]
	s_xor_b32 s10, s3, vcc_lo
	s_cmp_lt_i32 s7, 11
	s_cbranch_scc1 .LBB31_1836
; %bb.1759:
	s_mov_b32 s13, -1
	s_mov_b32 s11, 0
	s_cmp_gt_i32 s7, 25
	s_mov_b32 s12, 0
	s_mov_b32 s0, 0
	s_cbranch_scc0 .LBB31_1792
; %bb.1760:
	s_cmp_gt_i32 s7, 28
	s_cbranch_scc0 .LBB31_1775
; %bb.1761:
	s_cmp_gt_i32 s7, 43
	;; [unrolled: 3-line block ×3, first 2 shown]
	s_cbranch_scc0 .LBB31_1765
; %bb.1763:
	s_mov_b32 s0, -1
	s_mov_b32 s13, 0
	s_cmp_eq_u32 s7, 46
	s_cbranch_scc0 .LBB31_1765
; %bb.1764:
	v_cndmask_b32_e64 v1, 0, 1.0, s10
	s_mov_b32 s0, 0
	s_mov_b32 s12, -1
	s_delay_alu instid0(VALU_DEP_1) | instskip(NEXT) | instid1(VALU_DEP_1)
	v_bfe_u32 v3, v1, 16, 1
	v_add3_u32 v1, v1, v3, 0x7fff
	s_delay_alu instid0(VALU_DEP_1)
	v_lshrrev_b32_e32 v1, 16, v1
	global_store_b32 v[4:5], v1, off
.LBB31_1765:
	s_and_b32 vcc_lo, exec_lo, s13
	s_cbranch_vccz .LBB31_1770
; %bb.1766:
	s_cmp_eq_u32 s7, 44
	s_mov_b32 s0, -1
	s_cbranch_scc0 .LBB31_1770
; %bb.1767:
	v_cndmask_b32_e64 v6, 0, 1.0, s10
	v_mov_b32_e32 v3, 0xff
	s_mov_b32 s12, exec_lo
	s_wait_xcnt 0x0
	s_delay_alu instid0(VALU_DEP_2) | instskip(NEXT) | instid1(VALU_DEP_1)
	v_lshrrev_b32_e32 v1, 23, v6
	v_cmpx_ne_u32_e32 0xff, v1
; %bb.1768:
	v_and_b32_e32 v3, 0x400000, v6
	v_and_or_b32 v6, 0x3fffff, v6, v1
	s_delay_alu instid0(VALU_DEP_2) | instskip(NEXT) | instid1(VALU_DEP_2)
	v_cmp_ne_u32_e32 vcc_lo, 0, v3
	v_cmp_ne_u32_e64 s0, 0, v6
	s_and_b32 s0, vcc_lo, s0
	s_delay_alu instid0(SALU_CYCLE_1) | instskip(NEXT) | instid1(VALU_DEP_1)
	v_cndmask_b32_e64 v3, 0, 1, s0
	v_add_nc_u32_e32 v3, v1, v3
; %bb.1769:
	s_or_b32 exec_lo, exec_lo, s12
	s_mov_b32 s0, 0
	s_mov_b32 s12, -1
	global_store_b8 v[4:5], v3, off
.LBB31_1770:
	s_mov_b32 s13, 0
.LBB31_1771:
	s_delay_alu instid0(SALU_CYCLE_1)
	s_and_b32 vcc_lo, exec_lo, s13
	s_cbranch_vccz .LBB31_1774
; %bb.1772:
	s_cmp_eq_u32 s7, 29
	s_mov_b32 s0, -1
	s_cbranch_scc0 .LBB31_1774
; %bb.1773:
	s_mov_b32 s0, 0
	v_cndmask_b32_e64 v6, 0, 1, s10
	v_mov_b32_e32 v7, s0
	s_mov_b32 s12, -1
	global_store_b64 v[4:5], v[6:7], off
.LBB31_1774:
	s_mov_b32 s13, 0
.LBB31_1775:
	s_delay_alu instid0(SALU_CYCLE_1)
	s_and_b32 vcc_lo, exec_lo, s13
	s_cbranch_vccz .LBB31_1791
; %bb.1776:
	s_cmp_lt_i32 s7, 27
	s_mov_b32 s12, -1
	s_cbranch_scc1 .LBB31_1782
; %bb.1777:
	s_cmp_gt_i32 s7, 27
	s_cbranch_scc0 .LBB31_1779
; %bb.1778:
	s_wait_xcnt 0x0
	v_cndmask_b32_e64 v1, 0, 1, s10
	s_mov_b32 s12, 0
	global_store_b32 v[4:5], v1, off
.LBB31_1779:
	s_and_not1_b32 vcc_lo, exec_lo, s12
	s_cbranch_vccnz .LBB31_1781
; %bb.1780:
	s_wait_xcnt 0x0
	v_cndmask_b32_e64 v1, 0, 1, s10
	global_store_b16 v[4:5], v1, off
.LBB31_1781:
	s_mov_b32 s12, 0
.LBB31_1782:
	s_delay_alu instid0(SALU_CYCLE_1)
	s_and_not1_b32 vcc_lo, exec_lo, s12
	s_cbranch_vccnz .LBB31_1790
; %bb.1783:
	s_wait_xcnt 0x0
	v_cndmask_b32_e64 v3, 0, 1.0, s10
	v_mov_b32_e32 v6, 0x80
	s_mov_b32 s12, exec_lo
	s_delay_alu instid0(VALU_DEP_2)
	v_cmpx_gt_u32_e32 0x43800000, v3
	s_cbranch_execz .LBB31_1789
; %bb.1784:
	s_mov_b32 s13, 0
	s_mov_b32 s14, exec_lo
                                        ; implicit-def: $vgpr1
	v_cmpx_lt_u32_e32 0x3bffffff, v3
	s_xor_b32 s14, exec_lo, s14
	s_cbranch_execz .LBB31_2124
; %bb.1785:
	v_bfe_u32 v1, v3, 20, 1
	s_mov_b32 s13, exec_lo
	s_delay_alu instid0(VALU_DEP_1) | instskip(NEXT) | instid1(VALU_DEP_1)
	v_add3_u32 v1, v3, v1, 0x487ffff
                                        ; implicit-def: $vgpr3
	v_lshrrev_b32_e32 v1, 20, v1
	s_and_not1_saveexec_b32 s14, s14
	s_cbranch_execnz .LBB31_2125
.LBB31_1786:
	s_or_b32 exec_lo, exec_lo, s14
	v_mov_b32_e32 v6, 0
	s_and_saveexec_b32 s14, s13
.LBB31_1787:
	v_mov_b32_e32 v6, v1
.LBB31_1788:
	s_or_b32 exec_lo, exec_lo, s14
.LBB31_1789:
	s_delay_alu instid0(SALU_CYCLE_1)
	s_or_b32 exec_lo, exec_lo, s12
	global_store_b8 v[4:5], v6, off
.LBB31_1790:
	s_mov_b32 s12, -1
.LBB31_1791:
	s_mov_b32 s13, 0
.LBB31_1792:
	s_delay_alu instid0(SALU_CYCLE_1)
	s_and_b32 vcc_lo, exec_lo, s13
	s_cbranch_vccz .LBB31_1832
; %bb.1793:
	s_cmp_gt_i32 s7, 22
	s_mov_b32 s11, -1
	s_cbranch_scc0 .LBB31_1825
; %bb.1794:
	s_cmp_lt_i32 s7, 24
	s_cbranch_scc1 .LBB31_1814
; %bb.1795:
	s_cmp_gt_i32 s7, 24
	s_cbranch_scc0 .LBB31_1803
; %bb.1796:
	s_wait_xcnt 0x0
	v_cndmask_b32_e64 v3, 0, 1.0, s10
	v_mov_b32_e32 v6, 0x80
	s_mov_b32 s11, exec_lo
	s_delay_alu instid0(VALU_DEP_2)
	v_cmpx_gt_u32_e32 0x47800000, v3
	s_cbranch_execz .LBB31_1802
; %bb.1797:
	s_mov_b32 s12, 0
	s_mov_b32 s13, exec_lo
                                        ; implicit-def: $vgpr1
	v_cmpx_lt_u32_e32 0x37ffffff, v3
	s_xor_b32 s13, exec_lo, s13
	s_cbranch_execz .LBB31_2127
; %bb.1798:
	v_bfe_u32 v1, v3, 21, 1
	s_mov_b32 s12, exec_lo
	s_delay_alu instid0(VALU_DEP_1) | instskip(NEXT) | instid1(VALU_DEP_1)
	v_add3_u32 v1, v3, v1, 0x88fffff
                                        ; implicit-def: $vgpr3
	v_lshrrev_b32_e32 v1, 21, v1
	s_and_not1_saveexec_b32 s13, s13
	s_cbranch_execnz .LBB31_2128
.LBB31_1799:
	s_or_b32 exec_lo, exec_lo, s13
	v_mov_b32_e32 v6, 0
	s_and_saveexec_b32 s13, s12
.LBB31_1800:
	v_mov_b32_e32 v6, v1
.LBB31_1801:
	s_or_b32 exec_lo, exec_lo, s13
.LBB31_1802:
	s_delay_alu instid0(SALU_CYCLE_1)
	s_or_b32 exec_lo, exec_lo, s11
	s_mov_b32 s11, 0
	global_store_b8 v[4:5], v6, off
.LBB31_1803:
	s_and_b32 vcc_lo, exec_lo, s11
	s_cbranch_vccz .LBB31_1813
; %bb.1804:
	s_wait_xcnt 0x0
	v_cndmask_b32_e64 v3, 0, 1.0, s10
	s_mov_b32 s11, exec_lo
                                        ; implicit-def: $vgpr1
	s_delay_alu instid0(VALU_DEP_1)
	v_cmpx_gt_u32_e32 0x43f00000, v3
	s_xor_b32 s11, exec_lo, s11
	s_cbranch_execz .LBB31_1810
; %bb.1805:
	s_mov_b32 s12, exec_lo
                                        ; implicit-def: $vgpr1
	v_cmpx_lt_u32_e32 0x3c7fffff, v3
	s_xor_b32 s12, exec_lo, s12
; %bb.1806:
	v_bfe_u32 v1, v3, 20, 1
	s_delay_alu instid0(VALU_DEP_1) | instskip(NEXT) | instid1(VALU_DEP_1)
	v_add3_u32 v1, v3, v1, 0x407ffff
	v_and_b32_e32 v3, 0xff00000, v1
	v_lshrrev_b32_e32 v1, 20, v1
	s_delay_alu instid0(VALU_DEP_2) | instskip(NEXT) | instid1(VALU_DEP_2)
	v_cmp_ne_u32_e32 vcc_lo, 0x7f00000, v3
                                        ; implicit-def: $vgpr3
	v_cndmask_b32_e32 v1, 0x7e, v1, vcc_lo
; %bb.1807:
	s_and_not1_saveexec_b32 s12, s12
; %bb.1808:
	v_add_f32_e32 v1, 0x46800000, v3
; %bb.1809:
	s_or_b32 exec_lo, exec_lo, s12
                                        ; implicit-def: $vgpr3
.LBB31_1810:
	s_and_not1_saveexec_b32 s11, s11
; %bb.1811:
	v_mov_b32_e32 v1, 0x7f
	v_cmp_lt_u32_e32 vcc_lo, 0x7f800000, v3
	s_delay_alu instid0(VALU_DEP_2)
	v_cndmask_b32_e32 v1, 0x7e, v1, vcc_lo
; %bb.1812:
	s_or_b32 exec_lo, exec_lo, s11
	global_store_b8 v[4:5], v1, off
.LBB31_1813:
	s_mov_b32 s11, 0
.LBB31_1814:
	s_delay_alu instid0(SALU_CYCLE_1)
	s_and_not1_b32 vcc_lo, exec_lo, s11
	s_cbranch_vccnz .LBB31_1824
; %bb.1815:
	s_wait_xcnt 0x0
	v_cndmask_b32_e64 v3, 0, 1.0, s10
	s_mov_b32 s11, exec_lo
                                        ; implicit-def: $vgpr1
	s_delay_alu instid0(VALU_DEP_1)
	v_cmpx_gt_u32_e32 0x47800000, v3
	s_xor_b32 s11, exec_lo, s11
	s_cbranch_execz .LBB31_1821
; %bb.1816:
	s_mov_b32 s12, exec_lo
                                        ; implicit-def: $vgpr1
	v_cmpx_lt_u32_e32 0x387fffff, v3
	s_xor_b32 s12, exec_lo, s12
; %bb.1817:
	v_bfe_u32 v1, v3, 21, 1
	s_delay_alu instid0(VALU_DEP_1) | instskip(NEXT) | instid1(VALU_DEP_1)
	v_add3_u32 v1, v3, v1, 0x80fffff
                                        ; implicit-def: $vgpr3
	v_lshrrev_b32_e32 v1, 21, v1
; %bb.1818:
	s_and_not1_saveexec_b32 s12, s12
; %bb.1819:
	v_add_f32_e32 v1, 0x43000000, v3
; %bb.1820:
	s_or_b32 exec_lo, exec_lo, s12
                                        ; implicit-def: $vgpr3
.LBB31_1821:
	s_and_not1_saveexec_b32 s11, s11
; %bb.1822:
	v_mov_b32_e32 v1, 0x7f
	v_cmp_lt_u32_e32 vcc_lo, 0x7f800000, v3
	s_delay_alu instid0(VALU_DEP_2)
	v_cndmask_b32_e32 v1, 0x7c, v1, vcc_lo
; %bb.1823:
	s_or_b32 exec_lo, exec_lo, s11
	global_store_b8 v[4:5], v1, off
.LBB31_1824:
	s_mov_b32 s11, 0
	s_mov_b32 s12, -1
.LBB31_1825:
	s_and_not1_b32 vcc_lo, exec_lo, s11
	s_mov_b32 s11, 0
	s_cbranch_vccnz .LBB31_1832
; %bb.1826:
	s_cmp_gt_i32 s7, 14
	s_mov_b32 s11, -1
	s_cbranch_scc0 .LBB31_1830
; %bb.1827:
	s_cmp_eq_u32 s7, 15
	s_mov_b32 s0, -1
	s_cbranch_scc0 .LBB31_1829
; %bb.1828:
	s_wait_xcnt 0x0
	v_cndmask_b32_e64 v1, 0, 1.0, s10
	s_mov_b32 s0, 0
	s_mov_b32 s12, -1
	s_delay_alu instid0(VALU_DEP_1) | instskip(NEXT) | instid1(VALU_DEP_1)
	v_bfe_u32 v3, v1, 16, 1
	v_add3_u32 v1, v1, v3, 0x7fff
	global_store_d16_hi_b16 v[4:5], v1, off
.LBB31_1829:
	s_mov_b32 s11, 0
.LBB31_1830:
	s_delay_alu instid0(SALU_CYCLE_1)
	s_and_b32 vcc_lo, exec_lo, s11
	s_mov_b32 s11, 0
	s_cbranch_vccz .LBB31_1832
; %bb.1831:
	s_cmp_lg_u32 s7, 11
	s_mov_b32 s11, -1
	s_cselect_b32 s0, -1, 0
.LBB31_1832:
	s_delay_alu instid0(SALU_CYCLE_1)
	s_and_b32 vcc_lo, exec_lo, s0
	s_cbranch_vccnz .LBB31_2126
; %bb.1833:
	s_and_not1_b32 vcc_lo, exec_lo, s11
	s_cbranch_vccnz .LBB31_1835
.LBB31_1834:
	s_wait_xcnt 0x0
	v_cndmask_b32_e64 v1, 0, 1, s10
	s_mov_b32 s12, -1
	global_store_b8 v[4:5], v1, off
.LBB31_1835:
	s_mov_b32 s0, 0
	s_branch .LBB31_1837
.LBB31_1836:
	s_mov_b32 s0, -1
	s_mov_b32 s12, 0
.LBB31_1837:
	s_and_b32 vcc_lo, exec_lo, s0
	s_cbranch_vccz .LBB31_1876
; %bb.1838:
	s_cmp_lt_i32 s7, 5
	s_mov_b32 s0, -1
	s_cbranch_scc1 .LBB31_1859
; %bb.1839:
	s_cmp_lt_i32 s7, 8
	s_cbranch_scc1 .LBB31_1849
; %bb.1840:
	s_cmp_lt_i32 s7, 9
	s_cbranch_scc1 .LBB31_1846
; %bb.1841:
	s_cmp_gt_i32 s7, 9
	s_cbranch_scc0 .LBB31_1843
; %bb.1842:
	s_wait_xcnt 0x0
	v_cndmask_b32_e64 v1, 0, 1, s10
	v_mov_b32_e32 v14, 0
	s_mov_b32 s0, 0
	s_delay_alu instid0(VALU_DEP_2) | instskip(NEXT) | instid1(VALU_DEP_2)
	v_cvt_f64_u32_e32 v[12:13], v1
	v_mov_b32_e32 v15, v14
	global_store_b128 v[4:5], v[12:15], off
.LBB31_1843:
	s_and_not1_b32 vcc_lo, exec_lo, s0
	s_cbranch_vccnz .LBB31_1845
; %bb.1844:
	s_wait_xcnt 0x0
	v_cndmask_b32_e64 v6, 0, 1.0, s10
	v_mov_b32_e32 v7, 0
	global_store_b64 v[4:5], v[6:7], off
.LBB31_1845:
	s_mov_b32 s0, 0
.LBB31_1846:
	s_delay_alu instid0(SALU_CYCLE_1)
	s_and_not1_b32 vcc_lo, exec_lo, s0
	s_cbranch_vccnz .LBB31_1848
; %bb.1847:
	s_wait_xcnt 0x0
	v_cndmask_b32_e64 v1, 0, 1.0, s10
	s_delay_alu instid0(VALU_DEP_1) | instskip(NEXT) | instid1(VALU_DEP_1)
	v_cvt_f16_f32_e32 v1, v1
	v_and_b32_e32 v1, 0xffff, v1
	global_store_b32 v[4:5], v1, off
.LBB31_1848:
	s_mov_b32 s0, 0
.LBB31_1849:
	s_delay_alu instid0(SALU_CYCLE_1)
	s_and_not1_b32 vcc_lo, exec_lo, s0
	s_cbranch_vccnz .LBB31_1858
; %bb.1850:
	s_cmp_lt_i32 s7, 6
	s_mov_b32 s0, -1
	s_cbranch_scc1 .LBB31_1856
; %bb.1851:
	s_cmp_gt_i32 s7, 6
	s_cbranch_scc0 .LBB31_1853
; %bb.1852:
	s_wait_xcnt 0x0
	v_cndmask_b32_e64 v1, 0, 1, s10
	s_mov_b32 s0, 0
	s_delay_alu instid0(VALU_DEP_1)
	v_cvt_f64_u32_e32 v[6:7], v1
	global_store_b64 v[4:5], v[6:7], off
.LBB31_1853:
	s_and_not1_b32 vcc_lo, exec_lo, s0
	s_cbranch_vccnz .LBB31_1855
; %bb.1854:
	s_wait_xcnt 0x0
	v_cndmask_b32_e64 v1, 0, 1.0, s10
	global_store_b32 v[4:5], v1, off
.LBB31_1855:
	s_mov_b32 s0, 0
.LBB31_1856:
	s_delay_alu instid0(SALU_CYCLE_1)
	s_and_not1_b32 vcc_lo, exec_lo, s0
	s_cbranch_vccnz .LBB31_1858
; %bb.1857:
	s_wait_xcnt 0x0
	v_cndmask_b32_e64 v1, 0, 1.0, s10
	s_delay_alu instid0(VALU_DEP_1)
	v_cvt_f16_f32_e32 v1, v1
	global_store_b16 v[4:5], v1, off
.LBB31_1858:
	s_mov_b32 s0, 0
.LBB31_1859:
	s_delay_alu instid0(SALU_CYCLE_1)
	s_and_not1_b32 vcc_lo, exec_lo, s0
	s_cbranch_vccnz .LBB31_1875
; %bb.1860:
	s_cmp_lt_i32 s7, 2
	s_mov_b32 s0, -1
	s_cbranch_scc1 .LBB31_1870
; %bb.1861:
	s_cmp_lt_i32 s7, 3
	s_cbranch_scc1 .LBB31_1867
; %bb.1862:
	s_cmp_gt_i32 s7, 3
	s_cbranch_scc0 .LBB31_1864
; %bb.1863:
	s_mov_b32 s0, 0
	s_wait_xcnt 0x0
	v_cndmask_b32_e64 v6, 0, 1, s10
	v_mov_b32_e32 v7, s0
	global_store_b64 v[4:5], v[6:7], off
.LBB31_1864:
	s_and_not1_b32 vcc_lo, exec_lo, s0
	s_cbranch_vccnz .LBB31_1866
; %bb.1865:
	s_wait_xcnt 0x0
	v_cndmask_b32_e64 v1, 0, 1, s10
	global_store_b32 v[4:5], v1, off
.LBB31_1866:
	s_mov_b32 s0, 0
.LBB31_1867:
	s_delay_alu instid0(SALU_CYCLE_1)
	s_and_not1_b32 vcc_lo, exec_lo, s0
	s_cbranch_vccnz .LBB31_1869
; %bb.1868:
	s_wait_xcnt 0x0
	v_cndmask_b32_e64 v1, 0, 1, s10
	global_store_b16 v[4:5], v1, off
.LBB31_1869:
	s_mov_b32 s0, 0
.LBB31_1870:
	s_delay_alu instid0(SALU_CYCLE_1)
	s_and_not1_b32 vcc_lo, exec_lo, s0
	s_cbranch_vccnz .LBB31_1875
; %bb.1871:
	s_wait_xcnt 0x0
	v_cndmask_b32_e64 v1, 0, 1, s10
	s_cmp_gt_i32 s7, 0
	s_mov_b32 s0, -1
	s_cbranch_scc0 .LBB31_1873
; %bb.1872:
	s_mov_b32 s0, 0
	global_store_b8 v[4:5], v1, off
.LBB31_1873:
	s_and_not1_b32 vcc_lo, exec_lo, s0
	s_cbranch_vccnz .LBB31_1875
; %bb.1874:
	global_store_b8 v[4:5], v1, off
.LBB31_1875:
	s_mov_b32 s12, -1
.LBB31_1876:
	s_delay_alu instid0(SALU_CYCLE_1)
	s_and_not1_b32 vcc_lo, exec_lo, s12
	s_cbranch_vccnz .LBB31_2072
; %bb.1877:
	s_wait_xcnt 0x0
	v_and_b32_e32 v1, 0xff, v10
	v_mov_b32_e32 v3, 0
	s_delay_alu instid0(VALU_DEP_2) | instskip(NEXT) | instid1(VALU_DEP_2)
	v_cmp_ne_u16_e32 vcc_lo, s6, v1
	v_add_nc_u64_e32 v[2:3], s[4:5], v[2:3]
	s_xor_b32 s10, s3, vcc_lo
	s_cmp_lt_i32 s7, 11
	s_cbranch_scc1 .LBB31_1955
; %bb.1878:
	s_mov_b32 s13, -1
	s_mov_b32 s11, 0
	s_cmp_gt_i32 s7, 25
	s_mov_b32 s12, 0
	s_mov_b32 s0, 0
	s_cbranch_scc0 .LBB31_1911
; %bb.1879:
	s_cmp_gt_i32 s7, 28
	s_cbranch_scc0 .LBB31_1894
; %bb.1880:
	s_cmp_gt_i32 s7, 43
	;; [unrolled: 3-line block ×3, first 2 shown]
	s_cbranch_scc0 .LBB31_1884
; %bb.1882:
	s_mov_b32 s0, -1
	s_mov_b32 s13, 0
	s_cmp_eq_u32 s7, 46
	s_cbranch_scc0 .LBB31_1884
; %bb.1883:
	v_cndmask_b32_e64 v1, 0, 1.0, s10
	s_mov_b32 s0, 0
	s_mov_b32 s12, -1
	s_delay_alu instid0(VALU_DEP_1) | instskip(NEXT) | instid1(VALU_DEP_1)
	v_bfe_u32 v4, v1, 16, 1
	v_add3_u32 v1, v1, v4, 0x7fff
	s_delay_alu instid0(VALU_DEP_1)
	v_lshrrev_b32_e32 v1, 16, v1
	global_store_b32 v[2:3], v1, off
.LBB31_1884:
	s_and_b32 vcc_lo, exec_lo, s13
	s_cbranch_vccz .LBB31_1889
; %bb.1885:
	s_cmp_eq_u32 s7, 44
	s_mov_b32 s0, -1
	s_cbranch_scc0 .LBB31_1889
; %bb.1886:
	v_cndmask_b32_e64 v5, 0, 1.0, s10
	s_mov_b32 s12, exec_lo
	s_wait_xcnt 0x0
	s_delay_alu instid0(VALU_DEP_1) | instskip(NEXT) | instid1(VALU_DEP_1)
	v_dual_mov_b32 v4, 0xff :: v_dual_lshrrev_b32 v1, 23, v5
	v_cmpx_ne_u32_e32 0xff, v1
; %bb.1887:
	v_and_b32_e32 v4, 0x400000, v5
	v_and_or_b32 v5, 0x3fffff, v5, v1
	s_delay_alu instid0(VALU_DEP_2) | instskip(NEXT) | instid1(VALU_DEP_2)
	v_cmp_ne_u32_e32 vcc_lo, 0, v4
	v_cmp_ne_u32_e64 s0, 0, v5
	s_and_b32 s0, vcc_lo, s0
	s_delay_alu instid0(SALU_CYCLE_1) | instskip(NEXT) | instid1(VALU_DEP_1)
	v_cndmask_b32_e64 v4, 0, 1, s0
	v_add_nc_u32_e32 v4, v1, v4
; %bb.1888:
	s_or_b32 exec_lo, exec_lo, s12
	s_mov_b32 s0, 0
	s_mov_b32 s12, -1
	global_store_b8 v[2:3], v4, off
.LBB31_1889:
	s_mov_b32 s13, 0
.LBB31_1890:
	s_delay_alu instid0(SALU_CYCLE_1)
	s_and_b32 vcc_lo, exec_lo, s13
	s_cbranch_vccz .LBB31_1893
; %bb.1891:
	s_cmp_eq_u32 s7, 29
	s_mov_b32 s0, -1
	s_cbranch_scc0 .LBB31_1893
; %bb.1892:
	s_mov_b32 s0, 0
	s_wait_xcnt 0x0
	v_cndmask_b32_e64 v4, 0, 1, s10
	v_mov_b32_e32 v5, s0
	s_mov_b32 s12, -1
	global_store_b64 v[2:3], v[4:5], off
.LBB31_1893:
	s_mov_b32 s13, 0
.LBB31_1894:
	s_delay_alu instid0(SALU_CYCLE_1)
	s_and_b32 vcc_lo, exec_lo, s13
	s_cbranch_vccz .LBB31_1910
; %bb.1895:
	s_cmp_lt_i32 s7, 27
	s_mov_b32 s12, -1
	s_cbranch_scc1 .LBB31_1901
; %bb.1896:
	s_cmp_gt_i32 s7, 27
	s_cbranch_scc0 .LBB31_1898
; %bb.1897:
	s_wait_xcnt 0x0
	v_cndmask_b32_e64 v1, 0, 1, s10
	s_mov_b32 s12, 0
	global_store_b32 v[2:3], v1, off
.LBB31_1898:
	s_and_not1_b32 vcc_lo, exec_lo, s12
	s_cbranch_vccnz .LBB31_1900
; %bb.1899:
	s_wait_xcnt 0x0
	v_cndmask_b32_e64 v1, 0, 1, s10
	global_store_b16 v[2:3], v1, off
.LBB31_1900:
	s_mov_b32 s12, 0
.LBB31_1901:
	s_delay_alu instid0(SALU_CYCLE_1)
	s_and_not1_b32 vcc_lo, exec_lo, s12
	s_cbranch_vccnz .LBB31_1909
; %bb.1902:
	s_wait_xcnt 0x0
	v_cndmask_b32_e64 v4, 0, 1.0, s10
	v_mov_b32_e32 v5, 0x80
	s_mov_b32 s12, exec_lo
	s_delay_alu instid0(VALU_DEP_2)
	v_cmpx_gt_u32_e32 0x43800000, v4
	s_cbranch_execz .LBB31_1908
; %bb.1903:
	s_mov_b32 s13, 0
	s_mov_b32 s14, exec_lo
                                        ; implicit-def: $vgpr1
	v_cmpx_lt_u32_e32 0x3bffffff, v4
	s_xor_b32 s14, exec_lo, s14
	s_cbranch_execz .LBB31_2129
; %bb.1904:
	v_bfe_u32 v1, v4, 20, 1
	s_mov_b32 s13, exec_lo
	s_delay_alu instid0(VALU_DEP_1) | instskip(NEXT) | instid1(VALU_DEP_1)
	v_add3_u32 v1, v4, v1, 0x487ffff
                                        ; implicit-def: $vgpr4
	v_lshrrev_b32_e32 v1, 20, v1
	s_and_not1_saveexec_b32 s14, s14
	s_cbranch_execnz .LBB31_2130
.LBB31_1905:
	s_or_b32 exec_lo, exec_lo, s14
	v_mov_b32_e32 v5, 0
	s_and_saveexec_b32 s14, s13
.LBB31_1906:
	v_mov_b32_e32 v5, v1
.LBB31_1907:
	s_or_b32 exec_lo, exec_lo, s14
.LBB31_1908:
	s_delay_alu instid0(SALU_CYCLE_1)
	s_or_b32 exec_lo, exec_lo, s12
	global_store_b8 v[2:3], v5, off
.LBB31_1909:
	s_mov_b32 s12, -1
.LBB31_1910:
	s_mov_b32 s13, 0
.LBB31_1911:
	s_delay_alu instid0(SALU_CYCLE_1)
	s_and_b32 vcc_lo, exec_lo, s13
	s_cbranch_vccz .LBB31_1951
; %bb.1912:
	s_cmp_gt_i32 s7, 22
	s_mov_b32 s11, -1
	s_cbranch_scc0 .LBB31_1944
; %bb.1913:
	s_cmp_lt_i32 s7, 24
	s_cbranch_scc1 .LBB31_1933
; %bb.1914:
	s_cmp_gt_i32 s7, 24
	s_cbranch_scc0 .LBB31_1922
; %bb.1915:
	s_wait_xcnt 0x0
	v_cndmask_b32_e64 v4, 0, 1.0, s10
	v_mov_b32_e32 v5, 0x80
	s_mov_b32 s11, exec_lo
	s_delay_alu instid0(VALU_DEP_2)
	v_cmpx_gt_u32_e32 0x47800000, v4
	s_cbranch_execz .LBB31_1921
; %bb.1916:
	s_mov_b32 s12, 0
	s_mov_b32 s13, exec_lo
                                        ; implicit-def: $vgpr1
	v_cmpx_lt_u32_e32 0x37ffffff, v4
	s_xor_b32 s13, exec_lo, s13
	s_cbranch_execz .LBB31_2132
; %bb.1917:
	v_bfe_u32 v1, v4, 21, 1
	s_mov_b32 s12, exec_lo
	s_delay_alu instid0(VALU_DEP_1) | instskip(NEXT) | instid1(VALU_DEP_1)
	v_add3_u32 v1, v4, v1, 0x88fffff
                                        ; implicit-def: $vgpr4
	v_lshrrev_b32_e32 v1, 21, v1
	s_and_not1_saveexec_b32 s13, s13
	s_cbranch_execnz .LBB31_2133
.LBB31_1918:
	s_or_b32 exec_lo, exec_lo, s13
	v_mov_b32_e32 v5, 0
	s_and_saveexec_b32 s13, s12
.LBB31_1919:
	v_mov_b32_e32 v5, v1
.LBB31_1920:
	s_or_b32 exec_lo, exec_lo, s13
.LBB31_1921:
	s_delay_alu instid0(SALU_CYCLE_1)
	s_or_b32 exec_lo, exec_lo, s11
	s_mov_b32 s11, 0
	global_store_b8 v[2:3], v5, off
.LBB31_1922:
	s_and_b32 vcc_lo, exec_lo, s11
	s_cbranch_vccz .LBB31_1932
; %bb.1923:
	s_wait_xcnt 0x0
	v_cndmask_b32_e64 v4, 0, 1.0, s10
	s_mov_b32 s11, exec_lo
                                        ; implicit-def: $vgpr1
	s_delay_alu instid0(VALU_DEP_1)
	v_cmpx_gt_u32_e32 0x43f00000, v4
	s_xor_b32 s11, exec_lo, s11
	s_cbranch_execz .LBB31_1929
; %bb.1924:
	s_mov_b32 s12, exec_lo
                                        ; implicit-def: $vgpr1
	v_cmpx_lt_u32_e32 0x3c7fffff, v4
	s_xor_b32 s12, exec_lo, s12
; %bb.1925:
	v_bfe_u32 v1, v4, 20, 1
	s_delay_alu instid0(VALU_DEP_1) | instskip(NEXT) | instid1(VALU_DEP_1)
	v_add3_u32 v1, v4, v1, 0x407ffff
	v_and_b32_e32 v4, 0xff00000, v1
	v_lshrrev_b32_e32 v1, 20, v1
	s_delay_alu instid0(VALU_DEP_2) | instskip(NEXT) | instid1(VALU_DEP_2)
	v_cmp_ne_u32_e32 vcc_lo, 0x7f00000, v4
                                        ; implicit-def: $vgpr4
	v_cndmask_b32_e32 v1, 0x7e, v1, vcc_lo
; %bb.1926:
	s_and_not1_saveexec_b32 s12, s12
; %bb.1927:
	v_add_f32_e32 v1, 0x46800000, v4
; %bb.1928:
	s_or_b32 exec_lo, exec_lo, s12
                                        ; implicit-def: $vgpr4
.LBB31_1929:
	s_and_not1_saveexec_b32 s11, s11
; %bb.1930:
	v_mov_b32_e32 v1, 0x7f
	v_cmp_lt_u32_e32 vcc_lo, 0x7f800000, v4
	s_delay_alu instid0(VALU_DEP_2)
	v_cndmask_b32_e32 v1, 0x7e, v1, vcc_lo
; %bb.1931:
	s_or_b32 exec_lo, exec_lo, s11
	global_store_b8 v[2:3], v1, off
.LBB31_1932:
	s_mov_b32 s11, 0
.LBB31_1933:
	s_delay_alu instid0(SALU_CYCLE_1)
	s_and_not1_b32 vcc_lo, exec_lo, s11
	s_cbranch_vccnz .LBB31_1943
; %bb.1934:
	s_wait_xcnt 0x0
	v_cndmask_b32_e64 v4, 0, 1.0, s10
	s_mov_b32 s11, exec_lo
                                        ; implicit-def: $vgpr1
	s_delay_alu instid0(VALU_DEP_1)
	v_cmpx_gt_u32_e32 0x47800000, v4
	s_xor_b32 s11, exec_lo, s11
	s_cbranch_execz .LBB31_1940
; %bb.1935:
	s_mov_b32 s12, exec_lo
                                        ; implicit-def: $vgpr1
	v_cmpx_lt_u32_e32 0x387fffff, v4
	s_xor_b32 s12, exec_lo, s12
; %bb.1936:
	v_bfe_u32 v1, v4, 21, 1
	s_delay_alu instid0(VALU_DEP_1) | instskip(NEXT) | instid1(VALU_DEP_1)
	v_add3_u32 v1, v4, v1, 0x80fffff
                                        ; implicit-def: $vgpr4
	v_lshrrev_b32_e32 v1, 21, v1
; %bb.1937:
	s_and_not1_saveexec_b32 s12, s12
; %bb.1938:
	v_add_f32_e32 v1, 0x43000000, v4
; %bb.1939:
	s_or_b32 exec_lo, exec_lo, s12
                                        ; implicit-def: $vgpr4
.LBB31_1940:
	s_and_not1_saveexec_b32 s11, s11
; %bb.1941:
	v_mov_b32_e32 v1, 0x7f
	v_cmp_lt_u32_e32 vcc_lo, 0x7f800000, v4
	s_delay_alu instid0(VALU_DEP_2)
	v_cndmask_b32_e32 v1, 0x7c, v1, vcc_lo
; %bb.1942:
	s_or_b32 exec_lo, exec_lo, s11
	global_store_b8 v[2:3], v1, off
.LBB31_1943:
	s_mov_b32 s11, 0
	s_mov_b32 s12, -1
.LBB31_1944:
	s_and_not1_b32 vcc_lo, exec_lo, s11
	s_mov_b32 s11, 0
	s_cbranch_vccnz .LBB31_1951
; %bb.1945:
	s_cmp_gt_i32 s7, 14
	s_mov_b32 s11, -1
	s_cbranch_scc0 .LBB31_1949
; %bb.1946:
	s_cmp_eq_u32 s7, 15
	s_mov_b32 s0, -1
	s_cbranch_scc0 .LBB31_1948
; %bb.1947:
	s_wait_xcnt 0x0
	v_cndmask_b32_e64 v1, 0, 1.0, s10
	s_mov_b32 s0, 0
	s_mov_b32 s12, -1
	s_delay_alu instid0(VALU_DEP_1) | instskip(NEXT) | instid1(VALU_DEP_1)
	v_bfe_u32 v4, v1, 16, 1
	v_add3_u32 v1, v1, v4, 0x7fff
	global_store_d16_hi_b16 v[2:3], v1, off
.LBB31_1948:
	s_mov_b32 s11, 0
.LBB31_1949:
	s_delay_alu instid0(SALU_CYCLE_1)
	s_and_b32 vcc_lo, exec_lo, s11
	s_mov_b32 s11, 0
	s_cbranch_vccz .LBB31_1951
; %bb.1950:
	s_cmp_lg_u32 s7, 11
	s_mov_b32 s11, -1
	s_cselect_b32 s0, -1, 0
.LBB31_1951:
	s_delay_alu instid0(SALU_CYCLE_1)
	s_and_b32 vcc_lo, exec_lo, s0
	s_cbranch_vccnz .LBB31_2131
; %bb.1952:
	s_and_not1_b32 vcc_lo, exec_lo, s11
	s_cbranch_vccnz .LBB31_1954
.LBB31_1953:
	s_wait_xcnt 0x0
	v_cndmask_b32_e64 v1, 0, 1, s10
	s_mov_b32 s12, -1
	global_store_b8 v[2:3], v1, off
.LBB31_1954:
	s_mov_b32 s0, 0
	s_branch .LBB31_1956
.LBB31_1955:
	s_mov_b32 s0, -1
	s_mov_b32 s12, 0
.LBB31_1956:
	s_and_b32 vcc_lo, exec_lo, s0
	s_cbranch_vccz .LBB31_1995
; %bb.1957:
	s_cmp_lt_i32 s7, 5
	s_mov_b32 s0, -1
	s_cbranch_scc1 .LBB31_1978
; %bb.1958:
	s_cmp_lt_i32 s7, 8
	s_cbranch_scc1 .LBB31_1968
; %bb.1959:
	s_cmp_lt_i32 s7, 9
	s_cbranch_scc1 .LBB31_1965
; %bb.1960:
	s_cmp_gt_i32 s7, 9
	s_cbranch_scc0 .LBB31_1962
; %bb.1961:
	s_wait_xcnt 0x0
	v_cndmask_b32_e64 v1, 0, 1, s10
	v_mov_b32_e32 v6, 0
	s_mov_b32 s0, 0
	s_delay_alu instid0(VALU_DEP_2) | instskip(NEXT) | instid1(VALU_DEP_2)
	v_cvt_f64_u32_e32 v[4:5], v1
	v_mov_b32_e32 v7, v6
	global_store_b128 v[2:3], v[4:7], off
.LBB31_1962:
	s_and_not1_b32 vcc_lo, exec_lo, s0
	s_cbranch_vccnz .LBB31_1964
; %bb.1963:
	s_wait_xcnt 0x0
	v_cndmask_b32_e64 v4, 0, 1.0, s10
	v_mov_b32_e32 v5, 0
	global_store_b64 v[2:3], v[4:5], off
.LBB31_1964:
	s_mov_b32 s0, 0
.LBB31_1965:
	s_delay_alu instid0(SALU_CYCLE_1)
	s_and_not1_b32 vcc_lo, exec_lo, s0
	s_cbranch_vccnz .LBB31_1967
; %bb.1966:
	s_wait_xcnt 0x0
	v_cndmask_b32_e64 v1, 0, 1.0, s10
	s_delay_alu instid0(VALU_DEP_1) | instskip(NEXT) | instid1(VALU_DEP_1)
	v_cvt_f16_f32_e32 v1, v1
	v_and_b32_e32 v1, 0xffff, v1
	global_store_b32 v[2:3], v1, off
.LBB31_1967:
	s_mov_b32 s0, 0
.LBB31_1968:
	s_delay_alu instid0(SALU_CYCLE_1)
	s_and_not1_b32 vcc_lo, exec_lo, s0
	s_cbranch_vccnz .LBB31_1977
; %bb.1969:
	s_cmp_lt_i32 s7, 6
	s_mov_b32 s0, -1
	s_cbranch_scc1 .LBB31_1975
; %bb.1970:
	s_cmp_gt_i32 s7, 6
	s_cbranch_scc0 .LBB31_1972
; %bb.1971:
	s_wait_xcnt 0x0
	v_cndmask_b32_e64 v1, 0, 1, s10
	s_mov_b32 s0, 0
	s_delay_alu instid0(VALU_DEP_1)
	v_cvt_f64_u32_e32 v[4:5], v1
	global_store_b64 v[2:3], v[4:5], off
.LBB31_1972:
	s_and_not1_b32 vcc_lo, exec_lo, s0
	s_cbranch_vccnz .LBB31_1974
; %bb.1973:
	s_wait_xcnt 0x0
	v_cndmask_b32_e64 v1, 0, 1.0, s10
	global_store_b32 v[2:3], v1, off
.LBB31_1974:
	s_mov_b32 s0, 0
.LBB31_1975:
	s_delay_alu instid0(SALU_CYCLE_1)
	s_and_not1_b32 vcc_lo, exec_lo, s0
	s_cbranch_vccnz .LBB31_1977
; %bb.1976:
	s_wait_xcnt 0x0
	v_cndmask_b32_e64 v1, 0, 1.0, s10
	s_delay_alu instid0(VALU_DEP_1)
	v_cvt_f16_f32_e32 v1, v1
	global_store_b16 v[2:3], v1, off
.LBB31_1977:
	s_mov_b32 s0, 0
.LBB31_1978:
	s_delay_alu instid0(SALU_CYCLE_1)
	s_and_not1_b32 vcc_lo, exec_lo, s0
	s_cbranch_vccnz .LBB31_1994
; %bb.1979:
	s_cmp_lt_i32 s7, 2
	s_mov_b32 s0, -1
	s_cbranch_scc1 .LBB31_1989
; %bb.1980:
	s_cmp_lt_i32 s7, 3
	s_cbranch_scc1 .LBB31_1986
; %bb.1981:
	s_cmp_gt_i32 s7, 3
	s_cbranch_scc0 .LBB31_1983
; %bb.1982:
	s_mov_b32 s0, 0
	s_wait_xcnt 0x0
	v_cndmask_b32_e64 v4, 0, 1, s10
	v_mov_b32_e32 v5, s0
	global_store_b64 v[2:3], v[4:5], off
.LBB31_1983:
	s_and_not1_b32 vcc_lo, exec_lo, s0
	s_cbranch_vccnz .LBB31_1985
; %bb.1984:
	s_wait_xcnt 0x0
	v_cndmask_b32_e64 v1, 0, 1, s10
	global_store_b32 v[2:3], v1, off
.LBB31_1985:
	s_mov_b32 s0, 0
.LBB31_1986:
	s_delay_alu instid0(SALU_CYCLE_1)
	s_and_not1_b32 vcc_lo, exec_lo, s0
	s_cbranch_vccnz .LBB31_1988
; %bb.1987:
	s_wait_xcnt 0x0
	v_cndmask_b32_e64 v1, 0, 1, s10
	global_store_b16 v[2:3], v1, off
.LBB31_1988:
	s_mov_b32 s0, 0
.LBB31_1989:
	s_delay_alu instid0(SALU_CYCLE_1)
	s_and_not1_b32 vcc_lo, exec_lo, s0
	s_cbranch_vccnz .LBB31_1994
; %bb.1990:
	s_cmp_gt_i32 s7, 0
	s_mov_b32 s0, -1
	s_cbranch_scc0 .LBB31_1992
; %bb.1991:
	s_wait_xcnt 0x0
	v_cndmask_b32_e64 v1, 0, 1, s10
	s_mov_b32 s0, 0
	global_store_b8 v[2:3], v1, off
.LBB31_1992:
	s_and_not1_b32 vcc_lo, exec_lo, s0
	s_cbranch_vccnz .LBB31_1994
; %bb.1993:
	s_wait_xcnt 0x0
	v_cndmask_b32_e64 v1, 0, 1, s10
	global_store_b8 v[2:3], v1, off
.LBB31_1994:
	s_mov_b32 s12, -1
.LBB31_1995:
	s_delay_alu instid0(SALU_CYCLE_1)
	s_and_not1_b32 vcc_lo, exec_lo, s12
	s_cbranch_vccnz .LBB31_2072
; %bb.1996:
	s_wait_xcnt 0x0
	v_and_b32_e32 v2, 0xff, v8
	v_mov_b32_e32 v1, 0
	s_delay_alu instid0(VALU_DEP_2) | instskip(NEXT) | instid1(VALU_DEP_2)
	v_cmp_ne_u16_e32 vcc_lo, s6, v2
	v_add_nc_u64_e32 v[2:3], s[4:5], v[0:1]
	s_xor_b32 s4, s3, vcc_lo
	s_cmp_lt_i32 s7, 11
	s_cbranch_scc1 .LBB31_2117
; %bb.1997:
	s_mov_b32 s5, -1
	s_mov_b32 s3, 0
	s_cmp_gt_i32 s7, 25
	s_mov_b32 s0, 0
	s_cbranch_scc0 .LBB31_2030
; %bb.1998:
	s_cmp_gt_i32 s7, 28
	s_cbranch_scc0 .LBB31_2014
; %bb.1999:
	s_cmp_gt_i32 s7, 43
	;; [unrolled: 3-line block ×3, first 2 shown]
	s_cbranch_scc0 .LBB31_2004
; %bb.2001:
	s_cmp_eq_u32 s7, 46
	s_mov_b32 s0, -1
	s_cbranch_scc0 .LBB31_2003
; %bb.2002:
	v_cndmask_b32_e64 v0, 0, 1.0, s4
	s_mov_b32 s0, 0
	s_delay_alu instid0(VALU_DEP_1) | instskip(NEXT) | instid1(VALU_DEP_1)
	v_bfe_u32 v1, v0, 16, 1
	v_add3_u32 v0, v0, v1, 0x7fff
	s_delay_alu instid0(VALU_DEP_1)
	v_lshrrev_b32_e32 v0, 16, v0
	global_store_b32 v[2:3], v0, off
.LBB31_2003:
	s_mov_b32 s5, 0
.LBB31_2004:
	s_delay_alu instid0(SALU_CYCLE_1)
	s_and_b32 vcc_lo, exec_lo, s5
	s_cbranch_vccz .LBB31_2009
; %bb.2005:
	s_cmp_eq_u32 s7, 44
	s_mov_b32 s0, -1
	s_cbranch_scc0 .LBB31_2009
; %bb.2006:
	v_cndmask_b32_e64 v4, 0, 1.0, s4
	s_mov_b32 s5, exec_lo
	s_wait_xcnt 0x0
	s_delay_alu instid0(VALU_DEP_1) | instskip(NEXT) | instid1(VALU_DEP_1)
	v_dual_mov_b32 v1, 0xff :: v_dual_lshrrev_b32 v0, 23, v4
	v_cmpx_ne_u32_e32 0xff, v0
; %bb.2007:
	v_and_b32_e32 v1, 0x400000, v4
	v_and_or_b32 v4, 0x3fffff, v4, v0
	s_delay_alu instid0(VALU_DEP_2) | instskip(NEXT) | instid1(VALU_DEP_2)
	v_cmp_ne_u32_e32 vcc_lo, 0, v1
	v_cmp_ne_u32_e64 s0, 0, v4
	s_and_b32 s0, vcc_lo, s0
	s_delay_alu instid0(SALU_CYCLE_1) | instskip(NEXT) | instid1(VALU_DEP_1)
	v_cndmask_b32_e64 v1, 0, 1, s0
	v_add_nc_u32_e32 v1, v0, v1
; %bb.2008:
	s_or_b32 exec_lo, exec_lo, s5
	s_mov_b32 s0, 0
	global_store_b8 v[2:3], v1, off
.LBB31_2009:
	s_mov_b32 s5, 0
.LBB31_2010:
	s_delay_alu instid0(SALU_CYCLE_1)
	s_and_b32 vcc_lo, exec_lo, s5
	s_cbranch_vccz .LBB31_2013
; %bb.2011:
	s_cmp_eq_u32 s7, 29
	s_mov_b32 s0, -1
	s_cbranch_scc0 .LBB31_2013
; %bb.2012:
	s_mov_b32 s0, 0
	s_wait_xcnt 0x0
	v_cndmask_b32_e64 v0, 0, 1, s4
	v_mov_b32_e32 v1, s0
	global_store_b64 v[2:3], v[0:1], off
.LBB31_2013:
	s_mov_b32 s5, 0
.LBB31_2014:
	s_delay_alu instid0(SALU_CYCLE_1)
	s_and_b32 vcc_lo, exec_lo, s5
	s_cbranch_vccz .LBB31_2029
; %bb.2015:
	s_cmp_lt_i32 s7, 27
	s_mov_b32 s5, -1
	s_cbranch_scc1 .LBB31_2021
; %bb.2016:
	s_cmp_gt_i32 s7, 27
	s_cbranch_scc0 .LBB31_2018
; %bb.2017:
	s_wait_xcnt 0x0
	v_cndmask_b32_e64 v0, 0, 1, s4
	s_mov_b32 s5, 0
	global_store_b32 v[2:3], v0, off
.LBB31_2018:
	s_and_not1_b32 vcc_lo, exec_lo, s5
	s_cbranch_vccnz .LBB31_2020
; %bb.2019:
	s_wait_xcnt 0x0
	v_cndmask_b32_e64 v0, 0, 1, s4
	global_store_b16 v[2:3], v0, off
.LBB31_2020:
	s_mov_b32 s5, 0
.LBB31_2021:
	s_delay_alu instid0(SALU_CYCLE_1)
	s_and_not1_b32 vcc_lo, exec_lo, s5
	s_cbranch_vccnz .LBB31_2029
; %bb.2022:
	s_wait_xcnt 0x0
	v_cndmask_b32_e64 v1, 0, 1.0, s4
	v_mov_b32_e32 v4, 0x80
	s_mov_b32 s5, exec_lo
	s_delay_alu instid0(VALU_DEP_2)
	v_cmpx_gt_u32_e32 0x43800000, v1
	s_cbranch_execz .LBB31_2028
; %bb.2023:
	s_mov_b32 s6, 0
	s_mov_b32 s10, exec_lo
                                        ; implicit-def: $vgpr0
	v_cmpx_lt_u32_e32 0x3bffffff, v1
	s_xor_b32 s10, exec_lo, s10
	s_cbranch_execz .LBB31_2134
; %bb.2024:
	v_bfe_u32 v0, v1, 20, 1
	s_mov_b32 s6, exec_lo
	s_delay_alu instid0(VALU_DEP_1) | instskip(NEXT) | instid1(VALU_DEP_1)
	v_add3_u32 v0, v1, v0, 0x487ffff
                                        ; implicit-def: $vgpr1
	v_lshrrev_b32_e32 v0, 20, v0
	s_and_not1_saveexec_b32 s10, s10
	s_cbranch_execnz .LBB31_2135
.LBB31_2025:
	s_or_b32 exec_lo, exec_lo, s10
	v_mov_b32_e32 v4, 0
	s_and_saveexec_b32 s10, s6
.LBB31_2026:
	v_mov_b32_e32 v4, v0
.LBB31_2027:
	s_or_b32 exec_lo, exec_lo, s10
.LBB31_2028:
	s_delay_alu instid0(SALU_CYCLE_1)
	s_or_b32 exec_lo, exec_lo, s5
	global_store_b8 v[2:3], v4, off
.LBB31_2029:
	s_mov_b32 s5, 0
.LBB31_2030:
	s_delay_alu instid0(SALU_CYCLE_1)
	s_and_b32 vcc_lo, exec_lo, s5
	s_cbranch_vccz .LBB31_2070
; %bb.2031:
	s_cmp_gt_i32 s7, 22
	s_mov_b32 s3, -1
	s_cbranch_scc0 .LBB31_2063
; %bb.2032:
	s_cmp_lt_i32 s7, 24
	s_cbranch_scc1 .LBB31_2052
; %bb.2033:
	s_cmp_gt_i32 s7, 24
	s_cbranch_scc0 .LBB31_2041
; %bb.2034:
	s_wait_xcnt 0x0
	v_cndmask_b32_e64 v1, 0, 1.0, s4
	v_mov_b32_e32 v4, 0x80
	s_mov_b32 s3, exec_lo
	s_delay_alu instid0(VALU_DEP_2)
	v_cmpx_gt_u32_e32 0x47800000, v1
	s_cbranch_execz .LBB31_2040
; %bb.2035:
	s_mov_b32 s5, 0
	s_mov_b32 s6, exec_lo
                                        ; implicit-def: $vgpr0
	v_cmpx_lt_u32_e32 0x37ffffff, v1
	s_xor_b32 s6, exec_lo, s6
	s_cbranch_execz .LBB31_2137
; %bb.2036:
	v_bfe_u32 v0, v1, 21, 1
	s_mov_b32 s5, exec_lo
	s_delay_alu instid0(VALU_DEP_1) | instskip(NEXT) | instid1(VALU_DEP_1)
	v_add3_u32 v0, v1, v0, 0x88fffff
                                        ; implicit-def: $vgpr1
	v_lshrrev_b32_e32 v0, 21, v0
	s_and_not1_saveexec_b32 s6, s6
	s_cbranch_execnz .LBB31_2138
.LBB31_2037:
	s_or_b32 exec_lo, exec_lo, s6
	v_mov_b32_e32 v4, 0
	s_and_saveexec_b32 s6, s5
.LBB31_2038:
	v_mov_b32_e32 v4, v0
.LBB31_2039:
	s_or_b32 exec_lo, exec_lo, s6
.LBB31_2040:
	s_delay_alu instid0(SALU_CYCLE_1)
	s_or_b32 exec_lo, exec_lo, s3
	s_mov_b32 s3, 0
	global_store_b8 v[2:3], v4, off
.LBB31_2041:
	s_and_b32 vcc_lo, exec_lo, s3
	s_cbranch_vccz .LBB31_2051
; %bb.2042:
	s_wait_xcnt 0x0
	v_cndmask_b32_e64 v1, 0, 1.0, s4
	s_mov_b32 s3, exec_lo
                                        ; implicit-def: $vgpr0
	s_delay_alu instid0(VALU_DEP_1)
	v_cmpx_gt_u32_e32 0x43f00000, v1
	s_xor_b32 s3, exec_lo, s3
	s_cbranch_execz .LBB31_2048
; %bb.2043:
	s_mov_b32 s5, exec_lo
                                        ; implicit-def: $vgpr0
	v_cmpx_lt_u32_e32 0x3c7fffff, v1
	s_xor_b32 s5, exec_lo, s5
; %bb.2044:
	v_bfe_u32 v0, v1, 20, 1
	s_delay_alu instid0(VALU_DEP_1) | instskip(NEXT) | instid1(VALU_DEP_1)
	v_add3_u32 v0, v1, v0, 0x407ffff
	v_and_b32_e32 v1, 0xff00000, v0
	v_lshrrev_b32_e32 v0, 20, v0
	s_delay_alu instid0(VALU_DEP_2) | instskip(NEXT) | instid1(VALU_DEP_2)
	v_cmp_ne_u32_e32 vcc_lo, 0x7f00000, v1
                                        ; implicit-def: $vgpr1
	v_cndmask_b32_e32 v0, 0x7e, v0, vcc_lo
; %bb.2045:
	s_and_not1_saveexec_b32 s5, s5
; %bb.2046:
	v_add_f32_e32 v0, 0x46800000, v1
; %bb.2047:
	s_or_b32 exec_lo, exec_lo, s5
                                        ; implicit-def: $vgpr1
.LBB31_2048:
	s_and_not1_saveexec_b32 s3, s3
; %bb.2049:
	v_mov_b32_e32 v0, 0x7f
	v_cmp_lt_u32_e32 vcc_lo, 0x7f800000, v1
	s_delay_alu instid0(VALU_DEP_2)
	v_cndmask_b32_e32 v0, 0x7e, v0, vcc_lo
; %bb.2050:
	s_or_b32 exec_lo, exec_lo, s3
	global_store_b8 v[2:3], v0, off
.LBB31_2051:
	s_mov_b32 s3, 0
.LBB31_2052:
	s_delay_alu instid0(SALU_CYCLE_1)
	s_and_not1_b32 vcc_lo, exec_lo, s3
	s_cbranch_vccnz .LBB31_2062
; %bb.2053:
	s_wait_xcnt 0x0
	v_cndmask_b32_e64 v1, 0, 1.0, s4
	s_mov_b32 s3, exec_lo
                                        ; implicit-def: $vgpr0
	s_delay_alu instid0(VALU_DEP_1)
	v_cmpx_gt_u32_e32 0x47800000, v1
	s_xor_b32 s3, exec_lo, s3
	s_cbranch_execz .LBB31_2059
; %bb.2054:
	s_mov_b32 s5, exec_lo
                                        ; implicit-def: $vgpr0
	v_cmpx_lt_u32_e32 0x387fffff, v1
	s_xor_b32 s5, exec_lo, s5
; %bb.2055:
	v_bfe_u32 v0, v1, 21, 1
	s_delay_alu instid0(VALU_DEP_1) | instskip(NEXT) | instid1(VALU_DEP_1)
	v_add3_u32 v0, v1, v0, 0x80fffff
                                        ; implicit-def: $vgpr1
	v_lshrrev_b32_e32 v0, 21, v0
; %bb.2056:
	s_and_not1_saveexec_b32 s5, s5
; %bb.2057:
	v_add_f32_e32 v0, 0x43000000, v1
; %bb.2058:
	s_or_b32 exec_lo, exec_lo, s5
                                        ; implicit-def: $vgpr1
.LBB31_2059:
	s_and_not1_saveexec_b32 s3, s3
; %bb.2060:
	v_mov_b32_e32 v0, 0x7f
	v_cmp_lt_u32_e32 vcc_lo, 0x7f800000, v1
	s_delay_alu instid0(VALU_DEP_2)
	v_cndmask_b32_e32 v0, 0x7c, v0, vcc_lo
; %bb.2061:
	s_or_b32 exec_lo, exec_lo, s3
	global_store_b8 v[2:3], v0, off
.LBB31_2062:
	s_mov_b32 s3, 0
.LBB31_2063:
	s_delay_alu instid0(SALU_CYCLE_1)
	s_and_not1_b32 vcc_lo, exec_lo, s3
	s_mov_b32 s3, 0
	s_cbranch_vccnz .LBB31_2070
; %bb.2064:
	s_cmp_gt_i32 s7, 14
	s_mov_b32 s3, -1
	s_cbranch_scc0 .LBB31_2068
; %bb.2065:
	s_cmp_eq_u32 s7, 15
	s_mov_b32 s0, -1
	s_cbranch_scc0 .LBB31_2067
; %bb.2066:
	s_wait_xcnt 0x0
	v_cndmask_b32_e64 v0, 0, 1.0, s4
	s_mov_b32 s0, 0
	s_delay_alu instid0(VALU_DEP_1) | instskip(NEXT) | instid1(VALU_DEP_1)
	v_bfe_u32 v1, v0, 16, 1
	v_add3_u32 v0, v0, v1, 0x7fff
	global_store_d16_hi_b16 v[2:3], v0, off
.LBB31_2067:
	s_mov_b32 s3, 0
.LBB31_2068:
	s_delay_alu instid0(SALU_CYCLE_1)
	s_and_b32 vcc_lo, exec_lo, s3
	s_mov_b32 s3, 0
	s_cbranch_vccz .LBB31_2070
; %bb.2069:
	s_cmp_lg_u32 s7, 11
	s_mov_b32 s3, -1
	s_cselect_b32 s0, -1, 0
.LBB31_2070:
	s_delay_alu instid0(SALU_CYCLE_1)
	s_and_b32 vcc_lo, exec_lo, s0
	s_cbranch_vccnz .LBB31_2136
.LBB31_2071:
	s_mov_b32 s0, 0
	s_branch .LBB31_2073
.LBB31_2072:
	s_mov_b32 s0, 0
	s_mov_b32 s3, 0
                                        ; implicit-def: $sgpr4
                                        ; implicit-def: $vgpr2_vgpr3
                                        ; implicit-def: $sgpr2
.LBB31_2073:
	s_and_not1_b32 s5, s8, exec_lo
	s_and_b32 s1, s1, exec_lo
	s_and_b32 s0, s0, exec_lo
	s_and_b32 s3, s3, exec_lo
	s_or_b32 s8, s5, s1
.LBB31_2074:
	s_wait_xcnt 0x0
	s_or_b32 exec_lo, exec_lo, s9
	s_and_saveexec_b32 s1, s8
	s_cbranch_execz .LBB31_2077
; %bb.2075:
	; divergent unreachable
	s_or_b32 exec_lo, exec_lo, s1
	s_and_saveexec_b32 s1, s3
	s_delay_alu instid0(SALU_CYCLE_1)
	s_xor_b32 s1, exec_lo, s1
	s_cbranch_execnz .LBB31_2078
.LBB31_2076:
	s_or_b32 exec_lo, exec_lo, s1
	s_and_saveexec_b32 s1, s0
	s_cbranch_execnz .LBB31_2079
	s_branch .LBB31_2116
.LBB31_2077:
	s_or_b32 exec_lo, exec_lo, s1
	s_and_saveexec_b32 s1, s3
	s_delay_alu instid0(SALU_CYCLE_1)
	s_xor_b32 s1, exec_lo, s1
	s_cbranch_execz .LBB31_2076
.LBB31_2078:
	v_cndmask_b32_e64 v0, 0, 1, s4
	global_store_b8 v[2:3], v0, off
	s_wait_xcnt 0x0
	s_or_b32 exec_lo, exec_lo, s1
	s_and_saveexec_b32 s1, s0
	s_cbranch_execz .LBB31_2116
.LBB31_2079:
	s_sext_i32_i16 s1, s2
	s_mov_b32 s0, -1
	s_cmp_lt_i32 s1, 5
	s_cbranch_scc1 .LBB31_2100
; %bb.2080:
	s_cmp_lt_i32 s1, 8
	s_cbranch_scc1 .LBB31_2090
; %bb.2081:
	;; [unrolled: 3-line block ×3, first 2 shown]
	s_cmp_gt_i32 s1, 9
	s_cbranch_scc0 .LBB31_2084
; %bb.2083:
	v_cndmask_b32_e64 v0, 0, 1, s4
	s_wait_loadcnt 0x0
	v_mov_b32_e32 v6, 0
	s_mov_b32 s0, 0
	s_delay_alu instid0(VALU_DEP_2) | instskip(NEXT) | instid1(VALU_DEP_2)
	v_cvt_f64_u32_e32 v[4:5], v0
	v_mov_b32_e32 v7, v6
	global_store_b128 v[2:3], v[4:7], off
.LBB31_2084:
	s_and_not1_b32 vcc_lo, exec_lo, s0
	s_cbranch_vccnz .LBB31_2086
; %bb.2085:
	v_cndmask_b32_e64 v0, 0, 1.0, s4
	v_mov_b32_e32 v1, 0
	global_store_b64 v[2:3], v[0:1], off
.LBB31_2086:
	s_mov_b32 s0, 0
.LBB31_2087:
	s_delay_alu instid0(SALU_CYCLE_1)
	s_and_not1_b32 vcc_lo, exec_lo, s0
	s_cbranch_vccnz .LBB31_2089
; %bb.2088:
	s_wait_xcnt 0x0
	v_cndmask_b32_e64 v0, 0, 1.0, s4
	s_delay_alu instid0(VALU_DEP_1) | instskip(NEXT) | instid1(VALU_DEP_1)
	v_cvt_f16_f32_e32 v0, v0
	v_and_b32_e32 v0, 0xffff, v0
	global_store_b32 v[2:3], v0, off
.LBB31_2089:
	s_mov_b32 s0, 0
.LBB31_2090:
	s_delay_alu instid0(SALU_CYCLE_1)
	s_and_not1_b32 vcc_lo, exec_lo, s0
	s_cbranch_vccnz .LBB31_2099
; %bb.2091:
	s_sext_i32_i16 s1, s2
	s_mov_b32 s0, -1
	s_cmp_lt_i32 s1, 6
	s_cbranch_scc1 .LBB31_2097
; %bb.2092:
	s_cmp_gt_i32 s1, 6
	s_cbranch_scc0 .LBB31_2094
; %bb.2093:
	s_wait_xcnt 0x0
	v_cndmask_b32_e64 v0, 0, 1, s4
	s_mov_b32 s0, 0
	s_delay_alu instid0(VALU_DEP_1)
	v_cvt_f64_u32_e32 v[0:1], v0
	global_store_b64 v[2:3], v[0:1], off
.LBB31_2094:
	s_and_not1_b32 vcc_lo, exec_lo, s0
	s_cbranch_vccnz .LBB31_2096
; %bb.2095:
	s_wait_xcnt 0x0
	v_cndmask_b32_e64 v0, 0, 1.0, s4
	global_store_b32 v[2:3], v0, off
.LBB31_2096:
	s_mov_b32 s0, 0
.LBB31_2097:
	s_delay_alu instid0(SALU_CYCLE_1)
	s_and_not1_b32 vcc_lo, exec_lo, s0
	s_cbranch_vccnz .LBB31_2099
; %bb.2098:
	s_wait_xcnt 0x0
	v_cndmask_b32_e64 v0, 0, 1.0, s4
	s_delay_alu instid0(VALU_DEP_1)
	v_cvt_f16_f32_e32 v0, v0
	global_store_b16 v[2:3], v0, off
.LBB31_2099:
	s_mov_b32 s0, 0
.LBB31_2100:
	s_delay_alu instid0(SALU_CYCLE_1)
	s_and_not1_b32 vcc_lo, exec_lo, s0
	s_cbranch_vccnz .LBB31_2116
; %bb.2101:
	s_sext_i32_i16 s1, s2
	s_mov_b32 s0, -1
	s_cmp_lt_i32 s1, 2
	s_cbranch_scc1 .LBB31_2111
; %bb.2102:
	s_cmp_lt_i32 s1, 3
	s_cbranch_scc1 .LBB31_2108
; %bb.2103:
	s_cmp_gt_i32 s1, 3
	s_cbranch_scc0 .LBB31_2105
; %bb.2104:
	s_mov_b32 s0, 0
	s_wait_xcnt 0x0
	v_cndmask_b32_e64 v0, 0, 1, s4
	v_mov_b32_e32 v1, s0
	global_store_b64 v[2:3], v[0:1], off
.LBB31_2105:
	s_and_not1_b32 vcc_lo, exec_lo, s0
	s_cbranch_vccnz .LBB31_2107
; %bb.2106:
	s_wait_xcnt 0x0
	v_cndmask_b32_e64 v0, 0, 1, s4
	global_store_b32 v[2:3], v0, off
.LBB31_2107:
	s_mov_b32 s0, 0
.LBB31_2108:
	s_delay_alu instid0(SALU_CYCLE_1)
	s_and_not1_b32 vcc_lo, exec_lo, s0
	s_cbranch_vccnz .LBB31_2110
; %bb.2109:
	s_wait_xcnt 0x0
	v_cndmask_b32_e64 v0, 0, 1, s4
	global_store_b16 v[2:3], v0, off
.LBB31_2110:
	s_mov_b32 s0, 0
.LBB31_2111:
	s_delay_alu instid0(SALU_CYCLE_1)
	s_and_not1_b32 vcc_lo, exec_lo, s0
	s_cbranch_vccnz .LBB31_2116
; %bb.2112:
	s_sext_i32_i16 s0, s2
	s_delay_alu instid0(SALU_CYCLE_1)
	s_cmp_gt_i32 s0, 0
	s_mov_b32 s0, -1
	s_cbranch_scc0 .LBB31_2114
; %bb.2113:
	s_wait_xcnt 0x0
	v_cndmask_b32_e64 v0, 0, 1, s4
	s_mov_b32 s0, 0
	global_store_b8 v[2:3], v0, off
.LBB31_2114:
	s_and_not1_b32 vcc_lo, exec_lo, s0
	s_cbranch_vccnz .LBB31_2116
; %bb.2115:
	s_wait_xcnt 0x0
	v_cndmask_b32_e64 v0, 0, 1, s4
	global_store_b8 v[2:3], v0, off
	s_endpgm
.LBB31_2116:
	s_endpgm
.LBB31_2117:
	s_mov_b32 s3, 0
	s_mov_b32 s0, -1
	s_branch .LBB31_2073
.LBB31_2118:
	s_or_b32 s1, s1, exec_lo
	s_trap 2
	s_cbranch_execz .LBB31_1588
	s_branch .LBB31_1589
.LBB31_2119:
	s_and_not1_saveexec_b32 s14, s14
	s_cbranch_execz .LBB31_1668
.LBB31_2120:
	v_add_f32_e32 v1, 0x46000000, v3
	s_and_not1_b32 s13, s13, exec_lo
	s_delay_alu instid0(VALU_DEP_1) | instskip(NEXT) | instid1(VALU_DEP_1)
	v_and_b32_e32 v1, 0xff, v1
	v_cmp_ne_u32_e32 vcc_lo, 0, v1
	s_and_b32 s15, vcc_lo, exec_lo
	s_delay_alu instid0(SALU_CYCLE_1)
	s_or_b32 s13, s13, s15
	s_or_b32 exec_lo, exec_lo, s14
	v_mov_b32_e32 v5, 0
	s_and_saveexec_b32 s14, s13
	s_cbranch_execnz .LBB31_1669
	s_branch .LBB31_1670
.LBB31_2121:
	s_or_b32 s1, s1, exec_lo
	s_trap 2
	s_cbranch_execz .LBB31_1716
	s_branch .LBB31_1717
.LBB31_2122:
	s_and_not1_saveexec_b32 s13, s13
	s_cbranch_execz .LBB31_1681
.LBB31_2123:
	v_add_f32_e32 v1, 0x42800000, v3
	s_and_not1_b32 s12, s12, exec_lo
	s_delay_alu instid0(VALU_DEP_1) | instskip(NEXT) | instid1(VALU_DEP_1)
	v_and_b32_e32 v1, 0xff, v1
	v_cmp_ne_u32_e32 vcc_lo, 0, v1
	s_and_b32 s14, vcc_lo, exec_lo
	s_delay_alu instid0(SALU_CYCLE_1)
	s_or_b32 s12, s12, s14
	s_or_b32 exec_lo, exec_lo, s13
	v_mov_b32_e32 v5, 0
	s_and_saveexec_b32 s13, s12
	s_cbranch_execnz .LBB31_1682
	s_branch .LBB31_1683
.LBB31_2124:
	s_and_not1_saveexec_b32 s14, s14
	s_cbranch_execz .LBB31_1786
.LBB31_2125:
	v_add_f32_e32 v1, 0x46000000, v3
	s_and_not1_b32 s13, s13, exec_lo
	s_delay_alu instid0(VALU_DEP_1) | instskip(NEXT) | instid1(VALU_DEP_1)
	v_and_b32_e32 v1, 0xff, v1
	v_cmp_ne_u32_e32 vcc_lo, 0, v1
	s_and_b32 s15, vcc_lo, exec_lo
	s_delay_alu instid0(SALU_CYCLE_1)
	s_or_b32 s13, s13, s15
	s_or_b32 exec_lo, exec_lo, s14
	v_mov_b32_e32 v6, 0
	s_and_saveexec_b32 s14, s13
	s_cbranch_execnz .LBB31_1787
	s_branch .LBB31_1788
.LBB31_2126:
	s_or_b32 s1, s1, exec_lo
	s_trap 2
	s_cbranch_execz .LBB31_1834
	s_branch .LBB31_1835
.LBB31_2127:
	s_and_not1_saveexec_b32 s13, s13
	s_cbranch_execz .LBB31_1799
.LBB31_2128:
	v_add_f32_e32 v1, 0x42800000, v3
	s_and_not1_b32 s12, s12, exec_lo
	s_delay_alu instid0(VALU_DEP_1) | instskip(NEXT) | instid1(VALU_DEP_1)
	v_and_b32_e32 v1, 0xff, v1
	v_cmp_ne_u32_e32 vcc_lo, 0, v1
	s_and_b32 s14, vcc_lo, exec_lo
	s_delay_alu instid0(SALU_CYCLE_1)
	s_or_b32 s12, s12, s14
	s_or_b32 exec_lo, exec_lo, s13
	v_mov_b32_e32 v6, 0
	s_and_saveexec_b32 s13, s12
	s_cbranch_execnz .LBB31_1800
	s_branch .LBB31_1801
.LBB31_2129:
	s_and_not1_saveexec_b32 s14, s14
	s_cbranch_execz .LBB31_1905
.LBB31_2130:
	v_add_f32_e32 v1, 0x46000000, v4
	s_and_not1_b32 s13, s13, exec_lo
	s_delay_alu instid0(VALU_DEP_1) | instskip(NEXT) | instid1(VALU_DEP_1)
	v_and_b32_e32 v1, 0xff, v1
	v_cmp_ne_u32_e32 vcc_lo, 0, v1
	s_and_b32 s15, vcc_lo, exec_lo
	s_delay_alu instid0(SALU_CYCLE_1)
	s_or_b32 s13, s13, s15
	s_or_b32 exec_lo, exec_lo, s14
	v_mov_b32_e32 v5, 0
	s_and_saveexec_b32 s14, s13
	s_cbranch_execnz .LBB31_1906
	s_branch .LBB31_1907
.LBB31_2131:
	s_or_b32 s1, s1, exec_lo
	s_trap 2
	s_cbranch_execz .LBB31_1953
	s_branch .LBB31_1954
.LBB31_2132:
	s_and_not1_saveexec_b32 s13, s13
	s_cbranch_execz .LBB31_1918
.LBB31_2133:
	v_add_f32_e32 v1, 0x42800000, v4
	s_and_not1_b32 s12, s12, exec_lo
	s_delay_alu instid0(VALU_DEP_1) | instskip(NEXT) | instid1(VALU_DEP_1)
	v_and_b32_e32 v1, 0xff, v1
	v_cmp_ne_u32_e32 vcc_lo, 0, v1
	s_and_b32 s14, vcc_lo, exec_lo
	s_delay_alu instid0(SALU_CYCLE_1)
	s_or_b32 s12, s12, s14
	s_or_b32 exec_lo, exec_lo, s13
	v_mov_b32_e32 v5, 0
	s_and_saveexec_b32 s13, s12
	s_cbranch_execnz .LBB31_1919
	s_branch .LBB31_1920
.LBB31_2134:
	s_and_not1_saveexec_b32 s10, s10
	s_cbranch_execz .LBB31_2025
.LBB31_2135:
	v_add_f32_e32 v0, 0x46000000, v1
	s_and_not1_b32 s6, s6, exec_lo
	s_delay_alu instid0(VALU_DEP_1) | instskip(NEXT) | instid1(VALU_DEP_1)
	v_and_b32_e32 v0, 0xff, v0
	v_cmp_ne_u32_e32 vcc_lo, 0, v0
	s_and_b32 s11, vcc_lo, exec_lo
	s_delay_alu instid0(SALU_CYCLE_1)
	s_or_b32 s6, s6, s11
	s_or_b32 exec_lo, exec_lo, s10
	v_mov_b32_e32 v4, 0
	s_and_saveexec_b32 s10, s6
	s_cbranch_execnz .LBB31_2026
	s_branch .LBB31_2027
.LBB31_2136:
	s_mov_b32 s3, 0
	s_or_b32 s1, s1, exec_lo
	s_trap 2
	s_branch .LBB31_2071
.LBB31_2137:
	s_and_not1_saveexec_b32 s6, s6
	s_cbranch_execz .LBB31_2037
.LBB31_2138:
	v_add_f32_e32 v0, 0x42800000, v1
	s_and_not1_b32 s5, s5, exec_lo
	s_delay_alu instid0(VALU_DEP_1) | instskip(NEXT) | instid1(VALU_DEP_1)
	v_and_b32_e32 v0, 0xff, v0
	v_cmp_ne_u32_e32 vcc_lo, 0, v0
	s_and_b32 s10, vcc_lo, exec_lo
	s_delay_alu instid0(SALU_CYCLE_1)
	s_or_b32 s5, s5, s10
	s_or_b32 exec_lo, exec_lo, s6
	v_mov_b32_e32 v4, 0
	s_and_saveexec_b32 s6, s5
	s_cbranch_execnz .LBB31_2038
	s_branch .LBB31_2039
	.section	.rodata,"a",@progbits
	.p2align	6, 0x0
	.amdhsa_kernel _ZN2at6native32elementwise_kernel_manual_unrollILi128ELi4EZNS0_15gpu_kernel_implINS0_13AUnaryFunctorIaabNS0_12_GLOBAL__N_116CompareEqFunctorIaEEEEEEvRNS_18TensorIteratorBaseERKT_EUlibE0_EEviT1_
		.amdhsa_group_segment_fixed_size 0
		.amdhsa_private_segment_fixed_size 0
		.amdhsa_kernarg_size 368
		.amdhsa_user_sgpr_count 2
		.amdhsa_user_sgpr_dispatch_ptr 0
		.amdhsa_user_sgpr_queue_ptr 0
		.amdhsa_user_sgpr_kernarg_segment_ptr 1
		.amdhsa_user_sgpr_dispatch_id 0
		.amdhsa_user_sgpr_kernarg_preload_length 0
		.amdhsa_user_sgpr_kernarg_preload_offset 0
		.amdhsa_user_sgpr_private_segment_size 0
		.amdhsa_wavefront_size32 1
		.amdhsa_uses_dynamic_stack 0
		.amdhsa_enable_private_segment 0
		.amdhsa_system_sgpr_workgroup_id_x 1
		.amdhsa_system_sgpr_workgroup_id_y 0
		.amdhsa_system_sgpr_workgroup_id_z 0
		.amdhsa_system_sgpr_workgroup_info 0
		.amdhsa_system_vgpr_workitem_id 0
		.amdhsa_next_free_vgpr 18
		.amdhsa_next_free_sgpr 68
		.amdhsa_named_barrier_count 0
		.amdhsa_reserve_vcc 1
		.amdhsa_float_round_mode_32 0
		.amdhsa_float_round_mode_16_64 0
		.amdhsa_float_denorm_mode_32 3
		.amdhsa_float_denorm_mode_16_64 3
		.amdhsa_fp16_overflow 0
		.amdhsa_memory_ordered 1
		.amdhsa_forward_progress 1
		.amdhsa_inst_pref_size 255
		.amdhsa_round_robin_scheduling 0
		.amdhsa_exception_fp_ieee_invalid_op 0
		.amdhsa_exception_fp_denorm_src 0
		.amdhsa_exception_fp_ieee_div_zero 0
		.amdhsa_exception_fp_ieee_overflow 0
		.amdhsa_exception_fp_ieee_underflow 0
		.amdhsa_exception_fp_ieee_inexact 0
		.amdhsa_exception_int_div_zero 0
	.end_amdhsa_kernel
	.section	.text._ZN2at6native32elementwise_kernel_manual_unrollILi128ELi4EZNS0_15gpu_kernel_implINS0_13AUnaryFunctorIaabNS0_12_GLOBAL__N_116CompareEqFunctorIaEEEEEEvRNS_18TensorIteratorBaseERKT_EUlibE0_EEviT1_,"axG",@progbits,_ZN2at6native32elementwise_kernel_manual_unrollILi128ELi4EZNS0_15gpu_kernel_implINS0_13AUnaryFunctorIaabNS0_12_GLOBAL__N_116CompareEqFunctorIaEEEEEEvRNS_18TensorIteratorBaseERKT_EUlibE0_EEviT1_,comdat
.Lfunc_end31:
	.size	_ZN2at6native32elementwise_kernel_manual_unrollILi128ELi4EZNS0_15gpu_kernel_implINS0_13AUnaryFunctorIaabNS0_12_GLOBAL__N_116CompareEqFunctorIaEEEEEEvRNS_18TensorIteratorBaseERKT_EUlibE0_EEviT1_, .Lfunc_end31-_ZN2at6native32elementwise_kernel_manual_unrollILi128ELi4EZNS0_15gpu_kernel_implINS0_13AUnaryFunctorIaabNS0_12_GLOBAL__N_116CompareEqFunctorIaEEEEEEvRNS_18TensorIteratorBaseERKT_EUlibE0_EEviT1_
                                        ; -- End function
	.set _ZN2at6native32elementwise_kernel_manual_unrollILi128ELi4EZNS0_15gpu_kernel_implINS0_13AUnaryFunctorIaabNS0_12_GLOBAL__N_116CompareEqFunctorIaEEEEEEvRNS_18TensorIteratorBaseERKT_EUlibE0_EEviT1_.num_vgpr, 18
	.set _ZN2at6native32elementwise_kernel_manual_unrollILi128ELi4EZNS0_15gpu_kernel_implINS0_13AUnaryFunctorIaabNS0_12_GLOBAL__N_116CompareEqFunctorIaEEEEEEvRNS_18TensorIteratorBaseERKT_EUlibE0_EEviT1_.num_agpr, 0
	.set _ZN2at6native32elementwise_kernel_manual_unrollILi128ELi4EZNS0_15gpu_kernel_implINS0_13AUnaryFunctorIaabNS0_12_GLOBAL__N_116CompareEqFunctorIaEEEEEEvRNS_18TensorIteratorBaseERKT_EUlibE0_EEviT1_.numbered_sgpr, 68
	.set _ZN2at6native32elementwise_kernel_manual_unrollILi128ELi4EZNS0_15gpu_kernel_implINS0_13AUnaryFunctorIaabNS0_12_GLOBAL__N_116CompareEqFunctorIaEEEEEEvRNS_18TensorIteratorBaseERKT_EUlibE0_EEviT1_.num_named_barrier, 0
	.set _ZN2at6native32elementwise_kernel_manual_unrollILi128ELi4EZNS0_15gpu_kernel_implINS0_13AUnaryFunctorIaabNS0_12_GLOBAL__N_116CompareEqFunctorIaEEEEEEvRNS_18TensorIteratorBaseERKT_EUlibE0_EEviT1_.private_seg_size, 0
	.set _ZN2at6native32elementwise_kernel_manual_unrollILi128ELi4EZNS0_15gpu_kernel_implINS0_13AUnaryFunctorIaabNS0_12_GLOBAL__N_116CompareEqFunctorIaEEEEEEvRNS_18TensorIteratorBaseERKT_EUlibE0_EEviT1_.uses_vcc, 1
	.set _ZN2at6native32elementwise_kernel_manual_unrollILi128ELi4EZNS0_15gpu_kernel_implINS0_13AUnaryFunctorIaabNS0_12_GLOBAL__N_116CompareEqFunctorIaEEEEEEvRNS_18TensorIteratorBaseERKT_EUlibE0_EEviT1_.uses_flat_scratch, 0
	.set _ZN2at6native32elementwise_kernel_manual_unrollILi128ELi4EZNS0_15gpu_kernel_implINS0_13AUnaryFunctorIaabNS0_12_GLOBAL__N_116CompareEqFunctorIaEEEEEEvRNS_18TensorIteratorBaseERKT_EUlibE0_EEviT1_.has_dyn_sized_stack, 0
	.set _ZN2at6native32elementwise_kernel_manual_unrollILi128ELi4EZNS0_15gpu_kernel_implINS0_13AUnaryFunctorIaabNS0_12_GLOBAL__N_116CompareEqFunctorIaEEEEEEvRNS_18TensorIteratorBaseERKT_EUlibE0_EEviT1_.has_recursion, 0
	.set _ZN2at6native32elementwise_kernel_manual_unrollILi128ELi4EZNS0_15gpu_kernel_implINS0_13AUnaryFunctorIaabNS0_12_GLOBAL__N_116CompareEqFunctorIaEEEEEEvRNS_18TensorIteratorBaseERKT_EUlibE0_EEviT1_.has_indirect_call, 0
	.section	.AMDGPU.csdata,"",@progbits
; Kernel info:
; codeLenInByte = 39912
; TotalNumSgprs: 70
; NumVgprs: 18
; ScratchSize: 0
; MemoryBound: 1
; FloatMode: 240
; IeeeMode: 1
; LDSByteSize: 0 bytes/workgroup (compile time only)
; SGPRBlocks: 0
; VGPRBlocks: 1
; NumSGPRsForWavesPerEU: 70
; NumVGPRsForWavesPerEU: 18
; NamedBarCnt: 0
; Occupancy: 16
; WaveLimiterHint : 1
; COMPUTE_PGM_RSRC2:SCRATCH_EN: 0
; COMPUTE_PGM_RSRC2:USER_SGPR: 2
; COMPUTE_PGM_RSRC2:TRAP_HANDLER: 0
; COMPUTE_PGM_RSRC2:TGID_X_EN: 1
; COMPUTE_PGM_RSRC2:TGID_Y_EN: 0
; COMPUTE_PGM_RSRC2:TGID_Z_EN: 0
; COMPUTE_PGM_RSRC2:TIDIG_COMP_CNT: 0
	.section	.text._ZN2at6native29vectorized_elementwise_kernelILi16ENS0_13BinaryFunctorIiibNS0_12_GLOBAL__N_116CompareEqFunctorIiEEEESt5arrayIPcLm3EEEEviT0_T1_,"axG",@progbits,_ZN2at6native29vectorized_elementwise_kernelILi16ENS0_13BinaryFunctorIiibNS0_12_GLOBAL__N_116CompareEqFunctorIiEEEESt5arrayIPcLm3EEEEviT0_T1_,comdat
	.globl	_ZN2at6native29vectorized_elementwise_kernelILi16ENS0_13BinaryFunctorIiibNS0_12_GLOBAL__N_116CompareEqFunctorIiEEEESt5arrayIPcLm3EEEEviT0_T1_ ; -- Begin function _ZN2at6native29vectorized_elementwise_kernelILi16ENS0_13BinaryFunctorIiibNS0_12_GLOBAL__N_116CompareEqFunctorIiEEEESt5arrayIPcLm3EEEEviT0_T1_
	.p2align	8
	.type	_ZN2at6native29vectorized_elementwise_kernelILi16ENS0_13BinaryFunctorIiibNS0_12_GLOBAL__N_116CompareEqFunctorIiEEEESt5arrayIPcLm3EEEEviT0_T1_,@function
_ZN2at6native29vectorized_elementwise_kernelILi16ENS0_13BinaryFunctorIiibNS0_12_GLOBAL__N_116CompareEqFunctorIiEEEESt5arrayIPcLm3EEEEviT0_T1_: ; @_ZN2at6native29vectorized_elementwise_kernelILi16ENS0_13BinaryFunctorIiibNS0_12_GLOBAL__N_116CompareEqFunctorIiEEEESt5arrayIPcLm3EEEEviT0_T1_
; %bb.0:
	s_clause 0x2
	s_load_b64 s[14:15], s[0:1], 0x0
	s_load_b128 s[16:19], s[0:1], 0x8
	s_load_b64 s[22:23], s[0:1], 0x18
	s_wait_xcnt 0x0
	s_bfe_u32 s0, ttmp6, 0x4000c
	s_and_b32 s1, ttmp6, 15
	s_add_co_i32 s0, s0, 1
	s_getreg_b32 s2, hwreg(HW_REG_IB_STS2, 6, 4)
	s_mul_i32 s0, ttmp9, s0
	s_delay_alu instid0(SALU_CYCLE_1) | instskip(SKIP_2) | instid1(SALU_CYCLE_1)
	s_add_co_i32 s1, s1, s0
	s_cmp_eq_u32 s2, 0
	s_cselect_b32 s0, ttmp9, s1
	s_lshl_b32 s20, s0, 12
	s_mov_b32 s0, -1
	s_wait_kmcnt 0x0
	s_sub_co_i32 s24, s14, s20
	s_delay_alu instid0(SALU_CYCLE_1)
	s_cmp_gt_i32 s24, 0xfff
	s_cbranch_scc0 .LBB32_2
; %bb.1:
	s_ashr_i32 s21, s20, 31
	v_lshlrev_b32_e32 v1, 6, v0
	s_lshl_b64 s[0:1], s[20:21], 2
	s_cmp_eq_u32 s15, 0
	s_add_nc_u64 s[2:3], s[22:23], s[0:1]
	s_add_nc_u64 s[0:1], s[18:19], s[0:1]
	s_clause 0x7
	global_load_b128 v[2:5], v1, s[2:3] offset:16
	global_load_b128 v[6:9], v1, s[0:1] offset:16
	global_load_b128 v[10:13], v1, s[0:1]
	global_load_b128 v[14:17], v1, s[2:3]
	global_load_b128 v[18:21], v1, s[2:3] offset:48
	global_load_b128 v[22:25], v1, s[0:1] offset:48
	global_load_b128 v[26:29], v1, s[0:1] offset:32
	global_load_b128 v[30:33], v1, s[2:3] offset:32
	s_cselect_b32 s25, -1, 0
	s_wait_loadcnt 0x6
	s_wait_xcnt 0x1
	v_cmp_ne_u32_e64 s0, v6, v2
	v_cmp_ne_u32_e64 s1, v9, v5
	s_wait_xcnt 0x0
	v_cmp_ne_u32_e64 s2, v8, v4
	s_wait_loadcnt 0x4
	v_cmp_ne_u32_e64 s3, v11, v15
	v_cmp_ne_u32_e64 s4, v10, v14
	s_xor_b32 s0, s25, s0
	v_cmp_ne_u32_e32 vcc_lo, v7, v3
	v_cndmask_b32_e64 v2, 0, 1, s0
	s_xor_b32 s0, s25, s1
	v_cmp_ne_u32_e64 s5, v13, v17
	v_cndmask_b32_e64 v3, 0, 1, s0
	s_xor_b32 s0, s25, s2
	v_cmp_ne_u32_e64 s6, v12, v16
	v_cndmask_b32_e64 v4, 0, 1, s0
	s_xor_b32 s0, s25, s3
	s_wait_loadcnt 0x2
	v_cmp_ne_u32_e64 s7, v23, v19
	v_cndmask_b32_e64 v5, 0, 1, s0
	s_xor_b32 s0, s25, s4
	v_cmp_ne_u32_e64 s8, v22, v18
	v_cndmask_b32_e64 v6, 0, 1, s0
	s_xor_b32 s0, s25, s5
	;; [unrolled: 3-line block ×4, first 2 shown]
	s_wait_loadcnt 0x0
	v_cmp_ne_u32_e64 s11, v27, v31
	v_cndmask_b32_e64 v9, 0, 1, s0
	s_xor_b32 s0, s25, s8
	v_cmp_ne_u32_e64 s12, v26, v30
	v_cndmask_b32_e64 v10, 0, 1, s0
	s_xor_b32 s0, s25, s9
	;; [unrolled: 3-line block ×4, first 2 shown]
	s_xor_b32 s26, s25, vcc_lo
	v_cndmask_b32_e64 v13, 0, 1, s0
	s_xor_b32 s0, s25, s12
	v_cndmask_b32_e64 v1, 0, 1, s26
	v_cndmask_b32_e64 v14, 0, 1, s0
	s_xor_b32 s0, s25, s13
	v_lshlrev_b16 v3, 8, v3
	v_cndmask_b32_e64 v15, 0, 1, s0
	s_xor_b32 s0, s25, s14
	v_lshlrev_b16 v1, 8, v1
	v_cndmask_b32_e64 v16, 0, 1, s0
	v_lshlrev_b16 v5, 8, v5
	v_lshlrev_b16 v7, 8, v7
	;; [unrolled: 1-line block ×6, first 2 shown]
	v_or_b32_e32 v1, v2, v1
	v_or_b32_e32 v2, v4, v3
	;; [unrolled: 1-line block ×7, first 2 shown]
	v_dual_lshlrev_b32 v2, 16, v2 :: v_dual_bitop2_b32 v5, v10, v9 bitop3:0x54
	v_and_b32_e32 v1, 0xffff, v1
	v_dual_lshlrev_b32 v6, 16, v6 :: v_dual_lshlrev_b32 v4, 16, v4
	v_and_b32_e32 v9, 0xffff, v3
	v_and_b32_e32 v7, 0xffff, v7
	v_lshlrev_b32_e32 v8, 16, v8
	v_and_b32_e32 v5, 0xffff, v5
	v_or_b32_e32 v3, v1, v2
	v_or_b32_e32 v2, v9, v4
	s_add_nc_u64 s[2:3], s[16:17], s[20:21]
	v_or_b32_e32 v4, v7, v8
	v_or_b32_e32 v5, v5, v6
	s_mov_b32 s0, 0
	global_store_b128 v0, v[2:5], s[2:3] scale_offset
.LBB32_2:
	s_and_not1_b32 vcc_lo, exec_lo, s0
	s_cbranch_vccnz .LBB32_54
; %bb.3:
	v_cmp_le_i32_e64 s0, s24, v0
	v_or_b32_e32 v1, 0x100, v0
	v_cmp_gt_i32_e32 vcc_lo, s24, v0
	s_wait_xcnt 0x0
	s_and_saveexec_b32 s1, s0
	s_delay_alu instid0(SALU_CYCLE_1)
	s_xor_b32 s0, exec_lo, s1
; %bb.4:
	v_or_b32_e32 v1, 0x100, v0
; %bb.5:
	s_or_saveexec_b32 s1, s0
	v_dual_mov_b32 v36, 0 :: v_dual_bitop2_b32 v8, s20, v0 bitop3:0x54
	v_dual_mov_b32 v35, 0 :: v_dual_mov_b32 v34, 0
	v_dual_mov_b32 v33, 0 :: v_dual_mov_b32 v32, 0
	;; [unrolled: 1-line block ×14, first 2 shown]
	v_mov_b32_e32 v31, 0
	s_mov_b32 s0, 0
	s_xor_b32 exec_lo, exec_lo, s1
	s_cbranch_execz .LBB32_37
; %bb.6:
	s_clause 0x1
	global_load_b32 v30, v8, s[18:19] scale_offset
	global_load_b32 v31, v8, s[22:23] scale_offset
	v_cmp_gt_u32_e64 s0, s24, v1
	v_dual_mov_b32 v26, 0 :: v_dual_mov_b32 v27, 0
	v_dual_mov_b32 v3, 0 :: v_dual_mov_b32 v25, 0
	;; [unrolled: 1-line block ×14, first 2 shown]
	s_mov_b32 s3, 0
	s_wait_xcnt 0x0
	s_and_saveexec_b32 s2, s0
	s_cbranch_execz .LBB32_36
; %bb.7:
	v_dual_mov_b32 v3, 0 :: v_dual_add_nc_u32 v2, s20, v0
	v_or_b32_e32 v4, 0x200, v0
	v_dual_mov_b32 v25, 0 :: v_dual_mov_b32 v21, 0
	v_mov_b32_e32 v13, 0
	s_clause 0x1
	global_load_b32 v27, v2, s[18:19] offset:1024 scale_offset
	global_load_b32 v26, v2, s[22:23] offset:1024 scale_offset
	v_cmp_gt_u32_e64 s0, s24, v4
	v_dual_mov_b32 v4, 0 :: v_dual_mov_b32 v18, 0
	v_dual_mov_b32 v11, 0 :: v_dual_mov_b32 v16, 0
	;; [unrolled: 1-line block ×11, first 2 shown]
	s_mov_b32 s4, 0
	s_wait_xcnt 0x0
	s_and_saveexec_b32 s3, s0
	s_cbranch_execz .LBB32_35
; %bb.8:
	v_lshlrev_b64_e32 v[6:7], 2, v[2:3]
	v_or_b32_e32 v9, 0x300, v0
	v_dual_mov_b32 v21, 0 :: v_dual_mov_b32 v13, 0
	v_dual_mov_b32 v18, 0 :: v_dual_mov_b32 v11, 0
	s_delay_alu instid0(VALU_DEP_3)
	v_cmp_gt_u32_e64 s0, s24, v9
	v_add_nc_u64_e32 v[4:5], s[18:19], v[6:7]
	v_add_nc_u64_e32 v[6:7], s[22:23], v[6:7]
	v_dual_mov_b32 v16, 0 :: v_dual_mov_b32 v9, 0
	v_dual_mov_b32 v14, 0 :: v_dual_mov_b32 v10, 0
	;; [unrolled: 1-line block ×3, first 2 shown]
	global_load_b32 v25, v[4:5], off offset:2048
	global_load_b32 v2, v[6:7], off offset:2048
	v_dual_mov_b32 v19, 0 :: v_dual_mov_b32 v15, 0
	v_dual_mov_b32 v22, 0 :: v_dual_mov_b32 v20, 0
	;; [unrolled: 1-line block ×6, first 2 shown]
	v_mov_b32_e32 v36, 0
	s_mov_b32 s5, 0
	s_wait_xcnt 0x0
	s_and_saveexec_b32 s4, s0
	s_cbranch_execz .LBB32_34
; %bb.9:
	global_load_b32 v21, v[4:5], off offset:3072
	global_load_b32 v3, v[6:7], off offset:3072
	v_or_b32_e32 v9, 0x400, v0
	v_dual_mov_b32 v13, 0 :: v_dual_mov_b32 v18, 0
	v_dual_mov_b32 v11, 0 :: v_dual_mov_b32 v16, 0
	s_delay_alu instid0(VALU_DEP_3)
	v_cmp_gt_u32_e64 s0, s24, v9
	v_dual_mov_b32 v9, 0 :: v_dual_mov_b32 v14, 0
	v_dual_mov_b32 v10, 0 :: v_dual_mov_b32 v17, 0
	;; [unrolled: 1-line block ×9, first 2 shown]
	s_mov_b32 s6, 0
	s_wait_xcnt 0x0
	s_and_saveexec_b32 s5, s0
	s_cbranch_execz .LBB32_33
; %bb.10:
	global_load_b32 v18, v[4:5], off offset:4096
	global_load_b32 v13, v[6:7], off offset:4096
	v_or_b32_e32 v9, 0x500, v0
	v_dual_mov_b32 v11, 0 :: v_dual_mov_b32 v16, 0
	v_dual_mov_b32 v10, 0 :: v_dual_mov_b32 v17, 0
	s_delay_alu instid0(VALU_DEP_3)
	v_cmp_gt_u32_e64 s0, s24, v9
	v_dual_mov_b32 v9, 0 :: v_dual_mov_b32 v14, 0
	v_dual_mov_b32 v12, 0 :: v_dual_mov_b32 v19, 0
	;; [unrolled: 1-line block ×8, first 2 shown]
	s_mov_b32 s7, 0
	s_wait_xcnt 0x0
	s_and_saveexec_b32 s6, s0
	s_cbranch_execz .LBB32_32
; %bb.11:
	global_load_b32 v16, v[4:5], off offset:5120
	global_load_b32 v11, v[6:7], off offset:5120
	v_or_b32_e32 v9, 0x600, v0
	v_dual_mov_b32 v10, 0 :: v_dual_mov_b32 v17, 0
	v_dual_mov_b32 v12, 0 :: v_dual_mov_b32 v19, 0
	s_delay_alu instid0(VALU_DEP_3)
	v_cmp_gt_u32_e64 s0, s24, v9
	v_dual_mov_b32 v9, 0 :: v_dual_mov_b32 v14, 0
	v_dual_mov_b32 v15, 0 :: v_dual_mov_b32 v22, 0
	;; [unrolled: 1-line block ×7, first 2 shown]
	s_mov_b32 s8, 0
	s_wait_xcnt 0x0
	s_and_saveexec_b32 s7, s0
	s_cbranch_execz .LBB32_31
; %bb.12:
	global_load_b32 v14, v[4:5], off offset:6144
	global_load_b32 v9, v[6:7], off offset:6144
	v_or_b32_e32 v10, 0x700, v0
	v_dual_mov_b32 v12, 0 :: v_dual_mov_b32 v19, 0
	v_dual_mov_b32 v15, 0 :: v_dual_mov_b32 v22, 0
	s_delay_alu instid0(VALU_DEP_3)
	v_cmp_gt_u32_e64 s0, s24, v10
	v_dual_mov_b32 v10, 0 :: v_dual_mov_b32 v17, 0
	v_dual_mov_b32 v20, 0 :: v_dual_mov_b32 v24, 0
	;; [unrolled: 1-line block ×6, first 2 shown]
	s_mov_b32 s9, 0
	s_wait_xcnt 0x0
	s_and_saveexec_b32 s8, s0
	s_cbranch_execz .LBB32_30
; %bb.13:
	global_load_b32 v17, v[4:5], off offset:7168
	global_load_b32 v10, v[6:7], off offset:7168
	v_or_b32_e32 v12, 0x800, v0
	v_dual_mov_b32 v15, 0 :: v_dual_mov_b32 v22, 0
	v_dual_mov_b32 v20, 0 :: v_dual_mov_b32 v24, 0
	s_delay_alu instid0(VALU_DEP_3)
	v_cmp_gt_u32_e64 s0, s24, v12
	v_dual_mov_b32 v12, 0 :: v_dual_mov_b32 v19, 0
	v_dual_mov_b32 v23, 0 :: v_dual_mov_b32 v29, 0
	v_dual_mov_b32 v28, 0 :: v_dual_mov_b32 v32, 0
	v_dual_mov_b32 v33, 0 :: v_dual_mov_b32 v34, 0
	v_dual_mov_b32 v35, 0 :: v_dual_mov_b32 v36, 0
	s_mov_b32 s10, 0
	s_wait_xcnt 0x0
	s_and_saveexec_b32 s9, s0
	s_cbranch_execz .LBB32_29
; %bb.14:
	global_load_b32 v19, v[4:5], off offset:8192
	global_load_b32 v12, v[6:7], off offset:8192
	v_or_b32_e32 v15, 0x900, v0
	v_dual_mov_b32 v20, 0 :: v_dual_mov_b32 v24, 0
	v_dual_mov_b32 v23, 0 :: v_dual_mov_b32 v29, 0
	s_delay_alu instid0(VALU_DEP_3)
	v_cmp_gt_u32_e64 s0, s24, v15
	v_dual_mov_b32 v15, 0 :: v_dual_mov_b32 v22, 0
	v_dual_mov_b32 v28, 0 :: v_dual_mov_b32 v32, 0
	;; [unrolled: 1-line block ×4, first 2 shown]
	s_mov_b32 s11, 0
	s_wait_xcnt 0x0
	s_and_saveexec_b32 s10, s0
	s_cbranch_execz .LBB32_28
; %bb.15:
	global_load_b32 v22, v[4:5], off offset:9216
	global_load_b32 v15, v[6:7], off offset:9216
	v_or_b32_e32 v20, 0xa00, v0
	v_dual_mov_b32 v23, 0 :: v_dual_mov_b32 v29, 0
	v_dual_mov_b32 v28, 0 :: v_dual_mov_b32 v32, 0
	s_delay_alu instid0(VALU_DEP_3)
	v_cmp_gt_u32_e64 s0, s24, v20
	v_dual_mov_b32 v20, 0 :: v_dual_mov_b32 v24, 0
	v_dual_mov_b32 v33, 0 :: v_dual_mov_b32 v34, 0
	;; [unrolled: 1-line block ×3, first 2 shown]
	s_mov_b32 s12, 0
	s_wait_xcnt 0x0
	s_and_saveexec_b32 s11, s0
	s_cbranch_execz .LBB32_27
; %bb.16:
	global_load_b32 v24, v[4:5], off offset:10240
	global_load_b32 v20, v[6:7], off offset:10240
	v_or_b32_e32 v23, 0xb00, v0
	v_dual_mov_b32 v28, 0 :: v_dual_mov_b32 v32, 0
	v_dual_mov_b32 v33, 0 :: v_dual_mov_b32 v34, 0
	s_delay_alu instid0(VALU_DEP_3)
	v_cmp_gt_u32_e64 s0, s24, v23
	v_dual_mov_b32 v23, 0 :: v_dual_mov_b32 v29, 0
	v_dual_mov_b32 v35, 0 :: v_dual_mov_b32 v36, 0
	s_mov_b32 s13, 0
	s_wait_xcnt 0x0
	s_and_saveexec_b32 s12, s0
	s_cbranch_execz .LBB32_26
; %bb.17:
	global_load_b32 v29, v[4:5], off offset:11264
	global_load_b32 v23, v[6:7], off offset:11264
	v_or_b32_e32 v28, 0xc00, v0
	v_dual_mov_b32 v33, 0 :: v_dual_mov_b32 v34, 0
	v_dual_mov_b32 v35, 0 :: v_dual_mov_b32 v36, 0
	s_delay_alu instid0(VALU_DEP_3)
	v_cmp_gt_u32_e64 s0, s24, v28
	v_dual_mov_b32 v28, 0 :: v_dual_mov_b32 v32, 0
	s_mov_b32 s14, 0
	s_wait_xcnt 0x0
	s_and_saveexec_b32 s13, s0
	s_cbranch_execz .LBB32_25
; %bb.18:
	global_load_b32 v32, v[4:5], off offset:12288
	global_load_b32 v28, v[6:7], off offset:12288
	v_or_b32_e32 v33, 0xd00, v0
	v_dual_mov_b32 v35, 0 :: v_dual_mov_b32 v36, 0
	s_mov_b32 s18, 0
	v_mov_b32_e32 v34, 0
	s_delay_alu instid0(VALU_DEP_3)
	v_cmp_gt_u32_e64 s0, s24, v33
	v_mov_b32_e32 v33, 0
	s_wait_xcnt 0x0
	s_and_saveexec_b32 s14, s0
	s_cbranch_execz .LBB32_24
; %bb.19:
	global_load_b32 v34, v[4:5], off offset:13312
	global_load_b32 v33, v[6:7], off offset:13312
	v_or_b32_e32 v35, 0xe00, v0
	s_mov_b32 s19, 0
	v_mov_b32_e32 v36, 0
	s_delay_alu instid0(VALU_DEP_2)
	v_cmp_gt_u32_e64 s0, s24, v35
	v_mov_b32_e32 v35, 0
	s_wait_xcnt 0x0
	s_and_saveexec_b32 s18, s0
	s_cbranch_execz .LBB32_23
; %bb.20:
	global_load_b32 v36, v[4:5], off offset:14336
	global_load_b32 v35, v[6:7], off offset:14336
	v_or_b32_e32 v37, 0xf00, v0
	s_mov_b32 s21, 0
	s_mov_b32 s19, exec_lo
	s_wait_xcnt 0x0
	s_delay_alu instid0(VALU_DEP_1)
	v_cmpx_gt_u32_e64 s24, v37
	s_cbranch_execz .LBB32_22
; %bb.21:
	global_load_b32 v37, v[4:5], off offset:15360
	global_load_b32 v38, v[6:7], off offset:15360
	s_wait_loadcnt 0x0
	v_cmp_ne_u32_e64 s0, v37, v38
	s_and_b32 s21, s0, exec_lo
.LBB32_22:
	s_wait_xcnt 0x0
	s_or_b32 exec_lo, exec_lo, s19
	s_delay_alu instid0(SALU_CYCLE_1)
	s_and_b32 s19, s21, exec_lo
.LBB32_23:
	s_or_b32 exec_lo, exec_lo, s18
	s_delay_alu instid0(SALU_CYCLE_1)
	s_and_b32 s18, s19, exec_lo
.LBB32_24:
	s_or_b32 exec_lo, exec_lo, s14
	s_delay_alu instid0(SALU_CYCLE_1)
	s_and_b32 s14, s18, exec_lo
.LBB32_25:
	s_or_b32 exec_lo, exec_lo, s13
	s_delay_alu instid0(SALU_CYCLE_1)
	s_and_b32 s13, s14, exec_lo
.LBB32_26:
	s_or_b32 exec_lo, exec_lo, s12
	s_delay_alu instid0(SALU_CYCLE_1)
	s_and_b32 s12, s13, exec_lo
.LBB32_27:
	s_or_b32 exec_lo, exec_lo, s11
	s_delay_alu instid0(SALU_CYCLE_1)
	s_and_b32 s11, s12, exec_lo
.LBB32_28:
	s_or_b32 exec_lo, exec_lo, s10
	s_delay_alu instid0(SALU_CYCLE_1)
	s_and_b32 s10, s11, exec_lo
.LBB32_29:
	s_or_b32 exec_lo, exec_lo, s9
	s_delay_alu instid0(SALU_CYCLE_1)
	s_and_b32 s9, s10, exec_lo
.LBB32_30:
	s_or_b32 exec_lo, exec_lo, s8
	s_delay_alu instid0(SALU_CYCLE_1)
	s_and_b32 s8, s9, exec_lo
.LBB32_31:
	s_or_b32 exec_lo, exec_lo, s7
	s_delay_alu instid0(SALU_CYCLE_1)
	s_and_b32 s7, s8, exec_lo
.LBB32_32:
	s_or_b32 exec_lo, exec_lo, s6
	s_delay_alu instid0(SALU_CYCLE_1)
	s_and_b32 s6, s7, exec_lo
.LBB32_33:
	s_or_b32 exec_lo, exec_lo, s5
	s_delay_alu instid0(SALU_CYCLE_1)
	s_and_b32 s5, s6, exec_lo
.LBB32_34:
	s_or_b32 exec_lo, exec_lo, s4
	s_wait_loadcnt 0x0
	v_dual_mov_b32 v4, v3 :: v_dual_mov_b32 v3, v2
	s_and_b32 s4, s5, exec_lo
.LBB32_35:
	s_or_b32 exec_lo, exec_lo, s3
	s_delay_alu instid0(SALU_CYCLE_1)
	s_and_b32 s3, s4, exec_lo
.LBB32_36:
	s_or_b32 exec_lo, exec_lo, s2
	s_delay_alu instid0(SALU_CYCLE_1)
	s_and_b32 s0, s3, exec_lo
.LBB32_37:
	s_or_b32 exec_lo, exec_lo, s1
	s_cmp_eq_u32 s15, 0
	s_cselect_b32 s1, -1, 0
	s_and_saveexec_b32 s2, vcc_lo
	s_cbranch_execnz .LBB32_55
; %bb.38:
	s_or_b32 exec_lo, exec_lo, s2
	s_delay_alu instid0(SALU_CYCLE_1)
	s_mov_b32 s2, exec_lo
	v_cmpx_gt_i32_e64 s24, v0
	s_cbranch_execnz .LBB32_56
.LBB32_39:
	s_or_b32 exec_lo, exec_lo, s2
	s_delay_alu instid0(SALU_CYCLE_1)
	s_mov_b32 s2, exec_lo
	v_cmpx_gt_i32_e64 s24, v0
	s_cbranch_execnz .LBB32_57
.LBB32_40:
	s_or_b32 exec_lo, exec_lo, s2
	s_delay_alu instid0(SALU_CYCLE_1)
	s_mov_b32 s2, exec_lo
	v_cmpx_gt_i32_e64 s24, v0
	s_cbranch_execnz .LBB32_58
.LBB32_41:
	s_or_b32 exec_lo, exec_lo, s2
	s_delay_alu instid0(SALU_CYCLE_1)
	s_mov_b32 s2, exec_lo
	v_cmpx_gt_i32_e64 s24, v0
	s_cbranch_execnz .LBB32_59
.LBB32_42:
	s_or_b32 exec_lo, exec_lo, s2
	s_delay_alu instid0(SALU_CYCLE_1)
	s_mov_b32 s2, exec_lo
	v_cmpx_gt_i32_e64 s24, v0
	s_cbranch_execnz .LBB32_60
.LBB32_43:
	s_or_b32 exec_lo, exec_lo, s2
	s_delay_alu instid0(SALU_CYCLE_1)
	s_mov_b32 s2, exec_lo
	v_cmpx_gt_i32_e64 s24, v0
	s_cbranch_execnz .LBB32_61
.LBB32_44:
	s_or_b32 exec_lo, exec_lo, s2
	s_delay_alu instid0(SALU_CYCLE_1)
	s_mov_b32 s2, exec_lo
	v_cmpx_gt_i32_e64 s24, v0
	s_cbranch_execnz .LBB32_62
.LBB32_45:
	s_or_b32 exec_lo, exec_lo, s2
	s_delay_alu instid0(SALU_CYCLE_1)
	s_mov_b32 s2, exec_lo
	v_cmpx_gt_i32_e64 s24, v0
	s_cbranch_execnz .LBB32_63
.LBB32_46:
	s_or_b32 exec_lo, exec_lo, s2
	s_delay_alu instid0(SALU_CYCLE_1)
	s_mov_b32 s2, exec_lo
	v_cmpx_gt_i32_e64 s24, v0
	s_cbranch_execnz .LBB32_64
.LBB32_47:
	s_or_b32 exec_lo, exec_lo, s2
	s_delay_alu instid0(SALU_CYCLE_1)
	s_mov_b32 s2, exec_lo
	v_cmpx_gt_i32_e64 s24, v0
	s_cbranch_execnz .LBB32_65
.LBB32_48:
	s_or_b32 exec_lo, exec_lo, s2
	s_delay_alu instid0(SALU_CYCLE_1)
	s_mov_b32 s2, exec_lo
	v_cmpx_gt_i32_e64 s24, v0
	s_cbranch_execnz .LBB32_66
.LBB32_49:
	s_or_b32 exec_lo, exec_lo, s2
	s_delay_alu instid0(SALU_CYCLE_1)
	s_mov_b32 s2, exec_lo
	v_cmpx_gt_i32_e64 s24, v0
	s_cbranch_execnz .LBB32_67
.LBB32_50:
	s_or_b32 exec_lo, exec_lo, s2
	s_delay_alu instid0(SALU_CYCLE_1)
	s_mov_b32 s2, exec_lo
	v_cmpx_gt_i32_e64 s24, v0
	s_cbranch_execnz .LBB32_68
.LBB32_51:
	s_or_b32 exec_lo, exec_lo, s2
	s_delay_alu instid0(SALU_CYCLE_1)
	s_mov_b32 s2, exec_lo
	v_cmpx_gt_i32_e64 s24, v0
	s_cbranch_execnz .LBB32_69
.LBB32_52:
	s_or_b32 exec_lo, exec_lo, s2
	s_delay_alu instid0(SALU_CYCLE_1)
	s_mov_b32 s2, exec_lo
	v_cmpx_gt_i32_e64 s24, v0
	s_cbranch_execz .LBB32_54
.LBB32_53:
	s_xor_b32 s0, s1, s0
	v_add_nc_u32_e32 v0, s20, v0
	v_cndmask_b32_e64 v1, 0, 1, s0
	global_store_b8 v0, v1, s[16:17]
.LBB32_54:
	s_endpgm
.LBB32_55:
	s_wait_loadcnt 0x0
	v_cmp_ne_u32_e32 vcc_lo, v30, v31
	v_mov_b32_e32 v0, v1
	s_xor_b32 s3, s1, vcc_lo
	s_delay_alu instid0(SALU_CYCLE_1) | instskip(SKIP_3) | instid1(SALU_CYCLE_1)
	v_cndmask_b32_e64 v2, 0, 1, s3
	global_store_b8 v8, v2, s[16:17]
	s_wait_xcnt 0x0
	s_or_b32 exec_lo, exec_lo, s2
	s_mov_b32 s2, exec_lo
	v_cmpx_gt_i32_e64 s24, v0
	s_cbranch_execz .LBB32_39
.LBB32_56:
	s_wait_loadcnt 0x0
	v_cmp_ne_u32_e32 vcc_lo, v27, v26
	v_add_nc_u32_e32 v2, s20, v0
	v_add_nc_u32_e32 v0, 0x100, v0
	s_xor_b32 s3, s1, vcc_lo
	s_delay_alu instid0(SALU_CYCLE_1) | instskip(SKIP_3) | instid1(SALU_CYCLE_1)
	v_cndmask_b32_e64 v1, 0, 1, s3
	global_store_b8 v2, v1, s[16:17]
	s_wait_xcnt 0x0
	s_or_b32 exec_lo, exec_lo, s2
	s_mov_b32 s2, exec_lo
	v_cmpx_gt_i32_e64 s24, v0
	s_cbranch_execz .LBB32_40
.LBB32_57:
	v_cmp_ne_u32_e32 vcc_lo, v25, v3
	v_add_nc_u32_e32 v2, s20, v0
	v_add_nc_u32_e32 v0, 0x100, v0
	s_xor_b32 s3, s1, vcc_lo
	s_delay_alu instid0(SALU_CYCLE_1) | instskip(SKIP_3) | instid1(SALU_CYCLE_1)
	v_cndmask_b32_e64 v1, 0, 1, s3
	global_store_b8 v2, v1, s[16:17]
	s_wait_xcnt 0x0
	s_or_b32 exec_lo, exec_lo, s2
	s_mov_b32 s2, exec_lo
	v_cmpx_gt_i32_e64 s24, v0
	s_cbranch_execz .LBB32_41
.LBB32_58:
	v_cmp_ne_u32_e32 vcc_lo, v21, v4
	v_add_nc_u32_e32 v2, s20, v0
	v_add_nc_u32_e32 v0, 0x100, v0
	s_xor_b32 s3, s1, vcc_lo
	s_delay_alu instid0(SALU_CYCLE_1) | instskip(SKIP_3) | instid1(SALU_CYCLE_1)
	v_cndmask_b32_e64 v1, 0, 1, s3
	global_store_b8 v2, v1, s[16:17]
	s_wait_xcnt 0x0
	s_or_b32 exec_lo, exec_lo, s2
	s_mov_b32 s2, exec_lo
	v_cmpx_gt_i32_e64 s24, v0
	s_cbranch_execz .LBB32_42
.LBB32_59:
	v_cmp_ne_u32_e32 vcc_lo, v18, v13
	v_add_nc_u32_e32 v2, s20, v0
	v_add_nc_u32_e32 v0, 0x100, v0
	s_xor_b32 s3, s1, vcc_lo
	s_delay_alu instid0(SALU_CYCLE_1) | instskip(SKIP_3) | instid1(SALU_CYCLE_1)
	v_cndmask_b32_e64 v1, 0, 1, s3
	global_store_b8 v2, v1, s[16:17]
	s_wait_xcnt 0x0
	s_or_b32 exec_lo, exec_lo, s2
	s_mov_b32 s2, exec_lo
	v_cmpx_gt_i32_e64 s24, v0
	s_cbranch_execz .LBB32_43
.LBB32_60:
	v_cmp_ne_u32_e32 vcc_lo, v16, v11
	v_add_nc_u32_e32 v2, s20, v0
	v_add_nc_u32_e32 v0, 0x100, v0
	s_xor_b32 s3, s1, vcc_lo
	s_delay_alu instid0(SALU_CYCLE_1) | instskip(SKIP_3) | instid1(SALU_CYCLE_1)
	v_cndmask_b32_e64 v1, 0, 1, s3
	global_store_b8 v2, v1, s[16:17]
	s_wait_xcnt 0x0
	s_or_b32 exec_lo, exec_lo, s2
	s_mov_b32 s2, exec_lo
	v_cmpx_gt_i32_e64 s24, v0
	s_cbranch_execz .LBB32_44
.LBB32_61:
	v_cmp_ne_u32_e32 vcc_lo, v14, v9
	v_add_nc_u32_e32 v2, s20, v0
	v_add_nc_u32_e32 v0, 0x100, v0
	s_xor_b32 s3, s1, vcc_lo
	s_delay_alu instid0(SALU_CYCLE_1) | instskip(SKIP_3) | instid1(SALU_CYCLE_1)
	v_cndmask_b32_e64 v1, 0, 1, s3
	global_store_b8 v2, v1, s[16:17]
	s_wait_xcnt 0x0
	s_or_b32 exec_lo, exec_lo, s2
	s_mov_b32 s2, exec_lo
	v_cmpx_gt_i32_e64 s24, v0
	s_cbranch_execz .LBB32_45
.LBB32_62:
	v_cmp_ne_u32_e32 vcc_lo, v17, v10
	v_add_nc_u32_e32 v2, s20, v0
	v_add_nc_u32_e32 v0, 0x100, v0
	s_xor_b32 s3, s1, vcc_lo
	s_delay_alu instid0(SALU_CYCLE_1) | instskip(SKIP_3) | instid1(SALU_CYCLE_1)
	v_cndmask_b32_e64 v1, 0, 1, s3
	global_store_b8 v2, v1, s[16:17]
	s_wait_xcnt 0x0
	s_or_b32 exec_lo, exec_lo, s2
	s_mov_b32 s2, exec_lo
	v_cmpx_gt_i32_e64 s24, v0
	s_cbranch_execz .LBB32_46
.LBB32_63:
	v_cmp_ne_u32_e32 vcc_lo, v19, v12
	v_add_nc_u32_e32 v2, s20, v0
	v_add_nc_u32_e32 v0, 0x100, v0
	s_xor_b32 s3, s1, vcc_lo
	s_delay_alu instid0(SALU_CYCLE_1) | instskip(SKIP_3) | instid1(SALU_CYCLE_1)
	v_cndmask_b32_e64 v1, 0, 1, s3
	global_store_b8 v2, v1, s[16:17]
	s_wait_xcnt 0x0
	s_or_b32 exec_lo, exec_lo, s2
	s_mov_b32 s2, exec_lo
	v_cmpx_gt_i32_e64 s24, v0
	s_cbranch_execz .LBB32_47
.LBB32_64:
	v_cmp_ne_u32_e32 vcc_lo, v22, v15
	v_add_nc_u32_e32 v2, s20, v0
	v_add_nc_u32_e32 v0, 0x100, v0
	s_xor_b32 s3, s1, vcc_lo
	s_delay_alu instid0(SALU_CYCLE_1) | instskip(SKIP_3) | instid1(SALU_CYCLE_1)
	v_cndmask_b32_e64 v1, 0, 1, s3
	global_store_b8 v2, v1, s[16:17]
	s_wait_xcnt 0x0
	s_or_b32 exec_lo, exec_lo, s2
	s_mov_b32 s2, exec_lo
	v_cmpx_gt_i32_e64 s24, v0
	s_cbranch_execz .LBB32_48
.LBB32_65:
	v_cmp_ne_u32_e32 vcc_lo, v24, v20
	v_add_nc_u32_e32 v2, s20, v0
	v_add_nc_u32_e32 v0, 0x100, v0
	s_xor_b32 s3, s1, vcc_lo
	s_delay_alu instid0(SALU_CYCLE_1) | instskip(SKIP_3) | instid1(SALU_CYCLE_1)
	v_cndmask_b32_e64 v1, 0, 1, s3
	global_store_b8 v2, v1, s[16:17]
	s_wait_xcnt 0x0
	s_or_b32 exec_lo, exec_lo, s2
	s_mov_b32 s2, exec_lo
	v_cmpx_gt_i32_e64 s24, v0
	s_cbranch_execz .LBB32_49
.LBB32_66:
	v_cmp_ne_u32_e32 vcc_lo, v29, v23
	v_add_nc_u32_e32 v2, s20, v0
	v_add_nc_u32_e32 v0, 0x100, v0
	s_xor_b32 s3, s1, vcc_lo
	s_delay_alu instid0(SALU_CYCLE_1) | instskip(SKIP_3) | instid1(SALU_CYCLE_1)
	v_cndmask_b32_e64 v1, 0, 1, s3
	global_store_b8 v2, v1, s[16:17]
	s_wait_xcnt 0x0
	s_or_b32 exec_lo, exec_lo, s2
	s_mov_b32 s2, exec_lo
	v_cmpx_gt_i32_e64 s24, v0
	s_cbranch_execz .LBB32_50
.LBB32_67:
	v_cmp_ne_u32_e32 vcc_lo, v32, v28
	v_add_nc_u32_e32 v2, s20, v0
	v_add_nc_u32_e32 v0, 0x100, v0
	s_xor_b32 s3, s1, vcc_lo
	s_delay_alu instid0(SALU_CYCLE_1) | instskip(SKIP_3) | instid1(SALU_CYCLE_1)
	v_cndmask_b32_e64 v1, 0, 1, s3
	global_store_b8 v2, v1, s[16:17]
	s_wait_xcnt 0x0
	s_or_b32 exec_lo, exec_lo, s2
	s_mov_b32 s2, exec_lo
	v_cmpx_gt_i32_e64 s24, v0
	s_cbranch_execz .LBB32_51
.LBB32_68:
	v_cmp_ne_u32_e32 vcc_lo, v34, v33
	v_add_nc_u32_e32 v2, s20, v0
	v_add_nc_u32_e32 v0, 0x100, v0
	s_xor_b32 s3, s1, vcc_lo
	s_delay_alu instid0(SALU_CYCLE_1) | instskip(SKIP_3) | instid1(SALU_CYCLE_1)
	v_cndmask_b32_e64 v1, 0, 1, s3
	global_store_b8 v2, v1, s[16:17]
	s_wait_xcnt 0x0
	s_or_b32 exec_lo, exec_lo, s2
	s_mov_b32 s2, exec_lo
	v_cmpx_gt_i32_e64 s24, v0
	s_cbranch_execz .LBB32_52
.LBB32_69:
	v_cmp_ne_u32_e32 vcc_lo, v36, v35
	v_add_nc_u32_e32 v2, s20, v0
	v_add_nc_u32_e32 v0, 0x100, v0
	s_xor_b32 s3, s1, vcc_lo
	s_delay_alu instid0(SALU_CYCLE_1) | instskip(SKIP_3) | instid1(SALU_CYCLE_1)
	v_cndmask_b32_e64 v1, 0, 1, s3
	global_store_b8 v2, v1, s[16:17]
	s_wait_xcnt 0x0
	s_or_b32 exec_lo, exec_lo, s2
	s_mov_b32 s2, exec_lo
	v_cmpx_gt_i32_e64 s24, v0
	s_cbranch_execnz .LBB32_53
	s_branch .LBB32_54
	.section	.rodata,"a",@progbits
	.p2align	6, 0x0
	.amdhsa_kernel _ZN2at6native29vectorized_elementwise_kernelILi16ENS0_13BinaryFunctorIiibNS0_12_GLOBAL__N_116CompareEqFunctorIiEEEESt5arrayIPcLm3EEEEviT0_T1_
		.amdhsa_group_segment_fixed_size 0
		.amdhsa_private_segment_fixed_size 0
		.amdhsa_kernarg_size 32
		.amdhsa_user_sgpr_count 2
		.amdhsa_user_sgpr_dispatch_ptr 0
		.amdhsa_user_sgpr_queue_ptr 0
		.amdhsa_user_sgpr_kernarg_segment_ptr 1
		.amdhsa_user_sgpr_dispatch_id 0
		.amdhsa_user_sgpr_kernarg_preload_length 0
		.amdhsa_user_sgpr_kernarg_preload_offset 0
		.amdhsa_user_sgpr_private_segment_size 0
		.amdhsa_wavefront_size32 1
		.amdhsa_uses_dynamic_stack 0
		.amdhsa_enable_private_segment 0
		.amdhsa_system_sgpr_workgroup_id_x 1
		.amdhsa_system_sgpr_workgroup_id_y 0
		.amdhsa_system_sgpr_workgroup_id_z 0
		.amdhsa_system_sgpr_workgroup_info 0
		.amdhsa_system_vgpr_workitem_id 0
		.amdhsa_next_free_vgpr 39
		.amdhsa_next_free_sgpr 27
		.amdhsa_named_barrier_count 0
		.amdhsa_reserve_vcc 1
		.amdhsa_float_round_mode_32 0
		.amdhsa_float_round_mode_16_64 0
		.amdhsa_float_denorm_mode_32 3
		.amdhsa_float_denorm_mode_16_64 3
		.amdhsa_fp16_overflow 0
		.amdhsa_memory_ordered 1
		.amdhsa_forward_progress 1
		.amdhsa_inst_pref_size 36
		.amdhsa_round_robin_scheduling 0
		.amdhsa_exception_fp_ieee_invalid_op 0
		.amdhsa_exception_fp_denorm_src 0
		.amdhsa_exception_fp_ieee_div_zero 0
		.amdhsa_exception_fp_ieee_overflow 0
		.amdhsa_exception_fp_ieee_underflow 0
		.amdhsa_exception_fp_ieee_inexact 0
		.amdhsa_exception_int_div_zero 0
	.end_amdhsa_kernel
	.section	.text._ZN2at6native29vectorized_elementwise_kernelILi16ENS0_13BinaryFunctorIiibNS0_12_GLOBAL__N_116CompareEqFunctorIiEEEESt5arrayIPcLm3EEEEviT0_T1_,"axG",@progbits,_ZN2at6native29vectorized_elementwise_kernelILi16ENS0_13BinaryFunctorIiibNS0_12_GLOBAL__N_116CompareEqFunctorIiEEEESt5arrayIPcLm3EEEEviT0_T1_,comdat
.Lfunc_end32:
	.size	_ZN2at6native29vectorized_elementwise_kernelILi16ENS0_13BinaryFunctorIiibNS0_12_GLOBAL__N_116CompareEqFunctorIiEEEESt5arrayIPcLm3EEEEviT0_T1_, .Lfunc_end32-_ZN2at6native29vectorized_elementwise_kernelILi16ENS0_13BinaryFunctorIiibNS0_12_GLOBAL__N_116CompareEqFunctorIiEEEESt5arrayIPcLm3EEEEviT0_T1_
                                        ; -- End function
	.set _ZN2at6native29vectorized_elementwise_kernelILi16ENS0_13BinaryFunctorIiibNS0_12_GLOBAL__N_116CompareEqFunctorIiEEEESt5arrayIPcLm3EEEEviT0_T1_.num_vgpr, 39
	.set _ZN2at6native29vectorized_elementwise_kernelILi16ENS0_13BinaryFunctorIiibNS0_12_GLOBAL__N_116CompareEqFunctorIiEEEESt5arrayIPcLm3EEEEviT0_T1_.num_agpr, 0
	.set _ZN2at6native29vectorized_elementwise_kernelILi16ENS0_13BinaryFunctorIiibNS0_12_GLOBAL__N_116CompareEqFunctorIiEEEESt5arrayIPcLm3EEEEviT0_T1_.numbered_sgpr, 27
	.set _ZN2at6native29vectorized_elementwise_kernelILi16ENS0_13BinaryFunctorIiibNS0_12_GLOBAL__N_116CompareEqFunctorIiEEEESt5arrayIPcLm3EEEEviT0_T1_.num_named_barrier, 0
	.set _ZN2at6native29vectorized_elementwise_kernelILi16ENS0_13BinaryFunctorIiibNS0_12_GLOBAL__N_116CompareEqFunctorIiEEEESt5arrayIPcLm3EEEEviT0_T1_.private_seg_size, 0
	.set _ZN2at6native29vectorized_elementwise_kernelILi16ENS0_13BinaryFunctorIiibNS0_12_GLOBAL__N_116CompareEqFunctorIiEEEESt5arrayIPcLm3EEEEviT0_T1_.uses_vcc, 1
	.set _ZN2at6native29vectorized_elementwise_kernelILi16ENS0_13BinaryFunctorIiibNS0_12_GLOBAL__N_116CompareEqFunctorIiEEEESt5arrayIPcLm3EEEEviT0_T1_.uses_flat_scratch, 0
	.set _ZN2at6native29vectorized_elementwise_kernelILi16ENS0_13BinaryFunctorIiibNS0_12_GLOBAL__N_116CompareEqFunctorIiEEEESt5arrayIPcLm3EEEEviT0_T1_.has_dyn_sized_stack, 0
	.set _ZN2at6native29vectorized_elementwise_kernelILi16ENS0_13BinaryFunctorIiibNS0_12_GLOBAL__N_116CompareEqFunctorIiEEEESt5arrayIPcLm3EEEEviT0_T1_.has_recursion, 0
	.set _ZN2at6native29vectorized_elementwise_kernelILi16ENS0_13BinaryFunctorIiibNS0_12_GLOBAL__N_116CompareEqFunctorIiEEEESt5arrayIPcLm3EEEEviT0_T1_.has_indirect_call, 0
	.section	.AMDGPU.csdata,"",@progbits
; Kernel info:
; codeLenInByte = 4540
; TotalNumSgprs: 29
; NumVgprs: 39
; ScratchSize: 0
; MemoryBound: 1
; FloatMode: 240
; IeeeMode: 1
; LDSByteSize: 0 bytes/workgroup (compile time only)
; SGPRBlocks: 0
; VGPRBlocks: 2
; NumSGPRsForWavesPerEU: 29
; NumVGPRsForWavesPerEU: 39
; NamedBarCnt: 0
; Occupancy: 16
; WaveLimiterHint : 0
; COMPUTE_PGM_RSRC2:SCRATCH_EN: 0
; COMPUTE_PGM_RSRC2:USER_SGPR: 2
; COMPUTE_PGM_RSRC2:TRAP_HANDLER: 0
; COMPUTE_PGM_RSRC2:TGID_X_EN: 1
; COMPUTE_PGM_RSRC2:TGID_Y_EN: 0
; COMPUTE_PGM_RSRC2:TGID_Z_EN: 0
; COMPUTE_PGM_RSRC2:TIDIG_COMP_CNT: 0
	.section	.text._ZN2at6native29vectorized_elementwise_kernelILi8ENS0_13BinaryFunctorIiibNS0_12_GLOBAL__N_116CompareEqFunctorIiEEEESt5arrayIPcLm3EEEEviT0_T1_,"axG",@progbits,_ZN2at6native29vectorized_elementwise_kernelILi8ENS0_13BinaryFunctorIiibNS0_12_GLOBAL__N_116CompareEqFunctorIiEEEESt5arrayIPcLm3EEEEviT0_T1_,comdat
	.globl	_ZN2at6native29vectorized_elementwise_kernelILi8ENS0_13BinaryFunctorIiibNS0_12_GLOBAL__N_116CompareEqFunctorIiEEEESt5arrayIPcLm3EEEEviT0_T1_ ; -- Begin function _ZN2at6native29vectorized_elementwise_kernelILi8ENS0_13BinaryFunctorIiibNS0_12_GLOBAL__N_116CompareEqFunctorIiEEEESt5arrayIPcLm3EEEEviT0_T1_
	.p2align	8
	.type	_ZN2at6native29vectorized_elementwise_kernelILi8ENS0_13BinaryFunctorIiibNS0_12_GLOBAL__N_116CompareEqFunctorIiEEEESt5arrayIPcLm3EEEEviT0_T1_,@function
_ZN2at6native29vectorized_elementwise_kernelILi8ENS0_13BinaryFunctorIiibNS0_12_GLOBAL__N_116CompareEqFunctorIiEEEESt5arrayIPcLm3EEEEviT0_T1_: ; @_ZN2at6native29vectorized_elementwise_kernelILi8ENS0_13BinaryFunctorIiibNS0_12_GLOBAL__N_116CompareEqFunctorIiEEEESt5arrayIPcLm3EEEEviT0_T1_
; %bb.0:
	s_clause 0x2
	s_load_b64 s[14:15], s[0:1], 0x0
	s_load_b128 s[16:19], s[0:1], 0x8
	s_load_b64 s[22:23], s[0:1], 0x18
	s_wait_xcnt 0x0
	s_bfe_u32 s0, ttmp6, 0x4000c
	s_and_b32 s1, ttmp6, 15
	s_add_co_i32 s0, s0, 1
	s_getreg_b32 s2, hwreg(HW_REG_IB_STS2, 6, 4)
	s_mul_i32 s0, ttmp9, s0
	s_delay_alu instid0(SALU_CYCLE_1) | instskip(SKIP_2) | instid1(SALU_CYCLE_1)
	s_add_co_i32 s1, s1, s0
	s_cmp_eq_u32 s2, 0
	s_cselect_b32 s0, ttmp9, s1
	s_lshl_b32 s20, s0, 12
	s_mov_b32 s0, -1
	s_wait_kmcnt 0x0
	s_sub_co_i32 s24, s14, s20
	s_delay_alu instid0(SALU_CYCLE_1)
	s_cmp_gt_i32 s24, 0xfff
	s_cbranch_scc0 .LBB33_2
; %bb.1:
	s_ashr_i32 s21, s20, 31
	v_lshlrev_b32_e32 v1, 5, v0
	s_lshl_b64 s[0:1], s[20:21], 2
	s_cmp_eq_u32 s15, 0
	s_add_nc_u64 s[2:3], s[22:23], s[0:1]
	s_add_nc_u64 s[0:1], s[18:19], s[0:1]
	s_clause 0x7
	global_load_b128 v[2:5], v1, s[2:3]
	global_load_b128 v[6:9], v1, s[0:1]
	global_load_b128 v[10:13], v1, s[0:1] offset:16
	global_load_b128 v[14:17], v1, s[2:3] offset:16
	;; [unrolled: 1-line block ×6, first 2 shown]
	s_cselect_b32 s25, -1, 0
	s_wait_xcnt 0x0
	v_or3_b32 v1, 0, 0, 0
	s_wait_loadcnt 0x6
	v_cmp_ne_u32_e64 s0, v7, v3
	v_cmp_ne_u32_e64 s1, v8, v4
	;; [unrolled: 1-line block ×3, first 2 shown]
	s_wait_loadcnt 0x4
	v_cmp_ne_u32_e64 s3, v10, v14
	v_cmp_ne_u32_e64 s4, v11, v15
	s_xor_b32 s0, s25, s0
	v_cmp_ne_u32_e64 s5, v12, v16
	v_cndmask_b32_e64 v3, 0, 0x100, s0
	s_xor_b32 s0, s25, s1
	v_cmp_ne_u32_e64 s6, v13, v17
	v_cndmask_b32_e64 v4, 0, 0x10000, s0
	s_xor_b32 s0, s25, s2
	v_cmp_ne_u32_e32 vcc_lo, v6, v2
	v_cndmask_b32_e64 v5, 0, 0x1000000, s0
	s_xor_b32 s0, s25, s3
	s_wait_loadcnt 0x2
	v_cmp_ne_u32_e64 s7, v22, v18
	v_cndmask_b32_e64 v6, 0, 1, s0
	s_xor_b32 s0, s25, s4
	v_cmp_ne_u32_e64 s8, v23, v19
	v_cndmask_b32_e64 v7, 0, 0x100, s0
	s_xor_b32 s0, s25, s5
	;; [unrolled: 3-line block ×3, first 2 shown]
	s_xor_b32 s26, s25, vcc_lo
	v_cndmask_b32_e64 v9, 0, 0x1000000, s0
	s_xor_b32 s0, s25, s7
	v_cmp_ne_u32_e64 s10, v25, v21
	v_cndmask_b32_e64 v10, 0, 1, s0
	s_xor_b32 s0, s25, s8
	v_cndmask_b32_e64 v2, 0, 1, s26
	v_cndmask_b32_e64 v11, 0, 0x100, s0
	s_wait_loadcnt 0x0
	v_cmp_ne_u32_e64 s11, v26, v30
	s_xor_b32 s0, s25, s9
	v_cmp_ne_u32_e64 s12, v27, v31
	v_cndmask_b32_e64 v12, 0, 0x10000, s0
	s_xor_b32 s0, s25, s10
	v_or_b32_e32 v2, v3, v2
	v_cndmask_b32_e64 v13, 0, 0x1000000, s0
	v_or_b32_e32 v3, v11, v10
	v_cmp_ne_u32_e64 s13, v28, v32
	s_xor_b32 s0, s25, s11
	v_cmp_ne_u32_e64 s14, v29, v33
	v_cndmask_b32_e64 v14, 0, 1, s0
	s_xor_b32 s0, s25, s12
	v_or3_b32 v2, v2, v4, v5
	v_cndmask_b32_e64 v10, 0, 0x100, s0
	v_or3_b32 v3, v3, v12, v13
	s_xor_b32 s0, s25, s13
	v_or3_b32 v5, v1, v6, v7
	v_cndmask_b32_e64 v11, 0, 0x10000, s0
	s_xor_b32 s0, s25, s14
	v_or3_b32 v2, v2, 0, 0
	v_cndmask_b32_e64 v4, 0, 0x1000000, s0
	v_or3_b32 v1, v1, v14, v10
	v_or3_b32 v6, v3, 0, 0
	v_or3_b32 v3, v5, v8, v9
	v_or3_b32 v2, v2, 0, 0
	s_add_nc_u64 s[2:3], s[16:17], s[20:21]
	v_or3_b32 v5, v1, v11, v4
	v_or3_b32 v4, v6, 0, 0
	s_mov_b32 s0, 0
	s_clause 0x1
	global_store_b64 v0, v[2:3], s[2:3] scale_offset
	global_store_b64 v0, v[4:5], s[2:3] offset:2048 scale_offset
.LBB33_2:
	s_and_not1_b32 vcc_lo, exec_lo, s0
	s_cbranch_vccnz .LBB33_54
; %bb.3:
	v_cmp_le_i32_e64 s0, s24, v0
	v_or_b32_e32 v1, 0x100, v0
	v_cmp_gt_i32_e32 vcc_lo, s24, v0
	s_wait_xcnt 0x0
	s_and_saveexec_b32 s1, s0
	s_delay_alu instid0(SALU_CYCLE_1)
	s_xor_b32 s0, exec_lo, s1
; %bb.4:
	v_or_b32_e32 v1, 0x100, v0
; %bb.5:
	s_or_saveexec_b32 s1, s0
	v_dual_mov_b32 v36, 0 :: v_dual_bitop2_b32 v8, s20, v0 bitop3:0x54
	v_dual_mov_b32 v35, 0 :: v_dual_mov_b32 v34, 0
	v_dual_mov_b32 v33, 0 :: v_dual_mov_b32 v32, 0
	;; [unrolled: 1-line block ×14, first 2 shown]
	v_mov_b32_e32 v31, 0
	s_mov_b32 s0, 0
	s_xor_b32 exec_lo, exec_lo, s1
	s_cbranch_execz .LBB33_37
; %bb.6:
	s_clause 0x1
	global_load_b32 v30, v8, s[18:19] scale_offset
	global_load_b32 v31, v8, s[22:23] scale_offset
	v_cmp_gt_u32_e64 s0, s24, v1
	v_dual_mov_b32 v26, 0 :: v_dual_mov_b32 v27, 0
	v_dual_mov_b32 v3, 0 :: v_dual_mov_b32 v25, 0
	v_dual_mov_b32 v4, 0 :: v_dual_mov_b32 v21, 0
	v_dual_mov_b32 v13, 0 :: v_dual_mov_b32 v18, 0
	v_dual_mov_b32 v11, 0 :: v_dual_mov_b32 v16, 0
	v_dual_mov_b32 v9, 0 :: v_dual_mov_b32 v14, 0
	v_dual_mov_b32 v10, 0 :: v_dual_mov_b32 v17, 0
	v_dual_mov_b32 v12, 0 :: v_dual_mov_b32 v19, 0
	v_dual_mov_b32 v15, 0 :: v_dual_mov_b32 v22, 0
	v_dual_mov_b32 v20, 0 :: v_dual_mov_b32 v24, 0
	v_dual_mov_b32 v23, 0 :: v_dual_mov_b32 v29, 0
	v_dual_mov_b32 v28, 0 :: v_dual_mov_b32 v32, 0
	v_dual_mov_b32 v33, 0 :: v_dual_mov_b32 v34, 0
	v_dual_mov_b32 v35, 0 :: v_dual_mov_b32 v36, 0
	s_mov_b32 s3, 0
	s_wait_xcnt 0x0
	s_and_saveexec_b32 s2, s0
	s_cbranch_execz .LBB33_36
; %bb.7:
	v_dual_mov_b32 v3, 0 :: v_dual_add_nc_u32 v2, s20, v0
	v_or_b32_e32 v4, 0x200, v0
	v_dual_mov_b32 v25, 0 :: v_dual_mov_b32 v21, 0
	v_mov_b32_e32 v13, 0
	s_clause 0x1
	global_load_b32 v27, v2, s[18:19] offset:1024 scale_offset
	global_load_b32 v26, v2, s[22:23] offset:1024 scale_offset
	v_cmp_gt_u32_e64 s0, s24, v4
	v_dual_mov_b32 v4, 0 :: v_dual_mov_b32 v18, 0
	v_dual_mov_b32 v11, 0 :: v_dual_mov_b32 v16, 0
	v_dual_mov_b32 v9, 0 :: v_dual_mov_b32 v14, 0
	v_dual_mov_b32 v10, 0 :: v_dual_mov_b32 v17, 0
	v_dual_mov_b32 v12, 0 :: v_dual_mov_b32 v19, 0
	v_dual_mov_b32 v15, 0 :: v_dual_mov_b32 v22, 0
	v_dual_mov_b32 v20, 0 :: v_dual_mov_b32 v24, 0
	v_dual_mov_b32 v23, 0 :: v_dual_mov_b32 v29, 0
	v_dual_mov_b32 v28, 0 :: v_dual_mov_b32 v32, 0
	v_dual_mov_b32 v33, 0 :: v_dual_mov_b32 v34, 0
	v_dual_mov_b32 v35, 0 :: v_dual_mov_b32 v36, 0
	s_mov_b32 s4, 0
	s_wait_xcnt 0x0
	s_and_saveexec_b32 s3, s0
	s_cbranch_execz .LBB33_35
; %bb.8:
	v_lshlrev_b64_e32 v[6:7], 2, v[2:3]
	v_or_b32_e32 v9, 0x300, v0
	v_dual_mov_b32 v21, 0 :: v_dual_mov_b32 v13, 0
	v_dual_mov_b32 v18, 0 :: v_dual_mov_b32 v11, 0
	s_delay_alu instid0(VALU_DEP_3)
	v_cmp_gt_u32_e64 s0, s24, v9
	v_add_nc_u64_e32 v[4:5], s[18:19], v[6:7]
	v_add_nc_u64_e32 v[6:7], s[22:23], v[6:7]
	v_dual_mov_b32 v16, 0 :: v_dual_mov_b32 v9, 0
	v_dual_mov_b32 v14, 0 :: v_dual_mov_b32 v10, 0
	;; [unrolled: 1-line block ×3, first 2 shown]
	global_load_b32 v25, v[4:5], off offset:2048
	global_load_b32 v2, v[6:7], off offset:2048
	v_dual_mov_b32 v19, 0 :: v_dual_mov_b32 v15, 0
	v_dual_mov_b32 v22, 0 :: v_dual_mov_b32 v20, 0
	;; [unrolled: 1-line block ×6, first 2 shown]
	v_mov_b32_e32 v36, 0
	s_mov_b32 s5, 0
	s_wait_xcnt 0x0
	s_and_saveexec_b32 s4, s0
	s_cbranch_execz .LBB33_34
; %bb.9:
	global_load_b32 v21, v[4:5], off offset:3072
	global_load_b32 v3, v[6:7], off offset:3072
	v_or_b32_e32 v9, 0x400, v0
	v_dual_mov_b32 v13, 0 :: v_dual_mov_b32 v18, 0
	v_dual_mov_b32 v11, 0 :: v_dual_mov_b32 v16, 0
	s_delay_alu instid0(VALU_DEP_3)
	v_cmp_gt_u32_e64 s0, s24, v9
	v_dual_mov_b32 v9, 0 :: v_dual_mov_b32 v14, 0
	v_dual_mov_b32 v10, 0 :: v_dual_mov_b32 v17, 0
	;; [unrolled: 1-line block ×9, first 2 shown]
	s_mov_b32 s6, 0
	s_wait_xcnt 0x0
	s_and_saveexec_b32 s5, s0
	s_cbranch_execz .LBB33_33
; %bb.10:
	global_load_b32 v18, v[4:5], off offset:4096
	global_load_b32 v13, v[6:7], off offset:4096
	v_or_b32_e32 v9, 0x500, v0
	v_dual_mov_b32 v11, 0 :: v_dual_mov_b32 v16, 0
	v_dual_mov_b32 v10, 0 :: v_dual_mov_b32 v17, 0
	s_delay_alu instid0(VALU_DEP_3)
	v_cmp_gt_u32_e64 s0, s24, v9
	v_dual_mov_b32 v9, 0 :: v_dual_mov_b32 v14, 0
	v_dual_mov_b32 v12, 0 :: v_dual_mov_b32 v19, 0
	v_dual_mov_b32 v15, 0 :: v_dual_mov_b32 v22, 0
	v_dual_mov_b32 v20, 0 :: v_dual_mov_b32 v24, 0
	v_dual_mov_b32 v23, 0 :: v_dual_mov_b32 v29, 0
	v_dual_mov_b32 v28, 0 :: v_dual_mov_b32 v32, 0
	v_dual_mov_b32 v33, 0 :: v_dual_mov_b32 v34, 0
	v_dual_mov_b32 v35, 0 :: v_dual_mov_b32 v36, 0
	s_mov_b32 s7, 0
	s_wait_xcnt 0x0
	s_and_saveexec_b32 s6, s0
	s_cbranch_execz .LBB33_32
; %bb.11:
	global_load_b32 v16, v[4:5], off offset:5120
	global_load_b32 v11, v[6:7], off offset:5120
	v_or_b32_e32 v9, 0x600, v0
	v_dual_mov_b32 v10, 0 :: v_dual_mov_b32 v17, 0
	v_dual_mov_b32 v12, 0 :: v_dual_mov_b32 v19, 0
	s_delay_alu instid0(VALU_DEP_3)
	v_cmp_gt_u32_e64 s0, s24, v9
	v_dual_mov_b32 v9, 0 :: v_dual_mov_b32 v14, 0
	v_dual_mov_b32 v15, 0 :: v_dual_mov_b32 v22, 0
	v_dual_mov_b32 v20, 0 :: v_dual_mov_b32 v24, 0
	v_dual_mov_b32 v23, 0 :: v_dual_mov_b32 v29, 0
	v_dual_mov_b32 v28, 0 :: v_dual_mov_b32 v32, 0
	v_dual_mov_b32 v33, 0 :: v_dual_mov_b32 v34, 0
	v_dual_mov_b32 v35, 0 :: v_dual_mov_b32 v36, 0
	s_mov_b32 s8, 0
	s_wait_xcnt 0x0
	s_and_saveexec_b32 s7, s0
	s_cbranch_execz .LBB33_31
; %bb.12:
	global_load_b32 v14, v[4:5], off offset:6144
	global_load_b32 v9, v[6:7], off offset:6144
	v_or_b32_e32 v10, 0x700, v0
	v_dual_mov_b32 v12, 0 :: v_dual_mov_b32 v19, 0
	v_dual_mov_b32 v15, 0 :: v_dual_mov_b32 v22, 0
	s_delay_alu instid0(VALU_DEP_3)
	v_cmp_gt_u32_e64 s0, s24, v10
	v_dual_mov_b32 v10, 0 :: v_dual_mov_b32 v17, 0
	v_dual_mov_b32 v20, 0 :: v_dual_mov_b32 v24, 0
	;; [unrolled: 1-line block ×6, first 2 shown]
	s_mov_b32 s9, 0
	s_wait_xcnt 0x0
	s_and_saveexec_b32 s8, s0
	s_cbranch_execz .LBB33_30
; %bb.13:
	global_load_b32 v17, v[4:5], off offset:7168
	global_load_b32 v10, v[6:7], off offset:7168
	v_or_b32_e32 v12, 0x800, v0
	v_dual_mov_b32 v15, 0 :: v_dual_mov_b32 v22, 0
	v_dual_mov_b32 v20, 0 :: v_dual_mov_b32 v24, 0
	s_delay_alu instid0(VALU_DEP_3)
	v_cmp_gt_u32_e64 s0, s24, v12
	v_dual_mov_b32 v12, 0 :: v_dual_mov_b32 v19, 0
	v_dual_mov_b32 v23, 0 :: v_dual_mov_b32 v29, 0
	v_dual_mov_b32 v28, 0 :: v_dual_mov_b32 v32, 0
	v_dual_mov_b32 v33, 0 :: v_dual_mov_b32 v34, 0
	v_dual_mov_b32 v35, 0 :: v_dual_mov_b32 v36, 0
	s_mov_b32 s10, 0
	s_wait_xcnt 0x0
	s_and_saveexec_b32 s9, s0
	s_cbranch_execz .LBB33_29
; %bb.14:
	global_load_b32 v19, v[4:5], off offset:8192
	global_load_b32 v12, v[6:7], off offset:8192
	v_or_b32_e32 v15, 0x900, v0
	v_dual_mov_b32 v20, 0 :: v_dual_mov_b32 v24, 0
	v_dual_mov_b32 v23, 0 :: v_dual_mov_b32 v29, 0
	s_delay_alu instid0(VALU_DEP_3)
	v_cmp_gt_u32_e64 s0, s24, v15
	v_dual_mov_b32 v15, 0 :: v_dual_mov_b32 v22, 0
	v_dual_mov_b32 v28, 0 :: v_dual_mov_b32 v32, 0
	;; [unrolled: 1-line block ×4, first 2 shown]
	s_mov_b32 s11, 0
	s_wait_xcnt 0x0
	s_and_saveexec_b32 s10, s0
	s_cbranch_execz .LBB33_28
; %bb.15:
	global_load_b32 v22, v[4:5], off offset:9216
	global_load_b32 v15, v[6:7], off offset:9216
	v_or_b32_e32 v20, 0xa00, v0
	v_dual_mov_b32 v23, 0 :: v_dual_mov_b32 v29, 0
	v_dual_mov_b32 v28, 0 :: v_dual_mov_b32 v32, 0
	s_delay_alu instid0(VALU_DEP_3)
	v_cmp_gt_u32_e64 s0, s24, v20
	v_dual_mov_b32 v20, 0 :: v_dual_mov_b32 v24, 0
	v_dual_mov_b32 v33, 0 :: v_dual_mov_b32 v34, 0
	;; [unrolled: 1-line block ×3, first 2 shown]
	s_mov_b32 s12, 0
	s_wait_xcnt 0x0
	s_and_saveexec_b32 s11, s0
	s_cbranch_execz .LBB33_27
; %bb.16:
	global_load_b32 v24, v[4:5], off offset:10240
	global_load_b32 v20, v[6:7], off offset:10240
	v_or_b32_e32 v23, 0xb00, v0
	v_dual_mov_b32 v28, 0 :: v_dual_mov_b32 v32, 0
	v_dual_mov_b32 v33, 0 :: v_dual_mov_b32 v34, 0
	s_delay_alu instid0(VALU_DEP_3)
	v_cmp_gt_u32_e64 s0, s24, v23
	v_dual_mov_b32 v23, 0 :: v_dual_mov_b32 v29, 0
	v_dual_mov_b32 v35, 0 :: v_dual_mov_b32 v36, 0
	s_mov_b32 s13, 0
	s_wait_xcnt 0x0
	s_and_saveexec_b32 s12, s0
	s_cbranch_execz .LBB33_26
; %bb.17:
	global_load_b32 v29, v[4:5], off offset:11264
	global_load_b32 v23, v[6:7], off offset:11264
	v_or_b32_e32 v28, 0xc00, v0
	v_dual_mov_b32 v33, 0 :: v_dual_mov_b32 v34, 0
	v_dual_mov_b32 v35, 0 :: v_dual_mov_b32 v36, 0
	s_delay_alu instid0(VALU_DEP_3)
	v_cmp_gt_u32_e64 s0, s24, v28
	v_dual_mov_b32 v28, 0 :: v_dual_mov_b32 v32, 0
	s_mov_b32 s14, 0
	s_wait_xcnt 0x0
	s_and_saveexec_b32 s13, s0
	s_cbranch_execz .LBB33_25
; %bb.18:
	global_load_b32 v32, v[4:5], off offset:12288
	global_load_b32 v28, v[6:7], off offset:12288
	v_or_b32_e32 v33, 0xd00, v0
	v_dual_mov_b32 v35, 0 :: v_dual_mov_b32 v36, 0
	s_mov_b32 s18, 0
	v_mov_b32_e32 v34, 0
	s_delay_alu instid0(VALU_DEP_3)
	v_cmp_gt_u32_e64 s0, s24, v33
	v_mov_b32_e32 v33, 0
	s_wait_xcnt 0x0
	s_and_saveexec_b32 s14, s0
	s_cbranch_execz .LBB33_24
; %bb.19:
	global_load_b32 v34, v[4:5], off offset:13312
	global_load_b32 v33, v[6:7], off offset:13312
	v_or_b32_e32 v35, 0xe00, v0
	s_mov_b32 s19, 0
	v_mov_b32_e32 v36, 0
	s_delay_alu instid0(VALU_DEP_2)
	v_cmp_gt_u32_e64 s0, s24, v35
	v_mov_b32_e32 v35, 0
	s_wait_xcnt 0x0
	s_and_saveexec_b32 s18, s0
	s_cbranch_execz .LBB33_23
; %bb.20:
	global_load_b32 v36, v[4:5], off offset:14336
	global_load_b32 v35, v[6:7], off offset:14336
	v_or_b32_e32 v37, 0xf00, v0
	s_mov_b32 s21, 0
	s_mov_b32 s19, exec_lo
	s_wait_xcnt 0x0
	s_delay_alu instid0(VALU_DEP_1)
	v_cmpx_gt_u32_e64 s24, v37
	s_cbranch_execz .LBB33_22
; %bb.21:
	global_load_b32 v37, v[4:5], off offset:15360
	global_load_b32 v38, v[6:7], off offset:15360
	s_wait_loadcnt 0x0
	v_cmp_ne_u32_e64 s0, v37, v38
	s_and_b32 s21, s0, exec_lo
.LBB33_22:
	s_wait_xcnt 0x0
	s_or_b32 exec_lo, exec_lo, s19
	s_delay_alu instid0(SALU_CYCLE_1)
	s_and_b32 s19, s21, exec_lo
.LBB33_23:
	s_or_b32 exec_lo, exec_lo, s18
	s_delay_alu instid0(SALU_CYCLE_1)
	s_and_b32 s18, s19, exec_lo
.LBB33_24:
	s_or_b32 exec_lo, exec_lo, s14
	s_delay_alu instid0(SALU_CYCLE_1)
	s_and_b32 s14, s18, exec_lo
.LBB33_25:
	s_or_b32 exec_lo, exec_lo, s13
	s_delay_alu instid0(SALU_CYCLE_1)
	s_and_b32 s13, s14, exec_lo
.LBB33_26:
	s_or_b32 exec_lo, exec_lo, s12
	s_delay_alu instid0(SALU_CYCLE_1)
	s_and_b32 s12, s13, exec_lo
.LBB33_27:
	s_or_b32 exec_lo, exec_lo, s11
	s_delay_alu instid0(SALU_CYCLE_1)
	s_and_b32 s11, s12, exec_lo
.LBB33_28:
	s_or_b32 exec_lo, exec_lo, s10
	s_delay_alu instid0(SALU_CYCLE_1)
	s_and_b32 s10, s11, exec_lo
.LBB33_29:
	s_or_b32 exec_lo, exec_lo, s9
	s_delay_alu instid0(SALU_CYCLE_1)
	s_and_b32 s9, s10, exec_lo
.LBB33_30:
	s_or_b32 exec_lo, exec_lo, s8
	s_delay_alu instid0(SALU_CYCLE_1)
	s_and_b32 s8, s9, exec_lo
.LBB33_31:
	s_or_b32 exec_lo, exec_lo, s7
	s_delay_alu instid0(SALU_CYCLE_1)
	s_and_b32 s7, s8, exec_lo
.LBB33_32:
	s_or_b32 exec_lo, exec_lo, s6
	s_delay_alu instid0(SALU_CYCLE_1)
	s_and_b32 s6, s7, exec_lo
.LBB33_33:
	s_or_b32 exec_lo, exec_lo, s5
	s_delay_alu instid0(SALU_CYCLE_1)
	s_and_b32 s5, s6, exec_lo
.LBB33_34:
	s_or_b32 exec_lo, exec_lo, s4
	s_wait_loadcnt 0x0
	v_dual_mov_b32 v4, v3 :: v_dual_mov_b32 v3, v2
	s_and_b32 s4, s5, exec_lo
.LBB33_35:
	s_or_b32 exec_lo, exec_lo, s3
	s_delay_alu instid0(SALU_CYCLE_1)
	s_and_b32 s3, s4, exec_lo
.LBB33_36:
	s_or_b32 exec_lo, exec_lo, s2
	s_delay_alu instid0(SALU_CYCLE_1)
	s_and_b32 s0, s3, exec_lo
.LBB33_37:
	s_or_b32 exec_lo, exec_lo, s1
	s_cmp_eq_u32 s15, 0
	s_cselect_b32 s1, -1, 0
	s_and_saveexec_b32 s2, vcc_lo
	s_cbranch_execnz .LBB33_55
; %bb.38:
	s_or_b32 exec_lo, exec_lo, s2
	s_delay_alu instid0(SALU_CYCLE_1)
	s_mov_b32 s2, exec_lo
	v_cmpx_gt_i32_e64 s24, v0
	s_cbranch_execnz .LBB33_56
.LBB33_39:
	s_or_b32 exec_lo, exec_lo, s2
	s_delay_alu instid0(SALU_CYCLE_1)
	s_mov_b32 s2, exec_lo
	v_cmpx_gt_i32_e64 s24, v0
	s_cbranch_execnz .LBB33_57
.LBB33_40:
	s_or_b32 exec_lo, exec_lo, s2
	s_delay_alu instid0(SALU_CYCLE_1)
	s_mov_b32 s2, exec_lo
	v_cmpx_gt_i32_e64 s24, v0
	s_cbranch_execnz .LBB33_58
.LBB33_41:
	s_or_b32 exec_lo, exec_lo, s2
	s_delay_alu instid0(SALU_CYCLE_1)
	s_mov_b32 s2, exec_lo
	v_cmpx_gt_i32_e64 s24, v0
	s_cbranch_execnz .LBB33_59
.LBB33_42:
	s_or_b32 exec_lo, exec_lo, s2
	s_delay_alu instid0(SALU_CYCLE_1)
	s_mov_b32 s2, exec_lo
	v_cmpx_gt_i32_e64 s24, v0
	s_cbranch_execnz .LBB33_60
.LBB33_43:
	s_or_b32 exec_lo, exec_lo, s2
	s_delay_alu instid0(SALU_CYCLE_1)
	s_mov_b32 s2, exec_lo
	v_cmpx_gt_i32_e64 s24, v0
	s_cbranch_execnz .LBB33_61
.LBB33_44:
	s_or_b32 exec_lo, exec_lo, s2
	s_delay_alu instid0(SALU_CYCLE_1)
	s_mov_b32 s2, exec_lo
	v_cmpx_gt_i32_e64 s24, v0
	s_cbranch_execnz .LBB33_62
.LBB33_45:
	s_or_b32 exec_lo, exec_lo, s2
	s_delay_alu instid0(SALU_CYCLE_1)
	s_mov_b32 s2, exec_lo
	v_cmpx_gt_i32_e64 s24, v0
	s_cbranch_execnz .LBB33_63
.LBB33_46:
	s_or_b32 exec_lo, exec_lo, s2
	s_delay_alu instid0(SALU_CYCLE_1)
	s_mov_b32 s2, exec_lo
	v_cmpx_gt_i32_e64 s24, v0
	s_cbranch_execnz .LBB33_64
.LBB33_47:
	s_or_b32 exec_lo, exec_lo, s2
	s_delay_alu instid0(SALU_CYCLE_1)
	s_mov_b32 s2, exec_lo
	v_cmpx_gt_i32_e64 s24, v0
	s_cbranch_execnz .LBB33_65
.LBB33_48:
	s_or_b32 exec_lo, exec_lo, s2
	s_delay_alu instid0(SALU_CYCLE_1)
	s_mov_b32 s2, exec_lo
	v_cmpx_gt_i32_e64 s24, v0
	s_cbranch_execnz .LBB33_66
.LBB33_49:
	s_or_b32 exec_lo, exec_lo, s2
	s_delay_alu instid0(SALU_CYCLE_1)
	s_mov_b32 s2, exec_lo
	v_cmpx_gt_i32_e64 s24, v0
	s_cbranch_execnz .LBB33_67
.LBB33_50:
	s_or_b32 exec_lo, exec_lo, s2
	s_delay_alu instid0(SALU_CYCLE_1)
	s_mov_b32 s2, exec_lo
	v_cmpx_gt_i32_e64 s24, v0
	s_cbranch_execnz .LBB33_68
.LBB33_51:
	s_or_b32 exec_lo, exec_lo, s2
	s_delay_alu instid0(SALU_CYCLE_1)
	s_mov_b32 s2, exec_lo
	v_cmpx_gt_i32_e64 s24, v0
	s_cbranch_execnz .LBB33_69
.LBB33_52:
	s_or_b32 exec_lo, exec_lo, s2
	s_delay_alu instid0(SALU_CYCLE_1)
	s_mov_b32 s2, exec_lo
	v_cmpx_gt_i32_e64 s24, v0
	s_cbranch_execz .LBB33_54
.LBB33_53:
	s_xor_b32 s0, s1, s0
	v_add_nc_u32_e32 v0, s20, v0
	v_cndmask_b32_e64 v1, 0, 1, s0
	global_store_b8 v0, v1, s[16:17]
.LBB33_54:
	s_endpgm
.LBB33_55:
	s_wait_loadcnt 0x0
	v_cmp_ne_u32_e32 vcc_lo, v30, v31
	v_mov_b32_e32 v0, v1
	s_xor_b32 s3, s1, vcc_lo
	s_delay_alu instid0(SALU_CYCLE_1) | instskip(SKIP_3) | instid1(SALU_CYCLE_1)
	v_cndmask_b32_e64 v2, 0, 1, s3
	global_store_b8 v8, v2, s[16:17]
	s_wait_xcnt 0x0
	s_or_b32 exec_lo, exec_lo, s2
	s_mov_b32 s2, exec_lo
	v_cmpx_gt_i32_e64 s24, v0
	s_cbranch_execz .LBB33_39
.LBB33_56:
	s_wait_loadcnt 0x0
	v_cmp_ne_u32_e32 vcc_lo, v27, v26
	v_add_nc_u32_e32 v2, s20, v0
	v_add_nc_u32_e32 v0, 0x100, v0
	s_xor_b32 s3, s1, vcc_lo
	s_delay_alu instid0(SALU_CYCLE_1) | instskip(SKIP_3) | instid1(SALU_CYCLE_1)
	v_cndmask_b32_e64 v1, 0, 1, s3
	global_store_b8 v2, v1, s[16:17]
	s_wait_xcnt 0x0
	s_or_b32 exec_lo, exec_lo, s2
	s_mov_b32 s2, exec_lo
	v_cmpx_gt_i32_e64 s24, v0
	s_cbranch_execz .LBB33_40
.LBB33_57:
	v_cmp_ne_u32_e32 vcc_lo, v25, v3
	v_add_nc_u32_e32 v2, s20, v0
	v_add_nc_u32_e32 v0, 0x100, v0
	s_xor_b32 s3, s1, vcc_lo
	s_delay_alu instid0(SALU_CYCLE_1) | instskip(SKIP_3) | instid1(SALU_CYCLE_1)
	v_cndmask_b32_e64 v1, 0, 1, s3
	global_store_b8 v2, v1, s[16:17]
	s_wait_xcnt 0x0
	s_or_b32 exec_lo, exec_lo, s2
	s_mov_b32 s2, exec_lo
	v_cmpx_gt_i32_e64 s24, v0
	s_cbranch_execz .LBB33_41
.LBB33_58:
	v_cmp_ne_u32_e32 vcc_lo, v21, v4
	v_add_nc_u32_e32 v2, s20, v0
	v_add_nc_u32_e32 v0, 0x100, v0
	s_xor_b32 s3, s1, vcc_lo
	s_delay_alu instid0(SALU_CYCLE_1) | instskip(SKIP_3) | instid1(SALU_CYCLE_1)
	v_cndmask_b32_e64 v1, 0, 1, s3
	global_store_b8 v2, v1, s[16:17]
	s_wait_xcnt 0x0
	s_or_b32 exec_lo, exec_lo, s2
	s_mov_b32 s2, exec_lo
	v_cmpx_gt_i32_e64 s24, v0
	s_cbranch_execz .LBB33_42
.LBB33_59:
	v_cmp_ne_u32_e32 vcc_lo, v18, v13
	v_add_nc_u32_e32 v2, s20, v0
	v_add_nc_u32_e32 v0, 0x100, v0
	s_xor_b32 s3, s1, vcc_lo
	s_delay_alu instid0(SALU_CYCLE_1) | instskip(SKIP_3) | instid1(SALU_CYCLE_1)
	v_cndmask_b32_e64 v1, 0, 1, s3
	global_store_b8 v2, v1, s[16:17]
	s_wait_xcnt 0x0
	s_or_b32 exec_lo, exec_lo, s2
	s_mov_b32 s2, exec_lo
	v_cmpx_gt_i32_e64 s24, v0
	s_cbranch_execz .LBB33_43
.LBB33_60:
	v_cmp_ne_u32_e32 vcc_lo, v16, v11
	v_add_nc_u32_e32 v2, s20, v0
	v_add_nc_u32_e32 v0, 0x100, v0
	s_xor_b32 s3, s1, vcc_lo
	s_delay_alu instid0(SALU_CYCLE_1) | instskip(SKIP_3) | instid1(SALU_CYCLE_1)
	v_cndmask_b32_e64 v1, 0, 1, s3
	global_store_b8 v2, v1, s[16:17]
	s_wait_xcnt 0x0
	s_or_b32 exec_lo, exec_lo, s2
	s_mov_b32 s2, exec_lo
	v_cmpx_gt_i32_e64 s24, v0
	s_cbranch_execz .LBB33_44
.LBB33_61:
	v_cmp_ne_u32_e32 vcc_lo, v14, v9
	v_add_nc_u32_e32 v2, s20, v0
	v_add_nc_u32_e32 v0, 0x100, v0
	s_xor_b32 s3, s1, vcc_lo
	s_delay_alu instid0(SALU_CYCLE_1) | instskip(SKIP_3) | instid1(SALU_CYCLE_1)
	v_cndmask_b32_e64 v1, 0, 1, s3
	global_store_b8 v2, v1, s[16:17]
	s_wait_xcnt 0x0
	s_or_b32 exec_lo, exec_lo, s2
	s_mov_b32 s2, exec_lo
	v_cmpx_gt_i32_e64 s24, v0
	s_cbranch_execz .LBB33_45
.LBB33_62:
	v_cmp_ne_u32_e32 vcc_lo, v17, v10
	v_add_nc_u32_e32 v2, s20, v0
	v_add_nc_u32_e32 v0, 0x100, v0
	s_xor_b32 s3, s1, vcc_lo
	s_delay_alu instid0(SALU_CYCLE_1) | instskip(SKIP_3) | instid1(SALU_CYCLE_1)
	v_cndmask_b32_e64 v1, 0, 1, s3
	global_store_b8 v2, v1, s[16:17]
	s_wait_xcnt 0x0
	s_or_b32 exec_lo, exec_lo, s2
	s_mov_b32 s2, exec_lo
	v_cmpx_gt_i32_e64 s24, v0
	s_cbranch_execz .LBB33_46
.LBB33_63:
	v_cmp_ne_u32_e32 vcc_lo, v19, v12
	v_add_nc_u32_e32 v2, s20, v0
	v_add_nc_u32_e32 v0, 0x100, v0
	s_xor_b32 s3, s1, vcc_lo
	s_delay_alu instid0(SALU_CYCLE_1) | instskip(SKIP_3) | instid1(SALU_CYCLE_1)
	v_cndmask_b32_e64 v1, 0, 1, s3
	global_store_b8 v2, v1, s[16:17]
	s_wait_xcnt 0x0
	s_or_b32 exec_lo, exec_lo, s2
	s_mov_b32 s2, exec_lo
	v_cmpx_gt_i32_e64 s24, v0
	s_cbranch_execz .LBB33_47
.LBB33_64:
	v_cmp_ne_u32_e32 vcc_lo, v22, v15
	v_add_nc_u32_e32 v2, s20, v0
	v_add_nc_u32_e32 v0, 0x100, v0
	s_xor_b32 s3, s1, vcc_lo
	s_delay_alu instid0(SALU_CYCLE_1) | instskip(SKIP_3) | instid1(SALU_CYCLE_1)
	v_cndmask_b32_e64 v1, 0, 1, s3
	global_store_b8 v2, v1, s[16:17]
	s_wait_xcnt 0x0
	s_or_b32 exec_lo, exec_lo, s2
	s_mov_b32 s2, exec_lo
	v_cmpx_gt_i32_e64 s24, v0
	s_cbranch_execz .LBB33_48
.LBB33_65:
	v_cmp_ne_u32_e32 vcc_lo, v24, v20
	v_add_nc_u32_e32 v2, s20, v0
	v_add_nc_u32_e32 v0, 0x100, v0
	s_xor_b32 s3, s1, vcc_lo
	s_delay_alu instid0(SALU_CYCLE_1) | instskip(SKIP_3) | instid1(SALU_CYCLE_1)
	v_cndmask_b32_e64 v1, 0, 1, s3
	global_store_b8 v2, v1, s[16:17]
	s_wait_xcnt 0x0
	s_or_b32 exec_lo, exec_lo, s2
	s_mov_b32 s2, exec_lo
	v_cmpx_gt_i32_e64 s24, v0
	s_cbranch_execz .LBB33_49
.LBB33_66:
	v_cmp_ne_u32_e32 vcc_lo, v29, v23
	v_add_nc_u32_e32 v2, s20, v0
	v_add_nc_u32_e32 v0, 0x100, v0
	s_xor_b32 s3, s1, vcc_lo
	s_delay_alu instid0(SALU_CYCLE_1) | instskip(SKIP_3) | instid1(SALU_CYCLE_1)
	v_cndmask_b32_e64 v1, 0, 1, s3
	global_store_b8 v2, v1, s[16:17]
	s_wait_xcnt 0x0
	s_or_b32 exec_lo, exec_lo, s2
	s_mov_b32 s2, exec_lo
	v_cmpx_gt_i32_e64 s24, v0
	s_cbranch_execz .LBB33_50
.LBB33_67:
	v_cmp_ne_u32_e32 vcc_lo, v32, v28
	v_add_nc_u32_e32 v2, s20, v0
	v_add_nc_u32_e32 v0, 0x100, v0
	s_xor_b32 s3, s1, vcc_lo
	s_delay_alu instid0(SALU_CYCLE_1) | instskip(SKIP_3) | instid1(SALU_CYCLE_1)
	v_cndmask_b32_e64 v1, 0, 1, s3
	global_store_b8 v2, v1, s[16:17]
	s_wait_xcnt 0x0
	s_or_b32 exec_lo, exec_lo, s2
	s_mov_b32 s2, exec_lo
	v_cmpx_gt_i32_e64 s24, v0
	s_cbranch_execz .LBB33_51
.LBB33_68:
	v_cmp_ne_u32_e32 vcc_lo, v34, v33
	v_add_nc_u32_e32 v2, s20, v0
	v_add_nc_u32_e32 v0, 0x100, v0
	s_xor_b32 s3, s1, vcc_lo
	s_delay_alu instid0(SALU_CYCLE_1) | instskip(SKIP_3) | instid1(SALU_CYCLE_1)
	v_cndmask_b32_e64 v1, 0, 1, s3
	global_store_b8 v2, v1, s[16:17]
	s_wait_xcnt 0x0
	s_or_b32 exec_lo, exec_lo, s2
	s_mov_b32 s2, exec_lo
	v_cmpx_gt_i32_e64 s24, v0
	s_cbranch_execz .LBB33_52
.LBB33_69:
	v_cmp_ne_u32_e32 vcc_lo, v36, v35
	v_add_nc_u32_e32 v2, s20, v0
	v_add_nc_u32_e32 v0, 0x100, v0
	s_xor_b32 s3, s1, vcc_lo
	s_delay_alu instid0(SALU_CYCLE_1) | instskip(SKIP_3) | instid1(SALU_CYCLE_1)
	v_cndmask_b32_e64 v1, 0, 1, s3
	global_store_b8 v2, v1, s[16:17]
	s_wait_xcnt 0x0
	s_or_b32 exec_lo, exec_lo, s2
	s_mov_b32 s2, exec_lo
	v_cmpx_gt_i32_e64 s24, v0
	s_cbranch_execnz .LBB33_53
	s_branch .LBB33_54
	.section	.rodata,"a",@progbits
	.p2align	6, 0x0
	.amdhsa_kernel _ZN2at6native29vectorized_elementwise_kernelILi8ENS0_13BinaryFunctorIiibNS0_12_GLOBAL__N_116CompareEqFunctorIiEEEESt5arrayIPcLm3EEEEviT0_T1_
		.amdhsa_group_segment_fixed_size 0
		.amdhsa_private_segment_fixed_size 0
		.amdhsa_kernarg_size 32
		.amdhsa_user_sgpr_count 2
		.amdhsa_user_sgpr_dispatch_ptr 0
		.amdhsa_user_sgpr_queue_ptr 0
		.amdhsa_user_sgpr_kernarg_segment_ptr 1
		.amdhsa_user_sgpr_dispatch_id 0
		.amdhsa_user_sgpr_kernarg_preload_length 0
		.amdhsa_user_sgpr_kernarg_preload_offset 0
		.amdhsa_user_sgpr_private_segment_size 0
		.amdhsa_wavefront_size32 1
		.amdhsa_uses_dynamic_stack 0
		.amdhsa_enable_private_segment 0
		.amdhsa_system_sgpr_workgroup_id_x 1
		.amdhsa_system_sgpr_workgroup_id_y 0
		.amdhsa_system_sgpr_workgroup_id_z 0
		.amdhsa_system_sgpr_workgroup_info 0
		.amdhsa_system_vgpr_workitem_id 0
		.amdhsa_next_free_vgpr 39
		.amdhsa_next_free_sgpr 27
		.amdhsa_named_barrier_count 0
		.amdhsa_reserve_vcc 1
		.amdhsa_float_round_mode_32 0
		.amdhsa_float_round_mode_16_64 0
		.amdhsa_float_denorm_mode_32 3
		.amdhsa_float_denorm_mode_16_64 3
		.amdhsa_fp16_overflow 0
		.amdhsa_memory_ordered 1
		.amdhsa_forward_progress 1
		.amdhsa_inst_pref_size 36
		.amdhsa_round_robin_scheduling 0
		.amdhsa_exception_fp_ieee_invalid_op 0
		.amdhsa_exception_fp_denorm_src 0
		.amdhsa_exception_fp_ieee_div_zero 0
		.amdhsa_exception_fp_ieee_overflow 0
		.amdhsa_exception_fp_ieee_underflow 0
		.amdhsa_exception_fp_ieee_inexact 0
		.amdhsa_exception_int_div_zero 0
	.end_amdhsa_kernel
	.section	.text._ZN2at6native29vectorized_elementwise_kernelILi8ENS0_13BinaryFunctorIiibNS0_12_GLOBAL__N_116CompareEqFunctorIiEEEESt5arrayIPcLm3EEEEviT0_T1_,"axG",@progbits,_ZN2at6native29vectorized_elementwise_kernelILi8ENS0_13BinaryFunctorIiibNS0_12_GLOBAL__N_116CompareEqFunctorIiEEEESt5arrayIPcLm3EEEEviT0_T1_,comdat
.Lfunc_end33:
	.size	_ZN2at6native29vectorized_elementwise_kernelILi8ENS0_13BinaryFunctorIiibNS0_12_GLOBAL__N_116CompareEqFunctorIiEEEESt5arrayIPcLm3EEEEviT0_T1_, .Lfunc_end33-_ZN2at6native29vectorized_elementwise_kernelILi8ENS0_13BinaryFunctorIiibNS0_12_GLOBAL__N_116CompareEqFunctorIiEEEESt5arrayIPcLm3EEEEviT0_T1_
                                        ; -- End function
	.set _ZN2at6native29vectorized_elementwise_kernelILi8ENS0_13BinaryFunctorIiibNS0_12_GLOBAL__N_116CompareEqFunctorIiEEEESt5arrayIPcLm3EEEEviT0_T1_.num_vgpr, 39
	.set _ZN2at6native29vectorized_elementwise_kernelILi8ENS0_13BinaryFunctorIiibNS0_12_GLOBAL__N_116CompareEqFunctorIiEEEESt5arrayIPcLm3EEEEviT0_T1_.num_agpr, 0
	.set _ZN2at6native29vectorized_elementwise_kernelILi8ENS0_13BinaryFunctorIiibNS0_12_GLOBAL__N_116CompareEqFunctorIiEEEESt5arrayIPcLm3EEEEviT0_T1_.numbered_sgpr, 27
	.set _ZN2at6native29vectorized_elementwise_kernelILi8ENS0_13BinaryFunctorIiibNS0_12_GLOBAL__N_116CompareEqFunctorIiEEEESt5arrayIPcLm3EEEEviT0_T1_.num_named_barrier, 0
	.set _ZN2at6native29vectorized_elementwise_kernelILi8ENS0_13BinaryFunctorIiibNS0_12_GLOBAL__N_116CompareEqFunctorIiEEEESt5arrayIPcLm3EEEEviT0_T1_.private_seg_size, 0
	.set _ZN2at6native29vectorized_elementwise_kernelILi8ENS0_13BinaryFunctorIiibNS0_12_GLOBAL__N_116CompareEqFunctorIiEEEESt5arrayIPcLm3EEEEviT0_T1_.uses_vcc, 1
	.set _ZN2at6native29vectorized_elementwise_kernelILi8ENS0_13BinaryFunctorIiibNS0_12_GLOBAL__N_116CompareEqFunctorIiEEEESt5arrayIPcLm3EEEEviT0_T1_.uses_flat_scratch, 0
	.set _ZN2at6native29vectorized_elementwise_kernelILi8ENS0_13BinaryFunctorIiibNS0_12_GLOBAL__N_116CompareEqFunctorIiEEEESt5arrayIPcLm3EEEEviT0_T1_.has_dyn_sized_stack, 0
	.set _ZN2at6native29vectorized_elementwise_kernelILi8ENS0_13BinaryFunctorIiibNS0_12_GLOBAL__N_116CompareEqFunctorIiEEEESt5arrayIPcLm3EEEEviT0_T1_.has_recursion, 0
	.set _ZN2at6native29vectorized_elementwise_kernelILi8ENS0_13BinaryFunctorIiibNS0_12_GLOBAL__N_116CompareEqFunctorIiEEEESt5arrayIPcLm3EEEEviT0_T1_.has_indirect_call, 0
	.section	.AMDGPU.csdata,"",@progbits
; Kernel info:
; codeLenInByte = 4528
; TotalNumSgprs: 29
; NumVgprs: 39
; ScratchSize: 0
; MemoryBound: 0
; FloatMode: 240
; IeeeMode: 1
; LDSByteSize: 0 bytes/workgroup (compile time only)
; SGPRBlocks: 0
; VGPRBlocks: 2
; NumSGPRsForWavesPerEU: 29
; NumVGPRsForWavesPerEU: 39
; NamedBarCnt: 0
; Occupancy: 16
; WaveLimiterHint : 1
; COMPUTE_PGM_RSRC2:SCRATCH_EN: 0
; COMPUTE_PGM_RSRC2:USER_SGPR: 2
; COMPUTE_PGM_RSRC2:TRAP_HANDLER: 0
; COMPUTE_PGM_RSRC2:TGID_X_EN: 1
; COMPUTE_PGM_RSRC2:TGID_Y_EN: 0
; COMPUTE_PGM_RSRC2:TGID_Z_EN: 0
; COMPUTE_PGM_RSRC2:TIDIG_COMP_CNT: 0
	.section	.text._ZN2at6native29vectorized_elementwise_kernelILi4ENS0_13BinaryFunctorIiibNS0_12_GLOBAL__N_116CompareEqFunctorIiEEEESt5arrayIPcLm3EEEEviT0_T1_,"axG",@progbits,_ZN2at6native29vectorized_elementwise_kernelILi4ENS0_13BinaryFunctorIiibNS0_12_GLOBAL__N_116CompareEqFunctorIiEEEESt5arrayIPcLm3EEEEviT0_T1_,comdat
	.globl	_ZN2at6native29vectorized_elementwise_kernelILi4ENS0_13BinaryFunctorIiibNS0_12_GLOBAL__N_116CompareEqFunctorIiEEEESt5arrayIPcLm3EEEEviT0_T1_ ; -- Begin function _ZN2at6native29vectorized_elementwise_kernelILi4ENS0_13BinaryFunctorIiibNS0_12_GLOBAL__N_116CompareEqFunctorIiEEEESt5arrayIPcLm3EEEEviT0_T1_
	.p2align	8
	.type	_ZN2at6native29vectorized_elementwise_kernelILi4ENS0_13BinaryFunctorIiibNS0_12_GLOBAL__N_116CompareEqFunctorIiEEEESt5arrayIPcLm3EEEEviT0_T1_,@function
_ZN2at6native29vectorized_elementwise_kernelILi4ENS0_13BinaryFunctorIiibNS0_12_GLOBAL__N_116CompareEqFunctorIiEEEESt5arrayIPcLm3EEEEviT0_T1_: ; @_ZN2at6native29vectorized_elementwise_kernelILi4ENS0_13BinaryFunctorIiibNS0_12_GLOBAL__N_116CompareEqFunctorIiEEEESt5arrayIPcLm3EEEEviT0_T1_
; %bb.0:
	s_clause 0x2
	s_load_b64 s[14:15], s[0:1], 0x0
	s_load_b128 s[16:19], s[0:1], 0x8
	s_load_b64 s[22:23], s[0:1], 0x18
	s_wait_xcnt 0x0
	s_bfe_u32 s0, ttmp6, 0x4000c
	s_and_b32 s1, ttmp6, 15
	s_add_co_i32 s0, s0, 1
	s_getreg_b32 s2, hwreg(HW_REG_IB_STS2, 6, 4)
	s_mul_i32 s0, ttmp9, s0
	s_delay_alu instid0(SALU_CYCLE_1) | instskip(SKIP_2) | instid1(SALU_CYCLE_1)
	s_add_co_i32 s1, s1, s0
	s_cmp_eq_u32 s2, 0
	s_cselect_b32 s0, ttmp9, s1
	s_lshl_b32 s20, s0, 12
	s_mov_b32 s0, -1
	s_wait_kmcnt 0x0
	s_sub_co_i32 s24, s14, s20
	s_delay_alu instid0(SALU_CYCLE_1)
	s_cmp_gt_i32 s24, 0xfff
	s_cbranch_scc0 .LBB34_2
; %bb.1:
	s_ashr_i32 s21, s20, 31
	s_delay_alu instid0(SALU_CYCLE_1)
	s_lshl_b64 s[0:1], s[20:21], 2
	s_cmp_eq_u32 s15, 0
	s_add_nc_u64 s[2:3], s[22:23], s[0:1]
	s_add_nc_u64 s[0:1], s[18:19], s[0:1]
	s_clause 0x7
	global_load_b128 v[2:5], v0, s[2:3] scale_offset
	global_load_b128 v[6:9], v0, s[0:1] scale_offset
	global_load_b128 v[10:13], v0, s[0:1] offset:4096 scale_offset
	global_load_b128 v[14:17], v0, s[2:3] offset:4096 scale_offset
	;; [unrolled: 1-line block ×6, first 2 shown]
	s_cselect_b32 s25, -1, 0
	s_wait_loadcnt 0x6
	s_wait_xcnt 0x1
	v_cmp_ne_u32_e64 s0, v7, v3
	v_cmp_ne_u32_e64 s1, v8, v4
	s_wait_xcnt 0x0
	v_cmp_ne_u32_e64 s2, v9, v5
	s_wait_loadcnt 0x4
	v_cmp_ne_u32_e64 s3, v10, v14
	v_cmp_ne_u32_e32 vcc_lo, v6, v2
	s_xor_b32 s0, s25, s0
	v_cmp_ne_u32_e64 s4, v11, v15
	v_cndmask_b32_e64 v2, 0, 0x100, s0
	s_xor_b32 s0, s25, s1
	v_cmp_ne_u32_e64 s5, v12, v16
	v_cndmask_b32_e64 v3, 0, 0x10000, s0
	;; [unrolled: 3-line block ×3, first 2 shown]
	s_xor_b32 s0, s25, s3
	s_wait_loadcnt 0x2
	v_cmp_ne_u32_e64 s7, v22, v18
	v_cndmask_b32_e64 v5, 0, 1, s0
	s_xor_b32 s0, s25, s4
	v_cmp_ne_u32_e64 s8, v23, v19
	v_cndmask_b32_e64 v6, 0, 0x100, s0
	s_xor_b32 s0, s25, s5
	;; [unrolled: 3-line block ×4, first 2 shown]
	s_wait_loadcnt 0x0
	v_cmp_ne_u32_e64 s11, v26, v30
	v_cndmask_b32_e64 v9, 0, 1, s0
	s_xor_b32 s0, s25, s8
	v_cmp_ne_u32_e64 s12, v27, v31
	v_cndmask_b32_e64 v10, 0, 0x100, s0
	s_xor_b32 s0, s25, s9
	s_xor_b32 s26, s25, vcc_lo
	v_cndmask_b32_e64 v11, 0, 0x10000, s0
	s_xor_b32 s0, s25, s10
	v_cmp_ne_u32_e64 s13, v28, v32
	v_cndmask_b32_e64 v12, 0, 0x1000000, s0
	s_xor_b32 s0, s25, s11
	v_cndmask_b32_e64 v1, 0, 1, s26
	v_cmp_ne_u32_e64 s14, v29, v33
	v_cndmask_b32_e64 v13, 0, 1, s0
	s_xor_b32 s0, s25, s12
	s_add_nc_u64 s[2:3], s[16:17], s[20:21]
	v_cndmask_b32_e64 v14, 0, 0x100, s0
	s_xor_b32 s0, s25, s13
	v_or_b32_e32 v1, v2, v1
	v_cndmask_b32_e64 v15, 0, 0x10000, s0
	s_xor_b32 s0, s25, s14
	v_or_b32_e32 v2, v6, v5
	v_or_b32_e32 v5, v10, v9
	v_cndmask_b32_e64 v16, 0, 0x1000000, s0
	v_or_b32_e32 v6, v14, v13
	v_or3_b32 v1, v1, v3, v4
	v_or3_b32 v2, v2, v7, v8
	;; [unrolled: 1-line block ×3, first 2 shown]
	s_mov_b32 s0, 0
	v_or3_b32 v4, v6, v15, v16
	s_clause 0x3
	global_store_b32 v0, v1, s[2:3] scale_offset
	global_store_b32 v0, v2, s[2:3] offset:1024 scale_offset
	global_store_b32 v0, v3, s[2:3] offset:2048 scale_offset
	;; [unrolled: 1-line block ×3, first 2 shown]
.LBB34_2:
	s_and_not1_b32 vcc_lo, exec_lo, s0
	s_cbranch_vccnz .LBB34_54
; %bb.3:
	v_cmp_le_i32_e64 s0, s24, v0
	s_wait_xcnt 0x3
	v_or_b32_e32 v1, 0x100, v0
	v_cmp_gt_i32_e32 vcc_lo, s24, v0
	s_wait_xcnt 0x0
	s_and_saveexec_b32 s1, s0
	s_delay_alu instid0(SALU_CYCLE_1)
	s_xor_b32 s0, exec_lo, s1
; %bb.4:
	v_or_b32_e32 v1, 0x100, v0
; %bb.5:
	s_or_saveexec_b32 s1, s0
	v_dual_mov_b32 v36, 0 :: v_dual_bitop2_b32 v8, s20, v0 bitop3:0x54
	v_dual_mov_b32 v35, 0 :: v_dual_mov_b32 v34, 0
	v_dual_mov_b32 v33, 0 :: v_dual_mov_b32 v32, 0
	;; [unrolled: 1-line block ×14, first 2 shown]
	v_mov_b32_e32 v31, 0
	s_mov_b32 s0, 0
	s_xor_b32 exec_lo, exec_lo, s1
	s_cbranch_execz .LBB34_37
; %bb.6:
	s_clause 0x1
	global_load_b32 v30, v8, s[18:19] scale_offset
	global_load_b32 v31, v8, s[22:23] scale_offset
	v_cmp_gt_u32_e64 s0, s24, v1
	v_dual_mov_b32 v26, 0 :: v_dual_mov_b32 v27, 0
	v_dual_mov_b32 v3, 0 :: v_dual_mov_b32 v25, 0
	;; [unrolled: 1-line block ×14, first 2 shown]
	s_mov_b32 s3, 0
	s_wait_xcnt 0x0
	s_and_saveexec_b32 s2, s0
	s_cbranch_execz .LBB34_36
; %bb.7:
	v_dual_mov_b32 v3, 0 :: v_dual_add_nc_u32 v2, s20, v0
	v_or_b32_e32 v4, 0x200, v0
	v_dual_mov_b32 v25, 0 :: v_dual_mov_b32 v21, 0
	v_mov_b32_e32 v13, 0
	s_clause 0x1
	global_load_b32 v27, v2, s[18:19] offset:1024 scale_offset
	global_load_b32 v26, v2, s[22:23] offset:1024 scale_offset
	v_cmp_gt_u32_e64 s0, s24, v4
	v_dual_mov_b32 v4, 0 :: v_dual_mov_b32 v18, 0
	v_dual_mov_b32 v11, 0 :: v_dual_mov_b32 v16, 0
	;; [unrolled: 1-line block ×11, first 2 shown]
	s_mov_b32 s4, 0
	s_wait_xcnt 0x0
	s_and_saveexec_b32 s3, s0
	s_cbranch_execz .LBB34_35
; %bb.8:
	v_lshlrev_b64_e32 v[6:7], 2, v[2:3]
	v_or_b32_e32 v9, 0x300, v0
	v_dual_mov_b32 v21, 0 :: v_dual_mov_b32 v13, 0
	v_dual_mov_b32 v18, 0 :: v_dual_mov_b32 v11, 0
	s_delay_alu instid0(VALU_DEP_3)
	v_cmp_gt_u32_e64 s0, s24, v9
	v_add_nc_u64_e32 v[4:5], s[18:19], v[6:7]
	v_add_nc_u64_e32 v[6:7], s[22:23], v[6:7]
	v_dual_mov_b32 v16, 0 :: v_dual_mov_b32 v9, 0
	v_dual_mov_b32 v14, 0 :: v_dual_mov_b32 v10, 0
	;; [unrolled: 1-line block ×3, first 2 shown]
	global_load_b32 v25, v[4:5], off offset:2048
	global_load_b32 v2, v[6:7], off offset:2048
	v_dual_mov_b32 v19, 0 :: v_dual_mov_b32 v15, 0
	v_dual_mov_b32 v22, 0 :: v_dual_mov_b32 v20, 0
	;; [unrolled: 1-line block ×6, first 2 shown]
	v_mov_b32_e32 v36, 0
	s_mov_b32 s5, 0
	s_wait_xcnt 0x0
	s_and_saveexec_b32 s4, s0
	s_cbranch_execz .LBB34_34
; %bb.9:
	global_load_b32 v21, v[4:5], off offset:3072
	global_load_b32 v3, v[6:7], off offset:3072
	v_or_b32_e32 v9, 0x400, v0
	v_dual_mov_b32 v13, 0 :: v_dual_mov_b32 v18, 0
	v_dual_mov_b32 v11, 0 :: v_dual_mov_b32 v16, 0
	s_delay_alu instid0(VALU_DEP_3)
	v_cmp_gt_u32_e64 s0, s24, v9
	v_dual_mov_b32 v9, 0 :: v_dual_mov_b32 v14, 0
	v_dual_mov_b32 v10, 0 :: v_dual_mov_b32 v17, 0
	;; [unrolled: 1-line block ×9, first 2 shown]
	s_mov_b32 s6, 0
	s_wait_xcnt 0x0
	s_and_saveexec_b32 s5, s0
	s_cbranch_execz .LBB34_33
; %bb.10:
	global_load_b32 v18, v[4:5], off offset:4096
	global_load_b32 v13, v[6:7], off offset:4096
	v_or_b32_e32 v9, 0x500, v0
	v_dual_mov_b32 v11, 0 :: v_dual_mov_b32 v16, 0
	v_dual_mov_b32 v10, 0 :: v_dual_mov_b32 v17, 0
	s_delay_alu instid0(VALU_DEP_3)
	v_cmp_gt_u32_e64 s0, s24, v9
	v_dual_mov_b32 v9, 0 :: v_dual_mov_b32 v14, 0
	v_dual_mov_b32 v12, 0 :: v_dual_mov_b32 v19, 0
	;; [unrolled: 1-line block ×8, first 2 shown]
	s_mov_b32 s7, 0
	s_wait_xcnt 0x0
	s_and_saveexec_b32 s6, s0
	s_cbranch_execz .LBB34_32
; %bb.11:
	global_load_b32 v16, v[4:5], off offset:5120
	global_load_b32 v11, v[6:7], off offset:5120
	v_or_b32_e32 v9, 0x600, v0
	v_dual_mov_b32 v10, 0 :: v_dual_mov_b32 v17, 0
	v_dual_mov_b32 v12, 0 :: v_dual_mov_b32 v19, 0
	s_delay_alu instid0(VALU_DEP_3)
	v_cmp_gt_u32_e64 s0, s24, v9
	v_dual_mov_b32 v9, 0 :: v_dual_mov_b32 v14, 0
	v_dual_mov_b32 v15, 0 :: v_dual_mov_b32 v22, 0
	;; [unrolled: 1-line block ×7, first 2 shown]
	s_mov_b32 s8, 0
	s_wait_xcnt 0x0
	s_and_saveexec_b32 s7, s0
	s_cbranch_execz .LBB34_31
; %bb.12:
	global_load_b32 v14, v[4:5], off offset:6144
	global_load_b32 v9, v[6:7], off offset:6144
	v_or_b32_e32 v10, 0x700, v0
	v_dual_mov_b32 v12, 0 :: v_dual_mov_b32 v19, 0
	v_dual_mov_b32 v15, 0 :: v_dual_mov_b32 v22, 0
	s_delay_alu instid0(VALU_DEP_3)
	v_cmp_gt_u32_e64 s0, s24, v10
	v_dual_mov_b32 v10, 0 :: v_dual_mov_b32 v17, 0
	v_dual_mov_b32 v20, 0 :: v_dual_mov_b32 v24, 0
	;; [unrolled: 1-line block ×6, first 2 shown]
	s_mov_b32 s9, 0
	s_wait_xcnt 0x0
	s_and_saveexec_b32 s8, s0
	s_cbranch_execz .LBB34_30
; %bb.13:
	global_load_b32 v17, v[4:5], off offset:7168
	global_load_b32 v10, v[6:7], off offset:7168
	v_or_b32_e32 v12, 0x800, v0
	v_dual_mov_b32 v15, 0 :: v_dual_mov_b32 v22, 0
	v_dual_mov_b32 v20, 0 :: v_dual_mov_b32 v24, 0
	s_delay_alu instid0(VALU_DEP_3)
	v_cmp_gt_u32_e64 s0, s24, v12
	v_dual_mov_b32 v12, 0 :: v_dual_mov_b32 v19, 0
	v_dual_mov_b32 v23, 0 :: v_dual_mov_b32 v29, 0
	v_dual_mov_b32 v28, 0 :: v_dual_mov_b32 v32, 0
	v_dual_mov_b32 v33, 0 :: v_dual_mov_b32 v34, 0
	v_dual_mov_b32 v35, 0 :: v_dual_mov_b32 v36, 0
	s_mov_b32 s10, 0
	s_wait_xcnt 0x0
	s_and_saveexec_b32 s9, s0
	s_cbranch_execz .LBB34_29
; %bb.14:
	global_load_b32 v19, v[4:5], off offset:8192
	global_load_b32 v12, v[6:7], off offset:8192
	v_or_b32_e32 v15, 0x900, v0
	v_dual_mov_b32 v20, 0 :: v_dual_mov_b32 v24, 0
	v_dual_mov_b32 v23, 0 :: v_dual_mov_b32 v29, 0
	s_delay_alu instid0(VALU_DEP_3)
	v_cmp_gt_u32_e64 s0, s24, v15
	v_dual_mov_b32 v15, 0 :: v_dual_mov_b32 v22, 0
	v_dual_mov_b32 v28, 0 :: v_dual_mov_b32 v32, 0
	;; [unrolled: 1-line block ×4, first 2 shown]
	s_mov_b32 s11, 0
	s_wait_xcnt 0x0
	s_and_saveexec_b32 s10, s0
	s_cbranch_execz .LBB34_28
; %bb.15:
	global_load_b32 v22, v[4:5], off offset:9216
	global_load_b32 v15, v[6:7], off offset:9216
	v_or_b32_e32 v20, 0xa00, v0
	v_dual_mov_b32 v23, 0 :: v_dual_mov_b32 v29, 0
	v_dual_mov_b32 v28, 0 :: v_dual_mov_b32 v32, 0
	s_delay_alu instid0(VALU_DEP_3)
	v_cmp_gt_u32_e64 s0, s24, v20
	v_dual_mov_b32 v20, 0 :: v_dual_mov_b32 v24, 0
	v_dual_mov_b32 v33, 0 :: v_dual_mov_b32 v34, 0
	;; [unrolled: 1-line block ×3, first 2 shown]
	s_mov_b32 s12, 0
	s_wait_xcnt 0x0
	s_and_saveexec_b32 s11, s0
	s_cbranch_execz .LBB34_27
; %bb.16:
	global_load_b32 v24, v[4:5], off offset:10240
	global_load_b32 v20, v[6:7], off offset:10240
	v_or_b32_e32 v23, 0xb00, v0
	v_dual_mov_b32 v28, 0 :: v_dual_mov_b32 v32, 0
	v_dual_mov_b32 v33, 0 :: v_dual_mov_b32 v34, 0
	s_delay_alu instid0(VALU_DEP_3)
	v_cmp_gt_u32_e64 s0, s24, v23
	v_dual_mov_b32 v23, 0 :: v_dual_mov_b32 v29, 0
	v_dual_mov_b32 v35, 0 :: v_dual_mov_b32 v36, 0
	s_mov_b32 s13, 0
	s_wait_xcnt 0x0
	s_and_saveexec_b32 s12, s0
	s_cbranch_execz .LBB34_26
; %bb.17:
	global_load_b32 v29, v[4:5], off offset:11264
	global_load_b32 v23, v[6:7], off offset:11264
	v_or_b32_e32 v28, 0xc00, v0
	v_dual_mov_b32 v33, 0 :: v_dual_mov_b32 v34, 0
	v_dual_mov_b32 v35, 0 :: v_dual_mov_b32 v36, 0
	s_delay_alu instid0(VALU_DEP_3)
	v_cmp_gt_u32_e64 s0, s24, v28
	v_dual_mov_b32 v28, 0 :: v_dual_mov_b32 v32, 0
	s_mov_b32 s14, 0
	s_wait_xcnt 0x0
	s_and_saveexec_b32 s13, s0
	s_cbranch_execz .LBB34_25
; %bb.18:
	global_load_b32 v32, v[4:5], off offset:12288
	global_load_b32 v28, v[6:7], off offset:12288
	v_or_b32_e32 v33, 0xd00, v0
	v_dual_mov_b32 v35, 0 :: v_dual_mov_b32 v36, 0
	s_mov_b32 s18, 0
	v_mov_b32_e32 v34, 0
	s_delay_alu instid0(VALU_DEP_3)
	v_cmp_gt_u32_e64 s0, s24, v33
	v_mov_b32_e32 v33, 0
	s_wait_xcnt 0x0
	s_and_saveexec_b32 s14, s0
	s_cbranch_execz .LBB34_24
; %bb.19:
	global_load_b32 v34, v[4:5], off offset:13312
	global_load_b32 v33, v[6:7], off offset:13312
	v_or_b32_e32 v35, 0xe00, v0
	s_mov_b32 s19, 0
	v_mov_b32_e32 v36, 0
	s_delay_alu instid0(VALU_DEP_2)
	v_cmp_gt_u32_e64 s0, s24, v35
	v_mov_b32_e32 v35, 0
	s_wait_xcnt 0x0
	s_and_saveexec_b32 s18, s0
	s_cbranch_execz .LBB34_23
; %bb.20:
	global_load_b32 v36, v[4:5], off offset:14336
	global_load_b32 v35, v[6:7], off offset:14336
	v_or_b32_e32 v37, 0xf00, v0
	s_mov_b32 s21, 0
	s_mov_b32 s19, exec_lo
	s_wait_xcnt 0x0
	s_delay_alu instid0(VALU_DEP_1)
	v_cmpx_gt_u32_e64 s24, v37
	s_cbranch_execz .LBB34_22
; %bb.21:
	global_load_b32 v37, v[4:5], off offset:15360
	global_load_b32 v38, v[6:7], off offset:15360
	s_wait_loadcnt 0x0
	v_cmp_ne_u32_e64 s0, v37, v38
	s_and_b32 s21, s0, exec_lo
.LBB34_22:
	s_wait_xcnt 0x0
	s_or_b32 exec_lo, exec_lo, s19
	s_delay_alu instid0(SALU_CYCLE_1)
	s_and_b32 s19, s21, exec_lo
.LBB34_23:
	s_or_b32 exec_lo, exec_lo, s18
	s_delay_alu instid0(SALU_CYCLE_1)
	s_and_b32 s18, s19, exec_lo
.LBB34_24:
	s_or_b32 exec_lo, exec_lo, s14
	s_delay_alu instid0(SALU_CYCLE_1)
	s_and_b32 s14, s18, exec_lo
.LBB34_25:
	s_or_b32 exec_lo, exec_lo, s13
	s_delay_alu instid0(SALU_CYCLE_1)
	s_and_b32 s13, s14, exec_lo
.LBB34_26:
	s_or_b32 exec_lo, exec_lo, s12
	s_delay_alu instid0(SALU_CYCLE_1)
	s_and_b32 s12, s13, exec_lo
.LBB34_27:
	s_or_b32 exec_lo, exec_lo, s11
	s_delay_alu instid0(SALU_CYCLE_1)
	s_and_b32 s11, s12, exec_lo
.LBB34_28:
	s_or_b32 exec_lo, exec_lo, s10
	s_delay_alu instid0(SALU_CYCLE_1)
	s_and_b32 s10, s11, exec_lo
.LBB34_29:
	s_or_b32 exec_lo, exec_lo, s9
	s_delay_alu instid0(SALU_CYCLE_1)
	s_and_b32 s9, s10, exec_lo
.LBB34_30:
	s_or_b32 exec_lo, exec_lo, s8
	s_delay_alu instid0(SALU_CYCLE_1)
	s_and_b32 s8, s9, exec_lo
.LBB34_31:
	s_or_b32 exec_lo, exec_lo, s7
	s_delay_alu instid0(SALU_CYCLE_1)
	s_and_b32 s7, s8, exec_lo
.LBB34_32:
	s_or_b32 exec_lo, exec_lo, s6
	s_delay_alu instid0(SALU_CYCLE_1)
	s_and_b32 s6, s7, exec_lo
.LBB34_33:
	s_or_b32 exec_lo, exec_lo, s5
	s_delay_alu instid0(SALU_CYCLE_1)
	s_and_b32 s5, s6, exec_lo
.LBB34_34:
	s_or_b32 exec_lo, exec_lo, s4
	s_wait_loadcnt 0x0
	v_dual_mov_b32 v4, v3 :: v_dual_mov_b32 v3, v2
	s_and_b32 s4, s5, exec_lo
.LBB34_35:
	s_or_b32 exec_lo, exec_lo, s3
	s_delay_alu instid0(SALU_CYCLE_1)
	s_and_b32 s3, s4, exec_lo
.LBB34_36:
	s_or_b32 exec_lo, exec_lo, s2
	s_delay_alu instid0(SALU_CYCLE_1)
	s_and_b32 s0, s3, exec_lo
.LBB34_37:
	s_or_b32 exec_lo, exec_lo, s1
	s_cmp_eq_u32 s15, 0
	s_cselect_b32 s1, -1, 0
	s_and_saveexec_b32 s2, vcc_lo
	s_cbranch_execnz .LBB34_55
; %bb.38:
	s_or_b32 exec_lo, exec_lo, s2
	s_delay_alu instid0(SALU_CYCLE_1)
	s_mov_b32 s2, exec_lo
	v_cmpx_gt_i32_e64 s24, v0
	s_cbranch_execnz .LBB34_56
.LBB34_39:
	s_or_b32 exec_lo, exec_lo, s2
	s_delay_alu instid0(SALU_CYCLE_1)
	s_mov_b32 s2, exec_lo
	v_cmpx_gt_i32_e64 s24, v0
	s_cbranch_execnz .LBB34_57
.LBB34_40:
	s_or_b32 exec_lo, exec_lo, s2
	s_delay_alu instid0(SALU_CYCLE_1)
	s_mov_b32 s2, exec_lo
	v_cmpx_gt_i32_e64 s24, v0
	s_cbranch_execnz .LBB34_58
.LBB34_41:
	s_or_b32 exec_lo, exec_lo, s2
	s_delay_alu instid0(SALU_CYCLE_1)
	s_mov_b32 s2, exec_lo
	v_cmpx_gt_i32_e64 s24, v0
	s_cbranch_execnz .LBB34_59
.LBB34_42:
	s_or_b32 exec_lo, exec_lo, s2
	s_delay_alu instid0(SALU_CYCLE_1)
	s_mov_b32 s2, exec_lo
	v_cmpx_gt_i32_e64 s24, v0
	s_cbranch_execnz .LBB34_60
.LBB34_43:
	s_or_b32 exec_lo, exec_lo, s2
	s_delay_alu instid0(SALU_CYCLE_1)
	s_mov_b32 s2, exec_lo
	v_cmpx_gt_i32_e64 s24, v0
	s_cbranch_execnz .LBB34_61
.LBB34_44:
	s_or_b32 exec_lo, exec_lo, s2
	s_delay_alu instid0(SALU_CYCLE_1)
	s_mov_b32 s2, exec_lo
	v_cmpx_gt_i32_e64 s24, v0
	s_cbranch_execnz .LBB34_62
.LBB34_45:
	s_or_b32 exec_lo, exec_lo, s2
	s_delay_alu instid0(SALU_CYCLE_1)
	s_mov_b32 s2, exec_lo
	v_cmpx_gt_i32_e64 s24, v0
	s_cbranch_execnz .LBB34_63
.LBB34_46:
	s_or_b32 exec_lo, exec_lo, s2
	s_delay_alu instid0(SALU_CYCLE_1)
	s_mov_b32 s2, exec_lo
	v_cmpx_gt_i32_e64 s24, v0
	s_cbranch_execnz .LBB34_64
.LBB34_47:
	s_or_b32 exec_lo, exec_lo, s2
	s_delay_alu instid0(SALU_CYCLE_1)
	s_mov_b32 s2, exec_lo
	v_cmpx_gt_i32_e64 s24, v0
	s_cbranch_execnz .LBB34_65
.LBB34_48:
	s_or_b32 exec_lo, exec_lo, s2
	s_delay_alu instid0(SALU_CYCLE_1)
	s_mov_b32 s2, exec_lo
	v_cmpx_gt_i32_e64 s24, v0
	s_cbranch_execnz .LBB34_66
.LBB34_49:
	s_or_b32 exec_lo, exec_lo, s2
	s_delay_alu instid0(SALU_CYCLE_1)
	s_mov_b32 s2, exec_lo
	v_cmpx_gt_i32_e64 s24, v0
	s_cbranch_execnz .LBB34_67
.LBB34_50:
	s_or_b32 exec_lo, exec_lo, s2
	s_delay_alu instid0(SALU_CYCLE_1)
	s_mov_b32 s2, exec_lo
	v_cmpx_gt_i32_e64 s24, v0
	s_cbranch_execnz .LBB34_68
.LBB34_51:
	s_or_b32 exec_lo, exec_lo, s2
	s_delay_alu instid0(SALU_CYCLE_1)
	s_mov_b32 s2, exec_lo
	v_cmpx_gt_i32_e64 s24, v0
	s_cbranch_execnz .LBB34_69
.LBB34_52:
	s_or_b32 exec_lo, exec_lo, s2
	s_delay_alu instid0(SALU_CYCLE_1)
	s_mov_b32 s2, exec_lo
	v_cmpx_gt_i32_e64 s24, v0
	s_cbranch_execz .LBB34_54
.LBB34_53:
	s_xor_b32 s0, s1, s0
	v_add_nc_u32_e32 v0, s20, v0
	v_cndmask_b32_e64 v1, 0, 1, s0
	global_store_b8 v0, v1, s[16:17]
.LBB34_54:
	s_endpgm
.LBB34_55:
	s_wait_loadcnt 0x0
	v_cmp_ne_u32_e32 vcc_lo, v30, v31
	v_mov_b32_e32 v0, v1
	s_xor_b32 s3, s1, vcc_lo
	s_delay_alu instid0(SALU_CYCLE_1) | instskip(SKIP_3) | instid1(SALU_CYCLE_1)
	v_cndmask_b32_e64 v2, 0, 1, s3
	global_store_b8 v8, v2, s[16:17]
	s_wait_xcnt 0x0
	s_or_b32 exec_lo, exec_lo, s2
	s_mov_b32 s2, exec_lo
	v_cmpx_gt_i32_e64 s24, v0
	s_cbranch_execz .LBB34_39
.LBB34_56:
	s_wait_loadcnt 0x0
	v_cmp_ne_u32_e32 vcc_lo, v27, v26
	v_add_nc_u32_e32 v2, s20, v0
	v_add_nc_u32_e32 v0, 0x100, v0
	s_xor_b32 s3, s1, vcc_lo
	s_delay_alu instid0(SALU_CYCLE_1) | instskip(SKIP_3) | instid1(SALU_CYCLE_1)
	v_cndmask_b32_e64 v1, 0, 1, s3
	global_store_b8 v2, v1, s[16:17]
	s_wait_xcnt 0x0
	s_or_b32 exec_lo, exec_lo, s2
	s_mov_b32 s2, exec_lo
	v_cmpx_gt_i32_e64 s24, v0
	s_cbranch_execz .LBB34_40
.LBB34_57:
	v_cmp_ne_u32_e32 vcc_lo, v25, v3
	v_add_nc_u32_e32 v2, s20, v0
	v_add_nc_u32_e32 v0, 0x100, v0
	s_xor_b32 s3, s1, vcc_lo
	s_delay_alu instid0(SALU_CYCLE_1) | instskip(SKIP_3) | instid1(SALU_CYCLE_1)
	v_cndmask_b32_e64 v1, 0, 1, s3
	global_store_b8 v2, v1, s[16:17]
	s_wait_xcnt 0x0
	s_or_b32 exec_lo, exec_lo, s2
	s_mov_b32 s2, exec_lo
	v_cmpx_gt_i32_e64 s24, v0
	s_cbranch_execz .LBB34_41
.LBB34_58:
	v_cmp_ne_u32_e32 vcc_lo, v21, v4
	v_add_nc_u32_e32 v2, s20, v0
	v_add_nc_u32_e32 v0, 0x100, v0
	s_xor_b32 s3, s1, vcc_lo
	s_delay_alu instid0(SALU_CYCLE_1) | instskip(SKIP_3) | instid1(SALU_CYCLE_1)
	v_cndmask_b32_e64 v1, 0, 1, s3
	global_store_b8 v2, v1, s[16:17]
	s_wait_xcnt 0x0
	s_or_b32 exec_lo, exec_lo, s2
	s_mov_b32 s2, exec_lo
	v_cmpx_gt_i32_e64 s24, v0
	s_cbranch_execz .LBB34_42
.LBB34_59:
	v_cmp_ne_u32_e32 vcc_lo, v18, v13
	v_add_nc_u32_e32 v2, s20, v0
	v_add_nc_u32_e32 v0, 0x100, v0
	s_xor_b32 s3, s1, vcc_lo
	s_delay_alu instid0(SALU_CYCLE_1) | instskip(SKIP_3) | instid1(SALU_CYCLE_1)
	v_cndmask_b32_e64 v1, 0, 1, s3
	global_store_b8 v2, v1, s[16:17]
	s_wait_xcnt 0x0
	s_or_b32 exec_lo, exec_lo, s2
	s_mov_b32 s2, exec_lo
	v_cmpx_gt_i32_e64 s24, v0
	s_cbranch_execz .LBB34_43
.LBB34_60:
	v_cmp_ne_u32_e32 vcc_lo, v16, v11
	v_add_nc_u32_e32 v2, s20, v0
	v_add_nc_u32_e32 v0, 0x100, v0
	s_xor_b32 s3, s1, vcc_lo
	s_delay_alu instid0(SALU_CYCLE_1) | instskip(SKIP_3) | instid1(SALU_CYCLE_1)
	v_cndmask_b32_e64 v1, 0, 1, s3
	global_store_b8 v2, v1, s[16:17]
	s_wait_xcnt 0x0
	s_or_b32 exec_lo, exec_lo, s2
	s_mov_b32 s2, exec_lo
	v_cmpx_gt_i32_e64 s24, v0
	s_cbranch_execz .LBB34_44
.LBB34_61:
	v_cmp_ne_u32_e32 vcc_lo, v14, v9
	v_add_nc_u32_e32 v2, s20, v0
	v_add_nc_u32_e32 v0, 0x100, v0
	s_xor_b32 s3, s1, vcc_lo
	s_delay_alu instid0(SALU_CYCLE_1) | instskip(SKIP_3) | instid1(SALU_CYCLE_1)
	v_cndmask_b32_e64 v1, 0, 1, s3
	global_store_b8 v2, v1, s[16:17]
	s_wait_xcnt 0x0
	s_or_b32 exec_lo, exec_lo, s2
	s_mov_b32 s2, exec_lo
	v_cmpx_gt_i32_e64 s24, v0
	s_cbranch_execz .LBB34_45
.LBB34_62:
	v_cmp_ne_u32_e32 vcc_lo, v17, v10
	v_add_nc_u32_e32 v2, s20, v0
	v_add_nc_u32_e32 v0, 0x100, v0
	s_xor_b32 s3, s1, vcc_lo
	s_delay_alu instid0(SALU_CYCLE_1) | instskip(SKIP_3) | instid1(SALU_CYCLE_1)
	v_cndmask_b32_e64 v1, 0, 1, s3
	global_store_b8 v2, v1, s[16:17]
	s_wait_xcnt 0x0
	s_or_b32 exec_lo, exec_lo, s2
	s_mov_b32 s2, exec_lo
	v_cmpx_gt_i32_e64 s24, v0
	s_cbranch_execz .LBB34_46
.LBB34_63:
	v_cmp_ne_u32_e32 vcc_lo, v19, v12
	v_add_nc_u32_e32 v2, s20, v0
	v_add_nc_u32_e32 v0, 0x100, v0
	s_xor_b32 s3, s1, vcc_lo
	s_delay_alu instid0(SALU_CYCLE_1) | instskip(SKIP_3) | instid1(SALU_CYCLE_1)
	v_cndmask_b32_e64 v1, 0, 1, s3
	global_store_b8 v2, v1, s[16:17]
	s_wait_xcnt 0x0
	s_or_b32 exec_lo, exec_lo, s2
	s_mov_b32 s2, exec_lo
	v_cmpx_gt_i32_e64 s24, v0
	s_cbranch_execz .LBB34_47
.LBB34_64:
	v_cmp_ne_u32_e32 vcc_lo, v22, v15
	v_add_nc_u32_e32 v2, s20, v0
	v_add_nc_u32_e32 v0, 0x100, v0
	s_xor_b32 s3, s1, vcc_lo
	s_delay_alu instid0(SALU_CYCLE_1) | instskip(SKIP_3) | instid1(SALU_CYCLE_1)
	v_cndmask_b32_e64 v1, 0, 1, s3
	global_store_b8 v2, v1, s[16:17]
	s_wait_xcnt 0x0
	s_or_b32 exec_lo, exec_lo, s2
	s_mov_b32 s2, exec_lo
	v_cmpx_gt_i32_e64 s24, v0
	s_cbranch_execz .LBB34_48
.LBB34_65:
	v_cmp_ne_u32_e32 vcc_lo, v24, v20
	v_add_nc_u32_e32 v2, s20, v0
	v_add_nc_u32_e32 v0, 0x100, v0
	s_xor_b32 s3, s1, vcc_lo
	s_delay_alu instid0(SALU_CYCLE_1) | instskip(SKIP_3) | instid1(SALU_CYCLE_1)
	v_cndmask_b32_e64 v1, 0, 1, s3
	global_store_b8 v2, v1, s[16:17]
	s_wait_xcnt 0x0
	s_or_b32 exec_lo, exec_lo, s2
	s_mov_b32 s2, exec_lo
	v_cmpx_gt_i32_e64 s24, v0
	s_cbranch_execz .LBB34_49
.LBB34_66:
	v_cmp_ne_u32_e32 vcc_lo, v29, v23
	v_add_nc_u32_e32 v2, s20, v0
	v_add_nc_u32_e32 v0, 0x100, v0
	s_xor_b32 s3, s1, vcc_lo
	s_delay_alu instid0(SALU_CYCLE_1) | instskip(SKIP_3) | instid1(SALU_CYCLE_1)
	v_cndmask_b32_e64 v1, 0, 1, s3
	global_store_b8 v2, v1, s[16:17]
	s_wait_xcnt 0x0
	s_or_b32 exec_lo, exec_lo, s2
	s_mov_b32 s2, exec_lo
	v_cmpx_gt_i32_e64 s24, v0
	s_cbranch_execz .LBB34_50
.LBB34_67:
	v_cmp_ne_u32_e32 vcc_lo, v32, v28
	v_add_nc_u32_e32 v2, s20, v0
	v_add_nc_u32_e32 v0, 0x100, v0
	s_xor_b32 s3, s1, vcc_lo
	s_delay_alu instid0(SALU_CYCLE_1) | instskip(SKIP_3) | instid1(SALU_CYCLE_1)
	v_cndmask_b32_e64 v1, 0, 1, s3
	global_store_b8 v2, v1, s[16:17]
	s_wait_xcnt 0x0
	s_or_b32 exec_lo, exec_lo, s2
	s_mov_b32 s2, exec_lo
	v_cmpx_gt_i32_e64 s24, v0
	s_cbranch_execz .LBB34_51
.LBB34_68:
	v_cmp_ne_u32_e32 vcc_lo, v34, v33
	v_add_nc_u32_e32 v2, s20, v0
	v_add_nc_u32_e32 v0, 0x100, v0
	s_xor_b32 s3, s1, vcc_lo
	s_delay_alu instid0(SALU_CYCLE_1) | instskip(SKIP_3) | instid1(SALU_CYCLE_1)
	v_cndmask_b32_e64 v1, 0, 1, s3
	global_store_b8 v2, v1, s[16:17]
	s_wait_xcnt 0x0
	s_or_b32 exec_lo, exec_lo, s2
	s_mov_b32 s2, exec_lo
	v_cmpx_gt_i32_e64 s24, v0
	s_cbranch_execz .LBB34_52
.LBB34_69:
	v_cmp_ne_u32_e32 vcc_lo, v36, v35
	v_add_nc_u32_e32 v2, s20, v0
	v_add_nc_u32_e32 v0, 0x100, v0
	s_xor_b32 s3, s1, vcc_lo
	s_delay_alu instid0(SALU_CYCLE_1) | instskip(SKIP_3) | instid1(SALU_CYCLE_1)
	v_cndmask_b32_e64 v1, 0, 1, s3
	global_store_b8 v2, v1, s[16:17]
	s_wait_xcnt 0x0
	s_or_b32 exec_lo, exec_lo, s2
	s_mov_b32 s2, exec_lo
	v_cmpx_gt_i32_e64 s24, v0
	s_cbranch_execnz .LBB34_53
	s_branch .LBB34_54
	.section	.rodata,"a",@progbits
	.p2align	6, 0x0
	.amdhsa_kernel _ZN2at6native29vectorized_elementwise_kernelILi4ENS0_13BinaryFunctorIiibNS0_12_GLOBAL__N_116CompareEqFunctorIiEEEESt5arrayIPcLm3EEEEviT0_T1_
		.amdhsa_group_segment_fixed_size 0
		.amdhsa_private_segment_fixed_size 0
		.amdhsa_kernarg_size 32
		.amdhsa_user_sgpr_count 2
		.amdhsa_user_sgpr_dispatch_ptr 0
		.amdhsa_user_sgpr_queue_ptr 0
		.amdhsa_user_sgpr_kernarg_segment_ptr 1
		.amdhsa_user_sgpr_dispatch_id 0
		.amdhsa_user_sgpr_kernarg_preload_length 0
		.amdhsa_user_sgpr_kernarg_preload_offset 0
		.amdhsa_user_sgpr_private_segment_size 0
		.amdhsa_wavefront_size32 1
		.amdhsa_uses_dynamic_stack 0
		.amdhsa_enable_private_segment 0
		.amdhsa_system_sgpr_workgroup_id_x 1
		.amdhsa_system_sgpr_workgroup_id_y 0
		.amdhsa_system_sgpr_workgroup_id_z 0
		.amdhsa_system_sgpr_workgroup_info 0
		.amdhsa_system_vgpr_workitem_id 0
		.amdhsa_next_free_vgpr 39
		.amdhsa_next_free_sgpr 27
		.amdhsa_named_barrier_count 0
		.amdhsa_reserve_vcc 1
		.amdhsa_float_round_mode_32 0
		.amdhsa_float_round_mode_16_64 0
		.amdhsa_float_denorm_mode_32 3
		.amdhsa_float_denorm_mode_16_64 3
		.amdhsa_fp16_overflow 0
		.amdhsa_memory_ordered 1
		.amdhsa_forward_progress 1
		.amdhsa_inst_pref_size 36
		.amdhsa_round_robin_scheduling 0
		.amdhsa_exception_fp_ieee_invalid_op 0
		.amdhsa_exception_fp_denorm_src 0
		.amdhsa_exception_fp_ieee_div_zero 0
		.amdhsa_exception_fp_ieee_overflow 0
		.amdhsa_exception_fp_ieee_underflow 0
		.amdhsa_exception_fp_ieee_inexact 0
		.amdhsa_exception_int_div_zero 0
	.end_amdhsa_kernel
	.section	.text._ZN2at6native29vectorized_elementwise_kernelILi4ENS0_13BinaryFunctorIiibNS0_12_GLOBAL__N_116CompareEqFunctorIiEEEESt5arrayIPcLm3EEEEviT0_T1_,"axG",@progbits,_ZN2at6native29vectorized_elementwise_kernelILi4ENS0_13BinaryFunctorIiibNS0_12_GLOBAL__N_116CompareEqFunctorIiEEEESt5arrayIPcLm3EEEEviT0_T1_,comdat
.Lfunc_end34:
	.size	_ZN2at6native29vectorized_elementwise_kernelILi4ENS0_13BinaryFunctorIiibNS0_12_GLOBAL__N_116CompareEqFunctorIiEEEESt5arrayIPcLm3EEEEviT0_T1_, .Lfunc_end34-_ZN2at6native29vectorized_elementwise_kernelILi4ENS0_13BinaryFunctorIiibNS0_12_GLOBAL__N_116CompareEqFunctorIiEEEESt5arrayIPcLm3EEEEviT0_T1_
                                        ; -- End function
	.set _ZN2at6native29vectorized_elementwise_kernelILi4ENS0_13BinaryFunctorIiibNS0_12_GLOBAL__N_116CompareEqFunctorIiEEEESt5arrayIPcLm3EEEEviT0_T1_.num_vgpr, 39
	.set _ZN2at6native29vectorized_elementwise_kernelILi4ENS0_13BinaryFunctorIiibNS0_12_GLOBAL__N_116CompareEqFunctorIiEEEESt5arrayIPcLm3EEEEviT0_T1_.num_agpr, 0
	.set _ZN2at6native29vectorized_elementwise_kernelILi4ENS0_13BinaryFunctorIiibNS0_12_GLOBAL__N_116CompareEqFunctorIiEEEESt5arrayIPcLm3EEEEviT0_T1_.numbered_sgpr, 27
	.set _ZN2at6native29vectorized_elementwise_kernelILi4ENS0_13BinaryFunctorIiibNS0_12_GLOBAL__N_116CompareEqFunctorIiEEEESt5arrayIPcLm3EEEEviT0_T1_.num_named_barrier, 0
	.set _ZN2at6native29vectorized_elementwise_kernelILi4ENS0_13BinaryFunctorIiibNS0_12_GLOBAL__N_116CompareEqFunctorIiEEEESt5arrayIPcLm3EEEEviT0_T1_.private_seg_size, 0
	.set _ZN2at6native29vectorized_elementwise_kernelILi4ENS0_13BinaryFunctorIiibNS0_12_GLOBAL__N_116CompareEqFunctorIiEEEESt5arrayIPcLm3EEEEviT0_T1_.uses_vcc, 1
	.set _ZN2at6native29vectorized_elementwise_kernelILi4ENS0_13BinaryFunctorIiibNS0_12_GLOBAL__N_116CompareEqFunctorIiEEEESt5arrayIPcLm3EEEEviT0_T1_.uses_flat_scratch, 0
	.set _ZN2at6native29vectorized_elementwise_kernelILi4ENS0_13BinaryFunctorIiibNS0_12_GLOBAL__N_116CompareEqFunctorIiEEEESt5arrayIPcLm3EEEEviT0_T1_.has_dyn_sized_stack, 0
	.set _ZN2at6native29vectorized_elementwise_kernelILi4ENS0_13BinaryFunctorIiibNS0_12_GLOBAL__N_116CompareEqFunctorIiEEEESt5arrayIPcLm3EEEEviT0_T1_.has_recursion, 0
	.set _ZN2at6native29vectorized_elementwise_kernelILi4ENS0_13BinaryFunctorIiibNS0_12_GLOBAL__N_116CompareEqFunctorIiEEEESt5arrayIPcLm3EEEEviT0_T1_.has_indirect_call, 0
	.section	.AMDGPU.csdata,"",@progbits
; Kernel info:
; codeLenInByte = 4512
; TotalNumSgprs: 29
; NumVgprs: 39
; ScratchSize: 0
; MemoryBound: 0
; FloatMode: 240
; IeeeMode: 1
; LDSByteSize: 0 bytes/workgroup (compile time only)
; SGPRBlocks: 0
; VGPRBlocks: 2
; NumSGPRsForWavesPerEU: 29
; NumVGPRsForWavesPerEU: 39
; NamedBarCnt: 0
; Occupancy: 16
; WaveLimiterHint : 1
; COMPUTE_PGM_RSRC2:SCRATCH_EN: 0
; COMPUTE_PGM_RSRC2:USER_SGPR: 2
; COMPUTE_PGM_RSRC2:TRAP_HANDLER: 0
; COMPUTE_PGM_RSRC2:TGID_X_EN: 1
; COMPUTE_PGM_RSRC2:TGID_Y_EN: 0
; COMPUTE_PGM_RSRC2:TGID_Z_EN: 0
; COMPUTE_PGM_RSRC2:TIDIG_COMP_CNT: 0
	.section	.text._ZN2at6native29vectorized_elementwise_kernelILi2ENS0_13BinaryFunctorIiibNS0_12_GLOBAL__N_116CompareEqFunctorIiEEEESt5arrayIPcLm3EEEEviT0_T1_,"axG",@progbits,_ZN2at6native29vectorized_elementwise_kernelILi2ENS0_13BinaryFunctorIiibNS0_12_GLOBAL__N_116CompareEqFunctorIiEEEESt5arrayIPcLm3EEEEviT0_T1_,comdat
	.globl	_ZN2at6native29vectorized_elementwise_kernelILi2ENS0_13BinaryFunctorIiibNS0_12_GLOBAL__N_116CompareEqFunctorIiEEEESt5arrayIPcLm3EEEEviT0_T1_ ; -- Begin function _ZN2at6native29vectorized_elementwise_kernelILi2ENS0_13BinaryFunctorIiibNS0_12_GLOBAL__N_116CompareEqFunctorIiEEEESt5arrayIPcLm3EEEEviT0_T1_
	.p2align	8
	.type	_ZN2at6native29vectorized_elementwise_kernelILi2ENS0_13BinaryFunctorIiibNS0_12_GLOBAL__N_116CompareEqFunctorIiEEEESt5arrayIPcLm3EEEEviT0_T1_,@function
_ZN2at6native29vectorized_elementwise_kernelILi2ENS0_13BinaryFunctorIiibNS0_12_GLOBAL__N_116CompareEqFunctorIiEEEESt5arrayIPcLm3EEEEviT0_T1_: ; @_ZN2at6native29vectorized_elementwise_kernelILi2ENS0_13BinaryFunctorIiibNS0_12_GLOBAL__N_116CompareEqFunctorIiEEEESt5arrayIPcLm3EEEEviT0_T1_
; %bb.0:
	s_clause 0x2
	s_load_b64 s[14:15], s[0:1], 0x0
	s_load_b128 s[16:19], s[0:1], 0x8
	s_load_b64 s[22:23], s[0:1], 0x18
	s_wait_xcnt 0x0
	s_bfe_u32 s0, ttmp6, 0x4000c
	s_and_b32 s1, ttmp6, 15
	s_add_co_i32 s0, s0, 1
	s_getreg_b32 s2, hwreg(HW_REG_IB_STS2, 6, 4)
	s_mul_i32 s0, ttmp9, s0
	s_mov_b32 s25, -1
	s_add_co_i32 s1, s1, s0
	s_cmp_eq_u32 s2, 0
	s_cselect_b32 s0, ttmp9, s1
	s_delay_alu instid0(SALU_CYCLE_1) | instskip(SKIP_2) | instid1(SALU_CYCLE_1)
	s_lshl_b32 s20, s0, 12
	s_wait_kmcnt 0x0
	s_sub_co_i32 s24, s14, s20
	s_cmp_gt_i32 s24, 0xfff
	s_cbranch_scc0 .LBB35_2
; %bb.1:
	s_ashr_i32 s21, s20, 31
	s_mov_b32 s25, 0
	s_lshl_b64 s[0:1], s[20:21], 2
	s_cmp_eq_u32 s15, 0
	s_add_nc_u64 s[2:3], s[22:23], s[0:1]
	s_add_nc_u64 s[0:1], s[18:19], s[0:1]
	s_clause 0xf
	global_load_b64 v[2:3], v0, s[2:3] scale_offset
	global_load_b64 v[4:5], v0, s[0:1] scale_offset
	global_load_b64 v[6:7], v0, s[0:1] offset:2048 scale_offset
	global_load_b64 v[8:9], v0, s[2:3] offset:2048 scale_offset
	;; [unrolled: 1-line block ×13, first 2 shown]
	; meta instruction
	global_load_b64 v[32:33], v0, s[2:3] offset:14336 scale_offset
	s_add_nc_u64 s[26:27], s[16:17], s[20:21]
	s_cselect_b32 s21, -1, 0
	s_wait_loadcnt 0xe
	s_wait_xcnt 0x1
	v_cmp_ne_u32_e64 s0, v5, v3
	v_cmp_ne_u32_e32 vcc_lo, v4, v2
	s_wait_loadcnt 0xc
	v_cmp_ne_u32_e64 s1, v6, v8
	s_wait_xcnt 0x0
	v_cmp_ne_u32_e64 s2, v7, v9
	s_wait_loadcnt 0xa
	v_cmp_ne_u32_e64 s3, v12, v10
	s_xor_b32 s0, s21, s0
	v_cmp_ne_u32_e64 s4, v13, v11
	v_cndmask_b32_e64 v2, 0, 0x100, s0
	s_xor_b32 s0, s21, s1
	s_wait_loadcnt 0x8
	v_cmp_ne_u32_e64 s5, v14, v16
	v_cndmask_b32_e64 v3, 0, 1, s0
	s_xor_b32 s0, s21, s2
	v_cmp_ne_u32_e64 s6, v15, v17
	v_cndmask_b32_e64 v4, 0, 0x100, s0
	s_xor_b32 s0, s21, s3
	s_wait_loadcnt 0x6
	v_cmp_ne_u32_e64 s7, v20, v18
	v_cndmask_b32_e64 v5, 0, 1, s0
	;; [unrolled: 7-line block ×5, first 2 shown]
	s_xor_b32 s0, s21, s10
	v_cmp_ne_u32_e64 s14, v31, v33
	v_cndmask_b32_e64 v12, 0, 0x100, s0
	s_xor_b32 s0, s21, s11
	s_xor_b32 s28, s21, vcc_lo
	v_cndmask_b32_e64 v13, 0, 1, s0
	s_xor_b32 s0, s21, s12
	v_cndmask_b32_e64 v1, 0, 1, s28
	v_cndmask_b32_e64 v14, 0, 0x100, s0
	s_xor_b32 s0, s21, s13
	s_delay_alu instid0(SALU_CYCLE_1)
	v_cndmask_b32_e64 v15, 0, 1, s0
	s_xor_b32 s0, s21, s14
	v_or_b32_e32 v1, v2, v1
	v_cndmask_b32_e64 v16, 0, 0x100, s0
	v_or_b32_e32 v2, v4, v3
	v_or_b32_e32 v3, v6, v5
	;; [unrolled: 1-line block ×7, first 2 shown]
	s_clause 0x7
	global_store_b16 v0, v1, s[26:27] scale_offset
	global_store_b16 v0, v2, s[26:27] offset:512 scale_offset
	global_store_b16 v0, v3, s[26:27] offset:1024 scale_offset
	global_store_b16 v0, v4, s[26:27] offset:1536 scale_offset
	global_store_b16 v0, v5, s[26:27] offset:2048 scale_offset
	global_store_b16 v0, v6, s[26:27] offset:2560 scale_offset
	global_store_b16 v0, v7, s[26:27] offset:3072 scale_offset
	global_store_b16 v0, v8, s[26:27] offset:3584 scale_offset
.LBB35_2:
	s_and_not1_b32 vcc_lo, exec_lo, s25
	s_cbranch_vccnz .LBB35_54
; %bb.3:
	v_cmp_le_i32_e64 s0, s24, v0
	s_wait_xcnt 0x7
	v_or_b32_e32 v1, 0x100, v0
	v_cmp_gt_i32_e32 vcc_lo, s24, v0
	s_wait_xcnt 0x0
	s_and_saveexec_b32 s1, s0
	s_delay_alu instid0(SALU_CYCLE_1)
	s_xor_b32 s0, exec_lo, s1
; %bb.4:
	v_or_b32_e32 v1, 0x100, v0
; %bb.5:
	s_or_saveexec_b32 s1, s0
	v_dual_mov_b32 v36, 0 :: v_dual_bitop2_b32 v8, s20, v0 bitop3:0x54
	v_dual_mov_b32 v35, 0 :: v_dual_mov_b32 v34, 0
	v_dual_mov_b32 v33, 0 :: v_dual_mov_b32 v32, 0
	;; [unrolled: 1-line block ×14, first 2 shown]
	v_mov_b32_e32 v31, 0
	s_mov_b32 s0, 0
	s_xor_b32 exec_lo, exec_lo, s1
	s_cbranch_execz .LBB35_37
; %bb.6:
	s_clause 0x1
	global_load_b32 v30, v8, s[18:19] scale_offset
	global_load_b32 v31, v8, s[22:23] scale_offset
	v_cmp_gt_u32_e64 s0, s24, v1
	v_dual_mov_b32 v26, 0 :: v_dual_mov_b32 v27, 0
	v_dual_mov_b32 v3, 0 :: v_dual_mov_b32 v25, 0
	;; [unrolled: 1-line block ×14, first 2 shown]
	s_mov_b32 s3, 0
	s_wait_xcnt 0x0
	s_and_saveexec_b32 s2, s0
	s_cbranch_execz .LBB35_36
; %bb.7:
	v_dual_mov_b32 v3, 0 :: v_dual_add_nc_u32 v2, s20, v0
	v_or_b32_e32 v4, 0x200, v0
	v_dual_mov_b32 v25, 0 :: v_dual_mov_b32 v21, 0
	v_mov_b32_e32 v13, 0
	s_clause 0x1
	global_load_b32 v27, v2, s[18:19] offset:1024 scale_offset
	global_load_b32 v26, v2, s[22:23] offset:1024 scale_offset
	v_cmp_gt_u32_e64 s0, s24, v4
	v_dual_mov_b32 v4, 0 :: v_dual_mov_b32 v18, 0
	v_dual_mov_b32 v11, 0 :: v_dual_mov_b32 v16, 0
	;; [unrolled: 1-line block ×11, first 2 shown]
	s_mov_b32 s4, 0
	s_wait_xcnt 0x0
	s_and_saveexec_b32 s3, s0
	s_cbranch_execz .LBB35_35
; %bb.8:
	v_lshlrev_b64_e32 v[6:7], 2, v[2:3]
	v_or_b32_e32 v9, 0x300, v0
	v_dual_mov_b32 v21, 0 :: v_dual_mov_b32 v13, 0
	v_dual_mov_b32 v18, 0 :: v_dual_mov_b32 v11, 0
	s_delay_alu instid0(VALU_DEP_3)
	v_cmp_gt_u32_e64 s0, s24, v9
	v_add_nc_u64_e32 v[4:5], s[18:19], v[6:7]
	v_add_nc_u64_e32 v[6:7], s[22:23], v[6:7]
	v_dual_mov_b32 v16, 0 :: v_dual_mov_b32 v9, 0
	v_dual_mov_b32 v14, 0 :: v_dual_mov_b32 v10, 0
	;; [unrolled: 1-line block ×3, first 2 shown]
	global_load_b32 v25, v[4:5], off offset:2048
	global_load_b32 v2, v[6:7], off offset:2048
	v_dual_mov_b32 v19, 0 :: v_dual_mov_b32 v15, 0
	v_dual_mov_b32 v22, 0 :: v_dual_mov_b32 v20, 0
	;; [unrolled: 1-line block ×6, first 2 shown]
	v_mov_b32_e32 v36, 0
	s_mov_b32 s5, 0
	s_wait_xcnt 0x0
	s_and_saveexec_b32 s4, s0
	s_cbranch_execz .LBB35_34
; %bb.9:
	global_load_b32 v21, v[4:5], off offset:3072
	global_load_b32 v3, v[6:7], off offset:3072
	v_or_b32_e32 v9, 0x400, v0
	v_dual_mov_b32 v13, 0 :: v_dual_mov_b32 v18, 0
	v_dual_mov_b32 v11, 0 :: v_dual_mov_b32 v16, 0
	s_delay_alu instid0(VALU_DEP_3)
	v_cmp_gt_u32_e64 s0, s24, v9
	v_dual_mov_b32 v9, 0 :: v_dual_mov_b32 v14, 0
	v_dual_mov_b32 v10, 0 :: v_dual_mov_b32 v17, 0
	;; [unrolled: 1-line block ×9, first 2 shown]
	s_mov_b32 s6, 0
	s_wait_xcnt 0x0
	s_and_saveexec_b32 s5, s0
	s_cbranch_execz .LBB35_33
; %bb.10:
	global_load_b32 v18, v[4:5], off offset:4096
	global_load_b32 v13, v[6:7], off offset:4096
	v_or_b32_e32 v9, 0x500, v0
	v_dual_mov_b32 v11, 0 :: v_dual_mov_b32 v16, 0
	v_dual_mov_b32 v10, 0 :: v_dual_mov_b32 v17, 0
	s_delay_alu instid0(VALU_DEP_3)
	v_cmp_gt_u32_e64 s0, s24, v9
	v_dual_mov_b32 v9, 0 :: v_dual_mov_b32 v14, 0
	v_dual_mov_b32 v12, 0 :: v_dual_mov_b32 v19, 0
	;; [unrolled: 1-line block ×8, first 2 shown]
	s_mov_b32 s7, 0
	s_wait_xcnt 0x0
	s_and_saveexec_b32 s6, s0
	s_cbranch_execz .LBB35_32
; %bb.11:
	global_load_b32 v16, v[4:5], off offset:5120
	global_load_b32 v11, v[6:7], off offset:5120
	v_or_b32_e32 v9, 0x600, v0
	v_dual_mov_b32 v10, 0 :: v_dual_mov_b32 v17, 0
	v_dual_mov_b32 v12, 0 :: v_dual_mov_b32 v19, 0
	s_delay_alu instid0(VALU_DEP_3)
	v_cmp_gt_u32_e64 s0, s24, v9
	v_dual_mov_b32 v9, 0 :: v_dual_mov_b32 v14, 0
	v_dual_mov_b32 v15, 0 :: v_dual_mov_b32 v22, 0
	;; [unrolled: 1-line block ×7, first 2 shown]
	s_mov_b32 s8, 0
	s_wait_xcnt 0x0
	s_and_saveexec_b32 s7, s0
	s_cbranch_execz .LBB35_31
; %bb.12:
	global_load_b32 v14, v[4:5], off offset:6144
	global_load_b32 v9, v[6:7], off offset:6144
	v_or_b32_e32 v10, 0x700, v0
	v_dual_mov_b32 v12, 0 :: v_dual_mov_b32 v19, 0
	v_dual_mov_b32 v15, 0 :: v_dual_mov_b32 v22, 0
	s_delay_alu instid0(VALU_DEP_3)
	v_cmp_gt_u32_e64 s0, s24, v10
	v_dual_mov_b32 v10, 0 :: v_dual_mov_b32 v17, 0
	v_dual_mov_b32 v20, 0 :: v_dual_mov_b32 v24, 0
	;; [unrolled: 1-line block ×6, first 2 shown]
	s_mov_b32 s9, 0
	s_wait_xcnt 0x0
	s_and_saveexec_b32 s8, s0
	s_cbranch_execz .LBB35_30
; %bb.13:
	global_load_b32 v17, v[4:5], off offset:7168
	global_load_b32 v10, v[6:7], off offset:7168
	v_or_b32_e32 v12, 0x800, v0
	v_dual_mov_b32 v15, 0 :: v_dual_mov_b32 v22, 0
	v_dual_mov_b32 v20, 0 :: v_dual_mov_b32 v24, 0
	s_delay_alu instid0(VALU_DEP_3)
	v_cmp_gt_u32_e64 s0, s24, v12
	v_dual_mov_b32 v12, 0 :: v_dual_mov_b32 v19, 0
	v_dual_mov_b32 v23, 0 :: v_dual_mov_b32 v29, 0
	;; [unrolled: 1-line block ×5, first 2 shown]
	s_mov_b32 s10, 0
	s_wait_xcnt 0x0
	s_and_saveexec_b32 s9, s0
	s_cbranch_execz .LBB35_29
; %bb.14:
	global_load_b32 v19, v[4:5], off offset:8192
	global_load_b32 v12, v[6:7], off offset:8192
	v_or_b32_e32 v15, 0x900, v0
	v_dual_mov_b32 v20, 0 :: v_dual_mov_b32 v24, 0
	v_dual_mov_b32 v23, 0 :: v_dual_mov_b32 v29, 0
	s_delay_alu instid0(VALU_DEP_3)
	v_cmp_gt_u32_e64 s0, s24, v15
	v_dual_mov_b32 v15, 0 :: v_dual_mov_b32 v22, 0
	v_dual_mov_b32 v28, 0 :: v_dual_mov_b32 v32, 0
	;; [unrolled: 1-line block ×4, first 2 shown]
	s_mov_b32 s11, 0
	s_wait_xcnt 0x0
	s_and_saveexec_b32 s10, s0
	s_cbranch_execz .LBB35_28
; %bb.15:
	global_load_b32 v22, v[4:5], off offset:9216
	global_load_b32 v15, v[6:7], off offset:9216
	v_or_b32_e32 v20, 0xa00, v0
	v_dual_mov_b32 v23, 0 :: v_dual_mov_b32 v29, 0
	v_dual_mov_b32 v28, 0 :: v_dual_mov_b32 v32, 0
	s_delay_alu instid0(VALU_DEP_3)
	v_cmp_gt_u32_e64 s0, s24, v20
	v_dual_mov_b32 v20, 0 :: v_dual_mov_b32 v24, 0
	v_dual_mov_b32 v33, 0 :: v_dual_mov_b32 v34, 0
	;; [unrolled: 1-line block ×3, first 2 shown]
	s_mov_b32 s12, 0
	s_wait_xcnt 0x0
	s_and_saveexec_b32 s11, s0
	s_cbranch_execz .LBB35_27
; %bb.16:
	global_load_b32 v24, v[4:5], off offset:10240
	global_load_b32 v20, v[6:7], off offset:10240
	v_or_b32_e32 v23, 0xb00, v0
	v_dual_mov_b32 v28, 0 :: v_dual_mov_b32 v32, 0
	v_dual_mov_b32 v33, 0 :: v_dual_mov_b32 v34, 0
	s_delay_alu instid0(VALU_DEP_3)
	v_cmp_gt_u32_e64 s0, s24, v23
	v_dual_mov_b32 v23, 0 :: v_dual_mov_b32 v29, 0
	v_dual_mov_b32 v35, 0 :: v_dual_mov_b32 v36, 0
	s_mov_b32 s13, 0
	s_wait_xcnt 0x0
	s_and_saveexec_b32 s12, s0
	s_cbranch_execz .LBB35_26
; %bb.17:
	global_load_b32 v29, v[4:5], off offset:11264
	global_load_b32 v23, v[6:7], off offset:11264
	v_or_b32_e32 v28, 0xc00, v0
	v_dual_mov_b32 v33, 0 :: v_dual_mov_b32 v34, 0
	v_dual_mov_b32 v35, 0 :: v_dual_mov_b32 v36, 0
	s_delay_alu instid0(VALU_DEP_3)
	v_cmp_gt_u32_e64 s0, s24, v28
	v_dual_mov_b32 v28, 0 :: v_dual_mov_b32 v32, 0
	s_mov_b32 s14, 0
	s_wait_xcnt 0x0
	s_and_saveexec_b32 s13, s0
	s_cbranch_execz .LBB35_25
; %bb.18:
	global_load_b32 v32, v[4:5], off offset:12288
	global_load_b32 v28, v[6:7], off offset:12288
	v_or_b32_e32 v33, 0xd00, v0
	v_dual_mov_b32 v35, 0 :: v_dual_mov_b32 v36, 0
	s_mov_b32 s18, 0
	v_mov_b32_e32 v34, 0
	s_delay_alu instid0(VALU_DEP_3)
	v_cmp_gt_u32_e64 s0, s24, v33
	v_mov_b32_e32 v33, 0
	s_wait_xcnt 0x0
	s_and_saveexec_b32 s14, s0
	s_cbranch_execz .LBB35_24
; %bb.19:
	global_load_b32 v34, v[4:5], off offset:13312
	global_load_b32 v33, v[6:7], off offset:13312
	v_or_b32_e32 v35, 0xe00, v0
	s_mov_b32 s19, 0
	v_mov_b32_e32 v36, 0
	s_delay_alu instid0(VALU_DEP_2)
	v_cmp_gt_u32_e64 s0, s24, v35
	v_mov_b32_e32 v35, 0
	s_wait_xcnt 0x0
	s_and_saveexec_b32 s18, s0
	s_cbranch_execz .LBB35_23
; %bb.20:
	global_load_b32 v36, v[4:5], off offset:14336
	global_load_b32 v35, v[6:7], off offset:14336
	v_or_b32_e32 v37, 0xf00, v0
	s_mov_b32 s21, 0
	s_mov_b32 s19, exec_lo
	s_wait_xcnt 0x0
	s_delay_alu instid0(VALU_DEP_1)
	v_cmpx_gt_u32_e64 s24, v37
	s_cbranch_execz .LBB35_22
; %bb.21:
	global_load_b32 v37, v[4:5], off offset:15360
	global_load_b32 v38, v[6:7], off offset:15360
	s_wait_loadcnt 0x0
	v_cmp_ne_u32_e64 s0, v37, v38
	s_and_b32 s21, s0, exec_lo
.LBB35_22:
	s_wait_xcnt 0x0
	s_or_b32 exec_lo, exec_lo, s19
	s_delay_alu instid0(SALU_CYCLE_1)
	s_and_b32 s19, s21, exec_lo
.LBB35_23:
	s_or_b32 exec_lo, exec_lo, s18
	s_delay_alu instid0(SALU_CYCLE_1)
	s_and_b32 s18, s19, exec_lo
.LBB35_24:
	s_or_b32 exec_lo, exec_lo, s14
	s_delay_alu instid0(SALU_CYCLE_1)
	s_and_b32 s14, s18, exec_lo
.LBB35_25:
	s_or_b32 exec_lo, exec_lo, s13
	s_delay_alu instid0(SALU_CYCLE_1)
	s_and_b32 s13, s14, exec_lo
.LBB35_26:
	s_or_b32 exec_lo, exec_lo, s12
	s_delay_alu instid0(SALU_CYCLE_1)
	s_and_b32 s12, s13, exec_lo
.LBB35_27:
	s_or_b32 exec_lo, exec_lo, s11
	s_delay_alu instid0(SALU_CYCLE_1)
	s_and_b32 s11, s12, exec_lo
.LBB35_28:
	s_or_b32 exec_lo, exec_lo, s10
	s_delay_alu instid0(SALU_CYCLE_1)
	s_and_b32 s10, s11, exec_lo
.LBB35_29:
	s_or_b32 exec_lo, exec_lo, s9
	s_delay_alu instid0(SALU_CYCLE_1)
	s_and_b32 s9, s10, exec_lo
.LBB35_30:
	s_or_b32 exec_lo, exec_lo, s8
	s_delay_alu instid0(SALU_CYCLE_1)
	s_and_b32 s8, s9, exec_lo
.LBB35_31:
	s_or_b32 exec_lo, exec_lo, s7
	s_delay_alu instid0(SALU_CYCLE_1)
	s_and_b32 s7, s8, exec_lo
.LBB35_32:
	s_or_b32 exec_lo, exec_lo, s6
	s_delay_alu instid0(SALU_CYCLE_1)
	s_and_b32 s6, s7, exec_lo
.LBB35_33:
	s_or_b32 exec_lo, exec_lo, s5
	s_delay_alu instid0(SALU_CYCLE_1)
	s_and_b32 s5, s6, exec_lo
.LBB35_34:
	s_or_b32 exec_lo, exec_lo, s4
	s_wait_loadcnt 0x0
	v_dual_mov_b32 v4, v3 :: v_dual_mov_b32 v3, v2
	s_and_b32 s4, s5, exec_lo
.LBB35_35:
	s_or_b32 exec_lo, exec_lo, s3
	s_delay_alu instid0(SALU_CYCLE_1)
	s_and_b32 s3, s4, exec_lo
.LBB35_36:
	s_or_b32 exec_lo, exec_lo, s2
	s_delay_alu instid0(SALU_CYCLE_1)
	s_and_b32 s0, s3, exec_lo
.LBB35_37:
	s_or_b32 exec_lo, exec_lo, s1
	s_cmp_eq_u32 s15, 0
	s_cselect_b32 s1, -1, 0
	s_and_saveexec_b32 s2, vcc_lo
	s_cbranch_execnz .LBB35_55
; %bb.38:
	s_or_b32 exec_lo, exec_lo, s2
	s_delay_alu instid0(SALU_CYCLE_1)
	s_mov_b32 s2, exec_lo
	v_cmpx_gt_i32_e64 s24, v0
	s_cbranch_execnz .LBB35_56
.LBB35_39:
	s_or_b32 exec_lo, exec_lo, s2
	s_delay_alu instid0(SALU_CYCLE_1)
	s_mov_b32 s2, exec_lo
	v_cmpx_gt_i32_e64 s24, v0
	s_cbranch_execnz .LBB35_57
.LBB35_40:
	s_or_b32 exec_lo, exec_lo, s2
	s_delay_alu instid0(SALU_CYCLE_1)
	s_mov_b32 s2, exec_lo
	v_cmpx_gt_i32_e64 s24, v0
	s_cbranch_execnz .LBB35_58
.LBB35_41:
	s_or_b32 exec_lo, exec_lo, s2
	s_delay_alu instid0(SALU_CYCLE_1)
	s_mov_b32 s2, exec_lo
	v_cmpx_gt_i32_e64 s24, v0
	s_cbranch_execnz .LBB35_59
.LBB35_42:
	s_or_b32 exec_lo, exec_lo, s2
	s_delay_alu instid0(SALU_CYCLE_1)
	s_mov_b32 s2, exec_lo
	v_cmpx_gt_i32_e64 s24, v0
	s_cbranch_execnz .LBB35_60
.LBB35_43:
	s_or_b32 exec_lo, exec_lo, s2
	s_delay_alu instid0(SALU_CYCLE_1)
	s_mov_b32 s2, exec_lo
	v_cmpx_gt_i32_e64 s24, v0
	s_cbranch_execnz .LBB35_61
.LBB35_44:
	s_or_b32 exec_lo, exec_lo, s2
	s_delay_alu instid0(SALU_CYCLE_1)
	s_mov_b32 s2, exec_lo
	v_cmpx_gt_i32_e64 s24, v0
	s_cbranch_execnz .LBB35_62
.LBB35_45:
	s_or_b32 exec_lo, exec_lo, s2
	s_delay_alu instid0(SALU_CYCLE_1)
	s_mov_b32 s2, exec_lo
	v_cmpx_gt_i32_e64 s24, v0
	s_cbranch_execnz .LBB35_63
.LBB35_46:
	s_or_b32 exec_lo, exec_lo, s2
	s_delay_alu instid0(SALU_CYCLE_1)
	s_mov_b32 s2, exec_lo
	v_cmpx_gt_i32_e64 s24, v0
	s_cbranch_execnz .LBB35_64
.LBB35_47:
	s_or_b32 exec_lo, exec_lo, s2
	s_delay_alu instid0(SALU_CYCLE_1)
	s_mov_b32 s2, exec_lo
	v_cmpx_gt_i32_e64 s24, v0
	s_cbranch_execnz .LBB35_65
.LBB35_48:
	s_or_b32 exec_lo, exec_lo, s2
	s_delay_alu instid0(SALU_CYCLE_1)
	s_mov_b32 s2, exec_lo
	v_cmpx_gt_i32_e64 s24, v0
	s_cbranch_execnz .LBB35_66
.LBB35_49:
	s_or_b32 exec_lo, exec_lo, s2
	s_delay_alu instid0(SALU_CYCLE_1)
	s_mov_b32 s2, exec_lo
	v_cmpx_gt_i32_e64 s24, v0
	s_cbranch_execnz .LBB35_67
.LBB35_50:
	s_or_b32 exec_lo, exec_lo, s2
	s_delay_alu instid0(SALU_CYCLE_1)
	s_mov_b32 s2, exec_lo
	v_cmpx_gt_i32_e64 s24, v0
	s_cbranch_execnz .LBB35_68
.LBB35_51:
	s_or_b32 exec_lo, exec_lo, s2
	s_delay_alu instid0(SALU_CYCLE_1)
	s_mov_b32 s2, exec_lo
	v_cmpx_gt_i32_e64 s24, v0
	s_cbranch_execnz .LBB35_69
.LBB35_52:
	s_or_b32 exec_lo, exec_lo, s2
	s_delay_alu instid0(SALU_CYCLE_1)
	s_mov_b32 s2, exec_lo
	v_cmpx_gt_i32_e64 s24, v0
	s_cbranch_execz .LBB35_54
.LBB35_53:
	s_xor_b32 s0, s1, s0
	v_add_nc_u32_e32 v0, s20, v0
	v_cndmask_b32_e64 v1, 0, 1, s0
	global_store_b8 v0, v1, s[16:17]
.LBB35_54:
	s_endpgm
.LBB35_55:
	s_wait_loadcnt 0x0
	v_cmp_ne_u32_e32 vcc_lo, v30, v31
	v_mov_b32_e32 v0, v1
	s_xor_b32 s3, s1, vcc_lo
	s_delay_alu instid0(SALU_CYCLE_1) | instskip(SKIP_3) | instid1(SALU_CYCLE_1)
	v_cndmask_b32_e64 v2, 0, 1, s3
	global_store_b8 v8, v2, s[16:17]
	s_wait_xcnt 0x0
	s_or_b32 exec_lo, exec_lo, s2
	s_mov_b32 s2, exec_lo
	v_cmpx_gt_i32_e64 s24, v0
	s_cbranch_execz .LBB35_39
.LBB35_56:
	s_wait_loadcnt 0x0
	v_cmp_ne_u32_e32 vcc_lo, v27, v26
	v_add_nc_u32_e32 v2, s20, v0
	v_add_nc_u32_e32 v0, 0x100, v0
	s_xor_b32 s3, s1, vcc_lo
	s_delay_alu instid0(SALU_CYCLE_1) | instskip(SKIP_3) | instid1(SALU_CYCLE_1)
	v_cndmask_b32_e64 v1, 0, 1, s3
	global_store_b8 v2, v1, s[16:17]
	s_wait_xcnt 0x0
	s_or_b32 exec_lo, exec_lo, s2
	s_mov_b32 s2, exec_lo
	v_cmpx_gt_i32_e64 s24, v0
	s_cbranch_execz .LBB35_40
.LBB35_57:
	v_cmp_ne_u32_e32 vcc_lo, v25, v3
	v_add_nc_u32_e32 v2, s20, v0
	v_add_nc_u32_e32 v0, 0x100, v0
	s_xor_b32 s3, s1, vcc_lo
	s_delay_alu instid0(SALU_CYCLE_1) | instskip(SKIP_3) | instid1(SALU_CYCLE_1)
	v_cndmask_b32_e64 v1, 0, 1, s3
	global_store_b8 v2, v1, s[16:17]
	s_wait_xcnt 0x0
	s_or_b32 exec_lo, exec_lo, s2
	s_mov_b32 s2, exec_lo
	v_cmpx_gt_i32_e64 s24, v0
	s_cbranch_execz .LBB35_41
.LBB35_58:
	v_cmp_ne_u32_e32 vcc_lo, v21, v4
	v_add_nc_u32_e32 v2, s20, v0
	v_add_nc_u32_e32 v0, 0x100, v0
	s_xor_b32 s3, s1, vcc_lo
	s_delay_alu instid0(SALU_CYCLE_1) | instskip(SKIP_3) | instid1(SALU_CYCLE_1)
	v_cndmask_b32_e64 v1, 0, 1, s3
	global_store_b8 v2, v1, s[16:17]
	s_wait_xcnt 0x0
	s_or_b32 exec_lo, exec_lo, s2
	s_mov_b32 s2, exec_lo
	v_cmpx_gt_i32_e64 s24, v0
	s_cbranch_execz .LBB35_42
.LBB35_59:
	v_cmp_ne_u32_e32 vcc_lo, v18, v13
	v_add_nc_u32_e32 v2, s20, v0
	v_add_nc_u32_e32 v0, 0x100, v0
	s_xor_b32 s3, s1, vcc_lo
	s_delay_alu instid0(SALU_CYCLE_1) | instskip(SKIP_3) | instid1(SALU_CYCLE_1)
	v_cndmask_b32_e64 v1, 0, 1, s3
	global_store_b8 v2, v1, s[16:17]
	s_wait_xcnt 0x0
	s_or_b32 exec_lo, exec_lo, s2
	s_mov_b32 s2, exec_lo
	v_cmpx_gt_i32_e64 s24, v0
	s_cbranch_execz .LBB35_43
.LBB35_60:
	v_cmp_ne_u32_e32 vcc_lo, v16, v11
	v_add_nc_u32_e32 v2, s20, v0
	v_add_nc_u32_e32 v0, 0x100, v0
	s_xor_b32 s3, s1, vcc_lo
	s_delay_alu instid0(SALU_CYCLE_1) | instskip(SKIP_3) | instid1(SALU_CYCLE_1)
	v_cndmask_b32_e64 v1, 0, 1, s3
	global_store_b8 v2, v1, s[16:17]
	s_wait_xcnt 0x0
	s_or_b32 exec_lo, exec_lo, s2
	s_mov_b32 s2, exec_lo
	v_cmpx_gt_i32_e64 s24, v0
	s_cbranch_execz .LBB35_44
.LBB35_61:
	v_cmp_ne_u32_e32 vcc_lo, v14, v9
	v_add_nc_u32_e32 v2, s20, v0
	v_add_nc_u32_e32 v0, 0x100, v0
	s_xor_b32 s3, s1, vcc_lo
	s_delay_alu instid0(SALU_CYCLE_1) | instskip(SKIP_3) | instid1(SALU_CYCLE_1)
	v_cndmask_b32_e64 v1, 0, 1, s3
	global_store_b8 v2, v1, s[16:17]
	s_wait_xcnt 0x0
	s_or_b32 exec_lo, exec_lo, s2
	s_mov_b32 s2, exec_lo
	v_cmpx_gt_i32_e64 s24, v0
	s_cbranch_execz .LBB35_45
.LBB35_62:
	v_cmp_ne_u32_e32 vcc_lo, v17, v10
	v_add_nc_u32_e32 v2, s20, v0
	v_add_nc_u32_e32 v0, 0x100, v0
	s_xor_b32 s3, s1, vcc_lo
	s_delay_alu instid0(SALU_CYCLE_1) | instskip(SKIP_3) | instid1(SALU_CYCLE_1)
	v_cndmask_b32_e64 v1, 0, 1, s3
	global_store_b8 v2, v1, s[16:17]
	s_wait_xcnt 0x0
	s_or_b32 exec_lo, exec_lo, s2
	s_mov_b32 s2, exec_lo
	v_cmpx_gt_i32_e64 s24, v0
	s_cbranch_execz .LBB35_46
.LBB35_63:
	v_cmp_ne_u32_e32 vcc_lo, v19, v12
	v_add_nc_u32_e32 v2, s20, v0
	v_add_nc_u32_e32 v0, 0x100, v0
	s_xor_b32 s3, s1, vcc_lo
	s_delay_alu instid0(SALU_CYCLE_1) | instskip(SKIP_3) | instid1(SALU_CYCLE_1)
	v_cndmask_b32_e64 v1, 0, 1, s3
	global_store_b8 v2, v1, s[16:17]
	s_wait_xcnt 0x0
	s_or_b32 exec_lo, exec_lo, s2
	s_mov_b32 s2, exec_lo
	v_cmpx_gt_i32_e64 s24, v0
	s_cbranch_execz .LBB35_47
.LBB35_64:
	v_cmp_ne_u32_e32 vcc_lo, v22, v15
	v_add_nc_u32_e32 v2, s20, v0
	v_add_nc_u32_e32 v0, 0x100, v0
	s_xor_b32 s3, s1, vcc_lo
	s_delay_alu instid0(SALU_CYCLE_1) | instskip(SKIP_3) | instid1(SALU_CYCLE_1)
	v_cndmask_b32_e64 v1, 0, 1, s3
	global_store_b8 v2, v1, s[16:17]
	s_wait_xcnt 0x0
	s_or_b32 exec_lo, exec_lo, s2
	s_mov_b32 s2, exec_lo
	v_cmpx_gt_i32_e64 s24, v0
	s_cbranch_execz .LBB35_48
.LBB35_65:
	v_cmp_ne_u32_e32 vcc_lo, v24, v20
	v_add_nc_u32_e32 v2, s20, v0
	v_add_nc_u32_e32 v0, 0x100, v0
	s_xor_b32 s3, s1, vcc_lo
	s_delay_alu instid0(SALU_CYCLE_1) | instskip(SKIP_3) | instid1(SALU_CYCLE_1)
	v_cndmask_b32_e64 v1, 0, 1, s3
	global_store_b8 v2, v1, s[16:17]
	s_wait_xcnt 0x0
	s_or_b32 exec_lo, exec_lo, s2
	s_mov_b32 s2, exec_lo
	v_cmpx_gt_i32_e64 s24, v0
	s_cbranch_execz .LBB35_49
.LBB35_66:
	v_cmp_ne_u32_e32 vcc_lo, v29, v23
	v_add_nc_u32_e32 v2, s20, v0
	v_add_nc_u32_e32 v0, 0x100, v0
	s_xor_b32 s3, s1, vcc_lo
	s_delay_alu instid0(SALU_CYCLE_1) | instskip(SKIP_3) | instid1(SALU_CYCLE_1)
	v_cndmask_b32_e64 v1, 0, 1, s3
	global_store_b8 v2, v1, s[16:17]
	s_wait_xcnt 0x0
	s_or_b32 exec_lo, exec_lo, s2
	s_mov_b32 s2, exec_lo
	v_cmpx_gt_i32_e64 s24, v0
	s_cbranch_execz .LBB35_50
.LBB35_67:
	v_cmp_ne_u32_e32 vcc_lo, v32, v28
	v_add_nc_u32_e32 v2, s20, v0
	v_add_nc_u32_e32 v0, 0x100, v0
	s_xor_b32 s3, s1, vcc_lo
	s_delay_alu instid0(SALU_CYCLE_1) | instskip(SKIP_3) | instid1(SALU_CYCLE_1)
	v_cndmask_b32_e64 v1, 0, 1, s3
	global_store_b8 v2, v1, s[16:17]
	s_wait_xcnt 0x0
	s_or_b32 exec_lo, exec_lo, s2
	s_mov_b32 s2, exec_lo
	v_cmpx_gt_i32_e64 s24, v0
	s_cbranch_execz .LBB35_51
.LBB35_68:
	v_cmp_ne_u32_e32 vcc_lo, v34, v33
	v_add_nc_u32_e32 v2, s20, v0
	v_add_nc_u32_e32 v0, 0x100, v0
	s_xor_b32 s3, s1, vcc_lo
	s_delay_alu instid0(SALU_CYCLE_1) | instskip(SKIP_3) | instid1(SALU_CYCLE_1)
	v_cndmask_b32_e64 v1, 0, 1, s3
	global_store_b8 v2, v1, s[16:17]
	s_wait_xcnt 0x0
	s_or_b32 exec_lo, exec_lo, s2
	s_mov_b32 s2, exec_lo
	v_cmpx_gt_i32_e64 s24, v0
	s_cbranch_execz .LBB35_52
.LBB35_69:
	v_cmp_ne_u32_e32 vcc_lo, v36, v35
	v_add_nc_u32_e32 v2, s20, v0
	v_add_nc_u32_e32 v0, 0x100, v0
	s_xor_b32 s3, s1, vcc_lo
	s_delay_alu instid0(SALU_CYCLE_1) | instskip(SKIP_3) | instid1(SALU_CYCLE_1)
	v_cndmask_b32_e64 v1, 0, 1, s3
	global_store_b8 v2, v1, s[16:17]
	s_wait_xcnt 0x0
	s_or_b32 exec_lo, exec_lo, s2
	s_mov_b32 s2, exec_lo
	v_cmpx_gt_i32_e64 s24, v0
	s_cbranch_execnz .LBB35_53
	s_branch .LBB35_54
	.section	.rodata,"a",@progbits
	.p2align	6, 0x0
	.amdhsa_kernel _ZN2at6native29vectorized_elementwise_kernelILi2ENS0_13BinaryFunctorIiibNS0_12_GLOBAL__N_116CompareEqFunctorIiEEEESt5arrayIPcLm3EEEEviT0_T1_
		.amdhsa_group_segment_fixed_size 0
		.amdhsa_private_segment_fixed_size 0
		.amdhsa_kernarg_size 32
		.amdhsa_user_sgpr_count 2
		.amdhsa_user_sgpr_dispatch_ptr 0
		.amdhsa_user_sgpr_queue_ptr 0
		.amdhsa_user_sgpr_kernarg_segment_ptr 1
		.amdhsa_user_sgpr_dispatch_id 0
		.amdhsa_user_sgpr_kernarg_preload_length 0
		.amdhsa_user_sgpr_kernarg_preload_offset 0
		.amdhsa_user_sgpr_private_segment_size 0
		.amdhsa_wavefront_size32 1
		.amdhsa_uses_dynamic_stack 0
		.amdhsa_enable_private_segment 0
		.amdhsa_system_sgpr_workgroup_id_x 1
		.amdhsa_system_sgpr_workgroup_id_y 0
		.amdhsa_system_sgpr_workgroup_id_z 0
		.amdhsa_system_sgpr_workgroup_info 0
		.amdhsa_system_vgpr_workitem_id 0
		.amdhsa_next_free_vgpr 39
		.amdhsa_next_free_sgpr 29
		.amdhsa_named_barrier_count 0
		.amdhsa_reserve_vcc 1
		.amdhsa_float_round_mode_32 0
		.amdhsa_float_round_mode_16_64 0
		.amdhsa_float_denorm_mode_32 3
		.amdhsa_float_denorm_mode_16_64 3
		.amdhsa_fp16_overflow 0
		.amdhsa_memory_ordered 1
		.amdhsa_forward_progress 1
		.amdhsa_inst_pref_size 37
		.amdhsa_round_robin_scheduling 0
		.amdhsa_exception_fp_ieee_invalid_op 0
		.amdhsa_exception_fp_denorm_src 0
		.amdhsa_exception_fp_ieee_div_zero 0
		.amdhsa_exception_fp_ieee_overflow 0
		.amdhsa_exception_fp_ieee_underflow 0
		.amdhsa_exception_fp_ieee_inexact 0
		.amdhsa_exception_int_div_zero 0
	.end_amdhsa_kernel
	.section	.text._ZN2at6native29vectorized_elementwise_kernelILi2ENS0_13BinaryFunctorIiibNS0_12_GLOBAL__N_116CompareEqFunctorIiEEEESt5arrayIPcLm3EEEEviT0_T1_,"axG",@progbits,_ZN2at6native29vectorized_elementwise_kernelILi2ENS0_13BinaryFunctorIiibNS0_12_GLOBAL__N_116CompareEqFunctorIiEEEESt5arrayIPcLm3EEEEviT0_T1_,comdat
.Lfunc_end35:
	.size	_ZN2at6native29vectorized_elementwise_kernelILi2ENS0_13BinaryFunctorIiibNS0_12_GLOBAL__N_116CompareEqFunctorIiEEEESt5arrayIPcLm3EEEEviT0_T1_, .Lfunc_end35-_ZN2at6native29vectorized_elementwise_kernelILi2ENS0_13BinaryFunctorIiibNS0_12_GLOBAL__N_116CompareEqFunctorIiEEEESt5arrayIPcLm3EEEEviT0_T1_
                                        ; -- End function
	.set _ZN2at6native29vectorized_elementwise_kernelILi2ENS0_13BinaryFunctorIiibNS0_12_GLOBAL__N_116CompareEqFunctorIiEEEESt5arrayIPcLm3EEEEviT0_T1_.num_vgpr, 39
	.set _ZN2at6native29vectorized_elementwise_kernelILi2ENS0_13BinaryFunctorIiibNS0_12_GLOBAL__N_116CompareEqFunctorIiEEEESt5arrayIPcLm3EEEEviT0_T1_.num_agpr, 0
	.set _ZN2at6native29vectorized_elementwise_kernelILi2ENS0_13BinaryFunctorIiibNS0_12_GLOBAL__N_116CompareEqFunctorIiEEEESt5arrayIPcLm3EEEEviT0_T1_.numbered_sgpr, 29
	.set _ZN2at6native29vectorized_elementwise_kernelILi2ENS0_13BinaryFunctorIiibNS0_12_GLOBAL__N_116CompareEqFunctorIiEEEESt5arrayIPcLm3EEEEviT0_T1_.num_named_barrier, 0
	.set _ZN2at6native29vectorized_elementwise_kernelILi2ENS0_13BinaryFunctorIiibNS0_12_GLOBAL__N_116CompareEqFunctorIiEEEESt5arrayIPcLm3EEEEviT0_T1_.private_seg_size, 0
	.set _ZN2at6native29vectorized_elementwise_kernelILi2ENS0_13BinaryFunctorIiibNS0_12_GLOBAL__N_116CompareEqFunctorIiEEEESt5arrayIPcLm3EEEEviT0_T1_.uses_vcc, 1
	.set _ZN2at6native29vectorized_elementwise_kernelILi2ENS0_13BinaryFunctorIiibNS0_12_GLOBAL__N_116CompareEqFunctorIiEEEESt5arrayIPcLm3EEEEviT0_T1_.uses_flat_scratch, 0
	.set _ZN2at6native29vectorized_elementwise_kernelILi2ENS0_13BinaryFunctorIiibNS0_12_GLOBAL__N_116CompareEqFunctorIiEEEESt5arrayIPcLm3EEEEviT0_T1_.has_dyn_sized_stack, 0
	.set _ZN2at6native29vectorized_elementwise_kernelILi2ENS0_13BinaryFunctorIiibNS0_12_GLOBAL__N_116CompareEqFunctorIiEEEESt5arrayIPcLm3EEEEviT0_T1_.has_recursion, 0
	.set _ZN2at6native29vectorized_elementwise_kernelILi2ENS0_13BinaryFunctorIiibNS0_12_GLOBAL__N_116CompareEqFunctorIiEEEESt5arrayIPcLm3EEEEviT0_T1_.has_indirect_call, 0
	.section	.AMDGPU.csdata,"",@progbits
; Kernel info:
; codeLenInByte = 4636
; TotalNumSgprs: 31
; NumVgprs: 39
; ScratchSize: 0
; MemoryBound: 0
; FloatMode: 240
; IeeeMode: 1
; LDSByteSize: 0 bytes/workgroup (compile time only)
; SGPRBlocks: 0
; VGPRBlocks: 2
; NumSGPRsForWavesPerEU: 31
; NumVGPRsForWavesPerEU: 39
; NamedBarCnt: 0
; Occupancy: 16
; WaveLimiterHint : 1
; COMPUTE_PGM_RSRC2:SCRATCH_EN: 0
; COMPUTE_PGM_RSRC2:USER_SGPR: 2
; COMPUTE_PGM_RSRC2:TRAP_HANDLER: 0
; COMPUTE_PGM_RSRC2:TGID_X_EN: 1
; COMPUTE_PGM_RSRC2:TGID_Y_EN: 0
; COMPUTE_PGM_RSRC2:TGID_Z_EN: 0
; COMPUTE_PGM_RSRC2:TIDIG_COMP_CNT: 0
	.section	.text._ZN2at6native27unrolled_elementwise_kernelINS0_13BinaryFunctorIiibNS0_12_GLOBAL__N_116CompareEqFunctorIiEEEESt5arrayIPcLm3EELi4E23TrivialOffsetCalculatorILi2EjESA_ILi1EjENS0_6memory15LoadWithoutCastENSD_16StoreWithoutCastEEEviT_T0_T2_T3_T4_T5_,"axG",@progbits,_ZN2at6native27unrolled_elementwise_kernelINS0_13BinaryFunctorIiibNS0_12_GLOBAL__N_116CompareEqFunctorIiEEEESt5arrayIPcLm3EELi4E23TrivialOffsetCalculatorILi2EjESA_ILi1EjENS0_6memory15LoadWithoutCastENSD_16StoreWithoutCastEEEviT_T0_T2_T3_T4_T5_,comdat
	.globl	_ZN2at6native27unrolled_elementwise_kernelINS0_13BinaryFunctorIiibNS0_12_GLOBAL__N_116CompareEqFunctorIiEEEESt5arrayIPcLm3EELi4E23TrivialOffsetCalculatorILi2EjESA_ILi1EjENS0_6memory15LoadWithoutCastENSD_16StoreWithoutCastEEEviT_T0_T2_T3_T4_T5_ ; -- Begin function _ZN2at6native27unrolled_elementwise_kernelINS0_13BinaryFunctorIiibNS0_12_GLOBAL__N_116CompareEqFunctorIiEEEESt5arrayIPcLm3EELi4E23TrivialOffsetCalculatorILi2EjESA_ILi1EjENS0_6memory15LoadWithoutCastENSD_16StoreWithoutCastEEEviT_T0_T2_T3_T4_T5_
	.p2align	8
	.type	_ZN2at6native27unrolled_elementwise_kernelINS0_13BinaryFunctorIiibNS0_12_GLOBAL__N_116CompareEqFunctorIiEEEESt5arrayIPcLm3EELi4E23TrivialOffsetCalculatorILi2EjESA_ILi1EjENS0_6memory15LoadWithoutCastENSD_16StoreWithoutCastEEEviT_T0_T2_T3_T4_T5_,@function
_ZN2at6native27unrolled_elementwise_kernelINS0_13BinaryFunctorIiibNS0_12_GLOBAL__N_116CompareEqFunctorIiEEEESt5arrayIPcLm3EELi4E23TrivialOffsetCalculatorILi2EjESA_ILi1EjENS0_6memory15LoadWithoutCastENSD_16StoreWithoutCastEEEviT_T0_T2_T3_T4_T5_: ; @_ZN2at6native27unrolled_elementwise_kernelINS0_13BinaryFunctorIiibNS0_12_GLOBAL__N_116CompareEqFunctorIiEEEESt5arrayIPcLm3EELi4E23TrivialOffsetCalculatorILi2EjESA_ILi1EjENS0_6memory15LoadWithoutCastENSD_16StoreWithoutCastEEEviT_T0_T2_T3_T4_T5_
; %bb.0:
	s_load_b64 s[2:3], s[0:1], 0x0
	s_bfe_u32 s10, ttmp6, 0x4000c
	s_clause 0x1
	s_load_b128 s[4:7], s[0:1], 0x8
	s_load_b64 s[8:9], s[0:1], 0x18
	s_add_co_i32 s10, s10, 1
	s_wait_xcnt 0x0
	s_and_b32 s0, ttmp6, 15
	s_mul_i32 s1, ttmp9, s10
	s_getreg_b32 s10, hwreg(HW_REG_IB_STS2, 6, 4)
	s_add_co_i32 s0, s0, s1
	s_cmp_eq_u32 s10, 0
	v_or_b32_e32 v1, 0x100, v0
	s_cselect_b32 s0, ttmp9, s0
	s_mov_b32 s11, 0
	s_lshl_b32 s10, s0, 10
	s_wait_kmcnt 0x0
	s_sub_co_i32 s2, s2, s10
	s_delay_alu instid0(SALU_CYCLE_1) | instskip(SKIP_2) | instid1(SALU_CYCLE_1)
	v_cmp_le_i32_e64 s0, s2, v0
	v_cmp_gt_i32_e32 vcc_lo, s2, v0
	s_and_saveexec_b32 s1, s0
	s_xor_b32 s0, exec_lo, s1
; %bb.1:
	v_or_b32_e32 v1, 0x100, v0
; %bb.2:
	s_or_saveexec_b32 s1, s0
	v_dual_mov_b32 v3, 0 :: v_dual_bitop2_b32 v2, s10, v0 bitop3:0x54
	v_dual_mov_b32 v4, 0 :: v_dual_mov_b32 v7, 0
	v_dual_mov_b32 v6, 0 :: v_dual_mov_b32 v5, 0
	v_mov_b32_e32 v8, 0
	s_xor_b32 exec_lo, exec_lo, s1
	s_cbranch_execz .LBB36_10
; %bb.3:
	s_clause 0x1
	global_load_b32 v5, v2, s[6:7] scale_offset
	global_load_b32 v8, v2, s[8:9] scale_offset
	v_dual_mov_b32 v6, 0 :: v_dual_mov_b32 v7, 0
	v_dual_mov_b32 v4, 0 :: v_dual_mov_b32 v3, 0
	s_mov_b32 s12, 0
	s_mov_b32 s11, exec_lo
	s_wait_xcnt 0x0
	v_cmpx_gt_u32_e64 s2, v1
	s_cbranch_execz .LBB36_9
; %bb.4:
	v_dual_mov_b32 v4, 0 :: v_dual_add_nc_u32 v3, s10, v1
	v_or_b32_e32 v9, 0x200, v0
	s_mov_b32 s13, 0
	s_mov_b32 s12, exec_lo
	s_clause 0x1
	global_load_b32 v7, v3, s[6:7] scale_offset
	global_load_b32 v6, v3, s[8:9] scale_offset
	s_wait_xcnt 0x0
	v_mov_b32_e32 v3, 0
	v_cmpx_gt_u32_e64 s2, v9
	s_cbranch_execz .LBB36_8
; %bb.5:
	v_add_nc_u32_e32 v9, s10, v9
	s_mov_b32 s14, 0
	s_mov_b32 s13, exec_lo
	s_clause 0x1
	global_load_b32 v3, v9, s[6:7] scale_offset
	global_load_b32 v4, v9, s[8:9] scale_offset
	s_wait_xcnt 0x0
	v_or_b32_e32 v9, 0x300, v0
	s_delay_alu instid0(VALU_DEP_1)
	v_cmpx_gt_u32_e64 s2, v9
	s_cbranch_execz .LBB36_7
; %bb.6:
	v_add_nc_u32_e32 v9, s10, v9
	s_clause 0x1
	global_load_b32 v10, v9, s[6:7] scale_offset
	global_load_b32 v11, v9, s[8:9] scale_offset
	s_wait_loadcnt 0x0
	v_cmp_ne_u32_e64 s0, v10, v11
	s_and_b32 s14, s0, exec_lo
.LBB36_7:
	s_or_b32 exec_lo, exec_lo, s13
	s_delay_alu instid0(SALU_CYCLE_1)
	s_and_b32 s13, s14, exec_lo
.LBB36_8:
	s_or_b32 exec_lo, exec_lo, s12
	s_delay_alu instid0(SALU_CYCLE_1)
	s_and_b32 s12, s13, exec_lo
.LBB36_9:
	s_or_b32 exec_lo, exec_lo, s11
	s_delay_alu instid0(SALU_CYCLE_1)
	s_and_b32 s11, s12, exec_lo
.LBB36_10:
	s_or_b32 exec_lo, exec_lo, s1
	s_wait_loadcnt 0x0
	v_cmp_ne_u32_e64 s0, v5, v8
	s_cmp_eq_u32 s3, 0
	v_cmp_ne_u32_e64 s1, v7, v6
	s_cselect_b32 s3, -1, 0
	s_delay_alu instid0(SALU_CYCLE_1) | instskip(NEXT) | instid1(SALU_CYCLE_1)
	s_xor_b32 s0, s3, s0
	v_cndmask_b32_e64 v5, 0, 1, s0
	s_xor_b32 s0, s3, s1
	s_delay_alu instid0(SALU_CYCLE_1) | instskip(SKIP_1) | instid1(VALU_DEP_2)
	v_cndmask_b32_e64 v6, 0, 1, s0
	v_cmp_ne_u32_e64 s0, v3, v4
	v_lshlrev_b16 v6, 8, v6
	s_xor_b32 s0, s3, s0
	s_delay_alu instid0(SALU_CYCLE_1) | instskip(SKIP_2) | instid1(VALU_DEP_2)
	v_cndmask_b32_e64 v4, 0, 1, s0
	v_cndmask_b32_e32 v5, 0, v5, vcc_lo
	v_cmp_gt_i32_e64 s0, s2, v1
	v_dual_lshlrev_b32 v4, 16, v4 :: v_dual_bitop2_b32 v3, v5, v6 bitop3:0x54
	s_delay_alu instid0(VALU_DEP_1) | instskip(NEXT) | instid1(VALU_DEP_1)
	v_and_b32_e32 v3, 0xffff, v3
	v_cndmask_b32_e64 v3, v5, v3, s0
	v_or_b32_e32 v5, 0x200, v0
	s_delay_alu instid0(VALU_DEP_2) | instskip(NEXT) | instid1(VALU_DEP_2)
	v_or_b32_e32 v4, v3, v4
	v_cmp_gt_i32_e64 s0, s2, v5
	s_delay_alu instid0(VALU_DEP_1) | instskip(SKIP_1) | instid1(SALU_CYCLE_1)
	v_cndmask_b32_e64 v3, v3, v4, s0
	s_xor_b32 s0, s3, s11
	v_cndmask_b32_e64 v4, 0, 1, s0
	s_delay_alu instid0(VALU_DEP_2) | instskip(NEXT) | instid1(VALU_DEP_2)
	v_lshrrev_b32_e32 v5, 16, v3
	v_lshlrev_b16 v4, 8, v4
	s_delay_alu instid0(VALU_DEP_1) | instskip(SKIP_1) | instid1(VALU_DEP_2)
	v_bitop3_b16 v4, v5, v4, 0xff bitop3:0xec
	v_or_b32_e32 v5, 0x300, v0
	v_lshlrev_b32_e32 v4, 16, v4
	s_delay_alu instid0(VALU_DEP_2) | instskip(NEXT) | instid1(VALU_DEP_2)
	v_cmp_gt_i32_e64 s0, s2, v5
	v_and_or_b32 v4, 0xffff, v3, v4
	s_delay_alu instid0(VALU_DEP_1)
	v_cndmask_b32_e64 v3, v3, v4, s0
	s_and_saveexec_b32 s0, vcc_lo
	s_cbranch_execnz .LBB36_15
; %bb.11:
	s_or_b32 exec_lo, exec_lo, s0
	s_delay_alu instid0(SALU_CYCLE_1)
	s_mov_b32 s0, exec_lo
	v_cmpx_gt_i32_e64 s2, v0
	s_cbranch_execnz .LBB36_16
.LBB36_12:
	s_or_b32 exec_lo, exec_lo, s0
	s_delay_alu instid0(SALU_CYCLE_1)
	s_mov_b32 s0, exec_lo
	v_cmpx_gt_i32_e64 s2, v0
	s_cbranch_execnz .LBB36_17
.LBB36_13:
	s_or_b32 exec_lo, exec_lo, s0
	s_delay_alu instid0(SALU_CYCLE_1)
	s_mov_b32 s0, exec_lo
	v_cmpx_gt_i32_e64 s2, v0
	s_cbranch_execnz .LBB36_18
.LBB36_14:
	s_endpgm
.LBB36_15:
	v_mov_b32_e32 v0, v1
	global_store_b8 v2, v3, s[4:5]
	s_wait_xcnt 0x0
	s_or_b32 exec_lo, exec_lo, s0
	s_delay_alu instid0(SALU_CYCLE_1)
	s_mov_b32 s0, exec_lo
	v_cmpx_gt_i32_e64 s2, v0
	s_cbranch_execz .LBB36_12
.LBB36_16:
	v_add_nc_u32_e32 v1, 0x100, v0
	v_dual_add_nc_u32 v2, s10, v0 :: v_dual_lshrrev_b32 v4, 8, v3
	s_delay_alu instid0(VALU_DEP_2) | instskip(SKIP_3) | instid1(SALU_CYCLE_1)
	v_mov_b32_e32 v0, v1
	global_store_b8 v2, v4, s[4:5]
	s_wait_xcnt 0x0
	s_or_b32 exec_lo, exec_lo, s0
	s_mov_b32 s0, exec_lo
	v_cmpx_gt_i32_e64 s2, v0
	s_cbranch_execz .LBB36_13
.LBB36_17:
	v_add_nc_u32_e32 v1, 0x100, v0
	s_delay_alu instid0(VALU_DEP_1) | instskip(SKIP_3) | instid1(SALU_CYCLE_1)
	v_dual_add_nc_u32 v2, s10, v0 :: v_dual_mov_b32 v0, v1
	global_store_d16_hi_b8 v2, v3, s[4:5]
	s_wait_xcnt 0x0
	s_or_b32 exec_lo, exec_lo, s0
	s_mov_b32 s0, exec_lo
	v_cmpx_gt_i32_e64 s2, v0
	s_cbranch_execz .LBB36_14
.LBB36_18:
	v_dual_add_nc_u32 v0, s10, v0 :: v_dual_lshrrev_b32 v1, 24, v3
	global_store_b8 v0, v1, s[4:5]
	s_endpgm
	.section	.rodata,"a",@progbits
	.p2align	6, 0x0
	.amdhsa_kernel _ZN2at6native27unrolled_elementwise_kernelINS0_13BinaryFunctorIiibNS0_12_GLOBAL__N_116CompareEqFunctorIiEEEESt5arrayIPcLm3EELi4E23TrivialOffsetCalculatorILi2EjESA_ILi1EjENS0_6memory15LoadWithoutCastENSD_16StoreWithoutCastEEEviT_T0_T2_T3_T4_T5_
		.amdhsa_group_segment_fixed_size 0
		.amdhsa_private_segment_fixed_size 0
		.amdhsa_kernarg_size 36
		.amdhsa_user_sgpr_count 2
		.amdhsa_user_sgpr_dispatch_ptr 0
		.amdhsa_user_sgpr_queue_ptr 0
		.amdhsa_user_sgpr_kernarg_segment_ptr 1
		.amdhsa_user_sgpr_dispatch_id 0
		.amdhsa_user_sgpr_kernarg_preload_length 0
		.amdhsa_user_sgpr_kernarg_preload_offset 0
		.amdhsa_user_sgpr_private_segment_size 0
		.amdhsa_wavefront_size32 1
		.amdhsa_uses_dynamic_stack 0
		.amdhsa_enable_private_segment 0
		.amdhsa_system_sgpr_workgroup_id_x 1
		.amdhsa_system_sgpr_workgroup_id_y 0
		.amdhsa_system_sgpr_workgroup_id_z 0
		.amdhsa_system_sgpr_workgroup_info 0
		.amdhsa_system_vgpr_workitem_id 0
		.amdhsa_next_free_vgpr 12
		.amdhsa_next_free_sgpr 15
		.amdhsa_named_barrier_count 0
		.amdhsa_reserve_vcc 1
		.amdhsa_float_round_mode_32 0
		.amdhsa_float_round_mode_16_64 0
		.amdhsa_float_denorm_mode_32 3
		.amdhsa_float_denorm_mode_16_64 3
		.amdhsa_fp16_overflow 0
		.amdhsa_memory_ordered 1
		.amdhsa_forward_progress 1
		.amdhsa_inst_pref_size 8
		.amdhsa_round_robin_scheduling 0
		.amdhsa_exception_fp_ieee_invalid_op 0
		.amdhsa_exception_fp_denorm_src 0
		.amdhsa_exception_fp_ieee_div_zero 0
		.amdhsa_exception_fp_ieee_overflow 0
		.amdhsa_exception_fp_ieee_underflow 0
		.amdhsa_exception_fp_ieee_inexact 0
		.amdhsa_exception_int_div_zero 0
	.end_amdhsa_kernel
	.section	.text._ZN2at6native27unrolled_elementwise_kernelINS0_13BinaryFunctorIiibNS0_12_GLOBAL__N_116CompareEqFunctorIiEEEESt5arrayIPcLm3EELi4E23TrivialOffsetCalculatorILi2EjESA_ILi1EjENS0_6memory15LoadWithoutCastENSD_16StoreWithoutCastEEEviT_T0_T2_T3_T4_T5_,"axG",@progbits,_ZN2at6native27unrolled_elementwise_kernelINS0_13BinaryFunctorIiibNS0_12_GLOBAL__N_116CompareEqFunctorIiEEEESt5arrayIPcLm3EELi4E23TrivialOffsetCalculatorILi2EjESA_ILi1EjENS0_6memory15LoadWithoutCastENSD_16StoreWithoutCastEEEviT_T0_T2_T3_T4_T5_,comdat
.Lfunc_end36:
	.size	_ZN2at6native27unrolled_elementwise_kernelINS0_13BinaryFunctorIiibNS0_12_GLOBAL__N_116CompareEqFunctorIiEEEESt5arrayIPcLm3EELi4E23TrivialOffsetCalculatorILi2EjESA_ILi1EjENS0_6memory15LoadWithoutCastENSD_16StoreWithoutCastEEEviT_T0_T2_T3_T4_T5_, .Lfunc_end36-_ZN2at6native27unrolled_elementwise_kernelINS0_13BinaryFunctorIiibNS0_12_GLOBAL__N_116CompareEqFunctorIiEEEESt5arrayIPcLm3EELi4E23TrivialOffsetCalculatorILi2EjESA_ILi1EjENS0_6memory15LoadWithoutCastENSD_16StoreWithoutCastEEEviT_T0_T2_T3_T4_T5_
                                        ; -- End function
	.set _ZN2at6native27unrolled_elementwise_kernelINS0_13BinaryFunctorIiibNS0_12_GLOBAL__N_116CompareEqFunctorIiEEEESt5arrayIPcLm3EELi4E23TrivialOffsetCalculatorILi2EjESA_ILi1EjENS0_6memory15LoadWithoutCastENSD_16StoreWithoutCastEEEviT_T0_T2_T3_T4_T5_.num_vgpr, 12
	.set _ZN2at6native27unrolled_elementwise_kernelINS0_13BinaryFunctorIiibNS0_12_GLOBAL__N_116CompareEqFunctorIiEEEESt5arrayIPcLm3EELi4E23TrivialOffsetCalculatorILi2EjESA_ILi1EjENS0_6memory15LoadWithoutCastENSD_16StoreWithoutCastEEEviT_T0_T2_T3_T4_T5_.num_agpr, 0
	.set _ZN2at6native27unrolled_elementwise_kernelINS0_13BinaryFunctorIiibNS0_12_GLOBAL__N_116CompareEqFunctorIiEEEESt5arrayIPcLm3EELi4E23TrivialOffsetCalculatorILi2EjESA_ILi1EjENS0_6memory15LoadWithoutCastENSD_16StoreWithoutCastEEEviT_T0_T2_T3_T4_T5_.numbered_sgpr, 15
	.set _ZN2at6native27unrolled_elementwise_kernelINS0_13BinaryFunctorIiibNS0_12_GLOBAL__N_116CompareEqFunctorIiEEEESt5arrayIPcLm3EELi4E23TrivialOffsetCalculatorILi2EjESA_ILi1EjENS0_6memory15LoadWithoutCastENSD_16StoreWithoutCastEEEviT_T0_T2_T3_T4_T5_.num_named_barrier, 0
	.set _ZN2at6native27unrolled_elementwise_kernelINS0_13BinaryFunctorIiibNS0_12_GLOBAL__N_116CompareEqFunctorIiEEEESt5arrayIPcLm3EELi4E23TrivialOffsetCalculatorILi2EjESA_ILi1EjENS0_6memory15LoadWithoutCastENSD_16StoreWithoutCastEEEviT_T0_T2_T3_T4_T5_.private_seg_size, 0
	.set _ZN2at6native27unrolled_elementwise_kernelINS0_13BinaryFunctorIiibNS0_12_GLOBAL__N_116CompareEqFunctorIiEEEESt5arrayIPcLm3EELi4E23TrivialOffsetCalculatorILi2EjESA_ILi1EjENS0_6memory15LoadWithoutCastENSD_16StoreWithoutCastEEEviT_T0_T2_T3_T4_T5_.uses_vcc, 1
	.set _ZN2at6native27unrolled_elementwise_kernelINS0_13BinaryFunctorIiibNS0_12_GLOBAL__N_116CompareEqFunctorIiEEEESt5arrayIPcLm3EELi4E23TrivialOffsetCalculatorILi2EjESA_ILi1EjENS0_6memory15LoadWithoutCastENSD_16StoreWithoutCastEEEviT_T0_T2_T3_T4_T5_.uses_flat_scratch, 0
	.set _ZN2at6native27unrolled_elementwise_kernelINS0_13BinaryFunctorIiibNS0_12_GLOBAL__N_116CompareEqFunctorIiEEEESt5arrayIPcLm3EELi4E23TrivialOffsetCalculatorILi2EjESA_ILi1EjENS0_6memory15LoadWithoutCastENSD_16StoreWithoutCastEEEviT_T0_T2_T3_T4_T5_.has_dyn_sized_stack, 0
	.set _ZN2at6native27unrolled_elementwise_kernelINS0_13BinaryFunctorIiibNS0_12_GLOBAL__N_116CompareEqFunctorIiEEEESt5arrayIPcLm3EELi4E23TrivialOffsetCalculatorILi2EjESA_ILi1EjENS0_6memory15LoadWithoutCastENSD_16StoreWithoutCastEEEviT_T0_T2_T3_T4_T5_.has_recursion, 0
	.set _ZN2at6native27unrolled_elementwise_kernelINS0_13BinaryFunctorIiibNS0_12_GLOBAL__N_116CompareEqFunctorIiEEEESt5arrayIPcLm3EELi4E23TrivialOffsetCalculatorILi2EjESA_ILi1EjENS0_6memory15LoadWithoutCastENSD_16StoreWithoutCastEEEviT_T0_T2_T3_T4_T5_.has_indirect_call, 0
	.section	.AMDGPU.csdata,"",@progbits
; Kernel info:
; codeLenInByte = 1008
; TotalNumSgprs: 17
; NumVgprs: 12
; ScratchSize: 0
; MemoryBound: 0
; FloatMode: 240
; IeeeMode: 1
; LDSByteSize: 0 bytes/workgroup (compile time only)
; SGPRBlocks: 0
; VGPRBlocks: 0
; NumSGPRsForWavesPerEU: 17
; NumVGPRsForWavesPerEU: 12
; NamedBarCnt: 0
; Occupancy: 16
; WaveLimiterHint : 0
; COMPUTE_PGM_RSRC2:SCRATCH_EN: 0
; COMPUTE_PGM_RSRC2:USER_SGPR: 2
; COMPUTE_PGM_RSRC2:TRAP_HANDLER: 0
; COMPUTE_PGM_RSRC2:TGID_X_EN: 1
; COMPUTE_PGM_RSRC2:TGID_Y_EN: 0
; COMPUTE_PGM_RSRC2:TGID_Z_EN: 0
; COMPUTE_PGM_RSRC2:TIDIG_COMP_CNT: 0
	.section	.text._ZN2at6native32elementwise_kernel_manual_unrollILi128ELi8EZNS0_22gpu_kernel_impl_nocastINS0_13BinaryFunctorIiibNS0_12_GLOBAL__N_116CompareEqFunctorIiEEEEEEvRNS_18TensorIteratorBaseERKT_EUlibE_EEviT1_,"axG",@progbits,_ZN2at6native32elementwise_kernel_manual_unrollILi128ELi8EZNS0_22gpu_kernel_impl_nocastINS0_13BinaryFunctorIiibNS0_12_GLOBAL__N_116CompareEqFunctorIiEEEEEEvRNS_18TensorIteratorBaseERKT_EUlibE_EEviT1_,comdat
	.globl	_ZN2at6native32elementwise_kernel_manual_unrollILi128ELi8EZNS0_22gpu_kernel_impl_nocastINS0_13BinaryFunctorIiibNS0_12_GLOBAL__N_116CompareEqFunctorIiEEEEEEvRNS_18TensorIteratorBaseERKT_EUlibE_EEviT1_ ; -- Begin function _ZN2at6native32elementwise_kernel_manual_unrollILi128ELi8EZNS0_22gpu_kernel_impl_nocastINS0_13BinaryFunctorIiibNS0_12_GLOBAL__N_116CompareEqFunctorIiEEEEEEvRNS_18TensorIteratorBaseERKT_EUlibE_EEviT1_
	.p2align	8
	.type	_ZN2at6native32elementwise_kernel_manual_unrollILi128ELi8EZNS0_22gpu_kernel_impl_nocastINS0_13BinaryFunctorIiibNS0_12_GLOBAL__N_116CompareEqFunctorIiEEEEEEvRNS_18TensorIteratorBaseERKT_EUlibE_EEviT1_,@function
_ZN2at6native32elementwise_kernel_manual_unrollILi128ELi8EZNS0_22gpu_kernel_impl_nocastINS0_13BinaryFunctorIiibNS0_12_GLOBAL__N_116CompareEqFunctorIiEEEEEEvRNS_18TensorIteratorBaseERKT_EUlibE_EEviT1_: ; @_ZN2at6native32elementwise_kernel_manual_unrollILi128ELi8EZNS0_22gpu_kernel_impl_nocastINS0_13BinaryFunctorIiibNS0_12_GLOBAL__N_116CompareEqFunctorIiEEEEEEvRNS_18TensorIteratorBaseERKT_EUlibE_EEviT1_
; %bb.0:
	s_clause 0x1
	s_load_b32 s26, s[0:1], 0x8
	s_load_b32 s33, s[0:1], 0x0
	s_bfe_u32 s2, ttmp6, 0x4000c
	s_and_b32 s3, ttmp6, 15
	s_add_co_i32 s2, s2, 1
	s_getreg_b32 s4, hwreg(HW_REG_IB_STS2, 6, 4)
	s_mul_i32 s2, ttmp9, s2
	s_add_nc_u64 s[16:17], s[0:1], 8
	s_add_co_i32 s3, s3, s2
	s_cmp_eq_u32 s4, 0
	s_mov_b32 s21, 0
	s_cselect_b32 s2, ttmp9, s3
	s_wait_xcnt 0x0
	s_mov_b32 s0, exec_lo
	v_lshl_or_b32 v0, s2, 10, v0
	s_delay_alu instid0(VALU_DEP_1) | instskip(SKIP_2) | instid1(SALU_CYCLE_1)
	v_or_b32_e32 v4, 0x380, v0
	s_wait_kmcnt 0x0
	s_add_co_i32 s27, s26, -1
	s_cmp_gt_u32 s27, 1
	s_cselect_b32 s28, -1, 0
	v_cmpx_le_i32_e64 s33, v4
	s_xor_b32 s29, exec_lo, s0
	s_cbranch_execz .LBB37_106
; %bb.1:
	s_clause 0x5
	s_load_b128 s[4:7], s[16:17], 0x4
	s_load_b64 s[18:19], s[16:17], 0x14
	s_load_b96 s[12:14], s[16:17], 0x198
	s_load_b128 s[8:11], s[16:17], 0xc4
	s_load_b64 s[22:23], s[16:17], 0xd4
	s_load_b128 s[0:3], s[16:17], 0x188
	s_cmp_lg_u32 s26, 0
	s_mov_b32 s25, s21
	s_cselect_b32 s34, -1, 0
	s_min_u32 s31, s27, 15
	s_cmp_gt_u32 s26, 1
	s_cselect_b32 s30, -1, 0
	s_wait_kmcnt 0x0
	s_mov_b32 s20, s5
	s_mov_b32 s24, s18
	s_cmp_eq_u32 s14, 0
	s_mov_b32 s18, exec_lo
	s_cselect_b32 s5, -1, 0
	v_cmpx_gt_i32_e64 s33, v0
	s_cbranch_execnz .LBB37_9
; %bb.2:
	s_or_b32 exec_lo, exec_lo, s18
	s_delay_alu instid0(SALU_CYCLE_1)
	s_mov_b32 s18, exec_lo
	v_cmpx_gt_i32_e64 s33, v0
	s_cbranch_execnz .LBB37_21
.LBB37_3:
	s_or_b32 exec_lo, exec_lo, s18
	s_delay_alu instid0(SALU_CYCLE_1)
	s_mov_b32 s18, exec_lo
	v_cmpx_gt_i32_e64 s33, v0
	s_cbranch_execnz .LBB37_33
.LBB37_4:
	s_or_b32 exec_lo, exec_lo, s18
	s_delay_alu instid0(SALU_CYCLE_1)
	s_mov_b32 s18, exec_lo
	v_cmpx_gt_i32_e64 s33, v0
	s_cbranch_execnz .LBB37_45
.LBB37_5:
	s_or_b32 exec_lo, exec_lo, s18
	s_delay_alu instid0(SALU_CYCLE_1)
	s_mov_b32 s18, exec_lo
	v_cmpx_gt_i32_e64 s33, v0
	s_cbranch_execnz .LBB37_57
.LBB37_6:
	s_or_b32 exec_lo, exec_lo, s18
	s_delay_alu instid0(SALU_CYCLE_1)
	s_mov_b32 s18, exec_lo
	v_cmpx_gt_i32_e64 s33, v0
	s_cbranch_execnz .LBB37_69
.LBB37_7:
	s_or_b32 exec_lo, exec_lo, s18
	s_delay_alu instid0(SALU_CYCLE_1)
	s_mov_b32 s18, exec_lo
	v_cmpx_gt_i32_e64 s33, v0
	s_cbranch_execnz .LBB37_81
.LBB37_8:
	s_or_b32 exec_lo, exec_lo, s18
	s_delay_alu instid0(SALU_CYCLE_1)
	s_mov_b32 s18, exec_lo
	v_cmpx_gt_i32_e64 s33, v0
	s_cbranch_execnz .LBB37_93
	s_branch .LBB37_105
.LBB37_9:
	s_and_not1_b32 vcc_lo, exec_lo, s28
	s_cbranch_vccnz .LBB37_15
; %bb.10:
	s_and_not1_b32 vcc_lo, exec_lo, s34
	s_cbranch_vccnz .LBB37_16
; %bb.11:
	v_dual_mov_b32 v4, 0 :: v_dual_mov_b32 v1, v0
	v_dual_mov_b32 v6, 0 :: v_dual_mov_b32 v5, 0
	s_add_co_i32 s35, s31, 1
	s_mov_b64 s[14:15], 0xffffffffffffffe8
	s_and_b32 s35, s35, 30
	s_add_nc_u64 s[14:15], s[16:17], s[14:15]
.LBB37_12:                              ; =>This Inner Loop Header: Depth=1
	s_clause 0x1
	s_load_b128 s[36:39], s[14:15], 0x1c
	s_load_b64 s[44:45], s[14:15], 0x2c
	s_add_co_i32 s35, s35, -2
	s_delay_alu instid0(SALU_CYCLE_1) | instskip(SKIP_2) | instid1(VALU_DEP_1)
	s_cmp_lg_u32 s35, 0
	s_wait_kmcnt 0x0
	v_mul_hi_u32 v2, s37, v1
	v_add_nc_u32_e32 v2, v1, v2
	s_delay_alu instid0(VALU_DEP_1) | instskip(NEXT) | instid1(VALU_DEP_1)
	v_lshrrev_b32_e32 v2, s38, v2
	v_mul_hi_u32 v3, s44, v2
	v_mul_lo_u32 v7, v2, s36
	s_clause 0x1
	s_load_b128 s[40:43], s[14:15], 0xdc
	s_load_b64 s[36:37], s[14:15], 0xec
	s_wait_xcnt 0x0
	s_add_nc_u64 s[14:15], s[14:15], 24
	s_delay_alu instid0(VALU_DEP_2) | instskip(NEXT) | instid1(VALU_DEP_2)
	v_add_nc_u32_e32 v3, v2, v3
	v_sub_nc_u32_e32 v7, v1, v7
	s_delay_alu instid0(VALU_DEP_2) | instskip(SKIP_1) | instid1(VALU_DEP_2)
	v_lshrrev_b32_e32 v1, s45, v3
	s_wait_kmcnt 0x0
	v_mad_u32 v4, v7, s40, v4
	s_delay_alu instid0(VALU_DEP_2) | instskip(SKIP_2) | instid1(VALU_DEP_3)
	v_mul_lo_u32 v3, v1, s39
	v_mad_u32 v5, v7, s42, v5
	v_mad_u32 v6, v7, s41, v6
	v_sub_nc_u32_e32 v2, v2, v3
	s_delay_alu instid0(VALU_DEP_1) | instskip(NEXT) | instid1(VALU_DEP_4)
	v_mad_u32 v4, v2, s43, v4
	v_mad_u32 v5, v2, s37, v5
	s_delay_alu instid0(VALU_DEP_4)
	v_mad_u32 v6, v2, s36, v6
	s_cbranch_scc1 .LBB37_12
; %bb.13:
	s_bitcmp1_b32 s31, 0
	s_cselect_b32 s35, -1, 0
	s_delay_alu instid0(SALU_CYCLE_1)
	s_and_b32 vcc_lo, exec_lo, s35
	s_cbranch_vccnz .LBB37_17
; %bb.14:
	s_clause 0x1
	s_load_b96 s[36:38], s[14:15], 0x1c
	s_load_b96 s[40:42], s[14:15], 0xdc
	s_wait_xcnt 0x0
	s_wait_kmcnt 0x0
	v_mul_hi_u32 v2, s37, v1
	s_delay_alu instid0(VALU_DEP_1) | instskip(NEXT) | instid1(VALU_DEP_1)
	v_add_nc_u32_e32 v2, v1, v2
	v_lshrrev_b32_e32 v2, s38, v2
	s_delay_alu instid0(VALU_DEP_1) | instskip(NEXT) | instid1(VALU_DEP_1)
	v_mul_lo_u32 v2, v2, s36
	v_sub_nc_u32_e32 v1, v1, v2
	s_delay_alu instid0(VALU_DEP_1)
	v_mad_u32 v4, v1, s40, v4
	v_mad_u32 v6, v1, s41, v6
	;; [unrolled: 1-line block ×3, first 2 shown]
	s_cbranch_execz .LBB37_18
	s_branch .LBB37_20
.LBB37_15:
                                        ; implicit-def: $vgpr5
                                        ; implicit-def: $vgpr6
                                        ; implicit-def: $vgpr4
	s_branch .LBB37_18
.LBB37_16:
	v_dual_mov_b32 v5, 0 :: v_dual_mov_b32 v6, 0
	v_mov_b32_e32 v4, 0
.LBB37_17:
	s_cbranch_execnz .LBB37_20
.LBB37_18:
	v_mov_b32_e32 v1, 0
	s_and_not1_b32 vcc_lo, exec_lo, s30
	s_delay_alu instid0(VALU_DEP_1) | instskip(NEXT) | instid1(VALU_DEP_1)
	v_mul_u64_e32 v[2:3], s[20:21], v[0:1]
	v_add_nc_u32_e32 v2, v0, v3
	s_delay_alu instid0(VALU_DEP_1) | instskip(NEXT) | instid1(VALU_DEP_1)
	v_lshrrev_b32_e32 v2, s6, v2
	v_mul_lo_u32 v3, v2, s4
	s_delay_alu instid0(VALU_DEP_1) | instskip(NEXT) | instid1(VALU_DEP_1)
	v_sub_nc_u32_e32 v3, v0, v3
	v_mul_lo_u32 v4, v3, s8
	v_mul_lo_u32 v5, v3, s10
	;; [unrolled: 1-line block ×3, first 2 shown]
	s_cbranch_vccnz .LBB37_20
; %bb.19:
	v_mov_b32_e32 v3, v1
	s_delay_alu instid0(VALU_DEP_1) | instskip(NEXT) | instid1(VALU_DEP_1)
	v_mul_u64_e32 v[8:9], s[24:25], v[2:3]
	v_add_nc_u32_e32 v1, v2, v9
	s_delay_alu instid0(VALU_DEP_1) | instskip(NEXT) | instid1(VALU_DEP_1)
	v_lshrrev_b32_e32 v1, s19, v1
	v_mul_lo_u32 v1, v1, s7
	s_delay_alu instid0(VALU_DEP_1) | instskip(NEXT) | instid1(VALU_DEP_1)
	v_sub_nc_u32_e32 v1, v2, v1
	v_mad_u32 v4, v1, s11, v4
	v_mad_u32 v6, v1, s22, v6
	;; [unrolled: 1-line block ×3, first 2 shown]
.LBB37_20:
	global_load_b32 v1, v6, s[2:3]
	global_load_b32 v2, v5, s[12:13]
	v_add_nc_u32_e32 v0, 0x80, v0
	s_wait_loadcnt 0x0
	v_cmp_ne_u32_e32 vcc_lo, v1, v2
	s_xor_b32 s14, s5, vcc_lo
	s_delay_alu instid0(SALU_CYCLE_1) | instskip(SKIP_3) | instid1(SALU_CYCLE_1)
	v_cndmask_b32_e64 v1, 0, 1, s14
	global_store_b8 v4, v1, s[0:1]
	s_wait_xcnt 0x0
	s_or_b32 exec_lo, exec_lo, s18
	s_mov_b32 s18, exec_lo
	v_cmpx_gt_i32_e64 s33, v0
	s_cbranch_execz .LBB37_3
.LBB37_21:
	s_and_not1_b32 vcc_lo, exec_lo, s28
	s_cbranch_vccnz .LBB37_27
; %bb.22:
	s_and_not1_b32 vcc_lo, exec_lo, s34
	s_cbranch_vccnz .LBB37_28
; %bb.23:
	v_dual_mov_b32 v4, 0 :: v_dual_mov_b32 v1, v0
	v_dual_mov_b32 v6, 0 :: v_dual_mov_b32 v5, 0
	s_add_co_i32 s35, s31, 1
	s_mov_b64 s[14:15], 0xffffffffffffffe8
	s_and_b32 s35, s35, 30
	s_add_nc_u64 s[14:15], s[16:17], s[14:15]
.LBB37_24:                              ; =>This Inner Loop Header: Depth=1
	s_clause 0x1
	s_load_b128 s[36:39], s[14:15], 0x1c
	s_load_b64 s[44:45], s[14:15], 0x2c
	s_add_co_i32 s35, s35, -2
	s_delay_alu instid0(SALU_CYCLE_1) | instskip(SKIP_2) | instid1(VALU_DEP_1)
	s_cmp_eq_u32 s35, 0
	s_wait_kmcnt 0x0
	v_mul_hi_u32 v2, s37, v1
	v_add_nc_u32_e32 v2, v1, v2
	s_delay_alu instid0(VALU_DEP_1) | instskip(NEXT) | instid1(VALU_DEP_1)
	v_lshrrev_b32_e32 v2, s38, v2
	v_mul_hi_u32 v3, s44, v2
	v_mul_lo_u32 v7, v2, s36
	s_clause 0x1
	s_load_b128 s[40:43], s[14:15], 0xdc
	s_load_b64 s[36:37], s[14:15], 0xec
	s_wait_xcnt 0x0
	s_add_nc_u64 s[14:15], s[14:15], 24
	s_delay_alu instid0(VALU_DEP_2) | instskip(NEXT) | instid1(VALU_DEP_2)
	v_add_nc_u32_e32 v3, v2, v3
	v_sub_nc_u32_e32 v7, v1, v7
	s_delay_alu instid0(VALU_DEP_2) | instskip(SKIP_1) | instid1(VALU_DEP_2)
	v_lshrrev_b32_e32 v1, s45, v3
	s_wait_kmcnt 0x0
	v_mad_u32 v4, v7, s40, v4
	s_delay_alu instid0(VALU_DEP_2) | instskip(SKIP_2) | instid1(VALU_DEP_3)
	v_mul_lo_u32 v3, v1, s39
	v_mad_u32 v5, v7, s42, v5
	v_mad_u32 v6, v7, s41, v6
	v_sub_nc_u32_e32 v2, v2, v3
	s_delay_alu instid0(VALU_DEP_1) | instskip(NEXT) | instid1(VALU_DEP_4)
	v_mad_u32 v4, v2, s43, v4
	v_mad_u32 v5, v2, s37, v5
	s_delay_alu instid0(VALU_DEP_4)
	v_mad_u32 v6, v2, s36, v6
	s_cbranch_scc0 .LBB37_24
; %bb.25:
	s_bitcmp1_b32 s31, 0
	s_cselect_b32 s35, -1, 0
	s_delay_alu instid0(SALU_CYCLE_1)
	s_and_b32 vcc_lo, exec_lo, s35
	s_cbranch_vccnz .LBB37_29
; %bb.26:
	s_clause 0x1
	s_load_b96 s[36:38], s[14:15], 0x1c
	s_load_b96 s[40:42], s[14:15], 0xdc
	s_wait_kmcnt 0x0
	v_mul_hi_u32 v2, s37, v1
	s_delay_alu instid0(VALU_DEP_1) | instskip(NEXT) | instid1(VALU_DEP_1)
	v_add_nc_u32_e32 v2, v1, v2
	v_lshrrev_b32_e32 v2, s38, v2
	s_delay_alu instid0(VALU_DEP_1) | instskip(NEXT) | instid1(VALU_DEP_1)
	v_mul_lo_u32 v2, v2, s36
	v_sub_nc_u32_e32 v1, v1, v2
	s_delay_alu instid0(VALU_DEP_1)
	v_mad_u32 v4, v1, s40, v4
	v_mad_u32 v6, v1, s41, v6
	;; [unrolled: 1-line block ×3, first 2 shown]
	s_branch .LBB37_29
.LBB37_27:
                                        ; implicit-def: $vgpr5
                                        ; implicit-def: $vgpr6
                                        ; implicit-def: $vgpr4
	s_branch .LBB37_30
.LBB37_28:
	v_dual_mov_b32 v5, 0 :: v_dual_mov_b32 v6, 0
	v_mov_b32_e32 v4, 0
.LBB37_29:
	s_cbranch_execnz .LBB37_32
.LBB37_30:
	v_mov_b32_e32 v1, 0
	s_and_not1_b32 vcc_lo, exec_lo, s30
	s_delay_alu instid0(VALU_DEP_1) | instskip(NEXT) | instid1(VALU_DEP_1)
	v_mul_u64_e32 v[2:3], s[20:21], v[0:1]
	v_add_nc_u32_e32 v2, v0, v3
	s_delay_alu instid0(VALU_DEP_1) | instskip(NEXT) | instid1(VALU_DEP_1)
	v_lshrrev_b32_e32 v2, s6, v2
	v_mul_lo_u32 v3, v2, s4
	s_delay_alu instid0(VALU_DEP_1) | instskip(NEXT) | instid1(VALU_DEP_1)
	v_sub_nc_u32_e32 v3, v0, v3
	v_mul_lo_u32 v4, v3, s8
	v_mul_lo_u32 v5, v3, s10
	;; [unrolled: 1-line block ×3, first 2 shown]
	s_cbranch_vccnz .LBB37_32
; %bb.31:
	v_mov_b32_e32 v3, v1
	s_delay_alu instid0(VALU_DEP_1) | instskip(NEXT) | instid1(VALU_DEP_1)
	v_mul_u64_e32 v[8:9], s[24:25], v[2:3]
	v_add_nc_u32_e32 v1, v2, v9
	s_delay_alu instid0(VALU_DEP_1) | instskip(NEXT) | instid1(VALU_DEP_1)
	v_lshrrev_b32_e32 v1, s19, v1
	v_mul_lo_u32 v1, v1, s7
	s_delay_alu instid0(VALU_DEP_1) | instskip(NEXT) | instid1(VALU_DEP_1)
	v_sub_nc_u32_e32 v1, v2, v1
	v_mad_u32 v4, v1, s11, v4
	v_mad_u32 v6, v1, s22, v6
	;; [unrolled: 1-line block ×3, first 2 shown]
.LBB37_32:
	global_load_b32 v1, v6, s[2:3]
	global_load_b32 v2, v5, s[12:13]
	v_add_nc_u32_e32 v0, 0x80, v0
	s_wait_loadcnt 0x0
	v_cmp_ne_u32_e32 vcc_lo, v1, v2
	s_xor_b32 s14, s5, vcc_lo
	s_delay_alu instid0(SALU_CYCLE_1) | instskip(SKIP_3) | instid1(SALU_CYCLE_1)
	v_cndmask_b32_e64 v1, 0, 1, s14
	global_store_b8 v4, v1, s[0:1]
	s_wait_xcnt 0x0
	s_or_b32 exec_lo, exec_lo, s18
	s_mov_b32 s18, exec_lo
	v_cmpx_gt_i32_e64 s33, v0
	s_cbranch_execz .LBB37_4
.LBB37_33:
	s_and_not1_b32 vcc_lo, exec_lo, s28
	s_cbranch_vccnz .LBB37_39
; %bb.34:
	s_and_not1_b32 vcc_lo, exec_lo, s34
	s_cbranch_vccnz .LBB37_40
; %bb.35:
	v_dual_mov_b32 v4, 0 :: v_dual_mov_b32 v1, v0
	v_dual_mov_b32 v6, 0 :: v_dual_mov_b32 v5, 0
	s_add_co_i32 s35, s31, 1
	s_mov_b64 s[14:15], 0xffffffffffffffe8
	s_and_b32 s35, s35, 30
	s_add_nc_u64 s[14:15], s[16:17], s[14:15]
.LBB37_36:                              ; =>This Inner Loop Header: Depth=1
	s_clause 0x1
	s_load_b128 s[36:39], s[14:15], 0x1c
	s_load_b64 s[44:45], s[14:15], 0x2c
	s_add_co_i32 s35, s35, -2
	s_delay_alu instid0(SALU_CYCLE_1) | instskip(SKIP_2) | instid1(VALU_DEP_1)
	s_cmp_eq_u32 s35, 0
	s_wait_kmcnt 0x0
	v_mul_hi_u32 v2, s37, v1
	v_add_nc_u32_e32 v2, v1, v2
	s_delay_alu instid0(VALU_DEP_1) | instskip(NEXT) | instid1(VALU_DEP_1)
	v_lshrrev_b32_e32 v2, s38, v2
	v_mul_hi_u32 v3, s44, v2
	v_mul_lo_u32 v7, v2, s36
	s_clause 0x1
	s_load_b128 s[40:43], s[14:15], 0xdc
	s_load_b64 s[36:37], s[14:15], 0xec
	s_wait_xcnt 0x0
	s_add_nc_u64 s[14:15], s[14:15], 24
	s_delay_alu instid0(VALU_DEP_2) | instskip(NEXT) | instid1(VALU_DEP_2)
	v_add_nc_u32_e32 v3, v2, v3
	v_sub_nc_u32_e32 v7, v1, v7
	s_delay_alu instid0(VALU_DEP_2) | instskip(SKIP_1) | instid1(VALU_DEP_2)
	v_lshrrev_b32_e32 v1, s45, v3
	s_wait_kmcnt 0x0
	v_mad_u32 v4, v7, s40, v4
	s_delay_alu instid0(VALU_DEP_2) | instskip(SKIP_2) | instid1(VALU_DEP_3)
	v_mul_lo_u32 v3, v1, s39
	v_mad_u32 v5, v7, s42, v5
	v_mad_u32 v6, v7, s41, v6
	v_sub_nc_u32_e32 v2, v2, v3
	s_delay_alu instid0(VALU_DEP_1) | instskip(NEXT) | instid1(VALU_DEP_4)
	v_mad_u32 v4, v2, s43, v4
	v_mad_u32 v5, v2, s37, v5
	s_delay_alu instid0(VALU_DEP_4)
	v_mad_u32 v6, v2, s36, v6
	s_cbranch_scc0 .LBB37_36
; %bb.37:
	s_bitcmp1_b32 s31, 0
	s_cselect_b32 s35, -1, 0
	s_delay_alu instid0(SALU_CYCLE_1)
	s_and_b32 vcc_lo, exec_lo, s35
	s_cbranch_vccnz .LBB37_41
; %bb.38:
	s_clause 0x1
	s_load_b96 s[36:38], s[14:15], 0x1c
	s_load_b96 s[40:42], s[14:15], 0xdc
	s_wait_kmcnt 0x0
	v_mul_hi_u32 v2, s37, v1
	s_delay_alu instid0(VALU_DEP_1) | instskip(NEXT) | instid1(VALU_DEP_1)
	v_add_nc_u32_e32 v2, v1, v2
	v_lshrrev_b32_e32 v2, s38, v2
	s_delay_alu instid0(VALU_DEP_1) | instskip(NEXT) | instid1(VALU_DEP_1)
	v_mul_lo_u32 v2, v2, s36
	v_sub_nc_u32_e32 v1, v1, v2
	s_delay_alu instid0(VALU_DEP_1)
	v_mad_u32 v4, v1, s40, v4
	v_mad_u32 v6, v1, s41, v6
	;; [unrolled: 1-line block ×3, first 2 shown]
	s_branch .LBB37_41
.LBB37_39:
                                        ; implicit-def: $vgpr5
                                        ; implicit-def: $vgpr6
                                        ; implicit-def: $vgpr4
	s_branch .LBB37_42
.LBB37_40:
	v_dual_mov_b32 v5, 0 :: v_dual_mov_b32 v6, 0
	v_mov_b32_e32 v4, 0
.LBB37_41:
	s_cbranch_execnz .LBB37_44
.LBB37_42:
	v_mov_b32_e32 v1, 0
	s_and_not1_b32 vcc_lo, exec_lo, s30
	s_delay_alu instid0(VALU_DEP_1) | instskip(NEXT) | instid1(VALU_DEP_1)
	v_mul_u64_e32 v[2:3], s[20:21], v[0:1]
	v_add_nc_u32_e32 v2, v0, v3
	s_delay_alu instid0(VALU_DEP_1) | instskip(NEXT) | instid1(VALU_DEP_1)
	v_lshrrev_b32_e32 v2, s6, v2
	v_mul_lo_u32 v3, v2, s4
	s_delay_alu instid0(VALU_DEP_1) | instskip(NEXT) | instid1(VALU_DEP_1)
	v_sub_nc_u32_e32 v3, v0, v3
	v_mul_lo_u32 v4, v3, s8
	v_mul_lo_u32 v5, v3, s10
	;; [unrolled: 1-line block ×3, first 2 shown]
	s_cbranch_vccnz .LBB37_44
; %bb.43:
	v_mov_b32_e32 v3, v1
	s_delay_alu instid0(VALU_DEP_1) | instskip(NEXT) | instid1(VALU_DEP_1)
	v_mul_u64_e32 v[8:9], s[24:25], v[2:3]
	v_add_nc_u32_e32 v1, v2, v9
	s_delay_alu instid0(VALU_DEP_1) | instskip(NEXT) | instid1(VALU_DEP_1)
	v_lshrrev_b32_e32 v1, s19, v1
	v_mul_lo_u32 v1, v1, s7
	s_delay_alu instid0(VALU_DEP_1) | instskip(NEXT) | instid1(VALU_DEP_1)
	v_sub_nc_u32_e32 v1, v2, v1
	v_mad_u32 v4, v1, s11, v4
	v_mad_u32 v6, v1, s22, v6
	;; [unrolled: 1-line block ×3, first 2 shown]
.LBB37_44:
	global_load_b32 v1, v6, s[2:3]
	global_load_b32 v2, v5, s[12:13]
	v_add_nc_u32_e32 v0, 0x80, v0
	s_wait_loadcnt 0x0
	v_cmp_ne_u32_e32 vcc_lo, v1, v2
	s_xor_b32 s14, s5, vcc_lo
	s_delay_alu instid0(SALU_CYCLE_1) | instskip(SKIP_3) | instid1(SALU_CYCLE_1)
	v_cndmask_b32_e64 v1, 0, 1, s14
	global_store_b8 v4, v1, s[0:1]
	s_wait_xcnt 0x0
	s_or_b32 exec_lo, exec_lo, s18
	s_mov_b32 s18, exec_lo
	v_cmpx_gt_i32_e64 s33, v0
	s_cbranch_execz .LBB37_5
.LBB37_45:
	s_and_not1_b32 vcc_lo, exec_lo, s28
	s_cbranch_vccnz .LBB37_51
; %bb.46:
	s_and_not1_b32 vcc_lo, exec_lo, s34
	s_cbranch_vccnz .LBB37_52
; %bb.47:
	v_dual_mov_b32 v4, 0 :: v_dual_mov_b32 v1, v0
	v_dual_mov_b32 v6, 0 :: v_dual_mov_b32 v5, 0
	s_add_co_i32 s35, s31, 1
	s_mov_b64 s[14:15], 0xffffffffffffffe8
	s_and_b32 s35, s35, 30
	s_add_nc_u64 s[14:15], s[16:17], s[14:15]
.LBB37_48:                              ; =>This Inner Loop Header: Depth=1
	s_clause 0x1
	s_load_b128 s[36:39], s[14:15], 0x1c
	s_load_b64 s[44:45], s[14:15], 0x2c
	s_add_co_i32 s35, s35, -2
	s_delay_alu instid0(SALU_CYCLE_1) | instskip(SKIP_2) | instid1(VALU_DEP_1)
	s_cmp_eq_u32 s35, 0
	s_wait_kmcnt 0x0
	v_mul_hi_u32 v2, s37, v1
	v_add_nc_u32_e32 v2, v1, v2
	s_delay_alu instid0(VALU_DEP_1) | instskip(NEXT) | instid1(VALU_DEP_1)
	v_lshrrev_b32_e32 v2, s38, v2
	v_mul_hi_u32 v3, s44, v2
	v_mul_lo_u32 v7, v2, s36
	s_clause 0x1
	s_load_b128 s[40:43], s[14:15], 0xdc
	s_load_b64 s[36:37], s[14:15], 0xec
	s_wait_xcnt 0x0
	s_add_nc_u64 s[14:15], s[14:15], 24
	s_delay_alu instid0(VALU_DEP_2) | instskip(NEXT) | instid1(VALU_DEP_2)
	v_add_nc_u32_e32 v3, v2, v3
	v_sub_nc_u32_e32 v7, v1, v7
	s_delay_alu instid0(VALU_DEP_2) | instskip(SKIP_1) | instid1(VALU_DEP_2)
	v_lshrrev_b32_e32 v1, s45, v3
	s_wait_kmcnt 0x0
	v_mad_u32 v4, v7, s40, v4
	s_delay_alu instid0(VALU_DEP_2) | instskip(SKIP_2) | instid1(VALU_DEP_3)
	v_mul_lo_u32 v3, v1, s39
	v_mad_u32 v5, v7, s42, v5
	v_mad_u32 v6, v7, s41, v6
	v_sub_nc_u32_e32 v2, v2, v3
	s_delay_alu instid0(VALU_DEP_1) | instskip(NEXT) | instid1(VALU_DEP_4)
	v_mad_u32 v4, v2, s43, v4
	v_mad_u32 v5, v2, s37, v5
	s_delay_alu instid0(VALU_DEP_4)
	v_mad_u32 v6, v2, s36, v6
	s_cbranch_scc0 .LBB37_48
; %bb.49:
	s_bitcmp1_b32 s31, 0
	s_cselect_b32 s35, -1, 0
	s_delay_alu instid0(SALU_CYCLE_1)
	s_and_b32 vcc_lo, exec_lo, s35
	s_cbranch_vccnz .LBB37_53
; %bb.50:
	s_clause 0x1
	s_load_b96 s[36:38], s[14:15], 0x1c
	s_load_b96 s[40:42], s[14:15], 0xdc
	s_wait_kmcnt 0x0
	v_mul_hi_u32 v2, s37, v1
	s_delay_alu instid0(VALU_DEP_1) | instskip(NEXT) | instid1(VALU_DEP_1)
	v_add_nc_u32_e32 v2, v1, v2
	v_lshrrev_b32_e32 v2, s38, v2
	s_delay_alu instid0(VALU_DEP_1) | instskip(NEXT) | instid1(VALU_DEP_1)
	v_mul_lo_u32 v2, v2, s36
	v_sub_nc_u32_e32 v1, v1, v2
	s_delay_alu instid0(VALU_DEP_1)
	v_mad_u32 v4, v1, s40, v4
	v_mad_u32 v6, v1, s41, v6
	v_mad_u32 v5, v1, s42, v5
	s_branch .LBB37_53
.LBB37_51:
                                        ; implicit-def: $vgpr5
                                        ; implicit-def: $vgpr6
                                        ; implicit-def: $vgpr4
	s_branch .LBB37_54
.LBB37_52:
	v_dual_mov_b32 v5, 0 :: v_dual_mov_b32 v6, 0
	v_mov_b32_e32 v4, 0
.LBB37_53:
	s_cbranch_execnz .LBB37_56
.LBB37_54:
	v_mov_b32_e32 v1, 0
	s_and_not1_b32 vcc_lo, exec_lo, s30
	s_delay_alu instid0(VALU_DEP_1) | instskip(NEXT) | instid1(VALU_DEP_1)
	v_mul_u64_e32 v[2:3], s[20:21], v[0:1]
	v_add_nc_u32_e32 v2, v0, v3
	s_delay_alu instid0(VALU_DEP_1) | instskip(NEXT) | instid1(VALU_DEP_1)
	v_lshrrev_b32_e32 v2, s6, v2
	v_mul_lo_u32 v3, v2, s4
	s_delay_alu instid0(VALU_DEP_1) | instskip(NEXT) | instid1(VALU_DEP_1)
	v_sub_nc_u32_e32 v3, v0, v3
	v_mul_lo_u32 v4, v3, s8
	v_mul_lo_u32 v5, v3, s10
	;; [unrolled: 1-line block ×3, first 2 shown]
	s_cbranch_vccnz .LBB37_56
; %bb.55:
	v_mov_b32_e32 v3, v1
	s_delay_alu instid0(VALU_DEP_1) | instskip(NEXT) | instid1(VALU_DEP_1)
	v_mul_u64_e32 v[8:9], s[24:25], v[2:3]
	v_add_nc_u32_e32 v1, v2, v9
	s_delay_alu instid0(VALU_DEP_1) | instskip(NEXT) | instid1(VALU_DEP_1)
	v_lshrrev_b32_e32 v1, s19, v1
	v_mul_lo_u32 v1, v1, s7
	s_delay_alu instid0(VALU_DEP_1) | instskip(NEXT) | instid1(VALU_DEP_1)
	v_sub_nc_u32_e32 v1, v2, v1
	v_mad_u32 v4, v1, s11, v4
	v_mad_u32 v6, v1, s22, v6
	;; [unrolled: 1-line block ×3, first 2 shown]
.LBB37_56:
	global_load_b32 v1, v6, s[2:3]
	global_load_b32 v2, v5, s[12:13]
	v_add_nc_u32_e32 v0, 0x80, v0
	s_wait_loadcnt 0x0
	v_cmp_ne_u32_e32 vcc_lo, v1, v2
	s_xor_b32 s14, s5, vcc_lo
	s_delay_alu instid0(SALU_CYCLE_1) | instskip(SKIP_3) | instid1(SALU_CYCLE_1)
	v_cndmask_b32_e64 v1, 0, 1, s14
	global_store_b8 v4, v1, s[0:1]
	s_wait_xcnt 0x0
	s_or_b32 exec_lo, exec_lo, s18
	s_mov_b32 s18, exec_lo
	v_cmpx_gt_i32_e64 s33, v0
	s_cbranch_execz .LBB37_6
.LBB37_57:
	s_and_not1_b32 vcc_lo, exec_lo, s28
	s_cbranch_vccnz .LBB37_63
; %bb.58:
	s_and_not1_b32 vcc_lo, exec_lo, s34
	s_cbranch_vccnz .LBB37_64
; %bb.59:
	v_dual_mov_b32 v4, 0 :: v_dual_mov_b32 v1, v0
	v_dual_mov_b32 v6, 0 :: v_dual_mov_b32 v5, 0
	s_add_co_i32 s35, s31, 1
	s_mov_b64 s[14:15], 0xffffffffffffffe8
	s_and_b32 s35, s35, 30
	s_add_nc_u64 s[14:15], s[16:17], s[14:15]
.LBB37_60:                              ; =>This Inner Loop Header: Depth=1
	s_clause 0x1
	s_load_b128 s[36:39], s[14:15], 0x1c
	s_load_b64 s[44:45], s[14:15], 0x2c
	s_add_co_i32 s35, s35, -2
	s_delay_alu instid0(SALU_CYCLE_1) | instskip(SKIP_2) | instid1(VALU_DEP_1)
	s_cmp_eq_u32 s35, 0
	s_wait_kmcnt 0x0
	v_mul_hi_u32 v2, s37, v1
	v_add_nc_u32_e32 v2, v1, v2
	s_delay_alu instid0(VALU_DEP_1) | instskip(NEXT) | instid1(VALU_DEP_1)
	v_lshrrev_b32_e32 v2, s38, v2
	v_mul_hi_u32 v3, s44, v2
	v_mul_lo_u32 v7, v2, s36
	s_clause 0x1
	s_load_b128 s[40:43], s[14:15], 0xdc
	s_load_b64 s[36:37], s[14:15], 0xec
	s_wait_xcnt 0x0
	s_add_nc_u64 s[14:15], s[14:15], 24
	s_delay_alu instid0(VALU_DEP_2) | instskip(NEXT) | instid1(VALU_DEP_2)
	v_add_nc_u32_e32 v3, v2, v3
	v_sub_nc_u32_e32 v7, v1, v7
	s_delay_alu instid0(VALU_DEP_2) | instskip(SKIP_1) | instid1(VALU_DEP_2)
	v_lshrrev_b32_e32 v1, s45, v3
	s_wait_kmcnt 0x0
	v_mad_u32 v4, v7, s40, v4
	s_delay_alu instid0(VALU_DEP_2) | instskip(SKIP_2) | instid1(VALU_DEP_3)
	v_mul_lo_u32 v3, v1, s39
	v_mad_u32 v5, v7, s42, v5
	v_mad_u32 v6, v7, s41, v6
	v_sub_nc_u32_e32 v2, v2, v3
	s_delay_alu instid0(VALU_DEP_1) | instskip(NEXT) | instid1(VALU_DEP_4)
	v_mad_u32 v4, v2, s43, v4
	v_mad_u32 v5, v2, s37, v5
	s_delay_alu instid0(VALU_DEP_4)
	v_mad_u32 v6, v2, s36, v6
	s_cbranch_scc0 .LBB37_60
; %bb.61:
	s_bitcmp1_b32 s31, 0
	s_cselect_b32 s35, -1, 0
	s_delay_alu instid0(SALU_CYCLE_1)
	s_and_b32 vcc_lo, exec_lo, s35
	s_cbranch_vccnz .LBB37_65
; %bb.62:
	s_clause 0x1
	s_load_b96 s[36:38], s[14:15], 0x1c
	s_load_b96 s[40:42], s[14:15], 0xdc
	s_wait_kmcnt 0x0
	v_mul_hi_u32 v2, s37, v1
	s_delay_alu instid0(VALU_DEP_1) | instskip(NEXT) | instid1(VALU_DEP_1)
	v_add_nc_u32_e32 v2, v1, v2
	v_lshrrev_b32_e32 v2, s38, v2
	s_delay_alu instid0(VALU_DEP_1) | instskip(NEXT) | instid1(VALU_DEP_1)
	v_mul_lo_u32 v2, v2, s36
	v_sub_nc_u32_e32 v1, v1, v2
	s_delay_alu instid0(VALU_DEP_1)
	v_mad_u32 v4, v1, s40, v4
	v_mad_u32 v6, v1, s41, v6
	;; [unrolled: 1-line block ×3, first 2 shown]
	s_branch .LBB37_65
.LBB37_63:
                                        ; implicit-def: $vgpr5
                                        ; implicit-def: $vgpr6
                                        ; implicit-def: $vgpr4
	s_branch .LBB37_66
.LBB37_64:
	v_dual_mov_b32 v5, 0 :: v_dual_mov_b32 v6, 0
	v_mov_b32_e32 v4, 0
.LBB37_65:
	s_cbranch_execnz .LBB37_68
.LBB37_66:
	v_mov_b32_e32 v1, 0
	s_and_not1_b32 vcc_lo, exec_lo, s30
	s_delay_alu instid0(VALU_DEP_1) | instskip(NEXT) | instid1(VALU_DEP_1)
	v_mul_u64_e32 v[2:3], s[20:21], v[0:1]
	v_add_nc_u32_e32 v2, v0, v3
	s_delay_alu instid0(VALU_DEP_1) | instskip(NEXT) | instid1(VALU_DEP_1)
	v_lshrrev_b32_e32 v2, s6, v2
	v_mul_lo_u32 v3, v2, s4
	s_delay_alu instid0(VALU_DEP_1) | instskip(NEXT) | instid1(VALU_DEP_1)
	v_sub_nc_u32_e32 v3, v0, v3
	v_mul_lo_u32 v4, v3, s8
	v_mul_lo_u32 v5, v3, s10
	;; [unrolled: 1-line block ×3, first 2 shown]
	s_cbranch_vccnz .LBB37_68
; %bb.67:
	v_mov_b32_e32 v3, v1
	s_delay_alu instid0(VALU_DEP_1) | instskip(NEXT) | instid1(VALU_DEP_1)
	v_mul_u64_e32 v[8:9], s[24:25], v[2:3]
	v_add_nc_u32_e32 v1, v2, v9
	s_delay_alu instid0(VALU_DEP_1) | instskip(NEXT) | instid1(VALU_DEP_1)
	v_lshrrev_b32_e32 v1, s19, v1
	v_mul_lo_u32 v1, v1, s7
	s_delay_alu instid0(VALU_DEP_1) | instskip(NEXT) | instid1(VALU_DEP_1)
	v_sub_nc_u32_e32 v1, v2, v1
	v_mad_u32 v4, v1, s11, v4
	v_mad_u32 v6, v1, s22, v6
	;; [unrolled: 1-line block ×3, first 2 shown]
.LBB37_68:
	global_load_b32 v1, v6, s[2:3]
	global_load_b32 v2, v5, s[12:13]
	v_add_nc_u32_e32 v0, 0x80, v0
	s_wait_loadcnt 0x0
	v_cmp_ne_u32_e32 vcc_lo, v1, v2
	s_xor_b32 s14, s5, vcc_lo
	s_delay_alu instid0(SALU_CYCLE_1) | instskip(SKIP_3) | instid1(SALU_CYCLE_1)
	v_cndmask_b32_e64 v1, 0, 1, s14
	global_store_b8 v4, v1, s[0:1]
	s_wait_xcnt 0x0
	s_or_b32 exec_lo, exec_lo, s18
	s_mov_b32 s18, exec_lo
	v_cmpx_gt_i32_e64 s33, v0
	s_cbranch_execz .LBB37_7
.LBB37_69:
	s_and_not1_b32 vcc_lo, exec_lo, s28
	s_cbranch_vccnz .LBB37_75
; %bb.70:
	s_and_not1_b32 vcc_lo, exec_lo, s34
	s_cbranch_vccnz .LBB37_76
; %bb.71:
	v_dual_mov_b32 v4, 0 :: v_dual_mov_b32 v1, v0
	v_dual_mov_b32 v6, 0 :: v_dual_mov_b32 v5, 0
	s_add_co_i32 s35, s31, 1
	s_mov_b64 s[14:15], 0xffffffffffffffe8
	s_and_b32 s35, s35, 30
	s_add_nc_u64 s[14:15], s[16:17], s[14:15]
.LBB37_72:                              ; =>This Inner Loop Header: Depth=1
	s_clause 0x1
	s_load_b128 s[36:39], s[14:15], 0x1c
	s_load_b64 s[44:45], s[14:15], 0x2c
	s_add_co_i32 s35, s35, -2
	s_delay_alu instid0(SALU_CYCLE_1) | instskip(SKIP_2) | instid1(VALU_DEP_1)
	s_cmp_eq_u32 s35, 0
	s_wait_kmcnt 0x0
	v_mul_hi_u32 v2, s37, v1
	v_add_nc_u32_e32 v2, v1, v2
	s_delay_alu instid0(VALU_DEP_1) | instskip(NEXT) | instid1(VALU_DEP_1)
	v_lshrrev_b32_e32 v2, s38, v2
	v_mul_hi_u32 v3, s44, v2
	v_mul_lo_u32 v7, v2, s36
	s_clause 0x1
	s_load_b128 s[40:43], s[14:15], 0xdc
	s_load_b64 s[36:37], s[14:15], 0xec
	s_wait_xcnt 0x0
	s_add_nc_u64 s[14:15], s[14:15], 24
	s_delay_alu instid0(VALU_DEP_2) | instskip(NEXT) | instid1(VALU_DEP_2)
	v_add_nc_u32_e32 v3, v2, v3
	v_sub_nc_u32_e32 v7, v1, v7
	s_delay_alu instid0(VALU_DEP_2) | instskip(SKIP_1) | instid1(VALU_DEP_2)
	v_lshrrev_b32_e32 v1, s45, v3
	s_wait_kmcnt 0x0
	v_mad_u32 v4, v7, s40, v4
	s_delay_alu instid0(VALU_DEP_2) | instskip(SKIP_2) | instid1(VALU_DEP_3)
	v_mul_lo_u32 v3, v1, s39
	v_mad_u32 v5, v7, s42, v5
	v_mad_u32 v6, v7, s41, v6
	v_sub_nc_u32_e32 v2, v2, v3
	s_delay_alu instid0(VALU_DEP_1) | instskip(NEXT) | instid1(VALU_DEP_4)
	v_mad_u32 v4, v2, s43, v4
	v_mad_u32 v5, v2, s37, v5
	s_delay_alu instid0(VALU_DEP_4)
	v_mad_u32 v6, v2, s36, v6
	s_cbranch_scc0 .LBB37_72
; %bb.73:
	s_bitcmp1_b32 s31, 0
	s_cselect_b32 s35, -1, 0
	s_delay_alu instid0(SALU_CYCLE_1)
	s_and_b32 vcc_lo, exec_lo, s35
	s_cbranch_vccnz .LBB37_77
; %bb.74:
	s_clause 0x1
	s_load_b96 s[36:38], s[14:15], 0x1c
	s_load_b96 s[40:42], s[14:15], 0xdc
	s_wait_kmcnt 0x0
	v_mul_hi_u32 v2, s37, v1
	s_delay_alu instid0(VALU_DEP_1) | instskip(NEXT) | instid1(VALU_DEP_1)
	v_add_nc_u32_e32 v2, v1, v2
	v_lshrrev_b32_e32 v2, s38, v2
	s_delay_alu instid0(VALU_DEP_1) | instskip(NEXT) | instid1(VALU_DEP_1)
	v_mul_lo_u32 v2, v2, s36
	v_sub_nc_u32_e32 v1, v1, v2
	s_delay_alu instid0(VALU_DEP_1)
	v_mad_u32 v4, v1, s40, v4
	v_mad_u32 v6, v1, s41, v6
	v_mad_u32 v5, v1, s42, v5
	s_branch .LBB37_77
.LBB37_75:
                                        ; implicit-def: $vgpr5
                                        ; implicit-def: $vgpr6
                                        ; implicit-def: $vgpr4
	s_branch .LBB37_78
.LBB37_76:
	v_dual_mov_b32 v5, 0 :: v_dual_mov_b32 v6, 0
	v_mov_b32_e32 v4, 0
.LBB37_77:
	s_cbranch_execnz .LBB37_80
.LBB37_78:
	v_mov_b32_e32 v1, 0
	s_and_not1_b32 vcc_lo, exec_lo, s30
	s_delay_alu instid0(VALU_DEP_1) | instskip(NEXT) | instid1(VALU_DEP_1)
	v_mul_u64_e32 v[2:3], s[20:21], v[0:1]
	v_add_nc_u32_e32 v2, v0, v3
	s_delay_alu instid0(VALU_DEP_1) | instskip(NEXT) | instid1(VALU_DEP_1)
	v_lshrrev_b32_e32 v2, s6, v2
	v_mul_lo_u32 v3, v2, s4
	s_delay_alu instid0(VALU_DEP_1) | instskip(NEXT) | instid1(VALU_DEP_1)
	v_sub_nc_u32_e32 v3, v0, v3
	v_mul_lo_u32 v4, v3, s8
	v_mul_lo_u32 v5, v3, s10
	;; [unrolled: 1-line block ×3, first 2 shown]
	s_cbranch_vccnz .LBB37_80
; %bb.79:
	v_mov_b32_e32 v3, v1
	s_delay_alu instid0(VALU_DEP_1) | instskip(NEXT) | instid1(VALU_DEP_1)
	v_mul_u64_e32 v[8:9], s[24:25], v[2:3]
	v_add_nc_u32_e32 v1, v2, v9
	s_delay_alu instid0(VALU_DEP_1) | instskip(NEXT) | instid1(VALU_DEP_1)
	v_lshrrev_b32_e32 v1, s19, v1
	v_mul_lo_u32 v1, v1, s7
	s_delay_alu instid0(VALU_DEP_1) | instskip(NEXT) | instid1(VALU_DEP_1)
	v_sub_nc_u32_e32 v1, v2, v1
	v_mad_u32 v4, v1, s11, v4
	v_mad_u32 v6, v1, s22, v6
	;; [unrolled: 1-line block ×3, first 2 shown]
.LBB37_80:
	global_load_b32 v1, v6, s[2:3]
	global_load_b32 v2, v5, s[12:13]
	v_add_nc_u32_e32 v0, 0x80, v0
	s_wait_loadcnt 0x0
	v_cmp_ne_u32_e32 vcc_lo, v1, v2
	s_xor_b32 s14, s5, vcc_lo
	s_delay_alu instid0(SALU_CYCLE_1) | instskip(SKIP_3) | instid1(SALU_CYCLE_1)
	v_cndmask_b32_e64 v1, 0, 1, s14
	global_store_b8 v4, v1, s[0:1]
	s_wait_xcnt 0x0
	s_or_b32 exec_lo, exec_lo, s18
	s_mov_b32 s18, exec_lo
	v_cmpx_gt_i32_e64 s33, v0
	s_cbranch_execz .LBB37_8
.LBB37_81:
	s_and_not1_b32 vcc_lo, exec_lo, s28
	s_cbranch_vccnz .LBB37_87
; %bb.82:
	s_and_not1_b32 vcc_lo, exec_lo, s34
	s_cbranch_vccnz .LBB37_88
; %bb.83:
	v_dual_mov_b32 v4, 0 :: v_dual_mov_b32 v1, v0
	v_dual_mov_b32 v6, 0 :: v_dual_mov_b32 v5, 0
	s_add_co_i32 s35, s31, 1
	s_mov_b64 s[14:15], 0xffffffffffffffe8
	s_and_b32 s35, s35, 30
	s_add_nc_u64 s[14:15], s[16:17], s[14:15]
.LBB37_84:                              ; =>This Inner Loop Header: Depth=1
	s_clause 0x1
	s_load_b128 s[36:39], s[14:15], 0x1c
	s_load_b64 s[44:45], s[14:15], 0x2c
	s_add_co_i32 s35, s35, -2
	s_delay_alu instid0(SALU_CYCLE_1) | instskip(SKIP_2) | instid1(VALU_DEP_1)
	s_cmp_eq_u32 s35, 0
	s_wait_kmcnt 0x0
	v_mul_hi_u32 v2, s37, v1
	v_add_nc_u32_e32 v2, v1, v2
	s_delay_alu instid0(VALU_DEP_1) | instskip(NEXT) | instid1(VALU_DEP_1)
	v_lshrrev_b32_e32 v2, s38, v2
	v_mul_hi_u32 v3, s44, v2
	v_mul_lo_u32 v7, v2, s36
	s_clause 0x1
	s_load_b128 s[40:43], s[14:15], 0xdc
	s_load_b64 s[36:37], s[14:15], 0xec
	s_wait_xcnt 0x0
	s_add_nc_u64 s[14:15], s[14:15], 24
	s_delay_alu instid0(VALU_DEP_2) | instskip(NEXT) | instid1(VALU_DEP_2)
	v_add_nc_u32_e32 v3, v2, v3
	v_sub_nc_u32_e32 v7, v1, v7
	s_delay_alu instid0(VALU_DEP_2) | instskip(SKIP_1) | instid1(VALU_DEP_2)
	v_lshrrev_b32_e32 v1, s45, v3
	s_wait_kmcnt 0x0
	v_mad_u32 v4, v7, s40, v4
	s_delay_alu instid0(VALU_DEP_2) | instskip(SKIP_2) | instid1(VALU_DEP_3)
	v_mul_lo_u32 v3, v1, s39
	v_mad_u32 v5, v7, s42, v5
	v_mad_u32 v6, v7, s41, v6
	v_sub_nc_u32_e32 v2, v2, v3
	s_delay_alu instid0(VALU_DEP_1) | instskip(NEXT) | instid1(VALU_DEP_4)
	v_mad_u32 v4, v2, s43, v4
	v_mad_u32 v5, v2, s37, v5
	s_delay_alu instid0(VALU_DEP_4)
	v_mad_u32 v6, v2, s36, v6
	s_cbranch_scc0 .LBB37_84
; %bb.85:
	s_bitcmp1_b32 s31, 0
	s_cselect_b32 s35, -1, 0
	s_delay_alu instid0(SALU_CYCLE_1)
	s_and_b32 vcc_lo, exec_lo, s35
	s_cbranch_vccnz .LBB37_89
; %bb.86:
	s_clause 0x1
	s_load_b96 s[36:38], s[14:15], 0x1c
	s_load_b96 s[40:42], s[14:15], 0xdc
	s_wait_kmcnt 0x0
	v_mul_hi_u32 v2, s37, v1
	s_delay_alu instid0(VALU_DEP_1) | instskip(NEXT) | instid1(VALU_DEP_1)
	v_add_nc_u32_e32 v2, v1, v2
	v_lshrrev_b32_e32 v2, s38, v2
	s_delay_alu instid0(VALU_DEP_1) | instskip(NEXT) | instid1(VALU_DEP_1)
	v_mul_lo_u32 v2, v2, s36
	v_sub_nc_u32_e32 v1, v1, v2
	s_delay_alu instid0(VALU_DEP_1)
	v_mad_u32 v4, v1, s40, v4
	v_mad_u32 v6, v1, s41, v6
	;; [unrolled: 1-line block ×3, first 2 shown]
	s_branch .LBB37_89
.LBB37_87:
                                        ; implicit-def: $vgpr5
                                        ; implicit-def: $vgpr6
                                        ; implicit-def: $vgpr4
	s_branch .LBB37_90
.LBB37_88:
	v_dual_mov_b32 v5, 0 :: v_dual_mov_b32 v6, 0
	v_mov_b32_e32 v4, 0
.LBB37_89:
	s_cbranch_execnz .LBB37_92
.LBB37_90:
	v_mov_b32_e32 v1, 0
	s_and_not1_b32 vcc_lo, exec_lo, s30
	s_delay_alu instid0(VALU_DEP_1) | instskip(NEXT) | instid1(VALU_DEP_1)
	v_mul_u64_e32 v[2:3], s[20:21], v[0:1]
	v_add_nc_u32_e32 v2, v0, v3
	s_delay_alu instid0(VALU_DEP_1) | instskip(NEXT) | instid1(VALU_DEP_1)
	v_lshrrev_b32_e32 v2, s6, v2
	v_mul_lo_u32 v3, v2, s4
	s_delay_alu instid0(VALU_DEP_1) | instskip(NEXT) | instid1(VALU_DEP_1)
	v_sub_nc_u32_e32 v3, v0, v3
	v_mul_lo_u32 v4, v3, s8
	v_mul_lo_u32 v5, v3, s10
	;; [unrolled: 1-line block ×3, first 2 shown]
	s_cbranch_vccnz .LBB37_92
; %bb.91:
	v_mov_b32_e32 v3, v1
	s_delay_alu instid0(VALU_DEP_1) | instskip(NEXT) | instid1(VALU_DEP_1)
	v_mul_u64_e32 v[8:9], s[24:25], v[2:3]
	v_add_nc_u32_e32 v1, v2, v9
	s_delay_alu instid0(VALU_DEP_1) | instskip(NEXT) | instid1(VALU_DEP_1)
	v_lshrrev_b32_e32 v1, s19, v1
	v_mul_lo_u32 v1, v1, s7
	s_delay_alu instid0(VALU_DEP_1) | instskip(NEXT) | instid1(VALU_DEP_1)
	v_sub_nc_u32_e32 v1, v2, v1
	v_mad_u32 v4, v1, s11, v4
	v_mad_u32 v6, v1, s22, v6
	;; [unrolled: 1-line block ×3, first 2 shown]
.LBB37_92:
	global_load_b32 v1, v6, s[2:3]
	global_load_b32 v2, v5, s[12:13]
	v_add_nc_u32_e32 v0, 0x80, v0
	s_wait_loadcnt 0x0
	v_cmp_ne_u32_e32 vcc_lo, v1, v2
	s_xor_b32 s14, s5, vcc_lo
	s_delay_alu instid0(SALU_CYCLE_1) | instskip(SKIP_3) | instid1(SALU_CYCLE_1)
	v_cndmask_b32_e64 v1, 0, 1, s14
	global_store_b8 v4, v1, s[0:1]
	s_wait_xcnt 0x0
	s_or_b32 exec_lo, exec_lo, s18
	s_mov_b32 s18, exec_lo
	v_cmpx_gt_i32_e64 s33, v0
	s_cbranch_execz .LBB37_105
.LBB37_93:
	s_and_not1_b32 vcc_lo, exec_lo, s28
	s_cbranch_vccnz .LBB37_99
; %bb.94:
	s_and_not1_b32 vcc_lo, exec_lo, s34
	s_cbranch_vccnz .LBB37_100
; %bb.95:
	v_dual_mov_b32 v4, 0 :: v_dual_mov_b32 v1, v0
	v_dual_mov_b32 v6, 0 :: v_dual_mov_b32 v5, 0
	s_add_co_i32 s33, s31, 1
	s_mov_b64 s[14:15], 0xffffffffffffffe8
	s_and_b32 s33, s33, 30
	s_add_nc_u64 s[14:15], s[16:17], s[14:15]
.LBB37_96:                              ; =>This Inner Loop Header: Depth=1
	s_clause 0x1
	s_load_b128 s[36:39], s[14:15], 0x1c
	s_load_b64 s[34:35], s[14:15], 0x2c
	s_add_co_i32 s33, s33, -2
	s_delay_alu instid0(SALU_CYCLE_1) | instskip(SKIP_2) | instid1(VALU_DEP_1)
	s_cmp_eq_u32 s33, 0
	s_wait_kmcnt 0x0
	v_mul_hi_u32 v2, s37, v1
	v_add_nc_u32_e32 v2, v1, v2
	s_delay_alu instid0(VALU_DEP_1) | instskip(NEXT) | instid1(VALU_DEP_1)
	v_lshrrev_b32_e32 v2, s38, v2
	v_mul_hi_u32 v3, s34, v2
	v_mul_lo_u32 v7, v2, s36
	s_clause 0x1
	s_load_b128 s[40:43], s[14:15], 0xdc
	s_load_b64 s[36:37], s[14:15], 0xec
	s_wait_xcnt 0x0
	s_add_nc_u64 s[14:15], s[14:15], 24
	s_delay_alu instid0(VALU_DEP_2) | instskip(NEXT) | instid1(VALU_DEP_2)
	v_add_nc_u32_e32 v3, v2, v3
	v_sub_nc_u32_e32 v7, v1, v7
	s_delay_alu instid0(VALU_DEP_2) | instskip(SKIP_1) | instid1(VALU_DEP_2)
	v_lshrrev_b32_e32 v1, s35, v3
	s_wait_kmcnt 0x0
	v_mad_u32 v4, v7, s40, v4
	s_delay_alu instid0(VALU_DEP_2) | instskip(SKIP_2) | instid1(VALU_DEP_3)
	v_mul_lo_u32 v3, v1, s39
	v_mad_u32 v5, v7, s42, v5
	v_mad_u32 v6, v7, s41, v6
	v_sub_nc_u32_e32 v2, v2, v3
	s_delay_alu instid0(VALU_DEP_1) | instskip(NEXT) | instid1(VALU_DEP_4)
	v_mad_u32 v4, v2, s43, v4
	v_mad_u32 v5, v2, s37, v5
	s_delay_alu instid0(VALU_DEP_4)
	v_mad_u32 v6, v2, s36, v6
	s_cbranch_scc0 .LBB37_96
; %bb.97:
	s_bitcmp1_b32 s31, 0
	s_cselect_b32 s31, -1, 0
	s_delay_alu instid0(SALU_CYCLE_1)
	s_and_b32 vcc_lo, exec_lo, s31
	s_cbranch_vccnz .LBB37_101
; %bb.98:
	s_clause 0x1
	s_load_b96 s[36:38], s[14:15], 0x1c
	s_load_b96 s[40:42], s[14:15], 0xdc
	s_wait_kmcnt 0x0
	v_mul_hi_u32 v2, s37, v1
	s_delay_alu instid0(VALU_DEP_1) | instskip(NEXT) | instid1(VALU_DEP_1)
	v_add_nc_u32_e32 v2, v1, v2
	v_lshrrev_b32_e32 v2, s38, v2
	s_delay_alu instid0(VALU_DEP_1) | instskip(NEXT) | instid1(VALU_DEP_1)
	v_mul_lo_u32 v2, v2, s36
	v_sub_nc_u32_e32 v1, v1, v2
	s_delay_alu instid0(VALU_DEP_1)
	v_mad_u32 v4, v1, s40, v4
	v_mad_u32 v6, v1, s41, v6
	;; [unrolled: 1-line block ×3, first 2 shown]
	s_branch .LBB37_101
.LBB37_99:
                                        ; implicit-def: $vgpr5
                                        ; implicit-def: $vgpr6
                                        ; implicit-def: $vgpr4
	s_branch .LBB37_102
.LBB37_100:
	v_dual_mov_b32 v5, 0 :: v_dual_mov_b32 v6, 0
	v_mov_b32_e32 v4, 0
.LBB37_101:
	s_cbranch_execnz .LBB37_104
.LBB37_102:
	v_mov_b32_e32 v1, 0
	s_and_not1_b32 vcc_lo, exec_lo, s30
	s_delay_alu instid0(VALU_DEP_1) | instskip(NEXT) | instid1(VALU_DEP_1)
	v_mul_u64_e32 v[2:3], s[20:21], v[0:1]
	v_add_nc_u32_e32 v2, v0, v3
	s_delay_alu instid0(VALU_DEP_1) | instskip(NEXT) | instid1(VALU_DEP_1)
	v_lshrrev_b32_e32 v2, s6, v2
	v_mul_lo_u32 v3, v2, s4
	s_delay_alu instid0(VALU_DEP_1) | instskip(NEXT) | instid1(VALU_DEP_1)
	v_sub_nc_u32_e32 v0, v0, v3
	v_mul_lo_u32 v4, v0, s8
	v_mul_lo_u32 v5, v0, s10
	;; [unrolled: 1-line block ×3, first 2 shown]
	s_cbranch_vccnz .LBB37_104
; %bb.103:
	v_mov_b32_e32 v3, v1
	s_delay_alu instid0(VALU_DEP_1) | instskip(NEXT) | instid1(VALU_DEP_1)
	v_mul_u64_e32 v[0:1], s[24:25], v[2:3]
	v_add_nc_u32_e32 v0, v2, v1
	s_delay_alu instid0(VALU_DEP_1) | instskip(NEXT) | instid1(VALU_DEP_1)
	v_lshrrev_b32_e32 v0, s19, v0
	v_mul_lo_u32 v0, v0, s7
	s_delay_alu instid0(VALU_DEP_1) | instskip(NEXT) | instid1(VALU_DEP_1)
	v_sub_nc_u32_e32 v0, v2, v0
	v_mad_u32 v4, v0, s11, v4
	v_mad_u32 v6, v0, s22, v6
	v_mad_u32 v5, v0, s23, v5
.LBB37_104:
	global_load_b32 v0, v6, s[2:3]
	global_load_b32 v1, v5, s[12:13]
	s_wait_loadcnt 0x0
	v_cmp_ne_u32_e32 vcc_lo, v0, v1
	s_wait_xcnt 0x1
	s_xor_b32 s2, s5, vcc_lo
	s_delay_alu instid0(SALU_CYCLE_1)
	v_cndmask_b32_e64 v0, 0, 1, s2
	global_store_b8 v4, v0, s[0:1]
.LBB37_105:
	s_wait_xcnt 0x0
	s_or_b32 exec_lo, exec_lo, s18
                                        ; implicit-def: $vgpr4
                                        ; implicit-def: $vgpr0
.LBB37_106:
	s_and_not1_saveexec_b32 s0, s29
	s_cbranch_execz .LBB37_113
; %bb.107:
	v_cndmask_b32_e64 v8, 0, 1, s28
	s_and_not1_b32 vcc_lo, exec_lo, s28
	s_cbranch_vccnz .LBB37_114
; %bb.108:
	s_cmp_lg_u32 s26, 0
	s_mov_b32 s2, 0
	s_cbranch_scc0 .LBB37_118
; %bb.109:
	s_min_u32 s3, s27, 15
	v_dual_mov_b32 v1, 0 :: v_dual_mov_b32 v5, v0
	v_dual_mov_b32 v3, 0 :: v_dual_mov_b32 v2, 0
	s_add_co_i32 s4, s3, 1
	s_mov_b64 s[0:1], 0xffffffffffffffe8
	s_and_b32 s4, s4, 30
	s_add_nc_u64 s[0:1], s[16:17], s[0:1]
.LBB37_110:                             ; =>This Inner Loop Header: Depth=1
	s_clause 0x1
	s_load_b128 s[8:11], s[0:1], 0x1c
	s_load_b64 s[6:7], s[0:1], 0x2c
	s_add_co_i32 s4, s4, -2
	s_delay_alu instid0(SALU_CYCLE_1) | instskip(SKIP_2) | instid1(VALU_DEP_1)
	s_cmp_lg_u32 s4, 0
	s_wait_kmcnt 0x0
	v_mul_hi_u32 v6, s9, v5
	v_add_nc_u32_e32 v6, v5, v6
	s_delay_alu instid0(VALU_DEP_1) | instskip(NEXT) | instid1(VALU_DEP_1)
	v_lshrrev_b32_e32 v6, s10, v6
	v_mul_hi_u32 v7, s6, v6
	v_mul_lo_u32 v9, v6, s8
	s_clause 0x1
	s_load_b128 s[12:15], s[0:1], 0xdc
	s_load_b64 s[8:9], s[0:1], 0xec
	s_wait_xcnt 0x0
	s_add_nc_u64 s[0:1], s[0:1], 24
	s_delay_alu instid0(VALU_DEP_1) | instskip(NEXT) | instid1(VALU_DEP_1)
	v_dual_add_nc_u32 v7, v6, v7 :: v_dual_sub_nc_u32 v9, v5, v9
	v_lshrrev_b32_e32 v5, s7, v7
	s_wait_kmcnt 0x0
	s_delay_alu instid0(VALU_DEP_2) | instskip(NEXT) | instid1(VALU_DEP_2)
	v_mad_u32 v1, v9, s12, v1
	v_mul_lo_u32 v7, v5, s11
	v_mad_u32 v2, v9, s14, v2
	v_mad_u32 v3, v9, s13, v3
	s_delay_alu instid0(VALU_DEP_3) | instskip(NEXT) | instid1(VALU_DEP_1)
	v_sub_nc_u32_e32 v6, v6, v7
	v_mad_u32 v1, v6, s15, v1
	s_delay_alu instid0(VALU_DEP_4) | instskip(NEXT) | instid1(VALU_DEP_4)
	v_mad_u32 v2, v6, s9, v2
	v_mad_u32 v3, v6, s8, v3
	s_cbranch_scc1 .LBB37_110
; %bb.111:
	s_bitcmp1_b32 s3, 0
	s_cselect_b32 s3, -1, 0
	s_delay_alu instid0(SALU_CYCLE_1)
	s_and_b32 vcc_lo, exec_lo, s3
	s_cbranch_vccnz .LBB37_115
; %bb.112:
	s_clause 0x1
	s_load_b96 s[4:6], s[0:1], 0x1c
	s_load_b96 s[8:10], s[0:1], 0xdc
	s_wait_kmcnt 0x0
	v_mul_hi_u32 v6, s5, v5
	s_delay_alu instid0(VALU_DEP_1) | instskip(NEXT) | instid1(VALU_DEP_1)
	v_add_nc_u32_e32 v6, v5, v6
	v_lshrrev_b32_e32 v6, s6, v6
	s_delay_alu instid0(VALU_DEP_1) | instskip(NEXT) | instid1(VALU_DEP_1)
	v_mul_lo_u32 v6, v6, s4
	v_sub_nc_u32_e32 v5, v5, v6
	s_delay_alu instid0(VALU_DEP_1)
	v_mad_u32 v1, v5, s8, v1
	v_mad_u32 v3, v5, s9, v3
	;; [unrolled: 1-line block ×3, first 2 shown]
	s_and_not1_b32 vcc_lo, exec_lo, s2
	s_cbranch_vccz .LBB37_116
	s_branch .LBB37_119
.LBB37_113:
	s_endpgm
.LBB37_114:
	s_mov_b32 s2, -1
                                        ; implicit-def: $vgpr2
                                        ; implicit-def: $vgpr3
                                        ; implicit-def: $vgpr1
.LBB37_115:
	s_delay_alu instid0(SALU_CYCLE_1)
	s_and_not1_b32 vcc_lo, exec_lo, s2
	s_cbranch_vccnz .LBB37_119
.LBB37_116:
	s_clause 0x1
	s_load_b96 s[0:2], s[16:17], 0x4
	s_load_b96 s[4:6], s[16:17], 0xc4
	s_cmp_lt_u32 s26, 2
	s_wait_kmcnt 0x0
	v_mul_hi_u32 v1, s1, v0
	s_delay_alu instid0(VALU_DEP_1) | instskip(NEXT) | instid1(VALU_DEP_1)
	v_add_nc_u32_e32 v1, v0, v1
	v_lshrrev_b32_e32 v5, s2, v1
	s_delay_alu instid0(VALU_DEP_1) | instskip(NEXT) | instid1(VALU_DEP_1)
	v_mul_lo_u32 v1, v5, s0
	v_sub_nc_u32_e32 v3, v0, v1
	s_delay_alu instid0(VALU_DEP_1)
	v_mul_lo_u32 v1, v3, s4
	v_mul_lo_u32 v2, v3, s6
	v_mul_lo_u32 v3, v3, s5
	s_cbranch_scc1 .LBB37_119
; %bb.117:
	s_clause 0x1
	s_load_b96 s[0:2], s[16:17], 0x10
	s_load_b96 s[4:6], s[16:17], 0xd0
	s_wait_kmcnt 0x0
	v_mul_hi_u32 v6, s1, v5
	s_delay_alu instid0(VALU_DEP_1) | instskip(NEXT) | instid1(VALU_DEP_1)
	v_add_nc_u32_e32 v6, v5, v6
	v_lshrrev_b32_e32 v6, s2, v6
	s_delay_alu instid0(VALU_DEP_1) | instskip(NEXT) | instid1(VALU_DEP_1)
	v_mul_lo_u32 v6, v6, s0
	v_sub_nc_u32_e32 v5, v5, v6
	s_delay_alu instid0(VALU_DEP_1)
	v_mad_u32 v1, v5, s4, v1
	v_mad_u32 v3, v5, s5, v3
	v_mad_u32 v2, v5, s6, v2
	s_branch .LBB37_119
.LBB37_118:
	v_dual_mov_b32 v2, 0 :: v_dual_mov_b32 v3, 0
	v_mov_b32_e32 v1, 0
	s_and_not1_b32 vcc_lo, exec_lo, s2
	s_cbranch_vccz .LBB37_116
.LBB37_119:
	v_cmp_ne_u32_e32 vcc_lo, 1, v8
	v_add_nc_u32_e32 v9, 0x80, v0
	s_cbranch_vccnz .LBB37_125
; %bb.120:
	s_cmp_lg_u32 s26, 0
	s_mov_b32 s2, 0
	s_cbranch_scc0 .LBB37_129
; %bb.121:
	s_min_u32 s3, s27, 15
	v_dual_mov_b32 v5, 0 :: v_dual_mov_b32 v10, v9
	v_dual_mov_b32 v6, 0 :: v_dual_mov_b32 v7, 0
	s_add_co_i32 s4, s3, 1
	s_mov_b64 s[0:1], 0xffffffffffffffe8
	s_and_b32 s4, s4, 30
	s_add_nc_u64 s[0:1], s[16:17], s[0:1]
.LBB37_122:                             ; =>This Inner Loop Header: Depth=1
	s_clause 0x1
	s_load_b128 s[8:11], s[0:1], 0x1c
	s_load_b64 s[6:7], s[0:1], 0x2c
	s_add_co_i32 s4, s4, -2
	s_delay_alu instid0(SALU_CYCLE_1) | instskip(SKIP_2) | instid1(VALU_DEP_1)
	s_cmp_lg_u32 s4, 0
	s_wait_kmcnt 0x0
	v_mul_hi_u32 v11, s9, v10
	v_add_nc_u32_e32 v11, v10, v11
	s_delay_alu instid0(VALU_DEP_1) | instskip(NEXT) | instid1(VALU_DEP_1)
	v_lshrrev_b32_e32 v11, s10, v11
	v_mul_hi_u32 v12, s6, v11
	v_mul_lo_u32 v13, v11, s8
	s_clause 0x1
	s_load_b128 s[12:15], s[0:1], 0xdc
	s_load_b64 s[8:9], s[0:1], 0xec
	s_wait_xcnt 0x0
	s_add_nc_u64 s[0:1], s[0:1], 24
	s_delay_alu instid0(VALU_DEP_1) | instskip(NEXT) | instid1(VALU_DEP_1)
	v_dual_add_nc_u32 v12, v11, v12 :: v_dual_sub_nc_u32 v13, v10, v13
	v_lshrrev_b32_e32 v10, s7, v12
	s_wait_kmcnt 0x0
	s_delay_alu instid0(VALU_DEP_2) | instskip(NEXT) | instid1(VALU_DEP_2)
	v_mad_u32 v5, v13, s12, v5
	v_mul_lo_u32 v12, v10, s11
	v_mad_u32 v7, v13, s14, v7
	v_mad_u32 v6, v13, s13, v6
	s_delay_alu instid0(VALU_DEP_3) | instskip(NEXT) | instid1(VALU_DEP_1)
	v_sub_nc_u32_e32 v11, v11, v12
	v_mad_u32 v5, v11, s15, v5
	s_delay_alu instid0(VALU_DEP_4) | instskip(NEXT) | instid1(VALU_DEP_4)
	v_mad_u32 v7, v11, s9, v7
	v_mad_u32 v6, v11, s8, v6
	s_cbranch_scc1 .LBB37_122
; %bb.123:
	s_bitcmp1_b32 s3, 0
	s_cselect_b32 s3, -1, 0
	s_delay_alu instid0(SALU_CYCLE_1)
	s_and_b32 vcc_lo, exec_lo, s3
	s_cbranch_vccnz .LBB37_126
; %bb.124:
	s_clause 0x1
	s_load_b96 s[4:6], s[0:1], 0x1c
	s_load_b96 s[8:10], s[0:1], 0xdc
	s_wait_kmcnt 0x0
	v_mul_hi_u32 v11, s5, v10
	s_delay_alu instid0(VALU_DEP_1) | instskip(NEXT) | instid1(VALU_DEP_1)
	v_add_nc_u32_e32 v11, v10, v11
	v_lshrrev_b32_e32 v11, s6, v11
	s_delay_alu instid0(VALU_DEP_1) | instskip(NEXT) | instid1(VALU_DEP_1)
	v_mul_lo_u32 v11, v11, s4
	v_sub_nc_u32_e32 v10, v10, v11
	s_delay_alu instid0(VALU_DEP_1)
	v_mad_u32 v5, v10, s8, v5
	v_mad_u32 v6, v10, s9, v6
	;; [unrolled: 1-line block ×3, first 2 shown]
	s_and_not1_b32 vcc_lo, exec_lo, s2
	s_cbranch_vccz .LBB37_127
	s_branch .LBB37_130
.LBB37_125:
	s_mov_b32 s2, -1
                                        ; implicit-def: $vgpr7
                                        ; implicit-def: $vgpr6
                                        ; implicit-def: $vgpr5
.LBB37_126:
	s_delay_alu instid0(SALU_CYCLE_1)
	s_and_not1_b32 vcc_lo, exec_lo, s2
	s_cbranch_vccnz .LBB37_130
.LBB37_127:
	s_clause 0x1
	s_load_b96 s[0:2], s[16:17], 0x4
	s_load_b96 s[4:6], s[16:17], 0xc4
	s_cmp_lt_u32 s26, 2
	s_wait_kmcnt 0x0
	v_mul_hi_u32 v5, s1, v9
	s_delay_alu instid0(VALU_DEP_1) | instskip(NEXT) | instid1(VALU_DEP_1)
	v_add_nc_u32_e32 v5, v9, v5
	v_lshrrev_b32_e32 v10, s2, v5
	s_delay_alu instid0(VALU_DEP_1) | instskip(NEXT) | instid1(VALU_DEP_1)
	v_mul_lo_u32 v5, v10, s0
	v_sub_nc_u32_e32 v6, v9, v5
	s_delay_alu instid0(VALU_DEP_1)
	v_mul_lo_u32 v5, v6, s4
	v_mul_lo_u32 v7, v6, s6
	;; [unrolled: 1-line block ×3, first 2 shown]
	s_cbranch_scc1 .LBB37_130
; %bb.128:
	s_clause 0x1
	s_load_b96 s[0:2], s[16:17], 0x10
	s_load_b96 s[4:6], s[16:17], 0xd0
	s_wait_kmcnt 0x0
	v_mul_hi_u32 v9, s1, v10
	s_delay_alu instid0(VALU_DEP_1) | instskip(NEXT) | instid1(VALU_DEP_1)
	v_add_nc_u32_e32 v9, v10, v9
	v_lshrrev_b32_e32 v9, s2, v9
	s_delay_alu instid0(VALU_DEP_1) | instskip(NEXT) | instid1(VALU_DEP_1)
	v_mul_lo_u32 v9, v9, s0
	v_sub_nc_u32_e32 v9, v10, v9
	s_delay_alu instid0(VALU_DEP_1)
	v_mad_u32 v5, v9, s4, v5
	v_mad_u32 v6, v9, s5, v6
	;; [unrolled: 1-line block ×3, first 2 shown]
	s_branch .LBB37_130
.LBB37_129:
	v_dual_mov_b32 v7, 0 :: v_dual_mov_b32 v6, 0
	v_mov_b32_e32 v5, 0
	s_and_not1_b32 vcc_lo, exec_lo, s2
	s_cbranch_vccz .LBB37_127
.LBB37_130:
	v_cmp_ne_u32_e32 vcc_lo, 1, v8
	v_add_nc_u32_e32 v12, 0x100, v0
	s_cbranch_vccnz .LBB37_136
; %bb.131:
	s_cmp_lg_u32 s26, 0
	s_mov_b32 s2, 0
	s_cbranch_scc0 .LBB37_140
; %bb.132:
	s_min_u32 s3, s27, 15
	v_dual_mov_b32 v9, 0 :: v_dual_mov_b32 v13, v12
	v_dual_mov_b32 v11, 0 :: v_dual_mov_b32 v10, 0
	s_add_co_i32 s4, s3, 1
	s_mov_b64 s[0:1], 0xffffffffffffffe8
	s_and_b32 s4, s4, 30
	s_add_nc_u64 s[0:1], s[16:17], s[0:1]
.LBB37_133:                             ; =>This Inner Loop Header: Depth=1
	s_clause 0x1
	s_load_b128 s[8:11], s[0:1], 0x1c
	s_load_b64 s[6:7], s[0:1], 0x2c
	s_add_co_i32 s4, s4, -2
	s_delay_alu instid0(SALU_CYCLE_1) | instskip(SKIP_2) | instid1(VALU_DEP_1)
	s_cmp_lg_u32 s4, 0
	s_wait_kmcnt 0x0
	v_mul_hi_u32 v14, s9, v13
	v_add_nc_u32_e32 v14, v13, v14
	s_delay_alu instid0(VALU_DEP_1) | instskip(NEXT) | instid1(VALU_DEP_1)
	v_lshrrev_b32_e32 v14, s10, v14
	v_mul_hi_u32 v15, s6, v14
	v_mul_lo_u32 v16, v14, s8
	s_clause 0x1
	s_load_b128 s[12:15], s[0:1], 0xdc
	s_load_b64 s[8:9], s[0:1], 0xec
	s_wait_xcnt 0x0
	s_add_nc_u64 s[0:1], s[0:1], 24
	s_delay_alu instid0(VALU_DEP_1) | instskip(NEXT) | instid1(VALU_DEP_1)
	v_dual_add_nc_u32 v15, v14, v15 :: v_dual_sub_nc_u32 v16, v13, v16
	v_lshrrev_b32_e32 v13, s7, v15
	s_wait_kmcnt 0x0
	s_delay_alu instid0(VALU_DEP_2) | instskip(NEXT) | instid1(VALU_DEP_2)
	v_mad_u32 v9, v16, s12, v9
	v_mul_lo_u32 v15, v13, s11
	v_mad_u32 v10, v16, s14, v10
	v_mad_u32 v11, v16, s13, v11
	s_delay_alu instid0(VALU_DEP_3) | instskip(NEXT) | instid1(VALU_DEP_1)
	v_sub_nc_u32_e32 v14, v14, v15
	v_mad_u32 v9, v14, s15, v9
	s_delay_alu instid0(VALU_DEP_4) | instskip(NEXT) | instid1(VALU_DEP_4)
	v_mad_u32 v10, v14, s9, v10
	v_mad_u32 v11, v14, s8, v11
	s_cbranch_scc1 .LBB37_133
; %bb.134:
	s_bitcmp1_b32 s3, 0
	s_cselect_b32 s3, -1, 0
	s_delay_alu instid0(SALU_CYCLE_1)
	s_and_b32 vcc_lo, exec_lo, s3
	s_cbranch_vccnz .LBB37_137
; %bb.135:
	s_clause 0x1
	s_load_b96 s[4:6], s[0:1], 0x1c
	s_load_b96 s[8:10], s[0:1], 0xdc
	s_wait_kmcnt 0x0
	v_mul_hi_u32 v14, s5, v13
	s_delay_alu instid0(VALU_DEP_1) | instskip(NEXT) | instid1(VALU_DEP_1)
	v_add_nc_u32_e32 v14, v13, v14
	v_lshrrev_b32_e32 v14, s6, v14
	s_delay_alu instid0(VALU_DEP_1) | instskip(NEXT) | instid1(VALU_DEP_1)
	v_mul_lo_u32 v14, v14, s4
	v_sub_nc_u32_e32 v13, v13, v14
	s_delay_alu instid0(VALU_DEP_1)
	v_mad_u32 v9, v13, s8, v9
	v_mad_u32 v11, v13, s9, v11
	;; [unrolled: 1-line block ×3, first 2 shown]
	s_and_not1_b32 vcc_lo, exec_lo, s2
	s_cbranch_vccz .LBB37_138
	s_branch .LBB37_141
.LBB37_136:
	s_mov_b32 s2, -1
                                        ; implicit-def: $vgpr10
                                        ; implicit-def: $vgpr11
                                        ; implicit-def: $vgpr9
.LBB37_137:
	s_delay_alu instid0(SALU_CYCLE_1)
	s_and_not1_b32 vcc_lo, exec_lo, s2
	s_cbranch_vccnz .LBB37_141
.LBB37_138:
	s_clause 0x1
	s_load_b96 s[0:2], s[16:17], 0x4
	s_load_b96 s[4:6], s[16:17], 0xc4
	s_cmp_lt_u32 s26, 2
	s_wait_kmcnt 0x0
	v_mul_hi_u32 v9, s1, v12
	s_delay_alu instid0(VALU_DEP_1) | instskip(NEXT) | instid1(VALU_DEP_1)
	v_add_nc_u32_e32 v9, v12, v9
	v_lshrrev_b32_e32 v13, s2, v9
	s_delay_alu instid0(VALU_DEP_1) | instskip(NEXT) | instid1(VALU_DEP_1)
	v_mul_lo_u32 v9, v13, s0
	v_sub_nc_u32_e32 v11, v12, v9
	s_delay_alu instid0(VALU_DEP_1)
	v_mul_lo_u32 v9, v11, s4
	v_mul_lo_u32 v10, v11, s6
	;; [unrolled: 1-line block ×3, first 2 shown]
	s_cbranch_scc1 .LBB37_141
; %bb.139:
	s_clause 0x1
	s_load_b96 s[0:2], s[16:17], 0x10
	s_load_b96 s[4:6], s[16:17], 0xd0
	s_wait_kmcnt 0x0
	v_mul_hi_u32 v12, s1, v13
	s_delay_alu instid0(VALU_DEP_1) | instskip(NEXT) | instid1(VALU_DEP_1)
	v_add_nc_u32_e32 v12, v13, v12
	v_lshrrev_b32_e32 v12, s2, v12
	s_delay_alu instid0(VALU_DEP_1) | instskip(NEXT) | instid1(VALU_DEP_1)
	v_mul_lo_u32 v12, v12, s0
	v_sub_nc_u32_e32 v12, v13, v12
	s_delay_alu instid0(VALU_DEP_1)
	v_mad_u32 v9, v12, s4, v9
	v_mad_u32 v11, v12, s5, v11
	;; [unrolled: 1-line block ×3, first 2 shown]
	s_branch .LBB37_141
.LBB37_140:
	v_dual_mov_b32 v10, 0 :: v_dual_mov_b32 v11, 0
	v_mov_b32_e32 v9, 0
	s_and_not1_b32 vcc_lo, exec_lo, s2
	s_cbranch_vccz .LBB37_138
.LBB37_141:
	v_cmp_ne_u32_e32 vcc_lo, 1, v8
	v_add_nc_u32_e32 v15, 0x180, v0
	s_cbranch_vccnz .LBB37_147
; %bb.142:
	s_cmp_lg_u32 s26, 0
	s_mov_b32 s2, 0
	s_cbranch_scc0 .LBB37_151
; %bb.143:
	s_min_u32 s3, s27, 15
	v_dual_mov_b32 v12, 0 :: v_dual_mov_b32 v16, v15
	v_dual_mov_b32 v14, 0 :: v_dual_mov_b32 v13, 0
	s_add_co_i32 s4, s3, 1
	s_mov_b64 s[0:1], 0xffffffffffffffe8
	s_and_b32 s4, s4, 30
	s_add_nc_u64 s[0:1], s[16:17], s[0:1]
.LBB37_144:                             ; =>This Inner Loop Header: Depth=1
	s_clause 0x1
	s_load_b128 s[8:11], s[0:1], 0x1c
	s_load_b64 s[6:7], s[0:1], 0x2c
	s_add_co_i32 s4, s4, -2
	s_delay_alu instid0(SALU_CYCLE_1) | instskip(SKIP_2) | instid1(VALU_DEP_1)
	s_cmp_lg_u32 s4, 0
	s_wait_kmcnt 0x0
	v_mul_hi_u32 v17, s9, v16
	v_add_nc_u32_e32 v17, v16, v17
	s_delay_alu instid0(VALU_DEP_1) | instskip(NEXT) | instid1(VALU_DEP_1)
	v_lshrrev_b32_e32 v17, s10, v17
	v_mul_hi_u32 v18, s6, v17
	v_mul_lo_u32 v19, v17, s8
	s_clause 0x1
	s_load_b128 s[12:15], s[0:1], 0xdc
	s_load_b64 s[8:9], s[0:1], 0xec
	s_wait_xcnt 0x0
	s_add_nc_u64 s[0:1], s[0:1], 24
	s_delay_alu instid0(VALU_DEP_1) | instskip(NEXT) | instid1(VALU_DEP_1)
	v_dual_add_nc_u32 v18, v17, v18 :: v_dual_sub_nc_u32 v19, v16, v19
	v_lshrrev_b32_e32 v16, s7, v18
	s_wait_kmcnt 0x0
	s_delay_alu instid0(VALU_DEP_2) | instskip(NEXT) | instid1(VALU_DEP_2)
	v_mad_u32 v12, v19, s12, v12
	v_mul_lo_u32 v18, v16, s11
	v_mad_u32 v13, v19, s14, v13
	v_mad_u32 v14, v19, s13, v14
	s_delay_alu instid0(VALU_DEP_3) | instskip(NEXT) | instid1(VALU_DEP_1)
	v_sub_nc_u32_e32 v17, v17, v18
	v_mad_u32 v12, v17, s15, v12
	s_delay_alu instid0(VALU_DEP_4) | instskip(NEXT) | instid1(VALU_DEP_4)
	v_mad_u32 v13, v17, s9, v13
	v_mad_u32 v14, v17, s8, v14
	s_cbranch_scc1 .LBB37_144
; %bb.145:
	s_bitcmp1_b32 s3, 0
	s_cselect_b32 s3, -1, 0
	s_delay_alu instid0(SALU_CYCLE_1)
	s_and_b32 vcc_lo, exec_lo, s3
	s_cbranch_vccnz .LBB37_148
; %bb.146:
	s_clause 0x1
	s_load_b96 s[4:6], s[0:1], 0x1c
	s_load_b96 s[8:10], s[0:1], 0xdc
	s_wait_kmcnt 0x0
	v_mul_hi_u32 v17, s5, v16
	s_delay_alu instid0(VALU_DEP_1) | instskip(NEXT) | instid1(VALU_DEP_1)
	v_add_nc_u32_e32 v17, v16, v17
	v_lshrrev_b32_e32 v17, s6, v17
	s_delay_alu instid0(VALU_DEP_1) | instskip(NEXT) | instid1(VALU_DEP_1)
	v_mul_lo_u32 v17, v17, s4
	v_sub_nc_u32_e32 v16, v16, v17
	s_delay_alu instid0(VALU_DEP_1)
	v_mad_u32 v12, v16, s8, v12
	v_mad_u32 v14, v16, s9, v14
	;; [unrolled: 1-line block ×3, first 2 shown]
	s_and_not1_b32 vcc_lo, exec_lo, s2
	s_cbranch_vccz .LBB37_149
	s_branch .LBB37_152
.LBB37_147:
	s_mov_b32 s2, -1
                                        ; implicit-def: $vgpr13
                                        ; implicit-def: $vgpr14
                                        ; implicit-def: $vgpr12
.LBB37_148:
	s_delay_alu instid0(SALU_CYCLE_1)
	s_and_not1_b32 vcc_lo, exec_lo, s2
	s_cbranch_vccnz .LBB37_152
.LBB37_149:
	s_clause 0x1
	s_load_b96 s[0:2], s[16:17], 0x4
	s_load_b96 s[4:6], s[16:17], 0xc4
	s_cmp_lt_u32 s26, 2
	s_wait_kmcnt 0x0
	v_mul_hi_u32 v12, s1, v15
	s_delay_alu instid0(VALU_DEP_1) | instskip(NEXT) | instid1(VALU_DEP_1)
	v_add_nc_u32_e32 v12, v15, v12
	v_lshrrev_b32_e32 v16, s2, v12
	s_delay_alu instid0(VALU_DEP_1) | instskip(NEXT) | instid1(VALU_DEP_1)
	v_mul_lo_u32 v12, v16, s0
	v_sub_nc_u32_e32 v14, v15, v12
	s_delay_alu instid0(VALU_DEP_1)
	v_mul_lo_u32 v12, v14, s4
	v_mul_lo_u32 v13, v14, s6
	;; [unrolled: 1-line block ×3, first 2 shown]
	s_cbranch_scc1 .LBB37_152
; %bb.150:
	s_clause 0x1
	s_load_b96 s[0:2], s[16:17], 0x10
	s_load_b96 s[4:6], s[16:17], 0xd0
	s_wait_kmcnt 0x0
	v_mul_hi_u32 v15, s1, v16
	s_delay_alu instid0(VALU_DEP_1) | instskip(NEXT) | instid1(VALU_DEP_1)
	v_add_nc_u32_e32 v15, v16, v15
	v_lshrrev_b32_e32 v15, s2, v15
	s_delay_alu instid0(VALU_DEP_1) | instskip(NEXT) | instid1(VALU_DEP_1)
	v_mul_lo_u32 v15, v15, s0
	v_sub_nc_u32_e32 v15, v16, v15
	s_delay_alu instid0(VALU_DEP_1)
	v_mad_u32 v12, v15, s4, v12
	v_mad_u32 v14, v15, s5, v14
	;; [unrolled: 1-line block ×3, first 2 shown]
	s_branch .LBB37_152
.LBB37_151:
	v_dual_mov_b32 v13, 0 :: v_dual_mov_b32 v14, 0
	v_mov_b32_e32 v12, 0
	s_and_not1_b32 vcc_lo, exec_lo, s2
	s_cbranch_vccz .LBB37_149
.LBB37_152:
	v_cmp_ne_u32_e32 vcc_lo, 1, v8
	v_add_nc_u32_e32 v18, 0x200, v0
	s_cbranch_vccnz .LBB37_158
; %bb.153:
	s_cmp_lg_u32 s26, 0
	s_mov_b32 s2, 0
	s_cbranch_scc0 .LBB37_162
; %bb.154:
	s_min_u32 s3, s27, 15
	v_dual_mov_b32 v15, 0 :: v_dual_mov_b32 v19, v18
	v_dual_mov_b32 v16, 0 :: v_dual_mov_b32 v17, 0
	s_add_co_i32 s4, s3, 1
	s_mov_b64 s[0:1], 0xffffffffffffffe8
	s_and_b32 s4, s4, 30
	s_add_nc_u64 s[0:1], s[16:17], s[0:1]
.LBB37_155:                             ; =>This Inner Loop Header: Depth=1
	s_clause 0x1
	s_load_b128 s[8:11], s[0:1], 0x1c
	s_load_b64 s[6:7], s[0:1], 0x2c
	s_add_co_i32 s4, s4, -2
	s_delay_alu instid0(SALU_CYCLE_1) | instskip(SKIP_2) | instid1(VALU_DEP_1)
	s_cmp_lg_u32 s4, 0
	s_wait_kmcnt 0x0
	v_mul_hi_u32 v20, s9, v19
	v_add_nc_u32_e32 v20, v19, v20
	s_delay_alu instid0(VALU_DEP_1) | instskip(NEXT) | instid1(VALU_DEP_1)
	v_lshrrev_b32_e32 v20, s10, v20
	v_mul_hi_u32 v21, s6, v20
	v_mul_lo_u32 v22, v20, s8
	s_clause 0x1
	s_load_b128 s[12:15], s[0:1], 0xdc
	s_load_b64 s[8:9], s[0:1], 0xec
	s_wait_xcnt 0x0
	s_add_nc_u64 s[0:1], s[0:1], 24
	s_delay_alu instid0(VALU_DEP_1) | instskip(NEXT) | instid1(VALU_DEP_1)
	v_dual_add_nc_u32 v21, v20, v21 :: v_dual_sub_nc_u32 v22, v19, v22
	v_lshrrev_b32_e32 v19, s7, v21
	s_wait_kmcnt 0x0
	s_delay_alu instid0(VALU_DEP_2) | instskip(NEXT) | instid1(VALU_DEP_2)
	v_mad_u32 v15, v22, s12, v15
	v_mul_lo_u32 v21, v19, s11
	v_mad_u32 v17, v22, s14, v17
	v_mad_u32 v16, v22, s13, v16
	s_delay_alu instid0(VALU_DEP_3) | instskip(NEXT) | instid1(VALU_DEP_1)
	v_sub_nc_u32_e32 v20, v20, v21
	v_mad_u32 v15, v20, s15, v15
	s_delay_alu instid0(VALU_DEP_4) | instskip(NEXT) | instid1(VALU_DEP_4)
	v_mad_u32 v17, v20, s9, v17
	v_mad_u32 v16, v20, s8, v16
	s_cbranch_scc1 .LBB37_155
; %bb.156:
	s_bitcmp1_b32 s3, 0
	s_cselect_b32 s3, -1, 0
	s_delay_alu instid0(SALU_CYCLE_1)
	s_and_b32 vcc_lo, exec_lo, s3
	s_cbranch_vccnz .LBB37_159
; %bb.157:
	s_clause 0x1
	s_load_b96 s[4:6], s[0:1], 0x1c
	s_load_b96 s[8:10], s[0:1], 0xdc
	s_wait_kmcnt 0x0
	v_mul_hi_u32 v20, s5, v19
	s_delay_alu instid0(VALU_DEP_1) | instskip(NEXT) | instid1(VALU_DEP_1)
	v_add_nc_u32_e32 v20, v19, v20
	v_lshrrev_b32_e32 v20, s6, v20
	s_delay_alu instid0(VALU_DEP_1) | instskip(NEXT) | instid1(VALU_DEP_1)
	v_mul_lo_u32 v20, v20, s4
	v_sub_nc_u32_e32 v19, v19, v20
	s_delay_alu instid0(VALU_DEP_1)
	v_mad_u32 v15, v19, s8, v15
	v_mad_u32 v16, v19, s9, v16
	;; [unrolled: 1-line block ×3, first 2 shown]
	s_and_not1_b32 vcc_lo, exec_lo, s2
	s_cbranch_vccz .LBB37_160
	s_branch .LBB37_163
.LBB37_158:
	s_mov_b32 s2, -1
                                        ; implicit-def: $vgpr17
                                        ; implicit-def: $vgpr16
                                        ; implicit-def: $vgpr15
.LBB37_159:
	s_delay_alu instid0(SALU_CYCLE_1)
	s_and_not1_b32 vcc_lo, exec_lo, s2
	s_cbranch_vccnz .LBB37_163
.LBB37_160:
	s_clause 0x1
	s_load_b96 s[0:2], s[16:17], 0x4
	s_load_b96 s[4:6], s[16:17], 0xc4
	s_cmp_lt_u32 s26, 2
	s_wait_kmcnt 0x0
	v_mul_hi_u32 v15, s1, v18
	s_delay_alu instid0(VALU_DEP_1) | instskip(NEXT) | instid1(VALU_DEP_1)
	v_add_nc_u32_e32 v15, v18, v15
	v_lshrrev_b32_e32 v19, s2, v15
	s_delay_alu instid0(VALU_DEP_1) | instskip(NEXT) | instid1(VALU_DEP_1)
	v_mul_lo_u32 v15, v19, s0
	v_sub_nc_u32_e32 v16, v18, v15
	s_delay_alu instid0(VALU_DEP_1)
	v_mul_lo_u32 v15, v16, s4
	v_mul_lo_u32 v17, v16, s6
	;; [unrolled: 1-line block ×3, first 2 shown]
	s_cbranch_scc1 .LBB37_163
; %bb.161:
	s_clause 0x1
	s_load_b96 s[0:2], s[16:17], 0x10
	s_load_b96 s[4:6], s[16:17], 0xd0
	s_wait_kmcnt 0x0
	v_mul_hi_u32 v18, s1, v19
	s_delay_alu instid0(VALU_DEP_1) | instskip(NEXT) | instid1(VALU_DEP_1)
	v_add_nc_u32_e32 v18, v19, v18
	v_lshrrev_b32_e32 v18, s2, v18
	s_delay_alu instid0(VALU_DEP_1) | instskip(NEXT) | instid1(VALU_DEP_1)
	v_mul_lo_u32 v18, v18, s0
	v_sub_nc_u32_e32 v18, v19, v18
	s_delay_alu instid0(VALU_DEP_1)
	v_mad_u32 v15, v18, s4, v15
	v_mad_u32 v16, v18, s5, v16
	;; [unrolled: 1-line block ×3, first 2 shown]
	s_branch .LBB37_163
.LBB37_162:
	v_dual_mov_b32 v17, 0 :: v_dual_mov_b32 v16, 0
	v_mov_b32_e32 v15, 0
	s_and_not1_b32 vcc_lo, exec_lo, s2
	s_cbranch_vccz .LBB37_160
.LBB37_163:
	v_cmp_ne_u32_e32 vcc_lo, 1, v8
	v_add_nc_u32_e32 v21, 0x280, v0
	s_cbranch_vccnz .LBB37_169
; %bb.164:
	s_cmp_lg_u32 s26, 0
	s_mov_b32 s2, 0
	s_cbranch_scc0 .LBB37_173
; %bb.165:
	s_min_u32 s3, s27, 15
	v_dual_mov_b32 v18, 0 :: v_dual_mov_b32 v22, v21
	v_dual_mov_b32 v19, 0 :: v_dual_mov_b32 v20, 0
	s_add_co_i32 s4, s3, 1
	s_mov_b64 s[0:1], 0xffffffffffffffe8
	s_and_b32 s4, s4, 30
	s_add_nc_u64 s[0:1], s[16:17], s[0:1]
.LBB37_166:                             ; =>This Inner Loop Header: Depth=1
	s_clause 0x1
	s_load_b128 s[8:11], s[0:1], 0x1c
	s_load_b64 s[6:7], s[0:1], 0x2c
	s_add_co_i32 s4, s4, -2
	s_delay_alu instid0(SALU_CYCLE_1) | instskip(SKIP_2) | instid1(VALU_DEP_1)
	s_cmp_lg_u32 s4, 0
	s_wait_kmcnt 0x0
	v_mul_hi_u32 v23, s9, v22
	v_add_nc_u32_e32 v23, v22, v23
	s_delay_alu instid0(VALU_DEP_1) | instskip(NEXT) | instid1(VALU_DEP_1)
	v_lshrrev_b32_e32 v23, s10, v23
	v_mul_hi_u32 v24, s6, v23
	v_mul_lo_u32 v25, v23, s8
	s_clause 0x1
	s_load_b128 s[12:15], s[0:1], 0xdc
	s_load_b64 s[8:9], s[0:1], 0xec
	s_wait_xcnt 0x0
	s_add_nc_u64 s[0:1], s[0:1], 24
	s_delay_alu instid0(VALU_DEP_1) | instskip(NEXT) | instid1(VALU_DEP_1)
	v_dual_add_nc_u32 v24, v23, v24 :: v_dual_sub_nc_u32 v25, v22, v25
	v_lshrrev_b32_e32 v22, s7, v24
	s_wait_kmcnt 0x0
	s_delay_alu instid0(VALU_DEP_2) | instskip(NEXT) | instid1(VALU_DEP_2)
	v_mad_u32 v18, v25, s12, v18
	v_mul_lo_u32 v24, v22, s11
	v_mad_u32 v20, v25, s14, v20
	v_mad_u32 v19, v25, s13, v19
	s_delay_alu instid0(VALU_DEP_3) | instskip(NEXT) | instid1(VALU_DEP_1)
	v_sub_nc_u32_e32 v23, v23, v24
	v_mad_u32 v18, v23, s15, v18
	s_delay_alu instid0(VALU_DEP_4) | instskip(NEXT) | instid1(VALU_DEP_4)
	v_mad_u32 v20, v23, s9, v20
	v_mad_u32 v19, v23, s8, v19
	s_cbranch_scc1 .LBB37_166
; %bb.167:
	s_bitcmp1_b32 s3, 0
	s_cselect_b32 s3, -1, 0
	s_delay_alu instid0(SALU_CYCLE_1)
	s_and_b32 vcc_lo, exec_lo, s3
	s_cbranch_vccnz .LBB37_170
; %bb.168:
	s_clause 0x1
	s_load_b96 s[4:6], s[0:1], 0x1c
	s_load_b96 s[8:10], s[0:1], 0xdc
	s_wait_kmcnt 0x0
	v_mul_hi_u32 v23, s5, v22
	s_delay_alu instid0(VALU_DEP_1) | instskip(NEXT) | instid1(VALU_DEP_1)
	v_add_nc_u32_e32 v23, v22, v23
	v_lshrrev_b32_e32 v23, s6, v23
	s_delay_alu instid0(VALU_DEP_1) | instskip(NEXT) | instid1(VALU_DEP_1)
	v_mul_lo_u32 v23, v23, s4
	v_sub_nc_u32_e32 v22, v22, v23
	s_delay_alu instid0(VALU_DEP_1)
	v_mad_u32 v18, v22, s8, v18
	v_mad_u32 v19, v22, s9, v19
	;; [unrolled: 1-line block ×3, first 2 shown]
	s_and_not1_b32 vcc_lo, exec_lo, s2
	s_cbranch_vccz .LBB37_171
	s_branch .LBB37_174
.LBB37_169:
	s_mov_b32 s2, -1
                                        ; implicit-def: $vgpr20
                                        ; implicit-def: $vgpr19
                                        ; implicit-def: $vgpr18
.LBB37_170:
	s_delay_alu instid0(SALU_CYCLE_1)
	s_and_not1_b32 vcc_lo, exec_lo, s2
	s_cbranch_vccnz .LBB37_174
.LBB37_171:
	s_clause 0x1
	s_load_b96 s[0:2], s[16:17], 0x4
	s_load_b96 s[4:6], s[16:17], 0xc4
	s_cmp_lt_u32 s26, 2
	s_wait_kmcnt 0x0
	v_mul_hi_u32 v18, s1, v21
	s_delay_alu instid0(VALU_DEP_1) | instskip(NEXT) | instid1(VALU_DEP_1)
	v_add_nc_u32_e32 v18, v21, v18
	v_lshrrev_b32_e32 v22, s2, v18
	s_delay_alu instid0(VALU_DEP_1) | instskip(NEXT) | instid1(VALU_DEP_1)
	v_mul_lo_u32 v18, v22, s0
	v_sub_nc_u32_e32 v19, v21, v18
	s_delay_alu instid0(VALU_DEP_1)
	v_mul_lo_u32 v18, v19, s4
	v_mul_lo_u32 v20, v19, s6
	;; [unrolled: 1-line block ×3, first 2 shown]
	s_cbranch_scc1 .LBB37_174
; %bb.172:
	s_clause 0x1
	s_load_b96 s[0:2], s[16:17], 0x10
	s_load_b96 s[4:6], s[16:17], 0xd0
	s_wait_kmcnt 0x0
	v_mul_hi_u32 v21, s1, v22
	s_delay_alu instid0(VALU_DEP_1) | instskip(NEXT) | instid1(VALU_DEP_1)
	v_add_nc_u32_e32 v21, v22, v21
	v_lshrrev_b32_e32 v21, s2, v21
	s_delay_alu instid0(VALU_DEP_1) | instskip(NEXT) | instid1(VALU_DEP_1)
	v_mul_lo_u32 v21, v21, s0
	v_sub_nc_u32_e32 v21, v22, v21
	s_delay_alu instid0(VALU_DEP_1)
	v_mad_u32 v18, v21, s4, v18
	v_mad_u32 v19, v21, s5, v19
	v_mad_u32 v20, v21, s6, v20
	s_branch .LBB37_174
.LBB37_173:
	v_dual_mov_b32 v20, 0 :: v_dual_mov_b32 v19, 0
	v_mov_b32_e32 v18, 0
	s_and_not1_b32 vcc_lo, exec_lo, s2
	s_cbranch_vccz .LBB37_171
.LBB37_174:
	v_cmp_ne_u32_e32 vcc_lo, 1, v8
	v_add_nc_u32_e32 v23, 0x300, v0
	s_cbranch_vccnz .LBB37_180
; %bb.175:
	s_cmp_lg_u32 s26, 0
	s_mov_b32 s2, 0
	s_cbranch_scc0 .LBB37_184
; %bb.176:
	s_min_u32 s3, s27, 15
	v_dual_mov_b32 v0, 0 :: v_dual_mov_b32 v24, v23
	v_dual_mov_b32 v22, 0 :: v_dual_mov_b32 v21, 0
	s_add_co_i32 s4, s3, 1
	s_mov_b64 s[0:1], 0xffffffffffffffe8
	s_and_b32 s4, s4, 30
	s_add_nc_u64 s[0:1], s[16:17], s[0:1]
.LBB37_177:                             ; =>This Inner Loop Header: Depth=1
	s_clause 0x1
	s_load_b128 s[8:11], s[0:1], 0x1c
	s_load_b64 s[6:7], s[0:1], 0x2c
	s_add_co_i32 s4, s4, -2
	s_delay_alu instid0(SALU_CYCLE_1) | instskip(SKIP_2) | instid1(VALU_DEP_1)
	s_cmp_lg_u32 s4, 0
	s_wait_kmcnt 0x0
	v_mul_hi_u32 v25, s9, v24
	v_add_nc_u32_e32 v25, v24, v25
	s_delay_alu instid0(VALU_DEP_1) | instskip(NEXT) | instid1(VALU_DEP_1)
	v_lshrrev_b32_e32 v25, s10, v25
	v_mul_hi_u32 v26, s6, v25
	v_mul_lo_u32 v27, v25, s8
	s_clause 0x1
	s_load_b128 s[12:15], s[0:1], 0xdc
	s_load_b64 s[8:9], s[0:1], 0xec
	s_wait_xcnt 0x0
	s_add_nc_u64 s[0:1], s[0:1], 24
	s_delay_alu instid0(VALU_DEP_1) | instskip(NEXT) | instid1(VALU_DEP_1)
	v_dual_add_nc_u32 v26, v25, v26 :: v_dual_sub_nc_u32 v27, v24, v27
	v_lshrrev_b32_e32 v24, s7, v26
	s_wait_kmcnt 0x0
	s_delay_alu instid0(VALU_DEP_2) | instskip(NEXT) | instid1(VALU_DEP_2)
	v_mad_u32 v0, v27, s12, v0
	v_mul_lo_u32 v26, v24, s11
	v_mad_u32 v21, v27, s14, v21
	v_mad_u32 v22, v27, s13, v22
	s_delay_alu instid0(VALU_DEP_3) | instskip(NEXT) | instid1(VALU_DEP_1)
	v_sub_nc_u32_e32 v25, v25, v26
	v_mad_u32 v0, v25, s15, v0
	s_delay_alu instid0(VALU_DEP_4) | instskip(NEXT) | instid1(VALU_DEP_4)
	v_mad_u32 v21, v25, s9, v21
	v_mad_u32 v22, v25, s8, v22
	s_cbranch_scc1 .LBB37_177
; %bb.178:
	s_bitcmp1_b32 s3, 0
	s_cselect_b32 s3, -1, 0
	s_delay_alu instid0(SALU_CYCLE_1)
	s_and_b32 vcc_lo, exec_lo, s3
	s_cbranch_vccnz .LBB37_181
; %bb.179:
	s_clause 0x1
	s_load_b96 s[4:6], s[0:1], 0x1c
	s_load_b96 s[8:10], s[0:1], 0xdc
	s_wait_kmcnt 0x0
	v_mul_hi_u32 v25, s5, v24
	s_delay_alu instid0(VALU_DEP_1) | instskip(NEXT) | instid1(VALU_DEP_1)
	v_add_nc_u32_e32 v25, v24, v25
	v_lshrrev_b32_e32 v25, s6, v25
	s_delay_alu instid0(VALU_DEP_1) | instskip(NEXT) | instid1(VALU_DEP_1)
	v_mul_lo_u32 v25, v25, s4
	v_sub_nc_u32_e32 v24, v24, v25
	s_delay_alu instid0(VALU_DEP_1)
	v_mad_u32 v0, v24, s8, v0
	v_mad_u32 v22, v24, s9, v22
	;; [unrolled: 1-line block ×3, first 2 shown]
	s_and_not1_b32 vcc_lo, exec_lo, s2
	s_cbranch_vccz .LBB37_182
	s_branch .LBB37_185
.LBB37_180:
	s_mov_b32 s2, -1
                                        ; implicit-def: $vgpr21
                                        ; implicit-def: $vgpr22
                                        ; implicit-def: $vgpr0
.LBB37_181:
	s_delay_alu instid0(SALU_CYCLE_1)
	s_and_not1_b32 vcc_lo, exec_lo, s2
	s_cbranch_vccnz .LBB37_185
.LBB37_182:
	s_clause 0x1
	s_load_b96 s[0:2], s[16:17], 0x4
	s_load_b96 s[4:6], s[16:17], 0xc4
	s_cmp_lt_u32 s26, 2
	s_wait_kmcnt 0x0
	v_mul_hi_u32 v0, s1, v23
	s_delay_alu instid0(VALU_DEP_1) | instskip(NEXT) | instid1(VALU_DEP_1)
	v_add_nc_u32_e32 v0, v23, v0
	v_lshrrev_b32_e32 v24, s2, v0
	s_delay_alu instid0(VALU_DEP_1) | instskip(NEXT) | instid1(VALU_DEP_1)
	v_mul_lo_u32 v0, v24, s0
	v_sub_nc_u32_e32 v22, v23, v0
	s_delay_alu instid0(VALU_DEP_1)
	v_mul_lo_u32 v0, v22, s4
	v_mul_lo_u32 v21, v22, s6
	;; [unrolled: 1-line block ×3, first 2 shown]
	s_cbranch_scc1 .LBB37_185
; %bb.183:
	s_clause 0x1
	s_load_b96 s[0:2], s[16:17], 0x10
	s_load_b96 s[4:6], s[16:17], 0xd0
	s_wait_kmcnt 0x0
	v_mul_hi_u32 v23, s1, v24
	s_delay_alu instid0(VALU_DEP_1) | instskip(NEXT) | instid1(VALU_DEP_1)
	v_add_nc_u32_e32 v23, v24, v23
	v_lshrrev_b32_e32 v23, s2, v23
	s_delay_alu instid0(VALU_DEP_1) | instskip(NEXT) | instid1(VALU_DEP_1)
	v_mul_lo_u32 v23, v23, s0
	v_sub_nc_u32_e32 v23, v24, v23
	s_delay_alu instid0(VALU_DEP_1)
	v_mad_u32 v0, v23, s4, v0
	v_mad_u32 v22, v23, s5, v22
	;; [unrolled: 1-line block ×3, first 2 shown]
	s_branch .LBB37_185
.LBB37_184:
	v_dual_mov_b32 v21, 0 :: v_dual_mov_b32 v22, 0
	v_mov_b32_e32 v0, 0
	s_and_not1_b32 vcc_lo, exec_lo, s2
	s_cbranch_vccz .LBB37_182
.LBB37_185:
	v_cmp_ne_u32_e32 vcc_lo, 1, v8
	s_cbranch_vccnz .LBB37_191
; %bb.186:
	s_cmp_lg_u32 s26, 0
	s_mov_b32 s2, 0
	s_cbranch_scc0 .LBB37_195
; %bb.187:
	s_min_u32 s3, s27, 15
	v_dual_mov_b32 v8, 0 :: v_dual_mov_b32 v25, v4
	v_dual_mov_b32 v24, 0 :: v_dual_mov_b32 v23, 0
	s_add_co_i32 s4, s3, 1
	s_mov_b64 s[0:1], 0xffffffffffffffe8
	s_and_b32 s4, s4, 30
	s_add_nc_u64 s[0:1], s[16:17], s[0:1]
.LBB37_188:                             ; =>This Inner Loop Header: Depth=1
	s_clause 0x1
	s_load_b128 s[8:11], s[0:1], 0x1c
	s_load_b64 s[6:7], s[0:1], 0x2c
	s_add_co_i32 s4, s4, -2
	s_delay_alu instid0(SALU_CYCLE_1) | instskip(SKIP_2) | instid1(VALU_DEP_1)
	s_cmp_lg_u32 s4, 0
	s_wait_kmcnt 0x0
	v_mul_hi_u32 v26, s9, v25
	v_add_nc_u32_e32 v26, v25, v26
	s_delay_alu instid0(VALU_DEP_1) | instskip(NEXT) | instid1(VALU_DEP_1)
	v_lshrrev_b32_e32 v26, s10, v26
	v_mul_hi_u32 v27, s6, v26
	v_mul_lo_u32 v28, v26, s8
	s_clause 0x1
	s_load_b128 s[12:15], s[0:1], 0xdc
	s_load_b64 s[8:9], s[0:1], 0xec
	s_wait_xcnt 0x0
	s_add_nc_u64 s[0:1], s[0:1], 24
	s_delay_alu instid0(VALU_DEP_1) | instskip(NEXT) | instid1(VALU_DEP_1)
	v_dual_add_nc_u32 v27, v26, v27 :: v_dual_sub_nc_u32 v28, v25, v28
	v_lshrrev_b32_e32 v25, s7, v27
	s_wait_kmcnt 0x0
	s_delay_alu instid0(VALU_DEP_2) | instskip(NEXT) | instid1(VALU_DEP_2)
	v_mad_u32 v8, v28, s12, v8
	v_mul_lo_u32 v27, v25, s11
	v_mad_u32 v23, v28, s14, v23
	v_mad_u32 v24, v28, s13, v24
	s_delay_alu instid0(VALU_DEP_3) | instskip(NEXT) | instid1(VALU_DEP_1)
	v_sub_nc_u32_e32 v26, v26, v27
	v_mad_u32 v8, v26, s15, v8
	s_delay_alu instid0(VALU_DEP_4) | instskip(NEXT) | instid1(VALU_DEP_4)
	v_mad_u32 v23, v26, s9, v23
	v_mad_u32 v24, v26, s8, v24
	s_cbranch_scc1 .LBB37_188
; %bb.189:
	s_bitcmp1_b32 s3, 0
	s_cselect_b32 s3, -1, 0
	s_delay_alu instid0(SALU_CYCLE_1)
	s_and_b32 vcc_lo, exec_lo, s3
	s_cbranch_vccnz .LBB37_192
; %bb.190:
	s_clause 0x1
	s_load_b96 s[4:6], s[0:1], 0x1c
	s_load_b96 s[8:10], s[0:1], 0xdc
	s_wait_kmcnt 0x0
	v_mul_hi_u32 v26, s5, v25
	s_delay_alu instid0(VALU_DEP_1) | instskip(NEXT) | instid1(VALU_DEP_1)
	v_add_nc_u32_e32 v26, v25, v26
	v_lshrrev_b32_e32 v26, s6, v26
	s_delay_alu instid0(VALU_DEP_1) | instskip(NEXT) | instid1(VALU_DEP_1)
	v_mul_lo_u32 v26, v26, s4
	v_sub_nc_u32_e32 v25, v25, v26
	s_delay_alu instid0(VALU_DEP_1)
	v_mad_u32 v8, v25, s8, v8
	v_mad_u32 v24, v25, s9, v24
	;; [unrolled: 1-line block ×3, first 2 shown]
	s_and_not1_b32 vcc_lo, exec_lo, s2
	s_cbranch_vccz .LBB37_193
	s_branch .LBB37_196
.LBB37_191:
	s_mov_b32 s2, -1
                                        ; implicit-def: $vgpr23
                                        ; implicit-def: $vgpr24
                                        ; implicit-def: $vgpr8
.LBB37_192:
	s_delay_alu instid0(SALU_CYCLE_1)
	s_and_not1_b32 vcc_lo, exec_lo, s2
	s_cbranch_vccnz .LBB37_196
.LBB37_193:
	s_clause 0x1
	s_load_b96 s[0:2], s[16:17], 0x4
	s_load_b96 s[4:6], s[16:17], 0xc4
	s_cmp_lt_u32 s26, 2
	s_wait_kmcnt 0x0
	v_mul_hi_u32 v8, s1, v4
	s_delay_alu instid0(VALU_DEP_1) | instskip(NEXT) | instid1(VALU_DEP_1)
	v_add_nc_u32_e32 v8, v4, v8
	v_lshrrev_b32_e32 v25, s2, v8
	s_delay_alu instid0(VALU_DEP_1) | instskip(NEXT) | instid1(VALU_DEP_1)
	v_mul_lo_u32 v8, v25, s0
	v_sub_nc_u32_e32 v4, v4, v8
	s_delay_alu instid0(VALU_DEP_1)
	v_mul_lo_u32 v8, v4, s4
	v_mul_lo_u32 v23, v4, s6
	v_mul_lo_u32 v24, v4, s5
	s_cbranch_scc1 .LBB37_196
; %bb.194:
	s_clause 0x1
	s_load_b96 s[0:2], s[16:17], 0x10
	s_load_b96 s[4:6], s[16:17], 0xd0
	s_wait_kmcnt 0x0
	v_mul_hi_u32 v4, s1, v25
	s_delay_alu instid0(VALU_DEP_1) | instskip(NEXT) | instid1(VALU_DEP_1)
	v_add_nc_u32_e32 v4, v25, v4
	v_lshrrev_b32_e32 v4, s2, v4
	s_delay_alu instid0(VALU_DEP_1) | instskip(NEXT) | instid1(VALU_DEP_1)
	v_mul_lo_u32 v4, v4, s0
	v_sub_nc_u32_e32 v4, v25, v4
	s_delay_alu instid0(VALU_DEP_1)
	v_mad_u32 v8, v4, s4, v8
	v_mad_u32 v24, v4, s5, v24
	;; [unrolled: 1-line block ×3, first 2 shown]
	s_branch .LBB37_196
.LBB37_195:
	v_dual_mov_b32 v23, 0 :: v_dual_mov_b32 v24, 0
	v_mov_b32_e32 v8, 0
	s_and_not1_b32 vcc_lo, exec_lo, s2
	s_cbranch_vccz .LBB37_193
.LBB37_196:
	s_clause 0x1
	s_load_b128 s[8:11], s[16:17], 0x188
	s_load_b96 s[0:2], s[16:17], 0x198
	s_wait_kmcnt 0x0
	global_load_b32 v4, v3, s[10:11]
	global_load_b32 v25, v2, s[0:1]
	;; [unrolled: 1-line block ×15, first 2 shown]
                                        ; kill: killed $vgpr17
                                        ; kill: killed $vgpr11
                                        ; kill: killed $vgpr22
                                        ; kill: killed $vgpr7
                                        ; kill: killed $vgpr20
                                        ; kill: killed $vgpr14
                                        ; kill: killed $vgpr24
                                        ; kill: killed $vgpr10
                                        ; kill: killed $vgpr3
                                        ; kill: killed $vgpr21
                                        ; kill: killed $vgpr16
                                        ; kill: killed $vgpr13
                                        ; kill: killed $vgpr6
                                        ; kill: killed $sgpr10_sgpr11
                                        ; kill: killed $vgpr19
                                        ; kill: killed $vgpr2
	global_load_b32 v2, v23, s[0:1]
	s_cmp_eq_u32 s2, 0
	s_cselect_b32 s7, -1, 0
	s_wait_loadcnt 0xe
	v_cmp_ne_u32_e32 vcc_lo, v4, v25
	s_wait_loadcnt 0xc
	s_wait_xcnt 0x0
	v_cmp_ne_u32_e64 s0, v26, v27
	s_wait_loadcnt 0xa
	v_cmp_ne_u32_e64 s1, v28, v29
	s_xor_b32 s10, s7, vcc_lo
	s_wait_loadcnt 0x8
	v_cmp_ne_u32_e64 s2, v30, v31
	s_xor_b32 s0, s7, s0
	s_wait_loadcnt 0x6
	v_cmp_ne_u32_e64 s3, v32, v33
	v_cndmask_b32_e64 v3, 0, 1, s0
	s_xor_b32 s0, s7, s1
	s_wait_loadcnt 0x4
	v_cmp_ne_u32_e64 s4, v34, v35
	v_cndmask_b32_e64 v4, 0, 1, s0
	;; [unrolled: 4-line block ×3, first 2 shown]
	s_xor_b32 s0, s7, s3
	s_delay_alu instid0(SALU_CYCLE_1) | instskip(SKIP_1) | instid1(SALU_CYCLE_1)
	v_cndmask_b32_e64 v7, 0, 1, s0
	s_xor_b32 s0, s7, s4
	v_cndmask_b32_e64 v10, 0, 1, s0
	s_xor_b32 s0, s7, s5
	s_delay_alu instid0(SALU_CYCLE_1) | instskip(SKIP_4) | instid1(SALU_CYCLE_1)
	v_cndmask_b32_e64 v11, 0, 1, s0
	s_wait_loadcnt 0x0
	v_cmp_ne_u32_e64 s6, v38, v2
	v_cndmask_b32_e64 v2, 0, 1, s10
	s_xor_b32 s0, s7, s6
	v_cndmask_b32_e64 v13, 0, 1, s0
	s_clause 0x7
	global_store_b8 v1, v2, s[8:9]
	global_store_b8 v5, v3, s[8:9]
	;; [unrolled: 1-line block ×8, first 2 shown]
	s_endpgm
	.section	.rodata,"a",@progbits
	.p2align	6, 0x0
	.amdhsa_kernel _ZN2at6native32elementwise_kernel_manual_unrollILi128ELi8EZNS0_22gpu_kernel_impl_nocastINS0_13BinaryFunctorIiibNS0_12_GLOBAL__N_116CompareEqFunctorIiEEEEEEvRNS_18TensorIteratorBaseERKT_EUlibE_EEviT1_
		.amdhsa_group_segment_fixed_size 0
		.amdhsa_private_segment_fixed_size 0
		.amdhsa_kernarg_size 432
		.amdhsa_user_sgpr_count 2
		.amdhsa_user_sgpr_dispatch_ptr 0
		.amdhsa_user_sgpr_queue_ptr 0
		.amdhsa_user_sgpr_kernarg_segment_ptr 1
		.amdhsa_user_sgpr_dispatch_id 0
		.amdhsa_user_sgpr_kernarg_preload_length 0
		.amdhsa_user_sgpr_kernarg_preload_offset 0
		.amdhsa_user_sgpr_private_segment_size 0
		.amdhsa_wavefront_size32 1
		.amdhsa_uses_dynamic_stack 0
		.amdhsa_enable_private_segment 0
		.amdhsa_system_sgpr_workgroup_id_x 1
		.amdhsa_system_sgpr_workgroup_id_y 0
		.amdhsa_system_sgpr_workgroup_id_z 0
		.amdhsa_system_sgpr_workgroup_info 0
		.amdhsa_system_vgpr_workitem_id 0
		.amdhsa_next_free_vgpr 39
		.amdhsa_next_free_sgpr 46
		.amdhsa_named_barrier_count 0
		.amdhsa_reserve_vcc 1
		.amdhsa_float_round_mode_32 0
		.amdhsa_float_round_mode_16_64 0
		.amdhsa_float_denorm_mode_32 3
		.amdhsa_float_denorm_mode_16_64 3
		.amdhsa_fp16_overflow 0
		.amdhsa_memory_ordered 1
		.amdhsa_forward_progress 1
		.amdhsa_inst_pref_size 84
		.amdhsa_round_robin_scheduling 0
		.amdhsa_exception_fp_ieee_invalid_op 0
		.amdhsa_exception_fp_denorm_src 0
		.amdhsa_exception_fp_ieee_div_zero 0
		.amdhsa_exception_fp_ieee_overflow 0
		.amdhsa_exception_fp_ieee_underflow 0
		.amdhsa_exception_fp_ieee_inexact 0
		.amdhsa_exception_int_div_zero 0
	.end_amdhsa_kernel
	.section	.text._ZN2at6native32elementwise_kernel_manual_unrollILi128ELi8EZNS0_22gpu_kernel_impl_nocastINS0_13BinaryFunctorIiibNS0_12_GLOBAL__N_116CompareEqFunctorIiEEEEEEvRNS_18TensorIteratorBaseERKT_EUlibE_EEviT1_,"axG",@progbits,_ZN2at6native32elementwise_kernel_manual_unrollILi128ELi8EZNS0_22gpu_kernel_impl_nocastINS0_13BinaryFunctorIiibNS0_12_GLOBAL__N_116CompareEqFunctorIiEEEEEEvRNS_18TensorIteratorBaseERKT_EUlibE_EEviT1_,comdat
.Lfunc_end37:
	.size	_ZN2at6native32elementwise_kernel_manual_unrollILi128ELi8EZNS0_22gpu_kernel_impl_nocastINS0_13BinaryFunctorIiibNS0_12_GLOBAL__N_116CompareEqFunctorIiEEEEEEvRNS_18TensorIteratorBaseERKT_EUlibE_EEviT1_, .Lfunc_end37-_ZN2at6native32elementwise_kernel_manual_unrollILi128ELi8EZNS0_22gpu_kernel_impl_nocastINS0_13BinaryFunctorIiibNS0_12_GLOBAL__N_116CompareEqFunctorIiEEEEEEvRNS_18TensorIteratorBaseERKT_EUlibE_EEviT1_
                                        ; -- End function
	.set _ZN2at6native32elementwise_kernel_manual_unrollILi128ELi8EZNS0_22gpu_kernel_impl_nocastINS0_13BinaryFunctorIiibNS0_12_GLOBAL__N_116CompareEqFunctorIiEEEEEEvRNS_18TensorIteratorBaseERKT_EUlibE_EEviT1_.num_vgpr, 39
	.set _ZN2at6native32elementwise_kernel_manual_unrollILi128ELi8EZNS0_22gpu_kernel_impl_nocastINS0_13BinaryFunctorIiibNS0_12_GLOBAL__N_116CompareEqFunctorIiEEEEEEvRNS_18TensorIteratorBaseERKT_EUlibE_EEviT1_.num_agpr, 0
	.set _ZN2at6native32elementwise_kernel_manual_unrollILi128ELi8EZNS0_22gpu_kernel_impl_nocastINS0_13BinaryFunctorIiibNS0_12_GLOBAL__N_116CompareEqFunctorIiEEEEEEvRNS_18TensorIteratorBaseERKT_EUlibE_EEviT1_.numbered_sgpr, 46
	.set _ZN2at6native32elementwise_kernel_manual_unrollILi128ELi8EZNS0_22gpu_kernel_impl_nocastINS0_13BinaryFunctorIiibNS0_12_GLOBAL__N_116CompareEqFunctorIiEEEEEEvRNS_18TensorIteratorBaseERKT_EUlibE_EEviT1_.num_named_barrier, 0
	.set _ZN2at6native32elementwise_kernel_manual_unrollILi128ELi8EZNS0_22gpu_kernel_impl_nocastINS0_13BinaryFunctorIiibNS0_12_GLOBAL__N_116CompareEqFunctorIiEEEEEEvRNS_18TensorIteratorBaseERKT_EUlibE_EEviT1_.private_seg_size, 0
	.set _ZN2at6native32elementwise_kernel_manual_unrollILi128ELi8EZNS0_22gpu_kernel_impl_nocastINS0_13BinaryFunctorIiibNS0_12_GLOBAL__N_116CompareEqFunctorIiEEEEEEvRNS_18TensorIteratorBaseERKT_EUlibE_EEviT1_.uses_vcc, 1
	.set _ZN2at6native32elementwise_kernel_manual_unrollILi128ELi8EZNS0_22gpu_kernel_impl_nocastINS0_13BinaryFunctorIiibNS0_12_GLOBAL__N_116CompareEqFunctorIiEEEEEEvRNS_18TensorIteratorBaseERKT_EUlibE_EEviT1_.uses_flat_scratch, 0
	.set _ZN2at6native32elementwise_kernel_manual_unrollILi128ELi8EZNS0_22gpu_kernel_impl_nocastINS0_13BinaryFunctorIiibNS0_12_GLOBAL__N_116CompareEqFunctorIiEEEEEEvRNS_18TensorIteratorBaseERKT_EUlibE_EEviT1_.has_dyn_sized_stack, 0
	.set _ZN2at6native32elementwise_kernel_manual_unrollILi128ELi8EZNS0_22gpu_kernel_impl_nocastINS0_13BinaryFunctorIiibNS0_12_GLOBAL__N_116CompareEqFunctorIiEEEEEEvRNS_18TensorIteratorBaseERKT_EUlibE_EEviT1_.has_recursion, 0
	.set _ZN2at6native32elementwise_kernel_manual_unrollILi128ELi8EZNS0_22gpu_kernel_impl_nocastINS0_13BinaryFunctorIiibNS0_12_GLOBAL__N_116CompareEqFunctorIiEEEEEEvRNS_18TensorIteratorBaseERKT_EUlibE_EEviT1_.has_indirect_call, 0
	.section	.AMDGPU.csdata,"",@progbits
; Kernel info:
; codeLenInByte = 10744
; TotalNumSgprs: 48
; NumVgprs: 39
; ScratchSize: 0
; MemoryBound: 0
; FloatMode: 240
; IeeeMode: 1
; LDSByteSize: 0 bytes/workgroup (compile time only)
; SGPRBlocks: 0
; VGPRBlocks: 2
; NumSGPRsForWavesPerEU: 48
; NumVGPRsForWavesPerEU: 39
; NamedBarCnt: 0
; Occupancy: 16
; WaveLimiterHint : 1
; COMPUTE_PGM_RSRC2:SCRATCH_EN: 0
; COMPUTE_PGM_RSRC2:USER_SGPR: 2
; COMPUTE_PGM_RSRC2:TRAP_HANDLER: 0
; COMPUTE_PGM_RSRC2:TGID_X_EN: 1
; COMPUTE_PGM_RSRC2:TGID_Y_EN: 0
; COMPUTE_PGM_RSRC2:TGID_Z_EN: 0
; COMPUTE_PGM_RSRC2:TIDIG_COMP_CNT: 0
	.section	.text._ZN2at6native32elementwise_kernel_manual_unrollILi128ELi4EZNS0_15gpu_kernel_implINS0_13BinaryFunctorIiibNS0_12_GLOBAL__N_116CompareEqFunctorIiEEEEEEvRNS_18TensorIteratorBaseERKT_EUlibE_EEviT1_,"axG",@progbits,_ZN2at6native32elementwise_kernel_manual_unrollILi128ELi4EZNS0_15gpu_kernel_implINS0_13BinaryFunctorIiibNS0_12_GLOBAL__N_116CompareEqFunctorIiEEEEEEvRNS_18TensorIteratorBaseERKT_EUlibE_EEviT1_,comdat
	.globl	_ZN2at6native32elementwise_kernel_manual_unrollILi128ELi4EZNS0_15gpu_kernel_implINS0_13BinaryFunctorIiibNS0_12_GLOBAL__N_116CompareEqFunctorIiEEEEEEvRNS_18TensorIteratorBaseERKT_EUlibE_EEviT1_ ; -- Begin function _ZN2at6native32elementwise_kernel_manual_unrollILi128ELi4EZNS0_15gpu_kernel_implINS0_13BinaryFunctorIiibNS0_12_GLOBAL__N_116CompareEqFunctorIiEEEEEEvRNS_18TensorIteratorBaseERKT_EUlibE_EEviT1_
	.p2align	8
	.type	_ZN2at6native32elementwise_kernel_manual_unrollILi128ELi4EZNS0_15gpu_kernel_implINS0_13BinaryFunctorIiibNS0_12_GLOBAL__N_116CompareEqFunctorIiEEEEEEvRNS_18TensorIteratorBaseERKT_EUlibE_EEviT1_,@function
_ZN2at6native32elementwise_kernel_manual_unrollILi128ELi4EZNS0_15gpu_kernel_implINS0_13BinaryFunctorIiibNS0_12_GLOBAL__N_116CompareEqFunctorIiEEEEEEvRNS_18TensorIteratorBaseERKT_EUlibE_EEviT1_: ; @_ZN2at6native32elementwise_kernel_manual_unrollILi128ELi4EZNS0_15gpu_kernel_implINS0_13BinaryFunctorIiibNS0_12_GLOBAL__N_116CompareEqFunctorIiEEEEEEvRNS_18TensorIteratorBaseERKT_EUlibE_EEviT1_
; %bb.0:
	s_load_b32 s12, s[0:1], 0x30
	s_bfe_u32 s2, ttmp6, 0x4000c
	s_clause 0x1
	s_load_b32 s17, s[0:1], 0x0
	s_load_b128 s[4:7], s[0:1], 0x8
	s_add_co_i32 s14, s2, 1
	s_clause 0x1
	s_load_b64 s[2:3], s[0:1], 0x18
	s_load_b128 s[8:11], s[0:1], 0x20
	s_and_b32 s13, ttmp6, 15
	s_wait_xcnt 0x0
	s_mul_i32 s0, ttmp9, s14
	s_getreg_b32 s15, hwreg(HW_REG_IB_STS2, 6, 4)
	s_add_co_i32 s13, s13, s0
	s_mov_b32 s16, 0
	s_wait_kmcnt 0x0
	s_lshr_b32 s14, s12, 8
	s_lshr_b32 s1, s12, 16
	s_cmp_eq_u32 s15, 0
	s_cselect_b32 s0, ttmp9, s13
	s_mov_b32 s13, 0
	v_lshl_or_b32 v6, s0, 9, v0
	s_mov_b32 s0, exec_lo
	s_delay_alu instid0(VALU_DEP_1) | instskip(NEXT) | instid1(VALU_DEP_1)
	v_or_b32_e32 v0, 0x180, v6
	v_cmpx_le_i32_e64 s17, v0
	s_xor_b32 s15, exec_lo, s0
	s_cbranch_execz .LBB38_1515
; %bb.1:
	s_cmp_eq_u32 s11, 0
	s_mov_b32 s22, 0
	s_cselect_b32 s16, -1, 0
	s_mov_b32 s25, -1
	s_mov_b32 s20, 0
	s_mov_b32 s19, 0
	;; [unrolled: 1-line block ×3, first 2 shown]
	s_mov_b32 s21, exec_lo
	v_cmpx_gt_i32_e64 s17, v6
	s_cbranch_execz .LBB38_374
; %bb.2:
	v_mul_lo_u32 v0, v6, s9
	s_and_b32 s0, s14, 0xff
	s_delay_alu instid0(SALU_CYCLE_1) | instskip(NEXT) | instid1(VALU_DEP_1)
	s_cmp_lt_i32 s0, 11
	v_ashrrev_i32_e32 v1, 31, v0
	s_delay_alu instid0(VALU_DEP_1)
	v_add_nc_u64_e32 v[0:1], s[6:7], v[0:1]
	s_cbranch_scc1 .LBB38_9
; %bb.3:
	s_and_b32 s18, 0xffff, s0
	s_delay_alu instid0(SALU_CYCLE_1)
	s_cmp_gt_i32 s18, 25
	s_cbranch_scc0 .LBB38_18
; %bb.4:
	s_cmp_gt_i32 s18, 28
	s_cbranch_scc0 .LBB38_28
; %bb.5:
	;; [unrolled: 3-line block ×4, first 2 shown]
	s_cmp_eq_u32 s18, 46
	s_mov_b32 s23, 0
	s_cbranch_scc0 .LBB38_37
; %bb.8:
	global_load_b32 v2, v[0:1], off
	s_mov_b32 s19, -1
	s_wait_loadcnt 0x0
	v_lshlrev_b32_e32 v2, 16, v2
	s_delay_alu instid0(VALU_DEP_1)
	v_cvt_i32_f32_e32 v2, v2
	s_branch .LBB38_39
.LBB38_9:
                                        ; implicit-def: $vgpr2
	s_cbranch_execnz .LBB38_101
.LBB38_10:
	s_and_not1_b32 vcc_lo, exec_lo, s19
	s_cbranch_vccnz .LBB38_148
.LBB38_11:
	s_wait_xcnt 0x0
	v_mul_lo_u32 v0, v6, s10
	s_and_b32 s0, s1, 0xff
	s_delay_alu instid0(SALU_CYCLE_1) | instskip(NEXT) | instid1(VALU_DEP_1)
	s_cmp_lt_i32 s0, 11
	v_ashrrev_i32_e32 v1, 31, v0
	s_delay_alu instid0(VALU_DEP_1)
	v_add_nc_u64_e32 v[0:1], s[2:3], v[0:1]
	s_cbranch_scc1 .LBB38_19
; %bb.12:
	s_and_b32 s18, 0xffff, s0
	s_delay_alu instid0(SALU_CYCLE_1)
	s_cmp_gt_i32 s18, 25
	s_cbranch_scc0 .LBB38_29
; %bb.13:
	s_cmp_gt_i32 s18, 28
	s_cbranch_scc0 .LBB38_32
; %bb.14:
	;; [unrolled: 3-line block ×4, first 2 shown]
	s_cmp_eq_u32 s18, 46
	s_mov_b32 s24, 0
	s_cbranch_scc0 .LBB38_149
; %bb.17:
	global_load_b32 v3, v[0:1], off
	s_mov_b32 s23, -1
	s_mov_b32 s19, 0
	s_wait_loadcnt 0x0
	v_lshlrev_b32_e32 v3, 16, v3
	s_delay_alu instid0(VALU_DEP_1)
	v_cvt_i32_f32_e32 v3, v3
	s_branch .LBB38_151
.LBB38_18:
                                        ; implicit-def: $vgpr2
	s_cbranch_execnz .LBB38_68
	s_branch .LBB38_100
.LBB38_19:
	s_mov_b32 s19, 0
	s_mov_b32 s23, 0
                                        ; implicit-def: $vgpr3
	s_cbranch_execnz .LBB38_323
.LBB38_20:
	s_and_not1_b32 vcc_lo, exec_lo, s23
	s_cbranch_vccnz .LBB38_371
.LBB38_21:
	s_wait_xcnt 0x0
	v_mul_lo_u32 v0, v6, s8
	s_wait_loadcnt 0x0
	s_delay_alu instid0(VALU_DEP_2) | instskip(SKIP_3) | instid1(VALU_DEP_2)
	v_cmp_ne_u32_e32 vcc_lo, v2, v3
	s_and_b32 s23, s12, 0xff
	s_xor_b32 s18, s16, vcc_lo
	s_cmp_lt_i32 s23, 11
	v_ashrrev_i32_e32 v1, 31, v0
	s_delay_alu instid0(VALU_DEP_1)
	v_add_nc_u64_e32 v[0:1], s[4:5], v[0:1]
	s_cbranch_scc1 .LBB38_30
; %bb.22:
	s_and_b32 s24, 0xffff, s23
	s_delay_alu instid0(SALU_CYCLE_1)
	s_cmp_gt_i32 s24, 25
	s_cbranch_scc0 .LBB38_33
; %bb.23:
	s_cmp_gt_i32 s24, 28
	s_cbranch_scc0 .LBB38_36
; %bb.24:
	;; [unrolled: 3-line block ×4, first 2 shown]
	s_mov_b32 s26, 0
	s_mov_b32 s0, -1
	s_cmp_eq_u32 s24, 46
	s_mov_b32 s25, 0
	s_cbranch_scc0 .LBB38_155
; %bb.27:
	v_cndmask_b32_e64 v2, 0, 1.0, s18
	s_mov_b32 s25, -1
	s_mov_b32 s0, 0
	s_delay_alu instid0(VALU_DEP_1) | instskip(NEXT) | instid1(VALU_DEP_1)
	v_bfe_u32 v3, v2, 16, 1
	v_add3_u32 v2, v2, v3, 0x7fff
	s_delay_alu instid0(VALU_DEP_1)
	v_lshrrev_b32_e32 v2, 16, v2
	global_store_b32 v[0:1], v2, off
	s_branch .LBB38_155
.LBB38_28:
	s_mov_b32 s23, -1
                                        ; implicit-def: $vgpr2
	s_branch .LBB38_51
.LBB38_29:
	s_mov_b32 s24, -1
	s_mov_b32 s19, 0
	s_mov_b32 s23, 0
                                        ; implicit-def: $vgpr3
	s_branch .LBB38_289
.LBB38_30:
	s_mov_b32 s24, -1
	s_mov_b32 s0, 0
	s_mov_b32 s25, 0
	s_branch .LBB38_224
.LBB38_31:
	s_mov_b32 s23, -1
                                        ; implicit-def: $vgpr2
	s_branch .LBB38_46
.LBB38_32:
	s_mov_b32 s24, -1
	s_mov_b32 s19, 0
	s_mov_b32 s23, 0
                                        ; implicit-def: $vgpr3
	s_branch .LBB38_272
.LBB38_33:
	s_mov_b32 s26, -1
	s_mov_b32 s0, 0
	s_mov_b32 s25, 0
	s_branch .LBB38_182
.LBB38_34:
	s_mov_b32 s23, -1
	s_branch .LBB38_38
.LBB38_35:
	s_mov_b32 s24, -1
	s_mov_b32 s19, 0
	s_mov_b32 s23, 0
                                        ; implicit-def: $vgpr3
	s_branch .LBB38_267
.LBB38_36:
	s_mov_b32 s26, -1
	s_mov_b32 s0, 0
	s_mov_b32 s25, 0
	s_branch .LBB38_165
.LBB38_37:
	s_mov_b32 s20, -1
.LBB38_38:
                                        ; implicit-def: $vgpr2
.LBB38_39:
	s_and_b32 vcc_lo, exec_lo, s23
	s_cbranch_vccz .LBB38_45
; %bb.40:
	s_cmp_eq_u32 s18, 44
	s_cbranch_scc0 .LBB38_44
; %bb.41:
	global_load_u8 v2, v[0:1], off
	s_mov_b32 s20, 0
	s_mov_b32 s19, -1
	s_wait_loadcnt 0x0
	v_lshlrev_b32_e32 v3, 23, v2
	v_cmp_ne_u32_e32 vcc_lo, 0, v2
	s_delay_alu instid0(VALU_DEP_2) | instskip(NEXT) | instid1(VALU_DEP_1)
	v_cvt_i32_f32_e32 v3, v3
	v_cndmask_b32_e32 v2, 0, v3, vcc_lo
	s_branch .LBB38_45
.LBB38_42:
	s_mov_b32 s24, -1
	s_mov_b32 s19, 0
	s_branch .LBB38_150
.LBB38_43:
	s_mov_b32 s26, -1
	s_mov_b32 s0, 0
	s_mov_b32 s25, 0
	s_branch .LBB38_161
.LBB38_44:
	s_mov_b32 s20, -1
                                        ; implicit-def: $vgpr2
.LBB38_45:
	s_mov_b32 s23, 0
.LBB38_46:
	s_delay_alu instid0(SALU_CYCLE_1)
	s_and_b32 vcc_lo, exec_lo, s23
	s_cbranch_vccz .LBB38_50
; %bb.47:
	s_cmp_eq_u32 s18, 29
	s_cbranch_scc0 .LBB38_49
; %bb.48:
	global_load_b32 v2, v[0:1], off
	s_mov_b32 s19, -1
	s_mov_b32 s20, 0
	s_branch .LBB38_50
.LBB38_49:
	s_mov_b32 s20, -1
                                        ; implicit-def: $vgpr2
.LBB38_50:
	s_mov_b32 s23, 0
.LBB38_51:
	s_delay_alu instid0(SALU_CYCLE_1)
	s_and_b32 vcc_lo, exec_lo, s23
	s_cbranch_vccz .LBB38_67
; %bb.52:
	s_cmp_lt_i32 s18, 27
	s_cbranch_scc1 .LBB38_55
; %bb.53:
	s_cmp_gt_i32 s18, 27
	s_cbranch_scc0 .LBB38_56
; %bb.54:
	s_wait_loadcnt 0x0
	global_load_b32 v2, v[0:1], off
	s_mov_b32 s19, 0
	s_branch .LBB38_57
.LBB38_55:
	s_mov_b32 s19, -1
                                        ; implicit-def: $vgpr2
	s_branch .LBB38_60
.LBB38_56:
	s_mov_b32 s19, -1
                                        ; implicit-def: $vgpr2
.LBB38_57:
	s_delay_alu instid0(SALU_CYCLE_1)
	s_and_not1_b32 vcc_lo, exec_lo, s19
	s_cbranch_vccnz .LBB38_59
; %bb.58:
	s_wait_loadcnt 0x0
	global_load_u16 v2, v[0:1], off
.LBB38_59:
	s_mov_b32 s19, 0
.LBB38_60:
	s_delay_alu instid0(SALU_CYCLE_1)
	s_and_not1_b32 vcc_lo, exec_lo, s19
	s_cbranch_vccnz .LBB38_66
; %bb.61:
	global_load_u8 v3, v[0:1], off
	s_mov_b32 s23, 0
	s_mov_b32 s19, exec_lo
	s_wait_loadcnt 0x0
	v_cmpx_lt_i16_e32 0x7f, v3
	s_xor_b32 s19, exec_lo, s19
	s_cbranch_execz .LBB38_77
; %bb.62:
	v_cmp_ne_u16_e32 vcc_lo, 0x80, v3
	s_and_b32 s23, vcc_lo, exec_lo
	s_and_not1_saveexec_b32 s19, s19
	s_cbranch_execnz .LBB38_78
.LBB38_63:
	s_or_b32 exec_lo, exec_lo, s19
	v_mov_b32_e32 v2, 0
	s_and_saveexec_b32 s19, s23
	s_cbranch_execz .LBB38_65
.LBB38_64:
	v_and_b32_e32 v2, 0xffff, v3
	s_delay_alu instid0(VALU_DEP_1) | instskip(SKIP_1) | instid1(VALU_DEP_2)
	v_and_b32_e32 v4, 7, v2
	v_bfe_u32 v8, v2, 3, 4
	v_clz_i32_u32_e32 v5, v4
	s_delay_alu instid0(VALU_DEP_2) | instskip(NEXT) | instid1(VALU_DEP_2)
	v_cmp_eq_u32_e32 vcc_lo, 0, v8
	v_min_u32_e32 v5, 32, v5
	s_delay_alu instid0(VALU_DEP_1) | instskip(NEXT) | instid1(VALU_DEP_1)
	v_subrev_nc_u32_e32 v7, 28, v5
	v_dual_lshlrev_b32 v2, v7, v2 :: v_dual_sub_nc_u32 v5, 29, v5
	s_delay_alu instid0(VALU_DEP_1) | instskip(NEXT) | instid1(VALU_DEP_2)
	v_dual_lshlrev_b32 v3, 24, v3 :: v_dual_bitop2_b32 v2, 7, v2 bitop3:0x40
	v_cndmask_b32_e32 v5, v8, v5, vcc_lo
	s_delay_alu instid0(VALU_DEP_2) | instskip(NEXT) | instid1(VALU_DEP_3)
	v_cndmask_b32_e32 v2, v4, v2, vcc_lo
	v_and_b32_e32 v3, 0x80000000, v3
	s_delay_alu instid0(VALU_DEP_3) | instskip(NEXT) | instid1(VALU_DEP_3)
	v_lshl_add_u32 v4, v5, 23, 0x3b800000
	v_lshlrev_b32_e32 v2, 20, v2
	s_delay_alu instid0(VALU_DEP_1) | instskip(NEXT) | instid1(VALU_DEP_1)
	v_or3_b32 v2, v3, v4, v2
	v_cvt_i32_f32_e32 v2, v2
.LBB38_65:
	s_or_b32 exec_lo, exec_lo, s19
.LBB38_66:
	s_mov_b32 s19, -1
.LBB38_67:
	s_branch .LBB38_100
.LBB38_68:
	s_cmp_gt_i32 s18, 22
	s_cbranch_scc0 .LBB38_76
; %bb.69:
	s_cmp_lt_i32 s18, 24
	s_cbranch_scc1 .LBB38_79
; %bb.70:
	s_cmp_gt_i32 s18, 24
	s_cbranch_scc0 .LBB38_80
; %bb.71:
	global_load_u8 v3, v[0:1], off
	s_mov_b32 s23, 0
	s_mov_b32 s19, exec_lo
	s_wait_loadcnt 0x0
	v_cmpx_lt_i16_e32 0x7f, v3
	s_xor_b32 s19, exec_lo, s19
	s_cbranch_execz .LBB38_92
; %bb.72:
	v_cmp_ne_u16_e32 vcc_lo, 0x80, v3
	s_and_b32 s23, vcc_lo, exec_lo
	s_and_not1_saveexec_b32 s19, s19
	s_cbranch_execnz .LBB38_93
.LBB38_73:
	s_or_b32 exec_lo, exec_lo, s19
	v_mov_b32_e32 v2, 0
	s_and_saveexec_b32 s19, s23
	s_cbranch_execz .LBB38_75
.LBB38_74:
	v_and_b32_e32 v2, 0xffff, v3
	s_delay_alu instid0(VALU_DEP_1) | instskip(SKIP_1) | instid1(VALU_DEP_2)
	v_and_b32_e32 v4, 3, v2
	v_bfe_u32 v8, v2, 2, 5
	v_clz_i32_u32_e32 v5, v4
	s_delay_alu instid0(VALU_DEP_2) | instskip(NEXT) | instid1(VALU_DEP_2)
	v_cmp_eq_u32_e32 vcc_lo, 0, v8
	v_min_u32_e32 v5, 32, v5
	s_delay_alu instid0(VALU_DEP_1) | instskip(NEXT) | instid1(VALU_DEP_1)
	v_subrev_nc_u32_e32 v7, 29, v5
	v_dual_lshlrev_b32 v2, v7, v2 :: v_dual_sub_nc_u32 v5, 30, v5
	s_delay_alu instid0(VALU_DEP_1) | instskip(NEXT) | instid1(VALU_DEP_2)
	v_dual_lshlrev_b32 v3, 24, v3 :: v_dual_bitop2_b32 v2, 3, v2 bitop3:0x40
	v_cndmask_b32_e32 v5, v8, v5, vcc_lo
	s_delay_alu instid0(VALU_DEP_2) | instskip(NEXT) | instid1(VALU_DEP_3)
	v_cndmask_b32_e32 v2, v4, v2, vcc_lo
	v_and_b32_e32 v3, 0x80000000, v3
	s_delay_alu instid0(VALU_DEP_3) | instskip(NEXT) | instid1(VALU_DEP_3)
	v_lshl_add_u32 v4, v5, 23, 0x37800000
	v_lshlrev_b32_e32 v2, 21, v2
	s_delay_alu instid0(VALU_DEP_1) | instskip(NEXT) | instid1(VALU_DEP_1)
	v_or3_b32 v2, v3, v4, v2
	v_cvt_i32_f32_e32 v2, v2
.LBB38_75:
	s_or_b32 exec_lo, exec_lo, s19
	s_mov_b32 s19, 0
	s_branch .LBB38_81
.LBB38_76:
	s_mov_b32 s23, -1
                                        ; implicit-def: $vgpr2
	s_branch .LBB38_87
.LBB38_77:
	s_and_not1_saveexec_b32 s19, s19
	s_cbranch_execz .LBB38_63
.LBB38_78:
	v_cmp_ne_u16_e32 vcc_lo, 0, v3
	s_and_not1_b32 s23, s23, exec_lo
	s_and_b32 s24, vcc_lo, exec_lo
	s_delay_alu instid0(SALU_CYCLE_1)
	s_or_b32 s23, s23, s24
	s_or_b32 exec_lo, exec_lo, s19
	v_mov_b32_e32 v2, 0
	s_and_saveexec_b32 s19, s23
	s_cbranch_execnz .LBB38_64
	s_branch .LBB38_65
.LBB38_79:
	s_mov_b32 s19, -1
                                        ; implicit-def: $vgpr2
	s_branch .LBB38_84
.LBB38_80:
	s_mov_b32 s19, -1
                                        ; implicit-def: $vgpr2
.LBB38_81:
	s_delay_alu instid0(SALU_CYCLE_1)
	s_and_b32 vcc_lo, exec_lo, s19
	s_cbranch_vccz .LBB38_83
; %bb.82:
	s_wait_loadcnt 0x0
	global_load_u8 v2, v[0:1], off
	s_wait_loadcnt 0x0
	v_lshlrev_b32_e32 v2, 24, v2
	s_delay_alu instid0(VALU_DEP_1) | instskip(NEXT) | instid1(VALU_DEP_1)
	v_and_b32_e32 v3, 0x7f000000, v2
	v_clz_i32_u32_e32 v4, v3
	v_add_nc_u32_e32 v7, 0x1000000, v3
	v_cmp_ne_u32_e32 vcc_lo, 0, v3
	s_delay_alu instid0(VALU_DEP_3) | instskip(NEXT) | instid1(VALU_DEP_1)
	v_min_u32_e32 v4, 32, v4
	v_sub_nc_u32_e64 v4, v4, 4 clamp
	s_delay_alu instid0(VALU_DEP_1) | instskip(NEXT) | instid1(VALU_DEP_1)
	v_dual_lshlrev_b32 v5, v4, v3 :: v_dual_lshlrev_b32 v4, 23, v4
	v_lshrrev_b32_e32 v5, 4, v5
	s_delay_alu instid0(VALU_DEP_1) | instskip(NEXT) | instid1(VALU_DEP_1)
	v_dual_sub_nc_u32 v4, v5, v4 :: v_dual_ashrrev_i32 v5, 8, v7
	v_add_nc_u32_e32 v4, 0x3c000000, v4
	s_delay_alu instid0(VALU_DEP_1) | instskip(NEXT) | instid1(VALU_DEP_1)
	v_and_or_b32 v4, 0x7f800000, v5, v4
	v_cndmask_b32_e32 v3, 0, v4, vcc_lo
	s_delay_alu instid0(VALU_DEP_1) | instskip(NEXT) | instid1(VALU_DEP_1)
	v_and_or_b32 v2, 0x80000000, v2, v3
	v_cvt_i32_f32_e32 v2, v2
.LBB38_83:
	s_mov_b32 s19, 0
.LBB38_84:
	s_delay_alu instid0(SALU_CYCLE_1)
	s_and_not1_b32 vcc_lo, exec_lo, s19
	s_cbranch_vccnz .LBB38_86
; %bb.85:
	s_wait_loadcnt 0x0
	global_load_u8 v2, v[0:1], off
	s_wait_loadcnt 0x0
	v_lshlrev_b32_e32 v3, 25, v2
	v_lshlrev_b16 v2, 8, v2
	s_delay_alu instid0(VALU_DEP_1) | instskip(SKIP_1) | instid1(VALU_DEP_2)
	v_and_or_b32 v5, 0x7f00, v2, 0.5
	v_bfe_i32 v2, v2, 0, 16
	v_dual_add_f32 v5, -0.5, v5 :: v_dual_lshrrev_b32 v4, 4, v3
	v_cmp_gt_u32_e32 vcc_lo, 0x8000000, v3
	s_delay_alu instid0(VALU_DEP_2) | instskip(NEXT) | instid1(VALU_DEP_1)
	v_or_b32_e32 v4, 0x70000000, v4
	v_mul_f32_e32 v4, 0x7800000, v4
	s_delay_alu instid0(VALU_DEP_1) | instskip(NEXT) | instid1(VALU_DEP_1)
	v_cndmask_b32_e32 v3, v4, v5, vcc_lo
	v_and_or_b32 v2, 0x80000000, v2, v3
	s_delay_alu instid0(VALU_DEP_1)
	v_cvt_i32_f32_e32 v2, v2
.LBB38_86:
	s_mov_b32 s23, 0
	s_mov_b32 s19, -1
.LBB38_87:
	s_and_not1_b32 vcc_lo, exec_lo, s23
	s_cbranch_vccnz .LBB38_100
; %bb.88:
	s_cmp_gt_i32 s18, 14
	s_cbranch_scc0 .LBB38_91
; %bb.89:
	s_cmp_eq_u32 s18, 15
	s_cbranch_scc0 .LBB38_94
; %bb.90:
	s_wait_loadcnt 0x0
	global_load_u16 v2, v[0:1], off
	s_mov_b32 s19, -1
	s_mov_b32 s20, 0
	s_wait_loadcnt 0x0
	v_lshlrev_b32_e32 v2, 16, v2
	s_delay_alu instid0(VALU_DEP_1)
	v_cvt_i32_f32_e32 v2, v2
	s_branch .LBB38_95
.LBB38_91:
	s_mov_b32 s23, -1
                                        ; implicit-def: $vgpr2
	s_branch .LBB38_96
.LBB38_92:
	s_and_not1_saveexec_b32 s19, s19
	s_cbranch_execz .LBB38_73
.LBB38_93:
	v_cmp_ne_u16_e32 vcc_lo, 0, v3
	s_and_not1_b32 s23, s23, exec_lo
	s_and_b32 s24, vcc_lo, exec_lo
	s_delay_alu instid0(SALU_CYCLE_1)
	s_or_b32 s23, s23, s24
	s_or_b32 exec_lo, exec_lo, s19
	v_mov_b32_e32 v2, 0
	s_and_saveexec_b32 s19, s23
	s_cbranch_execnz .LBB38_74
	s_branch .LBB38_75
.LBB38_94:
	s_mov_b32 s20, -1
                                        ; implicit-def: $vgpr2
.LBB38_95:
	s_mov_b32 s23, 0
.LBB38_96:
	s_delay_alu instid0(SALU_CYCLE_1)
	s_and_b32 vcc_lo, exec_lo, s23
	s_cbranch_vccz .LBB38_100
; %bb.97:
	s_cmp_eq_u32 s18, 11
	s_cbranch_scc0 .LBB38_99
; %bb.98:
	s_wait_loadcnt 0x0
	global_load_u8 v2, v[0:1], off
	s_mov_b32 s20, 0
	s_mov_b32 s19, -1
	s_wait_loadcnt 0x0
	v_cmp_ne_u16_e32 vcc_lo, 0, v2
	v_cndmask_b32_e64 v2, 0, 1, vcc_lo
	s_branch .LBB38_100
.LBB38_99:
	s_mov_b32 s20, -1
                                        ; implicit-def: $vgpr2
.LBB38_100:
	s_branch .LBB38_10
.LBB38_101:
	s_and_b32 s0, 0xffff, s0
	s_delay_alu instid0(SALU_CYCLE_1)
	s_cmp_lt_i32 s0, 5
	s_cbranch_scc1 .LBB38_106
; %bb.102:
	s_cmp_lt_i32 s0, 8
	s_cbranch_scc1 .LBB38_107
; %bb.103:
	;; [unrolled: 3-line block ×3, first 2 shown]
	s_cmp_gt_i32 s0, 9
	s_cbranch_scc0 .LBB38_109
; %bb.105:
	s_wait_loadcnt 0x0
	global_load_b64 v[2:3], v[0:1], off
	s_mov_b32 s18, 0
	s_wait_loadcnt 0x0
	v_cvt_i32_f64_e32 v2, v[2:3]
	s_branch .LBB38_110
.LBB38_106:
                                        ; implicit-def: $vgpr2
	s_branch .LBB38_128
.LBB38_107:
	s_mov_b32 s18, -1
                                        ; implicit-def: $vgpr2
	s_branch .LBB38_116
.LBB38_108:
	s_mov_b32 s18, -1
                                        ; implicit-def: $vgpr2
	s_branch .LBB38_113
.LBB38_109:
	s_mov_b32 s18, -1
                                        ; implicit-def: $vgpr2
.LBB38_110:
	s_delay_alu instid0(SALU_CYCLE_1)
	s_and_not1_b32 vcc_lo, exec_lo, s18
	s_cbranch_vccnz .LBB38_112
; %bb.111:
	s_wait_loadcnt 0x0
	global_load_b32 v2, v[0:1], off
	s_wait_loadcnt 0x0
	v_cvt_i32_f32_e32 v2, v2
.LBB38_112:
	s_mov_b32 s18, 0
.LBB38_113:
	s_delay_alu instid0(SALU_CYCLE_1)
	s_and_not1_b32 vcc_lo, exec_lo, s18
	s_cbranch_vccnz .LBB38_115
; %bb.114:
	s_wait_loadcnt 0x0
	global_load_b32 v2, v[0:1], off
	s_wait_loadcnt 0x0
	v_cvt_f32_f16_e32 v2, v2
	s_delay_alu instid0(VALU_DEP_1)
	v_cvt_i32_f32_e32 v2, v2
.LBB38_115:
	s_mov_b32 s18, 0
.LBB38_116:
	s_delay_alu instid0(SALU_CYCLE_1)
	s_and_not1_b32 vcc_lo, exec_lo, s18
	s_cbranch_vccnz .LBB38_127
; %bb.117:
	s_cmp_lt_i32 s0, 6
	s_cbranch_scc1 .LBB38_120
; %bb.118:
	s_cmp_gt_i32 s0, 6
	s_cbranch_scc0 .LBB38_121
; %bb.119:
	s_wait_loadcnt 0x0
	global_load_b64 v[2:3], v[0:1], off
	s_mov_b32 s18, 0
	s_wait_loadcnt 0x0
	v_cvt_i32_f64_e32 v2, v[2:3]
	s_branch .LBB38_122
.LBB38_120:
	s_mov_b32 s18, -1
                                        ; implicit-def: $vgpr2
	s_branch .LBB38_125
.LBB38_121:
	s_mov_b32 s18, -1
                                        ; implicit-def: $vgpr2
.LBB38_122:
	s_delay_alu instid0(SALU_CYCLE_1)
	s_and_not1_b32 vcc_lo, exec_lo, s18
	s_cbranch_vccnz .LBB38_124
; %bb.123:
	s_wait_loadcnt 0x0
	global_load_b32 v2, v[0:1], off
	s_wait_loadcnt 0x0
	v_cvt_i32_f32_e32 v2, v2
.LBB38_124:
	s_mov_b32 s18, 0
.LBB38_125:
	s_delay_alu instid0(SALU_CYCLE_1)
	s_and_not1_b32 vcc_lo, exec_lo, s18
	s_cbranch_vccnz .LBB38_127
; %bb.126:
	s_wait_loadcnt 0x0
	global_load_u16 v2, v[0:1], off
	s_wait_loadcnt 0x0
	v_cvt_f32_f16_e32 v2, v2
	s_delay_alu instid0(VALU_DEP_1)
	v_cvt_i32_f32_e32 v2, v2
.LBB38_127:
	s_cbranch_execnz .LBB38_147
.LBB38_128:
	s_cmp_lt_i32 s0, 2
	s_cbranch_scc1 .LBB38_132
; %bb.129:
	s_cmp_lt_i32 s0, 3
	s_cbranch_scc1 .LBB38_133
; %bb.130:
	s_cmp_gt_i32 s0, 3
	s_cbranch_scc0 .LBB38_134
; %bb.131:
	s_wait_loadcnt 0x0
	global_load_b32 v2, v[0:1], off
	s_mov_b32 s18, 0
	s_branch .LBB38_135
.LBB38_132:
	s_mov_b32 s18, -1
                                        ; implicit-def: $vgpr2
	s_branch .LBB38_141
.LBB38_133:
	s_mov_b32 s18, -1
                                        ; implicit-def: $vgpr2
	s_branch .LBB38_138
.LBB38_134:
	s_mov_b32 s18, -1
                                        ; implicit-def: $vgpr2
.LBB38_135:
	s_delay_alu instid0(SALU_CYCLE_1)
	s_and_not1_b32 vcc_lo, exec_lo, s18
	s_cbranch_vccnz .LBB38_137
; %bb.136:
	s_wait_loadcnt 0x0
	global_load_b32 v2, v[0:1], off
.LBB38_137:
	s_mov_b32 s18, 0
.LBB38_138:
	s_delay_alu instid0(SALU_CYCLE_1)
	s_and_not1_b32 vcc_lo, exec_lo, s18
	s_cbranch_vccnz .LBB38_140
; %bb.139:
	s_wait_loadcnt 0x0
	global_load_i16 v2, v[0:1], off
.LBB38_140:
	s_mov_b32 s18, 0
.LBB38_141:
	s_delay_alu instid0(SALU_CYCLE_1)
	s_and_not1_b32 vcc_lo, exec_lo, s18
	s_cbranch_vccnz .LBB38_147
; %bb.142:
	s_cmp_gt_i32 s0, 0
	s_mov_b32 s0, 0
	s_cbranch_scc0 .LBB38_144
; %bb.143:
	s_wait_loadcnt 0x0
	global_load_i8 v2, v[0:1], off
	s_branch .LBB38_145
.LBB38_144:
	s_mov_b32 s0, -1
                                        ; implicit-def: $vgpr2
.LBB38_145:
	s_delay_alu instid0(SALU_CYCLE_1)
	s_and_not1_b32 vcc_lo, exec_lo, s0
	s_cbranch_vccnz .LBB38_147
; %bb.146:
	s_wait_loadcnt 0x0
	global_load_u8 v2, v[0:1], off
.LBB38_147:
	s_branch .LBB38_11
.LBB38_148:
	s_mov_b32 s0, 0
	s_mov_b32 s19, 0
	s_branch .LBB38_372
.LBB38_149:
	s_mov_b32 s19, -1
.LBB38_150:
	s_mov_b32 s23, 0
                                        ; implicit-def: $vgpr3
.LBB38_151:
	s_and_b32 vcc_lo, exec_lo, s24
	s_cbranch_vccz .LBB38_266
; %bb.152:
	s_cmp_eq_u32 s18, 44
	s_cbranch_scc0 .LBB38_265
; %bb.153:
	global_load_u8 v3, v[0:1], off
	s_mov_b32 s19, 0
	s_mov_b32 s23, -1
	s_wait_loadcnt 0x0
	v_lshlrev_b32_e32 v4, 23, v3
	v_cmp_ne_u32_e32 vcc_lo, 0, v3
	s_delay_alu instid0(VALU_DEP_2) | instskip(NEXT) | instid1(VALU_DEP_1)
	v_cvt_i32_f32_e32 v4, v4
	v_cndmask_b32_e32 v3, 0, v4, vcc_lo
	s_branch .LBB38_266
.LBB38_154:
	s_mov_b32 s26, -1
	s_mov_b32 s0, 0
	s_mov_b32 s25, 0
.LBB38_155:
	s_and_b32 vcc_lo, exec_lo, s26
	s_cbranch_vccz .LBB38_160
; %bb.156:
	s_cmp_eq_u32 s24, 44
	s_mov_b32 s0, -1
	s_cbranch_scc0 .LBB38_160
; %bb.157:
	v_cndmask_b32_e64 v4, 0, 1.0, s18
	s_mov_b32 s25, exec_lo
	s_wait_xcnt 0x0
	s_delay_alu instid0(VALU_DEP_1) | instskip(NEXT) | instid1(VALU_DEP_1)
	v_dual_mov_b32 v3, 0xff :: v_dual_lshrrev_b32 v2, 23, v4
	v_cmpx_ne_u32_e32 0xff, v2
; %bb.158:
	v_and_b32_e32 v3, 0x400000, v4
	v_and_or_b32 v4, 0x3fffff, v4, v2
	s_delay_alu instid0(VALU_DEP_2) | instskip(NEXT) | instid1(VALU_DEP_2)
	v_cmp_ne_u32_e32 vcc_lo, 0, v3
	v_cmp_ne_u32_e64 s0, 0, v4
	s_and_b32 s0, vcc_lo, s0
	s_delay_alu instid0(SALU_CYCLE_1) | instskip(NEXT) | instid1(VALU_DEP_1)
	v_cndmask_b32_e64 v3, 0, 1, s0
	v_add_nc_u32_e32 v3, v2, v3
; %bb.159:
	s_or_b32 exec_lo, exec_lo, s25
	s_mov_b32 s25, -1
	s_mov_b32 s0, 0
	global_store_b8 v[0:1], v3, off
.LBB38_160:
	s_mov_b32 s26, 0
.LBB38_161:
	s_delay_alu instid0(SALU_CYCLE_1)
	s_and_b32 vcc_lo, exec_lo, s26
	s_cbranch_vccz .LBB38_164
; %bb.162:
	s_cmp_eq_u32 s24, 29
	s_mov_b32 s0, -1
	s_cbranch_scc0 .LBB38_164
; %bb.163:
	s_mov_b32 s0, 0
	s_wait_xcnt 0x0
	v_cndmask_b32_e64 v2, 0, 1, s18
	v_mov_b32_e32 v3, s0
	s_mov_b32 s25, -1
	s_mov_b32 s26, 0
	global_store_b64 v[0:1], v[2:3], off
	s_branch .LBB38_165
.LBB38_164:
	s_mov_b32 s26, 0
.LBB38_165:
	s_delay_alu instid0(SALU_CYCLE_1)
	s_and_b32 vcc_lo, exec_lo, s26
	s_cbranch_vccz .LBB38_181
; %bb.166:
	s_cmp_lt_i32 s24, 27
	s_mov_b32 s25, -1
	s_cbranch_scc1 .LBB38_172
; %bb.167:
	s_cmp_gt_i32 s24, 27
	s_cbranch_scc0 .LBB38_169
; %bb.168:
	s_wait_xcnt 0x0
	v_cndmask_b32_e64 v2, 0, 1, s18
	s_mov_b32 s25, 0
	global_store_b32 v[0:1], v2, off
.LBB38_169:
	s_and_not1_b32 vcc_lo, exec_lo, s25
	s_cbranch_vccnz .LBB38_171
; %bb.170:
	s_wait_xcnt 0x0
	v_cndmask_b32_e64 v2, 0, 1, s18
	global_store_b16 v[0:1], v2, off
.LBB38_171:
	s_mov_b32 s25, 0
.LBB38_172:
	s_delay_alu instid0(SALU_CYCLE_1)
	s_and_not1_b32 vcc_lo, exec_lo, s25
	s_cbranch_vccnz .LBB38_180
; %bb.173:
	s_wait_xcnt 0x0
	v_cndmask_b32_e64 v3, 0, 1.0, s18
	v_mov_b32_e32 v4, 0x80
	s_mov_b32 s25, exec_lo
	s_delay_alu instid0(VALU_DEP_2)
	v_cmpx_gt_u32_e32 0x43800000, v3
	s_cbranch_execz .LBB38_179
; %bb.174:
	s_mov_b32 s26, 0
	s_mov_b32 s27, exec_lo
                                        ; implicit-def: $vgpr2
	v_cmpx_lt_u32_e32 0x3bffffff, v3
	s_xor_b32 s27, exec_lo, s27
	s_cbranch_execz .LBB38_403
; %bb.175:
	v_bfe_u32 v2, v3, 20, 1
	s_mov_b32 s26, exec_lo
	s_delay_alu instid0(VALU_DEP_1) | instskip(NEXT) | instid1(VALU_DEP_1)
	v_add3_u32 v2, v3, v2, 0x487ffff
                                        ; implicit-def: $vgpr3
	v_lshrrev_b32_e32 v2, 20, v2
	s_and_not1_saveexec_b32 s27, s27
	s_cbranch_execnz .LBB38_404
.LBB38_176:
	s_or_b32 exec_lo, exec_lo, s27
	v_mov_b32_e32 v4, 0
	s_and_saveexec_b32 s27, s26
.LBB38_177:
	v_mov_b32_e32 v4, v2
.LBB38_178:
	s_or_b32 exec_lo, exec_lo, s27
.LBB38_179:
	s_delay_alu instid0(SALU_CYCLE_1)
	s_or_b32 exec_lo, exec_lo, s25
	global_store_b8 v[0:1], v4, off
.LBB38_180:
	s_mov_b32 s25, -1
.LBB38_181:
	s_mov_b32 s26, 0
.LBB38_182:
	s_delay_alu instid0(SALU_CYCLE_1)
	s_and_b32 vcc_lo, exec_lo, s26
	s_cbranch_vccz .LBB38_223
; %bb.183:
	s_cmp_gt_i32 s24, 22
	s_mov_b32 s26, -1
	s_cbranch_scc0 .LBB38_215
; %bb.184:
	s_cmp_lt_i32 s24, 24
	s_mov_b32 s25, -1
	s_cbranch_scc1 .LBB38_204
; %bb.185:
	s_cmp_gt_i32 s24, 24
	s_cbranch_scc0 .LBB38_193
; %bb.186:
	s_wait_xcnt 0x0
	v_cndmask_b32_e64 v3, 0, 1.0, s18
	v_mov_b32_e32 v4, 0x80
	s_mov_b32 s25, exec_lo
	s_delay_alu instid0(VALU_DEP_2)
	v_cmpx_gt_u32_e32 0x47800000, v3
	s_cbranch_execz .LBB38_192
; %bb.187:
	s_mov_b32 s26, 0
	s_mov_b32 s27, exec_lo
                                        ; implicit-def: $vgpr2
	v_cmpx_lt_u32_e32 0x37ffffff, v3
	s_xor_b32 s27, exec_lo, s27
	s_cbranch_execz .LBB38_518
; %bb.188:
	v_bfe_u32 v2, v3, 21, 1
	s_mov_b32 s26, exec_lo
	s_delay_alu instid0(VALU_DEP_1) | instskip(NEXT) | instid1(VALU_DEP_1)
	v_add3_u32 v2, v3, v2, 0x88fffff
                                        ; implicit-def: $vgpr3
	v_lshrrev_b32_e32 v2, 21, v2
	s_and_not1_saveexec_b32 s27, s27
	s_cbranch_execnz .LBB38_519
.LBB38_189:
	s_or_b32 exec_lo, exec_lo, s27
	v_mov_b32_e32 v4, 0
	s_and_saveexec_b32 s27, s26
.LBB38_190:
	v_mov_b32_e32 v4, v2
.LBB38_191:
	s_or_b32 exec_lo, exec_lo, s27
.LBB38_192:
	s_delay_alu instid0(SALU_CYCLE_1)
	s_or_b32 exec_lo, exec_lo, s25
	s_mov_b32 s25, 0
	global_store_b8 v[0:1], v4, off
.LBB38_193:
	s_and_b32 vcc_lo, exec_lo, s25
	s_cbranch_vccz .LBB38_203
; %bb.194:
	s_wait_xcnt 0x0
	v_cndmask_b32_e64 v3, 0, 1.0, s18
	s_mov_b32 s25, exec_lo
                                        ; implicit-def: $vgpr2
	s_delay_alu instid0(VALU_DEP_1)
	v_cmpx_gt_u32_e32 0x43f00000, v3
	s_xor_b32 s25, exec_lo, s25
	s_cbranch_execz .LBB38_200
; %bb.195:
	s_mov_b32 s26, exec_lo
                                        ; implicit-def: $vgpr2
	v_cmpx_lt_u32_e32 0x3c7fffff, v3
	s_xor_b32 s26, exec_lo, s26
; %bb.196:
	v_bfe_u32 v2, v3, 20, 1
	s_delay_alu instid0(VALU_DEP_1) | instskip(NEXT) | instid1(VALU_DEP_1)
	v_add3_u32 v2, v3, v2, 0x407ffff
	v_and_b32_e32 v3, 0xff00000, v2
	v_lshrrev_b32_e32 v2, 20, v2
	s_delay_alu instid0(VALU_DEP_2) | instskip(NEXT) | instid1(VALU_DEP_2)
	v_cmp_ne_u32_e32 vcc_lo, 0x7f00000, v3
                                        ; implicit-def: $vgpr3
	v_cndmask_b32_e32 v2, 0x7e, v2, vcc_lo
; %bb.197:
	s_and_not1_saveexec_b32 s26, s26
; %bb.198:
	v_add_f32_e32 v2, 0x46800000, v3
; %bb.199:
	s_or_b32 exec_lo, exec_lo, s26
                                        ; implicit-def: $vgpr3
.LBB38_200:
	s_and_not1_saveexec_b32 s25, s25
; %bb.201:
	v_mov_b32_e32 v2, 0x7f
	v_cmp_lt_u32_e32 vcc_lo, 0x7f800000, v3
	s_delay_alu instid0(VALU_DEP_2)
	v_cndmask_b32_e32 v2, 0x7e, v2, vcc_lo
; %bb.202:
	s_or_b32 exec_lo, exec_lo, s25
	global_store_b8 v[0:1], v2, off
.LBB38_203:
	s_mov_b32 s25, 0
.LBB38_204:
	s_delay_alu instid0(SALU_CYCLE_1)
	s_and_not1_b32 vcc_lo, exec_lo, s25
	s_cbranch_vccnz .LBB38_214
; %bb.205:
	s_wait_xcnt 0x0
	v_cndmask_b32_e64 v3, 0, 1.0, s18
	s_mov_b32 s25, exec_lo
                                        ; implicit-def: $vgpr2
	s_delay_alu instid0(VALU_DEP_1)
	v_cmpx_gt_u32_e32 0x47800000, v3
	s_xor_b32 s25, exec_lo, s25
	s_cbranch_execz .LBB38_211
; %bb.206:
	s_mov_b32 s26, exec_lo
                                        ; implicit-def: $vgpr2
	v_cmpx_lt_u32_e32 0x387fffff, v3
	s_xor_b32 s26, exec_lo, s26
; %bb.207:
	v_bfe_u32 v2, v3, 21, 1
	s_delay_alu instid0(VALU_DEP_1) | instskip(NEXT) | instid1(VALU_DEP_1)
	v_add3_u32 v2, v3, v2, 0x80fffff
                                        ; implicit-def: $vgpr3
	v_lshrrev_b32_e32 v2, 21, v2
; %bb.208:
	s_and_not1_saveexec_b32 s26, s26
; %bb.209:
	v_add_f32_e32 v2, 0x43000000, v3
; %bb.210:
	s_or_b32 exec_lo, exec_lo, s26
                                        ; implicit-def: $vgpr3
.LBB38_211:
	s_and_not1_saveexec_b32 s25, s25
; %bb.212:
	v_mov_b32_e32 v2, 0x7f
	v_cmp_lt_u32_e32 vcc_lo, 0x7f800000, v3
	s_delay_alu instid0(VALU_DEP_2)
	v_cndmask_b32_e32 v2, 0x7c, v2, vcc_lo
; %bb.213:
	s_or_b32 exec_lo, exec_lo, s25
	global_store_b8 v[0:1], v2, off
.LBB38_214:
	s_mov_b32 s26, 0
	s_mov_b32 s25, -1
.LBB38_215:
	s_and_not1_b32 vcc_lo, exec_lo, s26
	s_cbranch_vccnz .LBB38_223
; %bb.216:
	s_cmp_gt_i32 s24, 14
	s_mov_b32 s26, -1
	s_cbranch_scc0 .LBB38_220
; %bb.217:
	s_cmp_eq_u32 s24, 15
	s_mov_b32 s0, -1
	s_cbranch_scc0 .LBB38_219
; %bb.218:
	s_wait_xcnt 0x0
	v_cndmask_b32_e64 v2, 0, 1.0, s18
	s_mov_b32 s25, -1
	s_mov_b32 s0, 0
	s_delay_alu instid0(VALU_DEP_1) | instskip(NEXT) | instid1(VALU_DEP_1)
	v_bfe_u32 v3, v2, 16, 1
	v_add3_u32 v2, v2, v3, 0x7fff
	global_store_d16_hi_b16 v[0:1], v2, off
.LBB38_219:
	s_mov_b32 s26, 0
.LBB38_220:
	s_delay_alu instid0(SALU_CYCLE_1)
	s_and_b32 vcc_lo, exec_lo, s26
	s_cbranch_vccz .LBB38_223
; %bb.221:
	s_cmp_eq_u32 s24, 11
	s_mov_b32 s0, -1
	s_cbranch_scc0 .LBB38_223
; %bb.222:
	s_wait_xcnt 0x0
	v_cndmask_b32_e64 v2, 0, 1, s18
	s_mov_b32 s25, -1
	s_mov_b32 s0, 0
	global_store_b8 v[0:1], v2, off
.LBB38_223:
	s_mov_b32 s24, 0
.LBB38_224:
	s_delay_alu instid0(SALU_CYCLE_1)
	s_and_b32 vcc_lo, exec_lo, s24
	s_cbranch_vccz .LBB38_263
; %bb.225:
	s_and_b32 s23, 0xffff, s23
	s_mov_b32 s24, -1
	s_cmp_lt_i32 s23, 5
	s_cbranch_scc1 .LBB38_246
; %bb.226:
	s_cmp_lt_i32 s23, 8
	s_cbranch_scc1 .LBB38_236
; %bb.227:
	s_cmp_lt_i32 s23, 9
	s_cbranch_scc1 .LBB38_233
; %bb.228:
	s_cmp_gt_i32 s23, 9
	s_cbranch_scc0 .LBB38_230
; %bb.229:
	s_wait_xcnt 0x0
	v_cndmask_b32_e64 v2, 0, 1, s18
	v_mov_b32_e32 v4, 0
	s_mov_b32 s24, 0
	s_delay_alu instid0(VALU_DEP_2) | instskip(NEXT) | instid1(VALU_DEP_2)
	v_cvt_f64_u32_e32 v[2:3], v2
	v_mov_b32_e32 v5, v4
	global_store_b128 v[0:1], v[2:5], off
.LBB38_230:
	s_and_not1_b32 vcc_lo, exec_lo, s24
	s_cbranch_vccnz .LBB38_232
; %bb.231:
	s_wait_xcnt 0x0
	v_cndmask_b32_e64 v2, 0, 1.0, s18
	v_mov_b32_e32 v3, 0
	global_store_b64 v[0:1], v[2:3], off
.LBB38_232:
	s_mov_b32 s24, 0
.LBB38_233:
	s_delay_alu instid0(SALU_CYCLE_1)
	s_and_not1_b32 vcc_lo, exec_lo, s24
	s_cbranch_vccnz .LBB38_235
; %bb.234:
	s_wait_xcnt 0x0
	v_cndmask_b32_e64 v2, 0, 1.0, s18
	s_delay_alu instid0(VALU_DEP_1) | instskip(NEXT) | instid1(VALU_DEP_1)
	v_cvt_f16_f32_e32 v2, v2
	v_and_b32_e32 v2, 0xffff, v2
	global_store_b32 v[0:1], v2, off
.LBB38_235:
	s_mov_b32 s24, 0
.LBB38_236:
	s_delay_alu instid0(SALU_CYCLE_1)
	s_and_not1_b32 vcc_lo, exec_lo, s24
	s_cbranch_vccnz .LBB38_245
; %bb.237:
	s_cmp_lt_i32 s23, 6
	s_mov_b32 s24, -1
	s_cbranch_scc1 .LBB38_243
; %bb.238:
	s_cmp_gt_i32 s23, 6
	s_cbranch_scc0 .LBB38_240
; %bb.239:
	s_wait_xcnt 0x0
	v_cndmask_b32_e64 v2, 0, 1, s18
	s_mov_b32 s24, 0
	s_delay_alu instid0(VALU_DEP_1)
	v_cvt_f64_u32_e32 v[2:3], v2
	global_store_b64 v[0:1], v[2:3], off
.LBB38_240:
	s_and_not1_b32 vcc_lo, exec_lo, s24
	s_cbranch_vccnz .LBB38_242
; %bb.241:
	s_wait_xcnt 0x0
	v_cndmask_b32_e64 v2, 0, 1.0, s18
	global_store_b32 v[0:1], v2, off
.LBB38_242:
	s_mov_b32 s24, 0
.LBB38_243:
	s_delay_alu instid0(SALU_CYCLE_1)
	s_and_not1_b32 vcc_lo, exec_lo, s24
	s_cbranch_vccnz .LBB38_245
; %bb.244:
	s_wait_xcnt 0x0
	v_cndmask_b32_e64 v2, 0, 1.0, s18
	s_delay_alu instid0(VALU_DEP_1)
	v_cvt_f16_f32_e32 v2, v2
	global_store_b16 v[0:1], v2, off
.LBB38_245:
	s_mov_b32 s24, 0
.LBB38_246:
	s_delay_alu instid0(SALU_CYCLE_1)
	s_and_not1_b32 vcc_lo, exec_lo, s24
	s_cbranch_vccnz .LBB38_262
; %bb.247:
	s_cmp_lt_i32 s23, 2
	s_mov_b32 s24, -1
	s_cbranch_scc1 .LBB38_257
; %bb.248:
	s_cmp_lt_i32 s23, 3
	s_cbranch_scc1 .LBB38_254
; %bb.249:
	s_cmp_gt_i32 s23, 3
	s_cbranch_scc0 .LBB38_251
; %bb.250:
	s_mov_b32 s24, 0
	s_wait_xcnt 0x0
	v_cndmask_b32_e64 v2, 0, 1, s18
	v_mov_b32_e32 v3, s24
	global_store_b64 v[0:1], v[2:3], off
.LBB38_251:
	s_and_not1_b32 vcc_lo, exec_lo, s24
	s_cbranch_vccnz .LBB38_253
; %bb.252:
	s_wait_xcnt 0x0
	v_cndmask_b32_e64 v2, 0, 1, s18
	global_store_b32 v[0:1], v2, off
.LBB38_253:
	s_mov_b32 s24, 0
.LBB38_254:
	s_delay_alu instid0(SALU_CYCLE_1)
	s_and_not1_b32 vcc_lo, exec_lo, s24
	s_cbranch_vccnz .LBB38_256
; %bb.255:
	s_wait_xcnt 0x0
	v_cndmask_b32_e64 v2, 0, 1, s18
	global_store_b16 v[0:1], v2, off
.LBB38_256:
	s_mov_b32 s24, 0
.LBB38_257:
	s_delay_alu instid0(SALU_CYCLE_1)
	s_and_not1_b32 vcc_lo, exec_lo, s24
	s_cbranch_vccnz .LBB38_262
; %bb.258:
	s_wait_xcnt 0x0
	v_cndmask_b32_e64 v2, 0, 1, s18
	s_cmp_gt_i32 s23, 0
	s_mov_b32 s18, -1
	s_cbranch_scc0 .LBB38_260
; %bb.259:
	s_mov_b32 s18, 0
	global_store_b8 v[0:1], v2, off
.LBB38_260:
	s_and_not1_b32 vcc_lo, exec_lo, s18
	s_cbranch_vccnz .LBB38_262
; %bb.261:
	global_store_b8 v[0:1], v2, off
.LBB38_262:
	s_mov_b32 s25, -1
.LBB38_263:
	s_delay_alu instid0(SALU_CYCLE_1)
	s_and_not1_b32 vcc_lo, exec_lo, s25
	s_cbranch_vccnz .LBB38_372
; %bb.264:
	v_add_nc_u32_e32 v6, 0x80, v6
	s_mov_b32 s23, -1
	s_branch .LBB38_373
.LBB38_265:
	s_mov_b32 s19, -1
                                        ; implicit-def: $vgpr3
.LBB38_266:
	s_mov_b32 s24, 0
.LBB38_267:
	s_delay_alu instid0(SALU_CYCLE_1)
	s_and_b32 vcc_lo, exec_lo, s24
	s_cbranch_vccz .LBB38_271
; %bb.268:
	s_cmp_eq_u32 s18, 29
	s_cbranch_scc0 .LBB38_270
; %bb.269:
	global_load_b32 v3, v[0:1], off
	s_mov_b32 s23, -1
	s_mov_b32 s19, 0
	s_branch .LBB38_271
.LBB38_270:
	s_mov_b32 s19, -1
                                        ; implicit-def: $vgpr3
.LBB38_271:
	s_mov_b32 s24, 0
.LBB38_272:
	s_delay_alu instid0(SALU_CYCLE_1)
	s_and_b32 vcc_lo, exec_lo, s24
	s_cbranch_vccz .LBB38_288
; %bb.273:
	s_cmp_lt_i32 s18, 27
	s_cbranch_scc1 .LBB38_276
; %bb.274:
	s_cmp_gt_i32 s18, 27
	s_cbranch_scc0 .LBB38_277
; %bb.275:
	s_wait_loadcnt 0x0
	global_load_b32 v3, v[0:1], off
	s_mov_b32 s23, 0
	s_branch .LBB38_278
.LBB38_276:
	s_mov_b32 s23, -1
                                        ; implicit-def: $vgpr3
	s_branch .LBB38_281
.LBB38_277:
	s_mov_b32 s23, -1
                                        ; implicit-def: $vgpr3
.LBB38_278:
	s_delay_alu instid0(SALU_CYCLE_1)
	s_and_not1_b32 vcc_lo, exec_lo, s23
	s_cbranch_vccnz .LBB38_280
; %bb.279:
	s_wait_loadcnt 0x0
	global_load_u16 v3, v[0:1], off
.LBB38_280:
	s_mov_b32 s23, 0
.LBB38_281:
	s_delay_alu instid0(SALU_CYCLE_1)
	s_and_not1_b32 vcc_lo, exec_lo, s23
	s_cbranch_vccnz .LBB38_287
; %bb.282:
	global_load_u8 v4, v[0:1], off
	s_mov_b32 s24, 0
	s_mov_b32 s23, exec_lo
	s_wait_loadcnt 0x0
	v_cmpx_lt_i16_e32 0x7f, v4
	s_xor_b32 s23, exec_lo, s23
	s_cbranch_execz .LBB38_299
; %bb.283:
	v_cmp_ne_u16_e32 vcc_lo, 0x80, v4
	s_and_b32 s24, vcc_lo, exec_lo
	s_and_not1_saveexec_b32 s23, s23
	s_cbranch_execnz .LBB38_300
.LBB38_284:
	s_or_b32 exec_lo, exec_lo, s23
	v_mov_b32_e32 v3, 0
	s_and_saveexec_b32 s23, s24
	s_cbranch_execz .LBB38_286
.LBB38_285:
	v_and_b32_e32 v3, 0xffff, v4
	s_delay_alu instid0(VALU_DEP_1) | instskip(SKIP_1) | instid1(VALU_DEP_2)
	v_dual_lshlrev_b32 v4, 24, v4 :: v_dual_bitop2_b32 v5, 7, v3 bitop3:0x40
	v_bfe_u32 v9, v3, 3, 4
	v_and_b32_e32 v4, 0x80000000, v4
	s_delay_alu instid0(VALU_DEP_3) | instskip(NEXT) | instid1(VALU_DEP_3)
	v_clz_i32_u32_e32 v7, v5
	v_cmp_eq_u32_e32 vcc_lo, 0, v9
	s_delay_alu instid0(VALU_DEP_2) | instskip(NEXT) | instid1(VALU_DEP_1)
	v_min_u32_e32 v7, 32, v7
	v_subrev_nc_u32_e32 v8, 28, v7
	v_sub_nc_u32_e32 v7, 29, v7
	s_delay_alu instid0(VALU_DEP_2) | instskip(NEXT) | instid1(VALU_DEP_2)
	v_lshlrev_b32_e32 v3, v8, v3
	v_cndmask_b32_e32 v7, v9, v7, vcc_lo
	s_delay_alu instid0(VALU_DEP_2) | instskip(NEXT) | instid1(VALU_DEP_1)
	v_and_b32_e32 v3, 7, v3
	v_cndmask_b32_e32 v3, v5, v3, vcc_lo
	s_delay_alu instid0(VALU_DEP_3) | instskip(NEXT) | instid1(VALU_DEP_2)
	v_lshl_add_u32 v5, v7, 23, 0x3b800000
	v_lshlrev_b32_e32 v3, 20, v3
	s_delay_alu instid0(VALU_DEP_1) | instskip(NEXT) | instid1(VALU_DEP_1)
	v_or3_b32 v3, v4, v5, v3
	v_cvt_i32_f32_e32 v3, v3
.LBB38_286:
	s_or_b32 exec_lo, exec_lo, s23
.LBB38_287:
	s_mov_b32 s23, -1
.LBB38_288:
	s_mov_b32 s24, 0
.LBB38_289:
	s_delay_alu instid0(SALU_CYCLE_1)
	s_and_b32 vcc_lo, exec_lo, s24
	s_cbranch_vccz .LBB38_322
; %bb.290:
	s_cmp_gt_i32 s18, 22
	s_cbranch_scc0 .LBB38_298
; %bb.291:
	s_cmp_lt_i32 s18, 24
	s_cbranch_scc1 .LBB38_301
; %bb.292:
	s_cmp_gt_i32 s18, 24
	s_cbranch_scc0 .LBB38_302
; %bb.293:
	global_load_u8 v4, v[0:1], off
	s_mov_b32 s24, 0
	s_mov_b32 s23, exec_lo
	s_wait_loadcnt 0x0
	v_cmpx_lt_i16_e32 0x7f, v4
	s_xor_b32 s23, exec_lo, s23
	s_cbranch_execz .LBB38_314
; %bb.294:
	v_cmp_ne_u16_e32 vcc_lo, 0x80, v4
	s_and_b32 s24, vcc_lo, exec_lo
	s_and_not1_saveexec_b32 s23, s23
	s_cbranch_execnz .LBB38_315
.LBB38_295:
	s_or_b32 exec_lo, exec_lo, s23
	v_mov_b32_e32 v3, 0
	s_and_saveexec_b32 s23, s24
	s_cbranch_execz .LBB38_297
.LBB38_296:
	v_and_b32_e32 v3, 0xffff, v4
	s_delay_alu instid0(VALU_DEP_1) | instskip(SKIP_1) | instid1(VALU_DEP_2)
	v_dual_lshlrev_b32 v4, 24, v4 :: v_dual_bitop2_b32 v5, 3, v3 bitop3:0x40
	v_bfe_u32 v9, v3, 2, 5
	v_and_b32_e32 v4, 0x80000000, v4
	s_delay_alu instid0(VALU_DEP_3) | instskip(NEXT) | instid1(VALU_DEP_3)
	v_clz_i32_u32_e32 v7, v5
	v_cmp_eq_u32_e32 vcc_lo, 0, v9
	s_delay_alu instid0(VALU_DEP_2) | instskip(NEXT) | instid1(VALU_DEP_1)
	v_min_u32_e32 v7, 32, v7
	v_subrev_nc_u32_e32 v8, 29, v7
	v_sub_nc_u32_e32 v7, 30, v7
	s_delay_alu instid0(VALU_DEP_2) | instskip(NEXT) | instid1(VALU_DEP_2)
	v_lshlrev_b32_e32 v3, v8, v3
	v_cndmask_b32_e32 v7, v9, v7, vcc_lo
	s_delay_alu instid0(VALU_DEP_2) | instskip(NEXT) | instid1(VALU_DEP_1)
	v_and_b32_e32 v3, 3, v3
	v_cndmask_b32_e32 v3, v5, v3, vcc_lo
	s_delay_alu instid0(VALU_DEP_3) | instskip(NEXT) | instid1(VALU_DEP_2)
	v_lshl_add_u32 v5, v7, 23, 0x37800000
	v_lshlrev_b32_e32 v3, 21, v3
	s_delay_alu instid0(VALU_DEP_1) | instskip(NEXT) | instid1(VALU_DEP_1)
	v_or3_b32 v3, v4, v5, v3
	v_cvt_i32_f32_e32 v3, v3
.LBB38_297:
	s_or_b32 exec_lo, exec_lo, s23
	s_mov_b32 s23, 0
	s_branch .LBB38_303
.LBB38_298:
	s_mov_b32 s24, -1
                                        ; implicit-def: $vgpr3
	s_branch .LBB38_309
.LBB38_299:
	s_and_not1_saveexec_b32 s23, s23
	s_cbranch_execz .LBB38_284
.LBB38_300:
	v_cmp_ne_u16_e32 vcc_lo, 0, v4
	s_and_not1_b32 s24, s24, exec_lo
	s_and_b32 s25, vcc_lo, exec_lo
	s_delay_alu instid0(SALU_CYCLE_1)
	s_or_b32 s24, s24, s25
	s_or_b32 exec_lo, exec_lo, s23
	v_mov_b32_e32 v3, 0
	s_and_saveexec_b32 s23, s24
	s_cbranch_execnz .LBB38_285
	s_branch .LBB38_286
.LBB38_301:
	s_mov_b32 s23, -1
                                        ; implicit-def: $vgpr3
	s_branch .LBB38_306
.LBB38_302:
	s_mov_b32 s23, -1
                                        ; implicit-def: $vgpr3
.LBB38_303:
	s_delay_alu instid0(SALU_CYCLE_1)
	s_and_b32 vcc_lo, exec_lo, s23
	s_cbranch_vccz .LBB38_305
; %bb.304:
	s_wait_loadcnt 0x0
	global_load_u8 v3, v[0:1], off
	s_wait_loadcnt 0x0
	v_lshlrev_b32_e32 v3, 24, v3
	s_delay_alu instid0(VALU_DEP_1) | instskip(NEXT) | instid1(VALU_DEP_1)
	v_and_b32_e32 v4, 0x7f000000, v3
	v_clz_i32_u32_e32 v5, v4
	v_add_nc_u32_e32 v8, 0x1000000, v4
	v_cmp_ne_u32_e32 vcc_lo, 0, v4
	s_delay_alu instid0(VALU_DEP_3) | instskip(NEXT) | instid1(VALU_DEP_1)
	v_min_u32_e32 v5, 32, v5
	v_sub_nc_u32_e64 v5, v5, 4 clamp
	s_delay_alu instid0(VALU_DEP_1) | instskip(NEXT) | instid1(VALU_DEP_1)
	v_dual_lshlrev_b32 v7, v5, v4 :: v_dual_lshlrev_b32 v5, 23, v5
	v_lshrrev_b32_e32 v7, 4, v7
	s_delay_alu instid0(VALU_DEP_1) | instskip(NEXT) | instid1(VALU_DEP_1)
	v_dual_sub_nc_u32 v5, v7, v5 :: v_dual_ashrrev_i32 v7, 8, v8
	v_add_nc_u32_e32 v5, 0x3c000000, v5
	s_delay_alu instid0(VALU_DEP_1) | instskip(NEXT) | instid1(VALU_DEP_1)
	v_and_or_b32 v5, 0x7f800000, v7, v5
	v_cndmask_b32_e32 v4, 0, v5, vcc_lo
	s_delay_alu instid0(VALU_DEP_1) | instskip(NEXT) | instid1(VALU_DEP_1)
	v_and_or_b32 v3, 0x80000000, v3, v4
	v_cvt_i32_f32_e32 v3, v3
.LBB38_305:
	s_mov_b32 s23, 0
.LBB38_306:
	s_delay_alu instid0(SALU_CYCLE_1)
	s_and_not1_b32 vcc_lo, exec_lo, s23
	s_cbranch_vccnz .LBB38_308
; %bb.307:
	s_wait_loadcnt 0x0
	global_load_u8 v3, v[0:1], off
	s_wait_loadcnt 0x0
	v_lshlrev_b32_e32 v4, 25, v3
	v_lshlrev_b16 v3, 8, v3
	s_delay_alu instid0(VALU_DEP_1) | instskip(NEXT) | instid1(VALU_DEP_3)
	v_and_or_b32 v7, 0x7f00, v3, 0.5
	v_lshrrev_b32_e32 v5, 4, v4
	v_bfe_i32 v3, v3, 0, 16
	s_delay_alu instid0(VALU_DEP_3) | instskip(NEXT) | instid1(VALU_DEP_3)
	v_add_f32_e32 v7, -0.5, v7
	v_or_b32_e32 v5, 0x70000000, v5
	s_delay_alu instid0(VALU_DEP_1) | instskip(SKIP_1) | instid1(VALU_DEP_2)
	v_mul_f32_e32 v5, 0x7800000, v5
	v_cmp_gt_u32_e32 vcc_lo, 0x8000000, v4
	v_cndmask_b32_e32 v4, v5, v7, vcc_lo
	s_delay_alu instid0(VALU_DEP_1) | instskip(NEXT) | instid1(VALU_DEP_1)
	v_and_or_b32 v3, 0x80000000, v3, v4
	v_cvt_i32_f32_e32 v3, v3
.LBB38_308:
	s_mov_b32 s24, 0
	s_mov_b32 s23, -1
.LBB38_309:
	s_and_not1_b32 vcc_lo, exec_lo, s24
	s_cbranch_vccnz .LBB38_322
; %bb.310:
	s_cmp_gt_i32 s18, 14
	s_cbranch_scc0 .LBB38_313
; %bb.311:
	s_cmp_eq_u32 s18, 15
	s_cbranch_scc0 .LBB38_316
; %bb.312:
	s_wait_loadcnt 0x0
	global_load_u16 v3, v[0:1], off
	s_mov_b32 s23, -1
	s_mov_b32 s19, 0
	s_wait_loadcnt 0x0
	v_lshlrev_b32_e32 v3, 16, v3
	s_delay_alu instid0(VALU_DEP_1)
	v_cvt_i32_f32_e32 v3, v3
	s_branch .LBB38_317
.LBB38_313:
	s_mov_b32 s24, -1
                                        ; implicit-def: $vgpr3
	s_branch .LBB38_318
.LBB38_314:
	s_and_not1_saveexec_b32 s23, s23
	s_cbranch_execz .LBB38_295
.LBB38_315:
	v_cmp_ne_u16_e32 vcc_lo, 0, v4
	s_and_not1_b32 s24, s24, exec_lo
	s_and_b32 s25, vcc_lo, exec_lo
	s_delay_alu instid0(SALU_CYCLE_1)
	s_or_b32 s24, s24, s25
	s_or_b32 exec_lo, exec_lo, s23
	v_mov_b32_e32 v3, 0
	s_and_saveexec_b32 s23, s24
	s_cbranch_execnz .LBB38_296
	s_branch .LBB38_297
.LBB38_316:
	s_mov_b32 s19, -1
                                        ; implicit-def: $vgpr3
.LBB38_317:
	s_mov_b32 s24, 0
.LBB38_318:
	s_delay_alu instid0(SALU_CYCLE_1)
	s_and_b32 vcc_lo, exec_lo, s24
	s_cbranch_vccz .LBB38_322
; %bb.319:
	s_cmp_eq_u32 s18, 11
	s_cbranch_scc0 .LBB38_321
; %bb.320:
	s_wait_loadcnt 0x0
	global_load_u8 v3, v[0:1], off
	s_mov_b32 s19, 0
	s_mov_b32 s23, -1
	s_wait_loadcnt 0x0
	v_cmp_ne_u16_e32 vcc_lo, 0, v3
	v_cndmask_b32_e64 v3, 0, 1, vcc_lo
	s_branch .LBB38_322
.LBB38_321:
	s_mov_b32 s19, -1
                                        ; implicit-def: $vgpr3
.LBB38_322:
	s_branch .LBB38_20
.LBB38_323:
	s_and_b32 s0, 0xffff, s0
	s_delay_alu instid0(SALU_CYCLE_1)
	s_cmp_lt_i32 s0, 5
	s_cbranch_scc1 .LBB38_328
; %bb.324:
	s_cmp_lt_i32 s0, 8
	s_cbranch_scc1 .LBB38_329
; %bb.325:
	;; [unrolled: 3-line block ×3, first 2 shown]
	s_cmp_gt_i32 s0, 9
	s_cbranch_scc0 .LBB38_331
; %bb.327:
	global_load_b64 v[4:5], v[0:1], off
	s_mov_b32 s18, 0
	s_wait_loadcnt 0x0
	v_cvt_i32_f64_e32 v3, v[4:5]
	s_branch .LBB38_332
.LBB38_328:
	s_mov_b32 s18, -1
                                        ; implicit-def: $vgpr3
	s_branch .LBB38_350
.LBB38_329:
	s_mov_b32 s18, -1
                                        ; implicit-def: $vgpr3
	s_branch .LBB38_338
.LBB38_330:
	s_mov_b32 s18, -1
                                        ; implicit-def: $vgpr3
	s_branch .LBB38_335
.LBB38_331:
	s_mov_b32 s18, -1
                                        ; implicit-def: $vgpr3
.LBB38_332:
	s_delay_alu instid0(SALU_CYCLE_1)
	s_and_not1_b32 vcc_lo, exec_lo, s18
	s_cbranch_vccnz .LBB38_334
; %bb.333:
	s_wait_loadcnt 0x0
	global_load_b32 v3, v[0:1], off
	s_wait_loadcnt 0x0
	v_cvt_i32_f32_e32 v3, v3
.LBB38_334:
	s_mov_b32 s18, 0
.LBB38_335:
	s_delay_alu instid0(SALU_CYCLE_1)
	s_and_not1_b32 vcc_lo, exec_lo, s18
	s_cbranch_vccnz .LBB38_337
; %bb.336:
	s_wait_loadcnt 0x0
	global_load_b32 v3, v[0:1], off
	s_wait_loadcnt 0x0
	v_cvt_f32_f16_e32 v3, v3
	s_delay_alu instid0(VALU_DEP_1)
	v_cvt_i32_f32_e32 v3, v3
.LBB38_337:
	s_mov_b32 s18, 0
.LBB38_338:
	s_delay_alu instid0(SALU_CYCLE_1)
	s_and_not1_b32 vcc_lo, exec_lo, s18
	s_cbranch_vccnz .LBB38_349
; %bb.339:
	s_cmp_lt_i32 s0, 6
	s_cbranch_scc1 .LBB38_342
; %bb.340:
	s_cmp_gt_i32 s0, 6
	s_cbranch_scc0 .LBB38_343
; %bb.341:
	global_load_b64 v[4:5], v[0:1], off
	s_mov_b32 s18, 0
	s_wait_loadcnt 0x0
	v_cvt_i32_f64_e32 v3, v[4:5]
	s_branch .LBB38_344
.LBB38_342:
	s_mov_b32 s18, -1
                                        ; implicit-def: $vgpr3
	s_branch .LBB38_347
.LBB38_343:
	s_mov_b32 s18, -1
                                        ; implicit-def: $vgpr3
.LBB38_344:
	s_delay_alu instid0(SALU_CYCLE_1)
	s_and_not1_b32 vcc_lo, exec_lo, s18
	s_cbranch_vccnz .LBB38_346
; %bb.345:
	s_wait_loadcnt 0x0
	global_load_b32 v3, v[0:1], off
	s_wait_loadcnt 0x0
	v_cvt_i32_f32_e32 v3, v3
.LBB38_346:
	s_mov_b32 s18, 0
.LBB38_347:
	s_delay_alu instid0(SALU_CYCLE_1)
	s_and_not1_b32 vcc_lo, exec_lo, s18
	s_cbranch_vccnz .LBB38_349
; %bb.348:
	s_wait_loadcnt 0x0
	global_load_u16 v3, v[0:1], off
	s_wait_loadcnt 0x0
	v_cvt_f32_f16_e32 v3, v3
	s_delay_alu instid0(VALU_DEP_1)
	v_cvt_i32_f32_e32 v3, v3
.LBB38_349:
	s_mov_b32 s18, 0
.LBB38_350:
	s_delay_alu instid0(SALU_CYCLE_1)
	s_and_not1_b32 vcc_lo, exec_lo, s18
	s_cbranch_vccnz .LBB38_370
; %bb.351:
	s_cmp_lt_i32 s0, 2
	s_cbranch_scc1 .LBB38_355
; %bb.352:
	s_cmp_lt_i32 s0, 3
	s_cbranch_scc1 .LBB38_356
; %bb.353:
	s_cmp_gt_i32 s0, 3
	s_cbranch_scc0 .LBB38_357
; %bb.354:
	s_wait_loadcnt 0x0
	global_load_b32 v3, v[0:1], off
	s_mov_b32 s18, 0
	s_branch .LBB38_358
.LBB38_355:
	s_mov_b32 s18, -1
                                        ; implicit-def: $vgpr3
	s_branch .LBB38_364
.LBB38_356:
	s_mov_b32 s18, -1
                                        ; implicit-def: $vgpr3
	s_branch .LBB38_361
.LBB38_357:
	s_mov_b32 s18, -1
                                        ; implicit-def: $vgpr3
.LBB38_358:
	s_delay_alu instid0(SALU_CYCLE_1)
	s_and_not1_b32 vcc_lo, exec_lo, s18
	s_cbranch_vccnz .LBB38_360
; %bb.359:
	s_wait_loadcnt 0x0
	global_load_b32 v3, v[0:1], off
.LBB38_360:
	s_mov_b32 s18, 0
.LBB38_361:
	s_delay_alu instid0(SALU_CYCLE_1)
	s_and_not1_b32 vcc_lo, exec_lo, s18
	s_cbranch_vccnz .LBB38_363
; %bb.362:
	s_wait_loadcnt 0x0
	global_load_i16 v3, v[0:1], off
.LBB38_363:
	s_mov_b32 s18, 0
.LBB38_364:
	s_delay_alu instid0(SALU_CYCLE_1)
	s_and_not1_b32 vcc_lo, exec_lo, s18
	s_cbranch_vccnz .LBB38_370
; %bb.365:
	s_cmp_gt_i32 s0, 0
	s_mov_b32 s0, 0
	s_cbranch_scc0 .LBB38_367
; %bb.366:
	s_wait_loadcnt 0x0
	global_load_i8 v3, v[0:1], off
	s_branch .LBB38_368
.LBB38_367:
	s_mov_b32 s0, -1
                                        ; implicit-def: $vgpr3
.LBB38_368:
	s_delay_alu instid0(SALU_CYCLE_1)
	s_and_not1_b32 vcc_lo, exec_lo, s0
	s_cbranch_vccnz .LBB38_370
; %bb.369:
	s_wait_loadcnt 0x0
	global_load_u8 v3, v[0:1], off
.LBB38_370:
	s_branch .LBB38_21
.LBB38_371:
	s_mov_b32 s0, 0
.LBB38_372:
	s_mov_b32 s23, 0
                                        ; implicit-def: $vgpr6
.LBB38_373:
	s_and_b32 s18, s0, exec_lo
	s_and_b32 s19, s19, exec_lo
	;; [unrolled: 1-line block ×3, first 2 shown]
	s_or_not1_b32 s25, s23, exec_lo
.LBB38_374:
	s_wait_xcnt 0x0
	s_or_b32 exec_lo, exec_lo, s21
	s_mov_b32 s24, 0
	s_mov_b32 s23, 0
                                        ; implicit-def: $sgpr0
                                        ; implicit-def: $vgpr0_vgpr1
                                        ; implicit-def: $vgpr2
	s_and_saveexec_b32 s21, s25
	s_cbranch_execz .LBB38_383
; %bb.375:
	s_mov_b32 s27, -1
	s_mov_b32 s22, s20
	s_mov_b32 s24, s19
	;; [unrolled: 1-line block ×3, first 2 shown]
	s_mov_b32 s25, exec_lo
	v_cmpx_gt_i32_e64 s17, v6
	s_cbranch_execz .LBB38_759
; %bb.376:
	v_mul_lo_u32 v0, v6, s9
	s_and_b32 s0, s14, 0xff
	s_delay_alu instid0(SALU_CYCLE_1) | instskip(NEXT) | instid1(VALU_DEP_1)
	s_cmp_lt_i32 s0, 11
	v_ashrrev_i32_e32 v1, 31, v0
	s_delay_alu instid0(VALU_DEP_1)
	v_add_nc_u64_e32 v[0:1], s[6:7], v[0:1]
	s_cbranch_scc1 .LBB38_386
; %bb.377:
	s_and_b32 s23, 0xffff, s0
	s_delay_alu instid0(SALU_CYCLE_1)
	s_cmp_gt_i32 s23, 25
	s_cbranch_scc0 .LBB38_395
; %bb.378:
	s_cmp_gt_i32 s23, 28
	s_cbranch_scc0 .LBB38_397
; %bb.379:
	;; [unrolled: 3-line block ×4, first 2 shown]
	s_cmp_eq_u32 s23, 46
	s_mov_b32 s26, 0
	s_cbranch_scc0 .LBB38_405
; %bb.382:
	s_wait_loadcnt 0x0
	global_load_b32 v2, v[0:1], off
	s_mov_b32 s24, -1
	s_mov_b32 s22, 0
	s_wait_loadcnt 0x0
	v_lshlrev_b32_e32 v2, 16, v2
	s_delay_alu instid0(VALU_DEP_1)
	v_cvt_i32_f32_e32 v2, v2
	s_branch .LBB38_407
.LBB38_383:
	s_or_b32 exec_lo, exec_lo, s21
	s_mov_b32 s17, 0
	s_and_saveexec_b32 s21, s20
	s_cbranch_execnz .LBB38_1223
.LBB38_384:
	s_or_b32 exec_lo, exec_lo, s21
	s_and_saveexec_b32 s20, s22
	s_delay_alu instid0(SALU_CYCLE_1)
	s_xor_b32 s20, exec_lo, s20
	s_cbranch_execz .LBB38_1224
.LBB38_385:
	s_wait_loadcnt 0x0
	global_load_u8 v2, v[0:1], off
	s_or_b32 s23, s23, exec_lo
	s_wait_loadcnt 0x0
	v_cmp_ne_u16_e32 vcc_lo, 0, v2
	v_cndmask_b32_e64 v2, 0, 1, vcc_lo
	s_wait_xcnt 0x0
	s_or_b32 exec_lo, exec_lo, s20
	s_and_saveexec_b32 s20, s24
	s_cbranch_execz .LBB38_1270
	s_branch .LBB38_1225
.LBB38_386:
	s_mov_b32 s24, 0
	s_mov_b32 s22, s20
                                        ; implicit-def: $vgpr2
	s_cbranch_execnz .LBB38_469
.LBB38_387:
	s_and_not1_b32 vcc_lo, exec_lo, s24
	s_cbranch_vccnz .LBB38_517
.LBB38_388:
	s_wait_xcnt 0x0
	v_mul_lo_u32 v0, v6, s10
	s_and_b32 s0, s1, 0xff
	s_delay_alu instid0(SALU_CYCLE_1) | instskip(NEXT) | instid1(VALU_DEP_1)
	s_cmp_lt_i32 s0, 11
	v_ashrrev_i32_e32 v1, 31, v0
	s_delay_alu instid0(VALU_DEP_1)
	v_add_nc_u64_e32 v[0:1], s[2:3], v[0:1]
	s_cbranch_scc1 .LBB38_396
; %bb.389:
	s_and_b32 s23, 0xffff, s0
	s_delay_alu instid0(SALU_CYCLE_1)
	s_cmp_gt_i32 s23, 25
	s_cbranch_scc0 .LBB38_398
; %bb.390:
	s_cmp_gt_i32 s23, 28
	s_cbranch_scc0 .LBB38_400
; %bb.391:
	;; [unrolled: 3-line block ×4, first 2 shown]
	s_cmp_eq_u32 s23, 46
	s_mov_b32 s27, 0
	s_cbranch_scc0 .LBB38_520
; %bb.394:
	s_wait_loadcnt 0x0
	global_load_b32 v3, v[0:1], off
	s_mov_b32 s26, -1
	s_mov_b32 s24, 0
	s_wait_loadcnt 0x0
	v_lshlrev_b32_e32 v3, 16, v3
	s_delay_alu instid0(VALU_DEP_1)
	v_cvt_i32_f32_e32 v3, v3
	s_branch .LBB38_522
.LBB38_395:
	s_mov_b32 s26, -1
	s_mov_b32 s24, 0
	s_mov_b32 s22, s20
                                        ; implicit-def: $vgpr2
	s_branch .LBB38_435
.LBB38_396:
	s_mov_b32 s23, -1
	s_mov_b32 s26, 0
	s_mov_b32 s24, s19
                                        ; implicit-def: $vgpr3
	s_branch .LBB38_583
.LBB38_397:
	s_mov_b32 s26, -1
	s_mov_b32 s24, 0
	s_mov_b32 s22, s20
                                        ; implicit-def: $vgpr2
	s_branch .LBB38_418
.LBB38_398:
	s_mov_b32 s27, -1
	s_mov_b32 s26, 0
	s_mov_b32 s24, s19
                                        ; implicit-def: $vgpr3
	s_branch .LBB38_549
.LBB38_399:
	s_mov_b32 s26, -1
	s_mov_b32 s24, 0
	s_mov_b32 s22, s20
                                        ; implicit-def: $vgpr2
	s_branch .LBB38_413
.LBB38_400:
	s_mov_b32 s27, -1
	s_mov_b32 s26, 0
	s_mov_b32 s24, s19
                                        ; implicit-def: $vgpr3
	s_branch .LBB38_532
.LBB38_401:
	s_mov_b32 s26, -1
	s_mov_b32 s24, 0
	s_mov_b32 s22, s20
	s_branch .LBB38_406
.LBB38_402:
	s_mov_b32 s27, -1
	s_mov_b32 s26, 0
	s_mov_b32 s24, s19
                                        ; implicit-def: $vgpr3
	s_branch .LBB38_527
.LBB38_403:
	s_and_not1_saveexec_b32 s27, s27
	s_cbranch_execz .LBB38_176
.LBB38_404:
	v_add_f32_e32 v2, 0x46000000, v3
	s_and_not1_b32 s26, s26, exec_lo
	s_delay_alu instid0(VALU_DEP_1) | instskip(NEXT) | instid1(VALU_DEP_1)
	v_and_b32_e32 v2, 0xff, v2
	v_cmp_ne_u32_e32 vcc_lo, 0, v2
	s_and_b32 s28, vcc_lo, exec_lo
	s_delay_alu instid0(SALU_CYCLE_1)
	s_or_b32 s26, s26, s28
	s_or_b32 exec_lo, exec_lo, s27
	v_mov_b32_e32 v4, 0
	s_and_saveexec_b32 s27, s26
	s_cbranch_execnz .LBB38_177
	s_branch .LBB38_178
.LBB38_405:
	s_mov_b32 s22, -1
	s_mov_b32 s24, 0
.LBB38_406:
                                        ; implicit-def: $vgpr2
.LBB38_407:
	s_and_b32 vcc_lo, exec_lo, s26
	s_cbranch_vccz .LBB38_412
; %bb.408:
	s_cmp_eq_u32 s23, 44
	s_cbranch_scc0 .LBB38_411
; %bb.409:
	s_wait_loadcnt 0x0
	global_load_u8 v2, v[0:1], off
	s_mov_b32 s22, 0
	s_mov_b32 s24, -1
	s_wait_loadcnt 0x0
	v_lshlrev_b32_e32 v3, 23, v2
	v_cmp_ne_u32_e32 vcc_lo, 0, v2
	s_delay_alu instid0(VALU_DEP_2) | instskip(NEXT) | instid1(VALU_DEP_1)
	v_cvt_i32_f32_e32 v3, v3
	v_cndmask_b32_e32 v2, 0, v3, vcc_lo
	s_branch .LBB38_412
.LBB38_410:
	s_mov_b32 s27, -1
	s_mov_b32 s26, 0
	s_mov_b32 s24, s19
	s_branch .LBB38_521
.LBB38_411:
	s_mov_b32 s22, -1
                                        ; implicit-def: $vgpr2
.LBB38_412:
	s_mov_b32 s26, 0
.LBB38_413:
	s_delay_alu instid0(SALU_CYCLE_1)
	s_and_b32 vcc_lo, exec_lo, s26
	s_cbranch_vccz .LBB38_417
; %bb.414:
	s_cmp_eq_u32 s23, 29
	s_cbranch_scc0 .LBB38_416
; %bb.415:
	s_wait_loadcnt 0x0
	global_load_b32 v2, v[0:1], off
	s_mov_b32 s24, -1
	s_mov_b32 s22, 0
	s_branch .LBB38_417
.LBB38_416:
	s_mov_b32 s22, -1
                                        ; implicit-def: $vgpr2
.LBB38_417:
	s_mov_b32 s26, 0
.LBB38_418:
	s_delay_alu instid0(SALU_CYCLE_1)
	s_and_b32 vcc_lo, exec_lo, s26
	s_cbranch_vccz .LBB38_434
; %bb.419:
	s_cmp_lt_i32 s23, 27
	s_cbranch_scc1 .LBB38_422
; %bb.420:
	s_cmp_gt_i32 s23, 27
	s_cbranch_scc0 .LBB38_423
; %bb.421:
	s_wait_loadcnt 0x0
	global_load_b32 v2, v[0:1], off
	s_mov_b32 s24, 0
	s_branch .LBB38_424
.LBB38_422:
	s_mov_b32 s24, -1
                                        ; implicit-def: $vgpr2
	s_branch .LBB38_427
.LBB38_423:
	s_mov_b32 s24, -1
                                        ; implicit-def: $vgpr2
.LBB38_424:
	s_delay_alu instid0(SALU_CYCLE_1)
	s_and_not1_b32 vcc_lo, exec_lo, s24
	s_cbranch_vccnz .LBB38_426
; %bb.425:
	s_wait_loadcnt 0x0
	global_load_u16 v2, v[0:1], off
.LBB38_426:
	s_mov_b32 s24, 0
.LBB38_427:
	s_delay_alu instid0(SALU_CYCLE_1)
	s_and_not1_b32 vcc_lo, exec_lo, s24
	s_cbranch_vccnz .LBB38_433
; %bb.428:
	s_wait_loadcnt 0x0
	global_load_u8 v3, v[0:1], off
	s_mov_b32 s26, 0
	s_mov_b32 s24, exec_lo
	s_wait_loadcnt 0x0
	v_cmpx_lt_i16_e32 0x7f, v3
	s_xor_b32 s24, exec_lo, s24
	s_cbranch_execz .LBB38_445
; %bb.429:
	v_cmp_ne_u16_e32 vcc_lo, 0x80, v3
	s_and_b32 s26, vcc_lo, exec_lo
	s_and_not1_saveexec_b32 s24, s24
	s_cbranch_execnz .LBB38_446
.LBB38_430:
	s_or_b32 exec_lo, exec_lo, s24
	v_mov_b32_e32 v2, 0
	s_and_saveexec_b32 s24, s26
	s_cbranch_execz .LBB38_432
.LBB38_431:
	v_and_b32_e32 v2, 0xffff, v3
	s_delay_alu instid0(VALU_DEP_1) | instskip(SKIP_1) | instid1(VALU_DEP_2)
	v_and_b32_e32 v4, 7, v2
	v_bfe_u32 v8, v2, 3, 4
	v_clz_i32_u32_e32 v5, v4
	s_delay_alu instid0(VALU_DEP_2) | instskip(NEXT) | instid1(VALU_DEP_2)
	v_cmp_eq_u32_e32 vcc_lo, 0, v8
	v_min_u32_e32 v5, 32, v5
	s_delay_alu instid0(VALU_DEP_1) | instskip(NEXT) | instid1(VALU_DEP_1)
	v_subrev_nc_u32_e32 v7, 28, v5
	v_dual_lshlrev_b32 v2, v7, v2 :: v_dual_sub_nc_u32 v5, 29, v5
	s_delay_alu instid0(VALU_DEP_1) | instskip(NEXT) | instid1(VALU_DEP_2)
	v_dual_lshlrev_b32 v3, 24, v3 :: v_dual_bitop2_b32 v2, 7, v2 bitop3:0x40
	v_cndmask_b32_e32 v5, v8, v5, vcc_lo
	s_delay_alu instid0(VALU_DEP_2) | instskip(NEXT) | instid1(VALU_DEP_3)
	v_cndmask_b32_e32 v2, v4, v2, vcc_lo
	v_and_b32_e32 v3, 0x80000000, v3
	s_delay_alu instid0(VALU_DEP_3) | instskip(NEXT) | instid1(VALU_DEP_3)
	v_lshl_add_u32 v4, v5, 23, 0x3b800000
	v_lshlrev_b32_e32 v2, 20, v2
	s_delay_alu instid0(VALU_DEP_1) | instskip(NEXT) | instid1(VALU_DEP_1)
	v_or3_b32 v2, v3, v4, v2
	v_cvt_i32_f32_e32 v2, v2
.LBB38_432:
	s_or_b32 exec_lo, exec_lo, s24
.LBB38_433:
	s_mov_b32 s24, -1
.LBB38_434:
	s_mov_b32 s26, 0
.LBB38_435:
	s_delay_alu instid0(SALU_CYCLE_1)
	s_and_b32 vcc_lo, exec_lo, s26
	s_cbranch_vccz .LBB38_468
; %bb.436:
	s_cmp_gt_i32 s23, 22
	s_cbranch_scc0 .LBB38_444
; %bb.437:
	s_cmp_lt_i32 s23, 24
	s_cbranch_scc1 .LBB38_447
; %bb.438:
	s_cmp_gt_i32 s23, 24
	s_cbranch_scc0 .LBB38_448
; %bb.439:
	s_wait_loadcnt 0x0
	global_load_u8 v3, v[0:1], off
	s_mov_b32 s26, 0
	s_mov_b32 s24, exec_lo
	s_wait_loadcnt 0x0
	v_cmpx_lt_i16_e32 0x7f, v3
	s_xor_b32 s24, exec_lo, s24
	s_cbranch_execz .LBB38_460
; %bb.440:
	v_cmp_ne_u16_e32 vcc_lo, 0x80, v3
	s_and_b32 s26, vcc_lo, exec_lo
	s_and_not1_saveexec_b32 s24, s24
	s_cbranch_execnz .LBB38_461
.LBB38_441:
	s_or_b32 exec_lo, exec_lo, s24
	v_mov_b32_e32 v2, 0
	s_and_saveexec_b32 s24, s26
	s_cbranch_execz .LBB38_443
.LBB38_442:
	v_and_b32_e32 v2, 0xffff, v3
	s_delay_alu instid0(VALU_DEP_1) | instskip(SKIP_1) | instid1(VALU_DEP_2)
	v_and_b32_e32 v4, 3, v2
	v_bfe_u32 v8, v2, 2, 5
	v_clz_i32_u32_e32 v5, v4
	s_delay_alu instid0(VALU_DEP_2) | instskip(NEXT) | instid1(VALU_DEP_2)
	v_cmp_eq_u32_e32 vcc_lo, 0, v8
	v_min_u32_e32 v5, 32, v5
	s_delay_alu instid0(VALU_DEP_1) | instskip(NEXT) | instid1(VALU_DEP_1)
	v_subrev_nc_u32_e32 v7, 29, v5
	v_dual_lshlrev_b32 v2, v7, v2 :: v_dual_sub_nc_u32 v5, 30, v5
	s_delay_alu instid0(VALU_DEP_1) | instskip(NEXT) | instid1(VALU_DEP_2)
	v_dual_lshlrev_b32 v3, 24, v3 :: v_dual_bitop2_b32 v2, 3, v2 bitop3:0x40
	v_cndmask_b32_e32 v5, v8, v5, vcc_lo
	s_delay_alu instid0(VALU_DEP_2) | instskip(NEXT) | instid1(VALU_DEP_3)
	v_cndmask_b32_e32 v2, v4, v2, vcc_lo
	v_and_b32_e32 v3, 0x80000000, v3
	s_delay_alu instid0(VALU_DEP_3) | instskip(NEXT) | instid1(VALU_DEP_3)
	v_lshl_add_u32 v4, v5, 23, 0x37800000
	v_lshlrev_b32_e32 v2, 21, v2
	s_delay_alu instid0(VALU_DEP_1) | instskip(NEXT) | instid1(VALU_DEP_1)
	v_or3_b32 v2, v3, v4, v2
	v_cvt_i32_f32_e32 v2, v2
.LBB38_443:
	s_or_b32 exec_lo, exec_lo, s24
	s_mov_b32 s24, 0
	s_branch .LBB38_449
.LBB38_444:
	s_mov_b32 s26, -1
                                        ; implicit-def: $vgpr2
	s_branch .LBB38_455
.LBB38_445:
	s_and_not1_saveexec_b32 s24, s24
	s_cbranch_execz .LBB38_430
.LBB38_446:
	v_cmp_ne_u16_e32 vcc_lo, 0, v3
	s_and_not1_b32 s26, s26, exec_lo
	s_and_b32 s27, vcc_lo, exec_lo
	s_delay_alu instid0(SALU_CYCLE_1)
	s_or_b32 s26, s26, s27
	s_or_b32 exec_lo, exec_lo, s24
	v_mov_b32_e32 v2, 0
	s_and_saveexec_b32 s24, s26
	s_cbranch_execnz .LBB38_431
	s_branch .LBB38_432
.LBB38_447:
	s_mov_b32 s24, -1
                                        ; implicit-def: $vgpr2
	s_branch .LBB38_452
.LBB38_448:
	s_mov_b32 s24, -1
                                        ; implicit-def: $vgpr2
.LBB38_449:
	s_delay_alu instid0(SALU_CYCLE_1)
	s_and_b32 vcc_lo, exec_lo, s24
	s_cbranch_vccz .LBB38_451
; %bb.450:
	s_wait_loadcnt 0x0
	global_load_u8 v2, v[0:1], off
	s_wait_loadcnt 0x0
	v_lshlrev_b32_e32 v2, 24, v2
	s_delay_alu instid0(VALU_DEP_1) | instskip(NEXT) | instid1(VALU_DEP_1)
	v_and_b32_e32 v3, 0x7f000000, v2
	v_clz_i32_u32_e32 v4, v3
	v_add_nc_u32_e32 v7, 0x1000000, v3
	v_cmp_ne_u32_e32 vcc_lo, 0, v3
	s_delay_alu instid0(VALU_DEP_3) | instskip(NEXT) | instid1(VALU_DEP_1)
	v_min_u32_e32 v4, 32, v4
	v_sub_nc_u32_e64 v4, v4, 4 clamp
	s_delay_alu instid0(VALU_DEP_1) | instskip(NEXT) | instid1(VALU_DEP_1)
	v_dual_lshlrev_b32 v5, v4, v3 :: v_dual_lshlrev_b32 v4, 23, v4
	v_lshrrev_b32_e32 v5, 4, v5
	s_delay_alu instid0(VALU_DEP_1) | instskip(NEXT) | instid1(VALU_DEP_1)
	v_dual_sub_nc_u32 v4, v5, v4 :: v_dual_ashrrev_i32 v5, 8, v7
	v_add_nc_u32_e32 v4, 0x3c000000, v4
	s_delay_alu instid0(VALU_DEP_1) | instskip(NEXT) | instid1(VALU_DEP_1)
	v_and_or_b32 v4, 0x7f800000, v5, v4
	v_cndmask_b32_e32 v3, 0, v4, vcc_lo
	s_delay_alu instid0(VALU_DEP_1) | instskip(NEXT) | instid1(VALU_DEP_1)
	v_and_or_b32 v2, 0x80000000, v2, v3
	v_cvt_i32_f32_e32 v2, v2
.LBB38_451:
	s_mov_b32 s24, 0
.LBB38_452:
	s_delay_alu instid0(SALU_CYCLE_1)
	s_and_not1_b32 vcc_lo, exec_lo, s24
	s_cbranch_vccnz .LBB38_454
; %bb.453:
	s_wait_loadcnt 0x0
	global_load_u8 v2, v[0:1], off
	s_wait_loadcnt 0x0
	v_lshlrev_b32_e32 v3, 25, v2
	v_lshlrev_b16 v2, 8, v2
	s_delay_alu instid0(VALU_DEP_1) | instskip(SKIP_1) | instid1(VALU_DEP_2)
	v_and_or_b32 v5, 0x7f00, v2, 0.5
	v_bfe_i32 v2, v2, 0, 16
	v_dual_add_f32 v5, -0.5, v5 :: v_dual_lshrrev_b32 v4, 4, v3
	v_cmp_gt_u32_e32 vcc_lo, 0x8000000, v3
	s_delay_alu instid0(VALU_DEP_2) | instskip(NEXT) | instid1(VALU_DEP_1)
	v_or_b32_e32 v4, 0x70000000, v4
	v_mul_f32_e32 v4, 0x7800000, v4
	s_delay_alu instid0(VALU_DEP_1) | instskip(NEXT) | instid1(VALU_DEP_1)
	v_cndmask_b32_e32 v3, v4, v5, vcc_lo
	v_and_or_b32 v2, 0x80000000, v2, v3
	s_delay_alu instid0(VALU_DEP_1)
	v_cvt_i32_f32_e32 v2, v2
.LBB38_454:
	s_mov_b32 s26, 0
	s_mov_b32 s24, -1
.LBB38_455:
	s_and_not1_b32 vcc_lo, exec_lo, s26
	s_cbranch_vccnz .LBB38_468
; %bb.456:
	s_cmp_gt_i32 s23, 14
	s_cbranch_scc0 .LBB38_459
; %bb.457:
	s_cmp_eq_u32 s23, 15
	s_cbranch_scc0 .LBB38_462
; %bb.458:
	s_wait_loadcnt 0x0
	global_load_u16 v2, v[0:1], off
	s_mov_b32 s24, -1
	s_mov_b32 s22, 0
	s_wait_loadcnt 0x0
	v_lshlrev_b32_e32 v2, 16, v2
	s_delay_alu instid0(VALU_DEP_1)
	v_cvt_i32_f32_e32 v2, v2
	s_branch .LBB38_463
.LBB38_459:
	s_mov_b32 s26, -1
                                        ; implicit-def: $vgpr2
	s_branch .LBB38_464
.LBB38_460:
	s_and_not1_saveexec_b32 s24, s24
	s_cbranch_execz .LBB38_441
.LBB38_461:
	v_cmp_ne_u16_e32 vcc_lo, 0, v3
	s_and_not1_b32 s26, s26, exec_lo
	s_and_b32 s27, vcc_lo, exec_lo
	s_delay_alu instid0(SALU_CYCLE_1)
	s_or_b32 s26, s26, s27
	s_or_b32 exec_lo, exec_lo, s24
	v_mov_b32_e32 v2, 0
	s_and_saveexec_b32 s24, s26
	s_cbranch_execnz .LBB38_442
	s_branch .LBB38_443
.LBB38_462:
	s_mov_b32 s22, -1
                                        ; implicit-def: $vgpr2
.LBB38_463:
	s_mov_b32 s26, 0
.LBB38_464:
	s_delay_alu instid0(SALU_CYCLE_1)
	s_and_b32 vcc_lo, exec_lo, s26
	s_cbranch_vccz .LBB38_468
; %bb.465:
	s_cmp_eq_u32 s23, 11
	s_cbranch_scc0 .LBB38_467
; %bb.466:
	s_wait_loadcnt 0x0
	global_load_u8 v2, v[0:1], off
	s_mov_b32 s22, 0
	s_mov_b32 s24, -1
	s_wait_loadcnt 0x0
	v_cmp_ne_u16_e32 vcc_lo, 0, v2
	v_cndmask_b32_e64 v2, 0, 1, vcc_lo
	s_branch .LBB38_468
.LBB38_467:
	s_mov_b32 s22, -1
                                        ; implicit-def: $vgpr2
.LBB38_468:
	s_branch .LBB38_387
.LBB38_469:
	s_and_b32 s0, 0xffff, s0
	s_delay_alu instid0(SALU_CYCLE_1)
	s_cmp_lt_i32 s0, 5
	s_cbranch_scc1 .LBB38_474
; %bb.470:
	s_cmp_lt_i32 s0, 8
	s_cbranch_scc1 .LBB38_475
; %bb.471:
	;; [unrolled: 3-line block ×3, first 2 shown]
	s_cmp_gt_i32 s0, 9
	s_cbranch_scc0 .LBB38_477
; %bb.473:
	s_wait_loadcnt 0x0
	global_load_b64 v[2:3], v[0:1], off
	s_mov_b32 s23, 0
	s_wait_loadcnt 0x0
	v_cvt_i32_f64_e32 v2, v[2:3]
	s_branch .LBB38_478
.LBB38_474:
	s_mov_b32 s23, -1
                                        ; implicit-def: $vgpr2
	s_branch .LBB38_496
.LBB38_475:
	s_mov_b32 s23, -1
                                        ; implicit-def: $vgpr2
	s_branch .LBB38_484
.LBB38_476:
	s_mov_b32 s23, -1
                                        ; implicit-def: $vgpr2
	s_branch .LBB38_481
.LBB38_477:
	s_mov_b32 s23, -1
                                        ; implicit-def: $vgpr2
.LBB38_478:
	s_delay_alu instid0(SALU_CYCLE_1)
	s_and_not1_b32 vcc_lo, exec_lo, s23
	s_cbranch_vccnz .LBB38_480
; %bb.479:
	s_wait_loadcnt 0x0
	global_load_b32 v2, v[0:1], off
	s_wait_loadcnt 0x0
	v_cvt_i32_f32_e32 v2, v2
.LBB38_480:
	s_mov_b32 s23, 0
.LBB38_481:
	s_delay_alu instid0(SALU_CYCLE_1)
	s_and_not1_b32 vcc_lo, exec_lo, s23
	s_cbranch_vccnz .LBB38_483
; %bb.482:
	s_wait_loadcnt 0x0
	global_load_b32 v2, v[0:1], off
	s_wait_loadcnt 0x0
	v_cvt_f32_f16_e32 v2, v2
	s_delay_alu instid0(VALU_DEP_1)
	v_cvt_i32_f32_e32 v2, v2
.LBB38_483:
	s_mov_b32 s23, 0
.LBB38_484:
	s_delay_alu instid0(SALU_CYCLE_1)
	s_and_not1_b32 vcc_lo, exec_lo, s23
	s_cbranch_vccnz .LBB38_495
; %bb.485:
	s_cmp_lt_i32 s0, 6
	s_cbranch_scc1 .LBB38_488
; %bb.486:
	s_cmp_gt_i32 s0, 6
	s_cbranch_scc0 .LBB38_489
; %bb.487:
	s_wait_loadcnt 0x0
	global_load_b64 v[2:3], v[0:1], off
	s_mov_b32 s23, 0
	s_wait_loadcnt 0x0
	v_cvt_i32_f64_e32 v2, v[2:3]
	s_branch .LBB38_490
.LBB38_488:
	s_mov_b32 s23, -1
                                        ; implicit-def: $vgpr2
	s_branch .LBB38_493
.LBB38_489:
	s_mov_b32 s23, -1
                                        ; implicit-def: $vgpr2
.LBB38_490:
	s_delay_alu instid0(SALU_CYCLE_1)
	s_and_not1_b32 vcc_lo, exec_lo, s23
	s_cbranch_vccnz .LBB38_492
; %bb.491:
	s_wait_loadcnt 0x0
	global_load_b32 v2, v[0:1], off
	s_wait_loadcnt 0x0
	v_cvt_i32_f32_e32 v2, v2
.LBB38_492:
	s_mov_b32 s23, 0
.LBB38_493:
	s_delay_alu instid0(SALU_CYCLE_1)
	s_and_not1_b32 vcc_lo, exec_lo, s23
	s_cbranch_vccnz .LBB38_495
; %bb.494:
	s_wait_loadcnt 0x0
	global_load_u16 v2, v[0:1], off
	s_wait_loadcnt 0x0
	v_cvt_f32_f16_e32 v2, v2
	s_delay_alu instid0(VALU_DEP_1)
	v_cvt_i32_f32_e32 v2, v2
.LBB38_495:
	s_mov_b32 s23, 0
.LBB38_496:
	s_delay_alu instid0(SALU_CYCLE_1)
	s_and_not1_b32 vcc_lo, exec_lo, s23
	s_cbranch_vccnz .LBB38_516
; %bb.497:
	s_cmp_lt_i32 s0, 2
	s_cbranch_scc1 .LBB38_501
; %bb.498:
	s_cmp_lt_i32 s0, 3
	s_cbranch_scc1 .LBB38_502
; %bb.499:
	s_cmp_gt_i32 s0, 3
	s_cbranch_scc0 .LBB38_503
; %bb.500:
	s_wait_loadcnt 0x0
	global_load_b32 v2, v[0:1], off
	s_mov_b32 s23, 0
	s_branch .LBB38_504
.LBB38_501:
	s_mov_b32 s23, -1
                                        ; implicit-def: $vgpr2
	s_branch .LBB38_510
.LBB38_502:
	s_mov_b32 s23, -1
                                        ; implicit-def: $vgpr2
	s_branch .LBB38_507
.LBB38_503:
	s_mov_b32 s23, -1
                                        ; implicit-def: $vgpr2
.LBB38_504:
	s_delay_alu instid0(SALU_CYCLE_1)
	s_and_not1_b32 vcc_lo, exec_lo, s23
	s_cbranch_vccnz .LBB38_506
; %bb.505:
	s_wait_loadcnt 0x0
	global_load_b32 v2, v[0:1], off
.LBB38_506:
	s_mov_b32 s23, 0
.LBB38_507:
	s_delay_alu instid0(SALU_CYCLE_1)
	s_and_not1_b32 vcc_lo, exec_lo, s23
	s_cbranch_vccnz .LBB38_509
; %bb.508:
	s_wait_loadcnt 0x0
	global_load_i16 v2, v[0:1], off
.LBB38_509:
	s_mov_b32 s23, 0
.LBB38_510:
	s_delay_alu instid0(SALU_CYCLE_1)
	s_and_not1_b32 vcc_lo, exec_lo, s23
	s_cbranch_vccnz .LBB38_516
; %bb.511:
	s_cmp_gt_i32 s0, 0
	s_mov_b32 s0, 0
	s_cbranch_scc0 .LBB38_513
; %bb.512:
	s_wait_loadcnt 0x0
	global_load_i8 v2, v[0:1], off
	s_branch .LBB38_514
.LBB38_513:
	s_mov_b32 s0, -1
                                        ; implicit-def: $vgpr2
.LBB38_514:
	s_delay_alu instid0(SALU_CYCLE_1)
	s_and_not1_b32 vcc_lo, exec_lo, s0
	s_cbranch_vccnz .LBB38_516
; %bb.515:
	s_wait_loadcnt 0x0
	global_load_u8 v2, v[0:1], off
.LBB38_516:
	s_branch .LBB38_388
.LBB38_517:
	s_mov_b32 s26, 0
	s_mov_b32 s0, s18
	;; [unrolled: 1-line block ×3, first 2 shown]
	s_branch .LBB38_757
.LBB38_518:
	s_and_not1_saveexec_b32 s27, s27
	s_cbranch_execz .LBB38_189
.LBB38_519:
	v_add_f32_e32 v2, 0x42800000, v3
	s_and_not1_b32 s26, s26, exec_lo
	s_delay_alu instid0(VALU_DEP_1) | instskip(NEXT) | instid1(VALU_DEP_1)
	v_and_b32_e32 v2, 0xff, v2
	v_cmp_ne_u32_e32 vcc_lo, 0, v2
	s_and_b32 s28, vcc_lo, exec_lo
	s_delay_alu instid0(SALU_CYCLE_1)
	s_or_b32 s26, s26, s28
	s_or_b32 exec_lo, exec_lo, s27
	v_mov_b32_e32 v4, 0
	s_and_saveexec_b32 s27, s26
	s_cbranch_execnz .LBB38_190
	s_branch .LBB38_191
.LBB38_520:
	s_mov_b32 s24, -1
	s_mov_b32 s26, 0
.LBB38_521:
                                        ; implicit-def: $vgpr3
.LBB38_522:
	s_and_b32 vcc_lo, exec_lo, s27
	s_cbranch_vccz .LBB38_526
; %bb.523:
	s_cmp_eq_u32 s23, 44
	s_cbranch_scc0 .LBB38_525
; %bb.524:
	s_wait_loadcnt 0x0
	global_load_u8 v3, v[0:1], off
	s_mov_b32 s24, 0
	s_mov_b32 s26, -1
	s_wait_loadcnt 0x0
	v_lshlrev_b32_e32 v4, 23, v3
	v_cmp_ne_u32_e32 vcc_lo, 0, v3
	s_delay_alu instid0(VALU_DEP_2) | instskip(NEXT) | instid1(VALU_DEP_1)
	v_cvt_i32_f32_e32 v4, v4
	v_cndmask_b32_e32 v3, 0, v4, vcc_lo
	s_branch .LBB38_526
.LBB38_525:
	s_mov_b32 s24, -1
                                        ; implicit-def: $vgpr3
.LBB38_526:
	s_mov_b32 s27, 0
.LBB38_527:
	s_delay_alu instid0(SALU_CYCLE_1)
	s_and_b32 vcc_lo, exec_lo, s27
	s_cbranch_vccz .LBB38_531
; %bb.528:
	s_cmp_eq_u32 s23, 29
	s_cbranch_scc0 .LBB38_530
; %bb.529:
	s_wait_loadcnt 0x0
	global_load_b32 v3, v[0:1], off
	s_mov_b32 s26, -1
	s_mov_b32 s24, 0
	s_branch .LBB38_531
.LBB38_530:
	s_mov_b32 s24, -1
                                        ; implicit-def: $vgpr3
.LBB38_531:
	s_mov_b32 s27, 0
.LBB38_532:
	s_delay_alu instid0(SALU_CYCLE_1)
	s_and_b32 vcc_lo, exec_lo, s27
	s_cbranch_vccz .LBB38_548
; %bb.533:
	s_cmp_lt_i32 s23, 27
	s_cbranch_scc1 .LBB38_536
; %bb.534:
	s_cmp_gt_i32 s23, 27
	s_cbranch_scc0 .LBB38_537
; %bb.535:
	s_wait_loadcnt 0x0
	global_load_b32 v3, v[0:1], off
	s_mov_b32 s26, 0
	s_branch .LBB38_538
.LBB38_536:
	s_mov_b32 s26, -1
                                        ; implicit-def: $vgpr3
	s_branch .LBB38_541
.LBB38_537:
	s_mov_b32 s26, -1
                                        ; implicit-def: $vgpr3
.LBB38_538:
	s_delay_alu instid0(SALU_CYCLE_1)
	s_and_not1_b32 vcc_lo, exec_lo, s26
	s_cbranch_vccnz .LBB38_540
; %bb.539:
	s_wait_loadcnt 0x0
	global_load_u16 v3, v[0:1], off
.LBB38_540:
	s_mov_b32 s26, 0
.LBB38_541:
	s_delay_alu instid0(SALU_CYCLE_1)
	s_and_not1_b32 vcc_lo, exec_lo, s26
	s_cbranch_vccnz .LBB38_547
; %bb.542:
	global_load_u8 v4, v[0:1], off
	s_mov_b32 s27, 0
	s_mov_b32 s26, exec_lo
	s_wait_loadcnt 0x0
	v_cmpx_lt_i16_e32 0x7f, v4
	s_xor_b32 s26, exec_lo, s26
	s_cbranch_execz .LBB38_559
; %bb.543:
	v_cmp_ne_u16_e32 vcc_lo, 0x80, v4
	s_and_b32 s27, vcc_lo, exec_lo
	s_and_not1_saveexec_b32 s26, s26
	s_cbranch_execnz .LBB38_560
.LBB38_544:
	s_or_b32 exec_lo, exec_lo, s26
	v_mov_b32_e32 v3, 0
	s_and_saveexec_b32 s26, s27
	s_cbranch_execz .LBB38_546
.LBB38_545:
	v_and_b32_e32 v3, 0xffff, v4
	s_delay_alu instid0(VALU_DEP_1) | instskip(SKIP_1) | instid1(VALU_DEP_2)
	v_dual_lshlrev_b32 v4, 24, v4 :: v_dual_bitop2_b32 v5, 7, v3 bitop3:0x40
	v_bfe_u32 v9, v3, 3, 4
	v_and_b32_e32 v4, 0x80000000, v4
	s_delay_alu instid0(VALU_DEP_3) | instskip(NEXT) | instid1(VALU_DEP_3)
	v_clz_i32_u32_e32 v7, v5
	v_cmp_eq_u32_e32 vcc_lo, 0, v9
	s_delay_alu instid0(VALU_DEP_2) | instskip(NEXT) | instid1(VALU_DEP_1)
	v_min_u32_e32 v7, 32, v7
	v_subrev_nc_u32_e32 v8, 28, v7
	v_sub_nc_u32_e32 v7, 29, v7
	s_delay_alu instid0(VALU_DEP_2) | instskip(NEXT) | instid1(VALU_DEP_2)
	v_lshlrev_b32_e32 v3, v8, v3
	v_cndmask_b32_e32 v7, v9, v7, vcc_lo
	s_delay_alu instid0(VALU_DEP_2) | instskip(NEXT) | instid1(VALU_DEP_1)
	v_and_b32_e32 v3, 7, v3
	v_cndmask_b32_e32 v3, v5, v3, vcc_lo
	s_delay_alu instid0(VALU_DEP_3) | instskip(NEXT) | instid1(VALU_DEP_2)
	v_lshl_add_u32 v5, v7, 23, 0x3b800000
	v_lshlrev_b32_e32 v3, 20, v3
	s_delay_alu instid0(VALU_DEP_1) | instskip(NEXT) | instid1(VALU_DEP_1)
	v_or3_b32 v3, v4, v5, v3
	v_cvt_i32_f32_e32 v3, v3
.LBB38_546:
	s_or_b32 exec_lo, exec_lo, s26
.LBB38_547:
	s_mov_b32 s26, -1
.LBB38_548:
	s_mov_b32 s27, 0
.LBB38_549:
	s_delay_alu instid0(SALU_CYCLE_1)
	s_and_b32 vcc_lo, exec_lo, s27
	s_cbranch_vccz .LBB38_582
; %bb.550:
	s_cmp_gt_i32 s23, 22
	s_cbranch_scc0 .LBB38_558
; %bb.551:
	s_cmp_lt_i32 s23, 24
	s_cbranch_scc1 .LBB38_561
; %bb.552:
	s_cmp_gt_i32 s23, 24
	s_cbranch_scc0 .LBB38_562
; %bb.553:
	global_load_u8 v4, v[0:1], off
	s_mov_b32 s27, 0
	s_mov_b32 s26, exec_lo
	s_wait_loadcnt 0x0
	v_cmpx_lt_i16_e32 0x7f, v4
	s_xor_b32 s26, exec_lo, s26
	s_cbranch_execz .LBB38_574
; %bb.554:
	v_cmp_ne_u16_e32 vcc_lo, 0x80, v4
	s_and_b32 s27, vcc_lo, exec_lo
	s_and_not1_saveexec_b32 s26, s26
	s_cbranch_execnz .LBB38_575
.LBB38_555:
	s_or_b32 exec_lo, exec_lo, s26
	v_mov_b32_e32 v3, 0
	s_and_saveexec_b32 s26, s27
	s_cbranch_execz .LBB38_557
.LBB38_556:
	v_and_b32_e32 v3, 0xffff, v4
	s_delay_alu instid0(VALU_DEP_1) | instskip(SKIP_1) | instid1(VALU_DEP_2)
	v_dual_lshlrev_b32 v4, 24, v4 :: v_dual_bitop2_b32 v5, 3, v3 bitop3:0x40
	v_bfe_u32 v9, v3, 2, 5
	v_and_b32_e32 v4, 0x80000000, v4
	s_delay_alu instid0(VALU_DEP_3) | instskip(NEXT) | instid1(VALU_DEP_3)
	v_clz_i32_u32_e32 v7, v5
	v_cmp_eq_u32_e32 vcc_lo, 0, v9
	s_delay_alu instid0(VALU_DEP_2) | instskip(NEXT) | instid1(VALU_DEP_1)
	v_min_u32_e32 v7, 32, v7
	v_subrev_nc_u32_e32 v8, 29, v7
	v_sub_nc_u32_e32 v7, 30, v7
	s_delay_alu instid0(VALU_DEP_2) | instskip(NEXT) | instid1(VALU_DEP_2)
	v_lshlrev_b32_e32 v3, v8, v3
	v_cndmask_b32_e32 v7, v9, v7, vcc_lo
	s_delay_alu instid0(VALU_DEP_2) | instskip(NEXT) | instid1(VALU_DEP_1)
	v_and_b32_e32 v3, 3, v3
	v_cndmask_b32_e32 v3, v5, v3, vcc_lo
	s_delay_alu instid0(VALU_DEP_3) | instskip(NEXT) | instid1(VALU_DEP_2)
	v_lshl_add_u32 v5, v7, 23, 0x37800000
	v_lshlrev_b32_e32 v3, 21, v3
	s_delay_alu instid0(VALU_DEP_1) | instskip(NEXT) | instid1(VALU_DEP_1)
	v_or3_b32 v3, v4, v5, v3
	v_cvt_i32_f32_e32 v3, v3
.LBB38_557:
	s_or_b32 exec_lo, exec_lo, s26
	s_mov_b32 s26, 0
	s_branch .LBB38_563
.LBB38_558:
	s_mov_b32 s27, -1
                                        ; implicit-def: $vgpr3
	s_branch .LBB38_569
.LBB38_559:
	s_and_not1_saveexec_b32 s26, s26
	s_cbranch_execz .LBB38_544
.LBB38_560:
	v_cmp_ne_u16_e32 vcc_lo, 0, v4
	s_and_not1_b32 s27, s27, exec_lo
	s_and_b32 s28, vcc_lo, exec_lo
	s_delay_alu instid0(SALU_CYCLE_1)
	s_or_b32 s27, s27, s28
	s_or_b32 exec_lo, exec_lo, s26
	v_mov_b32_e32 v3, 0
	s_and_saveexec_b32 s26, s27
	s_cbranch_execnz .LBB38_545
	s_branch .LBB38_546
.LBB38_561:
	s_mov_b32 s26, -1
                                        ; implicit-def: $vgpr3
	s_branch .LBB38_566
.LBB38_562:
	s_mov_b32 s26, -1
                                        ; implicit-def: $vgpr3
.LBB38_563:
	s_delay_alu instid0(SALU_CYCLE_1)
	s_and_b32 vcc_lo, exec_lo, s26
	s_cbranch_vccz .LBB38_565
; %bb.564:
	s_wait_loadcnt 0x0
	global_load_u8 v3, v[0:1], off
	s_wait_loadcnt 0x0
	v_lshlrev_b32_e32 v3, 24, v3
	s_delay_alu instid0(VALU_DEP_1) | instskip(NEXT) | instid1(VALU_DEP_1)
	v_and_b32_e32 v4, 0x7f000000, v3
	v_clz_i32_u32_e32 v5, v4
	v_add_nc_u32_e32 v8, 0x1000000, v4
	v_cmp_ne_u32_e32 vcc_lo, 0, v4
	s_delay_alu instid0(VALU_DEP_3) | instskip(NEXT) | instid1(VALU_DEP_1)
	v_min_u32_e32 v5, 32, v5
	v_sub_nc_u32_e64 v5, v5, 4 clamp
	s_delay_alu instid0(VALU_DEP_1) | instskip(NEXT) | instid1(VALU_DEP_1)
	v_dual_lshlrev_b32 v7, v5, v4 :: v_dual_lshlrev_b32 v5, 23, v5
	v_lshrrev_b32_e32 v7, 4, v7
	s_delay_alu instid0(VALU_DEP_1) | instskip(NEXT) | instid1(VALU_DEP_1)
	v_dual_sub_nc_u32 v5, v7, v5 :: v_dual_ashrrev_i32 v7, 8, v8
	v_add_nc_u32_e32 v5, 0x3c000000, v5
	s_delay_alu instid0(VALU_DEP_1) | instskip(NEXT) | instid1(VALU_DEP_1)
	v_and_or_b32 v5, 0x7f800000, v7, v5
	v_cndmask_b32_e32 v4, 0, v5, vcc_lo
	s_delay_alu instid0(VALU_DEP_1) | instskip(NEXT) | instid1(VALU_DEP_1)
	v_and_or_b32 v3, 0x80000000, v3, v4
	v_cvt_i32_f32_e32 v3, v3
.LBB38_565:
	s_mov_b32 s26, 0
.LBB38_566:
	s_delay_alu instid0(SALU_CYCLE_1)
	s_and_not1_b32 vcc_lo, exec_lo, s26
	s_cbranch_vccnz .LBB38_568
; %bb.567:
	s_wait_loadcnt 0x0
	global_load_u8 v3, v[0:1], off
	s_wait_loadcnt 0x0
	v_lshlrev_b32_e32 v4, 25, v3
	v_lshlrev_b16 v3, 8, v3
	s_delay_alu instid0(VALU_DEP_1) | instskip(NEXT) | instid1(VALU_DEP_3)
	v_and_or_b32 v7, 0x7f00, v3, 0.5
	v_lshrrev_b32_e32 v5, 4, v4
	v_bfe_i32 v3, v3, 0, 16
	s_delay_alu instid0(VALU_DEP_3) | instskip(NEXT) | instid1(VALU_DEP_3)
	v_add_f32_e32 v7, -0.5, v7
	v_or_b32_e32 v5, 0x70000000, v5
	s_delay_alu instid0(VALU_DEP_1) | instskip(SKIP_1) | instid1(VALU_DEP_2)
	v_mul_f32_e32 v5, 0x7800000, v5
	v_cmp_gt_u32_e32 vcc_lo, 0x8000000, v4
	v_cndmask_b32_e32 v4, v5, v7, vcc_lo
	s_delay_alu instid0(VALU_DEP_1) | instskip(NEXT) | instid1(VALU_DEP_1)
	v_and_or_b32 v3, 0x80000000, v3, v4
	v_cvt_i32_f32_e32 v3, v3
.LBB38_568:
	s_mov_b32 s27, 0
	s_mov_b32 s26, -1
.LBB38_569:
	s_and_not1_b32 vcc_lo, exec_lo, s27
	s_cbranch_vccnz .LBB38_582
; %bb.570:
	s_cmp_gt_i32 s23, 14
	s_cbranch_scc0 .LBB38_573
; %bb.571:
	s_cmp_eq_u32 s23, 15
	s_cbranch_scc0 .LBB38_576
; %bb.572:
	s_wait_loadcnt 0x0
	global_load_u16 v3, v[0:1], off
	s_mov_b32 s26, -1
	s_mov_b32 s24, 0
	s_wait_loadcnt 0x0
	v_lshlrev_b32_e32 v3, 16, v3
	s_delay_alu instid0(VALU_DEP_1)
	v_cvt_i32_f32_e32 v3, v3
	s_branch .LBB38_577
.LBB38_573:
	s_mov_b32 s27, -1
                                        ; implicit-def: $vgpr3
	s_branch .LBB38_578
.LBB38_574:
	s_and_not1_saveexec_b32 s26, s26
	s_cbranch_execz .LBB38_555
.LBB38_575:
	v_cmp_ne_u16_e32 vcc_lo, 0, v4
	s_and_not1_b32 s27, s27, exec_lo
	s_and_b32 s28, vcc_lo, exec_lo
	s_delay_alu instid0(SALU_CYCLE_1)
	s_or_b32 s27, s27, s28
	s_or_b32 exec_lo, exec_lo, s26
	v_mov_b32_e32 v3, 0
	s_and_saveexec_b32 s26, s27
	s_cbranch_execnz .LBB38_556
	s_branch .LBB38_557
.LBB38_576:
	s_mov_b32 s24, -1
                                        ; implicit-def: $vgpr3
.LBB38_577:
	s_mov_b32 s27, 0
.LBB38_578:
	s_delay_alu instid0(SALU_CYCLE_1)
	s_and_b32 vcc_lo, exec_lo, s27
	s_cbranch_vccz .LBB38_582
; %bb.579:
	s_cmp_eq_u32 s23, 11
	s_cbranch_scc0 .LBB38_581
; %bb.580:
	s_wait_loadcnt 0x0
	global_load_u8 v3, v[0:1], off
	s_mov_b32 s24, 0
	s_mov_b32 s26, -1
	s_wait_loadcnt 0x0
	v_cmp_ne_u16_e32 vcc_lo, 0, v3
	v_cndmask_b32_e64 v3, 0, 1, vcc_lo
	s_branch .LBB38_582
.LBB38_581:
	s_mov_b32 s24, -1
                                        ; implicit-def: $vgpr3
.LBB38_582:
	s_mov_b32 s23, 0
.LBB38_583:
	s_delay_alu instid0(SALU_CYCLE_1)
	s_and_b32 vcc_lo, exec_lo, s23
	s_cbranch_vccz .LBB38_632
; %bb.584:
	s_and_b32 s0, 0xffff, s0
	s_delay_alu instid0(SALU_CYCLE_1)
	s_cmp_lt_i32 s0, 5
	s_cbranch_scc1 .LBB38_589
; %bb.585:
	s_cmp_lt_i32 s0, 8
	s_cbranch_scc1 .LBB38_590
; %bb.586:
	;; [unrolled: 3-line block ×3, first 2 shown]
	s_cmp_gt_i32 s0, 9
	s_cbranch_scc0 .LBB38_592
; %bb.588:
	global_load_b64 v[4:5], v[0:1], off
	s_mov_b32 s23, 0
	s_wait_loadcnt 0x0
	v_cvt_i32_f64_e32 v3, v[4:5]
	s_branch .LBB38_593
.LBB38_589:
	s_mov_b32 s23, -1
                                        ; implicit-def: $vgpr3
	s_branch .LBB38_611
.LBB38_590:
	s_mov_b32 s23, -1
                                        ; implicit-def: $vgpr3
	s_branch .LBB38_599
.LBB38_591:
	s_mov_b32 s23, -1
                                        ; implicit-def: $vgpr3
	s_branch .LBB38_596
.LBB38_592:
	s_mov_b32 s23, -1
                                        ; implicit-def: $vgpr3
.LBB38_593:
	s_delay_alu instid0(SALU_CYCLE_1)
	s_and_not1_b32 vcc_lo, exec_lo, s23
	s_cbranch_vccnz .LBB38_595
; %bb.594:
	s_wait_loadcnt 0x0
	global_load_b32 v3, v[0:1], off
	s_wait_loadcnt 0x0
	v_cvt_i32_f32_e32 v3, v3
.LBB38_595:
	s_mov_b32 s23, 0
.LBB38_596:
	s_delay_alu instid0(SALU_CYCLE_1)
	s_and_not1_b32 vcc_lo, exec_lo, s23
	s_cbranch_vccnz .LBB38_598
; %bb.597:
	s_wait_loadcnt 0x0
	global_load_b32 v3, v[0:1], off
	s_wait_loadcnt 0x0
	v_cvt_f32_f16_e32 v3, v3
	s_delay_alu instid0(VALU_DEP_1)
	v_cvt_i32_f32_e32 v3, v3
.LBB38_598:
	s_mov_b32 s23, 0
.LBB38_599:
	s_delay_alu instid0(SALU_CYCLE_1)
	s_and_not1_b32 vcc_lo, exec_lo, s23
	s_cbranch_vccnz .LBB38_610
; %bb.600:
	s_cmp_lt_i32 s0, 6
	s_cbranch_scc1 .LBB38_603
; %bb.601:
	s_cmp_gt_i32 s0, 6
	s_cbranch_scc0 .LBB38_604
; %bb.602:
	global_load_b64 v[4:5], v[0:1], off
	s_mov_b32 s23, 0
	s_wait_loadcnt 0x0
	v_cvt_i32_f64_e32 v3, v[4:5]
	s_branch .LBB38_605
.LBB38_603:
	s_mov_b32 s23, -1
                                        ; implicit-def: $vgpr3
	s_branch .LBB38_608
.LBB38_604:
	s_mov_b32 s23, -1
                                        ; implicit-def: $vgpr3
.LBB38_605:
	s_delay_alu instid0(SALU_CYCLE_1)
	s_and_not1_b32 vcc_lo, exec_lo, s23
	s_cbranch_vccnz .LBB38_607
; %bb.606:
	s_wait_loadcnt 0x0
	global_load_b32 v3, v[0:1], off
	s_wait_loadcnt 0x0
	v_cvt_i32_f32_e32 v3, v3
.LBB38_607:
	s_mov_b32 s23, 0
.LBB38_608:
	s_delay_alu instid0(SALU_CYCLE_1)
	s_and_not1_b32 vcc_lo, exec_lo, s23
	s_cbranch_vccnz .LBB38_610
; %bb.609:
	s_wait_loadcnt 0x0
	global_load_u16 v3, v[0:1], off
	s_wait_loadcnt 0x0
	v_cvt_f32_f16_e32 v3, v3
	s_delay_alu instid0(VALU_DEP_1)
	v_cvt_i32_f32_e32 v3, v3
.LBB38_610:
	s_mov_b32 s23, 0
.LBB38_611:
	s_delay_alu instid0(SALU_CYCLE_1)
	s_and_not1_b32 vcc_lo, exec_lo, s23
	s_cbranch_vccnz .LBB38_631
; %bb.612:
	s_cmp_lt_i32 s0, 2
	s_cbranch_scc1 .LBB38_616
; %bb.613:
	s_cmp_lt_i32 s0, 3
	s_cbranch_scc1 .LBB38_617
; %bb.614:
	s_cmp_gt_i32 s0, 3
	s_cbranch_scc0 .LBB38_618
; %bb.615:
	s_wait_loadcnt 0x0
	global_load_b32 v3, v[0:1], off
	s_mov_b32 s23, 0
	s_branch .LBB38_619
.LBB38_616:
	s_mov_b32 s23, -1
                                        ; implicit-def: $vgpr3
	s_branch .LBB38_625
.LBB38_617:
	s_mov_b32 s23, -1
                                        ; implicit-def: $vgpr3
	s_branch .LBB38_622
.LBB38_618:
	s_mov_b32 s23, -1
                                        ; implicit-def: $vgpr3
.LBB38_619:
	s_delay_alu instid0(SALU_CYCLE_1)
	s_and_not1_b32 vcc_lo, exec_lo, s23
	s_cbranch_vccnz .LBB38_621
; %bb.620:
	s_wait_loadcnt 0x0
	global_load_b32 v3, v[0:1], off
.LBB38_621:
	s_mov_b32 s23, 0
.LBB38_622:
	s_delay_alu instid0(SALU_CYCLE_1)
	s_and_not1_b32 vcc_lo, exec_lo, s23
	s_cbranch_vccnz .LBB38_624
; %bb.623:
	s_wait_loadcnt 0x0
	global_load_i16 v3, v[0:1], off
.LBB38_624:
	s_mov_b32 s23, 0
.LBB38_625:
	s_delay_alu instid0(SALU_CYCLE_1)
	s_and_not1_b32 vcc_lo, exec_lo, s23
	s_cbranch_vccnz .LBB38_631
; %bb.626:
	s_cmp_gt_i32 s0, 0
	s_mov_b32 s0, 0
	s_cbranch_scc0 .LBB38_628
; %bb.627:
	s_wait_loadcnt 0x0
	global_load_i8 v3, v[0:1], off
	s_branch .LBB38_629
.LBB38_628:
	s_mov_b32 s0, -1
                                        ; implicit-def: $vgpr3
.LBB38_629:
	s_delay_alu instid0(SALU_CYCLE_1)
	s_and_not1_b32 vcc_lo, exec_lo, s0
	s_cbranch_vccnz .LBB38_631
; %bb.630:
	s_wait_loadcnt 0x0
	global_load_u8 v3, v[0:1], off
.LBB38_631:
	s_mov_b32 s26, -1
.LBB38_632:
	s_delay_alu instid0(SALU_CYCLE_1)
	s_and_not1_b32 vcc_lo, exec_lo, s26
	s_cbranch_vccnz .LBB38_640
; %bb.633:
	s_wait_xcnt 0x0
	v_mul_lo_u32 v0, v6, s8
	s_wait_loadcnt 0x0
	s_delay_alu instid0(VALU_DEP_2) | instskip(SKIP_3) | instid1(VALU_DEP_2)
	v_cmp_ne_u32_e32 vcc_lo, v2, v3
	s_and_b32 s26, s12, 0xff
	s_xor_b32 s23, s16, vcc_lo
	s_cmp_lt_i32 s26, 11
	v_ashrrev_i32_e32 v1, 31, v0
	s_delay_alu instid0(VALU_DEP_1)
	v_add_nc_u64_e32 v[0:1], s[4:5], v[0:1]
	s_cbranch_scc1 .LBB38_641
; %bb.634:
	s_and_b32 s27, 0xffff, s26
	s_delay_alu instid0(SALU_CYCLE_1)
	s_cmp_gt_i32 s27, 25
	s_cbranch_scc0 .LBB38_642
; %bb.635:
	s_cmp_gt_i32 s27, 28
	s_cbranch_scc0 .LBB38_643
; %bb.636:
	;; [unrolled: 3-line block ×4, first 2 shown]
	s_mov_b32 s29, 0
	s_mov_b32 s0, -1
	s_cmp_eq_u32 s27, 46
	s_mov_b32 s28, 0
	s_cbranch_scc0 .LBB38_646
; %bb.639:
	v_cndmask_b32_e64 v2, 0, 1.0, s23
	s_mov_b32 s28, -1
	s_mov_b32 s0, 0
	s_delay_alu instid0(VALU_DEP_1) | instskip(NEXT) | instid1(VALU_DEP_1)
	v_bfe_u32 v3, v2, 16, 1
	v_add3_u32 v2, v2, v3, 0x7fff
	s_delay_alu instid0(VALU_DEP_1)
	v_lshrrev_b32_e32 v2, 16, v2
	global_store_b32 v[0:1], v2, off
	s_branch .LBB38_646
.LBB38_640:
	s_mov_b32 s26, 0
	s_mov_b32 s0, s18
	s_branch .LBB38_757
.LBB38_641:
	s_mov_b32 s27, -1
	s_mov_b32 s28, 0
	s_mov_b32 s0, s18
	s_branch .LBB38_715
.LBB38_642:
	s_mov_b32 s29, -1
	s_mov_b32 s28, 0
	s_mov_b32 s0, s18
	s_branch .LBB38_673
.LBB38_643:
	s_mov_b32 s29, -1
	s_mov_b32 s28, 0
	s_mov_b32 s0, s18
	s_branch .LBB38_656
.LBB38_644:
	s_mov_b32 s29, -1
	s_mov_b32 s28, 0
	s_mov_b32 s0, s18
	s_branch .LBB38_652
.LBB38_645:
	s_mov_b32 s29, -1
	s_mov_b32 s28, 0
	s_mov_b32 s0, s18
.LBB38_646:
	s_and_b32 vcc_lo, exec_lo, s29
	s_cbranch_vccz .LBB38_651
; %bb.647:
	s_cmp_eq_u32 s27, 44
	s_mov_b32 s0, -1
	s_cbranch_scc0 .LBB38_651
; %bb.648:
	v_cndmask_b32_e64 v4, 0, 1.0, s23
	s_mov_b32 s28, exec_lo
	s_wait_xcnt 0x0
	s_delay_alu instid0(VALU_DEP_1) | instskip(NEXT) | instid1(VALU_DEP_1)
	v_dual_mov_b32 v3, 0xff :: v_dual_lshrrev_b32 v2, 23, v4
	v_cmpx_ne_u32_e32 0xff, v2
; %bb.649:
	v_and_b32_e32 v3, 0x400000, v4
	v_and_or_b32 v4, 0x3fffff, v4, v2
	s_delay_alu instid0(VALU_DEP_2) | instskip(NEXT) | instid1(VALU_DEP_2)
	v_cmp_ne_u32_e32 vcc_lo, 0, v3
	v_cmp_ne_u32_e64 s0, 0, v4
	s_and_b32 s0, vcc_lo, s0
	s_delay_alu instid0(SALU_CYCLE_1) | instskip(NEXT) | instid1(VALU_DEP_1)
	v_cndmask_b32_e64 v3, 0, 1, s0
	v_add_nc_u32_e32 v3, v2, v3
; %bb.650:
	s_or_b32 exec_lo, exec_lo, s28
	s_mov_b32 s28, -1
	s_mov_b32 s0, 0
	global_store_b8 v[0:1], v3, off
.LBB38_651:
	s_mov_b32 s29, 0
.LBB38_652:
	s_delay_alu instid0(SALU_CYCLE_1)
	s_and_b32 vcc_lo, exec_lo, s29
	s_cbranch_vccz .LBB38_655
; %bb.653:
	s_cmp_eq_u32 s27, 29
	s_mov_b32 s0, -1
	s_cbranch_scc0 .LBB38_655
; %bb.654:
	s_mov_b32 s0, 0
	s_wait_xcnt 0x0
	v_cndmask_b32_e64 v2, 0, 1, s23
	v_mov_b32_e32 v3, s0
	s_mov_b32 s28, -1
	s_mov_b32 s29, 0
	global_store_b64 v[0:1], v[2:3], off
	s_branch .LBB38_656
.LBB38_655:
	s_mov_b32 s29, 0
.LBB38_656:
	s_delay_alu instid0(SALU_CYCLE_1)
	s_and_b32 vcc_lo, exec_lo, s29
	s_cbranch_vccz .LBB38_672
; %bb.657:
	s_cmp_lt_i32 s27, 27
	s_mov_b32 s28, -1
	s_cbranch_scc1 .LBB38_663
; %bb.658:
	s_cmp_gt_i32 s27, 27
	s_cbranch_scc0 .LBB38_660
; %bb.659:
	s_wait_xcnt 0x0
	v_cndmask_b32_e64 v2, 0, 1, s23
	s_mov_b32 s28, 0
	global_store_b32 v[0:1], v2, off
.LBB38_660:
	s_and_not1_b32 vcc_lo, exec_lo, s28
	s_cbranch_vccnz .LBB38_662
; %bb.661:
	s_wait_xcnt 0x0
	v_cndmask_b32_e64 v2, 0, 1, s23
	global_store_b16 v[0:1], v2, off
.LBB38_662:
	s_mov_b32 s28, 0
.LBB38_663:
	s_delay_alu instid0(SALU_CYCLE_1)
	s_and_not1_b32 vcc_lo, exec_lo, s28
	s_cbranch_vccnz .LBB38_671
; %bb.664:
	s_wait_xcnt 0x0
	v_cndmask_b32_e64 v3, 0, 1.0, s23
	v_mov_b32_e32 v4, 0x80
	s_mov_b32 s28, exec_lo
	s_delay_alu instid0(VALU_DEP_2)
	v_cmpx_gt_u32_e32 0x43800000, v3
	s_cbranch_execz .LBB38_670
; %bb.665:
	s_mov_b32 s29, 0
	s_mov_b32 s30, exec_lo
                                        ; implicit-def: $vgpr2
	v_cmpx_lt_u32_e32 0x3bffffff, v3
	s_xor_b32 s30, exec_lo, s30
	s_cbranch_execz .LBB38_773
; %bb.666:
	v_bfe_u32 v2, v3, 20, 1
	s_mov_b32 s29, exec_lo
	s_delay_alu instid0(VALU_DEP_1) | instskip(NEXT) | instid1(VALU_DEP_1)
	v_add3_u32 v2, v3, v2, 0x487ffff
                                        ; implicit-def: $vgpr3
	v_lshrrev_b32_e32 v2, 20, v2
	s_and_not1_saveexec_b32 s30, s30
	s_cbranch_execnz .LBB38_774
.LBB38_667:
	s_or_b32 exec_lo, exec_lo, s30
	v_mov_b32_e32 v4, 0
	s_and_saveexec_b32 s30, s29
.LBB38_668:
	v_mov_b32_e32 v4, v2
.LBB38_669:
	s_or_b32 exec_lo, exec_lo, s30
.LBB38_670:
	s_delay_alu instid0(SALU_CYCLE_1)
	s_or_b32 exec_lo, exec_lo, s28
	global_store_b8 v[0:1], v4, off
.LBB38_671:
	s_mov_b32 s28, -1
.LBB38_672:
	s_mov_b32 s29, 0
.LBB38_673:
	s_delay_alu instid0(SALU_CYCLE_1)
	s_and_b32 vcc_lo, exec_lo, s29
	s_cbranch_vccz .LBB38_714
; %bb.674:
	s_cmp_gt_i32 s27, 22
	s_mov_b32 s29, -1
	s_cbranch_scc0 .LBB38_706
; %bb.675:
	s_cmp_lt_i32 s27, 24
	s_mov_b32 s28, -1
	s_cbranch_scc1 .LBB38_695
; %bb.676:
	s_cmp_gt_i32 s27, 24
	s_cbranch_scc0 .LBB38_684
; %bb.677:
	s_wait_xcnt 0x0
	v_cndmask_b32_e64 v3, 0, 1.0, s23
	v_mov_b32_e32 v4, 0x80
	s_mov_b32 s28, exec_lo
	s_delay_alu instid0(VALU_DEP_2)
	v_cmpx_gt_u32_e32 0x47800000, v3
	s_cbranch_execz .LBB38_683
; %bb.678:
	s_mov_b32 s29, 0
	s_mov_b32 s30, exec_lo
                                        ; implicit-def: $vgpr2
	v_cmpx_lt_u32_e32 0x37ffffff, v3
	s_xor_b32 s30, exec_lo, s30
	s_cbranch_execz .LBB38_901
; %bb.679:
	v_bfe_u32 v2, v3, 21, 1
	s_mov_b32 s29, exec_lo
	s_delay_alu instid0(VALU_DEP_1) | instskip(NEXT) | instid1(VALU_DEP_1)
	v_add3_u32 v2, v3, v2, 0x88fffff
                                        ; implicit-def: $vgpr3
	v_lshrrev_b32_e32 v2, 21, v2
	s_and_not1_saveexec_b32 s30, s30
	s_cbranch_execnz .LBB38_902
.LBB38_680:
	s_or_b32 exec_lo, exec_lo, s30
	v_mov_b32_e32 v4, 0
	s_and_saveexec_b32 s30, s29
.LBB38_681:
	v_mov_b32_e32 v4, v2
.LBB38_682:
	s_or_b32 exec_lo, exec_lo, s30
.LBB38_683:
	s_delay_alu instid0(SALU_CYCLE_1)
	s_or_b32 exec_lo, exec_lo, s28
	s_mov_b32 s28, 0
	global_store_b8 v[0:1], v4, off
.LBB38_684:
	s_and_b32 vcc_lo, exec_lo, s28
	s_cbranch_vccz .LBB38_694
; %bb.685:
	s_wait_xcnt 0x0
	v_cndmask_b32_e64 v3, 0, 1.0, s23
	s_mov_b32 s28, exec_lo
                                        ; implicit-def: $vgpr2
	s_delay_alu instid0(VALU_DEP_1)
	v_cmpx_gt_u32_e32 0x43f00000, v3
	s_xor_b32 s28, exec_lo, s28
	s_cbranch_execz .LBB38_691
; %bb.686:
	s_mov_b32 s29, exec_lo
                                        ; implicit-def: $vgpr2
	v_cmpx_lt_u32_e32 0x3c7fffff, v3
	s_xor_b32 s29, exec_lo, s29
; %bb.687:
	v_bfe_u32 v2, v3, 20, 1
	s_delay_alu instid0(VALU_DEP_1) | instskip(NEXT) | instid1(VALU_DEP_1)
	v_add3_u32 v2, v3, v2, 0x407ffff
	v_and_b32_e32 v3, 0xff00000, v2
	v_lshrrev_b32_e32 v2, 20, v2
	s_delay_alu instid0(VALU_DEP_2) | instskip(NEXT) | instid1(VALU_DEP_2)
	v_cmp_ne_u32_e32 vcc_lo, 0x7f00000, v3
                                        ; implicit-def: $vgpr3
	v_cndmask_b32_e32 v2, 0x7e, v2, vcc_lo
; %bb.688:
	s_and_not1_saveexec_b32 s29, s29
; %bb.689:
	v_add_f32_e32 v2, 0x46800000, v3
; %bb.690:
	s_or_b32 exec_lo, exec_lo, s29
                                        ; implicit-def: $vgpr3
.LBB38_691:
	s_and_not1_saveexec_b32 s28, s28
; %bb.692:
	v_mov_b32_e32 v2, 0x7f
	v_cmp_lt_u32_e32 vcc_lo, 0x7f800000, v3
	s_delay_alu instid0(VALU_DEP_2)
	v_cndmask_b32_e32 v2, 0x7e, v2, vcc_lo
; %bb.693:
	s_or_b32 exec_lo, exec_lo, s28
	global_store_b8 v[0:1], v2, off
.LBB38_694:
	s_mov_b32 s28, 0
.LBB38_695:
	s_delay_alu instid0(SALU_CYCLE_1)
	s_and_not1_b32 vcc_lo, exec_lo, s28
	s_cbranch_vccnz .LBB38_705
; %bb.696:
	s_wait_xcnt 0x0
	v_cndmask_b32_e64 v3, 0, 1.0, s23
	s_mov_b32 s28, exec_lo
                                        ; implicit-def: $vgpr2
	s_delay_alu instid0(VALU_DEP_1)
	v_cmpx_gt_u32_e32 0x47800000, v3
	s_xor_b32 s28, exec_lo, s28
	s_cbranch_execz .LBB38_702
; %bb.697:
	s_mov_b32 s29, exec_lo
                                        ; implicit-def: $vgpr2
	v_cmpx_lt_u32_e32 0x387fffff, v3
	s_xor_b32 s29, exec_lo, s29
; %bb.698:
	v_bfe_u32 v2, v3, 21, 1
	s_delay_alu instid0(VALU_DEP_1) | instskip(NEXT) | instid1(VALU_DEP_1)
	v_add3_u32 v2, v3, v2, 0x80fffff
                                        ; implicit-def: $vgpr3
	v_lshrrev_b32_e32 v2, 21, v2
; %bb.699:
	s_and_not1_saveexec_b32 s29, s29
; %bb.700:
	v_add_f32_e32 v2, 0x43000000, v3
; %bb.701:
	s_or_b32 exec_lo, exec_lo, s29
                                        ; implicit-def: $vgpr3
.LBB38_702:
	s_and_not1_saveexec_b32 s28, s28
; %bb.703:
	v_mov_b32_e32 v2, 0x7f
	v_cmp_lt_u32_e32 vcc_lo, 0x7f800000, v3
	s_delay_alu instid0(VALU_DEP_2)
	v_cndmask_b32_e32 v2, 0x7c, v2, vcc_lo
; %bb.704:
	s_or_b32 exec_lo, exec_lo, s28
	global_store_b8 v[0:1], v2, off
.LBB38_705:
	s_mov_b32 s29, 0
	s_mov_b32 s28, -1
.LBB38_706:
	s_and_not1_b32 vcc_lo, exec_lo, s29
	s_cbranch_vccnz .LBB38_714
; %bb.707:
	s_cmp_gt_i32 s27, 14
	s_mov_b32 s29, -1
	s_cbranch_scc0 .LBB38_711
; %bb.708:
	s_cmp_eq_u32 s27, 15
	s_mov_b32 s0, -1
	s_cbranch_scc0 .LBB38_710
; %bb.709:
	s_wait_xcnt 0x0
	v_cndmask_b32_e64 v2, 0, 1.0, s23
	s_mov_b32 s28, -1
	s_mov_b32 s0, 0
	s_delay_alu instid0(VALU_DEP_1) | instskip(NEXT) | instid1(VALU_DEP_1)
	v_bfe_u32 v3, v2, 16, 1
	v_add3_u32 v2, v2, v3, 0x7fff
	global_store_d16_hi_b16 v[0:1], v2, off
.LBB38_710:
	s_mov_b32 s29, 0
.LBB38_711:
	s_delay_alu instid0(SALU_CYCLE_1)
	s_and_b32 vcc_lo, exec_lo, s29
	s_cbranch_vccz .LBB38_714
; %bb.712:
	s_cmp_eq_u32 s27, 11
	s_mov_b32 s0, -1
	s_cbranch_scc0 .LBB38_714
; %bb.713:
	s_wait_xcnt 0x0
	v_cndmask_b32_e64 v2, 0, 1, s23
	s_mov_b32 s28, -1
	s_mov_b32 s0, 0
	global_store_b8 v[0:1], v2, off
.LBB38_714:
	s_mov_b32 s27, 0
.LBB38_715:
	s_delay_alu instid0(SALU_CYCLE_1)
	s_and_b32 vcc_lo, exec_lo, s27
	s_cbranch_vccz .LBB38_754
; %bb.716:
	s_and_b32 s26, 0xffff, s26
	s_mov_b32 s27, -1
	s_cmp_lt_i32 s26, 5
	s_cbranch_scc1 .LBB38_737
; %bb.717:
	s_cmp_lt_i32 s26, 8
	s_cbranch_scc1 .LBB38_727
; %bb.718:
	;; [unrolled: 3-line block ×3, first 2 shown]
	s_cmp_gt_i32 s26, 9
	s_cbranch_scc0 .LBB38_721
; %bb.720:
	s_wait_xcnt 0x0
	v_cndmask_b32_e64 v2, 0, 1, s23
	v_mov_b32_e32 v4, 0
	s_mov_b32 s27, 0
	s_delay_alu instid0(VALU_DEP_2) | instskip(NEXT) | instid1(VALU_DEP_2)
	v_cvt_f64_u32_e32 v[2:3], v2
	v_mov_b32_e32 v5, v4
	global_store_b128 v[0:1], v[2:5], off
.LBB38_721:
	s_and_not1_b32 vcc_lo, exec_lo, s27
	s_cbranch_vccnz .LBB38_723
; %bb.722:
	s_wait_xcnt 0x0
	v_cndmask_b32_e64 v2, 0, 1.0, s23
	v_mov_b32_e32 v3, 0
	global_store_b64 v[0:1], v[2:3], off
.LBB38_723:
	s_mov_b32 s27, 0
.LBB38_724:
	s_delay_alu instid0(SALU_CYCLE_1)
	s_and_not1_b32 vcc_lo, exec_lo, s27
	s_cbranch_vccnz .LBB38_726
; %bb.725:
	s_wait_xcnt 0x0
	v_cndmask_b32_e64 v2, 0, 1.0, s23
	s_delay_alu instid0(VALU_DEP_1) | instskip(NEXT) | instid1(VALU_DEP_1)
	v_cvt_f16_f32_e32 v2, v2
	v_and_b32_e32 v2, 0xffff, v2
	global_store_b32 v[0:1], v2, off
.LBB38_726:
	s_mov_b32 s27, 0
.LBB38_727:
	s_delay_alu instid0(SALU_CYCLE_1)
	s_and_not1_b32 vcc_lo, exec_lo, s27
	s_cbranch_vccnz .LBB38_736
; %bb.728:
	s_cmp_lt_i32 s26, 6
	s_mov_b32 s27, -1
	s_cbranch_scc1 .LBB38_734
; %bb.729:
	s_cmp_gt_i32 s26, 6
	s_cbranch_scc0 .LBB38_731
; %bb.730:
	s_wait_xcnt 0x0
	v_cndmask_b32_e64 v2, 0, 1, s23
	s_mov_b32 s27, 0
	s_delay_alu instid0(VALU_DEP_1)
	v_cvt_f64_u32_e32 v[2:3], v2
	global_store_b64 v[0:1], v[2:3], off
.LBB38_731:
	s_and_not1_b32 vcc_lo, exec_lo, s27
	s_cbranch_vccnz .LBB38_733
; %bb.732:
	s_wait_xcnt 0x0
	v_cndmask_b32_e64 v2, 0, 1.0, s23
	global_store_b32 v[0:1], v2, off
.LBB38_733:
	s_mov_b32 s27, 0
.LBB38_734:
	s_delay_alu instid0(SALU_CYCLE_1)
	s_and_not1_b32 vcc_lo, exec_lo, s27
	s_cbranch_vccnz .LBB38_736
; %bb.735:
	s_wait_xcnt 0x0
	v_cndmask_b32_e64 v2, 0, 1.0, s23
	s_delay_alu instid0(VALU_DEP_1)
	v_cvt_f16_f32_e32 v2, v2
	global_store_b16 v[0:1], v2, off
.LBB38_736:
	s_mov_b32 s27, 0
.LBB38_737:
	s_delay_alu instid0(SALU_CYCLE_1)
	s_and_not1_b32 vcc_lo, exec_lo, s27
	s_cbranch_vccnz .LBB38_753
; %bb.738:
	s_cmp_lt_i32 s26, 2
	s_mov_b32 s27, -1
	s_cbranch_scc1 .LBB38_748
; %bb.739:
	s_cmp_lt_i32 s26, 3
	s_cbranch_scc1 .LBB38_745
; %bb.740:
	s_cmp_gt_i32 s26, 3
	s_cbranch_scc0 .LBB38_742
; %bb.741:
	s_mov_b32 s27, 0
	s_wait_xcnt 0x0
	v_cndmask_b32_e64 v2, 0, 1, s23
	v_mov_b32_e32 v3, s27
	global_store_b64 v[0:1], v[2:3], off
.LBB38_742:
	s_and_not1_b32 vcc_lo, exec_lo, s27
	s_cbranch_vccnz .LBB38_744
; %bb.743:
	s_wait_xcnt 0x0
	v_cndmask_b32_e64 v2, 0, 1, s23
	global_store_b32 v[0:1], v2, off
.LBB38_744:
	s_mov_b32 s27, 0
.LBB38_745:
	s_delay_alu instid0(SALU_CYCLE_1)
	s_and_not1_b32 vcc_lo, exec_lo, s27
	s_cbranch_vccnz .LBB38_747
; %bb.746:
	s_wait_xcnt 0x0
	v_cndmask_b32_e64 v2, 0, 1, s23
	global_store_b16 v[0:1], v2, off
.LBB38_747:
	s_mov_b32 s27, 0
.LBB38_748:
	s_delay_alu instid0(SALU_CYCLE_1)
	s_and_not1_b32 vcc_lo, exec_lo, s27
	s_cbranch_vccnz .LBB38_753
; %bb.749:
	s_wait_xcnt 0x0
	v_cndmask_b32_e64 v2, 0, 1, s23
	s_cmp_gt_i32 s26, 0
	s_mov_b32 s23, -1
	s_cbranch_scc0 .LBB38_751
; %bb.750:
	s_mov_b32 s23, 0
	global_store_b8 v[0:1], v2, off
.LBB38_751:
	s_and_not1_b32 vcc_lo, exec_lo, s23
	s_cbranch_vccnz .LBB38_753
; %bb.752:
	global_store_b8 v[0:1], v2, off
.LBB38_753:
	s_mov_b32 s28, -1
.LBB38_754:
	s_delay_alu instid0(SALU_CYCLE_1)
	s_and_not1_b32 vcc_lo, exec_lo, s28
	s_cbranch_vccnz .LBB38_756
; %bb.755:
	v_add_nc_u32_e32 v6, 0x80, v6
	s_mov_b32 s26, -1
	s_branch .LBB38_758
.LBB38_756:
	s_mov_b32 s26, 0
.LBB38_757:
                                        ; implicit-def: $vgpr6
.LBB38_758:
	s_and_not1_b32 s23, s18, exec_lo
	s_and_b32 s0, s0, exec_lo
	s_and_b32 s24, s24, exec_lo
	s_or_b32 s23, s23, s0
	s_and_not1_b32 s0, s19, exec_lo
	s_and_not1_b32 s27, s20, exec_lo
	s_and_b32 s22, s22, exec_lo
	s_or_b32 s24, s0, s24
	s_or_b32 s22, s27, s22
	s_or_not1_b32 s27, s26, exec_lo
.LBB38_759:
	s_wait_xcnt 0x0
	s_or_b32 exec_lo, exec_lo, s25
	s_mov_b32 s26, 0
	s_mov_b32 s28, 0
	s_mov_b32 s29, 0
                                        ; implicit-def: $sgpr0
                                        ; implicit-def: $vgpr0_vgpr1
                                        ; implicit-def: $vgpr2
	s_and_saveexec_b32 s25, s27
	s_cbranch_execz .LBB38_1222
; %bb.760:
	s_mov_b32 s34, -1
	s_mov_b32 s27, s22
	s_mov_b32 s28, s24
	;; [unrolled: 1-line block ×3, first 2 shown]
	s_mov_b32 s26, exec_lo
	v_cmpx_gt_i32_e64 s17, v6
	s_cbranch_execz .LBB38_1142
; %bb.761:
	v_mul_lo_u32 v0, v6, s9
	s_and_b32 s0, s14, 0xff
	s_delay_alu instid0(SALU_CYCLE_1) | instskip(NEXT) | instid1(VALU_DEP_1)
	s_cmp_lt_i32 s0, 11
	v_ashrrev_i32_e32 v1, 31, v0
	s_delay_alu instid0(VALU_DEP_1)
	v_add_nc_u64_e32 v[0:1], s[6:7], v[0:1]
	s_cbranch_scc1 .LBB38_768
; %bb.762:
	s_and_b32 s28, 0xffff, s0
	s_delay_alu instid0(SALU_CYCLE_1)
	s_cmp_gt_i32 s28, 25
	s_cbranch_scc0 .LBB38_769
; %bb.763:
	s_cmp_gt_i32 s28, 28
	s_cbranch_scc0 .LBB38_770
; %bb.764:
	;; [unrolled: 3-line block ×4, first 2 shown]
	s_cmp_eq_u32 s28, 46
	s_mov_b32 s30, 0
	s_cbranch_scc0 .LBB38_775
; %bb.767:
	s_wait_loadcnt 0x0
	global_load_b32 v2, v[0:1], off
	s_mov_b32 s29, -1
	s_mov_b32 s27, 0
	s_wait_loadcnt 0x0
	v_lshlrev_b32_e32 v2, 16, v2
	s_delay_alu instid0(VALU_DEP_1)
	v_cvt_i32_f32_e32 v2, v2
	s_branch .LBB38_777
.LBB38_768:
	s_mov_b32 s28, -1
	s_mov_b32 s29, 0
	s_mov_b32 s27, s22
                                        ; implicit-def: $vgpr2
	s_branch .LBB38_838
.LBB38_769:
	s_mov_b32 s30, -1
	s_mov_b32 s29, 0
	s_mov_b32 s27, s22
                                        ; implicit-def: $vgpr2
	s_branch .LBB38_804
.LBB38_770:
	s_mov_b32 s30, -1
	s_mov_b32 s29, 0
	s_mov_b32 s27, s22
                                        ; implicit-def: $vgpr2
	s_branch .LBB38_787
.LBB38_771:
	s_mov_b32 s30, -1
	s_mov_b32 s29, 0
	s_mov_b32 s27, s22
                                        ; implicit-def: $vgpr2
	s_branch .LBB38_782
.LBB38_772:
	s_mov_b32 s30, -1
	s_mov_b32 s29, 0
	s_mov_b32 s27, s22
	s_branch .LBB38_776
.LBB38_773:
	s_and_not1_saveexec_b32 s30, s30
	s_cbranch_execz .LBB38_667
.LBB38_774:
	v_add_f32_e32 v2, 0x46000000, v3
	s_and_not1_b32 s29, s29, exec_lo
	s_delay_alu instid0(VALU_DEP_1) | instskip(NEXT) | instid1(VALU_DEP_1)
	v_and_b32_e32 v2, 0xff, v2
	v_cmp_ne_u32_e32 vcc_lo, 0, v2
	s_and_b32 s31, vcc_lo, exec_lo
	s_delay_alu instid0(SALU_CYCLE_1)
	s_or_b32 s29, s29, s31
	s_or_b32 exec_lo, exec_lo, s30
	v_mov_b32_e32 v4, 0
	s_and_saveexec_b32 s30, s29
	s_cbranch_execnz .LBB38_668
	s_branch .LBB38_669
.LBB38_775:
	s_mov_b32 s27, -1
	s_mov_b32 s29, 0
.LBB38_776:
                                        ; implicit-def: $vgpr2
.LBB38_777:
	s_and_b32 vcc_lo, exec_lo, s30
	s_cbranch_vccz .LBB38_781
; %bb.778:
	s_cmp_eq_u32 s28, 44
	s_cbranch_scc0 .LBB38_780
; %bb.779:
	s_wait_loadcnt 0x0
	global_load_u8 v2, v[0:1], off
	s_mov_b32 s27, 0
	s_mov_b32 s29, -1
	s_wait_loadcnt 0x0
	v_lshlrev_b32_e32 v3, 23, v2
	v_cmp_ne_u32_e32 vcc_lo, 0, v2
	s_delay_alu instid0(VALU_DEP_2) | instskip(NEXT) | instid1(VALU_DEP_1)
	v_cvt_i32_f32_e32 v3, v3
	v_cndmask_b32_e32 v2, 0, v3, vcc_lo
	s_branch .LBB38_781
.LBB38_780:
	s_mov_b32 s27, -1
                                        ; implicit-def: $vgpr2
.LBB38_781:
	s_mov_b32 s30, 0
.LBB38_782:
	s_delay_alu instid0(SALU_CYCLE_1)
	s_and_b32 vcc_lo, exec_lo, s30
	s_cbranch_vccz .LBB38_786
; %bb.783:
	s_cmp_eq_u32 s28, 29
	s_cbranch_scc0 .LBB38_785
; %bb.784:
	s_wait_loadcnt 0x0
	global_load_b32 v2, v[0:1], off
	s_mov_b32 s29, -1
	s_mov_b32 s27, 0
	s_branch .LBB38_786
.LBB38_785:
	s_mov_b32 s27, -1
                                        ; implicit-def: $vgpr2
.LBB38_786:
	s_mov_b32 s30, 0
.LBB38_787:
	s_delay_alu instid0(SALU_CYCLE_1)
	s_and_b32 vcc_lo, exec_lo, s30
	s_cbranch_vccz .LBB38_803
; %bb.788:
	s_cmp_lt_i32 s28, 27
	s_cbranch_scc1 .LBB38_791
; %bb.789:
	s_cmp_gt_i32 s28, 27
	s_cbranch_scc0 .LBB38_792
; %bb.790:
	s_wait_loadcnt 0x0
	global_load_b32 v2, v[0:1], off
	s_mov_b32 s29, 0
	s_branch .LBB38_793
.LBB38_791:
	s_mov_b32 s29, -1
                                        ; implicit-def: $vgpr2
	s_branch .LBB38_796
.LBB38_792:
	s_mov_b32 s29, -1
                                        ; implicit-def: $vgpr2
.LBB38_793:
	s_delay_alu instid0(SALU_CYCLE_1)
	s_and_not1_b32 vcc_lo, exec_lo, s29
	s_cbranch_vccnz .LBB38_795
; %bb.794:
	s_wait_loadcnt 0x0
	global_load_u16 v2, v[0:1], off
.LBB38_795:
	s_mov_b32 s29, 0
.LBB38_796:
	s_delay_alu instid0(SALU_CYCLE_1)
	s_and_not1_b32 vcc_lo, exec_lo, s29
	s_cbranch_vccnz .LBB38_802
; %bb.797:
	s_wait_loadcnt 0x0
	global_load_u8 v3, v[0:1], off
	s_mov_b32 s30, 0
	s_mov_b32 s29, exec_lo
	s_wait_loadcnt 0x0
	v_cmpx_lt_i16_e32 0x7f, v3
	s_xor_b32 s29, exec_lo, s29
	s_cbranch_execz .LBB38_814
; %bb.798:
	v_cmp_ne_u16_e32 vcc_lo, 0x80, v3
	s_and_b32 s30, vcc_lo, exec_lo
	s_and_not1_saveexec_b32 s29, s29
	s_cbranch_execnz .LBB38_815
.LBB38_799:
	s_or_b32 exec_lo, exec_lo, s29
	v_mov_b32_e32 v2, 0
	s_and_saveexec_b32 s29, s30
	s_cbranch_execz .LBB38_801
.LBB38_800:
	v_and_b32_e32 v2, 0xffff, v3
	s_delay_alu instid0(VALU_DEP_1) | instskip(SKIP_1) | instid1(VALU_DEP_2)
	v_and_b32_e32 v4, 7, v2
	v_bfe_u32 v8, v2, 3, 4
	v_clz_i32_u32_e32 v5, v4
	s_delay_alu instid0(VALU_DEP_2) | instskip(NEXT) | instid1(VALU_DEP_2)
	v_cmp_eq_u32_e32 vcc_lo, 0, v8
	v_min_u32_e32 v5, 32, v5
	s_delay_alu instid0(VALU_DEP_1) | instskip(NEXT) | instid1(VALU_DEP_1)
	v_subrev_nc_u32_e32 v7, 28, v5
	v_dual_lshlrev_b32 v2, v7, v2 :: v_dual_sub_nc_u32 v5, 29, v5
	s_delay_alu instid0(VALU_DEP_1) | instskip(NEXT) | instid1(VALU_DEP_2)
	v_dual_lshlrev_b32 v3, 24, v3 :: v_dual_bitop2_b32 v2, 7, v2 bitop3:0x40
	v_cndmask_b32_e32 v5, v8, v5, vcc_lo
	s_delay_alu instid0(VALU_DEP_2) | instskip(NEXT) | instid1(VALU_DEP_3)
	v_cndmask_b32_e32 v2, v4, v2, vcc_lo
	v_and_b32_e32 v3, 0x80000000, v3
	s_delay_alu instid0(VALU_DEP_3) | instskip(NEXT) | instid1(VALU_DEP_3)
	v_lshl_add_u32 v4, v5, 23, 0x3b800000
	v_lshlrev_b32_e32 v2, 20, v2
	s_delay_alu instid0(VALU_DEP_1) | instskip(NEXT) | instid1(VALU_DEP_1)
	v_or3_b32 v2, v3, v4, v2
	v_cvt_i32_f32_e32 v2, v2
.LBB38_801:
	s_or_b32 exec_lo, exec_lo, s29
.LBB38_802:
	s_mov_b32 s29, -1
.LBB38_803:
	s_mov_b32 s30, 0
.LBB38_804:
	s_delay_alu instid0(SALU_CYCLE_1)
	s_and_b32 vcc_lo, exec_lo, s30
	s_cbranch_vccz .LBB38_837
; %bb.805:
	s_cmp_gt_i32 s28, 22
	s_cbranch_scc0 .LBB38_813
; %bb.806:
	s_cmp_lt_i32 s28, 24
	s_cbranch_scc1 .LBB38_816
; %bb.807:
	s_cmp_gt_i32 s28, 24
	s_cbranch_scc0 .LBB38_817
; %bb.808:
	s_wait_loadcnt 0x0
	global_load_u8 v3, v[0:1], off
	s_mov_b32 s30, 0
	s_mov_b32 s29, exec_lo
	s_wait_loadcnt 0x0
	v_cmpx_lt_i16_e32 0x7f, v3
	s_xor_b32 s29, exec_lo, s29
	s_cbranch_execz .LBB38_829
; %bb.809:
	v_cmp_ne_u16_e32 vcc_lo, 0x80, v3
	s_and_b32 s30, vcc_lo, exec_lo
	s_and_not1_saveexec_b32 s29, s29
	s_cbranch_execnz .LBB38_830
.LBB38_810:
	s_or_b32 exec_lo, exec_lo, s29
	v_mov_b32_e32 v2, 0
	s_and_saveexec_b32 s29, s30
	s_cbranch_execz .LBB38_812
.LBB38_811:
	v_and_b32_e32 v2, 0xffff, v3
	s_delay_alu instid0(VALU_DEP_1) | instskip(SKIP_1) | instid1(VALU_DEP_2)
	v_and_b32_e32 v4, 3, v2
	v_bfe_u32 v8, v2, 2, 5
	v_clz_i32_u32_e32 v5, v4
	s_delay_alu instid0(VALU_DEP_2) | instskip(NEXT) | instid1(VALU_DEP_2)
	v_cmp_eq_u32_e32 vcc_lo, 0, v8
	v_min_u32_e32 v5, 32, v5
	s_delay_alu instid0(VALU_DEP_1) | instskip(NEXT) | instid1(VALU_DEP_1)
	v_subrev_nc_u32_e32 v7, 29, v5
	v_dual_lshlrev_b32 v2, v7, v2 :: v_dual_sub_nc_u32 v5, 30, v5
	s_delay_alu instid0(VALU_DEP_1) | instskip(NEXT) | instid1(VALU_DEP_2)
	v_dual_lshlrev_b32 v3, 24, v3 :: v_dual_bitop2_b32 v2, 3, v2 bitop3:0x40
	v_cndmask_b32_e32 v5, v8, v5, vcc_lo
	s_delay_alu instid0(VALU_DEP_2) | instskip(NEXT) | instid1(VALU_DEP_3)
	v_cndmask_b32_e32 v2, v4, v2, vcc_lo
	v_and_b32_e32 v3, 0x80000000, v3
	s_delay_alu instid0(VALU_DEP_3) | instskip(NEXT) | instid1(VALU_DEP_3)
	v_lshl_add_u32 v4, v5, 23, 0x37800000
	v_lshlrev_b32_e32 v2, 21, v2
	s_delay_alu instid0(VALU_DEP_1) | instskip(NEXT) | instid1(VALU_DEP_1)
	v_or3_b32 v2, v3, v4, v2
	v_cvt_i32_f32_e32 v2, v2
.LBB38_812:
	s_or_b32 exec_lo, exec_lo, s29
	s_mov_b32 s29, 0
	s_branch .LBB38_818
.LBB38_813:
	s_mov_b32 s30, -1
                                        ; implicit-def: $vgpr2
	s_branch .LBB38_824
.LBB38_814:
	s_and_not1_saveexec_b32 s29, s29
	s_cbranch_execz .LBB38_799
.LBB38_815:
	v_cmp_ne_u16_e32 vcc_lo, 0, v3
	s_and_not1_b32 s30, s30, exec_lo
	s_and_b32 s31, vcc_lo, exec_lo
	s_delay_alu instid0(SALU_CYCLE_1)
	s_or_b32 s30, s30, s31
	s_or_b32 exec_lo, exec_lo, s29
	v_mov_b32_e32 v2, 0
	s_and_saveexec_b32 s29, s30
	s_cbranch_execnz .LBB38_800
	s_branch .LBB38_801
.LBB38_816:
	s_mov_b32 s29, -1
                                        ; implicit-def: $vgpr2
	s_branch .LBB38_821
.LBB38_817:
	s_mov_b32 s29, -1
                                        ; implicit-def: $vgpr2
.LBB38_818:
	s_delay_alu instid0(SALU_CYCLE_1)
	s_and_b32 vcc_lo, exec_lo, s29
	s_cbranch_vccz .LBB38_820
; %bb.819:
	s_wait_loadcnt 0x0
	global_load_u8 v2, v[0:1], off
	s_wait_loadcnt 0x0
	v_lshlrev_b32_e32 v2, 24, v2
	s_delay_alu instid0(VALU_DEP_1) | instskip(NEXT) | instid1(VALU_DEP_1)
	v_and_b32_e32 v3, 0x7f000000, v2
	v_clz_i32_u32_e32 v4, v3
	v_add_nc_u32_e32 v7, 0x1000000, v3
	v_cmp_ne_u32_e32 vcc_lo, 0, v3
	s_delay_alu instid0(VALU_DEP_3) | instskip(NEXT) | instid1(VALU_DEP_1)
	v_min_u32_e32 v4, 32, v4
	v_sub_nc_u32_e64 v4, v4, 4 clamp
	s_delay_alu instid0(VALU_DEP_1) | instskip(NEXT) | instid1(VALU_DEP_1)
	v_dual_lshlrev_b32 v5, v4, v3 :: v_dual_lshlrev_b32 v4, 23, v4
	v_lshrrev_b32_e32 v5, 4, v5
	s_delay_alu instid0(VALU_DEP_1) | instskip(NEXT) | instid1(VALU_DEP_1)
	v_dual_sub_nc_u32 v4, v5, v4 :: v_dual_ashrrev_i32 v5, 8, v7
	v_add_nc_u32_e32 v4, 0x3c000000, v4
	s_delay_alu instid0(VALU_DEP_1) | instskip(NEXT) | instid1(VALU_DEP_1)
	v_and_or_b32 v4, 0x7f800000, v5, v4
	v_cndmask_b32_e32 v3, 0, v4, vcc_lo
	s_delay_alu instid0(VALU_DEP_1) | instskip(NEXT) | instid1(VALU_DEP_1)
	v_and_or_b32 v2, 0x80000000, v2, v3
	v_cvt_i32_f32_e32 v2, v2
.LBB38_820:
	s_mov_b32 s29, 0
.LBB38_821:
	s_delay_alu instid0(SALU_CYCLE_1)
	s_and_not1_b32 vcc_lo, exec_lo, s29
	s_cbranch_vccnz .LBB38_823
; %bb.822:
	s_wait_loadcnt 0x0
	global_load_u8 v2, v[0:1], off
	s_wait_loadcnt 0x0
	v_lshlrev_b32_e32 v3, 25, v2
	v_lshlrev_b16 v2, 8, v2
	s_delay_alu instid0(VALU_DEP_1) | instskip(SKIP_1) | instid1(VALU_DEP_2)
	v_and_or_b32 v5, 0x7f00, v2, 0.5
	v_bfe_i32 v2, v2, 0, 16
	v_dual_add_f32 v5, -0.5, v5 :: v_dual_lshrrev_b32 v4, 4, v3
	v_cmp_gt_u32_e32 vcc_lo, 0x8000000, v3
	s_delay_alu instid0(VALU_DEP_2) | instskip(NEXT) | instid1(VALU_DEP_1)
	v_or_b32_e32 v4, 0x70000000, v4
	v_mul_f32_e32 v4, 0x7800000, v4
	s_delay_alu instid0(VALU_DEP_1) | instskip(NEXT) | instid1(VALU_DEP_1)
	v_cndmask_b32_e32 v3, v4, v5, vcc_lo
	v_and_or_b32 v2, 0x80000000, v2, v3
	s_delay_alu instid0(VALU_DEP_1)
	v_cvt_i32_f32_e32 v2, v2
.LBB38_823:
	s_mov_b32 s30, 0
	s_mov_b32 s29, -1
.LBB38_824:
	s_and_not1_b32 vcc_lo, exec_lo, s30
	s_cbranch_vccnz .LBB38_837
; %bb.825:
	s_cmp_gt_i32 s28, 14
	s_cbranch_scc0 .LBB38_828
; %bb.826:
	s_cmp_eq_u32 s28, 15
	s_cbranch_scc0 .LBB38_831
; %bb.827:
	s_wait_loadcnt 0x0
	global_load_u16 v2, v[0:1], off
	s_mov_b32 s29, -1
	s_mov_b32 s27, 0
	s_wait_loadcnt 0x0
	v_lshlrev_b32_e32 v2, 16, v2
	s_delay_alu instid0(VALU_DEP_1)
	v_cvt_i32_f32_e32 v2, v2
	s_branch .LBB38_832
.LBB38_828:
	s_mov_b32 s30, -1
                                        ; implicit-def: $vgpr2
	s_branch .LBB38_833
.LBB38_829:
	s_and_not1_saveexec_b32 s29, s29
	s_cbranch_execz .LBB38_810
.LBB38_830:
	v_cmp_ne_u16_e32 vcc_lo, 0, v3
	s_and_not1_b32 s30, s30, exec_lo
	s_and_b32 s31, vcc_lo, exec_lo
	s_delay_alu instid0(SALU_CYCLE_1)
	s_or_b32 s30, s30, s31
	s_or_b32 exec_lo, exec_lo, s29
	v_mov_b32_e32 v2, 0
	s_and_saveexec_b32 s29, s30
	s_cbranch_execnz .LBB38_811
	s_branch .LBB38_812
.LBB38_831:
	s_mov_b32 s27, -1
                                        ; implicit-def: $vgpr2
.LBB38_832:
	s_mov_b32 s30, 0
.LBB38_833:
	s_delay_alu instid0(SALU_CYCLE_1)
	s_and_b32 vcc_lo, exec_lo, s30
	s_cbranch_vccz .LBB38_837
; %bb.834:
	s_cmp_eq_u32 s28, 11
	s_cbranch_scc0 .LBB38_836
; %bb.835:
	s_wait_loadcnt 0x0
	global_load_u8 v2, v[0:1], off
	s_mov_b32 s27, 0
	s_mov_b32 s29, -1
	s_wait_loadcnt 0x0
	v_cmp_ne_u16_e32 vcc_lo, 0, v2
	v_cndmask_b32_e64 v2, 0, 1, vcc_lo
	s_branch .LBB38_837
.LBB38_836:
	s_mov_b32 s27, -1
                                        ; implicit-def: $vgpr2
.LBB38_837:
	s_mov_b32 s28, 0
.LBB38_838:
	s_delay_alu instid0(SALU_CYCLE_1)
	s_and_b32 vcc_lo, exec_lo, s28
	s_cbranch_vccz .LBB38_887
; %bb.839:
	s_and_b32 s0, 0xffff, s0
	s_delay_alu instid0(SALU_CYCLE_1)
	s_cmp_lt_i32 s0, 5
	s_cbranch_scc1 .LBB38_844
; %bb.840:
	s_cmp_lt_i32 s0, 8
	s_cbranch_scc1 .LBB38_845
; %bb.841:
	;; [unrolled: 3-line block ×3, first 2 shown]
	s_cmp_gt_i32 s0, 9
	s_cbranch_scc0 .LBB38_847
; %bb.843:
	s_wait_loadcnt 0x0
	global_load_b64 v[2:3], v[0:1], off
	s_mov_b32 s28, 0
	s_wait_loadcnt 0x0
	v_cvt_i32_f64_e32 v2, v[2:3]
	s_branch .LBB38_848
.LBB38_844:
	s_mov_b32 s28, -1
                                        ; implicit-def: $vgpr2
	s_branch .LBB38_866
.LBB38_845:
	s_mov_b32 s28, -1
                                        ; implicit-def: $vgpr2
	s_branch .LBB38_854
.LBB38_846:
	s_mov_b32 s28, -1
                                        ; implicit-def: $vgpr2
	s_branch .LBB38_851
.LBB38_847:
	s_mov_b32 s28, -1
                                        ; implicit-def: $vgpr2
.LBB38_848:
	s_delay_alu instid0(SALU_CYCLE_1)
	s_and_not1_b32 vcc_lo, exec_lo, s28
	s_cbranch_vccnz .LBB38_850
; %bb.849:
	s_wait_loadcnt 0x0
	global_load_b32 v2, v[0:1], off
	s_wait_loadcnt 0x0
	v_cvt_i32_f32_e32 v2, v2
.LBB38_850:
	s_mov_b32 s28, 0
.LBB38_851:
	s_delay_alu instid0(SALU_CYCLE_1)
	s_and_not1_b32 vcc_lo, exec_lo, s28
	s_cbranch_vccnz .LBB38_853
; %bb.852:
	s_wait_loadcnt 0x0
	global_load_b32 v2, v[0:1], off
	s_wait_loadcnt 0x0
	v_cvt_f32_f16_e32 v2, v2
	s_delay_alu instid0(VALU_DEP_1)
	v_cvt_i32_f32_e32 v2, v2
.LBB38_853:
	s_mov_b32 s28, 0
.LBB38_854:
	s_delay_alu instid0(SALU_CYCLE_1)
	s_and_not1_b32 vcc_lo, exec_lo, s28
	s_cbranch_vccnz .LBB38_865
; %bb.855:
	s_cmp_lt_i32 s0, 6
	s_cbranch_scc1 .LBB38_858
; %bb.856:
	s_cmp_gt_i32 s0, 6
	s_cbranch_scc0 .LBB38_859
; %bb.857:
	s_wait_loadcnt 0x0
	global_load_b64 v[2:3], v[0:1], off
	s_mov_b32 s28, 0
	s_wait_loadcnt 0x0
	v_cvt_i32_f64_e32 v2, v[2:3]
	s_branch .LBB38_860
.LBB38_858:
	s_mov_b32 s28, -1
                                        ; implicit-def: $vgpr2
	s_branch .LBB38_863
.LBB38_859:
	s_mov_b32 s28, -1
                                        ; implicit-def: $vgpr2
.LBB38_860:
	s_delay_alu instid0(SALU_CYCLE_1)
	s_and_not1_b32 vcc_lo, exec_lo, s28
	s_cbranch_vccnz .LBB38_862
; %bb.861:
	s_wait_loadcnt 0x0
	global_load_b32 v2, v[0:1], off
	s_wait_loadcnt 0x0
	v_cvt_i32_f32_e32 v2, v2
.LBB38_862:
	s_mov_b32 s28, 0
.LBB38_863:
	s_delay_alu instid0(SALU_CYCLE_1)
	s_and_not1_b32 vcc_lo, exec_lo, s28
	s_cbranch_vccnz .LBB38_865
; %bb.864:
	s_wait_loadcnt 0x0
	global_load_u16 v2, v[0:1], off
	s_wait_loadcnt 0x0
	v_cvt_f32_f16_e32 v2, v2
	s_delay_alu instid0(VALU_DEP_1)
	v_cvt_i32_f32_e32 v2, v2
.LBB38_865:
	s_mov_b32 s28, 0
.LBB38_866:
	s_delay_alu instid0(SALU_CYCLE_1)
	s_and_not1_b32 vcc_lo, exec_lo, s28
	s_cbranch_vccnz .LBB38_886
; %bb.867:
	s_cmp_lt_i32 s0, 2
	s_cbranch_scc1 .LBB38_871
; %bb.868:
	s_cmp_lt_i32 s0, 3
	s_cbranch_scc1 .LBB38_872
; %bb.869:
	s_cmp_gt_i32 s0, 3
	s_cbranch_scc0 .LBB38_873
; %bb.870:
	s_wait_loadcnt 0x0
	global_load_b32 v2, v[0:1], off
	s_mov_b32 s28, 0
	s_branch .LBB38_874
.LBB38_871:
	s_mov_b32 s28, -1
                                        ; implicit-def: $vgpr2
	s_branch .LBB38_880
.LBB38_872:
	s_mov_b32 s28, -1
                                        ; implicit-def: $vgpr2
	s_branch .LBB38_877
.LBB38_873:
	s_mov_b32 s28, -1
                                        ; implicit-def: $vgpr2
.LBB38_874:
	s_delay_alu instid0(SALU_CYCLE_1)
	s_and_not1_b32 vcc_lo, exec_lo, s28
	s_cbranch_vccnz .LBB38_876
; %bb.875:
	s_wait_loadcnt 0x0
	global_load_b32 v2, v[0:1], off
.LBB38_876:
	s_mov_b32 s28, 0
.LBB38_877:
	s_delay_alu instid0(SALU_CYCLE_1)
	s_and_not1_b32 vcc_lo, exec_lo, s28
	s_cbranch_vccnz .LBB38_879
; %bb.878:
	s_wait_loadcnt 0x0
	global_load_i16 v2, v[0:1], off
.LBB38_879:
	s_mov_b32 s28, 0
.LBB38_880:
	s_delay_alu instid0(SALU_CYCLE_1)
	s_and_not1_b32 vcc_lo, exec_lo, s28
	s_cbranch_vccnz .LBB38_886
; %bb.881:
	s_cmp_gt_i32 s0, 0
	s_mov_b32 s0, 0
	s_cbranch_scc0 .LBB38_883
; %bb.882:
	s_wait_loadcnt 0x0
	global_load_i8 v2, v[0:1], off
	s_branch .LBB38_884
.LBB38_883:
	s_mov_b32 s0, -1
                                        ; implicit-def: $vgpr2
.LBB38_884:
	s_delay_alu instid0(SALU_CYCLE_1)
	s_and_not1_b32 vcc_lo, exec_lo, s0
	s_cbranch_vccnz .LBB38_886
; %bb.885:
	s_wait_loadcnt 0x0
	global_load_u8 v2, v[0:1], off
.LBB38_886:
	s_mov_b32 s29, -1
.LBB38_887:
	s_delay_alu instid0(SALU_CYCLE_1)
	s_and_not1_b32 vcc_lo, exec_lo, s29
	s_cbranch_vccnz .LBB38_895
; %bb.888:
	s_wait_xcnt 0x0
	v_mul_lo_u32 v0, v6, s10
	s_and_b32 s0, s1, 0xff
	s_delay_alu instid0(SALU_CYCLE_1) | instskip(NEXT) | instid1(VALU_DEP_1)
	s_cmp_lt_i32 s0, 11
	v_ashrrev_i32_e32 v1, 31, v0
	s_delay_alu instid0(VALU_DEP_1)
	v_add_nc_u64_e32 v[0:1], s[2:3], v[0:1]
	s_cbranch_scc1 .LBB38_896
; %bb.889:
	s_and_b32 s29, 0xffff, s0
	s_delay_alu instid0(SALU_CYCLE_1)
	s_cmp_gt_i32 s29, 25
	s_cbranch_scc0 .LBB38_897
; %bb.890:
	s_cmp_gt_i32 s29, 28
	s_cbranch_scc0 .LBB38_898
; %bb.891:
	s_cmp_gt_i32 s29, 43
	s_cbranch_scc0 .LBB38_899
; %bb.892:
	s_cmp_gt_i32 s29, 45
	s_cbranch_scc0 .LBB38_900
; %bb.893:
	s_cmp_eq_u32 s29, 46
	s_mov_b32 s31, 0
	s_cbranch_scc0 .LBB38_903
; %bb.894:
	s_wait_loadcnt 0x0
	global_load_b32 v3, v[0:1], off
	s_mov_b32 s30, -1
	s_mov_b32 s28, 0
	s_wait_loadcnt 0x0
	v_lshlrev_b32_e32 v3, 16, v3
	s_delay_alu instid0(VALU_DEP_1)
	v_cvt_i32_f32_e32 v3, v3
	s_branch .LBB38_905
.LBB38_895:
	s_mov_b32 s30, 0
	s_mov_b32 s0, s23
	;; [unrolled: 1-line block ×3, first 2 shown]
	s_branch .LBB38_1140
.LBB38_896:
	s_mov_b32 s29, -1
	s_mov_b32 s30, 0
	s_mov_b32 s28, s24
                                        ; implicit-def: $vgpr3
	s_branch .LBB38_966
.LBB38_897:
	s_mov_b32 s31, -1
	s_mov_b32 s30, 0
	s_mov_b32 s28, s24
                                        ; implicit-def: $vgpr3
	s_branch .LBB38_932
.LBB38_898:
	s_mov_b32 s31, -1
	s_mov_b32 s30, 0
	s_mov_b32 s28, s24
                                        ; implicit-def: $vgpr3
	s_branch .LBB38_915
.LBB38_899:
	s_mov_b32 s31, -1
	s_mov_b32 s30, 0
	s_mov_b32 s28, s24
                                        ; implicit-def: $vgpr3
	s_branch .LBB38_910
.LBB38_900:
	s_mov_b32 s31, -1
	s_mov_b32 s30, 0
	s_mov_b32 s28, s24
	s_branch .LBB38_904
.LBB38_901:
	s_and_not1_saveexec_b32 s30, s30
	s_cbranch_execz .LBB38_680
.LBB38_902:
	v_add_f32_e32 v2, 0x42800000, v3
	s_and_not1_b32 s29, s29, exec_lo
	s_delay_alu instid0(VALU_DEP_1) | instskip(NEXT) | instid1(VALU_DEP_1)
	v_and_b32_e32 v2, 0xff, v2
	v_cmp_ne_u32_e32 vcc_lo, 0, v2
	s_and_b32 s31, vcc_lo, exec_lo
	s_delay_alu instid0(SALU_CYCLE_1)
	s_or_b32 s29, s29, s31
	s_or_b32 exec_lo, exec_lo, s30
	v_mov_b32_e32 v4, 0
	s_and_saveexec_b32 s30, s29
	s_cbranch_execnz .LBB38_681
	s_branch .LBB38_682
.LBB38_903:
	s_mov_b32 s28, -1
	s_mov_b32 s30, 0
.LBB38_904:
                                        ; implicit-def: $vgpr3
.LBB38_905:
	s_and_b32 vcc_lo, exec_lo, s31
	s_cbranch_vccz .LBB38_909
; %bb.906:
	s_cmp_eq_u32 s29, 44
	s_cbranch_scc0 .LBB38_908
; %bb.907:
	s_wait_loadcnt 0x0
	global_load_u8 v3, v[0:1], off
	s_mov_b32 s28, 0
	s_mov_b32 s30, -1
	s_wait_loadcnt 0x0
	v_lshlrev_b32_e32 v4, 23, v3
	v_cmp_ne_u32_e32 vcc_lo, 0, v3
	s_delay_alu instid0(VALU_DEP_2) | instskip(NEXT) | instid1(VALU_DEP_1)
	v_cvt_i32_f32_e32 v4, v4
	v_cndmask_b32_e32 v3, 0, v4, vcc_lo
	s_branch .LBB38_909
.LBB38_908:
	s_mov_b32 s28, -1
                                        ; implicit-def: $vgpr3
.LBB38_909:
	s_mov_b32 s31, 0
.LBB38_910:
	s_delay_alu instid0(SALU_CYCLE_1)
	s_and_b32 vcc_lo, exec_lo, s31
	s_cbranch_vccz .LBB38_914
; %bb.911:
	s_cmp_eq_u32 s29, 29
	s_cbranch_scc0 .LBB38_913
; %bb.912:
	s_wait_loadcnt 0x0
	global_load_b32 v3, v[0:1], off
	s_mov_b32 s30, -1
	s_mov_b32 s28, 0
	s_branch .LBB38_914
.LBB38_913:
	s_mov_b32 s28, -1
                                        ; implicit-def: $vgpr3
.LBB38_914:
	s_mov_b32 s31, 0
.LBB38_915:
	s_delay_alu instid0(SALU_CYCLE_1)
	s_and_b32 vcc_lo, exec_lo, s31
	s_cbranch_vccz .LBB38_931
; %bb.916:
	s_cmp_lt_i32 s29, 27
	s_cbranch_scc1 .LBB38_919
; %bb.917:
	s_cmp_gt_i32 s29, 27
	s_cbranch_scc0 .LBB38_920
; %bb.918:
	s_wait_loadcnt 0x0
	global_load_b32 v3, v[0:1], off
	s_mov_b32 s30, 0
	s_branch .LBB38_921
.LBB38_919:
	s_mov_b32 s30, -1
                                        ; implicit-def: $vgpr3
	s_branch .LBB38_924
.LBB38_920:
	s_mov_b32 s30, -1
                                        ; implicit-def: $vgpr3
.LBB38_921:
	s_delay_alu instid0(SALU_CYCLE_1)
	s_and_not1_b32 vcc_lo, exec_lo, s30
	s_cbranch_vccnz .LBB38_923
; %bb.922:
	s_wait_loadcnt 0x0
	global_load_u16 v3, v[0:1], off
.LBB38_923:
	s_mov_b32 s30, 0
.LBB38_924:
	s_delay_alu instid0(SALU_CYCLE_1)
	s_and_not1_b32 vcc_lo, exec_lo, s30
	s_cbranch_vccnz .LBB38_930
; %bb.925:
	global_load_u8 v4, v[0:1], off
	s_mov_b32 s31, 0
	s_mov_b32 s30, exec_lo
	s_wait_loadcnt 0x0
	v_cmpx_lt_i16_e32 0x7f, v4
	s_xor_b32 s30, exec_lo, s30
	s_cbranch_execz .LBB38_942
; %bb.926:
	v_cmp_ne_u16_e32 vcc_lo, 0x80, v4
	s_and_b32 s31, vcc_lo, exec_lo
	s_and_not1_saveexec_b32 s30, s30
	s_cbranch_execnz .LBB38_943
.LBB38_927:
	s_or_b32 exec_lo, exec_lo, s30
	v_mov_b32_e32 v3, 0
	s_and_saveexec_b32 s30, s31
	s_cbranch_execz .LBB38_929
.LBB38_928:
	v_and_b32_e32 v3, 0xffff, v4
	s_delay_alu instid0(VALU_DEP_1) | instskip(SKIP_1) | instid1(VALU_DEP_2)
	v_dual_lshlrev_b32 v4, 24, v4 :: v_dual_bitop2_b32 v5, 7, v3 bitop3:0x40
	v_bfe_u32 v9, v3, 3, 4
	v_and_b32_e32 v4, 0x80000000, v4
	s_delay_alu instid0(VALU_DEP_3) | instskip(NEXT) | instid1(VALU_DEP_3)
	v_clz_i32_u32_e32 v7, v5
	v_cmp_eq_u32_e32 vcc_lo, 0, v9
	s_delay_alu instid0(VALU_DEP_2) | instskip(NEXT) | instid1(VALU_DEP_1)
	v_min_u32_e32 v7, 32, v7
	v_subrev_nc_u32_e32 v8, 28, v7
	v_sub_nc_u32_e32 v7, 29, v7
	s_delay_alu instid0(VALU_DEP_2) | instskip(NEXT) | instid1(VALU_DEP_2)
	v_lshlrev_b32_e32 v3, v8, v3
	v_cndmask_b32_e32 v7, v9, v7, vcc_lo
	s_delay_alu instid0(VALU_DEP_2) | instskip(NEXT) | instid1(VALU_DEP_1)
	v_and_b32_e32 v3, 7, v3
	v_cndmask_b32_e32 v3, v5, v3, vcc_lo
	s_delay_alu instid0(VALU_DEP_3) | instskip(NEXT) | instid1(VALU_DEP_2)
	v_lshl_add_u32 v5, v7, 23, 0x3b800000
	v_lshlrev_b32_e32 v3, 20, v3
	s_delay_alu instid0(VALU_DEP_1) | instskip(NEXT) | instid1(VALU_DEP_1)
	v_or3_b32 v3, v4, v5, v3
	v_cvt_i32_f32_e32 v3, v3
.LBB38_929:
	s_or_b32 exec_lo, exec_lo, s30
.LBB38_930:
	s_mov_b32 s30, -1
.LBB38_931:
	s_mov_b32 s31, 0
.LBB38_932:
	s_delay_alu instid0(SALU_CYCLE_1)
	s_and_b32 vcc_lo, exec_lo, s31
	s_cbranch_vccz .LBB38_965
; %bb.933:
	s_cmp_gt_i32 s29, 22
	s_cbranch_scc0 .LBB38_941
; %bb.934:
	s_cmp_lt_i32 s29, 24
	s_cbranch_scc1 .LBB38_944
; %bb.935:
	s_cmp_gt_i32 s29, 24
	s_cbranch_scc0 .LBB38_945
; %bb.936:
	global_load_u8 v4, v[0:1], off
	s_mov_b32 s31, 0
	s_mov_b32 s30, exec_lo
	s_wait_loadcnt 0x0
	v_cmpx_lt_i16_e32 0x7f, v4
	s_xor_b32 s30, exec_lo, s30
	s_cbranch_execz .LBB38_957
; %bb.937:
	v_cmp_ne_u16_e32 vcc_lo, 0x80, v4
	s_and_b32 s31, vcc_lo, exec_lo
	s_and_not1_saveexec_b32 s30, s30
	s_cbranch_execnz .LBB38_958
.LBB38_938:
	s_or_b32 exec_lo, exec_lo, s30
	v_mov_b32_e32 v3, 0
	s_and_saveexec_b32 s30, s31
	s_cbranch_execz .LBB38_940
.LBB38_939:
	v_and_b32_e32 v3, 0xffff, v4
	s_delay_alu instid0(VALU_DEP_1) | instskip(SKIP_1) | instid1(VALU_DEP_2)
	v_dual_lshlrev_b32 v4, 24, v4 :: v_dual_bitop2_b32 v5, 3, v3 bitop3:0x40
	v_bfe_u32 v9, v3, 2, 5
	v_and_b32_e32 v4, 0x80000000, v4
	s_delay_alu instid0(VALU_DEP_3) | instskip(NEXT) | instid1(VALU_DEP_3)
	v_clz_i32_u32_e32 v7, v5
	v_cmp_eq_u32_e32 vcc_lo, 0, v9
	s_delay_alu instid0(VALU_DEP_2) | instskip(NEXT) | instid1(VALU_DEP_1)
	v_min_u32_e32 v7, 32, v7
	v_subrev_nc_u32_e32 v8, 29, v7
	v_sub_nc_u32_e32 v7, 30, v7
	s_delay_alu instid0(VALU_DEP_2) | instskip(NEXT) | instid1(VALU_DEP_2)
	v_lshlrev_b32_e32 v3, v8, v3
	v_cndmask_b32_e32 v7, v9, v7, vcc_lo
	s_delay_alu instid0(VALU_DEP_2) | instskip(NEXT) | instid1(VALU_DEP_1)
	v_and_b32_e32 v3, 3, v3
	v_cndmask_b32_e32 v3, v5, v3, vcc_lo
	s_delay_alu instid0(VALU_DEP_3) | instskip(NEXT) | instid1(VALU_DEP_2)
	v_lshl_add_u32 v5, v7, 23, 0x37800000
	v_lshlrev_b32_e32 v3, 21, v3
	s_delay_alu instid0(VALU_DEP_1) | instskip(NEXT) | instid1(VALU_DEP_1)
	v_or3_b32 v3, v4, v5, v3
	v_cvt_i32_f32_e32 v3, v3
.LBB38_940:
	s_or_b32 exec_lo, exec_lo, s30
	s_mov_b32 s30, 0
	s_branch .LBB38_946
.LBB38_941:
	s_mov_b32 s31, -1
                                        ; implicit-def: $vgpr3
	s_branch .LBB38_952
.LBB38_942:
	s_and_not1_saveexec_b32 s30, s30
	s_cbranch_execz .LBB38_927
.LBB38_943:
	v_cmp_ne_u16_e32 vcc_lo, 0, v4
	s_and_not1_b32 s31, s31, exec_lo
	s_and_b32 s33, vcc_lo, exec_lo
	s_delay_alu instid0(SALU_CYCLE_1)
	s_or_b32 s31, s31, s33
	s_or_b32 exec_lo, exec_lo, s30
	v_mov_b32_e32 v3, 0
	s_and_saveexec_b32 s30, s31
	s_cbranch_execnz .LBB38_928
	s_branch .LBB38_929
.LBB38_944:
	s_mov_b32 s30, -1
                                        ; implicit-def: $vgpr3
	s_branch .LBB38_949
.LBB38_945:
	s_mov_b32 s30, -1
                                        ; implicit-def: $vgpr3
.LBB38_946:
	s_delay_alu instid0(SALU_CYCLE_1)
	s_and_b32 vcc_lo, exec_lo, s30
	s_cbranch_vccz .LBB38_948
; %bb.947:
	s_wait_loadcnt 0x0
	global_load_u8 v3, v[0:1], off
	s_wait_loadcnt 0x0
	v_lshlrev_b32_e32 v3, 24, v3
	s_delay_alu instid0(VALU_DEP_1) | instskip(NEXT) | instid1(VALU_DEP_1)
	v_and_b32_e32 v4, 0x7f000000, v3
	v_clz_i32_u32_e32 v5, v4
	v_add_nc_u32_e32 v8, 0x1000000, v4
	v_cmp_ne_u32_e32 vcc_lo, 0, v4
	s_delay_alu instid0(VALU_DEP_3) | instskip(NEXT) | instid1(VALU_DEP_1)
	v_min_u32_e32 v5, 32, v5
	v_sub_nc_u32_e64 v5, v5, 4 clamp
	s_delay_alu instid0(VALU_DEP_1) | instskip(NEXT) | instid1(VALU_DEP_1)
	v_dual_lshlrev_b32 v7, v5, v4 :: v_dual_lshlrev_b32 v5, 23, v5
	v_lshrrev_b32_e32 v7, 4, v7
	s_delay_alu instid0(VALU_DEP_1) | instskip(NEXT) | instid1(VALU_DEP_1)
	v_dual_sub_nc_u32 v5, v7, v5 :: v_dual_ashrrev_i32 v7, 8, v8
	v_add_nc_u32_e32 v5, 0x3c000000, v5
	s_delay_alu instid0(VALU_DEP_1) | instskip(NEXT) | instid1(VALU_DEP_1)
	v_and_or_b32 v5, 0x7f800000, v7, v5
	v_cndmask_b32_e32 v4, 0, v5, vcc_lo
	s_delay_alu instid0(VALU_DEP_1) | instskip(NEXT) | instid1(VALU_DEP_1)
	v_and_or_b32 v3, 0x80000000, v3, v4
	v_cvt_i32_f32_e32 v3, v3
.LBB38_948:
	s_mov_b32 s30, 0
.LBB38_949:
	s_delay_alu instid0(SALU_CYCLE_1)
	s_and_not1_b32 vcc_lo, exec_lo, s30
	s_cbranch_vccnz .LBB38_951
; %bb.950:
	s_wait_loadcnt 0x0
	global_load_u8 v3, v[0:1], off
	s_wait_loadcnt 0x0
	v_lshlrev_b32_e32 v4, 25, v3
	v_lshlrev_b16 v3, 8, v3
	s_delay_alu instid0(VALU_DEP_1) | instskip(NEXT) | instid1(VALU_DEP_3)
	v_and_or_b32 v7, 0x7f00, v3, 0.5
	v_lshrrev_b32_e32 v5, 4, v4
	v_bfe_i32 v3, v3, 0, 16
	s_delay_alu instid0(VALU_DEP_3) | instskip(NEXT) | instid1(VALU_DEP_3)
	v_add_f32_e32 v7, -0.5, v7
	v_or_b32_e32 v5, 0x70000000, v5
	s_delay_alu instid0(VALU_DEP_1) | instskip(SKIP_1) | instid1(VALU_DEP_2)
	v_mul_f32_e32 v5, 0x7800000, v5
	v_cmp_gt_u32_e32 vcc_lo, 0x8000000, v4
	v_cndmask_b32_e32 v4, v5, v7, vcc_lo
	s_delay_alu instid0(VALU_DEP_1) | instskip(NEXT) | instid1(VALU_DEP_1)
	v_and_or_b32 v3, 0x80000000, v3, v4
	v_cvt_i32_f32_e32 v3, v3
.LBB38_951:
	s_mov_b32 s31, 0
	s_mov_b32 s30, -1
.LBB38_952:
	s_and_not1_b32 vcc_lo, exec_lo, s31
	s_cbranch_vccnz .LBB38_965
; %bb.953:
	s_cmp_gt_i32 s29, 14
	s_cbranch_scc0 .LBB38_956
; %bb.954:
	s_cmp_eq_u32 s29, 15
	s_cbranch_scc0 .LBB38_959
; %bb.955:
	s_wait_loadcnt 0x0
	global_load_u16 v3, v[0:1], off
	s_mov_b32 s30, -1
	s_mov_b32 s28, 0
	s_wait_loadcnt 0x0
	v_lshlrev_b32_e32 v3, 16, v3
	s_delay_alu instid0(VALU_DEP_1)
	v_cvt_i32_f32_e32 v3, v3
	s_branch .LBB38_960
.LBB38_956:
	s_mov_b32 s31, -1
                                        ; implicit-def: $vgpr3
	s_branch .LBB38_961
.LBB38_957:
	s_and_not1_saveexec_b32 s30, s30
	s_cbranch_execz .LBB38_938
.LBB38_958:
	v_cmp_ne_u16_e32 vcc_lo, 0, v4
	s_and_not1_b32 s31, s31, exec_lo
	s_and_b32 s33, vcc_lo, exec_lo
	s_delay_alu instid0(SALU_CYCLE_1)
	s_or_b32 s31, s31, s33
	s_or_b32 exec_lo, exec_lo, s30
	v_mov_b32_e32 v3, 0
	s_and_saveexec_b32 s30, s31
	s_cbranch_execnz .LBB38_939
	s_branch .LBB38_940
.LBB38_959:
	s_mov_b32 s28, -1
                                        ; implicit-def: $vgpr3
.LBB38_960:
	s_mov_b32 s31, 0
.LBB38_961:
	s_delay_alu instid0(SALU_CYCLE_1)
	s_and_b32 vcc_lo, exec_lo, s31
	s_cbranch_vccz .LBB38_965
; %bb.962:
	s_cmp_eq_u32 s29, 11
	s_cbranch_scc0 .LBB38_964
; %bb.963:
	s_wait_loadcnt 0x0
	global_load_u8 v3, v[0:1], off
	s_mov_b32 s28, 0
	s_mov_b32 s30, -1
	s_wait_loadcnt 0x0
	v_cmp_ne_u16_e32 vcc_lo, 0, v3
	v_cndmask_b32_e64 v3, 0, 1, vcc_lo
	s_branch .LBB38_965
.LBB38_964:
	s_mov_b32 s28, -1
                                        ; implicit-def: $vgpr3
.LBB38_965:
	s_mov_b32 s29, 0
.LBB38_966:
	s_delay_alu instid0(SALU_CYCLE_1)
	s_and_b32 vcc_lo, exec_lo, s29
	s_cbranch_vccz .LBB38_1015
; %bb.967:
	s_and_b32 s0, 0xffff, s0
	s_delay_alu instid0(SALU_CYCLE_1)
	s_cmp_lt_i32 s0, 5
	s_cbranch_scc1 .LBB38_972
; %bb.968:
	s_cmp_lt_i32 s0, 8
	s_cbranch_scc1 .LBB38_973
; %bb.969:
	s_cmp_lt_i32 s0, 9
	s_cbranch_scc1 .LBB38_974
; %bb.970:
	s_cmp_gt_i32 s0, 9
	s_cbranch_scc0 .LBB38_975
; %bb.971:
	global_load_b64 v[4:5], v[0:1], off
	s_mov_b32 s29, 0
	s_wait_loadcnt 0x0
	v_cvt_i32_f64_e32 v3, v[4:5]
	s_branch .LBB38_976
.LBB38_972:
	s_mov_b32 s29, -1
                                        ; implicit-def: $vgpr3
	s_branch .LBB38_994
.LBB38_973:
	s_mov_b32 s29, -1
                                        ; implicit-def: $vgpr3
	s_branch .LBB38_982
.LBB38_974:
	s_mov_b32 s29, -1
                                        ; implicit-def: $vgpr3
	s_branch .LBB38_979
.LBB38_975:
	s_mov_b32 s29, -1
                                        ; implicit-def: $vgpr3
.LBB38_976:
	s_delay_alu instid0(SALU_CYCLE_1)
	s_and_not1_b32 vcc_lo, exec_lo, s29
	s_cbranch_vccnz .LBB38_978
; %bb.977:
	s_wait_loadcnt 0x0
	global_load_b32 v3, v[0:1], off
	s_wait_loadcnt 0x0
	v_cvt_i32_f32_e32 v3, v3
.LBB38_978:
	s_mov_b32 s29, 0
.LBB38_979:
	s_delay_alu instid0(SALU_CYCLE_1)
	s_and_not1_b32 vcc_lo, exec_lo, s29
	s_cbranch_vccnz .LBB38_981
; %bb.980:
	s_wait_loadcnt 0x0
	global_load_b32 v3, v[0:1], off
	s_wait_loadcnt 0x0
	v_cvt_f32_f16_e32 v3, v3
	s_delay_alu instid0(VALU_DEP_1)
	v_cvt_i32_f32_e32 v3, v3
.LBB38_981:
	s_mov_b32 s29, 0
.LBB38_982:
	s_delay_alu instid0(SALU_CYCLE_1)
	s_and_not1_b32 vcc_lo, exec_lo, s29
	s_cbranch_vccnz .LBB38_993
; %bb.983:
	s_cmp_lt_i32 s0, 6
	s_cbranch_scc1 .LBB38_986
; %bb.984:
	s_cmp_gt_i32 s0, 6
	s_cbranch_scc0 .LBB38_987
; %bb.985:
	global_load_b64 v[4:5], v[0:1], off
	s_mov_b32 s29, 0
	s_wait_loadcnt 0x0
	v_cvt_i32_f64_e32 v3, v[4:5]
	s_branch .LBB38_988
.LBB38_986:
	s_mov_b32 s29, -1
                                        ; implicit-def: $vgpr3
	s_branch .LBB38_991
.LBB38_987:
	s_mov_b32 s29, -1
                                        ; implicit-def: $vgpr3
.LBB38_988:
	s_delay_alu instid0(SALU_CYCLE_1)
	s_and_not1_b32 vcc_lo, exec_lo, s29
	s_cbranch_vccnz .LBB38_990
; %bb.989:
	s_wait_loadcnt 0x0
	global_load_b32 v3, v[0:1], off
	s_wait_loadcnt 0x0
	v_cvt_i32_f32_e32 v3, v3
.LBB38_990:
	s_mov_b32 s29, 0
.LBB38_991:
	s_delay_alu instid0(SALU_CYCLE_1)
	s_and_not1_b32 vcc_lo, exec_lo, s29
	s_cbranch_vccnz .LBB38_993
; %bb.992:
	s_wait_loadcnt 0x0
	global_load_u16 v3, v[0:1], off
	s_wait_loadcnt 0x0
	v_cvt_f32_f16_e32 v3, v3
	s_delay_alu instid0(VALU_DEP_1)
	v_cvt_i32_f32_e32 v3, v3
.LBB38_993:
	s_mov_b32 s29, 0
.LBB38_994:
	s_delay_alu instid0(SALU_CYCLE_1)
	s_and_not1_b32 vcc_lo, exec_lo, s29
	s_cbranch_vccnz .LBB38_1014
; %bb.995:
	s_cmp_lt_i32 s0, 2
	s_cbranch_scc1 .LBB38_999
; %bb.996:
	s_cmp_lt_i32 s0, 3
	s_cbranch_scc1 .LBB38_1000
; %bb.997:
	s_cmp_gt_i32 s0, 3
	s_cbranch_scc0 .LBB38_1001
; %bb.998:
	s_wait_loadcnt 0x0
	global_load_b32 v3, v[0:1], off
	s_mov_b32 s29, 0
	s_branch .LBB38_1002
.LBB38_999:
	s_mov_b32 s29, -1
                                        ; implicit-def: $vgpr3
	s_branch .LBB38_1008
.LBB38_1000:
	s_mov_b32 s29, -1
                                        ; implicit-def: $vgpr3
	s_branch .LBB38_1005
.LBB38_1001:
	s_mov_b32 s29, -1
                                        ; implicit-def: $vgpr3
.LBB38_1002:
	s_delay_alu instid0(SALU_CYCLE_1)
	s_and_not1_b32 vcc_lo, exec_lo, s29
	s_cbranch_vccnz .LBB38_1004
; %bb.1003:
	s_wait_loadcnt 0x0
	global_load_b32 v3, v[0:1], off
.LBB38_1004:
	s_mov_b32 s29, 0
.LBB38_1005:
	s_delay_alu instid0(SALU_CYCLE_1)
	s_and_not1_b32 vcc_lo, exec_lo, s29
	s_cbranch_vccnz .LBB38_1007
; %bb.1006:
	s_wait_loadcnt 0x0
	global_load_i16 v3, v[0:1], off
.LBB38_1007:
	s_mov_b32 s29, 0
.LBB38_1008:
	s_delay_alu instid0(SALU_CYCLE_1)
	s_and_not1_b32 vcc_lo, exec_lo, s29
	s_cbranch_vccnz .LBB38_1014
; %bb.1009:
	s_cmp_gt_i32 s0, 0
	s_mov_b32 s0, 0
	s_cbranch_scc0 .LBB38_1011
; %bb.1010:
	s_wait_loadcnt 0x0
	global_load_i8 v3, v[0:1], off
	s_branch .LBB38_1012
.LBB38_1011:
	s_mov_b32 s0, -1
                                        ; implicit-def: $vgpr3
.LBB38_1012:
	s_delay_alu instid0(SALU_CYCLE_1)
	s_and_not1_b32 vcc_lo, exec_lo, s0
	s_cbranch_vccnz .LBB38_1014
; %bb.1013:
	s_wait_loadcnt 0x0
	global_load_u8 v3, v[0:1], off
.LBB38_1014:
	s_mov_b32 s30, -1
.LBB38_1015:
	s_delay_alu instid0(SALU_CYCLE_1)
	s_and_not1_b32 vcc_lo, exec_lo, s30
	s_cbranch_vccnz .LBB38_1023
; %bb.1016:
	s_wait_xcnt 0x0
	v_mul_lo_u32 v0, v6, s8
	s_wait_loadcnt 0x0
	s_delay_alu instid0(VALU_DEP_2) | instskip(SKIP_3) | instid1(VALU_DEP_2)
	v_cmp_ne_u32_e32 vcc_lo, v2, v3
	s_and_b32 s30, s12, 0xff
	s_xor_b32 s29, s16, vcc_lo
	s_cmp_lt_i32 s30, 11
	v_ashrrev_i32_e32 v1, 31, v0
	s_delay_alu instid0(VALU_DEP_1)
	v_add_nc_u64_e32 v[0:1], s[4:5], v[0:1]
	s_cbranch_scc1 .LBB38_1024
; %bb.1017:
	s_and_b32 s31, 0xffff, s30
	s_delay_alu instid0(SALU_CYCLE_1)
	s_cmp_gt_i32 s31, 25
	s_cbranch_scc0 .LBB38_1025
; %bb.1018:
	s_cmp_gt_i32 s31, 28
	s_cbranch_scc0 .LBB38_1026
; %bb.1019:
	;; [unrolled: 3-line block ×4, first 2 shown]
	s_mov_b32 s34, 0
	s_mov_b32 s0, -1
	s_cmp_eq_u32 s31, 46
	s_mov_b32 s33, 0
	s_cbranch_scc0 .LBB38_1029
; %bb.1022:
	v_cndmask_b32_e64 v2, 0, 1.0, s29
	s_mov_b32 s33, -1
	s_mov_b32 s0, 0
	s_delay_alu instid0(VALU_DEP_1) | instskip(NEXT) | instid1(VALU_DEP_1)
	v_bfe_u32 v3, v2, 16, 1
	v_add3_u32 v2, v2, v3, 0x7fff
	s_delay_alu instid0(VALU_DEP_1)
	v_lshrrev_b32_e32 v2, 16, v2
	global_store_b32 v[0:1], v2, off
	s_branch .LBB38_1029
.LBB38_1023:
	s_mov_b32 s30, 0
	s_mov_b32 s0, s23
	s_branch .LBB38_1140
.LBB38_1024:
	s_mov_b32 s31, -1
	s_mov_b32 s33, 0
	s_mov_b32 s0, s23
	s_branch .LBB38_1098
.LBB38_1025:
	s_mov_b32 s33, 0
	s_mov_b32 s0, s23
	s_branch .LBB38_1056
.LBB38_1026:
	s_mov_b32 s33, 0
	s_mov_b32 s0, s23
	s_branch .LBB38_1039
.LBB38_1027:
	s_mov_b32 s33, 0
	s_mov_b32 s0, s23
	s_branch .LBB38_1035
.LBB38_1028:
	s_mov_b32 s33, 0
	s_mov_b32 s0, s23
.LBB38_1029:
	s_and_b32 vcc_lo, exec_lo, s34
	s_cbranch_vccz .LBB38_1034
; %bb.1030:
	s_cmp_eq_u32 s31, 44
	s_mov_b32 s0, -1
	s_cbranch_scc0 .LBB38_1034
; %bb.1031:
	v_cndmask_b32_e64 v4, 0, 1.0, s29
	s_mov_b32 s33, exec_lo
	s_wait_xcnt 0x0
	s_delay_alu instid0(VALU_DEP_1) | instskip(NEXT) | instid1(VALU_DEP_1)
	v_dual_mov_b32 v3, 0xff :: v_dual_lshrrev_b32 v2, 23, v4
	v_cmpx_ne_u32_e32 0xff, v2
; %bb.1032:
	v_and_b32_e32 v3, 0x400000, v4
	v_and_or_b32 v4, 0x3fffff, v4, v2
	s_delay_alu instid0(VALU_DEP_2) | instskip(NEXT) | instid1(VALU_DEP_2)
	v_cmp_ne_u32_e32 vcc_lo, 0, v3
	v_cmp_ne_u32_e64 s0, 0, v4
	s_and_b32 s0, vcc_lo, s0
	s_delay_alu instid0(SALU_CYCLE_1) | instskip(NEXT) | instid1(VALU_DEP_1)
	v_cndmask_b32_e64 v3, 0, 1, s0
	v_add_nc_u32_e32 v3, v2, v3
; %bb.1033:
	s_or_b32 exec_lo, exec_lo, s33
	s_mov_b32 s33, -1
	s_mov_b32 s0, 0
	global_store_b8 v[0:1], v3, off
.LBB38_1034:
	s_mov_b32 s34, 0
.LBB38_1035:
	s_delay_alu instid0(SALU_CYCLE_1)
	s_and_b32 vcc_lo, exec_lo, s34
	s_cbranch_vccz .LBB38_1038
; %bb.1036:
	s_cmp_eq_u32 s31, 29
	s_mov_b32 s0, -1
	s_cbranch_scc0 .LBB38_1038
; %bb.1037:
	s_mov_b32 s0, 0
	s_wait_xcnt 0x0
	v_cndmask_b32_e64 v2, 0, 1, s29
	v_mov_b32_e32 v3, s0
	s_mov_b32 s33, -1
	s_mov_b32 s34, 0
	global_store_b64 v[0:1], v[2:3], off
	s_branch .LBB38_1039
.LBB38_1038:
	s_mov_b32 s34, 0
.LBB38_1039:
	s_delay_alu instid0(SALU_CYCLE_1)
	s_and_b32 vcc_lo, exec_lo, s34
	s_cbranch_vccz .LBB38_1055
; %bb.1040:
	s_cmp_lt_i32 s31, 27
	s_mov_b32 s33, -1
	s_cbranch_scc1 .LBB38_1046
; %bb.1041:
	s_cmp_gt_i32 s31, 27
	s_cbranch_scc0 .LBB38_1043
; %bb.1042:
	s_wait_xcnt 0x0
	v_cndmask_b32_e64 v2, 0, 1, s29
	s_mov_b32 s33, 0
	global_store_b32 v[0:1], v2, off
.LBB38_1043:
	s_and_not1_b32 vcc_lo, exec_lo, s33
	s_cbranch_vccnz .LBB38_1045
; %bb.1044:
	s_wait_xcnt 0x0
	v_cndmask_b32_e64 v2, 0, 1, s29
	global_store_b16 v[0:1], v2, off
.LBB38_1045:
	s_mov_b32 s33, 0
.LBB38_1046:
	s_delay_alu instid0(SALU_CYCLE_1)
	s_and_not1_b32 vcc_lo, exec_lo, s33
	s_cbranch_vccnz .LBB38_1054
; %bb.1047:
	s_wait_xcnt 0x0
	v_cndmask_b32_e64 v3, 0, 1.0, s29
	v_mov_b32_e32 v4, 0x80
	s_mov_b32 s33, exec_lo
	s_delay_alu instid0(VALU_DEP_2)
	v_cmpx_gt_u32_e32 0x43800000, v3
	s_cbranch_execz .LBB38_1053
; %bb.1048:
	s_mov_b32 s34, 0
	s_mov_b32 s35, exec_lo
                                        ; implicit-def: $vgpr2
	v_cmpx_lt_u32_e32 0x3bffffff, v3
	s_xor_b32 s35, exec_lo, s35
	s_cbranch_execz .LBB38_1156
; %bb.1049:
	v_bfe_u32 v2, v3, 20, 1
	s_mov_b32 s34, exec_lo
	s_delay_alu instid0(VALU_DEP_1) | instskip(NEXT) | instid1(VALU_DEP_1)
	v_add3_u32 v2, v3, v2, 0x487ffff
                                        ; implicit-def: $vgpr3
	v_lshrrev_b32_e32 v2, 20, v2
	s_and_not1_saveexec_b32 s35, s35
	s_cbranch_execnz .LBB38_1157
.LBB38_1050:
	s_or_b32 exec_lo, exec_lo, s35
	v_mov_b32_e32 v4, 0
	s_and_saveexec_b32 s35, s34
.LBB38_1051:
	v_mov_b32_e32 v4, v2
.LBB38_1052:
	s_or_b32 exec_lo, exec_lo, s35
.LBB38_1053:
	s_delay_alu instid0(SALU_CYCLE_1)
	s_or_b32 exec_lo, exec_lo, s33
	global_store_b8 v[0:1], v4, off
.LBB38_1054:
	s_mov_b32 s33, -1
.LBB38_1055:
	s_mov_b32 s34, 0
.LBB38_1056:
	s_delay_alu instid0(SALU_CYCLE_1)
	s_and_b32 vcc_lo, exec_lo, s34
	s_cbranch_vccz .LBB38_1097
; %bb.1057:
	s_cmp_gt_i32 s31, 22
	s_mov_b32 s34, -1
	s_cbranch_scc0 .LBB38_1089
; %bb.1058:
	s_cmp_lt_i32 s31, 24
	s_mov_b32 s33, -1
	s_cbranch_scc1 .LBB38_1078
; %bb.1059:
	s_cmp_gt_i32 s31, 24
	s_cbranch_scc0 .LBB38_1067
; %bb.1060:
	s_wait_xcnt 0x0
	v_cndmask_b32_e64 v3, 0, 1.0, s29
	v_mov_b32_e32 v4, 0x80
	s_mov_b32 s33, exec_lo
	s_delay_alu instid0(VALU_DEP_2)
	v_cmpx_gt_u32_e32 0x47800000, v3
	s_cbranch_execz .LBB38_1066
; %bb.1061:
	s_mov_b32 s34, 0
	s_mov_b32 s35, exec_lo
                                        ; implicit-def: $vgpr2
	v_cmpx_lt_u32_e32 0x37ffffff, v3
	s_xor_b32 s35, exec_lo, s35
	s_cbranch_execz .LBB38_2155
; %bb.1062:
	v_bfe_u32 v2, v3, 21, 1
	s_mov_b32 s34, exec_lo
	s_delay_alu instid0(VALU_DEP_1) | instskip(NEXT) | instid1(VALU_DEP_1)
	v_add3_u32 v2, v3, v2, 0x88fffff
                                        ; implicit-def: $vgpr3
	v_lshrrev_b32_e32 v2, 21, v2
	s_and_not1_saveexec_b32 s35, s35
	s_cbranch_execnz .LBB38_2156
.LBB38_1063:
	s_or_b32 exec_lo, exec_lo, s35
	v_mov_b32_e32 v4, 0
	s_and_saveexec_b32 s35, s34
.LBB38_1064:
	v_mov_b32_e32 v4, v2
.LBB38_1065:
	s_or_b32 exec_lo, exec_lo, s35
.LBB38_1066:
	s_delay_alu instid0(SALU_CYCLE_1)
	s_or_b32 exec_lo, exec_lo, s33
	s_mov_b32 s33, 0
	global_store_b8 v[0:1], v4, off
.LBB38_1067:
	s_and_b32 vcc_lo, exec_lo, s33
	s_cbranch_vccz .LBB38_1077
; %bb.1068:
	s_wait_xcnt 0x0
	v_cndmask_b32_e64 v3, 0, 1.0, s29
	s_mov_b32 s33, exec_lo
                                        ; implicit-def: $vgpr2
	s_delay_alu instid0(VALU_DEP_1)
	v_cmpx_gt_u32_e32 0x43f00000, v3
	s_xor_b32 s33, exec_lo, s33
	s_cbranch_execz .LBB38_1074
; %bb.1069:
	s_mov_b32 s34, exec_lo
                                        ; implicit-def: $vgpr2
	v_cmpx_lt_u32_e32 0x3c7fffff, v3
	s_xor_b32 s34, exec_lo, s34
; %bb.1070:
	v_bfe_u32 v2, v3, 20, 1
	s_delay_alu instid0(VALU_DEP_1) | instskip(NEXT) | instid1(VALU_DEP_1)
	v_add3_u32 v2, v3, v2, 0x407ffff
	v_and_b32_e32 v3, 0xff00000, v2
	v_lshrrev_b32_e32 v2, 20, v2
	s_delay_alu instid0(VALU_DEP_2) | instskip(NEXT) | instid1(VALU_DEP_2)
	v_cmp_ne_u32_e32 vcc_lo, 0x7f00000, v3
                                        ; implicit-def: $vgpr3
	v_cndmask_b32_e32 v2, 0x7e, v2, vcc_lo
; %bb.1071:
	s_and_not1_saveexec_b32 s34, s34
; %bb.1072:
	v_add_f32_e32 v2, 0x46800000, v3
; %bb.1073:
	s_or_b32 exec_lo, exec_lo, s34
                                        ; implicit-def: $vgpr3
.LBB38_1074:
	s_and_not1_saveexec_b32 s33, s33
; %bb.1075:
	v_mov_b32_e32 v2, 0x7f
	v_cmp_lt_u32_e32 vcc_lo, 0x7f800000, v3
	s_delay_alu instid0(VALU_DEP_2)
	v_cndmask_b32_e32 v2, 0x7e, v2, vcc_lo
; %bb.1076:
	s_or_b32 exec_lo, exec_lo, s33
	global_store_b8 v[0:1], v2, off
.LBB38_1077:
	s_mov_b32 s33, 0
.LBB38_1078:
	s_delay_alu instid0(SALU_CYCLE_1)
	s_and_not1_b32 vcc_lo, exec_lo, s33
	s_cbranch_vccnz .LBB38_1088
; %bb.1079:
	s_wait_xcnt 0x0
	v_cndmask_b32_e64 v3, 0, 1.0, s29
	s_mov_b32 s33, exec_lo
                                        ; implicit-def: $vgpr2
	s_delay_alu instid0(VALU_DEP_1)
	v_cmpx_gt_u32_e32 0x47800000, v3
	s_xor_b32 s33, exec_lo, s33
	s_cbranch_execz .LBB38_1085
; %bb.1080:
	s_mov_b32 s34, exec_lo
                                        ; implicit-def: $vgpr2
	v_cmpx_lt_u32_e32 0x387fffff, v3
	s_xor_b32 s34, exec_lo, s34
; %bb.1081:
	v_bfe_u32 v2, v3, 21, 1
	s_delay_alu instid0(VALU_DEP_1) | instskip(NEXT) | instid1(VALU_DEP_1)
	v_add3_u32 v2, v3, v2, 0x80fffff
                                        ; implicit-def: $vgpr3
	v_lshrrev_b32_e32 v2, 21, v2
; %bb.1082:
	s_and_not1_saveexec_b32 s34, s34
; %bb.1083:
	v_add_f32_e32 v2, 0x43000000, v3
; %bb.1084:
	s_or_b32 exec_lo, exec_lo, s34
                                        ; implicit-def: $vgpr3
.LBB38_1085:
	s_and_not1_saveexec_b32 s33, s33
; %bb.1086:
	v_mov_b32_e32 v2, 0x7f
	v_cmp_lt_u32_e32 vcc_lo, 0x7f800000, v3
	s_delay_alu instid0(VALU_DEP_2)
	v_cndmask_b32_e32 v2, 0x7c, v2, vcc_lo
; %bb.1087:
	s_or_b32 exec_lo, exec_lo, s33
	global_store_b8 v[0:1], v2, off
.LBB38_1088:
	s_mov_b32 s34, 0
	s_mov_b32 s33, -1
.LBB38_1089:
	s_and_not1_b32 vcc_lo, exec_lo, s34
	s_cbranch_vccnz .LBB38_1097
; %bb.1090:
	s_cmp_gt_i32 s31, 14
	s_mov_b32 s34, -1
	s_cbranch_scc0 .LBB38_1094
; %bb.1091:
	s_cmp_eq_u32 s31, 15
	s_mov_b32 s0, -1
	s_cbranch_scc0 .LBB38_1093
; %bb.1092:
	s_wait_xcnt 0x0
	v_cndmask_b32_e64 v2, 0, 1.0, s29
	s_mov_b32 s33, -1
	s_mov_b32 s0, 0
	s_delay_alu instid0(VALU_DEP_1) | instskip(NEXT) | instid1(VALU_DEP_1)
	v_bfe_u32 v3, v2, 16, 1
	v_add3_u32 v2, v2, v3, 0x7fff
	global_store_d16_hi_b16 v[0:1], v2, off
.LBB38_1093:
	s_mov_b32 s34, 0
.LBB38_1094:
	s_delay_alu instid0(SALU_CYCLE_1)
	s_and_b32 vcc_lo, exec_lo, s34
	s_cbranch_vccz .LBB38_1097
; %bb.1095:
	s_cmp_eq_u32 s31, 11
	s_mov_b32 s0, -1
	s_cbranch_scc0 .LBB38_1097
; %bb.1096:
	s_wait_xcnt 0x0
	v_cndmask_b32_e64 v2, 0, 1, s29
	s_mov_b32 s33, -1
	s_mov_b32 s0, 0
	global_store_b8 v[0:1], v2, off
.LBB38_1097:
	s_mov_b32 s31, 0
.LBB38_1098:
	s_delay_alu instid0(SALU_CYCLE_1)
	s_and_b32 vcc_lo, exec_lo, s31
	s_cbranch_vccz .LBB38_1137
; %bb.1099:
	s_and_b32 s30, 0xffff, s30
	s_mov_b32 s31, -1
	s_cmp_lt_i32 s30, 5
	s_cbranch_scc1 .LBB38_1120
; %bb.1100:
	s_cmp_lt_i32 s30, 8
	s_cbranch_scc1 .LBB38_1110
; %bb.1101:
	;; [unrolled: 3-line block ×3, first 2 shown]
	s_cmp_gt_i32 s30, 9
	s_cbranch_scc0 .LBB38_1104
; %bb.1103:
	s_wait_xcnt 0x0
	v_cndmask_b32_e64 v2, 0, 1, s29
	v_mov_b32_e32 v4, 0
	s_mov_b32 s31, 0
	s_delay_alu instid0(VALU_DEP_2) | instskip(NEXT) | instid1(VALU_DEP_2)
	v_cvt_f64_u32_e32 v[2:3], v2
	v_mov_b32_e32 v5, v4
	global_store_b128 v[0:1], v[2:5], off
.LBB38_1104:
	s_and_not1_b32 vcc_lo, exec_lo, s31
	s_cbranch_vccnz .LBB38_1106
; %bb.1105:
	s_wait_xcnt 0x0
	v_cndmask_b32_e64 v2, 0, 1.0, s29
	v_mov_b32_e32 v3, 0
	global_store_b64 v[0:1], v[2:3], off
.LBB38_1106:
	s_mov_b32 s31, 0
.LBB38_1107:
	s_delay_alu instid0(SALU_CYCLE_1)
	s_and_not1_b32 vcc_lo, exec_lo, s31
	s_cbranch_vccnz .LBB38_1109
; %bb.1108:
	s_wait_xcnt 0x0
	v_cndmask_b32_e64 v2, 0, 1.0, s29
	s_delay_alu instid0(VALU_DEP_1) | instskip(NEXT) | instid1(VALU_DEP_1)
	v_cvt_f16_f32_e32 v2, v2
	v_and_b32_e32 v2, 0xffff, v2
	global_store_b32 v[0:1], v2, off
.LBB38_1109:
	s_mov_b32 s31, 0
.LBB38_1110:
	s_delay_alu instid0(SALU_CYCLE_1)
	s_and_not1_b32 vcc_lo, exec_lo, s31
	s_cbranch_vccnz .LBB38_1119
; %bb.1111:
	s_cmp_lt_i32 s30, 6
	s_mov_b32 s31, -1
	s_cbranch_scc1 .LBB38_1117
; %bb.1112:
	s_cmp_gt_i32 s30, 6
	s_cbranch_scc0 .LBB38_1114
; %bb.1113:
	s_wait_xcnt 0x0
	v_cndmask_b32_e64 v2, 0, 1, s29
	s_mov_b32 s31, 0
	s_delay_alu instid0(VALU_DEP_1)
	v_cvt_f64_u32_e32 v[2:3], v2
	global_store_b64 v[0:1], v[2:3], off
.LBB38_1114:
	s_and_not1_b32 vcc_lo, exec_lo, s31
	s_cbranch_vccnz .LBB38_1116
; %bb.1115:
	s_wait_xcnt 0x0
	v_cndmask_b32_e64 v2, 0, 1.0, s29
	global_store_b32 v[0:1], v2, off
.LBB38_1116:
	s_mov_b32 s31, 0
.LBB38_1117:
	s_delay_alu instid0(SALU_CYCLE_1)
	s_and_not1_b32 vcc_lo, exec_lo, s31
	s_cbranch_vccnz .LBB38_1119
; %bb.1118:
	s_wait_xcnt 0x0
	v_cndmask_b32_e64 v2, 0, 1.0, s29
	s_delay_alu instid0(VALU_DEP_1)
	v_cvt_f16_f32_e32 v2, v2
	global_store_b16 v[0:1], v2, off
.LBB38_1119:
	s_mov_b32 s31, 0
.LBB38_1120:
	s_delay_alu instid0(SALU_CYCLE_1)
	s_and_not1_b32 vcc_lo, exec_lo, s31
	s_cbranch_vccnz .LBB38_1136
; %bb.1121:
	s_cmp_lt_i32 s30, 2
	s_mov_b32 s31, -1
	s_cbranch_scc1 .LBB38_1131
; %bb.1122:
	s_cmp_lt_i32 s30, 3
	s_cbranch_scc1 .LBB38_1128
; %bb.1123:
	s_cmp_gt_i32 s30, 3
	s_cbranch_scc0 .LBB38_1125
; %bb.1124:
	s_mov_b32 s31, 0
	s_wait_xcnt 0x0
	v_cndmask_b32_e64 v2, 0, 1, s29
	v_mov_b32_e32 v3, s31
	global_store_b64 v[0:1], v[2:3], off
.LBB38_1125:
	s_and_not1_b32 vcc_lo, exec_lo, s31
	s_cbranch_vccnz .LBB38_1127
; %bb.1126:
	s_wait_xcnt 0x0
	v_cndmask_b32_e64 v2, 0, 1, s29
	global_store_b32 v[0:1], v2, off
.LBB38_1127:
	s_mov_b32 s31, 0
.LBB38_1128:
	s_delay_alu instid0(SALU_CYCLE_1)
	s_and_not1_b32 vcc_lo, exec_lo, s31
	s_cbranch_vccnz .LBB38_1130
; %bb.1129:
	s_wait_xcnt 0x0
	v_cndmask_b32_e64 v2, 0, 1, s29
	global_store_b16 v[0:1], v2, off
.LBB38_1130:
	s_mov_b32 s31, 0
.LBB38_1131:
	s_delay_alu instid0(SALU_CYCLE_1)
	s_and_not1_b32 vcc_lo, exec_lo, s31
	s_cbranch_vccnz .LBB38_1136
; %bb.1132:
	s_wait_xcnt 0x0
	v_cndmask_b32_e64 v2, 0, 1, s29
	s_cmp_gt_i32 s30, 0
	s_mov_b32 s29, -1
	s_cbranch_scc0 .LBB38_1134
; %bb.1133:
	s_mov_b32 s29, 0
	global_store_b8 v[0:1], v2, off
.LBB38_1134:
	s_and_not1_b32 vcc_lo, exec_lo, s29
	s_cbranch_vccnz .LBB38_1136
; %bb.1135:
	global_store_b8 v[0:1], v2, off
.LBB38_1136:
	s_mov_b32 s33, -1
.LBB38_1137:
	s_delay_alu instid0(SALU_CYCLE_1)
	s_and_not1_b32 vcc_lo, exec_lo, s33
	s_cbranch_vccnz .LBB38_1139
; %bb.1138:
	v_add_nc_u32_e32 v6, 0x80, v6
	s_mov_b32 s30, -1
	s_branch .LBB38_1141
.LBB38_1139:
	s_mov_b32 s30, 0
.LBB38_1140:
                                        ; implicit-def: $vgpr6
.LBB38_1141:
	s_and_not1_b32 s29, s23, exec_lo
	s_and_b32 s0, s0, exec_lo
	s_and_b32 s28, s28, exec_lo
	s_or_b32 s29, s29, s0
	s_and_not1_b32 s0, s24, exec_lo
	s_and_not1_b32 s31, s22, exec_lo
	s_and_b32 s27, s27, exec_lo
	s_or_b32 s28, s0, s28
	s_or_b32 s27, s31, s27
	s_or_not1_b32 s34, s30, exec_lo
.LBB38_1142:
	s_wait_xcnt 0x0
	s_or_b32 exec_lo, exec_lo, s26
	s_mov_b32 s30, 0
	s_mov_b32 s31, 0
	;; [unrolled: 1-line block ×3, first 2 shown]
                                        ; implicit-def: $sgpr0
                                        ; implicit-def: $vgpr0_vgpr1
                                        ; implicit-def: $vgpr2
	s_and_saveexec_b32 s26, s34
	s_cbranch_execz .LBB38_1221
; %bb.1143:
	v_cmp_gt_i32_e32 vcc_lo, s17, v6
	s_mov_b32 s34, s27
	s_mov_b32 s35, 0
                                        ; implicit-def: $sgpr0
                                        ; implicit-def: $vgpr0_vgpr1
                                        ; implicit-def: $vgpr2
	s_and_saveexec_b32 s17, vcc_lo
	s_cbranch_execz .LBB38_1220
; %bb.1144:
	v_mul_lo_u32 v0, v6, s9
	s_and_b32 s0, s14, 0xff
	s_delay_alu instid0(SALU_CYCLE_1) | instskip(NEXT) | instid1(VALU_DEP_1)
	s_cmp_lt_i32 s0, 11
	v_ashrrev_i32_e32 v1, 31, v0
	s_delay_alu instid0(VALU_DEP_1)
	v_add_nc_u64_e32 v[0:1], s[6:7], v[0:1]
	s_cbranch_scc1 .LBB38_1151
; %bb.1145:
	s_and_b32 s31, 0xffff, s0
	s_delay_alu instid0(SALU_CYCLE_1)
	s_cmp_gt_i32 s31, 25
	s_cbranch_scc0 .LBB38_1152
; %bb.1146:
	s_cmp_gt_i32 s31, 28
	s_cbranch_scc0 .LBB38_1153
; %bb.1147:
	;; [unrolled: 3-line block ×4, first 2 shown]
	s_cmp_eq_u32 s31, 46
	s_cbranch_scc0 .LBB38_1158
; %bb.1150:
	s_wait_loadcnt 0x0
	global_load_b32 v2, v[0:1], off
	s_mov_b32 s34, -1
	s_wait_loadcnt 0x0
	v_lshlrev_b32_e32 v2, 16, v2
	s_delay_alu instid0(VALU_DEP_1)
	v_cvt_i32_f32_e32 v2, v2
	s_branch .LBB38_1160
.LBB38_1151:
	s_mov_b32 s31, -1
	s_mov_b32 s34, 0
	s_mov_b32 s30, s27
                                        ; implicit-def: $vgpr2
	s_branch .LBB38_1219
.LBB38_1152:
	s_mov_b32 s35, -1
	s_mov_b32 s34, 0
	s_mov_b32 s30, s27
                                        ; implicit-def: $vgpr2
	s_branch .LBB38_1187
.LBB38_1153:
	s_mov_b32 s35, -1
	s_mov_b32 s34, 0
	s_mov_b32 s30, s27
                                        ; implicit-def: $vgpr2
	s_branch .LBB38_1170
.LBB38_1154:
	s_mov_b32 s35, -1
	s_mov_b32 s34, 0
	s_mov_b32 s30, s27
                                        ; implicit-def: $vgpr2
	s_branch .LBB38_1165
.LBB38_1155:
	s_mov_b32 s35, -1
	s_mov_b32 s34, 0
	s_mov_b32 s30, s27
	s_branch .LBB38_1159
.LBB38_1156:
	s_and_not1_saveexec_b32 s35, s35
	s_cbranch_execz .LBB38_1050
.LBB38_1157:
	v_add_f32_e32 v2, 0x46000000, v3
	s_and_not1_b32 s34, s34, exec_lo
	s_delay_alu instid0(VALU_DEP_1) | instskip(NEXT) | instid1(VALU_DEP_1)
	v_and_b32_e32 v2, 0xff, v2
	v_cmp_ne_u32_e32 vcc_lo, 0, v2
	s_and_b32 s36, vcc_lo, exec_lo
	s_delay_alu instid0(SALU_CYCLE_1)
	s_or_b32 s34, s34, s36
	s_or_b32 exec_lo, exec_lo, s35
	v_mov_b32_e32 v4, 0
	s_and_saveexec_b32 s35, s34
	s_cbranch_execnz .LBB38_1051
	s_branch .LBB38_1052
.LBB38_1158:
	s_mov_b32 s30, -1
	s_mov_b32 s34, 0
.LBB38_1159:
                                        ; implicit-def: $vgpr2
.LBB38_1160:
	s_and_b32 vcc_lo, exec_lo, s35
	s_cbranch_vccz .LBB38_1164
; %bb.1161:
	s_cmp_eq_u32 s31, 44
	s_cbranch_scc0 .LBB38_1163
; %bb.1162:
	s_wait_loadcnt 0x0
	global_load_u8 v2, v[0:1], off
	s_mov_b32 s30, 0
	s_mov_b32 s34, -1
	s_wait_loadcnt 0x0
	v_lshlrev_b32_e32 v3, 23, v2
	v_cmp_ne_u32_e32 vcc_lo, 0, v2
	s_delay_alu instid0(VALU_DEP_2) | instskip(NEXT) | instid1(VALU_DEP_1)
	v_cvt_i32_f32_e32 v3, v3
	v_cndmask_b32_e32 v2, 0, v3, vcc_lo
	s_branch .LBB38_1164
.LBB38_1163:
	s_mov_b32 s30, -1
                                        ; implicit-def: $vgpr2
.LBB38_1164:
	s_mov_b32 s35, 0
.LBB38_1165:
	s_delay_alu instid0(SALU_CYCLE_1)
	s_and_b32 vcc_lo, exec_lo, s35
	s_cbranch_vccz .LBB38_1169
; %bb.1166:
	s_cmp_eq_u32 s31, 29
	s_cbranch_scc0 .LBB38_1168
; %bb.1167:
	s_wait_loadcnt 0x0
	global_load_b32 v2, v[0:1], off
	s_mov_b32 s30, 0
	s_mov_b32 s34, -1
	s_branch .LBB38_1169
.LBB38_1168:
	s_mov_b32 s30, -1
                                        ; implicit-def: $vgpr2
.LBB38_1169:
	s_mov_b32 s35, 0
.LBB38_1170:
	s_delay_alu instid0(SALU_CYCLE_1)
	s_and_b32 vcc_lo, exec_lo, s35
	s_cbranch_vccz .LBB38_1186
; %bb.1171:
	s_cmp_lt_i32 s31, 27
	s_cbranch_scc1 .LBB38_1174
; %bb.1172:
	s_cmp_gt_i32 s31, 27
	s_cbranch_scc0 .LBB38_1175
; %bb.1173:
	s_wait_loadcnt 0x0
	global_load_b32 v2, v[0:1], off
	s_mov_b32 s34, 0
	s_branch .LBB38_1176
.LBB38_1174:
	s_mov_b32 s34, -1
                                        ; implicit-def: $vgpr2
	s_branch .LBB38_1179
.LBB38_1175:
	s_mov_b32 s34, -1
                                        ; implicit-def: $vgpr2
.LBB38_1176:
	s_delay_alu instid0(SALU_CYCLE_1)
	s_and_not1_b32 vcc_lo, exec_lo, s34
	s_cbranch_vccnz .LBB38_1178
; %bb.1177:
	s_wait_loadcnt 0x0
	global_load_u16 v2, v[0:1], off
.LBB38_1178:
	s_mov_b32 s34, 0
.LBB38_1179:
	s_delay_alu instid0(SALU_CYCLE_1)
	s_and_not1_b32 vcc_lo, exec_lo, s34
	s_cbranch_vccnz .LBB38_1185
; %bb.1180:
	s_wait_loadcnt 0x0
	global_load_u8 v3, v[0:1], off
	s_mov_b32 s35, 0
	s_mov_b32 s34, exec_lo
	s_wait_loadcnt 0x0
	v_cmpx_lt_i16_e32 0x7f, v3
	s_xor_b32 s34, exec_lo, s34
	s_cbranch_execz .LBB38_1197
; %bb.1181:
	v_cmp_ne_u16_e32 vcc_lo, 0x80, v3
	s_and_b32 s35, vcc_lo, exec_lo
	s_and_not1_saveexec_b32 s34, s34
	s_cbranch_execnz .LBB38_1198
.LBB38_1182:
	s_or_b32 exec_lo, exec_lo, s34
	v_mov_b32_e32 v2, 0
	s_and_saveexec_b32 s34, s35
	s_cbranch_execz .LBB38_1184
.LBB38_1183:
	v_and_b32_e32 v2, 0xffff, v3
	s_delay_alu instid0(VALU_DEP_1) | instskip(SKIP_1) | instid1(VALU_DEP_2)
	v_and_b32_e32 v4, 7, v2
	v_bfe_u32 v8, v2, 3, 4
	v_clz_i32_u32_e32 v5, v4
	s_delay_alu instid0(VALU_DEP_2) | instskip(NEXT) | instid1(VALU_DEP_2)
	v_cmp_eq_u32_e32 vcc_lo, 0, v8
	v_min_u32_e32 v5, 32, v5
	s_delay_alu instid0(VALU_DEP_1) | instskip(NEXT) | instid1(VALU_DEP_1)
	v_subrev_nc_u32_e32 v7, 28, v5
	v_dual_lshlrev_b32 v2, v7, v2 :: v_dual_sub_nc_u32 v5, 29, v5
	s_delay_alu instid0(VALU_DEP_1) | instskip(NEXT) | instid1(VALU_DEP_2)
	v_dual_lshlrev_b32 v3, 24, v3 :: v_dual_bitop2_b32 v2, 7, v2 bitop3:0x40
	v_cndmask_b32_e32 v5, v8, v5, vcc_lo
	s_delay_alu instid0(VALU_DEP_2) | instskip(NEXT) | instid1(VALU_DEP_3)
	v_cndmask_b32_e32 v2, v4, v2, vcc_lo
	v_and_b32_e32 v3, 0x80000000, v3
	s_delay_alu instid0(VALU_DEP_3) | instskip(NEXT) | instid1(VALU_DEP_3)
	v_lshl_add_u32 v4, v5, 23, 0x3b800000
	v_lshlrev_b32_e32 v2, 20, v2
	s_delay_alu instid0(VALU_DEP_1) | instskip(NEXT) | instid1(VALU_DEP_1)
	v_or3_b32 v2, v3, v4, v2
	v_cvt_i32_f32_e32 v2, v2
.LBB38_1184:
	s_or_b32 exec_lo, exec_lo, s34
.LBB38_1185:
	s_mov_b32 s34, -1
.LBB38_1186:
	s_mov_b32 s35, 0
.LBB38_1187:
	s_delay_alu instid0(SALU_CYCLE_1)
	s_and_b32 vcc_lo, exec_lo, s35
	s_cbranch_vccz .LBB38_1218
; %bb.1188:
	s_cmp_gt_i32 s31, 22
	s_cbranch_scc0 .LBB38_1196
; %bb.1189:
	s_cmp_lt_i32 s31, 24
	s_cbranch_scc1 .LBB38_1199
; %bb.1190:
	s_cmp_gt_i32 s31, 24
	s_cbranch_scc0 .LBB38_1200
; %bb.1191:
	s_wait_loadcnt 0x0
	global_load_u8 v3, v[0:1], off
	s_mov_b32 s34, 0
	s_mov_b32 s33, exec_lo
	s_wait_loadcnt 0x0
	v_cmpx_lt_i16_e32 0x7f, v3
	s_xor_b32 s33, exec_lo, s33
	s_cbranch_execz .LBB38_1212
; %bb.1192:
	v_cmp_ne_u16_e32 vcc_lo, 0x80, v3
	s_and_b32 s34, vcc_lo, exec_lo
	s_and_not1_saveexec_b32 s33, s33
	s_cbranch_execnz .LBB38_1213
.LBB38_1193:
	s_or_b32 exec_lo, exec_lo, s33
	v_mov_b32_e32 v2, 0
	s_and_saveexec_b32 s33, s34
	s_cbranch_execz .LBB38_1195
.LBB38_1194:
	v_and_b32_e32 v2, 0xffff, v3
	s_delay_alu instid0(VALU_DEP_1) | instskip(SKIP_1) | instid1(VALU_DEP_2)
	v_and_b32_e32 v4, 3, v2
	v_bfe_u32 v8, v2, 2, 5
	v_clz_i32_u32_e32 v5, v4
	s_delay_alu instid0(VALU_DEP_2) | instskip(NEXT) | instid1(VALU_DEP_2)
	v_cmp_eq_u32_e32 vcc_lo, 0, v8
	v_min_u32_e32 v5, 32, v5
	s_delay_alu instid0(VALU_DEP_1) | instskip(NEXT) | instid1(VALU_DEP_1)
	v_subrev_nc_u32_e32 v7, 29, v5
	v_dual_lshlrev_b32 v2, v7, v2 :: v_dual_sub_nc_u32 v5, 30, v5
	s_delay_alu instid0(VALU_DEP_1) | instskip(NEXT) | instid1(VALU_DEP_2)
	v_dual_lshlrev_b32 v3, 24, v3 :: v_dual_bitop2_b32 v2, 3, v2 bitop3:0x40
	v_cndmask_b32_e32 v5, v8, v5, vcc_lo
	s_delay_alu instid0(VALU_DEP_2) | instskip(NEXT) | instid1(VALU_DEP_3)
	v_cndmask_b32_e32 v2, v4, v2, vcc_lo
	v_and_b32_e32 v3, 0x80000000, v3
	s_delay_alu instid0(VALU_DEP_3) | instskip(NEXT) | instid1(VALU_DEP_3)
	v_lshl_add_u32 v4, v5, 23, 0x37800000
	v_lshlrev_b32_e32 v2, 21, v2
	s_delay_alu instid0(VALU_DEP_1) | instskip(NEXT) | instid1(VALU_DEP_1)
	v_or3_b32 v2, v3, v4, v2
	v_cvt_i32_f32_e32 v2, v2
.LBB38_1195:
	s_or_b32 exec_lo, exec_lo, s33
	s_mov_b32 s33, 0
	s_branch .LBB38_1201
.LBB38_1196:
	s_mov_b32 s33, -1
                                        ; implicit-def: $vgpr2
	s_branch .LBB38_1207
.LBB38_1197:
	s_and_not1_saveexec_b32 s34, s34
	s_cbranch_execz .LBB38_1182
.LBB38_1198:
	v_cmp_ne_u16_e32 vcc_lo, 0, v3
	s_and_not1_b32 s35, s35, exec_lo
	s_and_b32 s36, vcc_lo, exec_lo
	s_delay_alu instid0(SALU_CYCLE_1)
	s_or_b32 s35, s35, s36
	s_or_b32 exec_lo, exec_lo, s34
	v_mov_b32_e32 v2, 0
	s_and_saveexec_b32 s34, s35
	s_cbranch_execnz .LBB38_1183
	s_branch .LBB38_1184
.LBB38_1199:
	s_mov_b32 s33, -1
                                        ; implicit-def: $vgpr2
	s_branch .LBB38_1204
.LBB38_1200:
	s_mov_b32 s33, -1
                                        ; implicit-def: $vgpr2
.LBB38_1201:
	s_delay_alu instid0(SALU_CYCLE_1)
	s_and_b32 vcc_lo, exec_lo, s33
	s_cbranch_vccz .LBB38_1203
; %bb.1202:
	s_wait_loadcnt 0x0
	global_load_u8 v2, v[0:1], off
	s_wait_loadcnt 0x0
	v_lshlrev_b32_e32 v2, 24, v2
	s_delay_alu instid0(VALU_DEP_1) | instskip(NEXT) | instid1(VALU_DEP_1)
	v_and_b32_e32 v3, 0x7f000000, v2
	v_clz_i32_u32_e32 v4, v3
	v_add_nc_u32_e32 v7, 0x1000000, v3
	v_cmp_ne_u32_e32 vcc_lo, 0, v3
	s_delay_alu instid0(VALU_DEP_3) | instskip(NEXT) | instid1(VALU_DEP_1)
	v_min_u32_e32 v4, 32, v4
	v_sub_nc_u32_e64 v4, v4, 4 clamp
	s_delay_alu instid0(VALU_DEP_1) | instskip(NEXT) | instid1(VALU_DEP_1)
	v_dual_lshlrev_b32 v5, v4, v3 :: v_dual_lshlrev_b32 v4, 23, v4
	v_lshrrev_b32_e32 v5, 4, v5
	s_delay_alu instid0(VALU_DEP_1) | instskip(NEXT) | instid1(VALU_DEP_1)
	v_dual_sub_nc_u32 v4, v5, v4 :: v_dual_ashrrev_i32 v5, 8, v7
	v_add_nc_u32_e32 v4, 0x3c000000, v4
	s_delay_alu instid0(VALU_DEP_1) | instskip(NEXT) | instid1(VALU_DEP_1)
	v_and_or_b32 v4, 0x7f800000, v5, v4
	v_cndmask_b32_e32 v3, 0, v4, vcc_lo
	s_delay_alu instid0(VALU_DEP_1) | instskip(NEXT) | instid1(VALU_DEP_1)
	v_and_or_b32 v2, 0x80000000, v2, v3
	v_cvt_i32_f32_e32 v2, v2
.LBB38_1203:
	s_mov_b32 s33, 0
.LBB38_1204:
	s_delay_alu instid0(SALU_CYCLE_1)
	s_and_not1_b32 vcc_lo, exec_lo, s33
	s_cbranch_vccnz .LBB38_1206
; %bb.1205:
	s_wait_loadcnt 0x0
	global_load_u8 v2, v[0:1], off
	s_wait_loadcnt 0x0
	v_lshlrev_b32_e32 v3, 25, v2
	v_lshlrev_b16 v2, 8, v2
	s_delay_alu instid0(VALU_DEP_1) | instskip(SKIP_1) | instid1(VALU_DEP_2)
	v_and_or_b32 v5, 0x7f00, v2, 0.5
	v_bfe_i32 v2, v2, 0, 16
	v_dual_add_f32 v5, -0.5, v5 :: v_dual_lshrrev_b32 v4, 4, v3
	v_cmp_gt_u32_e32 vcc_lo, 0x8000000, v3
	s_delay_alu instid0(VALU_DEP_2) | instskip(NEXT) | instid1(VALU_DEP_1)
	v_or_b32_e32 v4, 0x70000000, v4
	v_mul_f32_e32 v4, 0x7800000, v4
	s_delay_alu instid0(VALU_DEP_1) | instskip(NEXT) | instid1(VALU_DEP_1)
	v_cndmask_b32_e32 v3, v4, v5, vcc_lo
	v_and_or_b32 v2, 0x80000000, v2, v3
	s_delay_alu instid0(VALU_DEP_1)
	v_cvt_i32_f32_e32 v2, v2
.LBB38_1206:
	s_mov_b32 s33, 0
	s_mov_b32 s34, -1
.LBB38_1207:
	s_and_not1_b32 vcc_lo, exec_lo, s33
	s_mov_b32 s33, 0
	s_cbranch_vccnz .LBB38_1218
; %bb.1208:
	s_cmp_gt_i32 s31, 14
	s_cbranch_scc0 .LBB38_1211
; %bb.1209:
	s_cmp_eq_u32 s31, 15
	s_cbranch_scc0 .LBB38_1214
; %bb.1210:
	s_wait_loadcnt 0x0
	global_load_u16 v2, v[0:1], off
	s_mov_b32 s30, 0
	s_mov_b32 s34, -1
	s_wait_loadcnt 0x0
	v_lshlrev_b32_e32 v2, 16, v2
	s_delay_alu instid0(VALU_DEP_1)
	v_cvt_i32_f32_e32 v2, v2
	s_branch .LBB38_1216
.LBB38_1211:
	s_mov_b32 s33, -1
	s_branch .LBB38_1215
.LBB38_1212:
	s_and_not1_saveexec_b32 s33, s33
	s_cbranch_execz .LBB38_1193
.LBB38_1213:
	v_cmp_ne_u16_e32 vcc_lo, 0, v3
	s_and_not1_b32 s34, s34, exec_lo
	s_and_b32 s35, vcc_lo, exec_lo
	s_delay_alu instid0(SALU_CYCLE_1)
	s_or_b32 s34, s34, s35
	s_or_b32 exec_lo, exec_lo, s33
	v_mov_b32_e32 v2, 0
	s_and_saveexec_b32 s33, s34
	s_cbranch_execnz .LBB38_1194
	s_branch .LBB38_1195
.LBB38_1214:
	s_mov_b32 s30, -1
.LBB38_1215:
                                        ; implicit-def: $vgpr2
.LBB38_1216:
	s_and_b32 vcc_lo, exec_lo, s33
	s_mov_b32 s33, 0
	s_cbranch_vccz .LBB38_1218
; %bb.1217:
	s_cmp_lg_u32 s31, 11
	s_mov_b32 s33, -1
	s_cselect_b32 s31, -1, 0
	s_and_not1_b32 s30, s30, exec_lo
	s_and_b32 s31, s31, exec_lo
	s_delay_alu instid0(SALU_CYCLE_1)
	s_or_b32 s30, s30, s31
.LBB38_1218:
	s_mov_b32 s31, 0
.LBB38_1219:
	s_and_b32 s35, s34, exec_lo
	s_and_not1_b32 s34, s27, exec_lo
	s_and_b32 s36, s30, exec_lo
	s_and_b32 s31, s31, exec_lo
	;; [unrolled: 1-line block ×3, first 2 shown]
	s_or_b32 s34, s34, s36
.LBB38_1220:
	s_wait_xcnt 0x0
	s_or_b32 exec_lo, exec_lo, s17
	s_delay_alu instid0(SALU_CYCLE_1)
	s_and_not1_b32 s17, s27, exec_lo
	s_and_b32 s27, s34, exec_lo
	s_and_b32 s33, s35, exec_lo
	;; [unrolled: 1-line block ×4, first 2 shown]
	s_or_b32 s27, s17, s27
.LBB38_1221:
	s_or_b32 exec_lo, exec_lo, s26
	s_delay_alu instid0(SALU_CYCLE_1)
	s_and_not1_b32 s17, s23, exec_lo
	s_and_b32 s23, s29, exec_lo
	s_and_not1_b32 s24, s24, exec_lo
	s_and_b32 s26, s28, exec_lo
	s_or_b32 s23, s17, s23
	s_and_not1_b32 s17, s22, exec_lo
	s_and_b32 s22, s27, exec_lo
	s_or_b32 s24, s24, s26
	s_and_b32 s29, s33, exec_lo
	s_and_b32 s28, s31, exec_lo
	;; [unrolled: 1-line block ×3, first 2 shown]
	s_or_b32 s22, s17, s22
.LBB38_1222:
	s_or_b32 exec_lo, exec_lo, s25
	s_delay_alu instid0(SALU_CYCLE_1)
	s_and_not1_b32 s17, s18, exec_lo
	s_and_b32 s18, s23, exec_lo
	s_and_not1_b32 s19, s19, exec_lo
	s_and_b32 s23, s24, exec_lo
	s_or_b32 s18, s17, s18
	s_and_not1_b32 s17, s20, exec_lo
	s_and_b32 s20, s22, exec_lo
	s_or_b32 s19, s19, s23
	s_and_b32 s23, s29, exec_lo
	s_and_b32 s24, s28, exec_lo
	;; [unrolled: 1-line block ×3, first 2 shown]
	s_or_b32 s20, s17, s20
	s_or_b32 exec_lo, exec_lo, s21
	s_mov_b32 s17, 0
	s_and_saveexec_b32 s21, s20
	s_cbranch_execz .LBB38_384
.LBB38_1223:
	s_mov_b32 s17, exec_lo
	s_and_not1_b32 s22, s22, exec_lo
	s_trap 2
	s_or_b32 exec_lo, exec_lo, s21
	s_and_saveexec_b32 s20, s22
	s_delay_alu instid0(SALU_CYCLE_1)
	s_xor_b32 s20, exec_lo, s20
	s_cbranch_execnz .LBB38_385
.LBB38_1224:
	s_or_b32 exec_lo, exec_lo, s20
	s_and_saveexec_b32 s20, s24
	s_cbranch_execz .LBB38_1270
.LBB38_1225:
	s_sext_i32_i16 s21, s0
	s_delay_alu instid0(SALU_CYCLE_1)
	s_cmp_lt_i32 s21, 5
	s_cbranch_scc1 .LBB38_1230
; %bb.1226:
	s_cmp_lt_i32 s21, 8
	s_cbranch_scc1 .LBB38_1231
; %bb.1227:
	;; [unrolled: 3-line block ×3, first 2 shown]
	s_cmp_gt_i32 s21, 9
	s_cbranch_scc0 .LBB38_1233
; %bb.1229:
	s_wait_loadcnt 0x0
	global_load_b64 v[2:3], v[0:1], off
	s_mov_b32 s21, 0
	s_wait_loadcnt 0x0
	v_cvt_i32_f64_e32 v2, v[2:3]
	s_branch .LBB38_1234
.LBB38_1230:
                                        ; implicit-def: $vgpr2
	s_branch .LBB38_1251
.LBB38_1231:
                                        ; implicit-def: $vgpr2
	s_branch .LBB38_1240
.LBB38_1232:
	s_mov_b32 s21, -1
                                        ; implicit-def: $vgpr2
	s_branch .LBB38_1237
.LBB38_1233:
	s_mov_b32 s21, -1
                                        ; implicit-def: $vgpr2
.LBB38_1234:
	s_delay_alu instid0(SALU_CYCLE_1)
	s_and_not1_b32 vcc_lo, exec_lo, s21
	s_cbranch_vccnz .LBB38_1236
; %bb.1235:
	s_wait_loadcnt 0x0
	global_load_b32 v2, v[0:1], off
	s_wait_loadcnt 0x0
	v_cvt_i32_f32_e32 v2, v2
.LBB38_1236:
	s_mov_b32 s21, 0
.LBB38_1237:
	s_delay_alu instid0(SALU_CYCLE_1)
	s_and_not1_b32 vcc_lo, exec_lo, s21
	s_cbranch_vccnz .LBB38_1239
; %bb.1238:
	s_wait_loadcnt 0x0
	global_load_b32 v2, v[0:1], off
	s_wait_loadcnt 0x0
	v_cvt_f32_f16_e32 v2, v2
	s_delay_alu instid0(VALU_DEP_1)
	v_cvt_i32_f32_e32 v2, v2
.LBB38_1239:
	s_cbranch_execnz .LBB38_1250
.LBB38_1240:
	s_sext_i32_i16 s21, s0
	s_delay_alu instid0(SALU_CYCLE_1)
	s_cmp_lt_i32 s21, 6
	s_cbranch_scc1 .LBB38_1243
; %bb.1241:
	s_cmp_gt_i32 s21, 6
	s_cbranch_scc0 .LBB38_1244
; %bb.1242:
	s_wait_loadcnt 0x0
	global_load_b64 v[2:3], v[0:1], off
	s_mov_b32 s21, 0
	s_wait_loadcnt 0x0
	v_cvt_i32_f64_e32 v2, v[2:3]
	s_branch .LBB38_1245
.LBB38_1243:
	s_mov_b32 s21, -1
                                        ; implicit-def: $vgpr2
	s_branch .LBB38_1248
.LBB38_1244:
	s_mov_b32 s21, -1
                                        ; implicit-def: $vgpr2
.LBB38_1245:
	s_delay_alu instid0(SALU_CYCLE_1)
	s_and_not1_b32 vcc_lo, exec_lo, s21
	s_cbranch_vccnz .LBB38_1247
; %bb.1246:
	s_wait_loadcnt 0x0
	global_load_b32 v2, v[0:1], off
	s_wait_loadcnt 0x0
	v_cvt_i32_f32_e32 v2, v2
.LBB38_1247:
	s_mov_b32 s21, 0
.LBB38_1248:
	s_delay_alu instid0(SALU_CYCLE_1)
	s_and_not1_b32 vcc_lo, exec_lo, s21
	s_cbranch_vccnz .LBB38_1250
; %bb.1249:
	s_wait_loadcnt 0x0
	global_load_u16 v2, v[0:1], off
	s_wait_loadcnt 0x0
	v_cvt_f32_f16_e32 v2, v2
	s_delay_alu instid0(VALU_DEP_1)
	v_cvt_i32_f32_e32 v2, v2
.LBB38_1250:
	s_cbranch_execnz .LBB38_1269
.LBB38_1251:
	s_sext_i32_i16 s21, s0
	s_delay_alu instid0(SALU_CYCLE_1)
	s_cmp_lt_i32 s21, 2
	s_cbranch_scc1 .LBB38_1255
; %bb.1252:
	s_cmp_lt_i32 s21, 3
	s_cbranch_scc1 .LBB38_1256
; %bb.1253:
	s_cmp_gt_i32 s21, 3
	s_cbranch_scc0 .LBB38_1257
; %bb.1254:
	s_wait_loadcnt 0x0
	global_load_b32 v2, v[0:1], off
	s_mov_b32 s21, 0
	s_branch .LBB38_1258
.LBB38_1255:
                                        ; implicit-def: $vgpr2
	s_branch .LBB38_1264
.LBB38_1256:
	s_mov_b32 s21, -1
                                        ; implicit-def: $vgpr2
	s_branch .LBB38_1261
.LBB38_1257:
	s_mov_b32 s21, -1
                                        ; implicit-def: $vgpr2
.LBB38_1258:
	s_delay_alu instid0(SALU_CYCLE_1)
	s_and_not1_b32 vcc_lo, exec_lo, s21
	s_cbranch_vccnz .LBB38_1260
; %bb.1259:
	s_wait_loadcnt 0x0
	global_load_b32 v2, v[0:1], off
.LBB38_1260:
	s_mov_b32 s21, 0
.LBB38_1261:
	s_delay_alu instid0(SALU_CYCLE_1)
	s_and_not1_b32 vcc_lo, exec_lo, s21
	s_cbranch_vccnz .LBB38_1263
; %bb.1262:
	s_wait_loadcnt 0x0
	global_load_i16 v2, v[0:1], off
.LBB38_1263:
	s_cbranch_execnz .LBB38_1269
.LBB38_1264:
	s_sext_i32_i16 s0, s0
	s_delay_alu instid0(SALU_CYCLE_1)
	s_cmp_gt_i32 s0, 0
	s_mov_b32 s0, 0
	s_cbranch_scc0 .LBB38_1266
; %bb.1265:
	s_wait_loadcnt 0x0
	global_load_i8 v2, v[0:1], off
	s_branch .LBB38_1267
.LBB38_1266:
	s_mov_b32 s0, -1
                                        ; implicit-def: $vgpr2
.LBB38_1267:
	s_delay_alu instid0(SALU_CYCLE_1)
	s_and_not1_b32 vcc_lo, exec_lo, s0
	s_cbranch_vccnz .LBB38_1269
; %bb.1268:
	s_wait_loadcnt 0x0
	global_load_u8 v2, v[0:1], off
.LBB38_1269:
	s_or_b32 s23, s23, exec_lo
.LBB38_1270:
	s_wait_xcnt 0x0
	s_or_b32 exec_lo, exec_lo, s20
	s_mov_b32 s21, 0
	s_mov_b32 s24, 0
	;; [unrolled: 1-line block ×3, first 2 shown]
                                        ; implicit-def: $sgpr0
                                        ; implicit-def: $vgpr0_vgpr1
                                        ; implicit-def: $vgpr3
	s_and_saveexec_b32 s20, s23
	s_cbranch_execz .LBB38_1278
; %bb.1271:
	v_mul_lo_u32 v0, v6, s10
	s_and_b32 s0, s1, 0xff
	s_delay_alu instid0(SALU_CYCLE_1) | instskip(NEXT) | instid1(VALU_DEP_1)
	s_cmp_lt_i32 s0, 11
	v_ashrrev_i32_e32 v1, 31, v0
	s_delay_alu instid0(VALU_DEP_1)
	v_add_nc_u64_e32 v[0:1], s[2:3], v[0:1]
	s_cbranch_scc1 .LBB38_1281
; %bb.1272:
	s_and_b32 s22, 0xffff, s0
	s_mov_b32 s23, 0
	s_cmp_gt_i32 s22, 25
	s_cbranch_scc0 .LBB38_1282
; %bb.1273:
	s_cmp_gt_i32 s22, 28
	s_cbranch_scc0 .LBB38_1283
; %bb.1274:
	s_cmp_gt_i32 s22, 43
	s_cbranch_scc0 .LBB38_1284
; %bb.1275:
	s_cmp_gt_i32 s22, 45
	s_cbranch_scc0 .LBB38_1285
; %bb.1276:
	s_cmp_eq_u32 s22, 46
	s_mov_b32 s25, 0
	s_cbranch_scc0 .LBB38_1286
; %bb.1277:
	s_wait_loadcnt 0x0
	global_load_b32 v3, v[0:1], off
	s_mov_b32 s24, -1
	s_wait_loadcnt 0x0
	v_lshlrev_b32_e32 v3, 16, v3
	s_delay_alu instid0(VALU_DEP_1)
	v_cvt_i32_f32_e32 v3, v3
	s_branch .LBB38_1288
.LBB38_1278:
	s_or_b32 exec_lo, exec_lo, s20
	s_and_saveexec_b32 s20, s19
	s_cbranch_execnz .LBB38_1347
.LBB38_1279:
	s_or_b32 exec_lo, exec_lo, s20
	s_and_saveexec_b32 s19, s21
	s_delay_alu instid0(SALU_CYCLE_1)
	s_xor_b32 s19, exec_lo, s19
	s_cbranch_execz .LBB38_1348
.LBB38_1280:
	s_wait_loadcnt 0x0
	global_load_u8 v3, v[0:1], off
	s_or_b32 s22, s22, exec_lo
	s_wait_loadcnt 0x0
	v_cmp_ne_u16_e32 vcc_lo, 0, v3
	v_cndmask_b32_e64 v3, 0, 1, vcc_lo
	s_wait_xcnt 0x0
	s_or_b32 exec_lo, exec_lo, s19
	s_and_saveexec_b32 s19, s24
	s_cbranch_execz .LBB38_1394
	s_branch .LBB38_1349
.LBB38_1281:
	s_mov_b32 s25, -1
	s_mov_b32 s23, 0
	s_mov_b32 s21, s19
                                        ; implicit-def: $vgpr3
	s_branch .LBB38_1346
.LBB38_1282:
	s_mov_b32 s21, s19
                                        ; implicit-def: $vgpr3
	s_cbranch_execnz .LBB38_1315
	s_branch .LBB38_1345
.LBB38_1283:
	s_mov_b32 s25, -1
	s_mov_b32 s21, s19
                                        ; implicit-def: $vgpr3
	s_branch .LBB38_1298
.LBB38_1284:
	s_mov_b32 s25, -1
	s_mov_b32 s21, s19
                                        ; implicit-def: $vgpr3
	s_branch .LBB38_1293
.LBB38_1285:
	s_mov_b32 s25, -1
	s_mov_b32 s21, s19
	s_branch .LBB38_1287
.LBB38_1286:
	s_mov_b32 s21, -1
.LBB38_1287:
                                        ; implicit-def: $vgpr3
.LBB38_1288:
	s_and_b32 vcc_lo, exec_lo, s25
	s_cbranch_vccz .LBB38_1292
; %bb.1289:
	s_cmp_eq_u32 s22, 44
	s_cbranch_scc0 .LBB38_1291
; %bb.1290:
	s_wait_loadcnt 0x0
	global_load_u8 v3, v[0:1], off
	s_mov_b32 s21, 0
	s_mov_b32 s24, -1
	s_wait_loadcnt 0x0
	v_lshlrev_b32_e32 v4, 23, v3
	v_cmp_ne_u32_e32 vcc_lo, 0, v3
	s_delay_alu instid0(VALU_DEP_2) | instskip(NEXT) | instid1(VALU_DEP_1)
	v_cvt_i32_f32_e32 v4, v4
	v_cndmask_b32_e32 v3, 0, v4, vcc_lo
	s_branch .LBB38_1292
.LBB38_1291:
	s_mov_b32 s21, -1
                                        ; implicit-def: $vgpr3
.LBB38_1292:
	s_mov_b32 s25, 0
.LBB38_1293:
	s_delay_alu instid0(SALU_CYCLE_1)
	s_and_b32 vcc_lo, exec_lo, s25
	s_cbranch_vccz .LBB38_1297
; %bb.1294:
	s_cmp_eq_u32 s22, 29
	s_cbranch_scc0 .LBB38_1296
; %bb.1295:
	s_wait_loadcnt 0x0
	global_load_b32 v3, v[0:1], off
	s_mov_b32 s21, 0
	s_mov_b32 s24, -1
	s_branch .LBB38_1297
.LBB38_1296:
	s_mov_b32 s21, -1
                                        ; implicit-def: $vgpr3
.LBB38_1297:
	s_mov_b32 s25, 0
.LBB38_1298:
	s_delay_alu instid0(SALU_CYCLE_1)
	s_and_b32 vcc_lo, exec_lo, s25
	s_cbranch_vccz .LBB38_1314
; %bb.1299:
	s_cmp_lt_i32 s22, 27
	s_cbranch_scc1 .LBB38_1302
; %bb.1300:
	s_cmp_gt_i32 s22, 27
	s_cbranch_scc0 .LBB38_1303
; %bb.1301:
	s_wait_loadcnt 0x0
	global_load_b32 v3, v[0:1], off
	s_mov_b32 s24, 0
	s_branch .LBB38_1304
.LBB38_1302:
	s_mov_b32 s24, -1
                                        ; implicit-def: $vgpr3
	s_branch .LBB38_1307
.LBB38_1303:
	s_mov_b32 s24, -1
                                        ; implicit-def: $vgpr3
.LBB38_1304:
	s_delay_alu instid0(SALU_CYCLE_1)
	s_and_not1_b32 vcc_lo, exec_lo, s24
	s_cbranch_vccnz .LBB38_1306
; %bb.1305:
	s_wait_loadcnt 0x0
	global_load_u16 v3, v[0:1], off
.LBB38_1306:
	s_mov_b32 s24, 0
.LBB38_1307:
	s_delay_alu instid0(SALU_CYCLE_1)
	s_and_not1_b32 vcc_lo, exec_lo, s24
	s_cbranch_vccnz .LBB38_1313
; %bb.1308:
	global_load_u8 v4, v[0:1], off
	s_mov_b32 s25, 0
	s_mov_b32 s24, exec_lo
	s_wait_loadcnt 0x0
	v_cmpx_lt_i16_e32 0x7f, v4
	s_xor_b32 s24, exec_lo, s24
	s_cbranch_execz .LBB38_1324
; %bb.1309:
	v_cmp_ne_u16_e32 vcc_lo, 0x80, v4
	s_and_b32 s25, vcc_lo, exec_lo
	s_and_not1_saveexec_b32 s24, s24
	s_cbranch_execnz .LBB38_1325
.LBB38_1310:
	s_or_b32 exec_lo, exec_lo, s24
	v_mov_b32_e32 v3, 0
	s_and_saveexec_b32 s24, s25
	s_cbranch_execz .LBB38_1312
.LBB38_1311:
	v_and_b32_e32 v3, 0xffff, v4
	s_delay_alu instid0(VALU_DEP_1) | instskip(SKIP_1) | instid1(VALU_DEP_2)
	v_dual_lshlrev_b32 v4, 24, v4 :: v_dual_bitop2_b32 v5, 7, v3 bitop3:0x40
	v_bfe_u32 v9, v3, 3, 4
	v_and_b32_e32 v4, 0x80000000, v4
	s_delay_alu instid0(VALU_DEP_3) | instskip(NEXT) | instid1(VALU_DEP_3)
	v_clz_i32_u32_e32 v7, v5
	v_cmp_eq_u32_e32 vcc_lo, 0, v9
	s_delay_alu instid0(VALU_DEP_2) | instskip(NEXT) | instid1(VALU_DEP_1)
	v_min_u32_e32 v7, 32, v7
	v_subrev_nc_u32_e32 v8, 28, v7
	v_sub_nc_u32_e32 v7, 29, v7
	s_delay_alu instid0(VALU_DEP_2) | instskip(NEXT) | instid1(VALU_DEP_2)
	v_lshlrev_b32_e32 v3, v8, v3
	v_cndmask_b32_e32 v7, v9, v7, vcc_lo
	s_delay_alu instid0(VALU_DEP_2) | instskip(NEXT) | instid1(VALU_DEP_1)
	v_and_b32_e32 v3, 7, v3
	v_cndmask_b32_e32 v3, v5, v3, vcc_lo
	s_delay_alu instid0(VALU_DEP_3) | instskip(NEXT) | instid1(VALU_DEP_2)
	v_lshl_add_u32 v5, v7, 23, 0x3b800000
	v_lshlrev_b32_e32 v3, 20, v3
	s_delay_alu instid0(VALU_DEP_1) | instskip(NEXT) | instid1(VALU_DEP_1)
	v_or3_b32 v3, v4, v5, v3
	v_cvt_i32_f32_e32 v3, v3
.LBB38_1312:
	s_or_b32 exec_lo, exec_lo, s24
.LBB38_1313:
	s_mov_b32 s24, -1
.LBB38_1314:
	s_branch .LBB38_1345
.LBB38_1315:
	s_cmp_gt_i32 s22, 22
	s_cbranch_scc0 .LBB38_1323
; %bb.1316:
	s_cmp_lt_i32 s22, 24
	s_cbranch_scc1 .LBB38_1326
; %bb.1317:
	s_cmp_gt_i32 s22, 24
	s_cbranch_scc0 .LBB38_1327
; %bb.1318:
	global_load_u8 v4, v[0:1], off
	s_mov_b32 s24, 0
	s_mov_b32 s23, exec_lo
	s_wait_loadcnt 0x0
	v_cmpx_lt_i16_e32 0x7f, v4
	s_xor_b32 s23, exec_lo, s23
	s_cbranch_execz .LBB38_1339
; %bb.1319:
	v_cmp_ne_u16_e32 vcc_lo, 0x80, v4
	s_and_b32 s24, vcc_lo, exec_lo
	s_and_not1_saveexec_b32 s23, s23
	s_cbranch_execnz .LBB38_1340
.LBB38_1320:
	s_or_b32 exec_lo, exec_lo, s23
	v_mov_b32_e32 v3, 0
	s_and_saveexec_b32 s23, s24
	s_cbranch_execz .LBB38_1322
.LBB38_1321:
	v_and_b32_e32 v3, 0xffff, v4
	s_delay_alu instid0(VALU_DEP_1) | instskip(SKIP_1) | instid1(VALU_DEP_2)
	v_dual_lshlrev_b32 v4, 24, v4 :: v_dual_bitop2_b32 v5, 3, v3 bitop3:0x40
	v_bfe_u32 v9, v3, 2, 5
	v_and_b32_e32 v4, 0x80000000, v4
	s_delay_alu instid0(VALU_DEP_3) | instskip(NEXT) | instid1(VALU_DEP_3)
	v_clz_i32_u32_e32 v7, v5
	v_cmp_eq_u32_e32 vcc_lo, 0, v9
	s_delay_alu instid0(VALU_DEP_2) | instskip(NEXT) | instid1(VALU_DEP_1)
	v_min_u32_e32 v7, 32, v7
	v_subrev_nc_u32_e32 v8, 29, v7
	v_sub_nc_u32_e32 v7, 30, v7
	s_delay_alu instid0(VALU_DEP_2) | instskip(NEXT) | instid1(VALU_DEP_2)
	v_lshlrev_b32_e32 v3, v8, v3
	v_cndmask_b32_e32 v7, v9, v7, vcc_lo
	s_delay_alu instid0(VALU_DEP_2) | instskip(NEXT) | instid1(VALU_DEP_1)
	v_and_b32_e32 v3, 3, v3
	v_cndmask_b32_e32 v3, v5, v3, vcc_lo
	s_delay_alu instid0(VALU_DEP_3) | instskip(NEXT) | instid1(VALU_DEP_2)
	v_lshl_add_u32 v5, v7, 23, 0x37800000
	v_lshlrev_b32_e32 v3, 21, v3
	s_delay_alu instid0(VALU_DEP_1) | instskip(NEXT) | instid1(VALU_DEP_1)
	v_or3_b32 v3, v4, v5, v3
	v_cvt_i32_f32_e32 v3, v3
.LBB38_1322:
	s_or_b32 exec_lo, exec_lo, s23
	s_mov_b32 s23, 0
	s_branch .LBB38_1328
.LBB38_1323:
	s_mov_b32 s23, -1
                                        ; implicit-def: $vgpr3
	s_branch .LBB38_1334
.LBB38_1324:
	s_and_not1_saveexec_b32 s24, s24
	s_cbranch_execz .LBB38_1310
.LBB38_1325:
	v_cmp_ne_u16_e32 vcc_lo, 0, v4
	s_and_not1_b32 s25, s25, exec_lo
	s_and_b32 s26, vcc_lo, exec_lo
	s_delay_alu instid0(SALU_CYCLE_1)
	s_or_b32 s25, s25, s26
	s_or_b32 exec_lo, exec_lo, s24
	v_mov_b32_e32 v3, 0
	s_and_saveexec_b32 s24, s25
	s_cbranch_execnz .LBB38_1311
	s_branch .LBB38_1312
.LBB38_1326:
	s_mov_b32 s23, -1
                                        ; implicit-def: $vgpr3
	s_branch .LBB38_1331
.LBB38_1327:
	s_mov_b32 s23, -1
                                        ; implicit-def: $vgpr3
.LBB38_1328:
	s_delay_alu instid0(SALU_CYCLE_1)
	s_and_b32 vcc_lo, exec_lo, s23
	s_cbranch_vccz .LBB38_1330
; %bb.1329:
	s_wait_loadcnt 0x0
	global_load_u8 v3, v[0:1], off
	s_wait_loadcnt 0x0
	v_lshlrev_b32_e32 v3, 24, v3
	s_delay_alu instid0(VALU_DEP_1) | instskip(NEXT) | instid1(VALU_DEP_1)
	v_and_b32_e32 v4, 0x7f000000, v3
	v_clz_i32_u32_e32 v5, v4
	v_add_nc_u32_e32 v8, 0x1000000, v4
	v_cmp_ne_u32_e32 vcc_lo, 0, v4
	s_delay_alu instid0(VALU_DEP_3) | instskip(NEXT) | instid1(VALU_DEP_1)
	v_min_u32_e32 v5, 32, v5
	v_sub_nc_u32_e64 v5, v5, 4 clamp
	s_delay_alu instid0(VALU_DEP_1) | instskip(NEXT) | instid1(VALU_DEP_1)
	v_dual_lshlrev_b32 v7, v5, v4 :: v_dual_lshlrev_b32 v5, 23, v5
	v_lshrrev_b32_e32 v7, 4, v7
	s_delay_alu instid0(VALU_DEP_1) | instskip(NEXT) | instid1(VALU_DEP_1)
	v_dual_sub_nc_u32 v5, v7, v5 :: v_dual_ashrrev_i32 v7, 8, v8
	v_add_nc_u32_e32 v5, 0x3c000000, v5
	s_delay_alu instid0(VALU_DEP_1) | instskip(NEXT) | instid1(VALU_DEP_1)
	v_and_or_b32 v5, 0x7f800000, v7, v5
	v_cndmask_b32_e32 v4, 0, v5, vcc_lo
	s_delay_alu instid0(VALU_DEP_1) | instskip(NEXT) | instid1(VALU_DEP_1)
	v_and_or_b32 v3, 0x80000000, v3, v4
	v_cvt_i32_f32_e32 v3, v3
.LBB38_1330:
	s_mov_b32 s23, 0
.LBB38_1331:
	s_delay_alu instid0(SALU_CYCLE_1)
	s_and_not1_b32 vcc_lo, exec_lo, s23
	s_cbranch_vccnz .LBB38_1333
; %bb.1332:
	s_wait_loadcnt 0x0
	global_load_u8 v3, v[0:1], off
	s_wait_loadcnt 0x0
	v_lshlrev_b32_e32 v4, 25, v3
	v_lshlrev_b16 v3, 8, v3
	s_delay_alu instid0(VALU_DEP_1) | instskip(NEXT) | instid1(VALU_DEP_3)
	v_and_or_b32 v7, 0x7f00, v3, 0.5
	v_lshrrev_b32_e32 v5, 4, v4
	v_bfe_i32 v3, v3, 0, 16
	s_delay_alu instid0(VALU_DEP_3) | instskip(NEXT) | instid1(VALU_DEP_3)
	v_add_f32_e32 v7, -0.5, v7
	v_or_b32_e32 v5, 0x70000000, v5
	s_delay_alu instid0(VALU_DEP_1) | instskip(SKIP_1) | instid1(VALU_DEP_2)
	v_mul_f32_e32 v5, 0x7800000, v5
	v_cmp_gt_u32_e32 vcc_lo, 0x8000000, v4
	v_cndmask_b32_e32 v4, v5, v7, vcc_lo
	s_delay_alu instid0(VALU_DEP_1) | instskip(NEXT) | instid1(VALU_DEP_1)
	v_and_or_b32 v3, 0x80000000, v3, v4
	v_cvt_i32_f32_e32 v3, v3
.LBB38_1333:
	s_mov_b32 s23, 0
	s_mov_b32 s24, -1
.LBB38_1334:
	s_and_not1_b32 vcc_lo, exec_lo, s23
	s_mov_b32 s23, 0
	s_cbranch_vccnz .LBB38_1345
; %bb.1335:
	s_cmp_gt_i32 s22, 14
	s_cbranch_scc0 .LBB38_1338
; %bb.1336:
	s_cmp_eq_u32 s22, 15
	s_cbranch_scc0 .LBB38_1341
; %bb.1337:
	s_wait_loadcnt 0x0
	global_load_u16 v3, v[0:1], off
	s_mov_b32 s21, 0
	s_mov_b32 s24, -1
	s_wait_loadcnt 0x0
	v_lshlrev_b32_e32 v3, 16, v3
	s_delay_alu instid0(VALU_DEP_1)
	v_cvt_i32_f32_e32 v3, v3
	s_branch .LBB38_1343
.LBB38_1338:
	s_mov_b32 s23, -1
	s_branch .LBB38_1342
.LBB38_1339:
	s_and_not1_saveexec_b32 s23, s23
	s_cbranch_execz .LBB38_1320
.LBB38_1340:
	v_cmp_ne_u16_e32 vcc_lo, 0, v4
	s_and_not1_b32 s24, s24, exec_lo
	s_and_b32 s25, vcc_lo, exec_lo
	s_delay_alu instid0(SALU_CYCLE_1)
	s_or_b32 s24, s24, s25
	s_or_b32 exec_lo, exec_lo, s23
	v_mov_b32_e32 v3, 0
	s_and_saveexec_b32 s23, s24
	s_cbranch_execnz .LBB38_1321
	s_branch .LBB38_1322
.LBB38_1341:
	s_mov_b32 s21, -1
.LBB38_1342:
                                        ; implicit-def: $vgpr3
.LBB38_1343:
	s_and_b32 vcc_lo, exec_lo, s23
	s_mov_b32 s23, 0
	s_cbranch_vccz .LBB38_1345
; %bb.1344:
	s_cmp_lg_u32 s22, 11
	s_mov_b32 s23, -1
	s_cselect_b32 s22, -1, 0
	s_and_not1_b32 s21, s21, exec_lo
	s_and_b32 s22, s22, exec_lo
	s_delay_alu instid0(SALU_CYCLE_1)
	s_or_b32 s21, s21, s22
.LBB38_1345:
	s_mov_b32 s25, 0
.LBB38_1346:
	s_and_b32 s22, s24, exec_lo
	s_and_b32 s24, s25, exec_lo
	s_and_not1_b32 s19, s19, exec_lo
	s_and_b32 s25, s21, exec_lo
	s_and_b32 s21, s23, exec_lo
	s_or_b32 s19, s19, s25
	s_wait_xcnt 0x0
	s_or_b32 exec_lo, exec_lo, s20
	s_and_saveexec_b32 s20, s19
	s_cbranch_execz .LBB38_1279
.LBB38_1347:
	s_or_b32 s17, s17, exec_lo
	s_and_not1_b32 s21, s21, exec_lo
	s_trap 2
	s_or_b32 exec_lo, exec_lo, s20
	s_and_saveexec_b32 s19, s21
	s_delay_alu instid0(SALU_CYCLE_1)
	s_xor_b32 s19, exec_lo, s19
	s_cbranch_execnz .LBB38_1280
.LBB38_1348:
	s_or_b32 exec_lo, exec_lo, s19
	s_and_saveexec_b32 s19, s24
	s_cbranch_execz .LBB38_1394
.LBB38_1349:
	s_sext_i32_i16 s20, s0
	s_delay_alu instid0(SALU_CYCLE_1)
	s_cmp_lt_i32 s20, 5
	s_cbranch_scc1 .LBB38_1354
; %bb.1350:
	s_cmp_lt_i32 s20, 8
	s_cbranch_scc1 .LBB38_1355
; %bb.1351:
	;; [unrolled: 3-line block ×3, first 2 shown]
	s_cmp_gt_i32 s20, 9
	s_cbranch_scc0 .LBB38_1357
; %bb.1353:
	global_load_b64 v[4:5], v[0:1], off
	s_mov_b32 s20, 0
	s_wait_loadcnt 0x0
	v_cvt_i32_f64_e32 v3, v[4:5]
	s_branch .LBB38_1358
.LBB38_1354:
                                        ; implicit-def: $vgpr3
	s_branch .LBB38_1375
.LBB38_1355:
                                        ; implicit-def: $vgpr3
	s_branch .LBB38_1364
.LBB38_1356:
	s_mov_b32 s20, -1
                                        ; implicit-def: $vgpr3
	s_branch .LBB38_1361
.LBB38_1357:
	s_mov_b32 s20, -1
                                        ; implicit-def: $vgpr3
.LBB38_1358:
	s_delay_alu instid0(SALU_CYCLE_1)
	s_and_not1_b32 vcc_lo, exec_lo, s20
	s_cbranch_vccnz .LBB38_1360
; %bb.1359:
	s_wait_loadcnt 0x0
	global_load_b32 v3, v[0:1], off
	s_wait_loadcnt 0x0
	v_cvt_i32_f32_e32 v3, v3
.LBB38_1360:
	s_mov_b32 s20, 0
.LBB38_1361:
	s_delay_alu instid0(SALU_CYCLE_1)
	s_and_not1_b32 vcc_lo, exec_lo, s20
	s_cbranch_vccnz .LBB38_1363
; %bb.1362:
	s_wait_loadcnt 0x0
	global_load_b32 v3, v[0:1], off
	s_wait_loadcnt 0x0
	v_cvt_f32_f16_e32 v3, v3
	s_delay_alu instid0(VALU_DEP_1)
	v_cvt_i32_f32_e32 v3, v3
.LBB38_1363:
	s_cbranch_execnz .LBB38_1374
.LBB38_1364:
	s_sext_i32_i16 s20, s0
	s_delay_alu instid0(SALU_CYCLE_1)
	s_cmp_lt_i32 s20, 6
	s_cbranch_scc1 .LBB38_1367
; %bb.1365:
	s_cmp_gt_i32 s20, 6
	s_cbranch_scc0 .LBB38_1368
; %bb.1366:
	global_load_b64 v[4:5], v[0:1], off
	s_mov_b32 s20, 0
	s_wait_loadcnt 0x0
	v_cvt_i32_f64_e32 v3, v[4:5]
	s_branch .LBB38_1369
.LBB38_1367:
	s_mov_b32 s20, -1
                                        ; implicit-def: $vgpr3
	s_branch .LBB38_1372
.LBB38_1368:
	s_mov_b32 s20, -1
                                        ; implicit-def: $vgpr3
.LBB38_1369:
	s_delay_alu instid0(SALU_CYCLE_1)
	s_and_not1_b32 vcc_lo, exec_lo, s20
	s_cbranch_vccnz .LBB38_1371
; %bb.1370:
	s_wait_loadcnt 0x0
	global_load_b32 v3, v[0:1], off
	s_wait_loadcnt 0x0
	v_cvt_i32_f32_e32 v3, v3
.LBB38_1371:
	s_mov_b32 s20, 0
.LBB38_1372:
	s_delay_alu instid0(SALU_CYCLE_1)
	s_and_not1_b32 vcc_lo, exec_lo, s20
	s_cbranch_vccnz .LBB38_1374
; %bb.1373:
	s_wait_loadcnt 0x0
	global_load_u16 v3, v[0:1], off
	s_wait_loadcnt 0x0
	v_cvt_f32_f16_e32 v3, v3
	s_delay_alu instid0(VALU_DEP_1)
	v_cvt_i32_f32_e32 v3, v3
.LBB38_1374:
	s_cbranch_execnz .LBB38_1393
.LBB38_1375:
	s_sext_i32_i16 s20, s0
	s_delay_alu instid0(SALU_CYCLE_1)
	s_cmp_lt_i32 s20, 2
	s_cbranch_scc1 .LBB38_1379
; %bb.1376:
	s_cmp_lt_i32 s20, 3
	s_cbranch_scc1 .LBB38_1380
; %bb.1377:
	s_cmp_gt_i32 s20, 3
	s_cbranch_scc0 .LBB38_1381
; %bb.1378:
	s_wait_loadcnt 0x0
	global_load_b32 v3, v[0:1], off
	s_mov_b32 s20, 0
	s_branch .LBB38_1382
.LBB38_1379:
                                        ; implicit-def: $vgpr3
	s_branch .LBB38_1388
.LBB38_1380:
	s_mov_b32 s20, -1
                                        ; implicit-def: $vgpr3
	s_branch .LBB38_1385
.LBB38_1381:
	s_mov_b32 s20, -1
                                        ; implicit-def: $vgpr3
.LBB38_1382:
	s_delay_alu instid0(SALU_CYCLE_1)
	s_and_not1_b32 vcc_lo, exec_lo, s20
	s_cbranch_vccnz .LBB38_1384
; %bb.1383:
	s_wait_loadcnt 0x0
	global_load_b32 v3, v[0:1], off
.LBB38_1384:
	s_mov_b32 s20, 0
.LBB38_1385:
	s_delay_alu instid0(SALU_CYCLE_1)
	s_and_not1_b32 vcc_lo, exec_lo, s20
	s_cbranch_vccnz .LBB38_1387
; %bb.1386:
	s_wait_loadcnt 0x0
	global_load_i16 v3, v[0:1], off
.LBB38_1387:
	s_cbranch_execnz .LBB38_1393
.LBB38_1388:
	s_sext_i32_i16 s0, s0
	s_delay_alu instid0(SALU_CYCLE_1)
	s_cmp_gt_i32 s0, 0
	s_mov_b32 s0, 0
	s_cbranch_scc0 .LBB38_1390
; %bb.1389:
	s_wait_loadcnt 0x0
	global_load_i8 v3, v[0:1], off
	s_branch .LBB38_1391
.LBB38_1390:
	s_mov_b32 s0, -1
                                        ; implicit-def: $vgpr3
.LBB38_1391:
	s_delay_alu instid0(SALU_CYCLE_1)
	s_and_not1_b32 vcc_lo, exec_lo, s0
	s_cbranch_vccnz .LBB38_1393
; %bb.1392:
	s_wait_loadcnt 0x0
	global_load_u8 v3, v[0:1], off
.LBB38_1393:
	s_or_b32 s22, s22, exec_lo
.LBB38_1394:
	s_wait_xcnt 0x0
	s_or_b32 exec_lo, exec_lo, s19
	s_mov_b32 s0, 0
	s_mov_b32 s23, 0
                                        ; implicit-def: $sgpr19
                                        ; implicit-def: $sgpr20
                                        ; implicit-def: $vgpr0_vgpr1
	s_and_saveexec_b32 s21, s22
	s_cbranch_execz .LBB38_1402
; %bb.1395:
	v_mul_lo_u32 v0, v6, s8
	s_wait_loadcnt 0x0
	s_delay_alu instid0(VALU_DEP_2) | instskip(SKIP_3) | instid1(VALU_DEP_2)
	v_cmp_ne_u32_e32 vcc_lo, v2, v3
	s_and_b32 s20, s12, 0xff
	s_xor_b32 s19, s16, vcc_lo
	s_cmp_lt_i32 s20, 11
	v_ashrrev_i32_e32 v1, 31, v0
	s_delay_alu instid0(VALU_DEP_1)
	v_add_nc_u64_e32 v[0:1], s[4:5], v[0:1]
	s_cbranch_scc1 .LBB38_1405
; %bb.1396:
	s_and_b32 s16, 0xffff, s20
	s_mov_b32 s22, -1
	s_cmp_gt_i32 s16, 25
	s_mov_b32 s0, s18
	s_cbranch_scc0 .LBB38_1433
; %bb.1397:
	s_cmp_gt_i32 s16, 28
	s_mov_b32 s0, s18
	s_cbranch_scc0 .LBB38_1417
; %bb.1398:
	s_cmp_gt_i32 s16, 43
	s_mov_b32 s0, s18
	s_cbranch_scc0 .LBB38_1413
; %bb.1399:
	s_cmp_gt_i32 s16, 45
	s_mov_b32 s0, s18
	s_cbranch_scc0 .LBB38_1407
; %bb.1400:
	s_cmp_eq_u32 s16, 46
	s_mov_b32 s0, -1
	s_cbranch_scc0 .LBB38_1406
; %bb.1401:
	v_cndmask_b32_e64 v2, 0, 1.0, s19
	s_mov_b32 s0, 0
	s_mov_b32 s22, 0
	s_delay_alu instid0(VALU_DEP_1) | instskip(NEXT) | instid1(VALU_DEP_1)
	v_bfe_u32 v3, v2, 16, 1
	v_add3_u32 v2, v2, v3, 0x7fff
	s_delay_alu instid0(VALU_DEP_1)
	v_lshrrev_b32_e32 v2, 16, v2
	global_store_b32 v[0:1], v2, off
	s_branch .LBB38_1407
.LBB38_1402:
	s_or_b32 exec_lo, exec_lo, s21
	s_and_saveexec_b32 s16, s18
	s_cbranch_execnz .LBB38_1475
.LBB38_1403:
	s_or_b32 exec_lo, exec_lo, s16
	s_and_saveexec_b32 s16, s0
	s_delay_alu instid0(SALU_CYCLE_1)
	s_xor_b32 s0, exec_lo, s16
	s_cbranch_execz .LBB38_1476
.LBB38_1404:
	s_wait_loadcnt 0x0
	v_cndmask_b32_e64 v2, 0, 1, s19
	global_store_b8 v[0:1], v2, off
	s_wait_xcnt 0x0
	s_or_b32 exec_lo, exec_lo, s0
	s_and_saveexec_b32 s0, s23
	s_delay_alu instid0(SALU_CYCLE_1)
	s_xor_b32 s0, exec_lo, s0
	s_cbranch_execz .LBB38_1514
	s_branch .LBB38_1477
.LBB38_1405:
	s_mov_b32 s24, 0
	s_mov_b32 s22, -1
	s_mov_b32 s0, s18
	s_branch .LBB38_1474
.LBB38_1406:
	s_mov_b32 s22, 0
.LBB38_1407:
	s_delay_alu instid0(SALU_CYCLE_1)
	s_and_b32 vcc_lo, exec_lo, s22
	s_cbranch_vccz .LBB38_1412
; %bb.1408:
	s_cmp_eq_u32 s16, 44
	s_mov_b32 s0, -1
	s_cbranch_scc0 .LBB38_1412
; %bb.1409:
	v_cndmask_b32_e64 v4, 0, 1.0, s19
	s_mov_b32 s22, exec_lo
	s_wait_xcnt 0x0
	s_delay_alu instid0(VALU_DEP_1) | instskip(NEXT) | instid1(VALU_DEP_1)
	v_dual_mov_b32 v3, 0xff :: v_dual_lshrrev_b32 v2, 23, v4
	v_cmpx_ne_u32_e32 0xff, v2
; %bb.1410:
	v_and_b32_e32 v3, 0x400000, v4
	v_and_or_b32 v4, 0x3fffff, v4, v2
	s_delay_alu instid0(VALU_DEP_2) | instskip(NEXT) | instid1(VALU_DEP_2)
	v_cmp_ne_u32_e32 vcc_lo, 0, v3
	v_cmp_ne_u32_e64 s0, 0, v4
	s_and_b32 s0, vcc_lo, s0
	s_delay_alu instid0(SALU_CYCLE_1) | instskip(NEXT) | instid1(VALU_DEP_1)
	v_cndmask_b32_e64 v3, 0, 1, s0
	v_add_nc_u32_e32 v3, v2, v3
; %bb.1411:
	s_or_b32 exec_lo, exec_lo, s22
	s_mov_b32 s0, 0
	global_store_b8 v[0:1], v3, off
.LBB38_1412:
	s_mov_b32 s22, 0
.LBB38_1413:
	s_delay_alu instid0(SALU_CYCLE_1)
	s_and_b32 vcc_lo, exec_lo, s22
	s_cbranch_vccz .LBB38_1416
; %bb.1414:
	s_cmp_eq_u32 s16, 29
	s_mov_b32 s0, -1
	s_cbranch_scc0 .LBB38_1416
; %bb.1415:
	s_mov_b32 s0, 0
	s_wait_xcnt 0x0
	v_cndmask_b32_e64 v2, 0, 1, s19
	v_mov_b32_e32 v3, s0
	s_mov_b32 s22, 0
	global_store_b64 v[0:1], v[2:3], off
	s_branch .LBB38_1417
.LBB38_1416:
	s_mov_b32 s22, 0
.LBB38_1417:
	s_delay_alu instid0(SALU_CYCLE_1)
	s_and_b32 vcc_lo, exec_lo, s22
	s_cbranch_vccz .LBB38_1432
; %bb.1418:
	s_cmp_lt_i32 s16, 27
	s_mov_b32 s22, -1
	s_cbranch_scc1 .LBB38_1424
; %bb.1419:
	s_wait_xcnt 0x0
	v_cndmask_b32_e64 v2, 0, 1, s19
	s_cmp_gt_i32 s16, 27
	s_cbranch_scc0 .LBB38_1421
; %bb.1420:
	s_mov_b32 s22, 0
	global_store_b32 v[0:1], v2, off
.LBB38_1421:
	s_and_not1_b32 vcc_lo, exec_lo, s22
	s_cbranch_vccnz .LBB38_1423
; %bb.1422:
	global_store_b16 v[0:1], v2, off
.LBB38_1423:
	s_mov_b32 s22, 0
.LBB38_1424:
	s_delay_alu instid0(SALU_CYCLE_1)
	s_and_not1_b32 vcc_lo, exec_lo, s22
	s_cbranch_vccnz .LBB38_1432
; %bb.1425:
	s_wait_xcnt 0x0
	v_cndmask_b32_e64 v3, 0, 1.0, s19
	v_mov_b32_e32 v4, 0x80
	s_mov_b32 s22, exec_lo
	s_delay_alu instid0(VALU_DEP_2)
	v_cmpx_gt_u32_e32 0x43800000, v3
	s_cbranch_execz .LBB38_1431
; %bb.1426:
	s_mov_b32 s24, exec_lo
                                        ; implicit-def: $vgpr2
	v_cmpx_lt_u32_e32 0x3bffffff, v3
	s_xor_b32 s24, exec_lo, s24
	s_cbranch_execz .LBB38_1529
; %bb.1427:
	v_bfe_u32 v2, v3, 20, 1
	s_mov_b32 s23, exec_lo
	s_delay_alu instid0(VALU_DEP_1) | instskip(NEXT) | instid1(VALU_DEP_1)
	v_add3_u32 v2, v3, v2, 0x487ffff
                                        ; implicit-def: $vgpr3
	v_lshrrev_b32_e32 v2, 20, v2
	s_and_not1_saveexec_b32 s24, s24
	s_cbranch_execnz .LBB38_1530
.LBB38_1428:
	s_or_b32 exec_lo, exec_lo, s24
	v_mov_b32_e32 v4, 0
	s_and_saveexec_b32 s24, s23
.LBB38_1429:
	v_mov_b32_e32 v4, v2
.LBB38_1430:
	s_or_b32 exec_lo, exec_lo, s24
.LBB38_1431:
	s_delay_alu instid0(SALU_CYCLE_1)
	s_or_b32 exec_lo, exec_lo, s22
	global_store_b8 v[0:1], v4, off
.LBB38_1432:
	s_mov_b32 s22, 0
.LBB38_1433:
	s_delay_alu instid0(SALU_CYCLE_1)
	s_and_b32 vcc_lo, exec_lo, s22
	s_mov_b32 s22, 0
	s_cbranch_vccz .LBB38_1473
; %bb.1434:
	s_cmp_gt_i32 s16, 22
	s_mov_b32 s23, -1
	s_cbranch_scc0 .LBB38_1466
; %bb.1435:
	s_cmp_lt_i32 s16, 24
	s_cbranch_scc1 .LBB38_1455
; %bb.1436:
	s_cmp_gt_i32 s16, 24
	s_cbranch_scc0 .LBB38_1444
; %bb.1437:
	s_wait_xcnt 0x0
	v_cndmask_b32_e64 v3, 0, 1.0, s19
	v_mov_b32_e32 v4, 0x80
	s_mov_b32 s23, exec_lo
	s_delay_alu instid0(VALU_DEP_2)
	v_cmpx_gt_u32_e32 0x47800000, v3
	s_cbranch_execz .LBB38_1443
; %bb.1438:
	s_mov_b32 s24, 0
	s_mov_b32 s25, exec_lo
                                        ; implicit-def: $vgpr2
	v_cmpx_lt_u32_e32 0x37ffffff, v3
	s_xor_b32 s25, exec_lo, s25
	s_cbranch_execz .LBB38_1650
; %bb.1439:
	v_bfe_u32 v2, v3, 21, 1
	s_mov_b32 s24, exec_lo
	s_delay_alu instid0(VALU_DEP_1) | instskip(NEXT) | instid1(VALU_DEP_1)
	v_add3_u32 v2, v3, v2, 0x88fffff
                                        ; implicit-def: $vgpr3
	v_lshrrev_b32_e32 v2, 21, v2
	s_and_not1_saveexec_b32 s25, s25
	s_cbranch_execnz .LBB38_1651
.LBB38_1440:
	s_or_b32 exec_lo, exec_lo, s25
	v_mov_b32_e32 v4, 0
	s_and_saveexec_b32 s25, s24
.LBB38_1441:
	v_mov_b32_e32 v4, v2
.LBB38_1442:
	s_or_b32 exec_lo, exec_lo, s25
.LBB38_1443:
	s_delay_alu instid0(SALU_CYCLE_1)
	s_or_b32 exec_lo, exec_lo, s23
	s_mov_b32 s23, 0
	global_store_b8 v[0:1], v4, off
.LBB38_1444:
	s_and_b32 vcc_lo, exec_lo, s23
	s_cbranch_vccz .LBB38_1454
; %bb.1445:
	s_wait_xcnt 0x0
	v_cndmask_b32_e64 v3, 0, 1.0, s19
	s_mov_b32 s23, exec_lo
                                        ; implicit-def: $vgpr2
	s_delay_alu instid0(VALU_DEP_1)
	v_cmpx_gt_u32_e32 0x43f00000, v3
	s_xor_b32 s23, exec_lo, s23
	s_cbranch_execz .LBB38_1451
; %bb.1446:
	s_mov_b32 s24, exec_lo
                                        ; implicit-def: $vgpr2
	v_cmpx_lt_u32_e32 0x3c7fffff, v3
	s_xor_b32 s24, exec_lo, s24
; %bb.1447:
	v_bfe_u32 v2, v3, 20, 1
	s_delay_alu instid0(VALU_DEP_1) | instskip(NEXT) | instid1(VALU_DEP_1)
	v_add3_u32 v2, v3, v2, 0x407ffff
	v_and_b32_e32 v3, 0xff00000, v2
	v_lshrrev_b32_e32 v2, 20, v2
	s_delay_alu instid0(VALU_DEP_2) | instskip(NEXT) | instid1(VALU_DEP_2)
	v_cmp_ne_u32_e32 vcc_lo, 0x7f00000, v3
                                        ; implicit-def: $vgpr3
	v_cndmask_b32_e32 v2, 0x7e, v2, vcc_lo
; %bb.1448:
	s_and_not1_saveexec_b32 s24, s24
; %bb.1449:
	v_add_f32_e32 v2, 0x46800000, v3
; %bb.1450:
	s_or_b32 exec_lo, exec_lo, s24
                                        ; implicit-def: $vgpr3
.LBB38_1451:
	s_and_not1_saveexec_b32 s23, s23
; %bb.1452:
	v_mov_b32_e32 v2, 0x7f
	v_cmp_lt_u32_e32 vcc_lo, 0x7f800000, v3
	s_delay_alu instid0(VALU_DEP_2)
	v_cndmask_b32_e32 v2, 0x7e, v2, vcc_lo
; %bb.1453:
	s_or_b32 exec_lo, exec_lo, s23
	global_store_b8 v[0:1], v2, off
.LBB38_1454:
	s_mov_b32 s23, 0
.LBB38_1455:
	s_delay_alu instid0(SALU_CYCLE_1)
	s_and_not1_b32 vcc_lo, exec_lo, s23
	s_cbranch_vccnz .LBB38_1465
; %bb.1456:
	s_wait_xcnt 0x0
	v_cndmask_b32_e64 v3, 0, 1.0, s19
	s_mov_b32 s23, exec_lo
                                        ; implicit-def: $vgpr2
	s_delay_alu instid0(VALU_DEP_1)
	v_cmpx_gt_u32_e32 0x47800000, v3
	s_xor_b32 s23, exec_lo, s23
	s_cbranch_execz .LBB38_1462
; %bb.1457:
	s_mov_b32 s24, exec_lo
                                        ; implicit-def: $vgpr2
	v_cmpx_lt_u32_e32 0x387fffff, v3
	s_xor_b32 s24, exec_lo, s24
; %bb.1458:
	v_bfe_u32 v2, v3, 21, 1
	s_delay_alu instid0(VALU_DEP_1) | instskip(NEXT) | instid1(VALU_DEP_1)
	v_add3_u32 v2, v3, v2, 0x80fffff
                                        ; implicit-def: $vgpr3
	v_lshrrev_b32_e32 v2, 21, v2
; %bb.1459:
	s_and_not1_saveexec_b32 s24, s24
; %bb.1460:
	v_add_f32_e32 v2, 0x43000000, v3
; %bb.1461:
	s_or_b32 exec_lo, exec_lo, s24
                                        ; implicit-def: $vgpr3
.LBB38_1462:
	s_and_not1_saveexec_b32 s23, s23
; %bb.1463:
	v_mov_b32_e32 v2, 0x7f
	v_cmp_lt_u32_e32 vcc_lo, 0x7f800000, v3
	s_delay_alu instid0(VALU_DEP_2)
	v_cndmask_b32_e32 v2, 0x7c, v2, vcc_lo
; %bb.1464:
	s_or_b32 exec_lo, exec_lo, s23
	global_store_b8 v[0:1], v2, off
.LBB38_1465:
	s_mov_b32 s23, 0
.LBB38_1466:
	s_delay_alu instid0(SALU_CYCLE_1)
	s_and_not1_b32 vcc_lo, exec_lo, s23
	s_mov_b32 s24, 0
	s_cbranch_vccnz .LBB38_1474
; %bb.1467:
	s_cmp_gt_i32 s16, 14
	s_mov_b32 s23, -1
	s_cbranch_scc0 .LBB38_1471
; %bb.1468:
	s_cmp_eq_u32 s16, 15
	s_mov_b32 s0, -1
	s_cbranch_scc0 .LBB38_1470
; %bb.1469:
	s_wait_xcnt 0x0
	v_cndmask_b32_e64 v2, 0, 1.0, s19
	s_mov_b32 s0, 0
	s_delay_alu instid0(VALU_DEP_1) | instskip(NEXT) | instid1(VALU_DEP_1)
	v_bfe_u32 v3, v2, 16, 1
	v_add3_u32 v2, v2, v3, 0x7fff
	global_store_d16_hi_b16 v[0:1], v2, off
.LBB38_1470:
	s_mov_b32 s23, 0
.LBB38_1471:
	s_delay_alu instid0(SALU_CYCLE_1)
	s_and_b32 vcc_lo, exec_lo, s23
	s_cbranch_vccz .LBB38_1474
; %bb.1472:
	s_cmp_lg_u32 s16, 11
	s_mov_b32 s24, -1
	s_cselect_b32 s16, -1, 0
	s_and_not1_b32 s0, s0, exec_lo
	s_and_b32 s16, s16, exec_lo
	s_delay_alu instid0(SALU_CYCLE_1)
	s_or_b32 s0, s0, s16
	s_branch .LBB38_1474
.LBB38_1473:
	s_mov_b32 s24, 0
.LBB38_1474:
	s_and_not1_b32 s16, s18, exec_lo
	s_and_b32 s18, s0, exec_lo
	s_and_b32 s23, s22, exec_lo
	;; [unrolled: 1-line block ×3, first 2 shown]
	s_or_b32 s18, s16, s18
	s_wait_xcnt 0x0
	s_or_b32 exec_lo, exec_lo, s21
	s_and_saveexec_b32 s16, s18
	s_cbranch_execz .LBB38_1403
.LBB38_1475:
	s_or_b32 s17, s17, exec_lo
	s_and_not1_b32 s0, s0, exec_lo
	s_trap 2
	s_or_b32 exec_lo, exec_lo, s16
	s_and_saveexec_b32 s16, s0
	s_delay_alu instid0(SALU_CYCLE_1)
	s_xor_b32 s0, exec_lo, s16
	s_cbranch_execnz .LBB38_1404
.LBB38_1476:
	s_or_b32 exec_lo, exec_lo, s0
	s_and_saveexec_b32 s0, s23
	s_delay_alu instid0(SALU_CYCLE_1)
	s_xor_b32 s0, exec_lo, s0
	s_cbranch_execz .LBB38_1514
.LBB38_1477:
	s_sext_i32_i16 s18, s20
	s_mov_b32 s16, -1
	s_cmp_lt_i32 s18, 5
	s_cbranch_scc1 .LBB38_1498
; %bb.1478:
	s_cmp_lt_i32 s18, 8
	s_cbranch_scc1 .LBB38_1488
; %bb.1479:
	;; [unrolled: 3-line block ×3, first 2 shown]
	s_cmp_gt_i32 s18, 9
	s_cbranch_scc0 .LBB38_1482
; %bb.1481:
	s_wait_loadcnt 0x0
	v_cndmask_b32_e64 v2, 0, 1, s19
	v_mov_b32_e32 v4, 0
	s_mov_b32 s16, 0
	s_delay_alu instid0(VALU_DEP_2) | instskip(NEXT) | instid1(VALU_DEP_2)
	v_cvt_f64_u32_e32 v[2:3], v2
	v_mov_b32_e32 v5, v4
	global_store_b128 v[0:1], v[2:5], off
.LBB38_1482:
	s_and_not1_b32 vcc_lo, exec_lo, s16
	s_cbranch_vccnz .LBB38_1484
; %bb.1483:
	s_wait_loadcnt 0x0
	v_cndmask_b32_e64 v2, 0, 1.0, s19
	v_mov_b32_e32 v3, 0
	global_store_b64 v[0:1], v[2:3], off
.LBB38_1484:
	s_mov_b32 s16, 0
.LBB38_1485:
	s_delay_alu instid0(SALU_CYCLE_1)
	s_and_not1_b32 vcc_lo, exec_lo, s16
	s_cbranch_vccnz .LBB38_1487
; %bb.1486:
	s_wait_loadcnt 0x0
	v_cndmask_b32_e64 v2, 0, 1.0, s19
	s_delay_alu instid0(VALU_DEP_1) | instskip(NEXT) | instid1(VALU_DEP_1)
	v_cvt_f16_f32_e32 v2, v2
	v_and_b32_e32 v2, 0xffff, v2
	global_store_b32 v[0:1], v2, off
.LBB38_1487:
	s_mov_b32 s16, 0
.LBB38_1488:
	s_delay_alu instid0(SALU_CYCLE_1)
	s_and_not1_b32 vcc_lo, exec_lo, s16
	s_cbranch_vccnz .LBB38_1497
; %bb.1489:
	s_sext_i32_i16 s18, s20
	s_mov_b32 s16, -1
	s_cmp_lt_i32 s18, 6
	s_cbranch_scc1 .LBB38_1495
; %bb.1490:
	s_cmp_gt_i32 s18, 6
	s_cbranch_scc0 .LBB38_1492
; %bb.1491:
	s_wait_loadcnt 0x0
	v_cndmask_b32_e64 v2, 0, 1, s19
	s_mov_b32 s16, 0
	s_delay_alu instid0(VALU_DEP_1)
	v_cvt_f64_u32_e32 v[2:3], v2
	global_store_b64 v[0:1], v[2:3], off
.LBB38_1492:
	s_and_not1_b32 vcc_lo, exec_lo, s16
	s_cbranch_vccnz .LBB38_1494
; %bb.1493:
	s_wait_loadcnt 0x0
	v_cndmask_b32_e64 v2, 0, 1.0, s19
	global_store_b32 v[0:1], v2, off
.LBB38_1494:
	s_mov_b32 s16, 0
.LBB38_1495:
	s_delay_alu instid0(SALU_CYCLE_1)
	s_and_not1_b32 vcc_lo, exec_lo, s16
	s_cbranch_vccnz .LBB38_1497
; %bb.1496:
	s_wait_loadcnt 0x0
	v_cndmask_b32_e64 v2, 0, 1.0, s19
	s_delay_alu instid0(VALU_DEP_1)
	v_cvt_f16_f32_e32 v2, v2
	global_store_b16 v[0:1], v2, off
.LBB38_1497:
	s_mov_b32 s16, 0
.LBB38_1498:
	s_delay_alu instid0(SALU_CYCLE_1)
	s_and_not1_b32 vcc_lo, exec_lo, s16
	s_cbranch_vccnz .LBB38_1514
; %bb.1499:
	s_sext_i32_i16 s18, s20
	s_mov_b32 s16, -1
	s_cmp_lt_i32 s18, 2
	s_cbranch_scc1 .LBB38_1509
; %bb.1500:
	s_cmp_lt_i32 s18, 3
	s_cbranch_scc1 .LBB38_1506
; %bb.1501:
	s_cmp_gt_i32 s18, 3
	s_cbranch_scc0 .LBB38_1503
; %bb.1502:
	s_mov_b32 s16, 0
	s_wait_loadcnt 0x0
	v_cndmask_b32_e64 v2, 0, 1, s19
	v_mov_b32_e32 v3, s16
	global_store_b64 v[0:1], v[2:3], off
.LBB38_1503:
	s_and_not1_b32 vcc_lo, exec_lo, s16
	s_cbranch_vccnz .LBB38_1505
; %bb.1504:
	s_wait_loadcnt 0x0
	v_cndmask_b32_e64 v2, 0, 1, s19
	global_store_b32 v[0:1], v2, off
.LBB38_1505:
	s_mov_b32 s16, 0
.LBB38_1506:
	s_delay_alu instid0(SALU_CYCLE_1)
	s_and_not1_b32 vcc_lo, exec_lo, s16
	s_cbranch_vccnz .LBB38_1508
; %bb.1507:
	s_wait_loadcnt 0x0
	v_cndmask_b32_e64 v2, 0, 1, s19
	global_store_b16 v[0:1], v2, off
.LBB38_1508:
	s_mov_b32 s16, 0
.LBB38_1509:
	s_delay_alu instid0(SALU_CYCLE_1)
	s_and_not1_b32 vcc_lo, exec_lo, s16
	s_cbranch_vccnz .LBB38_1514
; %bb.1510:
	s_wait_loadcnt 0x0
	v_cndmask_b32_e64 v2, 0, 1, s19
	s_sext_i32_i16 s16, s20
	s_delay_alu instid0(SALU_CYCLE_1)
	s_cmp_gt_i32 s16, 0
	s_mov_b32 s16, -1
	s_cbranch_scc0 .LBB38_1512
; %bb.1511:
	s_mov_b32 s16, 0
	global_store_b8 v[0:1], v2, off
.LBB38_1512:
	s_and_not1_b32 vcc_lo, exec_lo, s16
	s_cbranch_vccnz .LBB38_1514
; %bb.1513:
	global_store_b8 v[0:1], v2, off
.LBB38_1514:
	s_wait_xcnt 0x0
	s_or_b32 exec_lo, exec_lo, s0
	s_delay_alu instid0(SALU_CYCLE_1)
	s_and_b32 s16, s17, exec_lo
                                        ; implicit-def: $vgpr6
.LBB38_1515:
	s_or_saveexec_b32 s15, s15
	s_mov_b32 s0, 0
                                        ; implicit-def: $sgpr18
                                        ; implicit-def: $sgpr17
                                        ; implicit-def: $vgpr0_vgpr1
	s_xor_b32 exec_lo, exec_lo, s15
	s_cbranch_execz .LBB38_2959
; %bb.1516:
	v_mul_lo_u32 v0, s9, v6
	s_and_b32 s0, s14, 0xff
	s_delay_alu instid0(SALU_CYCLE_1) | instskip(NEXT) | instid1(VALU_DEP_1)
	s_cmp_lt_i32 s0, 11
	v_ashrrev_i32_e32 v1, 31, v0
	s_wait_loadcnt 0x0
	s_delay_alu instid0(VALU_DEP_1)
	v_add_nc_u64_e32 v[2:3], s[6:7], v[0:1]
	s_cbranch_scc1 .LBB38_1523
; %bb.1517:
	s_and_b32 s13, 0xffff, s0
	s_mov_b32 s17, 0
	s_cmp_gt_i32 s13, 25
	s_cbranch_scc0 .LBB38_1525
; %bb.1518:
	s_cmp_gt_i32 s13, 28
	s_cbranch_scc0 .LBB38_1526
; %bb.1519:
	;; [unrolled: 3-line block ×4, first 2 shown]
	s_cmp_eq_u32 s13, 46
	s_mov_b32 s19, 0
	s_cbranch_scc0 .LBB38_1531
; %bb.1522:
	global_load_b32 v1, v[2:3], off
	s_mov_b32 s14, 0
	s_mov_b32 s18, -1
	s_wait_loadcnt 0x0
	v_lshlrev_b32_e32 v1, 16, v1
	s_delay_alu instid0(VALU_DEP_1)
	v_cvt_i32_f32_e32 v7, v1
	s_branch .LBB38_1533
.LBB38_1523:
	s_mov_b32 s18, 0
	s_mov_b32 s13, s16
                                        ; implicit-def: $vgpr7
	s_cbranch_execnz .LBB38_1591
.LBB38_1524:
	s_and_not1_b32 vcc_lo, exec_lo, s18
	s_cbranch_vccz .LBB38_1636
	s_branch .LBB38_2957
.LBB38_1525:
	s_mov_b32 s18, 0
	s_mov_b32 s14, 0
                                        ; implicit-def: $vgpr7
	s_cbranch_execnz .LBB38_1558
	s_branch .LBB38_1587
.LBB38_1526:
	s_mov_b32 s18, 0
	s_mov_b32 s14, 0
                                        ; implicit-def: $vgpr7
	s_cbranch_execz .LBB38_1557
	s_branch .LBB38_1542
.LBB38_1527:
	s_mov_b32 s18, 0
	s_mov_b32 s14, 0
                                        ; implicit-def: $vgpr7
	s_cbranch_execnz .LBB38_1538
	s_branch .LBB38_1541
.LBB38_1528:
	s_mov_b32 s19, -1
	s_mov_b32 s18, 0
	s_mov_b32 s14, 0
	s_branch .LBB38_1532
.LBB38_1529:
	s_and_not1_saveexec_b32 s24, s24
	s_cbranch_execz .LBB38_1428
.LBB38_1530:
	v_add_f32_e32 v2, 0x46000000, v3
	s_and_not1_b32 s23, s23, exec_lo
	s_delay_alu instid0(VALU_DEP_1) | instskip(NEXT) | instid1(VALU_DEP_1)
	v_and_b32_e32 v2, 0xff, v2
	v_cmp_ne_u32_e32 vcc_lo, 0, v2
	s_and_b32 s25, vcc_lo, exec_lo
	s_delay_alu instid0(SALU_CYCLE_1)
	s_or_b32 s23, s23, s25
	s_or_b32 exec_lo, exec_lo, s24
	v_mov_b32_e32 v4, 0
	s_and_saveexec_b32 s24, s23
	s_cbranch_execnz .LBB38_1429
	s_branch .LBB38_1430
.LBB38_1531:
	s_mov_b32 s14, -1
	s_mov_b32 s18, 0
.LBB38_1532:
                                        ; implicit-def: $vgpr7
.LBB38_1533:
	s_and_b32 vcc_lo, exec_lo, s19
	s_cbranch_vccz .LBB38_1536
; %bb.1534:
	s_cmp_eq_u32 s13, 44
	s_cbranch_scc0 .LBB38_1537
; %bb.1535:
	global_load_u8 v1, v[2:3], off
	s_mov_b32 s14, 0
	s_mov_b32 s18, -1
	s_wait_loadcnt 0x0
	v_lshlrev_b32_e32 v4, 23, v1
	v_cmp_ne_u32_e32 vcc_lo, 0, v1
	s_delay_alu instid0(VALU_DEP_2) | instskip(NEXT) | instid1(VALU_DEP_1)
	v_cvt_i32_f32_e32 v4, v4
	v_cndmask_b32_e32 v7, 0, v4, vcc_lo
.LBB38_1536:
	s_branch .LBB38_1541
.LBB38_1537:
	s_mov_b32 s14, -1
                                        ; implicit-def: $vgpr7
	s_branch .LBB38_1541
.LBB38_1538:
	s_cmp_eq_u32 s13, 29
	s_cbranch_scc0 .LBB38_1540
; %bb.1539:
	global_load_b32 v7, v[2:3], off
	s_mov_b32 s14, 0
	s_mov_b32 s18, -1
	s_branch .LBB38_1541
.LBB38_1540:
	s_mov_b32 s14, -1
                                        ; implicit-def: $vgpr7
.LBB38_1541:
	s_branch .LBB38_1557
.LBB38_1542:
	s_cmp_lt_i32 s13, 27
	s_cbranch_scc1 .LBB38_1545
; %bb.1543:
	s_cmp_gt_i32 s13, 27
	s_cbranch_scc0 .LBB38_1546
; %bb.1544:
	s_wait_loadcnt 0x0
	global_load_b32 v7, v[2:3], off
	s_mov_b32 s18, 0
	s_branch .LBB38_1547
.LBB38_1545:
	s_mov_b32 s18, -1
                                        ; implicit-def: $vgpr7
	s_branch .LBB38_1550
.LBB38_1546:
	s_mov_b32 s18, -1
                                        ; implicit-def: $vgpr7
.LBB38_1547:
	s_delay_alu instid0(SALU_CYCLE_1)
	s_and_not1_b32 vcc_lo, exec_lo, s18
	s_cbranch_vccnz .LBB38_1549
; %bb.1548:
	s_wait_loadcnt 0x0
	global_load_u16 v7, v[2:3], off
.LBB38_1549:
	s_mov_b32 s18, 0
.LBB38_1550:
	s_delay_alu instid0(SALU_CYCLE_1)
	s_and_not1_b32 vcc_lo, exec_lo, s18
	s_cbranch_vccnz .LBB38_1556
; %bb.1551:
	global_load_u8 v1, v[2:3], off
	s_mov_b32 s19, 0
	s_mov_b32 s18, exec_lo
	s_wait_loadcnt 0x0
	v_cmpx_lt_i16_e32 0x7f, v1
	s_xor_b32 s18, exec_lo, s18
	s_cbranch_execz .LBB38_1567
; %bb.1552:
	v_cmp_ne_u16_e32 vcc_lo, 0x80, v1
	s_and_b32 s19, vcc_lo, exec_lo
	s_and_not1_saveexec_b32 s18, s18
	s_cbranch_execnz .LBB38_1568
.LBB38_1553:
	s_or_b32 exec_lo, exec_lo, s18
	v_mov_b32_e32 v7, 0
	s_and_saveexec_b32 s18, s19
	s_cbranch_execz .LBB38_1555
.LBB38_1554:
	v_and_b32_e32 v4, 0xffff, v1
	s_delay_alu instid0(VALU_DEP_1) | instskip(SKIP_1) | instid1(VALU_DEP_2)
	v_and_b32_e32 v5, 7, v4
	v_bfe_u32 v9, v4, 3, 4
	v_clz_i32_u32_e32 v7, v5
	s_delay_alu instid0(VALU_DEP_2) | instskip(NEXT) | instid1(VALU_DEP_2)
	v_cmp_eq_u32_e32 vcc_lo, 0, v9
	v_min_u32_e32 v7, 32, v7
	s_delay_alu instid0(VALU_DEP_1) | instskip(NEXT) | instid1(VALU_DEP_1)
	v_subrev_nc_u32_e32 v8, 28, v7
	v_dual_lshlrev_b32 v4, v8, v4 :: v_dual_sub_nc_u32 v7, 29, v7
	s_delay_alu instid0(VALU_DEP_1) | instskip(NEXT) | instid1(VALU_DEP_2)
	v_dual_lshlrev_b32 v1, 24, v1 :: v_dual_bitop2_b32 v4, 7, v4 bitop3:0x40
	v_cndmask_b32_e32 v7, v9, v7, vcc_lo
	s_delay_alu instid0(VALU_DEP_2) | instskip(NEXT) | instid1(VALU_DEP_3)
	v_cndmask_b32_e32 v4, v5, v4, vcc_lo
	v_and_b32_e32 v1, 0x80000000, v1
	s_delay_alu instid0(VALU_DEP_3) | instskip(NEXT) | instid1(VALU_DEP_3)
	v_lshl_add_u32 v5, v7, 23, 0x3b800000
	v_lshlrev_b32_e32 v4, 20, v4
	s_delay_alu instid0(VALU_DEP_1) | instskip(NEXT) | instid1(VALU_DEP_1)
	v_or3_b32 v1, v1, v5, v4
	v_cvt_i32_f32_e32 v7, v1
.LBB38_1555:
	s_or_b32 exec_lo, exec_lo, s18
.LBB38_1556:
	s_mov_b32 s18, -1
.LBB38_1557:
	s_branch .LBB38_1587
.LBB38_1558:
	s_cmp_gt_i32 s13, 22
	s_cbranch_scc0 .LBB38_1566
; %bb.1559:
	s_cmp_lt_i32 s13, 24
	s_cbranch_scc1 .LBB38_1569
; %bb.1560:
	s_cmp_gt_i32 s13, 24
	s_cbranch_scc0 .LBB38_1570
; %bb.1561:
	global_load_u8 v1, v[2:3], off
	s_mov_b32 s18, 0
	s_mov_b32 s17, exec_lo
	s_wait_loadcnt 0x0
	v_cmpx_lt_i16_e32 0x7f, v1
	s_xor_b32 s17, exec_lo, s17
	s_cbranch_execz .LBB38_1581
; %bb.1562:
	v_cmp_ne_u16_e32 vcc_lo, 0x80, v1
	s_and_b32 s18, vcc_lo, exec_lo
	s_and_not1_saveexec_b32 s17, s17
	s_cbranch_execnz .LBB38_1582
.LBB38_1563:
	s_or_b32 exec_lo, exec_lo, s17
	v_mov_b32_e32 v7, 0
	s_and_saveexec_b32 s17, s18
	s_cbranch_execz .LBB38_1565
.LBB38_1564:
	v_and_b32_e32 v4, 0xffff, v1
	s_delay_alu instid0(VALU_DEP_1) | instskip(SKIP_1) | instid1(VALU_DEP_2)
	v_and_b32_e32 v5, 3, v4
	v_bfe_u32 v9, v4, 2, 5
	v_clz_i32_u32_e32 v7, v5
	s_delay_alu instid0(VALU_DEP_2) | instskip(NEXT) | instid1(VALU_DEP_2)
	v_cmp_eq_u32_e32 vcc_lo, 0, v9
	v_min_u32_e32 v7, 32, v7
	s_delay_alu instid0(VALU_DEP_1) | instskip(NEXT) | instid1(VALU_DEP_1)
	v_subrev_nc_u32_e32 v8, 29, v7
	v_dual_lshlrev_b32 v4, v8, v4 :: v_dual_sub_nc_u32 v7, 30, v7
	s_delay_alu instid0(VALU_DEP_1) | instskip(NEXT) | instid1(VALU_DEP_2)
	v_dual_lshlrev_b32 v1, 24, v1 :: v_dual_bitop2_b32 v4, 3, v4 bitop3:0x40
	v_cndmask_b32_e32 v7, v9, v7, vcc_lo
	s_delay_alu instid0(VALU_DEP_2) | instskip(NEXT) | instid1(VALU_DEP_3)
	v_cndmask_b32_e32 v4, v5, v4, vcc_lo
	v_and_b32_e32 v1, 0x80000000, v1
	s_delay_alu instid0(VALU_DEP_3) | instskip(NEXT) | instid1(VALU_DEP_3)
	v_lshl_add_u32 v5, v7, 23, 0x37800000
	v_lshlrev_b32_e32 v4, 21, v4
	s_delay_alu instid0(VALU_DEP_1) | instskip(NEXT) | instid1(VALU_DEP_1)
	v_or3_b32 v1, v1, v5, v4
	v_cvt_i32_f32_e32 v7, v1
.LBB38_1565:
	s_or_b32 exec_lo, exec_lo, s17
	s_mov_b32 s17, 0
	s_branch .LBB38_1571
.LBB38_1566:
                                        ; implicit-def: $vgpr7
	s_mov_b32 s17, 0
	s_branch .LBB38_1577
.LBB38_1567:
	s_and_not1_saveexec_b32 s18, s18
	s_cbranch_execz .LBB38_1553
.LBB38_1568:
	v_cmp_ne_u16_e32 vcc_lo, 0, v1
	s_and_not1_b32 s19, s19, exec_lo
	s_and_b32 s20, vcc_lo, exec_lo
	s_delay_alu instid0(SALU_CYCLE_1)
	s_or_b32 s19, s19, s20
	s_or_b32 exec_lo, exec_lo, s18
	v_mov_b32_e32 v7, 0
	s_and_saveexec_b32 s18, s19
	s_cbranch_execnz .LBB38_1554
	s_branch .LBB38_1555
.LBB38_1569:
	s_mov_b32 s17, -1
                                        ; implicit-def: $vgpr7
	s_branch .LBB38_1574
.LBB38_1570:
	s_mov_b32 s17, -1
                                        ; implicit-def: $vgpr7
.LBB38_1571:
	s_delay_alu instid0(SALU_CYCLE_1)
	s_and_b32 vcc_lo, exec_lo, s17
	s_cbranch_vccz .LBB38_1573
; %bb.1572:
	global_load_u8 v1, v[2:3], off
	s_wait_loadcnt 0x0
	v_lshlrev_b32_e32 v1, 24, v1
	s_delay_alu instid0(VALU_DEP_1) | instskip(NEXT) | instid1(VALU_DEP_1)
	v_and_b32_e32 v4, 0x7f000000, v1
	v_clz_i32_u32_e32 v5, v4
	v_add_nc_u32_e32 v8, 0x1000000, v4
	v_cmp_ne_u32_e32 vcc_lo, 0, v4
	s_delay_alu instid0(VALU_DEP_3) | instskip(NEXT) | instid1(VALU_DEP_1)
	v_min_u32_e32 v5, 32, v5
	v_sub_nc_u32_e64 v5, v5, 4 clamp
	s_delay_alu instid0(VALU_DEP_1) | instskip(NEXT) | instid1(VALU_DEP_1)
	v_dual_lshlrev_b32 v7, v5, v4 :: v_dual_lshlrev_b32 v5, 23, v5
	v_lshrrev_b32_e32 v7, 4, v7
	s_delay_alu instid0(VALU_DEP_1) | instskip(NEXT) | instid1(VALU_DEP_1)
	v_dual_sub_nc_u32 v5, v7, v5 :: v_dual_ashrrev_i32 v7, 8, v8
	v_add_nc_u32_e32 v5, 0x3c000000, v5
	s_delay_alu instid0(VALU_DEP_1) | instskip(NEXT) | instid1(VALU_DEP_1)
	v_and_or_b32 v5, 0x7f800000, v7, v5
	v_cndmask_b32_e32 v4, 0, v5, vcc_lo
	s_delay_alu instid0(VALU_DEP_1) | instskip(NEXT) | instid1(VALU_DEP_1)
	v_and_or_b32 v1, 0x80000000, v1, v4
	v_cvt_i32_f32_e32 v7, v1
.LBB38_1573:
	s_mov_b32 s17, 0
.LBB38_1574:
	s_delay_alu instid0(SALU_CYCLE_1)
	s_and_not1_b32 vcc_lo, exec_lo, s17
	s_cbranch_vccnz .LBB38_1576
; %bb.1575:
	global_load_u8 v1, v[2:3], off
	s_wait_loadcnt 0x0
	v_lshlrev_b32_e32 v4, 25, v1
	v_lshlrev_b16 v1, 8, v1
	s_delay_alu instid0(VALU_DEP_1) | instskip(SKIP_1) | instid1(VALU_DEP_2)
	v_and_or_b32 v7, 0x7f00, v1, 0.5
	v_bfe_i32 v1, v1, 0, 16
	v_dual_add_f32 v7, -0.5, v7 :: v_dual_lshrrev_b32 v5, 4, v4
	v_cmp_gt_u32_e32 vcc_lo, 0x8000000, v4
	s_delay_alu instid0(VALU_DEP_2) | instskip(NEXT) | instid1(VALU_DEP_1)
	v_or_b32_e32 v5, 0x70000000, v5
	v_mul_f32_e32 v5, 0x7800000, v5
	s_delay_alu instid0(VALU_DEP_1) | instskip(NEXT) | instid1(VALU_DEP_1)
	v_cndmask_b32_e32 v4, v5, v7, vcc_lo
	v_and_or_b32 v1, 0x80000000, v1, v4
	s_delay_alu instid0(VALU_DEP_1)
	v_cvt_i32_f32_e32 v7, v1
.LBB38_1576:
	s_mov_b32 s18, -1
	s_mov_b32 s17, 0
	s_cbranch_execnz .LBB38_1587
.LBB38_1577:
	s_cmp_gt_i32 s13, 14
	s_cbranch_scc0 .LBB38_1580
; %bb.1578:
	s_cmp_eq_u32 s13, 15
	s_cbranch_scc0 .LBB38_1583
; %bb.1579:
	global_load_u16 v1, v[2:3], off
	s_mov_b32 s14, 0
	s_mov_b32 s18, -1
	s_wait_loadcnt 0x0
	v_lshlrev_b32_e32 v1, 16, v1
	s_delay_alu instid0(VALU_DEP_1)
	v_cvt_i32_f32_e32 v7, v1
	s_branch .LBB38_1585
.LBB38_1580:
	s_mov_b32 s17, -1
	s_branch .LBB38_1584
.LBB38_1581:
	s_and_not1_saveexec_b32 s17, s17
	s_cbranch_execz .LBB38_1563
.LBB38_1582:
	v_cmp_ne_u16_e32 vcc_lo, 0, v1
	s_and_not1_b32 s18, s18, exec_lo
	s_and_b32 s19, vcc_lo, exec_lo
	s_delay_alu instid0(SALU_CYCLE_1)
	s_or_b32 s18, s18, s19
	s_or_b32 exec_lo, exec_lo, s17
	v_mov_b32_e32 v7, 0
	s_and_saveexec_b32 s17, s18
	s_cbranch_execnz .LBB38_1564
	s_branch .LBB38_1565
.LBB38_1583:
	s_mov_b32 s14, -1
.LBB38_1584:
                                        ; implicit-def: $vgpr7
.LBB38_1585:
	s_and_b32 vcc_lo, exec_lo, s17
	s_mov_b32 s17, 0
	s_cbranch_vccz .LBB38_1587
; %bb.1586:
	s_cmp_lg_u32 s13, 11
	s_mov_b32 s17, -1
	s_cselect_b32 s14, -1, 0
.LBB38_1587:
	s_delay_alu instid0(SALU_CYCLE_1)
	s_and_b32 vcc_lo, exec_lo, s14
	s_mov_b32 s13, s16
	s_cbranch_vccnz .LBB38_1648
; %bb.1588:
	s_and_not1_b32 vcc_lo, exec_lo, s17
	s_cbranch_vccnz .LBB38_1590
.LBB38_1589:
	global_load_u8 v1, v[2:3], off
	s_mov_b32 s18, -1
	s_wait_loadcnt 0x0
	v_cmp_ne_u16_e32 vcc_lo, 0, v1
	v_cndmask_b32_e64 v7, 0, 1, vcc_lo
.LBB38_1590:
	s_branch .LBB38_1524
.LBB38_1591:
	s_and_b32 s14, 0xffff, s0
	s_delay_alu instid0(SALU_CYCLE_1)
	s_cmp_lt_i32 s14, 5
	s_cbranch_scc1 .LBB38_1596
; %bb.1592:
	s_cmp_lt_i32 s14, 8
	s_cbranch_scc1 .LBB38_1597
; %bb.1593:
	;; [unrolled: 3-line block ×3, first 2 shown]
	s_cmp_gt_i32 s14, 9
	s_cbranch_scc0 .LBB38_1599
; %bb.1595:
	global_load_b64 v[4:5], v[2:3], off
	s_mov_b32 s17, 0
	s_wait_loadcnt 0x0
	v_cvt_i32_f64_e32 v7, v[4:5]
	s_branch .LBB38_1600
.LBB38_1596:
                                        ; implicit-def: $vgpr7
	s_branch .LBB38_1617
.LBB38_1597:
                                        ; implicit-def: $vgpr7
	s_branch .LBB38_1606
.LBB38_1598:
	s_mov_b32 s17, -1
                                        ; implicit-def: $vgpr7
	s_branch .LBB38_1603
.LBB38_1599:
	s_mov_b32 s17, -1
                                        ; implicit-def: $vgpr7
.LBB38_1600:
	s_delay_alu instid0(SALU_CYCLE_1)
	s_and_not1_b32 vcc_lo, exec_lo, s17
	s_cbranch_vccnz .LBB38_1602
; %bb.1601:
	global_load_b32 v1, v[2:3], off
	s_wait_loadcnt 0x0
	v_cvt_i32_f32_e32 v7, v1
.LBB38_1602:
	s_mov_b32 s17, 0
.LBB38_1603:
	s_delay_alu instid0(SALU_CYCLE_1)
	s_and_not1_b32 vcc_lo, exec_lo, s17
	s_cbranch_vccnz .LBB38_1605
; %bb.1604:
	global_load_b32 v1, v[2:3], off
	s_wait_loadcnt 0x0
	v_cvt_f32_f16_e32 v1, v1
	s_delay_alu instid0(VALU_DEP_1)
	v_cvt_i32_f32_e32 v7, v1
.LBB38_1605:
	s_cbranch_execnz .LBB38_1616
.LBB38_1606:
	s_cmp_lt_i32 s14, 6
	s_cbranch_scc1 .LBB38_1609
; %bb.1607:
	s_cmp_gt_i32 s14, 6
	s_cbranch_scc0 .LBB38_1610
; %bb.1608:
	global_load_b64 v[4:5], v[2:3], off
	s_mov_b32 s17, 0
	s_wait_loadcnt 0x0
	v_cvt_i32_f64_e32 v7, v[4:5]
	s_branch .LBB38_1611
.LBB38_1609:
	s_mov_b32 s17, -1
                                        ; implicit-def: $vgpr7
	s_branch .LBB38_1614
.LBB38_1610:
	s_mov_b32 s17, -1
                                        ; implicit-def: $vgpr7
.LBB38_1611:
	s_delay_alu instid0(SALU_CYCLE_1)
	s_and_not1_b32 vcc_lo, exec_lo, s17
	s_cbranch_vccnz .LBB38_1613
; %bb.1612:
	global_load_b32 v1, v[2:3], off
	s_wait_loadcnt 0x0
	v_cvt_i32_f32_e32 v7, v1
.LBB38_1613:
	s_mov_b32 s17, 0
.LBB38_1614:
	s_delay_alu instid0(SALU_CYCLE_1)
	s_and_not1_b32 vcc_lo, exec_lo, s17
	s_cbranch_vccnz .LBB38_1616
; %bb.1615:
	global_load_u16 v1, v[2:3], off
	s_wait_loadcnt 0x0
	v_cvt_f32_f16_e32 v1, v1
	s_delay_alu instid0(VALU_DEP_1)
	v_cvt_i32_f32_e32 v7, v1
.LBB38_1616:
	s_cbranch_execnz .LBB38_1635
.LBB38_1617:
	s_cmp_lt_i32 s14, 2
	s_cbranch_scc1 .LBB38_1621
; %bb.1618:
	s_cmp_lt_i32 s14, 3
	s_cbranch_scc1 .LBB38_1622
; %bb.1619:
	s_cmp_gt_i32 s14, 3
	s_cbranch_scc0 .LBB38_1623
; %bb.1620:
	s_wait_loadcnt 0x0
	global_load_b32 v7, v[2:3], off
	s_mov_b32 s17, 0
	s_branch .LBB38_1624
.LBB38_1621:
                                        ; implicit-def: $vgpr7
	s_branch .LBB38_1630
.LBB38_1622:
	s_mov_b32 s17, -1
                                        ; implicit-def: $vgpr7
	s_branch .LBB38_1627
.LBB38_1623:
	s_mov_b32 s17, -1
                                        ; implicit-def: $vgpr7
.LBB38_1624:
	s_delay_alu instid0(SALU_CYCLE_1)
	s_and_not1_b32 vcc_lo, exec_lo, s17
	s_cbranch_vccnz .LBB38_1626
; %bb.1625:
	s_wait_loadcnt 0x0
	global_load_b32 v7, v[2:3], off
.LBB38_1626:
	s_mov_b32 s17, 0
.LBB38_1627:
	s_delay_alu instid0(SALU_CYCLE_1)
	s_and_not1_b32 vcc_lo, exec_lo, s17
	s_cbranch_vccnz .LBB38_1629
; %bb.1628:
	s_wait_loadcnt 0x0
	global_load_i16 v7, v[2:3], off
.LBB38_1629:
	s_cbranch_execnz .LBB38_1635
.LBB38_1630:
	s_cmp_gt_i32 s14, 0
	s_mov_b32 s14, 0
	s_cbranch_scc0 .LBB38_1632
; %bb.1631:
	s_wait_loadcnt 0x0
	global_load_i8 v7, v[2:3], off
	s_branch .LBB38_1633
.LBB38_1632:
	s_mov_b32 s14, -1
                                        ; implicit-def: $vgpr7
.LBB38_1633:
	s_delay_alu instid0(SALU_CYCLE_1)
	s_and_not1_b32 vcc_lo, exec_lo, s14
	s_cbranch_vccnz .LBB38_1635
; %bb.1634:
	s_wait_loadcnt 0x0
	global_load_u8 v7, v[2:3], off
.LBB38_1635:
.LBB38_1636:
	s_wait_xcnt 0x0
	v_mul_lo_u32 v2, s10, v6
	s_and_b32 s1, s1, 0xff
	s_delay_alu instid0(SALU_CYCLE_1) | instskip(NEXT) | instid1(VALU_DEP_1)
	s_cmp_lt_i32 s1, 11
	v_ashrrev_i32_e32 v3, 31, v2
	s_delay_alu instid0(VALU_DEP_1)
	v_add_nc_u64_e32 v[4:5], s[2:3], v[2:3]
	s_cbranch_scc1 .LBB38_1643
; %bb.1637:
	s_and_b32 s14, 0xffff, s1
	s_mov_b32 s18, 0
	s_cmp_gt_i32 s14, 25
	s_cbranch_scc0 .LBB38_1645
; %bb.1638:
	s_cmp_gt_i32 s14, 28
	s_cbranch_scc0 .LBB38_1646
; %bb.1639:
	;; [unrolled: 3-line block ×4, first 2 shown]
	s_cmp_eq_u32 s14, 46
	s_mov_b32 s20, 0
	s_cbranch_scc0 .LBB38_1652
; %bb.1642:
	global_load_b32 v1, v[4:5], off
	s_mov_b32 s17, 0
	s_mov_b32 s19, -1
	s_wait_loadcnt 0x0
	v_lshlrev_b32_e32 v1, 16, v1
	s_delay_alu instid0(VALU_DEP_1)
	v_cvt_i32_f32_e32 v9, v1
	s_branch .LBB38_1654
.LBB38_1643:
	s_mov_b32 s19, 0
                                        ; implicit-def: $vgpr9
	s_cbranch_execnz .LBB38_1715
.LBB38_1644:
	s_and_not1_b32 vcc_lo, exec_lo, s19
	s_cbranch_vccnz .LBB38_2957
	s_branch .LBB38_1762
.LBB38_1645:
	s_mov_b32 s19, 0
	s_mov_b32 s17, 0
                                        ; implicit-def: $vgpr9
	s_cbranch_execnz .LBB38_1681
	s_branch .LBB38_1711
.LBB38_1646:
	s_mov_b32 s20, -1
	s_mov_b32 s19, 0
	s_mov_b32 s17, 0
                                        ; implicit-def: $vgpr9
	s_branch .LBB38_1664
.LBB38_1647:
	s_mov_b32 s20, -1
	s_mov_b32 s19, 0
	s_mov_b32 s17, 0
                                        ; implicit-def: $vgpr9
	s_branch .LBB38_1659
.LBB38_1648:
	s_or_b32 s13, s16, exec_lo
	s_trap 2
	s_cbranch_execz .LBB38_1589
	s_branch .LBB38_1590
.LBB38_1649:
	s_mov_b32 s20, -1
	s_mov_b32 s19, 0
	s_mov_b32 s17, 0
	s_branch .LBB38_1653
.LBB38_1650:
	s_and_not1_saveexec_b32 s25, s25
	s_cbranch_execz .LBB38_1440
.LBB38_1651:
	v_add_f32_e32 v2, 0x42800000, v3
	s_and_not1_b32 s24, s24, exec_lo
	s_delay_alu instid0(VALU_DEP_1) | instskip(NEXT) | instid1(VALU_DEP_1)
	v_and_b32_e32 v2, 0xff, v2
	v_cmp_ne_u32_e32 vcc_lo, 0, v2
	s_and_b32 s26, vcc_lo, exec_lo
	s_delay_alu instid0(SALU_CYCLE_1)
	s_or_b32 s24, s24, s26
	s_or_b32 exec_lo, exec_lo, s25
	v_mov_b32_e32 v4, 0
	s_and_saveexec_b32 s25, s24
	s_cbranch_execnz .LBB38_1441
	s_branch .LBB38_1442
.LBB38_1652:
	s_mov_b32 s17, -1
	s_mov_b32 s19, 0
.LBB38_1653:
                                        ; implicit-def: $vgpr9
.LBB38_1654:
	s_and_b32 vcc_lo, exec_lo, s20
	s_cbranch_vccz .LBB38_1658
; %bb.1655:
	s_cmp_eq_u32 s14, 44
	s_cbranch_scc0 .LBB38_1657
; %bb.1656:
	global_load_u8 v1, v[4:5], off
	s_mov_b32 s17, 0
	s_mov_b32 s19, -1
	s_wait_loadcnt 0x0
	v_lshlrev_b32_e32 v3, 23, v1
	v_cmp_ne_u32_e32 vcc_lo, 0, v1
	s_delay_alu instid0(VALU_DEP_2) | instskip(NEXT) | instid1(VALU_DEP_1)
	v_cvt_i32_f32_e32 v3, v3
	v_cndmask_b32_e32 v9, 0, v3, vcc_lo
	s_branch .LBB38_1658
.LBB38_1657:
	s_mov_b32 s17, -1
                                        ; implicit-def: $vgpr9
.LBB38_1658:
	s_mov_b32 s20, 0
.LBB38_1659:
	s_delay_alu instid0(SALU_CYCLE_1)
	s_and_b32 vcc_lo, exec_lo, s20
	s_cbranch_vccz .LBB38_1663
; %bb.1660:
	s_cmp_eq_u32 s14, 29
	s_cbranch_scc0 .LBB38_1662
; %bb.1661:
	global_load_b32 v9, v[4:5], off
	s_mov_b32 s17, 0
	s_mov_b32 s19, -1
	s_branch .LBB38_1663
.LBB38_1662:
	s_mov_b32 s17, -1
                                        ; implicit-def: $vgpr9
.LBB38_1663:
	s_mov_b32 s20, 0
.LBB38_1664:
	s_delay_alu instid0(SALU_CYCLE_1)
	s_and_b32 vcc_lo, exec_lo, s20
	s_cbranch_vccz .LBB38_1680
; %bb.1665:
	s_cmp_lt_i32 s14, 27
	s_cbranch_scc1 .LBB38_1668
; %bb.1666:
	s_cmp_gt_i32 s14, 27
	s_cbranch_scc0 .LBB38_1669
; %bb.1667:
	s_wait_loadcnt 0x0
	global_load_b32 v9, v[4:5], off
	s_mov_b32 s19, 0
	s_branch .LBB38_1670
.LBB38_1668:
	s_mov_b32 s19, -1
                                        ; implicit-def: $vgpr9
	s_branch .LBB38_1673
.LBB38_1669:
	s_mov_b32 s19, -1
                                        ; implicit-def: $vgpr9
.LBB38_1670:
	s_delay_alu instid0(SALU_CYCLE_1)
	s_and_not1_b32 vcc_lo, exec_lo, s19
	s_cbranch_vccnz .LBB38_1672
; %bb.1671:
	s_wait_loadcnt 0x0
	global_load_u16 v9, v[4:5], off
.LBB38_1672:
	s_mov_b32 s19, 0
.LBB38_1673:
	s_delay_alu instid0(SALU_CYCLE_1)
	s_and_not1_b32 vcc_lo, exec_lo, s19
	s_cbranch_vccnz .LBB38_1679
; %bb.1674:
	global_load_u8 v1, v[4:5], off
	s_mov_b32 s20, 0
	s_mov_b32 s19, exec_lo
	s_wait_loadcnt 0x0
	v_cmpx_lt_i16_e32 0x7f, v1
	s_xor_b32 s19, exec_lo, s19
	s_cbranch_execz .LBB38_1690
; %bb.1675:
	v_cmp_ne_u16_e32 vcc_lo, 0x80, v1
	s_and_b32 s20, vcc_lo, exec_lo
	s_and_not1_saveexec_b32 s19, s19
	s_cbranch_execnz .LBB38_1691
.LBB38_1676:
	s_or_b32 exec_lo, exec_lo, s19
	v_mov_b32_e32 v9, 0
	s_and_saveexec_b32 s19, s20
	s_cbranch_execz .LBB38_1678
.LBB38_1677:
	v_and_b32_e32 v3, 0xffff, v1
	s_delay_alu instid0(VALU_DEP_1) | instskip(SKIP_1) | instid1(VALU_DEP_2)
	v_and_b32_e32 v8, 7, v3
	v_bfe_u32 v11, v3, 3, 4
	v_clz_i32_u32_e32 v9, v8
	s_delay_alu instid0(VALU_DEP_2) | instskip(NEXT) | instid1(VALU_DEP_2)
	v_cmp_eq_u32_e32 vcc_lo, 0, v11
	v_min_u32_e32 v9, 32, v9
	s_delay_alu instid0(VALU_DEP_1) | instskip(NEXT) | instid1(VALU_DEP_1)
	v_subrev_nc_u32_e32 v10, 28, v9
	v_dual_lshlrev_b32 v3, v10, v3 :: v_dual_sub_nc_u32 v9, 29, v9
	s_delay_alu instid0(VALU_DEP_1) | instskip(NEXT) | instid1(VALU_DEP_1)
	v_dual_lshlrev_b32 v1, 24, v1 :: v_dual_bitop2_b32 v3, 7, v3 bitop3:0x40
	v_dual_cndmask_b32 v3, v8, v3, vcc_lo :: v_dual_cndmask_b32 v9, v11, v9, vcc_lo
	s_delay_alu instid0(VALU_DEP_2) | instskip(NEXT) | instid1(VALU_DEP_2)
	v_and_b32_e32 v1, 0x80000000, v1
	v_lshlrev_b32_e32 v3, 20, v3
	s_delay_alu instid0(VALU_DEP_3) | instskip(NEXT) | instid1(VALU_DEP_1)
	v_lshl_add_u32 v8, v9, 23, 0x3b800000
	v_or3_b32 v1, v1, v8, v3
	s_delay_alu instid0(VALU_DEP_1)
	v_cvt_i32_f32_e32 v9, v1
.LBB38_1678:
	s_or_b32 exec_lo, exec_lo, s19
.LBB38_1679:
	s_mov_b32 s19, -1
.LBB38_1680:
	s_branch .LBB38_1711
.LBB38_1681:
	s_cmp_gt_i32 s14, 22
	s_cbranch_scc0 .LBB38_1689
; %bb.1682:
	s_cmp_lt_i32 s14, 24
	s_cbranch_scc1 .LBB38_1692
; %bb.1683:
	s_cmp_gt_i32 s14, 24
	s_cbranch_scc0 .LBB38_1693
; %bb.1684:
	global_load_u8 v1, v[4:5], off
	s_mov_b32 s19, 0
	s_mov_b32 s18, exec_lo
	s_wait_loadcnt 0x0
	v_cmpx_lt_i16_e32 0x7f, v1
	s_xor_b32 s18, exec_lo, s18
	s_cbranch_execz .LBB38_1705
; %bb.1685:
	v_cmp_ne_u16_e32 vcc_lo, 0x80, v1
	s_and_b32 s19, vcc_lo, exec_lo
	s_and_not1_saveexec_b32 s18, s18
	s_cbranch_execnz .LBB38_1706
.LBB38_1686:
	s_or_b32 exec_lo, exec_lo, s18
	v_mov_b32_e32 v9, 0
	s_and_saveexec_b32 s18, s19
	s_cbranch_execz .LBB38_1688
.LBB38_1687:
	v_and_b32_e32 v3, 0xffff, v1
	s_delay_alu instid0(VALU_DEP_1) | instskip(SKIP_1) | instid1(VALU_DEP_2)
	v_and_b32_e32 v8, 3, v3
	v_bfe_u32 v11, v3, 2, 5
	v_clz_i32_u32_e32 v9, v8
	s_delay_alu instid0(VALU_DEP_2) | instskip(NEXT) | instid1(VALU_DEP_2)
	v_cmp_eq_u32_e32 vcc_lo, 0, v11
	v_min_u32_e32 v9, 32, v9
	s_delay_alu instid0(VALU_DEP_1) | instskip(NEXT) | instid1(VALU_DEP_1)
	v_subrev_nc_u32_e32 v10, 29, v9
	v_dual_lshlrev_b32 v3, v10, v3 :: v_dual_sub_nc_u32 v9, 30, v9
	s_delay_alu instid0(VALU_DEP_1) | instskip(NEXT) | instid1(VALU_DEP_1)
	v_dual_lshlrev_b32 v1, 24, v1 :: v_dual_bitop2_b32 v3, 3, v3 bitop3:0x40
	v_dual_cndmask_b32 v3, v8, v3, vcc_lo :: v_dual_cndmask_b32 v9, v11, v9, vcc_lo
	s_delay_alu instid0(VALU_DEP_2) | instskip(NEXT) | instid1(VALU_DEP_2)
	v_and_b32_e32 v1, 0x80000000, v1
	v_lshlrev_b32_e32 v3, 21, v3
	s_delay_alu instid0(VALU_DEP_3) | instskip(NEXT) | instid1(VALU_DEP_1)
	v_lshl_add_u32 v8, v9, 23, 0x37800000
	v_or3_b32 v1, v1, v8, v3
	s_delay_alu instid0(VALU_DEP_1)
	v_cvt_i32_f32_e32 v9, v1
.LBB38_1688:
	s_or_b32 exec_lo, exec_lo, s18
	s_mov_b32 s18, 0
	s_branch .LBB38_1694
.LBB38_1689:
	s_mov_b32 s18, -1
                                        ; implicit-def: $vgpr9
	s_branch .LBB38_1700
.LBB38_1690:
	s_and_not1_saveexec_b32 s19, s19
	s_cbranch_execz .LBB38_1676
.LBB38_1691:
	v_cmp_ne_u16_e32 vcc_lo, 0, v1
	s_and_not1_b32 s20, s20, exec_lo
	s_and_b32 s21, vcc_lo, exec_lo
	s_delay_alu instid0(SALU_CYCLE_1)
	s_or_b32 s20, s20, s21
	s_or_b32 exec_lo, exec_lo, s19
	v_mov_b32_e32 v9, 0
	s_and_saveexec_b32 s19, s20
	s_cbranch_execnz .LBB38_1677
	s_branch .LBB38_1678
.LBB38_1692:
	s_mov_b32 s18, -1
                                        ; implicit-def: $vgpr9
	s_branch .LBB38_1697
.LBB38_1693:
	s_mov_b32 s18, -1
                                        ; implicit-def: $vgpr9
.LBB38_1694:
	s_delay_alu instid0(SALU_CYCLE_1)
	s_and_b32 vcc_lo, exec_lo, s18
	s_cbranch_vccz .LBB38_1696
; %bb.1695:
	global_load_u8 v1, v[4:5], off
	s_wait_loadcnt 0x0
	v_lshlrev_b32_e32 v1, 24, v1
	s_delay_alu instid0(VALU_DEP_1) | instskip(NEXT) | instid1(VALU_DEP_1)
	v_and_b32_e32 v3, 0x7f000000, v1
	v_clz_i32_u32_e32 v8, v3
	v_cmp_ne_u32_e32 vcc_lo, 0, v3
	v_add_nc_u32_e32 v10, 0x1000000, v3
	s_delay_alu instid0(VALU_DEP_3) | instskip(NEXT) | instid1(VALU_DEP_1)
	v_min_u32_e32 v8, 32, v8
	v_sub_nc_u32_e64 v8, v8, 4 clamp
	s_delay_alu instid0(VALU_DEP_1) | instskip(NEXT) | instid1(VALU_DEP_1)
	v_dual_lshlrev_b32 v9, v8, v3 :: v_dual_lshlrev_b32 v8, 23, v8
	v_lshrrev_b32_e32 v9, 4, v9
	s_delay_alu instid0(VALU_DEP_1) | instskip(NEXT) | instid1(VALU_DEP_1)
	v_dual_sub_nc_u32 v8, v9, v8 :: v_dual_ashrrev_i32 v9, 8, v10
	v_add_nc_u32_e32 v8, 0x3c000000, v8
	s_delay_alu instid0(VALU_DEP_1) | instskip(NEXT) | instid1(VALU_DEP_1)
	v_and_or_b32 v8, 0x7f800000, v9, v8
	v_cndmask_b32_e32 v3, 0, v8, vcc_lo
	s_delay_alu instid0(VALU_DEP_1) | instskip(NEXT) | instid1(VALU_DEP_1)
	v_and_or_b32 v1, 0x80000000, v1, v3
	v_cvt_i32_f32_e32 v9, v1
.LBB38_1696:
	s_mov_b32 s18, 0
.LBB38_1697:
	s_delay_alu instid0(SALU_CYCLE_1)
	s_and_not1_b32 vcc_lo, exec_lo, s18
	s_cbranch_vccnz .LBB38_1699
; %bb.1698:
	global_load_u8 v1, v[4:5], off
	s_wait_loadcnt 0x0
	v_lshlrev_b32_e32 v3, 25, v1
	v_lshlrev_b16 v1, 8, v1
	s_delay_alu instid0(VALU_DEP_1) | instskip(NEXT) | instid1(VALU_DEP_3)
	v_and_or_b32 v9, 0x7f00, v1, 0.5
	v_lshrrev_b32_e32 v8, 4, v3
	v_bfe_i32 v1, v1, 0, 16
	s_delay_alu instid0(VALU_DEP_3) | instskip(NEXT) | instid1(VALU_DEP_3)
	v_add_f32_e32 v9, -0.5, v9
	v_or_b32_e32 v8, 0x70000000, v8
	s_delay_alu instid0(VALU_DEP_1) | instskip(SKIP_1) | instid1(VALU_DEP_2)
	v_mul_f32_e32 v8, 0x7800000, v8
	v_cmp_gt_u32_e32 vcc_lo, 0x8000000, v3
	v_cndmask_b32_e32 v3, v8, v9, vcc_lo
	s_delay_alu instid0(VALU_DEP_1) | instskip(NEXT) | instid1(VALU_DEP_1)
	v_and_or_b32 v1, 0x80000000, v1, v3
	v_cvt_i32_f32_e32 v9, v1
.LBB38_1699:
	s_mov_b32 s18, 0
	s_mov_b32 s19, -1
.LBB38_1700:
	s_and_not1_b32 vcc_lo, exec_lo, s18
	s_mov_b32 s18, 0
	s_cbranch_vccnz .LBB38_1711
; %bb.1701:
	s_cmp_gt_i32 s14, 14
	s_cbranch_scc0 .LBB38_1704
; %bb.1702:
	s_cmp_eq_u32 s14, 15
	s_cbranch_scc0 .LBB38_1707
; %bb.1703:
	global_load_u16 v1, v[4:5], off
	s_mov_b32 s17, 0
	s_mov_b32 s19, -1
	s_wait_loadcnt 0x0
	v_lshlrev_b32_e32 v1, 16, v1
	s_delay_alu instid0(VALU_DEP_1)
	v_cvt_i32_f32_e32 v9, v1
	s_branch .LBB38_1709
.LBB38_1704:
	s_mov_b32 s18, -1
	s_branch .LBB38_1708
.LBB38_1705:
	s_and_not1_saveexec_b32 s18, s18
	s_cbranch_execz .LBB38_1686
.LBB38_1706:
	v_cmp_ne_u16_e32 vcc_lo, 0, v1
	s_and_not1_b32 s19, s19, exec_lo
	s_and_b32 s20, vcc_lo, exec_lo
	s_delay_alu instid0(SALU_CYCLE_1)
	s_or_b32 s19, s19, s20
	s_or_b32 exec_lo, exec_lo, s18
	v_mov_b32_e32 v9, 0
	s_and_saveexec_b32 s18, s19
	s_cbranch_execnz .LBB38_1687
	s_branch .LBB38_1688
.LBB38_1707:
	s_mov_b32 s17, -1
.LBB38_1708:
                                        ; implicit-def: $vgpr9
.LBB38_1709:
	s_and_b32 vcc_lo, exec_lo, s18
	s_mov_b32 s18, 0
	s_cbranch_vccz .LBB38_1711
; %bb.1710:
	s_cmp_lg_u32 s14, 11
	s_mov_b32 s18, -1
	s_cselect_b32 s17, -1, 0
.LBB38_1711:
	s_delay_alu instid0(SALU_CYCLE_1)
	s_and_b32 vcc_lo, exec_lo, s17
	s_cbranch_vccnz .LBB38_1774
; %bb.1712:
	s_and_not1_b32 vcc_lo, exec_lo, s18
	s_cbranch_vccnz .LBB38_1714
.LBB38_1713:
	global_load_u8 v1, v[4:5], off
	s_mov_b32 s19, -1
	s_wait_loadcnt 0x0
	v_cmp_ne_u16_e32 vcc_lo, 0, v1
	v_cndmask_b32_e64 v9, 0, 1, vcc_lo
.LBB38_1714:
	s_branch .LBB38_1644
.LBB38_1715:
	s_and_b32 s14, 0xffff, s1
	s_delay_alu instid0(SALU_CYCLE_1)
	s_cmp_lt_i32 s14, 5
	s_cbranch_scc1 .LBB38_1720
; %bb.1716:
	s_cmp_lt_i32 s14, 8
	s_cbranch_scc1 .LBB38_1721
; %bb.1717:
	;; [unrolled: 3-line block ×3, first 2 shown]
	s_cmp_gt_i32 s14, 9
	s_cbranch_scc0 .LBB38_1723
; %bb.1719:
	s_wait_loadcnt 0x0
	global_load_b64 v[8:9], v[4:5], off
	s_mov_b32 s17, 0
	s_wait_loadcnt 0x0
	v_cvt_i32_f64_e32 v9, v[8:9]
	s_branch .LBB38_1724
.LBB38_1720:
                                        ; implicit-def: $vgpr9
	s_branch .LBB38_1742
.LBB38_1721:
	s_mov_b32 s17, -1
                                        ; implicit-def: $vgpr9
	s_branch .LBB38_1730
.LBB38_1722:
	s_mov_b32 s17, -1
                                        ; implicit-def: $vgpr9
	s_branch .LBB38_1727
.LBB38_1723:
	s_mov_b32 s17, -1
                                        ; implicit-def: $vgpr9
.LBB38_1724:
	s_delay_alu instid0(SALU_CYCLE_1)
	s_and_not1_b32 vcc_lo, exec_lo, s17
	s_cbranch_vccnz .LBB38_1726
; %bb.1725:
	global_load_b32 v1, v[4:5], off
	s_wait_loadcnt 0x0
	v_cvt_i32_f32_e32 v9, v1
.LBB38_1726:
	s_mov_b32 s17, 0
.LBB38_1727:
	s_delay_alu instid0(SALU_CYCLE_1)
	s_and_not1_b32 vcc_lo, exec_lo, s17
	s_cbranch_vccnz .LBB38_1729
; %bb.1728:
	global_load_b32 v1, v[4:5], off
	s_wait_loadcnt 0x0
	v_cvt_f32_f16_e32 v1, v1
	s_delay_alu instid0(VALU_DEP_1)
	v_cvt_i32_f32_e32 v9, v1
.LBB38_1729:
	s_mov_b32 s17, 0
.LBB38_1730:
	s_delay_alu instid0(SALU_CYCLE_1)
	s_and_not1_b32 vcc_lo, exec_lo, s17
	s_cbranch_vccnz .LBB38_1741
; %bb.1731:
	s_cmp_lt_i32 s14, 6
	s_cbranch_scc1 .LBB38_1734
; %bb.1732:
	s_cmp_gt_i32 s14, 6
	s_cbranch_scc0 .LBB38_1735
; %bb.1733:
	s_wait_loadcnt 0x0
	global_load_b64 v[8:9], v[4:5], off
	s_mov_b32 s17, 0
	s_wait_loadcnt 0x0
	v_cvt_i32_f64_e32 v9, v[8:9]
	s_branch .LBB38_1736
.LBB38_1734:
	s_mov_b32 s17, -1
                                        ; implicit-def: $vgpr9
	s_branch .LBB38_1739
.LBB38_1735:
	s_mov_b32 s17, -1
                                        ; implicit-def: $vgpr9
.LBB38_1736:
	s_delay_alu instid0(SALU_CYCLE_1)
	s_and_not1_b32 vcc_lo, exec_lo, s17
	s_cbranch_vccnz .LBB38_1738
; %bb.1737:
	global_load_b32 v1, v[4:5], off
	s_wait_loadcnt 0x0
	v_cvt_i32_f32_e32 v9, v1
.LBB38_1738:
	s_mov_b32 s17, 0
.LBB38_1739:
	s_delay_alu instid0(SALU_CYCLE_1)
	s_and_not1_b32 vcc_lo, exec_lo, s17
	s_cbranch_vccnz .LBB38_1741
; %bb.1740:
	global_load_u16 v1, v[4:5], off
	s_wait_loadcnt 0x0
	v_cvt_f32_f16_e32 v1, v1
	s_delay_alu instid0(VALU_DEP_1)
	v_cvt_i32_f32_e32 v9, v1
.LBB38_1741:
	s_cbranch_execnz .LBB38_1761
.LBB38_1742:
	s_cmp_lt_i32 s14, 2
	s_cbranch_scc1 .LBB38_1746
; %bb.1743:
	s_cmp_lt_i32 s14, 3
	s_cbranch_scc1 .LBB38_1747
; %bb.1744:
	s_cmp_gt_i32 s14, 3
	s_cbranch_scc0 .LBB38_1748
; %bb.1745:
	s_wait_loadcnt 0x0
	global_load_b32 v9, v[4:5], off
	s_mov_b32 s17, 0
	s_branch .LBB38_1749
.LBB38_1746:
	s_mov_b32 s17, -1
                                        ; implicit-def: $vgpr9
	s_branch .LBB38_1755
.LBB38_1747:
	s_mov_b32 s17, -1
                                        ; implicit-def: $vgpr9
	s_branch .LBB38_1752
.LBB38_1748:
	s_mov_b32 s17, -1
                                        ; implicit-def: $vgpr9
.LBB38_1749:
	s_delay_alu instid0(SALU_CYCLE_1)
	s_and_not1_b32 vcc_lo, exec_lo, s17
	s_cbranch_vccnz .LBB38_1751
; %bb.1750:
	s_wait_loadcnt 0x0
	global_load_b32 v9, v[4:5], off
.LBB38_1751:
	s_mov_b32 s17, 0
.LBB38_1752:
	s_delay_alu instid0(SALU_CYCLE_1)
	s_and_not1_b32 vcc_lo, exec_lo, s17
	s_cbranch_vccnz .LBB38_1754
; %bb.1753:
	s_wait_loadcnt 0x0
	global_load_i16 v9, v[4:5], off
.LBB38_1754:
	s_mov_b32 s17, 0
.LBB38_1755:
	s_delay_alu instid0(SALU_CYCLE_1)
	s_and_not1_b32 vcc_lo, exec_lo, s17
	s_cbranch_vccnz .LBB38_1761
; %bb.1756:
	s_cmp_gt_i32 s14, 0
	s_mov_b32 s14, 0
	s_cbranch_scc0 .LBB38_1758
; %bb.1757:
	s_wait_loadcnt 0x0
	global_load_i8 v9, v[4:5], off
	s_branch .LBB38_1759
.LBB38_1758:
	s_mov_b32 s14, -1
                                        ; implicit-def: $vgpr9
.LBB38_1759:
	s_delay_alu instid0(SALU_CYCLE_1)
	s_and_not1_b32 vcc_lo, exec_lo, s14
	s_cbranch_vccnz .LBB38_1761
; %bb.1760:
	s_wait_loadcnt 0x0
	global_load_u8 v9, v[4:5], off
.LBB38_1761:
.LBB38_1762:
	s_lshl_b32 s9, s9, 7
	s_cmp_lt_i32 s0, 11
	v_add_nc_u32_e32 v0, s9, v0
	s_delay_alu instid0(VALU_DEP_1) | instskip(SKIP_1) | instid1(VALU_DEP_1)
	v_ashrrev_i32_e32 v1, 31, v0
	s_wait_xcnt 0x0
	v_add_nc_u64_e32 v[4:5], s[6:7], v[0:1]
	s_cbranch_scc1 .LBB38_1769
; %bb.1763:
	s_and_b32 s14, 0xffff, s0
	s_mov_b32 s18, 0
	s_cmp_gt_i32 s14, 25
	s_cbranch_scc0 .LBB38_1771
; %bb.1764:
	s_cmp_gt_i32 s14, 28
	s_cbranch_scc0 .LBB38_1772
; %bb.1765:
	;; [unrolled: 3-line block ×4, first 2 shown]
	s_cmp_eq_u32 s14, 46
	s_mov_b32 s20, 0
	s_cbranch_scc0 .LBB38_1776
; %bb.1768:
	global_load_b32 v1, v[4:5], off
	s_mov_b32 s17, 0
	s_mov_b32 s19, -1
	s_wait_loadcnt 0x0
	v_lshlrev_b32_e32 v1, 16, v1
	s_delay_alu instid0(VALU_DEP_1)
	v_cvt_i32_f32_e32 v8, v1
	s_branch .LBB38_1778
.LBB38_1769:
	s_mov_b32 s19, 0
                                        ; implicit-def: $vgpr8
	s_cbranch_execnz .LBB38_1840
.LBB38_1770:
	s_and_not1_b32 vcc_lo, exec_lo, s19
	s_cbranch_vccnz .LBB38_2957
	s_branch .LBB38_1888
.LBB38_1771:
	s_mov_b32 s20, -1
	s_mov_b32 s19, 0
	s_mov_b32 s17, 0
                                        ; implicit-def: $vgpr8
	s_branch .LBB38_1805
.LBB38_1772:
	s_mov_b32 s20, -1
	s_mov_b32 s19, 0
	s_mov_b32 s17, 0
                                        ; implicit-def: $vgpr8
	s_branch .LBB38_1788
.LBB38_1773:
	s_mov_b32 s20, -1
	s_mov_b32 s19, 0
	s_mov_b32 s17, 0
                                        ; implicit-def: $vgpr8
	s_branch .LBB38_1783
.LBB38_1774:
	s_or_b32 s13, s13, exec_lo
	s_trap 2
	s_cbranch_execz .LBB38_1713
	s_branch .LBB38_1714
.LBB38_1775:
	s_mov_b32 s20, -1
	s_mov_b32 s19, 0
	s_mov_b32 s17, 0
	s_branch .LBB38_1777
.LBB38_1776:
	s_mov_b32 s17, -1
	s_mov_b32 s19, 0
.LBB38_1777:
                                        ; implicit-def: $vgpr8
.LBB38_1778:
	s_and_b32 vcc_lo, exec_lo, s20
	s_cbranch_vccz .LBB38_1782
; %bb.1779:
	s_cmp_eq_u32 s14, 44
	s_cbranch_scc0 .LBB38_1781
; %bb.1780:
	global_load_u8 v1, v[4:5], off
	s_mov_b32 s17, 0
	s_mov_b32 s19, -1
	s_wait_loadcnt 0x0
	v_lshlrev_b32_e32 v3, 23, v1
	v_cmp_ne_u32_e32 vcc_lo, 0, v1
	s_delay_alu instid0(VALU_DEP_2) | instskip(NEXT) | instid1(VALU_DEP_1)
	v_cvt_i32_f32_e32 v3, v3
	v_cndmask_b32_e32 v8, 0, v3, vcc_lo
	s_branch .LBB38_1782
.LBB38_1781:
	s_mov_b32 s17, -1
                                        ; implicit-def: $vgpr8
.LBB38_1782:
	s_mov_b32 s20, 0
.LBB38_1783:
	s_delay_alu instid0(SALU_CYCLE_1)
	s_and_b32 vcc_lo, exec_lo, s20
	s_cbranch_vccz .LBB38_1787
; %bb.1784:
	s_cmp_eq_u32 s14, 29
	s_cbranch_scc0 .LBB38_1786
; %bb.1785:
	global_load_b32 v8, v[4:5], off
	s_mov_b32 s17, 0
	s_mov_b32 s19, -1
	s_branch .LBB38_1787
.LBB38_1786:
	s_mov_b32 s17, -1
                                        ; implicit-def: $vgpr8
.LBB38_1787:
	s_mov_b32 s20, 0
.LBB38_1788:
	s_delay_alu instid0(SALU_CYCLE_1)
	s_and_b32 vcc_lo, exec_lo, s20
	s_cbranch_vccz .LBB38_1804
; %bb.1789:
	s_cmp_lt_i32 s14, 27
	s_cbranch_scc1 .LBB38_1792
; %bb.1790:
	s_cmp_gt_i32 s14, 27
	s_cbranch_scc0 .LBB38_1793
; %bb.1791:
	s_wait_loadcnt 0x0
	global_load_b32 v8, v[4:5], off
	s_mov_b32 s19, 0
	s_branch .LBB38_1794
.LBB38_1792:
	s_mov_b32 s19, -1
                                        ; implicit-def: $vgpr8
	s_branch .LBB38_1797
.LBB38_1793:
	s_mov_b32 s19, -1
                                        ; implicit-def: $vgpr8
.LBB38_1794:
	s_delay_alu instid0(SALU_CYCLE_1)
	s_and_not1_b32 vcc_lo, exec_lo, s19
	s_cbranch_vccnz .LBB38_1796
; %bb.1795:
	s_wait_loadcnt 0x0
	global_load_u16 v8, v[4:5], off
.LBB38_1796:
	s_mov_b32 s19, 0
.LBB38_1797:
	s_delay_alu instid0(SALU_CYCLE_1)
	s_and_not1_b32 vcc_lo, exec_lo, s19
	s_cbranch_vccnz .LBB38_1803
; %bb.1798:
	global_load_u8 v1, v[4:5], off
	s_mov_b32 s20, 0
	s_mov_b32 s19, exec_lo
	s_wait_loadcnt 0x0
	v_cmpx_lt_i16_e32 0x7f, v1
	s_xor_b32 s19, exec_lo, s19
	s_cbranch_execz .LBB38_1815
; %bb.1799:
	v_cmp_ne_u16_e32 vcc_lo, 0x80, v1
	s_and_b32 s20, vcc_lo, exec_lo
	s_and_not1_saveexec_b32 s19, s19
	s_cbranch_execnz .LBB38_1816
.LBB38_1800:
	s_or_b32 exec_lo, exec_lo, s19
	v_mov_b32_e32 v8, 0
	s_and_saveexec_b32 s19, s20
	s_cbranch_execz .LBB38_1802
.LBB38_1801:
	v_and_b32_e32 v3, 0xffff, v1
	s_delay_alu instid0(VALU_DEP_1) | instskip(SKIP_1) | instid1(VALU_DEP_2)
	v_and_b32_e32 v8, 7, v3
	v_bfe_u32 v12, v3, 3, 4
	v_clz_i32_u32_e32 v10, v8
	s_delay_alu instid0(VALU_DEP_2) | instskip(NEXT) | instid1(VALU_DEP_2)
	v_cmp_eq_u32_e32 vcc_lo, 0, v12
	v_min_u32_e32 v10, 32, v10
	s_delay_alu instid0(VALU_DEP_1) | instskip(NEXT) | instid1(VALU_DEP_1)
	v_subrev_nc_u32_e32 v11, 28, v10
	v_dual_lshlrev_b32 v3, v11, v3 :: v_dual_sub_nc_u32 v10, 29, v10
	s_delay_alu instid0(VALU_DEP_1) | instskip(NEXT) | instid1(VALU_DEP_2)
	v_dual_lshlrev_b32 v1, 24, v1 :: v_dual_bitop2_b32 v3, 7, v3 bitop3:0x40
	v_cndmask_b32_e32 v10, v12, v10, vcc_lo
	s_delay_alu instid0(VALU_DEP_2) | instskip(NEXT) | instid1(VALU_DEP_3)
	v_cndmask_b32_e32 v3, v8, v3, vcc_lo
	v_and_b32_e32 v1, 0x80000000, v1
	s_delay_alu instid0(VALU_DEP_3) | instskip(NEXT) | instid1(VALU_DEP_3)
	v_lshl_add_u32 v8, v10, 23, 0x3b800000
	v_lshlrev_b32_e32 v3, 20, v3
	s_delay_alu instid0(VALU_DEP_1) | instskip(NEXT) | instid1(VALU_DEP_1)
	v_or3_b32 v1, v1, v8, v3
	v_cvt_i32_f32_e32 v8, v1
.LBB38_1802:
	s_or_b32 exec_lo, exec_lo, s19
.LBB38_1803:
	s_mov_b32 s19, -1
.LBB38_1804:
	s_mov_b32 s20, 0
.LBB38_1805:
	s_delay_alu instid0(SALU_CYCLE_1)
	s_and_b32 vcc_lo, exec_lo, s20
	s_cbranch_vccz .LBB38_1836
; %bb.1806:
	s_cmp_gt_i32 s14, 22
	s_cbranch_scc0 .LBB38_1814
; %bb.1807:
	s_cmp_lt_i32 s14, 24
	s_cbranch_scc1 .LBB38_1817
; %bb.1808:
	s_cmp_gt_i32 s14, 24
	s_cbranch_scc0 .LBB38_1818
; %bb.1809:
	global_load_u8 v1, v[4:5], off
	s_mov_b32 s19, 0
	s_mov_b32 s18, exec_lo
	s_wait_loadcnt 0x0
	v_cmpx_lt_i16_e32 0x7f, v1
	s_xor_b32 s18, exec_lo, s18
	s_cbranch_execz .LBB38_1830
; %bb.1810:
	v_cmp_ne_u16_e32 vcc_lo, 0x80, v1
	s_and_b32 s19, vcc_lo, exec_lo
	s_and_not1_saveexec_b32 s18, s18
	s_cbranch_execnz .LBB38_1831
.LBB38_1811:
	s_or_b32 exec_lo, exec_lo, s18
	v_mov_b32_e32 v8, 0
	s_and_saveexec_b32 s18, s19
	s_cbranch_execz .LBB38_1813
.LBB38_1812:
	v_and_b32_e32 v3, 0xffff, v1
	s_delay_alu instid0(VALU_DEP_1) | instskip(SKIP_1) | instid1(VALU_DEP_2)
	v_and_b32_e32 v8, 3, v3
	v_bfe_u32 v12, v3, 2, 5
	v_clz_i32_u32_e32 v10, v8
	s_delay_alu instid0(VALU_DEP_2) | instskip(NEXT) | instid1(VALU_DEP_2)
	v_cmp_eq_u32_e32 vcc_lo, 0, v12
	v_min_u32_e32 v10, 32, v10
	s_delay_alu instid0(VALU_DEP_1) | instskip(NEXT) | instid1(VALU_DEP_1)
	v_subrev_nc_u32_e32 v11, 29, v10
	v_dual_lshlrev_b32 v3, v11, v3 :: v_dual_sub_nc_u32 v10, 30, v10
	s_delay_alu instid0(VALU_DEP_1) | instskip(NEXT) | instid1(VALU_DEP_2)
	v_dual_lshlrev_b32 v1, 24, v1 :: v_dual_bitop2_b32 v3, 3, v3 bitop3:0x40
	v_cndmask_b32_e32 v10, v12, v10, vcc_lo
	s_delay_alu instid0(VALU_DEP_2) | instskip(NEXT) | instid1(VALU_DEP_3)
	v_cndmask_b32_e32 v3, v8, v3, vcc_lo
	v_and_b32_e32 v1, 0x80000000, v1
	s_delay_alu instid0(VALU_DEP_3) | instskip(NEXT) | instid1(VALU_DEP_3)
	v_lshl_add_u32 v8, v10, 23, 0x37800000
	v_lshlrev_b32_e32 v3, 21, v3
	s_delay_alu instid0(VALU_DEP_1) | instskip(NEXT) | instid1(VALU_DEP_1)
	v_or3_b32 v1, v1, v8, v3
	v_cvt_i32_f32_e32 v8, v1
.LBB38_1813:
	s_or_b32 exec_lo, exec_lo, s18
	s_mov_b32 s18, 0
	s_branch .LBB38_1819
.LBB38_1814:
	s_mov_b32 s18, -1
                                        ; implicit-def: $vgpr8
	s_branch .LBB38_1825
.LBB38_1815:
	s_and_not1_saveexec_b32 s19, s19
	s_cbranch_execz .LBB38_1800
.LBB38_1816:
	v_cmp_ne_u16_e32 vcc_lo, 0, v1
	s_and_not1_b32 s20, s20, exec_lo
	s_and_b32 s21, vcc_lo, exec_lo
	s_delay_alu instid0(SALU_CYCLE_1)
	s_or_b32 s20, s20, s21
	s_or_b32 exec_lo, exec_lo, s19
	v_mov_b32_e32 v8, 0
	s_and_saveexec_b32 s19, s20
	s_cbranch_execnz .LBB38_1801
	s_branch .LBB38_1802
.LBB38_1817:
	s_mov_b32 s18, -1
                                        ; implicit-def: $vgpr8
	s_branch .LBB38_1822
.LBB38_1818:
	s_mov_b32 s18, -1
                                        ; implicit-def: $vgpr8
.LBB38_1819:
	s_delay_alu instid0(SALU_CYCLE_1)
	s_and_b32 vcc_lo, exec_lo, s18
	s_cbranch_vccz .LBB38_1821
; %bb.1820:
	global_load_u8 v1, v[4:5], off
	s_wait_loadcnt 0x0
	v_lshlrev_b32_e32 v1, 24, v1
	s_delay_alu instid0(VALU_DEP_1) | instskip(NEXT) | instid1(VALU_DEP_1)
	v_and_b32_e32 v3, 0x7f000000, v1
	v_clz_i32_u32_e32 v8, v3
	v_add_nc_u32_e32 v11, 0x1000000, v3
	v_cmp_ne_u32_e32 vcc_lo, 0, v3
	s_delay_alu instid0(VALU_DEP_3) | instskip(NEXT) | instid1(VALU_DEP_1)
	v_min_u32_e32 v8, 32, v8
	v_sub_nc_u32_e64 v8, v8, 4 clamp
	s_delay_alu instid0(VALU_DEP_1) | instskip(NEXT) | instid1(VALU_DEP_1)
	v_dual_lshlrev_b32 v10, v8, v3 :: v_dual_lshlrev_b32 v8, 23, v8
	v_lshrrev_b32_e32 v10, 4, v10
	s_delay_alu instid0(VALU_DEP_1) | instskip(NEXT) | instid1(VALU_DEP_1)
	v_dual_sub_nc_u32 v8, v10, v8 :: v_dual_ashrrev_i32 v10, 8, v11
	v_add_nc_u32_e32 v8, 0x3c000000, v8
	s_delay_alu instid0(VALU_DEP_1) | instskip(NEXT) | instid1(VALU_DEP_1)
	v_and_or_b32 v8, 0x7f800000, v10, v8
	v_cndmask_b32_e32 v3, 0, v8, vcc_lo
	s_delay_alu instid0(VALU_DEP_1) | instskip(NEXT) | instid1(VALU_DEP_1)
	v_and_or_b32 v1, 0x80000000, v1, v3
	v_cvt_i32_f32_e32 v8, v1
.LBB38_1821:
	s_mov_b32 s18, 0
.LBB38_1822:
	s_delay_alu instid0(SALU_CYCLE_1)
	s_and_not1_b32 vcc_lo, exec_lo, s18
	s_cbranch_vccnz .LBB38_1824
; %bb.1823:
	global_load_u8 v1, v[4:5], off
	s_wait_loadcnt 0x0
	v_lshlrev_b32_e32 v3, 25, v1
	v_lshlrev_b16 v1, 8, v1
	s_delay_alu instid0(VALU_DEP_1) | instskip(SKIP_1) | instid1(VALU_DEP_2)
	v_and_or_b32 v10, 0x7f00, v1, 0.5
	v_bfe_i32 v1, v1, 0, 16
	v_dual_add_f32 v10, -0.5, v10 :: v_dual_lshrrev_b32 v8, 4, v3
	v_cmp_gt_u32_e32 vcc_lo, 0x8000000, v3
	s_delay_alu instid0(VALU_DEP_2) | instskip(NEXT) | instid1(VALU_DEP_1)
	v_or_b32_e32 v8, 0x70000000, v8
	v_mul_f32_e32 v8, 0x7800000, v8
	s_delay_alu instid0(VALU_DEP_1) | instskip(NEXT) | instid1(VALU_DEP_1)
	v_cndmask_b32_e32 v3, v8, v10, vcc_lo
	v_and_or_b32 v1, 0x80000000, v1, v3
	s_delay_alu instid0(VALU_DEP_1)
	v_cvt_i32_f32_e32 v8, v1
.LBB38_1824:
	s_mov_b32 s18, 0
	s_mov_b32 s19, -1
.LBB38_1825:
	s_and_not1_b32 vcc_lo, exec_lo, s18
	s_mov_b32 s18, 0
	s_cbranch_vccnz .LBB38_1836
; %bb.1826:
	s_cmp_gt_i32 s14, 14
	s_cbranch_scc0 .LBB38_1829
; %bb.1827:
	s_cmp_eq_u32 s14, 15
	s_cbranch_scc0 .LBB38_1832
; %bb.1828:
	global_load_u16 v1, v[4:5], off
	s_mov_b32 s17, 0
	s_mov_b32 s19, -1
	s_wait_loadcnt 0x0
	v_lshlrev_b32_e32 v1, 16, v1
	s_delay_alu instid0(VALU_DEP_1)
	v_cvt_i32_f32_e32 v8, v1
	s_branch .LBB38_1834
.LBB38_1829:
	s_mov_b32 s18, -1
	s_branch .LBB38_1833
.LBB38_1830:
	s_and_not1_saveexec_b32 s18, s18
	s_cbranch_execz .LBB38_1811
.LBB38_1831:
	v_cmp_ne_u16_e32 vcc_lo, 0, v1
	s_and_not1_b32 s19, s19, exec_lo
	s_and_b32 s20, vcc_lo, exec_lo
	s_delay_alu instid0(SALU_CYCLE_1)
	s_or_b32 s19, s19, s20
	s_or_b32 exec_lo, exec_lo, s18
	v_mov_b32_e32 v8, 0
	s_and_saveexec_b32 s18, s19
	s_cbranch_execnz .LBB38_1812
	s_branch .LBB38_1813
.LBB38_1832:
	s_mov_b32 s17, -1
.LBB38_1833:
                                        ; implicit-def: $vgpr8
.LBB38_1834:
	s_and_b32 vcc_lo, exec_lo, s18
	s_mov_b32 s18, 0
	s_cbranch_vccz .LBB38_1836
; %bb.1835:
	s_cmp_lg_u32 s14, 11
	s_mov_b32 s18, -1
	s_cselect_b32 s17, -1, 0
.LBB38_1836:
	s_delay_alu instid0(SALU_CYCLE_1)
	s_and_b32 vcc_lo, exec_lo, s17
	s_cbranch_vccnz .LBB38_1899
; %bb.1837:
	s_and_not1_b32 vcc_lo, exec_lo, s18
	s_cbranch_vccnz .LBB38_1839
.LBB38_1838:
	global_load_u8 v1, v[4:5], off
	s_mov_b32 s19, -1
	s_wait_loadcnt 0x0
	v_cmp_ne_u16_e32 vcc_lo, 0, v1
	v_cndmask_b32_e64 v8, 0, 1, vcc_lo
.LBB38_1839:
	s_branch .LBB38_1770
.LBB38_1840:
	s_and_b32 s14, 0xffff, s0
	s_delay_alu instid0(SALU_CYCLE_1)
	s_cmp_lt_i32 s14, 5
	s_cbranch_scc1 .LBB38_1845
; %bb.1841:
	s_cmp_lt_i32 s14, 8
	s_cbranch_scc1 .LBB38_1846
; %bb.1842:
	s_cmp_lt_i32 s14, 9
	s_cbranch_scc1 .LBB38_1847
; %bb.1843:
	s_cmp_gt_i32 s14, 9
	s_cbranch_scc0 .LBB38_1848
; %bb.1844:
	global_load_b64 v[10:11], v[4:5], off
	s_mov_b32 s17, 0
	s_wait_loadcnt 0x0
	v_cvt_i32_f64_e32 v8, v[10:11]
	s_branch .LBB38_1849
.LBB38_1845:
	s_mov_b32 s17, -1
                                        ; implicit-def: $vgpr8
	s_branch .LBB38_1867
.LBB38_1846:
	s_mov_b32 s17, -1
                                        ; implicit-def: $vgpr8
	s_branch .LBB38_1855
.LBB38_1847:
	s_mov_b32 s17, -1
                                        ; implicit-def: $vgpr8
	s_branch .LBB38_1852
.LBB38_1848:
	s_mov_b32 s17, -1
                                        ; implicit-def: $vgpr8
.LBB38_1849:
	s_delay_alu instid0(SALU_CYCLE_1)
	s_and_not1_b32 vcc_lo, exec_lo, s17
	s_cbranch_vccnz .LBB38_1851
; %bb.1850:
	global_load_b32 v1, v[4:5], off
	s_wait_loadcnt 0x0
	v_cvt_i32_f32_e32 v8, v1
.LBB38_1851:
	s_mov_b32 s17, 0
.LBB38_1852:
	s_delay_alu instid0(SALU_CYCLE_1)
	s_and_not1_b32 vcc_lo, exec_lo, s17
	s_cbranch_vccnz .LBB38_1854
; %bb.1853:
	global_load_b32 v1, v[4:5], off
	s_wait_loadcnt 0x0
	v_cvt_f32_f16_e32 v1, v1
	s_delay_alu instid0(VALU_DEP_1)
	v_cvt_i32_f32_e32 v8, v1
.LBB38_1854:
	s_mov_b32 s17, 0
.LBB38_1855:
	s_delay_alu instid0(SALU_CYCLE_1)
	s_and_not1_b32 vcc_lo, exec_lo, s17
	s_cbranch_vccnz .LBB38_1866
; %bb.1856:
	s_cmp_lt_i32 s14, 6
	s_cbranch_scc1 .LBB38_1859
; %bb.1857:
	s_cmp_gt_i32 s14, 6
	s_cbranch_scc0 .LBB38_1860
; %bb.1858:
	global_load_b64 v[10:11], v[4:5], off
	s_mov_b32 s17, 0
	s_wait_loadcnt 0x0
	v_cvt_i32_f64_e32 v8, v[10:11]
	s_branch .LBB38_1861
.LBB38_1859:
	s_mov_b32 s17, -1
                                        ; implicit-def: $vgpr8
	s_branch .LBB38_1864
.LBB38_1860:
	s_mov_b32 s17, -1
                                        ; implicit-def: $vgpr8
.LBB38_1861:
	s_delay_alu instid0(SALU_CYCLE_1)
	s_and_not1_b32 vcc_lo, exec_lo, s17
	s_cbranch_vccnz .LBB38_1863
; %bb.1862:
	global_load_b32 v1, v[4:5], off
	s_wait_loadcnt 0x0
	v_cvt_i32_f32_e32 v8, v1
.LBB38_1863:
	s_mov_b32 s17, 0
.LBB38_1864:
	s_delay_alu instid0(SALU_CYCLE_1)
	s_and_not1_b32 vcc_lo, exec_lo, s17
	s_cbranch_vccnz .LBB38_1866
; %bb.1865:
	global_load_u16 v1, v[4:5], off
	s_wait_loadcnt 0x0
	v_cvt_f32_f16_e32 v1, v1
	s_delay_alu instid0(VALU_DEP_1)
	v_cvt_i32_f32_e32 v8, v1
.LBB38_1866:
	s_mov_b32 s17, 0
.LBB38_1867:
	s_delay_alu instid0(SALU_CYCLE_1)
	s_and_not1_b32 vcc_lo, exec_lo, s17
	s_cbranch_vccnz .LBB38_1887
; %bb.1868:
	s_cmp_lt_i32 s14, 2
	s_cbranch_scc1 .LBB38_1872
; %bb.1869:
	s_cmp_lt_i32 s14, 3
	s_cbranch_scc1 .LBB38_1873
; %bb.1870:
	s_cmp_gt_i32 s14, 3
	s_cbranch_scc0 .LBB38_1874
; %bb.1871:
	s_wait_loadcnt 0x0
	global_load_b32 v8, v[4:5], off
	s_mov_b32 s17, 0
	s_branch .LBB38_1875
.LBB38_1872:
	s_mov_b32 s17, -1
                                        ; implicit-def: $vgpr8
	s_branch .LBB38_1881
.LBB38_1873:
	s_mov_b32 s17, -1
                                        ; implicit-def: $vgpr8
	s_branch .LBB38_1878
.LBB38_1874:
	s_mov_b32 s17, -1
                                        ; implicit-def: $vgpr8
.LBB38_1875:
	s_delay_alu instid0(SALU_CYCLE_1)
	s_and_not1_b32 vcc_lo, exec_lo, s17
	s_cbranch_vccnz .LBB38_1877
; %bb.1876:
	s_wait_loadcnt 0x0
	global_load_b32 v8, v[4:5], off
.LBB38_1877:
	s_mov_b32 s17, 0
.LBB38_1878:
	s_delay_alu instid0(SALU_CYCLE_1)
	s_and_not1_b32 vcc_lo, exec_lo, s17
	s_cbranch_vccnz .LBB38_1880
; %bb.1879:
	s_wait_loadcnt 0x0
	global_load_i16 v8, v[4:5], off
.LBB38_1880:
	s_mov_b32 s17, 0
.LBB38_1881:
	s_delay_alu instid0(SALU_CYCLE_1)
	s_and_not1_b32 vcc_lo, exec_lo, s17
	s_cbranch_vccnz .LBB38_1887
; %bb.1882:
	s_cmp_gt_i32 s14, 0
	s_mov_b32 s14, 0
	s_cbranch_scc0 .LBB38_1884
; %bb.1883:
	s_wait_loadcnt 0x0
	global_load_i8 v8, v[4:5], off
	s_branch .LBB38_1885
.LBB38_1884:
	s_mov_b32 s14, -1
                                        ; implicit-def: $vgpr8
.LBB38_1885:
	s_delay_alu instid0(SALU_CYCLE_1)
	s_and_not1_b32 vcc_lo, exec_lo, s14
	s_cbranch_vccnz .LBB38_1887
; %bb.1886:
	s_wait_loadcnt 0x0
	global_load_u8 v8, v[4:5], off
.LBB38_1887:
.LBB38_1888:
	s_lshl_b32 s10, s10, 7
	s_cmp_lt_i32 s1, 11
	v_add_nc_u32_e32 v2, s10, v2
	s_delay_alu instid0(VALU_DEP_1) | instskip(SKIP_1) | instid1(VALU_DEP_1)
	v_ashrrev_i32_e32 v3, 31, v2
	s_wait_xcnt 0x0
	v_add_nc_u64_e32 v[4:5], s[2:3], v[2:3]
	s_cbranch_scc1 .LBB38_1895
; %bb.1889:
	s_and_b32 s14, 0xffff, s1
	s_mov_b32 s18, 0
	s_cmp_gt_i32 s14, 25
	s_cbranch_scc0 .LBB38_1896
; %bb.1890:
	s_cmp_gt_i32 s14, 28
	s_cbranch_scc0 .LBB38_1897
; %bb.1891:
	s_cmp_gt_i32 s14, 43
	s_cbranch_scc0 .LBB38_1898
; %bb.1892:
	s_cmp_gt_i32 s14, 45
	s_cbranch_scc0 .LBB38_1900
; %bb.1893:
	s_cmp_eq_u32 s14, 46
	s_mov_b32 s20, 0
	s_cbranch_scc0 .LBB38_1901
; %bb.1894:
	global_load_b32 v1, v[4:5], off
	s_mov_b32 s17, 0
	s_mov_b32 s19, -1
	s_wait_loadcnt 0x0
	v_lshlrev_b32_e32 v1, 16, v1
	s_delay_alu instid0(VALU_DEP_1)
	v_cvt_i32_f32_e32 v11, v1
	s_branch .LBB38_1903
.LBB38_1895:
	s_mov_b32 s14, -1
	s_mov_b32 s19, 0
                                        ; implicit-def: $vgpr11
	s_branch .LBB38_1965
.LBB38_1896:
	s_mov_b32 s20, -1
	s_mov_b32 s19, 0
	s_mov_b32 s17, 0
                                        ; implicit-def: $vgpr11
	s_branch .LBB38_1930
.LBB38_1897:
	s_mov_b32 s20, -1
	s_mov_b32 s19, 0
	s_mov_b32 s17, 0
                                        ; implicit-def: $vgpr11
	s_branch .LBB38_1913
.LBB38_1898:
	s_mov_b32 s20, -1
	s_mov_b32 s19, 0
	s_mov_b32 s17, 0
                                        ; implicit-def: $vgpr11
	s_branch .LBB38_1908
.LBB38_1899:
	s_or_b32 s13, s13, exec_lo
	s_trap 2
	s_cbranch_execz .LBB38_1838
	s_branch .LBB38_1839
.LBB38_1900:
	s_mov_b32 s20, -1
	s_mov_b32 s19, 0
	s_mov_b32 s17, 0
	s_branch .LBB38_1902
.LBB38_1901:
	s_mov_b32 s17, -1
	s_mov_b32 s19, 0
.LBB38_1902:
                                        ; implicit-def: $vgpr11
.LBB38_1903:
	s_and_b32 vcc_lo, exec_lo, s20
	s_cbranch_vccz .LBB38_1907
; %bb.1904:
	s_cmp_eq_u32 s14, 44
	s_cbranch_scc0 .LBB38_1906
; %bb.1905:
	global_load_u8 v1, v[4:5], off
	s_mov_b32 s17, 0
	s_mov_b32 s19, -1
	s_wait_loadcnt 0x0
	v_lshlrev_b32_e32 v3, 23, v1
	v_cmp_ne_u32_e32 vcc_lo, 0, v1
	s_delay_alu instid0(VALU_DEP_2) | instskip(NEXT) | instid1(VALU_DEP_1)
	v_cvt_i32_f32_e32 v3, v3
	v_cndmask_b32_e32 v11, 0, v3, vcc_lo
	s_branch .LBB38_1907
.LBB38_1906:
	s_mov_b32 s17, -1
                                        ; implicit-def: $vgpr11
.LBB38_1907:
	s_mov_b32 s20, 0
.LBB38_1908:
	s_delay_alu instid0(SALU_CYCLE_1)
	s_and_b32 vcc_lo, exec_lo, s20
	s_cbranch_vccz .LBB38_1912
; %bb.1909:
	s_cmp_eq_u32 s14, 29
	s_cbranch_scc0 .LBB38_1911
; %bb.1910:
	global_load_b32 v11, v[4:5], off
	s_mov_b32 s17, 0
	s_mov_b32 s19, -1
	s_branch .LBB38_1912
.LBB38_1911:
	s_mov_b32 s17, -1
                                        ; implicit-def: $vgpr11
.LBB38_1912:
	s_mov_b32 s20, 0
.LBB38_1913:
	s_delay_alu instid0(SALU_CYCLE_1)
	s_and_b32 vcc_lo, exec_lo, s20
	s_cbranch_vccz .LBB38_1929
; %bb.1914:
	s_cmp_lt_i32 s14, 27
	s_cbranch_scc1 .LBB38_1917
; %bb.1915:
	s_cmp_gt_i32 s14, 27
	s_cbranch_scc0 .LBB38_1918
; %bb.1916:
	s_wait_loadcnt 0x0
	global_load_b32 v11, v[4:5], off
	s_mov_b32 s19, 0
	s_branch .LBB38_1919
.LBB38_1917:
	s_mov_b32 s19, -1
                                        ; implicit-def: $vgpr11
	s_branch .LBB38_1922
.LBB38_1918:
	s_mov_b32 s19, -1
                                        ; implicit-def: $vgpr11
.LBB38_1919:
	s_delay_alu instid0(SALU_CYCLE_1)
	s_and_not1_b32 vcc_lo, exec_lo, s19
	s_cbranch_vccnz .LBB38_1921
; %bb.1920:
	s_wait_loadcnt 0x0
	global_load_u16 v11, v[4:5], off
.LBB38_1921:
	s_mov_b32 s19, 0
.LBB38_1922:
	s_delay_alu instid0(SALU_CYCLE_1)
	s_and_not1_b32 vcc_lo, exec_lo, s19
	s_cbranch_vccnz .LBB38_1928
; %bb.1923:
	global_load_u8 v1, v[4:5], off
	s_mov_b32 s20, 0
	s_mov_b32 s19, exec_lo
	s_wait_loadcnt 0x0
	v_cmpx_lt_i16_e32 0x7f, v1
	s_xor_b32 s19, exec_lo, s19
	s_cbranch_execz .LBB38_1940
; %bb.1924:
	v_cmp_ne_u16_e32 vcc_lo, 0x80, v1
	s_and_b32 s20, vcc_lo, exec_lo
	s_and_not1_saveexec_b32 s19, s19
	s_cbranch_execnz .LBB38_1941
.LBB38_1925:
	s_or_b32 exec_lo, exec_lo, s19
	v_mov_b32_e32 v11, 0
	s_and_saveexec_b32 s19, s20
	s_cbranch_execz .LBB38_1927
.LBB38_1926:
	v_and_b32_e32 v3, 0xffff, v1
	s_delay_alu instid0(VALU_DEP_1) | instskip(SKIP_1) | instid1(VALU_DEP_2)
	v_dual_lshlrev_b32 v1, 24, v1 :: v_dual_bitop2_b32 v10, 7, v3 bitop3:0x40
	v_bfe_u32 v13, v3, 3, 4
	v_and_b32_e32 v1, 0x80000000, v1
	s_delay_alu instid0(VALU_DEP_3) | instskip(NEXT) | instid1(VALU_DEP_3)
	v_clz_i32_u32_e32 v11, v10
	v_cmp_eq_u32_e32 vcc_lo, 0, v13
	s_delay_alu instid0(VALU_DEP_2) | instskip(NEXT) | instid1(VALU_DEP_1)
	v_min_u32_e32 v11, 32, v11
	v_subrev_nc_u32_e32 v12, 28, v11
	v_sub_nc_u32_e32 v11, 29, v11
	s_delay_alu instid0(VALU_DEP_2) | instskip(NEXT) | instid1(VALU_DEP_2)
	v_lshlrev_b32_e32 v3, v12, v3
	v_cndmask_b32_e32 v11, v13, v11, vcc_lo
	s_delay_alu instid0(VALU_DEP_2) | instskip(NEXT) | instid1(VALU_DEP_1)
	v_and_b32_e32 v3, 7, v3
	v_cndmask_b32_e32 v3, v10, v3, vcc_lo
	s_delay_alu instid0(VALU_DEP_3) | instskip(NEXT) | instid1(VALU_DEP_2)
	v_lshl_add_u32 v10, v11, 23, 0x3b800000
	v_lshlrev_b32_e32 v3, 20, v3
	s_delay_alu instid0(VALU_DEP_1) | instskip(NEXT) | instid1(VALU_DEP_1)
	v_or3_b32 v1, v1, v10, v3
	v_cvt_i32_f32_e32 v11, v1
.LBB38_1927:
	s_or_b32 exec_lo, exec_lo, s19
.LBB38_1928:
	s_mov_b32 s19, -1
.LBB38_1929:
	s_mov_b32 s20, 0
.LBB38_1930:
	s_delay_alu instid0(SALU_CYCLE_1)
	s_and_b32 vcc_lo, exec_lo, s20
	s_cbranch_vccz .LBB38_1961
; %bb.1931:
	s_cmp_gt_i32 s14, 22
	s_cbranch_scc0 .LBB38_1939
; %bb.1932:
	s_cmp_lt_i32 s14, 24
	s_cbranch_scc1 .LBB38_1942
; %bb.1933:
	s_cmp_gt_i32 s14, 24
	s_cbranch_scc0 .LBB38_1943
; %bb.1934:
	global_load_u8 v1, v[4:5], off
	s_mov_b32 s19, 0
	s_mov_b32 s18, exec_lo
	s_wait_loadcnt 0x0
	v_cmpx_lt_i16_e32 0x7f, v1
	s_xor_b32 s18, exec_lo, s18
	s_cbranch_execz .LBB38_1955
; %bb.1935:
	v_cmp_ne_u16_e32 vcc_lo, 0x80, v1
	s_and_b32 s19, vcc_lo, exec_lo
	s_and_not1_saveexec_b32 s18, s18
	s_cbranch_execnz .LBB38_1956
.LBB38_1936:
	s_or_b32 exec_lo, exec_lo, s18
	v_mov_b32_e32 v11, 0
	s_and_saveexec_b32 s18, s19
	s_cbranch_execz .LBB38_1938
.LBB38_1937:
	v_and_b32_e32 v3, 0xffff, v1
	s_delay_alu instid0(VALU_DEP_1) | instskip(SKIP_1) | instid1(VALU_DEP_2)
	v_dual_lshlrev_b32 v1, 24, v1 :: v_dual_bitop2_b32 v10, 3, v3 bitop3:0x40
	v_bfe_u32 v13, v3, 2, 5
	v_and_b32_e32 v1, 0x80000000, v1
	s_delay_alu instid0(VALU_DEP_3) | instskip(NEXT) | instid1(VALU_DEP_3)
	v_clz_i32_u32_e32 v11, v10
	v_cmp_eq_u32_e32 vcc_lo, 0, v13
	s_delay_alu instid0(VALU_DEP_2) | instskip(NEXT) | instid1(VALU_DEP_1)
	v_min_u32_e32 v11, 32, v11
	v_subrev_nc_u32_e32 v12, 29, v11
	v_sub_nc_u32_e32 v11, 30, v11
	s_delay_alu instid0(VALU_DEP_2) | instskip(NEXT) | instid1(VALU_DEP_2)
	v_lshlrev_b32_e32 v3, v12, v3
	v_cndmask_b32_e32 v11, v13, v11, vcc_lo
	s_delay_alu instid0(VALU_DEP_2) | instskip(NEXT) | instid1(VALU_DEP_1)
	v_and_b32_e32 v3, 3, v3
	v_cndmask_b32_e32 v3, v10, v3, vcc_lo
	s_delay_alu instid0(VALU_DEP_3) | instskip(NEXT) | instid1(VALU_DEP_2)
	v_lshl_add_u32 v10, v11, 23, 0x37800000
	v_lshlrev_b32_e32 v3, 21, v3
	s_delay_alu instid0(VALU_DEP_1) | instskip(NEXT) | instid1(VALU_DEP_1)
	v_or3_b32 v1, v1, v10, v3
	v_cvt_i32_f32_e32 v11, v1
.LBB38_1938:
	s_or_b32 exec_lo, exec_lo, s18
	s_mov_b32 s18, 0
	s_branch .LBB38_1944
.LBB38_1939:
	s_mov_b32 s18, -1
                                        ; implicit-def: $vgpr11
	s_branch .LBB38_1950
.LBB38_1940:
	s_and_not1_saveexec_b32 s19, s19
	s_cbranch_execz .LBB38_1925
.LBB38_1941:
	v_cmp_ne_u16_e32 vcc_lo, 0, v1
	s_and_not1_b32 s20, s20, exec_lo
	s_and_b32 s21, vcc_lo, exec_lo
	s_delay_alu instid0(SALU_CYCLE_1)
	s_or_b32 s20, s20, s21
	s_or_b32 exec_lo, exec_lo, s19
	v_mov_b32_e32 v11, 0
	s_and_saveexec_b32 s19, s20
	s_cbranch_execnz .LBB38_1926
	s_branch .LBB38_1927
.LBB38_1942:
	s_mov_b32 s18, -1
                                        ; implicit-def: $vgpr11
	s_branch .LBB38_1947
.LBB38_1943:
	s_mov_b32 s18, -1
                                        ; implicit-def: $vgpr11
.LBB38_1944:
	s_delay_alu instid0(SALU_CYCLE_1)
	s_and_b32 vcc_lo, exec_lo, s18
	s_cbranch_vccz .LBB38_1946
; %bb.1945:
	global_load_u8 v1, v[4:5], off
	s_wait_loadcnt 0x0
	v_lshlrev_b32_e32 v1, 24, v1
	s_delay_alu instid0(VALU_DEP_1) | instskip(NEXT) | instid1(VALU_DEP_1)
	v_and_b32_e32 v3, 0x7f000000, v1
	v_clz_i32_u32_e32 v10, v3
	v_cmp_ne_u32_e32 vcc_lo, 0, v3
	v_add_nc_u32_e32 v12, 0x1000000, v3
	s_delay_alu instid0(VALU_DEP_3) | instskip(NEXT) | instid1(VALU_DEP_1)
	v_min_u32_e32 v10, 32, v10
	v_sub_nc_u32_e64 v10, v10, 4 clamp
	s_delay_alu instid0(VALU_DEP_1) | instskip(NEXT) | instid1(VALU_DEP_1)
	v_dual_lshlrev_b32 v11, v10, v3 :: v_dual_lshlrev_b32 v10, 23, v10
	v_lshrrev_b32_e32 v11, 4, v11
	s_delay_alu instid0(VALU_DEP_1) | instskip(NEXT) | instid1(VALU_DEP_1)
	v_dual_sub_nc_u32 v10, v11, v10 :: v_dual_ashrrev_i32 v11, 8, v12
	v_add_nc_u32_e32 v10, 0x3c000000, v10
	s_delay_alu instid0(VALU_DEP_1) | instskip(NEXT) | instid1(VALU_DEP_1)
	v_and_or_b32 v10, 0x7f800000, v11, v10
	v_cndmask_b32_e32 v3, 0, v10, vcc_lo
	s_delay_alu instid0(VALU_DEP_1) | instskip(NEXT) | instid1(VALU_DEP_1)
	v_and_or_b32 v1, 0x80000000, v1, v3
	v_cvt_i32_f32_e32 v11, v1
.LBB38_1946:
	s_mov_b32 s18, 0
.LBB38_1947:
	s_delay_alu instid0(SALU_CYCLE_1)
	s_and_not1_b32 vcc_lo, exec_lo, s18
	s_cbranch_vccnz .LBB38_1949
; %bb.1948:
	global_load_u8 v1, v[4:5], off
	s_wait_loadcnt 0x0
	v_lshlrev_b32_e32 v3, 25, v1
	v_lshlrev_b16 v1, 8, v1
	s_delay_alu instid0(VALU_DEP_1) | instskip(SKIP_1) | instid1(VALU_DEP_2)
	v_and_or_b32 v11, 0x7f00, v1, 0.5
	v_bfe_i32 v1, v1, 0, 16
	v_add_f32_e32 v11, -0.5, v11
	v_lshrrev_b32_e32 v10, 4, v3
	v_cmp_gt_u32_e32 vcc_lo, 0x8000000, v3
	s_delay_alu instid0(VALU_DEP_2) | instskip(NEXT) | instid1(VALU_DEP_1)
	v_or_b32_e32 v10, 0x70000000, v10
	v_mul_f32_e32 v10, 0x7800000, v10
	s_delay_alu instid0(VALU_DEP_1) | instskip(NEXT) | instid1(VALU_DEP_1)
	v_cndmask_b32_e32 v3, v10, v11, vcc_lo
	v_and_or_b32 v1, 0x80000000, v1, v3
	s_delay_alu instid0(VALU_DEP_1)
	v_cvt_i32_f32_e32 v11, v1
.LBB38_1949:
	s_mov_b32 s18, 0
	s_mov_b32 s19, -1
.LBB38_1950:
	s_and_not1_b32 vcc_lo, exec_lo, s18
	s_mov_b32 s18, 0
	s_cbranch_vccnz .LBB38_1961
; %bb.1951:
	s_cmp_gt_i32 s14, 14
	s_cbranch_scc0 .LBB38_1954
; %bb.1952:
	s_cmp_eq_u32 s14, 15
	s_cbranch_scc0 .LBB38_1957
; %bb.1953:
	global_load_u16 v1, v[4:5], off
	s_mov_b32 s17, 0
	s_mov_b32 s19, -1
	s_wait_loadcnt 0x0
	v_lshlrev_b32_e32 v1, 16, v1
	s_delay_alu instid0(VALU_DEP_1)
	v_cvt_i32_f32_e32 v11, v1
	s_branch .LBB38_1959
.LBB38_1954:
	s_mov_b32 s18, -1
	s_branch .LBB38_1958
.LBB38_1955:
	s_and_not1_saveexec_b32 s18, s18
	s_cbranch_execz .LBB38_1936
.LBB38_1956:
	v_cmp_ne_u16_e32 vcc_lo, 0, v1
	s_and_not1_b32 s19, s19, exec_lo
	s_and_b32 s20, vcc_lo, exec_lo
	s_delay_alu instid0(SALU_CYCLE_1)
	s_or_b32 s19, s19, s20
	s_or_b32 exec_lo, exec_lo, s18
	v_mov_b32_e32 v11, 0
	s_and_saveexec_b32 s18, s19
	s_cbranch_execnz .LBB38_1937
	s_branch .LBB38_1938
.LBB38_1957:
	s_mov_b32 s17, -1
.LBB38_1958:
                                        ; implicit-def: $vgpr11
.LBB38_1959:
	s_and_b32 vcc_lo, exec_lo, s18
	s_mov_b32 s18, 0
	s_cbranch_vccz .LBB38_1961
; %bb.1960:
	s_cmp_lg_u32 s14, 11
	s_mov_b32 s18, -1
	s_cselect_b32 s17, -1, 0
.LBB38_1961:
	s_delay_alu instid0(SALU_CYCLE_1)
	s_and_b32 vcc_lo, exec_lo, s17
	s_cbranch_vccnz .LBB38_2026
; %bb.1962:
	s_and_not1_b32 vcc_lo, exec_lo, s18
	s_cbranch_vccnz .LBB38_1964
.LBB38_1963:
	global_load_u8 v1, v[4:5], off
	s_mov_b32 s19, -1
	s_wait_loadcnt 0x0
	v_cmp_ne_u16_e32 vcc_lo, 0, v1
	v_cndmask_b32_e64 v11, 0, 1, vcc_lo
.LBB38_1964:
	s_mov_b32 s14, 0
.LBB38_1965:
	s_delay_alu instid0(SALU_CYCLE_1)
	s_and_b32 vcc_lo, exec_lo, s14
	s_cbranch_vccz .LBB38_2014
; %bb.1966:
	s_and_b32 s14, 0xffff, s1
	s_delay_alu instid0(SALU_CYCLE_1)
	s_cmp_lt_i32 s14, 5
	s_cbranch_scc1 .LBB38_1971
; %bb.1967:
	s_cmp_lt_i32 s14, 8
	s_cbranch_scc1 .LBB38_1972
; %bb.1968:
	;; [unrolled: 3-line block ×3, first 2 shown]
	s_cmp_gt_i32 s14, 9
	s_cbranch_scc0 .LBB38_1974
; %bb.1970:
	s_wait_loadcnt 0x0
	global_load_b64 v[10:11], v[4:5], off
	s_mov_b32 s17, 0
	s_wait_loadcnt 0x0
	v_cvt_i32_f64_e32 v11, v[10:11]
	s_branch .LBB38_1975
.LBB38_1971:
	s_mov_b32 s17, -1
                                        ; implicit-def: $vgpr11
	s_branch .LBB38_1993
.LBB38_1972:
	s_mov_b32 s17, -1
                                        ; implicit-def: $vgpr11
	s_branch .LBB38_1981
.LBB38_1973:
	s_mov_b32 s17, -1
                                        ; implicit-def: $vgpr11
	s_branch .LBB38_1978
.LBB38_1974:
	s_mov_b32 s17, -1
                                        ; implicit-def: $vgpr11
.LBB38_1975:
	s_delay_alu instid0(SALU_CYCLE_1)
	s_and_not1_b32 vcc_lo, exec_lo, s17
	s_cbranch_vccnz .LBB38_1977
; %bb.1976:
	global_load_b32 v1, v[4:5], off
	s_wait_loadcnt 0x0
	v_cvt_i32_f32_e32 v11, v1
.LBB38_1977:
	s_mov_b32 s17, 0
.LBB38_1978:
	s_delay_alu instid0(SALU_CYCLE_1)
	s_and_not1_b32 vcc_lo, exec_lo, s17
	s_cbranch_vccnz .LBB38_1980
; %bb.1979:
	global_load_b32 v1, v[4:5], off
	s_wait_loadcnt 0x0
	v_cvt_f32_f16_e32 v1, v1
	s_delay_alu instid0(VALU_DEP_1)
	v_cvt_i32_f32_e32 v11, v1
.LBB38_1980:
	s_mov_b32 s17, 0
.LBB38_1981:
	s_delay_alu instid0(SALU_CYCLE_1)
	s_and_not1_b32 vcc_lo, exec_lo, s17
	s_cbranch_vccnz .LBB38_1992
; %bb.1982:
	s_cmp_lt_i32 s14, 6
	s_cbranch_scc1 .LBB38_1985
; %bb.1983:
	s_cmp_gt_i32 s14, 6
	s_cbranch_scc0 .LBB38_1986
; %bb.1984:
	s_wait_loadcnt 0x0
	global_load_b64 v[10:11], v[4:5], off
	s_mov_b32 s17, 0
	s_wait_loadcnt 0x0
	v_cvt_i32_f64_e32 v11, v[10:11]
	s_branch .LBB38_1987
.LBB38_1985:
	s_mov_b32 s17, -1
                                        ; implicit-def: $vgpr11
	s_branch .LBB38_1990
.LBB38_1986:
	s_mov_b32 s17, -1
                                        ; implicit-def: $vgpr11
.LBB38_1987:
	s_delay_alu instid0(SALU_CYCLE_1)
	s_and_not1_b32 vcc_lo, exec_lo, s17
	s_cbranch_vccnz .LBB38_1989
; %bb.1988:
	global_load_b32 v1, v[4:5], off
	s_wait_loadcnt 0x0
	v_cvt_i32_f32_e32 v11, v1
.LBB38_1989:
	s_mov_b32 s17, 0
.LBB38_1990:
	s_delay_alu instid0(SALU_CYCLE_1)
	s_and_not1_b32 vcc_lo, exec_lo, s17
	s_cbranch_vccnz .LBB38_1992
; %bb.1991:
	global_load_u16 v1, v[4:5], off
	s_wait_loadcnt 0x0
	v_cvt_f32_f16_e32 v1, v1
	s_delay_alu instid0(VALU_DEP_1)
	v_cvt_i32_f32_e32 v11, v1
.LBB38_1992:
	s_mov_b32 s17, 0
.LBB38_1993:
	s_delay_alu instid0(SALU_CYCLE_1)
	s_and_not1_b32 vcc_lo, exec_lo, s17
	s_cbranch_vccnz .LBB38_2013
; %bb.1994:
	s_cmp_lt_i32 s14, 2
	s_cbranch_scc1 .LBB38_1998
; %bb.1995:
	s_cmp_lt_i32 s14, 3
	s_cbranch_scc1 .LBB38_1999
; %bb.1996:
	s_cmp_gt_i32 s14, 3
	s_cbranch_scc0 .LBB38_2000
; %bb.1997:
	s_wait_loadcnt 0x0
	global_load_b32 v11, v[4:5], off
	s_mov_b32 s17, 0
	s_branch .LBB38_2001
.LBB38_1998:
	s_mov_b32 s17, -1
                                        ; implicit-def: $vgpr11
	s_branch .LBB38_2007
.LBB38_1999:
	s_mov_b32 s17, -1
                                        ; implicit-def: $vgpr11
	s_branch .LBB38_2004
.LBB38_2000:
	s_mov_b32 s17, -1
                                        ; implicit-def: $vgpr11
.LBB38_2001:
	s_delay_alu instid0(SALU_CYCLE_1)
	s_and_not1_b32 vcc_lo, exec_lo, s17
	s_cbranch_vccnz .LBB38_2003
; %bb.2002:
	s_wait_loadcnt 0x0
	global_load_b32 v11, v[4:5], off
.LBB38_2003:
	s_mov_b32 s17, 0
.LBB38_2004:
	s_delay_alu instid0(SALU_CYCLE_1)
	s_and_not1_b32 vcc_lo, exec_lo, s17
	s_cbranch_vccnz .LBB38_2006
; %bb.2005:
	s_wait_loadcnt 0x0
	global_load_i16 v11, v[4:5], off
.LBB38_2006:
	s_mov_b32 s17, 0
.LBB38_2007:
	s_delay_alu instid0(SALU_CYCLE_1)
	s_and_not1_b32 vcc_lo, exec_lo, s17
	s_cbranch_vccnz .LBB38_2013
; %bb.2008:
	s_cmp_gt_i32 s14, 0
	s_mov_b32 s14, 0
	s_cbranch_scc0 .LBB38_2010
; %bb.2009:
	s_wait_loadcnt 0x0
	global_load_i8 v11, v[4:5], off
	s_branch .LBB38_2011
.LBB38_2010:
	s_mov_b32 s14, -1
                                        ; implicit-def: $vgpr11
.LBB38_2011:
	s_delay_alu instid0(SALU_CYCLE_1)
	s_and_not1_b32 vcc_lo, exec_lo, s14
	s_cbranch_vccnz .LBB38_2013
; %bb.2012:
	s_wait_loadcnt 0x0
	global_load_u8 v11, v[4:5], off
.LBB38_2013:
	s_mov_b32 s19, -1
.LBB38_2014:
	s_delay_alu instid0(SALU_CYCLE_1)
	s_and_not1_b32 vcc_lo, exec_lo, s19
	s_cbranch_vccnz .LBB38_2957
; %bb.2015:
	v_add_nc_u32_e32 v0, s9, v0
	s_cmp_lt_i32 s0, 11
	s_delay_alu instid0(VALU_DEP_1) | instskip(SKIP_1) | instid1(VALU_DEP_1)
	v_ashrrev_i32_e32 v1, 31, v0
	s_wait_xcnt 0x0
	v_add_nc_u64_e32 v[4:5], s[6:7], v[0:1]
	s_cbranch_scc1 .LBB38_2022
; %bb.2016:
	s_and_b32 s14, 0xffff, s0
	s_mov_b32 s18, 0
	s_cmp_gt_i32 s14, 25
	s_cbranch_scc0 .LBB38_2023
; %bb.2017:
	s_cmp_gt_i32 s14, 28
	s_cbranch_scc0 .LBB38_2024
; %bb.2018:
	;; [unrolled: 3-line block ×4, first 2 shown]
	s_cmp_eq_u32 s14, 46
	s_mov_b32 s20, 0
	s_cbranch_scc0 .LBB38_2028
; %bb.2021:
	global_load_b32 v1, v[4:5], off
	s_mov_b32 s17, 0
	s_mov_b32 s19, -1
	s_wait_loadcnt 0x0
	v_lshlrev_b32_e32 v1, 16, v1
	s_delay_alu instid0(VALU_DEP_1)
	v_cvt_i32_f32_e32 v10, v1
	s_branch .LBB38_2030
.LBB38_2022:
	s_mov_b32 s14, -1
	s_mov_b32 s19, 0
                                        ; implicit-def: $vgpr10
	s_branch .LBB38_2092
.LBB38_2023:
	s_mov_b32 s20, -1
	s_mov_b32 s19, 0
	s_mov_b32 s17, 0
                                        ; implicit-def: $vgpr10
	s_branch .LBB38_2057
.LBB38_2024:
	s_mov_b32 s20, -1
	s_mov_b32 s19, 0
	s_mov_b32 s17, 0
                                        ; implicit-def: $vgpr10
	s_branch .LBB38_2040
.LBB38_2025:
	s_mov_b32 s20, -1
	s_mov_b32 s19, 0
	s_mov_b32 s17, 0
                                        ; implicit-def: $vgpr10
	s_branch .LBB38_2035
.LBB38_2026:
	s_or_b32 s13, s13, exec_lo
	s_trap 2
	s_cbranch_execz .LBB38_1963
	s_branch .LBB38_1964
.LBB38_2027:
	s_mov_b32 s20, -1
	s_mov_b32 s19, 0
	s_mov_b32 s17, 0
	s_branch .LBB38_2029
.LBB38_2028:
	s_mov_b32 s17, -1
	s_mov_b32 s19, 0
.LBB38_2029:
                                        ; implicit-def: $vgpr10
.LBB38_2030:
	s_and_b32 vcc_lo, exec_lo, s20
	s_cbranch_vccz .LBB38_2034
; %bb.2031:
	s_cmp_eq_u32 s14, 44
	s_cbranch_scc0 .LBB38_2033
; %bb.2032:
	global_load_u8 v1, v[4:5], off
	s_mov_b32 s17, 0
	s_mov_b32 s19, -1
	s_wait_loadcnt 0x0
	v_lshlrev_b32_e32 v3, 23, v1
	v_cmp_ne_u32_e32 vcc_lo, 0, v1
	s_delay_alu instid0(VALU_DEP_2) | instskip(NEXT) | instid1(VALU_DEP_1)
	v_cvt_i32_f32_e32 v3, v3
	v_cndmask_b32_e32 v10, 0, v3, vcc_lo
	s_branch .LBB38_2034
.LBB38_2033:
	s_mov_b32 s17, -1
                                        ; implicit-def: $vgpr10
.LBB38_2034:
	s_mov_b32 s20, 0
.LBB38_2035:
	s_delay_alu instid0(SALU_CYCLE_1)
	s_and_b32 vcc_lo, exec_lo, s20
	s_cbranch_vccz .LBB38_2039
; %bb.2036:
	s_cmp_eq_u32 s14, 29
	s_cbranch_scc0 .LBB38_2038
; %bb.2037:
	global_load_b32 v10, v[4:5], off
	s_mov_b32 s17, 0
	s_mov_b32 s19, -1
	s_branch .LBB38_2039
.LBB38_2038:
	s_mov_b32 s17, -1
                                        ; implicit-def: $vgpr10
.LBB38_2039:
	s_mov_b32 s20, 0
.LBB38_2040:
	s_delay_alu instid0(SALU_CYCLE_1)
	s_and_b32 vcc_lo, exec_lo, s20
	s_cbranch_vccz .LBB38_2056
; %bb.2041:
	s_cmp_lt_i32 s14, 27
	s_cbranch_scc1 .LBB38_2044
; %bb.2042:
	s_cmp_gt_i32 s14, 27
	s_cbranch_scc0 .LBB38_2045
; %bb.2043:
	s_wait_loadcnt 0x0
	global_load_b32 v10, v[4:5], off
	s_mov_b32 s19, 0
	s_branch .LBB38_2046
.LBB38_2044:
	s_mov_b32 s19, -1
                                        ; implicit-def: $vgpr10
	s_branch .LBB38_2049
.LBB38_2045:
	s_mov_b32 s19, -1
                                        ; implicit-def: $vgpr10
.LBB38_2046:
	s_delay_alu instid0(SALU_CYCLE_1)
	s_and_not1_b32 vcc_lo, exec_lo, s19
	s_cbranch_vccnz .LBB38_2048
; %bb.2047:
	s_wait_loadcnt 0x0
	global_load_u16 v10, v[4:5], off
.LBB38_2048:
	s_mov_b32 s19, 0
.LBB38_2049:
	s_delay_alu instid0(SALU_CYCLE_1)
	s_and_not1_b32 vcc_lo, exec_lo, s19
	s_cbranch_vccnz .LBB38_2055
; %bb.2050:
	global_load_u8 v1, v[4:5], off
	s_mov_b32 s20, 0
	s_mov_b32 s19, exec_lo
	s_wait_loadcnt 0x0
	v_cmpx_lt_i16_e32 0x7f, v1
	s_xor_b32 s19, exec_lo, s19
	s_cbranch_execz .LBB38_2067
; %bb.2051:
	v_cmp_ne_u16_e32 vcc_lo, 0x80, v1
	s_and_b32 s20, vcc_lo, exec_lo
	s_and_not1_saveexec_b32 s19, s19
	s_cbranch_execnz .LBB38_2068
.LBB38_2052:
	s_or_b32 exec_lo, exec_lo, s19
	v_mov_b32_e32 v10, 0
	s_and_saveexec_b32 s19, s20
	s_cbranch_execz .LBB38_2054
.LBB38_2053:
	v_and_b32_e32 v3, 0xffff, v1
	s_delay_alu instid0(VALU_DEP_1) | instskip(SKIP_1) | instid1(VALU_DEP_2)
	v_and_b32_e32 v10, 7, v3
	v_bfe_u32 v14, v3, 3, 4
	v_clz_i32_u32_e32 v12, v10
	s_delay_alu instid0(VALU_DEP_2) | instskip(NEXT) | instid1(VALU_DEP_2)
	v_cmp_eq_u32_e32 vcc_lo, 0, v14
	v_min_u32_e32 v12, 32, v12
	s_delay_alu instid0(VALU_DEP_1) | instskip(NEXT) | instid1(VALU_DEP_1)
	v_subrev_nc_u32_e32 v13, 28, v12
	v_dual_lshlrev_b32 v3, v13, v3 :: v_dual_sub_nc_u32 v12, 29, v12
	s_delay_alu instid0(VALU_DEP_1) | instskip(NEXT) | instid1(VALU_DEP_2)
	v_dual_lshlrev_b32 v1, 24, v1 :: v_dual_bitop2_b32 v3, 7, v3 bitop3:0x40
	v_cndmask_b32_e32 v12, v14, v12, vcc_lo
	s_delay_alu instid0(VALU_DEP_2) | instskip(NEXT) | instid1(VALU_DEP_3)
	v_cndmask_b32_e32 v3, v10, v3, vcc_lo
	v_and_b32_e32 v1, 0x80000000, v1
	s_delay_alu instid0(VALU_DEP_3) | instskip(NEXT) | instid1(VALU_DEP_3)
	v_lshl_add_u32 v10, v12, 23, 0x3b800000
	v_lshlrev_b32_e32 v3, 20, v3
	s_delay_alu instid0(VALU_DEP_1) | instskip(NEXT) | instid1(VALU_DEP_1)
	v_or3_b32 v1, v1, v10, v3
	v_cvt_i32_f32_e32 v10, v1
.LBB38_2054:
	s_or_b32 exec_lo, exec_lo, s19
.LBB38_2055:
	s_mov_b32 s19, -1
.LBB38_2056:
	s_mov_b32 s20, 0
.LBB38_2057:
	s_delay_alu instid0(SALU_CYCLE_1)
	s_and_b32 vcc_lo, exec_lo, s20
	s_cbranch_vccz .LBB38_2088
; %bb.2058:
	s_cmp_gt_i32 s14, 22
	s_cbranch_scc0 .LBB38_2066
; %bb.2059:
	s_cmp_lt_i32 s14, 24
	s_cbranch_scc1 .LBB38_2069
; %bb.2060:
	s_cmp_gt_i32 s14, 24
	s_cbranch_scc0 .LBB38_2070
; %bb.2061:
	global_load_u8 v1, v[4:5], off
	s_mov_b32 s19, 0
	s_mov_b32 s18, exec_lo
	s_wait_loadcnt 0x0
	v_cmpx_lt_i16_e32 0x7f, v1
	s_xor_b32 s18, exec_lo, s18
	s_cbranch_execz .LBB38_2082
; %bb.2062:
	v_cmp_ne_u16_e32 vcc_lo, 0x80, v1
	s_and_b32 s19, vcc_lo, exec_lo
	s_and_not1_saveexec_b32 s18, s18
	s_cbranch_execnz .LBB38_2083
.LBB38_2063:
	s_or_b32 exec_lo, exec_lo, s18
	v_mov_b32_e32 v10, 0
	s_and_saveexec_b32 s18, s19
	s_cbranch_execz .LBB38_2065
.LBB38_2064:
	v_and_b32_e32 v3, 0xffff, v1
	s_delay_alu instid0(VALU_DEP_1) | instskip(SKIP_1) | instid1(VALU_DEP_2)
	v_and_b32_e32 v10, 3, v3
	v_bfe_u32 v14, v3, 2, 5
	v_clz_i32_u32_e32 v12, v10
	s_delay_alu instid0(VALU_DEP_2) | instskip(NEXT) | instid1(VALU_DEP_2)
	v_cmp_eq_u32_e32 vcc_lo, 0, v14
	v_min_u32_e32 v12, 32, v12
	s_delay_alu instid0(VALU_DEP_1) | instskip(NEXT) | instid1(VALU_DEP_1)
	v_subrev_nc_u32_e32 v13, 29, v12
	v_dual_lshlrev_b32 v3, v13, v3 :: v_dual_sub_nc_u32 v12, 30, v12
	s_delay_alu instid0(VALU_DEP_1) | instskip(NEXT) | instid1(VALU_DEP_2)
	v_dual_lshlrev_b32 v1, 24, v1 :: v_dual_bitop2_b32 v3, 3, v3 bitop3:0x40
	v_cndmask_b32_e32 v12, v14, v12, vcc_lo
	s_delay_alu instid0(VALU_DEP_2) | instskip(NEXT) | instid1(VALU_DEP_3)
	v_cndmask_b32_e32 v3, v10, v3, vcc_lo
	v_and_b32_e32 v1, 0x80000000, v1
	s_delay_alu instid0(VALU_DEP_3) | instskip(NEXT) | instid1(VALU_DEP_3)
	v_lshl_add_u32 v10, v12, 23, 0x37800000
	v_lshlrev_b32_e32 v3, 21, v3
	s_delay_alu instid0(VALU_DEP_1) | instskip(NEXT) | instid1(VALU_DEP_1)
	v_or3_b32 v1, v1, v10, v3
	v_cvt_i32_f32_e32 v10, v1
.LBB38_2065:
	s_or_b32 exec_lo, exec_lo, s18
	s_mov_b32 s18, 0
	s_branch .LBB38_2071
.LBB38_2066:
	s_mov_b32 s18, -1
                                        ; implicit-def: $vgpr10
	s_branch .LBB38_2077
.LBB38_2067:
	s_and_not1_saveexec_b32 s19, s19
	s_cbranch_execz .LBB38_2052
.LBB38_2068:
	v_cmp_ne_u16_e32 vcc_lo, 0, v1
	s_and_not1_b32 s20, s20, exec_lo
	s_and_b32 s21, vcc_lo, exec_lo
	s_delay_alu instid0(SALU_CYCLE_1)
	s_or_b32 s20, s20, s21
	s_or_b32 exec_lo, exec_lo, s19
	v_mov_b32_e32 v10, 0
	s_and_saveexec_b32 s19, s20
	s_cbranch_execnz .LBB38_2053
	s_branch .LBB38_2054
.LBB38_2069:
	s_mov_b32 s18, -1
                                        ; implicit-def: $vgpr10
	s_branch .LBB38_2074
.LBB38_2070:
	s_mov_b32 s18, -1
                                        ; implicit-def: $vgpr10
.LBB38_2071:
	s_delay_alu instid0(SALU_CYCLE_1)
	s_and_b32 vcc_lo, exec_lo, s18
	s_cbranch_vccz .LBB38_2073
; %bb.2072:
	global_load_u8 v1, v[4:5], off
	s_wait_loadcnt 0x0
	v_lshlrev_b32_e32 v1, 24, v1
	s_delay_alu instid0(VALU_DEP_1) | instskip(NEXT) | instid1(VALU_DEP_1)
	v_and_b32_e32 v3, 0x7f000000, v1
	v_clz_i32_u32_e32 v10, v3
	v_add_nc_u32_e32 v13, 0x1000000, v3
	v_cmp_ne_u32_e32 vcc_lo, 0, v3
	s_delay_alu instid0(VALU_DEP_3) | instskip(NEXT) | instid1(VALU_DEP_1)
	v_min_u32_e32 v10, 32, v10
	v_sub_nc_u32_e64 v10, v10, 4 clamp
	s_delay_alu instid0(VALU_DEP_1) | instskip(NEXT) | instid1(VALU_DEP_1)
	v_dual_lshlrev_b32 v12, v10, v3 :: v_dual_lshlrev_b32 v10, 23, v10
	v_lshrrev_b32_e32 v12, 4, v12
	s_delay_alu instid0(VALU_DEP_1) | instskip(NEXT) | instid1(VALU_DEP_1)
	v_dual_sub_nc_u32 v10, v12, v10 :: v_dual_ashrrev_i32 v12, 8, v13
	v_add_nc_u32_e32 v10, 0x3c000000, v10
	s_delay_alu instid0(VALU_DEP_1) | instskip(NEXT) | instid1(VALU_DEP_1)
	v_and_or_b32 v10, 0x7f800000, v12, v10
	v_cndmask_b32_e32 v3, 0, v10, vcc_lo
	s_delay_alu instid0(VALU_DEP_1) | instskip(NEXT) | instid1(VALU_DEP_1)
	v_and_or_b32 v1, 0x80000000, v1, v3
	v_cvt_i32_f32_e32 v10, v1
.LBB38_2073:
	s_mov_b32 s18, 0
.LBB38_2074:
	s_delay_alu instid0(SALU_CYCLE_1)
	s_and_not1_b32 vcc_lo, exec_lo, s18
	s_cbranch_vccnz .LBB38_2076
; %bb.2075:
	global_load_u8 v1, v[4:5], off
	s_wait_loadcnt 0x0
	v_lshlrev_b32_e32 v3, 25, v1
	v_lshlrev_b16 v1, 8, v1
	s_delay_alu instid0(VALU_DEP_1) | instskip(SKIP_1) | instid1(VALU_DEP_2)
	v_and_or_b32 v12, 0x7f00, v1, 0.5
	v_bfe_i32 v1, v1, 0, 16
	v_dual_add_f32 v12, -0.5, v12 :: v_dual_lshrrev_b32 v10, 4, v3
	v_cmp_gt_u32_e32 vcc_lo, 0x8000000, v3
	s_delay_alu instid0(VALU_DEP_2) | instskip(NEXT) | instid1(VALU_DEP_1)
	v_or_b32_e32 v10, 0x70000000, v10
	v_mul_f32_e32 v10, 0x7800000, v10
	s_delay_alu instid0(VALU_DEP_1) | instskip(NEXT) | instid1(VALU_DEP_1)
	v_cndmask_b32_e32 v3, v10, v12, vcc_lo
	v_and_or_b32 v1, 0x80000000, v1, v3
	s_delay_alu instid0(VALU_DEP_1)
	v_cvt_i32_f32_e32 v10, v1
.LBB38_2076:
	s_mov_b32 s18, 0
	s_mov_b32 s19, -1
.LBB38_2077:
	s_and_not1_b32 vcc_lo, exec_lo, s18
	s_mov_b32 s18, 0
	s_cbranch_vccnz .LBB38_2088
; %bb.2078:
	s_cmp_gt_i32 s14, 14
	s_cbranch_scc0 .LBB38_2081
; %bb.2079:
	s_cmp_eq_u32 s14, 15
	s_cbranch_scc0 .LBB38_2084
; %bb.2080:
	global_load_u16 v1, v[4:5], off
	s_mov_b32 s17, 0
	s_mov_b32 s19, -1
	s_wait_loadcnt 0x0
	v_lshlrev_b32_e32 v1, 16, v1
	s_delay_alu instid0(VALU_DEP_1)
	v_cvt_i32_f32_e32 v10, v1
	s_branch .LBB38_2086
.LBB38_2081:
	s_mov_b32 s18, -1
	s_branch .LBB38_2085
.LBB38_2082:
	s_and_not1_saveexec_b32 s18, s18
	s_cbranch_execz .LBB38_2063
.LBB38_2083:
	v_cmp_ne_u16_e32 vcc_lo, 0, v1
	s_and_not1_b32 s19, s19, exec_lo
	s_and_b32 s20, vcc_lo, exec_lo
	s_delay_alu instid0(SALU_CYCLE_1)
	s_or_b32 s19, s19, s20
	s_or_b32 exec_lo, exec_lo, s18
	v_mov_b32_e32 v10, 0
	s_and_saveexec_b32 s18, s19
	s_cbranch_execnz .LBB38_2064
	s_branch .LBB38_2065
.LBB38_2084:
	s_mov_b32 s17, -1
.LBB38_2085:
                                        ; implicit-def: $vgpr10
.LBB38_2086:
	s_and_b32 vcc_lo, exec_lo, s18
	s_mov_b32 s18, 0
	s_cbranch_vccz .LBB38_2088
; %bb.2087:
	s_cmp_lg_u32 s14, 11
	s_mov_b32 s18, -1
	s_cselect_b32 s17, -1, 0
.LBB38_2088:
	s_delay_alu instid0(SALU_CYCLE_1)
	s_and_b32 vcc_lo, exec_lo, s17
	s_cbranch_vccnz .LBB38_2153
; %bb.2089:
	s_and_not1_b32 vcc_lo, exec_lo, s18
	s_cbranch_vccnz .LBB38_2091
.LBB38_2090:
	global_load_u8 v1, v[4:5], off
	s_mov_b32 s19, -1
	s_wait_loadcnt 0x0
	v_cmp_ne_u16_e32 vcc_lo, 0, v1
	v_cndmask_b32_e64 v10, 0, 1, vcc_lo
.LBB38_2091:
	s_mov_b32 s14, 0
.LBB38_2092:
	s_delay_alu instid0(SALU_CYCLE_1)
	s_and_b32 vcc_lo, exec_lo, s14
	s_cbranch_vccz .LBB38_2141
; %bb.2093:
	s_and_b32 s14, 0xffff, s0
	s_delay_alu instid0(SALU_CYCLE_1)
	s_cmp_lt_i32 s14, 5
	s_cbranch_scc1 .LBB38_2098
; %bb.2094:
	s_cmp_lt_i32 s14, 8
	s_cbranch_scc1 .LBB38_2099
; %bb.2095:
	s_cmp_lt_i32 s14, 9
	s_cbranch_scc1 .LBB38_2100
; %bb.2096:
	s_cmp_gt_i32 s14, 9
	s_cbranch_scc0 .LBB38_2101
; %bb.2097:
	global_load_b64 v[12:13], v[4:5], off
	s_mov_b32 s17, 0
	s_wait_loadcnt 0x0
	v_cvt_i32_f64_e32 v10, v[12:13]
	s_branch .LBB38_2102
.LBB38_2098:
	s_mov_b32 s17, -1
                                        ; implicit-def: $vgpr10
	s_branch .LBB38_2120
.LBB38_2099:
	s_mov_b32 s17, -1
                                        ; implicit-def: $vgpr10
	s_branch .LBB38_2108
.LBB38_2100:
	s_mov_b32 s17, -1
                                        ; implicit-def: $vgpr10
	s_branch .LBB38_2105
.LBB38_2101:
	s_mov_b32 s17, -1
                                        ; implicit-def: $vgpr10
.LBB38_2102:
	s_delay_alu instid0(SALU_CYCLE_1)
	s_and_not1_b32 vcc_lo, exec_lo, s17
	s_cbranch_vccnz .LBB38_2104
; %bb.2103:
	global_load_b32 v1, v[4:5], off
	s_wait_loadcnt 0x0
	v_cvt_i32_f32_e32 v10, v1
.LBB38_2104:
	s_mov_b32 s17, 0
.LBB38_2105:
	s_delay_alu instid0(SALU_CYCLE_1)
	s_and_not1_b32 vcc_lo, exec_lo, s17
	s_cbranch_vccnz .LBB38_2107
; %bb.2106:
	global_load_b32 v1, v[4:5], off
	s_wait_loadcnt 0x0
	v_cvt_f32_f16_e32 v1, v1
	s_delay_alu instid0(VALU_DEP_1)
	v_cvt_i32_f32_e32 v10, v1
.LBB38_2107:
	s_mov_b32 s17, 0
.LBB38_2108:
	s_delay_alu instid0(SALU_CYCLE_1)
	s_and_not1_b32 vcc_lo, exec_lo, s17
	s_cbranch_vccnz .LBB38_2119
; %bb.2109:
	s_cmp_lt_i32 s14, 6
	s_cbranch_scc1 .LBB38_2112
; %bb.2110:
	s_cmp_gt_i32 s14, 6
	s_cbranch_scc0 .LBB38_2113
; %bb.2111:
	global_load_b64 v[12:13], v[4:5], off
	s_mov_b32 s17, 0
	s_wait_loadcnt 0x0
	v_cvt_i32_f64_e32 v10, v[12:13]
	s_branch .LBB38_2114
.LBB38_2112:
	s_mov_b32 s17, -1
                                        ; implicit-def: $vgpr10
	s_branch .LBB38_2117
.LBB38_2113:
	s_mov_b32 s17, -1
                                        ; implicit-def: $vgpr10
.LBB38_2114:
	s_delay_alu instid0(SALU_CYCLE_1)
	s_and_not1_b32 vcc_lo, exec_lo, s17
	s_cbranch_vccnz .LBB38_2116
; %bb.2115:
	global_load_b32 v1, v[4:5], off
	s_wait_loadcnt 0x0
	v_cvt_i32_f32_e32 v10, v1
.LBB38_2116:
	s_mov_b32 s17, 0
.LBB38_2117:
	s_delay_alu instid0(SALU_CYCLE_1)
	s_and_not1_b32 vcc_lo, exec_lo, s17
	s_cbranch_vccnz .LBB38_2119
; %bb.2118:
	global_load_u16 v1, v[4:5], off
	s_wait_loadcnt 0x0
	v_cvt_f32_f16_e32 v1, v1
	s_delay_alu instid0(VALU_DEP_1)
	v_cvt_i32_f32_e32 v10, v1
.LBB38_2119:
	s_mov_b32 s17, 0
.LBB38_2120:
	s_delay_alu instid0(SALU_CYCLE_1)
	s_and_not1_b32 vcc_lo, exec_lo, s17
	s_cbranch_vccnz .LBB38_2140
; %bb.2121:
	s_cmp_lt_i32 s14, 2
	s_cbranch_scc1 .LBB38_2125
; %bb.2122:
	s_cmp_lt_i32 s14, 3
	s_cbranch_scc1 .LBB38_2126
; %bb.2123:
	s_cmp_gt_i32 s14, 3
	s_cbranch_scc0 .LBB38_2127
; %bb.2124:
	s_wait_loadcnt 0x0
	global_load_b32 v10, v[4:5], off
	s_mov_b32 s17, 0
	s_branch .LBB38_2128
.LBB38_2125:
	s_mov_b32 s17, -1
                                        ; implicit-def: $vgpr10
	s_branch .LBB38_2134
.LBB38_2126:
	s_mov_b32 s17, -1
                                        ; implicit-def: $vgpr10
	s_branch .LBB38_2131
.LBB38_2127:
	s_mov_b32 s17, -1
                                        ; implicit-def: $vgpr10
.LBB38_2128:
	s_delay_alu instid0(SALU_CYCLE_1)
	s_and_not1_b32 vcc_lo, exec_lo, s17
	s_cbranch_vccnz .LBB38_2130
; %bb.2129:
	s_wait_loadcnt 0x0
	global_load_b32 v10, v[4:5], off
.LBB38_2130:
	s_mov_b32 s17, 0
.LBB38_2131:
	s_delay_alu instid0(SALU_CYCLE_1)
	s_and_not1_b32 vcc_lo, exec_lo, s17
	s_cbranch_vccnz .LBB38_2133
; %bb.2132:
	s_wait_loadcnt 0x0
	global_load_i16 v10, v[4:5], off
.LBB38_2133:
	s_mov_b32 s17, 0
.LBB38_2134:
	s_delay_alu instid0(SALU_CYCLE_1)
	s_and_not1_b32 vcc_lo, exec_lo, s17
	s_cbranch_vccnz .LBB38_2140
; %bb.2135:
	s_cmp_gt_i32 s14, 0
	s_mov_b32 s14, 0
	s_cbranch_scc0 .LBB38_2137
; %bb.2136:
	s_wait_loadcnt 0x0
	global_load_i8 v10, v[4:5], off
	s_branch .LBB38_2138
.LBB38_2137:
	s_mov_b32 s14, -1
                                        ; implicit-def: $vgpr10
.LBB38_2138:
	s_delay_alu instid0(SALU_CYCLE_1)
	s_and_not1_b32 vcc_lo, exec_lo, s14
	s_cbranch_vccnz .LBB38_2140
; %bb.2139:
	s_wait_loadcnt 0x0
	global_load_u8 v10, v[4:5], off
.LBB38_2140:
	s_mov_b32 s19, -1
.LBB38_2141:
	s_delay_alu instid0(SALU_CYCLE_1)
	s_and_not1_b32 vcc_lo, exec_lo, s19
	s_cbranch_vccnz .LBB38_2957
; %bb.2142:
	v_add_nc_u32_e32 v2, s10, v2
	s_cmp_lt_i32 s1, 11
	s_delay_alu instid0(VALU_DEP_1) | instskip(SKIP_1) | instid1(VALU_DEP_1)
	v_ashrrev_i32_e32 v3, 31, v2
	s_wait_xcnt 0x0
	v_add_nc_u64_e32 v[4:5], s[2:3], v[2:3]
	s_cbranch_scc1 .LBB38_2149
; %bb.2143:
	s_and_b32 s14, 0xffff, s1
	s_mov_b32 s18, 0
	s_cmp_gt_i32 s14, 25
	s_cbranch_scc0 .LBB38_2150
; %bb.2144:
	s_cmp_gt_i32 s14, 28
	s_cbranch_scc0 .LBB38_2151
; %bb.2145:
	s_cmp_gt_i32 s14, 43
	s_cbranch_scc0 .LBB38_2152
; %bb.2146:
	s_cmp_gt_i32 s14, 45
	s_cbranch_scc0 .LBB38_2154
; %bb.2147:
	s_cmp_eq_u32 s14, 46
	s_mov_b32 s20, 0
	s_cbranch_scc0 .LBB38_2157
; %bb.2148:
	global_load_b32 v1, v[4:5], off
	s_mov_b32 s17, 0
	s_mov_b32 s19, -1
	s_wait_loadcnt 0x0
	v_lshlrev_b32_e32 v1, 16, v1
	s_delay_alu instid0(VALU_DEP_1)
	v_cvt_i32_f32_e32 v12, v1
	s_branch .LBB38_2159
.LBB38_2149:
	s_mov_b32 s14, -1
	s_mov_b32 s19, 0
                                        ; implicit-def: $vgpr12
	s_branch .LBB38_2221
.LBB38_2150:
	s_mov_b32 s20, -1
	s_mov_b32 s19, 0
	s_mov_b32 s17, 0
                                        ; implicit-def: $vgpr12
	s_branch .LBB38_2186
.LBB38_2151:
	s_mov_b32 s20, -1
	s_mov_b32 s19, 0
	s_mov_b32 s17, 0
                                        ; implicit-def: $vgpr12
	s_branch .LBB38_2169
.LBB38_2152:
	s_mov_b32 s20, -1
	s_mov_b32 s19, 0
	s_mov_b32 s17, 0
                                        ; implicit-def: $vgpr12
	s_branch .LBB38_2164
.LBB38_2153:
	s_or_b32 s13, s13, exec_lo
	s_trap 2
	s_cbranch_execz .LBB38_2090
	s_branch .LBB38_2091
.LBB38_2154:
	s_mov_b32 s20, -1
	s_mov_b32 s19, 0
	s_mov_b32 s17, 0
	s_branch .LBB38_2158
.LBB38_2155:
	s_and_not1_saveexec_b32 s35, s35
	s_cbranch_execz .LBB38_1063
.LBB38_2156:
	v_add_f32_e32 v2, 0x42800000, v3
	s_and_not1_b32 s34, s34, exec_lo
	s_delay_alu instid0(VALU_DEP_1) | instskip(NEXT) | instid1(VALU_DEP_1)
	v_and_b32_e32 v2, 0xff, v2
	v_cmp_ne_u32_e32 vcc_lo, 0, v2
	s_and_b32 s36, vcc_lo, exec_lo
	s_delay_alu instid0(SALU_CYCLE_1)
	s_or_b32 s34, s34, s36
	s_or_b32 exec_lo, exec_lo, s35
	v_mov_b32_e32 v4, 0
	s_and_saveexec_b32 s35, s34
	s_cbranch_execnz .LBB38_1064
	s_branch .LBB38_1065
.LBB38_2157:
	s_mov_b32 s17, -1
	s_mov_b32 s19, 0
.LBB38_2158:
                                        ; implicit-def: $vgpr12
.LBB38_2159:
	s_and_b32 vcc_lo, exec_lo, s20
	s_cbranch_vccz .LBB38_2163
; %bb.2160:
	s_cmp_eq_u32 s14, 44
	s_cbranch_scc0 .LBB38_2162
; %bb.2161:
	global_load_u8 v1, v[4:5], off
	s_mov_b32 s17, 0
	s_mov_b32 s19, -1
	s_wait_loadcnt 0x0
	v_lshlrev_b32_e32 v3, 23, v1
	v_cmp_ne_u32_e32 vcc_lo, 0, v1
	s_delay_alu instid0(VALU_DEP_2) | instskip(NEXT) | instid1(VALU_DEP_1)
	v_cvt_i32_f32_e32 v3, v3
	v_cndmask_b32_e32 v12, 0, v3, vcc_lo
	s_branch .LBB38_2163
.LBB38_2162:
	s_mov_b32 s17, -1
                                        ; implicit-def: $vgpr12
.LBB38_2163:
	s_mov_b32 s20, 0
.LBB38_2164:
	s_delay_alu instid0(SALU_CYCLE_1)
	s_and_b32 vcc_lo, exec_lo, s20
	s_cbranch_vccz .LBB38_2168
; %bb.2165:
	s_cmp_eq_u32 s14, 29
	s_cbranch_scc0 .LBB38_2167
; %bb.2166:
	global_load_b32 v12, v[4:5], off
	s_mov_b32 s17, 0
	s_mov_b32 s19, -1
	s_branch .LBB38_2168
.LBB38_2167:
	s_mov_b32 s17, -1
                                        ; implicit-def: $vgpr12
.LBB38_2168:
	s_mov_b32 s20, 0
.LBB38_2169:
	s_delay_alu instid0(SALU_CYCLE_1)
	s_and_b32 vcc_lo, exec_lo, s20
	s_cbranch_vccz .LBB38_2185
; %bb.2170:
	s_cmp_lt_i32 s14, 27
	s_cbranch_scc1 .LBB38_2173
; %bb.2171:
	s_cmp_gt_i32 s14, 27
	s_cbranch_scc0 .LBB38_2174
; %bb.2172:
	s_wait_loadcnt 0x0
	global_load_b32 v12, v[4:5], off
	s_mov_b32 s19, 0
	s_branch .LBB38_2175
.LBB38_2173:
	s_mov_b32 s19, -1
                                        ; implicit-def: $vgpr12
	s_branch .LBB38_2178
.LBB38_2174:
	s_mov_b32 s19, -1
                                        ; implicit-def: $vgpr12
.LBB38_2175:
	s_delay_alu instid0(SALU_CYCLE_1)
	s_and_not1_b32 vcc_lo, exec_lo, s19
	s_cbranch_vccnz .LBB38_2177
; %bb.2176:
	s_wait_loadcnt 0x0
	global_load_u16 v12, v[4:5], off
.LBB38_2177:
	s_mov_b32 s19, 0
.LBB38_2178:
	s_delay_alu instid0(SALU_CYCLE_1)
	s_and_not1_b32 vcc_lo, exec_lo, s19
	s_cbranch_vccnz .LBB38_2184
; %bb.2179:
	global_load_u8 v1, v[4:5], off
	s_mov_b32 s20, 0
	s_mov_b32 s19, exec_lo
	s_wait_loadcnt 0x0
	v_cmpx_lt_i16_e32 0x7f, v1
	s_xor_b32 s19, exec_lo, s19
	s_cbranch_execz .LBB38_2196
; %bb.2180:
	v_cmp_ne_u16_e32 vcc_lo, 0x80, v1
	s_and_b32 s20, vcc_lo, exec_lo
	s_and_not1_saveexec_b32 s19, s19
	s_cbranch_execnz .LBB38_2197
.LBB38_2181:
	s_or_b32 exec_lo, exec_lo, s19
	v_mov_b32_e32 v12, 0
	s_and_saveexec_b32 s19, s20
	s_cbranch_execz .LBB38_2183
.LBB38_2182:
	v_and_b32_e32 v3, 0xffff, v1
	s_delay_alu instid0(VALU_DEP_1) | instskip(SKIP_1) | instid1(VALU_DEP_2)
	v_and_b32_e32 v12, 7, v3
	v_bfe_u32 v15, v3, 3, 4
	v_clz_i32_u32_e32 v13, v12
	s_delay_alu instid0(VALU_DEP_2) | instskip(NEXT) | instid1(VALU_DEP_2)
	v_cmp_eq_u32_e32 vcc_lo, 0, v15
	v_min_u32_e32 v13, 32, v13
	s_delay_alu instid0(VALU_DEP_1) | instskip(NEXT) | instid1(VALU_DEP_1)
	v_subrev_nc_u32_e32 v14, 28, v13
	v_dual_lshlrev_b32 v3, v14, v3 :: v_dual_sub_nc_u32 v13, 29, v13
	s_delay_alu instid0(VALU_DEP_1) | instskip(NEXT) | instid1(VALU_DEP_1)
	v_dual_lshlrev_b32 v1, 24, v1 :: v_dual_bitop2_b32 v3, 7, v3 bitop3:0x40
	v_dual_cndmask_b32 v3, v12, v3, vcc_lo :: v_dual_cndmask_b32 v13, v15, v13, vcc_lo
	s_delay_alu instid0(VALU_DEP_2) | instskip(NEXT) | instid1(VALU_DEP_2)
	v_and_b32_e32 v1, 0x80000000, v1
	v_lshlrev_b32_e32 v3, 20, v3
	s_delay_alu instid0(VALU_DEP_3) | instskip(NEXT) | instid1(VALU_DEP_1)
	v_lshl_add_u32 v12, v13, 23, 0x3b800000
	v_or3_b32 v1, v1, v12, v3
	s_delay_alu instid0(VALU_DEP_1)
	v_cvt_i32_f32_e32 v12, v1
.LBB38_2183:
	s_or_b32 exec_lo, exec_lo, s19
.LBB38_2184:
	s_mov_b32 s19, -1
.LBB38_2185:
	s_mov_b32 s20, 0
.LBB38_2186:
	s_delay_alu instid0(SALU_CYCLE_1)
	s_and_b32 vcc_lo, exec_lo, s20
	s_cbranch_vccz .LBB38_2217
; %bb.2187:
	s_cmp_gt_i32 s14, 22
	s_cbranch_scc0 .LBB38_2195
; %bb.2188:
	s_cmp_lt_i32 s14, 24
	s_cbranch_scc1 .LBB38_2198
; %bb.2189:
	s_cmp_gt_i32 s14, 24
	s_cbranch_scc0 .LBB38_2199
; %bb.2190:
	global_load_u8 v1, v[4:5], off
	s_mov_b32 s19, 0
	s_mov_b32 s18, exec_lo
	s_wait_loadcnt 0x0
	v_cmpx_lt_i16_e32 0x7f, v1
	s_xor_b32 s18, exec_lo, s18
	s_cbranch_execz .LBB38_2211
; %bb.2191:
	v_cmp_ne_u16_e32 vcc_lo, 0x80, v1
	s_and_b32 s19, vcc_lo, exec_lo
	s_and_not1_saveexec_b32 s18, s18
	s_cbranch_execnz .LBB38_2212
.LBB38_2192:
	s_or_b32 exec_lo, exec_lo, s18
	v_mov_b32_e32 v12, 0
	s_and_saveexec_b32 s18, s19
	s_cbranch_execz .LBB38_2194
.LBB38_2193:
	v_and_b32_e32 v3, 0xffff, v1
	s_delay_alu instid0(VALU_DEP_1) | instskip(SKIP_1) | instid1(VALU_DEP_2)
	v_and_b32_e32 v12, 3, v3
	v_bfe_u32 v15, v3, 2, 5
	v_clz_i32_u32_e32 v13, v12
	s_delay_alu instid0(VALU_DEP_2) | instskip(NEXT) | instid1(VALU_DEP_2)
	v_cmp_eq_u32_e32 vcc_lo, 0, v15
	v_min_u32_e32 v13, 32, v13
	s_delay_alu instid0(VALU_DEP_1) | instskip(NEXT) | instid1(VALU_DEP_1)
	v_subrev_nc_u32_e32 v14, 29, v13
	v_dual_lshlrev_b32 v3, v14, v3 :: v_dual_sub_nc_u32 v13, 30, v13
	s_delay_alu instid0(VALU_DEP_1) | instskip(NEXT) | instid1(VALU_DEP_1)
	v_dual_lshlrev_b32 v1, 24, v1 :: v_dual_bitop2_b32 v3, 3, v3 bitop3:0x40
	v_dual_cndmask_b32 v3, v12, v3, vcc_lo :: v_dual_cndmask_b32 v13, v15, v13, vcc_lo
	s_delay_alu instid0(VALU_DEP_2) | instskip(NEXT) | instid1(VALU_DEP_2)
	v_and_b32_e32 v1, 0x80000000, v1
	v_lshlrev_b32_e32 v3, 21, v3
	s_delay_alu instid0(VALU_DEP_3) | instskip(NEXT) | instid1(VALU_DEP_1)
	v_lshl_add_u32 v12, v13, 23, 0x37800000
	v_or3_b32 v1, v1, v12, v3
	s_delay_alu instid0(VALU_DEP_1)
	v_cvt_i32_f32_e32 v12, v1
.LBB38_2194:
	s_or_b32 exec_lo, exec_lo, s18
	s_mov_b32 s18, 0
	s_branch .LBB38_2200
.LBB38_2195:
	s_mov_b32 s18, -1
                                        ; implicit-def: $vgpr12
	s_branch .LBB38_2206
.LBB38_2196:
	s_and_not1_saveexec_b32 s19, s19
	s_cbranch_execz .LBB38_2181
.LBB38_2197:
	v_cmp_ne_u16_e32 vcc_lo, 0, v1
	s_and_not1_b32 s20, s20, exec_lo
	s_and_b32 s21, vcc_lo, exec_lo
	s_delay_alu instid0(SALU_CYCLE_1)
	s_or_b32 s20, s20, s21
	s_or_b32 exec_lo, exec_lo, s19
	v_mov_b32_e32 v12, 0
	s_and_saveexec_b32 s19, s20
	s_cbranch_execnz .LBB38_2182
	s_branch .LBB38_2183
.LBB38_2198:
	s_mov_b32 s18, -1
                                        ; implicit-def: $vgpr12
	s_branch .LBB38_2203
.LBB38_2199:
	s_mov_b32 s18, -1
                                        ; implicit-def: $vgpr12
.LBB38_2200:
	s_delay_alu instid0(SALU_CYCLE_1)
	s_and_b32 vcc_lo, exec_lo, s18
	s_cbranch_vccz .LBB38_2202
; %bb.2201:
	global_load_u8 v1, v[4:5], off
	s_wait_loadcnt 0x0
	v_lshlrev_b32_e32 v1, 24, v1
	s_delay_alu instid0(VALU_DEP_1) | instskip(NEXT) | instid1(VALU_DEP_1)
	v_and_b32_e32 v3, 0x7f000000, v1
	v_clz_i32_u32_e32 v12, v3
	v_cmp_ne_u32_e32 vcc_lo, 0, v3
	v_add_nc_u32_e32 v14, 0x1000000, v3
	s_delay_alu instid0(VALU_DEP_3) | instskip(NEXT) | instid1(VALU_DEP_1)
	v_min_u32_e32 v12, 32, v12
	v_sub_nc_u32_e64 v12, v12, 4 clamp
	s_delay_alu instid0(VALU_DEP_1) | instskip(NEXT) | instid1(VALU_DEP_1)
	v_dual_lshlrev_b32 v13, v12, v3 :: v_dual_lshlrev_b32 v12, 23, v12
	v_lshrrev_b32_e32 v13, 4, v13
	s_delay_alu instid0(VALU_DEP_1) | instskip(NEXT) | instid1(VALU_DEP_1)
	v_dual_sub_nc_u32 v12, v13, v12 :: v_dual_ashrrev_i32 v13, 8, v14
	v_add_nc_u32_e32 v12, 0x3c000000, v12
	s_delay_alu instid0(VALU_DEP_1) | instskip(NEXT) | instid1(VALU_DEP_1)
	v_and_or_b32 v12, 0x7f800000, v13, v12
	v_cndmask_b32_e32 v3, 0, v12, vcc_lo
	s_delay_alu instid0(VALU_DEP_1) | instskip(NEXT) | instid1(VALU_DEP_1)
	v_and_or_b32 v1, 0x80000000, v1, v3
	v_cvt_i32_f32_e32 v12, v1
.LBB38_2202:
	s_mov_b32 s18, 0
.LBB38_2203:
	s_delay_alu instid0(SALU_CYCLE_1)
	s_and_not1_b32 vcc_lo, exec_lo, s18
	s_cbranch_vccnz .LBB38_2205
; %bb.2204:
	global_load_u8 v1, v[4:5], off
	s_wait_loadcnt 0x0
	v_lshlrev_b32_e32 v3, 25, v1
	v_lshlrev_b16 v1, 8, v1
	s_delay_alu instid0(VALU_DEP_1) | instskip(NEXT) | instid1(VALU_DEP_3)
	v_and_or_b32 v13, 0x7f00, v1, 0.5
	v_lshrrev_b32_e32 v12, 4, v3
	v_bfe_i32 v1, v1, 0, 16
	s_delay_alu instid0(VALU_DEP_3) | instskip(NEXT) | instid1(VALU_DEP_3)
	v_add_f32_e32 v13, -0.5, v13
	v_or_b32_e32 v12, 0x70000000, v12
	s_delay_alu instid0(VALU_DEP_1) | instskip(SKIP_1) | instid1(VALU_DEP_2)
	v_mul_f32_e32 v12, 0x7800000, v12
	v_cmp_gt_u32_e32 vcc_lo, 0x8000000, v3
	v_cndmask_b32_e32 v3, v12, v13, vcc_lo
	s_delay_alu instid0(VALU_DEP_1) | instskip(NEXT) | instid1(VALU_DEP_1)
	v_and_or_b32 v1, 0x80000000, v1, v3
	v_cvt_i32_f32_e32 v12, v1
.LBB38_2205:
	s_mov_b32 s18, 0
	s_mov_b32 s19, -1
.LBB38_2206:
	s_and_not1_b32 vcc_lo, exec_lo, s18
	s_mov_b32 s18, 0
	s_cbranch_vccnz .LBB38_2217
; %bb.2207:
	s_cmp_gt_i32 s14, 14
	s_cbranch_scc0 .LBB38_2210
; %bb.2208:
	s_cmp_eq_u32 s14, 15
	s_cbranch_scc0 .LBB38_2213
; %bb.2209:
	global_load_u16 v1, v[4:5], off
	s_mov_b32 s17, 0
	s_mov_b32 s19, -1
	s_wait_loadcnt 0x0
	v_lshlrev_b32_e32 v1, 16, v1
	s_delay_alu instid0(VALU_DEP_1)
	v_cvt_i32_f32_e32 v12, v1
	s_branch .LBB38_2215
.LBB38_2210:
	s_mov_b32 s18, -1
	s_branch .LBB38_2214
.LBB38_2211:
	s_and_not1_saveexec_b32 s18, s18
	s_cbranch_execz .LBB38_2192
.LBB38_2212:
	v_cmp_ne_u16_e32 vcc_lo, 0, v1
	s_and_not1_b32 s19, s19, exec_lo
	s_and_b32 s20, vcc_lo, exec_lo
	s_delay_alu instid0(SALU_CYCLE_1)
	s_or_b32 s19, s19, s20
	s_or_b32 exec_lo, exec_lo, s18
	v_mov_b32_e32 v12, 0
	s_and_saveexec_b32 s18, s19
	s_cbranch_execnz .LBB38_2193
	s_branch .LBB38_2194
.LBB38_2213:
	s_mov_b32 s17, -1
.LBB38_2214:
                                        ; implicit-def: $vgpr12
.LBB38_2215:
	s_and_b32 vcc_lo, exec_lo, s18
	s_mov_b32 s18, 0
	s_cbranch_vccz .LBB38_2217
; %bb.2216:
	s_cmp_lg_u32 s14, 11
	s_mov_b32 s18, -1
	s_cselect_b32 s17, -1, 0
.LBB38_2217:
	s_delay_alu instid0(SALU_CYCLE_1)
	s_and_b32 vcc_lo, exec_lo, s17
	s_cbranch_vccnz .LBB38_2282
; %bb.2218:
	s_and_not1_b32 vcc_lo, exec_lo, s18
	s_cbranch_vccnz .LBB38_2220
.LBB38_2219:
	global_load_u8 v1, v[4:5], off
	s_mov_b32 s19, -1
	s_wait_loadcnt 0x0
	v_cmp_ne_u16_e32 vcc_lo, 0, v1
	v_cndmask_b32_e64 v12, 0, 1, vcc_lo
.LBB38_2220:
	s_mov_b32 s14, 0
.LBB38_2221:
	s_delay_alu instid0(SALU_CYCLE_1)
	s_and_b32 vcc_lo, exec_lo, s14
	s_cbranch_vccz .LBB38_2270
; %bb.2222:
	s_and_b32 s14, 0xffff, s1
	s_delay_alu instid0(SALU_CYCLE_1)
	s_cmp_lt_i32 s14, 5
	s_cbranch_scc1 .LBB38_2227
; %bb.2223:
	s_cmp_lt_i32 s14, 8
	s_cbranch_scc1 .LBB38_2228
; %bb.2224:
	;; [unrolled: 3-line block ×3, first 2 shown]
	s_cmp_gt_i32 s14, 9
	s_cbranch_scc0 .LBB38_2230
; %bb.2226:
	s_wait_loadcnt 0x0
	global_load_b64 v[12:13], v[4:5], off
	s_mov_b32 s17, 0
	s_wait_loadcnt 0x0
	v_cvt_i32_f64_e32 v12, v[12:13]
	s_branch .LBB38_2231
.LBB38_2227:
	s_mov_b32 s17, -1
                                        ; implicit-def: $vgpr12
	s_branch .LBB38_2249
.LBB38_2228:
	s_mov_b32 s17, -1
                                        ; implicit-def: $vgpr12
	s_branch .LBB38_2237
.LBB38_2229:
	s_mov_b32 s17, -1
                                        ; implicit-def: $vgpr12
	s_branch .LBB38_2234
.LBB38_2230:
	s_mov_b32 s17, -1
                                        ; implicit-def: $vgpr12
.LBB38_2231:
	s_delay_alu instid0(SALU_CYCLE_1)
	s_and_not1_b32 vcc_lo, exec_lo, s17
	s_cbranch_vccnz .LBB38_2233
; %bb.2232:
	global_load_b32 v1, v[4:5], off
	s_wait_loadcnt 0x0
	v_cvt_i32_f32_e32 v12, v1
.LBB38_2233:
	s_mov_b32 s17, 0
.LBB38_2234:
	s_delay_alu instid0(SALU_CYCLE_1)
	s_and_not1_b32 vcc_lo, exec_lo, s17
	s_cbranch_vccnz .LBB38_2236
; %bb.2235:
	global_load_b32 v1, v[4:5], off
	s_wait_loadcnt 0x0
	v_cvt_f32_f16_e32 v1, v1
	s_delay_alu instid0(VALU_DEP_1)
	v_cvt_i32_f32_e32 v12, v1
.LBB38_2236:
	s_mov_b32 s17, 0
.LBB38_2237:
	s_delay_alu instid0(SALU_CYCLE_1)
	s_and_not1_b32 vcc_lo, exec_lo, s17
	s_cbranch_vccnz .LBB38_2248
; %bb.2238:
	s_cmp_lt_i32 s14, 6
	s_cbranch_scc1 .LBB38_2241
; %bb.2239:
	s_cmp_gt_i32 s14, 6
	s_cbranch_scc0 .LBB38_2242
; %bb.2240:
	s_wait_loadcnt 0x0
	global_load_b64 v[12:13], v[4:5], off
	s_mov_b32 s17, 0
	s_wait_loadcnt 0x0
	v_cvt_i32_f64_e32 v12, v[12:13]
	s_branch .LBB38_2243
.LBB38_2241:
	s_mov_b32 s17, -1
                                        ; implicit-def: $vgpr12
	s_branch .LBB38_2246
.LBB38_2242:
	s_mov_b32 s17, -1
                                        ; implicit-def: $vgpr12
.LBB38_2243:
	s_delay_alu instid0(SALU_CYCLE_1)
	s_and_not1_b32 vcc_lo, exec_lo, s17
	s_cbranch_vccnz .LBB38_2245
; %bb.2244:
	global_load_b32 v1, v[4:5], off
	s_wait_loadcnt 0x0
	v_cvt_i32_f32_e32 v12, v1
.LBB38_2245:
	s_mov_b32 s17, 0
.LBB38_2246:
	s_delay_alu instid0(SALU_CYCLE_1)
	s_and_not1_b32 vcc_lo, exec_lo, s17
	s_cbranch_vccnz .LBB38_2248
; %bb.2247:
	global_load_u16 v1, v[4:5], off
	s_wait_loadcnt 0x0
	v_cvt_f32_f16_e32 v1, v1
	s_delay_alu instid0(VALU_DEP_1)
	v_cvt_i32_f32_e32 v12, v1
.LBB38_2248:
	s_mov_b32 s17, 0
.LBB38_2249:
	s_delay_alu instid0(SALU_CYCLE_1)
	s_and_not1_b32 vcc_lo, exec_lo, s17
	s_cbranch_vccnz .LBB38_2269
; %bb.2250:
	s_cmp_lt_i32 s14, 2
	s_cbranch_scc1 .LBB38_2254
; %bb.2251:
	s_cmp_lt_i32 s14, 3
	s_cbranch_scc1 .LBB38_2255
; %bb.2252:
	s_cmp_gt_i32 s14, 3
	s_cbranch_scc0 .LBB38_2256
; %bb.2253:
	s_wait_loadcnt 0x0
	global_load_b32 v12, v[4:5], off
	s_mov_b32 s17, 0
	s_branch .LBB38_2257
.LBB38_2254:
	s_mov_b32 s17, -1
                                        ; implicit-def: $vgpr12
	s_branch .LBB38_2263
.LBB38_2255:
	s_mov_b32 s17, -1
                                        ; implicit-def: $vgpr12
	s_branch .LBB38_2260
.LBB38_2256:
	s_mov_b32 s17, -1
                                        ; implicit-def: $vgpr12
.LBB38_2257:
	s_delay_alu instid0(SALU_CYCLE_1)
	s_and_not1_b32 vcc_lo, exec_lo, s17
	s_cbranch_vccnz .LBB38_2259
; %bb.2258:
	s_wait_loadcnt 0x0
	global_load_b32 v12, v[4:5], off
.LBB38_2259:
	s_mov_b32 s17, 0
.LBB38_2260:
	s_delay_alu instid0(SALU_CYCLE_1)
	s_and_not1_b32 vcc_lo, exec_lo, s17
	s_cbranch_vccnz .LBB38_2262
; %bb.2261:
	s_wait_loadcnt 0x0
	global_load_i16 v12, v[4:5], off
.LBB38_2262:
	s_mov_b32 s17, 0
.LBB38_2263:
	s_delay_alu instid0(SALU_CYCLE_1)
	s_and_not1_b32 vcc_lo, exec_lo, s17
	s_cbranch_vccnz .LBB38_2269
; %bb.2264:
	s_cmp_gt_i32 s14, 0
	s_mov_b32 s14, 0
	s_cbranch_scc0 .LBB38_2266
; %bb.2265:
	s_wait_loadcnt 0x0
	global_load_i8 v12, v[4:5], off
	s_branch .LBB38_2267
.LBB38_2266:
	s_mov_b32 s14, -1
                                        ; implicit-def: $vgpr12
.LBB38_2267:
	s_delay_alu instid0(SALU_CYCLE_1)
	s_and_not1_b32 vcc_lo, exec_lo, s14
	s_cbranch_vccnz .LBB38_2269
; %bb.2268:
	s_wait_loadcnt 0x0
	global_load_u8 v12, v[4:5], off
.LBB38_2269:
	s_mov_b32 s19, -1
.LBB38_2270:
	s_delay_alu instid0(SALU_CYCLE_1)
	s_and_not1_b32 vcc_lo, exec_lo, s19
	s_cbranch_vccnz .LBB38_2957
; %bb.2271:
	v_add_nc_u32_e32 v0, s9, v0
	s_cmp_lt_i32 s0, 11
	s_delay_alu instid0(VALU_DEP_1) | instskip(NEXT) | instid1(VALU_DEP_1)
	v_ashrrev_i32_e32 v1, 31, v0
	v_add_nc_u64_e32 v[0:1], s[6:7], v[0:1]
	s_cbranch_scc1 .LBB38_2278
; %bb.2272:
	s_and_b32 s6, 0xffff, s0
	s_mov_b32 s9, 0
	s_cmp_gt_i32 s6, 25
	s_cbranch_scc0 .LBB38_2279
; %bb.2273:
	s_cmp_gt_i32 s6, 28
	s_cbranch_scc0 .LBB38_2280
; %bb.2274:
	s_cmp_gt_i32 s6, 43
	s_cbranch_scc0 .LBB38_2281
; %bb.2275:
	s_cmp_gt_i32 s6, 45
	s_cbranch_scc0 .LBB38_2283
; %bb.2276:
	s_cmp_eq_u32 s6, 46
	s_mov_b32 s17, 0
	s_cbranch_scc0 .LBB38_2284
; %bb.2277:
	global_load_b32 v3, v[0:1], off
	s_mov_b32 s7, 0
	s_mov_b32 s14, -1
	s_wait_loadcnt 0x0
	v_lshlrev_b32_e32 v3, 16, v3
	s_wait_xcnt 0x1
	s_delay_alu instid0(VALU_DEP_1)
	v_cvt_i32_f32_e32 v4, v3
	s_branch .LBB38_2286
.LBB38_2278:
	s_mov_b32 s6, -1
	s_mov_b32 s14, 0
                                        ; implicit-def: $vgpr4
	s_branch .LBB38_2348
.LBB38_2279:
	s_mov_b32 s17, -1
	s_mov_b32 s14, 0
	s_mov_b32 s7, 0
                                        ; implicit-def: $vgpr4
	s_branch .LBB38_2313
.LBB38_2280:
	s_mov_b32 s17, -1
	s_mov_b32 s14, 0
	s_mov_b32 s7, 0
                                        ; implicit-def: $vgpr4
	s_branch .LBB38_2296
.LBB38_2281:
	s_mov_b32 s17, -1
	s_mov_b32 s14, 0
	s_mov_b32 s7, 0
                                        ; implicit-def: $vgpr4
	s_branch .LBB38_2291
.LBB38_2282:
	s_or_b32 s13, s13, exec_lo
	s_trap 2
	s_cbranch_execz .LBB38_2219
	s_branch .LBB38_2220
.LBB38_2283:
	s_mov_b32 s17, -1
	s_mov_b32 s14, 0
	s_mov_b32 s7, 0
	s_branch .LBB38_2285
.LBB38_2284:
	s_mov_b32 s7, -1
	s_mov_b32 s14, 0
.LBB38_2285:
                                        ; implicit-def: $vgpr4
.LBB38_2286:
	s_and_b32 vcc_lo, exec_lo, s17
	s_cbranch_vccz .LBB38_2290
; %bb.2287:
	s_cmp_eq_u32 s6, 44
	s_cbranch_scc0 .LBB38_2289
; %bb.2288:
	global_load_u8 v3, v[0:1], off
	s_mov_b32 s7, 0
	s_mov_b32 s14, -1
	s_wait_loadcnt 0x0
	s_wait_xcnt 0x1
	v_lshlrev_b32_e32 v4, 23, v3
	v_cmp_ne_u32_e32 vcc_lo, 0, v3
	s_delay_alu instid0(VALU_DEP_2) | instskip(NEXT) | instid1(VALU_DEP_1)
	v_cvt_i32_f32_e32 v4, v4
	v_cndmask_b32_e32 v4, 0, v4, vcc_lo
	s_branch .LBB38_2290
.LBB38_2289:
	s_mov_b32 s7, -1
                                        ; implicit-def: $vgpr4
.LBB38_2290:
	s_mov_b32 s17, 0
.LBB38_2291:
	s_delay_alu instid0(SALU_CYCLE_1)
	s_and_b32 vcc_lo, exec_lo, s17
	s_cbranch_vccz .LBB38_2295
; %bb.2292:
	s_cmp_eq_u32 s6, 29
	s_cbranch_scc0 .LBB38_2294
; %bb.2293:
	global_load_b32 v4, v[0:1], off
	s_mov_b32 s7, 0
	s_mov_b32 s14, -1
	s_branch .LBB38_2295
.LBB38_2294:
	s_mov_b32 s7, -1
                                        ; implicit-def: $vgpr4
.LBB38_2295:
	s_mov_b32 s17, 0
.LBB38_2296:
	s_delay_alu instid0(SALU_CYCLE_1)
	s_and_b32 vcc_lo, exec_lo, s17
	s_cbranch_vccz .LBB38_2312
; %bb.2297:
	s_cmp_lt_i32 s6, 27
	s_cbranch_scc1 .LBB38_2300
; %bb.2298:
	s_cmp_gt_i32 s6, 27
	s_cbranch_scc0 .LBB38_2301
; %bb.2299:
	s_wait_loadcnt 0x0
	global_load_b32 v4, v[0:1], off
	s_mov_b32 s14, 0
	s_branch .LBB38_2302
.LBB38_2300:
	s_mov_b32 s14, -1
                                        ; implicit-def: $vgpr4
	s_branch .LBB38_2305
.LBB38_2301:
	s_mov_b32 s14, -1
                                        ; implicit-def: $vgpr4
.LBB38_2302:
	s_delay_alu instid0(SALU_CYCLE_1)
	s_and_not1_b32 vcc_lo, exec_lo, s14
	s_cbranch_vccnz .LBB38_2304
; %bb.2303:
	s_wait_loadcnt 0x0
	global_load_u16 v4, v[0:1], off
.LBB38_2304:
	s_mov_b32 s14, 0
.LBB38_2305:
	s_delay_alu instid0(SALU_CYCLE_1)
	s_and_not1_b32 vcc_lo, exec_lo, s14
	s_cbranch_vccnz .LBB38_2311
; %bb.2306:
	global_load_u8 v3, v[0:1], off
	s_mov_b32 s17, 0
	s_mov_b32 s14, exec_lo
	s_wait_loadcnt 0x0
	v_cmpx_lt_i16_e32 0x7f, v3
	s_xor_b32 s14, exec_lo, s14
	s_cbranch_execz .LBB38_2323
; %bb.2307:
	v_cmp_ne_u16_e32 vcc_lo, 0x80, v3
	s_and_b32 s17, vcc_lo, exec_lo
	s_and_not1_saveexec_b32 s14, s14
	s_cbranch_execnz .LBB38_2324
.LBB38_2308:
	s_or_b32 exec_lo, exec_lo, s14
	v_mov_b32_e32 v4, 0
	s_and_saveexec_b32 s14, s17
	s_cbranch_execz .LBB38_2310
.LBB38_2309:
	v_and_b32_e32 v4, 0xffff, v3
	s_delay_alu instid0(VALU_DEP_1) | instskip(SKIP_1) | instid1(VALU_DEP_2)
	v_and_b32_e32 v5, 7, v4
	v_bfe_u32 v15, v4, 3, 4
	v_clz_i32_u32_e32 v13, v5
	s_delay_alu instid0(VALU_DEP_2) | instskip(NEXT) | instid1(VALU_DEP_2)
	v_cmp_eq_u32_e32 vcc_lo, 0, v15
	v_min_u32_e32 v13, 32, v13
	s_delay_alu instid0(VALU_DEP_1) | instskip(NEXT) | instid1(VALU_DEP_1)
	v_subrev_nc_u32_e32 v14, 28, v13
	v_dual_lshlrev_b32 v4, v14, v4 :: v_dual_sub_nc_u32 v13, 29, v13
	s_delay_alu instid0(VALU_DEP_1) | instskip(NEXT) | instid1(VALU_DEP_1)
	v_dual_lshlrev_b32 v3, 24, v3 :: v_dual_bitop2_b32 v4, 7, v4 bitop3:0x40
	v_dual_cndmask_b32 v13, v15, v13 :: v_dual_cndmask_b32 v4, v5, v4
	s_delay_alu instid0(VALU_DEP_2) | instskip(NEXT) | instid1(VALU_DEP_2)
	v_and_b32_e32 v3, 0x80000000, v3
	v_lshl_add_u32 v5, v13, 23, 0x3b800000
	s_delay_alu instid0(VALU_DEP_3) | instskip(NEXT) | instid1(VALU_DEP_1)
	v_lshlrev_b32_e32 v4, 20, v4
	v_or3_b32 v3, v3, v5, v4
	s_delay_alu instid0(VALU_DEP_1)
	v_cvt_i32_f32_e32 v4, v3
.LBB38_2310:
	s_or_b32 exec_lo, exec_lo, s14
.LBB38_2311:
	s_mov_b32 s14, -1
.LBB38_2312:
	s_mov_b32 s17, 0
.LBB38_2313:
	s_delay_alu instid0(SALU_CYCLE_1)
	s_and_b32 vcc_lo, exec_lo, s17
	s_cbranch_vccz .LBB38_2344
; %bb.2314:
	s_cmp_gt_i32 s6, 22
	s_cbranch_scc0 .LBB38_2322
; %bb.2315:
	s_cmp_lt_i32 s6, 24
	s_cbranch_scc1 .LBB38_2325
; %bb.2316:
	s_cmp_gt_i32 s6, 24
	s_cbranch_scc0 .LBB38_2326
; %bb.2317:
	global_load_u8 v3, v[0:1], off
	s_mov_b32 s14, 0
	s_mov_b32 s9, exec_lo
	s_wait_loadcnt 0x0
	v_cmpx_lt_i16_e32 0x7f, v3
	s_xor_b32 s9, exec_lo, s9
	s_cbranch_execz .LBB38_2338
; %bb.2318:
	v_cmp_ne_u16_e32 vcc_lo, 0x80, v3
	s_and_b32 s14, vcc_lo, exec_lo
	s_and_not1_saveexec_b32 s9, s9
	s_cbranch_execnz .LBB38_2339
.LBB38_2319:
	s_or_b32 exec_lo, exec_lo, s9
	v_mov_b32_e32 v4, 0
	s_and_saveexec_b32 s9, s14
	s_cbranch_execz .LBB38_2321
.LBB38_2320:
	v_and_b32_e32 v4, 0xffff, v3
	s_delay_alu instid0(VALU_DEP_1) | instskip(SKIP_1) | instid1(VALU_DEP_2)
	v_and_b32_e32 v5, 3, v4
	v_bfe_u32 v15, v4, 2, 5
	v_clz_i32_u32_e32 v13, v5
	s_delay_alu instid0(VALU_DEP_2) | instskip(NEXT) | instid1(VALU_DEP_2)
	v_cmp_eq_u32_e32 vcc_lo, 0, v15
	v_min_u32_e32 v13, 32, v13
	s_delay_alu instid0(VALU_DEP_1) | instskip(NEXT) | instid1(VALU_DEP_1)
	v_subrev_nc_u32_e32 v14, 29, v13
	v_dual_lshlrev_b32 v4, v14, v4 :: v_dual_sub_nc_u32 v13, 30, v13
	s_delay_alu instid0(VALU_DEP_1) | instskip(NEXT) | instid1(VALU_DEP_1)
	v_dual_lshlrev_b32 v3, 24, v3 :: v_dual_bitop2_b32 v4, 3, v4 bitop3:0x40
	v_dual_cndmask_b32 v13, v15, v13 :: v_dual_cndmask_b32 v4, v5, v4
	s_delay_alu instid0(VALU_DEP_2) | instskip(NEXT) | instid1(VALU_DEP_2)
	v_and_b32_e32 v3, 0x80000000, v3
	v_lshl_add_u32 v5, v13, 23, 0x37800000
	s_delay_alu instid0(VALU_DEP_3) | instskip(NEXT) | instid1(VALU_DEP_1)
	v_lshlrev_b32_e32 v4, 21, v4
	v_or3_b32 v3, v3, v5, v4
	s_delay_alu instid0(VALU_DEP_1)
	v_cvt_i32_f32_e32 v4, v3
.LBB38_2321:
	s_or_b32 exec_lo, exec_lo, s9
	s_mov_b32 s9, 0
	s_branch .LBB38_2327
.LBB38_2322:
	s_mov_b32 s9, -1
                                        ; implicit-def: $vgpr4
	s_branch .LBB38_2333
.LBB38_2323:
	s_and_not1_saveexec_b32 s14, s14
	s_cbranch_execz .LBB38_2308
.LBB38_2324:
	v_cmp_ne_u16_e32 vcc_lo, 0, v3
	s_and_not1_b32 s17, s17, exec_lo
	s_and_b32 s18, vcc_lo, exec_lo
	s_delay_alu instid0(SALU_CYCLE_1)
	s_or_b32 s17, s17, s18
	s_or_b32 exec_lo, exec_lo, s14
	v_mov_b32_e32 v4, 0
	s_and_saveexec_b32 s14, s17
	s_cbranch_execnz .LBB38_2309
	s_branch .LBB38_2310
.LBB38_2325:
	s_mov_b32 s9, -1
                                        ; implicit-def: $vgpr4
	s_branch .LBB38_2330
.LBB38_2326:
	s_mov_b32 s9, -1
                                        ; implicit-def: $vgpr4
.LBB38_2327:
	s_delay_alu instid0(SALU_CYCLE_1)
	s_and_b32 vcc_lo, exec_lo, s9
	s_cbranch_vccz .LBB38_2329
; %bb.2328:
	global_load_u8 v3, v[0:1], off
	s_wait_loadcnt 0x0
	v_lshlrev_b32_e32 v3, 24, v3
	s_wait_xcnt 0x1
	s_delay_alu instid0(VALU_DEP_1) | instskip(NEXT) | instid1(VALU_DEP_1)
	v_and_b32_e32 v4, 0x7f000000, v3
	v_clz_i32_u32_e32 v5, v4
	v_add_nc_u32_e32 v14, 0x1000000, v4
	v_cmp_ne_u32_e32 vcc_lo, 0, v4
	s_delay_alu instid0(VALU_DEP_3) | instskip(NEXT) | instid1(VALU_DEP_1)
	v_min_u32_e32 v5, 32, v5
	v_sub_nc_u32_e64 v5, v5, 4 clamp
	s_delay_alu instid0(VALU_DEP_1) | instskip(NEXT) | instid1(VALU_DEP_1)
	v_dual_lshlrev_b32 v13, v5, v4 :: v_dual_lshlrev_b32 v5, 23, v5
	v_lshrrev_b32_e32 v13, 4, v13
	s_delay_alu instid0(VALU_DEP_1) | instskip(NEXT) | instid1(VALU_DEP_1)
	v_dual_sub_nc_u32 v5, v13, v5 :: v_dual_ashrrev_i32 v13, 8, v14
	v_add_nc_u32_e32 v5, 0x3c000000, v5
	s_delay_alu instid0(VALU_DEP_1) | instskip(NEXT) | instid1(VALU_DEP_1)
	v_and_or_b32 v5, 0x7f800000, v13, v5
	v_cndmask_b32_e32 v4, 0, v5, vcc_lo
	s_delay_alu instid0(VALU_DEP_1) | instskip(NEXT) | instid1(VALU_DEP_1)
	v_and_or_b32 v3, 0x80000000, v3, v4
	v_cvt_i32_f32_e32 v4, v3
.LBB38_2329:
	s_mov_b32 s9, 0
.LBB38_2330:
	s_delay_alu instid0(SALU_CYCLE_1)
	s_and_not1_b32 vcc_lo, exec_lo, s9
	s_cbranch_vccnz .LBB38_2332
; %bb.2331:
	global_load_u8 v3, v[0:1], off
	s_wait_loadcnt 0x0
	s_wait_xcnt 0x1
	v_lshlrev_b32_e32 v4, 25, v3
	v_lshlrev_b16 v3, 8, v3
	s_delay_alu instid0(VALU_DEP_1) | instskip(SKIP_1) | instid1(VALU_DEP_2)
	v_and_or_b32 v13, 0x7f00, v3, 0.5
	v_bfe_i32 v3, v3, 0, 16
	v_dual_add_f32 v13, -0.5, v13 :: v_dual_lshrrev_b32 v5, 4, v4
	v_cmp_gt_u32_e32 vcc_lo, 0x8000000, v4
	s_delay_alu instid0(VALU_DEP_2) | instskip(NEXT) | instid1(VALU_DEP_1)
	v_or_b32_e32 v5, 0x70000000, v5
	v_mul_f32_e32 v5, 0x7800000, v5
	s_delay_alu instid0(VALU_DEP_1) | instskip(NEXT) | instid1(VALU_DEP_1)
	v_cndmask_b32_e32 v4, v5, v13, vcc_lo
	v_and_or_b32 v3, 0x80000000, v3, v4
	s_delay_alu instid0(VALU_DEP_1)
	v_cvt_i32_f32_e32 v4, v3
.LBB38_2332:
	s_mov_b32 s9, 0
	s_mov_b32 s14, -1
.LBB38_2333:
	s_and_not1_b32 vcc_lo, exec_lo, s9
	s_mov_b32 s9, 0
	s_cbranch_vccnz .LBB38_2344
; %bb.2334:
	s_cmp_gt_i32 s6, 14
	s_cbranch_scc0 .LBB38_2337
; %bb.2335:
	s_cmp_eq_u32 s6, 15
	s_cbranch_scc0 .LBB38_2340
; %bb.2336:
	global_load_u16 v3, v[0:1], off
	s_mov_b32 s7, 0
	s_mov_b32 s14, -1
	s_wait_loadcnt 0x0
	v_lshlrev_b32_e32 v3, 16, v3
	s_wait_xcnt 0x1
	s_delay_alu instid0(VALU_DEP_1)
	v_cvt_i32_f32_e32 v4, v3
	s_branch .LBB38_2342
.LBB38_2337:
	s_mov_b32 s9, -1
	s_branch .LBB38_2341
.LBB38_2338:
	s_and_not1_saveexec_b32 s9, s9
	s_cbranch_execz .LBB38_2319
.LBB38_2339:
	v_cmp_ne_u16_e32 vcc_lo, 0, v3
	s_and_not1_b32 s14, s14, exec_lo
	s_and_b32 s17, vcc_lo, exec_lo
	s_delay_alu instid0(SALU_CYCLE_1)
	s_or_b32 s14, s14, s17
	s_or_b32 exec_lo, exec_lo, s9
	v_mov_b32_e32 v4, 0
	s_and_saveexec_b32 s9, s14
	s_cbranch_execnz .LBB38_2320
	s_branch .LBB38_2321
.LBB38_2340:
	s_mov_b32 s7, -1
.LBB38_2341:
                                        ; implicit-def: $vgpr4
.LBB38_2342:
	s_and_b32 vcc_lo, exec_lo, s9
	s_mov_b32 s9, 0
	s_cbranch_vccz .LBB38_2344
; %bb.2343:
	s_cmp_lg_u32 s6, 11
	s_mov_b32 s9, -1
	s_cselect_b32 s7, -1, 0
.LBB38_2344:
	s_delay_alu instid0(SALU_CYCLE_1)
	s_and_b32 vcc_lo, exec_lo, s7
	s_cbranch_vccnz .LBB38_2409
; %bb.2345:
	s_and_not1_b32 vcc_lo, exec_lo, s9
	s_cbranch_vccnz .LBB38_2347
.LBB38_2346:
	global_load_u8 v3, v[0:1], off
	s_mov_b32 s14, -1
	s_wait_loadcnt 0x0
	v_cmp_ne_u16_e32 vcc_lo, 0, v3
	s_wait_xcnt 0x1
	v_cndmask_b32_e64 v4, 0, 1, vcc_lo
.LBB38_2347:
	s_mov_b32 s6, 0
.LBB38_2348:
	s_delay_alu instid0(SALU_CYCLE_1)
	s_and_b32 vcc_lo, exec_lo, s6
	s_cbranch_vccz .LBB38_2397
; %bb.2349:
	s_and_b32 s0, 0xffff, s0
	s_delay_alu instid0(SALU_CYCLE_1)
	s_cmp_lt_i32 s0, 5
	s_cbranch_scc1 .LBB38_2354
; %bb.2350:
	s_cmp_lt_i32 s0, 8
	s_cbranch_scc1 .LBB38_2355
; %bb.2351:
	;; [unrolled: 3-line block ×3, first 2 shown]
	s_cmp_gt_i32 s0, 9
	s_cbranch_scc0 .LBB38_2357
; %bb.2353:
	s_wait_loadcnt 0x0
	global_load_b64 v[4:5], v[0:1], off
	s_mov_b32 s6, 0
	s_wait_loadcnt 0x0
	v_cvt_i32_f64_e32 v4, v[4:5]
	s_branch .LBB38_2358
.LBB38_2354:
	s_mov_b32 s6, -1
                                        ; implicit-def: $vgpr4
	s_branch .LBB38_2376
.LBB38_2355:
	s_mov_b32 s6, -1
                                        ; implicit-def: $vgpr4
	s_branch .LBB38_2364
.LBB38_2356:
	s_mov_b32 s6, -1
                                        ; implicit-def: $vgpr4
	s_branch .LBB38_2361
.LBB38_2357:
	s_mov_b32 s6, -1
                                        ; implicit-def: $vgpr4
.LBB38_2358:
	s_delay_alu instid0(SALU_CYCLE_1)
	s_and_not1_b32 vcc_lo, exec_lo, s6
	s_cbranch_vccnz .LBB38_2360
; %bb.2359:
	global_load_b32 v3, v[0:1], off
	s_wait_loadcnt 0x0
	s_wait_xcnt 0x1
	v_cvt_i32_f32_e32 v4, v3
.LBB38_2360:
	s_mov_b32 s6, 0
.LBB38_2361:
	s_delay_alu instid0(SALU_CYCLE_1)
	s_and_not1_b32 vcc_lo, exec_lo, s6
	s_cbranch_vccnz .LBB38_2363
; %bb.2362:
	global_load_b32 v3, v[0:1], off
	s_wait_loadcnt 0x0
	v_cvt_f32_f16_e32 v3, v3
	s_wait_xcnt 0x1
	s_delay_alu instid0(VALU_DEP_1)
	v_cvt_i32_f32_e32 v4, v3
.LBB38_2363:
	s_mov_b32 s6, 0
.LBB38_2364:
	s_delay_alu instid0(SALU_CYCLE_1)
	s_and_not1_b32 vcc_lo, exec_lo, s6
	s_cbranch_vccnz .LBB38_2375
; %bb.2365:
	s_cmp_lt_i32 s0, 6
	s_cbranch_scc1 .LBB38_2368
; %bb.2366:
	s_cmp_gt_i32 s0, 6
	s_cbranch_scc0 .LBB38_2369
; %bb.2367:
	s_wait_loadcnt 0x0
	global_load_b64 v[4:5], v[0:1], off
	s_mov_b32 s6, 0
	s_wait_loadcnt 0x0
	v_cvt_i32_f64_e32 v4, v[4:5]
	s_branch .LBB38_2370
.LBB38_2368:
	s_mov_b32 s6, -1
                                        ; implicit-def: $vgpr4
	s_branch .LBB38_2373
.LBB38_2369:
	s_mov_b32 s6, -1
                                        ; implicit-def: $vgpr4
.LBB38_2370:
	s_delay_alu instid0(SALU_CYCLE_1)
	s_and_not1_b32 vcc_lo, exec_lo, s6
	s_cbranch_vccnz .LBB38_2372
; %bb.2371:
	global_load_b32 v3, v[0:1], off
	s_wait_loadcnt 0x0
	s_wait_xcnt 0x1
	v_cvt_i32_f32_e32 v4, v3
.LBB38_2372:
	s_mov_b32 s6, 0
.LBB38_2373:
	s_delay_alu instid0(SALU_CYCLE_1)
	s_and_not1_b32 vcc_lo, exec_lo, s6
	s_cbranch_vccnz .LBB38_2375
; %bb.2374:
	global_load_u16 v3, v[0:1], off
	s_wait_loadcnt 0x0
	v_cvt_f32_f16_e32 v3, v3
	s_wait_xcnt 0x1
	s_delay_alu instid0(VALU_DEP_1)
	v_cvt_i32_f32_e32 v4, v3
.LBB38_2375:
	s_mov_b32 s6, 0
.LBB38_2376:
	s_delay_alu instid0(SALU_CYCLE_1)
	s_and_not1_b32 vcc_lo, exec_lo, s6
	s_cbranch_vccnz .LBB38_2396
; %bb.2377:
	s_cmp_lt_i32 s0, 2
	s_cbranch_scc1 .LBB38_2381
; %bb.2378:
	s_cmp_lt_i32 s0, 3
	s_cbranch_scc1 .LBB38_2382
; %bb.2379:
	s_cmp_gt_i32 s0, 3
	s_cbranch_scc0 .LBB38_2383
; %bb.2380:
	s_wait_loadcnt 0x0
	global_load_b32 v4, v[0:1], off
	s_mov_b32 s6, 0
	s_branch .LBB38_2384
.LBB38_2381:
	s_mov_b32 s6, -1
                                        ; implicit-def: $vgpr4
	s_branch .LBB38_2390
.LBB38_2382:
	s_mov_b32 s6, -1
                                        ; implicit-def: $vgpr4
	s_branch .LBB38_2387
.LBB38_2383:
	s_mov_b32 s6, -1
                                        ; implicit-def: $vgpr4
.LBB38_2384:
	s_delay_alu instid0(SALU_CYCLE_1)
	s_and_not1_b32 vcc_lo, exec_lo, s6
	s_cbranch_vccnz .LBB38_2386
; %bb.2385:
	s_wait_loadcnt 0x0
	global_load_b32 v4, v[0:1], off
.LBB38_2386:
	s_mov_b32 s6, 0
.LBB38_2387:
	s_delay_alu instid0(SALU_CYCLE_1)
	s_and_not1_b32 vcc_lo, exec_lo, s6
	s_cbranch_vccnz .LBB38_2389
; %bb.2388:
	s_wait_loadcnt 0x0
	global_load_i16 v4, v[0:1], off
.LBB38_2389:
	s_mov_b32 s6, 0
.LBB38_2390:
	s_delay_alu instid0(SALU_CYCLE_1)
	s_and_not1_b32 vcc_lo, exec_lo, s6
	s_cbranch_vccnz .LBB38_2396
; %bb.2391:
	s_cmp_gt_i32 s0, 0
	s_mov_b32 s0, 0
	s_cbranch_scc0 .LBB38_2393
; %bb.2392:
	s_wait_loadcnt 0x0
	global_load_i8 v4, v[0:1], off
	s_branch .LBB38_2394
.LBB38_2393:
	s_mov_b32 s0, -1
                                        ; implicit-def: $vgpr4
.LBB38_2394:
	s_delay_alu instid0(SALU_CYCLE_1)
	s_and_not1_b32 vcc_lo, exec_lo, s0
	s_cbranch_vccnz .LBB38_2396
; %bb.2395:
	s_wait_loadcnt 0x0
	global_load_u8 v4, v[0:1], off
.LBB38_2396:
	s_mov_b32 s14, -1
.LBB38_2397:
	s_delay_alu instid0(SALU_CYCLE_1)
	s_and_not1_b32 vcc_lo, exec_lo, s14
	s_cbranch_vccnz .LBB38_2957
; %bb.2398:
	s_wait_xcnt 0x0
	v_add_nc_u32_e32 v0, s10, v2
	s_cmp_lt_i32 s1, 11
	s_delay_alu instid0(VALU_DEP_1) | instskip(NEXT) | instid1(VALU_DEP_1)
	v_ashrrev_i32_e32 v1, 31, v0
	v_add_nc_u64_e32 v[0:1], s[2:3], v[0:1]
	s_cbranch_scc1 .LBB38_2405
; %bb.2399:
	s_and_b32 s0, 0xffff, s1
	s_mov_b32 s3, 0
	s_cmp_gt_i32 s0, 25
	s_cbranch_scc0 .LBB38_2406
; %bb.2400:
	s_cmp_gt_i32 s0, 28
	s_cbranch_scc0 .LBB38_2407
; %bb.2401:
	;; [unrolled: 3-line block ×4, first 2 shown]
	s_cmp_eq_u32 s0, 46
	s_mov_b32 s7, 0
	s_cbranch_scc0 .LBB38_2411
; %bb.2404:
	global_load_b32 v2, v[0:1], off
	s_mov_b32 s2, 0
	s_mov_b32 s6, -1
	s_wait_loadcnt 0x0
	v_lshlrev_b32_e32 v2, 16, v2
	s_delay_alu instid0(VALU_DEP_1)
	v_cvt_i32_f32_e32 v5, v2
	s_branch .LBB38_2413
.LBB38_2405:
	s_mov_b32 s0, -1
	s_mov_b32 s6, 0
                                        ; implicit-def: $vgpr5
	s_branch .LBB38_2475
.LBB38_2406:
	s_mov_b32 s7, -1
	s_mov_b32 s6, 0
	s_mov_b32 s2, 0
                                        ; implicit-def: $vgpr5
	s_branch .LBB38_2440
.LBB38_2407:
	s_mov_b32 s7, -1
	s_mov_b32 s6, 0
	s_mov_b32 s2, 0
                                        ; implicit-def: $vgpr5
	s_branch .LBB38_2423
.LBB38_2408:
	s_mov_b32 s7, -1
	s_mov_b32 s6, 0
	s_mov_b32 s2, 0
                                        ; implicit-def: $vgpr5
	s_branch .LBB38_2418
.LBB38_2409:
	s_or_b32 s13, s13, exec_lo
	s_trap 2
	s_cbranch_execz .LBB38_2346
	s_branch .LBB38_2347
.LBB38_2410:
	s_mov_b32 s7, -1
	s_mov_b32 s6, 0
	s_mov_b32 s2, 0
	s_branch .LBB38_2412
.LBB38_2411:
	s_mov_b32 s2, -1
	s_mov_b32 s6, 0
.LBB38_2412:
                                        ; implicit-def: $vgpr5
.LBB38_2413:
	s_and_b32 vcc_lo, exec_lo, s7
	s_cbranch_vccz .LBB38_2417
; %bb.2414:
	s_cmp_eq_u32 s0, 44
	s_cbranch_scc0 .LBB38_2416
; %bb.2415:
	global_load_u8 v2, v[0:1], off
	s_mov_b32 s2, 0
	s_mov_b32 s6, -1
	s_wait_loadcnt 0x0
	v_lshlrev_b32_e32 v3, 23, v2
	v_cmp_ne_u32_e32 vcc_lo, 0, v2
	s_delay_alu instid0(VALU_DEP_2) | instskip(NEXT) | instid1(VALU_DEP_1)
	v_cvt_i32_f32_e32 v3, v3
	v_cndmask_b32_e32 v5, 0, v3, vcc_lo
	s_branch .LBB38_2417
.LBB38_2416:
	s_mov_b32 s2, -1
                                        ; implicit-def: $vgpr5
.LBB38_2417:
	s_mov_b32 s7, 0
.LBB38_2418:
	s_delay_alu instid0(SALU_CYCLE_1)
	s_and_b32 vcc_lo, exec_lo, s7
	s_cbranch_vccz .LBB38_2422
; %bb.2419:
	s_cmp_eq_u32 s0, 29
	s_cbranch_scc0 .LBB38_2421
; %bb.2420:
	global_load_b32 v5, v[0:1], off
	s_mov_b32 s2, 0
	s_mov_b32 s6, -1
	s_branch .LBB38_2422
.LBB38_2421:
	s_mov_b32 s2, -1
                                        ; implicit-def: $vgpr5
.LBB38_2422:
	s_mov_b32 s7, 0
.LBB38_2423:
	s_delay_alu instid0(SALU_CYCLE_1)
	s_and_b32 vcc_lo, exec_lo, s7
	s_cbranch_vccz .LBB38_2439
; %bb.2424:
	s_cmp_lt_i32 s0, 27
	s_cbranch_scc1 .LBB38_2427
; %bb.2425:
	s_cmp_gt_i32 s0, 27
	s_cbranch_scc0 .LBB38_2428
; %bb.2426:
	s_wait_loadcnt 0x0
	global_load_b32 v5, v[0:1], off
	s_mov_b32 s6, 0
	s_branch .LBB38_2429
.LBB38_2427:
	s_mov_b32 s6, -1
                                        ; implicit-def: $vgpr5
	s_branch .LBB38_2432
.LBB38_2428:
	s_mov_b32 s6, -1
                                        ; implicit-def: $vgpr5
.LBB38_2429:
	s_delay_alu instid0(SALU_CYCLE_1)
	s_and_not1_b32 vcc_lo, exec_lo, s6
	s_cbranch_vccnz .LBB38_2431
; %bb.2430:
	s_wait_loadcnt 0x0
	global_load_u16 v5, v[0:1], off
.LBB38_2431:
	s_mov_b32 s6, 0
.LBB38_2432:
	s_delay_alu instid0(SALU_CYCLE_1)
	s_and_not1_b32 vcc_lo, exec_lo, s6
	s_cbranch_vccnz .LBB38_2438
; %bb.2433:
	global_load_u8 v2, v[0:1], off
	s_mov_b32 s7, 0
	s_mov_b32 s6, exec_lo
	s_wait_loadcnt 0x0
	v_cmpx_lt_i16_e32 0x7f, v2
	s_xor_b32 s6, exec_lo, s6
	s_cbranch_execz .LBB38_2450
; %bb.2434:
	v_cmp_ne_u16_e32 vcc_lo, 0x80, v2
	s_and_b32 s7, vcc_lo, exec_lo
	s_and_not1_saveexec_b32 s6, s6
	s_cbranch_execnz .LBB38_2451
.LBB38_2435:
	s_or_b32 exec_lo, exec_lo, s6
	v_mov_b32_e32 v5, 0
	s_and_saveexec_b32 s6, s7
	s_cbranch_execz .LBB38_2437
.LBB38_2436:
	v_and_b32_e32 v3, 0xffff, v2
	s_delay_alu instid0(VALU_DEP_1) | instskip(SKIP_1) | instid1(VALU_DEP_2)
	v_and_b32_e32 v5, 7, v3
	v_bfe_u32 v15, v3, 3, 4
	v_clz_i32_u32_e32 v13, v5
	s_delay_alu instid0(VALU_DEP_2) | instskip(NEXT) | instid1(VALU_DEP_2)
	v_cmp_eq_u32_e32 vcc_lo, 0, v15
	v_min_u32_e32 v13, 32, v13
	s_delay_alu instid0(VALU_DEP_1) | instskip(NEXT) | instid1(VALU_DEP_1)
	v_subrev_nc_u32_e32 v14, 28, v13
	v_dual_lshlrev_b32 v3, v14, v3 :: v_dual_sub_nc_u32 v13, 29, v13
	s_delay_alu instid0(VALU_DEP_1) | instskip(NEXT) | instid1(VALU_DEP_1)
	v_dual_lshlrev_b32 v2, 24, v2 :: v_dual_bitop2_b32 v3, 7, v3 bitop3:0x40
	v_dual_cndmask_b32 v13, v15, v13, vcc_lo :: v_dual_cndmask_b32 v3, v5, v3, vcc_lo
	s_delay_alu instid0(VALU_DEP_2) | instskip(NEXT) | instid1(VALU_DEP_2)
	v_and_b32_e32 v2, 0x80000000, v2
	v_lshl_add_u32 v5, v13, 23, 0x3b800000
	s_delay_alu instid0(VALU_DEP_3) | instskip(NEXT) | instid1(VALU_DEP_1)
	v_lshlrev_b32_e32 v3, 20, v3
	v_or3_b32 v2, v2, v5, v3
	s_delay_alu instid0(VALU_DEP_1)
	v_cvt_i32_f32_e32 v5, v2
.LBB38_2437:
	s_or_b32 exec_lo, exec_lo, s6
.LBB38_2438:
	s_mov_b32 s6, -1
.LBB38_2439:
	s_mov_b32 s7, 0
.LBB38_2440:
	s_delay_alu instid0(SALU_CYCLE_1)
	s_and_b32 vcc_lo, exec_lo, s7
	s_cbranch_vccz .LBB38_2471
; %bb.2441:
	s_cmp_gt_i32 s0, 22
	s_cbranch_scc0 .LBB38_2449
; %bb.2442:
	s_cmp_lt_i32 s0, 24
	s_cbranch_scc1 .LBB38_2452
; %bb.2443:
	s_cmp_gt_i32 s0, 24
	s_cbranch_scc0 .LBB38_2453
; %bb.2444:
	global_load_u8 v2, v[0:1], off
	s_mov_b32 s6, 0
	s_mov_b32 s3, exec_lo
	s_wait_loadcnt 0x0
	v_cmpx_lt_i16_e32 0x7f, v2
	s_xor_b32 s3, exec_lo, s3
	s_cbranch_execz .LBB38_2465
; %bb.2445:
	v_cmp_ne_u16_e32 vcc_lo, 0x80, v2
	s_and_b32 s6, vcc_lo, exec_lo
	s_and_not1_saveexec_b32 s3, s3
	s_cbranch_execnz .LBB38_2466
.LBB38_2446:
	s_or_b32 exec_lo, exec_lo, s3
	v_mov_b32_e32 v5, 0
	s_and_saveexec_b32 s3, s6
	s_cbranch_execz .LBB38_2448
.LBB38_2447:
	v_and_b32_e32 v3, 0xffff, v2
	s_delay_alu instid0(VALU_DEP_1) | instskip(SKIP_1) | instid1(VALU_DEP_2)
	v_and_b32_e32 v5, 3, v3
	v_bfe_u32 v15, v3, 2, 5
	v_clz_i32_u32_e32 v13, v5
	s_delay_alu instid0(VALU_DEP_2) | instskip(NEXT) | instid1(VALU_DEP_2)
	v_cmp_eq_u32_e32 vcc_lo, 0, v15
	v_min_u32_e32 v13, 32, v13
	s_delay_alu instid0(VALU_DEP_1) | instskip(NEXT) | instid1(VALU_DEP_1)
	v_subrev_nc_u32_e32 v14, 29, v13
	v_dual_lshlrev_b32 v3, v14, v3 :: v_dual_sub_nc_u32 v13, 30, v13
	s_delay_alu instid0(VALU_DEP_1) | instskip(NEXT) | instid1(VALU_DEP_1)
	v_dual_lshlrev_b32 v2, 24, v2 :: v_dual_bitop2_b32 v3, 3, v3 bitop3:0x40
	v_dual_cndmask_b32 v13, v15, v13, vcc_lo :: v_dual_cndmask_b32 v3, v5, v3, vcc_lo
	s_delay_alu instid0(VALU_DEP_2) | instskip(NEXT) | instid1(VALU_DEP_2)
	v_and_b32_e32 v2, 0x80000000, v2
	v_lshl_add_u32 v5, v13, 23, 0x37800000
	s_delay_alu instid0(VALU_DEP_3) | instskip(NEXT) | instid1(VALU_DEP_1)
	v_lshlrev_b32_e32 v3, 21, v3
	v_or3_b32 v2, v2, v5, v3
	s_delay_alu instid0(VALU_DEP_1)
	v_cvt_i32_f32_e32 v5, v2
.LBB38_2448:
	s_or_b32 exec_lo, exec_lo, s3
	s_mov_b32 s3, 0
	s_branch .LBB38_2454
.LBB38_2449:
	s_mov_b32 s3, -1
                                        ; implicit-def: $vgpr5
	s_branch .LBB38_2460
.LBB38_2450:
	s_and_not1_saveexec_b32 s6, s6
	s_cbranch_execz .LBB38_2435
.LBB38_2451:
	v_cmp_ne_u16_e32 vcc_lo, 0, v2
	s_and_not1_b32 s7, s7, exec_lo
	s_and_b32 s9, vcc_lo, exec_lo
	s_delay_alu instid0(SALU_CYCLE_1)
	s_or_b32 s7, s7, s9
	s_or_b32 exec_lo, exec_lo, s6
	v_mov_b32_e32 v5, 0
	s_and_saveexec_b32 s6, s7
	s_cbranch_execnz .LBB38_2436
	s_branch .LBB38_2437
.LBB38_2452:
	s_mov_b32 s3, -1
                                        ; implicit-def: $vgpr5
	s_branch .LBB38_2457
.LBB38_2453:
	s_mov_b32 s3, -1
                                        ; implicit-def: $vgpr5
.LBB38_2454:
	s_delay_alu instid0(SALU_CYCLE_1)
	s_and_b32 vcc_lo, exec_lo, s3
	s_cbranch_vccz .LBB38_2456
; %bb.2455:
	global_load_u8 v2, v[0:1], off
	s_wait_loadcnt 0x0
	v_lshlrev_b32_e32 v2, 24, v2
	s_delay_alu instid0(VALU_DEP_1) | instskip(NEXT) | instid1(VALU_DEP_1)
	v_and_b32_e32 v3, 0x7f000000, v2
	v_clz_i32_u32_e32 v5, v3
	v_cmp_ne_u32_e32 vcc_lo, 0, v3
	v_add_nc_u32_e32 v14, 0x1000000, v3
	s_delay_alu instid0(VALU_DEP_3) | instskip(NEXT) | instid1(VALU_DEP_1)
	v_min_u32_e32 v5, 32, v5
	v_sub_nc_u32_e64 v5, v5, 4 clamp
	s_delay_alu instid0(VALU_DEP_1) | instskip(NEXT) | instid1(VALU_DEP_1)
	v_dual_lshlrev_b32 v13, v5, v3 :: v_dual_lshlrev_b32 v5, 23, v5
	v_lshrrev_b32_e32 v13, 4, v13
	s_delay_alu instid0(VALU_DEP_1) | instskip(NEXT) | instid1(VALU_DEP_1)
	v_dual_sub_nc_u32 v5, v13, v5 :: v_dual_ashrrev_i32 v13, 8, v14
	v_add_nc_u32_e32 v5, 0x3c000000, v5
	s_delay_alu instid0(VALU_DEP_1) | instskip(NEXT) | instid1(VALU_DEP_1)
	v_and_or_b32 v5, 0x7f800000, v13, v5
	v_cndmask_b32_e32 v3, 0, v5, vcc_lo
	s_delay_alu instid0(VALU_DEP_1) | instskip(NEXT) | instid1(VALU_DEP_1)
	v_and_or_b32 v2, 0x80000000, v2, v3
	v_cvt_i32_f32_e32 v5, v2
.LBB38_2456:
	s_mov_b32 s3, 0
.LBB38_2457:
	s_delay_alu instid0(SALU_CYCLE_1)
	s_and_not1_b32 vcc_lo, exec_lo, s3
	s_cbranch_vccnz .LBB38_2459
; %bb.2458:
	global_load_u8 v2, v[0:1], off
	s_wait_loadcnt 0x0
	v_lshlrev_b32_e32 v3, 25, v2
	v_lshlrev_b16 v2, 8, v2
	s_delay_alu instid0(VALU_DEP_1) | instskip(SKIP_1) | instid1(VALU_DEP_2)
	v_and_or_b32 v13, 0x7f00, v2, 0.5
	v_bfe_i32 v2, v2, 0, 16
	v_dual_add_f32 v13, -0.5, v13 :: v_dual_lshrrev_b32 v5, 4, v3
	v_cmp_gt_u32_e32 vcc_lo, 0x8000000, v3
	s_delay_alu instid0(VALU_DEP_2) | instskip(NEXT) | instid1(VALU_DEP_1)
	v_or_b32_e32 v5, 0x70000000, v5
	v_mul_f32_e32 v5, 0x7800000, v5
	s_delay_alu instid0(VALU_DEP_1) | instskip(NEXT) | instid1(VALU_DEP_1)
	v_cndmask_b32_e32 v3, v5, v13, vcc_lo
	v_and_or_b32 v2, 0x80000000, v2, v3
	s_delay_alu instid0(VALU_DEP_1)
	v_cvt_i32_f32_e32 v5, v2
.LBB38_2459:
	s_mov_b32 s3, 0
	s_mov_b32 s6, -1
.LBB38_2460:
	s_and_not1_b32 vcc_lo, exec_lo, s3
	s_mov_b32 s3, 0
	s_cbranch_vccnz .LBB38_2471
; %bb.2461:
	s_cmp_gt_i32 s0, 14
	s_cbranch_scc0 .LBB38_2464
; %bb.2462:
	s_cmp_eq_u32 s0, 15
	s_cbranch_scc0 .LBB38_2467
; %bb.2463:
	global_load_u16 v2, v[0:1], off
	s_mov_b32 s2, 0
	s_mov_b32 s6, -1
	s_wait_loadcnt 0x0
	v_lshlrev_b32_e32 v2, 16, v2
	s_delay_alu instid0(VALU_DEP_1)
	v_cvt_i32_f32_e32 v5, v2
	s_branch .LBB38_2469
.LBB38_2464:
	s_mov_b32 s3, -1
	s_branch .LBB38_2468
.LBB38_2465:
	s_and_not1_saveexec_b32 s3, s3
	s_cbranch_execz .LBB38_2446
.LBB38_2466:
	v_cmp_ne_u16_e32 vcc_lo, 0, v2
	s_and_not1_b32 s6, s6, exec_lo
	s_and_b32 s7, vcc_lo, exec_lo
	s_delay_alu instid0(SALU_CYCLE_1)
	s_or_b32 s6, s6, s7
	s_or_b32 exec_lo, exec_lo, s3
	v_mov_b32_e32 v5, 0
	s_and_saveexec_b32 s3, s6
	s_cbranch_execnz .LBB38_2447
	s_branch .LBB38_2448
.LBB38_2467:
	s_mov_b32 s2, -1
.LBB38_2468:
                                        ; implicit-def: $vgpr5
.LBB38_2469:
	s_and_b32 vcc_lo, exec_lo, s3
	s_mov_b32 s3, 0
	s_cbranch_vccz .LBB38_2471
; %bb.2470:
	s_cmp_lg_u32 s0, 11
	s_mov_b32 s3, -1
	s_cselect_b32 s2, -1, 0
.LBB38_2471:
	s_delay_alu instid0(SALU_CYCLE_1)
	s_and_b32 vcc_lo, exec_lo, s2
	s_cbranch_vccnz .LBB38_3003
; %bb.2472:
	s_and_not1_b32 vcc_lo, exec_lo, s3
	s_cbranch_vccnz .LBB38_2474
.LBB38_2473:
	global_load_u8 v2, v[0:1], off
	s_mov_b32 s6, -1
	s_wait_loadcnt 0x0
	v_cmp_ne_u16_e32 vcc_lo, 0, v2
	v_cndmask_b32_e64 v5, 0, 1, vcc_lo
.LBB38_2474:
	s_mov_b32 s0, 0
.LBB38_2475:
	s_delay_alu instid0(SALU_CYCLE_1)
	s_and_b32 vcc_lo, exec_lo, s0
	s_cbranch_vccz .LBB38_2524
; %bb.2476:
	s_and_b32 s0, 0xffff, s1
	s_delay_alu instid0(SALU_CYCLE_1)
	s_cmp_lt_i32 s0, 5
	s_cbranch_scc1 .LBB38_2481
; %bb.2477:
	s_cmp_lt_i32 s0, 8
	s_cbranch_scc1 .LBB38_2482
; %bb.2478:
	s_cmp_lt_i32 s0, 9
	s_cbranch_scc1 .LBB38_2483
; %bb.2479:
	s_cmp_gt_i32 s0, 9
	s_cbranch_scc0 .LBB38_2484
; %bb.2480:
	global_load_b64 v[2:3], v[0:1], off
	s_mov_b32 s1, 0
	s_wait_loadcnt 0x0
	v_cvt_i32_f64_e32 v5, v[2:3]
	s_branch .LBB38_2485
.LBB38_2481:
	s_mov_b32 s1, -1
                                        ; implicit-def: $vgpr5
	s_branch .LBB38_2503
.LBB38_2482:
	s_mov_b32 s1, -1
                                        ; implicit-def: $vgpr5
	s_branch .LBB38_2491
.LBB38_2483:
	s_mov_b32 s1, -1
                                        ; implicit-def: $vgpr5
	s_branch .LBB38_2488
.LBB38_2484:
	s_mov_b32 s1, -1
                                        ; implicit-def: $vgpr5
.LBB38_2485:
	s_delay_alu instid0(SALU_CYCLE_1)
	s_and_not1_b32 vcc_lo, exec_lo, s1
	s_cbranch_vccnz .LBB38_2487
; %bb.2486:
	global_load_b32 v2, v[0:1], off
	s_wait_loadcnt 0x0
	v_cvt_i32_f32_e32 v5, v2
.LBB38_2487:
	s_mov_b32 s1, 0
.LBB38_2488:
	s_delay_alu instid0(SALU_CYCLE_1)
	s_and_not1_b32 vcc_lo, exec_lo, s1
	s_cbranch_vccnz .LBB38_2490
; %bb.2489:
	global_load_b32 v2, v[0:1], off
	s_wait_loadcnt 0x0
	v_cvt_f32_f16_e32 v2, v2
	s_delay_alu instid0(VALU_DEP_1)
	v_cvt_i32_f32_e32 v5, v2
.LBB38_2490:
	s_mov_b32 s1, 0
.LBB38_2491:
	s_delay_alu instid0(SALU_CYCLE_1)
	s_and_not1_b32 vcc_lo, exec_lo, s1
	s_cbranch_vccnz .LBB38_2502
; %bb.2492:
	s_cmp_lt_i32 s0, 6
	s_cbranch_scc1 .LBB38_2495
; %bb.2493:
	s_cmp_gt_i32 s0, 6
	s_cbranch_scc0 .LBB38_2496
; %bb.2494:
	global_load_b64 v[2:3], v[0:1], off
	s_mov_b32 s1, 0
	s_wait_loadcnt 0x0
	v_cvt_i32_f64_e32 v5, v[2:3]
	s_branch .LBB38_2497
.LBB38_2495:
	s_mov_b32 s1, -1
                                        ; implicit-def: $vgpr5
	s_branch .LBB38_2500
.LBB38_2496:
	s_mov_b32 s1, -1
                                        ; implicit-def: $vgpr5
.LBB38_2497:
	s_delay_alu instid0(SALU_CYCLE_1)
	s_and_not1_b32 vcc_lo, exec_lo, s1
	s_cbranch_vccnz .LBB38_2499
; %bb.2498:
	global_load_b32 v2, v[0:1], off
	s_wait_loadcnt 0x0
	v_cvt_i32_f32_e32 v5, v2
.LBB38_2499:
	s_mov_b32 s1, 0
.LBB38_2500:
	s_delay_alu instid0(SALU_CYCLE_1)
	s_and_not1_b32 vcc_lo, exec_lo, s1
	s_cbranch_vccnz .LBB38_2502
; %bb.2501:
	global_load_u16 v2, v[0:1], off
	s_wait_loadcnt 0x0
	v_cvt_f32_f16_e32 v2, v2
	s_delay_alu instid0(VALU_DEP_1)
	v_cvt_i32_f32_e32 v5, v2
.LBB38_2502:
	s_mov_b32 s1, 0
.LBB38_2503:
	s_delay_alu instid0(SALU_CYCLE_1)
	s_and_not1_b32 vcc_lo, exec_lo, s1
	s_cbranch_vccnz .LBB38_2523
; %bb.2504:
	s_cmp_lt_i32 s0, 2
	s_cbranch_scc1 .LBB38_2508
; %bb.2505:
	s_cmp_lt_i32 s0, 3
	s_cbranch_scc1 .LBB38_2509
; %bb.2506:
	s_cmp_gt_i32 s0, 3
	s_cbranch_scc0 .LBB38_2510
; %bb.2507:
	s_wait_loadcnt 0x0
	global_load_b32 v5, v[0:1], off
	s_mov_b32 s1, 0
	s_branch .LBB38_2511
.LBB38_2508:
	s_mov_b32 s1, -1
                                        ; implicit-def: $vgpr5
	s_branch .LBB38_2517
.LBB38_2509:
	s_mov_b32 s1, -1
                                        ; implicit-def: $vgpr5
	s_branch .LBB38_2514
.LBB38_2510:
	s_mov_b32 s1, -1
                                        ; implicit-def: $vgpr5
.LBB38_2511:
	s_delay_alu instid0(SALU_CYCLE_1)
	s_and_not1_b32 vcc_lo, exec_lo, s1
	s_cbranch_vccnz .LBB38_2513
; %bb.2512:
	s_wait_loadcnt 0x0
	global_load_b32 v5, v[0:1], off
.LBB38_2513:
	s_mov_b32 s1, 0
.LBB38_2514:
	s_delay_alu instid0(SALU_CYCLE_1)
	s_and_not1_b32 vcc_lo, exec_lo, s1
	s_cbranch_vccnz .LBB38_2516
; %bb.2515:
	s_wait_loadcnt 0x0
	global_load_i16 v5, v[0:1], off
.LBB38_2516:
	s_mov_b32 s1, 0
.LBB38_2517:
	s_delay_alu instid0(SALU_CYCLE_1)
	s_and_not1_b32 vcc_lo, exec_lo, s1
	s_cbranch_vccnz .LBB38_2523
; %bb.2518:
	s_cmp_gt_i32 s0, 0
	s_mov_b32 s0, 0
	s_cbranch_scc0 .LBB38_2520
; %bb.2519:
	s_wait_loadcnt 0x0
	global_load_i8 v5, v[0:1], off
	s_branch .LBB38_2521
.LBB38_2520:
	s_mov_b32 s0, -1
                                        ; implicit-def: $vgpr5
.LBB38_2521:
	s_delay_alu instid0(SALU_CYCLE_1)
	s_and_not1_b32 vcc_lo, exec_lo, s0
	s_cbranch_vccnz .LBB38_2523
; %bb.2522:
	s_wait_loadcnt 0x0
	global_load_u8 v5, v[0:1], off
.LBB38_2523:
	s_mov_b32 s6, -1
.LBB38_2524:
	s_delay_alu instid0(SALU_CYCLE_1)
	s_and_not1_b32 vcc_lo, exec_lo, s6
	s_cbranch_vccnz .LBB38_2957
; %bb.2525:
	s_wait_xcnt 0x0
	v_mul_lo_u32 v0, s8, v6
	s_wait_loadcnt 0x0
	v_cmp_ne_u32_e32 vcc_lo, v7, v9
	s_cmp_eq_u32 s11, 0
	s_mov_b32 s7, 0
	s_cselect_b32 s1, -1, 0
	s_and_b32 s17, s12, 0xff
	s_xor_b32 s2, s1, vcc_lo
	s_cmp_lt_i32 s17, 11
	s_mov_b32 s0, -1
	s_delay_alu instid0(VALU_DEP_2) | instskip(NEXT) | instid1(VALU_DEP_1)
	v_ashrrev_i32_e32 v1, 31, v0
	v_add_nc_u64_e32 v[2:3], s[4:5], v[0:1]
	s_cbranch_scc1 .LBB38_2604
; %bb.2526:
	s_and_b32 s3, 0xffff, s17
	s_mov_b32 s9, -1
	s_mov_b32 s6, 0
	s_cmp_gt_i32 s3, 25
	s_mov_b32 s0, 0
	s_cbranch_scc0 .LBB38_2559
; %bb.2527:
	s_cmp_gt_i32 s3, 28
	s_cbranch_scc0 .LBB38_2542
; %bb.2528:
	s_cmp_gt_i32 s3, 43
	;; [unrolled: 3-line block ×3, first 2 shown]
	s_cbranch_scc0 .LBB38_2532
; %bb.2530:
	s_mov_b32 s0, -1
	s_mov_b32 s9, 0
	s_cmp_eq_u32 s3, 46
	s_cbranch_scc0 .LBB38_2532
; %bb.2531:
	v_cndmask_b32_e64 v1, 0, 1.0, s2
	s_mov_b32 s0, 0
	s_mov_b32 s7, -1
	s_delay_alu instid0(VALU_DEP_1) | instskip(NEXT) | instid1(VALU_DEP_1)
	v_bfe_u32 v6, v1, 16, 1
	v_add3_u32 v1, v1, v6, 0x7fff
	s_delay_alu instid0(VALU_DEP_1)
	v_lshrrev_b32_e32 v1, 16, v1
	global_store_b32 v[2:3], v1, off
.LBB38_2532:
	s_and_b32 vcc_lo, exec_lo, s9
	s_cbranch_vccz .LBB38_2537
; %bb.2533:
	s_cmp_eq_u32 s3, 44
	s_mov_b32 s0, -1
	s_cbranch_scc0 .LBB38_2537
; %bb.2534:
	v_cndmask_b32_e64 v7, 0, 1.0, s2
	s_mov_b32 s7, exec_lo
	s_wait_xcnt 0x0
	s_delay_alu instid0(VALU_DEP_1) | instskip(NEXT) | instid1(VALU_DEP_1)
	v_dual_mov_b32 v6, 0xff :: v_dual_lshrrev_b32 v1, 23, v7
	v_cmpx_ne_u32_e32 0xff, v1
; %bb.2535:
	v_and_b32_e32 v6, 0x400000, v7
	v_and_or_b32 v7, 0x3fffff, v7, v1
	s_delay_alu instid0(VALU_DEP_2) | instskip(NEXT) | instid1(VALU_DEP_2)
	v_cmp_ne_u32_e32 vcc_lo, 0, v6
	v_cmp_ne_u32_e64 s0, 0, v7
	s_and_b32 s0, vcc_lo, s0
	s_delay_alu instid0(SALU_CYCLE_1) | instskip(NEXT) | instid1(VALU_DEP_1)
	v_cndmask_b32_e64 v6, 0, 1, s0
	v_add_nc_u32_e32 v6, v1, v6
; %bb.2536:
	s_or_b32 exec_lo, exec_lo, s7
	s_mov_b32 s0, 0
	s_mov_b32 s7, -1
	global_store_b8 v[2:3], v6, off
.LBB38_2537:
	s_mov_b32 s9, 0
.LBB38_2538:
	s_delay_alu instid0(SALU_CYCLE_1)
	s_and_b32 vcc_lo, exec_lo, s9
	s_cbranch_vccz .LBB38_2541
; %bb.2539:
	s_cmp_eq_u32 s3, 29
	s_mov_b32 s0, -1
	s_cbranch_scc0 .LBB38_2541
; %bb.2540:
	s_mov_b32 s0, 0
	s_wait_xcnt 0x0
	v_cndmask_b32_e64 v6, 0, 1, s2
	v_mov_b32_e32 v7, s0
	s_mov_b32 s7, -1
	global_store_b64 v[2:3], v[6:7], off
.LBB38_2541:
	s_mov_b32 s9, 0
.LBB38_2542:
	s_delay_alu instid0(SALU_CYCLE_1)
	s_and_b32 vcc_lo, exec_lo, s9
	s_cbranch_vccz .LBB38_2558
; %bb.2543:
	s_cmp_lt_i32 s3, 27
	s_mov_b32 s7, -1
	s_cbranch_scc1 .LBB38_2549
; %bb.2544:
	s_cmp_gt_i32 s3, 27
	s_cbranch_scc0 .LBB38_2546
; %bb.2545:
	s_wait_xcnt 0x0
	v_cndmask_b32_e64 v1, 0, 1, s2
	s_mov_b32 s7, 0
	global_store_b32 v[2:3], v1, off
.LBB38_2546:
	s_and_not1_b32 vcc_lo, exec_lo, s7
	s_cbranch_vccnz .LBB38_2548
; %bb.2547:
	s_wait_xcnt 0x0
	v_cndmask_b32_e64 v1, 0, 1, s2
	global_store_b16 v[2:3], v1, off
.LBB38_2548:
	s_mov_b32 s7, 0
.LBB38_2549:
	s_delay_alu instid0(SALU_CYCLE_1)
	s_and_not1_b32 vcc_lo, exec_lo, s7
	s_cbranch_vccnz .LBB38_2557
; %bb.2550:
	s_wait_xcnt 0x0
	v_cndmask_b32_e64 v6, 0, 1.0, s2
	v_mov_b32_e32 v7, 0x80
	s_mov_b32 s7, exec_lo
	s_delay_alu instid0(VALU_DEP_2)
	v_cmpx_gt_u32_e32 0x43800000, v6
	s_cbranch_execz .LBB38_2556
; %bb.2551:
	s_mov_b32 s9, 0
	s_mov_b32 s10, exec_lo
                                        ; implicit-def: $vgpr1
	v_cmpx_lt_u32_e32 0x3bffffff, v6
	s_xor_b32 s10, exec_lo, s10
	s_cbranch_execz .LBB38_3004
; %bb.2552:
	v_bfe_u32 v1, v6, 20, 1
	s_mov_b32 s9, exec_lo
	s_delay_alu instid0(VALU_DEP_1) | instskip(NEXT) | instid1(VALU_DEP_1)
	v_add3_u32 v1, v6, v1, 0x487ffff
                                        ; implicit-def: $vgpr6
	v_lshrrev_b32_e32 v1, 20, v1
	s_and_not1_saveexec_b32 s10, s10
	s_cbranch_execnz .LBB38_3005
.LBB38_2553:
	s_or_b32 exec_lo, exec_lo, s10
	v_mov_b32_e32 v7, 0
	s_and_saveexec_b32 s10, s9
.LBB38_2554:
	v_mov_b32_e32 v7, v1
.LBB38_2555:
	s_or_b32 exec_lo, exec_lo, s10
.LBB38_2556:
	s_delay_alu instid0(SALU_CYCLE_1)
	s_or_b32 exec_lo, exec_lo, s7
	global_store_b8 v[2:3], v7, off
.LBB38_2557:
	s_mov_b32 s7, -1
.LBB38_2558:
	s_mov_b32 s9, 0
.LBB38_2559:
	s_delay_alu instid0(SALU_CYCLE_1)
	s_and_b32 vcc_lo, exec_lo, s9
	s_cbranch_vccz .LBB38_2599
; %bb.2560:
	s_cmp_gt_i32 s3, 22
	s_mov_b32 s6, -1
	s_cbranch_scc0 .LBB38_2592
; %bb.2561:
	s_cmp_lt_i32 s3, 24
	s_cbranch_scc1 .LBB38_2581
; %bb.2562:
	s_cmp_gt_i32 s3, 24
	s_cbranch_scc0 .LBB38_2570
; %bb.2563:
	s_wait_xcnt 0x0
	v_cndmask_b32_e64 v6, 0, 1.0, s2
	v_mov_b32_e32 v7, 0x80
	s_mov_b32 s6, exec_lo
	s_delay_alu instid0(VALU_DEP_2)
	v_cmpx_gt_u32_e32 0x47800000, v6
	s_cbranch_execz .LBB38_2569
; %bb.2564:
	s_mov_b32 s7, 0
	s_mov_b32 s9, exec_lo
                                        ; implicit-def: $vgpr1
	v_cmpx_lt_u32_e32 0x37ffffff, v6
	s_xor_b32 s9, exec_lo, s9
	s_cbranch_execz .LBB38_3007
; %bb.2565:
	v_bfe_u32 v1, v6, 21, 1
	s_mov_b32 s7, exec_lo
	s_delay_alu instid0(VALU_DEP_1) | instskip(NEXT) | instid1(VALU_DEP_1)
	v_add3_u32 v1, v6, v1, 0x88fffff
                                        ; implicit-def: $vgpr6
	v_lshrrev_b32_e32 v1, 21, v1
	s_and_not1_saveexec_b32 s9, s9
	s_cbranch_execnz .LBB38_3008
.LBB38_2566:
	s_or_b32 exec_lo, exec_lo, s9
	v_mov_b32_e32 v7, 0
	s_and_saveexec_b32 s9, s7
.LBB38_2567:
	v_mov_b32_e32 v7, v1
.LBB38_2568:
	s_or_b32 exec_lo, exec_lo, s9
.LBB38_2569:
	s_delay_alu instid0(SALU_CYCLE_1)
	s_or_b32 exec_lo, exec_lo, s6
	s_mov_b32 s6, 0
	global_store_b8 v[2:3], v7, off
.LBB38_2570:
	s_and_b32 vcc_lo, exec_lo, s6
	s_cbranch_vccz .LBB38_2580
; %bb.2571:
	s_wait_xcnt 0x0
	v_cndmask_b32_e64 v6, 0, 1.0, s2
	s_mov_b32 s6, exec_lo
                                        ; implicit-def: $vgpr1
	s_delay_alu instid0(VALU_DEP_1)
	v_cmpx_gt_u32_e32 0x43f00000, v6
	s_xor_b32 s6, exec_lo, s6
	s_cbranch_execz .LBB38_2577
; %bb.2572:
	s_mov_b32 s7, exec_lo
                                        ; implicit-def: $vgpr1
	v_cmpx_lt_u32_e32 0x3c7fffff, v6
	s_xor_b32 s7, exec_lo, s7
; %bb.2573:
	v_bfe_u32 v1, v6, 20, 1
	s_delay_alu instid0(VALU_DEP_1) | instskip(NEXT) | instid1(VALU_DEP_1)
	v_add3_u32 v1, v6, v1, 0x407ffff
	v_and_b32_e32 v6, 0xff00000, v1
	v_lshrrev_b32_e32 v1, 20, v1
	s_delay_alu instid0(VALU_DEP_2) | instskip(NEXT) | instid1(VALU_DEP_2)
	v_cmp_ne_u32_e32 vcc_lo, 0x7f00000, v6
                                        ; implicit-def: $vgpr6
	v_cndmask_b32_e32 v1, 0x7e, v1, vcc_lo
; %bb.2574:
	s_and_not1_saveexec_b32 s7, s7
; %bb.2575:
	v_add_f32_e32 v1, 0x46800000, v6
; %bb.2576:
	s_or_b32 exec_lo, exec_lo, s7
                                        ; implicit-def: $vgpr6
.LBB38_2577:
	s_and_not1_saveexec_b32 s6, s6
; %bb.2578:
	v_mov_b32_e32 v1, 0x7f
	v_cmp_lt_u32_e32 vcc_lo, 0x7f800000, v6
	s_delay_alu instid0(VALU_DEP_2)
	v_cndmask_b32_e32 v1, 0x7e, v1, vcc_lo
; %bb.2579:
	s_or_b32 exec_lo, exec_lo, s6
	global_store_b8 v[2:3], v1, off
.LBB38_2580:
	s_mov_b32 s6, 0
.LBB38_2581:
	s_delay_alu instid0(SALU_CYCLE_1)
	s_and_not1_b32 vcc_lo, exec_lo, s6
	s_cbranch_vccnz .LBB38_2591
; %bb.2582:
	s_wait_xcnt 0x0
	v_cndmask_b32_e64 v6, 0, 1.0, s2
	s_mov_b32 s6, exec_lo
                                        ; implicit-def: $vgpr1
	s_delay_alu instid0(VALU_DEP_1)
	v_cmpx_gt_u32_e32 0x47800000, v6
	s_xor_b32 s6, exec_lo, s6
	s_cbranch_execz .LBB38_2588
; %bb.2583:
	s_mov_b32 s7, exec_lo
                                        ; implicit-def: $vgpr1
	v_cmpx_lt_u32_e32 0x387fffff, v6
	s_xor_b32 s7, exec_lo, s7
; %bb.2584:
	v_bfe_u32 v1, v6, 21, 1
	s_delay_alu instid0(VALU_DEP_1) | instskip(NEXT) | instid1(VALU_DEP_1)
	v_add3_u32 v1, v6, v1, 0x80fffff
                                        ; implicit-def: $vgpr6
	v_lshrrev_b32_e32 v1, 21, v1
; %bb.2585:
	s_and_not1_saveexec_b32 s7, s7
; %bb.2586:
	v_add_f32_e32 v1, 0x43000000, v6
; %bb.2587:
	s_or_b32 exec_lo, exec_lo, s7
                                        ; implicit-def: $vgpr6
.LBB38_2588:
	s_and_not1_saveexec_b32 s6, s6
; %bb.2589:
	v_mov_b32_e32 v1, 0x7f
	v_cmp_lt_u32_e32 vcc_lo, 0x7f800000, v6
	s_delay_alu instid0(VALU_DEP_2)
	v_cndmask_b32_e32 v1, 0x7c, v1, vcc_lo
; %bb.2590:
	s_or_b32 exec_lo, exec_lo, s6
	global_store_b8 v[2:3], v1, off
.LBB38_2591:
	s_mov_b32 s6, 0
	s_mov_b32 s7, -1
.LBB38_2592:
	s_and_not1_b32 vcc_lo, exec_lo, s6
	s_mov_b32 s6, 0
	s_cbranch_vccnz .LBB38_2599
; %bb.2593:
	s_cmp_gt_i32 s3, 14
	s_mov_b32 s6, -1
	s_cbranch_scc0 .LBB38_2597
; %bb.2594:
	s_cmp_eq_u32 s3, 15
	s_mov_b32 s0, -1
	s_cbranch_scc0 .LBB38_2596
; %bb.2595:
	s_wait_xcnt 0x0
	v_cndmask_b32_e64 v1, 0, 1.0, s2
	s_mov_b32 s0, 0
	s_mov_b32 s7, -1
	s_delay_alu instid0(VALU_DEP_1) | instskip(NEXT) | instid1(VALU_DEP_1)
	v_bfe_u32 v6, v1, 16, 1
	v_add3_u32 v1, v1, v6, 0x7fff
	global_store_d16_hi_b16 v[2:3], v1, off
.LBB38_2596:
	s_mov_b32 s6, 0
.LBB38_2597:
	s_delay_alu instid0(SALU_CYCLE_1)
	s_and_b32 vcc_lo, exec_lo, s6
	s_mov_b32 s6, 0
	s_cbranch_vccz .LBB38_2599
; %bb.2598:
	s_cmp_lg_u32 s3, 11
	s_mov_b32 s6, -1
	s_cselect_b32 s0, -1, 0
.LBB38_2599:
	s_delay_alu instid0(SALU_CYCLE_1)
	s_and_b32 vcc_lo, exec_lo, s0
	s_cbranch_vccnz .LBB38_3006
; %bb.2600:
	s_and_not1_b32 vcc_lo, exec_lo, s6
	s_cbranch_vccnz .LBB38_2602
.LBB38_2601:
	s_wait_xcnt 0x0
	v_cndmask_b32_e64 v1, 0, 1, s2
	s_mov_b32 s7, -1
	global_store_b8 v[2:3], v1, off
.LBB38_2602:
.LBB38_2603:
	s_and_not1_b32 vcc_lo, exec_lo, s7
	s_cbranch_vccnz .LBB38_2957
	s_branch .LBB38_2643
.LBB38_2604:
	s_and_b32 vcc_lo, exec_lo, s0
	s_cbranch_vccz .LBB38_2603
; %bb.2605:
	s_and_b32 s0, 0xffff, s17
	s_mov_b32 s3, -1
	s_cmp_lt_i32 s0, 5
	s_cbranch_scc1 .LBB38_2626
; %bb.2606:
	s_cmp_lt_i32 s0, 8
	s_cbranch_scc1 .LBB38_2616
; %bb.2607:
	;; [unrolled: 3-line block ×3, first 2 shown]
	s_cmp_gt_i32 s0, 9
	s_cbranch_scc0 .LBB38_2610
; %bb.2609:
	s_wait_xcnt 0x0
	v_cndmask_b32_e64 v1, 0, 1, s2
	v_mov_b32_e32 v16, 0
	s_mov_b32 s3, 0
	s_delay_alu instid0(VALU_DEP_2) | instskip(NEXT) | instid1(VALU_DEP_2)
	v_cvt_f64_u32_e32 v[14:15], v1
	v_mov_b32_e32 v17, v16
	global_store_b128 v[2:3], v[14:17], off
.LBB38_2610:
	s_and_not1_b32 vcc_lo, exec_lo, s3
	s_cbranch_vccnz .LBB38_2612
; %bb.2611:
	s_wait_xcnt 0x0
	v_cndmask_b32_e64 v6, 0, 1.0, s2
	v_mov_b32_e32 v7, 0
	global_store_b64 v[2:3], v[6:7], off
.LBB38_2612:
	s_mov_b32 s3, 0
.LBB38_2613:
	s_delay_alu instid0(SALU_CYCLE_1)
	s_and_not1_b32 vcc_lo, exec_lo, s3
	s_cbranch_vccnz .LBB38_2615
; %bb.2614:
	s_wait_xcnt 0x0
	v_cndmask_b32_e64 v1, 0, 1.0, s2
	s_delay_alu instid0(VALU_DEP_1) | instskip(NEXT) | instid1(VALU_DEP_1)
	v_cvt_f16_f32_e32 v1, v1
	v_and_b32_e32 v1, 0xffff, v1
	global_store_b32 v[2:3], v1, off
.LBB38_2615:
	s_mov_b32 s3, 0
.LBB38_2616:
	s_delay_alu instid0(SALU_CYCLE_1)
	s_and_not1_b32 vcc_lo, exec_lo, s3
	s_cbranch_vccnz .LBB38_2625
; %bb.2617:
	s_cmp_lt_i32 s0, 6
	s_mov_b32 s3, -1
	s_cbranch_scc1 .LBB38_2623
; %bb.2618:
	s_cmp_gt_i32 s0, 6
	s_cbranch_scc0 .LBB38_2620
; %bb.2619:
	s_wait_xcnt 0x0
	v_cndmask_b32_e64 v1, 0, 1, s2
	s_mov_b32 s3, 0
	s_delay_alu instid0(VALU_DEP_1)
	v_cvt_f64_u32_e32 v[6:7], v1
	global_store_b64 v[2:3], v[6:7], off
.LBB38_2620:
	s_and_not1_b32 vcc_lo, exec_lo, s3
	s_cbranch_vccnz .LBB38_2622
; %bb.2621:
	s_wait_xcnt 0x0
	v_cndmask_b32_e64 v1, 0, 1.0, s2
	global_store_b32 v[2:3], v1, off
.LBB38_2622:
	s_mov_b32 s3, 0
.LBB38_2623:
	s_delay_alu instid0(SALU_CYCLE_1)
	s_and_not1_b32 vcc_lo, exec_lo, s3
	s_cbranch_vccnz .LBB38_2625
; %bb.2624:
	s_wait_xcnt 0x0
	v_cndmask_b32_e64 v1, 0, 1.0, s2
	s_delay_alu instid0(VALU_DEP_1)
	v_cvt_f16_f32_e32 v1, v1
	global_store_b16 v[2:3], v1, off
.LBB38_2625:
	s_mov_b32 s3, 0
.LBB38_2626:
	s_delay_alu instid0(SALU_CYCLE_1)
	s_and_not1_b32 vcc_lo, exec_lo, s3
	s_cbranch_vccnz .LBB38_2642
; %bb.2627:
	s_cmp_lt_i32 s0, 2
	s_mov_b32 s3, -1
	s_cbranch_scc1 .LBB38_2637
; %bb.2628:
	s_cmp_lt_i32 s0, 3
	s_cbranch_scc1 .LBB38_2634
; %bb.2629:
	s_cmp_gt_i32 s0, 3
	s_cbranch_scc0 .LBB38_2631
; %bb.2630:
	s_mov_b32 s3, 0
	s_wait_xcnt 0x0
	v_cndmask_b32_e64 v6, 0, 1, s2
	v_mov_b32_e32 v7, s3
	global_store_b64 v[2:3], v[6:7], off
.LBB38_2631:
	s_and_not1_b32 vcc_lo, exec_lo, s3
	s_cbranch_vccnz .LBB38_2633
; %bb.2632:
	s_wait_xcnt 0x0
	v_cndmask_b32_e64 v1, 0, 1, s2
	global_store_b32 v[2:3], v1, off
.LBB38_2633:
	s_mov_b32 s3, 0
.LBB38_2634:
	s_delay_alu instid0(SALU_CYCLE_1)
	s_and_not1_b32 vcc_lo, exec_lo, s3
	s_cbranch_vccnz .LBB38_2636
; %bb.2635:
	s_wait_xcnt 0x0
	v_cndmask_b32_e64 v1, 0, 1, s2
	global_store_b16 v[2:3], v1, off
.LBB38_2636:
	s_mov_b32 s3, 0
.LBB38_2637:
	s_delay_alu instid0(SALU_CYCLE_1)
	s_and_not1_b32 vcc_lo, exec_lo, s3
	s_cbranch_vccnz .LBB38_2642
; %bb.2638:
	s_wait_xcnt 0x0
	v_cndmask_b32_e64 v1, 0, 1, s2
	s_cmp_gt_i32 s0, 0
	s_mov_b32 s0, -1
	s_cbranch_scc0 .LBB38_2640
; %bb.2639:
	s_mov_b32 s0, 0
	global_store_b8 v[2:3], v1, off
.LBB38_2640:
	s_and_not1_b32 vcc_lo, exec_lo, s0
	s_cbranch_vccnz .LBB38_2642
; %bb.2641:
	global_store_b8 v[2:3], v1, off
.LBB38_2642:
.LBB38_2643:
	s_lshl_b32 s2, s8, 7
	v_cmp_ne_u32_e32 vcc_lo, v8, v11
	v_add_nc_u32_e32 v0, s2, v0
	s_xor_b32 s3, s1, vcc_lo
	s_wait_xcnt 0x0
	s_delay_alu instid0(VALU_DEP_1) | instskip(SKIP_1) | instid1(VALU_DEP_1)
	v_ashrrev_i32_e32 v1, 31, v0
	s_cmp_lt_i32 s17, 11
	v_add_nc_u64_e32 v[2:3], s[4:5], v[0:1]
	s_cbranch_scc1 .LBB38_2721
; %bb.2644:
	s_and_b32 s6, 0xffff, s17
	s_mov_b32 s9, -1
	s_mov_b32 s7, 0
	s_cmp_gt_i32 s6, 25
	s_mov_b32 s8, 0
	s_mov_b32 s0, 0
	s_cbranch_scc0 .LBB38_2677
; %bb.2645:
	s_cmp_gt_i32 s6, 28
	s_cbranch_scc0 .LBB38_2660
; %bb.2646:
	s_cmp_gt_i32 s6, 43
	;; [unrolled: 3-line block ×3, first 2 shown]
	s_cbranch_scc0 .LBB38_2650
; %bb.2648:
	s_mov_b32 s0, -1
	s_mov_b32 s9, 0
	s_cmp_eq_u32 s6, 46
	s_cbranch_scc0 .LBB38_2650
; %bb.2649:
	v_cndmask_b32_e64 v1, 0, 1.0, s3
	s_mov_b32 s0, 0
	s_mov_b32 s8, -1
	s_delay_alu instid0(VALU_DEP_1) | instskip(NEXT) | instid1(VALU_DEP_1)
	v_bfe_u32 v6, v1, 16, 1
	v_add3_u32 v1, v1, v6, 0x7fff
	s_delay_alu instid0(VALU_DEP_1)
	v_lshrrev_b32_e32 v1, 16, v1
	global_store_b32 v[2:3], v1, off
.LBB38_2650:
	s_and_b32 vcc_lo, exec_lo, s9
	s_cbranch_vccz .LBB38_2655
; %bb.2651:
	s_cmp_eq_u32 s6, 44
	s_mov_b32 s0, -1
	s_cbranch_scc0 .LBB38_2655
; %bb.2652:
	v_cndmask_b32_e64 v7, 0, 1.0, s3
	s_mov_b32 s8, exec_lo
	s_wait_xcnt 0x0
	s_delay_alu instid0(VALU_DEP_1) | instskip(NEXT) | instid1(VALU_DEP_1)
	v_dual_mov_b32 v6, 0xff :: v_dual_lshrrev_b32 v1, 23, v7
	v_cmpx_ne_u32_e32 0xff, v1
; %bb.2653:
	v_and_b32_e32 v6, 0x400000, v7
	v_and_or_b32 v7, 0x3fffff, v7, v1
	s_delay_alu instid0(VALU_DEP_2) | instskip(NEXT) | instid1(VALU_DEP_2)
	v_cmp_ne_u32_e32 vcc_lo, 0, v6
	v_cmp_ne_u32_e64 s0, 0, v7
	s_and_b32 s0, vcc_lo, s0
	s_delay_alu instid0(SALU_CYCLE_1) | instskip(NEXT) | instid1(VALU_DEP_1)
	v_cndmask_b32_e64 v6, 0, 1, s0
	v_add_nc_u32_e32 v6, v1, v6
; %bb.2654:
	s_or_b32 exec_lo, exec_lo, s8
	s_mov_b32 s0, 0
	s_mov_b32 s8, -1
	global_store_b8 v[2:3], v6, off
.LBB38_2655:
	s_mov_b32 s9, 0
.LBB38_2656:
	s_delay_alu instid0(SALU_CYCLE_1)
	s_and_b32 vcc_lo, exec_lo, s9
	s_cbranch_vccz .LBB38_2659
; %bb.2657:
	s_cmp_eq_u32 s6, 29
	s_mov_b32 s0, -1
	s_cbranch_scc0 .LBB38_2659
; %bb.2658:
	s_mov_b32 s0, 0
	s_wait_xcnt 0x0
	v_cndmask_b32_e64 v6, 0, 1, s3
	v_mov_b32_e32 v7, s0
	s_mov_b32 s8, -1
	global_store_b64 v[2:3], v[6:7], off
.LBB38_2659:
	s_mov_b32 s9, 0
.LBB38_2660:
	s_delay_alu instid0(SALU_CYCLE_1)
	s_and_b32 vcc_lo, exec_lo, s9
	s_cbranch_vccz .LBB38_2676
; %bb.2661:
	s_cmp_lt_i32 s6, 27
	s_mov_b32 s8, -1
	s_cbranch_scc1 .LBB38_2667
; %bb.2662:
	s_cmp_gt_i32 s6, 27
	s_cbranch_scc0 .LBB38_2664
; %bb.2663:
	s_wait_xcnt 0x0
	v_cndmask_b32_e64 v1, 0, 1, s3
	s_mov_b32 s8, 0
	global_store_b32 v[2:3], v1, off
.LBB38_2664:
	s_and_not1_b32 vcc_lo, exec_lo, s8
	s_cbranch_vccnz .LBB38_2666
; %bb.2665:
	s_wait_xcnt 0x0
	v_cndmask_b32_e64 v1, 0, 1, s3
	global_store_b16 v[2:3], v1, off
.LBB38_2666:
	s_mov_b32 s8, 0
.LBB38_2667:
	s_delay_alu instid0(SALU_CYCLE_1)
	s_and_not1_b32 vcc_lo, exec_lo, s8
	s_cbranch_vccnz .LBB38_2675
; %bb.2668:
	s_wait_xcnt 0x0
	v_cndmask_b32_e64 v6, 0, 1.0, s3
	v_mov_b32_e32 v7, 0x80
	s_mov_b32 s8, exec_lo
	s_delay_alu instid0(VALU_DEP_2)
	v_cmpx_gt_u32_e32 0x43800000, v6
	s_cbranch_execz .LBB38_2674
; %bb.2669:
	s_mov_b32 s9, 0
	s_mov_b32 s10, exec_lo
                                        ; implicit-def: $vgpr1
	v_cmpx_lt_u32_e32 0x3bffffff, v6
	s_xor_b32 s10, exec_lo, s10
	s_cbranch_execz .LBB38_3009
; %bb.2670:
	v_bfe_u32 v1, v6, 20, 1
	s_mov_b32 s9, exec_lo
	s_delay_alu instid0(VALU_DEP_1) | instskip(NEXT) | instid1(VALU_DEP_1)
	v_add3_u32 v1, v6, v1, 0x487ffff
                                        ; implicit-def: $vgpr6
	v_lshrrev_b32_e32 v1, 20, v1
	s_and_not1_saveexec_b32 s10, s10
	s_cbranch_execnz .LBB38_3010
.LBB38_2671:
	s_or_b32 exec_lo, exec_lo, s10
	v_mov_b32_e32 v7, 0
	s_and_saveexec_b32 s10, s9
.LBB38_2672:
	v_mov_b32_e32 v7, v1
.LBB38_2673:
	s_or_b32 exec_lo, exec_lo, s10
.LBB38_2674:
	s_delay_alu instid0(SALU_CYCLE_1)
	s_or_b32 exec_lo, exec_lo, s8
	global_store_b8 v[2:3], v7, off
.LBB38_2675:
	s_mov_b32 s8, -1
.LBB38_2676:
	s_mov_b32 s9, 0
.LBB38_2677:
	s_delay_alu instid0(SALU_CYCLE_1)
	s_and_b32 vcc_lo, exec_lo, s9
	s_cbranch_vccz .LBB38_2717
; %bb.2678:
	s_cmp_gt_i32 s6, 22
	s_mov_b32 s7, -1
	s_cbranch_scc0 .LBB38_2710
; %bb.2679:
	s_cmp_lt_i32 s6, 24
	s_cbranch_scc1 .LBB38_2699
; %bb.2680:
	s_cmp_gt_i32 s6, 24
	s_cbranch_scc0 .LBB38_2688
; %bb.2681:
	s_wait_xcnt 0x0
	v_cndmask_b32_e64 v6, 0, 1.0, s3
	v_mov_b32_e32 v7, 0x80
	s_mov_b32 s7, exec_lo
	s_delay_alu instid0(VALU_DEP_2)
	v_cmpx_gt_u32_e32 0x47800000, v6
	s_cbranch_execz .LBB38_2687
; %bb.2682:
	s_mov_b32 s8, 0
	s_mov_b32 s9, exec_lo
                                        ; implicit-def: $vgpr1
	v_cmpx_lt_u32_e32 0x37ffffff, v6
	s_xor_b32 s9, exec_lo, s9
	s_cbranch_execz .LBB38_3012
; %bb.2683:
	v_bfe_u32 v1, v6, 21, 1
	s_mov_b32 s8, exec_lo
	s_delay_alu instid0(VALU_DEP_1) | instskip(NEXT) | instid1(VALU_DEP_1)
	v_add3_u32 v1, v6, v1, 0x88fffff
                                        ; implicit-def: $vgpr6
	v_lshrrev_b32_e32 v1, 21, v1
	s_and_not1_saveexec_b32 s9, s9
	s_cbranch_execnz .LBB38_3013
.LBB38_2684:
	s_or_b32 exec_lo, exec_lo, s9
	v_mov_b32_e32 v7, 0
	s_and_saveexec_b32 s9, s8
.LBB38_2685:
	v_mov_b32_e32 v7, v1
.LBB38_2686:
	s_or_b32 exec_lo, exec_lo, s9
.LBB38_2687:
	s_delay_alu instid0(SALU_CYCLE_1)
	s_or_b32 exec_lo, exec_lo, s7
	s_mov_b32 s7, 0
	global_store_b8 v[2:3], v7, off
.LBB38_2688:
	s_and_b32 vcc_lo, exec_lo, s7
	s_cbranch_vccz .LBB38_2698
; %bb.2689:
	s_wait_xcnt 0x0
	v_cndmask_b32_e64 v6, 0, 1.0, s3
	s_mov_b32 s7, exec_lo
                                        ; implicit-def: $vgpr1
	s_delay_alu instid0(VALU_DEP_1)
	v_cmpx_gt_u32_e32 0x43f00000, v6
	s_xor_b32 s7, exec_lo, s7
	s_cbranch_execz .LBB38_2695
; %bb.2690:
	s_mov_b32 s8, exec_lo
                                        ; implicit-def: $vgpr1
	v_cmpx_lt_u32_e32 0x3c7fffff, v6
	s_xor_b32 s8, exec_lo, s8
; %bb.2691:
	v_bfe_u32 v1, v6, 20, 1
	s_delay_alu instid0(VALU_DEP_1) | instskip(NEXT) | instid1(VALU_DEP_1)
	v_add3_u32 v1, v6, v1, 0x407ffff
	v_and_b32_e32 v6, 0xff00000, v1
	v_lshrrev_b32_e32 v1, 20, v1
	s_delay_alu instid0(VALU_DEP_2) | instskip(NEXT) | instid1(VALU_DEP_2)
	v_cmp_ne_u32_e32 vcc_lo, 0x7f00000, v6
                                        ; implicit-def: $vgpr6
	v_cndmask_b32_e32 v1, 0x7e, v1, vcc_lo
; %bb.2692:
	s_and_not1_saveexec_b32 s8, s8
; %bb.2693:
	v_add_f32_e32 v1, 0x46800000, v6
; %bb.2694:
	s_or_b32 exec_lo, exec_lo, s8
                                        ; implicit-def: $vgpr6
.LBB38_2695:
	s_and_not1_saveexec_b32 s7, s7
; %bb.2696:
	v_mov_b32_e32 v1, 0x7f
	v_cmp_lt_u32_e32 vcc_lo, 0x7f800000, v6
	s_delay_alu instid0(VALU_DEP_2)
	v_cndmask_b32_e32 v1, 0x7e, v1, vcc_lo
; %bb.2697:
	s_or_b32 exec_lo, exec_lo, s7
	global_store_b8 v[2:3], v1, off
.LBB38_2698:
	s_mov_b32 s7, 0
.LBB38_2699:
	s_delay_alu instid0(SALU_CYCLE_1)
	s_and_not1_b32 vcc_lo, exec_lo, s7
	s_cbranch_vccnz .LBB38_2709
; %bb.2700:
	s_wait_xcnt 0x0
	v_cndmask_b32_e64 v6, 0, 1.0, s3
	s_mov_b32 s7, exec_lo
                                        ; implicit-def: $vgpr1
	s_delay_alu instid0(VALU_DEP_1)
	v_cmpx_gt_u32_e32 0x47800000, v6
	s_xor_b32 s7, exec_lo, s7
	s_cbranch_execz .LBB38_2706
; %bb.2701:
	s_mov_b32 s8, exec_lo
                                        ; implicit-def: $vgpr1
	v_cmpx_lt_u32_e32 0x387fffff, v6
	s_xor_b32 s8, exec_lo, s8
; %bb.2702:
	v_bfe_u32 v1, v6, 21, 1
	s_delay_alu instid0(VALU_DEP_1) | instskip(NEXT) | instid1(VALU_DEP_1)
	v_add3_u32 v1, v6, v1, 0x80fffff
                                        ; implicit-def: $vgpr6
	v_lshrrev_b32_e32 v1, 21, v1
; %bb.2703:
	s_and_not1_saveexec_b32 s8, s8
; %bb.2704:
	v_add_f32_e32 v1, 0x43000000, v6
; %bb.2705:
	s_or_b32 exec_lo, exec_lo, s8
                                        ; implicit-def: $vgpr6
.LBB38_2706:
	s_and_not1_saveexec_b32 s7, s7
; %bb.2707:
	v_mov_b32_e32 v1, 0x7f
	v_cmp_lt_u32_e32 vcc_lo, 0x7f800000, v6
	s_delay_alu instid0(VALU_DEP_2)
	v_cndmask_b32_e32 v1, 0x7c, v1, vcc_lo
; %bb.2708:
	s_or_b32 exec_lo, exec_lo, s7
	global_store_b8 v[2:3], v1, off
.LBB38_2709:
	s_mov_b32 s7, 0
	s_mov_b32 s8, -1
.LBB38_2710:
	s_and_not1_b32 vcc_lo, exec_lo, s7
	s_mov_b32 s7, 0
	s_cbranch_vccnz .LBB38_2717
; %bb.2711:
	s_cmp_gt_i32 s6, 14
	s_mov_b32 s7, -1
	s_cbranch_scc0 .LBB38_2715
; %bb.2712:
	s_cmp_eq_u32 s6, 15
	s_mov_b32 s0, -1
	s_cbranch_scc0 .LBB38_2714
; %bb.2713:
	s_wait_xcnt 0x0
	v_cndmask_b32_e64 v1, 0, 1.0, s3
	s_mov_b32 s0, 0
	s_mov_b32 s8, -1
	s_delay_alu instid0(VALU_DEP_1) | instskip(NEXT) | instid1(VALU_DEP_1)
	v_bfe_u32 v6, v1, 16, 1
	v_add3_u32 v1, v1, v6, 0x7fff
	global_store_d16_hi_b16 v[2:3], v1, off
.LBB38_2714:
	s_mov_b32 s7, 0
.LBB38_2715:
	s_delay_alu instid0(SALU_CYCLE_1)
	s_and_b32 vcc_lo, exec_lo, s7
	s_mov_b32 s7, 0
	s_cbranch_vccz .LBB38_2717
; %bb.2716:
	s_cmp_lg_u32 s6, 11
	s_mov_b32 s7, -1
	s_cselect_b32 s0, -1, 0
.LBB38_2717:
	s_delay_alu instid0(SALU_CYCLE_1)
	s_and_b32 vcc_lo, exec_lo, s0
	s_cbranch_vccnz .LBB38_3011
; %bb.2718:
	s_and_not1_b32 vcc_lo, exec_lo, s7
	s_cbranch_vccnz .LBB38_2720
.LBB38_2719:
	s_wait_xcnt 0x0
	v_cndmask_b32_e64 v1, 0, 1, s3
	s_mov_b32 s8, -1
	global_store_b8 v[2:3], v1, off
.LBB38_2720:
	s_mov_b32 s0, 0
	s_branch .LBB38_2722
.LBB38_2721:
	s_mov_b32 s0, -1
	s_mov_b32 s8, 0
.LBB38_2722:
	s_and_b32 vcc_lo, exec_lo, s0
	s_cbranch_vccz .LBB38_2761
; %bb.2723:
	s_and_b32 s0, 0xffff, s17
	s_mov_b32 s6, -1
	s_cmp_lt_i32 s0, 5
	s_cbranch_scc1 .LBB38_2744
; %bb.2724:
	s_cmp_lt_i32 s0, 8
	s_cbranch_scc1 .LBB38_2734
; %bb.2725:
	s_cmp_lt_i32 s0, 9
	s_cbranch_scc1 .LBB38_2731
; %bb.2726:
	s_cmp_gt_i32 s0, 9
	s_cbranch_scc0 .LBB38_2728
; %bb.2727:
	s_wait_xcnt 0x0
	v_cndmask_b32_e64 v1, 0, 1, s3
	v_mov_b32_e32 v8, 0
	s_mov_b32 s6, 0
	s_delay_alu instid0(VALU_DEP_2) | instskip(NEXT) | instid1(VALU_DEP_2)
	v_cvt_f64_u32_e32 v[6:7], v1
	v_mov_b32_e32 v9, v8
	global_store_b128 v[2:3], v[6:9], off
.LBB38_2728:
	s_and_not1_b32 vcc_lo, exec_lo, s6
	s_cbranch_vccnz .LBB38_2730
; %bb.2729:
	s_wait_xcnt 0x0
	v_cndmask_b32_e64 v6, 0, 1.0, s3
	v_mov_b32_e32 v7, 0
	global_store_b64 v[2:3], v[6:7], off
.LBB38_2730:
	s_mov_b32 s6, 0
.LBB38_2731:
	s_delay_alu instid0(SALU_CYCLE_1)
	s_and_not1_b32 vcc_lo, exec_lo, s6
	s_cbranch_vccnz .LBB38_2733
; %bb.2732:
	s_wait_xcnt 0x0
	v_cndmask_b32_e64 v1, 0, 1.0, s3
	s_delay_alu instid0(VALU_DEP_1) | instskip(NEXT) | instid1(VALU_DEP_1)
	v_cvt_f16_f32_e32 v1, v1
	v_and_b32_e32 v1, 0xffff, v1
	global_store_b32 v[2:3], v1, off
.LBB38_2733:
	s_mov_b32 s6, 0
.LBB38_2734:
	s_delay_alu instid0(SALU_CYCLE_1)
	s_and_not1_b32 vcc_lo, exec_lo, s6
	s_cbranch_vccnz .LBB38_2743
; %bb.2735:
	s_cmp_lt_i32 s0, 6
	s_mov_b32 s6, -1
	s_cbranch_scc1 .LBB38_2741
; %bb.2736:
	s_cmp_gt_i32 s0, 6
	s_cbranch_scc0 .LBB38_2738
; %bb.2737:
	s_wait_xcnt 0x0
	v_cndmask_b32_e64 v1, 0, 1, s3
	s_mov_b32 s6, 0
	s_delay_alu instid0(VALU_DEP_1)
	v_cvt_f64_u32_e32 v[6:7], v1
	global_store_b64 v[2:3], v[6:7], off
.LBB38_2738:
	s_and_not1_b32 vcc_lo, exec_lo, s6
	s_cbranch_vccnz .LBB38_2740
; %bb.2739:
	s_wait_xcnt 0x0
	v_cndmask_b32_e64 v1, 0, 1.0, s3
	global_store_b32 v[2:3], v1, off
.LBB38_2740:
	s_mov_b32 s6, 0
.LBB38_2741:
	s_delay_alu instid0(SALU_CYCLE_1)
	s_and_not1_b32 vcc_lo, exec_lo, s6
	s_cbranch_vccnz .LBB38_2743
; %bb.2742:
	s_wait_xcnt 0x0
	v_cndmask_b32_e64 v1, 0, 1.0, s3
	s_delay_alu instid0(VALU_DEP_1)
	v_cvt_f16_f32_e32 v1, v1
	global_store_b16 v[2:3], v1, off
.LBB38_2743:
	s_mov_b32 s6, 0
.LBB38_2744:
	s_delay_alu instid0(SALU_CYCLE_1)
	s_and_not1_b32 vcc_lo, exec_lo, s6
	s_cbranch_vccnz .LBB38_2760
; %bb.2745:
	s_cmp_lt_i32 s0, 2
	s_mov_b32 s6, -1
	s_cbranch_scc1 .LBB38_2755
; %bb.2746:
	s_cmp_lt_i32 s0, 3
	s_cbranch_scc1 .LBB38_2752
; %bb.2747:
	s_cmp_gt_i32 s0, 3
	s_cbranch_scc0 .LBB38_2749
; %bb.2748:
	s_mov_b32 s6, 0
	s_wait_xcnt 0x0
	v_cndmask_b32_e64 v6, 0, 1, s3
	v_mov_b32_e32 v7, s6
	global_store_b64 v[2:3], v[6:7], off
.LBB38_2749:
	s_and_not1_b32 vcc_lo, exec_lo, s6
	s_cbranch_vccnz .LBB38_2751
; %bb.2750:
	s_wait_xcnt 0x0
	v_cndmask_b32_e64 v1, 0, 1, s3
	global_store_b32 v[2:3], v1, off
.LBB38_2751:
	s_mov_b32 s6, 0
.LBB38_2752:
	s_delay_alu instid0(SALU_CYCLE_1)
	s_and_not1_b32 vcc_lo, exec_lo, s6
	s_cbranch_vccnz .LBB38_2754
; %bb.2753:
	s_wait_xcnt 0x0
	v_cndmask_b32_e64 v1, 0, 1, s3
	global_store_b16 v[2:3], v1, off
.LBB38_2754:
	s_mov_b32 s6, 0
.LBB38_2755:
	s_delay_alu instid0(SALU_CYCLE_1)
	s_and_not1_b32 vcc_lo, exec_lo, s6
	s_cbranch_vccnz .LBB38_2760
; %bb.2756:
	s_wait_xcnt 0x0
	v_cndmask_b32_e64 v1, 0, 1, s3
	s_cmp_gt_i32 s0, 0
	s_mov_b32 s0, -1
	s_cbranch_scc0 .LBB38_2758
; %bb.2757:
	s_mov_b32 s0, 0
	global_store_b8 v[2:3], v1, off
.LBB38_2758:
	s_and_not1_b32 vcc_lo, exec_lo, s0
	s_cbranch_vccnz .LBB38_2760
; %bb.2759:
	global_store_b8 v[2:3], v1, off
.LBB38_2760:
	s_mov_b32 s8, -1
.LBB38_2761:
	s_delay_alu instid0(SALU_CYCLE_1)
	s_and_not1_b32 vcc_lo, exec_lo, s8
	s_cbranch_vccnz .LBB38_2957
; %bb.2762:
	v_add_nc_u32_e32 v0, s2, v0
	v_cmp_ne_u32_e32 vcc_lo, v10, v12
	s_wait_xcnt 0x0
	s_delay_alu instid0(VALU_DEP_2) | instskip(SKIP_2) | instid1(VALU_DEP_1)
	v_ashrrev_i32_e32 v1, 31, v0
	s_xor_b32 s3, s1, vcc_lo
	s_cmp_lt_i32 s17, 11
	v_add_nc_u64_e32 v[2:3], s[4:5], v[0:1]
	s_cbranch_scc1 .LBB38_2840
; %bb.2763:
	s_and_b32 s6, 0xffff, s17
	s_mov_b32 s9, -1
	s_mov_b32 s7, 0
	s_cmp_gt_i32 s6, 25
	s_mov_b32 s8, 0
	s_mov_b32 s0, 0
	s_cbranch_scc0 .LBB38_2796
; %bb.2764:
	s_cmp_gt_i32 s6, 28
	s_cbranch_scc0 .LBB38_2779
; %bb.2765:
	s_cmp_gt_i32 s6, 43
	;; [unrolled: 3-line block ×3, first 2 shown]
	s_cbranch_scc0 .LBB38_2769
; %bb.2767:
	s_mov_b32 s0, -1
	s_mov_b32 s9, 0
	s_cmp_eq_u32 s6, 46
	s_cbranch_scc0 .LBB38_2769
; %bb.2768:
	v_cndmask_b32_e64 v1, 0, 1.0, s3
	s_mov_b32 s0, 0
	s_mov_b32 s8, -1
	s_delay_alu instid0(VALU_DEP_1) | instskip(NEXT) | instid1(VALU_DEP_1)
	v_bfe_u32 v6, v1, 16, 1
	v_add3_u32 v1, v1, v6, 0x7fff
	s_delay_alu instid0(VALU_DEP_1)
	v_lshrrev_b32_e32 v1, 16, v1
	global_store_b32 v[2:3], v1, off
.LBB38_2769:
	s_and_b32 vcc_lo, exec_lo, s9
	s_cbranch_vccz .LBB38_2774
; %bb.2770:
	s_cmp_eq_u32 s6, 44
	s_mov_b32 s0, -1
	s_cbranch_scc0 .LBB38_2774
; %bb.2771:
	v_cndmask_b32_e64 v7, 0, 1.0, s3
	s_mov_b32 s8, exec_lo
	s_wait_xcnt 0x0
	s_delay_alu instid0(VALU_DEP_1) | instskip(NEXT) | instid1(VALU_DEP_1)
	v_dual_mov_b32 v6, 0xff :: v_dual_lshrrev_b32 v1, 23, v7
	v_cmpx_ne_u32_e32 0xff, v1
; %bb.2772:
	v_and_b32_e32 v6, 0x400000, v7
	v_and_or_b32 v7, 0x3fffff, v7, v1
	s_delay_alu instid0(VALU_DEP_2) | instskip(NEXT) | instid1(VALU_DEP_2)
	v_cmp_ne_u32_e32 vcc_lo, 0, v6
	v_cmp_ne_u32_e64 s0, 0, v7
	s_and_b32 s0, vcc_lo, s0
	s_delay_alu instid0(SALU_CYCLE_1) | instskip(NEXT) | instid1(VALU_DEP_1)
	v_cndmask_b32_e64 v6, 0, 1, s0
	v_add_nc_u32_e32 v6, v1, v6
; %bb.2773:
	s_or_b32 exec_lo, exec_lo, s8
	s_mov_b32 s0, 0
	s_mov_b32 s8, -1
	global_store_b8 v[2:3], v6, off
.LBB38_2774:
	s_mov_b32 s9, 0
.LBB38_2775:
	s_delay_alu instid0(SALU_CYCLE_1)
	s_and_b32 vcc_lo, exec_lo, s9
	s_cbranch_vccz .LBB38_2778
; %bb.2776:
	s_cmp_eq_u32 s6, 29
	s_mov_b32 s0, -1
	s_cbranch_scc0 .LBB38_2778
; %bb.2777:
	s_mov_b32 s0, 0
	s_wait_xcnt 0x0
	v_cndmask_b32_e64 v6, 0, 1, s3
	v_mov_b32_e32 v7, s0
	s_mov_b32 s8, -1
	global_store_b64 v[2:3], v[6:7], off
.LBB38_2778:
	s_mov_b32 s9, 0
.LBB38_2779:
	s_delay_alu instid0(SALU_CYCLE_1)
	s_and_b32 vcc_lo, exec_lo, s9
	s_cbranch_vccz .LBB38_2795
; %bb.2780:
	s_cmp_lt_i32 s6, 27
	s_mov_b32 s8, -1
	s_cbranch_scc1 .LBB38_2786
; %bb.2781:
	s_cmp_gt_i32 s6, 27
	s_cbranch_scc0 .LBB38_2783
; %bb.2782:
	s_wait_xcnt 0x0
	v_cndmask_b32_e64 v1, 0, 1, s3
	s_mov_b32 s8, 0
	global_store_b32 v[2:3], v1, off
.LBB38_2783:
	s_and_not1_b32 vcc_lo, exec_lo, s8
	s_cbranch_vccnz .LBB38_2785
; %bb.2784:
	s_wait_xcnt 0x0
	v_cndmask_b32_e64 v1, 0, 1, s3
	global_store_b16 v[2:3], v1, off
.LBB38_2785:
	s_mov_b32 s8, 0
.LBB38_2786:
	s_delay_alu instid0(SALU_CYCLE_1)
	s_and_not1_b32 vcc_lo, exec_lo, s8
	s_cbranch_vccnz .LBB38_2794
; %bb.2787:
	s_wait_xcnt 0x0
	v_cndmask_b32_e64 v6, 0, 1.0, s3
	v_mov_b32_e32 v7, 0x80
	s_mov_b32 s8, exec_lo
	s_delay_alu instid0(VALU_DEP_2)
	v_cmpx_gt_u32_e32 0x43800000, v6
	s_cbranch_execz .LBB38_2793
; %bb.2788:
	s_mov_b32 s9, 0
	s_mov_b32 s10, exec_lo
                                        ; implicit-def: $vgpr1
	v_cmpx_lt_u32_e32 0x3bffffff, v6
	s_xor_b32 s10, exec_lo, s10
	s_cbranch_execz .LBB38_3014
; %bb.2789:
	v_bfe_u32 v1, v6, 20, 1
	s_mov_b32 s9, exec_lo
	s_delay_alu instid0(VALU_DEP_1) | instskip(NEXT) | instid1(VALU_DEP_1)
	v_add3_u32 v1, v6, v1, 0x487ffff
                                        ; implicit-def: $vgpr6
	v_lshrrev_b32_e32 v1, 20, v1
	s_and_not1_saveexec_b32 s10, s10
	s_cbranch_execnz .LBB38_3015
.LBB38_2790:
	s_or_b32 exec_lo, exec_lo, s10
	v_mov_b32_e32 v7, 0
	s_and_saveexec_b32 s10, s9
.LBB38_2791:
	v_mov_b32_e32 v7, v1
.LBB38_2792:
	s_or_b32 exec_lo, exec_lo, s10
.LBB38_2793:
	s_delay_alu instid0(SALU_CYCLE_1)
	s_or_b32 exec_lo, exec_lo, s8
	global_store_b8 v[2:3], v7, off
.LBB38_2794:
	s_mov_b32 s8, -1
.LBB38_2795:
	s_mov_b32 s9, 0
.LBB38_2796:
	s_delay_alu instid0(SALU_CYCLE_1)
	s_and_b32 vcc_lo, exec_lo, s9
	s_cbranch_vccz .LBB38_2836
; %bb.2797:
	s_cmp_gt_i32 s6, 22
	s_mov_b32 s7, -1
	s_cbranch_scc0 .LBB38_2829
; %bb.2798:
	s_cmp_lt_i32 s6, 24
	s_cbranch_scc1 .LBB38_2818
; %bb.2799:
	s_cmp_gt_i32 s6, 24
	s_cbranch_scc0 .LBB38_2807
; %bb.2800:
	s_wait_xcnt 0x0
	v_cndmask_b32_e64 v6, 0, 1.0, s3
	v_mov_b32_e32 v7, 0x80
	s_mov_b32 s7, exec_lo
	s_delay_alu instid0(VALU_DEP_2)
	v_cmpx_gt_u32_e32 0x47800000, v6
	s_cbranch_execz .LBB38_2806
; %bb.2801:
	s_mov_b32 s8, 0
	s_mov_b32 s9, exec_lo
                                        ; implicit-def: $vgpr1
	v_cmpx_lt_u32_e32 0x37ffffff, v6
	s_xor_b32 s9, exec_lo, s9
	s_cbranch_execz .LBB38_3017
; %bb.2802:
	v_bfe_u32 v1, v6, 21, 1
	s_mov_b32 s8, exec_lo
	s_delay_alu instid0(VALU_DEP_1) | instskip(NEXT) | instid1(VALU_DEP_1)
	v_add3_u32 v1, v6, v1, 0x88fffff
                                        ; implicit-def: $vgpr6
	v_lshrrev_b32_e32 v1, 21, v1
	s_and_not1_saveexec_b32 s9, s9
	s_cbranch_execnz .LBB38_3018
.LBB38_2803:
	s_or_b32 exec_lo, exec_lo, s9
	v_mov_b32_e32 v7, 0
	s_and_saveexec_b32 s9, s8
.LBB38_2804:
	v_mov_b32_e32 v7, v1
.LBB38_2805:
	s_or_b32 exec_lo, exec_lo, s9
.LBB38_2806:
	s_delay_alu instid0(SALU_CYCLE_1)
	s_or_b32 exec_lo, exec_lo, s7
	s_mov_b32 s7, 0
	global_store_b8 v[2:3], v7, off
.LBB38_2807:
	s_and_b32 vcc_lo, exec_lo, s7
	s_cbranch_vccz .LBB38_2817
; %bb.2808:
	s_wait_xcnt 0x0
	v_cndmask_b32_e64 v6, 0, 1.0, s3
	s_mov_b32 s7, exec_lo
                                        ; implicit-def: $vgpr1
	s_delay_alu instid0(VALU_DEP_1)
	v_cmpx_gt_u32_e32 0x43f00000, v6
	s_xor_b32 s7, exec_lo, s7
	s_cbranch_execz .LBB38_2814
; %bb.2809:
	s_mov_b32 s8, exec_lo
                                        ; implicit-def: $vgpr1
	v_cmpx_lt_u32_e32 0x3c7fffff, v6
	s_xor_b32 s8, exec_lo, s8
; %bb.2810:
	v_bfe_u32 v1, v6, 20, 1
	s_delay_alu instid0(VALU_DEP_1) | instskip(NEXT) | instid1(VALU_DEP_1)
	v_add3_u32 v1, v6, v1, 0x407ffff
	v_and_b32_e32 v6, 0xff00000, v1
	v_lshrrev_b32_e32 v1, 20, v1
	s_delay_alu instid0(VALU_DEP_2) | instskip(NEXT) | instid1(VALU_DEP_2)
	v_cmp_ne_u32_e32 vcc_lo, 0x7f00000, v6
                                        ; implicit-def: $vgpr6
	v_cndmask_b32_e32 v1, 0x7e, v1, vcc_lo
; %bb.2811:
	s_and_not1_saveexec_b32 s8, s8
; %bb.2812:
	v_add_f32_e32 v1, 0x46800000, v6
; %bb.2813:
	s_or_b32 exec_lo, exec_lo, s8
                                        ; implicit-def: $vgpr6
.LBB38_2814:
	s_and_not1_saveexec_b32 s7, s7
; %bb.2815:
	v_mov_b32_e32 v1, 0x7f
	v_cmp_lt_u32_e32 vcc_lo, 0x7f800000, v6
	s_delay_alu instid0(VALU_DEP_2)
	v_cndmask_b32_e32 v1, 0x7e, v1, vcc_lo
; %bb.2816:
	s_or_b32 exec_lo, exec_lo, s7
	global_store_b8 v[2:3], v1, off
.LBB38_2817:
	s_mov_b32 s7, 0
.LBB38_2818:
	s_delay_alu instid0(SALU_CYCLE_1)
	s_and_not1_b32 vcc_lo, exec_lo, s7
	s_cbranch_vccnz .LBB38_2828
; %bb.2819:
	s_wait_xcnt 0x0
	v_cndmask_b32_e64 v6, 0, 1.0, s3
	s_mov_b32 s7, exec_lo
                                        ; implicit-def: $vgpr1
	s_delay_alu instid0(VALU_DEP_1)
	v_cmpx_gt_u32_e32 0x47800000, v6
	s_xor_b32 s7, exec_lo, s7
	s_cbranch_execz .LBB38_2825
; %bb.2820:
	s_mov_b32 s8, exec_lo
                                        ; implicit-def: $vgpr1
	v_cmpx_lt_u32_e32 0x387fffff, v6
	s_xor_b32 s8, exec_lo, s8
; %bb.2821:
	v_bfe_u32 v1, v6, 21, 1
	s_delay_alu instid0(VALU_DEP_1) | instskip(NEXT) | instid1(VALU_DEP_1)
	v_add3_u32 v1, v6, v1, 0x80fffff
                                        ; implicit-def: $vgpr6
	v_lshrrev_b32_e32 v1, 21, v1
; %bb.2822:
	s_and_not1_saveexec_b32 s8, s8
; %bb.2823:
	v_add_f32_e32 v1, 0x43000000, v6
; %bb.2824:
	s_or_b32 exec_lo, exec_lo, s8
                                        ; implicit-def: $vgpr6
.LBB38_2825:
	s_and_not1_saveexec_b32 s7, s7
; %bb.2826:
	v_mov_b32_e32 v1, 0x7f
	v_cmp_lt_u32_e32 vcc_lo, 0x7f800000, v6
	s_delay_alu instid0(VALU_DEP_2)
	v_cndmask_b32_e32 v1, 0x7c, v1, vcc_lo
; %bb.2827:
	s_or_b32 exec_lo, exec_lo, s7
	global_store_b8 v[2:3], v1, off
.LBB38_2828:
	s_mov_b32 s7, 0
	s_mov_b32 s8, -1
.LBB38_2829:
	s_and_not1_b32 vcc_lo, exec_lo, s7
	s_mov_b32 s7, 0
	s_cbranch_vccnz .LBB38_2836
; %bb.2830:
	s_cmp_gt_i32 s6, 14
	s_mov_b32 s7, -1
	s_cbranch_scc0 .LBB38_2834
; %bb.2831:
	s_cmp_eq_u32 s6, 15
	s_mov_b32 s0, -1
	s_cbranch_scc0 .LBB38_2833
; %bb.2832:
	s_wait_xcnt 0x0
	v_cndmask_b32_e64 v1, 0, 1.0, s3
	s_mov_b32 s0, 0
	s_mov_b32 s8, -1
	s_delay_alu instid0(VALU_DEP_1) | instskip(NEXT) | instid1(VALU_DEP_1)
	v_bfe_u32 v6, v1, 16, 1
	v_add3_u32 v1, v1, v6, 0x7fff
	global_store_d16_hi_b16 v[2:3], v1, off
.LBB38_2833:
	s_mov_b32 s7, 0
.LBB38_2834:
	s_delay_alu instid0(SALU_CYCLE_1)
	s_and_b32 vcc_lo, exec_lo, s7
	s_mov_b32 s7, 0
	s_cbranch_vccz .LBB38_2836
; %bb.2835:
	s_cmp_lg_u32 s6, 11
	s_mov_b32 s7, -1
	s_cselect_b32 s0, -1, 0
.LBB38_2836:
	s_delay_alu instid0(SALU_CYCLE_1)
	s_and_b32 vcc_lo, exec_lo, s0
	s_cbranch_vccnz .LBB38_3016
; %bb.2837:
	s_and_not1_b32 vcc_lo, exec_lo, s7
	s_cbranch_vccnz .LBB38_2839
.LBB38_2838:
	s_wait_xcnt 0x0
	v_cndmask_b32_e64 v1, 0, 1, s3
	s_mov_b32 s8, -1
	global_store_b8 v[2:3], v1, off
.LBB38_2839:
	s_mov_b32 s0, 0
	s_branch .LBB38_2841
.LBB38_2840:
	s_mov_b32 s0, -1
	s_mov_b32 s8, 0
.LBB38_2841:
	s_and_b32 vcc_lo, exec_lo, s0
	s_cbranch_vccz .LBB38_2880
; %bb.2842:
	s_and_b32 s0, 0xffff, s17
	s_mov_b32 s6, -1
	s_cmp_lt_i32 s0, 5
	s_cbranch_scc1 .LBB38_2863
; %bb.2843:
	s_cmp_lt_i32 s0, 8
	s_cbranch_scc1 .LBB38_2853
; %bb.2844:
	;; [unrolled: 3-line block ×3, first 2 shown]
	s_cmp_gt_i32 s0, 9
	s_cbranch_scc0 .LBB38_2847
; %bb.2846:
	s_wait_xcnt 0x0
	v_cndmask_b32_e64 v1, 0, 1, s3
	v_mov_b32_e32 v8, 0
	s_mov_b32 s6, 0
	s_delay_alu instid0(VALU_DEP_2) | instskip(NEXT) | instid1(VALU_DEP_2)
	v_cvt_f64_u32_e32 v[6:7], v1
	v_mov_b32_e32 v9, v8
	global_store_b128 v[2:3], v[6:9], off
.LBB38_2847:
	s_and_not1_b32 vcc_lo, exec_lo, s6
	s_cbranch_vccnz .LBB38_2849
; %bb.2848:
	s_wait_xcnt 0x0
	v_cndmask_b32_e64 v6, 0, 1.0, s3
	v_mov_b32_e32 v7, 0
	global_store_b64 v[2:3], v[6:7], off
.LBB38_2849:
	s_mov_b32 s6, 0
.LBB38_2850:
	s_delay_alu instid0(SALU_CYCLE_1)
	s_and_not1_b32 vcc_lo, exec_lo, s6
	s_cbranch_vccnz .LBB38_2852
; %bb.2851:
	s_wait_xcnt 0x0
	v_cndmask_b32_e64 v1, 0, 1.0, s3
	s_delay_alu instid0(VALU_DEP_1) | instskip(NEXT) | instid1(VALU_DEP_1)
	v_cvt_f16_f32_e32 v1, v1
	v_and_b32_e32 v1, 0xffff, v1
	global_store_b32 v[2:3], v1, off
.LBB38_2852:
	s_mov_b32 s6, 0
.LBB38_2853:
	s_delay_alu instid0(SALU_CYCLE_1)
	s_and_not1_b32 vcc_lo, exec_lo, s6
	s_cbranch_vccnz .LBB38_2862
; %bb.2854:
	s_cmp_lt_i32 s0, 6
	s_mov_b32 s6, -1
	s_cbranch_scc1 .LBB38_2860
; %bb.2855:
	s_cmp_gt_i32 s0, 6
	s_cbranch_scc0 .LBB38_2857
; %bb.2856:
	s_wait_xcnt 0x0
	v_cndmask_b32_e64 v1, 0, 1, s3
	s_mov_b32 s6, 0
	s_delay_alu instid0(VALU_DEP_1)
	v_cvt_f64_u32_e32 v[6:7], v1
	global_store_b64 v[2:3], v[6:7], off
.LBB38_2857:
	s_and_not1_b32 vcc_lo, exec_lo, s6
	s_cbranch_vccnz .LBB38_2859
; %bb.2858:
	s_wait_xcnt 0x0
	v_cndmask_b32_e64 v1, 0, 1.0, s3
	global_store_b32 v[2:3], v1, off
.LBB38_2859:
	s_mov_b32 s6, 0
.LBB38_2860:
	s_delay_alu instid0(SALU_CYCLE_1)
	s_and_not1_b32 vcc_lo, exec_lo, s6
	s_cbranch_vccnz .LBB38_2862
; %bb.2861:
	s_wait_xcnt 0x0
	v_cndmask_b32_e64 v1, 0, 1.0, s3
	s_delay_alu instid0(VALU_DEP_1)
	v_cvt_f16_f32_e32 v1, v1
	global_store_b16 v[2:3], v1, off
.LBB38_2862:
	s_mov_b32 s6, 0
.LBB38_2863:
	s_delay_alu instid0(SALU_CYCLE_1)
	s_and_not1_b32 vcc_lo, exec_lo, s6
	s_cbranch_vccnz .LBB38_2879
; %bb.2864:
	s_cmp_lt_i32 s0, 2
	s_mov_b32 s6, -1
	s_cbranch_scc1 .LBB38_2874
; %bb.2865:
	s_cmp_lt_i32 s0, 3
	s_cbranch_scc1 .LBB38_2871
; %bb.2866:
	s_cmp_gt_i32 s0, 3
	s_cbranch_scc0 .LBB38_2868
; %bb.2867:
	s_mov_b32 s6, 0
	s_wait_xcnt 0x0
	v_cndmask_b32_e64 v6, 0, 1, s3
	v_mov_b32_e32 v7, s6
	global_store_b64 v[2:3], v[6:7], off
.LBB38_2868:
	s_and_not1_b32 vcc_lo, exec_lo, s6
	s_cbranch_vccnz .LBB38_2870
; %bb.2869:
	s_wait_xcnt 0x0
	v_cndmask_b32_e64 v1, 0, 1, s3
	global_store_b32 v[2:3], v1, off
.LBB38_2870:
	s_mov_b32 s6, 0
.LBB38_2871:
	s_delay_alu instid0(SALU_CYCLE_1)
	s_and_not1_b32 vcc_lo, exec_lo, s6
	s_cbranch_vccnz .LBB38_2873
; %bb.2872:
	s_wait_xcnt 0x0
	v_cndmask_b32_e64 v1, 0, 1, s3
	global_store_b16 v[2:3], v1, off
.LBB38_2873:
	s_mov_b32 s6, 0
.LBB38_2874:
	s_delay_alu instid0(SALU_CYCLE_1)
	s_and_not1_b32 vcc_lo, exec_lo, s6
	s_cbranch_vccnz .LBB38_2879
; %bb.2875:
	s_wait_xcnt 0x0
	v_cndmask_b32_e64 v1, 0, 1, s3
	s_cmp_gt_i32 s0, 0
	s_mov_b32 s0, -1
	s_cbranch_scc0 .LBB38_2877
; %bb.2876:
	s_mov_b32 s0, 0
	global_store_b8 v[2:3], v1, off
.LBB38_2877:
	s_and_not1_b32 vcc_lo, exec_lo, s0
	s_cbranch_vccnz .LBB38_2879
; %bb.2878:
	global_store_b8 v[2:3], v1, off
.LBB38_2879:
	s_mov_b32 s8, -1
.LBB38_2880:
	s_delay_alu instid0(SALU_CYCLE_1)
	s_and_not1_b32 vcc_lo, exec_lo, s8
	s_cbranch_vccnz .LBB38_2957
; %bb.2881:
	v_add_nc_u32_e32 v0, s2, v0
	v_cmp_ne_u32_e32 vcc_lo, v4, v5
	s_wait_xcnt 0x0
	s_delay_alu instid0(VALU_DEP_2) | instskip(SKIP_2) | instid1(VALU_DEP_1)
	v_ashrrev_i32_e32 v1, 31, v0
	s_xor_b32 s18, s1, vcc_lo
	s_cmp_lt_i32 s17, 11
	v_add_nc_u64_e32 v[0:1], s[4:5], v[0:1]
	s_cbranch_scc1 .LBB38_3002
; %bb.2882:
	s_and_b32 s1, 0xffff, s17
	s_mov_b32 s3, -1
	s_mov_b32 s2, 0
	s_cmp_gt_i32 s1, 25
	s_mov_b32 s0, 0
	s_cbranch_scc0 .LBB38_2915
; %bb.2883:
	s_cmp_gt_i32 s1, 28
	s_cbranch_scc0 .LBB38_2899
; %bb.2884:
	s_cmp_gt_i32 s1, 43
	;; [unrolled: 3-line block ×3, first 2 shown]
	s_cbranch_scc0 .LBB38_2889
; %bb.2886:
	s_cmp_eq_u32 s1, 46
	s_mov_b32 s0, -1
	s_cbranch_scc0 .LBB38_2888
; %bb.2887:
	v_cndmask_b32_e64 v2, 0, 1.0, s18
	s_mov_b32 s0, 0
	s_delay_alu instid0(VALU_DEP_1) | instskip(NEXT) | instid1(VALU_DEP_1)
	v_bfe_u32 v3, v2, 16, 1
	v_add3_u32 v2, v2, v3, 0x7fff
	s_delay_alu instid0(VALU_DEP_1)
	v_lshrrev_b32_e32 v2, 16, v2
	global_store_b32 v[0:1], v2, off
.LBB38_2888:
	s_mov_b32 s3, 0
.LBB38_2889:
	s_delay_alu instid0(SALU_CYCLE_1)
	s_and_b32 vcc_lo, exec_lo, s3
	s_cbranch_vccz .LBB38_2894
; %bb.2890:
	s_cmp_eq_u32 s1, 44
	s_mov_b32 s0, -1
	s_cbranch_scc0 .LBB38_2894
; %bb.2891:
	v_cndmask_b32_e64 v4, 0, 1.0, s18
	s_mov_b32 s3, exec_lo
	s_wait_xcnt 0x0
	s_delay_alu instid0(VALU_DEP_1) | instskip(NEXT) | instid1(VALU_DEP_1)
	v_dual_mov_b32 v3, 0xff :: v_dual_lshrrev_b32 v2, 23, v4
	v_cmpx_ne_u32_e32 0xff, v2
; %bb.2892:
	v_and_b32_e32 v3, 0x400000, v4
	v_and_or_b32 v4, 0x3fffff, v4, v2
	s_delay_alu instid0(VALU_DEP_2) | instskip(NEXT) | instid1(VALU_DEP_2)
	v_cmp_ne_u32_e32 vcc_lo, 0, v3
	v_cmp_ne_u32_e64 s0, 0, v4
	s_and_b32 s0, vcc_lo, s0
	s_delay_alu instid0(SALU_CYCLE_1) | instskip(NEXT) | instid1(VALU_DEP_1)
	v_cndmask_b32_e64 v3, 0, 1, s0
	v_add_nc_u32_e32 v3, v2, v3
; %bb.2893:
	s_or_b32 exec_lo, exec_lo, s3
	s_mov_b32 s0, 0
	global_store_b8 v[0:1], v3, off
.LBB38_2894:
	s_mov_b32 s3, 0
.LBB38_2895:
	s_delay_alu instid0(SALU_CYCLE_1)
	s_and_b32 vcc_lo, exec_lo, s3
	s_cbranch_vccz .LBB38_2898
; %bb.2896:
	s_cmp_eq_u32 s1, 29
	s_mov_b32 s0, -1
	s_cbranch_scc0 .LBB38_2898
; %bb.2897:
	s_mov_b32 s0, 0
	s_wait_xcnt 0x0
	v_cndmask_b32_e64 v2, 0, 1, s18
	v_mov_b32_e32 v3, s0
	global_store_b64 v[0:1], v[2:3], off
.LBB38_2898:
	s_mov_b32 s3, 0
.LBB38_2899:
	s_delay_alu instid0(SALU_CYCLE_1)
	s_and_b32 vcc_lo, exec_lo, s3
	s_cbranch_vccz .LBB38_2914
; %bb.2900:
	s_cmp_lt_i32 s1, 27
	s_mov_b32 s3, -1
	s_cbranch_scc1 .LBB38_2906
; %bb.2901:
	s_wait_xcnt 0x0
	v_cndmask_b32_e64 v2, 0, 1, s18
	s_cmp_gt_i32 s1, 27
	s_cbranch_scc0 .LBB38_2903
; %bb.2902:
	s_mov_b32 s3, 0
	global_store_b32 v[0:1], v2, off
.LBB38_2903:
	s_and_not1_b32 vcc_lo, exec_lo, s3
	s_cbranch_vccnz .LBB38_2905
; %bb.2904:
	global_store_b16 v[0:1], v2, off
.LBB38_2905:
	s_mov_b32 s3, 0
.LBB38_2906:
	s_delay_alu instid0(SALU_CYCLE_1)
	s_and_not1_b32 vcc_lo, exec_lo, s3
	s_cbranch_vccnz .LBB38_2914
; %bb.2907:
	s_wait_xcnt 0x0
	v_cndmask_b32_e64 v3, 0, 1.0, s18
	v_mov_b32_e32 v4, 0x80
	s_mov_b32 s3, exec_lo
	s_delay_alu instid0(VALU_DEP_2)
	v_cmpx_gt_u32_e32 0x43800000, v3
	s_cbranch_execz .LBB38_2913
; %bb.2908:
	s_mov_b32 s4, 0
	s_mov_b32 s5, exec_lo
                                        ; implicit-def: $vgpr2
	v_cmpx_lt_u32_e32 0x3bffffff, v3
	s_xor_b32 s5, exec_lo, s5
	s_cbranch_execz .LBB38_3019
; %bb.2909:
	v_bfe_u32 v2, v3, 20, 1
	s_mov_b32 s4, exec_lo
	s_delay_alu instid0(VALU_DEP_1) | instskip(NEXT) | instid1(VALU_DEP_1)
	v_add3_u32 v2, v3, v2, 0x487ffff
                                        ; implicit-def: $vgpr3
	v_lshrrev_b32_e32 v2, 20, v2
	s_and_not1_saveexec_b32 s5, s5
	s_cbranch_execnz .LBB38_3020
.LBB38_2910:
	s_or_b32 exec_lo, exec_lo, s5
	v_mov_b32_e32 v4, 0
	s_and_saveexec_b32 s5, s4
.LBB38_2911:
	v_mov_b32_e32 v4, v2
.LBB38_2912:
	s_or_b32 exec_lo, exec_lo, s5
.LBB38_2913:
	s_delay_alu instid0(SALU_CYCLE_1)
	s_or_b32 exec_lo, exec_lo, s3
	global_store_b8 v[0:1], v4, off
.LBB38_2914:
	s_mov_b32 s3, 0
.LBB38_2915:
	s_delay_alu instid0(SALU_CYCLE_1)
	s_and_b32 vcc_lo, exec_lo, s3
	s_cbranch_vccz .LBB38_2955
; %bb.2916:
	s_cmp_gt_i32 s1, 22
	s_mov_b32 s2, -1
	s_cbranch_scc0 .LBB38_2948
; %bb.2917:
	s_cmp_lt_i32 s1, 24
	s_cbranch_scc1 .LBB38_2937
; %bb.2918:
	s_cmp_gt_i32 s1, 24
	s_cbranch_scc0 .LBB38_2926
; %bb.2919:
	s_wait_xcnt 0x0
	v_cndmask_b32_e64 v3, 0, 1.0, s18
	v_mov_b32_e32 v4, 0x80
	s_mov_b32 s2, exec_lo
	s_delay_alu instid0(VALU_DEP_2)
	v_cmpx_gt_u32_e32 0x47800000, v3
	s_cbranch_execz .LBB38_2925
; %bb.2920:
	s_mov_b32 s3, 0
	s_mov_b32 s4, exec_lo
                                        ; implicit-def: $vgpr2
	v_cmpx_lt_u32_e32 0x37ffffff, v3
	s_xor_b32 s4, exec_lo, s4
	s_cbranch_execz .LBB38_3022
; %bb.2921:
	v_bfe_u32 v2, v3, 21, 1
	s_mov_b32 s3, exec_lo
	s_delay_alu instid0(VALU_DEP_1) | instskip(NEXT) | instid1(VALU_DEP_1)
	v_add3_u32 v2, v3, v2, 0x88fffff
                                        ; implicit-def: $vgpr3
	v_lshrrev_b32_e32 v2, 21, v2
	s_and_not1_saveexec_b32 s4, s4
	s_cbranch_execnz .LBB38_3023
.LBB38_2922:
	s_or_b32 exec_lo, exec_lo, s4
	v_mov_b32_e32 v4, 0
	s_and_saveexec_b32 s4, s3
.LBB38_2923:
	v_mov_b32_e32 v4, v2
.LBB38_2924:
	s_or_b32 exec_lo, exec_lo, s4
.LBB38_2925:
	s_delay_alu instid0(SALU_CYCLE_1)
	s_or_b32 exec_lo, exec_lo, s2
	s_mov_b32 s2, 0
	global_store_b8 v[0:1], v4, off
.LBB38_2926:
	s_and_b32 vcc_lo, exec_lo, s2
	s_cbranch_vccz .LBB38_2936
; %bb.2927:
	s_wait_xcnt 0x0
	v_cndmask_b32_e64 v3, 0, 1.0, s18
	s_mov_b32 s2, exec_lo
                                        ; implicit-def: $vgpr2
	s_delay_alu instid0(VALU_DEP_1)
	v_cmpx_gt_u32_e32 0x43f00000, v3
	s_xor_b32 s2, exec_lo, s2
	s_cbranch_execz .LBB38_2933
; %bb.2928:
	s_mov_b32 s3, exec_lo
                                        ; implicit-def: $vgpr2
	v_cmpx_lt_u32_e32 0x3c7fffff, v3
	s_xor_b32 s3, exec_lo, s3
; %bb.2929:
	v_bfe_u32 v2, v3, 20, 1
	s_delay_alu instid0(VALU_DEP_1) | instskip(NEXT) | instid1(VALU_DEP_1)
	v_add3_u32 v2, v3, v2, 0x407ffff
	v_and_b32_e32 v3, 0xff00000, v2
	v_lshrrev_b32_e32 v2, 20, v2
	s_delay_alu instid0(VALU_DEP_2) | instskip(NEXT) | instid1(VALU_DEP_2)
	v_cmp_ne_u32_e32 vcc_lo, 0x7f00000, v3
                                        ; implicit-def: $vgpr3
	v_cndmask_b32_e32 v2, 0x7e, v2, vcc_lo
; %bb.2930:
	s_and_not1_saveexec_b32 s3, s3
; %bb.2931:
	v_add_f32_e32 v2, 0x46800000, v3
; %bb.2932:
	s_or_b32 exec_lo, exec_lo, s3
                                        ; implicit-def: $vgpr3
.LBB38_2933:
	s_and_not1_saveexec_b32 s2, s2
; %bb.2934:
	v_mov_b32_e32 v2, 0x7f
	v_cmp_lt_u32_e32 vcc_lo, 0x7f800000, v3
	s_delay_alu instid0(VALU_DEP_2)
	v_cndmask_b32_e32 v2, 0x7e, v2, vcc_lo
; %bb.2935:
	s_or_b32 exec_lo, exec_lo, s2
	global_store_b8 v[0:1], v2, off
.LBB38_2936:
	s_mov_b32 s2, 0
.LBB38_2937:
	s_delay_alu instid0(SALU_CYCLE_1)
	s_and_not1_b32 vcc_lo, exec_lo, s2
	s_cbranch_vccnz .LBB38_2947
; %bb.2938:
	s_wait_xcnt 0x0
	v_cndmask_b32_e64 v3, 0, 1.0, s18
	s_mov_b32 s2, exec_lo
                                        ; implicit-def: $vgpr2
	s_delay_alu instid0(VALU_DEP_1)
	v_cmpx_gt_u32_e32 0x47800000, v3
	s_xor_b32 s2, exec_lo, s2
	s_cbranch_execz .LBB38_2944
; %bb.2939:
	s_mov_b32 s3, exec_lo
                                        ; implicit-def: $vgpr2
	v_cmpx_lt_u32_e32 0x387fffff, v3
	s_xor_b32 s3, exec_lo, s3
; %bb.2940:
	v_bfe_u32 v2, v3, 21, 1
	s_delay_alu instid0(VALU_DEP_1) | instskip(NEXT) | instid1(VALU_DEP_1)
	v_add3_u32 v2, v3, v2, 0x80fffff
                                        ; implicit-def: $vgpr3
	v_lshrrev_b32_e32 v2, 21, v2
; %bb.2941:
	s_and_not1_saveexec_b32 s3, s3
; %bb.2942:
	v_add_f32_e32 v2, 0x43000000, v3
; %bb.2943:
	s_or_b32 exec_lo, exec_lo, s3
                                        ; implicit-def: $vgpr3
.LBB38_2944:
	s_and_not1_saveexec_b32 s2, s2
; %bb.2945:
	v_mov_b32_e32 v2, 0x7f
	v_cmp_lt_u32_e32 vcc_lo, 0x7f800000, v3
	s_delay_alu instid0(VALU_DEP_2)
	v_cndmask_b32_e32 v2, 0x7c, v2, vcc_lo
; %bb.2946:
	s_or_b32 exec_lo, exec_lo, s2
	global_store_b8 v[0:1], v2, off
.LBB38_2947:
	s_mov_b32 s2, 0
.LBB38_2948:
	s_delay_alu instid0(SALU_CYCLE_1)
	s_and_not1_b32 vcc_lo, exec_lo, s2
	s_mov_b32 s2, 0
	s_cbranch_vccnz .LBB38_2955
; %bb.2949:
	s_cmp_gt_i32 s1, 14
	s_mov_b32 s2, -1
	s_cbranch_scc0 .LBB38_2953
; %bb.2950:
	s_cmp_eq_u32 s1, 15
	s_mov_b32 s0, -1
	s_cbranch_scc0 .LBB38_2952
; %bb.2951:
	s_wait_xcnt 0x0
	v_cndmask_b32_e64 v2, 0, 1.0, s18
	s_mov_b32 s0, 0
	s_delay_alu instid0(VALU_DEP_1) | instskip(NEXT) | instid1(VALU_DEP_1)
	v_bfe_u32 v3, v2, 16, 1
	v_add3_u32 v2, v2, v3, 0x7fff
	global_store_d16_hi_b16 v[0:1], v2, off
.LBB38_2952:
	s_mov_b32 s2, 0
.LBB38_2953:
	s_delay_alu instid0(SALU_CYCLE_1)
	s_and_b32 vcc_lo, exec_lo, s2
	s_mov_b32 s2, 0
	s_cbranch_vccz .LBB38_2955
; %bb.2954:
	s_cmp_lg_u32 s1, 11
	s_mov_b32 s2, -1
	s_cselect_b32 s0, -1, 0
.LBB38_2955:
	s_delay_alu instid0(SALU_CYCLE_1)
	s_and_b32 vcc_lo, exec_lo, s0
	s_cbranch_vccnz .LBB38_3021
.LBB38_2956:
	s_mov_b32 s0, 0
	s_branch .LBB38_2958
.LBB38_2957:
	s_mov_b32 s0, 0
	s_mov_b32 s2, 0
                                        ; implicit-def: $sgpr18
                                        ; implicit-def: $sgpr17
                                        ; implicit-def: $vgpr0_vgpr1
.LBB38_2958:
	s_and_not1_b32 s1, s16, exec_lo
	s_and_b32 s3, s13, exec_lo
	s_and_b32 s0, s0, exec_lo
	;; [unrolled: 1-line block ×3, first 2 shown]
	s_or_b32 s16, s1, s3
.LBB38_2959:
	s_wait_xcnt 0x0
	s_or_b32 exec_lo, exec_lo, s15
	s_and_saveexec_b32 s1, s16
	s_cbranch_execz .LBB38_2962
; %bb.2960:
	; divergent unreachable
	s_or_b32 exec_lo, exec_lo, s1
	s_and_saveexec_b32 s1, s13
	s_delay_alu instid0(SALU_CYCLE_1)
	s_xor_b32 s1, exec_lo, s1
	s_cbranch_execnz .LBB38_2963
.LBB38_2961:
	s_or_b32 exec_lo, exec_lo, s1
	s_and_saveexec_b32 s1, s0
	s_cbranch_execnz .LBB38_2964
	s_branch .LBB38_3001
.LBB38_2962:
	s_or_b32 exec_lo, exec_lo, s1
	s_and_saveexec_b32 s1, s13
	s_delay_alu instid0(SALU_CYCLE_1)
	s_xor_b32 s1, exec_lo, s1
	s_cbranch_execz .LBB38_2961
.LBB38_2963:
	s_wait_loadcnt 0x0
	v_cndmask_b32_e64 v2, 0, 1, s18
	global_store_b8 v[0:1], v2, off
	s_wait_xcnt 0x0
	s_or_b32 exec_lo, exec_lo, s1
	s_and_saveexec_b32 s1, s0
	s_cbranch_execz .LBB38_3001
.LBB38_2964:
	s_sext_i32_i16 s1, s17
	s_mov_b32 s0, -1
	s_cmp_lt_i32 s1, 5
	s_cbranch_scc1 .LBB38_2985
; %bb.2965:
	s_cmp_lt_i32 s1, 8
	s_cbranch_scc1 .LBB38_2975
; %bb.2966:
	;; [unrolled: 3-line block ×3, first 2 shown]
	s_cmp_gt_i32 s1, 9
	s_cbranch_scc0 .LBB38_2969
; %bb.2968:
	s_wait_loadcnt 0x0
	v_cndmask_b32_e64 v2, 0, 1, s18
	v_mov_b32_e32 v4, 0
	s_mov_b32 s0, 0
	s_delay_alu instid0(VALU_DEP_2) | instskip(NEXT) | instid1(VALU_DEP_2)
	v_cvt_f64_u32_e32 v[2:3], v2
	v_mov_b32_e32 v5, v4
	global_store_b128 v[0:1], v[2:5], off
.LBB38_2969:
	s_and_not1_b32 vcc_lo, exec_lo, s0
	s_cbranch_vccnz .LBB38_2971
; %bb.2970:
	s_wait_loadcnt 0x0
	v_cndmask_b32_e64 v2, 0, 1.0, s18
	v_mov_b32_e32 v3, 0
	global_store_b64 v[0:1], v[2:3], off
.LBB38_2971:
	s_mov_b32 s0, 0
.LBB38_2972:
	s_delay_alu instid0(SALU_CYCLE_1)
	s_and_not1_b32 vcc_lo, exec_lo, s0
	s_cbranch_vccnz .LBB38_2974
; %bb.2973:
	s_wait_loadcnt 0x0
	v_cndmask_b32_e64 v2, 0, 1.0, s18
	s_delay_alu instid0(VALU_DEP_1) | instskip(NEXT) | instid1(VALU_DEP_1)
	v_cvt_f16_f32_e32 v2, v2
	v_and_b32_e32 v2, 0xffff, v2
	global_store_b32 v[0:1], v2, off
.LBB38_2974:
	s_mov_b32 s0, 0
.LBB38_2975:
	s_delay_alu instid0(SALU_CYCLE_1)
	s_and_not1_b32 vcc_lo, exec_lo, s0
	s_cbranch_vccnz .LBB38_2984
; %bb.2976:
	s_sext_i32_i16 s1, s17
	s_mov_b32 s0, -1
	s_cmp_lt_i32 s1, 6
	s_cbranch_scc1 .LBB38_2982
; %bb.2977:
	s_cmp_gt_i32 s1, 6
	s_cbranch_scc0 .LBB38_2979
; %bb.2978:
	s_wait_loadcnt 0x0
	v_cndmask_b32_e64 v2, 0, 1, s18
	s_mov_b32 s0, 0
	s_delay_alu instid0(VALU_DEP_1)
	v_cvt_f64_u32_e32 v[2:3], v2
	global_store_b64 v[0:1], v[2:3], off
.LBB38_2979:
	s_and_not1_b32 vcc_lo, exec_lo, s0
	s_cbranch_vccnz .LBB38_2981
; %bb.2980:
	s_wait_loadcnt 0x0
	v_cndmask_b32_e64 v2, 0, 1.0, s18
	global_store_b32 v[0:1], v2, off
.LBB38_2981:
	s_mov_b32 s0, 0
.LBB38_2982:
	s_delay_alu instid0(SALU_CYCLE_1)
	s_and_not1_b32 vcc_lo, exec_lo, s0
	s_cbranch_vccnz .LBB38_2984
; %bb.2983:
	s_wait_loadcnt 0x0
	v_cndmask_b32_e64 v2, 0, 1.0, s18
	s_delay_alu instid0(VALU_DEP_1)
	v_cvt_f16_f32_e32 v2, v2
	global_store_b16 v[0:1], v2, off
.LBB38_2984:
	s_mov_b32 s0, 0
.LBB38_2985:
	s_delay_alu instid0(SALU_CYCLE_1)
	s_and_not1_b32 vcc_lo, exec_lo, s0
	s_cbranch_vccnz .LBB38_3001
; %bb.2986:
	s_sext_i32_i16 s1, s17
	s_mov_b32 s0, -1
	s_cmp_lt_i32 s1, 2
	s_cbranch_scc1 .LBB38_2996
; %bb.2987:
	s_cmp_lt_i32 s1, 3
	s_cbranch_scc1 .LBB38_2993
; %bb.2988:
	s_cmp_gt_i32 s1, 3
	s_cbranch_scc0 .LBB38_2990
; %bb.2989:
	s_mov_b32 s0, 0
	s_wait_loadcnt 0x0
	v_cndmask_b32_e64 v2, 0, 1, s18
	v_mov_b32_e32 v3, s0
	global_store_b64 v[0:1], v[2:3], off
.LBB38_2990:
	s_and_not1_b32 vcc_lo, exec_lo, s0
	s_cbranch_vccnz .LBB38_2992
; %bb.2991:
	s_wait_loadcnt 0x0
	v_cndmask_b32_e64 v2, 0, 1, s18
	global_store_b32 v[0:1], v2, off
.LBB38_2992:
	s_mov_b32 s0, 0
.LBB38_2993:
	s_delay_alu instid0(SALU_CYCLE_1)
	s_and_not1_b32 vcc_lo, exec_lo, s0
	s_cbranch_vccnz .LBB38_2995
; %bb.2994:
	s_wait_loadcnt 0x0
	v_cndmask_b32_e64 v2, 0, 1, s18
	global_store_b16 v[0:1], v2, off
.LBB38_2995:
	s_mov_b32 s0, 0
.LBB38_2996:
	s_delay_alu instid0(SALU_CYCLE_1)
	s_and_not1_b32 vcc_lo, exec_lo, s0
	s_cbranch_vccnz .LBB38_3001
; %bb.2997:
	s_wait_loadcnt 0x0
	v_cndmask_b32_e64 v2, 0, 1, s18
	s_sext_i32_i16 s0, s17
	s_delay_alu instid0(SALU_CYCLE_1)
	s_cmp_gt_i32 s0, 0
	s_mov_b32 s0, -1
	s_cbranch_scc0 .LBB38_2999
; %bb.2998:
	s_mov_b32 s0, 0
	global_store_b8 v[0:1], v2, off
.LBB38_2999:
	s_and_not1_b32 vcc_lo, exec_lo, s0
	s_cbranch_vccnz .LBB38_3001
; %bb.3000:
	global_store_b8 v[0:1], v2, off
	s_endpgm
.LBB38_3001:
	s_endpgm
.LBB38_3002:
	s_mov_b32 s2, 0
	s_mov_b32 s0, -1
	s_branch .LBB38_2958
.LBB38_3003:
	s_or_b32 s13, s13, exec_lo
	s_trap 2
	s_cbranch_execz .LBB38_2473
	s_branch .LBB38_2474
.LBB38_3004:
	s_and_not1_saveexec_b32 s10, s10
	s_cbranch_execz .LBB38_2553
.LBB38_3005:
	v_add_f32_e32 v1, 0x46000000, v6
	s_and_not1_b32 s9, s9, exec_lo
	s_delay_alu instid0(VALU_DEP_1) | instskip(NEXT) | instid1(VALU_DEP_1)
	v_and_b32_e32 v1, 0xff, v1
	v_cmp_ne_u32_e32 vcc_lo, 0, v1
	s_and_b32 s11, vcc_lo, exec_lo
	s_delay_alu instid0(SALU_CYCLE_1)
	s_or_b32 s9, s9, s11
	s_or_b32 exec_lo, exec_lo, s10
	v_mov_b32_e32 v7, 0
	s_and_saveexec_b32 s10, s9
	s_cbranch_execnz .LBB38_2554
	s_branch .LBB38_2555
.LBB38_3006:
	s_or_b32 s13, s13, exec_lo
	s_trap 2
	s_cbranch_execz .LBB38_2601
	s_branch .LBB38_2602
.LBB38_3007:
	s_and_not1_saveexec_b32 s9, s9
	s_cbranch_execz .LBB38_2566
.LBB38_3008:
	v_add_f32_e32 v1, 0x42800000, v6
	s_and_not1_b32 s7, s7, exec_lo
	s_delay_alu instid0(VALU_DEP_1) | instskip(NEXT) | instid1(VALU_DEP_1)
	v_and_b32_e32 v1, 0xff, v1
	v_cmp_ne_u32_e32 vcc_lo, 0, v1
	s_and_b32 s10, vcc_lo, exec_lo
	s_delay_alu instid0(SALU_CYCLE_1)
	s_or_b32 s7, s7, s10
	s_or_b32 exec_lo, exec_lo, s9
	v_mov_b32_e32 v7, 0
	s_and_saveexec_b32 s9, s7
	s_cbranch_execnz .LBB38_2567
	s_branch .LBB38_2568
.LBB38_3009:
	s_and_not1_saveexec_b32 s10, s10
	s_cbranch_execz .LBB38_2671
.LBB38_3010:
	v_add_f32_e32 v1, 0x46000000, v6
	s_and_not1_b32 s9, s9, exec_lo
	s_delay_alu instid0(VALU_DEP_1) | instskip(NEXT) | instid1(VALU_DEP_1)
	v_and_b32_e32 v1, 0xff, v1
	v_cmp_ne_u32_e32 vcc_lo, 0, v1
	s_and_b32 s11, vcc_lo, exec_lo
	s_delay_alu instid0(SALU_CYCLE_1)
	s_or_b32 s9, s9, s11
	s_or_b32 exec_lo, exec_lo, s10
	v_mov_b32_e32 v7, 0
	s_and_saveexec_b32 s10, s9
	s_cbranch_execnz .LBB38_2672
	s_branch .LBB38_2673
.LBB38_3011:
	s_or_b32 s13, s13, exec_lo
	s_trap 2
	s_cbranch_execz .LBB38_2719
	s_branch .LBB38_2720
.LBB38_3012:
	s_and_not1_saveexec_b32 s9, s9
	s_cbranch_execz .LBB38_2684
.LBB38_3013:
	v_add_f32_e32 v1, 0x42800000, v6
	s_and_not1_b32 s8, s8, exec_lo
	s_delay_alu instid0(VALU_DEP_1) | instskip(NEXT) | instid1(VALU_DEP_1)
	v_and_b32_e32 v1, 0xff, v1
	v_cmp_ne_u32_e32 vcc_lo, 0, v1
	s_and_b32 s10, vcc_lo, exec_lo
	s_delay_alu instid0(SALU_CYCLE_1)
	s_or_b32 s8, s8, s10
	s_or_b32 exec_lo, exec_lo, s9
	v_mov_b32_e32 v7, 0
	s_and_saveexec_b32 s9, s8
	s_cbranch_execnz .LBB38_2685
	s_branch .LBB38_2686
.LBB38_3014:
	s_and_not1_saveexec_b32 s10, s10
	s_cbranch_execz .LBB38_2790
.LBB38_3015:
	v_add_f32_e32 v1, 0x46000000, v6
	s_and_not1_b32 s9, s9, exec_lo
	s_delay_alu instid0(VALU_DEP_1) | instskip(NEXT) | instid1(VALU_DEP_1)
	v_and_b32_e32 v1, 0xff, v1
	v_cmp_ne_u32_e32 vcc_lo, 0, v1
	s_and_b32 s11, vcc_lo, exec_lo
	s_delay_alu instid0(SALU_CYCLE_1)
	s_or_b32 s9, s9, s11
	s_or_b32 exec_lo, exec_lo, s10
	v_mov_b32_e32 v7, 0
	s_and_saveexec_b32 s10, s9
	s_cbranch_execnz .LBB38_2791
	s_branch .LBB38_2792
.LBB38_3016:
	s_or_b32 s13, s13, exec_lo
	s_trap 2
	s_cbranch_execz .LBB38_2838
	s_branch .LBB38_2839
.LBB38_3017:
	s_and_not1_saveexec_b32 s9, s9
	s_cbranch_execz .LBB38_2803
.LBB38_3018:
	v_add_f32_e32 v1, 0x42800000, v6
	s_and_not1_b32 s8, s8, exec_lo
	s_delay_alu instid0(VALU_DEP_1) | instskip(NEXT) | instid1(VALU_DEP_1)
	v_and_b32_e32 v1, 0xff, v1
	v_cmp_ne_u32_e32 vcc_lo, 0, v1
	s_and_b32 s10, vcc_lo, exec_lo
	s_delay_alu instid0(SALU_CYCLE_1)
	s_or_b32 s8, s8, s10
	s_or_b32 exec_lo, exec_lo, s9
	v_mov_b32_e32 v7, 0
	s_and_saveexec_b32 s9, s8
	s_cbranch_execnz .LBB38_2804
	s_branch .LBB38_2805
.LBB38_3019:
	s_and_not1_saveexec_b32 s5, s5
	s_cbranch_execz .LBB38_2910
.LBB38_3020:
	v_add_f32_e32 v2, 0x46000000, v3
	s_and_not1_b32 s4, s4, exec_lo
	s_delay_alu instid0(VALU_DEP_1) | instskip(NEXT) | instid1(VALU_DEP_1)
	v_and_b32_e32 v2, 0xff, v2
	v_cmp_ne_u32_e32 vcc_lo, 0, v2
	s_and_b32 s6, vcc_lo, exec_lo
	s_delay_alu instid0(SALU_CYCLE_1)
	s_or_b32 s4, s4, s6
	s_or_b32 exec_lo, exec_lo, s5
	v_mov_b32_e32 v4, 0
	s_and_saveexec_b32 s5, s4
	s_cbranch_execnz .LBB38_2911
	s_branch .LBB38_2912
.LBB38_3021:
	s_mov_b32 s2, 0
	s_or_b32 s13, s13, exec_lo
	s_trap 2
	s_branch .LBB38_2956
.LBB38_3022:
	s_and_not1_saveexec_b32 s4, s4
	s_cbranch_execz .LBB38_2922
.LBB38_3023:
	v_add_f32_e32 v2, 0x42800000, v3
	s_and_not1_b32 s3, s3, exec_lo
	s_delay_alu instid0(VALU_DEP_1) | instskip(NEXT) | instid1(VALU_DEP_1)
	v_and_b32_e32 v2, 0xff, v2
	v_cmp_ne_u32_e32 vcc_lo, 0, v2
	s_and_b32 s5, vcc_lo, exec_lo
	s_delay_alu instid0(SALU_CYCLE_1)
	s_or_b32 s3, s3, s5
	s_or_b32 exec_lo, exec_lo, s4
	v_mov_b32_e32 v4, 0
	s_and_saveexec_b32 s4, s3
	s_cbranch_execnz .LBB38_2923
	s_branch .LBB38_2924
	.section	.rodata,"a",@progbits
	.p2align	6, 0x0
	.amdhsa_kernel _ZN2at6native32elementwise_kernel_manual_unrollILi128ELi4EZNS0_15gpu_kernel_implINS0_13BinaryFunctorIiibNS0_12_GLOBAL__N_116CompareEqFunctorIiEEEEEEvRNS_18TensorIteratorBaseERKT_EUlibE_EEviT1_
		.amdhsa_group_segment_fixed_size 0
		.amdhsa_private_segment_fixed_size 0
		.amdhsa_kernarg_size 56
		.amdhsa_user_sgpr_count 2
		.amdhsa_user_sgpr_dispatch_ptr 0
		.amdhsa_user_sgpr_queue_ptr 0
		.amdhsa_user_sgpr_kernarg_segment_ptr 1
		.amdhsa_user_sgpr_dispatch_id 0
		.amdhsa_user_sgpr_kernarg_preload_length 0
		.amdhsa_user_sgpr_kernarg_preload_offset 0
		.amdhsa_user_sgpr_private_segment_size 0
		.amdhsa_wavefront_size32 1
		.amdhsa_uses_dynamic_stack 0
		.amdhsa_enable_private_segment 0
		.amdhsa_system_sgpr_workgroup_id_x 1
		.amdhsa_system_sgpr_workgroup_id_y 0
		.amdhsa_system_sgpr_workgroup_id_z 0
		.amdhsa_system_sgpr_workgroup_info 0
		.amdhsa_system_vgpr_workitem_id 0
		.amdhsa_next_free_vgpr 18
		.amdhsa_next_free_sgpr 37
		.amdhsa_named_barrier_count 0
		.amdhsa_reserve_vcc 1
		.amdhsa_float_round_mode_32 0
		.amdhsa_float_round_mode_16_64 0
		.amdhsa_float_denorm_mode_32 3
		.amdhsa_float_denorm_mode_16_64 3
		.amdhsa_fp16_overflow 0
		.amdhsa_memory_ordered 1
		.amdhsa_forward_progress 1
		.amdhsa_inst_pref_size 255
		.amdhsa_round_robin_scheduling 0
		.amdhsa_exception_fp_ieee_invalid_op 0
		.amdhsa_exception_fp_denorm_src 0
		.amdhsa_exception_fp_ieee_div_zero 0
		.amdhsa_exception_fp_ieee_overflow 0
		.amdhsa_exception_fp_ieee_underflow 0
		.amdhsa_exception_fp_ieee_inexact 0
		.amdhsa_exception_int_div_zero 0
	.end_amdhsa_kernel
	.section	.text._ZN2at6native32elementwise_kernel_manual_unrollILi128ELi4EZNS0_15gpu_kernel_implINS0_13BinaryFunctorIiibNS0_12_GLOBAL__N_116CompareEqFunctorIiEEEEEEvRNS_18TensorIteratorBaseERKT_EUlibE_EEviT1_,"axG",@progbits,_ZN2at6native32elementwise_kernel_manual_unrollILi128ELi4EZNS0_15gpu_kernel_implINS0_13BinaryFunctorIiibNS0_12_GLOBAL__N_116CompareEqFunctorIiEEEEEEvRNS_18TensorIteratorBaseERKT_EUlibE_EEviT1_,comdat
.Lfunc_end38:
	.size	_ZN2at6native32elementwise_kernel_manual_unrollILi128ELi4EZNS0_15gpu_kernel_implINS0_13BinaryFunctorIiibNS0_12_GLOBAL__N_116CompareEqFunctorIiEEEEEEvRNS_18TensorIteratorBaseERKT_EUlibE_EEviT1_, .Lfunc_end38-_ZN2at6native32elementwise_kernel_manual_unrollILi128ELi4EZNS0_15gpu_kernel_implINS0_13BinaryFunctorIiibNS0_12_GLOBAL__N_116CompareEqFunctorIiEEEEEEvRNS_18TensorIteratorBaseERKT_EUlibE_EEviT1_
                                        ; -- End function
	.set _ZN2at6native32elementwise_kernel_manual_unrollILi128ELi4EZNS0_15gpu_kernel_implINS0_13BinaryFunctorIiibNS0_12_GLOBAL__N_116CompareEqFunctorIiEEEEEEvRNS_18TensorIteratorBaseERKT_EUlibE_EEviT1_.num_vgpr, 18
	.set _ZN2at6native32elementwise_kernel_manual_unrollILi128ELi4EZNS0_15gpu_kernel_implINS0_13BinaryFunctorIiibNS0_12_GLOBAL__N_116CompareEqFunctorIiEEEEEEvRNS_18TensorIteratorBaseERKT_EUlibE_EEviT1_.num_agpr, 0
	.set _ZN2at6native32elementwise_kernel_manual_unrollILi128ELi4EZNS0_15gpu_kernel_implINS0_13BinaryFunctorIiibNS0_12_GLOBAL__N_116CompareEqFunctorIiEEEEEEvRNS_18TensorIteratorBaseERKT_EUlibE_EEviT1_.numbered_sgpr, 37
	.set _ZN2at6native32elementwise_kernel_manual_unrollILi128ELi4EZNS0_15gpu_kernel_implINS0_13BinaryFunctorIiibNS0_12_GLOBAL__N_116CompareEqFunctorIiEEEEEEvRNS_18TensorIteratorBaseERKT_EUlibE_EEviT1_.num_named_barrier, 0
	.set _ZN2at6native32elementwise_kernel_manual_unrollILi128ELi4EZNS0_15gpu_kernel_implINS0_13BinaryFunctorIiibNS0_12_GLOBAL__N_116CompareEqFunctorIiEEEEEEvRNS_18TensorIteratorBaseERKT_EUlibE_EEviT1_.private_seg_size, 0
	.set _ZN2at6native32elementwise_kernel_manual_unrollILi128ELi4EZNS0_15gpu_kernel_implINS0_13BinaryFunctorIiibNS0_12_GLOBAL__N_116CompareEqFunctorIiEEEEEEvRNS_18TensorIteratorBaseERKT_EUlibE_EEviT1_.uses_vcc, 1
	.set _ZN2at6native32elementwise_kernel_manual_unrollILi128ELi4EZNS0_15gpu_kernel_implINS0_13BinaryFunctorIiibNS0_12_GLOBAL__N_116CompareEqFunctorIiEEEEEEvRNS_18TensorIteratorBaseERKT_EUlibE_EEviT1_.uses_flat_scratch, 0
	.set _ZN2at6native32elementwise_kernel_manual_unrollILi128ELi4EZNS0_15gpu_kernel_implINS0_13BinaryFunctorIiibNS0_12_GLOBAL__N_116CompareEqFunctorIiEEEEEEvRNS_18TensorIteratorBaseERKT_EUlibE_EEviT1_.has_dyn_sized_stack, 0
	.set _ZN2at6native32elementwise_kernel_manual_unrollILi128ELi4EZNS0_15gpu_kernel_implINS0_13BinaryFunctorIiibNS0_12_GLOBAL__N_116CompareEqFunctorIiEEEEEEvRNS_18TensorIteratorBaseERKT_EUlibE_EEviT1_.has_recursion, 0
	.set _ZN2at6native32elementwise_kernel_manual_unrollILi128ELi4EZNS0_15gpu_kernel_implINS0_13BinaryFunctorIiibNS0_12_GLOBAL__N_116CompareEqFunctorIiEEEEEEvRNS_18TensorIteratorBaseERKT_EUlibE_EEviT1_.has_indirect_call, 0
	.section	.AMDGPU.csdata,"",@progbits
; Kernel info:
; codeLenInByte = 51500
; TotalNumSgprs: 39
; NumVgprs: 18
; ScratchSize: 0
; MemoryBound: 1
; FloatMode: 240
; IeeeMode: 1
; LDSByteSize: 0 bytes/workgroup (compile time only)
; SGPRBlocks: 0
; VGPRBlocks: 1
; NumSGPRsForWavesPerEU: 39
; NumVGPRsForWavesPerEU: 18
; NamedBarCnt: 0
; Occupancy: 16
; WaveLimiterHint : 0
; COMPUTE_PGM_RSRC2:SCRATCH_EN: 0
; COMPUTE_PGM_RSRC2:USER_SGPR: 2
; COMPUTE_PGM_RSRC2:TRAP_HANDLER: 0
; COMPUTE_PGM_RSRC2:TGID_X_EN: 1
; COMPUTE_PGM_RSRC2:TGID_Y_EN: 0
; COMPUTE_PGM_RSRC2:TGID_Z_EN: 0
; COMPUTE_PGM_RSRC2:TIDIG_COMP_CNT: 0
	.section	.text._ZN2at6native32elementwise_kernel_manual_unrollILi128ELi4EZNS0_15gpu_kernel_implINS0_13BinaryFunctorIiibNS0_12_GLOBAL__N_116CompareEqFunctorIiEEEEEEvRNS_18TensorIteratorBaseERKT_EUlibE0_EEviT1_,"axG",@progbits,_ZN2at6native32elementwise_kernel_manual_unrollILi128ELi4EZNS0_15gpu_kernel_implINS0_13BinaryFunctorIiibNS0_12_GLOBAL__N_116CompareEqFunctorIiEEEEEEvRNS_18TensorIteratorBaseERKT_EUlibE0_EEviT1_,comdat
	.globl	_ZN2at6native32elementwise_kernel_manual_unrollILi128ELi4EZNS0_15gpu_kernel_implINS0_13BinaryFunctorIiibNS0_12_GLOBAL__N_116CompareEqFunctorIiEEEEEEvRNS_18TensorIteratorBaseERKT_EUlibE0_EEviT1_ ; -- Begin function _ZN2at6native32elementwise_kernel_manual_unrollILi128ELi4EZNS0_15gpu_kernel_implINS0_13BinaryFunctorIiibNS0_12_GLOBAL__N_116CompareEqFunctorIiEEEEEEvRNS_18TensorIteratorBaseERKT_EUlibE0_EEviT1_
	.p2align	8
	.type	_ZN2at6native32elementwise_kernel_manual_unrollILi128ELi4EZNS0_15gpu_kernel_implINS0_13BinaryFunctorIiibNS0_12_GLOBAL__N_116CompareEqFunctorIiEEEEEEvRNS_18TensorIteratorBaseERKT_EUlibE0_EEviT1_,@function
_ZN2at6native32elementwise_kernel_manual_unrollILi128ELi4EZNS0_15gpu_kernel_implINS0_13BinaryFunctorIiibNS0_12_GLOBAL__N_116CompareEqFunctorIiEEEEEEvRNS_18TensorIteratorBaseERKT_EUlibE0_EEviT1_: ; @_ZN2at6native32elementwise_kernel_manual_unrollILi128ELi4EZNS0_15gpu_kernel_implINS0_13BinaryFunctorIiibNS0_12_GLOBAL__N_116CompareEqFunctorIiEEEEEEvRNS_18TensorIteratorBaseERKT_EUlibE0_EEviT1_
; %bb.0:
	s_clause 0x1
	s_load_b32 s28, s[0:1], 0x8
	s_load_b32 s37, s[0:1], 0x0
	s_bfe_u32 s2, ttmp6, 0x4000c
	s_and_b32 s3, ttmp6, 15
	s_add_co_i32 s2, s2, 1
	s_getreg_b32 s4, hwreg(HW_REG_IB_STS2, 6, 4)
	s_mul_i32 s2, ttmp9, s2
	s_mov_b32 s30, 0
	s_add_co_i32 s3, s3, s2
	s_cmp_eq_u32 s4, 0
	s_mov_b32 s27, -1
	s_cselect_b32 s2, ttmp9, s3
	s_mov_b32 s8, 0
	v_lshl_or_b32 v0, s2, 9, v0
	s_add_nc_u64 s[2:3], s[0:1], 8
	s_wait_xcnt 0x0
	s_mov_b32 s0, exec_lo
	s_delay_alu instid0(VALU_DEP_1) | instskip(SKIP_2) | instid1(SALU_CYCLE_1)
	v_or_b32_e32 v1, 0x180, v0
	s_wait_kmcnt 0x0
	s_add_co_i32 s29, s28, -1
	s_cmp_gt_u32 s29, 1
	s_cselect_b32 s31, -1, 0
	v_cmpx_le_i32_e64 s37, v1
	s_xor_b32 s33, exec_lo, s0
	s_cbranch_execz .LBB39_1561
; %bb.1:
	s_clause 0x4
	s_load_b128 s[12:15], s[2:3], 0x4
	s_load_b256 s[4:11], s[2:3], 0x188
	s_load_b64 s[0:1], s[2:3], 0x14
	s_load_b128 s[16:19], s[2:3], 0xc4
	s_load_b64 s[22:23], s[2:3], 0xd4
	s_cmp_lg_u32 s28, 0
	s_mov_b32 s21, 0
	s_cselect_b32 s38, -1, 0
	s_min_u32 s36, s29, 15
	s_cmp_gt_u32 s28, 1
	s_mov_b32 s25, s21
	s_cselect_b32 s35, -1, 0
	s_mov_b32 s41, s21
	s_mov_b32 s40, s21
	;; [unrolled: 1-line block ×3, first 2 shown]
	s_mov_b32 s42, exec_lo
	s_wait_kmcnt 0x0
	s_mov_b32 s20, s13
	s_lshr_b32 s34, s11, 8
	s_lshr_b32 s13, s11, 16
	s_cmp_eq_u32 s10, 0
	s_mov_b32 s24, s0
	s_cselect_b32 s10, -1, 0
	v_cmpx_gt_i32_e64 s37, v0
	s_cbranch_execz .LBB39_385
; %bb.2:
	s_and_not1_b32 vcc_lo, exec_lo, s31
	s_cbranch_vccnz .LBB39_8
; %bb.3:
	s_and_not1_b32 vcc_lo, exec_lo, s38
	s_cbranch_vccnz .LBB39_9
; %bb.4:
	v_dual_mov_b32 v2, 0 :: v_dual_mov_b32 v1, v0
	v_dual_mov_b32 v6, 0 :: v_dual_mov_b32 v4, 0
	s_add_co_i32 s0, s36, 1
	s_mov_b64 s[26:27], 0xffffffffffffffe8
	s_and_b32 s0, s0, 30
	s_add_nc_u64 s[26:27], s[2:3], s[26:27]
.LBB39_5:                               ; =>This Inner Loop Header: Depth=1
	s_clause 0x1
	s_load_b128 s[44:47], s[26:27], 0x1c
	s_load_b64 s[40:41], s[26:27], 0x2c
	s_add_co_i32 s0, s0, -2
	s_delay_alu instid0(SALU_CYCLE_1) | instskip(SKIP_2) | instid1(VALU_DEP_1)
	s_cmp_lg_u32 s0, 0
	s_wait_kmcnt 0x0
	v_mul_hi_u32 v3, s45, v1
	v_add_nc_u32_e32 v3, v1, v3
	s_delay_alu instid0(VALU_DEP_1) | instskip(NEXT) | instid1(VALU_DEP_1)
	v_lshrrev_b32_e32 v3, s46, v3
	v_mul_hi_u32 v5, s40, v3
	v_mul_lo_u32 v7, v3, s44
	s_clause 0x1
	s_load_b128 s[48:51], s[26:27], 0xdc
	s_load_b64 s[44:45], s[26:27], 0xec
	s_wait_xcnt 0x0
	s_add_nc_u64 s[26:27], s[26:27], 24
	s_delay_alu instid0(VALU_DEP_1) | instskip(NEXT) | instid1(VALU_DEP_1)
	v_dual_add_nc_u32 v5, v3, v5 :: v_dual_sub_nc_u32 v7, v1, v7
	v_lshrrev_b32_e32 v1, s41, v5
	s_wait_kmcnt 0x0
	s_delay_alu instid0(VALU_DEP_2) | instskip(NEXT) | instid1(VALU_DEP_2)
	v_mad_u32 v2, v7, s48, v2
	v_mul_lo_u32 v5, v1, s47
	v_mad_u32 v4, v7, s50, v4
	v_mad_u32 v6, v7, s49, v6
	s_delay_alu instid0(VALU_DEP_3) | instskip(NEXT) | instid1(VALU_DEP_1)
	v_sub_nc_u32_e32 v3, v3, v5
	v_mad_u32 v2, v3, s51, v2
	s_delay_alu instid0(VALU_DEP_4) | instskip(NEXT) | instid1(VALU_DEP_4)
	v_mad_u32 v4, v3, s45, v4
	v_mad_u32 v6, v3, s44, v6
	s_cbranch_scc1 .LBB39_5
; %bb.6:
	s_bitcmp1_b32 s36, 0
	s_cselect_b32 s0, -1, 0
	s_delay_alu instid0(SALU_CYCLE_1)
	s_and_b32 vcc_lo, exec_lo, s0
	s_cbranch_vccnz .LBB39_10
; %bb.7:
	s_clause 0x1
	s_load_b96 s[44:46], s[26:27], 0x1c
	s_load_b96 s[48:50], s[26:27], 0xdc
	s_wait_kmcnt 0x0
	v_mul_hi_u32 v3, s45, v1
	s_delay_alu instid0(VALU_DEP_1) | instskip(NEXT) | instid1(VALU_DEP_1)
	v_add_nc_u32_e32 v3, v1, v3
	v_lshrrev_b32_e32 v3, s46, v3
	s_delay_alu instid0(VALU_DEP_1) | instskip(NEXT) | instid1(VALU_DEP_1)
	v_mul_lo_u32 v3, v3, s44
	v_sub_nc_u32_e32 v1, v1, v3
	s_delay_alu instid0(VALU_DEP_1)
	v_mad_u32 v2, v1, s48, v2
	v_mad_u32 v6, v1, s49, v6
	;; [unrolled: 1-line block ×3, first 2 shown]
	s_cbranch_execz .LBB39_11
	s_branch .LBB39_13
.LBB39_8:
                                        ; implicit-def: $vgpr4
                                        ; implicit-def: $vgpr6
                                        ; implicit-def: $vgpr2
	s_branch .LBB39_11
.LBB39_9:
	v_dual_mov_b32 v4, 0 :: v_dual_mov_b32 v6, 0
	v_mov_b32_e32 v2, 0
.LBB39_10:
	s_cbranch_execnz .LBB39_13
.LBB39_11:
	v_mov_b32_e32 v1, 0
	s_and_not1_b32 vcc_lo, exec_lo, s35
	s_delay_alu instid0(VALU_DEP_1) | instskip(NEXT) | instid1(VALU_DEP_1)
	v_mul_u64_e32 v[2:3], s[20:21], v[0:1]
	v_add_nc_u32_e32 v2, v0, v3
	s_delay_alu instid0(VALU_DEP_1) | instskip(NEXT) | instid1(VALU_DEP_1)
	v_lshrrev_b32_e32 v8, s14, v2
	v_mul_lo_u32 v2, v8, s12
	s_delay_alu instid0(VALU_DEP_1) | instskip(NEXT) | instid1(VALU_DEP_1)
	v_sub_nc_u32_e32 v3, v0, v2
	v_mul_lo_u32 v2, v3, s16
	v_mul_lo_u32 v4, v3, s18
	;; [unrolled: 1-line block ×3, first 2 shown]
	s_cbranch_vccnz .LBB39_13
; %bb.12:
	v_mov_b32_e32 v9, v1
	s_delay_alu instid0(VALU_DEP_1) | instskip(NEXT) | instid1(VALU_DEP_1)
	v_mul_u64_e32 v[10:11], s[24:25], v[8:9]
	v_add_nc_u32_e32 v1, v8, v11
	s_delay_alu instid0(VALU_DEP_1) | instskip(NEXT) | instid1(VALU_DEP_1)
	v_lshrrev_b32_e32 v1, s1, v1
	v_mul_lo_u32 v1, v1, s15
	s_delay_alu instid0(VALU_DEP_1) | instskip(NEXT) | instid1(VALU_DEP_1)
	v_sub_nc_u32_e32 v1, v8, v1
	v_mad_u32 v2, v1, s19, v2
	v_mad_u32 v6, v1, s22, v6
	;; [unrolled: 1-line block ×3, first 2 shown]
.LBB39_13:
	v_mov_b32_e32 v7, 0
	s_and_b32 s0, s34, 0xff
	s_delay_alu instid0(SALU_CYCLE_1) | instskip(NEXT) | instid1(VALU_DEP_1)
	s_cmp_lt_i32 s0, 11
	v_add_nc_u64_e32 v[6:7], s[6:7], v[6:7]
	s_cbranch_scc1 .LBB39_20
; %bb.14:
	s_and_b32 s27, 0xffff, s0
	s_delay_alu instid0(SALU_CYCLE_1)
	s_cmp_gt_i32 s27, 25
	s_cbranch_scc0 .LBB39_29
; %bb.15:
	s_cmp_gt_i32 s27, 28
	s_cbranch_scc0 .LBB39_39
; %bb.16:
	;; [unrolled: 3-line block ×4, first 2 shown]
	s_cmp_eq_u32 s27, 46
	s_mov_b32 s40, 0
	s_cbranch_scc0 .LBB39_48
; %bb.19:
	global_load_b32 v1, v[6:7], off
	s_mov_b32 s39, -1
	s_mov_b32 s26, 0
	s_wait_loadcnt 0x0
	v_lshlrev_b32_e32 v1, 16, v1
	s_delay_alu instid0(VALU_DEP_1)
	v_cvt_i32_f32_e32 v1, v1
	s_branch .LBB39_50
.LBB39_20:
	s_mov_b32 s26, 0
	s_mov_b32 s39, 0
                                        ; implicit-def: $vgpr1
	s_cbranch_execnz .LBB39_112
.LBB39_21:
	s_and_not1_b32 vcc_lo, exec_lo, s39
	s_cbranch_vccnz .LBB39_159
.LBB39_22:
	v_mov_b32_e32 v5, 0
	s_and_b32 s0, s13, 0xff
	s_delay_alu instid0(SALU_CYCLE_1) | instskip(NEXT) | instid1(VALU_DEP_1)
	s_cmp_lt_i32 s0, 11
	v_add_nc_u64_e32 v[4:5], s[8:9], v[4:5]
	s_cbranch_scc1 .LBB39_30
; %bb.23:
	s_and_b32 s39, 0xffff, s0
	s_delay_alu instid0(SALU_CYCLE_1)
	s_cmp_gt_i32 s39, 25
	s_cbranch_scc0 .LBB39_40
; %bb.24:
	s_cmp_gt_i32 s39, 28
	s_cbranch_scc0 .LBB39_43
; %bb.25:
	;; [unrolled: 3-line block ×4, first 2 shown]
	s_cmp_eq_u32 s39, 46
	s_mov_b32 s41, 0
	s_cbranch_scc0 .LBB39_160
; %bb.28:
	global_load_b32 v3, v[4:5], off
	s_mov_b32 s40, -1
	s_mov_b32 s27, 0
	s_wait_loadcnt 0x0
	v_lshlrev_b32_e32 v3, 16, v3
	s_delay_alu instid0(VALU_DEP_1)
	v_cvt_i32_f32_e32 v6, v3
	s_branch .LBB39_162
.LBB39_29:
	s_mov_b32 s26, 0
	s_mov_b32 s39, 0
                                        ; implicit-def: $vgpr1
	s_cbranch_execnz .LBB39_79
	s_branch .LBB39_111
.LBB39_30:
	s_mov_b32 s27, 0
	s_mov_b32 s40, 0
                                        ; implicit-def: $vgpr6
	s_cbranch_execnz .LBB39_334
.LBB39_31:
	s_and_not1_b32 vcc_lo, exec_lo, s40
	s_cbranch_vccnz .LBB39_382
.LBB39_32:
	v_mov_b32_e32 v3, 0
	s_wait_loadcnt 0x0
	s_delay_alu instid0(VALU_DEP_2) | instskip(SKIP_1) | instid1(VALU_DEP_2)
	v_cmp_ne_u32_e32 vcc_lo, v1, v6
	s_and_b32 s40, s11, 0xff
	v_add_nc_u64_e32 v[2:3], s[4:5], v[2:3]
	s_xor_b32 s39, s10, vcc_lo
	s_cmp_lt_i32 s40, 11
	s_cbranch_scc1 .LBB39_41
; %bb.33:
	s_and_b32 s41, 0xffff, s40
	s_delay_alu instid0(SALU_CYCLE_1)
	s_cmp_gt_i32 s41, 25
	s_cbranch_scc0 .LBB39_44
; %bb.34:
	s_cmp_gt_i32 s41, 28
	s_cbranch_scc0 .LBB39_47
; %bb.35:
	;; [unrolled: 3-line block ×4, first 2 shown]
	s_mov_b32 s44, 0
	s_mov_b32 s0, -1
	s_cmp_eq_u32 s41, 46
	s_mov_b32 s43, 0
	s_cbranch_scc0 .LBB39_166
; %bb.38:
	v_cndmask_b32_e64 v1, 0, 1.0, s39
	s_mov_b32 s43, -1
	s_mov_b32 s0, 0
	s_delay_alu instid0(VALU_DEP_1) | instskip(NEXT) | instid1(VALU_DEP_1)
	v_bfe_u32 v4, v1, 16, 1
	v_add3_u32 v1, v1, v4, 0x7fff
	s_delay_alu instid0(VALU_DEP_1)
	v_lshrrev_b32_e32 v1, 16, v1
	global_store_b32 v[2:3], v1, off
	s_branch .LBB39_166
.LBB39_39:
	s_mov_b32 s40, -1
	s_mov_b32 s26, 0
	s_mov_b32 s39, 0
                                        ; implicit-def: $vgpr1
	s_branch .LBB39_62
.LBB39_40:
	s_mov_b32 s41, -1
	s_mov_b32 s27, 0
	s_mov_b32 s40, 0
                                        ; implicit-def: $vgpr6
	s_branch .LBB39_300
.LBB39_41:
	s_mov_b32 s41, -1
	s_mov_b32 s0, 0
	s_mov_b32 s43, 0
	s_branch .LBB39_235
.LBB39_42:
	s_mov_b32 s40, -1
	s_mov_b32 s26, 0
	s_mov_b32 s39, 0
                                        ; implicit-def: $vgpr1
	s_branch .LBB39_57
.LBB39_43:
	s_mov_b32 s41, -1
	s_mov_b32 s27, 0
	s_mov_b32 s40, 0
                                        ; implicit-def: $vgpr6
	s_branch .LBB39_283
.LBB39_44:
	s_mov_b32 s44, -1
	s_mov_b32 s0, 0
	s_mov_b32 s43, 0
	s_branch .LBB39_193
.LBB39_45:
	s_mov_b32 s40, -1
	s_mov_b32 s26, 0
	s_branch .LBB39_49
.LBB39_46:
	s_mov_b32 s41, -1
	s_mov_b32 s27, 0
	s_mov_b32 s40, 0
                                        ; implicit-def: $vgpr6
	s_branch .LBB39_278
.LBB39_47:
	s_mov_b32 s44, -1
	s_mov_b32 s0, 0
	s_mov_b32 s43, 0
	s_branch .LBB39_176
.LBB39_48:
	s_mov_b32 s26, -1
.LBB39_49:
	s_mov_b32 s39, 0
                                        ; implicit-def: $vgpr1
.LBB39_50:
	s_and_b32 vcc_lo, exec_lo, s40
	s_cbranch_vccz .LBB39_56
; %bb.51:
	s_cmp_eq_u32 s27, 44
	s_cbranch_scc0 .LBB39_55
; %bb.52:
	global_load_u8 v1, v[6:7], off
	s_mov_b32 s26, 0
	s_mov_b32 s39, -1
	s_wait_loadcnt 0x0
	v_lshlrev_b32_e32 v3, 23, v1
	v_cmp_ne_u32_e32 vcc_lo, 0, v1
	s_delay_alu instid0(VALU_DEP_2) | instskip(NEXT) | instid1(VALU_DEP_1)
	v_cvt_i32_f32_e32 v3, v3
	v_cndmask_b32_e32 v1, 0, v3, vcc_lo
	s_branch .LBB39_56
.LBB39_53:
	s_mov_b32 s41, -1
	s_mov_b32 s27, 0
	s_branch .LBB39_161
.LBB39_54:
	s_mov_b32 s44, -1
	s_mov_b32 s0, 0
	s_mov_b32 s43, 0
	s_branch .LBB39_172
.LBB39_55:
	s_mov_b32 s26, -1
                                        ; implicit-def: $vgpr1
.LBB39_56:
	s_mov_b32 s40, 0
.LBB39_57:
	s_delay_alu instid0(SALU_CYCLE_1)
	s_and_b32 vcc_lo, exec_lo, s40
	s_cbranch_vccz .LBB39_61
; %bb.58:
	s_cmp_eq_u32 s27, 29
	s_cbranch_scc0 .LBB39_60
; %bb.59:
	global_load_b32 v1, v[6:7], off
	s_mov_b32 s39, -1
	s_mov_b32 s26, 0
	s_branch .LBB39_61
.LBB39_60:
	s_mov_b32 s26, -1
                                        ; implicit-def: $vgpr1
.LBB39_61:
	s_mov_b32 s40, 0
.LBB39_62:
	s_delay_alu instid0(SALU_CYCLE_1)
	s_and_b32 vcc_lo, exec_lo, s40
	s_cbranch_vccz .LBB39_78
; %bb.63:
	s_cmp_lt_i32 s27, 27
	s_cbranch_scc1 .LBB39_66
; %bb.64:
	s_cmp_gt_i32 s27, 27
	s_cbranch_scc0 .LBB39_67
; %bb.65:
	s_wait_loadcnt 0x0
	global_load_b32 v1, v[6:7], off
	s_mov_b32 s39, 0
	s_branch .LBB39_68
.LBB39_66:
	s_mov_b32 s39, -1
                                        ; implicit-def: $vgpr1
	s_branch .LBB39_71
.LBB39_67:
	s_mov_b32 s39, -1
                                        ; implicit-def: $vgpr1
.LBB39_68:
	s_delay_alu instid0(SALU_CYCLE_1)
	s_and_not1_b32 vcc_lo, exec_lo, s39
	s_cbranch_vccnz .LBB39_70
; %bb.69:
	s_wait_loadcnt 0x0
	global_load_u16 v1, v[6:7], off
.LBB39_70:
	s_mov_b32 s39, 0
.LBB39_71:
	s_delay_alu instid0(SALU_CYCLE_1)
	s_and_not1_b32 vcc_lo, exec_lo, s39
	s_cbranch_vccnz .LBB39_77
; %bb.72:
	global_load_u8 v3, v[6:7], off
	s_mov_b32 s40, 0
	s_mov_b32 s39, exec_lo
	s_wait_loadcnt 0x0
	v_cmpx_lt_i16_e32 0x7f, v3
	s_xor_b32 s39, exec_lo, s39
	s_cbranch_execz .LBB39_88
; %bb.73:
	v_cmp_ne_u16_e32 vcc_lo, 0x80, v3
	s_and_b32 s40, vcc_lo, exec_lo
	s_and_not1_saveexec_b32 s39, s39
	s_cbranch_execnz .LBB39_89
.LBB39_74:
	s_or_b32 exec_lo, exec_lo, s39
	v_mov_b32_e32 v1, 0
	s_and_saveexec_b32 s39, s40
	s_cbranch_execz .LBB39_76
.LBB39_75:
	v_and_b32_e32 v1, 0xffff, v3
	s_delay_alu instid0(VALU_DEP_1) | instskip(SKIP_1) | instid1(VALU_DEP_2)
	v_and_b32_e32 v5, 7, v1
	v_bfe_u32 v10, v1, 3, 4
	v_clz_i32_u32_e32 v8, v5
	s_delay_alu instid0(VALU_DEP_2) | instskip(NEXT) | instid1(VALU_DEP_2)
	v_cmp_eq_u32_e32 vcc_lo, 0, v10
	v_min_u32_e32 v8, 32, v8
	s_delay_alu instid0(VALU_DEP_1) | instskip(NEXT) | instid1(VALU_DEP_1)
	v_subrev_nc_u32_e32 v9, 28, v8
	v_dual_lshlrev_b32 v1, v9, v1 :: v_dual_sub_nc_u32 v8, 29, v8
	s_delay_alu instid0(VALU_DEP_1) | instskip(NEXT) | instid1(VALU_DEP_1)
	v_dual_lshlrev_b32 v3, 24, v3 :: v_dual_bitop2_b32 v1, 7, v1 bitop3:0x40
	v_dual_cndmask_b32 v8, v10, v8 :: v_dual_cndmask_b32 v1, v5, v1
	s_delay_alu instid0(VALU_DEP_2) | instskip(NEXT) | instid1(VALU_DEP_2)
	v_and_b32_e32 v3, 0x80000000, v3
	v_lshl_add_u32 v5, v8, 23, 0x3b800000
	s_delay_alu instid0(VALU_DEP_3) | instskip(NEXT) | instid1(VALU_DEP_1)
	v_lshlrev_b32_e32 v1, 20, v1
	v_or3_b32 v1, v3, v5, v1
	s_delay_alu instid0(VALU_DEP_1)
	v_cvt_i32_f32_e32 v1, v1
.LBB39_76:
	s_or_b32 exec_lo, exec_lo, s39
.LBB39_77:
	s_mov_b32 s39, -1
.LBB39_78:
	s_branch .LBB39_111
.LBB39_79:
	s_cmp_gt_i32 s27, 22
	s_cbranch_scc0 .LBB39_87
; %bb.80:
	s_cmp_lt_i32 s27, 24
	s_cbranch_scc1 .LBB39_90
; %bb.81:
	s_cmp_gt_i32 s27, 24
	s_cbranch_scc0 .LBB39_91
; %bb.82:
	global_load_u8 v3, v[6:7], off
	s_mov_b32 s40, 0
	s_mov_b32 s39, exec_lo
	s_wait_loadcnt 0x0
	v_cmpx_lt_i16_e32 0x7f, v3
	s_xor_b32 s39, exec_lo, s39
	s_cbranch_execz .LBB39_103
; %bb.83:
	v_cmp_ne_u16_e32 vcc_lo, 0x80, v3
	s_and_b32 s40, vcc_lo, exec_lo
	s_and_not1_saveexec_b32 s39, s39
	s_cbranch_execnz .LBB39_104
.LBB39_84:
	s_or_b32 exec_lo, exec_lo, s39
	v_mov_b32_e32 v1, 0
	s_and_saveexec_b32 s39, s40
	s_cbranch_execz .LBB39_86
.LBB39_85:
	v_and_b32_e32 v1, 0xffff, v3
	s_delay_alu instid0(VALU_DEP_1) | instskip(SKIP_1) | instid1(VALU_DEP_2)
	v_and_b32_e32 v5, 3, v1
	v_bfe_u32 v10, v1, 2, 5
	v_clz_i32_u32_e32 v8, v5
	s_delay_alu instid0(VALU_DEP_2) | instskip(NEXT) | instid1(VALU_DEP_2)
	v_cmp_eq_u32_e32 vcc_lo, 0, v10
	v_min_u32_e32 v8, 32, v8
	s_delay_alu instid0(VALU_DEP_1) | instskip(NEXT) | instid1(VALU_DEP_1)
	v_subrev_nc_u32_e32 v9, 29, v8
	v_dual_lshlrev_b32 v1, v9, v1 :: v_dual_sub_nc_u32 v8, 30, v8
	s_delay_alu instid0(VALU_DEP_1) | instskip(NEXT) | instid1(VALU_DEP_1)
	v_dual_lshlrev_b32 v3, 24, v3 :: v_dual_bitop2_b32 v1, 3, v1 bitop3:0x40
	v_dual_cndmask_b32 v8, v10, v8 :: v_dual_cndmask_b32 v1, v5, v1
	s_delay_alu instid0(VALU_DEP_2) | instskip(NEXT) | instid1(VALU_DEP_2)
	v_and_b32_e32 v3, 0x80000000, v3
	v_lshl_add_u32 v5, v8, 23, 0x37800000
	s_delay_alu instid0(VALU_DEP_3) | instskip(NEXT) | instid1(VALU_DEP_1)
	v_lshlrev_b32_e32 v1, 21, v1
	v_or3_b32 v1, v3, v5, v1
	s_delay_alu instid0(VALU_DEP_1)
	v_cvt_i32_f32_e32 v1, v1
.LBB39_86:
	s_or_b32 exec_lo, exec_lo, s39
	s_mov_b32 s39, 0
	s_branch .LBB39_92
.LBB39_87:
	s_mov_b32 s40, -1
                                        ; implicit-def: $vgpr1
	s_branch .LBB39_98
.LBB39_88:
	s_and_not1_saveexec_b32 s39, s39
	s_cbranch_execz .LBB39_74
.LBB39_89:
	v_cmp_ne_u16_e32 vcc_lo, 0, v3
	s_and_not1_b32 s40, s40, exec_lo
	s_and_b32 s41, vcc_lo, exec_lo
	s_delay_alu instid0(SALU_CYCLE_1)
	s_or_b32 s40, s40, s41
	s_or_b32 exec_lo, exec_lo, s39
	v_mov_b32_e32 v1, 0
	s_and_saveexec_b32 s39, s40
	s_cbranch_execnz .LBB39_75
	s_branch .LBB39_76
.LBB39_90:
	s_mov_b32 s39, -1
                                        ; implicit-def: $vgpr1
	s_branch .LBB39_95
.LBB39_91:
	s_mov_b32 s39, -1
                                        ; implicit-def: $vgpr1
.LBB39_92:
	s_delay_alu instid0(SALU_CYCLE_1)
	s_and_b32 vcc_lo, exec_lo, s39
	s_cbranch_vccz .LBB39_94
; %bb.93:
	s_wait_loadcnt 0x0
	global_load_u8 v1, v[6:7], off
	s_wait_loadcnt 0x0
	v_lshlrev_b32_e32 v1, 24, v1
	s_delay_alu instid0(VALU_DEP_1) | instskip(NEXT) | instid1(VALU_DEP_1)
	v_and_b32_e32 v3, 0x7f000000, v1
	v_clz_i32_u32_e32 v5, v3
	v_add_nc_u32_e32 v9, 0x1000000, v3
	v_cmp_ne_u32_e32 vcc_lo, 0, v3
	s_delay_alu instid0(VALU_DEP_3) | instskip(NEXT) | instid1(VALU_DEP_1)
	v_min_u32_e32 v5, 32, v5
	v_sub_nc_u32_e64 v5, v5, 4 clamp
	s_delay_alu instid0(VALU_DEP_1) | instskip(NEXT) | instid1(VALU_DEP_1)
	v_dual_lshlrev_b32 v8, v5, v3 :: v_dual_lshlrev_b32 v5, 23, v5
	v_lshrrev_b32_e32 v8, 4, v8
	s_delay_alu instid0(VALU_DEP_1) | instskip(SKIP_1) | instid1(VALU_DEP_2)
	v_sub_nc_u32_e32 v5, v8, v5
	v_ashrrev_i32_e32 v8, 8, v9
	v_add_nc_u32_e32 v5, 0x3c000000, v5
	s_delay_alu instid0(VALU_DEP_1) | instskip(NEXT) | instid1(VALU_DEP_1)
	v_and_or_b32 v5, 0x7f800000, v8, v5
	v_cndmask_b32_e32 v3, 0, v5, vcc_lo
	s_delay_alu instid0(VALU_DEP_1) | instskip(NEXT) | instid1(VALU_DEP_1)
	v_and_or_b32 v1, 0x80000000, v1, v3
	v_cvt_i32_f32_e32 v1, v1
.LBB39_94:
	s_mov_b32 s39, 0
.LBB39_95:
	s_delay_alu instid0(SALU_CYCLE_1)
	s_and_not1_b32 vcc_lo, exec_lo, s39
	s_cbranch_vccnz .LBB39_97
; %bb.96:
	s_wait_loadcnt 0x0
	global_load_u8 v1, v[6:7], off
	s_wait_loadcnt 0x0
	v_lshlrev_b32_e32 v3, 25, v1
	v_lshlrev_b16 v1, 8, v1
	s_delay_alu instid0(VALU_DEP_1) | instskip(SKIP_1) | instid1(VALU_DEP_2)
	v_and_or_b32 v8, 0x7f00, v1, 0.5
	v_bfe_i32 v1, v1, 0, 16
	v_dual_add_f32 v8, -0.5, v8 :: v_dual_lshrrev_b32 v5, 4, v3
	v_cmp_gt_u32_e32 vcc_lo, 0x8000000, v3
	s_delay_alu instid0(VALU_DEP_2) | instskip(NEXT) | instid1(VALU_DEP_1)
	v_or_b32_e32 v5, 0x70000000, v5
	v_mul_f32_e32 v5, 0x7800000, v5
	s_delay_alu instid0(VALU_DEP_1) | instskip(NEXT) | instid1(VALU_DEP_1)
	v_cndmask_b32_e32 v3, v5, v8, vcc_lo
	v_and_or_b32 v1, 0x80000000, v1, v3
	s_delay_alu instid0(VALU_DEP_1)
	v_cvt_i32_f32_e32 v1, v1
.LBB39_97:
	s_mov_b32 s40, 0
	s_mov_b32 s39, -1
.LBB39_98:
	s_and_not1_b32 vcc_lo, exec_lo, s40
	s_cbranch_vccnz .LBB39_111
; %bb.99:
	s_cmp_gt_i32 s27, 14
	s_cbranch_scc0 .LBB39_102
; %bb.100:
	s_cmp_eq_u32 s27, 15
	s_cbranch_scc0 .LBB39_105
; %bb.101:
	s_wait_loadcnt 0x0
	global_load_u16 v1, v[6:7], off
	s_mov_b32 s39, -1
	s_mov_b32 s26, 0
	s_wait_loadcnt 0x0
	v_lshlrev_b32_e32 v1, 16, v1
	s_delay_alu instid0(VALU_DEP_1)
	v_cvt_i32_f32_e32 v1, v1
	s_branch .LBB39_106
.LBB39_102:
	s_mov_b32 s40, -1
                                        ; implicit-def: $vgpr1
	s_branch .LBB39_107
.LBB39_103:
	s_and_not1_saveexec_b32 s39, s39
	s_cbranch_execz .LBB39_84
.LBB39_104:
	v_cmp_ne_u16_e32 vcc_lo, 0, v3
	s_and_not1_b32 s40, s40, exec_lo
	s_and_b32 s41, vcc_lo, exec_lo
	s_delay_alu instid0(SALU_CYCLE_1)
	s_or_b32 s40, s40, s41
	s_or_b32 exec_lo, exec_lo, s39
	v_mov_b32_e32 v1, 0
	s_and_saveexec_b32 s39, s40
	s_cbranch_execnz .LBB39_85
	s_branch .LBB39_86
.LBB39_105:
	s_mov_b32 s26, -1
                                        ; implicit-def: $vgpr1
.LBB39_106:
	s_mov_b32 s40, 0
.LBB39_107:
	s_delay_alu instid0(SALU_CYCLE_1)
	s_and_b32 vcc_lo, exec_lo, s40
	s_cbranch_vccz .LBB39_111
; %bb.108:
	s_cmp_eq_u32 s27, 11
	s_cbranch_scc0 .LBB39_110
; %bb.109:
	s_wait_loadcnt 0x0
	global_load_u8 v1, v[6:7], off
	s_mov_b32 s26, 0
	s_mov_b32 s39, -1
	s_wait_loadcnt 0x0
	v_cmp_ne_u16_e32 vcc_lo, 0, v1
	v_cndmask_b32_e64 v1, 0, 1, vcc_lo
	s_branch .LBB39_111
.LBB39_110:
	s_mov_b32 s26, -1
                                        ; implicit-def: $vgpr1
.LBB39_111:
	s_branch .LBB39_21
.LBB39_112:
	s_and_b32 s0, 0xffff, s0
	s_delay_alu instid0(SALU_CYCLE_1)
	s_cmp_lt_i32 s0, 5
	s_cbranch_scc1 .LBB39_117
; %bb.113:
	s_cmp_lt_i32 s0, 8
	s_cbranch_scc1 .LBB39_118
; %bb.114:
	;; [unrolled: 3-line block ×3, first 2 shown]
	s_cmp_gt_i32 s0, 9
	s_cbranch_scc0 .LBB39_120
; %bb.116:
	global_load_b64 v[8:9], v[6:7], off
	s_mov_b32 s27, 0
	s_wait_loadcnt 0x0
	v_cvt_i32_f64_e32 v1, v[8:9]
	s_branch .LBB39_121
.LBB39_117:
                                        ; implicit-def: $vgpr1
	s_branch .LBB39_139
.LBB39_118:
	s_mov_b32 s27, -1
                                        ; implicit-def: $vgpr1
	s_branch .LBB39_127
.LBB39_119:
	s_mov_b32 s27, -1
                                        ; implicit-def: $vgpr1
	s_branch .LBB39_124
.LBB39_120:
	s_mov_b32 s27, -1
                                        ; implicit-def: $vgpr1
.LBB39_121:
	s_delay_alu instid0(SALU_CYCLE_1)
	s_and_not1_b32 vcc_lo, exec_lo, s27
	s_cbranch_vccnz .LBB39_123
; %bb.122:
	s_wait_loadcnt 0x0
	global_load_b32 v1, v[6:7], off
	s_wait_loadcnt 0x0
	v_cvt_i32_f32_e32 v1, v1
.LBB39_123:
	s_mov_b32 s27, 0
.LBB39_124:
	s_delay_alu instid0(SALU_CYCLE_1)
	s_and_not1_b32 vcc_lo, exec_lo, s27
	s_cbranch_vccnz .LBB39_126
; %bb.125:
	s_wait_loadcnt 0x0
	global_load_b32 v1, v[6:7], off
	s_wait_loadcnt 0x0
	v_cvt_f32_f16_e32 v1, v1
	s_delay_alu instid0(VALU_DEP_1)
	v_cvt_i32_f32_e32 v1, v1
.LBB39_126:
	s_mov_b32 s27, 0
.LBB39_127:
	s_delay_alu instid0(SALU_CYCLE_1)
	s_and_not1_b32 vcc_lo, exec_lo, s27
	s_cbranch_vccnz .LBB39_138
; %bb.128:
	s_cmp_lt_i32 s0, 6
	s_cbranch_scc1 .LBB39_131
; %bb.129:
	s_cmp_gt_i32 s0, 6
	s_cbranch_scc0 .LBB39_132
; %bb.130:
	global_load_b64 v[8:9], v[6:7], off
	s_mov_b32 s27, 0
	s_wait_loadcnt 0x0
	v_cvt_i32_f64_e32 v1, v[8:9]
	s_branch .LBB39_133
.LBB39_131:
	s_mov_b32 s27, -1
                                        ; implicit-def: $vgpr1
	s_branch .LBB39_136
.LBB39_132:
	s_mov_b32 s27, -1
                                        ; implicit-def: $vgpr1
.LBB39_133:
	s_delay_alu instid0(SALU_CYCLE_1)
	s_and_not1_b32 vcc_lo, exec_lo, s27
	s_cbranch_vccnz .LBB39_135
; %bb.134:
	s_wait_loadcnt 0x0
	global_load_b32 v1, v[6:7], off
	s_wait_loadcnt 0x0
	v_cvt_i32_f32_e32 v1, v1
.LBB39_135:
	s_mov_b32 s27, 0
.LBB39_136:
	s_delay_alu instid0(SALU_CYCLE_1)
	s_and_not1_b32 vcc_lo, exec_lo, s27
	s_cbranch_vccnz .LBB39_138
; %bb.137:
	s_wait_loadcnt 0x0
	global_load_u16 v1, v[6:7], off
	s_wait_loadcnt 0x0
	v_cvt_f32_f16_e32 v1, v1
	s_delay_alu instid0(VALU_DEP_1)
	v_cvt_i32_f32_e32 v1, v1
.LBB39_138:
	s_cbranch_execnz .LBB39_158
.LBB39_139:
	s_cmp_lt_i32 s0, 2
	s_cbranch_scc1 .LBB39_143
; %bb.140:
	s_cmp_lt_i32 s0, 3
	s_cbranch_scc1 .LBB39_144
; %bb.141:
	s_cmp_gt_i32 s0, 3
	s_cbranch_scc0 .LBB39_145
; %bb.142:
	s_wait_loadcnt 0x0
	global_load_b32 v1, v[6:7], off
	s_mov_b32 s27, 0
	s_branch .LBB39_146
.LBB39_143:
	s_mov_b32 s27, -1
                                        ; implicit-def: $vgpr1
	s_branch .LBB39_152
.LBB39_144:
	s_mov_b32 s27, -1
                                        ; implicit-def: $vgpr1
	s_branch .LBB39_149
.LBB39_145:
	s_mov_b32 s27, -1
                                        ; implicit-def: $vgpr1
.LBB39_146:
	s_delay_alu instid0(SALU_CYCLE_1)
	s_and_not1_b32 vcc_lo, exec_lo, s27
	s_cbranch_vccnz .LBB39_148
; %bb.147:
	s_wait_loadcnt 0x0
	global_load_b32 v1, v[6:7], off
.LBB39_148:
	s_mov_b32 s27, 0
.LBB39_149:
	s_delay_alu instid0(SALU_CYCLE_1)
	s_and_not1_b32 vcc_lo, exec_lo, s27
	s_cbranch_vccnz .LBB39_151
; %bb.150:
	s_wait_loadcnt 0x0
	global_load_i16 v1, v[6:7], off
.LBB39_151:
	s_mov_b32 s27, 0
.LBB39_152:
	s_delay_alu instid0(SALU_CYCLE_1)
	s_and_not1_b32 vcc_lo, exec_lo, s27
	s_cbranch_vccnz .LBB39_158
; %bb.153:
	s_cmp_gt_i32 s0, 0
	s_mov_b32 s0, 0
	s_cbranch_scc0 .LBB39_155
; %bb.154:
	s_wait_loadcnt 0x0
	global_load_i8 v1, v[6:7], off
	s_branch .LBB39_156
.LBB39_155:
	s_mov_b32 s0, -1
                                        ; implicit-def: $vgpr1
.LBB39_156:
	s_delay_alu instid0(SALU_CYCLE_1)
	s_and_not1_b32 vcc_lo, exec_lo, s0
	s_cbranch_vccnz .LBB39_158
; %bb.157:
	s_wait_loadcnt 0x0
	global_load_u8 v1, v[6:7], off
.LBB39_158:
	s_branch .LBB39_22
.LBB39_159:
	s_mov_b32 s0, 0
	s_mov_b32 s27, 0
	s_branch .LBB39_383
.LBB39_160:
	s_mov_b32 s27, -1
.LBB39_161:
	s_mov_b32 s40, 0
                                        ; implicit-def: $vgpr6
.LBB39_162:
	s_and_b32 vcc_lo, exec_lo, s41
	s_cbranch_vccz .LBB39_277
; %bb.163:
	s_cmp_eq_u32 s39, 44
	s_cbranch_scc0 .LBB39_276
; %bb.164:
	global_load_u8 v3, v[4:5], off
	s_mov_b32 s27, 0
	s_mov_b32 s40, -1
	s_wait_loadcnt 0x0
	v_lshlrev_b32_e32 v6, 23, v3
	v_cmp_ne_u32_e32 vcc_lo, 0, v3
	s_delay_alu instid0(VALU_DEP_2) | instskip(NEXT) | instid1(VALU_DEP_1)
	v_cvt_i32_f32_e32 v6, v6
	v_cndmask_b32_e32 v6, 0, v6, vcc_lo
	s_branch .LBB39_277
.LBB39_165:
	s_mov_b32 s44, -1
	s_mov_b32 s0, 0
	s_mov_b32 s43, 0
.LBB39_166:
	s_and_b32 vcc_lo, exec_lo, s44
	s_cbranch_vccz .LBB39_171
; %bb.167:
	s_cmp_eq_u32 s41, 44
	s_mov_b32 s0, -1
	s_cbranch_scc0 .LBB39_171
; %bb.168:
	v_cndmask_b32_e64 v5, 0, 1.0, s39
	s_mov_b32 s43, exec_lo
	s_wait_xcnt 0x0
	s_delay_alu instid0(VALU_DEP_1) | instskip(NEXT) | instid1(VALU_DEP_1)
	v_dual_mov_b32 v4, 0xff :: v_dual_lshrrev_b32 v1, 23, v5
	v_cmpx_ne_u32_e32 0xff, v1
; %bb.169:
	v_and_b32_e32 v4, 0x400000, v5
	v_and_or_b32 v5, 0x3fffff, v5, v1
	s_delay_alu instid0(VALU_DEP_2) | instskip(NEXT) | instid1(VALU_DEP_2)
	v_cmp_ne_u32_e32 vcc_lo, 0, v4
	v_cmp_ne_u32_e64 s0, 0, v5
	s_and_b32 s0, vcc_lo, s0
	s_delay_alu instid0(SALU_CYCLE_1) | instskip(NEXT) | instid1(VALU_DEP_1)
	v_cndmask_b32_e64 v4, 0, 1, s0
	v_add_nc_u32_e32 v4, v1, v4
; %bb.170:
	s_or_b32 exec_lo, exec_lo, s43
	s_mov_b32 s43, -1
	s_mov_b32 s0, 0
	global_store_b8 v[2:3], v4, off
.LBB39_171:
	s_mov_b32 s44, 0
.LBB39_172:
	s_delay_alu instid0(SALU_CYCLE_1)
	s_and_b32 vcc_lo, exec_lo, s44
	s_cbranch_vccz .LBB39_175
; %bb.173:
	s_cmp_eq_u32 s41, 29
	s_mov_b32 s0, -1
	s_cbranch_scc0 .LBB39_175
; %bb.174:
	s_mov_b32 s0, 0
	s_wait_xcnt 0x0
	v_cndmask_b32_e64 v4, 0, 1, s39
	v_mov_b32_e32 v5, s0
	s_mov_b32 s43, -1
	s_mov_b32 s44, 0
	global_store_b64 v[2:3], v[4:5], off
	s_branch .LBB39_176
.LBB39_175:
	s_mov_b32 s44, 0
.LBB39_176:
	s_delay_alu instid0(SALU_CYCLE_1)
	s_and_b32 vcc_lo, exec_lo, s44
	s_cbranch_vccz .LBB39_192
; %bb.177:
	s_cmp_lt_i32 s41, 27
	s_mov_b32 s43, -1
	s_cbranch_scc1 .LBB39_183
; %bb.178:
	s_cmp_gt_i32 s41, 27
	s_cbranch_scc0 .LBB39_180
; %bb.179:
	s_wait_xcnt 0x0
	v_cndmask_b32_e64 v1, 0, 1, s39
	s_mov_b32 s43, 0
	global_store_b32 v[2:3], v1, off
.LBB39_180:
	s_and_not1_b32 vcc_lo, exec_lo, s43
	s_cbranch_vccnz .LBB39_182
; %bb.181:
	s_wait_xcnt 0x0
	v_cndmask_b32_e64 v1, 0, 1, s39
	global_store_b16 v[2:3], v1, off
.LBB39_182:
	s_mov_b32 s43, 0
.LBB39_183:
	s_delay_alu instid0(SALU_CYCLE_1)
	s_and_not1_b32 vcc_lo, exec_lo, s43
	s_cbranch_vccnz .LBB39_191
; %bb.184:
	s_wait_xcnt 0x0
	v_cndmask_b32_e64 v4, 0, 1.0, s39
	v_mov_b32_e32 v5, 0x80
	s_mov_b32 s43, exec_lo
	s_delay_alu instid0(VALU_DEP_2)
	v_cmpx_gt_u32_e32 0x43800000, v4
	s_cbranch_execz .LBB39_190
; %bb.185:
	s_mov_b32 s44, 0
	s_mov_b32 s45, exec_lo
                                        ; implicit-def: $vgpr1
	v_cmpx_lt_u32_e32 0x3bffffff, v4
	s_xor_b32 s45, exec_lo, s45
	s_cbranch_execz .LBB39_425
; %bb.186:
	v_bfe_u32 v1, v4, 20, 1
	s_mov_b32 s44, exec_lo
	s_delay_alu instid0(VALU_DEP_1) | instskip(NEXT) | instid1(VALU_DEP_1)
	v_add3_u32 v1, v4, v1, 0x487ffff
                                        ; implicit-def: $vgpr4
	v_lshrrev_b32_e32 v1, 20, v1
	s_and_not1_saveexec_b32 s45, s45
	s_cbranch_execnz .LBB39_426
.LBB39_187:
	s_or_b32 exec_lo, exec_lo, s45
	v_mov_b32_e32 v5, 0
	s_and_saveexec_b32 s45, s44
.LBB39_188:
	v_mov_b32_e32 v5, v1
.LBB39_189:
	s_or_b32 exec_lo, exec_lo, s45
.LBB39_190:
	s_delay_alu instid0(SALU_CYCLE_1)
	s_or_b32 exec_lo, exec_lo, s43
	global_store_b8 v[2:3], v5, off
.LBB39_191:
	s_mov_b32 s43, -1
.LBB39_192:
	s_mov_b32 s44, 0
.LBB39_193:
	s_delay_alu instid0(SALU_CYCLE_1)
	s_and_b32 vcc_lo, exec_lo, s44
	s_cbranch_vccz .LBB39_234
; %bb.194:
	s_cmp_gt_i32 s41, 22
	s_mov_b32 s44, -1
	s_cbranch_scc0 .LBB39_226
; %bb.195:
	s_cmp_lt_i32 s41, 24
	s_mov_b32 s43, -1
	s_cbranch_scc1 .LBB39_215
; %bb.196:
	s_cmp_gt_i32 s41, 24
	s_cbranch_scc0 .LBB39_204
; %bb.197:
	s_wait_xcnt 0x0
	v_cndmask_b32_e64 v4, 0, 1.0, s39
	v_mov_b32_e32 v5, 0x80
	s_mov_b32 s43, exec_lo
	s_delay_alu instid0(VALU_DEP_2)
	v_cmpx_gt_u32_e32 0x47800000, v4
	s_cbranch_execz .LBB39_203
; %bb.198:
	s_mov_b32 s44, 0
	s_mov_b32 s45, exec_lo
                                        ; implicit-def: $vgpr1
	v_cmpx_lt_u32_e32 0x37ffffff, v4
	s_xor_b32 s45, exec_lo, s45
	s_cbranch_execz .LBB39_540
; %bb.199:
	v_bfe_u32 v1, v4, 21, 1
	s_mov_b32 s44, exec_lo
	s_delay_alu instid0(VALU_DEP_1) | instskip(NEXT) | instid1(VALU_DEP_1)
	v_add3_u32 v1, v4, v1, 0x88fffff
                                        ; implicit-def: $vgpr4
	v_lshrrev_b32_e32 v1, 21, v1
	s_and_not1_saveexec_b32 s45, s45
	s_cbranch_execnz .LBB39_541
.LBB39_200:
	s_or_b32 exec_lo, exec_lo, s45
	v_mov_b32_e32 v5, 0
	s_and_saveexec_b32 s45, s44
.LBB39_201:
	v_mov_b32_e32 v5, v1
.LBB39_202:
	s_or_b32 exec_lo, exec_lo, s45
.LBB39_203:
	s_delay_alu instid0(SALU_CYCLE_1)
	s_or_b32 exec_lo, exec_lo, s43
	s_mov_b32 s43, 0
	global_store_b8 v[2:3], v5, off
.LBB39_204:
	s_and_b32 vcc_lo, exec_lo, s43
	s_cbranch_vccz .LBB39_214
; %bb.205:
	s_wait_xcnt 0x0
	v_cndmask_b32_e64 v4, 0, 1.0, s39
	s_mov_b32 s43, exec_lo
                                        ; implicit-def: $vgpr1
	s_delay_alu instid0(VALU_DEP_1)
	v_cmpx_gt_u32_e32 0x43f00000, v4
	s_xor_b32 s43, exec_lo, s43
	s_cbranch_execz .LBB39_211
; %bb.206:
	s_mov_b32 s44, exec_lo
                                        ; implicit-def: $vgpr1
	v_cmpx_lt_u32_e32 0x3c7fffff, v4
	s_xor_b32 s44, exec_lo, s44
; %bb.207:
	v_bfe_u32 v1, v4, 20, 1
	s_delay_alu instid0(VALU_DEP_1) | instskip(NEXT) | instid1(VALU_DEP_1)
	v_add3_u32 v1, v4, v1, 0x407ffff
	v_and_b32_e32 v4, 0xff00000, v1
	v_lshrrev_b32_e32 v1, 20, v1
	s_delay_alu instid0(VALU_DEP_2) | instskip(NEXT) | instid1(VALU_DEP_2)
	v_cmp_ne_u32_e32 vcc_lo, 0x7f00000, v4
                                        ; implicit-def: $vgpr4
	v_cndmask_b32_e32 v1, 0x7e, v1, vcc_lo
; %bb.208:
	s_and_not1_saveexec_b32 s44, s44
; %bb.209:
	v_add_f32_e32 v1, 0x46800000, v4
; %bb.210:
	s_or_b32 exec_lo, exec_lo, s44
                                        ; implicit-def: $vgpr4
.LBB39_211:
	s_and_not1_saveexec_b32 s43, s43
; %bb.212:
	v_mov_b32_e32 v1, 0x7f
	v_cmp_lt_u32_e32 vcc_lo, 0x7f800000, v4
	s_delay_alu instid0(VALU_DEP_2)
	v_cndmask_b32_e32 v1, 0x7e, v1, vcc_lo
; %bb.213:
	s_or_b32 exec_lo, exec_lo, s43
	global_store_b8 v[2:3], v1, off
.LBB39_214:
	s_mov_b32 s43, 0
.LBB39_215:
	s_delay_alu instid0(SALU_CYCLE_1)
	s_and_not1_b32 vcc_lo, exec_lo, s43
	s_cbranch_vccnz .LBB39_225
; %bb.216:
	s_wait_xcnt 0x0
	v_cndmask_b32_e64 v4, 0, 1.0, s39
	s_mov_b32 s43, exec_lo
                                        ; implicit-def: $vgpr1
	s_delay_alu instid0(VALU_DEP_1)
	v_cmpx_gt_u32_e32 0x47800000, v4
	s_xor_b32 s43, exec_lo, s43
	s_cbranch_execz .LBB39_222
; %bb.217:
	s_mov_b32 s44, exec_lo
                                        ; implicit-def: $vgpr1
	v_cmpx_lt_u32_e32 0x387fffff, v4
	s_xor_b32 s44, exec_lo, s44
; %bb.218:
	v_bfe_u32 v1, v4, 21, 1
	s_delay_alu instid0(VALU_DEP_1) | instskip(NEXT) | instid1(VALU_DEP_1)
	v_add3_u32 v1, v4, v1, 0x80fffff
                                        ; implicit-def: $vgpr4
	v_lshrrev_b32_e32 v1, 21, v1
; %bb.219:
	s_and_not1_saveexec_b32 s44, s44
; %bb.220:
	v_add_f32_e32 v1, 0x43000000, v4
; %bb.221:
	s_or_b32 exec_lo, exec_lo, s44
                                        ; implicit-def: $vgpr4
.LBB39_222:
	s_and_not1_saveexec_b32 s43, s43
; %bb.223:
	v_mov_b32_e32 v1, 0x7f
	v_cmp_lt_u32_e32 vcc_lo, 0x7f800000, v4
	s_delay_alu instid0(VALU_DEP_2)
	v_cndmask_b32_e32 v1, 0x7c, v1, vcc_lo
; %bb.224:
	s_or_b32 exec_lo, exec_lo, s43
	global_store_b8 v[2:3], v1, off
.LBB39_225:
	s_mov_b32 s44, 0
	s_mov_b32 s43, -1
.LBB39_226:
	s_and_not1_b32 vcc_lo, exec_lo, s44
	s_cbranch_vccnz .LBB39_234
; %bb.227:
	s_cmp_gt_i32 s41, 14
	s_mov_b32 s44, -1
	s_cbranch_scc0 .LBB39_231
; %bb.228:
	s_cmp_eq_u32 s41, 15
	s_mov_b32 s0, -1
	s_cbranch_scc0 .LBB39_230
; %bb.229:
	s_wait_xcnt 0x0
	v_cndmask_b32_e64 v1, 0, 1.0, s39
	s_mov_b32 s43, -1
	s_mov_b32 s0, 0
	s_delay_alu instid0(VALU_DEP_1) | instskip(NEXT) | instid1(VALU_DEP_1)
	v_bfe_u32 v4, v1, 16, 1
	v_add3_u32 v1, v1, v4, 0x7fff
	global_store_d16_hi_b16 v[2:3], v1, off
.LBB39_230:
	s_mov_b32 s44, 0
.LBB39_231:
	s_delay_alu instid0(SALU_CYCLE_1)
	s_and_b32 vcc_lo, exec_lo, s44
	s_cbranch_vccz .LBB39_234
; %bb.232:
	s_cmp_eq_u32 s41, 11
	s_mov_b32 s0, -1
	s_cbranch_scc0 .LBB39_234
; %bb.233:
	s_wait_xcnt 0x0
	v_cndmask_b32_e64 v1, 0, 1, s39
	s_mov_b32 s43, -1
	s_mov_b32 s0, 0
	global_store_b8 v[2:3], v1, off
.LBB39_234:
	s_mov_b32 s41, 0
.LBB39_235:
	s_delay_alu instid0(SALU_CYCLE_1)
	s_and_b32 vcc_lo, exec_lo, s41
	s_cbranch_vccz .LBB39_274
; %bb.236:
	s_and_b32 s40, 0xffff, s40
	s_mov_b32 s41, -1
	s_cmp_lt_i32 s40, 5
	s_cbranch_scc1 .LBB39_257
; %bb.237:
	s_cmp_lt_i32 s40, 8
	s_cbranch_scc1 .LBB39_247
; %bb.238:
	;; [unrolled: 3-line block ×3, first 2 shown]
	s_cmp_gt_i32 s40, 9
	s_cbranch_scc0 .LBB39_241
; %bb.240:
	s_wait_xcnt 0x0
	v_cndmask_b32_e64 v1, 0, 1, s39
	v_mov_b32_e32 v6, 0
	s_mov_b32 s41, 0
	s_delay_alu instid0(VALU_DEP_2) | instskip(NEXT) | instid1(VALU_DEP_2)
	v_cvt_f64_u32_e32 v[4:5], v1
	v_mov_b32_e32 v7, v6
	global_store_b128 v[2:3], v[4:7], off
.LBB39_241:
	s_and_not1_b32 vcc_lo, exec_lo, s41
	s_cbranch_vccnz .LBB39_243
; %bb.242:
	s_wait_xcnt 0x0
	v_cndmask_b32_e64 v4, 0, 1.0, s39
	v_mov_b32_e32 v5, 0
	global_store_b64 v[2:3], v[4:5], off
.LBB39_243:
	s_mov_b32 s41, 0
.LBB39_244:
	s_delay_alu instid0(SALU_CYCLE_1)
	s_and_not1_b32 vcc_lo, exec_lo, s41
	s_cbranch_vccnz .LBB39_246
; %bb.245:
	s_wait_xcnt 0x0
	v_cndmask_b32_e64 v1, 0, 1.0, s39
	s_delay_alu instid0(VALU_DEP_1) | instskip(NEXT) | instid1(VALU_DEP_1)
	v_cvt_f16_f32_e32 v1, v1
	v_and_b32_e32 v1, 0xffff, v1
	global_store_b32 v[2:3], v1, off
.LBB39_246:
	s_mov_b32 s41, 0
.LBB39_247:
	s_delay_alu instid0(SALU_CYCLE_1)
	s_and_not1_b32 vcc_lo, exec_lo, s41
	s_cbranch_vccnz .LBB39_256
; %bb.248:
	s_cmp_lt_i32 s40, 6
	s_mov_b32 s41, -1
	s_cbranch_scc1 .LBB39_254
; %bb.249:
	s_cmp_gt_i32 s40, 6
	s_cbranch_scc0 .LBB39_251
; %bb.250:
	s_wait_xcnt 0x0
	v_cndmask_b32_e64 v1, 0, 1, s39
	s_mov_b32 s41, 0
	s_delay_alu instid0(VALU_DEP_1)
	v_cvt_f64_u32_e32 v[4:5], v1
	global_store_b64 v[2:3], v[4:5], off
.LBB39_251:
	s_and_not1_b32 vcc_lo, exec_lo, s41
	s_cbranch_vccnz .LBB39_253
; %bb.252:
	s_wait_xcnt 0x0
	v_cndmask_b32_e64 v1, 0, 1.0, s39
	global_store_b32 v[2:3], v1, off
.LBB39_253:
	s_mov_b32 s41, 0
.LBB39_254:
	s_delay_alu instid0(SALU_CYCLE_1)
	s_and_not1_b32 vcc_lo, exec_lo, s41
	s_cbranch_vccnz .LBB39_256
; %bb.255:
	s_wait_xcnt 0x0
	v_cndmask_b32_e64 v1, 0, 1.0, s39
	s_delay_alu instid0(VALU_DEP_1)
	v_cvt_f16_f32_e32 v1, v1
	global_store_b16 v[2:3], v1, off
.LBB39_256:
	s_mov_b32 s41, 0
.LBB39_257:
	s_delay_alu instid0(SALU_CYCLE_1)
	s_and_not1_b32 vcc_lo, exec_lo, s41
	s_cbranch_vccnz .LBB39_273
; %bb.258:
	s_cmp_lt_i32 s40, 2
	s_mov_b32 s41, -1
	s_cbranch_scc1 .LBB39_268
; %bb.259:
	s_cmp_lt_i32 s40, 3
	s_cbranch_scc1 .LBB39_265
; %bb.260:
	s_cmp_gt_i32 s40, 3
	s_cbranch_scc0 .LBB39_262
; %bb.261:
	s_mov_b32 s41, 0
	s_wait_xcnt 0x0
	v_cndmask_b32_e64 v4, 0, 1, s39
	v_mov_b32_e32 v5, s41
	global_store_b64 v[2:3], v[4:5], off
.LBB39_262:
	s_and_not1_b32 vcc_lo, exec_lo, s41
	s_cbranch_vccnz .LBB39_264
; %bb.263:
	s_wait_xcnt 0x0
	v_cndmask_b32_e64 v1, 0, 1, s39
	global_store_b32 v[2:3], v1, off
.LBB39_264:
	s_mov_b32 s41, 0
.LBB39_265:
	s_delay_alu instid0(SALU_CYCLE_1)
	s_and_not1_b32 vcc_lo, exec_lo, s41
	s_cbranch_vccnz .LBB39_267
; %bb.266:
	s_wait_xcnt 0x0
	v_cndmask_b32_e64 v1, 0, 1, s39
	global_store_b16 v[2:3], v1, off
.LBB39_267:
	s_mov_b32 s41, 0
.LBB39_268:
	s_delay_alu instid0(SALU_CYCLE_1)
	s_and_not1_b32 vcc_lo, exec_lo, s41
	s_cbranch_vccnz .LBB39_273
; %bb.269:
	s_cmp_gt_i32 s40, 0
	s_mov_b32 s40, -1
	s_cbranch_scc0 .LBB39_271
; %bb.270:
	s_wait_xcnt 0x0
	v_cndmask_b32_e64 v1, 0, 1, s39
	s_mov_b32 s40, 0
	global_store_b8 v[2:3], v1, off
.LBB39_271:
	s_and_not1_b32 vcc_lo, exec_lo, s40
	s_cbranch_vccnz .LBB39_273
; %bb.272:
	s_wait_xcnt 0x0
	v_cndmask_b32_e64 v1, 0, 1, s39
	global_store_b8 v[2:3], v1, off
.LBB39_273:
	s_mov_b32 s43, -1
.LBB39_274:
	s_delay_alu instid0(SALU_CYCLE_1)
	s_and_not1_b32 vcc_lo, exec_lo, s43
	s_cbranch_vccnz .LBB39_383
; %bb.275:
	v_add_nc_u32_e32 v0, 0x80, v0
	s_mov_b32 s43, -1
	s_branch .LBB39_384
.LBB39_276:
	s_mov_b32 s27, -1
                                        ; implicit-def: $vgpr6
.LBB39_277:
	s_mov_b32 s41, 0
.LBB39_278:
	s_delay_alu instid0(SALU_CYCLE_1)
	s_and_b32 vcc_lo, exec_lo, s41
	s_cbranch_vccz .LBB39_282
; %bb.279:
	s_cmp_eq_u32 s39, 29
	s_cbranch_scc0 .LBB39_281
; %bb.280:
	global_load_b32 v6, v[4:5], off
	s_mov_b32 s40, -1
	s_mov_b32 s27, 0
	s_branch .LBB39_282
.LBB39_281:
	s_mov_b32 s27, -1
                                        ; implicit-def: $vgpr6
.LBB39_282:
	s_mov_b32 s41, 0
.LBB39_283:
	s_delay_alu instid0(SALU_CYCLE_1)
	s_and_b32 vcc_lo, exec_lo, s41
	s_cbranch_vccz .LBB39_299
; %bb.284:
	s_cmp_lt_i32 s39, 27
	s_cbranch_scc1 .LBB39_287
; %bb.285:
	s_cmp_gt_i32 s39, 27
	s_cbranch_scc0 .LBB39_288
; %bb.286:
	s_wait_loadcnt 0x0
	global_load_b32 v6, v[4:5], off
	s_mov_b32 s40, 0
	s_branch .LBB39_289
.LBB39_287:
	s_mov_b32 s40, -1
                                        ; implicit-def: $vgpr6
	s_branch .LBB39_292
.LBB39_288:
	s_mov_b32 s40, -1
                                        ; implicit-def: $vgpr6
.LBB39_289:
	s_delay_alu instid0(SALU_CYCLE_1)
	s_and_not1_b32 vcc_lo, exec_lo, s40
	s_cbranch_vccnz .LBB39_291
; %bb.290:
	s_wait_loadcnt 0x0
	global_load_u16 v6, v[4:5], off
.LBB39_291:
	s_mov_b32 s40, 0
.LBB39_292:
	s_delay_alu instid0(SALU_CYCLE_1)
	s_and_not1_b32 vcc_lo, exec_lo, s40
	s_cbranch_vccnz .LBB39_298
; %bb.293:
	global_load_u8 v3, v[4:5], off
	s_mov_b32 s41, 0
	s_mov_b32 s40, exec_lo
	s_wait_loadcnt 0x0
	v_cmpx_lt_i16_e32 0x7f, v3
	s_xor_b32 s40, exec_lo, s40
	s_cbranch_execz .LBB39_310
; %bb.294:
	v_cmp_ne_u16_e32 vcc_lo, 0x80, v3
	s_and_b32 s41, vcc_lo, exec_lo
	s_and_not1_saveexec_b32 s40, s40
	s_cbranch_execnz .LBB39_311
.LBB39_295:
	s_or_b32 exec_lo, exec_lo, s40
	v_mov_b32_e32 v6, 0
	s_and_saveexec_b32 s40, s41
	s_cbranch_execz .LBB39_297
.LBB39_296:
	v_and_b32_e32 v6, 0xffff, v3
	s_delay_alu instid0(VALU_DEP_1) | instskip(SKIP_1) | instid1(VALU_DEP_2)
	v_and_b32_e32 v7, 7, v6
	v_bfe_u32 v10, v6, 3, 4
	v_clz_i32_u32_e32 v8, v7
	s_delay_alu instid0(VALU_DEP_2) | instskip(NEXT) | instid1(VALU_DEP_2)
	v_cmp_eq_u32_e32 vcc_lo, 0, v10
	v_min_u32_e32 v8, 32, v8
	s_delay_alu instid0(VALU_DEP_1) | instskip(NEXT) | instid1(VALU_DEP_1)
	v_subrev_nc_u32_e32 v9, 28, v8
	v_dual_lshlrev_b32 v6, v9, v6 :: v_dual_sub_nc_u32 v8, 29, v8
	s_delay_alu instid0(VALU_DEP_1) | instskip(NEXT) | instid1(VALU_DEP_1)
	v_dual_lshlrev_b32 v3, 24, v3 :: v_dual_bitop2_b32 v6, 7, v6 bitop3:0x40
	v_dual_cndmask_b32 v8, v10, v8, vcc_lo :: v_dual_cndmask_b32 v6, v7, v6, vcc_lo
	s_delay_alu instid0(VALU_DEP_2) | instskip(NEXT) | instid1(VALU_DEP_2)
	v_and_b32_e32 v3, 0x80000000, v3
	v_lshl_add_u32 v7, v8, 23, 0x3b800000
	s_delay_alu instid0(VALU_DEP_3) | instskip(NEXT) | instid1(VALU_DEP_1)
	v_lshlrev_b32_e32 v6, 20, v6
	v_or3_b32 v3, v3, v7, v6
	s_delay_alu instid0(VALU_DEP_1)
	v_cvt_i32_f32_e32 v6, v3
.LBB39_297:
	s_or_b32 exec_lo, exec_lo, s40
.LBB39_298:
	s_mov_b32 s40, -1
.LBB39_299:
	s_mov_b32 s41, 0
.LBB39_300:
	s_delay_alu instid0(SALU_CYCLE_1)
	s_and_b32 vcc_lo, exec_lo, s41
	s_cbranch_vccz .LBB39_333
; %bb.301:
	s_cmp_gt_i32 s39, 22
	s_cbranch_scc0 .LBB39_309
; %bb.302:
	s_cmp_lt_i32 s39, 24
	s_cbranch_scc1 .LBB39_312
; %bb.303:
	s_cmp_gt_i32 s39, 24
	s_cbranch_scc0 .LBB39_313
; %bb.304:
	global_load_u8 v3, v[4:5], off
	s_mov_b32 s41, 0
	s_mov_b32 s40, exec_lo
	s_wait_loadcnt 0x0
	v_cmpx_lt_i16_e32 0x7f, v3
	s_xor_b32 s40, exec_lo, s40
	s_cbranch_execz .LBB39_325
; %bb.305:
	v_cmp_ne_u16_e32 vcc_lo, 0x80, v3
	s_and_b32 s41, vcc_lo, exec_lo
	s_and_not1_saveexec_b32 s40, s40
	s_cbranch_execnz .LBB39_326
.LBB39_306:
	s_or_b32 exec_lo, exec_lo, s40
	v_mov_b32_e32 v6, 0
	s_and_saveexec_b32 s40, s41
	s_cbranch_execz .LBB39_308
.LBB39_307:
	v_and_b32_e32 v6, 0xffff, v3
	s_delay_alu instid0(VALU_DEP_1) | instskip(SKIP_1) | instid1(VALU_DEP_2)
	v_and_b32_e32 v7, 3, v6
	v_bfe_u32 v10, v6, 2, 5
	v_clz_i32_u32_e32 v8, v7
	s_delay_alu instid0(VALU_DEP_2) | instskip(NEXT) | instid1(VALU_DEP_2)
	v_cmp_eq_u32_e32 vcc_lo, 0, v10
	v_min_u32_e32 v8, 32, v8
	s_delay_alu instid0(VALU_DEP_1) | instskip(NEXT) | instid1(VALU_DEP_1)
	v_subrev_nc_u32_e32 v9, 29, v8
	v_dual_lshlrev_b32 v6, v9, v6 :: v_dual_sub_nc_u32 v8, 30, v8
	s_delay_alu instid0(VALU_DEP_1) | instskip(NEXT) | instid1(VALU_DEP_1)
	v_dual_lshlrev_b32 v3, 24, v3 :: v_dual_bitop2_b32 v6, 3, v6 bitop3:0x40
	v_dual_cndmask_b32 v8, v10, v8, vcc_lo :: v_dual_cndmask_b32 v6, v7, v6, vcc_lo
	s_delay_alu instid0(VALU_DEP_2) | instskip(NEXT) | instid1(VALU_DEP_2)
	v_and_b32_e32 v3, 0x80000000, v3
	v_lshl_add_u32 v7, v8, 23, 0x37800000
	s_delay_alu instid0(VALU_DEP_3) | instskip(NEXT) | instid1(VALU_DEP_1)
	v_lshlrev_b32_e32 v6, 21, v6
	v_or3_b32 v3, v3, v7, v6
	s_delay_alu instid0(VALU_DEP_1)
	v_cvt_i32_f32_e32 v6, v3
.LBB39_308:
	s_or_b32 exec_lo, exec_lo, s40
	s_mov_b32 s40, 0
	s_branch .LBB39_314
.LBB39_309:
	s_mov_b32 s41, -1
                                        ; implicit-def: $vgpr6
	s_branch .LBB39_320
.LBB39_310:
	s_and_not1_saveexec_b32 s40, s40
	s_cbranch_execz .LBB39_295
.LBB39_311:
	v_cmp_ne_u16_e32 vcc_lo, 0, v3
	s_and_not1_b32 s41, s41, exec_lo
	s_and_b32 s43, vcc_lo, exec_lo
	s_delay_alu instid0(SALU_CYCLE_1)
	s_or_b32 s41, s41, s43
	s_or_b32 exec_lo, exec_lo, s40
	v_mov_b32_e32 v6, 0
	s_and_saveexec_b32 s40, s41
	s_cbranch_execnz .LBB39_296
	s_branch .LBB39_297
.LBB39_312:
	s_mov_b32 s40, -1
                                        ; implicit-def: $vgpr6
	s_branch .LBB39_317
.LBB39_313:
	s_mov_b32 s40, -1
                                        ; implicit-def: $vgpr6
.LBB39_314:
	s_delay_alu instid0(SALU_CYCLE_1)
	s_and_b32 vcc_lo, exec_lo, s40
	s_cbranch_vccz .LBB39_316
; %bb.315:
	global_load_u8 v3, v[4:5], off
	s_wait_loadcnt 0x0
	v_lshlrev_b32_e32 v3, 24, v3
	s_delay_alu instid0(VALU_DEP_1) | instskip(NEXT) | instid1(VALU_DEP_1)
	v_and_b32_e32 v6, 0x7f000000, v3
	v_clz_i32_u32_e32 v7, v6
	v_cmp_ne_u32_e32 vcc_lo, 0, v6
	v_add_nc_u32_e32 v9, 0x1000000, v6
	s_delay_alu instid0(VALU_DEP_3) | instskip(NEXT) | instid1(VALU_DEP_1)
	v_min_u32_e32 v7, 32, v7
	v_sub_nc_u32_e64 v7, v7, 4 clamp
	s_delay_alu instid0(VALU_DEP_1) | instskip(NEXT) | instid1(VALU_DEP_1)
	v_dual_lshlrev_b32 v8, v7, v6 :: v_dual_lshlrev_b32 v7, 23, v7
	v_lshrrev_b32_e32 v8, 4, v8
	s_delay_alu instid0(VALU_DEP_1) | instskip(NEXT) | instid1(VALU_DEP_1)
	v_dual_sub_nc_u32 v7, v8, v7 :: v_dual_ashrrev_i32 v8, 8, v9
	v_add_nc_u32_e32 v7, 0x3c000000, v7
	s_delay_alu instid0(VALU_DEP_1) | instskip(NEXT) | instid1(VALU_DEP_1)
	v_and_or_b32 v7, 0x7f800000, v8, v7
	v_cndmask_b32_e32 v6, 0, v7, vcc_lo
	s_delay_alu instid0(VALU_DEP_1) | instskip(NEXT) | instid1(VALU_DEP_1)
	v_and_or_b32 v3, 0x80000000, v3, v6
	v_cvt_i32_f32_e32 v6, v3
.LBB39_316:
	s_mov_b32 s40, 0
.LBB39_317:
	s_delay_alu instid0(SALU_CYCLE_1)
	s_and_not1_b32 vcc_lo, exec_lo, s40
	s_cbranch_vccnz .LBB39_319
; %bb.318:
	global_load_u8 v3, v[4:5], off
	s_wait_loadcnt 0x0
	v_lshlrev_b32_e32 v6, 25, v3
	v_lshlrev_b16 v3, 8, v3
	s_delay_alu instid0(VALU_DEP_1) | instskip(SKIP_1) | instid1(VALU_DEP_2)
	v_and_or_b32 v8, 0x7f00, v3, 0.5
	v_bfe_i32 v3, v3, 0, 16
	v_dual_add_f32 v8, -0.5, v8 :: v_dual_lshrrev_b32 v7, 4, v6
	v_cmp_gt_u32_e32 vcc_lo, 0x8000000, v6
	s_delay_alu instid0(VALU_DEP_2) | instskip(NEXT) | instid1(VALU_DEP_1)
	v_or_b32_e32 v7, 0x70000000, v7
	v_mul_f32_e32 v7, 0x7800000, v7
	s_delay_alu instid0(VALU_DEP_1) | instskip(NEXT) | instid1(VALU_DEP_1)
	v_cndmask_b32_e32 v6, v7, v8, vcc_lo
	v_and_or_b32 v3, 0x80000000, v3, v6
	s_delay_alu instid0(VALU_DEP_1)
	v_cvt_i32_f32_e32 v6, v3
.LBB39_319:
	s_mov_b32 s41, 0
	s_mov_b32 s40, -1
.LBB39_320:
	s_and_not1_b32 vcc_lo, exec_lo, s41
	s_cbranch_vccnz .LBB39_333
; %bb.321:
	s_cmp_gt_i32 s39, 14
	s_cbranch_scc0 .LBB39_324
; %bb.322:
	s_cmp_eq_u32 s39, 15
	s_cbranch_scc0 .LBB39_327
; %bb.323:
	global_load_u16 v3, v[4:5], off
	s_mov_b32 s40, -1
	s_mov_b32 s27, 0
	s_wait_loadcnt 0x0
	v_lshlrev_b32_e32 v3, 16, v3
	s_delay_alu instid0(VALU_DEP_1)
	v_cvt_i32_f32_e32 v6, v3
	s_branch .LBB39_328
.LBB39_324:
	s_mov_b32 s41, -1
                                        ; implicit-def: $vgpr6
	s_branch .LBB39_329
.LBB39_325:
	s_and_not1_saveexec_b32 s40, s40
	s_cbranch_execz .LBB39_306
.LBB39_326:
	v_cmp_ne_u16_e32 vcc_lo, 0, v3
	s_and_not1_b32 s41, s41, exec_lo
	s_and_b32 s43, vcc_lo, exec_lo
	s_delay_alu instid0(SALU_CYCLE_1)
	s_or_b32 s41, s41, s43
	s_or_b32 exec_lo, exec_lo, s40
	v_mov_b32_e32 v6, 0
	s_and_saveexec_b32 s40, s41
	s_cbranch_execnz .LBB39_307
	s_branch .LBB39_308
.LBB39_327:
	s_mov_b32 s27, -1
                                        ; implicit-def: $vgpr6
.LBB39_328:
	s_mov_b32 s41, 0
.LBB39_329:
	s_delay_alu instid0(SALU_CYCLE_1)
	s_and_b32 vcc_lo, exec_lo, s41
	s_cbranch_vccz .LBB39_333
; %bb.330:
	s_cmp_eq_u32 s39, 11
	s_cbranch_scc0 .LBB39_332
; %bb.331:
	global_load_u8 v3, v[4:5], off
	s_mov_b32 s27, 0
	s_mov_b32 s40, -1
	s_wait_loadcnt 0x0
	v_cmp_ne_u16_e32 vcc_lo, 0, v3
	v_cndmask_b32_e64 v6, 0, 1, vcc_lo
	s_branch .LBB39_333
.LBB39_332:
	s_mov_b32 s27, -1
                                        ; implicit-def: $vgpr6
.LBB39_333:
	s_branch .LBB39_31
.LBB39_334:
	s_and_b32 s0, 0xffff, s0
	s_delay_alu instid0(SALU_CYCLE_1)
	s_cmp_lt_i32 s0, 5
	s_cbranch_scc1 .LBB39_339
; %bb.335:
	s_cmp_lt_i32 s0, 8
	s_cbranch_scc1 .LBB39_340
; %bb.336:
	;; [unrolled: 3-line block ×3, first 2 shown]
	s_cmp_gt_i32 s0, 9
	s_cbranch_scc0 .LBB39_342
; %bb.338:
	s_wait_loadcnt 0x0
	global_load_b64 v[6:7], v[4:5], off
	s_mov_b32 s39, 0
	s_wait_loadcnt 0x0
	v_cvt_i32_f64_e32 v6, v[6:7]
	s_branch .LBB39_343
.LBB39_339:
	s_mov_b32 s39, -1
                                        ; implicit-def: $vgpr6
	s_branch .LBB39_361
.LBB39_340:
	s_mov_b32 s39, -1
                                        ; implicit-def: $vgpr6
	s_branch .LBB39_349
.LBB39_341:
	s_mov_b32 s39, -1
                                        ; implicit-def: $vgpr6
	s_branch .LBB39_346
.LBB39_342:
	s_mov_b32 s39, -1
                                        ; implicit-def: $vgpr6
.LBB39_343:
	s_delay_alu instid0(SALU_CYCLE_1)
	s_and_not1_b32 vcc_lo, exec_lo, s39
	s_cbranch_vccnz .LBB39_345
; %bb.344:
	global_load_b32 v3, v[4:5], off
	s_wait_loadcnt 0x0
	v_cvt_i32_f32_e32 v6, v3
.LBB39_345:
	s_mov_b32 s39, 0
.LBB39_346:
	s_delay_alu instid0(SALU_CYCLE_1)
	s_and_not1_b32 vcc_lo, exec_lo, s39
	s_cbranch_vccnz .LBB39_348
; %bb.347:
	global_load_b32 v3, v[4:5], off
	s_wait_loadcnt 0x0
	v_cvt_f32_f16_e32 v3, v3
	s_delay_alu instid0(VALU_DEP_1)
	v_cvt_i32_f32_e32 v6, v3
.LBB39_348:
	s_mov_b32 s39, 0
.LBB39_349:
	s_delay_alu instid0(SALU_CYCLE_1)
	s_and_not1_b32 vcc_lo, exec_lo, s39
	s_cbranch_vccnz .LBB39_360
; %bb.350:
	s_cmp_lt_i32 s0, 6
	s_cbranch_scc1 .LBB39_353
; %bb.351:
	s_cmp_gt_i32 s0, 6
	s_cbranch_scc0 .LBB39_354
; %bb.352:
	s_wait_loadcnt 0x0
	global_load_b64 v[6:7], v[4:5], off
	s_mov_b32 s39, 0
	s_wait_loadcnt 0x0
	v_cvt_i32_f64_e32 v6, v[6:7]
	s_branch .LBB39_355
.LBB39_353:
	s_mov_b32 s39, -1
                                        ; implicit-def: $vgpr6
	s_branch .LBB39_358
.LBB39_354:
	s_mov_b32 s39, -1
                                        ; implicit-def: $vgpr6
.LBB39_355:
	s_delay_alu instid0(SALU_CYCLE_1)
	s_and_not1_b32 vcc_lo, exec_lo, s39
	s_cbranch_vccnz .LBB39_357
; %bb.356:
	global_load_b32 v3, v[4:5], off
	s_wait_loadcnt 0x0
	v_cvt_i32_f32_e32 v6, v3
.LBB39_357:
	s_mov_b32 s39, 0
.LBB39_358:
	s_delay_alu instid0(SALU_CYCLE_1)
	s_and_not1_b32 vcc_lo, exec_lo, s39
	s_cbranch_vccnz .LBB39_360
; %bb.359:
	global_load_u16 v3, v[4:5], off
	s_wait_loadcnt 0x0
	v_cvt_f32_f16_e32 v3, v3
	s_delay_alu instid0(VALU_DEP_1)
	v_cvt_i32_f32_e32 v6, v3
.LBB39_360:
	s_mov_b32 s39, 0
.LBB39_361:
	s_delay_alu instid0(SALU_CYCLE_1)
	s_and_not1_b32 vcc_lo, exec_lo, s39
	s_cbranch_vccnz .LBB39_381
; %bb.362:
	s_cmp_lt_i32 s0, 2
	s_cbranch_scc1 .LBB39_366
; %bb.363:
	s_cmp_lt_i32 s0, 3
	s_cbranch_scc1 .LBB39_367
; %bb.364:
	s_cmp_gt_i32 s0, 3
	s_cbranch_scc0 .LBB39_368
; %bb.365:
	s_wait_loadcnt 0x0
	global_load_b32 v6, v[4:5], off
	s_mov_b32 s39, 0
	s_branch .LBB39_369
.LBB39_366:
	s_mov_b32 s39, -1
                                        ; implicit-def: $vgpr6
	s_branch .LBB39_375
.LBB39_367:
	s_mov_b32 s39, -1
                                        ; implicit-def: $vgpr6
	s_branch .LBB39_372
.LBB39_368:
	s_mov_b32 s39, -1
                                        ; implicit-def: $vgpr6
.LBB39_369:
	s_delay_alu instid0(SALU_CYCLE_1)
	s_and_not1_b32 vcc_lo, exec_lo, s39
	s_cbranch_vccnz .LBB39_371
; %bb.370:
	s_wait_loadcnt 0x0
	global_load_b32 v6, v[4:5], off
.LBB39_371:
	s_mov_b32 s39, 0
.LBB39_372:
	s_delay_alu instid0(SALU_CYCLE_1)
	s_and_not1_b32 vcc_lo, exec_lo, s39
	s_cbranch_vccnz .LBB39_374
; %bb.373:
	s_wait_loadcnt 0x0
	global_load_i16 v6, v[4:5], off
.LBB39_374:
	s_mov_b32 s39, 0
.LBB39_375:
	s_delay_alu instid0(SALU_CYCLE_1)
	s_and_not1_b32 vcc_lo, exec_lo, s39
	s_cbranch_vccnz .LBB39_381
; %bb.376:
	s_cmp_gt_i32 s0, 0
	s_mov_b32 s0, 0
	s_cbranch_scc0 .LBB39_378
; %bb.377:
	s_wait_loadcnt 0x0
	global_load_i8 v6, v[4:5], off
	s_branch .LBB39_379
.LBB39_378:
	s_mov_b32 s0, -1
                                        ; implicit-def: $vgpr6
.LBB39_379:
	s_delay_alu instid0(SALU_CYCLE_1)
	s_and_not1_b32 vcc_lo, exec_lo, s0
	s_cbranch_vccnz .LBB39_381
; %bb.380:
	s_wait_loadcnt 0x0
	global_load_u8 v6, v[4:5], off
.LBB39_381:
	s_branch .LBB39_32
.LBB39_382:
	s_mov_b32 s0, 0
.LBB39_383:
	s_mov_b32 s43, 0
                                        ; implicit-def: $vgpr0
.LBB39_384:
	s_and_b32 s39, s0, exec_lo
	s_and_b32 s40, s27, exec_lo
	;; [unrolled: 1-line block ×3, first 2 shown]
	s_or_not1_b32 s27, s43, exec_lo
.LBB39_385:
	s_wait_xcnt 0x0
	s_or_b32 exec_lo, exec_lo, s42
	s_mov_b32 s44, 0
	s_mov_b32 s26, 0
                                        ; implicit-def: $sgpr0
                                        ; implicit-def: $vgpr6_vgpr7
                                        ; implicit-def: $vgpr4
                                        ; implicit-def: $vgpr2
                                        ; implicit-def: $vgpr8
	s_and_saveexec_b32 s42, s27
	s_cbranch_execz .LBB39_393
; %bb.386:
	s_mov_b32 s48, -1
	s_mov_b32 s43, s41
	s_mov_b32 s45, s40
	;; [unrolled: 1-line block ×3, first 2 shown]
	s_mov_b32 s46, exec_lo
	v_cmpx_gt_i32_e64 s37, v0
	s_cbranch_execz .LBB39_781
; %bb.387:
	s_and_not1_b32 vcc_lo, exec_lo, s31
	s_cbranch_vccnz .LBB39_396
; %bb.388:
	s_and_not1_b32 vcc_lo, exec_lo, s38
	s_cbranch_vccnz .LBB39_397
; %bb.389:
	s_wait_loadcnt 0x0
	v_dual_mov_b32 v2, 0 :: v_dual_mov_b32 v1, v0
	v_dual_mov_b32 v6, 0 :: v_dual_mov_b32 v4, 0
	s_add_co_i32 s0, s36, 1
	s_mov_b64 s[26:27], 0xffffffffffffffe8
	s_and_b32 s0, s0, 30
	s_add_nc_u64 s[26:27], s[2:3], s[26:27]
.LBB39_390:                             ; =>This Inner Loop Header: Depth=1
	s_clause 0x1
	s_load_b128 s[48:51], s[26:27], 0x1c
	s_load_b64 s[44:45], s[26:27], 0x2c
	s_add_co_i32 s0, s0, -2
	s_delay_alu instid0(SALU_CYCLE_1) | instskip(SKIP_2) | instid1(VALU_DEP_1)
	s_cmp_eq_u32 s0, 0
	s_wait_kmcnt 0x0
	v_mul_hi_u32 v3, s49, v1
	v_add_nc_u32_e32 v3, v1, v3
	s_delay_alu instid0(VALU_DEP_1) | instskip(NEXT) | instid1(VALU_DEP_1)
	v_lshrrev_b32_e32 v3, s50, v3
	v_mul_hi_u32 v5, s44, v3
	v_mul_lo_u32 v7, v3, s48
	s_clause 0x1
	s_load_b128 s[52:55], s[26:27], 0xdc
	s_load_b64 s[48:49], s[26:27], 0xec
	s_wait_xcnt 0x0
	s_add_nc_u64 s[26:27], s[26:27], 24
	s_delay_alu instid0(VALU_DEP_1) | instskip(NEXT) | instid1(VALU_DEP_1)
	v_dual_add_nc_u32 v5, v3, v5 :: v_dual_sub_nc_u32 v7, v1, v7
	v_lshrrev_b32_e32 v1, s45, v5
	s_wait_kmcnt 0x0
	s_delay_alu instid0(VALU_DEP_2) | instskip(NEXT) | instid1(VALU_DEP_2)
	v_mad_u32 v2, v7, s52, v2
	v_mul_lo_u32 v5, v1, s51
	v_mad_u32 v4, v7, s54, v4
	v_mad_u32 v6, v7, s53, v6
	s_delay_alu instid0(VALU_DEP_3) | instskip(NEXT) | instid1(VALU_DEP_1)
	v_sub_nc_u32_e32 v3, v3, v5
	v_mad_u32 v2, v3, s55, v2
	s_delay_alu instid0(VALU_DEP_4) | instskip(NEXT) | instid1(VALU_DEP_4)
	v_mad_u32 v4, v3, s49, v4
	v_mad_u32 v6, v3, s48, v6
	s_cbranch_scc0 .LBB39_390
; %bb.391:
	s_bitcmp1_b32 s36, 0
	s_cselect_b32 s0, -1, 0
	s_delay_alu instid0(SALU_CYCLE_1)
	s_and_b32 vcc_lo, exec_lo, s0
	s_cbranch_vccnz .LBB39_398
; %bb.392:
	s_clause 0x1
	s_load_b96 s[48:50], s[26:27], 0x1c
	s_load_b96 s[52:54], s[26:27], 0xdc
	s_wait_kmcnt 0x0
	v_mul_hi_u32 v3, s49, v1
	s_delay_alu instid0(VALU_DEP_1) | instskip(NEXT) | instid1(VALU_DEP_1)
	v_add_nc_u32_e32 v3, v1, v3
	v_lshrrev_b32_e32 v3, s50, v3
	s_delay_alu instid0(VALU_DEP_1) | instskip(NEXT) | instid1(VALU_DEP_1)
	v_mul_lo_u32 v3, v3, s48
	v_sub_nc_u32_e32 v1, v1, v3
	s_delay_alu instid0(VALU_DEP_1)
	v_mad_u32 v2, v1, s52, v2
	v_mad_u32 v6, v1, s53, v6
	;; [unrolled: 1-line block ×3, first 2 shown]
	s_branch .LBB39_398
.LBB39_393:
	s_or_b32 exec_lo, exec_lo, s42
	s_mov_b32 s1, 0
	s_and_saveexec_b32 s6, s41
	s_cbranch_execnz .LBB39_1269
.LBB39_394:
	s_or_b32 exec_lo, exec_lo, s6
	s_and_saveexec_b32 s6, s21
	s_delay_alu instid0(SALU_CYCLE_1)
	s_xor_b32 s6, exec_lo, s6
	s_cbranch_execz .LBB39_1270
.LBB39_395:
	s_wait_loadcnt 0x0
	global_load_u8 v0, v[6:7], off
	s_or_b32 s26, s26, exec_lo
	s_wait_loadcnt 0x0
	v_cmp_ne_u16_e32 vcc_lo, 0, v0
	v_cndmask_b32_e64 v8, 0, 1, vcc_lo
	s_wait_xcnt 0x0
	s_or_b32 exec_lo, exec_lo, s6
	s_and_saveexec_b32 s6, s44
	s_cbranch_execz .LBB39_1316
	s_branch .LBB39_1271
.LBB39_396:
                                        ; implicit-def: $vgpr4
                                        ; implicit-def: $vgpr6
                                        ; implicit-def: $vgpr2
	s_branch .LBB39_399
.LBB39_397:
	s_wait_loadcnt 0x0
	v_dual_mov_b32 v4, 0 :: v_dual_mov_b32 v6, 0
	v_mov_b32_e32 v2, 0
.LBB39_398:
	s_cbranch_execnz .LBB39_401
.LBB39_399:
	s_wait_loadcnt 0x0
	v_mov_b32_e32 v1, 0
	s_and_not1_b32 vcc_lo, exec_lo, s35
	s_delay_alu instid0(VALU_DEP_1) | instskip(NEXT) | instid1(VALU_DEP_1)
	v_mul_u64_e32 v[2:3], s[20:21], v[0:1]
	v_add_nc_u32_e32 v2, v0, v3
	s_delay_alu instid0(VALU_DEP_1) | instskip(NEXT) | instid1(VALU_DEP_1)
	v_lshrrev_b32_e32 v8, s14, v2
	v_mul_lo_u32 v2, v8, s12
	s_delay_alu instid0(VALU_DEP_1) | instskip(NEXT) | instid1(VALU_DEP_1)
	v_sub_nc_u32_e32 v3, v0, v2
	v_mul_lo_u32 v2, v3, s16
	v_mul_lo_u32 v4, v3, s18
	;; [unrolled: 1-line block ×3, first 2 shown]
	s_cbranch_vccnz .LBB39_401
; %bb.400:
	v_mov_b32_e32 v9, v1
	s_delay_alu instid0(VALU_DEP_1) | instskip(NEXT) | instid1(VALU_DEP_1)
	v_mul_u64_e32 v[10:11], s[24:25], v[8:9]
	v_add_nc_u32_e32 v1, v8, v11
	s_delay_alu instid0(VALU_DEP_1) | instskip(NEXT) | instid1(VALU_DEP_1)
	v_lshrrev_b32_e32 v1, s1, v1
	v_mul_lo_u32 v1, v1, s15
	s_delay_alu instid0(VALU_DEP_1) | instskip(NEXT) | instid1(VALU_DEP_1)
	v_sub_nc_u32_e32 v1, v8, v1
	v_mad_u32 v2, v1, s19, v2
	v_mad_u32 v6, v1, s22, v6
	;; [unrolled: 1-line block ×3, first 2 shown]
.LBB39_401:
	v_mov_b32_e32 v7, 0
	s_and_b32 s0, s34, 0xff
	s_delay_alu instid0(SALU_CYCLE_1) | instskip(SKIP_1) | instid1(VALU_DEP_1)
	s_cmp_lt_i32 s0, 11
	s_wait_loadcnt 0x0
	v_add_nc_u64_e32 v[6:7], s[6:7], v[6:7]
	s_cbranch_scc1 .LBB39_408
; %bb.402:
	s_and_b32 s27, 0xffff, s0
	s_delay_alu instid0(SALU_CYCLE_1)
	s_cmp_gt_i32 s27, 25
	s_cbranch_scc0 .LBB39_417
; %bb.403:
	s_cmp_gt_i32 s27, 28
	s_cbranch_scc0 .LBB39_419
; %bb.404:
	;; [unrolled: 3-line block ×4, first 2 shown]
	s_cmp_eq_u32 s27, 46
	s_mov_b32 s44, 0
	s_cbranch_scc0 .LBB39_427
; %bb.407:
	global_load_b32 v1, v[6:7], off
	s_mov_b32 s43, -1
	s_mov_b32 s26, 0
	s_wait_loadcnt 0x0
	v_lshlrev_b32_e32 v1, 16, v1
	s_delay_alu instid0(VALU_DEP_1)
	v_cvt_i32_f32_e32 v1, v1
	s_branch .LBB39_429
.LBB39_408:
	s_mov_b32 s43, 0
	s_mov_b32 s26, s41
                                        ; implicit-def: $vgpr1
	s_cbranch_execnz .LBB39_491
.LBB39_409:
	s_and_not1_b32 vcc_lo, exec_lo, s43
	s_cbranch_vccnz .LBB39_539
.LBB39_410:
	v_mov_b32_e32 v5, 0
	s_and_b32 s0, s13, 0xff
	s_delay_alu instid0(SALU_CYCLE_1) | instskip(NEXT) | instid1(VALU_DEP_1)
	s_cmp_lt_i32 s0, 11
	v_add_nc_u64_e32 v[4:5], s[8:9], v[4:5]
	s_cbranch_scc1 .LBB39_418
; %bb.411:
	s_and_b32 s43, 0xffff, s0
	s_delay_alu instid0(SALU_CYCLE_1)
	s_cmp_gt_i32 s43, 25
	s_cbranch_scc0 .LBB39_420
; %bb.412:
	s_cmp_gt_i32 s43, 28
	s_cbranch_scc0 .LBB39_422
; %bb.413:
	;; [unrolled: 3-line block ×4, first 2 shown]
	s_cmp_eq_u32 s43, 46
	s_mov_b32 s45, 0
	s_cbranch_scc0 .LBB39_542
; %bb.416:
	global_load_b32 v3, v[4:5], off
	s_mov_b32 s44, -1
	s_mov_b32 s27, 0
	s_wait_loadcnt 0x0
	v_lshlrev_b32_e32 v3, 16, v3
	s_wait_xcnt 0x1
	s_delay_alu instid0(VALU_DEP_1)
	v_cvt_i32_f32_e32 v6, v3
	s_branch .LBB39_544
.LBB39_417:
	s_mov_b32 s44, -1
	s_mov_b32 s43, 0
	s_mov_b32 s26, s41
                                        ; implicit-def: $vgpr1
	s_branch .LBB39_457
.LBB39_418:
	s_mov_b32 s43, -1
	s_mov_b32 s44, 0
	s_mov_b32 s27, s40
                                        ; implicit-def: $vgpr6
	s_branch .LBB39_605
.LBB39_419:
	s_mov_b32 s44, -1
	s_mov_b32 s43, 0
	s_mov_b32 s26, s41
                                        ; implicit-def: $vgpr1
	s_branch .LBB39_440
.LBB39_420:
	s_mov_b32 s45, -1
	s_mov_b32 s44, 0
	s_mov_b32 s27, s40
                                        ; implicit-def: $vgpr6
	s_branch .LBB39_571
.LBB39_421:
	s_mov_b32 s44, -1
	s_mov_b32 s43, 0
	s_mov_b32 s26, s41
                                        ; implicit-def: $vgpr1
	s_branch .LBB39_435
.LBB39_422:
	s_mov_b32 s45, -1
	s_mov_b32 s44, 0
	s_mov_b32 s27, s40
                                        ; implicit-def: $vgpr6
	s_branch .LBB39_554
.LBB39_423:
	s_mov_b32 s44, -1
	s_mov_b32 s43, 0
	s_mov_b32 s26, s41
	s_branch .LBB39_428
.LBB39_424:
	s_mov_b32 s45, -1
	s_mov_b32 s44, 0
	s_mov_b32 s27, s40
                                        ; implicit-def: $vgpr6
	s_branch .LBB39_549
.LBB39_425:
	s_and_not1_saveexec_b32 s45, s45
	s_cbranch_execz .LBB39_187
.LBB39_426:
	v_add_f32_e32 v1, 0x46000000, v4
	s_and_not1_b32 s44, s44, exec_lo
	s_delay_alu instid0(VALU_DEP_1) | instskip(NEXT) | instid1(VALU_DEP_1)
	v_and_b32_e32 v1, 0xff, v1
	v_cmp_ne_u32_e32 vcc_lo, 0, v1
	s_and_b32 s46, vcc_lo, exec_lo
	s_delay_alu instid0(SALU_CYCLE_1)
	s_or_b32 s44, s44, s46
	s_or_b32 exec_lo, exec_lo, s45
	v_mov_b32_e32 v5, 0
	s_and_saveexec_b32 s45, s44
	s_cbranch_execnz .LBB39_188
	s_branch .LBB39_189
.LBB39_427:
	s_mov_b32 s26, -1
	s_mov_b32 s43, 0
.LBB39_428:
                                        ; implicit-def: $vgpr1
.LBB39_429:
	s_and_b32 vcc_lo, exec_lo, s44
	s_cbranch_vccz .LBB39_434
; %bb.430:
	s_cmp_eq_u32 s27, 44
	s_cbranch_scc0 .LBB39_433
; %bb.431:
	global_load_u8 v1, v[6:7], off
	s_mov_b32 s26, 0
	s_mov_b32 s43, -1
	s_wait_loadcnt 0x0
	v_lshlrev_b32_e32 v3, 23, v1
	v_cmp_ne_u32_e32 vcc_lo, 0, v1
	s_delay_alu instid0(VALU_DEP_2) | instskip(NEXT) | instid1(VALU_DEP_1)
	v_cvt_i32_f32_e32 v3, v3
	v_cndmask_b32_e32 v1, 0, v3, vcc_lo
	s_branch .LBB39_434
.LBB39_432:
	s_mov_b32 s45, -1
	s_mov_b32 s44, 0
	s_mov_b32 s27, s40
	s_branch .LBB39_543
.LBB39_433:
	s_mov_b32 s26, -1
                                        ; implicit-def: $vgpr1
.LBB39_434:
	s_mov_b32 s44, 0
.LBB39_435:
	s_delay_alu instid0(SALU_CYCLE_1)
	s_and_b32 vcc_lo, exec_lo, s44
	s_cbranch_vccz .LBB39_439
; %bb.436:
	s_cmp_eq_u32 s27, 29
	s_cbranch_scc0 .LBB39_438
; %bb.437:
	global_load_b32 v1, v[6:7], off
	s_mov_b32 s43, -1
	s_mov_b32 s26, 0
	s_branch .LBB39_439
.LBB39_438:
	s_mov_b32 s26, -1
                                        ; implicit-def: $vgpr1
.LBB39_439:
	s_mov_b32 s44, 0
.LBB39_440:
	s_delay_alu instid0(SALU_CYCLE_1)
	s_and_b32 vcc_lo, exec_lo, s44
	s_cbranch_vccz .LBB39_456
; %bb.441:
	s_cmp_lt_i32 s27, 27
	s_cbranch_scc1 .LBB39_444
; %bb.442:
	s_cmp_gt_i32 s27, 27
	s_cbranch_scc0 .LBB39_445
; %bb.443:
	s_wait_loadcnt 0x0
	global_load_b32 v1, v[6:7], off
	s_mov_b32 s43, 0
	s_branch .LBB39_446
.LBB39_444:
	s_mov_b32 s43, -1
                                        ; implicit-def: $vgpr1
	s_branch .LBB39_449
.LBB39_445:
	s_mov_b32 s43, -1
                                        ; implicit-def: $vgpr1
.LBB39_446:
	s_delay_alu instid0(SALU_CYCLE_1)
	s_and_not1_b32 vcc_lo, exec_lo, s43
	s_cbranch_vccnz .LBB39_448
; %bb.447:
	s_wait_loadcnt 0x0
	global_load_u16 v1, v[6:7], off
.LBB39_448:
	s_mov_b32 s43, 0
.LBB39_449:
	s_delay_alu instid0(SALU_CYCLE_1)
	s_and_not1_b32 vcc_lo, exec_lo, s43
	s_cbranch_vccnz .LBB39_455
; %bb.450:
	global_load_u8 v3, v[6:7], off
	s_mov_b32 s44, 0
	s_mov_b32 s43, exec_lo
	s_wait_loadcnt 0x0
	v_cmpx_lt_i16_e32 0x7f, v3
	s_xor_b32 s43, exec_lo, s43
	s_cbranch_execz .LBB39_467
; %bb.451:
	v_cmp_ne_u16_e32 vcc_lo, 0x80, v3
	s_and_b32 s44, vcc_lo, exec_lo
	s_and_not1_saveexec_b32 s43, s43
	s_cbranch_execnz .LBB39_468
.LBB39_452:
	s_or_b32 exec_lo, exec_lo, s43
	v_mov_b32_e32 v1, 0
	s_and_saveexec_b32 s43, s44
	s_cbranch_execz .LBB39_454
.LBB39_453:
	v_and_b32_e32 v1, 0xffff, v3
	s_delay_alu instid0(VALU_DEP_1) | instskip(SKIP_1) | instid1(VALU_DEP_2)
	v_and_b32_e32 v5, 7, v1
	v_bfe_u32 v10, v1, 3, 4
	v_clz_i32_u32_e32 v8, v5
	s_delay_alu instid0(VALU_DEP_2) | instskip(NEXT) | instid1(VALU_DEP_2)
	v_cmp_eq_u32_e32 vcc_lo, 0, v10
	v_min_u32_e32 v8, 32, v8
	s_delay_alu instid0(VALU_DEP_1) | instskip(NEXT) | instid1(VALU_DEP_1)
	v_subrev_nc_u32_e32 v9, 28, v8
	v_dual_lshlrev_b32 v1, v9, v1 :: v_dual_sub_nc_u32 v8, 29, v8
	s_delay_alu instid0(VALU_DEP_1) | instskip(NEXT) | instid1(VALU_DEP_1)
	v_dual_lshlrev_b32 v3, 24, v3 :: v_dual_bitop2_b32 v1, 7, v1 bitop3:0x40
	v_dual_cndmask_b32 v8, v10, v8 :: v_dual_cndmask_b32 v1, v5, v1
	s_delay_alu instid0(VALU_DEP_2) | instskip(NEXT) | instid1(VALU_DEP_2)
	v_and_b32_e32 v3, 0x80000000, v3
	v_lshl_add_u32 v5, v8, 23, 0x3b800000
	s_delay_alu instid0(VALU_DEP_3) | instskip(NEXT) | instid1(VALU_DEP_1)
	v_lshlrev_b32_e32 v1, 20, v1
	v_or3_b32 v1, v3, v5, v1
	s_delay_alu instid0(VALU_DEP_1)
	v_cvt_i32_f32_e32 v1, v1
.LBB39_454:
	s_or_b32 exec_lo, exec_lo, s43
.LBB39_455:
	s_mov_b32 s43, -1
.LBB39_456:
	s_mov_b32 s44, 0
.LBB39_457:
	s_delay_alu instid0(SALU_CYCLE_1)
	s_and_b32 vcc_lo, exec_lo, s44
	s_cbranch_vccz .LBB39_490
; %bb.458:
	s_cmp_gt_i32 s27, 22
	s_cbranch_scc0 .LBB39_466
; %bb.459:
	s_cmp_lt_i32 s27, 24
	s_cbranch_scc1 .LBB39_469
; %bb.460:
	s_cmp_gt_i32 s27, 24
	s_cbranch_scc0 .LBB39_470
; %bb.461:
	global_load_u8 v3, v[6:7], off
	s_mov_b32 s44, 0
	s_mov_b32 s43, exec_lo
	s_wait_loadcnt 0x0
	v_cmpx_lt_i16_e32 0x7f, v3
	s_xor_b32 s43, exec_lo, s43
	s_cbranch_execz .LBB39_482
; %bb.462:
	v_cmp_ne_u16_e32 vcc_lo, 0x80, v3
	s_and_b32 s44, vcc_lo, exec_lo
	s_and_not1_saveexec_b32 s43, s43
	s_cbranch_execnz .LBB39_483
.LBB39_463:
	s_or_b32 exec_lo, exec_lo, s43
	v_mov_b32_e32 v1, 0
	s_and_saveexec_b32 s43, s44
	s_cbranch_execz .LBB39_465
.LBB39_464:
	v_and_b32_e32 v1, 0xffff, v3
	s_delay_alu instid0(VALU_DEP_1) | instskip(SKIP_1) | instid1(VALU_DEP_2)
	v_and_b32_e32 v5, 3, v1
	v_bfe_u32 v10, v1, 2, 5
	v_clz_i32_u32_e32 v8, v5
	s_delay_alu instid0(VALU_DEP_2) | instskip(NEXT) | instid1(VALU_DEP_2)
	v_cmp_eq_u32_e32 vcc_lo, 0, v10
	v_min_u32_e32 v8, 32, v8
	s_delay_alu instid0(VALU_DEP_1) | instskip(NEXT) | instid1(VALU_DEP_1)
	v_subrev_nc_u32_e32 v9, 29, v8
	v_dual_lshlrev_b32 v1, v9, v1 :: v_dual_sub_nc_u32 v8, 30, v8
	s_delay_alu instid0(VALU_DEP_1) | instskip(NEXT) | instid1(VALU_DEP_1)
	v_dual_lshlrev_b32 v3, 24, v3 :: v_dual_bitop2_b32 v1, 3, v1 bitop3:0x40
	v_dual_cndmask_b32 v8, v10, v8 :: v_dual_cndmask_b32 v1, v5, v1
	s_delay_alu instid0(VALU_DEP_2) | instskip(NEXT) | instid1(VALU_DEP_2)
	v_and_b32_e32 v3, 0x80000000, v3
	v_lshl_add_u32 v5, v8, 23, 0x37800000
	s_delay_alu instid0(VALU_DEP_3) | instskip(NEXT) | instid1(VALU_DEP_1)
	v_lshlrev_b32_e32 v1, 21, v1
	v_or3_b32 v1, v3, v5, v1
	s_delay_alu instid0(VALU_DEP_1)
	v_cvt_i32_f32_e32 v1, v1
.LBB39_465:
	s_or_b32 exec_lo, exec_lo, s43
	s_mov_b32 s43, 0
	s_branch .LBB39_471
.LBB39_466:
	s_mov_b32 s44, -1
                                        ; implicit-def: $vgpr1
	s_branch .LBB39_477
.LBB39_467:
	s_and_not1_saveexec_b32 s43, s43
	s_cbranch_execz .LBB39_452
.LBB39_468:
	v_cmp_ne_u16_e32 vcc_lo, 0, v3
	s_and_not1_b32 s44, s44, exec_lo
	s_and_b32 s45, vcc_lo, exec_lo
	s_delay_alu instid0(SALU_CYCLE_1)
	s_or_b32 s44, s44, s45
	s_or_b32 exec_lo, exec_lo, s43
	v_mov_b32_e32 v1, 0
	s_and_saveexec_b32 s43, s44
	s_cbranch_execnz .LBB39_453
	s_branch .LBB39_454
.LBB39_469:
	s_mov_b32 s43, -1
                                        ; implicit-def: $vgpr1
	s_branch .LBB39_474
.LBB39_470:
	s_mov_b32 s43, -1
                                        ; implicit-def: $vgpr1
.LBB39_471:
	s_delay_alu instid0(SALU_CYCLE_1)
	s_and_b32 vcc_lo, exec_lo, s43
	s_cbranch_vccz .LBB39_473
; %bb.472:
	s_wait_loadcnt 0x0
	global_load_u8 v1, v[6:7], off
	s_wait_loadcnt 0x0
	v_lshlrev_b32_e32 v1, 24, v1
	s_delay_alu instid0(VALU_DEP_1) | instskip(NEXT) | instid1(VALU_DEP_1)
	v_and_b32_e32 v3, 0x7f000000, v1
	v_clz_i32_u32_e32 v5, v3
	v_add_nc_u32_e32 v9, 0x1000000, v3
	v_cmp_ne_u32_e32 vcc_lo, 0, v3
	s_delay_alu instid0(VALU_DEP_3) | instskip(NEXT) | instid1(VALU_DEP_1)
	v_min_u32_e32 v5, 32, v5
	v_sub_nc_u32_e64 v5, v5, 4 clamp
	s_delay_alu instid0(VALU_DEP_1) | instskip(NEXT) | instid1(VALU_DEP_1)
	v_dual_lshlrev_b32 v8, v5, v3 :: v_dual_lshlrev_b32 v5, 23, v5
	v_lshrrev_b32_e32 v8, 4, v8
	s_delay_alu instid0(VALU_DEP_1) | instskip(SKIP_1) | instid1(VALU_DEP_2)
	v_sub_nc_u32_e32 v5, v8, v5
	v_ashrrev_i32_e32 v8, 8, v9
	v_add_nc_u32_e32 v5, 0x3c000000, v5
	s_delay_alu instid0(VALU_DEP_1) | instskip(NEXT) | instid1(VALU_DEP_1)
	v_and_or_b32 v5, 0x7f800000, v8, v5
	v_cndmask_b32_e32 v3, 0, v5, vcc_lo
	s_delay_alu instid0(VALU_DEP_1) | instskip(NEXT) | instid1(VALU_DEP_1)
	v_and_or_b32 v1, 0x80000000, v1, v3
	v_cvt_i32_f32_e32 v1, v1
.LBB39_473:
	s_mov_b32 s43, 0
.LBB39_474:
	s_delay_alu instid0(SALU_CYCLE_1)
	s_and_not1_b32 vcc_lo, exec_lo, s43
	s_cbranch_vccnz .LBB39_476
; %bb.475:
	s_wait_loadcnt 0x0
	global_load_u8 v1, v[6:7], off
	s_wait_loadcnt 0x0
	v_lshlrev_b32_e32 v3, 25, v1
	v_lshlrev_b16 v1, 8, v1
	s_delay_alu instid0(VALU_DEP_1) | instskip(SKIP_1) | instid1(VALU_DEP_2)
	v_and_or_b32 v8, 0x7f00, v1, 0.5
	v_bfe_i32 v1, v1, 0, 16
	v_dual_add_f32 v8, -0.5, v8 :: v_dual_lshrrev_b32 v5, 4, v3
	v_cmp_gt_u32_e32 vcc_lo, 0x8000000, v3
	s_delay_alu instid0(VALU_DEP_2) | instskip(NEXT) | instid1(VALU_DEP_1)
	v_or_b32_e32 v5, 0x70000000, v5
	v_mul_f32_e32 v5, 0x7800000, v5
	s_delay_alu instid0(VALU_DEP_1) | instskip(NEXT) | instid1(VALU_DEP_1)
	v_cndmask_b32_e32 v3, v5, v8, vcc_lo
	v_and_or_b32 v1, 0x80000000, v1, v3
	s_delay_alu instid0(VALU_DEP_1)
	v_cvt_i32_f32_e32 v1, v1
.LBB39_476:
	s_mov_b32 s44, 0
	s_mov_b32 s43, -1
.LBB39_477:
	s_and_not1_b32 vcc_lo, exec_lo, s44
	s_cbranch_vccnz .LBB39_490
; %bb.478:
	s_cmp_gt_i32 s27, 14
	s_cbranch_scc0 .LBB39_481
; %bb.479:
	s_cmp_eq_u32 s27, 15
	s_cbranch_scc0 .LBB39_484
; %bb.480:
	s_wait_loadcnt 0x0
	global_load_u16 v1, v[6:7], off
	s_mov_b32 s43, -1
	s_mov_b32 s26, 0
	s_wait_loadcnt 0x0
	v_lshlrev_b32_e32 v1, 16, v1
	s_delay_alu instid0(VALU_DEP_1)
	v_cvt_i32_f32_e32 v1, v1
	s_branch .LBB39_485
.LBB39_481:
	s_mov_b32 s44, -1
                                        ; implicit-def: $vgpr1
	s_branch .LBB39_486
.LBB39_482:
	s_and_not1_saveexec_b32 s43, s43
	s_cbranch_execz .LBB39_463
.LBB39_483:
	v_cmp_ne_u16_e32 vcc_lo, 0, v3
	s_and_not1_b32 s44, s44, exec_lo
	s_and_b32 s45, vcc_lo, exec_lo
	s_delay_alu instid0(SALU_CYCLE_1)
	s_or_b32 s44, s44, s45
	s_or_b32 exec_lo, exec_lo, s43
	v_mov_b32_e32 v1, 0
	s_and_saveexec_b32 s43, s44
	s_cbranch_execnz .LBB39_464
	s_branch .LBB39_465
.LBB39_484:
	s_mov_b32 s26, -1
                                        ; implicit-def: $vgpr1
.LBB39_485:
	s_mov_b32 s44, 0
.LBB39_486:
	s_delay_alu instid0(SALU_CYCLE_1)
	s_and_b32 vcc_lo, exec_lo, s44
	s_cbranch_vccz .LBB39_490
; %bb.487:
	s_cmp_eq_u32 s27, 11
	s_cbranch_scc0 .LBB39_489
; %bb.488:
	s_wait_loadcnt 0x0
	global_load_u8 v1, v[6:7], off
	s_mov_b32 s26, 0
	s_mov_b32 s43, -1
	s_wait_loadcnt 0x0
	v_cmp_ne_u16_e32 vcc_lo, 0, v1
	v_cndmask_b32_e64 v1, 0, 1, vcc_lo
	s_branch .LBB39_490
.LBB39_489:
	s_mov_b32 s26, -1
                                        ; implicit-def: $vgpr1
.LBB39_490:
	s_branch .LBB39_409
.LBB39_491:
	s_and_b32 s0, 0xffff, s0
	s_delay_alu instid0(SALU_CYCLE_1)
	s_cmp_lt_i32 s0, 5
	s_cbranch_scc1 .LBB39_496
; %bb.492:
	s_cmp_lt_i32 s0, 8
	s_cbranch_scc1 .LBB39_497
; %bb.493:
	;; [unrolled: 3-line block ×3, first 2 shown]
	s_cmp_gt_i32 s0, 9
	s_cbranch_scc0 .LBB39_499
; %bb.495:
	global_load_b64 v[8:9], v[6:7], off
	s_mov_b32 s27, 0
	s_wait_loadcnt 0x0
	v_cvt_i32_f64_e32 v1, v[8:9]
	s_branch .LBB39_500
.LBB39_496:
	s_mov_b32 s27, -1
                                        ; implicit-def: $vgpr1
	s_branch .LBB39_518
.LBB39_497:
	s_mov_b32 s27, -1
                                        ; implicit-def: $vgpr1
	s_branch .LBB39_506
.LBB39_498:
	s_mov_b32 s27, -1
                                        ; implicit-def: $vgpr1
	s_branch .LBB39_503
.LBB39_499:
	s_mov_b32 s27, -1
                                        ; implicit-def: $vgpr1
.LBB39_500:
	s_delay_alu instid0(SALU_CYCLE_1)
	s_and_not1_b32 vcc_lo, exec_lo, s27
	s_cbranch_vccnz .LBB39_502
; %bb.501:
	s_wait_loadcnt 0x0
	global_load_b32 v1, v[6:7], off
	s_wait_loadcnt 0x0
	v_cvt_i32_f32_e32 v1, v1
.LBB39_502:
	s_mov_b32 s27, 0
.LBB39_503:
	s_delay_alu instid0(SALU_CYCLE_1)
	s_and_not1_b32 vcc_lo, exec_lo, s27
	s_cbranch_vccnz .LBB39_505
; %bb.504:
	s_wait_loadcnt 0x0
	global_load_b32 v1, v[6:7], off
	s_wait_loadcnt 0x0
	v_cvt_f32_f16_e32 v1, v1
	s_delay_alu instid0(VALU_DEP_1)
	v_cvt_i32_f32_e32 v1, v1
.LBB39_505:
	s_mov_b32 s27, 0
.LBB39_506:
	s_delay_alu instid0(SALU_CYCLE_1)
	s_and_not1_b32 vcc_lo, exec_lo, s27
	s_cbranch_vccnz .LBB39_517
; %bb.507:
	s_cmp_lt_i32 s0, 6
	s_cbranch_scc1 .LBB39_510
; %bb.508:
	s_cmp_gt_i32 s0, 6
	s_cbranch_scc0 .LBB39_511
; %bb.509:
	global_load_b64 v[8:9], v[6:7], off
	s_mov_b32 s27, 0
	s_wait_loadcnt 0x0
	v_cvt_i32_f64_e32 v1, v[8:9]
	s_branch .LBB39_512
.LBB39_510:
	s_mov_b32 s27, -1
                                        ; implicit-def: $vgpr1
	s_branch .LBB39_515
.LBB39_511:
	s_mov_b32 s27, -1
                                        ; implicit-def: $vgpr1
.LBB39_512:
	s_delay_alu instid0(SALU_CYCLE_1)
	s_and_not1_b32 vcc_lo, exec_lo, s27
	s_cbranch_vccnz .LBB39_514
; %bb.513:
	s_wait_loadcnt 0x0
	global_load_b32 v1, v[6:7], off
	s_wait_loadcnt 0x0
	v_cvt_i32_f32_e32 v1, v1
.LBB39_514:
	s_mov_b32 s27, 0
.LBB39_515:
	s_delay_alu instid0(SALU_CYCLE_1)
	s_and_not1_b32 vcc_lo, exec_lo, s27
	s_cbranch_vccnz .LBB39_517
; %bb.516:
	s_wait_loadcnt 0x0
	global_load_u16 v1, v[6:7], off
	s_wait_loadcnt 0x0
	v_cvt_f32_f16_e32 v1, v1
	s_delay_alu instid0(VALU_DEP_1)
	v_cvt_i32_f32_e32 v1, v1
.LBB39_517:
	s_mov_b32 s27, 0
.LBB39_518:
	s_delay_alu instid0(SALU_CYCLE_1)
	s_and_not1_b32 vcc_lo, exec_lo, s27
	s_cbranch_vccnz .LBB39_538
; %bb.519:
	s_cmp_lt_i32 s0, 2
	s_cbranch_scc1 .LBB39_523
; %bb.520:
	s_cmp_lt_i32 s0, 3
	s_cbranch_scc1 .LBB39_524
; %bb.521:
	s_cmp_gt_i32 s0, 3
	s_cbranch_scc0 .LBB39_525
; %bb.522:
	s_wait_loadcnt 0x0
	global_load_b32 v1, v[6:7], off
	s_mov_b32 s27, 0
	s_branch .LBB39_526
.LBB39_523:
	s_mov_b32 s27, -1
                                        ; implicit-def: $vgpr1
	s_branch .LBB39_532
.LBB39_524:
	s_mov_b32 s27, -1
                                        ; implicit-def: $vgpr1
	s_branch .LBB39_529
.LBB39_525:
	s_mov_b32 s27, -1
                                        ; implicit-def: $vgpr1
.LBB39_526:
	s_delay_alu instid0(SALU_CYCLE_1)
	s_and_not1_b32 vcc_lo, exec_lo, s27
	s_cbranch_vccnz .LBB39_528
; %bb.527:
	s_wait_loadcnt 0x0
	global_load_b32 v1, v[6:7], off
.LBB39_528:
	s_mov_b32 s27, 0
.LBB39_529:
	s_delay_alu instid0(SALU_CYCLE_1)
	s_and_not1_b32 vcc_lo, exec_lo, s27
	s_cbranch_vccnz .LBB39_531
; %bb.530:
	s_wait_loadcnt 0x0
	global_load_i16 v1, v[6:7], off
.LBB39_531:
	s_mov_b32 s27, 0
.LBB39_532:
	s_delay_alu instid0(SALU_CYCLE_1)
	s_and_not1_b32 vcc_lo, exec_lo, s27
	s_cbranch_vccnz .LBB39_538
; %bb.533:
	s_cmp_gt_i32 s0, 0
	s_mov_b32 s0, 0
	s_cbranch_scc0 .LBB39_535
; %bb.534:
	s_wait_loadcnt 0x0
	global_load_i8 v1, v[6:7], off
	s_branch .LBB39_536
.LBB39_535:
	s_mov_b32 s0, -1
                                        ; implicit-def: $vgpr1
.LBB39_536:
	s_delay_alu instid0(SALU_CYCLE_1)
	s_and_not1_b32 vcc_lo, exec_lo, s0
	s_cbranch_vccnz .LBB39_538
; %bb.537:
	s_wait_loadcnt 0x0
	global_load_u8 v1, v[6:7], off
.LBB39_538:
	s_branch .LBB39_410
.LBB39_539:
	s_mov_b32 s47, 0
	s_mov_b32 s0, s39
	;; [unrolled: 1-line block ×3, first 2 shown]
	s_branch .LBB39_779
.LBB39_540:
	s_and_not1_saveexec_b32 s45, s45
	s_cbranch_execz .LBB39_200
.LBB39_541:
	v_add_f32_e32 v1, 0x42800000, v4
	s_and_not1_b32 s44, s44, exec_lo
	s_delay_alu instid0(VALU_DEP_1) | instskip(NEXT) | instid1(VALU_DEP_1)
	v_and_b32_e32 v1, 0xff, v1
	v_cmp_ne_u32_e32 vcc_lo, 0, v1
	s_and_b32 s46, vcc_lo, exec_lo
	s_delay_alu instid0(SALU_CYCLE_1)
	s_or_b32 s44, s44, s46
	s_or_b32 exec_lo, exec_lo, s45
	v_mov_b32_e32 v5, 0
	s_and_saveexec_b32 s45, s44
	s_cbranch_execnz .LBB39_201
	s_branch .LBB39_202
.LBB39_542:
	s_mov_b32 s27, -1
	s_mov_b32 s44, 0
.LBB39_543:
                                        ; implicit-def: $vgpr6
.LBB39_544:
	s_and_b32 vcc_lo, exec_lo, s45
	s_cbranch_vccz .LBB39_548
; %bb.545:
	s_cmp_eq_u32 s43, 44
	s_cbranch_scc0 .LBB39_547
; %bb.546:
	global_load_u8 v3, v[4:5], off
	s_mov_b32 s27, 0
	s_mov_b32 s44, -1
	s_wait_loadcnt 0x0
	s_wait_xcnt 0x1
	v_lshlrev_b32_e32 v6, 23, v3
	v_cmp_ne_u32_e32 vcc_lo, 0, v3
	s_delay_alu instid0(VALU_DEP_2) | instskip(NEXT) | instid1(VALU_DEP_1)
	v_cvt_i32_f32_e32 v6, v6
	v_cndmask_b32_e32 v6, 0, v6, vcc_lo
	s_branch .LBB39_548
.LBB39_547:
	s_mov_b32 s27, -1
                                        ; implicit-def: $vgpr6
.LBB39_548:
	s_mov_b32 s45, 0
.LBB39_549:
	s_delay_alu instid0(SALU_CYCLE_1)
	s_and_b32 vcc_lo, exec_lo, s45
	s_cbranch_vccz .LBB39_553
; %bb.550:
	s_cmp_eq_u32 s43, 29
	s_cbranch_scc0 .LBB39_552
; %bb.551:
	global_load_b32 v6, v[4:5], off
	s_mov_b32 s44, -1
	s_mov_b32 s27, 0
	s_branch .LBB39_553
.LBB39_552:
	s_mov_b32 s27, -1
                                        ; implicit-def: $vgpr6
.LBB39_553:
	s_mov_b32 s45, 0
.LBB39_554:
	s_delay_alu instid0(SALU_CYCLE_1)
	s_and_b32 vcc_lo, exec_lo, s45
	s_cbranch_vccz .LBB39_570
; %bb.555:
	s_cmp_lt_i32 s43, 27
	s_cbranch_scc1 .LBB39_558
; %bb.556:
	s_cmp_gt_i32 s43, 27
	s_cbranch_scc0 .LBB39_559
; %bb.557:
	s_wait_loadcnt 0x0
	global_load_b32 v6, v[4:5], off
	s_mov_b32 s44, 0
	s_branch .LBB39_560
.LBB39_558:
	s_mov_b32 s44, -1
                                        ; implicit-def: $vgpr6
	s_branch .LBB39_563
.LBB39_559:
	s_mov_b32 s44, -1
                                        ; implicit-def: $vgpr6
.LBB39_560:
	s_delay_alu instid0(SALU_CYCLE_1)
	s_and_not1_b32 vcc_lo, exec_lo, s44
	s_cbranch_vccnz .LBB39_562
; %bb.561:
	s_wait_loadcnt 0x0
	global_load_u16 v6, v[4:5], off
.LBB39_562:
	s_mov_b32 s44, 0
.LBB39_563:
	s_delay_alu instid0(SALU_CYCLE_1)
	s_and_not1_b32 vcc_lo, exec_lo, s44
	s_cbranch_vccnz .LBB39_569
; %bb.564:
	global_load_u8 v3, v[4:5], off
	s_mov_b32 s45, 0
	s_mov_b32 s44, exec_lo
	s_wait_loadcnt 0x0
	v_cmpx_lt_i16_e32 0x7f, v3
	s_xor_b32 s44, exec_lo, s44
	s_cbranch_execz .LBB39_581
; %bb.565:
	v_cmp_ne_u16_e32 vcc_lo, 0x80, v3
	s_and_b32 s45, vcc_lo, exec_lo
	s_and_not1_saveexec_b32 s44, s44
	s_cbranch_execnz .LBB39_582
.LBB39_566:
	s_or_b32 exec_lo, exec_lo, s44
	v_mov_b32_e32 v6, 0
	s_and_saveexec_b32 s44, s45
	s_cbranch_execz .LBB39_568
.LBB39_567:
	v_and_b32_e32 v6, 0xffff, v3
	s_delay_alu instid0(VALU_DEP_1) | instskip(SKIP_1) | instid1(VALU_DEP_2)
	v_and_b32_e32 v7, 7, v6
	v_bfe_u32 v10, v6, 3, 4
	v_clz_i32_u32_e32 v8, v7
	s_delay_alu instid0(VALU_DEP_2) | instskip(NEXT) | instid1(VALU_DEP_2)
	v_cmp_eq_u32_e32 vcc_lo, 0, v10
	v_min_u32_e32 v8, 32, v8
	s_delay_alu instid0(VALU_DEP_1) | instskip(NEXT) | instid1(VALU_DEP_1)
	v_subrev_nc_u32_e32 v9, 28, v8
	v_dual_lshlrev_b32 v6, v9, v6 :: v_dual_sub_nc_u32 v8, 29, v8
	s_delay_alu instid0(VALU_DEP_1) | instskip(NEXT) | instid1(VALU_DEP_1)
	v_dual_lshlrev_b32 v3, 24, v3 :: v_dual_bitop2_b32 v6, 7, v6 bitop3:0x40
	v_dual_cndmask_b32 v8, v10, v8, vcc_lo :: v_dual_cndmask_b32 v6, v7, v6, vcc_lo
	s_delay_alu instid0(VALU_DEP_2) | instskip(NEXT) | instid1(VALU_DEP_2)
	v_and_b32_e32 v3, 0x80000000, v3
	v_lshl_add_u32 v7, v8, 23, 0x3b800000
	s_delay_alu instid0(VALU_DEP_3) | instskip(NEXT) | instid1(VALU_DEP_1)
	v_lshlrev_b32_e32 v6, 20, v6
	v_or3_b32 v3, v3, v7, v6
	s_delay_alu instid0(VALU_DEP_1)
	v_cvt_i32_f32_e32 v6, v3
.LBB39_568:
	s_or_b32 exec_lo, exec_lo, s44
.LBB39_569:
	s_mov_b32 s44, -1
.LBB39_570:
	s_mov_b32 s45, 0
.LBB39_571:
	s_delay_alu instid0(SALU_CYCLE_1)
	s_and_b32 vcc_lo, exec_lo, s45
	s_cbranch_vccz .LBB39_604
; %bb.572:
	s_cmp_gt_i32 s43, 22
	s_cbranch_scc0 .LBB39_580
; %bb.573:
	s_cmp_lt_i32 s43, 24
	s_cbranch_scc1 .LBB39_583
; %bb.574:
	s_cmp_gt_i32 s43, 24
	s_cbranch_scc0 .LBB39_584
; %bb.575:
	global_load_u8 v3, v[4:5], off
	s_mov_b32 s45, 0
	s_mov_b32 s44, exec_lo
	s_wait_loadcnt 0x0
	v_cmpx_lt_i16_e32 0x7f, v3
	s_xor_b32 s44, exec_lo, s44
	s_cbranch_execz .LBB39_596
; %bb.576:
	v_cmp_ne_u16_e32 vcc_lo, 0x80, v3
	s_and_b32 s45, vcc_lo, exec_lo
	s_and_not1_saveexec_b32 s44, s44
	s_cbranch_execnz .LBB39_597
.LBB39_577:
	s_or_b32 exec_lo, exec_lo, s44
	v_mov_b32_e32 v6, 0
	s_and_saveexec_b32 s44, s45
	s_cbranch_execz .LBB39_579
.LBB39_578:
	v_and_b32_e32 v6, 0xffff, v3
	s_delay_alu instid0(VALU_DEP_1) | instskip(SKIP_1) | instid1(VALU_DEP_2)
	v_and_b32_e32 v7, 3, v6
	v_bfe_u32 v10, v6, 2, 5
	v_clz_i32_u32_e32 v8, v7
	s_delay_alu instid0(VALU_DEP_2) | instskip(NEXT) | instid1(VALU_DEP_2)
	v_cmp_eq_u32_e32 vcc_lo, 0, v10
	v_min_u32_e32 v8, 32, v8
	s_delay_alu instid0(VALU_DEP_1) | instskip(NEXT) | instid1(VALU_DEP_1)
	v_subrev_nc_u32_e32 v9, 29, v8
	v_dual_lshlrev_b32 v6, v9, v6 :: v_dual_sub_nc_u32 v8, 30, v8
	s_delay_alu instid0(VALU_DEP_1) | instskip(NEXT) | instid1(VALU_DEP_1)
	v_dual_lshlrev_b32 v3, 24, v3 :: v_dual_bitop2_b32 v6, 3, v6 bitop3:0x40
	v_dual_cndmask_b32 v8, v10, v8, vcc_lo :: v_dual_cndmask_b32 v6, v7, v6, vcc_lo
	s_delay_alu instid0(VALU_DEP_2) | instskip(NEXT) | instid1(VALU_DEP_2)
	v_and_b32_e32 v3, 0x80000000, v3
	v_lshl_add_u32 v7, v8, 23, 0x37800000
	s_delay_alu instid0(VALU_DEP_3) | instskip(NEXT) | instid1(VALU_DEP_1)
	v_lshlrev_b32_e32 v6, 21, v6
	v_or3_b32 v3, v3, v7, v6
	s_delay_alu instid0(VALU_DEP_1)
	v_cvt_i32_f32_e32 v6, v3
.LBB39_579:
	s_or_b32 exec_lo, exec_lo, s44
	s_mov_b32 s44, 0
	s_branch .LBB39_585
.LBB39_580:
	s_mov_b32 s45, -1
                                        ; implicit-def: $vgpr6
	s_branch .LBB39_591
.LBB39_581:
	s_and_not1_saveexec_b32 s44, s44
	s_cbranch_execz .LBB39_566
.LBB39_582:
	v_cmp_ne_u16_e32 vcc_lo, 0, v3
	s_and_not1_b32 s45, s45, exec_lo
	s_and_b32 s47, vcc_lo, exec_lo
	s_delay_alu instid0(SALU_CYCLE_1)
	s_or_b32 s45, s45, s47
	s_or_b32 exec_lo, exec_lo, s44
	v_mov_b32_e32 v6, 0
	s_and_saveexec_b32 s44, s45
	s_cbranch_execnz .LBB39_567
	s_branch .LBB39_568
.LBB39_583:
	s_mov_b32 s44, -1
                                        ; implicit-def: $vgpr6
	s_branch .LBB39_588
.LBB39_584:
	s_mov_b32 s44, -1
                                        ; implicit-def: $vgpr6
.LBB39_585:
	s_delay_alu instid0(SALU_CYCLE_1)
	s_and_b32 vcc_lo, exec_lo, s44
	s_cbranch_vccz .LBB39_587
; %bb.586:
	global_load_u8 v3, v[4:5], off
	s_wait_loadcnt 0x0
	v_lshlrev_b32_e32 v3, 24, v3
	s_wait_xcnt 0x1
	s_delay_alu instid0(VALU_DEP_1) | instskip(NEXT) | instid1(VALU_DEP_1)
	v_and_b32_e32 v6, 0x7f000000, v3
	v_clz_i32_u32_e32 v7, v6
	v_cmp_ne_u32_e32 vcc_lo, 0, v6
	v_add_nc_u32_e32 v9, 0x1000000, v6
	s_delay_alu instid0(VALU_DEP_3) | instskip(NEXT) | instid1(VALU_DEP_1)
	v_min_u32_e32 v7, 32, v7
	v_sub_nc_u32_e64 v7, v7, 4 clamp
	s_delay_alu instid0(VALU_DEP_1) | instskip(NEXT) | instid1(VALU_DEP_1)
	v_dual_lshlrev_b32 v8, v7, v6 :: v_dual_lshlrev_b32 v7, 23, v7
	v_lshrrev_b32_e32 v8, 4, v8
	s_delay_alu instid0(VALU_DEP_1) | instskip(NEXT) | instid1(VALU_DEP_1)
	v_dual_sub_nc_u32 v7, v8, v7 :: v_dual_ashrrev_i32 v8, 8, v9
	v_add_nc_u32_e32 v7, 0x3c000000, v7
	s_delay_alu instid0(VALU_DEP_1) | instskip(NEXT) | instid1(VALU_DEP_1)
	v_and_or_b32 v7, 0x7f800000, v8, v7
	v_cndmask_b32_e32 v6, 0, v7, vcc_lo
	s_delay_alu instid0(VALU_DEP_1) | instskip(NEXT) | instid1(VALU_DEP_1)
	v_and_or_b32 v3, 0x80000000, v3, v6
	v_cvt_i32_f32_e32 v6, v3
.LBB39_587:
	s_mov_b32 s44, 0
.LBB39_588:
	s_delay_alu instid0(SALU_CYCLE_1)
	s_and_not1_b32 vcc_lo, exec_lo, s44
	s_cbranch_vccnz .LBB39_590
; %bb.589:
	global_load_u8 v3, v[4:5], off
	s_wait_loadcnt 0x0
	s_wait_xcnt 0x1
	v_lshlrev_b32_e32 v6, 25, v3
	v_lshlrev_b16 v3, 8, v3
	s_delay_alu instid0(VALU_DEP_1) | instskip(SKIP_1) | instid1(VALU_DEP_2)
	v_and_or_b32 v8, 0x7f00, v3, 0.5
	v_bfe_i32 v3, v3, 0, 16
	v_dual_add_f32 v8, -0.5, v8 :: v_dual_lshrrev_b32 v7, 4, v6
	v_cmp_gt_u32_e32 vcc_lo, 0x8000000, v6
	s_delay_alu instid0(VALU_DEP_2) | instskip(NEXT) | instid1(VALU_DEP_1)
	v_or_b32_e32 v7, 0x70000000, v7
	v_mul_f32_e32 v7, 0x7800000, v7
	s_delay_alu instid0(VALU_DEP_1) | instskip(NEXT) | instid1(VALU_DEP_1)
	v_cndmask_b32_e32 v6, v7, v8, vcc_lo
	v_and_or_b32 v3, 0x80000000, v3, v6
	s_delay_alu instid0(VALU_DEP_1)
	v_cvt_i32_f32_e32 v6, v3
.LBB39_590:
	s_mov_b32 s45, 0
	s_mov_b32 s44, -1
.LBB39_591:
	s_and_not1_b32 vcc_lo, exec_lo, s45
	s_cbranch_vccnz .LBB39_604
; %bb.592:
	s_cmp_gt_i32 s43, 14
	s_cbranch_scc0 .LBB39_595
; %bb.593:
	s_cmp_eq_u32 s43, 15
	s_cbranch_scc0 .LBB39_598
; %bb.594:
	global_load_u16 v3, v[4:5], off
	s_mov_b32 s44, -1
	s_mov_b32 s27, 0
	s_wait_loadcnt 0x0
	v_lshlrev_b32_e32 v3, 16, v3
	s_wait_xcnt 0x1
	s_delay_alu instid0(VALU_DEP_1)
	v_cvt_i32_f32_e32 v6, v3
	s_branch .LBB39_599
.LBB39_595:
	s_mov_b32 s45, -1
                                        ; implicit-def: $vgpr6
	s_branch .LBB39_600
.LBB39_596:
	s_and_not1_saveexec_b32 s44, s44
	s_cbranch_execz .LBB39_577
.LBB39_597:
	v_cmp_ne_u16_e32 vcc_lo, 0, v3
	s_and_not1_b32 s45, s45, exec_lo
	s_and_b32 s47, vcc_lo, exec_lo
	s_delay_alu instid0(SALU_CYCLE_1)
	s_or_b32 s45, s45, s47
	s_or_b32 exec_lo, exec_lo, s44
	v_mov_b32_e32 v6, 0
	s_and_saveexec_b32 s44, s45
	s_cbranch_execnz .LBB39_578
	s_branch .LBB39_579
.LBB39_598:
	s_mov_b32 s27, -1
                                        ; implicit-def: $vgpr6
.LBB39_599:
	s_mov_b32 s45, 0
.LBB39_600:
	s_delay_alu instid0(SALU_CYCLE_1)
	s_and_b32 vcc_lo, exec_lo, s45
	s_cbranch_vccz .LBB39_604
; %bb.601:
	s_cmp_eq_u32 s43, 11
	s_cbranch_scc0 .LBB39_603
; %bb.602:
	global_load_u8 v3, v[4:5], off
	s_mov_b32 s27, 0
	s_mov_b32 s44, -1
	s_wait_loadcnt 0x0
	v_cmp_ne_u16_e32 vcc_lo, 0, v3
	s_wait_xcnt 0x1
	v_cndmask_b32_e64 v6, 0, 1, vcc_lo
	s_branch .LBB39_604
.LBB39_603:
	s_mov_b32 s27, -1
                                        ; implicit-def: $vgpr6
.LBB39_604:
	s_mov_b32 s43, 0
.LBB39_605:
	s_delay_alu instid0(SALU_CYCLE_1)
	s_and_b32 vcc_lo, exec_lo, s43
	s_cbranch_vccz .LBB39_654
; %bb.606:
	s_and_b32 s0, 0xffff, s0
	s_delay_alu instid0(SALU_CYCLE_1)
	s_cmp_lt_i32 s0, 5
	s_cbranch_scc1 .LBB39_611
; %bb.607:
	s_cmp_lt_i32 s0, 8
	s_cbranch_scc1 .LBB39_612
; %bb.608:
	;; [unrolled: 3-line block ×3, first 2 shown]
	s_cmp_gt_i32 s0, 9
	s_cbranch_scc0 .LBB39_614
; %bb.610:
	s_wait_loadcnt 0x0
	global_load_b64 v[6:7], v[4:5], off
	s_mov_b32 s43, 0
	s_wait_loadcnt 0x0
	v_cvt_i32_f64_e32 v6, v[6:7]
	s_branch .LBB39_615
.LBB39_611:
	s_mov_b32 s43, -1
                                        ; implicit-def: $vgpr6
	s_branch .LBB39_633
.LBB39_612:
	s_mov_b32 s43, -1
                                        ; implicit-def: $vgpr6
	s_branch .LBB39_621
.LBB39_613:
	s_mov_b32 s43, -1
                                        ; implicit-def: $vgpr6
	s_branch .LBB39_618
.LBB39_614:
	s_mov_b32 s43, -1
                                        ; implicit-def: $vgpr6
.LBB39_615:
	s_delay_alu instid0(SALU_CYCLE_1)
	s_and_not1_b32 vcc_lo, exec_lo, s43
	s_cbranch_vccnz .LBB39_617
; %bb.616:
	global_load_b32 v3, v[4:5], off
	s_wait_loadcnt 0x0
	s_wait_xcnt 0x1
	v_cvt_i32_f32_e32 v6, v3
.LBB39_617:
	s_mov_b32 s43, 0
.LBB39_618:
	s_delay_alu instid0(SALU_CYCLE_1)
	s_and_not1_b32 vcc_lo, exec_lo, s43
	s_cbranch_vccnz .LBB39_620
; %bb.619:
	global_load_b32 v3, v[4:5], off
	s_wait_loadcnt 0x0
	v_cvt_f32_f16_e32 v3, v3
	s_wait_xcnt 0x1
	s_delay_alu instid0(VALU_DEP_1)
	v_cvt_i32_f32_e32 v6, v3
.LBB39_620:
	s_mov_b32 s43, 0
.LBB39_621:
	s_delay_alu instid0(SALU_CYCLE_1)
	s_and_not1_b32 vcc_lo, exec_lo, s43
	s_cbranch_vccnz .LBB39_632
; %bb.622:
	s_cmp_lt_i32 s0, 6
	s_cbranch_scc1 .LBB39_625
; %bb.623:
	s_cmp_gt_i32 s0, 6
	s_cbranch_scc0 .LBB39_626
; %bb.624:
	s_wait_loadcnt 0x0
	global_load_b64 v[6:7], v[4:5], off
	s_mov_b32 s43, 0
	s_wait_loadcnt 0x0
	v_cvt_i32_f64_e32 v6, v[6:7]
	s_branch .LBB39_627
.LBB39_625:
	s_mov_b32 s43, -1
                                        ; implicit-def: $vgpr6
	s_branch .LBB39_630
.LBB39_626:
	s_mov_b32 s43, -1
                                        ; implicit-def: $vgpr6
.LBB39_627:
	s_delay_alu instid0(SALU_CYCLE_1)
	s_and_not1_b32 vcc_lo, exec_lo, s43
	s_cbranch_vccnz .LBB39_629
; %bb.628:
	global_load_b32 v3, v[4:5], off
	s_wait_loadcnt 0x0
	s_wait_xcnt 0x1
	v_cvt_i32_f32_e32 v6, v3
.LBB39_629:
	s_mov_b32 s43, 0
.LBB39_630:
	s_delay_alu instid0(SALU_CYCLE_1)
	s_and_not1_b32 vcc_lo, exec_lo, s43
	s_cbranch_vccnz .LBB39_632
; %bb.631:
	global_load_u16 v3, v[4:5], off
	s_wait_loadcnt 0x0
	v_cvt_f32_f16_e32 v3, v3
	s_wait_xcnt 0x1
	s_delay_alu instid0(VALU_DEP_1)
	v_cvt_i32_f32_e32 v6, v3
.LBB39_632:
	s_mov_b32 s43, 0
.LBB39_633:
	s_delay_alu instid0(SALU_CYCLE_1)
	s_and_not1_b32 vcc_lo, exec_lo, s43
	s_cbranch_vccnz .LBB39_653
; %bb.634:
	s_cmp_lt_i32 s0, 2
	s_cbranch_scc1 .LBB39_638
; %bb.635:
	s_cmp_lt_i32 s0, 3
	s_cbranch_scc1 .LBB39_639
; %bb.636:
	s_cmp_gt_i32 s0, 3
	s_cbranch_scc0 .LBB39_640
; %bb.637:
	s_wait_loadcnt 0x0
	global_load_b32 v6, v[4:5], off
	s_mov_b32 s43, 0
	s_branch .LBB39_641
.LBB39_638:
	s_mov_b32 s43, -1
                                        ; implicit-def: $vgpr6
	s_branch .LBB39_647
.LBB39_639:
	s_mov_b32 s43, -1
                                        ; implicit-def: $vgpr6
	s_branch .LBB39_644
.LBB39_640:
	s_mov_b32 s43, -1
                                        ; implicit-def: $vgpr6
.LBB39_641:
	s_delay_alu instid0(SALU_CYCLE_1)
	s_and_not1_b32 vcc_lo, exec_lo, s43
	s_cbranch_vccnz .LBB39_643
; %bb.642:
	s_wait_loadcnt 0x0
	global_load_b32 v6, v[4:5], off
.LBB39_643:
	s_mov_b32 s43, 0
.LBB39_644:
	s_delay_alu instid0(SALU_CYCLE_1)
	s_and_not1_b32 vcc_lo, exec_lo, s43
	s_cbranch_vccnz .LBB39_646
; %bb.645:
	s_wait_loadcnt 0x0
	global_load_i16 v6, v[4:5], off
.LBB39_646:
	s_mov_b32 s43, 0
.LBB39_647:
	s_delay_alu instid0(SALU_CYCLE_1)
	s_and_not1_b32 vcc_lo, exec_lo, s43
	s_cbranch_vccnz .LBB39_653
; %bb.648:
	s_cmp_gt_i32 s0, 0
	s_mov_b32 s0, 0
	s_cbranch_scc0 .LBB39_650
; %bb.649:
	s_wait_loadcnt 0x0
	global_load_i8 v6, v[4:5], off
	s_branch .LBB39_651
.LBB39_650:
	s_mov_b32 s0, -1
                                        ; implicit-def: $vgpr6
.LBB39_651:
	s_delay_alu instid0(SALU_CYCLE_1)
	s_and_not1_b32 vcc_lo, exec_lo, s0
	s_cbranch_vccnz .LBB39_653
; %bb.652:
	s_wait_loadcnt 0x0
	global_load_u8 v6, v[4:5], off
.LBB39_653:
	s_mov_b32 s44, -1
.LBB39_654:
	s_delay_alu instid0(SALU_CYCLE_1)
	s_and_not1_b32 vcc_lo, exec_lo, s44
	s_cbranch_vccnz .LBB39_662
; %bb.655:
	v_mov_b32_e32 v3, 0
	s_wait_loadcnt 0x0
	s_delay_alu instid0(VALU_DEP_2) | instskip(SKIP_1) | instid1(VALU_DEP_2)
	v_cmp_ne_u32_e32 vcc_lo, v1, v6
	s_and_b32 s44, s11, 0xff
	v_add_nc_u64_e32 v[2:3], s[4:5], v[2:3]
	s_xor_b32 s43, s10, vcc_lo
	s_cmp_lt_i32 s44, 11
	s_cbranch_scc1 .LBB39_663
; %bb.656:
	s_and_b32 s45, 0xffff, s44
	s_delay_alu instid0(SALU_CYCLE_1)
	s_cmp_gt_i32 s45, 25
	s_cbranch_scc0 .LBB39_664
; %bb.657:
	s_cmp_gt_i32 s45, 28
	s_cbranch_scc0 .LBB39_665
; %bb.658:
	;; [unrolled: 3-line block ×4, first 2 shown]
	s_mov_b32 s48, 0
	s_mov_b32 s0, -1
	s_cmp_eq_u32 s45, 46
	s_mov_b32 s47, 0
	s_cbranch_scc0 .LBB39_668
; %bb.661:
	v_cndmask_b32_e64 v1, 0, 1.0, s43
	s_mov_b32 s47, -1
	s_mov_b32 s0, 0
	s_wait_xcnt 0x0
	s_delay_alu instid0(VALU_DEP_1) | instskip(NEXT) | instid1(VALU_DEP_1)
	v_bfe_u32 v4, v1, 16, 1
	v_add3_u32 v1, v1, v4, 0x7fff
	s_delay_alu instid0(VALU_DEP_1)
	v_lshrrev_b32_e32 v1, 16, v1
	global_store_b32 v[2:3], v1, off
	s_branch .LBB39_668
.LBB39_662:
	s_mov_b32 s47, 0
	s_mov_b32 s0, s39
	s_branch .LBB39_779
.LBB39_663:
	s_mov_b32 s45, -1
	s_mov_b32 s47, 0
	s_mov_b32 s0, s39
	s_branch .LBB39_737
.LBB39_664:
	s_mov_b32 s48, -1
	s_mov_b32 s47, 0
	s_mov_b32 s0, s39
	s_branch .LBB39_695
.LBB39_665:
	s_mov_b32 s48, -1
	s_mov_b32 s47, 0
	s_mov_b32 s0, s39
	s_branch .LBB39_678
.LBB39_666:
	s_mov_b32 s48, -1
	s_mov_b32 s47, 0
	s_mov_b32 s0, s39
	s_branch .LBB39_674
.LBB39_667:
	s_mov_b32 s48, -1
	s_mov_b32 s47, 0
	s_mov_b32 s0, s39
.LBB39_668:
	s_and_b32 vcc_lo, exec_lo, s48
	s_cbranch_vccz .LBB39_673
; %bb.669:
	s_cmp_eq_u32 s45, 44
	s_mov_b32 s0, -1
	s_cbranch_scc0 .LBB39_673
; %bb.670:
	s_wait_xcnt 0x0
	v_cndmask_b32_e64 v5, 0, 1.0, s43
	s_mov_b32 s47, exec_lo
	s_delay_alu instid0(VALU_DEP_1) | instskip(NEXT) | instid1(VALU_DEP_1)
	v_dual_mov_b32 v4, 0xff :: v_dual_lshrrev_b32 v1, 23, v5
	v_cmpx_ne_u32_e32 0xff, v1
; %bb.671:
	v_and_b32_e32 v4, 0x400000, v5
	v_and_or_b32 v5, 0x3fffff, v5, v1
	s_delay_alu instid0(VALU_DEP_2) | instskip(NEXT) | instid1(VALU_DEP_2)
	v_cmp_ne_u32_e32 vcc_lo, 0, v4
	v_cmp_ne_u32_e64 s0, 0, v5
	s_and_b32 s0, vcc_lo, s0
	s_delay_alu instid0(SALU_CYCLE_1) | instskip(NEXT) | instid1(VALU_DEP_1)
	v_cndmask_b32_e64 v4, 0, 1, s0
	v_add_nc_u32_e32 v4, v1, v4
; %bb.672:
	s_or_b32 exec_lo, exec_lo, s47
	s_mov_b32 s47, -1
	s_mov_b32 s0, 0
	global_store_b8 v[2:3], v4, off
.LBB39_673:
	s_mov_b32 s48, 0
.LBB39_674:
	s_delay_alu instid0(SALU_CYCLE_1)
	s_and_b32 vcc_lo, exec_lo, s48
	s_cbranch_vccz .LBB39_677
; %bb.675:
	s_cmp_eq_u32 s45, 29
	s_mov_b32 s0, -1
	s_cbranch_scc0 .LBB39_677
; %bb.676:
	s_mov_b32 s0, 0
	s_wait_xcnt 0x0
	v_cndmask_b32_e64 v4, 0, 1, s43
	v_mov_b32_e32 v5, s0
	s_mov_b32 s47, -1
	s_mov_b32 s48, 0
	global_store_b64 v[2:3], v[4:5], off
	s_branch .LBB39_678
.LBB39_677:
	s_mov_b32 s48, 0
.LBB39_678:
	s_delay_alu instid0(SALU_CYCLE_1)
	s_and_b32 vcc_lo, exec_lo, s48
	s_cbranch_vccz .LBB39_694
; %bb.679:
	s_cmp_lt_i32 s45, 27
	s_mov_b32 s47, -1
	s_cbranch_scc1 .LBB39_685
; %bb.680:
	s_cmp_gt_i32 s45, 27
	s_cbranch_scc0 .LBB39_682
; %bb.681:
	s_wait_xcnt 0x0
	v_cndmask_b32_e64 v1, 0, 1, s43
	s_mov_b32 s47, 0
	global_store_b32 v[2:3], v1, off
.LBB39_682:
	s_and_not1_b32 vcc_lo, exec_lo, s47
	s_cbranch_vccnz .LBB39_684
; %bb.683:
	s_wait_xcnt 0x0
	v_cndmask_b32_e64 v1, 0, 1, s43
	global_store_b16 v[2:3], v1, off
.LBB39_684:
	s_mov_b32 s47, 0
.LBB39_685:
	s_delay_alu instid0(SALU_CYCLE_1)
	s_and_not1_b32 vcc_lo, exec_lo, s47
	s_cbranch_vccnz .LBB39_693
; %bb.686:
	s_wait_xcnt 0x0
	v_cndmask_b32_e64 v4, 0, 1.0, s43
	v_mov_b32_e32 v5, 0x80
	s_mov_b32 s47, exec_lo
	s_delay_alu instid0(VALU_DEP_2)
	v_cmpx_gt_u32_e32 0x43800000, v4
	s_cbranch_execz .LBB39_692
; %bb.687:
	s_mov_b32 s48, 0
	s_mov_b32 s49, exec_lo
                                        ; implicit-def: $vgpr1
	v_cmpx_lt_u32_e32 0x3bffffff, v4
	s_xor_b32 s49, exec_lo, s49
	s_cbranch_execz .LBB39_807
; %bb.688:
	v_bfe_u32 v1, v4, 20, 1
	s_mov_b32 s48, exec_lo
	s_delay_alu instid0(VALU_DEP_1) | instskip(NEXT) | instid1(VALU_DEP_1)
	v_add3_u32 v1, v4, v1, 0x487ffff
                                        ; implicit-def: $vgpr4
	v_lshrrev_b32_e32 v1, 20, v1
	s_and_not1_saveexec_b32 s49, s49
	s_cbranch_execnz .LBB39_808
.LBB39_689:
	s_or_b32 exec_lo, exec_lo, s49
	v_mov_b32_e32 v5, 0
	s_and_saveexec_b32 s49, s48
.LBB39_690:
	v_mov_b32_e32 v5, v1
.LBB39_691:
	s_or_b32 exec_lo, exec_lo, s49
.LBB39_692:
	s_delay_alu instid0(SALU_CYCLE_1)
	s_or_b32 exec_lo, exec_lo, s47
	global_store_b8 v[2:3], v5, off
.LBB39_693:
	s_mov_b32 s47, -1
.LBB39_694:
	s_mov_b32 s48, 0
.LBB39_695:
	s_delay_alu instid0(SALU_CYCLE_1)
	s_and_b32 vcc_lo, exec_lo, s48
	s_cbranch_vccz .LBB39_736
; %bb.696:
	s_cmp_gt_i32 s45, 22
	s_mov_b32 s48, -1
	s_cbranch_scc0 .LBB39_728
; %bb.697:
	s_cmp_lt_i32 s45, 24
	s_mov_b32 s47, -1
	s_cbranch_scc1 .LBB39_717
; %bb.698:
	s_cmp_gt_i32 s45, 24
	s_cbranch_scc0 .LBB39_706
; %bb.699:
	s_wait_xcnt 0x0
	v_cndmask_b32_e64 v4, 0, 1.0, s43
	v_mov_b32_e32 v5, 0x80
	s_mov_b32 s47, exec_lo
	s_delay_alu instid0(VALU_DEP_2)
	v_cmpx_gt_u32_e32 0x47800000, v4
	s_cbranch_execz .LBB39_705
; %bb.700:
	s_mov_b32 s48, 0
	s_mov_b32 s49, exec_lo
                                        ; implicit-def: $vgpr1
	v_cmpx_lt_u32_e32 0x37ffffff, v4
	s_xor_b32 s49, exec_lo, s49
	s_cbranch_execz .LBB39_935
; %bb.701:
	v_bfe_u32 v1, v4, 21, 1
	s_mov_b32 s48, exec_lo
	s_delay_alu instid0(VALU_DEP_1) | instskip(NEXT) | instid1(VALU_DEP_1)
	v_add3_u32 v1, v4, v1, 0x88fffff
                                        ; implicit-def: $vgpr4
	v_lshrrev_b32_e32 v1, 21, v1
	s_and_not1_saveexec_b32 s49, s49
	s_cbranch_execnz .LBB39_936
.LBB39_702:
	s_or_b32 exec_lo, exec_lo, s49
	v_mov_b32_e32 v5, 0
	s_and_saveexec_b32 s49, s48
.LBB39_703:
	v_mov_b32_e32 v5, v1
.LBB39_704:
	s_or_b32 exec_lo, exec_lo, s49
.LBB39_705:
	s_delay_alu instid0(SALU_CYCLE_1)
	s_or_b32 exec_lo, exec_lo, s47
	s_mov_b32 s47, 0
	global_store_b8 v[2:3], v5, off
.LBB39_706:
	s_and_b32 vcc_lo, exec_lo, s47
	s_cbranch_vccz .LBB39_716
; %bb.707:
	s_wait_xcnt 0x0
	v_cndmask_b32_e64 v4, 0, 1.0, s43
	s_mov_b32 s47, exec_lo
                                        ; implicit-def: $vgpr1
	s_delay_alu instid0(VALU_DEP_1)
	v_cmpx_gt_u32_e32 0x43f00000, v4
	s_xor_b32 s47, exec_lo, s47
	s_cbranch_execz .LBB39_713
; %bb.708:
	s_mov_b32 s48, exec_lo
                                        ; implicit-def: $vgpr1
	v_cmpx_lt_u32_e32 0x3c7fffff, v4
	s_xor_b32 s48, exec_lo, s48
; %bb.709:
	v_bfe_u32 v1, v4, 20, 1
	s_delay_alu instid0(VALU_DEP_1) | instskip(NEXT) | instid1(VALU_DEP_1)
	v_add3_u32 v1, v4, v1, 0x407ffff
	v_and_b32_e32 v4, 0xff00000, v1
	v_lshrrev_b32_e32 v1, 20, v1
	s_delay_alu instid0(VALU_DEP_2) | instskip(NEXT) | instid1(VALU_DEP_2)
	v_cmp_ne_u32_e32 vcc_lo, 0x7f00000, v4
                                        ; implicit-def: $vgpr4
	v_cndmask_b32_e32 v1, 0x7e, v1, vcc_lo
; %bb.710:
	s_and_not1_saveexec_b32 s48, s48
; %bb.711:
	v_add_f32_e32 v1, 0x46800000, v4
; %bb.712:
	s_or_b32 exec_lo, exec_lo, s48
                                        ; implicit-def: $vgpr4
.LBB39_713:
	s_and_not1_saveexec_b32 s47, s47
; %bb.714:
	v_mov_b32_e32 v1, 0x7f
	v_cmp_lt_u32_e32 vcc_lo, 0x7f800000, v4
	s_delay_alu instid0(VALU_DEP_2)
	v_cndmask_b32_e32 v1, 0x7e, v1, vcc_lo
; %bb.715:
	s_or_b32 exec_lo, exec_lo, s47
	global_store_b8 v[2:3], v1, off
.LBB39_716:
	s_mov_b32 s47, 0
.LBB39_717:
	s_delay_alu instid0(SALU_CYCLE_1)
	s_and_not1_b32 vcc_lo, exec_lo, s47
	s_cbranch_vccnz .LBB39_727
; %bb.718:
	s_wait_xcnt 0x0
	v_cndmask_b32_e64 v4, 0, 1.0, s43
	s_mov_b32 s47, exec_lo
                                        ; implicit-def: $vgpr1
	s_delay_alu instid0(VALU_DEP_1)
	v_cmpx_gt_u32_e32 0x47800000, v4
	s_xor_b32 s47, exec_lo, s47
	s_cbranch_execz .LBB39_724
; %bb.719:
	s_mov_b32 s48, exec_lo
                                        ; implicit-def: $vgpr1
	v_cmpx_lt_u32_e32 0x387fffff, v4
	s_xor_b32 s48, exec_lo, s48
; %bb.720:
	v_bfe_u32 v1, v4, 21, 1
	s_delay_alu instid0(VALU_DEP_1) | instskip(NEXT) | instid1(VALU_DEP_1)
	v_add3_u32 v1, v4, v1, 0x80fffff
                                        ; implicit-def: $vgpr4
	v_lshrrev_b32_e32 v1, 21, v1
; %bb.721:
	s_and_not1_saveexec_b32 s48, s48
; %bb.722:
	v_add_f32_e32 v1, 0x43000000, v4
; %bb.723:
	s_or_b32 exec_lo, exec_lo, s48
                                        ; implicit-def: $vgpr4
.LBB39_724:
	s_and_not1_saveexec_b32 s47, s47
; %bb.725:
	v_mov_b32_e32 v1, 0x7f
	v_cmp_lt_u32_e32 vcc_lo, 0x7f800000, v4
	s_delay_alu instid0(VALU_DEP_2)
	v_cndmask_b32_e32 v1, 0x7c, v1, vcc_lo
; %bb.726:
	s_or_b32 exec_lo, exec_lo, s47
	global_store_b8 v[2:3], v1, off
.LBB39_727:
	s_mov_b32 s48, 0
	s_mov_b32 s47, -1
.LBB39_728:
	s_and_not1_b32 vcc_lo, exec_lo, s48
	s_cbranch_vccnz .LBB39_736
; %bb.729:
	s_cmp_gt_i32 s45, 14
	s_mov_b32 s48, -1
	s_cbranch_scc0 .LBB39_733
; %bb.730:
	s_cmp_eq_u32 s45, 15
	s_mov_b32 s0, -1
	s_cbranch_scc0 .LBB39_732
; %bb.731:
	s_wait_xcnt 0x0
	v_cndmask_b32_e64 v1, 0, 1.0, s43
	s_mov_b32 s47, -1
	s_mov_b32 s0, 0
	s_delay_alu instid0(VALU_DEP_1) | instskip(NEXT) | instid1(VALU_DEP_1)
	v_bfe_u32 v4, v1, 16, 1
	v_add3_u32 v1, v1, v4, 0x7fff
	global_store_d16_hi_b16 v[2:3], v1, off
.LBB39_732:
	s_mov_b32 s48, 0
.LBB39_733:
	s_delay_alu instid0(SALU_CYCLE_1)
	s_and_b32 vcc_lo, exec_lo, s48
	s_cbranch_vccz .LBB39_736
; %bb.734:
	s_cmp_eq_u32 s45, 11
	s_mov_b32 s0, -1
	s_cbranch_scc0 .LBB39_736
; %bb.735:
	s_wait_xcnt 0x0
	v_cndmask_b32_e64 v1, 0, 1, s43
	s_mov_b32 s47, -1
	s_mov_b32 s0, 0
	global_store_b8 v[2:3], v1, off
.LBB39_736:
	s_mov_b32 s45, 0
.LBB39_737:
	s_delay_alu instid0(SALU_CYCLE_1)
	s_and_b32 vcc_lo, exec_lo, s45
	s_cbranch_vccz .LBB39_776
; %bb.738:
	s_and_b32 s44, 0xffff, s44
	s_mov_b32 s45, -1
	s_cmp_lt_i32 s44, 5
	s_cbranch_scc1 .LBB39_759
; %bb.739:
	s_cmp_lt_i32 s44, 8
	s_cbranch_scc1 .LBB39_749
; %bb.740:
	;; [unrolled: 3-line block ×3, first 2 shown]
	s_cmp_gt_i32 s44, 9
	s_cbranch_scc0 .LBB39_743
; %bb.742:
	s_wait_xcnt 0x0
	v_cndmask_b32_e64 v1, 0, 1, s43
	v_mov_b32_e32 v6, 0
	s_mov_b32 s45, 0
	s_delay_alu instid0(VALU_DEP_2) | instskip(NEXT) | instid1(VALU_DEP_2)
	v_cvt_f64_u32_e32 v[4:5], v1
	v_mov_b32_e32 v7, v6
	global_store_b128 v[2:3], v[4:7], off
.LBB39_743:
	s_and_not1_b32 vcc_lo, exec_lo, s45
	s_cbranch_vccnz .LBB39_745
; %bb.744:
	s_wait_xcnt 0x0
	v_cndmask_b32_e64 v4, 0, 1.0, s43
	v_mov_b32_e32 v5, 0
	global_store_b64 v[2:3], v[4:5], off
.LBB39_745:
	s_mov_b32 s45, 0
.LBB39_746:
	s_delay_alu instid0(SALU_CYCLE_1)
	s_and_not1_b32 vcc_lo, exec_lo, s45
	s_cbranch_vccnz .LBB39_748
; %bb.747:
	s_wait_xcnt 0x0
	v_cndmask_b32_e64 v1, 0, 1.0, s43
	s_delay_alu instid0(VALU_DEP_1) | instskip(NEXT) | instid1(VALU_DEP_1)
	v_cvt_f16_f32_e32 v1, v1
	v_and_b32_e32 v1, 0xffff, v1
	global_store_b32 v[2:3], v1, off
.LBB39_748:
	s_mov_b32 s45, 0
.LBB39_749:
	s_delay_alu instid0(SALU_CYCLE_1)
	s_and_not1_b32 vcc_lo, exec_lo, s45
	s_cbranch_vccnz .LBB39_758
; %bb.750:
	s_cmp_lt_i32 s44, 6
	s_mov_b32 s45, -1
	s_cbranch_scc1 .LBB39_756
; %bb.751:
	s_cmp_gt_i32 s44, 6
	s_cbranch_scc0 .LBB39_753
; %bb.752:
	s_wait_xcnt 0x0
	v_cndmask_b32_e64 v1, 0, 1, s43
	s_mov_b32 s45, 0
	s_delay_alu instid0(VALU_DEP_1)
	v_cvt_f64_u32_e32 v[4:5], v1
	global_store_b64 v[2:3], v[4:5], off
.LBB39_753:
	s_and_not1_b32 vcc_lo, exec_lo, s45
	s_cbranch_vccnz .LBB39_755
; %bb.754:
	s_wait_xcnt 0x0
	v_cndmask_b32_e64 v1, 0, 1.0, s43
	global_store_b32 v[2:3], v1, off
.LBB39_755:
	s_mov_b32 s45, 0
.LBB39_756:
	s_delay_alu instid0(SALU_CYCLE_1)
	s_and_not1_b32 vcc_lo, exec_lo, s45
	s_cbranch_vccnz .LBB39_758
; %bb.757:
	s_wait_xcnt 0x0
	v_cndmask_b32_e64 v1, 0, 1.0, s43
	s_delay_alu instid0(VALU_DEP_1)
	v_cvt_f16_f32_e32 v1, v1
	global_store_b16 v[2:3], v1, off
.LBB39_758:
	s_mov_b32 s45, 0
.LBB39_759:
	s_delay_alu instid0(SALU_CYCLE_1)
	s_and_not1_b32 vcc_lo, exec_lo, s45
	s_cbranch_vccnz .LBB39_775
; %bb.760:
	s_cmp_lt_i32 s44, 2
	s_mov_b32 s45, -1
	s_cbranch_scc1 .LBB39_770
; %bb.761:
	s_cmp_lt_i32 s44, 3
	s_cbranch_scc1 .LBB39_767
; %bb.762:
	s_cmp_gt_i32 s44, 3
	s_cbranch_scc0 .LBB39_764
; %bb.763:
	s_mov_b32 s45, 0
	s_wait_xcnt 0x0
	v_cndmask_b32_e64 v4, 0, 1, s43
	v_mov_b32_e32 v5, s45
	global_store_b64 v[2:3], v[4:5], off
.LBB39_764:
	s_and_not1_b32 vcc_lo, exec_lo, s45
	s_cbranch_vccnz .LBB39_766
; %bb.765:
	s_wait_xcnt 0x0
	v_cndmask_b32_e64 v1, 0, 1, s43
	global_store_b32 v[2:3], v1, off
.LBB39_766:
	s_mov_b32 s45, 0
.LBB39_767:
	s_delay_alu instid0(SALU_CYCLE_1)
	s_and_not1_b32 vcc_lo, exec_lo, s45
	s_cbranch_vccnz .LBB39_769
; %bb.768:
	s_wait_xcnt 0x0
	v_cndmask_b32_e64 v1, 0, 1, s43
	global_store_b16 v[2:3], v1, off
.LBB39_769:
	s_mov_b32 s45, 0
.LBB39_770:
	s_delay_alu instid0(SALU_CYCLE_1)
	s_and_not1_b32 vcc_lo, exec_lo, s45
	s_cbranch_vccnz .LBB39_775
; %bb.771:
	s_wait_xcnt 0x0
	v_cndmask_b32_e64 v1, 0, 1, s43
	s_cmp_gt_i32 s44, 0
	s_mov_b32 s43, -1
	s_cbranch_scc0 .LBB39_773
; %bb.772:
	s_mov_b32 s43, 0
	global_store_b8 v[2:3], v1, off
.LBB39_773:
	s_and_not1_b32 vcc_lo, exec_lo, s43
	s_cbranch_vccnz .LBB39_775
; %bb.774:
	global_store_b8 v[2:3], v1, off
.LBB39_775:
	s_mov_b32 s47, -1
.LBB39_776:
	s_delay_alu instid0(SALU_CYCLE_1)
	s_and_not1_b32 vcc_lo, exec_lo, s47
	s_cbranch_vccnz .LBB39_778
; %bb.777:
	v_add_nc_u32_e32 v0, 0x80, v0
	s_mov_b32 s47, -1
	s_branch .LBB39_780
.LBB39_778:
	s_mov_b32 s47, 0
.LBB39_779:
                                        ; implicit-def: $vgpr0
.LBB39_780:
	s_and_not1_b32 s43, s39, exec_lo
	s_and_b32 s0, s0, exec_lo
	s_and_b32 s27, s27, exec_lo
	s_or_b32 s44, s43, s0
	s_and_not1_b32 s0, s40, exec_lo
	s_and_not1_b32 s43, s41, exec_lo
	s_and_b32 s26, s26, exec_lo
	s_or_b32 s45, s0, s27
	s_or_b32 s43, s43, s26
	s_or_not1_b32 s48, s47, exec_lo
.LBB39_781:
	s_wait_xcnt 0x0
	s_or_b32 exec_lo, exec_lo, s46
	s_mov_b32 s27, 0
	s_mov_b32 s47, 0
	;; [unrolled: 1-line block ×3, first 2 shown]
                                        ; implicit-def: $sgpr0
                                        ; implicit-def: $vgpr6_vgpr7
                                        ; implicit-def: $vgpr4
                                        ; implicit-def: $vgpr2
                                        ; implicit-def: $vgpr8
	s_and_saveexec_b32 s46, s48
	s_cbranch_execz .LBB39_1268
; %bb.782:
	s_mov_b32 s52, -1
	s_mov_b32 s48, s43
	s_mov_b32 s50, s45
	;; [unrolled: 1-line block ×3, first 2 shown]
	s_mov_b32 s47, exec_lo
	v_cmpx_gt_i32_e64 s37, v0
	s_cbranch_execz .LBB39_1176
; %bb.783:
	s_and_not1_b32 vcc_lo, exec_lo, s31
	s_cbranch_vccnz .LBB39_789
; %bb.784:
	s_and_not1_b32 vcc_lo, exec_lo, s38
	s_cbranch_vccnz .LBB39_790
; %bb.785:
	s_wait_loadcnt 0x0
	v_dual_mov_b32 v2, 0 :: v_dual_mov_b32 v1, v0
	v_dual_mov_b32 v6, 0 :: v_dual_mov_b32 v4, 0
	s_add_co_i32 s0, s36, 1
	s_mov_b64 s[26:27], 0xffffffffffffffe8
	s_and_b32 s0, s0, 30
	s_add_nc_u64 s[26:27], s[2:3], s[26:27]
.LBB39_786:                             ; =>This Inner Loop Header: Depth=1
	s_clause 0x1
	s_load_b128 s[48:51], s[26:27], 0x1c
	s_load_b64 s[56:57], s[26:27], 0x2c
	s_add_co_i32 s0, s0, -2
	s_delay_alu instid0(SALU_CYCLE_1) | instskip(SKIP_2) | instid1(VALU_DEP_1)
	s_cmp_eq_u32 s0, 0
	s_wait_kmcnt 0x0
	v_mul_hi_u32 v3, s49, v1
	v_add_nc_u32_e32 v3, v1, v3
	s_delay_alu instid0(VALU_DEP_1) | instskip(NEXT) | instid1(VALU_DEP_1)
	v_lshrrev_b32_e32 v3, s50, v3
	v_mul_hi_u32 v5, s56, v3
	v_mul_lo_u32 v7, v3, s48
	s_clause 0x1
	s_load_b128 s[52:55], s[26:27], 0xdc
	s_load_b64 s[48:49], s[26:27], 0xec
	s_wait_xcnt 0x0
	s_add_nc_u64 s[26:27], s[26:27], 24
	s_delay_alu instid0(VALU_DEP_1) | instskip(NEXT) | instid1(VALU_DEP_1)
	v_dual_add_nc_u32 v5, v3, v5 :: v_dual_sub_nc_u32 v7, v1, v7
	v_lshrrev_b32_e32 v1, s57, v5
	s_wait_kmcnt 0x0
	s_delay_alu instid0(VALU_DEP_2) | instskip(NEXT) | instid1(VALU_DEP_2)
	v_mad_u32 v2, v7, s52, v2
	v_mul_lo_u32 v5, v1, s51
	v_mad_u32 v4, v7, s54, v4
	v_mad_u32 v6, v7, s53, v6
	s_delay_alu instid0(VALU_DEP_3) | instskip(NEXT) | instid1(VALU_DEP_1)
	v_sub_nc_u32_e32 v3, v3, v5
	v_mad_u32 v2, v3, s55, v2
	s_delay_alu instid0(VALU_DEP_4) | instskip(NEXT) | instid1(VALU_DEP_4)
	v_mad_u32 v4, v3, s49, v4
	v_mad_u32 v6, v3, s48, v6
	s_cbranch_scc0 .LBB39_786
; %bb.787:
	s_bitcmp1_b32 s36, 0
	s_cselect_b32 s0, -1, 0
	s_delay_alu instid0(SALU_CYCLE_1)
	s_and_b32 vcc_lo, exec_lo, s0
	s_cbranch_vccnz .LBB39_791
; %bb.788:
	s_clause 0x1
	s_load_b96 s[48:50], s[26:27], 0x1c
	s_load_b96 s[52:54], s[26:27], 0xdc
	s_wait_kmcnt 0x0
	v_mul_hi_u32 v3, s49, v1
	s_delay_alu instid0(VALU_DEP_1) | instskip(NEXT) | instid1(VALU_DEP_1)
	v_add_nc_u32_e32 v3, v1, v3
	v_lshrrev_b32_e32 v3, s50, v3
	s_delay_alu instid0(VALU_DEP_1) | instskip(NEXT) | instid1(VALU_DEP_1)
	v_mul_lo_u32 v3, v3, s48
	v_sub_nc_u32_e32 v1, v1, v3
	s_delay_alu instid0(VALU_DEP_1)
	v_mad_u32 v2, v1, s52, v2
	v_mad_u32 v6, v1, s53, v6
	;; [unrolled: 1-line block ×3, first 2 shown]
	s_branch .LBB39_791
.LBB39_789:
	s_mov_b32 s0, -1
                                        ; implicit-def: $vgpr4
                                        ; implicit-def: $vgpr6
                                        ; implicit-def: $vgpr2
	s_branch .LBB39_792
.LBB39_790:
	s_wait_loadcnt 0x0
	v_dual_mov_b32 v4, 0 :: v_dual_mov_b32 v6, 0
	v_mov_b32_e32 v2, 0
.LBB39_791:
	s_mov_b32 s0, 0
.LBB39_792:
	s_delay_alu instid0(SALU_CYCLE_1)
	s_and_not1_b32 vcc_lo, exec_lo, s0
	s_cbranch_vccnz .LBB39_795
; %bb.793:
	s_wait_loadcnt 0x0
	v_mov_b32_e32 v1, 0
	s_and_not1_b32 vcc_lo, exec_lo, s35
	s_delay_alu instid0(VALU_DEP_1) | instskip(NEXT) | instid1(VALU_DEP_1)
	v_mul_u64_e32 v[2:3], s[20:21], v[0:1]
	v_add_nc_u32_e32 v2, v0, v3
	s_delay_alu instid0(VALU_DEP_1) | instskip(NEXT) | instid1(VALU_DEP_1)
	v_lshrrev_b32_e32 v8, s14, v2
	v_mul_lo_u32 v2, v8, s12
	s_delay_alu instid0(VALU_DEP_1) | instskip(NEXT) | instid1(VALU_DEP_1)
	v_sub_nc_u32_e32 v3, v0, v2
	v_mul_lo_u32 v2, v3, s16
	v_mul_lo_u32 v4, v3, s18
	;; [unrolled: 1-line block ×3, first 2 shown]
	s_cbranch_vccnz .LBB39_795
; %bb.794:
	v_mov_b32_e32 v9, v1
	s_delay_alu instid0(VALU_DEP_1) | instskip(NEXT) | instid1(VALU_DEP_1)
	v_mul_u64_e32 v[10:11], s[24:25], v[8:9]
	v_add_nc_u32_e32 v1, v8, v11
	s_delay_alu instid0(VALU_DEP_1) | instskip(NEXT) | instid1(VALU_DEP_1)
	v_lshrrev_b32_e32 v1, s1, v1
	v_mul_lo_u32 v1, v1, s15
	s_delay_alu instid0(VALU_DEP_1) | instskip(NEXT) | instid1(VALU_DEP_1)
	v_sub_nc_u32_e32 v1, v8, v1
	v_mad_u32 v2, v1, s19, v2
	v_mad_u32 v6, v1, s22, v6
	;; [unrolled: 1-line block ×3, first 2 shown]
.LBB39_795:
	v_mov_b32_e32 v7, 0
	s_and_b32 s0, s34, 0xff
	s_delay_alu instid0(SALU_CYCLE_1) | instskip(SKIP_1) | instid1(VALU_DEP_1)
	s_cmp_lt_i32 s0, 11
	s_wait_loadcnt 0x0
	v_add_nc_u64_e32 v[6:7], s[6:7], v[6:7]
	s_cbranch_scc1 .LBB39_802
; %bb.796:
	s_and_b32 s27, 0xffff, s0
	s_delay_alu instid0(SALU_CYCLE_1)
	s_cmp_gt_i32 s27, 25
	s_cbranch_scc0 .LBB39_803
; %bb.797:
	s_cmp_gt_i32 s27, 28
	s_cbranch_scc0 .LBB39_804
; %bb.798:
	;; [unrolled: 3-line block ×4, first 2 shown]
	s_cmp_eq_u32 s27, 46
	s_mov_b32 s49, 0
	s_cbranch_scc0 .LBB39_809
; %bb.801:
	global_load_b32 v1, v[6:7], off
	s_mov_b32 s48, -1
	s_mov_b32 s26, 0
	s_wait_loadcnt 0x0
	v_lshlrev_b32_e32 v1, 16, v1
	s_delay_alu instid0(VALU_DEP_1)
	v_cvt_i32_f32_e32 v1, v1
	s_branch .LBB39_811
.LBB39_802:
	s_mov_b32 s27, -1
	s_mov_b32 s48, 0
	s_mov_b32 s26, s43
                                        ; implicit-def: $vgpr1
	s_branch .LBB39_872
.LBB39_803:
	s_mov_b32 s49, -1
	s_mov_b32 s48, 0
	s_mov_b32 s26, s43
                                        ; implicit-def: $vgpr1
	s_branch .LBB39_838
.LBB39_804:
	s_mov_b32 s49, -1
	s_mov_b32 s48, 0
	s_mov_b32 s26, s43
                                        ; implicit-def: $vgpr1
	s_branch .LBB39_821
.LBB39_805:
	s_mov_b32 s49, -1
	s_mov_b32 s48, 0
	s_mov_b32 s26, s43
                                        ; implicit-def: $vgpr1
	s_branch .LBB39_816
.LBB39_806:
	s_mov_b32 s49, -1
	s_mov_b32 s48, 0
	s_mov_b32 s26, s43
	s_branch .LBB39_810
.LBB39_807:
	s_and_not1_saveexec_b32 s49, s49
	s_cbranch_execz .LBB39_689
.LBB39_808:
	v_add_f32_e32 v1, 0x46000000, v4
	s_and_not1_b32 s48, s48, exec_lo
	s_delay_alu instid0(VALU_DEP_1) | instskip(NEXT) | instid1(VALU_DEP_1)
	v_and_b32_e32 v1, 0xff, v1
	v_cmp_ne_u32_e32 vcc_lo, 0, v1
	s_and_b32 s50, vcc_lo, exec_lo
	s_delay_alu instid0(SALU_CYCLE_1)
	s_or_b32 s48, s48, s50
	s_or_b32 exec_lo, exec_lo, s49
	v_mov_b32_e32 v5, 0
	s_and_saveexec_b32 s49, s48
	s_cbranch_execnz .LBB39_690
	s_branch .LBB39_691
.LBB39_809:
	s_mov_b32 s26, -1
	s_mov_b32 s48, 0
.LBB39_810:
                                        ; implicit-def: $vgpr1
.LBB39_811:
	s_and_b32 vcc_lo, exec_lo, s49
	s_cbranch_vccz .LBB39_815
; %bb.812:
	s_cmp_eq_u32 s27, 44
	s_cbranch_scc0 .LBB39_814
; %bb.813:
	global_load_u8 v1, v[6:7], off
	s_mov_b32 s26, 0
	s_mov_b32 s48, -1
	s_wait_loadcnt 0x0
	v_lshlrev_b32_e32 v3, 23, v1
	v_cmp_ne_u32_e32 vcc_lo, 0, v1
	s_delay_alu instid0(VALU_DEP_2) | instskip(NEXT) | instid1(VALU_DEP_1)
	v_cvt_i32_f32_e32 v3, v3
	v_cndmask_b32_e32 v1, 0, v3, vcc_lo
	s_branch .LBB39_815
.LBB39_814:
	s_mov_b32 s26, -1
                                        ; implicit-def: $vgpr1
.LBB39_815:
	s_mov_b32 s49, 0
.LBB39_816:
	s_delay_alu instid0(SALU_CYCLE_1)
	s_and_b32 vcc_lo, exec_lo, s49
	s_cbranch_vccz .LBB39_820
; %bb.817:
	s_cmp_eq_u32 s27, 29
	s_cbranch_scc0 .LBB39_819
; %bb.818:
	global_load_b32 v1, v[6:7], off
	s_mov_b32 s48, -1
	s_mov_b32 s26, 0
	s_branch .LBB39_820
.LBB39_819:
	s_mov_b32 s26, -1
                                        ; implicit-def: $vgpr1
.LBB39_820:
	s_mov_b32 s49, 0
.LBB39_821:
	s_delay_alu instid0(SALU_CYCLE_1)
	s_and_b32 vcc_lo, exec_lo, s49
	s_cbranch_vccz .LBB39_837
; %bb.822:
	s_cmp_lt_i32 s27, 27
	s_cbranch_scc1 .LBB39_825
; %bb.823:
	s_cmp_gt_i32 s27, 27
	s_cbranch_scc0 .LBB39_826
; %bb.824:
	s_wait_loadcnt 0x0
	global_load_b32 v1, v[6:7], off
	s_mov_b32 s48, 0
	s_branch .LBB39_827
.LBB39_825:
	s_mov_b32 s48, -1
                                        ; implicit-def: $vgpr1
	s_branch .LBB39_830
.LBB39_826:
	s_mov_b32 s48, -1
                                        ; implicit-def: $vgpr1
.LBB39_827:
	s_delay_alu instid0(SALU_CYCLE_1)
	s_and_not1_b32 vcc_lo, exec_lo, s48
	s_cbranch_vccnz .LBB39_829
; %bb.828:
	s_wait_loadcnt 0x0
	global_load_u16 v1, v[6:7], off
.LBB39_829:
	s_mov_b32 s48, 0
.LBB39_830:
	s_delay_alu instid0(SALU_CYCLE_1)
	s_and_not1_b32 vcc_lo, exec_lo, s48
	s_cbranch_vccnz .LBB39_836
; %bb.831:
	global_load_u8 v3, v[6:7], off
	s_mov_b32 s49, 0
	s_mov_b32 s48, exec_lo
	s_wait_loadcnt 0x0
	v_cmpx_lt_i16_e32 0x7f, v3
	s_xor_b32 s48, exec_lo, s48
	s_cbranch_execz .LBB39_848
; %bb.832:
	v_cmp_ne_u16_e32 vcc_lo, 0x80, v3
	s_and_b32 s49, vcc_lo, exec_lo
	s_and_not1_saveexec_b32 s48, s48
	s_cbranch_execnz .LBB39_849
.LBB39_833:
	s_or_b32 exec_lo, exec_lo, s48
	v_mov_b32_e32 v1, 0
	s_and_saveexec_b32 s48, s49
	s_cbranch_execz .LBB39_835
.LBB39_834:
	v_and_b32_e32 v1, 0xffff, v3
	s_delay_alu instid0(VALU_DEP_1) | instskip(SKIP_1) | instid1(VALU_DEP_2)
	v_and_b32_e32 v5, 7, v1
	v_bfe_u32 v10, v1, 3, 4
	v_clz_i32_u32_e32 v8, v5
	s_delay_alu instid0(VALU_DEP_2) | instskip(NEXT) | instid1(VALU_DEP_2)
	v_cmp_eq_u32_e32 vcc_lo, 0, v10
	v_min_u32_e32 v8, 32, v8
	s_delay_alu instid0(VALU_DEP_1) | instskip(NEXT) | instid1(VALU_DEP_1)
	v_subrev_nc_u32_e32 v9, 28, v8
	v_dual_lshlrev_b32 v1, v9, v1 :: v_dual_sub_nc_u32 v8, 29, v8
	s_delay_alu instid0(VALU_DEP_1) | instskip(NEXT) | instid1(VALU_DEP_1)
	v_dual_lshlrev_b32 v3, 24, v3 :: v_dual_bitop2_b32 v1, 7, v1 bitop3:0x40
	v_dual_cndmask_b32 v8, v10, v8 :: v_dual_cndmask_b32 v1, v5, v1
	s_delay_alu instid0(VALU_DEP_2) | instskip(NEXT) | instid1(VALU_DEP_2)
	v_and_b32_e32 v3, 0x80000000, v3
	v_lshl_add_u32 v5, v8, 23, 0x3b800000
	s_delay_alu instid0(VALU_DEP_3) | instskip(NEXT) | instid1(VALU_DEP_1)
	v_lshlrev_b32_e32 v1, 20, v1
	v_or3_b32 v1, v3, v5, v1
	s_delay_alu instid0(VALU_DEP_1)
	v_cvt_i32_f32_e32 v1, v1
.LBB39_835:
	s_or_b32 exec_lo, exec_lo, s48
.LBB39_836:
	s_mov_b32 s48, -1
.LBB39_837:
	s_mov_b32 s49, 0
.LBB39_838:
	s_delay_alu instid0(SALU_CYCLE_1)
	s_and_b32 vcc_lo, exec_lo, s49
	s_cbranch_vccz .LBB39_871
; %bb.839:
	s_cmp_gt_i32 s27, 22
	s_cbranch_scc0 .LBB39_847
; %bb.840:
	s_cmp_lt_i32 s27, 24
	s_cbranch_scc1 .LBB39_850
; %bb.841:
	s_cmp_gt_i32 s27, 24
	s_cbranch_scc0 .LBB39_851
; %bb.842:
	global_load_u8 v3, v[6:7], off
	s_mov_b32 s49, 0
	s_mov_b32 s48, exec_lo
	s_wait_loadcnt 0x0
	v_cmpx_lt_i16_e32 0x7f, v3
	s_xor_b32 s48, exec_lo, s48
	s_cbranch_execz .LBB39_863
; %bb.843:
	v_cmp_ne_u16_e32 vcc_lo, 0x80, v3
	s_and_b32 s49, vcc_lo, exec_lo
	s_and_not1_saveexec_b32 s48, s48
	s_cbranch_execnz .LBB39_864
.LBB39_844:
	s_or_b32 exec_lo, exec_lo, s48
	v_mov_b32_e32 v1, 0
	s_and_saveexec_b32 s48, s49
	s_cbranch_execz .LBB39_846
.LBB39_845:
	v_and_b32_e32 v1, 0xffff, v3
	s_delay_alu instid0(VALU_DEP_1) | instskip(SKIP_1) | instid1(VALU_DEP_2)
	v_and_b32_e32 v5, 3, v1
	v_bfe_u32 v10, v1, 2, 5
	v_clz_i32_u32_e32 v8, v5
	s_delay_alu instid0(VALU_DEP_2) | instskip(NEXT) | instid1(VALU_DEP_2)
	v_cmp_eq_u32_e32 vcc_lo, 0, v10
	v_min_u32_e32 v8, 32, v8
	s_delay_alu instid0(VALU_DEP_1) | instskip(NEXT) | instid1(VALU_DEP_1)
	v_subrev_nc_u32_e32 v9, 29, v8
	v_dual_lshlrev_b32 v1, v9, v1 :: v_dual_sub_nc_u32 v8, 30, v8
	s_delay_alu instid0(VALU_DEP_1) | instskip(NEXT) | instid1(VALU_DEP_1)
	v_dual_lshlrev_b32 v3, 24, v3 :: v_dual_bitop2_b32 v1, 3, v1 bitop3:0x40
	v_dual_cndmask_b32 v8, v10, v8 :: v_dual_cndmask_b32 v1, v5, v1
	s_delay_alu instid0(VALU_DEP_2) | instskip(NEXT) | instid1(VALU_DEP_2)
	v_and_b32_e32 v3, 0x80000000, v3
	v_lshl_add_u32 v5, v8, 23, 0x37800000
	s_delay_alu instid0(VALU_DEP_3) | instskip(NEXT) | instid1(VALU_DEP_1)
	v_lshlrev_b32_e32 v1, 21, v1
	v_or3_b32 v1, v3, v5, v1
	s_delay_alu instid0(VALU_DEP_1)
	v_cvt_i32_f32_e32 v1, v1
.LBB39_846:
	s_or_b32 exec_lo, exec_lo, s48
	s_mov_b32 s48, 0
	s_branch .LBB39_852
.LBB39_847:
	s_mov_b32 s49, -1
                                        ; implicit-def: $vgpr1
	s_branch .LBB39_858
.LBB39_848:
	s_and_not1_saveexec_b32 s48, s48
	s_cbranch_execz .LBB39_833
.LBB39_849:
	v_cmp_ne_u16_e32 vcc_lo, 0, v3
	s_and_not1_b32 s49, s49, exec_lo
	s_and_b32 s50, vcc_lo, exec_lo
	s_delay_alu instid0(SALU_CYCLE_1)
	s_or_b32 s49, s49, s50
	s_or_b32 exec_lo, exec_lo, s48
	v_mov_b32_e32 v1, 0
	s_and_saveexec_b32 s48, s49
	s_cbranch_execnz .LBB39_834
	s_branch .LBB39_835
.LBB39_850:
	s_mov_b32 s48, -1
                                        ; implicit-def: $vgpr1
	s_branch .LBB39_855
.LBB39_851:
	s_mov_b32 s48, -1
                                        ; implicit-def: $vgpr1
.LBB39_852:
	s_delay_alu instid0(SALU_CYCLE_1)
	s_and_b32 vcc_lo, exec_lo, s48
	s_cbranch_vccz .LBB39_854
; %bb.853:
	s_wait_loadcnt 0x0
	global_load_u8 v1, v[6:7], off
	s_wait_loadcnt 0x0
	v_lshlrev_b32_e32 v1, 24, v1
	s_delay_alu instid0(VALU_DEP_1) | instskip(NEXT) | instid1(VALU_DEP_1)
	v_and_b32_e32 v3, 0x7f000000, v1
	v_clz_i32_u32_e32 v5, v3
	v_add_nc_u32_e32 v9, 0x1000000, v3
	v_cmp_ne_u32_e32 vcc_lo, 0, v3
	s_delay_alu instid0(VALU_DEP_3) | instskip(NEXT) | instid1(VALU_DEP_1)
	v_min_u32_e32 v5, 32, v5
	v_sub_nc_u32_e64 v5, v5, 4 clamp
	s_delay_alu instid0(VALU_DEP_1) | instskip(NEXT) | instid1(VALU_DEP_1)
	v_dual_lshlrev_b32 v8, v5, v3 :: v_dual_lshlrev_b32 v5, 23, v5
	v_lshrrev_b32_e32 v8, 4, v8
	s_delay_alu instid0(VALU_DEP_1) | instskip(SKIP_1) | instid1(VALU_DEP_2)
	v_sub_nc_u32_e32 v5, v8, v5
	v_ashrrev_i32_e32 v8, 8, v9
	v_add_nc_u32_e32 v5, 0x3c000000, v5
	s_delay_alu instid0(VALU_DEP_1) | instskip(NEXT) | instid1(VALU_DEP_1)
	v_and_or_b32 v5, 0x7f800000, v8, v5
	v_cndmask_b32_e32 v3, 0, v5, vcc_lo
	s_delay_alu instid0(VALU_DEP_1) | instskip(NEXT) | instid1(VALU_DEP_1)
	v_and_or_b32 v1, 0x80000000, v1, v3
	v_cvt_i32_f32_e32 v1, v1
.LBB39_854:
	s_mov_b32 s48, 0
.LBB39_855:
	s_delay_alu instid0(SALU_CYCLE_1)
	s_and_not1_b32 vcc_lo, exec_lo, s48
	s_cbranch_vccnz .LBB39_857
; %bb.856:
	s_wait_loadcnt 0x0
	global_load_u8 v1, v[6:7], off
	s_wait_loadcnt 0x0
	v_lshlrev_b32_e32 v3, 25, v1
	v_lshlrev_b16 v1, 8, v1
	s_delay_alu instid0(VALU_DEP_1) | instskip(SKIP_1) | instid1(VALU_DEP_2)
	v_and_or_b32 v8, 0x7f00, v1, 0.5
	v_bfe_i32 v1, v1, 0, 16
	v_dual_add_f32 v8, -0.5, v8 :: v_dual_lshrrev_b32 v5, 4, v3
	v_cmp_gt_u32_e32 vcc_lo, 0x8000000, v3
	s_delay_alu instid0(VALU_DEP_2) | instskip(NEXT) | instid1(VALU_DEP_1)
	v_or_b32_e32 v5, 0x70000000, v5
	v_mul_f32_e32 v5, 0x7800000, v5
	s_delay_alu instid0(VALU_DEP_1) | instskip(NEXT) | instid1(VALU_DEP_1)
	v_cndmask_b32_e32 v3, v5, v8, vcc_lo
	v_and_or_b32 v1, 0x80000000, v1, v3
	s_delay_alu instid0(VALU_DEP_1)
	v_cvt_i32_f32_e32 v1, v1
.LBB39_857:
	s_mov_b32 s49, 0
	s_mov_b32 s48, -1
.LBB39_858:
	s_and_not1_b32 vcc_lo, exec_lo, s49
	s_cbranch_vccnz .LBB39_871
; %bb.859:
	s_cmp_gt_i32 s27, 14
	s_cbranch_scc0 .LBB39_862
; %bb.860:
	s_cmp_eq_u32 s27, 15
	s_cbranch_scc0 .LBB39_865
; %bb.861:
	s_wait_loadcnt 0x0
	global_load_u16 v1, v[6:7], off
	s_mov_b32 s48, -1
	s_mov_b32 s26, 0
	s_wait_loadcnt 0x0
	v_lshlrev_b32_e32 v1, 16, v1
	s_delay_alu instid0(VALU_DEP_1)
	v_cvt_i32_f32_e32 v1, v1
	s_branch .LBB39_866
.LBB39_862:
	s_mov_b32 s49, -1
                                        ; implicit-def: $vgpr1
	s_branch .LBB39_867
.LBB39_863:
	s_and_not1_saveexec_b32 s48, s48
	s_cbranch_execz .LBB39_844
.LBB39_864:
	v_cmp_ne_u16_e32 vcc_lo, 0, v3
	s_and_not1_b32 s49, s49, exec_lo
	s_and_b32 s50, vcc_lo, exec_lo
	s_delay_alu instid0(SALU_CYCLE_1)
	s_or_b32 s49, s49, s50
	s_or_b32 exec_lo, exec_lo, s48
	v_mov_b32_e32 v1, 0
	s_and_saveexec_b32 s48, s49
	s_cbranch_execnz .LBB39_845
	s_branch .LBB39_846
.LBB39_865:
	s_mov_b32 s26, -1
                                        ; implicit-def: $vgpr1
.LBB39_866:
	s_mov_b32 s49, 0
.LBB39_867:
	s_delay_alu instid0(SALU_CYCLE_1)
	s_and_b32 vcc_lo, exec_lo, s49
	s_cbranch_vccz .LBB39_871
; %bb.868:
	s_cmp_eq_u32 s27, 11
	s_cbranch_scc0 .LBB39_870
; %bb.869:
	s_wait_loadcnt 0x0
	global_load_u8 v1, v[6:7], off
	s_mov_b32 s26, 0
	s_mov_b32 s48, -1
	s_wait_loadcnt 0x0
	v_cmp_ne_u16_e32 vcc_lo, 0, v1
	v_cndmask_b32_e64 v1, 0, 1, vcc_lo
	s_branch .LBB39_871
.LBB39_870:
	s_mov_b32 s26, -1
                                        ; implicit-def: $vgpr1
.LBB39_871:
	s_mov_b32 s27, 0
.LBB39_872:
	s_delay_alu instid0(SALU_CYCLE_1)
	s_and_b32 vcc_lo, exec_lo, s27
	s_cbranch_vccz .LBB39_921
; %bb.873:
	s_and_b32 s0, 0xffff, s0
	s_delay_alu instid0(SALU_CYCLE_1)
	s_cmp_lt_i32 s0, 5
	s_cbranch_scc1 .LBB39_878
; %bb.874:
	s_cmp_lt_i32 s0, 8
	s_cbranch_scc1 .LBB39_879
; %bb.875:
	;; [unrolled: 3-line block ×3, first 2 shown]
	s_cmp_gt_i32 s0, 9
	s_cbranch_scc0 .LBB39_881
; %bb.877:
	global_load_b64 v[8:9], v[6:7], off
	s_mov_b32 s27, 0
	s_wait_loadcnt 0x0
	v_cvt_i32_f64_e32 v1, v[8:9]
	s_branch .LBB39_882
.LBB39_878:
	s_mov_b32 s27, -1
                                        ; implicit-def: $vgpr1
	s_branch .LBB39_900
.LBB39_879:
	s_mov_b32 s27, -1
                                        ; implicit-def: $vgpr1
	s_branch .LBB39_888
.LBB39_880:
	s_mov_b32 s27, -1
                                        ; implicit-def: $vgpr1
	s_branch .LBB39_885
.LBB39_881:
	s_mov_b32 s27, -1
                                        ; implicit-def: $vgpr1
.LBB39_882:
	s_delay_alu instid0(SALU_CYCLE_1)
	s_and_not1_b32 vcc_lo, exec_lo, s27
	s_cbranch_vccnz .LBB39_884
; %bb.883:
	s_wait_loadcnt 0x0
	global_load_b32 v1, v[6:7], off
	s_wait_loadcnt 0x0
	v_cvt_i32_f32_e32 v1, v1
.LBB39_884:
	s_mov_b32 s27, 0
.LBB39_885:
	s_delay_alu instid0(SALU_CYCLE_1)
	s_and_not1_b32 vcc_lo, exec_lo, s27
	s_cbranch_vccnz .LBB39_887
; %bb.886:
	s_wait_loadcnt 0x0
	global_load_b32 v1, v[6:7], off
	s_wait_loadcnt 0x0
	v_cvt_f32_f16_e32 v1, v1
	s_delay_alu instid0(VALU_DEP_1)
	v_cvt_i32_f32_e32 v1, v1
.LBB39_887:
	s_mov_b32 s27, 0
.LBB39_888:
	s_delay_alu instid0(SALU_CYCLE_1)
	s_and_not1_b32 vcc_lo, exec_lo, s27
	s_cbranch_vccnz .LBB39_899
; %bb.889:
	s_cmp_lt_i32 s0, 6
	s_cbranch_scc1 .LBB39_892
; %bb.890:
	s_cmp_gt_i32 s0, 6
	s_cbranch_scc0 .LBB39_893
; %bb.891:
	global_load_b64 v[8:9], v[6:7], off
	s_mov_b32 s27, 0
	s_wait_loadcnt 0x0
	v_cvt_i32_f64_e32 v1, v[8:9]
	s_branch .LBB39_894
.LBB39_892:
	s_mov_b32 s27, -1
                                        ; implicit-def: $vgpr1
	s_branch .LBB39_897
.LBB39_893:
	s_mov_b32 s27, -1
                                        ; implicit-def: $vgpr1
.LBB39_894:
	s_delay_alu instid0(SALU_CYCLE_1)
	s_and_not1_b32 vcc_lo, exec_lo, s27
	s_cbranch_vccnz .LBB39_896
; %bb.895:
	s_wait_loadcnt 0x0
	global_load_b32 v1, v[6:7], off
	s_wait_loadcnt 0x0
	v_cvt_i32_f32_e32 v1, v1
.LBB39_896:
	s_mov_b32 s27, 0
.LBB39_897:
	s_delay_alu instid0(SALU_CYCLE_1)
	s_and_not1_b32 vcc_lo, exec_lo, s27
	s_cbranch_vccnz .LBB39_899
; %bb.898:
	s_wait_loadcnt 0x0
	global_load_u16 v1, v[6:7], off
	s_wait_loadcnt 0x0
	v_cvt_f32_f16_e32 v1, v1
	s_delay_alu instid0(VALU_DEP_1)
	v_cvt_i32_f32_e32 v1, v1
.LBB39_899:
	s_mov_b32 s27, 0
.LBB39_900:
	s_delay_alu instid0(SALU_CYCLE_1)
	s_and_not1_b32 vcc_lo, exec_lo, s27
	s_cbranch_vccnz .LBB39_920
; %bb.901:
	s_cmp_lt_i32 s0, 2
	s_cbranch_scc1 .LBB39_905
; %bb.902:
	s_cmp_lt_i32 s0, 3
	s_cbranch_scc1 .LBB39_906
; %bb.903:
	s_cmp_gt_i32 s0, 3
	s_cbranch_scc0 .LBB39_907
; %bb.904:
	s_wait_loadcnt 0x0
	global_load_b32 v1, v[6:7], off
	s_mov_b32 s27, 0
	s_branch .LBB39_908
.LBB39_905:
	s_mov_b32 s27, -1
                                        ; implicit-def: $vgpr1
	s_branch .LBB39_914
.LBB39_906:
	s_mov_b32 s27, -1
                                        ; implicit-def: $vgpr1
	s_branch .LBB39_911
.LBB39_907:
	s_mov_b32 s27, -1
                                        ; implicit-def: $vgpr1
.LBB39_908:
	s_delay_alu instid0(SALU_CYCLE_1)
	s_and_not1_b32 vcc_lo, exec_lo, s27
	s_cbranch_vccnz .LBB39_910
; %bb.909:
	s_wait_loadcnt 0x0
	global_load_b32 v1, v[6:7], off
.LBB39_910:
	s_mov_b32 s27, 0
.LBB39_911:
	s_delay_alu instid0(SALU_CYCLE_1)
	s_and_not1_b32 vcc_lo, exec_lo, s27
	s_cbranch_vccnz .LBB39_913
; %bb.912:
	s_wait_loadcnt 0x0
	global_load_i16 v1, v[6:7], off
.LBB39_913:
	s_mov_b32 s27, 0
.LBB39_914:
	s_delay_alu instid0(SALU_CYCLE_1)
	s_and_not1_b32 vcc_lo, exec_lo, s27
	s_cbranch_vccnz .LBB39_920
; %bb.915:
	s_cmp_gt_i32 s0, 0
	s_mov_b32 s0, 0
	s_cbranch_scc0 .LBB39_917
; %bb.916:
	s_wait_loadcnt 0x0
	global_load_i8 v1, v[6:7], off
	s_branch .LBB39_918
.LBB39_917:
	s_mov_b32 s0, -1
                                        ; implicit-def: $vgpr1
.LBB39_918:
	s_delay_alu instid0(SALU_CYCLE_1)
	s_and_not1_b32 vcc_lo, exec_lo, s0
	s_cbranch_vccnz .LBB39_920
; %bb.919:
	s_wait_loadcnt 0x0
	global_load_u8 v1, v[6:7], off
.LBB39_920:
	s_mov_b32 s48, -1
.LBB39_921:
	s_delay_alu instid0(SALU_CYCLE_1)
	s_and_not1_b32 vcc_lo, exec_lo, s48
	s_cbranch_vccnz .LBB39_929
; %bb.922:
	v_mov_b32_e32 v5, 0
	s_and_b32 s0, s13, 0xff
	s_delay_alu instid0(SALU_CYCLE_1) | instskip(NEXT) | instid1(VALU_DEP_1)
	s_cmp_lt_i32 s0, 11
	v_add_nc_u64_e32 v[4:5], s[8:9], v[4:5]
	s_cbranch_scc1 .LBB39_930
; %bb.923:
	s_and_b32 s48, 0xffff, s0
	s_delay_alu instid0(SALU_CYCLE_1)
	s_cmp_gt_i32 s48, 25
	s_cbranch_scc0 .LBB39_931
; %bb.924:
	s_cmp_gt_i32 s48, 28
	s_cbranch_scc0 .LBB39_932
; %bb.925:
	s_cmp_gt_i32 s48, 43
	s_cbranch_scc0 .LBB39_933
; %bb.926:
	s_cmp_gt_i32 s48, 45
	s_cbranch_scc0 .LBB39_934
; %bb.927:
	s_cmp_eq_u32 s48, 46
	s_mov_b32 s50, 0
	s_cbranch_scc0 .LBB39_937
; %bb.928:
	global_load_b32 v3, v[4:5], off
	s_mov_b32 s49, -1
	s_mov_b32 s27, 0
	s_wait_loadcnt 0x0
	v_lshlrev_b32_e32 v3, 16, v3
	s_wait_xcnt 0x1
	s_delay_alu instid0(VALU_DEP_1)
	v_cvt_i32_f32_e32 v6, v3
	s_branch .LBB39_939
.LBB39_929:
	s_mov_b32 s51, 0
	s_mov_b32 s0, s44
	;; [unrolled: 1-line block ×3, first 2 shown]
	s_branch .LBB39_1174
.LBB39_930:
	s_mov_b32 s48, -1
	s_mov_b32 s49, 0
	s_mov_b32 s27, s45
                                        ; implicit-def: $vgpr6
	s_branch .LBB39_1000
.LBB39_931:
	s_mov_b32 s50, -1
	s_mov_b32 s49, 0
	s_mov_b32 s27, s45
                                        ; implicit-def: $vgpr6
	s_branch .LBB39_966
.LBB39_932:
	s_mov_b32 s50, -1
	s_mov_b32 s49, 0
	s_mov_b32 s27, s45
                                        ; implicit-def: $vgpr6
	s_branch .LBB39_949
.LBB39_933:
	s_mov_b32 s50, -1
	s_mov_b32 s49, 0
	s_mov_b32 s27, s45
                                        ; implicit-def: $vgpr6
	s_branch .LBB39_944
.LBB39_934:
	s_mov_b32 s50, -1
	s_mov_b32 s49, 0
	s_mov_b32 s27, s45
	s_branch .LBB39_938
.LBB39_935:
	s_and_not1_saveexec_b32 s49, s49
	s_cbranch_execz .LBB39_702
.LBB39_936:
	v_add_f32_e32 v1, 0x42800000, v4
	s_and_not1_b32 s48, s48, exec_lo
	s_delay_alu instid0(VALU_DEP_1) | instskip(NEXT) | instid1(VALU_DEP_1)
	v_and_b32_e32 v1, 0xff, v1
	v_cmp_ne_u32_e32 vcc_lo, 0, v1
	s_and_b32 s50, vcc_lo, exec_lo
	s_delay_alu instid0(SALU_CYCLE_1)
	s_or_b32 s48, s48, s50
	s_or_b32 exec_lo, exec_lo, s49
	v_mov_b32_e32 v5, 0
	s_and_saveexec_b32 s49, s48
	s_cbranch_execnz .LBB39_703
	s_branch .LBB39_704
.LBB39_937:
	s_mov_b32 s27, -1
	s_mov_b32 s49, 0
.LBB39_938:
                                        ; implicit-def: $vgpr6
.LBB39_939:
	s_and_b32 vcc_lo, exec_lo, s50
	s_cbranch_vccz .LBB39_943
; %bb.940:
	s_cmp_eq_u32 s48, 44
	s_cbranch_scc0 .LBB39_942
; %bb.941:
	global_load_u8 v3, v[4:5], off
	s_mov_b32 s27, 0
	s_mov_b32 s49, -1
	s_wait_loadcnt 0x0
	s_wait_xcnt 0x1
	v_lshlrev_b32_e32 v6, 23, v3
	v_cmp_ne_u32_e32 vcc_lo, 0, v3
	s_delay_alu instid0(VALU_DEP_2) | instskip(NEXT) | instid1(VALU_DEP_1)
	v_cvt_i32_f32_e32 v6, v6
	v_cndmask_b32_e32 v6, 0, v6, vcc_lo
	s_branch .LBB39_943
.LBB39_942:
	s_mov_b32 s27, -1
                                        ; implicit-def: $vgpr6
.LBB39_943:
	s_mov_b32 s50, 0
.LBB39_944:
	s_delay_alu instid0(SALU_CYCLE_1)
	s_and_b32 vcc_lo, exec_lo, s50
	s_cbranch_vccz .LBB39_948
; %bb.945:
	s_cmp_eq_u32 s48, 29
	s_cbranch_scc0 .LBB39_947
; %bb.946:
	global_load_b32 v6, v[4:5], off
	s_mov_b32 s49, -1
	s_mov_b32 s27, 0
	s_branch .LBB39_948
.LBB39_947:
	s_mov_b32 s27, -1
                                        ; implicit-def: $vgpr6
.LBB39_948:
	s_mov_b32 s50, 0
.LBB39_949:
	s_delay_alu instid0(SALU_CYCLE_1)
	s_and_b32 vcc_lo, exec_lo, s50
	s_cbranch_vccz .LBB39_965
; %bb.950:
	s_cmp_lt_i32 s48, 27
	s_cbranch_scc1 .LBB39_953
; %bb.951:
	s_cmp_gt_i32 s48, 27
	s_cbranch_scc0 .LBB39_954
; %bb.952:
	s_wait_loadcnt 0x0
	global_load_b32 v6, v[4:5], off
	s_mov_b32 s49, 0
	s_branch .LBB39_955
.LBB39_953:
	s_mov_b32 s49, -1
                                        ; implicit-def: $vgpr6
	s_branch .LBB39_958
.LBB39_954:
	s_mov_b32 s49, -1
                                        ; implicit-def: $vgpr6
.LBB39_955:
	s_delay_alu instid0(SALU_CYCLE_1)
	s_and_not1_b32 vcc_lo, exec_lo, s49
	s_cbranch_vccnz .LBB39_957
; %bb.956:
	s_wait_loadcnt 0x0
	global_load_u16 v6, v[4:5], off
.LBB39_957:
	s_mov_b32 s49, 0
.LBB39_958:
	s_delay_alu instid0(SALU_CYCLE_1)
	s_and_not1_b32 vcc_lo, exec_lo, s49
	s_cbranch_vccnz .LBB39_964
; %bb.959:
	global_load_u8 v3, v[4:5], off
	s_mov_b32 s50, 0
	s_mov_b32 s49, exec_lo
	s_wait_loadcnt 0x0
	v_cmpx_lt_i16_e32 0x7f, v3
	s_xor_b32 s49, exec_lo, s49
	s_cbranch_execz .LBB39_976
; %bb.960:
	v_cmp_ne_u16_e32 vcc_lo, 0x80, v3
	s_and_b32 s50, vcc_lo, exec_lo
	s_and_not1_saveexec_b32 s49, s49
	s_cbranch_execnz .LBB39_977
.LBB39_961:
	s_or_b32 exec_lo, exec_lo, s49
	v_mov_b32_e32 v6, 0
	s_and_saveexec_b32 s49, s50
	s_cbranch_execz .LBB39_963
.LBB39_962:
	v_and_b32_e32 v6, 0xffff, v3
	s_delay_alu instid0(VALU_DEP_1) | instskip(SKIP_1) | instid1(VALU_DEP_2)
	v_and_b32_e32 v7, 7, v6
	v_bfe_u32 v10, v6, 3, 4
	v_clz_i32_u32_e32 v8, v7
	s_delay_alu instid0(VALU_DEP_2) | instskip(NEXT) | instid1(VALU_DEP_2)
	v_cmp_eq_u32_e32 vcc_lo, 0, v10
	v_min_u32_e32 v8, 32, v8
	s_delay_alu instid0(VALU_DEP_1) | instskip(NEXT) | instid1(VALU_DEP_1)
	v_subrev_nc_u32_e32 v9, 28, v8
	v_dual_lshlrev_b32 v6, v9, v6 :: v_dual_sub_nc_u32 v8, 29, v8
	s_delay_alu instid0(VALU_DEP_1) | instskip(NEXT) | instid1(VALU_DEP_1)
	v_dual_lshlrev_b32 v3, 24, v3 :: v_dual_bitop2_b32 v6, 7, v6 bitop3:0x40
	v_dual_cndmask_b32 v8, v10, v8, vcc_lo :: v_dual_cndmask_b32 v6, v7, v6, vcc_lo
	s_delay_alu instid0(VALU_DEP_2) | instskip(NEXT) | instid1(VALU_DEP_2)
	v_and_b32_e32 v3, 0x80000000, v3
	v_lshl_add_u32 v7, v8, 23, 0x3b800000
	s_delay_alu instid0(VALU_DEP_3) | instskip(NEXT) | instid1(VALU_DEP_1)
	v_lshlrev_b32_e32 v6, 20, v6
	v_or3_b32 v3, v3, v7, v6
	s_delay_alu instid0(VALU_DEP_1)
	v_cvt_i32_f32_e32 v6, v3
.LBB39_963:
	s_or_b32 exec_lo, exec_lo, s49
.LBB39_964:
	s_mov_b32 s49, -1
.LBB39_965:
	s_mov_b32 s50, 0
.LBB39_966:
	s_delay_alu instid0(SALU_CYCLE_1)
	s_and_b32 vcc_lo, exec_lo, s50
	s_cbranch_vccz .LBB39_999
; %bb.967:
	s_cmp_gt_i32 s48, 22
	s_cbranch_scc0 .LBB39_975
; %bb.968:
	s_cmp_lt_i32 s48, 24
	s_cbranch_scc1 .LBB39_978
; %bb.969:
	s_cmp_gt_i32 s48, 24
	s_cbranch_scc0 .LBB39_979
; %bb.970:
	global_load_u8 v3, v[4:5], off
	s_mov_b32 s50, 0
	s_mov_b32 s49, exec_lo
	s_wait_loadcnt 0x0
	v_cmpx_lt_i16_e32 0x7f, v3
	s_xor_b32 s49, exec_lo, s49
	s_cbranch_execz .LBB39_991
; %bb.971:
	v_cmp_ne_u16_e32 vcc_lo, 0x80, v3
	s_and_b32 s50, vcc_lo, exec_lo
	s_and_not1_saveexec_b32 s49, s49
	s_cbranch_execnz .LBB39_992
.LBB39_972:
	s_or_b32 exec_lo, exec_lo, s49
	v_mov_b32_e32 v6, 0
	s_and_saveexec_b32 s49, s50
	s_cbranch_execz .LBB39_974
.LBB39_973:
	v_and_b32_e32 v6, 0xffff, v3
	s_delay_alu instid0(VALU_DEP_1) | instskip(SKIP_1) | instid1(VALU_DEP_2)
	v_and_b32_e32 v7, 3, v6
	v_bfe_u32 v10, v6, 2, 5
	v_clz_i32_u32_e32 v8, v7
	s_delay_alu instid0(VALU_DEP_2) | instskip(NEXT) | instid1(VALU_DEP_2)
	v_cmp_eq_u32_e32 vcc_lo, 0, v10
	v_min_u32_e32 v8, 32, v8
	s_delay_alu instid0(VALU_DEP_1) | instskip(NEXT) | instid1(VALU_DEP_1)
	v_subrev_nc_u32_e32 v9, 29, v8
	v_dual_lshlrev_b32 v6, v9, v6 :: v_dual_sub_nc_u32 v8, 30, v8
	s_delay_alu instid0(VALU_DEP_1) | instskip(NEXT) | instid1(VALU_DEP_1)
	v_dual_lshlrev_b32 v3, 24, v3 :: v_dual_bitop2_b32 v6, 3, v6 bitop3:0x40
	v_dual_cndmask_b32 v8, v10, v8, vcc_lo :: v_dual_cndmask_b32 v6, v7, v6, vcc_lo
	s_delay_alu instid0(VALU_DEP_2) | instskip(NEXT) | instid1(VALU_DEP_2)
	v_and_b32_e32 v3, 0x80000000, v3
	v_lshl_add_u32 v7, v8, 23, 0x37800000
	s_delay_alu instid0(VALU_DEP_3) | instskip(NEXT) | instid1(VALU_DEP_1)
	v_lshlrev_b32_e32 v6, 21, v6
	v_or3_b32 v3, v3, v7, v6
	s_delay_alu instid0(VALU_DEP_1)
	v_cvt_i32_f32_e32 v6, v3
.LBB39_974:
	s_or_b32 exec_lo, exec_lo, s49
	s_mov_b32 s49, 0
	s_branch .LBB39_980
.LBB39_975:
	s_mov_b32 s50, -1
                                        ; implicit-def: $vgpr6
	s_branch .LBB39_986
.LBB39_976:
	s_and_not1_saveexec_b32 s49, s49
	s_cbranch_execz .LBB39_961
.LBB39_977:
	v_cmp_ne_u16_e32 vcc_lo, 0, v3
	s_and_not1_b32 s50, s50, exec_lo
	s_and_b32 s51, vcc_lo, exec_lo
	s_delay_alu instid0(SALU_CYCLE_1)
	s_or_b32 s50, s50, s51
	s_or_b32 exec_lo, exec_lo, s49
	v_mov_b32_e32 v6, 0
	s_and_saveexec_b32 s49, s50
	s_cbranch_execnz .LBB39_962
	s_branch .LBB39_963
.LBB39_978:
	s_mov_b32 s49, -1
                                        ; implicit-def: $vgpr6
	s_branch .LBB39_983
.LBB39_979:
	s_mov_b32 s49, -1
                                        ; implicit-def: $vgpr6
.LBB39_980:
	s_delay_alu instid0(SALU_CYCLE_1)
	s_and_b32 vcc_lo, exec_lo, s49
	s_cbranch_vccz .LBB39_982
; %bb.981:
	global_load_u8 v3, v[4:5], off
	s_wait_loadcnt 0x0
	v_lshlrev_b32_e32 v3, 24, v3
	s_wait_xcnt 0x1
	s_delay_alu instid0(VALU_DEP_1) | instskip(NEXT) | instid1(VALU_DEP_1)
	v_and_b32_e32 v6, 0x7f000000, v3
	v_clz_i32_u32_e32 v7, v6
	v_cmp_ne_u32_e32 vcc_lo, 0, v6
	v_add_nc_u32_e32 v9, 0x1000000, v6
	s_delay_alu instid0(VALU_DEP_3) | instskip(NEXT) | instid1(VALU_DEP_1)
	v_min_u32_e32 v7, 32, v7
	v_sub_nc_u32_e64 v7, v7, 4 clamp
	s_delay_alu instid0(VALU_DEP_1) | instskip(NEXT) | instid1(VALU_DEP_1)
	v_dual_lshlrev_b32 v8, v7, v6 :: v_dual_lshlrev_b32 v7, 23, v7
	v_lshrrev_b32_e32 v8, 4, v8
	s_delay_alu instid0(VALU_DEP_1) | instskip(NEXT) | instid1(VALU_DEP_1)
	v_dual_sub_nc_u32 v7, v8, v7 :: v_dual_ashrrev_i32 v8, 8, v9
	v_add_nc_u32_e32 v7, 0x3c000000, v7
	s_delay_alu instid0(VALU_DEP_1) | instskip(NEXT) | instid1(VALU_DEP_1)
	v_and_or_b32 v7, 0x7f800000, v8, v7
	v_cndmask_b32_e32 v6, 0, v7, vcc_lo
	s_delay_alu instid0(VALU_DEP_1) | instskip(NEXT) | instid1(VALU_DEP_1)
	v_and_or_b32 v3, 0x80000000, v3, v6
	v_cvt_i32_f32_e32 v6, v3
.LBB39_982:
	s_mov_b32 s49, 0
.LBB39_983:
	s_delay_alu instid0(SALU_CYCLE_1)
	s_and_not1_b32 vcc_lo, exec_lo, s49
	s_cbranch_vccnz .LBB39_985
; %bb.984:
	global_load_u8 v3, v[4:5], off
	s_wait_loadcnt 0x0
	s_wait_xcnt 0x1
	v_lshlrev_b32_e32 v6, 25, v3
	v_lshlrev_b16 v3, 8, v3
	s_delay_alu instid0(VALU_DEP_1) | instskip(SKIP_1) | instid1(VALU_DEP_2)
	v_and_or_b32 v8, 0x7f00, v3, 0.5
	v_bfe_i32 v3, v3, 0, 16
	v_dual_add_f32 v8, -0.5, v8 :: v_dual_lshrrev_b32 v7, 4, v6
	v_cmp_gt_u32_e32 vcc_lo, 0x8000000, v6
	s_delay_alu instid0(VALU_DEP_2) | instskip(NEXT) | instid1(VALU_DEP_1)
	v_or_b32_e32 v7, 0x70000000, v7
	v_mul_f32_e32 v7, 0x7800000, v7
	s_delay_alu instid0(VALU_DEP_1) | instskip(NEXT) | instid1(VALU_DEP_1)
	v_cndmask_b32_e32 v6, v7, v8, vcc_lo
	v_and_or_b32 v3, 0x80000000, v3, v6
	s_delay_alu instid0(VALU_DEP_1)
	v_cvt_i32_f32_e32 v6, v3
.LBB39_985:
	s_mov_b32 s50, 0
	s_mov_b32 s49, -1
.LBB39_986:
	s_and_not1_b32 vcc_lo, exec_lo, s50
	s_cbranch_vccnz .LBB39_999
; %bb.987:
	s_cmp_gt_i32 s48, 14
	s_cbranch_scc0 .LBB39_990
; %bb.988:
	s_cmp_eq_u32 s48, 15
	s_cbranch_scc0 .LBB39_993
; %bb.989:
	global_load_u16 v3, v[4:5], off
	s_mov_b32 s49, -1
	s_mov_b32 s27, 0
	s_wait_loadcnt 0x0
	v_lshlrev_b32_e32 v3, 16, v3
	s_wait_xcnt 0x1
	s_delay_alu instid0(VALU_DEP_1)
	v_cvt_i32_f32_e32 v6, v3
	s_branch .LBB39_994
.LBB39_990:
	s_mov_b32 s50, -1
                                        ; implicit-def: $vgpr6
	s_branch .LBB39_995
.LBB39_991:
	s_and_not1_saveexec_b32 s49, s49
	s_cbranch_execz .LBB39_972
.LBB39_992:
	v_cmp_ne_u16_e32 vcc_lo, 0, v3
	s_and_not1_b32 s50, s50, exec_lo
	s_and_b32 s51, vcc_lo, exec_lo
	s_delay_alu instid0(SALU_CYCLE_1)
	s_or_b32 s50, s50, s51
	s_or_b32 exec_lo, exec_lo, s49
	v_mov_b32_e32 v6, 0
	s_and_saveexec_b32 s49, s50
	s_cbranch_execnz .LBB39_973
	s_branch .LBB39_974
.LBB39_993:
	s_mov_b32 s27, -1
                                        ; implicit-def: $vgpr6
.LBB39_994:
	s_mov_b32 s50, 0
.LBB39_995:
	s_delay_alu instid0(SALU_CYCLE_1)
	s_and_b32 vcc_lo, exec_lo, s50
	s_cbranch_vccz .LBB39_999
; %bb.996:
	s_cmp_eq_u32 s48, 11
	s_cbranch_scc0 .LBB39_998
; %bb.997:
	global_load_u8 v3, v[4:5], off
	s_mov_b32 s27, 0
	s_mov_b32 s49, -1
	s_wait_loadcnt 0x0
	v_cmp_ne_u16_e32 vcc_lo, 0, v3
	s_wait_xcnt 0x1
	v_cndmask_b32_e64 v6, 0, 1, vcc_lo
	s_branch .LBB39_999
.LBB39_998:
	s_mov_b32 s27, -1
                                        ; implicit-def: $vgpr6
.LBB39_999:
	s_mov_b32 s48, 0
.LBB39_1000:
	s_delay_alu instid0(SALU_CYCLE_1)
	s_and_b32 vcc_lo, exec_lo, s48
	s_cbranch_vccz .LBB39_1049
; %bb.1001:
	s_and_b32 s0, 0xffff, s0
	s_delay_alu instid0(SALU_CYCLE_1)
	s_cmp_lt_i32 s0, 5
	s_cbranch_scc1 .LBB39_1006
; %bb.1002:
	s_cmp_lt_i32 s0, 8
	s_cbranch_scc1 .LBB39_1007
; %bb.1003:
	;; [unrolled: 3-line block ×3, first 2 shown]
	s_cmp_gt_i32 s0, 9
	s_cbranch_scc0 .LBB39_1009
; %bb.1005:
	s_wait_loadcnt 0x0
	global_load_b64 v[6:7], v[4:5], off
	s_mov_b32 s48, 0
	s_wait_loadcnt 0x0
	v_cvt_i32_f64_e32 v6, v[6:7]
	s_branch .LBB39_1010
.LBB39_1006:
	s_mov_b32 s48, -1
                                        ; implicit-def: $vgpr6
	s_branch .LBB39_1028
.LBB39_1007:
	s_mov_b32 s48, -1
                                        ; implicit-def: $vgpr6
	s_branch .LBB39_1016
.LBB39_1008:
	s_mov_b32 s48, -1
                                        ; implicit-def: $vgpr6
	s_branch .LBB39_1013
.LBB39_1009:
	s_mov_b32 s48, -1
                                        ; implicit-def: $vgpr6
.LBB39_1010:
	s_delay_alu instid0(SALU_CYCLE_1)
	s_and_not1_b32 vcc_lo, exec_lo, s48
	s_cbranch_vccnz .LBB39_1012
; %bb.1011:
	global_load_b32 v3, v[4:5], off
	s_wait_loadcnt 0x0
	s_wait_xcnt 0x1
	v_cvt_i32_f32_e32 v6, v3
.LBB39_1012:
	s_mov_b32 s48, 0
.LBB39_1013:
	s_delay_alu instid0(SALU_CYCLE_1)
	s_and_not1_b32 vcc_lo, exec_lo, s48
	s_cbranch_vccnz .LBB39_1015
; %bb.1014:
	global_load_b32 v3, v[4:5], off
	s_wait_loadcnt 0x0
	v_cvt_f32_f16_e32 v3, v3
	s_wait_xcnt 0x1
	s_delay_alu instid0(VALU_DEP_1)
	v_cvt_i32_f32_e32 v6, v3
.LBB39_1015:
	s_mov_b32 s48, 0
.LBB39_1016:
	s_delay_alu instid0(SALU_CYCLE_1)
	s_and_not1_b32 vcc_lo, exec_lo, s48
	s_cbranch_vccnz .LBB39_1027
; %bb.1017:
	s_cmp_lt_i32 s0, 6
	s_cbranch_scc1 .LBB39_1020
; %bb.1018:
	s_cmp_gt_i32 s0, 6
	s_cbranch_scc0 .LBB39_1021
; %bb.1019:
	s_wait_loadcnt 0x0
	global_load_b64 v[6:7], v[4:5], off
	s_mov_b32 s48, 0
	s_wait_loadcnt 0x0
	v_cvt_i32_f64_e32 v6, v[6:7]
	s_branch .LBB39_1022
.LBB39_1020:
	s_mov_b32 s48, -1
                                        ; implicit-def: $vgpr6
	s_branch .LBB39_1025
.LBB39_1021:
	s_mov_b32 s48, -1
                                        ; implicit-def: $vgpr6
.LBB39_1022:
	s_delay_alu instid0(SALU_CYCLE_1)
	s_and_not1_b32 vcc_lo, exec_lo, s48
	s_cbranch_vccnz .LBB39_1024
; %bb.1023:
	global_load_b32 v3, v[4:5], off
	s_wait_loadcnt 0x0
	s_wait_xcnt 0x1
	v_cvt_i32_f32_e32 v6, v3
.LBB39_1024:
	s_mov_b32 s48, 0
.LBB39_1025:
	s_delay_alu instid0(SALU_CYCLE_1)
	s_and_not1_b32 vcc_lo, exec_lo, s48
	s_cbranch_vccnz .LBB39_1027
; %bb.1026:
	global_load_u16 v3, v[4:5], off
	s_wait_loadcnt 0x0
	v_cvt_f32_f16_e32 v3, v3
	s_wait_xcnt 0x1
	s_delay_alu instid0(VALU_DEP_1)
	v_cvt_i32_f32_e32 v6, v3
.LBB39_1027:
	s_mov_b32 s48, 0
.LBB39_1028:
	s_delay_alu instid0(SALU_CYCLE_1)
	s_and_not1_b32 vcc_lo, exec_lo, s48
	s_cbranch_vccnz .LBB39_1048
; %bb.1029:
	s_cmp_lt_i32 s0, 2
	s_cbranch_scc1 .LBB39_1033
; %bb.1030:
	s_cmp_lt_i32 s0, 3
	s_cbranch_scc1 .LBB39_1034
; %bb.1031:
	s_cmp_gt_i32 s0, 3
	s_cbranch_scc0 .LBB39_1035
; %bb.1032:
	s_wait_loadcnt 0x0
	global_load_b32 v6, v[4:5], off
	s_mov_b32 s48, 0
	s_branch .LBB39_1036
.LBB39_1033:
	s_mov_b32 s48, -1
                                        ; implicit-def: $vgpr6
	s_branch .LBB39_1042
.LBB39_1034:
	s_mov_b32 s48, -1
                                        ; implicit-def: $vgpr6
	s_branch .LBB39_1039
.LBB39_1035:
	s_mov_b32 s48, -1
                                        ; implicit-def: $vgpr6
.LBB39_1036:
	s_delay_alu instid0(SALU_CYCLE_1)
	s_and_not1_b32 vcc_lo, exec_lo, s48
	s_cbranch_vccnz .LBB39_1038
; %bb.1037:
	s_wait_loadcnt 0x0
	global_load_b32 v6, v[4:5], off
.LBB39_1038:
	s_mov_b32 s48, 0
.LBB39_1039:
	s_delay_alu instid0(SALU_CYCLE_1)
	s_and_not1_b32 vcc_lo, exec_lo, s48
	s_cbranch_vccnz .LBB39_1041
; %bb.1040:
	s_wait_loadcnt 0x0
	global_load_i16 v6, v[4:5], off
.LBB39_1041:
	s_mov_b32 s48, 0
.LBB39_1042:
	s_delay_alu instid0(SALU_CYCLE_1)
	s_and_not1_b32 vcc_lo, exec_lo, s48
	s_cbranch_vccnz .LBB39_1048
; %bb.1043:
	s_cmp_gt_i32 s0, 0
	s_mov_b32 s0, 0
	s_cbranch_scc0 .LBB39_1045
; %bb.1044:
	s_wait_loadcnt 0x0
	global_load_i8 v6, v[4:5], off
	s_branch .LBB39_1046
.LBB39_1045:
	s_mov_b32 s0, -1
                                        ; implicit-def: $vgpr6
.LBB39_1046:
	s_delay_alu instid0(SALU_CYCLE_1)
	s_and_not1_b32 vcc_lo, exec_lo, s0
	s_cbranch_vccnz .LBB39_1048
; %bb.1047:
	s_wait_loadcnt 0x0
	global_load_u8 v6, v[4:5], off
.LBB39_1048:
	s_mov_b32 s49, -1
.LBB39_1049:
	s_delay_alu instid0(SALU_CYCLE_1)
	s_and_not1_b32 vcc_lo, exec_lo, s49
	s_cbranch_vccnz .LBB39_1057
; %bb.1050:
	v_mov_b32_e32 v3, 0
	s_wait_loadcnt 0x0
	s_delay_alu instid0(VALU_DEP_2) | instskip(SKIP_1) | instid1(VALU_DEP_2)
	v_cmp_ne_u32_e32 vcc_lo, v1, v6
	s_and_b32 s49, s11, 0xff
	v_add_nc_u64_e32 v[2:3], s[4:5], v[2:3]
	s_xor_b32 s48, s10, vcc_lo
	s_cmp_lt_i32 s49, 11
	s_cbranch_scc1 .LBB39_1058
; %bb.1051:
	s_and_b32 s50, 0xffff, s49
	s_delay_alu instid0(SALU_CYCLE_1)
	s_cmp_gt_i32 s50, 25
	s_cbranch_scc0 .LBB39_1059
; %bb.1052:
	s_cmp_gt_i32 s50, 28
	s_cbranch_scc0 .LBB39_1060
; %bb.1053:
	;; [unrolled: 3-line block ×4, first 2 shown]
	s_mov_b32 s52, 0
	s_mov_b32 s0, -1
	s_cmp_eq_u32 s50, 46
	s_mov_b32 s51, 0
	s_cbranch_scc0 .LBB39_1063
; %bb.1056:
	v_cndmask_b32_e64 v1, 0, 1.0, s48
	s_mov_b32 s51, -1
	s_mov_b32 s0, 0
	s_wait_xcnt 0x0
	s_delay_alu instid0(VALU_DEP_1) | instskip(NEXT) | instid1(VALU_DEP_1)
	v_bfe_u32 v4, v1, 16, 1
	v_add3_u32 v1, v1, v4, 0x7fff
	s_delay_alu instid0(VALU_DEP_1)
	v_lshrrev_b32_e32 v1, 16, v1
	global_store_b32 v[2:3], v1, off
	s_branch .LBB39_1063
.LBB39_1057:
	s_mov_b32 s51, 0
	s_mov_b32 s0, s44
	s_branch .LBB39_1174
.LBB39_1058:
	s_mov_b32 s50, -1
	s_mov_b32 s51, 0
	s_mov_b32 s0, s44
	s_branch .LBB39_1132
.LBB39_1059:
	s_mov_b32 s52, -1
	s_mov_b32 s51, 0
	s_mov_b32 s0, s44
	s_branch .LBB39_1090
.LBB39_1060:
	s_mov_b32 s52, -1
	s_mov_b32 s51, 0
	s_mov_b32 s0, s44
	s_branch .LBB39_1073
.LBB39_1061:
	s_mov_b32 s52, -1
	s_mov_b32 s51, 0
	s_mov_b32 s0, s44
	s_branch .LBB39_1069
.LBB39_1062:
	s_mov_b32 s52, -1
	s_mov_b32 s51, 0
	s_mov_b32 s0, s44
.LBB39_1063:
	s_and_b32 vcc_lo, exec_lo, s52
	s_cbranch_vccz .LBB39_1068
; %bb.1064:
	s_cmp_eq_u32 s50, 44
	s_mov_b32 s0, -1
	s_cbranch_scc0 .LBB39_1068
; %bb.1065:
	s_wait_xcnt 0x0
	v_cndmask_b32_e64 v5, 0, 1.0, s48
	s_mov_b32 s51, exec_lo
	s_delay_alu instid0(VALU_DEP_1) | instskip(NEXT) | instid1(VALU_DEP_1)
	v_dual_mov_b32 v4, 0xff :: v_dual_lshrrev_b32 v1, 23, v5
	v_cmpx_ne_u32_e32 0xff, v1
; %bb.1066:
	v_and_b32_e32 v4, 0x400000, v5
	v_and_or_b32 v5, 0x3fffff, v5, v1
	s_delay_alu instid0(VALU_DEP_2) | instskip(NEXT) | instid1(VALU_DEP_2)
	v_cmp_ne_u32_e32 vcc_lo, 0, v4
	v_cmp_ne_u32_e64 s0, 0, v5
	s_and_b32 s0, vcc_lo, s0
	s_delay_alu instid0(SALU_CYCLE_1) | instskip(NEXT) | instid1(VALU_DEP_1)
	v_cndmask_b32_e64 v4, 0, 1, s0
	v_add_nc_u32_e32 v4, v1, v4
; %bb.1067:
	s_or_b32 exec_lo, exec_lo, s51
	s_mov_b32 s51, -1
	s_mov_b32 s0, 0
	global_store_b8 v[2:3], v4, off
.LBB39_1068:
	s_mov_b32 s52, 0
.LBB39_1069:
	s_delay_alu instid0(SALU_CYCLE_1)
	s_and_b32 vcc_lo, exec_lo, s52
	s_cbranch_vccz .LBB39_1072
; %bb.1070:
	s_cmp_eq_u32 s50, 29
	s_mov_b32 s0, -1
	s_cbranch_scc0 .LBB39_1072
; %bb.1071:
	s_mov_b32 s0, 0
	s_wait_xcnt 0x0
	v_cndmask_b32_e64 v4, 0, 1, s48
	v_mov_b32_e32 v5, s0
	s_mov_b32 s51, -1
	s_mov_b32 s52, 0
	global_store_b64 v[2:3], v[4:5], off
	s_branch .LBB39_1073
.LBB39_1072:
	s_mov_b32 s52, 0
.LBB39_1073:
	s_delay_alu instid0(SALU_CYCLE_1)
	s_and_b32 vcc_lo, exec_lo, s52
	s_cbranch_vccz .LBB39_1089
; %bb.1074:
	s_cmp_lt_i32 s50, 27
	s_mov_b32 s51, -1
	s_cbranch_scc1 .LBB39_1080
; %bb.1075:
	s_cmp_gt_i32 s50, 27
	s_cbranch_scc0 .LBB39_1077
; %bb.1076:
	s_wait_xcnt 0x0
	v_cndmask_b32_e64 v1, 0, 1, s48
	s_mov_b32 s51, 0
	global_store_b32 v[2:3], v1, off
.LBB39_1077:
	s_and_not1_b32 vcc_lo, exec_lo, s51
	s_cbranch_vccnz .LBB39_1079
; %bb.1078:
	s_wait_xcnt 0x0
	v_cndmask_b32_e64 v1, 0, 1, s48
	global_store_b16 v[2:3], v1, off
.LBB39_1079:
	s_mov_b32 s51, 0
.LBB39_1080:
	s_delay_alu instid0(SALU_CYCLE_1)
	s_and_not1_b32 vcc_lo, exec_lo, s51
	s_cbranch_vccnz .LBB39_1088
; %bb.1081:
	s_wait_xcnt 0x0
	v_cndmask_b32_e64 v4, 0, 1.0, s48
	v_mov_b32_e32 v5, 0x80
	s_mov_b32 s51, exec_lo
	s_delay_alu instid0(VALU_DEP_2)
	v_cmpx_gt_u32_e32 0x43800000, v4
	s_cbranch_execz .LBB39_1087
; %bb.1082:
	s_mov_b32 s52, 0
	s_mov_b32 s53, exec_lo
                                        ; implicit-def: $vgpr1
	v_cmpx_lt_u32_e32 0x3bffffff, v4
	s_xor_b32 s53, exec_lo, s53
	s_cbranch_execz .LBB39_1202
; %bb.1083:
	v_bfe_u32 v1, v4, 20, 1
	s_mov_b32 s52, exec_lo
	s_delay_alu instid0(VALU_DEP_1) | instskip(NEXT) | instid1(VALU_DEP_1)
	v_add3_u32 v1, v4, v1, 0x487ffff
                                        ; implicit-def: $vgpr4
	v_lshrrev_b32_e32 v1, 20, v1
	s_and_not1_saveexec_b32 s53, s53
	s_cbranch_execnz .LBB39_1203
.LBB39_1084:
	s_or_b32 exec_lo, exec_lo, s53
	v_mov_b32_e32 v5, 0
	s_and_saveexec_b32 s53, s52
.LBB39_1085:
	v_mov_b32_e32 v5, v1
.LBB39_1086:
	s_or_b32 exec_lo, exec_lo, s53
.LBB39_1087:
	s_delay_alu instid0(SALU_CYCLE_1)
	s_or_b32 exec_lo, exec_lo, s51
	global_store_b8 v[2:3], v5, off
.LBB39_1088:
	s_mov_b32 s51, -1
.LBB39_1089:
	s_mov_b32 s52, 0
.LBB39_1090:
	s_delay_alu instid0(SALU_CYCLE_1)
	s_and_b32 vcc_lo, exec_lo, s52
	s_cbranch_vccz .LBB39_1131
; %bb.1091:
	s_cmp_gt_i32 s50, 22
	s_mov_b32 s52, -1
	s_cbranch_scc0 .LBB39_1123
; %bb.1092:
	s_cmp_lt_i32 s50, 24
	s_mov_b32 s51, -1
	s_cbranch_scc1 .LBB39_1112
; %bb.1093:
	s_cmp_gt_i32 s50, 24
	s_cbranch_scc0 .LBB39_1101
; %bb.1094:
	s_wait_xcnt 0x0
	v_cndmask_b32_e64 v4, 0, 1.0, s48
	v_mov_b32_e32 v5, 0x80
	s_mov_b32 s51, exec_lo
	s_delay_alu instid0(VALU_DEP_2)
	v_cmpx_gt_u32_e32 0x47800000, v4
	s_cbranch_execz .LBB39_1100
; %bb.1095:
	s_mov_b32 s52, 0
	s_mov_b32 s53, exec_lo
                                        ; implicit-def: $vgpr1
	v_cmpx_lt_u32_e32 0x37ffffff, v4
	s_xor_b32 s53, exec_lo, s53
	s_cbranch_execz .LBB39_2245
; %bb.1096:
	v_bfe_u32 v1, v4, 21, 1
	s_mov_b32 s52, exec_lo
	s_delay_alu instid0(VALU_DEP_1) | instskip(NEXT) | instid1(VALU_DEP_1)
	v_add3_u32 v1, v4, v1, 0x88fffff
                                        ; implicit-def: $vgpr4
	v_lshrrev_b32_e32 v1, 21, v1
	s_and_not1_saveexec_b32 s53, s53
	s_cbranch_execnz .LBB39_2246
.LBB39_1097:
	s_or_b32 exec_lo, exec_lo, s53
	v_mov_b32_e32 v5, 0
	s_and_saveexec_b32 s53, s52
.LBB39_1098:
	v_mov_b32_e32 v5, v1
.LBB39_1099:
	s_or_b32 exec_lo, exec_lo, s53
.LBB39_1100:
	s_delay_alu instid0(SALU_CYCLE_1)
	s_or_b32 exec_lo, exec_lo, s51
	s_mov_b32 s51, 0
	global_store_b8 v[2:3], v5, off
.LBB39_1101:
	s_and_b32 vcc_lo, exec_lo, s51
	s_cbranch_vccz .LBB39_1111
; %bb.1102:
	s_wait_xcnt 0x0
	v_cndmask_b32_e64 v4, 0, 1.0, s48
	s_mov_b32 s51, exec_lo
                                        ; implicit-def: $vgpr1
	s_delay_alu instid0(VALU_DEP_1)
	v_cmpx_gt_u32_e32 0x43f00000, v4
	s_xor_b32 s51, exec_lo, s51
	s_cbranch_execz .LBB39_1108
; %bb.1103:
	s_mov_b32 s52, exec_lo
                                        ; implicit-def: $vgpr1
	v_cmpx_lt_u32_e32 0x3c7fffff, v4
	s_xor_b32 s52, exec_lo, s52
; %bb.1104:
	v_bfe_u32 v1, v4, 20, 1
	s_delay_alu instid0(VALU_DEP_1) | instskip(NEXT) | instid1(VALU_DEP_1)
	v_add3_u32 v1, v4, v1, 0x407ffff
	v_and_b32_e32 v4, 0xff00000, v1
	v_lshrrev_b32_e32 v1, 20, v1
	s_delay_alu instid0(VALU_DEP_2) | instskip(NEXT) | instid1(VALU_DEP_2)
	v_cmp_ne_u32_e32 vcc_lo, 0x7f00000, v4
                                        ; implicit-def: $vgpr4
	v_cndmask_b32_e32 v1, 0x7e, v1, vcc_lo
; %bb.1105:
	s_and_not1_saveexec_b32 s52, s52
; %bb.1106:
	v_add_f32_e32 v1, 0x46800000, v4
; %bb.1107:
	s_or_b32 exec_lo, exec_lo, s52
                                        ; implicit-def: $vgpr4
.LBB39_1108:
	s_and_not1_saveexec_b32 s51, s51
; %bb.1109:
	v_mov_b32_e32 v1, 0x7f
	v_cmp_lt_u32_e32 vcc_lo, 0x7f800000, v4
	s_delay_alu instid0(VALU_DEP_2)
	v_cndmask_b32_e32 v1, 0x7e, v1, vcc_lo
; %bb.1110:
	s_or_b32 exec_lo, exec_lo, s51
	global_store_b8 v[2:3], v1, off
.LBB39_1111:
	s_mov_b32 s51, 0
.LBB39_1112:
	s_delay_alu instid0(SALU_CYCLE_1)
	s_and_not1_b32 vcc_lo, exec_lo, s51
	s_cbranch_vccnz .LBB39_1122
; %bb.1113:
	s_wait_xcnt 0x0
	v_cndmask_b32_e64 v4, 0, 1.0, s48
	s_mov_b32 s51, exec_lo
                                        ; implicit-def: $vgpr1
	s_delay_alu instid0(VALU_DEP_1)
	v_cmpx_gt_u32_e32 0x47800000, v4
	s_xor_b32 s51, exec_lo, s51
	s_cbranch_execz .LBB39_1119
; %bb.1114:
	s_mov_b32 s52, exec_lo
                                        ; implicit-def: $vgpr1
	v_cmpx_lt_u32_e32 0x387fffff, v4
	s_xor_b32 s52, exec_lo, s52
; %bb.1115:
	v_bfe_u32 v1, v4, 21, 1
	s_delay_alu instid0(VALU_DEP_1) | instskip(NEXT) | instid1(VALU_DEP_1)
	v_add3_u32 v1, v4, v1, 0x80fffff
                                        ; implicit-def: $vgpr4
	v_lshrrev_b32_e32 v1, 21, v1
; %bb.1116:
	s_and_not1_saveexec_b32 s52, s52
; %bb.1117:
	v_add_f32_e32 v1, 0x43000000, v4
; %bb.1118:
	s_or_b32 exec_lo, exec_lo, s52
                                        ; implicit-def: $vgpr4
.LBB39_1119:
	s_and_not1_saveexec_b32 s51, s51
; %bb.1120:
	v_mov_b32_e32 v1, 0x7f
	v_cmp_lt_u32_e32 vcc_lo, 0x7f800000, v4
	s_delay_alu instid0(VALU_DEP_2)
	v_cndmask_b32_e32 v1, 0x7c, v1, vcc_lo
; %bb.1121:
	s_or_b32 exec_lo, exec_lo, s51
	global_store_b8 v[2:3], v1, off
.LBB39_1122:
	s_mov_b32 s52, 0
	s_mov_b32 s51, -1
.LBB39_1123:
	s_and_not1_b32 vcc_lo, exec_lo, s52
	s_cbranch_vccnz .LBB39_1131
; %bb.1124:
	s_cmp_gt_i32 s50, 14
	s_mov_b32 s52, -1
	s_cbranch_scc0 .LBB39_1128
; %bb.1125:
	s_cmp_eq_u32 s50, 15
	s_mov_b32 s0, -1
	s_cbranch_scc0 .LBB39_1127
; %bb.1126:
	s_wait_xcnt 0x0
	v_cndmask_b32_e64 v1, 0, 1.0, s48
	s_mov_b32 s51, -1
	s_mov_b32 s0, 0
	s_delay_alu instid0(VALU_DEP_1) | instskip(NEXT) | instid1(VALU_DEP_1)
	v_bfe_u32 v4, v1, 16, 1
	v_add3_u32 v1, v1, v4, 0x7fff
	global_store_d16_hi_b16 v[2:3], v1, off
.LBB39_1127:
	s_mov_b32 s52, 0
.LBB39_1128:
	s_delay_alu instid0(SALU_CYCLE_1)
	s_and_b32 vcc_lo, exec_lo, s52
	s_cbranch_vccz .LBB39_1131
; %bb.1129:
	s_cmp_eq_u32 s50, 11
	s_mov_b32 s0, -1
	s_cbranch_scc0 .LBB39_1131
; %bb.1130:
	s_wait_xcnt 0x0
	v_cndmask_b32_e64 v1, 0, 1, s48
	s_mov_b32 s51, -1
	s_mov_b32 s0, 0
	global_store_b8 v[2:3], v1, off
.LBB39_1131:
	s_mov_b32 s50, 0
.LBB39_1132:
	s_delay_alu instid0(SALU_CYCLE_1)
	s_and_b32 vcc_lo, exec_lo, s50
	s_cbranch_vccz .LBB39_1171
; %bb.1133:
	s_and_b32 s49, 0xffff, s49
	s_mov_b32 s50, -1
	s_cmp_lt_i32 s49, 5
	s_cbranch_scc1 .LBB39_1154
; %bb.1134:
	s_cmp_lt_i32 s49, 8
	s_cbranch_scc1 .LBB39_1144
; %bb.1135:
	;; [unrolled: 3-line block ×3, first 2 shown]
	s_cmp_gt_i32 s49, 9
	s_cbranch_scc0 .LBB39_1138
; %bb.1137:
	s_wait_xcnt 0x0
	v_cndmask_b32_e64 v1, 0, 1, s48
	v_mov_b32_e32 v6, 0
	s_mov_b32 s50, 0
	s_delay_alu instid0(VALU_DEP_2) | instskip(NEXT) | instid1(VALU_DEP_2)
	v_cvt_f64_u32_e32 v[4:5], v1
	v_mov_b32_e32 v7, v6
	global_store_b128 v[2:3], v[4:7], off
.LBB39_1138:
	s_and_not1_b32 vcc_lo, exec_lo, s50
	s_cbranch_vccnz .LBB39_1140
; %bb.1139:
	s_wait_xcnt 0x0
	v_cndmask_b32_e64 v4, 0, 1.0, s48
	v_mov_b32_e32 v5, 0
	global_store_b64 v[2:3], v[4:5], off
.LBB39_1140:
	s_mov_b32 s50, 0
.LBB39_1141:
	s_delay_alu instid0(SALU_CYCLE_1)
	s_and_not1_b32 vcc_lo, exec_lo, s50
	s_cbranch_vccnz .LBB39_1143
; %bb.1142:
	s_wait_xcnt 0x0
	v_cndmask_b32_e64 v1, 0, 1.0, s48
	s_delay_alu instid0(VALU_DEP_1) | instskip(NEXT) | instid1(VALU_DEP_1)
	v_cvt_f16_f32_e32 v1, v1
	v_and_b32_e32 v1, 0xffff, v1
	global_store_b32 v[2:3], v1, off
.LBB39_1143:
	s_mov_b32 s50, 0
.LBB39_1144:
	s_delay_alu instid0(SALU_CYCLE_1)
	s_and_not1_b32 vcc_lo, exec_lo, s50
	s_cbranch_vccnz .LBB39_1153
; %bb.1145:
	s_cmp_lt_i32 s49, 6
	s_mov_b32 s50, -1
	s_cbranch_scc1 .LBB39_1151
; %bb.1146:
	s_cmp_gt_i32 s49, 6
	s_cbranch_scc0 .LBB39_1148
; %bb.1147:
	s_wait_xcnt 0x0
	v_cndmask_b32_e64 v1, 0, 1, s48
	s_mov_b32 s50, 0
	s_delay_alu instid0(VALU_DEP_1)
	v_cvt_f64_u32_e32 v[4:5], v1
	global_store_b64 v[2:3], v[4:5], off
.LBB39_1148:
	s_and_not1_b32 vcc_lo, exec_lo, s50
	s_cbranch_vccnz .LBB39_1150
; %bb.1149:
	s_wait_xcnt 0x0
	v_cndmask_b32_e64 v1, 0, 1.0, s48
	global_store_b32 v[2:3], v1, off
.LBB39_1150:
	s_mov_b32 s50, 0
.LBB39_1151:
	s_delay_alu instid0(SALU_CYCLE_1)
	s_and_not1_b32 vcc_lo, exec_lo, s50
	s_cbranch_vccnz .LBB39_1153
; %bb.1152:
	s_wait_xcnt 0x0
	v_cndmask_b32_e64 v1, 0, 1.0, s48
	s_delay_alu instid0(VALU_DEP_1)
	v_cvt_f16_f32_e32 v1, v1
	global_store_b16 v[2:3], v1, off
.LBB39_1153:
	s_mov_b32 s50, 0
.LBB39_1154:
	s_delay_alu instid0(SALU_CYCLE_1)
	s_and_not1_b32 vcc_lo, exec_lo, s50
	s_cbranch_vccnz .LBB39_1170
; %bb.1155:
	s_cmp_lt_i32 s49, 2
	s_mov_b32 s50, -1
	s_cbranch_scc1 .LBB39_1165
; %bb.1156:
	s_cmp_lt_i32 s49, 3
	s_cbranch_scc1 .LBB39_1162
; %bb.1157:
	s_cmp_gt_i32 s49, 3
	s_cbranch_scc0 .LBB39_1159
; %bb.1158:
	s_mov_b32 s50, 0
	s_wait_xcnt 0x0
	v_cndmask_b32_e64 v4, 0, 1, s48
	v_mov_b32_e32 v5, s50
	global_store_b64 v[2:3], v[4:5], off
.LBB39_1159:
	s_and_not1_b32 vcc_lo, exec_lo, s50
	s_cbranch_vccnz .LBB39_1161
; %bb.1160:
	s_wait_xcnt 0x0
	v_cndmask_b32_e64 v1, 0, 1, s48
	global_store_b32 v[2:3], v1, off
.LBB39_1161:
	s_mov_b32 s50, 0
.LBB39_1162:
	s_delay_alu instid0(SALU_CYCLE_1)
	s_and_not1_b32 vcc_lo, exec_lo, s50
	s_cbranch_vccnz .LBB39_1164
; %bb.1163:
	s_wait_xcnt 0x0
	v_cndmask_b32_e64 v1, 0, 1, s48
	global_store_b16 v[2:3], v1, off
.LBB39_1164:
	s_mov_b32 s50, 0
.LBB39_1165:
	s_delay_alu instid0(SALU_CYCLE_1)
	s_and_not1_b32 vcc_lo, exec_lo, s50
	s_cbranch_vccnz .LBB39_1170
; %bb.1166:
	s_wait_xcnt 0x0
	v_cndmask_b32_e64 v1, 0, 1, s48
	s_cmp_gt_i32 s49, 0
	s_mov_b32 s48, -1
	s_cbranch_scc0 .LBB39_1168
; %bb.1167:
	s_mov_b32 s48, 0
	global_store_b8 v[2:3], v1, off
.LBB39_1168:
	s_and_not1_b32 vcc_lo, exec_lo, s48
	s_cbranch_vccnz .LBB39_1170
; %bb.1169:
	global_store_b8 v[2:3], v1, off
.LBB39_1170:
	s_mov_b32 s51, -1
.LBB39_1171:
	s_delay_alu instid0(SALU_CYCLE_1)
	s_and_not1_b32 vcc_lo, exec_lo, s51
	s_cbranch_vccnz .LBB39_1173
; %bb.1172:
	v_add_nc_u32_e32 v0, 0x80, v0
	s_mov_b32 s51, -1
	s_branch .LBB39_1175
.LBB39_1173:
	s_mov_b32 s51, 0
.LBB39_1174:
                                        ; implicit-def: $vgpr0
.LBB39_1175:
	s_and_not1_b32 s48, s44, exec_lo
	s_and_b32 s0, s0, exec_lo
	s_and_b32 s27, s27, exec_lo
	s_or_b32 s49, s48, s0
	s_and_not1_b32 s0, s45, exec_lo
	s_and_not1_b32 s48, s43, exec_lo
	s_and_b32 s26, s26, exec_lo
	s_or_b32 s50, s0, s27
	s_or_b32 s48, s48, s26
	s_or_not1_b32 s52, s51, exec_lo
.LBB39_1176:
	s_wait_xcnt 0x0
	s_or_b32 exec_lo, exec_lo, s47
	s_mov_b32 s27, 0
	s_mov_b32 s51, 0
	;; [unrolled: 1-line block ×3, first 2 shown]
                                        ; implicit-def: $sgpr0
                                        ; implicit-def: $vgpr6_vgpr7
                                        ; implicit-def: $vgpr4
                                        ; implicit-def: $vgpr2
                                        ; implicit-def: $vgpr8
	s_and_saveexec_b32 s47, s52
	s_cbranch_execz .LBB39_1267
; %bb.1177:
	v_cmp_gt_i32_e32 vcc_lo, s37, v0
	s_mov_b32 s52, s48
                                        ; implicit-def: $sgpr0
                                        ; implicit-def: $vgpr6_vgpr7
                                        ; implicit-def: $vgpr4
                                        ; implicit-def: $vgpr2
                                        ; implicit-def: $vgpr8
	s_and_saveexec_b32 s37, vcc_lo
	s_cbranch_execz .LBB39_1266
; %bb.1178:
	s_and_not1_b32 vcc_lo, exec_lo, s31
	s_cbranch_vccnz .LBB39_1184
; %bb.1179:
	s_and_not1_b32 vcc_lo, exec_lo, s38
	s_cbranch_vccnz .LBB39_1185
; %bb.1180:
	s_wait_loadcnt 0x0
	v_dual_mov_b32 v2, 0 :: v_dual_mov_b32 v1, v0
	v_dual_mov_b32 v6, 0 :: v_dual_mov_b32 v4, 0
	s_add_co_i32 s0, s36, 1
	s_mov_b64 s[26:27], 0xffffffffffffffe8
	s_and_b32 s0, s0, 30
	s_add_nc_u64 s[26:27], s[2:3], s[26:27]
.LBB39_1181:                            ; =>This Inner Loop Header: Depth=1
	s_clause 0x1
	s_load_b128 s[52:55], s[26:27], 0x1c
	s_load_b64 s[60:61], s[26:27], 0x2c
	s_add_co_i32 s0, s0, -2
	s_delay_alu instid0(SALU_CYCLE_1) | instskip(SKIP_2) | instid1(VALU_DEP_1)
	s_cmp_eq_u32 s0, 0
	s_wait_kmcnt 0x0
	v_mul_hi_u32 v3, s53, v1
	v_add_nc_u32_e32 v3, v1, v3
	s_delay_alu instid0(VALU_DEP_1) | instskip(NEXT) | instid1(VALU_DEP_1)
	v_lshrrev_b32_e32 v3, s54, v3
	v_mul_hi_u32 v5, s60, v3
	v_mul_lo_u32 v7, v3, s52
	s_clause 0x1
	s_load_b128 s[56:59], s[26:27], 0xdc
	s_load_b64 s[52:53], s[26:27], 0xec
	s_wait_xcnt 0x0
	s_add_nc_u64 s[26:27], s[26:27], 24
	s_delay_alu instid0(VALU_DEP_1) | instskip(NEXT) | instid1(VALU_DEP_1)
	v_dual_add_nc_u32 v5, v3, v5 :: v_dual_sub_nc_u32 v7, v1, v7
	v_lshrrev_b32_e32 v1, s61, v5
	s_wait_kmcnt 0x0
	s_delay_alu instid0(VALU_DEP_2) | instskip(NEXT) | instid1(VALU_DEP_2)
	v_mad_u32 v2, v7, s56, v2
	v_mul_lo_u32 v5, v1, s55
	v_mad_u32 v4, v7, s58, v4
	v_mad_u32 v6, v7, s57, v6
	s_delay_alu instid0(VALU_DEP_3) | instskip(NEXT) | instid1(VALU_DEP_1)
	v_sub_nc_u32_e32 v3, v3, v5
	v_mad_u32 v2, v3, s59, v2
	s_delay_alu instid0(VALU_DEP_4) | instskip(NEXT) | instid1(VALU_DEP_4)
	v_mad_u32 v4, v3, s53, v4
	v_mad_u32 v6, v3, s52, v6
	s_cbranch_scc0 .LBB39_1181
; %bb.1182:
	s_bitcmp1_b32 s36, 0
	s_cselect_b32 s0, -1, 0
	s_delay_alu instid0(SALU_CYCLE_1)
	s_and_b32 vcc_lo, exec_lo, s0
	s_cbranch_vccnz .LBB39_1186
; %bb.1183:
	s_clause 0x1
	s_load_b96 s[52:54], s[26:27], 0x1c
	s_load_b96 s[56:58], s[26:27], 0xdc
	s_wait_kmcnt 0x0
	v_mul_hi_u32 v3, s53, v1
	s_delay_alu instid0(VALU_DEP_1) | instskip(NEXT) | instid1(VALU_DEP_1)
	v_add_nc_u32_e32 v3, v1, v3
	v_lshrrev_b32_e32 v3, s54, v3
	s_delay_alu instid0(VALU_DEP_1) | instskip(NEXT) | instid1(VALU_DEP_1)
	v_mul_lo_u32 v3, v3, s52
	v_sub_nc_u32_e32 v1, v1, v3
	s_delay_alu instid0(VALU_DEP_1)
	v_mad_u32 v2, v1, s56, v2
	v_mad_u32 v6, v1, s57, v6
	;; [unrolled: 1-line block ×3, first 2 shown]
	s_branch .LBB39_1186
.LBB39_1184:
	s_mov_b32 s0, -1
                                        ; implicit-def: $vgpr4
                                        ; implicit-def: $vgpr6
                                        ; implicit-def: $vgpr2
	s_branch .LBB39_1187
.LBB39_1185:
	s_wait_loadcnt 0x0
	v_dual_mov_b32 v4, 0 :: v_dual_mov_b32 v6, 0
	v_mov_b32_e32 v2, 0
.LBB39_1186:
	s_mov_b32 s0, 0
.LBB39_1187:
	s_delay_alu instid0(SALU_CYCLE_1)
	s_and_not1_b32 vcc_lo, exec_lo, s0
	s_cbranch_vccnz .LBB39_1190
; %bb.1188:
	s_wait_loadcnt 0x0
	v_mov_b32_e32 v1, 0
	s_and_not1_b32 vcc_lo, exec_lo, s35
	s_delay_alu instid0(VALU_DEP_1) | instskip(NEXT) | instid1(VALU_DEP_1)
	v_mul_u64_e32 v[2:3], s[20:21], v[0:1]
	v_add_nc_u32_e32 v2, v0, v3
	s_delay_alu instid0(VALU_DEP_1) | instskip(NEXT) | instid1(VALU_DEP_1)
	v_lshrrev_b32_e32 v8, s14, v2
	v_mul_lo_u32 v2, v8, s12
	s_delay_alu instid0(VALU_DEP_1) | instskip(NEXT) | instid1(VALU_DEP_1)
	v_sub_nc_u32_e32 v0, v0, v2
	v_mul_lo_u32 v2, v0, s16
	v_mul_lo_u32 v4, v0, s18
	v_mul_lo_u32 v6, v0, s17
	s_cbranch_vccnz .LBB39_1190
; %bb.1189:
	v_mov_b32_e32 v9, v1
	s_delay_alu instid0(VALU_DEP_1) | instskip(NEXT) | instid1(VALU_DEP_1)
	v_mul_u64_e32 v[0:1], s[24:25], v[8:9]
	v_add_nc_u32_e32 v0, v8, v1
	s_delay_alu instid0(VALU_DEP_1) | instskip(NEXT) | instid1(VALU_DEP_1)
	v_lshrrev_b32_e32 v0, s1, v0
	v_mul_lo_u32 v0, v0, s15
	s_delay_alu instid0(VALU_DEP_1) | instskip(NEXT) | instid1(VALU_DEP_1)
	v_sub_nc_u32_e32 v0, v8, v0
	v_mad_u32 v2, v0, s19, v2
	v_mad_u32 v6, v0, s22, v6
	;; [unrolled: 1-line block ×3, first 2 shown]
.LBB39_1190:
	v_mov_b32_e32 v7, 0
	s_and_b32 s0, s34, 0xff
	s_delay_alu instid0(SALU_CYCLE_1) | instskip(SKIP_1) | instid1(VALU_DEP_1)
	s_cmp_lt_i32 s0, 11
	s_wait_loadcnt 0x0
	v_add_nc_u64_e32 v[6:7], s[6:7], v[6:7]
	s_cbranch_scc1 .LBB39_1197
; %bb.1191:
	s_and_b32 s6, 0xffff, s0
	s_mov_b32 s7, 0
	s_cmp_gt_i32 s6, 25
	s_cbranch_scc0 .LBB39_1198
; %bb.1192:
	s_cmp_gt_i32 s6, 28
	s_cbranch_scc0 .LBB39_1199
; %bb.1193:
	;; [unrolled: 3-line block ×4, first 2 shown]
	s_cmp_eq_u32 s6, 46
	s_mov_b32 s14, 0
	s_cbranch_scc0 .LBB39_1204
; %bb.1196:
	global_load_b32 v0, v[6:7], off
	s_mov_b32 s1, 0
	s_mov_b32 s12, -1
	s_wait_loadcnt 0x0
	v_lshlrev_b32_e32 v0, 16, v0
	s_delay_alu instid0(VALU_DEP_1)
	v_cvt_i32_f32_e32 v8, v0
	s_branch .LBB39_1206
.LBB39_1197:
	s_mov_b32 s6, -1
	s_mov_b32 s12, 0
	s_mov_b32 s7, 0
	;; [unrolled: 1-line block ×3, first 2 shown]
                                        ; implicit-def: $vgpr8
	s_branch .LBB39_1265
.LBB39_1198:
	s_mov_b32 s14, -1
	s_mov_b32 s12, 0
	s_mov_b32 s1, s48
                                        ; implicit-def: $vgpr8
	s_branch .LBB39_1233
.LBB39_1199:
	s_mov_b32 s14, -1
	s_mov_b32 s12, 0
	s_mov_b32 s1, s48
                                        ; implicit-def: $vgpr8
	s_branch .LBB39_1216
.LBB39_1200:
	s_mov_b32 s14, -1
	s_mov_b32 s12, 0
	s_mov_b32 s1, s48
                                        ; implicit-def: $vgpr8
	s_branch .LBB39_1211
.LBB39_1201:
	s_mov_b32 s14, -1
	s_mov_b32 s12, 0
	s_mov_b32 s1, s48
	s_branch .LBB39_1205
.LBB39_1202:
	s_and_not1_saveexec_b32 s53, s53
	s_cbranch_execz .LBB39_1084
.LBB39_1203:
	v_add_f32_e32 v1, 0x46000000, v4
	s_and_not1_b32 s52, s52, exec_lo
	s_delay_alu instid0(VALU_DEP_1) | instskip(NEXT) | instid1(VALU_DEP_1)
	v_and_b32_e32 v1, 0xff, v1
	v_cmp_ne_u32_e32 vcc_lo, 0, v1
	s_and_b32 s54, vcc_lo, exec_lo
	s_delay_alu instid0(SALU_CYCLE_1)
	s_or_b32 s52, s52, s54
	s_or_b32 exec_lo, exec_lo, s53
	v_mov_b32_e32 v5, 0
	s_and_saveexec_b32 s53, s52
	s_cbranch_execnz .LBB39_1085
	s_branch .LBB39_1086
.LBB39_1204:
	s_mov_b32 s1, -1
	s_mov_b32 s12, 0
.LBB39_1205:
                                        ; implicit-def: $vgpr8
.LBB39_1206:
	s_and_b32 vcc_lo, exec_lo, s14
	s_cbranch_vccz .LBB39_1210
; %bb.1207:
	s_cmp_eq_u32 s6, 44
	s_cbranch_scc0 .LBB39_1209
; %bb.1208:
	global_load_u8 v0, v[6:7], off
	s_mov_b32 s1, 0
	s_mov_b32 s12, -1
	s_wait_loadcnt 0x0
	v_lshlrev_b32_e32 v1, 23, v0
	v_cmp_ne_u32_e32 vcc_lo, 0, v0
	s_delay_alu instid0(VALU_DEP_2) | instskip(NEXT) | instid1(VALU_DEP_1)
	v_cvt_i32_f32_e32 v1, v1
	v_cndmask_b32_e32 v8, 0, v1, vcc_lo
	s_branch .LBB39_1210
.LBB39_1209:
	s_mov_b32 s1, -1
                                        ; implicit-def: $vgpr8
.LBB39_1210:
	s_mov_b32 s14, 0
.LBB39_1211:
	s_delay_alu instid0(SALU_CYCLE_1)
	s_and_b32 vcc_lo, exec_lo, s14
	s_cbranch_vccz .LBB39_1215
; %bb.1212:
	s_cmp_eq_u32 s6, 29
	s_cbranch_scc0 .LBB39_1214
; %bb.1213:
	global_load_b32 v8, v[6:7], off
	s_mov_b32 s1, 0
	s_mov_b32 s12, -1
	s_branch .LBB39_1215
.LBB39_1214:
	s_mov_b32 s1, -1
                                        ; implicit-def: $vgpr8
.LBB39_1215:
	s_mov_b32 s14, 0
.LBB39_1216:
	s_delay_alu instid0(SALU_CYCLE_1)
	s_and_b32 vcc_lo, exec_lo, s14
	s_cbranch_vccz .LBB39_1232
; %bb.1217:
	s_cmp_lt_i32 s6, 27
	s_cbranch_scc1 .LBB39_1220
; %bb.1218:
	s_cmp_gt_i32 s6, 27
	s_cbranch_scc0 .LBB39_1221
; %bb.1219:
	s_wait_loadcnt 0x0
	global_load_b32 v8, v[6:7], off
	s_mov_b32 s12, 0
	s_branch .LBB39_1222
.LBB39_1220:
	s_mov_b32 s12, -1
                                        ; implicit-def: $vgpr8
	s_branch .LBB39_1225
.LBB39_1221:
	s_mov_b32 s12, -1
                                        ; implicit-def: $vgpr8
.LBB39_1222:
	s_delay_alu instid0(SALU_CYCLE_1)
	s_and_not1_b32 vcc_lo, exec_lo, s12
	s_cbranch_vccnz .LBB39_1224
; %bb.1223:
	s_wait_loadcnt 0x0
	global_load_u16 v8, v[6:7], off
.LBB39_1224:
	s_mov_b32 s12, 0
.LBB39_1225:
	s_delay_alu instid0(SALU_CYCLE_1)
	s_and_not1_b32 vcc_lo, exec_lo, s12
	s_cbranch_vccnz .LBB39_1231
; %bb.1226:
	global_load_u8 v0, v[6:7], off
	s_mov_b32 s14, 0
	s_mov_b32 s12, exec_lo
	s_wait_loadcnt 0x0
	v_cmpx_lt_i16_e32 0x7f, v0
	s_xor_b32 s12, exec_lo, s12
	s_cbranch_execz .LBB39_1243
; %bb.1227:
	v_cmp_ne_u16_e32 vcc_lo, 0x80, v0
	s_and_b32 s14, vcc_lo, exec_lo
	s_and_not1_saveexec_b32 s12, s12
	s_cbranch_execnz .LBB39_1244
.LBB39_1228:
	s_or_b32 exec_lo, exec_lo, s12
	v_mov_b32_e32 v8, 0
	s_and_saveexec_b32 s12, s14
	s_cbranch_execz .LBB39_1230
.LBB39_1229:
	v_and_b32_e32 v1, 0xffff, v0
	s_delay_alu instid0(VALU_DEP_1) | instskip(SKIP_1) | instid1(VALU_DEP_2)
	v_dual_lshlrev_b32 v0, 24, v0 :: v_dual_bitop2_b32 v3, 7, v1 bitop3:0x40
	v_bfe_u32 v9, v1, 3, 4
	v_and_b32_e32 v0, 0x80000000, v0
	s_delay_alu instid0(VALU_DEP_3) | instskip(NEXT) | instid1(VALU_DEP_3)
	v_clz_i32_u32_e32 v5, v3
	v_cmp_eq_u32_e32 vcc_lo, 0, v9
	s_delay_alu instid0(VALU_DEP_2) | instskip(NEXT) | instid1(VALU_DEP_1)
	v_min_u32_e32 v5, 32, v5
	v_subrev_nc_u32_e32 v8, 28, v5
	v_sub_nc_u32_e32 v5, 29, v5
	s_delay_alu instid0(VALU_DEP_2) | instskip(NEXT) | instid1(VALU_DEP_2)
	v_lshlrev_b32_e32 v1, v8, v1
	v_cndmask_b32_e32 v5, v9, v5, vcc_lo
	s_delay_alu instid0(VALU_DEP_2) | instskip(NEXT) | instid1(VALU_DEP_1)
	v_and_b32_e32 v1, 7, v1
	v_cndmask_b32_e32 v1, v3, v1, vcc_lo
	s_delay_alu instid0(VALU_DEP_3) | instskip(NEXT) | instid1(VALU_DEP_2)
	v_lshl_add_u32 v3, v5, 23, 0x3b800000
	v_lshlrev_b32_e32 v1, 20, v1
	s_delay_alu instid0(VALU_DEP_1) | instskip(NEXT) | instid1(VALU_DEP_1)
	v_or3_b32 v0, v0, v3, v1
	v_cvt_i32_f32_e32 v8, v0
.LBB39_1230:
	s_or_b32 exec_lo, exec_lo, s12
.LBB39_1231:
	s_mov_b32 s12, -1
.LBB39_1232:
	s_mov_b32 s14, 0
.LBB39_1233:
	s_delay_alu instid0(SALU_CYCLE_1)
	s_and_b32 vcc_lo, exec_lo, s14
	s_cbranch_vccz .LBB39_1264
; %bb.1234:
	s_cmp_gt_i32 s6, 22
	s_cbranch_scc0 .LBB39_1242
; %bb.1235:
	s_cmp_lt_i32 s6, 24
	s_cbranch_scc1 .LBB39_1245
; %bb.1236:
	s_cmp_gt_i32 s6, 24
	s_cbranch_scc0 .LBB39_1246
; %bb.1237:
	global_load_u8 v0, v[6:7], off
	s_mov_b32 s12, 0
	s_mov_b32 s7, exec_lo
	s_wait_loadcnt 0x0
	v_cmpx_lt_i16_e32 0x7f, v0
	s_xor_b32 s7, exec_lo, s7
	s_cbranch_execz .LBB39_1258
; %bb.1238:
	v_cmp_ne_u16_e32 vcc_lo, 0x80, v0
	s_and_b32 s12, vcc_lo, exec_lo
	s_and_not1_saveexec_b32 s7, s7
	s_cbranch_execnz .LBB39_1259
.LBB39_1239:
	s_or_b32 exec_lo, exec_lo, s7
	v_mov_b32_e32 v8, 0
	s_and_saveexec_b32 s7, s12
	s_cbranch_execz .LBB39_1241
.LBB39_1240:
	v_and_b32_e32 v1, 0xffff, v0
	s_delay_alu instid0(VALU_DEP_1) | instskip(SKIP_1) | instid1(VALU_DEP_2)
	v_dual_lshlrev_b32 v0, 24, v0 :: v_dual_bitop2_b32 v3, 3, v1 bitop3:0x40
	v_bfe_u32 v9, v1, 2, 5
	v_and_b32_e32 v0, 0x80000000, v0
	s_delay_alu instid0(VALU_DEP_3) | instskip(NEXT) | instid1(VALU_DEP_3)
	v_clz_i32_u32_e32 v5, v3
	v_cmp_eq_u32_e32 vcc_lo, 0, v9
	s_delay_alu instid0(VALU_DEP_2) | instskip(NEXT) | instid1(VALU_DEP_1)
	v_min_u32_e32 v5, 32, v5
	v_subrev_nc_u32_e32 v8, 29, v5
	v_sub_nc_u32_e32 v5, 30, v5
	s_delay_alu instid0(VALU_DEP_2) | instskip(NEXT) | instid1(VALU_DEP_2)
	v_lshlrev_b32_e32 v1, v8, v1
	v_cndmask_b32_e32 v5, v9, v5, vcc_lo
	s_delay_alu instid0(VALU_DEP_2) | instskip(NEXT) | instid1(VALU_DEP_1)
	v_and_b32_e32 v1, 3, v1
	v_cndmask_b32_e32 v1, v3, v1, vcc_lo
	s_delay_alu instid0(VALU_DEP_3) | instskip(NEXT) | instid1(VALU_DEP_2)
	v_lshl_add_u32 v3, v5, 23, 0x37800000
	v_lshlrev_b32_e32 v1, 21, v1
	s_delay_alu instid0(VALU_DEP_1) | instskip(NEXT) | instid1(VALU_DEP_1)
	v_or3_b32 v0, v0, v3, v1
	v_cvt_i32_f32_e32 v8, v0
.LBB39_1241:
	s_or_b32 exec_lo, exec_lo, s7
	s_mov_b32 s7, 0
	s_branch .LBB39_1247
.LBB39_1242:
	s_mov_b32 s7, -1
                                        ; implicit-def: $vgpr8
	s_branch .LBB39_1253
.LBB39_1243:
	s_and_not1_saveexec_b32 s12, s12
	s_cbranch_execz .LBB39_1228
.LBB39_1244:
	v_cmp_ne_u16_e32 vcc_lo, 0, v0
	s_and_not1_b32 s14, s14, exec_lo
	s_and_b32 s15, vcc_lo, exec_lo
	s_delay_alu instid0(SALU_CYCLE_1)
	s_or_b32 s14, s14, s15
	s_or_b32 exec_lo, exec_lo, s12
	v_mov_b32_e32 v8, 0
	s_and_saveexec_b32 s12, s14
	s_cbranch_execnz .LBB39_1229
	s_branch .LBB39_1230
.LBB39_1245:
	s_mov_b32 s7, -1
                                        ; implicit-def: $vgpr8
	s_branch .LBB39_1250
.LBB39_1246:
	s_mov_b32 s7, -1
                                        ; implicit-def: $vgpr8
.LBB39_1247:
	s_delay_alu instid0(SALU_CYCLE_1)
	s_and_b32 vcc_lo, exec_lo, s7
	s_cbranch_vccz .LBB39_1249
; %bb.1248:
	global_load_u8 v0, v[6:7], off
	s_wait_loadcnt 0x0
	v_lshlrev_b32_e32 v0, 24, v0
	s_delay_alu instid0(VALU_DEP_1) | instskip(NEXT) | instid1(VALU_DEP_1)
	v_and_b32_e32 v1, 0x7f000000, v0
	v_clz_i32_u32_e32 v3, v1
	v_cmp_ne_u32_e32 vcc_lo, 0, v1
	v_add_nc_u32_e32 v8, 0x1000000, v1
	s_delay_alu instid0(VALU_DEP_3) | instskip(NEXT) | instid1(VALU_DEP_1)
	v_min_u32_e32 v3, 32, v3
	v_sub_nc_u32_e64 v3, v3, 4 clamp
	s_delay_alu instid0(VALU_DEP_1) | instskip(NEXT) | instid1(VALU_DEP_1)
	v_dual_lshlrev_b32 v5, v3, v1 :: v_dual_lshlrev_b32 v3, 23, v3
	v_lshrrev_b32_e32 v5, 4, v5
	s_delay_alu instid0(VALU_DEP_1) | instskip(NEXT) | instid1(VALU_DEP_1)
	v_dual_sub_nc_u32 v3, v5, v3 :: v_dual_ashrrev_i32 v5, 8, v8
	v_add_nc_u32_e32 v3, 0x3c000000, v3
	s_delay_alu instid0(VALU_DEP_1) | instskip(NEXT) | instid1(VALU_DEP_1)
	v_and_or_b32 v3, 0x7f800000, v5, v3
	v_cndmask_b32_e32 v1, 0, v3, vcc_lo
	s_delay_alu instid0(VALU_DEP_1) | instskip(NEXT) | instid1(VALU_DEP_1)
	v_and_or_b32 v0, 0x80000000, v0, v1
	v_cvt_i32_f32_e32 v8, v0
.LBB39_1249:
	s_mov_b32 s7, 0
.LBB39_1250:
	s_delay_alu instid0(SALU_CYCLE_1)
	s_and_not1_b32 vcc_lo, exec_lo, s7
	s_cbranch_vccnz .LBB39_1252
; %bb.1251:
	global_load_u8 v0, v[6:7], off
	s_wait_loadcnt 0x0
	v_lshlrev_b32_e32 v1, 25, v0
	v_lshlrev_b16 v0, 8, v0
	s_delay_alu instid0(VALU_DEP_1) | instskip(SKIP_1) | instid1(VALU_DEP_2)
	v_and_or_b32 v5, 0x7f00, v0, 0.5
	v_bfe_i32 v0, v0, 0, 16
	v_add_f32_e32 v5, -0.5, v5
	v_lshrrev_b32_e32 v3, 4, v1
	v_cmp_gt_u32_e32 vcc_lo, 0x8000000, v1
	s_delay_alu instid0(VALU_DEP_2) | instskip(NEXT) | instid1(VALU_DEP_1)
	v_or_b32_e32 v3, 0x70000000, v3
	v_mul_f32_e32 v3, 0x7800000, v3
	s_delay_alu instid0(VALU_DEP_1) | instskip(NEXT) | instid1(VALU_DEP_1)
	v_cndmask_b32_e32 v1, v3, v5, vcc_lo
	v_and_or_b32 v0, 0x80000000, v0, v1
	s_delay_alu instid0(VALU_DEP_1)
	v_cvt_i32_f32_e32 v8, v0
.LBB39_1252:
	s_mov_b32 s7, 0
	s_mov_b32 s12, -1
.LBB39_1253:
	s_and_not1_b32 vcc_lo, exec_lo, s7
	s_mov_b32 s7, 0
	s_cbranch_vccnz .LBB39_1264
; %bb.1254:
	s_cmp_gt_i32 s6, 14
	s_cbranch_scc0 .LBB39_1257
; %bb.1255:
	s_cmp_eq_u32 s6, 15
	s_cbranch_scc0 .LBB39_1260
; %bb.1256:
	global_load_u16 v0, v[6:7], off
	s_mov_b32 s1, 0
	s_mov_b32 s12, -1
	s_wait_loadcnt 0x0
	v_lshlrev_b32_e32 v0, 16, v0
	s_delay_alu instid0(VALU_DEP_1)
	v_cvt_i32_f32_e32 v8, v0
	s_branch .LBB39_1262
.LBB39_1257:
	s_mov_b32 s7, -1
	s_branch .LBB39_1261
.LBB39_1258:
	s_and_not1_saveexec_b32 s7, s7
	s_cbranch_execz .LBB39_1239
.LBB39_1259:
	v_cmp_ne_u16_e32 vcc_lo, 0, v0
	s_and_not1_b32 s12, s12, exec_lo
	s_and_b32 s14, vcc_lo, exec_lo
	s_delay_alu instid0(SALU_CYCLE_1)
	s_or_b32 s12, s12, s14
	s_or_b32 exec_lo, exec_lo, s7
	v_mov_b32_e32 v8, 0
	s_and_saveexec_b32 s7, s12
	s_cbranch_execnz .LBB39_1240
	s_branch .LBB39_1241
.LBB39_1260:
	s_mov_b32 s1, -1
.LBB39_1261:
                                        ; implicit-def: $vgpr8
.LBB39_1262:
	s_and_b32 vcc_lo, exec_lo, s7
	s_mov_b32 s7, 0
	s_cbranch_vccz .LBB39_1264
; %bb.1263:
	s_cmp_lg_u32 s6, 11
	s_mov_b32 s7, -1
	s_cselect_b32 s6, -1, 0
	s_and_not1_b32 s1, s1, exec_lo
	s_and_b32 s6, s6, exec_lo
	s_delay_alu instid0(SALU_CYCLE_1)
	s_or_b32 s1, s1, s6
.LBB39_1264:
	s_mov_b32 s6, 0
.LBB39_1265:
	s_delay_alu instid0(SALU_CYCLE_1)
	s_and_b32 s51, s6, exec_lo
	s_and_not1_b32 s6, s48, exec_lo
	s_and_b32 s1, s1, exec_lo
	s_and_b32 s26, s12, exec_lo
	;; [unrolled: 1-line block ×3, first 2 shown]
	s_or_b32 s52, s6, s1
.LBB39_1266:
	s_wait_xcnt 0x0
	s_or_b32 exec_lo, exec_lo, s37
	s_delay_alu instid0(SALU_CYCLE_1)
	s_and_not1_b32 s1, s48, exec_lo
	s_and_b32 s6, s52, exec_lo
	s_and_b32 s26, s26, exec_lo
	;; [unrolled: 1-line block ×4, first 2 shown]
	s_or_b32 s48, s1, s6
.LBB39_1267:
	s_or_b32 exec_lo, exec_lo, s47
	s_delay_alu instid0(SALU_CYCLE_1)
	s_and_not1_b32 s1, s44, exec_lo
	s_and_b32 s6, s49, exec_lo
	s_and_not1_b32 s7, s45, exec_lo
	s_and_b32 s12, s50, exec_lo
	s_or_b32 s44, s1, s6
	s_and_not1_b32 s1, s43, exec_lo
	s_and_b32 s6, s48, exec_lo
	s_or_b32 s45, s7, s12
	s_and_b32 s26, s26, exec_lo
	s_and_b32 s47, s51, exec_lo
	;; [unrolled: 1-line block ×3, first 2 shown]
	s_or_b32 s43, s1, s6
.LBB39_1268:
	s_or_b32 exec_lo, exec_lo, s46
	s_delay_alu instid0(SALU_CYCLE_1)
	s_and_not1_b32 s1, s39, exec_lo
	s_and_b32 s6, s44, exec_lo
	s_and_not1_b32 s7, s40, exec_lo
	s_and_b32 s12, s45, exec_lo
	s_or_b32 s39, s1, s6
	s_and_not1_b32 s1, s41, exec_lo
	s_and_b32 s6, s43, exec_lo
	s_or_b32 s40, s7, s12
	s_and_b32 s26, s26, exec_lo
	s_and_b32 s44, s47, exec_lo
	;; [unrolled: 1-line block ×3, first 2 shown]
	s_or_b32 s41, s1, s6
	s_or_b32 exec_lo, exec_lo, s42
	s_mov_b32 s1, 0
	s_and_saveexec_b32 s6, s41
	s_cbranch_execz .LBB39_394
.LBB39_1269:
	s_mov_b32 s1, exec_lo
	s_and_not1_b32 s21, s21, exec_lo
	s_trap 2
	s_or_b32 exec_lo, exec_lo, s6
	s_and_saveexec_b32 s6, s21
	s_delay_alu instid0(SALU_CYCLE_1)
	s_xor_b32 s6, exec_lo, s6
	s_cbranch_execnz .LBB39_395
.LBB39_1270:
	s_or_b32 exec_lo, exec_lo, s6
	s_and_saveexec_b32 s6, s44
	s_cbranch_execz .LBB39_1316
.LBB39_1271:
	s_sext_i32_i16 s7, s0
	s_delay_alu instid0(SALU_CYCLE_1)
	s_cmp_lt_i32 s7, 5
	s_cbranch_scc1 .LBB39_1276
; %bb.1272:
	s_cmp_lt_i32 s7, 8
	s_cbranch_scc1 .LBB39_1277
; %bb.1273:
	;; [unrolled: 3-line block ×3, first 2 shown]
	s_cmp_gt_i32 s7, 9
	s_cbranch_scc0 .LBB39_1279
; %bb.1275:
	s_wait_loadcnt 0x0
	global_load_b64 v[0:1], v[6:7], off
	s_mov_b32 s7, 0
	s_wait_loadcnt 0x0
	v_cvt_i32_f64_e32 v8, v[0:1]
	s_branch .LBB39_1280
.LBB39_1276:
                                        ; implicit-def: $vgpr8
	s_branch .LBB39_1297
.LBB39_1277:
                                        ; implicit-def: $vgpr8
	s_branch .LBB39_1286
.LBB39_1278:
	s_mov_b32 s7, -1
                                        ; implicit-def: $vgpr8
	s_branch .LBB39_1283
.LBB39_1279:
	s_mov_b32 s7, -1
                                        ; implicit-def: $vgpr8
.LBB39_1280:
	s_delay_alu instid0(SALU_CYCLE_1)
	s_and_not1_b32 vcc_lo, exec_lo, s7
	s_cbranch_vccnz .LBB39_1282
; %bb.1281:
	s_wait_loadcnt 0x0
	global_load_b32 v0, v[6:7], off
	s_wait_loadcnt 0x0
	v_cvt_i32_f32_e32 v8, v0
.LBB39_1282:
	s_mov_b32 s7, 0
.LBB39_1283:
	s_delay_alu instid0(SALU_CYCLE_1)
	s_and_not1_b32 vcc_lo, exec_lo, s7
	s_cbranch_vccnz .LBB39_1285
; %bb.1284:
	s_wait_loadcnt 0x0
	global_load_b32 v0, v[6:7], off
	s_wait_loadcnt 0x0
	v_cvt_f32_f16_e32 v0, v0
	s_delay_alu instid0(VALU_DEP_1)
	v_cvt_i32_f32_e32 v8, v0
.LBB39_1285:
	s_cbranch_execnz .LBB39_1296
.LBB39_1286:
	s_sext_i32_i16 s7, s0
	s_delay_alu instid0(SALU_CYCLE_1)
	s_cmp_lt_i32 s7, 6
	s_cbranch_scc1 .LBB39_1289
; %bb.1287:
	s_cmp_gt_i32 s7, 6
	s_cbranch_scc0 .LBB39_1290
; %bb.1288:
	s_wait_loadcnt 0x0
	global_load_b64 v[0:1], v[6:7], off
	s_mov_b32 s7, 0
	s_wait_loadcnt 0x0
	v_cvt_i32_f64_e32 v8, v[0:1]
	s_branch .LBB39_1291
.LBB39_1289:
	s_mov_b32 s7, -1
                                        ; implicit-def: $vgpr8
	s_branch .LBB39_1294
.LBB39_1290:
	s_mov_b32 s7, -1
                                        ; implicit-def: $vgpr8
.LBB39_1291:
	s_delay_alu instid0(SALU_CYCLE_1)
	s_and_not1_b32 vcc_lo, exec_lo, s7
	s_cbranch_vccnz .LBB39_1293
; %bb.1292:
	s_wait_loadcnt 0x0
	global_load_b32 v0, v[6:7], off
	s_wait_loadcnt 0x0
	v_cvt_i32_f32_e32 v8, v0
.LBB39_1293:
	s_mov_b32 s7, 0
.LBB39_1294:
	s_delay_alu instid0(SALU_CYCLE_1)
	s_and_not1_b32 vcc_lo, exec_lo, s7
	s_cbranch_vccnz .LBB39_1296
; %bb.1295:
	s_wait_loadcnt 0x0
	global_load_u16 v0, v[6:7], off
	s_wait_loadcnt 0x0
	v_cvt_f32_f16_e32 v0, v0
	s_delay_alu instid0(VALU_DEP_1)
	v_cvt_i32_f32_e32 v8, v0
.LBB39_1296:
	s_cbranch_execnz .LBB39_1315
.LBB39_1297:
	s_sext_i32_i16 s7, s0
	s_delay_alu instid0(SALU_CYCLE_1)
	s_cmp_lt_i32 s7, 2
	s_cbranch_scc1 .LBB39_1301
; %bb.1298:
	s_cmp_lt_i32 s7, 3
	s_cbranch_scc1 .LBB39_1302
; %bb.1299:
	s_cmp_gt_i32 s7, 3
	s_cbranch_scc0 .LBB39_1303
; %bb.1300:
	s_wait_loadcnt 0x0
	global_load_b32 v8, v[6:7], off
	s_mov_b32 s7, 0
	s_branch .LBB39_1304
.LBB39_1301:
                                        ; implicit-def: $vgpr8
	s_branch .LBB39_1310
.LBB39_1302:
	s_mov_b32 s7, -1
                                        ; implicit-def: $vgpr8
	s_branch .LBB39_1307
.LBB39_1303:
	s_mov_b32 s7, -1
                                        ; implicit-def: $vgpr8
.LBB39_1304:
	s_delay_alu instid0(SALU_CYCLE_1)
	s_and_not1_b32 vcc_lo, exec_lo, s7
	s_cbranch_vccnz .LBB39_1306
; %bb.1305:
	s_wait_loadcnt 0x0
	global_load_b32 v8, v[6:7], off
.LBB39_1306:
	s_mov_b32 s7, 0
.LBB39_1307:
	s_delay_alu instid0(SALU_CYCLE_1)
	s_and_not1_b32 vcc_lo, exec_lo, s7
	s_cbranch_vccnz .LBB39_1309
; %bb.1308:
	s_wait_loadcnt 0x0
	global_load_i16 v8, v[6:7], off
.LBB39_1309:
	s_cbranch_execnz .LBB39_1315
.LBB39_1310:
	s_sext_i32_i16 s0, s0
	s_delay_alu instid0(SALU_CYCLE_1)
	s_cmp_gt_i32 s0, 0
	s_mov_b32 s0, 0
	s_cbranch_scc0 .LBB39_1312
; %bb.1311:
	s_wait_loadcnt 0x0
	global_load_i8 v8, v[6:7], off
	s_branch .LBB39_1313
.LBB39_1312:
	s_mov_b32 s0, -1
                                        ; implicit-def: $vgpr8
.LBB39_1313:
	s_delay_alu instid0(SALU_CYCLE_1)
	s_and_not1_b32 vcc_lo, exec_lo, s0
	s_cbranch_vccnz .LBB39_1315
; %bb.1314:
	s_wait_loadcnt 0x0
	global_load_u8 v8, v[6:7], off
.LBB39_1315:
	s_or_b32 s26, s26, exec_lo
.LBB39_1316:
	s_wait_xcnt 0x0
	s_or_b32 exec_lo, exec_lo, s6
	s_mov_b32 s7, 0
	s_mov_b32 s14, 0
	;; [unrolled: 1-line block ×3, first 2 shown]
                                        ; implicit-def: $sgpr0
                                        ; implicit-def: $vgpr0_vgpr1
                                        ; implicit-def: $vgpr5
	s_and_saveexec_b32 s6, s26
	s_cbranch_execz .LBB39_1324
; %bb.1317:
	v_mov_b32_e32 v5, 0
	s_and_b32 s0, s13, 0xff
	s_delay_alu instid0(SALU_CYCLE_1) | instskip(SKIP_1) | instid1(VALU_DEP_1)
	s_cmp_lt_i32 s0, 11
	s_wait_loadcnt 0x0
	v_add_nc_u64_e32 v[0:1], s[8:9], v[4:5]
	s_cbranch_scc1 .LBB39_1327
; %bb.1318:
	s_and_b32 s8, 0xffff, s0
	s_mov_b32 s9, 0
	s_cmp_gt_i32 s8, 25
	s_cbranch_scc0 .LBB39_1328
; %bb.1319:
	s_cmp_gt_i32 s8, 28
	s_cbranch_scc0 .LBB39_1329
; %bb.1320:
	;; [unrolled: 3-line block ×4, first 2 shown]
	s_cmp_eq_u32 s8, 46
	s_mov_b32 s13, 0
	s_cbranch_scc0 .LBB39_1332
; %bb.1323:
	global_load_b32 v3, v[0:1], off
	s_mov_b32 s12, -1
	s_wait_loadcnt 0x0
	v_lshlrev_b32_e32 v3, 16, v3
	s_delay_alu instid0(VALU_DEP_1)
	v_cvt_i32_f32_e32 v5, v3
	s_branch .LBB39_1334
.LBB39_1324:
	s_or_b32 exec_lo, exec_lo, s6
	s_and_saveexec_b32 s6, s40
	s_cbranch_execnz .LBB39_1393
.LBB39_1325:
	s_or_b32 exec_lo, exec_lo, s6
	s_and_saveexec_b32 s6, s7
	s_delay_alu instid0(SALU_CYCLE_1)
	s_xor_b32 s6, exec_lo, s6
	s_cbranch_execz .LBB39_1394
.LBB39_1326:
	s_wait_loadcnt 0x0
	global_load_u8 v3, v[0:1], off
	s_or_b32 s12, s12, exec_lo
	s_wait_loadcnt 0x0
	v_cmp_ne_u16_e32 vcc_lo, 0, v3
	v_cndmask_b32_e64 v5, 0, 1, vcc_lo
	s_wait_xcnt 0x0
	s_or_b32 exec_lo, exec_lo, s6
	s_and_saveexec_b32 s6, s14
	s_cbranch_execz .LBB39_1440
	s_branch .LBB39_1395
.LBB39_1327:
	s_mov_b32 s8, -1
	s_mov_b32 s9, 0
	s_mov_b32 s7, s40
                                        ; implicit-def: $vgpr5
	s_branch .LBB39_1392
.LBB39_1328:
	s_mov_b32 s7, s40
                                        ; implicit-def: $vgpr5
	s_cbranch_execnz .LBB39_1361
	s_branch .LBB39_1391
.LBB39_1329:
	s_mov_b32 s13, -1
	s_mov_b32 s7, s40
                                        ; implicit-def: $vgpr5
	s_branch .LBB39_1344
.LBB39_1330:
	s_mov_b32 s13, -1
	s_mov_b32 s7, s40
                                        ; implicit-def: $vgpr5
	s_branch .LBB39_1339
.LBB39_1331:
	s_mov_b32 s13, -1
	s_mov_b32 s7, s40
	s_branch .LBB39_1333
.LBB39_1332:
	s_mov_b32 s7, -1
.LBB39_1333:
                                        ; implicit-def: $vgpr5
.LBB39_1334:
	s_and_b32 vcc_lo, exec_lo, s13
	s_cbranch_vccz .LBB39_1338
; %bb.1335:
	s_cmp_eq_u32 s8, 44
	s_cbranch_scc0 .LBB39_1337
; %bb.1336:
	global_load_u8 v3, v[0:1], off
	s_mov_b32 s7, 0
	s_mov_b32 s12, -1
	s_wait_loadcnt 0x0
	v_lshlrev_b32_e32 v4, 23, v3
	v_cmp_ne_u32_e32 vcc_lo, 0, v3
	s_delay_alu instid0(VALU_DEP_2) | instskip(NEXT) | instid1(VALU_DEP_1)
	v_cvt_i32_f32_e32 v4, v4
	v_cndmask_b32_e32 v5, 0, v4, vcc_lo
	s_branch .LBB39_1338
.LBB39_1337:
	s_mov_b32 s7, -1
                                        ; implicit-def: $vgpr5
.LBB39_1338:
	s_mov_b32 s13, 0
.LBB39_1339:
	s_delay_alu instid0(SALU_CYCLE_1)
	s_and_b32 vcc_lo, exec_lo, s13
	s_cbranch_vccz .LBB39_1343
; %bb.1340:
	s_cmp_eq_u32 s8, 29
	s_cbranch_scc0 .LBB39_1342
; %bb.1341:
	global_load_b32 v5, v[0:1], off
	s_mov_b32 s7, 0
	s_mov_b32 s12, -1
	s_branch .LBB39_1343
.LBB39_1342:
	s_mov_b32 s7, -1
                                        ; implicit-def: $vgpr5
.LBB39_1343:
	s_mov_b32 s13, 0
.LBB39_1344:
	s_delay_alu instid0(SALU_CYCLE_1)
	s_and_b32 vcc_lo, exec_lo, s13
	s_cbranch_vccz .LBB39_1360
; %bb.1345:
	s_cmp_lt_i32 s8, 27
	s_cbranch_scc1 .LBB39_1348
; %bb.1346:
	s_cmp_gt_i32 s8, 27
	s_cbranch_scc0 .LBB39_1349
; %bb.1347:
	s_wait_loadcnt 0x0
	global_load_b32 v5, v[0:1], off
	s_mov_b32 s12, 0
	s_branch .LBB39_1350
.LBB39_1348:
	s_mov_b32 s12, -1
                                        ; implicit-def: $vgpr5
	s_branch .LBB39_1353
.LBB39_1349:
	s_mov_b32 s12, -1
                                        ; implicit-def: $vgpr5
.LBB39_1350:
	s_delay_alu instid0(SALU_CYCLE_1)
	s_and_not1_b32 vcc_lo, exec_lo, s12
	s_cbranch_vccnz .LBB39_1352
; %bb.1351:
	s_wait_loadcnt 0x0
	global_load_u16 v5, v[0:1], off
.LBB39_1352:
	s_mov_b32 s12, 0
.LBB39_1353:
	s_delay_alu instid0(SALU_CYCLE_1)
	s_and_not1_b32 vcc_lo, exec_lo, s12
	s_cbranch_vccnz .LBB39_1359
; %bb.1354:
	global_load_u8 v3, v[0:1], off
	s_mov_b32 s13, 0
	s_mov_b32 s12, exec_lo
	s_wait_loadcnt 0x0
	v_cmpx_lt_i16_e32 0x7f, v3
	s_xor_b32 s12, exec_lo, s12
	s_cbranch_execz .LBB39_1370
; %bb.1355:
	v_cmp_ne_u16_e32 vcc_lo, 0x80, v3
	s_and_b32 s13, vcc_lo, exec_lo
	s_and_not1_saveexec_b32 s12, s12
	s_cbranch_execnz .LBB39_1371
.LBB39_1356:
	s_or_b32 exec_lo, exec_lo, s12
	v_mov_b32_e32 v5, 0
	s_and_saveexec_b32 s12, s13
	s_cbranch_execz .LBB39_1358
.LBB39_1357:
	v_and_b32_e32 v4, 0xffff, v3
	s_delay_alu instid0(VALU_DEP_1) | instskip(SKIP_1) | instid1(VALU_DEP_2)
	v_and_b32_e32 v5, 7, v4
	v_bfe_u32 v9, v4, 3, 4
	v_clz_i32_u32_e32 v6, v5
	s_delay_alu instid0(VALU_DEP_2) | instskip(NEXT) | instid1(VALU_DEP_2)
	v_cmp_eq_u32_e32 vcc_lo, 0, v9
	v_min_u32_e32 v6, 32, v6
	s_delay_alu instid0(VALU_DEP_1) | instskip(NEXT) | instid1(VALU_DEP_1)
	v_subrev_nc_u32_e32 v7, 28, v6
	v_dual_lshlrev_b32 v4, v7, v4 :: v_dual_sub_nc_u32 v6, 29, v6
	s_delay_alu instid0(VALU_DEP_1) | instskip(NEXT) | instid1(VALU_DEP_2)
	v_dual_lshlrev_b32 v3, 24, v3 :: v_dual_bitop2_b32 v4, 7, v4 bitop3:0x40
	v_cndmask_b32_e32 v6, v9, v6, vcc_lo
	s_delay_alu instid0(VALU_DEP_2) | instskip(NEXT) | instid1(VALU_DEP_3)
	v_cndmask_b32_e32 v4, v5, v4, vcc_lo
	v_and_b32_e32 v3, 0x80000000, v3
	s_delay_alu instid0(VALU_DEP_3) | instskip(NEXT) | instid1(VALU_DEP_3)
	v_lshl_add_u32 v5, v6, 23, 0x3b800000
	v_lshlrev_b32_e32 v4, 20, v4
	s_delay_alu instid0(VALU_DEP_1) | instskip(NEXT) | instid1(VALU_DEP_1)
	v_or3_b32 v3, v3, v5, v4
	v_cvt_i32_f32_e32 v5, v3
.LBB39_1358:
	s_or_b32 exec_lo, exec_lo, s12
.LBB39_1359:
	s_mov_b32 s12, -1
.LBB39_1360:
	s_branch .LBB39_1391
.LBB39_1361:
	s_cmp_gt_i32 s8, 22
	s_cbranch_scc0 .LBB39_1369
; %bb.1362:
	s_cmp_lt_i32 s8, 24
	s_cbranch_scc1 .LBB39_1372
; %bb.1363:
	s_cmp_gt_i32 s8, 24
	s_cbranch_scc0 .LBB39_1373
; %bb.1364:
	global_load_u8 v3, v[0:1], off
	s_mov_b32 s12, 0
	s_mov_b32 s9, exec_lo
	s_wait_loadcnt 0x0
	v_cmpx_lt_i16_e32 0x7f, v3
	s_xor_b32 s9, exec_lo, s9
	s_cbranch_execz .LBB39_1385
; %bb.1365:
	v_cmp_ne_u16_e32 vcc_lo, 0x80, v3
	s_and_b32 s12, vcc_lo, exec_lo
	s_and_not1_saveexec_b32 s9, s9
	s_cbranch_execnz .LBB39_1386
.LBB39_1366:
	s_or_b32 exec_lo, exec_lo, s9
	v_mov_b32_e32 v5, 0
	s_and_saveexec_b32 s9, s12
	s_cbranch_execz .LBB39_1368
.LBB39_1367:
	v_and_b32_e32 v4, 0xffff, v3
	s_delay_alu instid0(VALU_DEP_1) | instskip(SKIP_1) | instid1(VALU_DEP_2)
	v_and_b32_e32 v5, 3, v4
	v_bfe_u32 v9, v4, 2, 5
	v_clz_i32_u32_e32 v6, v5
	s_delay_alu instid0(VALU_DEP_2) | instskip(NEXT) | instid1(VALU_DEP_2)
	v_cmp_eq_u32_e32 vcc_lo, 0, v9
	v_min_u32_e32 v6, 32, v6
	s_delay_alu instid0(VALU_DEP_1) | instskip(NEXT) | instid1(VALU_DEP_1)
	v_subrev_nc_u32_e32 v7, 29, v6
	v_dual_lshlrev_b32 v4, v7, v4 :: v_dual_sub_nc_u32 v6, 30, v6
	s_delay_alu instid0(VALU_DEP_1) | instskip(NEXT) | instid1(VALU_DEP_2)
	v_dual_lshlrev_b32 v3, 24, v3 :: v_dual_bitop2_b32 v4, 3, v4 bitop3:0x40
	v_cndmask_b32_e32 v6, v9, v6, vcc_lo
	s_delay_alu instid0(VALU_DEP_2) | instskip(NEXT) | instid1(VALU_DEP_3)
	v_cndmask_b32_e32 v4, v5, v4, vcc_lo
	v_and_b32_e32 v3, 0x80000000, v3
	s_delay_alu instid0(VALU_DEP_3) | instskip(NEXT) | instid1(VALU_DEP_3)
	v_lshl_add_u32 v5, v6, 23, 0x37800000
	v_lshlrev_b32_e32 v4, 21, v4
	s_delay_alu instid0(VALU_DEP_1) | instskip(NEXT) | instid1(VALU_DEP_1)
	v_or3_b32 v3, v3, v5, v4
	v_cvt_i32_f32_e32 v5, v3
.LBB39_1368:
	s_or_b32 exec_lo, exec_lo, s9
	s_mov_b32 s9, 0
	s_branch .LBB39_1374
.LBB39_1369:
	s_mov_b32 s9, -1
                                        ; implicit-def: $vgpr5
	s_branch .LBB39_1380
.LBB39_1370:
	s_and_not1_saveexec_b32 s12, s12
	s_cbranch_execz .LBB39_1356
.LBB39_1371:
	v_cmp_ne_u16_e32 vcc_lo, 0, v3
	s_and_not1_b32 s13, s13, exec_lo
	s_and_b32 s14, vcc_lo, exec_lo
	s_delay_alu instid0(SALU_CYCLE_1)
	s_or_b32 s13, s13, s14
	s_or_b32 exec_lo, exec_lo, s12
	v_mov_b32_e32 v5, 0
	s_and_saveexec_b32 s12, s13
	s_cbranch_execnz .LBB39_1357
	s_branch .LBB39_1358
.LBB39_1372:
	s_mov_b32 s9, -1
                                        ; implicit-def: $vgpr5
	s_branch .LBB39_1377
.LBB39_1373:
	s_mov_b32 s9, -1
                                        ; implicit-def: $vgpr5
.LBB39_1374:
	s_delay_alu instid0(SALU_CYCLE_1)
	s_and_b32 vcc_lo, exec_lo, s9
	s_cbranch_vccz .LBB39_1376
; %bb.1375:
	global_load_u8 v3, v[0:1], off
	s_wait_loadcnt 0x0
	v_lshlrev_b32_e32 v3, 24, v3
	s_delay_alu instid0(VALU_DEP_1) | instskip(NEXT) | instid1(VALU_DEP_1)
	v_and_b32_e32 v4, 0x7f000000, v3
	v_clz_i32_u32_e32 v5, v4
	v_cmp_ne_u32_e32 vcc_lo, 0, v4
	v_add_nc_u32_e32 v7, 0x1000000, v4
	s_delay_alu instid0(VALU_DEP_3) | instskip(NEXT) | instid1(VALU_DEP_1)
	v_min_u32_e32 v5, 32, v5
	v_sub_nc_u32_e64 v5, v5, 4 clamp
	s_delay_alu instid0(VALU_DEP_1) | instskip(NEXT) | instid1(VALU_DEP_1)
	v_dual_lshlrev_b32 v6, v5, v4 :: v_dual_lshlrev_b32 v5, 23, v5
	v_lshrrev_b32_e32 v6, 4, v6
	s_delay_alu instid0(VALU_DEP_1) | instskip(NEXT) | instid1(VALU_DEP_1)
	v_dual_sub_nc_u32 v5, v6, v5 :: v_dual_ashrrev_i32 v6, 8, v7
	v_add_nc_u32_e32 v5, 0x3c000000, v5
	s_delay_alu instid0(VALU_DEP_1) | instskip(NEXT) | instid1(VALU_DEP_1)
	v_and_or_b32 v5, 0x7f800000, v6, v5
	v_cndmask_b32_e32 v4, 0, v5, vcc_lo
	s_delay_alu instid0(VALU_DEP_1) | instskip(NEXT) | instid1(VALU_DEP_1)
	v_and_or_b32 v3, 0x80000000, v3, v4
	v_cvt_i32_f32_e32 v5, v3
.LBB39_1376:
	s_mov_b32 s9, 0
.LBB39_1377:
	s_delay_alu instid0(SALU_CYCLE_1)
	s_and_not1_b32 vcc_lo, exec_lo, s9
	s_cbranch_vccnz .LBB39_1379
; %bb.1378:
	global_load_u8 v3, v[0:1], off
	s_wait_loadcnt 0x0
	v_lshlrev_b32_e32 v4, 25, v3
	v_lshlrev_b16 v3, 8, v3
	s_delay_alu instid0(VALU_DEP_1) | instskip(SKIP_1) | instid1(VALU_DEP_2)
	v_and_or_b32 v6, 0x7f00, v3, 0.5
	v_bfe_i32 v3, v3, 0, 16
	v_dual_add_f32 v6, -0.5, v6 :: v_dual_lshrrev_b32 v5, 4, v4
	v_cmp_gt_u32_e32 vcc_lo, 0x8000000, v4
	s_delay_alu instid0(VALU_DEP_2) | instskip(NEXT) | instid1(VALU_DEP_1)
	v_or_b32_e32 v5, 0x70000000, v5
	v_mul_f32_e32 v5, 0x7800000, v5
	s_delay_alu instid0(VALU_DEP_1) | instskip(NEXT) | instid1(VALU_DEP_1)
	v_cndmask_b32_e32 v4, v5, v6, vcc_lo
	v_and_or_b32 v3, 0x80000000, v3, v4
	s_delay_alu instid0(VALU_DEP_1)
	v_cvt_i32_f32_e32 v5, v3
.LBB39_1379:
	s_mov_b32 s9, 0
	s_mov_b32 s12, -1
.LBB39_1380:
	s_and_not1_b32 vcc_lo, exec_lo, s9
	s_mov_b32 s9, 0
	s_cbranch_vccnz .LBB39_1391
; %bb.1381:
	s_cmp_gt_i32 s8, 14
	s_cbranch_scc0 .LBB39_1384
; %bb.1382:
	s_cmp_eq_u32 s8, 15
	s_cbranch_scc0 .LBB39_1387
; %bb.1383:
	global_load_u16 v3, v[0:1], off
	s_mov_b32 s7, 0
	s_mov_b32 s12, -1
	s_wait_loadcnt 0x0
	v_lshlrev_b32_e32 v3, 16, v3
	s_delay_alu instid0(VALU_DEP_1)
	v_cvt_i32_f32_e32 v5, v3
	s_branch .LBB39_1389
.LBB39_1384:
	s_mov_b32 s9, -1
	s_branch .LBB39_1388
.LBB39_1385:
	s_and_not1_saveexec_b32 s9, s9
	s_cbranch_execz .LBB39_1366
.LBB39_1386:
	v_cmp_ne_u16_e32 vcc_lo, 0, v3
	s_and_not1_b32 s12, s12, exec_lo
	s_and_b32 s13, vcc_lo, exec_lo
	s_delay_alu instid0(SALU_CYCLE_1)
	s_or_b32 s12, s12, s13
	s_or_b32 exec_lo, exec_lo, s9
	v_mov_b32_e32 v5, 0
	s_and_saveexec_b32 s9, s12
	s_cbranch_execnz .LBB39_1367
	s_branch .LBB39_1368
.LBB39_1387:
	s_mov_b32 s7, -1
.LBB39_1388:
                                        ; implicit-def: $vgpr5
.LBB39_1389:
	s_and_b32 vcc_lo, exec_lo, s9
	s_mov_b32 s9, 0
	s_cbranch_vccz .LBB39_1391
; %bb.1390:
	s_cmp_lg_u32 s8, 11
	s_mov_b32 s9, -1
	s_cselect_b32 s8, -1, 0
	s_and_not1_b32 s7, s7, exec_lo
	s_and_b32 s8, s8, exec_lo
	s_delay_alu instid0(SALU_CYCLE_1)
	s_or_b32 s7, s7, s8
.LBB39_1391:
	s_mov_b32 s8, 0
.LBB39_1392:
	s_delay_alu instid0(SALU_CYCLE_1)
	s_and_b32 s14, s8, exec_lo
	s_and_not1_b32 s8, s40, exec_lo
	s_and_b32 s13, s7, exec_lo
	s_and_b32 s12, s12, exec_lo
	;; [unrolled: 1-line block ×3, first 2 shown]
	s_or_b32 s40, s8, s13
	s_wait_xcnt 0x0
	s_or_b32 exec_lo, exec_lo, s6
	s_and_saveexec_b32 s6, s40
	s_cbranch_execz .LBB39_1325
.LBB39_1393:
	s_or_b32 s1, s1, exec_lo
	s_and_not1_b32 s7, s7, exec_lo
	s_trap 2
	s_or_b32 exec_lo, exec_lo, s6
	s_and_saveexec_b32 s6, s7
	s_delay_alu instid0(SALU_CYCLE_1)
	s_xor_b32 s6, exec_lo, s6
	s_cbranch_execnz .LBB39_1326
.LBB39_1394:
	s_or_b32 exec_lo, exec_lo, s6
	s_and_saveexec_b32 s6, s14
	s_cbranch_execz .LBB39_1440
.LBB39_1395:
	s_sext_i32_i16 s7, s0
	s_delay_alu instid0(SALU_CYCLE_1)
	s_cmp_lt_i32 s7, 5
	s_cbranch_scc1 .LBB39_1400
; %bb.1396:
	s_cmp_lt_i32 s7, 8
	s_cbranch_scc1 .LBB39_1401
; %bb.1397:
	;; [unrolled: 3-line block ×3, first 2 shown]
	s_cmp_gt_i32 s7, 9
	s_cbranch_scc0 .LBB39_1403
; %bb.1399:
	s_wait_loadcnt 0x0
	global_load_b64 v[4:5], v[0:1], off
	s_mov_b32 s7, 0
	s_wait_loadcnt 0x0
	v_cvt_i32_f64_e32 v5, v[4:5]
	s_branch .LBB39_1404
.LBB39_1400:
                                        ; implicit-def: $vgpr5
	s_branch .LBB39_1421
.LBB39_1401:
                                        ; implicit-def: $vgpr5
	s_branch .LBB39_1410
.LBB39_1402:
	s_mov_b32 s7, -1
                                        ; implicit-def: $vgpr5
	s_branch .LBB39_1407
.LBB39_1403:
	s_mov_b32 s7, -1
                                        ; implicit-def: $vgpr5
.LBB39_1404:
	s_delay_alu instid0(SALU_CYCLE_1)
	s_and_not1_b32 vcc_lo, exec_lo, s7
	s_cbranch_vccnz .LBB39_1406
; %bb.1405:
	s_wait_loadcnt 0x0
	global_load_b32 v3, v[0:1], off
	s_wait_loadcnt 0x0
	v_cvt_i32_f32_e32 v5, v3
.LBB39_1406:
	s_mov_b32 s7, 0
.LBB39_1407:
	s_delay_alu instid0(SALU_CYCLE_1)
	s_and_not1_b32 vcc_lo, exec_lo, s7
	s_cbranch_vccnz .LBB39_1409
; %bb.1408:
	s_wait_loadcnt 0x0
	global_load_b32 v3, v[0:1], off
	s_wait_loadcnt 0x0
	v_cvt_f32_f16_e32 v3, v3
	s_delay_alu instid0(VALU_DEP_1)
	v_cvt_i32_f32_e32 v5, v3
.LBB39_1409:
	s_cbranch_execnz .LBB39_1420
.LBB39_1410:
	s_sext_i32_i16 s7, s0
	s_delay_alu instid0(SALU_CYCLE_1)
	s_cmp_lt_i32 s7, 6
	s_cbranch_scc1 .LBB39_1413
; %bb.1411:
	s_cmp_gt_i32 s7, 6
	s_cbranch_scc0 .LBB39_1414
; %bb.1412:
	s_wait_loadcnt 0x0
	global_load_b64 v[4:5], v[0:1], off
	s_mov_b32 s7, 0
	s_wait_loadcnt 0x0
	v_cvt_i32_f64_e32 v5, v[4:5]
	s_branch .LBB39_1415
.LBB39_1413:
	s_mov_b32 s7, -1
                                        ; implicit-def: $vgpr5
	s_branch .LBB39_1418
.LBB39_1414:
	s_mov_b32 s7, -1
                                        ; implicit-def: $vgpr5
.LBB39_1415:
	s_delay_alu instid0(SALU_CYCLE_1)
	s_and_not1_b32 vcc_lo, exec_lo, s7
	s_cbranch_vccnz .LBB39_1417
; %bb.1416:
	s_wait_loadcnt 0x0
	global_load_b32 v3, v[0:1], off
	s_wait_loadcnt 0x0
	v_cvt_i32_f32_e32 v5, v3
.LBB39_1417:
	s_mov_b32 s7, 0
.LBB39_1418:
	s_delay_alu instid0(SALU_CYCLE_1)
	s_and_not1_b32 vcc_lo, exec_lo, s7
	s_cbranch_vccnz .LBB39_1420
; %bb.1419:
	s_wait_loadcnt 0x0
	global_load_u16 v3, v[0:1], off
	s_wait_loadcnt 0x0
	v_cvt_f32_f16_e32 v3, v3
	s_delay_alu instid0(VALU_DEP_1)
	v_cvt_i32_f32_e32 v5, v3
.LBB39_1420:
	s_cbranch_execnz .LBB39_1439
.LBB39_1421:
	s_sext_i32_i16 s7, s0
	s_delay_alu instid0(SALU_CYCLE_1)
	s_cmp_lt_i32 s7, 2
	s_cbranch_scc1 .LBB39_1425
; %bb.1422:
	s_cmp_lt_i32 s7, 3
	s_cbranch_scc1 .LBB39_1426
; %bb.1423:
	s_cmp_gt_i32 s7, 3
	s_cbranch_scc0 .LBB39_1427
; %bb.1424:
	s_wait_loadcnt 0x0
	global_load_b32 v5, v[0:1], off
	s_mov_b32 s7, 0
	s_branch .LBB39_1428
.LBB39_1425:
                                        ; implicit-def: $vgpr5
	s_branch .LBB39_1434
.LBB39_1426:
	s_mov_b32 s7, -1
                                        ; implicit-def: $vgpr5
	s_branch .LBB39_1431
.LBB39_1427:
	s_mov_b32 s7, -1
                                        ; implicit-def: $vgpr5
.LBB39_1428:
	s_delay_alu instid0(SALU_CYCLE_1)
	s_and_not1_b32 vcc_lo, exec_lo, s7
	s_cbranch_vccnz .LBB39_1430
; %bb.1429:
	s_wait_loadcnt 0x0
	global_load_b32 v5, v[0:1], off
.LBB39_1430:
	s_mov_b32 s7, 0
.LBB39_1431:
	s_delay_alu instid0(SALU_CYCLE_1)
	s_and_not1_b32 vcc_lo, exec_lo, s7
	s_cbranch_vccnz .LBB39_1433
; %bb.1432:
	s_wait_loadcnt 0x0
	global_load_i16 v5, v[0:1], off
.LBB39_1433:
	s_cbranch_execnz .LBB39_1439
.LBB39_1434:
	s_sext_i32_i16 s0, s0
	s_delay_alu instid0(SALU_CYCLE_1)
	s_cmp_gt_i32 s0, 0
	s_mov_b32 s0, 0
	s_cbranch_scc0 .LBB39_1436
; %bb.1435:
	s_wait_loadcnt 0x0
	global_load_i8 v5, v[0:1], off
	s_branch .LBB39_1437
.LBB39_1436:
	s_mov_b32 s0, -1
                                        ; implicit-def: $vgpr5
.LBB39_1437:
	s_delay_alu instid0(SALU_CYCLE_1)
	s_and_not1_b32 vcc_lo, exec_lo, s0
	s_cbranch_vccnz .LBB39_1439
; %bb.1438:
	s_wait_loadcnt 0x0
	global_load_u8 v5, v[0:1], off
.LBB39_1439:
	s_or_b32 s12, s12, exec_lo
.LBB39_1440:
	s_wait_xcnt 0x0
	s_or_b32 exec_lo, exec_lo, s6
	s_mov_b32 s0, 0
	s_mov_b32 s9, 0
                                        ; implicit-def: $sgpr6
                                        ; implicit-def: $sgpr7
                                        ; implicit-def: $vgpr0_vgpr1
	s_and_saveexec_b32 s8, s12
	s_cbranch_execz .LBB39_1448
; %bb.1441:
	v_mov_b32_e32 v3, 0
	s_wait_loadcnt 0x0
	s_delay_alu instid0(VALU_DEP_2) | instskip(SKIP_1) | instid1(VALU_DEP_2)
	v_cmp_ne_u32_e32 vcc_lo, v8, v5
	s_and_b32 s7, s11, 0xff
	v_add_nc_u64_e32 v[0:1], s[4:5], v[2:3]
	s_xor_b32 s6, s10, vcc_lo
	s_cmp_lt_i32 s7, 11
	s_cbranch_scc1 .LBB39_1451
; %bb.1442:
	s_and_b32 s4, 0xffff, s7
	s_mov_b32 s5, -1
	s_cmp_gt_i32 s4, 25
	s_mov_b32 s0, s39
	s_cbranch_scc0 .LBB39_1479
; %bb.1443:
	s_cmp_gt_i32 s4, 28
	s_mov_b32 s0, s39
	s_cbranch_scc0 .LBB39_1463
; %bb.1444:
	;; [unrolled: 4-line block ×4, first 2 shown]
	s_cmp_eq_u32 s4, 46
	s_mov_b32 s0, -1
	s_cbranch_scc0 .LBB39_1452
; %bb.1447:
	v_cndmask_b32_e64 v2, 0, 1.0, s6
	s_mov_b32 s0, 0
	s_mov_b32 s5, 0
	s_delay_alu instid0(VALU_DEP_1) | instskip(NEXT) | instid1(VALU_DEP_1)
	v_bfe_u32 v3, v2, 16, 1
	v_add3_u32 v2, v2, v3, 0x7fff
	s_delay_alu instid0(VALU_DEP_1)
	v_lshrrev_b32_e32 v2, 16, v2
	global_store_b32 v[0:1], v2, off
	s_branch .LBB39_1453
.LBB39_1448:
	s_or_b32 exec_lo, exec_lo, s8
	s_and_saveexec_b32 s4, s39
	s_cbranch_execnz .LBB39_1521
.LBB39_1449:
	s_or_b32 exec_lo, exec_lo, s4
	s_and_saveexec_b32 s4, s0
	s_delay_alu instid0(SALU_CYCLE_1)
	s_xor_b32 s0, exec_lo, s4
	s_cbranch_execz .LBB39_1522
.LBB39_1450:
	v_cndmask_b32_e64 v2, 0, 1, s6
	s_wait_loadcnt 0x0
	global_store_b8 v[0:1], v2, off
	s_wait_xcnt 0x0
	s_or_b32 exec_lo, exec_lo, s0
	s_and_saveexec_b32 s0, s9
	s_delay_alu instid0(SALU_CYCLE_1)
	s_xor_b32 s0, exec_lo, s0
	s_cbranch_execz .LBB39_1560
	s_branch .LBB39_1523
.LBB39_1451:
	s_mov_b32 s10, 0
	s_mov_b32 s5, -1
	s_mov_b32 s0, s39
	s_branch .LBB39_1520
.LBB39_1452:
	s_mov_b32 s5, 0
.LBB39_1453:
	s_delay_alu instid0(SALU_CYCLE_1)
	s_and_b32 vcc_lo, exec_lo, s5
	s_cbranch_vccz .LBB39_1458
; %bb.1454:
	s_cmp_eq_u32 s4, 44
	s_mov_b32 s0, -1
	s_cbranch_scc0 .LBB39_1458
; %bb.1455:
	v_cndmask_b32_e64 v4, 0, 1.0, s6
	s_mov_b32 s5, exec_lo
	s_wait_xcnt 0x0
	s_delay_alu instid0(VALU_DEP_1) | instskip(NEXT) | instid1(VALU_DEP_1)
	v_dual_mov_b32 v3, 0xff :: v_dual_lshrrev_b32 v2, 23, v4
	v_cmpx_ne_u32_e32 0xff, v2
; %bb.1456:
	v_and_b32_e32 v3, 0x400000, v4
	v_and_or_b32 v4, 0x3fffff, v4, v2
	s_delay_alu instid0(VALU_DEP_2) | instskip(NEXT) | instid1(VALU_DEP_2)
	v_cmp_ne_u32_e32 vcc_lo, 0, v3
	v_cmp_ne_u32_e64 s0, 0, v4
	s_and_b32 s0, vcc_lo, s0
	s_delay_alu instid0(SALU_CYCLE_1) | instskip(NEXT) | instid1(VALU_DEP_1)
	v_cndmask_b32_e64 v3, 0, 1, s0
	v_add_nc_u32_e32 v3, v2, v3
; %bb.1457:
	s_or_b32 exec_lo, exec_lo, s5
	s_mov_b32 s0, 0
	global_store_b8 v[0:1], v3, off
.LBB39_1458:
	s_mov_b32 s5, 0
.LBB39_1459:
	s_delay_alu instid0(SALU_CYCLE_1)
	s_and_b32 vcc_lo, exec_lo, s5
	s_cbranch_vccz .LBB39_1462
; %bb.1460:
	s_cmp_eq_u32 s4, 29
	s_mov_b32 s0, -1
	s_cbranch_scc0 .LBB39_1462
; %bb.1461:
	s_mov_b32 s0, 0
	s_wait_xcnt 0x0
	v_cndmask_b32_e64 v2, 0, 1, s6
	v_mov_b32_e32 v3, s0
	s_mov_b32 s5, 0
	global_store_b64 v[0:1], v[2:3], off
	s_branch .LBB39_1463
.LBB39_1462:
	s_mov_b32 s5, 0
.LBB39_1463:
	s_delay_alu instid0(SALU_CYCLE_1)
	s_and_b32 vcc_lo, exec_lo, s5
	s_cbranch_vccz .LBB39_1478
; %bb.1464:
	s_cmp_lt_i32 s4, 27
	s_mov_b32 s5, -1
	s_cbranch_scc1 .LBB39_1470
; %bb.1465:
	s_cmp_gt_i32 s4, 27
	s_cbranch_scc0 .LBB39_1467
; %bb.1466:
	s_wait_xcnt 0x0
	v_cndmask_b32_e64 v2, 0, 1, s6
	s_mov_b32 s5, 0
	global_store_b32 v[0:1], v2, off
.LBB39_1467:
	s_and_not1_b32 vcc_lo, exec_lo, s5
	s_cbranch_vccnz .LBB39_1469
; %bb.1468:
	s_wait_xcnt 0x0
	v_cndmask_b32_e64 v2, 0, 1, s6
	global_store_b16 v[0:1], v2, off
.LBB39_1469:
	s_mov_b32 s5, 0
.LBB39_1470:
	s_delay_alu instid0(SALU_CYCLE_1)
	s_and_not1_b32 vcc_lo, exec_lo, s5
	s_cbranch_vccnz .LBB39_1478
; %bb.1471:
	s_wait_xcnt 0x0
	v_cndmask_b32_e64 v3, 0, 1.0, s6
	v_mov_b32_e32 v4, 0x80
	s_mov_b32 s5, exec_lo
	s_delay_alu instid0(VALU_DEP_2)
	v_cmpx_gt_u32_e32 0x43800000, v3
	s_cbranch_execz .LBB39_1477
; %bb.1472:
	s_mov_b32 s10, exec_lo
                                        ; implicit-def: $vgpr2
	v_cmpx_lt_u32_e32 0x3bffffff, v3
	s_xor_b32 s10, exec_lo, s10
	s_cbranch_execz .LBB39_1619
; %bb.1473:
	v_bfe_u32 v2, v3, 20, 1
	s_mov_b32 s9, exec_lo
	s_delay_alu instid0(VALU_DEP_1) | instskip(NEXT) | instid1(VALU_DEP_1)
	v_add3_u32 v2, v3, v2, 0x487ffff
                                        ; implicit-def: $vgpr3
	v_lshrrev_b32_e32 v2, 20, v2
	s_and_not1_saveexec_b32 s10, s10
	s_cbranch_execnz .LBB39_1620
.LBB39_1474:
	s_or_b32 exec_lo, exec_lo, s10
	v_mov_b32_e32 v4, 0
	s_and_saveexec_b32 s10, s9
.LBB39_1475:
	v_mov_b32_e32 v4, v2
.LBB39_1476:
	s_or_b32 exec_lo, exec_lo, s10
.LBB39_1477:
	s_delay_alu instid0(SALU_CYCLE_1)
	s_or_b32 exec_lo, exec_lo, s5
	global_store_b8 v[0:1], v4, off
.LBB39_1478:
	s_mov_b32 s5, 0
.LBB39_1479:
	s_delay_alu instid0(SALU_CYCLE_1)
	s_and_b32 vcc_lo, exec_lo, s5
	s_mov_b32 s5, 0
	s_cbranch_vccz .LBB39_1519
; %bb.1480:
	s_cmp_gt_i32 s4, 22
	s_mov_b32 s9, -1
	s_cbranch_scc0 .LBB39_1512
; %bb.1481:
	s_cmp_lt_i32 s4, 24
	s_cbranch_scc1 .LBB39_1501
; %bb.1482:
	s_cmp_gt_i32 s4, 24
	s_cbranch_scc0 .LBB39_1490
; %bb.1483:
	s_wait_xcnt 0x0
	v_cndmask_b32_e64 v3, 0, 1.0, s6
	v_mov_b32_e32 v4, 0x80
	s_mov_b32 s9, exec_lo
	s_delay_alu instid0(VALU_DEP_2)
	v_cmpx_gt_u32_e32 0x47800000, v3
	s_cbranch_execz .LBB39_1489
; %bb.1484:
	s_mov_b32 s10, 0
	s_mov_b32 s11, exec_lo
                                        ; implicit-def: $vgpr2
	v_cmpx_lt_u32_e32 0x37ffffff, v3
	s_xor_b32 s11, exec_lo, s11
	s_cbranch_execz .LBB39_1740
; %bb.1485:
	v_bfe_u32 v2, v3, 21, 1
	s_mov_b32 s10, exec_lo
	s_delay_alu instid0(VALU_DEP_1) | instskip(NEXT) | instid1(VALU_DEP_1)
	v_add3_u32 v2, v3, v2, 0x88fffff
                                        ; implicit-def: $vgpr3
	v_lshrrev_b32_e32 v2, 21, v2
	s_and_not1_saveexec_b32 s11, s11
	s_cbranch_execnz .LBB39_1741
.LBB39_1486:
	s_or_b32 exec_lo, exec_lo, s11
	v_mov_b32_e32 v4, 0
	s_and_saveexec_b32 s11, s10
.LBB39_1487:
	v_mov_b32_e32 v4, v2
.LBB39_1488:
	s_or_b32 exec_lo, exec_lo, s11
.LBB39_1489:
	s_delay_alu instid0(SALU_CYCLE_1)
	s_or_b32 exec_lo, exec_lo, s9
	s_mov_b32 s9, 0
	global_store_b8 v[0:1], v4, off
.LBB39_1490:
	s_and_b32 vcc_lo, exec_lo, s9
	s_cbranch_vccz .LBB39_1500
; %bb.1491:
	s_wait_xcnt 0x0
	v_cndmask_b32_e64 v3, 0, 1.0, s6
	s_mov_b32 s9, exec_lo
                                        ; implicit-def: $vgpr2
	s_delay_alu instid0(VALU_DEP_1)
	v_cmpx_gt_u32_e32 0x43f00000, v3
	s_xor_b32 s9, exec_lo, s9
	s_cbranch_execz .LBB39_1497
; %bb.1492:
	s_mov_b32 s10, exec_lo
                                        ; implicit-def: $vgpr2
	v_cmpx_lt_u32_e32 0x3c7fffff, v3
	s_xor_b32 s10, exec_lo, s10
; %bb.1493:
	v_bfe_u32 v2, v3, 20, 1
	s_delay_alu instid0(VALU_DEP_1) | instskip(NEXT) | instid1(VALU_DEP_1)
	v_add3_u32 v2, v3, v2, 0x407ffff
	v_and_b32_e32 v3, 0xff00000, v2
	v_lshrrev_b32_e32 v2, 20, v2
	s_delay_alu instid0(VALU_DEP_2) | instskip(NEXT) | instid1(VALU_DEP_2)
	v_cmp_ne_u32_e32 vcc_lo, 0x7f00000, v3
                                        ; implicit-def: $vgpr3
	v_cndmask_b32_e32 v2, 0x7e, v2, vcc_lo
; %bb.1494:
	s_and_not1_saveexec_b32 s10, s10
; %bb.1495:
	v_add_f32_e32 v2, 0x46800000, v3
; %bb.1496:
	s_or_b32 exec_lo, exec_lo, s10
                                        ; implicit-def: $vgpr3
.LBB39_1497:
	s_and_not1_saveexec_b32 s9, s9
; %bb.1498:
	v_mov_b32_e32 v2, 0x7f
	v_cmp_lt_u32_e32 vcc_lo, 0x7f800000, v3
	s_delay_alu instid0(VALU_DEP_2)
	v_cndmask_b32_e32 v2, 0x7e, v2, vcc_lo
; %bb.1499:
	s_or_b32 exec_lo, exec_lo, s9
	global_store_b8 v[0:1], v2, off
.LBB39_1500:
	s_mov_b32 s9, 0
.LBB39_1501:
	s_delay_alu instid0(SALU_CYCLE_1)
	s_and_not1_b32 vcc_lo, exec_lo, s9
	s_cbranch_vccnz .LBB39_1511
; %bb.1502:
	s_wait_xcnt 0x0
	v_cndmask_b32_e64 v3, 0, 1.0, s6
	s_mov_b32 s9, exec_lo
                                        ; implicit-def: $vgpr2
	s_delay_alu instid0(VALU_DEP_1)
	v_cmpx_gt_u32_e32 0x47800000, v3
	s_xor_b32 s9, exec_lo, s9
	s_cbranch_execz .LBB39_1508
; %bb.1503:
	s_mov_b32 s10, exec_lo
                                        ; implicit-def: $vgpr2
	v_cmpx_lt_u32_e32 0x387fffff, v3
	s_xor_b32 s10, exec_lo, s10
; %bb.1504:
	v_bfe_u32 v2, v3, 21, 1
	s_delay_alu instid0(VALU_DEP_1) | instskip(NEXT) | instid1(VALU_DEP_1)
	v_add3_u32 v2, v3, v2, 0x80fffff
                                        ; implicit-def: $vgpr3
	v_lshrrev_b32_e32 v2, 21, v2
; %bb.1505:
	s_and_not1_saveexec_b32 s10, s10
; %bb.1506:
	v_add_f32_e32 v2, 0x43000000, v3
; %bb.1507:
	s_or_b32 exec_lo, exec_lo, s10
                                        ; implicit-def: $vgpr3
.LBB39_1508:
	s_and_not1_saveexec_b32 s9, s9
; %bb.1509:
	v_mov_b32_e32 v2, 0x7f
	v_cmp_lt_u32_e32 vcc_lo, 0x7f800000, v3
	s_delay_alu instid0(VALU_DEP_2)
	v_cndmask_b32_e32 v2, 0x7c, v2, vcc_lo
; %bb.1510:
	s_or_b32 exec_lo, exec_lo, s9
	global_store_b8 v[0:1], v2, off
.LBB39_1511:
	s_mov_b32 s9, 0
.LBB39_1512:
	s_delay_alu instid0(SALU_CYCLE_1)
	s_and_not1_b32 vcc_lo, exec_lo, s9
	s_mov_b32 s10, 0
	s_cbranch_vccnz .LBB39_1520
; %bb.1513:
	s_cmp_gt_i32 s4, 14
	s_mov_b32 s9, -1
	s_cbranch_scc0 .LBB39_1517
; %bb.1514:
	s_cmp_eq_u32 s4, 15
	s_mov_b32 s0, -1
	s_cbranch_scc0 .LBB39_1516
; %bb.1515:
	s_wait_xcnt 0x0
	v_cndmask_b32_e64 v2, 0, 1.0, s6
	s_mov_b32 s0, 0
	s_delay_alu instid0(VALU_DEP_1) | instskip(NEXT) | instid1(VALU_DEP_1)
	v_bfe_u32 v3, v2, 16, 1
	v_add3_u32 v2, v2, v3, 0x7fff
	global_store_d16_hi_b16 v[0:1], v2, off
.LBB39_1516:
	s_mov_b32 s9, 0
.LBB39_1517:
	s_delay_alu instid0(SALU_CYCLE_1)
	s_and_b32 vcc_lo, exec_lo, s9
	s_cbranch_vccz .LBB39_1520
; %bb.1518:
	s_cmp_lg_u32 s4, 11
	s_mov_b32 s10, -1
	s_cselect_b32 s4, -1, 0
	s_and_not1_b32 s0, s0, exec_lo
	s_and_b32 s4, s4, exec_lo
	s_delay_alu instid0(SALU_CYCLE_1)
	s_or_b32 s0, s0, s4
	s_branch .LBB39_1520
.LBB39_1519:
	s_mov_b32 s10, 0
.LBB39_1520:
	s_and_b32 s9, s5, exec_lo
	s_and_not1_b32 s4, s39, exec_lo
	s_and_b32 s5, s0, exec_lo
	s_and_b32 s0, s10, exec_lo
	s_or_b32 s39, s4, s5
	s_wait_xcnt 0x0
	s_or_b32 exec_lo, exec_lo, s8
	s_and_saveexec_b32 s4, s39
	s_cbranch_execz .LBB39_1449
.LBB39_1521:
	s_or_b32 s1, s1, exec_lo
	s_and_not1_b32 s0, s0, exec_lo
	s_trap 2
	s_or_b32 exec_lo, exec_lo, s4
	s_and_saveexec_b32 s4, s0
	s_delay_alu instid0(SALU_CYCLE_1)
	s_xor_b32 s0, exec_lo, s4
	s_cbranch_execnz .LBB39_1450
.LBB39_1522:
	s_or_b32 exec_lo, exec_lo, s0
	s_and_saveexec_b32 s0, s9
	s_delay_alu instid0(SALU_CYCLE_1)
	s_xor_b32 s0, exec_lo, s0
	s_cbranch_execz .LBB39_1560
.LBB39_1523:
	s_sext_i32_i16 s5, s7
	s_mov_b32 s4, -1
	s_cmp_lt_i32 s5, 5
	s_cbranch_scc1 .LBB39_1544
; %bb.1524:
	s_cmp_lt_i32 s5, 8
	s_cbranch_scc1 .LBB39_1534
; %bb.1525:
	;; [unrolled: 3-line block ×3, first 2 shown]
	s_cmp_gt_i32 s5, 9
	s_cbranch_scc0 .LBB39_1528
; %bb.1527:
	v_cndmask_b32_e64 v2, 0, 1, s6
	v_mov_b32_e32 v4, 0
	s_mov_b32 s4, 0
	s_delay_alu instid0(VALU_DEP_2) | instskip(SKIP_1) | instid1(VALU_DEP_2)
	v_cvt_f64_u32_e32 v[2:3], v2
	s_wait_loadcnt 0x0
	v_mov_b32_e32 v5, v4
	global_store_b128 v[0:1], v[2:5], off
.LBB39_1528:
	s_and_not1_b32 vcc_lo, exec_lo, s4
	s_cbranch_vccnz .LBB39_1530
; %bb.1529:
	s_wait_xcnt 0x0
	v_cndmask_b32_e64 v2, 0, 1.0, s6
	v_mov_b32_e32 v3, 0
	s_wait_loadcnt 0x0
	global_store_b64 v[0:1], v[2:3], off
.LBB39_1530:
	s_mov_b32 s4, 0
.LBB39_1531:
	s_delay_alu instid0(SALU_CYCLE_1)
	s_and_not1_b32 vcc_lo, exec_lo, s4
	s_cbranch_vccnz .LBB39_1533
; %bb.1532:
	s_wait_xcnt 0x0
	v_cndmask_b32_e64 v2, 0, 1.0, s6
	s_delay_alu instid0(VALU_DEP_1) | instskip(NEXT) | instid1(VALU_DEP_1)
	v_cvt_f16_f32_e32 v2, v2
	v_and_b32_e32 v2, 0xffff, v2
	s_wait_loadcnt 0x0
	global_store_b32 v[0:1], v2, off
.LBB39_1533:
	s_mov_b32 s4, 0
.LBB39_1534:
	s_delay_alu instid0(SALU_CYCLE_1)
	s_and_not1_b32 vcc_lo, exec_lo, s4
	s_cbranch_vccnz .LBB39_1543
; %bb.1535:
	s_sext_i32_i16 s5, s7
	s_mov_b32 s4, -1
	s_cmp_lt_i32 s5, 6
	s_cbranch_scc1 .LBB39_1541
; %bb.1536:
	s_cmp_gt_i32 s5, 6
	s_cbranch_scc0 .LBB39_1538
; %bb.1537:
	s_wait_xcnt 0x0
	v_cndmask_b32_e64 v2, 0, 1, s6
	s_mov_b32 s4, 0
	s_delay_alu instid0(VALU_DEP_1)
	v_cvt_f64_u32_e32 v[2:3], v2
	s_wait_loadcnt 0x0
	global_store_b64 v[0:1], v[2:3], off
.LBB39_1538:
	s_and_not1_b32 vcc_lo, exec_lo, s4
	s_cbranch_vccnz .LBB39_1540
; %bb.1539:
	s_wait_xcnt 0x0
	v_cndmask_b32_e64 v2, 0, 1.0, s6
	s_wait_loadcnt 0x0
	global_store_b32 v[0:1], v2, off
.LBB39_1540:
	s_mov_b32 s4, 0
.LBB39_1541:
	s_delay_alu instid0(SALU_CYCLE_1)
	s_and_not1_b32 vcc_lo, exec_lo, s4
	s_cbranch_vccnz .LBB39_1543
; %bb.1542:
	s_wait_xcnt 0x0
	v_cndmask_b32_e64 v2, 0, 1.0, s6
	s_delay_alu instid0(VALU_DEP_1)
	v_cvt_f16_f32_e32 v2, v2
	s_wait_loadcnt 0x0
	global_store_b16 v[0:1], v2, off
.LBB39_1543:
	s_mov_b32 s4, 0
.LBB39_1544:
	s_delay_alu instid0(SALU_CYCLE_1)
	s_and_not1_b32 vcc_lo, exec_lo, s4
	s_cbranch_vccnz .LBB39_1560
; %bb.1545:
	s_sext_i32_i16 s5, s7
	s_mov_b32 s4, -1
	s_cmp_lt_i32 s5, 2
	s_cbranch_scc1 .LBB39_1555
; %bb.1546:
	s_cmp_lt_i32 s5, 3
	s_cbranch_scc1 .LBB39_1552
; %bb.1547:
	s_cmp_gt_i32 s5, 3
	s_cbranch_scc0 .LBB39_1549
; %bb.1548:
	s_mov_b32 s4, 0
	s_wait_xcnt 0x0
	v_cndmask_b32_e64 v2, 0, 1, s6
	v_mov_b32_e32 v3, s4
	s_wait_loadcnt 0x0
	global_store_b64 v[0:1], v[2:3], off
.LBB39_1549:
	s_and_not1_b32 vcc_lo, exec_lo, s4
	s_cbranch_vccnz .LBB39_1551
; %bb.1550:
	s_wait_xcnt 0x0
	v_cndmask_b32_e64 v2, 0, 1, s6
	s_wait_loadcnt 0x0
	global_store_b32 v[0:1], v2, off
.LBB39_1551:
	s_mov_b32 s4, 0
.LBB39_1552:
	s_delay_alu instid0(SALU_CYCLE_1)
	s_and_not1_b32 vcc_lo, exec_lo, s4
	s_cbranch_vccnz .LBB39_1554
; %bb.1553:
	s_wait_xcnt 0x0
	v_cndmask_b32_e64 v2, 0, 1, s6
	s_wait_loadcnt 0x0
	global_store_b16 v[0:1], v2, off
.LBB39_1554:
	s_mov_b32 s4, 0
.LBB39_1555:
	s_delay_alu instid0(SALU_CYCLE_1)
	s_and_not1_b32 vcc_lo, exec_lo, s4
	s_cbranch_vccnz .LBB39_1560
; %bb.1556:
	s_wait_xcnt 0x0
	v_cndmask_b32_e64 v2, 0, 1, s6
	s_sext_i32_i16 s4, s7
	s_delay_alu instid0(SALU_CYCLE_1)
	s_cmp_gt_i32 s4, 0
	s_mov_b32 s4, -1
	s_cbranch_scc0 .LBB39_1558
; %bb.1557:
	s_mov_b32 s4, 0
	s_wait_loadcnt 0x0
	global_store_b8 v[0:1], v2, off
.LBB39_1558:
	s_and_not1_b32 vcc_lo, exec_lo, s4
	s_cbranch_vccnz .LBB39_1560
; %bb.1559:
	s_wait_loadcnt 0x0
	global_store_b8 v[0:1], v2, off
.LBB39_1560:
	s_wait_xcnt 0x0
	s_or_b32 exec_lo, exec_lo, s0
	s_delay_alu instid0(SALU_CYCLE_1)
	s_and_b32 s8, s1, exec_lo
                                        ; implicit-def: $vgpr1
                                        ; implicit-def: $vgpr0
.LBB39_1561:
	s_or_saveexec_b32 s9, s33
	s_mov_b32 s0, 0
                                        ; implicit-def: $sgpr4
                                        ; implicit-def: $vgpr2_vgpr3
                                        ; implicit-def: $sgpr1
	s_xor_b32 exec_lo, exec_lo, s9
	s_cbranch_execz .LBB39_3049
; %bb.1562:
	v_cndmask_b32_e64 v3, 0, 1, s31
	s_and_not1_b32 vcc_lo, exec_lo, s31
	s_cbranch_vccnz .LBB39_1568
; %bb.1563:
	s_cmp_lg_u32 s28, 0
	s_mov_b32 s4, 0
	s_cbranch_scc0 .LBB39_1572
; %bb.1564:
	s_min_u32 s5, s29, 15
	s_wait_loadcnt 0x0
	v_dual_mov_b32 v6, 0 :: v_dual_mov_b32 v2, v0
	v_dual_mov_b32 v22, 0 :: v_dual_mov_b32 v20, 0
	s_add_co_i32 s6, s5, 1
	s_mov_b64 s[0:1], 0xffffffffffffffe8
	s_and_b32 s6, s6, 30
	s_add_nc_u64 s[0:1], s[2:3], s[0:1]
.LBB39_1565:                            ; =>This Inner Loop Header: Depth=1
	s_clause 0x1
	s_load_b128 s[12:15], s[0:1], 0x1c
	s_load_b64 s[10:11], s[0:1], 0x2c
	s_add_co_i32 s6, s6, -2
	s_delay_alu instid0(SALU_CYCLE_1) | instskip(SKIP_2) | instid1(VALU_DEP_1)
	s_cmp_lg_u32 s6, 0
	s_wait_kmcnt 0x0
	v_mul_hi_u32 v4, s13, v2
	v_add_nc_u32_e32 v4, v2, v4
	s_delay_alu instid0(VALU_DEP_1) | instskip(NEXT) | instid1(VALU_DEP_1)
	v_lshrrev_b32_e32 v4, s14, v4
	v_mul_hi_u32 v5, s10, v4
	v_mul_lo_u32 v7, v4, s12
	s_clause 0x1
	s_load_b128 s[16:19], s[0:1], 0xdc
	s_load_b64 s[12:13], s[0:1], 0xec
	s_wait_xcnt 0x0
	s_add_nc_u64 s[0:1], s[0:1], 24
	s_delay_alu instid0(VALU_DEP_1) | instskip(NEXT) | instid1(VALU_DEP_1)
	v_dual_add_nc_u32 v5, v4, v5 :: v_dual_sub_nc_u32 v7, v2, v7
	v_lshrrev_b32_e32 v2, s11, v5
	s_wait_kmcnt 0x0
	s_delay_alu instid0(VALU_DEP_2) | instskip(NEXT) | instid1(VALU_DEP_2)
	v_mad_u32 v6, v7, s16, v6
	v_mul_lo_u32 v5, v2, s15
	v_mad_u32 v8, v7, s18, v20
	v_mad_u32 v7, v7, s17, v22
	s_delay_alu instid0(VALU_DEP_3) | instskip(NEXT) | instid1(VALU_DEP_1)
	v_sub_nc_u32_e32 v4, v4, v5
	v_mad_u32 v6, v4, s19, v6
	s_delay_alu instid0(VALU_DEP_4) | instskip(NEXT) | instid1(VALU_DEP_4)
	v_mad_u32 v20, v4, s13, v8
	v_mad_u32 v22, v4, s12, v7
	s_cbranch_scc1 .LBB39_1565
; %bb.1566:
	s_bitcmp1_b32 s5, 0
	s_cselect_b32 s5, -1, 0
	s_delay_alu instid0(SALU_CYCLE_1)
	s_and_b32 vcc_lo, exec_lo, s5
	s_cbranch_vccnz .LBB39_1569
; %bb.1567:
	s_clause 0x1
	s_load_b96 s[12:14], s[0:1], 0x1c
	s_load_b96 s[16:18], s[0:1], 0xdc
	s_wait_kmcnt 0x0
	v_mul_hi_u32 v4, s13, v2
	s_delay_alu instid0(VALU_DEP_1) | instskip(NEXT) | instid1(VALU_DEP_1)
	v_add_nc_u32_e32 v4, v2, v4
	v_lshrrev_b32_e32 v4, s14, v4
	s_delay_alu instid0(VALU_DEP_1) | instskip(NEXT) | instid1(VALU_DEP_1)
	v_mul_lo_u32 v4, v4, s12
	v_sub_nc_u32_e32 v2, v2, v4
	s_delay_alu instid0(VALU_DEP_1)
	v_mad_u32 v6, v2, s16, v6
	v_mad_u32 v22, v2, s17, v22
	;; [unrolled: 1-line block ×3, first 2 shown]
	s_and_not1_b32 vcc_lo, exec_lo, s4
	s_cbranch_vccz .LBB39_1570
	s_branch .LBB39_1573
.LBB39_1568:
	s_mov_b32 s4, -1
                                        ; implicit-def: $vgpr20
                                        ; implicit-def: $vgpr22
                                        ; implicit-def: $vgpr6
.LBB39_1569:
	s_delay_alu instid0(SALU_CYCLE_1)
	s_and_not1_b32 vcc_lo, exec_lo, s4
	s_cbranch_vccnz .LBB39_1573
.LBB39_1570:
	s_clause 0x1
	s_load_b96 s[4:6], s[2:3], 0x4
	s_load_b96 s[12:14], s[2:3], 0xc4
	s_cmp_lt_u32 s28, 2
	s_wait_kmcnt 0x0
	v_mul_hi_u32 v2, s5, v0
	s_delay_alu instid0(VALU_DEP_1) | instskip(NEXT) | instid1(VALU_DEP_1)
	v_add_nc_u32_e32 v2, v0, v2
	v_lshrrev_b32_e32 v2, s6, v2
	s_delay_alu instid0(VALU_DEP_1) | instskip(NEXT) | instid1(VALU_DEP_1)
	v_mul_lo_u32 v4, v2, s4
	v_sub_nc_u32_e32 v4, v0, v4
	s_wait_loadcnt 0x0
	s_delay_alu instid0(VALU_DEP_1)
	v_mul_lo_u32 v6, v4, s12
	v_mul_lo_u32 v20, v4, s14
	;; [unrolled: 1-line block ×3, first 2 shown]
	s_cbranch_scc1 .LBB39_1573
; %bb.1571:
	s_clause 0x1
	s_load_b96 s[4:6], s[2:3], 0x10
	s_load_b96 s[12:14], s[2:3], 0xd0
	s_wait_kmcnt 0x0
	v_mul_hi_u32 v4, s5, v2
	s_delay_alu instid0(VALU_DEP_1) | instskip(NEXT) | instid1(VALU_DEP_1)
	v_add_nc_u32_e32 v4, v2, v4
	v_lshrrev_b32_e32 v4, s6, v4
	s_delay_alu instid0(VALU_DEP_1) | instskip(NEXT) | instid1(VALU_DEP_1)
	v_mul_lo_u32 v4, v4, s4
	v_sub_nc_u32_e32 v2, v2, v4
	s_delay_alu instid0(VALU_DEP_1)
	v_mad_u32 v6, v2, s12, v6
	v_mad_u32 v22, v2, s13, v22
	;; [unrolled: 1-line block ×3, first 2 shown]
	s_branch .LBB39_1573
.LBB39_1572:
	v_dual_mov_b32 v20, 0 :: v_dual_mov_b32 v22, 0
	s_wait_loadcnt 0x0
	v_mov_b32_e32 v6, 0
	s_and_not1_b32 vcc_lo, exec_lo, s4
	s_cbranch_vccz .LBB39_1570
.LBB39_1573:
	v_cmp_ne_u32_e32 vcc_lo, 1, v3
	v_add_nc_u32_e32 v2, 0x80, v0
	s_cbranch_vccnz .LBB39_1579
; %bb.1574:
	s_cmp_lg_u32 s28, 0
	s_mov_b32 s4, 0
	s_cbranch_scc0 .LBB39_1583
; %bb.1575:
	s_min_u32 s5, s29, 15
	s_wait_loadcnt 0x0
	v_dual_mov_b32 v4, 0 :: v_dual_mov_b32 v5, v2
	v_dual_mov_b32 v18, 0 :: v_dual_mov_b32 v16, 0
	s_add_co_i32 s6, s5, 1
	s_mov_b64 s[0:1], 0xffffffffffffffe8
	s_and_b32 s6, s6, 30
	s_add_nc_u64 s[0:1], s[2:3], s[0:1]
.LBB39_1576:                            ; =>This Inner Loop Header: Depth=1
	s_clause 0x1
	s_load_b128 s[12:15], s[0:1], 0x1c
	s_load_b64 s[10:11], s[0:1], 0x2c
	s_add_co_i32 s6, s6, -2
	s_delay_alu instid0(SALU_CYCLE_1) | instskip(SKIP_2) | instid1(VALU_DEP_1)
	s_cmp_lg_u32 s6, 0
	s_wait_kmcnt 0x0
	v_mul_hi_u32 v7, s13, v5
	v_add_nc_u32_e32 v7, v5, v7
	s_delay_alu instid0(VALU_DEP_1) | instskip(NEXT) | instid1(VALU_DEP_1)
	v_lshrrev_b32_e32 v7, s14, v7
	v_mul_hi_u32 v8, s10, v7
	v_mul_lo_u32 v9, v7, s12
	s_clause 0x1
	s_load_b128 s[16:19], s[0:1], 0xdc
	s_load_b64 s[12:13], s[0:1], 0xec
	s_wait_xcnt 0x0
	s_add_nc_u64 s[0:1], s[0:1], 24
	s_delay_alu instid0(VALU_DEP_1) | instskip(NEXT) | instid1(VALU_DEP_1)
	v_dual_add_nc_u32 v8, v7, v8 :: v_dual_sub_nc_u32 v9, v5, v9
	v_lshrrev_b32_e32 v5, s11, v8
	s_wait_kmcnt 0x0
	s_delay_alu instid0(VALU_DEP_2) | instskip(NEXT) | instid1(VALU_DEP_2)
	v_mad_u32 v4, v9, s16, v4
	v_mul_lo_u32 v8, v5, s15
	v_mad_u32 v10, v9, s18, v16
	v_mad_u32 v9, v9, s17, v18
	s_delay_alu instid0(VALU_DEP_3) | instskip(NEXT) | instid1(VALU_DEP_1)
	v_sub_nc_u32_e32 v7, v7, v8
	v_mad_u32 v4, v7, s19, v4
	s_delay_alu instid0(VALU_DEP_4) | instskip(NEXT) | instid1(VALU_DEP_4)
	v_mad_u32 v16, v7, s13, v10
	v_mad_u32 v18, v7, s12, v9
	s_cbranch_scc1 .LBB39_1576
; %bb.1577:
	s_bitcmp1_b32 s5, 0
	s_cselect_b32 s5, -1, 0
	s_delay_alu instid0(SALU_CYCLE_1)
	s_and_b32 vcc_lo, exec_lo, s5
	s_cbranch_vccnz .LBB39_1580
; %bb.1578:
	s_clause 0x1
	s_load_b96 s[12:14], s[0:1], 0x1c
	s_load_b96 s[16:18], s[0:1], 0xdc
	s_wait_kmcnt 0x0
	v_mul_hi_u32 v7, s13, v5
	s_delay_alu instid0(VALU_DEP_1) | instskip(NEXT) | instid1(VALU_DEP_1)
	v_add_nc_u32_e32 v7, v5, v7
	v_lshrrev_b32_e32 v7, s14, v7
	s_delay_alu instid0(VALU_DEP_1) | instskip(NEXT) | instid1(VALU_DEP_1)
	v_mul_lo_u32 v7, v7, s12
	v_sub_nc_u32_e32 v5, v5, v7
	s_delay_alu instid0(VALU_DEP_1)
	v_mad_u32 v4, v5, s16, v4
	v_mad_u32 v18, v5, s17, v18
	;; [unrolled: 1-line block ×3, first 2 shown]
	s_and_not1_b32 vcc_lo, exec_lo, s4
	s_cbranch_vccz .LBB39_1581
	s_branch .LBB39_1584
.LBB39_1579:
	s_mov_b32 s4, -1
                                        ; implicit-def: $vgpr16
                                        ; implicit-def: $vgpr18
                                        ; implicit-def: $vgpr4
.LBB39_1580:
	s_delay_alu instid0(SALU_CYCLE_1)
	s_and_not1_b32 vcc_lo, exec_lo, s4
	s_cbranch_vccnz .LBB39_1584
.LBB39_1581:
	s_clause 0x1
	s_load_b96 s[4:6], s[2:3], 0x4
	s_load_b96 s[12:14], s[2:3], 0xc4
	s_cmp_lt_u32 s28, 2
	s_wait_kmcnt 0x0
	v_mul_hi_u32 v4, s5, v2
	s_delay_alu instid0(VALU_DEP_1) | instskip(SKIP_1) | instid1(VALU_DEP_1)
	v_add_nc_u32_e32 v4, v2, v4
	s_wait_loadcnt 0x0
	v_lshrrev_b32_e32 v5, s6, v4
	s_delay_alu instid0(VALU_DEP_1) | instskip(NEXT) | instid1(VALU_DEP_1)
	v_mul_lo_u32 v4, v5, s4
	v_sub_nc_u32_e32 v2, v2, v4
	s_delay_alu instid0(VALU_DEP_1)
	v_mul_lo_u32 v4, v2, s12
	v_mul_lo_u32 v16, v2, s14
	;; [unrolled: 1-line block ×3, first 2 shown]
	s_cbranch_scc1 .LBB39_1584
; %bb.1582:
	s_clause 0x1
	s_load_b96 s[4:6], s[2:3], 0x10
	s_load_b96 s[12:14], s[2:3], 0xd0
	s_wait_kmcnt 0x0
	v_mul_hi_u32 v2, s5, v5
	s_delay_alu instid0(VALU_DEP_1) | instskip(NEXT) | instid1(VALU_DEP_1)
	v_add_nc_u32_e32 v2, v5, v2
	v_lshrrev_b32_e32 v2, s6, v2
	s_delay_alu instid0(VALU_DEP_1) | instskip(NEXT) | instid1(VALU_DEP_1)
	v_mul_lo_u32 v2, v2, s4
	v_sub_nc_u32_e32 v2, v5, v2
	s_delay_alu instid0(VALU_DEP_1)
	v_mad_u32 v4, v2, s12, v4
	v_mad_u32 v18, v2, s13, v18
	v_mad_u32 v16, v2, s14, v16
	s_branch .LBB39_1584
.LBB39_1583:
	v_dual_mov_b32 v16, 0 :: v_dual_mov_b32 v18, 0
	v_mov_b32_e32 v4, 0
	s_and_not1_b32 vcc_lo, exec_lo, s4
	s_cbranch_vccz .LBB39_1581
.LBB39_1584:
	v_cmp_ne_u32_e32 vcc_lo, 1, v3
	v_add_nc_u32_e32 v0, 0x100, v0
	s_cbranch_vccnz .LBB39_1590
; %bb.1585:
	s_cmp_lg_u32 s28, 0
	s_mov_b32 s4, 0
	s_cbranch_scc0 .LBB39_1594
; %bb.1586:
	s_min_u32 s5, s29, 15
	s_wait_loadcnt 0x0
	v_dual_mov_b32 v2, 0 :: v_dual_mov_b32 v5, v0
	v_dual_mov_b32 v14, 0 :: v_dual_mov_b32 v12, 0
	s_add_co_i32 s6, s5, 1
	s_mov_b64 s[0:1], 0xffffffffffffffe8
	s_and_b32 s6, s6, 30
	s_add_nc_u64 s[0:1], s[2:3], s[0:1]
.LBB39_1587:                            ; =>This Inner Loop Header: Depth=1
	s_clause 0x1
	s_load_b128 s[12:15], s[0:1], 0x1c
	s_load_b64 s[10:11], s[0:1], 0x2c
	s_add_co_i32 s6, s6, -2
	s_delay_alu instid0(SALU_CYCLE_1) | instskip(SKIP_2) | instid1(VALU_DEP_1)
	s_cmp_lg_u32 s6, 0
	s_wait_kmcnt 0x0
	v_mul_hi_u32 v7, s13, v5
	v_add_nc_u32_e32 v7, v5, v7
	s_delay_alu instid0(VALU_DEP_1) | instskip(NEXT) | instid1(VALU_DEP_1)
	v_lshrrev_b32_e32 v7, s14, v7
	v_mul_hi_u32 v8, s10, v7
	v_mul_lo_u32 v9, v7, s12
	s_clause 0x1
	s_load_b128 s[16:19], s[0:1], 0xdc
	s_load_b64 s[12:13], s[0:1], 0xec
	s_wait_xcnt 0x0
	s_add_nc_u64 s[0:1], s[0:1], 24
	s_delay_alu instid0(VALU_DEP_1) | instskip(NEXT) | instid1(VALU_DEP_1)
	v_dual_add_nc_u32 v8, v7, v8 :: v_dual_sub_nc_u32 v9, v5, v9
	v_lshrrev_b32_e32 v5, s11, v8
	s_wait_kmcnt 0x0
	s_delay_alu instid0(VALU_DEP_2) | instskip(NEXT) | instid1(VALU_DEP_2)
	v_mad_u32 v2, v9, s16, v2
	v_mul_lo_u32 v8, v5, s15
	v_mad_u32 v10, v9, s18, v12
	v_mad_u32 v9, v9, s17, v14
	s_delay_alu instid0(VALU_DEP_3) | instskip(NEXT) | instid1(VALU_DEP_1)
	v_sub_nc_u32_e32 v7, v7, v8
	v_mad_u32 v2, v7, s19, v2
	s_delay_alu instid0(VALU_DEP_4) | instskip(NEXT) | instid1(VALU_DEP_4)
	v_mad_u32 v12, v7, s13, v10
	v_mad_u32 v14, v7, s12, v9
	s_cbranch_scc1 .LBB39_1587
; %bb.1588:
	s_bitcmp1_b32 s5, 0
	s_cselect_b32 s5, -1, 0
	s_delay_alu instid0(SALU_CYCLE_1)
	s_and_b32 vcc_lo, exec_lo, s5
	s_cbranch_vccnz .LBB39_1591
; %bb.1589:
	s_clause 0x1
	s_load_b96 s[12:14], s[0:1], 0x1c
	s_load_b96 s[16:18], s[0:1], 0xdc
	s_wait_kmcnt 0x0
	v_mul_hi_u32 v7, s13, v5
	s_delay_alu instid0(VALU_DEP_1) | instskip(NEXT) | instid1(VALU_DEP_1)
	v_add_nc_u32_e32 v7, v5, v7
	v_lshrrev_b32_e32 v7, s14, v7
	s_delay_alu instid0(VALU_DEP_1) | instskip(NEXT) | instid1(VALU_DEP_1)
	v_mul_lo_u32 v7, v7, s12
	v_sub_nc_u32_e32 v5, v5, v7
	s_delay_alu instid0(VALU_DEP_1)
	v_mad_u32 v2, v5, s16, v2
	v_mad_u32 v14, v5, s17, v14
	;; [unrolled: 1-line block ×3, first 2 shown]
	s_and_not1_b32 vcc_lo, exec_lo, s4
	s_cbranch_vccz .LBB39_1592
	s_branch .LBB39_1595
.LBB39_1590:
	s_mov_b32 s4, -1
                                        ; implicit-def: $vgpr12
                                        ; implicit-def: $vgpr14
                                        ; implicit-def: $vgpr2
.LBB39_1591:
	s_delay_alu instid0(SALU_CYCLE_1)
	s_and_not1_b32 vcc_lo, exec_lo, s4
	s_cbranch_vccnz .LBB39_1595
.LBB39_1592:
	s_clause 0x1
	s_load_b96 s[4:6], s[2:3], 0x4
	s_load_b96 s[12:14], s[2:3], 0xc4
	s_cmp_lt_u32 s28, 2
	s_wait_kmcnt 0x0
	v_mul_hi_u32 v2, s5, v0
	s_delay_alu instid0(VALU_DEP_1) | instskip(SKIP_1) | instid1(VALU_DEP_1)
	v_add_nc_u32_e32 v2, v0, v2
	s_wait_loadcnt 0x0
	v_lshrrev_b32_e32 v5, s6, v2
	s_delay_alu instid0(VALU_DEP_1) | instskip(NEXT) | instid1(VALU_DEP_1)
	v_mul_lo_u32 v2, v5, s4
	v_sub_nc_u32_e32 v0, v0, v2
	s_delay_alu instid0(VALU_DEP_1)
	v_mul_lo_u32 v2, v0, s12
	v_mul_lo_u32 v12, v0, s14
	;; [unrolled: 1-line block ×3, first 2 shown]
	s_cbranch_scc1 .LBB39_1595
; %bb.1593:
	s_clause 0x1
	s_load_b96 s[4:6], s[2:3], 0x10
	s_load_b96 s[12:14], s[2:3], 0xd0
	s_wait_kmcnt 0x0
	v_mul_hi_u32 v0, s5, v5
	s_delay_alu instid0(VALU_DEP_1) | instskip(NEXT) | instid1(VALU_DEP_1)
	v_add_nc_u32_e32 v0, v5, v0
	v_lshrrev_b32_e32 v0, s6, v0
	s_delay_alu instid0(VALU_DEP_1) | instskip(NEXT) | instid1(VALU_DEP_1)
	v_mul_lo_u32 v0, v0, s4
	v_sub_nc_u32_e32 v0, v5, v0
	s_delay_alu instid0(VALU_DEP_1)
	v_mad_u32 v2, v0, s12, v2
	v_mad_u32 v14, v0, s13, v14
	;; [unrolled: 1-line block ×3, first 2 shown]
	s_branch .LBB39_1595
.LBB39_1594:
	v_dual_mov_b32 v12, 0 :: v_dual_mov_b32 v14, 0
	v_mov_b32_e32 v2, 0
	s_and_not1_b32 vcc_lo, exec_lo, s4
	s_cbranch_vccz .LBB39_1592
.LBB39_1595:
	v_cmp_ne_u32_e32 vcc_lo, 1, v3
	s_cbranch_vccnz .LBB39_1601
; %bb.1596:
	s_cmp_lg_u32 s28, 0
	s_mov_b32 s4, 0
	s_cbranch_scc0 .LBB39_1605
; %bb.1597:
	s_min_u32 s5, s29, 15
	s_wait_loadcnt 0x0
	v_dual_mov_b32 v0, 0 :: v_dual_mov_b32 v3, v1
	v_dual_mov_b32 v10, 0 :: v_dual_mov_b32 v8, 0
	s_add_co_i32 s6, s5, 1
	s_mov_b64 s[0:1], 0xffffffffffffffe8
	s_and_b32 s6, s6, 30
	s_add_nc_u64 s[0:1], s[2:3], s[0:1]
.LBB39_1598:                            ; =>This Inner Loop Header: Depth=1
	s_clause 0x1
	s_load_b128 s[12:15], s[0:1], 0x1c
	s_load_b64 s[10:11], s[0:1], 0x2c
	s_add_co_i32 s6, s6, -2
	s_delay_alu instid0(SALU_CYCLE_1) | instskip(SKIP_2) | instid1(VALU_DEP_1)
	s_cmp_lg_u32 s6, 0
	s_wait_kmcnt 0x0
	v_mul_hi_u32 v5, s13, v3
	v_add_nc_u32_e32 v5, v3, v5
	s_delay_alu instid0(VALU_DEP_1) | instskip(NEXT) | instid1(VALU_DEP_1)
	v_lshrrev_b32_e32 v5, s14, v5
	v_mul_hi_u32 v7, s10, v5
	v_mul_lo_u32 v9, v5, s12
	s_clause 0x1
	s_load_b128 s[16:19], s[0:1], 0xdc
	s_load_b64 s[12:13], s[0:1], 0xec
	s_wait_xcnt 0x0
	s_add_nc_u64 s[0:1], s[0:1], 24
	s_delay_alu instid0(VALU_DEP_1) | instskip(NEXT) | instid1(VALU_DEP_1)
	v_dual_add_nc_u32 v7, v5, v7 :: v_dual_sub_nc_u32 v9, v3, v9
	v_lshrrev_b32_e32 v3, s11, v7
	s_wait_kmcnt 0x0
	s_delay_alu instid0(VALU_DEP_2) | instskip(NEXT) | instid1(VALU_DEP_2)
	v_mad_u32 v0, v9, s16, v0
	v_mul_lo_u32 v7, v3, s15
	v_mad_u32 v8, v9, s18, v8
	v_mad_u32 v9, v9, s17, v10
	s_delay_alu instid0(VALU_DEP_3) | instskip(NEXT) | instid1(VALU_DEP_1)
	v_sub_nc_u32_e32 v5, v5, v7
	v_mad_u32 v0, v5, s19, v0
	s_delay_alu instid0(VALU_DEP_4) | instskip(NEXT) | instid1(VALU_DEP_4)
	v_mad_u32 v8, v5, s13, v8
	v_mad_u32 v10, v5, s12, v9
	s_cbranch_scc1 .LBB39_1598
; %bb.1599:
	s_bitcmp1_b32 s5, 0
	s_cselect_b32 s5, -1, 0
	s_delay_alu instid0(SALU_CYCLE_1)
	s_and_b32 vcc_lo, exec_lo, s5
	s_cbranch_vccnz .LBB39_1602
; %bb.1600:
	s_clause 0x1
	s_load_b96 s[12:14], s[0:1], 0x1c
	s_load_b96 s[16:18], s[0:1], 0xdc
	s_wait_kmcnt 0x0
	v_mul_hi_u32 v5, s13, v3
	s_delay_alu instid0(VALU_DEP_1) | instskip(NEXT) | instid1(VALU_DEP_1)
	v_add_nc_u32_e32 v5, v3, v5
	v_lshrrev_b32_e32 v5, s14, v5
	s_delay_alu instid0(VALU_DEP_1) | instskip(NEXT) | instid1(VALU_DEP_1)
	v_mul_lo_u32 v5, v5, s12
	v_sub_nc_u32_e32 v3, v3, v5
	s_delay_alu instid0(VALU_DEP_1)
	v_mad_u32 v0, v3, s16, v0
	v_mad_u32 v10, v3, s17, v10
	v_mad_u32 v8, v3, s18, v8
	s_and_not1_b32 vcc_lo, exec_lo, s4
	s_cbranch_vccz .LBB39_1603
	s_branch .LBB39_1606
.LBB39_1601:
	s_mov_b32 s4, -1
                                        ; implicit-def: $vgpr8
                                        ; implicit-def: $vgpr10
                                        ; implicit-def: $vgpr0
.LBB39_1602:
	s_delay_alu instid0(SALU_CYCLE_1)
	s_and_not1_b32 vcc_lo, exec_lo, s4
	s_cbranch_vccnz .LBB39_1606
.LBB39_1603:
	s_clause 0x1
	s_load_b96 s[4:6], s[2:3], 0x4
	s_load_b96 s[12:14], s[2:3], 0xc4
	s_cmp_lt_u32 s28, 2
	s_wait_loadcnt 0x0
	s_wait_kmcnt 0x0
	v_mul_hi_u32 v0, s5, v1
	s_delay_alu instid0(VALU_DEP_1) | instskip(NEXT) | instid1(VALU_DEP_1)
	v_add_nc_u32_e32 v0, v1, v0
	v_lshrrev_b32_e32 v3, s6, v0
	s_delay_alu instid0(VALU_DEP_1) | instskip(NEXT) | instid1(VALU_DEP_1)
	v_mul_lo_u32 v0, v3, s4
	v_sub_nc_u32_e32 v1, v1, v0
	s_delay_alu instid0(VALU_DEP_1)
	v_mul_lo_u32 v0, v1, s12
	v_mul_lo_u32 v8, v1, s14
	;; [unrolled: 1-line block ×3, first 2 shown]
	s_cbranch_scc1 .LBB39_1606
; %bb.1604:
	s_clause 0x1
	s_load_b96 s[4:6], s[2:3], 0x10
	s_load_b96 s[12:14], s[2:3], 0xd0
	s_wait_kmcnt 0x0
	v_mul_hi_u32 v1, s5, v3
	s_delay_alu instid0(VALU_DEP_1) | instskip(NEXT) | instid1(VALU_DEP_1)
	v_add_nc_u32_e32 v1, v3, v1
	v_lshrrev_b32_e32 v1, s6, v1
	s_delay_alu instid0(VALU_DEP_1) | instskip(NEXT) | instid1(VALU_DEP_1)
	v_mul_lo_u32 v1, v1, s4
	v_sub_nc_u32_e32 v1, v3, v1
	s_delay_alu instid0(VALU_DEP_1)
	v_mad_u32 v0, v1, s12, v0
	v_mad_u32 v10, v1, s13, v10
	;; [unrolled: 1-line block ×3, first 2 shown]
	s_branch .LBB39_1606
.LBB39_1605:
	s_wait_loadcnt 0x0
	v_dual_mov_b32 v8, 0 :: v_dual_mov_b32 v10, 0
	v_mov_b32_e32 v0, 0
	s_and_not1_b32 vcc_lo, exec_lo, s4
	s_cbranch_vccz .LBB39_1603
.LBB39_1606:
	v_mov_b32_e32 v23, 0
	s_load_b128 s[4:7], s[2:3], 0x188
	s_wait_loadcnt 0x0
	global_load_u8 v1, v23, s[2:3] offset:421
	s_wait_kmcnt 0x0
	v_add_nc_u64_e32 v[22:23], s[6:7], v[22:23]
	s_wait_loadcnt 0x0
	v_and_b32_e32 v3, 0xffff, v1
	v_readfirstlane_b32 s11, v1
	s_delay_alu instid0(VALU_DEP_2)
	v_cmp_gt_i32_e32 vcc_lo, 11, v3
	s_cbranch_vccnz .LBB39_1613
; %bb.1607:
	s_and_b32 s0, 0xffff, s11
	s_mov_b32 s12, 0
	s_cmp_gt_i32 s0, 25
	s_cbranch_scc0 .LBB39_1615
; %bb.1608:
	s_cmp_gt_i32 s0, 28
	s_cbranch_scc0 .LBB39_1616
; %bb.1609:
	s_cmp_gt_i32 s0, 43
	s_cbranch_scc0 .LBB39_1617
; %bb.1610:
	s_cmp_gt_i32 s0, 45
	s_cbranch_scc0 .LBB39_1618
; %bb.1611:
	s_cmp_eq_u32 s0, 46
	s_mov_b32 s10, 0
	s_cbranch_scc0 .LBB39_1621
; %bb.1612:
	global_load_b32 v1, v[22:23], off
	s_mov_b32 s1, 0
	s_mov_b32 s13, -1
	s_wait_loadcnt 0x0
	v_lshlrev_b32_e32 v1, 16, v1
	s_delay_alu instid0(VALU_DEP_1)
	v_cvt_i32_f32_e32 v1, v1
	s_branch .LBB39_1623
.LBB39_1613:
	s_mov_b32 s13, 0
	s_mov_b32 s10, s8
                                        ; implicit-def: $vgpr1
	s_cbranch_execnz .LBB39_1681
.LBB39_1614:
	s_and_not1_b32 vcc_lo, exec_lo, s13
	s_cbranch_vccz .LBB39_1726
	s_branch .LBB39_3047
.LBB39_1615:
	s_mov_b32 s13, 0
	s_mov_b32 s1, 0
                                        ; implicit-def: $vgpr1
	s_cbranch_execnz .LBB39_1648
	s_branch .LBB39_1677
.LBB39_1616:
	s_mov_b32 s13, 0
	s_mov_b32 s1, 0
                                        ; implicit-def: $vgpr1
	s_cbranch_execz .LBB39_1647
	s_branch .LBB39_1632
.LBB39_1617:
	s_mov_b32 s13, 0
	s_mov_b32 s1, 0
                                        ; implicit-def: $vgpr1
	s_cbranch_execnz .LBB39_1628
	s_branch .LBB39_1631
.LBB39_1618:
	s_mov_b32 s10, -1
	s_mov_b32 s13, 0
	s_mov_b32 s1, 0
	s_branch .LBB39_1622
.LBB39_1619:
	s_and_not1_saveexec_b32 s10, s10
	s_cbranch_execz .LBB39_1474
.LBB39_1620:
	v_add_f32_e32 v2, 0x46000000, v3
	s_and_not1_b32 s9, s9, exec_lo
	s_delay_alu instid0(VALU_DEP_1) | instskip(NEXT) | instid1(VALU_DEP_1)
	v_and_b32_e32 v2, 0xff, v2
	v_cmp_ne_u32_e32 vcc_lo, 0, v2
	s_and_b32 s11, vcc_lo, exec_lo
	s_delay_alu instid0(SALU_CYCLE_1)
	s_or_b32 s9, s9, s11
	s_or_b32 exec_lo, exec_lo, s10
	v_mov_b32_e32 v4, 0
	s_and_saveexec_b32 s10, s9
	s_cbranch_execnz .LBB39_1475
	s_branch .LBB39_1476
.LBB39_1621:
	s_mov_b32 s1, -1
	s_mov_b32 s13, 0
.LBB39_1622:
                                        ; implicit-def: $vgpr1
.LBB39_1623:
	s_and_b32 vcc_lo, exec_lo, s10
	s_cbranch_vccz .LBB39_1626
; %bb.1624:
	s_cmp_eq_u32 s0, 44
	s_cbranch_scc0 .LBB39_1627
; %bb.1625:
	global_load_u8 v1, v[22:23], off
	s_mov_b32 s1, 0
	s_mov_b32 s13, -1
	s_wait_loadcnt 0x0
	v_lshlrev_b32_e32 v3, 23, v1
	v_cmp_ne_u32_e32 vcc_lo, 0, v1
	s_delay_alu instid0(VALU_DEP_2) | instskip(NEXT) | instid1(VALU_DEP_1)
	v_cvt_i32_f32_e32 v3, v3
	v_cndmask_b32_e32 v1, 0, v3, vcc_lo
.LBB39_1626:
	s_branch .LBB39_1631
.LBB39_1627:
	s_mov_b32 s1, -1
                                        ; implicit-def: $vgpr1
	s_branch .LBB39_1631
.LBB39_1628:
	s_cmp_eq_u32 s0, 29
	s_cbranch_scc0 .LBB39_1630
; %bb.1629:
	global_load_b32 v1, v[22:23], off
	s_mov_b32 s1, 0
	s_mov_b32 s13, -1
	s_branch .LBB39_1631
.LBB39_1630:
	s_mov_b32 s1, -1
                                        ; implicit-def: $vgpr1
.LBB39_1631:
	s_branch .LBB39_1647
.LBB39_1632:
	s_cmp_lt_i32 s0, 27
	s_cbranch_scc1 .LBB39_1635
; %bb.1633:
	s_cmp_gt_i32 s0, 27
	s_cbranch_scc0 .LBB39_1636
; %bb.1634:
	s_wait_loadcnt 0x0
	global_load_b32 v1, v[22:23], off
	s_mov_b32 s10, 0
	s_branch .LBB39_1637
.LBB39_1635:
	s_mov_b32 s10, -1
                                        ; implicit-def: $vgpr1
	s_branch .LBB39_1640
.LBB39_1636:
	s_mov_b32 s10, -1
                                        ; implicit-def: $vgpr1
.LBB39_1637:
	s_delay_alu instid0(SALU_CYCLE_1)
	s_and_not1_b32 vcc_lo, exec_lo, s10
	s_cbranch_vccnz .LBB39_1639
; %bb.1638:
	s_wait_loadcnt 0x0
	global_load_u16 v1, v[22:23], off
.LBB39_1639:
	s_mov_b32 s10, 0
.LBB39_1640:
	s_delay_alu instid0(SALU_CYCLE_1)
	s_and_not1_b32 vcc_lo, exec_lo, s10
	s_cbranch_vccnz .LBB39_1646
; %bb.1641:
	global_load_u8 v3, v[22:23], off
	s_mov_b32 s13, 0
	s_mov_b32 s10, exec_lo
	s_wait_loadcnt 0x0
	v_cmpx_lt_i16_e32 0x7f, v3
	s_xor_b32 s10, exec_lo, s10
	s_cbranch_execz .LBB39_1657
; %bb.1642:
	v_cmp_ne_u16_e32 vcc_lo, 0x80, v3
	s_and_b32 s13, vcc_lo, exec_lo
	s_and_not1_saveexec_b32 s10, s10
	s_cbranch_execnz .LBB39_1658
.LBB39_1643:
	s_or_b32 exec_lo, exec_lo, s10
	v_mov_b32_e32 v1, 0
	s_and_saveexec_b32 s10, s13
	s_cbranch_execz .LBB39_1645
.LBB39_1644:
	v_and_b32_e32 v1, 0xffff, v3
	s_delay_alu instid0(VALU_DEP_1) | instskip(SKIP_1) | instid1(VALU_DEP_2)
	v_and_b32_e32 v5, 7, v1
	v_bfe_u32 v11, v1, 3, 4
	v_clz_i32_u32_e32 v7, v5
	s_delay_alu instid0(VALU_DEP_2) | instskip(NEXT) | instid1(VALU_DEP_2)
	v_cmp_eq_u32_e32 vcc_lo, 0, v11
	v_min_u32_e32 v7, 32, v7
	s_delay_alu instid0(VALU_DEP_1) | instskip(NEXT) | instid1(VALU_DEP_1)
	v_subrev_nc_u32_e32 v9, 28, v7
	v_dual_lshlrev_b32 v1, v9, v1 :: v_dual_sub_nc_u32 v7, 29, v7
	s_delay_alu instid0(VALU_DEP_1) | instskip(NEXT) | instid1(VALU_DEP_1)
	v_dual_lshlrev_b32 v3, 24, v3 :: v_dual_bitop2_b32 v1, 7, v1 bitop3:0x40
	v_dual_cndmask_b32 v1, v5, v1, vcc_lo :: v_dual_cndmask_b32 v7, v11, v7, vcc_lo
	s_delay_alu instid0(VALU_DEP_2) | instskip(NEXT) | instid1(VALU_DEP_2)
	v_and_b32_e32 v3, 0x80000000, v3
	v_lshlrev_b32_e32 v1, 20, v1
	s_delay_alu instid0(VALU_DEP_3) | instskip(NEXT) | instid1(VALU_DEP_1)
	v_lshl_add_u32 v5, v7, 23, 0x3b800000
	v_or3_b32 v1, v3, v5, v1
	s_delay_alu instid0(VALU_DEP_1)
	v_cvt_i32_f32_e32 v1, v1
.LBB39_1645:
	s_or_b32 exec_lo, exec_lo, s10
.LBB39_1646:
	s_mov_b32 s13, -1
.LBB39_1647:
	s_branch .LBB39_1677
.LBB39_1648:
	s_cmp_gt_i32 s0, 22
	s_cbranch_scc0 .LBB39_1656
; %bb.1649:
	s_cmp_lt_i32 s0, 24
	s_cbranch_scc1 .LBB39_1659
; %bb.1650:
	s_cmp_gt_i32 s0, 24
	s_cbranch_scc0 .LBB39_1660
; %bb.1651:
	global_load_u8 v3, v[22:23], off
	s_mov_b32 s10, exec_lo
	s_wait_loadcnt 0x0
	v_cmpx_lt_i16_e32 0x7f, v3
	s_xor_b32 s10, exec_lo, s10
	s_cbranch_execz .LBB39_1671
; %bb.1652:
	v_cmp_ne_u16_e32 vcc_lo, 0x80, v3
	s_and_b32 s12, vcc_lo, exec_lo
	s_and_not1_saveexec_b32 s10, s10
	s_cbranch_execnz .LBB39_1672
.LBB39_1653:
	s_or_b32 exec_lo, exec_lo, s10
	v_mov_b32_e32 v1, 0
	s_and_saveexec_b32 s10, s12
	s_cbranch_execz .LBB39_1655
.LBB39_1654:
	v_and_b32_e32 v1, 0xffff, v3
	s_delay_alu instid0(VALU_DEP_1) | instskip(SKIP_1) | instid1(VALU_DEP_2)
	v_and_b32_e32 v5, 3, v1
	v_bfe_u32 v11, v1, 2, 5
	v_clz_i32_u32_e32 v7, v5
	s_delay_alu instid0(VALU_DEP_2) | instskip(NEXT) | instid1(VALU_DEP_2)
	v_cmp_eq_u32_e32 vcc_lo, 0, v11
	v_min_u32_e32 v7, 32, v7
	s_delay_alu instid0(VALU_DEP_1) | instskip(NEXT) | instid1(VALU_DEP_1)
	v_subrev_nc_u32_e32 v9, 29, v7
	v_dual_lshlrev_b32 v1, v9, v1 :: v_dual_sub_nc_u32 v7, 30, v7
	s_delay_alu instid0(VALU_DEP_1) | instskip(NEXT) | instid1(VALU_DEP_1)
	v_dual_lshlrev_b32 v3, 24, v3 :: v_dual_bitop2_b32 v1, 3, v1 bitop3:0x40
	v_dual_cndmask_b32 v1, v5, v1, vcc_lo :: v_dual_cndmask_b32 v7, v11, v7, vcc_lo
	s_delay_alu instid0(VALU_DEP_2) | instskip(NEXT) | instid1(VALU_DEP_2)
	v_and_b32_e32 v3, 0x80000000, v3
	v_lshlrev_b32_e32 v1, 21, v1
	s_delay_alu instid0(VALU_DEP_3) | instskip(NEXT) | instid1(VALU_DEP_1)
	v_lshl_add_u32 v5, v7, 23, 0x37800000
	v_or3_b32 v1, v3, v5, v1
	s_delay_alu instid0(VALU_DEP_1)
	v_cvt_i32_f32_e32 v1, v1
.LBB39_1655:
	s_or_b32 exec_lo, exec_lo, s10
	s_mov_b32 s10, 0
	s_branch .LBB39_1661
.LBB39_1656:
                                        ; implicit-def: $vgpr1
	s_mov_b32 s12, 0
	s_branch .LBB39_1667
.LBB39_1657:
	s_and_not1_saveexec_b32 s10, s10
	s_cbranch_execz .LBB39_1643
.LBB39_1658:
	v_cmp_ne_u16_e32 vcc_lo, 0, v3
	s_and_not1_b32 s13, s13, exec_lo
	s_and_b32 s14, vcc_lo, exec_lo
	s_delay_alu instid0(SALU_CYCLE_1)
	s_or_b32 s13, s13, s14
	s_or_b32 exec_lo, exec_lo, s10
	v_mov_b32_e32 v1, 0
	s_and_saveexec_b32 s10, s13
	s_cbranch_execnz .LBB39_1644
	s_branch .LBB39_1645
.LBB39_1659:
	s_mov_b32 s10, -1
                                        ; implicit-def: $vgpr1
	s_branch .LBB39_1664
.LBB39_1660:
	s_mov_b32 s10, -1
                                        ; implicit-def: $vgpr1
.LBB39_1661:
	s_delay_alu instid0(SALU_CYCLE_1)
	s_and_b32 vcc_lo, exec_lo, s10
	s_cbranch_vccz .LBB39_1663
; %bb.1662:
	s_wait_loadcnt 0x0
	global_load_u8 v1, v[22:23], off
	s_wait_loadcnt 0x0
	v_lshlrev_b32_e32 v1, 24, v1
	s_delay_alu instid0(VALU_DEP_1) | instskip(NEXT) | instid1(VALU_DEP_1)
	v_and_b32_e32 v3, 0x7f000000, v1
	v_clz_i32_u32_e32 v5, v3
	v_add_nc_u32_e32 v9, 0x1000000, v3
	v_cmp_ne_u32_e32 vcc_lo, 0, v3
	s_delay_alu instid0(VALU_DEP_3) | instskip(NEXT) | instid1(VALU_DEP_1)
	v_min_u32_e32 v5, 32, v5
	v_sub_nc_u32_e64 v5, v5, 4 clamp
	s_delay_alu instid0(VALU_DEP_1) | instskip(NEXT) | instid1(VALU_DEP_1)
	v_dual_lshlrev_b32 v7, v5, v3 :: v_dual_lshlrev_b32 v5, 23, v5
	v_lshrrev_b32_e32 v7, 4, v7
	s_delay_alu instid0(VALU_DEP_1) | instskip(SKIP_1) | instid1(VALU_DEP_2)
	v_sub_nc_u32_e32 v5, v7, v5
	v_ashrrev_i32_e32 v7, 8, v9
	v_add_nc_u32_e32 v5, 0x3c000000, v5
	s_delay_alu instid0(VALU_DEP_1) | instskip(NEXT) | instid1(VALU_DEP_1)
	v_and_or_b32 v5, 0x7f800000, v7, v5
	v_cndmask_b32_e32 v3, 0, v5, vcc_lo
	s_delay_alu instid0(VALU_DEP_1) | instskip(NEXT) | instid1(VALU_DEP_1)
	v_and_or_b32 v1, 0x80000000, v1, v3
	v_cvt_i32_f32_e32 v1, v1
.LBB39_1663:
	s_mov_b32 s10, 0
.LBB39_1664:
	s_delay_alu instid0(SALU_CYCLE_1)
	s_and_not1_b32 vcc_lo, exec_lo, s10
	s_cbranch_vccnz .LBB39_1666
; %bb.1665:
	s_wait_loadcnt 0x0
	global_load_u8 v1, v[22:23], off
	s_wait_loadcnt 0x0
	v_lshlrev_b32_e32 v3, 25, v1
	v_lshlrev_b16 v1, 8, v1
	s_delay_alu instid0(VALU_DEP_1) | instskip(SKIP_1) | instid1(VALU_DEP_2)
	v_and_or_b32 v7, 0x7f00, v1, 0.5
	v_bfe_i32 v1, v1, 0, 16
	v_add_f32_e32 v7, -0.5, v7
	v_lshrrev_b32_e32 v5, 4, v3
	v_cmp_gt_u32_e32 vcc_lo, 0x8000000, v3
	s_delay_alu instid0(VALU_DEP_2) | instskip(NEXT) | instid1(VALU_DEP_1)
	v_or_b32_e32 v5, 0x70000000, v5
	v_mul_f32_e32 v5, 0x7800000, v5
	s_delay_alu instid0(VALU_DEP_1) | instskip(NEXT) | instid1(VALU_DEP_1)
	v_cndmask_b32_e32 v3, v5, v7, vcc_lo
	v_and_or_b32 v1, 0x80000000, v1, v3
	s_delay_alu instid0(VALU_DEP_1)
	v_cvt_i32_f32_e32 v1, v1
.LBB39_1666:
	s_mov_b32 s13, -1
	s_mov_b32 s12, 0
	s_cbranch_execnz .LBB39_1677
.LBB39_1667:
	s_cmp_gt_i32 s0, 14
	s_cbranch_scc0 .LBB39_1670
; %bb.1668:
	s_cmp_eq_u32 s0, 15
	s_cbranch_scc0 .LBB39_1673
; %bb.1669:
	s_wait_loadcnt 0x0
	global_load_u16 v1, v[22:23], off
	s_mov_b32 s1, 0
	s_mov_b32 s13, -1
	s_wait_loadcnt 0x0
	v_lshlrev_b32_e32 v1, 16, v1
	s_delay_alu instid0(VALU_DEP_1)
	v_cvt_i32_f32_e32 v1, v1
	s_branch .LBB39_1674
.LBB39_1670:
	s_mov_b32 s10, -1
                                        ; implicit-def: $vgpr1
	s_branch .LBB39_1675
.LBB39_1671:
	s_and_not1_saveexec_b32 s10, s10
	s_cbranch_execz .LBB39_1653
.LBB39_1672:
	v_cmp_ne_u16_e32 vcc_lo, 0, v3
	s_and_not1_b32 s12, s12, exec_lo
	s_and_b32 s13, vcc_lo, exec_lo
	s_delay_alu instid0(SALU_CYCLE_1)
	s_or_b32 s12, s12, s13
	s_or_b32 exec_lo, exec_lo, s10
	v_mov_b32_e32 v1, 0
	s_and_saveexec_b32 s10, s12
	s_cbranch_execnz .LBB39_1654
	s_branch .LBB39_1655
.LBB39_1673:
	s_mov_b32 s1, -1
                                        ; implicit-def: $vgpr1
.LBB39_1674:
	s_mov_b32 s10, 0
.LBB39_1675:
	s_delay_alu instid0(SALU_CYCLE_1)
	s_and_b32 vcc_lo, exec_lo, s10
	s_cbranch_vccz .LBB39_1677
; %bb.1676:
	s_cmp_lg_u32 s0, 11
	s_mov_b32 s12, -1
	s_cselect_b32 s1, -1, 0
.LBB39_1677:
	s_delay_alu instid0(SALU_CYCLE_1)
	s_and_b32 vcc_lo, exec_lo, s1
	s_mov_b32 s10, s8
	s_cbranch_vccnz .LBB39_1738
; %bb.1678:
	s_and_not1_b32 vcc_lo, exec_lo, s12
	s_cbranch_vccnz .LBB39_1680
.LBB39_1679:
	s_wait_loadcnt 0x0
	global_load_u8 v1, v[22:23], off
	s_mov_b32 s13, -1
	s_wait_loadcnt 0x0
	v_cmp_ne_u16_e32 vcc_lo, 0, v1
	v_cndmask_b32_e64 v1, 0, 1, vcc_lo
.LBB39_1680:
	s_branch .LBB39_1614
.LBB39_1681:
	s_and_b32 s0, 0xffff, s11
	s_delay_alu instid0(SALU_CYCLE_1)
	s_cmp_lt_i32 s0, 5
	s_cbranch_scc1 .LBB39_1686
; %bb.1682:
	s_cmp_lt_i32 s0, 8
	s_cbranch_scc1 .LBB39_1687
; %bb.1683:
	;; [unrolled: 3-line block ×3, first 2 shown]
	s_cmp_gt_i32 s0, 9
	s_cbranch_scc0 .LBB39_1689
; %bb.1685:
	global_load_b64 v[24:25], v[22:23], off
	s_mov_b32 s1, 0
	s_wait_loadcnt 0x0
	v_cvt_i32_f64_e32 v1, v[24:25]
	s_branch .LBB39_1690
.LBB39_1686:
                                        ; implicit-def: $vgpr1
	s_branch .LBB39_1707
.LBB39_1687:
                                        ; implicit-def: $vgpr1
	s_branch .LBB39_1696
.LBB39_1688:
	s_mov_b32 s1, -1
                                        ; implicit-def: $vgpr1
	s_branch .LBB39_1693
.LBB39_1689:
	s_mov_b32 s1, -1
                                        ; implicit-def: $vgpr1
.LBB39_1690:
	s_delay_alu instid0(SALU_CYCLE_1)
	s_and_not1_b32 vcc_lo, exec_lo, s1
	s_cbranch_vccnz .LBB39_1692
; %bb.1691:
	s_wait_loadcnt 0x0
	global_load_b32 v1, v[22:23], off
	s_wait_loadcnt 0x0
	v_cvt_i32_f32_e32 v1, v1
.LBB39_1692:
	s_mov_b32 s1, 0
.LBB39_1693:
	s_delay_alu instid0(SALU_CYCLE_1)
	s_and_not1_b32 vcc_lo, exec_lo, s1
	s_cbranch_vccnz .LBB39_1695
; %bb.1694:
	s_wait_loadcnt 0x0
	global_load_b32 v1, v[22:23], off
	s_wait_loadcnt 0x0
	v_cvt_f32_f16_e32 v1, v1
	s_delay_alu instid0(VALU_DEP_1)
	v_cvt_i32_f32_e32 v1, v1
.LBB39_1695:
	s_cbranch_execnz .LBB39_1706
.LBB39_1696:
	s_cmp_lt_i32 s0, 6
	s_cbranch_scc1 .LBB39_1699
; %bb.1697:
	s_cmp_gt_i32 s0, 6
	s_cbranch_scc0 .LBB39_1700
; %bb.1698:
	global_load_b64 v[24:25], v[22:23], off
	s_mov_b32 s1, 0
	s_wait_loadcnt 0x0
	v_cvt_i32_f64_e32 v1, v[24:25]
	s_branch .LBB39_1701
.LBB39_1699:
	s_mov_b32 s1, -1
                                        ; implicit-def: $vgpr1
	s_branch .LBB39_1704
.LBB39_1700:
	s_mov_b32 s1, -1
                                        ; implicit-def: $vgpr1
.LBB39_1701:
	s_delay_alu instid0(SALU_CYCLE_1)
	s_and_not1_b32 vcc_lo, exec_lo, s1
	s_cbranch_vccnz .LBB39_1703
; %bb.1702:
	s_wait_loadcnt 0x0
	global_load_b32 v1, v[22:23], off
	s_wait_loadcnt 0x0
	v_cvt_i32_f32_e32 v1, v1
.LBB39_1703:
	s_mov_b32 s1, 0
.LBB39_1704:
	s_delay_alu instid0(SALU_CYCLE_1)
	s_and_not1_b32 vcc_lo, exec_lo, s1
	s_cbranch_vccnz .LBB39_1706
; %bb.1705:
	s_wait_loadcnt 0x0
	global_load_u16 v1, v[22:23], off
	s_wait_loadcnt 0x0
	v_cvt_f32_f16_e32 v1, v1
	s_delay_alu instid0(VALU_DEP_1)
	v_cvt_i32_f32_e32 v1, v1
.LBB39_1706:
	s_cbranch_execnz .LBB39_1725
.LBB39_1707:
	s_cmp_lt_i32 s0, 2
	s_cbranch_scc1 .LBB39_1711
; %bb.1708:
	s_cmp_lt_i32 s0, 3
	s_cbranch_scc1 .LBB39_1712
; %bb.1709:
	s_cmp_gt_i32 s0, 3
	s_cbranch_scc0 .LBB39_1713
; %bb.1710:
	s_wait_loadcnt 0x0
	global_load_b32 v1, v[22:23], off
	s_mov_b32 s1, 0
	s_branch .LBB39_1714
.LBB39_1711:
                                        ; implicit-def: $vgpr1
	s_branch .LBB39_1720
.LBB39_1712:
	s_mov_b32 s1, -1
                                        ; implicit-def: $vgpr1
	s_branch .LBB39_1717
.LBB39_1713:
	s_mov_b32 s1, -1
                                        ; implicit-def: $vgpr1
.LBB39_1714:
	s_delay_alu instid0(SALU_CYCLE_1)
	s_and_not1_b32 vcc_lo, exec_lo, s1
	s_cbranch_vccnz .LBB39_1716
; %bb.1715:
	s_wait_loadcnt 0x0
	global_load_b32 v1, v[22:23], off
.LBB39_1716:
	s_mov_b32 s1, 0
.LBB39_1717:
	s_delay_alu instid0(SALU_CYCLE_1)
	s_and_not1_b32 vcc_lo, exec_lo, s1
	s_cbranch_vccnz .LBB39_1719
; %bb.1718:
	s_wait_loadcnt 0x0
	global_load_i16 v1, v[22:23], off
.LBB39_1719:
	s_cbranch_execnz .LBB39_1725
.LBB39_1720:
	s_cmp_gt_i32 s0, 0
	s_mov_b32 s0, 0
	s_cbranch_scc0 .LBB39_1722
; %bb.1721:
	s_wait_loadcnt 0x0
	global_load_i8 v1, v[22:23], off
	s_branch .LBB39_1723
.LBB39_1722:
	s_mov_b32 s0, -1
                                        ; implicit-def: $vgpr1
.LBB39_1723:
	s_delay_alu instid0(SALU_CYCLE_1)
	s_and_not1_b32 vcc_lo, exec_lo, s0
	s_cbranch_vccnz .LBB39_1725
; %bb.1724:
	s_wait_loadcnt 0x0
	global_load_u8 v1, v[22:23], off
.LBB39_1725:
.LBB39_1726:
	v_mov_b32_e32 v21, 0
	s_load_b64 s[0:1], s[2:3], 0x198
	global_load_u8 v3, v21, s[2:3] offset:422
	s_wait_kmcnt 0x0
	v_add_nc_u64_e32 v[20:21], s[0:1], v[20:21]
	s_wait_loadcnt 0x0
	v_and_b32_e32 v5, 0xffff, v3
	v_readfirstlane_b32 s12, v3
	s_delay_alu instid0(VALU_DEP_2)
	v_cmp_gt_i32_e32 vcc_lo, 11, v5
	s_cbranch_vccnz .LBB39_1733
; %bb.1727:
	s_and_b32 s13, 0xffff, s12
	s_mov_b32 s15, 0
	s_cmp_gt_i32 s13, 25
	s_cbranch_scc0 .LBB39_1735
; %bb.1728:
	s_cmp_gt_i32 s13, 28
	s_cbranch_scc0 .LBB39_1736
; %bb.1729:
	;; [unrolled: 3-line block ×4, first 2 shown]
	s_cmp_eq_u32 s13, 46
	s_mov_b32 s17, 0
	s_cbranch_scc0 .LBB39_1742
; %bb.1732:
	global_load_b32 v3, v[20:21], off
	s_mov_b32 s14, 0
	s_mov_b32 s16, -1
	s_wait_loadcnt 0x0
	v_lshlrev_b32_e32 v3, 16, v3
	s_delay_alu instid0(VALU_DEP_1)
	v_cvt_i32_f32_e32 v5, v3
	s_branch .LBB39_1744
.LBB39_1733:
	s_mov_b32 s16, 0
                                        ; implicit-def: $vgpr5
	s_cbranch_execnz .LBB39_1805
.LBB39_1734:
	s_and_not1_b32 vcc_lo, exec_lo, s16
	s_cbranch_vccnz .LBB39_3047
	s_branch .LBB39_1852
.LBB39_1735:
	s_mov_b32 s16, 0
	s_mov_b32 s14, 0
                                        ; implicit-def: $vgpr5
	s_cbranch_execnz .LBB39_1771
	s_branch .LBB39_1801
.LBB39_1736:
	s_mov_b32 s17, -1
	s_mov_b32 s16, 0
	s_mov_b32 s14, 0
                                        ; implicit-def: $vgpr5
	s_branch .LBB39_1754
.LBB39_1737:
	s_mov_b32 s17, -1
	s_mov_b32 s16, 0
	s_mov_b32 s14, 0
                                        ; implicit-def: $vgpr5
	s_branch .LBB39_1749
.LBB39_1738:
	s_or_b32 s10, s8, exec_lo
	s_trap 2
	s_cbranch_execz .LBB39_1679
	s_branch .LBB39_1680
.LBB39_1739:
	s_mov_b32 s17, -1
	s_mov_b32 s16, 0
	s_mov_b32 s14, 0
	s_branch .LBB39_1743
.LBB39_1740:
	s_and_not1_saveexec_b32 s11, s11
	s_cbranch_execz .LBB39_1486
.LBB39_1741:
	v_add_f32_e32 v2, 0x42800000, v3
	s_and_not1_b32 s10, s10, exec_lo
	s_delay_alu instid0(VALU_DEP_1) | instskip(NEXT) | instid1(VALU_DEP_1)
	v_and_b32_e32 v2, 0xff, v2
	v_cmp_ne_u32_e32 vcc_lo, 0, v2
	s_and_b32 s12, vcc_lo, exec_lo
	s_delay_alu instid0(SALU_CYCLE_1)
	s_or_b32 s10, s10, s12
	s_or_b32 exec_lo, exec_lo, s11
	v_mov_b32_e32 v4, 0
	s_and_saveexec_b32 s11, s10
	s_cbranch_execnz .LBB39_1487
	s_branch .LBB39_1488
.LBB39_1742:
	s_mov_b32 s14, -1
	s_mov_b32 s16, 0
.LBB39_1743:
                                        ; implicit-def: $vgpr5
.LBB39_1744:
	s_and_b32 vcc_lo, exec_lo, s17
	s_cbranch_vccz .LBB39_1748
; %bb.1745:
	s_cmp_eq_u32 s13, 44
	s_cbranch_scc0 .LBB39_1747
; %bb.1746:
	global_load_u8 v3, v[20:21], off
	s_mov_b32 s14, 0
	s_mov_b32 s16, -1
	s_wait_loadcnt 0x0
	v_lshlrev_b32_e32 v5, 23, v3
	v_cmp_ne_u32_e32 vcc_lo, 0, v3
	s_delay_alu instid0(VALU_DEP_2) | instskip(NEXT) | instid1(VALU_DEP_1)
	v_cvt_i32_f32_e32 v5, v5
	v_cndmask_b32_e32 v5, 0, v5, vcc_lo
	s_branch .LBB39_1748
.LBB39_1747:
	s_mov_b32 s14, -1
                                        ; implicit-def: $vgpr5
.LBB39_1748:
	s_mov_b32 s17, 0
.LBB39_1749:
	s_delay_alu instid0(SALU_CYCLE_1)
	s_and_b32 vcc_lo, exec_lo, s17
	s_cbranch_vccz .LBB39_1753
; %bb.1750:
	s_cmp_eq_u32 s13, 29
	s_cbranch_scc0 .LBB39_1752
; %bb.1751:
	global_load_b32 v5, v[20:21], off
	s_mov_b32 s14, 0
	s_mov_b32 s16, -1
	s_branch .LBB39_1753
.LBB39_1752:
	s_mov_b32 s14, -1
                                        ; implicit-def: $vgpr5
.LBB39_1753:
	s_mov_b32 s17, 0
.LBB39_1754:
	s_delay_alu instid0(SALU_CYCLE_1)
	s_and_b32 vcc_lo, exec_lo, s17
	s_cbranch_vccz .LBB39_1770
; %bb.1755:
	s_cmp_lt_i32 s13, 27
	s_cbranch_scc1 .LBB39_1758
; %bb.1756:
	s_cmp_gt_i32 s13, 27
	s_cbranch_scc0 .LBB39_1759
; %bb.1757:
	s_wait_loadcnt 0x0
	global_load_b32 v5, v[20:21], off
	s_mov_b32 s16, 0
	s_branch .LBB39_1760
.LBB39_1758:
	s_mov_b32 s16, -1
                                        ; implicit-def: $vgpr5
	s_branch .LBB39_1763
.LBB39_1759:
	s_mov_b32 s16, -1
                                        ; implicit-def: $vgpr5
.LBB39_1760:
	s_delay_alu instid0(SALU_CYCLE_1)
	s_and_not1_b32 vcc_lo, exec_lo, s16
	s_cbranch_vccnz .LBB39_1762
; %bb.1761:
	s_wait_loadcnt 0x0
	global_load_u16 v5, v[20:21], off
.LBB39_1762:
	s_mov_b32 s16, 0
.LBB39_1763:
	s_delay_alu instid0(SALU_CYCLE_1)
	s_and_not1_b32 vcc_lo, exec_lo, s16
	s_cbranch_vccnz .LBB39_1769
; %bb.1764:
	global_load_u8 v3, v[20:21], off
	s_mov_b32 s17, 0
	s_mov_b32 s16, exec_lo
	s_wait_loadcnt 0x0
	v_cmpx_lt_i16_e32 0x7f, v3
	s_xor_b32 s16, exec_lo, s16
	s_cbranch_execz .LBB39_1780
; %bb.1765:
	v_cmp_ne_u16_e32 vcc_lo, 0x80, v3
	s_and_b32 s17, vcc_lo, exec_lo
	s_and_not1_saveexec_b32 s16, s16
	s_cbranch_execnz .LBB39_1781
.LBB39_1766:
	s_or_b32 exec_lo, exec_lo, s16
	v_mov_b32_e32 v5, 0
	s_and_saveexec_b32 s16, s17
	s_cbranch_execz .LBB39_1768
.LBB39_1767:
	v_and_b32_e32 v5, 0xffff, v3
	s_delay_alu instid0(VALU_DEP_1) | instskip(SKIP_1) | instid1(VALU_DEP_2)
	v_dual_lshlrev_b32 v3, 24, v3 :: v_dual_bitop2_b32 v7, 7, v5 bitop3:0x40
	v_bfe_u32 v13, v5, 3, 4
	v_and_b32_e32 v3, 0x80000000, v3
	s_delay_alu instid0(VALU_DEP_3) | instskip(NEXT) | instid1(VALU_DEP_3)
	v_clz_i32_u32_e32 v9, v7
	v_cmp_eq_u32_e32 vcc_lo, 0, v13
	s_delay_alu instid0(VALU_DEP_2) | instskip(NEXT) | instid1(VALU_DEP_1)
	v_min_u32_e32 v9, 32, v9
	v_subrev_nc_u32_e32 v11, 28, v9
	v_sub_nc_u32_e32 v9, 29, v9
	s_delay_alu instid0(VALU_DEP_2) | instskip(NEXT) | instid1(VALU_DEP_2)
	v_lshlrev_b32_e32 v5, v11, v5
	v_cndmask_b32_e32 v9, v13, v9, vcc_lo
	s_delay_alu instid0(VALU_DEP_2) | instskip(NEXT) | instid1(VALU_DEP_1)
	v_and_b32_e32 v5, 7, v5
	v_cndmask_b32_e32 v5, v7, v5, vcc_lo
	s_delay_alu instid0(VALU_DEP_3) | instskip(NEXT) | instid1(VALU_DEP_2)
	v_lshl_add_u32 v7, v9, 23, 0x3b800000
	v_lshlrev_b32_e32 v5, 20, v5
	s_delay_alu instid0(VALU_DEP_1) | instskip(NEXT) | instid1(VALU_DEP_1)
	v_or3_b32 v3, v3, v7, v5
	v_cvt_i32_f32_e32 v5, v3
.LBB39_1768:
	s_or_b32 exec_lo, exec_lo, s16
.LBB39_1769:
	s_mov_b32 s16, -1
.LBB39_1770:
	s_branch .LBB39_1801
.LBB39_1771:
	s_cmp_gt_i32 s13, 22
	s_cbranch_scc0 .LBB39_1779
; %bb.1772:
	s_cmp_lt_i32 s13, 24
	s_cbranch_scc1 .LBB39_1782
; %bb.1773:
	s_cmp_gt_i32 s13, 24
	s_cbranch_scc0 .LBB39_1783
; %bb.1774:
	global_load_u8 v3, v[20:21], off
	s_mov_b32 s16, 0
	s_mov_b32 s15, exec_lo
	s_wait_loadcnt 0x0
	v_cmpx_lt_i16_e32 0x7f, v3
	s_xor_b32 s15, exec_lo, s15
	s_cbranch_execz .LBB39_1795
; %bb.1775:
	v_cmp_ne_u16_e32 vcc_lo, 0x80, v3
	s_and_b32 s16, vcc_lo, exec_lo
	s_and_not1_saveexec_b32 s15, s15
	s_cbranch_execnz .LBB39_1796
.LBB39_1776:
	s_or_b32 exec_lo, exec_lo, s15
	v_mov_b32_e32 v5, 0
	s_and_saveexec_b32 s15, s16
	s_cbranch_execz .LBB39_1778
.LBB39_1777:
	v_and_b32_e32 v5, 0xffff, v3
	s_delay_alu instid0(VALU_DEP_1) | instskip(SKIP_1) | instid1(VALU_DEP_2)
	v_dual_lshlrev_b32 v3, 24, v3 :: v_dual_bitop2_b32 v7, 3, v5 bitop3:0x40
	v_bfe_u32 v13, v5, 2, 5
	v_and_b32_e32 v3, 0x80000000, v3
	s_delay_alu instid0(VALU_DEP_3) | instskip(NEXT) | instid1(VALU_DEP_3)
	v_clz_i32_u32_e32 v9, v7
	v_cmp_eq_u32_e32 vcc_lo, 0, v13
	s_delay_alu instid0(VALU_DEP_2) | instskip(NEXT) | instid1(VALU_DEP_1)
	v_min_u32_e32 v9, 32, v9
	v_subrev_nc_u32_e32 v11, 29, v9
	v_sub_nc_u32_e32 v9, 30, v9
	s_delay_alu instid0(VALU_DEP_2) | instskip(NEXT) | instid1(VALU_DEP_2)
	v_lshlrev_b32_e32 v5, v11, v5
	v_cndmask_b32_e32 v9, v13, v9, vcc_lo
	s_delay_alu instid0(VALU_DEP_2) | instskip(NEXT) | instid1(VALU_DEP_1)
	v_and_b32_e32 v5, 3, v5
	v_cndmask_b32_e32 v5, v7, v5, vcc_lo
	s_delay_alu instid0(VALU_DEP_3) | instskip(NEXT) | instid1(VALU_DEP_2)
	v_lshl_add_u32 v7, v9, 23, 0x37800000
	v_lshlrev_b32_e32 v5, 21, v5
	s_delay_alu instid0(VALU_DEP_1) | instskip(NEXT) | instid1(VALU_DEP_1)
	v_or3_b32 v3, v3, v7, v5
	v_cvt_i32_f32_e32 v5, v3
.LBB39_1778:
	s_or_b32 exec_lo, exec_lo, s15
	s_mov_b32 s15, 0
	s_branch .LBB39_1784
.LBB39_1779:
	s_mov_b32 s15, -1
                                        ; implicit-def: $vgpr5
	s_branch .LBB39_1790
.LBB39_1780:
	s_and_not1_saveexec_b32 s16, s16
	s_cbranch_execz .LBB39_1766
.LBB39_1781:
	v_cmp_ne_u16_e32 vcc_lo, 0, v3
	s_and_not1_b32 s17, s17, exec_lo
	s_and_b32 s18, vcc_lo, exec_lo
	s_delay_alu instid0(SALU_CYCLE_1)
	s_or_b32 s17, s17, s18
	s_or_b32 exec_lo, exec_lo, s16
	v_mov_b32_e32 v5, 0
	s_and_saveexec_b32 s16, s17
	s_cbranch_execnz .LBB39_1767
	s_branch .LBB39_1768
.LBB39_1782:
	s_mov_b32 s15, -1
                                        ; implicit-def: $vgpr5
	s_branch .LBB39_1787
.LBB39_1783:
	s_mov_b32 s15, -1
                                        ; implicit-def: $vgpr5
.LBB39_1784:
	s_delay_alu instid0(SALU_CYCLE_1)
	s_and_b32 vcc_lo, exec_lo, s15
	s_cbranch_vccz .LBB39_1786
; %bb.1785:
	global_load_u8 v3, v[20:21], off
	s_wait_loadcnt 0x0
	v_lshlrev_b32_e32 v3, 24, v3
	s_delay_alu instid0(VALU_DEP_1) | instskip(NEXT) | instid1(VALU_DEP_1)
	v_and_b32_e32 v5, 0x7f000000, v3
	v_clz_i32_u32_e32 v7, v5
	v_add_nc_u32_e32 v11, 0x1000000, v5
	v_cmp_ne_u32_e32 vcc_lo, 0, v5
	s_delay_alu instid0(VALU_DEP_3) | instskip(NEXT) | instid1(VALU_DEP_1)
	v_min_u32_e32 v7, 32, v7
	v_sub_nc_u32_e64 v7, v7, 4 clamp
	s_delay_alu instid0(VALU_DEP_1) | instskip(NEXT) | instid1(VALU_DEP_1)
	v_dual_lshlrev_b32 v9, v7, v5 :: v_dual_lshlrev_b32 v7, 23, v7
	v_lshrrev_b32_e32 v9, 4, v9
	s_delay_alu instid0(VALU_DEP_1) | instskip(SKIP_1) | instid1(VALU_DEP_2)
	v_sub_nc_u32_e32 v7, v9, v7
	v_ashrrev_i32_e32 v9, 8, v11
	v_add_nc_u32_e32 v7, 0x3c000000, v7
	s_delay_alu instid0(VALU_DEP_1) | instskip(NEXT) | instid1(VALU_DEP_1)
	v_and_or_b32 v7, 0x7f800000, v9, v7
	v_cndmask_b32_e32 v5, 0, v7, vcc_lo
	s_delay_alu instid0(VALU_DEP_1) | instskip(NEXT) | instid1(VALU_DEP_1)
	v_and_or_b32 v3, 0x80000000, v3, v5
	v_cvt_i32_f32_e32 v5, v3
.LBB39_1786:
	s_mov_b32 s15, 0
.LBB39_1787:
	s_delay_alu instid0(SALU_CYCLE_1)
	s_and_not1_b32 vcc_lo, exec_lo, s15
	s_cbranch_vccnz .LBB39_1789
; %bb.1788:
	global_load_u8 v3, v[20:21], off
	s_wait_loadcnt 0x0
	v_lshlrev_b32_e32 v5, 25, v3
	v_lshlrev_b16 v3, 8, v3
	s_delay_alu instid0(VALU_DEP_1) | instskip(SKIP_1) | instid1(VALU_DEP_2)
	v_and_or_b32 v9, 0x7f00, v3, 0.5
	v_bfe_i32 v3, v3, 0, 16
	v_add_f32_e32 v9, -0.5, v9
	v_lshrrev_b32_e32 v7, 4, v5
	v_cmp_gt_u32_e32 vcc_lo, 0x8000000, v5
	s_delay_alu instid0(VALU_DEP_2) | instskip(NEXT) | instid1(VALU_DEP_1)
	v_or_b32_e32 v7, 0x70000000, v7
	v_mul_f32_e32 v7, 0x7800000, v7
	s_delay_alu instid0(VALU_DEP_1) | instskip(NEXT) | instid1(VALU_DEP_1)
	v_cndmask_b32_e32 v5, v7, v9, vcc_lo
	v_and_or_b32 v3, 0x80000000, v3, v5
	s_delay_alu instid0(VALU_DEP_1)
	v_cvt_i32_f32_e32 v5, v3
.LBB39_1789:
	s_mov_b32 s15, 0
	s_mov_b32 s16, -1
.LBB39_1790:
	s_and_not1_b32 vcc_lo, exec_lo, s15
	s_mov_b32 s15, 0
	s_cbranch_vccnz .LBB39_1801
; %bb.1791:
	s_cmp_gt_i32 s13, 14
	s_cbranch_scc0 .LBB39_1794
; %bb.1792:
	s_cmp_eq_u32 s13, 15
	s_cbranch_scc0 .LBB39_1797
; %bb.1793:
	global_load_u16 v3, v[20:21], off
	s_mov_b32 s14, 0
	s_mov_b32 s16, -1
	s_wait_loadcnt 0x0
	v_lshlrev_b32_e32 v3, 16, v3
	s_delay_alu instid0(VALU_DEP_1)
	v_cvt_i32_f32_e32 v5, v3
	s_branch .LBB39_1799
.LBB39_1794:
	s_mov_b32 s15, -1
	s_branch .LBB39_1798
.LBB39_1795:
	s_and_not1_saveexec_b32 s15, s15
	s_cbranch_execz .LBB39_1776
.LBB39_1796:
	v_cmp_ne_u16_e32 vcc_lo, 0, v3
	s_and_not1_b32 s16, s16, exec_lo
	s_and_b32 s17, vcc_lo, exec_lo
	s_delay_alu instid0(SALU_CYCLE_1)
	s_or_b32 s16, s16, s17
	s_or_b32 exec_lo, exec_lo, s15
	v_mov_b32_e32 v5, 0
	s_and_saveexec_b32 s15, s16
	s_cbranch_execnz .LBB39_1777
	s_branch .LBB39_1778
.LBB39_1797:
	s_mov_b32 s14, -1
.LBB39_1798:
                                        ; implicit-def: $vgpr5
.LBB39_1799:
	s_and_b32 vcc_lo, exec_lo, s15
	s_mov_b32 s15, 0
	s_cbranch_vccz .LBB39_1801
; %bb.1800:
	s_cmp_lg_u32 s13, 11
	s_mov_b32 s15, -1
	s_cselect_b32 s14, -1, 0
.LBB39_1801:
	s_delay_alu instid0(SALU_CYCLE_1)
	s_and_b32 vcc_lo, exec_lo, s14
	s_cbranch_vccnz .LBB39_1864
; %bb.1802:
	s_and_not1_b32 vcc_lo, exec_lo, s15
	s_cbranch_vccnz .LBB39_1804
.LBB39_1803:
	global_load_u8 v3, v[20:21], off
	s_mov_b32 s16, -1
	s_wait_loadcnt 0x0
	v_cmp_ne_u16_e32 vcc_lo, 0, v3
	v_cndmask_b32_e64 v5, 0, 1, vcc_lo
.LBB39_1804:
	s_branch .LBB39_1734
.LBB39_1805:
	s_and_b32 s13, 0xffff, s12
	s_delay_alu instid0(SALU_CYCLE_1)
	s_cmp_lt_i32 s13, 5
	s_cbranch_scc1 .LBB39_1810
; %bb.1806:
	s_cmp_lt_i32 s13, 8
	s_cbranch_scc1 .LBB39_1811
; %bb.1807:
	;; [unrolled: 3-line block ×3, first 2 shown]
	s_cmp_gt_i32 s13, 9
	s_cbranch_scc0 .LBB39_1813
; %bb.1809:
	global_load_b64 v[22:23], v[20:21], off
	s_mov_b32 s14, 0
	s_wait_loadcnt 0x0
	v_cvt_i32_f64_e32 v5, v[22:23]
	s_branch .LBB39_1814
.LBB39_1810:
                                        ; implicit-def: $vgpr5
	s_branch .LBB39_1832
.LBB39_1811:
	s_mov_b32 s14, -1
                                        ; implicit-def: $vgpr5
	s_branch .LBB39_1820
.LBB39_1812:
	s_mov_b32 s14, -1
                                        ; implicit-def: $vgpr5
	s_branch .LBB39_1817
.LBB39_1813:
	s_mov_b32 s14, -1
                                        ; implicit-def: $vgpr5
.LBB39_1814:
	s_delay_alu instid0(SALU_CYCLE_1)
	s_and_not1_b32 vcc_lo, exec_lo, s14
	s_cbranch_vccnz .LBB39_1816
; %bb.1815:
	global_load_b32 v3, v[20:21], off
	s_wait_loadcnt 0x0
	v_cvt_i32_f32_e32 v5, v3
.LBB39_1816:
	s_mov_b32 s14, 0
.LBB39_1817:
	s_delay_alu instid0(SALU_CYCLE_1)
	s_and_not1_b32 vcc_lo, exec_lo, s14
	s_cbranch_vccnz .LBB39_1819
; %bb.1818:
	global_load_b32 v3, v[20:21], off
	s_wait_loadcnt 0x0
	v_cvt_f32_f16_e32 v3, v3
	s_delay_alu instid0(VALU_DEP_1)
	v_cvt_i32_f32_e32 v5, v3
.LBB39_1819:
	s_mov_b32 s14, 0
.LBB39_1820:
	s_delay_alu instid0(SALU_CYCLE_1)
	s_and_not1_b32 vcc_lo, exec_lo, s14
	s_cbranch_vccnz .LBB39_1831
; %bb.1821:
	s_cmp_lt_i32 s13, 6
	s_cbranch_scc1 .LBB39_1824
; %bb.1822:
	s_cmp_gt_i32 s13, 6
	s_cbranch_scc0 .LBB39_1825
; %bb.1823:
	global_load_b64 v[22:23], v[20:21], off
	s_mov_b32 s14, 0
	s_wait_loadcnt 0x0
	v_cvt_i32_f64_e32 v5, v[22:23]
	s_branch .LBB39_1826
.LBB39_1824:
	s_mov_b32 s14, -1
                                        ; implicit-def: $vgpr5
	s_branch .LBB39_1829
.LBB39_1825:
	s_mov_b32 s14, -1
                                        ; implicit-def: $vgpr5
.LBB39_1826:
	s_delay_alu instid0(SALU_CYCLE_1)
	s_and_not1_b32 vcc_lo, exec_lo, s14
	s_cbranch_vccnz .LBB39_1828
; %bb.1827:
	global_load_b32 v3, v[20:21], off
	s_wait_loadcnt 0x0
	v_cvt_i32_f32_e32 v5, v3
.LBB39_1828:
	s_mov_b32 s14, 0
.LBB39_1829:
	s_delay_alu instid0(SALU_CYCLE_1)
	s_and_not1_b32 vcc_lo, exec_lo, s14
	s_cbranch_vccnz .LBB39_1831
; %bb.1830:
	global_load_u16 v3, v[20:21], off
	s_wait_loadcnt 0x0
	v_cvt_f32_f16_e32 v3, v3
	s_delay_alu instid0(VALU_DEP_1)
	v_cvt_i32_f32_e32 v5, v3
.LBB39_1831:
	s_cbranch_execnz .LBB39_1851
.LBB39_1832:
	s_cmp_lt_i32 s13, 2
	s_cbranch_scc1 .LBB39_1836
; %bb.1833:
	s_cmp_lt_i32 s13, 3
	s_cbranch_scc1 .LBB39_1837
; %bb.1834:
	s_cmp_gt_i32 s13, 3
	s_cbranch_scc0 .LBB39_1838
; %bb.1835:
	s_wait_loadcnt 0x0
	global_load_b32 v5, v[20:21], off
	s_mov_b32 s14, 0
	s_branch .LBB39_1839
.LBB39_1836:
	s_mov_b32 s14, -1
                                        ; implicit-def: $vgpr5
	s_branch .LBB39_1845
.LBB39_1837:
	s_mov_b32 s14, -1
                                        ; implicit-def: $vgpr5
	s_branch .LBB39_1842
.LBB39_1838:
	s_mov_b32 s14, -1
                                        ; implicit-def: $vgpr5
.LBB39_1839:
	s_delay_alu instid0(SALU_CYCLE_1)
	s_and_not1_b32 vcc_lo, exec_lo, s14
	s_cbranch_vccnz .LBB39_1841
; %bb.1840:
	s_wait_loadcnt 0x0
	global_load_b32 v5, v[20:21], off
.LBB39_1841:
	s_mov_b32 s14, 0
.LBB39_1842:
	s_delay_alu instid0(SALU_CYCLE_1)
	s_and_not1_b32 vcc_lo, exec_lo, s14
	s_cbranch_vccnz .LBB39_1844
; %bb.1843:
	s_wait_loadcnt 0x0
	global_load_i16 v5, v[20:21], off
.LBB39_1844:
	s_mov_b32 s14, 0
.LBB39_1845:
	s_delay_alu instid0(SALU_CYCLE_1)
	s_and_not1_b32 vcc_lo, exec_lo, s14
	s_cbranch_vccnz .LBB39_1851
; %bb.1846:
	s_cmp_gt_i32 s13, 0
	s_mov_b32 s13, 0
	s_cbranch_scc0 .LBB39_1848
; %bb.1847:
	s_wait_loadcnt 0x0
	global_load_i8 v5, v[20:21], off
	s_branch .LBB39_1849
.LBB39_1848:
	s_mov_b32 s13, -1
                                        ; implicit-def: $vgpr5
.LBB39_1849:
	s_delay_alu instid0(SALU_CYCLE_1)
	s_and_not1_b32 vcc_lo, exec_lo, s13
	s_cbranch_vccnz .LBB39_1851
; %bb.1850:
	s_wait_loadcnt 0x0
	global_load_u8 v5, v[20:21], off
.LBB39_1851:
.LBB39_1852:
	v_mov_b32_e32 v19, 0
	s_and_b32 s11, 0xffff, s11
	s_delay_alu instid0(SALU_CYCLE_1) | instskip(NEXT) | instid1(VALU_DEP_1)
	s_cmp_lt_i32 s11, 11
	v_add_nc_u64_e32 v[18:19], s[6:7], v[18:19]
	s_cbranch_scc1 .LBB39_1859
; %bb.1853:
	s_cmp_gt_i32 s11, 25
	s_mov_b32 s14, 0
	s_cbranch_scc0 .LBB39_1861
; %bb.1854:
	s_cmp_gt_i32 s11, 28
	s_cbranch_scc0 .LBB39_1862
; %bb.1855:
	s_cmp_gt_i32 s11, 43
	s_cbranch_scc0 .LBB39_1863
; %bb.1856:
	s_cmp_gt_i32 s11, 45
	s_cbranch_scc0 .LBB39_1865
; %bb.1857:
	s_cmp_eq_u32 s11, 46
	s_mov_b32 s16, 0
	s_cbranch_scc0 .LBB39_1866
; %bb.1858:
	global_load_b32 v3, v[18:19], off
	s_mov_b32 s13, 0
	s_mov_b32 s15, -1
	s_wait_loadcnt 0x0
	v_lshlrev_b32_e32 v3, 16, v3
	s_delay_alu instid0(VALU_DEP_1)
	v_cvt_i32_f32_e32 v3, v3
	s_branch .LBB39_1868
.LBB39_1859:
	s_mov_b32 s15, 0
                                        ; implicit-def: $vgpr3
	s_cbranch_execnz .LBB39_1930
.LBB39_1860:
	s_and_not1_b32 vcc_lo, exec_lo, s15
	s_cbranch_vccnz .LBB39_3047
	s_branch .LBB39_1978
.LBB39_1861:
	s_mov_b32 s16, -1
	s_mov_b32 s15, 0
	s_mov_b32 s13, 0
                                        ; implicit-def: $vgpr3
	s_branch .LBB39_1895
.LBB39_1862:
	s_mov_b32 s16, -1
	s_mov_b32 s15, 0
	s_mov_b32 s13, 0
                                        ; implicit-def: $vgpr3
	s_branch .LBB39_1878
.LBB39_1863:
	s_mov_b32 s16, -1
	s_mov_b32 s15, 0
	s_mov_b32 s13, 0
                                        ; implicit-def: $vgpr3
	s_branch .LBB39_1873
.LBB39_1864:
	s_or_b32 s10, s10, exec_lo
	s_trap 2
	s_cbranch_execz .LBB39_1803
	s_branch .LBB39_1804
.LBB39_1865:
	s_mov_b32 s16, -1
	s_mov_b32 s15, 0
	s_mov_b32 s13, 0
	s_branch .LBB39_1867
.LBB39_1866:
	s_mov_b32 s13, -1
	s_mov_b32 s15, 0
.LBB39_1867:
                                        ; implicit-def: $vgpr3
.LBB39_1868:
	s_and_b32 vcc_lo, exec_lo, s16
	s_cbranch_vccz .LBB39_1872
; %bb.1869:
	s_cmp_eq_u32 s11, 44
	s_cbranch_scc0 .LBB39_1871
; %bb.1870:
	global_load_u8 v3, v[18:19], off
	s_mov_b32 s13, 0
	s_mov_b32 s15, -1
	s_wait_loadcnt 0x0
	v_lshlrev_b32_e32 v7, 23, v3
	v_cmp_ne_u32_e32 vcc_lo, 0, v3
	s_delay_alu instid0(VALU_DEP_2) | instskip(NEXT) | instid1(VALU_DEP_1)
	v_cvt_i32_f32_e32 v7, v7
	v_cndmask_b32_e32 v3, 0, v7, vcc_lo
	s_branch .LBB39_1872
.LBB39_1871:
	s_mov_b32 s13, -1
                                        ; implicit-def: $vgpr3
.LBB39_1872:
	s_mov_b32 s16, 0
.LBB39_1873:
	s_delay_alu instid0(SALU_CYCLE_1)
	s_and_b32 vcc_lo, exec_lo, s16
	s_cbranch_vccz .LBB39_1877
; %bb.1874:
	s_cmp_eq_u32 s11, 29
	s_cbranch_scc0 .LBB39_1876
; %bb.1875:
	global_load_b32 v3, v[18:19], off
	s_mov_b32 s13, 0
	s_mov_b32 s15, -1
	s_branch .LBB39_1877
.LBB39_1876:
	s_mov_b32 s13, -1
                                        ; implicit-def: $vgpr3
.LBB39_1877:
	s_mov_b32 s16, 0
.LBB39_1878:
	s_delay_alu instid0(SALU_CYCLE_1)
	s_and_b32 vcc_lo, exec_lo, s16
	s_cbranch_vccz .LBB39_1894
; %bb.1879:
	s_cmp_lt_i32 s11, 27
	s_cbranch_scc1 .LBB39_1882
; %bb.1880:
	s_cmp_gt_i32 s11, 27
	s_cbranch_scc0 .LBB39_1883
; %bb.1881:
	s_wait_loadcnt 0x0
	global_load_b32 v3, v[18:19], off
	s_mov_b32 s15, 0
	s_branch .LBB39_1884
.LBB39_1882:
	s_mov_b32 s15, -1
                                        ; implicit-def: $vgpr3
	s_branch .LBB39_1887
.LBB39_1883:
	s_mov_b32 s15, -1
                                        ; implicit-def: $vgpr3
.LBB39_1884:
	s_delay_alu instid0(SALU_CYCLE_1)
	s_and_not1_b32 vcc_lo, exec_lo, s15
	s_cbranch_vccnz .LBB39_1886
; %bb.1885:
	s_wait_loadcnt 0x0
	global_load_u16 v3, v[18:19], off
.LBB39_1886:
	s_mov_b32 s15, 0
.LBB39_1887:
	s_delay_alu instid0(SALU_CYCLE_1)
	s_and_not1_b32 vcc_lo, exec_lo, s15
	s_cbranch_vccnz .LBB39_1893
; %bb.1888:
	global_load_u8 v7, v[18:19], off
	s_mov_b32 s16, 0
	s_mov_b32 s15, exec_lo
	s_wait_loadcnt 0x0
	v_cmpx_lt_i16_e32 0x7f, v7
	s_xor_b32 s15, exec_lo, s15
	s_cbranch_execz .LBB39_1905
; %bb.1889:
	v_cmp_ne_u16_e32 vcc_lo, 0x80, v7
	s_and_b32 s16, vcc_lo, exec_lo
	s_and_not1_saveexec_b32 s15, s15
	s_cbranch_execnz .LBB39_1906
.LBB39_1890:
	s_or_b32 exec_lo, exec_lo, s15
	v_mov_b32_e32 v3, 0
	s_and_saveexec_b32 s15, s16
	s_cbranch_execz .LBB39_1892
.LBB39_1891:
	v_and_b32_e32 v3, 0xffff, v7
	v_lshlrev_b32_e32 v7, 24, v7
	s_delay_alu instid0(VALU_DEP_2) | instskip(SKIP_1) | instid1(VALU_DEP_3)
	v_and_b32_e32 v9, 7, v3
	v_bfe_u32 v15, v3, 3, 4
	v_and_b32_e32 v7, 0x80000000, v7
	s_delay_alu instid0(VALU_DEP_3) | instskip(NEXT) | instid1(VALU_DEP_3)
	v_clz_i32_u32_e32 v11, v9
	v_cmp_eq_u32_e32 vcc_lo, 0, v15
	s_delay_alu instid0(VALU_DEP_2) | instskip(NEXT) | instid1(VALU_DEP_1)
	v_min_u32_e32 v11, 32, v11
	v_subrev_nc_u32_e32 v13, 28, v11
	v_sub_nc_u32_e32 v11, 29, v11
	s_delay_alu instid0(VALU_DEP_2) | instskip(NEXT) | instid1(VALU_DEP_2)
	v_lshlrev_b32_e32 v3, v13, v3
	v_cndmask_b32_e32 v11, v15, v11, vcc_lo
	s_delay_alu instid0(VALU_DEP_2) | instskip(NEXT) | instid1(VALU_DEP_1)
	v_and_b32_e32 v3, 7, v3
	v_cndmask_b32_e32 v3, v9, v3, vcc_lo
	s_delay_alu instid0(VALU_DEP_3) | instskip(NEXT) | instid1(VALU_DEP_2)
	v_lshl_add_u32 v9, v11, 23, 0x3b800000
	v_lshlrev_b32_e32 v3, 20, v3
	s_delay_alu instid0(VALU_DEP_1) | instskip(NEXT) | instid1(VALU_DEP_1)
	v_or3_b32 v3, v7, v9, v3
	v_cvt_i32_f32_e32 v3, v3
.LBB39_1892:
	s_or_b32 exec_lo, exec_lo, s15
.LBB39_1893:
	s_mov_b32 s15, -1
.LBB39_1894:
	s_mov_b32 s16, 0
.LBB39_1895:
	s_delay_alu instid0(SALU_CYCLE_1)
	s_and_b32 vcc_lo, exec_lo, s16
	s_cbranch_vccz .LBB39_1926
; %bb.1896:
	s_cmp_gt_i32 s11, 22
	s_cbranch_scc0 .LBB39_1904
; %bb.1897:
	s_cmp_lt_i32 s11, 24
	s_cbranch_scc1 .LBB39_1907
; %bb.1898:
	s_cmp_gt_i32 s11, 24
	s_cbranch_scc0 .LBB39_1908
; %bb.1899:
	global_load_u8 v7, v[18:19], off
	s_mov_b32 s15, 0
	s_mov_b32 s14, exec_lo
	s_wait_loadcnt 0x0
	v_cmpx_lt_i16_e32 0x7f, v7
	s_xor_b32 s14, exec_lo, s14
	s_cbranch_execz .LBB39_1920
; %bb.1900:
	v_cmp_ne_u16_e32 vcc_lo, 0x80, v7
	s_and_b32 s15, vcc_lo, exec_lo
	s_and_not1_saveexec_b32 s14, s14
	s_cbranch_execnz .LBB39_1921
.LBB39_1901:
	s_or_b32 exec_lo, exec_lo, s14
	v_mov_b32_e32 v3, 0
	s_and_saveexec_b32 s14, s15
	s_cbranch_execz .LBB39_1903
.LBB39_1902:
	v_and_b32_e32 v3, 0xffff, v7
	v_lshlrev_b32_e32 v7, 24, v7
	s_delay_alu instid0(VALU_DEP_2) | instskip(SKIP_1) | instid1(VALU_DEP_3)
	v_and_b32_e32 v9, 3, v3
	v_bfe_u32 v15, v3, 2, 5
	v_and_b32_e32 v7, 0x80000000, v7
	s_delay_alu instid0(VALU_DEP_3) | instskip(NEXT) | instid1(VALU_DEP_3)
	v_clz_i32_u32_e32 v11, v9
	v_cmp_eq_u32_e32 vcc_lo, 0, v15
	s_delay_alu instid0(VALU_DEP_2) | instskip(NEXT) | instid1(VALU_DEP_1)
	v_min_u32_e32 v11, 32, v11
	v_subrev_nc_u32_e32 v13, 29, v11
	v_sub_nc_u32_e32 v11, 30, v11
	s_delay_alu instid0(VALU_DEP_2) | instskip(NEXT) | instid1(VALU_DEP_2)
	v_lshlrev_b32_e32 v3, v13, v3
	v_cndmask_b32_e32 v11, v15, v11, vcc_lo
	s_delay_alu instid0(VALU_DEP_2) | instskip(NEXT) | instid1(VALU_DEP_1)
	v_and_b32_e32 v3, 3, v3
	v_cndmask_b32_e32 v3, v9, v3, vcc_lo
	s_delay_alu instid0(VALU_DEP_3) | instskip(NEXT) | instid1(VALU_DEP_2)
	v_lshl_add_u32 v9, v11, 23, 0x37800000
	v_lshlrev_b32_e32 v3, 21, v3
	s_delay_alu instid0(VALU_DEP_1) | instskip(NEXT) | instid1(VALU_DEP_1)
	v_or3_b32 v3, v7, v9, v3
	v_cvt_i32_f32_e32 v3, v3
.LBB39_1903:
	s_or_b32 exec_lo, exec_lo, s14
	s_mov_b32 s14, 0
	s_branch .LBB39_1909
.LBB39_1904:
	s_mov_b32 s14, -1
                                        ; implicit-def: $vgpr3
	s_branch .LBB39_1915
.LBB39_1905:
	s_and_not1_saveexec_b32 s15, s15
	s_cbranch_execz .LBB39_1890
.LBB39_1906:
	v_cmp_ne_u16_e32 vcc_lo, 0, v7
	s_and_not1_b32 s16, s16, exec_lo
	s_and_b32 s17, vcc_lo, exec_lo
	s_delay_alu instid0(SALU_CYCLE_1)
	s_or_b32 s16, s16, s17
	s_or_b32 exec_lo, exec_lo, s15
	v_mov_b32_e32 v3, 0
	s_and_saveexec_b32 s15, s16
	s_cbranch_execnz .LBB39_1891
	s_branch .LBB39_1892
.LBB39_1907:
	s_mov_b32 s14, -1
                                        ; implicit-def: $vgpr3
	s_branch .LBB39_1912
.LBB39_1908:
	s_mov_b32 s14, -1
                                        ; implicit-def: $vgpr3
.LBB39_1909:
	s_delay_alu instid0(SALU_CYCLE_1)
	s_and_b32 vcc_lo, exec_lo, s14
	s_cbranch_vccz .LBB39_1911
; %bb.1910:
	s_wait_loadcnt 0x0
	global_load_u8 v3, v[18:19], off
	s_wait_loadcnt 0x0
	v_lshlrev_b32_e32 v3, 24, v3
	s_delay_alu instid0(VALU_DEP_1) | instskip(NEXT) | instid1(VALU_DEP_1)
	v_and_b32_e32 v7, 0x7f000000, v3
	v_clz_i32_u32_e32 v9, v7
	v_cmp_ne_u32_e32 vcc_lo, 0, v7
	v_add_nc_u32_e32 v13, 0x1000000, v7
	s_delay_alu instid0(VALU_DEP_3) | instskip(NEXT) | instid1(VALU_DEP_1)
	v_min_u32_e32 v9, 32, v9
	v_sub_nc_u32_e64 v9, v9, 4 clamp
	s_delay_alu instid0(VALU_DEP_1) | instskip(NEXT) | instid1(VALU_DEP_1)
	v_dual_lshlrev_b32 v11, v9, v7 :: v_dual_lshlrev_b32 v9, 23, v9
	v_lshrrev_b32_e32 v11, 4, v11
	s_delay_alu instid0(VALU_DEP_1) | instskip(SKIP_1) | instid1(VALU_DEP_2)
	v_sub_nc_u32_e32 v9, v11, v9
	v_ashrrev_i32_e32 v11, 8, v13
	v_add_nc_u32_e32 v9, 0x3c000000, v9
	s_delay_alu instid0(VALU_DEP_1) | instskip(NEXT) | instid1(VALU_DEP_1)
	v_and_or_b32 v9, 0x7f800000, v11, v9
	v_cndmask_b32_e32 v7, 0, v9, vcc_lo
	s_delay_alu instid0(VALU_DEP_1) | instskip(NEXT) | instid1(VALU_DEP_1)
	v_and_or_b32 v3, 0x80000000, v3, v7
	v_cvt_i32_f32_e32 v3, v3
.LBB39_1911:
	s_mov_b32 s14, 0
.LBB39_1912:
	s_delay_alu instid0(SALU_CYCLE_1)
	s_and_not1_b32 vcc_lo, exec_lo, s14
	s_cbranch_vccnz .LBB39_1914
; %bb.1913:
	s_wait_loadcnt 0x0
	global_load_u8 v3, v[18:19], off
	s_wait_loadcnt 0x0
	v_lshlrev_b32_e32 v7, 25, v3
	v_lshlrev_b16 v3, 8, v3
	s_delay_alu instid0(VALU_DEP_2) | instskip(NEXT) | instid1(VALU_DEP_2)
	v_lshrrev_b32_e32 v9, 4, v7
	v_and_or_b32 v11, 0x7f00, v3, 0.5
	v_cmp_gt_u32_e32 vcc_lo, 0x8000000, v7
	v_bfe_i32 v3, v3, 0, 16
	s_delay_alu instid0(VALU_DEP_4) | instskip(NEXT) | instid1(VALU_DEP_4)
	v_or_b32_e32 v9, 0x70000000, v9
	v_add_f32_e32 v11, -0.5, v11
	s_delay_alu instid0(VALU_DEP_2) | instskip(NEXT) | instid1(VALU_DEP_1)
	v_mul_f32_e32 v9, 0x7800000, v9
	v_cndmask_b32_e32 v7, v9, v11, vcc_lo
	s_delay_alu instid0(VALU_DEP_1) | instskip(NEXT) | instid1(VALU_DEP_1)
	v_and_or_b32 v3, 0x80000000, v3, v7
	v_cvt_i32_f32_e32 v3, v3
.LBB39_1914:
	s_mov_b32 s14, 0
	s_mov_b32 s15, -1
.LBB39_1915:
	s_and_not1_b32 vcc_lo, exec_lo, s14
	s_mov_b32 s14, 0
	s_cbranch_vccnz .LBB39_1926
; %bb.1916:
	s_cmp_gt_i32 s11, 14
	s_cbranch_scc0 .LBB39_1919
; %bb.1917:
	s_cmp_eq_u32 s11, 15
	s_cbranch_scc0 .LBB39_1922
; %bb.1918:
	s_wait_loadcnt 0x0
	global_load_u16 v3, v[18:19], off
	s_mov_b32 s13, 0
	s_mov_b32 s15, -1
	s_wait_loadcnt 0x0
	v_lshlrev_b32_e32 v3, 16, v3
	s_delay_alu instid0(VALU_DEP_1)
	v_cvt_i32_f32_e32 v3, v3
	s_branch .LBB39_1924
.LBB39_1919:
	s_mov_b32 s14, -1
	s_branch .LBB39_1923
.LBB39_1920:
	s_and_not1_saveexec_b32 s14, s14
	s_cbranch_execz .LBB39_1901
.LBB39_1921:
	v_cmp_ne_u16_e32 vcc_lo, 0, v7
	s_and_not1_b32 s15, s15, exec_lo
	s_and_b32 s16, vcc_lo, exec_lo
	s_delay_alu instid0(SALU_CYCLE_1)
	s_or_b32 s15, s15, s16
	s_or_b32 exec_lo, exec_lo, s14
	v_mov_b32_e32 v3, 0
	s_and_saveexec_b32 s14, s15
	s_cbranch_execnz .LBB39_1902
	s_branch .LBB39_1903
.LBB39_1922:
	s_mov_b32 s13, -1
.LBB39_1923:
                                        ; implicit-def: $vgpr3
.LBB39_1924:
	s_and_b32 vcc_lo, exec_lo, s14
	s_mov_b32 s14, 0
	s_cbranch_vccz .LBB39_1926
; %bb.1925:
	s_cmp_lg_u32 s11, 11
	s_mov_b32 s14, -1
	s_cselect_b32 s13, -1, 0
.LBB39_1926:
	s_delay_alu instid0(SALU_CYCLE_1)
	s_and_b32 vcc_lo, exec_lo, s13
	s_cbranch_vccnz .LBB39_1989
; %bb.1927:
	s_and_not1_b32 vcc_lo, exec_lo, s14
	s_cbranch_vccnz .LBB39_1929
.LBB39_1928:
	s_wait_loadcnt 0x0
	global_load_u8 v3, v[18:19], off
	s_mov_b32 s15, -1
	s_wait_loadcnt 0x0
	v_cmp_ne_u16_e32 vcc_lo, 0, v3
	v_cndmask_b32_e64 v3, 0, 1, vcc_lo
.LBB39_1929:
	s_branch .LBB39_1860
.LBB39_1930:
	s_cmp_lt_i32 s11, 5
	s_cbranch_scc1 .LBB39_1935
; %bb.1931:
	s_cmp_lt_i32 s11, 8
	s_cbranch_scc1 .LBB39_1936
; %bb.1932:
	;; [unrolled: 3-line block ×3, first 2 shown]
	s_cmp_gt_i32 s11, 9
	s_cbranch_scc0 .LBB39_1938
; %bb.1934:
	global_load_b64 v[20:21], v[18:19], off
	s_mov_b32 s13, 0
	s_wait_loadcnt 0x0
	v_cvt_i32_f64_e32 v3, v[20:21]
	s_branch .LBB39_1939
.LBB39_1935:
	s_mov_b32 s13, -1
                                        ; implicit-def: $vgpr3
	s_branch .LBB39_1957
.LBB39_1936:
	s_mov_b32 s13, -1
                                        ; implicit-def: $vgpr3
	s_branch .LBB39_1945
.LBB39_1937:
	s_mov_b32 s13, -1
                                        ; implicit-def: $vgpr3
	s_branch .LBB39_1942
.LBB39_1938:
	s_mov_b32 s13, -1
                                        ; implicit-def: $vgpr3
.LBB39_1939:
	s_delay_alu instid0(SALU_CYCLE_1)
	s_and_not1_b32 vcc_lo, exec_lo, s13
	s_cbranch_vccnz .LBB39_1941
; %bb.1940:
	s_wait_loadcnt 0x0
	global_load_b32 v3, v[18:19], off
	s_wait_loadcnt 0x0
	v_cvt_i32_f32_e32 v3, v3
.LBB39_1941:
	s_mov_b32 s13, 0
.LBB39_1942:
	s_delay_alu instid0(SALU_CYCLE_1)
	s_and_not1_b32 vcc_lo, exec_lo, s13
	s_cbranch_vccnz .LBB39_1944
; %bb.1943:
	s_wait_loadcnt 0x0
	global_load_b32 v3, v[18:19], off
	s_wait_loadcnt 0x0
	v_cvt_f32_f16_e32 v3, v3
	s_delay_alu instid0(VALU_DEP_1)
	v_cvt_i32_f32_e32 v3, v3
.LBB39_1944:
	s_mov_b32 s13, 0
.LBB39_1945:
	s_delay_alu instid0(SALU_CYCLE_1)
	s_and_not1_b32 vcc_lo, exec_lo, s13
	s_cbranch_vccnz .LBB39_1956
; %bb.1946:
	s_cmp_lt_i32 s11, 6
	s_cbranch_scc1 .LBB39_1949
; %bb.1947:
	s_cmp_gt_i32 s11, 6
	s_cbranch_scc0 .LBB39_1950
; %bb.1948:
	global_load_b64 v[20:21], v[18:19], off
	s_mov_b32 s13, 0
	s_wait_loadcnt 0x0
	v_cvt_i32_f64_e32 v3, v[20:21]
	s_branch .LBB39_1951
.LBB39_1949:
	s_mov_b32 s13, -1
                                        ; implicit-def: $vgpr3
	s_branch .LBB39_1954
.LBB39_1950:
	s_mov_b32 s13, -1
                                        ; implicit-def: $vgpr3
.LBB39_1951:
	s_delay_alu instid0(SALU_CYCLE_1)
	s_and_not1_b32 vcc_lo, exec_lo, s13
	s_cbranch_vccnz .LBB39_1953
; %bb.1952:
	s_wait_loadcnt 0x0
	global_load_b32 v3, v[18:19], off
	s_wait_loadcnt 0x0
	v_cvt_i32_f32_e32 v3, v3
.LBB39_1953:
	s_mov_b32 s13, 0
.LBB39_1954:
	s_delay_alu instid0(SALU_CYCLE_1)
	s_and_not1_b32 vcc_lo, exec_lo, s13
	s_cbranch_vccnz .LBB39_1956
; %bb.1955:
	s_wait_loadcnt 0x0
	global_load_u16 v3, v[18:19], off
	s_wait_loadcnt 0x0
	v_cvt_f32_f16_e32 v3, v3
	s_delay_alu instid0(VALU_DEP_1)
	v_cvt_i32_f32_e32 v3, v3
.LBB39_1956:
	s_mov_b32 s13, 0
.LBB39_1957:
	s_delay_alu instid0(SALU_CYCLE_1)
	s_and_not1_b32 vcc_lo, exec_lo, s13
	s_cbranch_vccnz .LBB39_1977
; %bb.1958:
	s_cmp_lt_i32 s11, 2
	s_cbranch_scc1 .LBB39_1962
; %bb.1959:
	s_cmp_lt_i32 s11, 3
	s_cbranch_scc1 .LBB39_1963
; %bb.1960:
	s_cmp_gt_i32 s11, 3
	s_cbranch_scc0 .LBB39_1964
; %bb.1961:
	s_wait_loadcnt 0x0
	global_load_b32 v3, v[18:19], off
	s_mov_b32 s13, 0
	s_branch .LBB39_1965
.LBB39_1962:
	s_mov_b32 s13, -1
                                        ; implicit-def: $vgpr3
	s_branch .LBB39_1971
.LBB39_1963:
	s_mov_b32 s13, -1
                                        ; implicit-def: $vgpr3
	s_branch .LBB39_1968
.LBB39_1964:
	s_mov_b32 s13, -1
                                        ; implicit-def: $vgpr3
.LBB39_1965:
	s_delay_alu instid0(SALU_CYCLE_1)
	s_and_not1_b32 vcc_lo, exec_lo, s13
	s_cbranch_vccnz .LBB39_1967
; %bb.1966:
	s_wait_loadcnt 0x0
	global_load_b32 v3, v[18:19], off
.LBB39_1967:
	s_mov_b32 s13, 0
.LBB39_1968:
	s_delay_alu instid0(SALU_CYCLE_1)
	s_and_not1_b32 vcc_lo, exec_lo, s13
	s_cbranch_vccnz .LBB39_1970
; %bb.1969:
	s_wait_loadcnt 0x0
	global_load_i16 v3, v[18:19], off
.LBB39_1970:
	s_mov_b32 s13, 0
.LBB39_1971:
	s_delay_alu instid0(SALU_CYCLE_1)
	s_and_not1_b32 vcc_lo, exec_lo, s13
	s_cbranch_vccnz .LBB39_1977
; %bb.1972:
	s_cmp_gt_i32 s11, 0
	s_mov_b32 s13, 0
	s_cbranch_scc0 .LBB39_1974
; %bb.1973:
	s_wait_loadcnt 0x0
	global_load_i8 v3, v[18:19], off
	s_branch .LBB39_1975
.LBB39_1974:
	s_mov_b32 s13, -1
                                        ; implicit-def: $vgpr3
.LBB39_1975:
	s_delay_alu instid0(SALU_CYCLE_1)
	s_and_not1_b32 vcc_lo, exec_lo, s13
	s_cbranch_vccnz .LBB39_1977
; %bb.1976:
	s_wait_loadcnt 0x0
	global_load_u8 v3, v[18:19], off
.LBB39_1977:
.LBB39_1978:
	v_mov_b32_e32 v17, 0
	s_and_b32 s12, 0xffff, s12
	s_delay_alu instid0(SALU_CYCLE_1) | instskip(NEXT) | instid1(VALU_DEP_1)
	s_cmp_lt_i32 s12, 11
	v_add_nc_u64_e32 v[16:17], s[0:1], v[16:17]
	s_cbranch_scc1 .LBB39_1985
; %bb.1979:
	s_cmp_gt_i32 s12, 25
	s_mov_b32 s14, 0
	s_cbranch_scc0 .LBB39_1986
; %bb.1980:
	s_cmp_gt_i32 s12, 28
	s_cbranch_scc0 .LBB39_1987
; %bb.1981:
	s_cmp_gt_i32 s12, 43
	;; [unrolled: 3-line block ×3, first 2 shown]
	s_cbranch_scc0 .LBB39_1990
; %bb.1983:
	s_cmp_eq_u32 s12, 46
	s_mov_b32 s16, 0
	s_cbranch_scc0 .LBB39_1991
; %bb.1984:
	global_load_b32 v7, v[16:17], off
	s_mov_b32 s13, 0
	s_mov_b32 s15, -1
	s_wait_loadcnt 0x0
	v_lshlrev_b32_e32 v7, 16, v7
	s_wait_xcnt 0x1
	s_delay_alu instid0(VALU_DEP_1)
	v_cvt_i32_f32_e32 v18, v7
	s_branch .LBB39_1993
.LBB39_1985:
	s_mov_b32 s13, -1
	s_mov_b32 s15, 0
                                        ; implicit-def: $vgpr18
	s_branch .LBB39_2055
.LBB39_1986:
	s_mov_b32 s16, -1
	s_mov_b32 s15, 0
	s_mov_b32 s13, 0
                                        ; implicit-def: $vgpr18
	s_branch .LBB39_2020
.LBB39_1987:
	s_mov_b32 s16, -1
	s_mov_b32 s15, 0
	s_mov_b32 s13, 0
                                        ; implicit-def: $vgpr18
	s_branch .LBB39_2003
.LBB39_1988:
	s_mov_b32 s16, -1
	s_mov_b32 s15, 0
	s_mov_b32 s13, 0
                                        ; implicit-def: $vgpr18
	s_branch .LBB39_1998
.LBB39_1989:
	s_or_b32 s10, s10, exec_lo
	s_trap 2
	s_cbranch_execz .LBB39_1928
	s_branch .LBB39_1929
.LBB39_1990:
	s_mov_b32 s16, -1
	s_mov_b32 s15, 0
	s_mov_b32 s13, 0
	s_branch .LBB39_1992
.LBB39_1991:
	s_mov_b32 s13, -1
	s_mov_b32 s15, 0
.LBB39_1992:
                                        ; implicit-def: $vgpr18
.LBB39_1993:
	s_and_b32 vcc_lo, exec_lo, s16
	s_cbranch_vccz .LBB39_1997
; %bb.1994:
	s_cmp_eq_u32 s12, 44
	s_cbranch_scc0 .LBB39_1996
; %bb.1995:
	global_load_u8 v7, v[16:17], off
	s_mov_b32 s13, 0
	s_mov_b32 s15, -1
	s_wait_loadcnt 0x0
	v_lshlrev_b32_e32 v9, 23, v7
	v_cmp_ne_u32_e32 vcc_lo, 0, v7
	s_delay_alu instid0(VALU_DEP_2) | instskip(SKIP_1) | instid1(VALU_DEP_1)
	v_cvt_i32_f32_e32 v9, v9
	s_wait_xcnt 0x1
	v_cndmask_b32_e32 v18, 0, v9, vcc_lo
	s_branch .LBB39_1997
.LBB39_1996:
	s_mov_b32 s13, -1
                                        ; implicit-def: $vgpr18
.LBB39_1997:
	s_mov_b32 s16, 0
.LBB39_1998:
	s_delay_alu instid0(SALU_CYCLE_1)
	s_and_b32 vcc_lo, exec_lo, s16
	s_cbranch_vccz .LBB39_2002
; %bb.1999:
	s_cmp_eq_u32 s12, 29
	s_cbranch_scc0 .LBB39_2001
; %bb.2000:
	global_load_b32 v18, v[16:17], off
	s_mov_b32 s13, 0
	s_mov_b32 s15, -1
	s_branch .LBB39_2002
.LBB39_2001:
	s_mov_b32 s13, -1
                                        ; implicit-def: $vgpr18
.LBB39_2002:
	s_mov_b32 s16, 0
.LBB39_2003:
	s_delay_alu instid0(SALU_CYCLE_1)
	s_and_b32 vcc_lo, exec_lo, s16
	s_cbranch_vccz .LBB39_2019
; %bb.2004:
	s_cmp_lt_i32 s12, 27
	s_cbranch_scc1 .LBB39_2007
; %bb.2005:
	s_cmp_gt_i32 s12, 27
	s_cbranch_scc0 .LBB39_2008
; %bb.2006:
	s_wait_loadcnt 0x0
	global_load_b32 v18, v[16:17], off
	s_mov_b32 s15, 0
	s_branch .LBB39_2009
.LBB39_2007:
	s_mov_b32 s15, -1
                                        ; implicit-def: $vgpr18
	s_branch .LBB39_2012
.LBB39_2008:
	s_mov_b32 s15, -1
                                        ; implicit-def: $vgpr18
.LBB39_2009:
	s_delay_alu instid0(SALU_CYCLE_1)
	s_and_not1_b32 vcc_lo, exec_lo, s15
	s_cbranch_vccnz .LBB39_2011
; %bb.2010:
	s_wait_loadcnt 0x0
	global_load_u16 v18, v[16:17], off
.LBB39_2011:
	s_mov_b32 s15, 0
.LBB39_2012:
	s_delay_alu instid0(SALU_CYCLE_1)
	s_and_not1_b32 vcc_lo, exec_lo, s15
	s_cbranch_vccnz .LBB39_2018
; %bb.2013:
	global_load_u8 v7, v[16:17], off
	s_mov_b32 s16, 0
	s_mov_b32 s15, exec_lo
	s_wait_loadcnt 0x0
	v_cmpx_lt_i16_e32 0x7f, v7
	s_xor_b32 s15, exec_lo, s15
	s_cbranch_execz .LBB39_2030
; %bb.2014:
	v_cmp_ne_u16_e32 vcc_lo, 0x80, v7
	s_and_b32 s16, vcc_lo, exec_lo
	s_and_not1_saveexec_b32 s15, s15
	s_cbranch_execnz .LBB39_2031
.LBB39_2015:
	s_or_b32 exec_lo, exec_lo, s15
	v_mov_b32_e32 v18, 0
	s_and_saveexec_b32 s15, s16
	s_cbranch_execz .LBB39_2017
.LBB39_2016:
	v_and_b32_e32 v9, 0xffff, v7
	s_delay_alu instid0(VALU_DEP_1) | instskip(SKIP_1) | instid1(VALU_DEP_2)
	v_dual_lshlrev_b32 v7, 24, v7 :: v_dual_bitop2_b32 v11, 7, v9 bitop3:0x40
	v_bfe_u32 v18, v9, 3, 4
	v_and_b32_e32 v7, 0x80000000, v7
	s_delay_alu instid0(VALU_DEP_3) | instskip(NEXT) | instid1(VALU_DEP_3)
	v_clz_i32_u32_e32 v13, v11
	v_cmp_eq_u32_e32 vcc_lo, 0, v18
	s_delay_alu instid0(VALU_DEP_2) | instskip(NEXT) | instid1(VALU_DEP_1)
	v_min_u32_e32 v13, 32, v13
	v_subrev_nc_u32_e32 v15, 28, v13
	v_sub_nc_u32_e32 v13, 29, v13
	s_delay_alu instid0(VALU_DEP_2) | instskip(NEXT) | instid1(VALU_DEP_2)
	v_lshlrev_b32_e32 v9, v15, v9
	v_cndmask_b32_e32 v13, v18, v13, vcc_lo
	s_delay_alu instid0(VALU_DEP_2) | instskip(NEXT) | instid1(VALU_DEP_1)
	v_and_b32_e32 v9, 7, v9
	v_cndmask_b32_e32 v9, v11, v9, vcc_lo
	s_delay_alu instid0(VALU_DEP_3) | instskip(NEXT) | instid1(VALU_DEP_2)
	v_lshl_add_u32 v11, v13, 23, 0x3b800000
	v_lshlrev_b32_e32 v9, 20, v9
	s_delay_alu instid0(VALU_DEP_1) | instskip(NEXT) | instid1(VALU_DEP_1)
	v_or3_b32 v7, v7, v11, v9
	v_cvt_i32_f32_e32 v18, v7
.LBB39_2017:
	s_or_b32 exec_lo, exec_lo, s15
.LBB39_2018:
	s_mov_b32 s15, -1
.LBB39_2019:
	s_mov_b32 s16, 0
.LBB39_2020:
	s_delay_alu instid0(SALU_CYCLE_1)
	s_and_b32 vcc_lo, exec_lo, s16
	s_cbranch_vccz .LBB39_2051
; %bb.2021:
	s_cmp_gt_i32 s12, 22
	s_cbranch_scc0 .LBB39_2029
; %bb.2022:
	s_cmp_lt_i32 s12, 24
	s_cbranch_scc1 .LBB39_2032
; %bb.2023:
	s_cmp_gt_i32 s12, 24
	s_cbranch_scc0 .LBB39_2033
; %bb.2024:
	global_load_u8 v7, v[16:17], off
	s_mov_b32 s15, 0
	s_mov_b32 s14, exec_lo
	s_wait_loadcnt 0x0
	v_cmpx_lt_i16_e32 0x7f, v7
	s_xor_b32 s14, exec_lo, s14
	s_cbranch_execz .LBB39_2045
; %bb.2025:
	v_cmp_ne_u16_e32 vcc_lo, 0x80, v7
	s_and_b32 s15, vcc_lo, exec_lo
	s_and_not1_saveexec_b32 s14, s14
	s_cbranch_execnz .LBB39_2046
.LBB39_2026:
	s_or_b32 exec_lo, exec_lo, s14
	v_mov_b32_e32 v18, 0
	s_and_saveexec_b32 s14, s15
	s_cbranch_execz .LBB39_2028
.LBB39_2027:
	v_and_b32_e32 v9, 0xffff, v7
	s_delay_alu instid0(VALU_DEP_1) | instskip(SKIP_1) | instid1(VALU_DEP_2)
	v_dual_lshlrev_b32 v7, 24, v7 :: v_dual_bitop2_b32 v11, 3, v9 bitop3:0x40
	v_bfe_u32 v18, v9, 2, 5
	v_and_b32_e32 v7, 0x80000000, v7
	s_delay_alu instid0(VALU_DEP_3) | instskip(NEXT) | instid1(VALU_DEP_3)
	v_clz_i32_u32_e32 v13, v11
	v_cmp_eq_u32_e32 vcc_lo, 0, v18
	s_delay_alu instid0(VALU_DEP_2) | instskip(NEXT) | instid1(VALU_DEP_1)
	v_min_u32_e32 v13, 32, v13
	v_subrev_nc_u32_e32 v15, 29, v13
	v_sub_nc_u32_e32 v13, 30, v13
	s_delay_alu instid0(VALU_DEP_2) | instskip(NEXT) | instid1(VALU_DEP_2)
	v_lshlrev_b32_e32 v9, v15, v9
	v_cndmask_b32_e32 v13, v18, v13, vcc_lo
	s_delay_alu instid0(VALU_DEP_2) | instskip(NEXT) | instid1(VALU_DEP_1)
	v_and_b32_e32 v9, 3, v9
	v_cndmask_b32_e32 v9, v11, v9, vcc_lo
	s_delay_alu instid0(VALU_DEP_3) | instskip(NEXT) | instid1(VALU_DEP_2)
	v_lshl_add_u32 v11, v13, 23, 0x37800000
	v_lshlrev_b32_e32 v9, 21, v9
	s_delay_alu instid0(VALU_DEP_1) | instskip(NEXT) | instid1(VALU_DEP_1)
	v_or3_b32 v7, v7, v11, v9
	v_cvt_i32_f32_e32 v18, v7
.LBB39_2028:
	s_or_b32 exec_lo, exec_lo, s14
	s_mov_b32 s14, 0
	s_branch .LBB39_2034
.LBB39_2029:
	s_mov_b32 s14, -1
                                        ; implicit-def: $vgpr18
	s_branch .LBB39_2040
.LBB39_2030:
	s_and_not1_saveexec_b32 s15, s15
	s_cbranch_execz .LBB39_2015
.LBB39_2031:
	v_cmp_ne_u16_e32 vcc_lo, 0, v7
	s_and_not1_b32 s16, s16, exec_lo
	s_and_b32 s17, vcc_lo, exec_lo
	s_delay_alu instid0(SALU_CYCLE_1)
	s_or_b32 s16, s16, s17
	s_or_b32 exec_lo, exec_lo, s15
	v_mov_b32_e32 v18, 0
	s_and_saveexec_b32 s15, s16
	s_cbranch_execnz .LBB39_2016
	s_branch .LBB39_2017
.LBB39_2032:
	s_mov_b32 s14, -1
                                        ; implicit-def: $vgpr18
	s_branch .LBB39_2037
.LBB39_2033:
	s_mov_b32 s14, -1
                                        ; implicit-def: $vgpr18
.LBB39_2034:
	s_delay_alu instid0(SALU_CYCLE_1)
	s_and_b32 vcc_lo, exec_lo, s14
	s_cbranch_vccz .LBB39_2036
; %bb.2035:
	global_load_u8 v7, v[16:17], off
	s_wait_loadcnt 0x0
	v_lshlrev_b32_e32 v7, 24, v7
	s_delay_alu instid0(VALU_DEP_1) | instskip(NEXT) | instid1(VALU_DEP_1)
	v_and_b32_e32 v9, 0x7f000000, v7
	v_clz_i32_u32_e32 v11, v9
	v_add_nc_u32_e32 v15, 0x1000000, v9
	v_cmp_ne_u32_e32 vcc_lo, 0, v9
	s_delay_alu instid0(VALU_DEP_3) | instskip(NEXT) | instid1(VALU_DEP_1)
	v_min_u32_e32 v11, 32, v11
	v_sub_nc_u32_e64 v11, v11, 4 clamp
	s_delay_alu instid0(VALU_DEP_1) | instskip(NEXT) | instid1(VALU_DEP_1)
	v_dual_lshlrev_b32 v13, v11, v9 :: v_dual_lshlrev_b32 v11, 23, v11
	v_lshrrev_b32_e32 v13, 4, v13
	s_delay_alu instid0(VALU_DEP_1) | instskip(SKIP_1) | instid1(VALU_DEP_2)
	v_sub_nc_u32_e32 v11, v13, v11
	v_ashrrev_i32_e32 v13, 8, v15
	v_add_nc_u32_e32 v11, 0x3c000000, v11
	s_delay_alu instid0(VALU_DEP_1) | instskip(NEXT) | instid1(VALU_DEP_1)
	v_and_or_b32 v11, 0x7f800000, v13, v11
	v_cndmask_b32_e32 v9, 0, v11, vcc_lo
	s_delay_alu instid0(VALU_DEP_1) | instskip(SKIP_1) | instid1(VALU_DEP_1)
	v_and_or_b32 v7, 0x80000000, v7, v9
	s_wait_xcnt 0x1
	v_cvt_i32_f32_e32 v18, v7
.LBB39_2036:
	s_mov_b32 s14, 0
.LBB39_2037:
	s_delay_alu instid0(SALU_CYCLE_1)
	s_and_not1_b32 vcc_lo, exec_lo, s14
	s_cbranch_vccnz .LBB39_2039
; %bb.2038:
	global_load_u8 v7, v[16:17], off
	s_wait_loadcnt 0x0
	v_lshlrev_b32_e32 v9, 25, v7
	v_lshlrev_b16 v7, 8, v7
	s_delay_alu instid0(VALU_DEP_1) | instskip(SKIP_1) | instid1(VALU_DEP_2)
	v_and_or_b32 v13, 0x7f00, v7, 0.5
	v_bfe_i32 v7, v7, 0, 16
	v_add_f32_e32 v13, -0.5, v13
	v_lshrrev_b32_e32 v11, 4, v9
	v_cmp_gt_u32_e32 vcc_lo, 0x8000000, v9
	s_delay_alu instid0(VALU_DEP_2) | instskip(NEXT) | instid1(VALU_DEP_1)
	v_or_b32_e32 v11, 0x70000000, v11
	v_mul_f32_e32 v11, 0x7800000, v11
	s_delay_alu instid0(VALU_DEP_1) | instskip(NEXT) | instid1(VALU_DEP_1)
	v_cndmask_b32_e32 v9, v11, v13, vcc_lo
	v_and_or_b32 v7, 0x80000000, v7, v9
	s_wait_xcnt 0x1
	s_delay_alu instid0(VALU_DEP_1)
	v_cvt_i32_f32_e32 v18, v7
.LBB39_2039:
	s_mov_b32 s14, 0
	s_mov_b32 s15, -1
.LBB39_2040:
	s_and_not1_b32 vcc_lo, exec_lo, s14
	s_mov_b32 s14, 0
	s_cbranch_vccnz .LBB39_2051
; %bb.2041:
	s_cmp_gt_i32 s12, 14
	s_cbranch_scc0 .LBB39_2044
; %bb.2042:
	s_cmp_eq_u32 s12, 15
	s_cbranch_scc0 .LBB39_2047
; %bb.2043:
	global_load_u16 v7, v[16:17], off
	s_mov_b32 s13, 0
	s_mov_b32 s15, -1
	s_wait_loadcnt 0x0
	v_lshlrev_b32_e32 v7, 16, v7
	s_wait_xcnt 0x1
	s_delay_alu instid0(VALU_DEP_1)
	v_cvt_i32_f32_e32 v18, v7
	s_branch .LBB39_2049
.LBB39_2044:
	s_mov_b32 s14, -1
	s_branch .LBB39_2048
.LBB39_2045:
	s_and_not1_saveexec_b32 s14, s14
	s_cbranch_execz .LBB39_2026
.LBB39_2046:
	v_cmp_ne_u16_e32 vcc_lo, 0, v7
	s_and_not1_b32 s15, s15, exec_lo
	s_and_b32 s16, vcc_lo, exec_lo
	s_delay_alu instid0(SALU_CYCLE_1)
	s_or_b32 s15, s15, s16
	s_or_b32 exec_lo, exec_lo, s14
	v_mov_b32_e32 v18, 0
	s_and_saveexec_b32 s14, s15
	s_cbranch_execnz .LBB39_2027
	s_branch .LBB39_2028
.LBB39_2047:
	s_mov_b32 s13, -1
.LBB39_2048:
                                        ; implicit-def: $vgpr18
.LBB39_2049:
	s_and_b32 vcc_lo, exec_lo, s14
	s_mov_b32 s14, 0
	s_cbranch_vccz .LBB39_2051
; %bb.2050:
	s_cmp_lg_u32 s12, 11
	s_mov_b32 s14, -1
	s_cselect_b32 s13, -1, 0
.LBB39_2051:
	s_delay_alu instid0(SALU_CYCLE_1)
	s_and_b32 vcc_lo, exec_lo, s13
	s_cbranch_vccnz .LBB39_2116
; %bb.2052:
	s_and_not1_b32 vcc_lo, exec_lo, s14
	s_cbranch_vccnz .LBB39_2054
.LBB39_2053:
	global_load_u8 v7, v[16:17], off
	s_mov_b32 s15, -1
	s_wait_loadcnt 0x0
	v_cmp_ne_u16_e32 vcc_lo, 0, v7
	s_wait_xcnt 0x1
	v_cndmask_b32_e64 v18, 0, 1, vcc_lo
.LBB39_2054:
	s_mov_b32 s13, 0
.LBB39_2055:
	s_delay_alu instid0(SALU_CYCLE_1)
	s_and_b32 vcc_lo, exec_lo, s13
	s_cbranch_vccz .LBB39_2104
; %bb.2056:
	s_cmp_lt_i32 s12, 5
	s_cbranch_scc1 .LBB39_2061
; %bb.2057:
	s_cmp_lt_i32 s12, 8
	s_cbranch_scc1 .LBB39_2062
	;; [unrolled: 3-line block ×3, first 2 shown]
; %bb.2059:
	s_cmp_gt_i32 s12, 9
	s_cbranch_scc0 .LBB39_2064
; %bb.2060:
	s_wait_loadcnt 0x0
	global_load_b64 v[18:19], v[16:17], off
	s_mov_b32 s13, 0
	s_wait_loadcnt 0x0
	v_cvt_i32_f64_e32 v18, v[18:19]
	s_branch .LBB39_2065
.LBB39_2061:
	s_mov_b32 s13, -1
                                        ; implicit-def: $vgpr18
	s_branch .LBB39_2083
.LBB39_2062:
	s_mov_b32 s13, -1
                                        ; implicit-def: $vgpr18
	s_branch .LBB39_2071
.LBB39_2063:
	s_mov_b32 s13, -1
                                        ; implicit-def: $vgpr18
	s_branch .LBB39_2068
.LBB39_2064:
	s_mov_b32 s13, -1
                                        ; implicit-def: $vgpr18
.LBB39_2065:
	s_delay_alu instid0(SALU_CYCLE_1)
	s_and_not1_b32 vcc_lo, exec_lo, s13
	s_cbranch_vccnz .LBB39_2067
; %bb.2066:
	global_load_b32 v7, v[16:17], off
	s_wait_loadcnt 0x0
	s_wait_xcnt 0x1
	v_cvt_i32_f32_e32 v18, v7
.LBB39_2067:
	s_mov_b32 s13, 0
.LBB39_2068:
	s_delay_alu instid0(SALU_CYCLE_1)
	s_and_not1_b32 vcc_lo, exec_lo, s13
	s_cbranch_vccnz .LBB39_2070
; %bb.2069:
	global_load_b32 v7, v[16:17], off
	s_wait_loadcnt 0x0
	v_cvt_f32_f16_e32 v7, v7
	s_wait_xcnt 0x1
	s_delay_alu instid0(VALU_DEP_1)
	v_cvt_i32_f32_e32 v18, v7
.LBB39_2070:
	s_mov_b32 s13, 0
.LBB39_2071:
	s_delay_alu instid0(SALU_CYCLE_1)
	s_and_not1_b32 vcc_lo, exec_lo, s13
	s_cbranch_vccnz .LBB39_2082
; %bb.2072:
	s_cmp_lt_i32 s12, 6
	s_cbranch_scc1 .LBB39_2075
; %bb.2073:
	s_cmp_gt_i32 s12, 6
	s_cbranch_scc0 .LBB39_2076
; %bb.2074:
	s_wait_loadcnt 0x0
	global_load_b64 v[18:19], v[16:17], off
	s_mov_b32 s13, 0
	s_wait_loadcnt 0x0
	v_cvt_i32_f64_e32 v18, v[18:19]
	s_branch .LBB39_2077
.LBB39_2075:
	s_mov_b32 s13, -1
                                        ; implicit-def: $vgpr18
	s_branch .LBB39_2080
.LBB39_2076:
	s_mov_b32 s13, -1
                                        ; implicit-def: $vgpr18
.LBB39_2077:
	s_delay_alu instid0(SALU_CYCLE_1)
	s_and_not1_b32 vcc_lo, exec_lo, s13
	s_cbranch_vccnz .LBB39_2079
; %bb.2078:
	global_load_b32 v7, v[16:17], off
	s_wait_loadcnt 0x0
	s_wait_xcnt 0x1
	v_cvt_i32_f32_e32 v18, v7
.LBB39_2079:
	s_mov_b32 s13, 0
.LBB39_2080:
	s_delay_alu instid0(SALU_CYCLE_1)
	s_and_not1_b32 vcc_lo, exec_lo, s13
	s_cbranch_vccnz .LBB39_2082
; %bb.2081:
	global_load_u16 v7, v[16:17], off
	s_wait_loadcnt 0x0
	v_cvt_f32_f16_e32 v7, v7
	s_wait_xcnt 0x1
	s_delay_alu instid0(VALU_DEP_1)
	v_cvt_i32_f32_e32 v18, v7
.LBB39_2082:
	s_mov_b32 s13, 0
.LBB39_2083:
	s_delay_alu instid0(SALU_CYCLE_1)
	s_and_not1_b32 vcc_lo, exec_lo, s13
	s_cbranch_vccnz .LBB39_2103
; %bb.2084:
	s_cmp_lt_i32 s12, 2
	s_cbranch_scc1 .LBB39_2088
; %bb.2085:
	s_cmp_lt_i32 s12, 3
	s_cbranch_scc1 .LBB39_2089
; %bb.2086:
	s_cmp_gt_i32 s12, 3
	s_cbranch_scc0 .LBB39_2090
; %bb.2087:
	s_wait_loadcnt 0x0
	global_load_b32 v18, v[16:17], off
	s_mov_b32 s13, 0
	s_branch .LBB39_2091
.LBB39_2088:
	s_mov_b32 s13, -1
                                        ; implicit-def: $vgpr18
	s_branch .LBB39_2097
.LBB39_2089:
	s_mov_b32 s13, -1
                                        ; implicit-def: $vgpr18
	s_branch .LBB39_2094
.LBB39_2090:
	s_mov_b32 s13, -1
                                        ; implicit-def: $vgpr18
.LBB39_2091:
	s_delay_alu instid0(SALU_CYCLE_1)
	s_and_not1_b32 vcc_lo, exec_lo, s13
	s_cbranch_vccnz .LBB39_2093
; %bb.2092:
	s_wait_loadcnt 0x0
	global_load_b32 v18, v[16:17], off
.LBB39_2093:
	s_mov_b32 s13, 0
.LBB39_2094:
	s_delay_alu instid0(SALU_CYCLE_1)
	s_and_not1_b32 vcc_lo, exec_lo, s13
	s_cbranch_vccnz .LBB39_2096
; %bb.2095:
	s_wait_loadcnt 0x0
	global_load_i16 v18, v[16:17], off
.LBB39_2096:
	s_mov_b32 s13, 0
.LBB39_2097:
	s_delay_alu instid0(SALU_CYCLE_1)
	s_and_not1_b32 vcc_lo, exec_lo, s13
	s_cbranch_vccnz .LBB39_2103
; %bb.2098:
	s_cmp_gt_i32 s12, 0
	s_mov_b32 s13, 0
	s_cbranch_scc0 .LBB39_2100
; %bb.2099:
	s_wait_loadcnt 0x0
	global_load_i8 v18, v[16:17], off
	s_branch .LBB39_2101
.LBB39_2100:
	s_mov_b32 s13, -1
                                        ; implicit-def: $vgpr18
.LBB39_2101:
	s_delay_alu instid0(SALU_CYCLE_1)
	s_and_not1_b32 vcc_lo, exec_lo, s13
	s_cbranch_vccnz .LBB39_2103
; %bb.2102:
	s_wait_loadcnt 0x0
	global_load_u8 v18, v[16:17], off
.LBB39_2103:
	s_mov_b32 s15, -1
.LBB39_2104:
	s_delay_alu instid0(SALU_CYCLE_1)
	s_and_not1_b32 vcc_lo, exec_lo, s15
	s_cbranch_vccnz .LBB39_3047
; %bb.2105:
	v_mov_b32_e32 v15, 0
	s_cmp_lt_i32 s11, 11
	s_delay_alu instid0(VALU_DEP_1)
	v_add_nc_u64_e32 v[14:15], s[6:7], v[14:15]
	s_cbranch_scc1 .LBB39_2112
; %bb.2106:
	s_cmp_gt_i32 s11, 25
	s_mov_b32 s14, 0
	s_cbranch_scc0 .LBB39_2113
; %bb.2107:
	s_cmp_gt_i32 s11, 28
	s_cbranch_scc0 .LBB39_2114
; %bb.2108:
	s_cmp_gt_i32 s11, 43
	;; [unrolled: 3-line block ×3, first 2 shown]
	s_cbranch_scc0 .LBB39_2117
; %bb.2110:
	s_cmp_eq_u32 s11, 46
	s_mov_b32 s16, 0
	s_cbranch_scc0 .LBB39_2118
; %bb.2111:
	global_load_b32 v7, v[14:15], off
	s_mov_b32 s13, 0
	s_mov_b32 s15, -1
	s_wait_loadcnt 0x0
	v_lshlrev_b32_e32 v7, 16, v7
	s_wait_xcnt 0x1
	s_delay_alu instid0(VALU_DEP_1)
	v_cvt_i32_f32_e32 v16, v7
	s_branch .LBB39_2120
.LBB39_2112:
	s_mov_b32 s13, -1
	s_mov_b32 s15, 0
                                        ; implicit-def: $vgpr16
	s_branch .LBB39_2182
.LBB39_2113:
	s_mov_b32 s16, -1
	s_mov_b32 s15, 0
	s_mov_b32 s13, 0
                                        ; implicit-def: $vgpr16
	s_branch .LBB39_2147
.LBB39_2114:
	s_mov_b32 s16, -1
	s_mov_b32 s15, 0
	s_mov_b32 s13, 0
                                        ; implicit-def: $vgpr16
	s_branch .LBB39_2130
.LBB39_2115:
	s_mov_b32 s16, -1
	s_mov_b32 s15, 0
	s_mov_b32 s13, 0
                                        ; implicit-def: $vgpr16
	s_branch .LBB39_2125
.LBB39_2116:
	s_or_b32 s10, s10, exec_lo
	s_trap 2
	s_cbranch_execz .LBB39_2053
	s_branch .LBB39_2054
.LBB39_2117:
	s_mov_b32 s16, -1
	s_mov_b32 s15, 0
	s_mov_b32 s13, 0
	s_branch .LBB39_2119
.LBB39_2118:
	s_mov_b32 s13, -1
	s_mov_b32 s15, 0
.LBB39_2119:
                                        ; implicit-def: $vgpr16
.LBB39_2120:
	s_and_b32 vcc_lo, exec_lo, s16
	s_cbranch_vccz .LBB39_2124
; %bb.2121:
	s_cmp_eq_u32 s11, 44
	s_cbranch_scc0 .LBB39_2123
; %bb.2122:
	global_load_u8 v7, v[14:15], off
	s_mov_b32 s13, 0
	s_mov_b32 s15, -1
	s_wait_loadcnt 0x0
	v_lshlrev_b32_e32 v9, 23, v7
	v_cmp_ne_u32_e32 vcc_lo, 0, v7
	s_delay_alu instid0(VALU_DEP_2) | instskip(SKIP_1) | instid1(VALU_DEP_1)
	v_cvt_i32_f32_e32 v9, v9
	s_wait_xcnt 0x1
	v_cndmask_b32_e32 v16, 0, v9, vcc_lo
	s_branch .LBB39_2124
.LBB39_2123:
	s_mov_b32 s13, -1
                                        ; implicit-def: $vgpr16
.LBB39_2124:
	s_mov_b32 s16, 0
.LBB39_2125:
	s_delay_alu instid0(SALU_CYCLE_1)
	s_and_b32 vcc_lo, exec_lo, s16
	s_cbranch_vccz .LBB39_2129
; %bb.2126:
	s_cmp_eq_u32 s11, 29
	s_cbranch_scc0 .LBB39_2128
; %bb.2127:
	global_load_b32 v16, v[14:15], off
	s_mov_b32 s13, 0
	s_mov_b32 s15, -1
	s_branch .LBB39_2129
.LBB39_2128:
	s_mov_b32 s13, -1
                                        ; implicit-def: $vgpr16
.LBB39_2129:
	s_mov_b32 s16, 0
.LBB39_2130:
	s_delay_alu instid0(SALU_CYCLE_1)
	s_and_b32 vcc_lo, exec_lo, s16
	s_cbranch_vccz .LBB39_2146
; %bb.2131:
	s_cmp_lt_i32 s11, 27
	s_cbranch_scc1 .LBB39_2134
; %bb.2132:
	s_cmp_gt_i32 s11, 27
	s_cbranch_scc0 .LBB39_2135
; %bb.2133:
	s_wait_loadcnt 0x0
	global_load_b32 v16, v[14:15], off
	s_mov_b32 s15, 0
	s_branch .LBB39_2136
.LBB39_2134:
	s_mov_b32 s15, -1
                                        ; implicit-def: $vgpr16
	s_branch .LBB39_2139
.LBB39_2135:
	s_mov_b32 s15, -1
                                        ; implicit-def: $vgpr16
.LBB39_2136:
	s_delay_alu instid0(SALU_CYCLE_1)
	s_and_not1_b32 vcc_lo, exec_lo, s15
	s_cbranch_vccnz .LBB39_2138
; %bb.2137:
	s_wait_loadcnt 0x0
	global_load_u16 v16, v[14:15], off
.LBB39_2138:
	s_mov_b32 s15, 0
.LBB39_2139:
	s_delay_alu instid0(SALU_CYCLE_1)
	s_and_not1_b32 vcc_lo, exec_lo, s15
	s_cbranch_vccnz .LBB39_2145
; %bb.2140:
	global_load_u8 v7, v[14:15], off
	s_mov_b32 s16, 0
	s_mov_b32 s15, exec_lo
	s_wait_loadcnt 0x0
	v_cmpx_lt_i16_e32 0x7f, v7
	s_xor_b32 s15, exec_lo, s15
	s_cbranch_execz .LBB39_2157
; %bb.2141:
	v_cmp_ne_u16_e32 vcc_lo, 0x80, v7
	s_and_b32 s16, vcc_lo, exec_lo
	s_and_not1_saveexec_b32 s15, s15
	s_cbranch_execnz .LBB39_2158
.LBB39_2142:
	s_or_b32 exec_lo, exec_lo, s15
	v_mov_b32_e32 v16, 0
	s_and_saveexec_b32 s15, s16
	s_cbranch_execz .LBB39_2144
.LBB39_2143:
	v_and_b32_e32 v9, 0xffff, v7
	s_delay_alu instid0(VALU_DEP_1) | instskip(SKIP_1) | instid1(VALU_DEP_2)
	v_dual_lshlrev_b32 v7, 24, v7 :: v_dual_bitop2_b32 v11, 7, v9 bitop3:0x40
	v_bfe_u32 v17, v9, 3, 4
	v_and_b32_e32 v7, 0x80000000, v7
	s_delay_alu instid0(VALU_DEP_3) | instskip(NEXT) | instid1(VALU_DEP_3)
	v_clz_i32_u32_e32 v13, v11
	v_cmp_eq_u32_e32 vcc_lo, 0, v17
	s_delay_alu instid0(VALU_DEP_2) | instskip(NEXT) | instid1(VALU_DEP_1)
	v_min_u32_e32 v13, 32, v13
	v_subrev_nc_u32_e32 v16, 28, v13
	v_sub_nc_u32_e32 v13, 29, v13
	s_delay_alu instid0(VALU_DEP_2) | instskip(NEXT) | instid1(VALU_DEP_2)
	v_lshlrev_b32_e32 v9, v16, v9
	v_cndmask_b32_e32 v13, v17, v13, vcc_lo
	s_delay_alu instid0(VALU_DEP_2) | instskip(NEXT) | instid1(VALU_DEP_1)
	v_and_b32_e32 v9, 7, v9
	v_cndmask_b32_e32 v9, v11, v9, vcc_lo
	s_delay_alu instid0(VALU_DEP_3) | instskip(NEXT) | instid1(VALU_DEP_2)
	v_lshl_add_u32 v11, v13, 23, 0x3b800000
	v_lshlrev_b32_e32 v9, 20, v9
	s_delay_alu instid0(VALU_DEP_1) | instskip(NEXT) | instid1(VALU_DEP_1)
	v_or3_b32 v7, v7, v11, v9
	v_cvt_i32_f32_e32 v16, v7
.LBB39_2144:
	s_or_b32 exec_lo, exec_lo, s15
.LBB39_2145:
	s_mov_b32 s15, -1
.LBB39_2146:
	s_mov_b32 s16, 0
.LBB39_2147:
	s_delay_alu instid0(SALU_CYCLE_1)
	s_and_b32 vcc_lo, exec_lo, s16
	s_cbranch_vccz .LBB39_2178
; %bb.2148:
	s_cmp_gt_i32 s11, 22
	s_cbranch_scc0 .LBB39_2156
; %bb.2149:
	s_cmp_lt_i32 s11, 24
	s_cbranch_scc1 .LBB39_2159
; %bb.2150:
	s_cmp_gt_i32 s11, 24
	s_cbranch_scc0 .LBB39_2160
; %bb.2151:
	global_load_u8 v7, v[14:15], off
	s_mov_b32 s15, 0
	s_mov_b32 s14, exec_lo
	s_wait_loadcnt 0x0
	v_cmpx_lt_i16_e32 0x7f, v7
	s_xor_b32 s14, exec_lo, s14
	s_cbranch_execz .LBB39_2172
; %bb.2152:
	v_cmp_ne_u16_e32 vcc_lo, 0x80, v7
	s_and_b32 s15, vcc_lo, exec_lo
	s_and_not1_saveexec_b32 s14, s14
	s_cbranch_execnz .LBB39_2173
.LBB39_2153:
	s_or_b32 exec_lo, exec_lo, s14
	v_mov_b32_e32 v16, 0
	s_and_saveexec_b32 s14, s15
	s_cbranch_execz .LBB39_2155
.LBB39_2154:
	v_and_b32_e32 v9, 0xffff, v7
	s_delay_alu instid0(VALU_DEP_1) | instskip(SKIP_1) | instid1(VALU_DEP_2)
	v_dual_lshlrev_b32 v7, 24, v7 :: v_dual_bitop2_b32 v11, 3, v9 bitop3:0x40
	v_bfe_u32 v17, v9, 2, 5
	v_and_b32_e32 v7, 0x80000000, v7
	s_delay_alu instid0(VALU_DEP_3) | instskip(NEXT) | instid1(VALU_DEP_3)
	v_clz_i32_u32_e32 v13, v11
	v_cmp_eq_u32_e32 vcc_lo, 0, v17
	s_delay_alu instid0(VALU_DEP_2) | instskip(NEXT) | instid1(VALU_DEP_1)
	v_min_u32_e32 v13, 32, v13
	v_subrev_nc_u32_e32 v16, 29, v13
	v_sub_nc_u32_e32 v13, 30, v13
	s_delay_alu instid0(VALU_DEP_2) | instskip(NEXT) | instid1(VALU_DEP_2)
	v_lshlrev_b32_e32 v9, v16, v9
	v_cndmask_b32_e32 v13, v17, v13, vcc_lo
	s_delay_alu instid0(VALU_DEP_2) | instskip(NEXT) | instid1(VALU_DEP_1)
	v_and_b32_e32 v9, 3, v9
	v_cndmask_b32_e32 v9, v11, v9, vcc_lo
	s_delay_alu instid0(VALU_DEP_3) | instskip(NEXT) | instid1(VALU_DEP_2)
	v_lshl_add_u32 v11, v13, 23, 0x37800000
	v_lshlrev_b32_e32 v9, 21, v9
	s_delay_alu instid0(VALU_DEP_1) | instskip(NEXT) | instid1(VALU_DEP_1)
	v_or3_b32 v7, v7, v11, v9
	v_cvt_i32_f32_e32 v16, v7
.LBB39_2155:
	s_or_b32 exec_lo, exec_lo, s14
	s_mov_b32 s14, 0
	s_branch .LBB39_2161
.LBB39_2156:
	s_mov_b32 s14, -1
                                        ; implicit-def: $vgpr16
	s_branch .LBB39_2167
.LBB39_2157:
	s_and_not1_saveexec_b32 s15, s15
	s_cbranch_execz .LBB39_2142
.LBB39_2158:
	v_cmp_ne_u16_e32 vcc_lo, 0, v7
	s_and_not1_b32 s16, s16, exec_lo
	s_and_b32 s17, vcc_lo, exec_lo
	s_delay_alu instid0(SALU_CYCLE_1)
	s_or_b32 s16, s16, s17
	s_or_b32 exec_lo, exec_lo, s15
	v_mov_b32_e32 v16, 0
	s_and_saveexec_b32 s15, s16
	s_cbranch_execnz .LBB39_2143
	s_branch .LBB39_2144
.LBB39_2159:
	s_mov_b32 s14, -1
                                        ; implicit-def: $vgpr16
	s_branch .LBB39_2164
.LBB39_2160:
	s_mov_b32 s14, -1
                                        ; implicit-def: $vgpr16
.LBB39_2161:
	s_delay_alu instid0(SALU_CYCLE_1)
	s_and_b32 vcc_lo, exec_lo, s14
	s_cbranch_vccz .LBB39_2163
; %bb.2162:
	global_load_u8 v7, v[14:15], off
	s_wait_loadcnt 0x0
	v_lshlrev_b32_e32 v7, 24, v7
	s_delay_alu instid0(VALU_DEP_1) | instskip(NEXT) | instid1(VALU_DEP_1)
	v_and_b32_e32 v9, 0x7f000000, v7
	v_clz_i32_u32_e32 v11, v9
	v_cmp_ne_u32_e32 vcc_lo, 0, v9
	s_wait_xcnt 0x1
	v_add_nc_u32_e32 v16, 0x1000000, v9
	s_delay_alu instid0(VALU_DEP_3) | instskip(NEXT) | instid1(VALU_DEP_1)
	v_min_u32_e32 v11, 32, v11
	v_sub_nc_u32_e64 v11, v11, 4 clamp
	s_delay_alu instid0(VALU_DEP_1) | instskip(NEXT) | instid1(VALU_DEP_1)
	v_dual_lshlrev_b32 v13, v11, v9 :: v_dual_lshlrev_b32 v11, 23, v11
	v_lshrrev_b32_e32 v13, 4, v13
	s_delay_alu instid0(VALU_DEP_1) | instskip(NEXT) | instid1(VALU_DEP_1)
	v_dual_sub_nc_u32 v11, v13, v11 :: v_dual_ashrrev_i32 v13, 8, v16
	v_add_nc_u32_e32 v11, 0x3c000000, v11
	s_delay_alu instid0(VALU_DEP_1) | instskip(NEXT) | instid1(VALU_DEP_1)
	v_and_or_b32 v11, 0x7f800000, v13, v11
	v_cndmask_b32_e32 v9, 0, v11, vcc_lo
	s_delay_alu instid0(VALU_DEP_1) | instskip(NEXT) | instid1(VALU_DEP_1)
	v_and_or_b32 v7, 0x80000000, v7, v9
	v_cvt_i32_f32_e32 v16, v7
.LBB39_2163:
	s_mov_b32 s14, 0
.LBB39_2164:
	s_delay_alu instid0(SALU_CYCLE_1)
	s_and_not1_b32 vcc_lo, exec_lo, s14
	s_cbranch_vccnz .LBB39_2166
; %bb.2165:
	global_load_u8 v7, v[14:15], off
	s_wait_loadcnt 0x0
	v_lshlrev_b32_e32 v9, 25, v7
	v_lshlrev_b16 v7, 8, v7
	s_delay_alu instid0(VALU_DEP_1) | instskip(SKIP_1) | instid1(VALU_DEP_2)
	v_and_or_b32 v13, 0x7f00, v7, 0.5
	v_bfe_i32 v7, v7, 0, 16
	v_add_f32_e32 v13, -0.5, v13
	v_lshrrev_b32_e32 v11, 4, v9
	v_cmp_gt_u32_e32 vcc_lo, 0x8000000, v9
	s_delay_alu instid0(VALU_DEP_2) | instskip(NEXT) | instid1(VALU_DEP_1)
	v_or_b32_e32 v11, 0x70000000, v11
	v_mul_f32_e32 v11, 0x7800000, v11
	s_delay_alu instid0(VALU_DEP_1) | instskip(NEXT) | instid1(VALU_DEP_1)
	v_cndmask_b32_e32 v9, v11, v13, vcc_lo
	v_and_or_b32 v7, 0x80000000, v7, v9
	s_wait_xcnt 0x1
	s_delay_alu instid0(VALU_DEP_1)
	v_cvt_i32_f32_e32 v16, v7
.LBB39_2166:
	s_mov_b32 s14, 0
	s_mov_b32 s15, -1
.LBB39_2167:
	s_and_not1_b32 vcc_lo, exec_lo, s14
	s_mov_b32 s14, 0
	s_cbranch_vccnz .LBB39_2178
; %bb.2168:
	s_cmp_gt_i32 s11, 14
	s_cbranch_scc0 .LBB39_2171
; %bb.2169:
	s_cmp_eq_u32 s11, 15
	s_cbranch_scc0 .LBB39_2174
; %bb.2170:
	global_load_u16 v7, v[14:15], off
	s_mov_b32 s13, 0
	s_mov_b32 s15, -1
	s_wait_loadcnt 0x0
	v_lshlrev_b32_e32 v7, 16, v7
	s_wait_xcnt 0x1
	s_delay_alu instid0(VALU_DEP_1)
	v_cvt_i32_f32_e32 v16, v7
	s_branch .LBB39_2176
.LBB39_2171:
	s_mov_b32 s14, -1
	s_branch .LBB39_2175
.LBB39_2172:
	s_and_not1_saveexec_b32 s14, s14
	s_cbranch_execz .LBB39_2153
.LBB39_2173:
	v_cmp_ne_u16_e32 vcc_lo, 0, v7
	s_and_not1_b32 s15, s15, exec_lo
	s_and_b32 s16, vcc_lo, exec_lo
	s_delay_alu instid0(SALU_CYCLE_1)
	s_or_b32 s15, s15, s16
	s_or_b32 exec_lo, exec_lo, s14
	v_mov_b32_e32 v16, 0
	s_and_saveexec_b32 s14, s15
	s_cbranch_execnz .LBB39_2154
	s_branch .LBB39_2155
.LBB39_2174:
	s_mov_b32 s13, -1
.LBB39_2175:
                                        ; implicit-def: $vgpr16
.LBB39_2176:
	s_and_b32 vcc_lo, exec_lo, s14
	s_mov_b32 s14, 0
	s_cbranch_vccz .LBB39_2178
; %bb.2177:
	s_cmp_lg_u32 s11, 11
	s_mov_b32 s14, -1
	s_cselect_b32 s13, -1, 0
.LBB39_2178:
	s_delay_alu instid0(SALU_CYCLE_1)
	s_and_b32 vcc_lo, exec_lo, s13
	s_cbranch_vccnz .LBB39_2243
; %bb.2179:
	s_and_not1_b32 vcc_lo, exec_lo, s14
	s_cbranch_vccnz .LBB39_2181
.LBB39_2180:
	global_load_u8 v7, v[14:15], off
	s_mov_b32 s15, -1
	s_wait_loadcnt 0x0
	v_cmp_ne_u16_e32 vcc_lo, 0, v7
	s_wait_xcnt 0x1
	v_cndmask_b32_e64 v16, 0, 1, vcc_lo
.LBB39_2181:
	s_mov_b32 s13, 0
.LBB39_2182:
	s_delay_alu instid0(SALU_CYCLE_1)
	s_and_b32 vcc_lo, exec_lo, s13
	s_cbranch_vccz .LBB39_2231
; %bb.2183:
	s_cmp_lt_i32 s11, 5
	s_cbranch_scc1 .LBB39_2188
; %bb.2184:
	s_cmp_lt_i32 s11, 8
	s_cbranch_scc1 .LBB39_2189
; %bb.2185:
	s_cmp_lt_i32 s11, 9
	s_cbranch_scc1 .LBB39_2190
; %bb.2186:
	s_cmp_gt_i32 s11, 9
	s_cbranch_scc0 .LBB39_2191
; %bb.2187:
	s_wait_loadcnt 0x0
	global_load_b64 v[16:17], v[14:15], off
	s_mov_b32 s13, 0
	s_wait_loadcnt 0x0
	v_cvt_i32_f64_e32 v16, v[16:17]
	s_branch .LBB39_2192
.LBB39_2188:
	s_mov_b32 s13, -1
                                        ; implicit-def: $vgpr16
	s_branch .LBB39_2210
.LBB39_2189:
	s_mov_b32 s13, -1
                                        ; implicit-def: $vgpr16
	s_branch .LBB39_2198
.LBB39_2190:
	s_mov_b32 s13, -1
                                        ; implicit-def: $vgpr16
	s_branch .LBB39_2195
.LBB39_2191:
	s_mov_b32 s13, -1
                                        ; implicit-def: $vgpr16
.LBB39_2192:
	s_delay_alu instid0(SALU_CYCLE_1)
	s_and_not1_b32 vcc_lo, exec_lo, s13
	s_cbranch_vccnz .LBB39_2194
; %bb.2193:
	global_load_b32 v7, v[14:15], off
	s_wait_loadcnt 0x0
	s_wait_xcnt 0x1
	v_cvt_i32_f32_e32 v16, v7
.LBB39_2194:
	s_mov_b32 s13, 0
.LBB39_2195:
	s_delay_alu instid0(SALU_CYCLE_1)
	s_and_not1_b32 vcc_lo, exec_lo, s13
	s_cbranch_vccnz .LBB39_2197
; %bb.2196:
	global_load_b32 v7, v[14:15], off
	s_wait_loadcnt 0x0
	v_cvt_f32_f16_e32 v7, v7
	s_wait_xcnt 0x1
	s_delay_alu instid0(VALU_DEP_1)
	v_cvt_i32_f32_e32 v16, v7
.LBB39_2197:
	s_mov_b32 s13, 0
.LBB39_2198:
	s_delay_alu instid0(SALU_CYCLE_1)
	s_and_not1_b32 vcc_lo, exec_lo, s13
	s_cbranch_vccnz .LBB39_2209
; %bb.2199:
	s_cmp_lt_i32 s11, 6
	s_cbranch_scc1 .LBB39_2202
; %bb.2200:
	s_cmp_gt_i32 s11, 6
	s_cbranch_scc0 .LBB39_2203
; %bb.2201:
	s_wait_loadcnt 0x0
	global_load_b64 v[16:17], v[14:15], off
	s_mov_b32 s13, 0
	s_wait_loadcnt 0x0
	v_cvt_i32_f64_e32 v16, v[16:17]
	s_branch .LBB39_2204
.LBB39_2202:
	s_mov_b32 s13, -1
                                        ; implicit-def: $vgpr16
	s_branch .LBB39_2207
.LBB39_2203:
	s_mov_b32 s13, -1
                                        ; implicit-def: $vgpr16
.LBB39_2204:
	s_delay_alu instid0(SALU_CYCLE_1)
	s_and_not1_b32 vcc_lo, exec_lo, s13
	s_cbranch_vccnz .LBB39_2206
; %bb.2205:
	global_load_b32 v7, v[14:15], off
	s_wait_loadcnt 0x0
	s_wait_xcnt 0x1
	v_cvt_i32_f32_e32 v16, v7
.LBB39_2206:
	s_mov_b32 s13, 0
.LBB39_2207:
	s_delay_alu instid0(SALU_CYCLE_1)
	s_and_not1_b32 vcc_lo, exec_lo, s13
	s_cbranch_vccnz .LBB39_2209
; %bb.2208:
	global_load_u16 v7, v[14:15], off
	s_wait_loadcnt 0x0
	v_cvt_f32_f16_e32 v7, v7
	s_wait_xcnt 0x1
	s_delay_alu instid0(VALU_DEP_1)
	v_cvt_i32_f32_e32 v16, v7
.LBB39_2209:
	s_mov_b32 s13, 0
.LBB39_2210:
	s_delay_alu instid0(SALU_CYCLE_1)
	s_and_not1_b32 vcc_lo, exec_lo, s13
	s_cbranch_vccnz .LBB39_2230
; %bb.2211:
	s_cmp_lt_i32 s11, 2
	s_cbranch_scc1 .LBB39_2215
; %bb.2212:
	s_cmp_lt_i32 s11, 3
	s_cbranch_scc1 .LBB39_2216
; %bb.2213:
	s_cmp_gt_i32 s11, 3
	s_cbranch_scc0 .LBB39_2217
; %bb.2214:
	s_wait_loadcnt 0x0
	global_load_b32 v16, v[14:15], off
	s_mov_b32 s13, 0
	s_branch .LBB39_2218
.LBB39_2215:
	s_mov_b32 s13, -1
                                        ; implicit-def: $vgpr16
	s_branch .LBB39_2224
.LBB39_2216:
	s_mov_b32 s13, -1
                                        ; implicit-def: $vgpr16
	s_branch .LBB39_2221
.LBB39_2217:
	s_mov_b32 s13, -1
                                        ; implicit-def: $vgpr16
.LBB39_2218:
	s_delay_alu instid0(SALU_CYCLE_1)
	s_and_not1_b32 vcc_lo, exec_lo, s13
	s_cbranch_vccnz .LBB39_2220
; %bb.2219:
	s_wait_loadcnt 0x0
	global_load_b32 v16, v[14:15], off
.LBB39_2220:
	s_mov_b32 s13, 0
.LBB39_2221:
	s_delay_alu instid0(SALU_CYCLE_1)
	s_and_not1_b32 vcc_lo, exec_lo, s13
	s_cbranch_vccnz .LBB39_2223
; %bb.2222:
	s_wait_loadcnt 0x0
	global_load_i16 v16, v[14:15], off
.LBB39_2223:
	s_mov_b32 s13, 0
.LBB39_2224:
	s_delay_alu instid0(SALU_CYCLE_1)
	s_and_not1_b32 vcc_lo, exec_lo, s13
	s_cbranch_vccnz .LBB39_2230
; %bb.2225:
	s_cmp_gt_i32 s11, 0
	s_mov_b32 s13, 0
	s_cbranch_scc0 .LBB39_2227
; %bb.2226:
	s_wait_loadcnt 0x0
	global_load_i8 v16, v[14:15], off
	s_branch .LBB39_2228
.LBB39_2227:
	s_mov_b32 s13, -1
                                        ; implicit-def: $vgpr16
.LBB39_2228:
	s_delay_alu instid0(SALU_CYCLE_1)
	s_and_not1_b32 vcc_lo, exec_lo, s13
	s_cbranch_vccnz .LBB39_2230
; %bb.2229:
	s_wait_loadcnt 0x0
	global_load_u8 v16, v[14:15], off
.LBB39_2230:
	s_mov_b32 s15, -1
.LBB39_2231:
	s_delay_alu instid0(SALU_CYCLE_1)
	s_and_not1_b32 vcc_lo, exec_lo, s15
	s_cbranch_vccnz .LBB39_3047
; %bb.2232:
	v_mov_b32_e32 v13, 0
	s_cmp_lt_i32 s12, 11
	s_delay_alu instid0(VALU_DEP_1)
	v_add_nc_u64_e32 v[12:13], s[0:1], v[12:13]
	s_cbranch_scc1 .LBB39_2239
; %bb.2233:
	s_cmp_gt_i32 s12, 25
	s_mov_b32 s14, 0
	s_cbranch_scc0 .LBB39_2240
; %bb.2234:
	s_cmp_gt_i32 s12, 28
	s_cbranch_scc0 .LBB39_2241
; %bb.2235:
	s_cmp_gt_i32 s12, 43
	;; [unrolled: 3-line block ×3, first 2 shown]
	s_cbranch_scc0 .LBB39_2244
; %bb.2237:
	s_cmp_eq_u32 s12, 46
	s_mov_b32 s16, 0
	s_cbranch_scc0 .LBB39_2247
; %bb.2238:
	global_load_b32 v7, v[12:13], off
	s_mov_b32 s13, 0
	s_mov_b32 s15, -1
	s_wait_loadcnt 0x0
	v_lshlrev_b32_e32 v7, 16, v7
	s_wait_xcnt 0x1
	s_delay_alu instid0(VALU_DEP_1)
	v_cvt_i32_f32_e32 v14, v7
	s_branch .LBB39_2249
.LBB39_2239:
	s_mov_b32 s13, -1
	s_mov_b32 s15, 0
                                        ; implicit-def: $vgpr14
	s_branch .LBB39_2311
.LBB39_2240:
	s_mov_b32 s16, -1
	s_mov_b32 s15, 0
	s_mov_b32 s13, 0
                                        ; implicit-def: $vgpr14
	s_branch .LBB39_2276
.LBB39_2241:
	s_mov_b32 s16, -1
	s_mov_b32 s15, 0
	s_mov_b32 s13, 0
                                        ; implicit-def: $vgpr14
	s_branch .LBB39_2259
.LBB39_2242:
	s_mov_b32 s16, -1
	s_mov_b32 s15, 0
	s_mov_b32 s13, 0
                                        ; implicit-def: $vgpr14
	s_branch .LBB39_2254
.LBB39_2243:
	s_or_b32 s10, s10, exec_lo
	s_trap 2
	s_cbranch_execz .LBB39_2180
	s_branch .LBB39_2181
.LBB39_2244:
	s_mov_b32 s16, -1
	s_mov_b32 s15, 0
	s_mov_b32 s13, 0
	s_branch .LBB39_2248
.LBB39_2245:
	s_and_not1_saveexec_b32 s53, s53
	s_cbranch_execz .LBB39_1097
.LBB39_2246:
	v_add_f32_e32 v1, 0x42800000, v4
	s_and_not1_b32 s52, s52, exec_lo
	s_delay_alu instid0(VALU_DEP_1) | instskip(NEXT) | instid1(VALU_DEP_1)
	v_and_b32_e32 v1, 0xff, v1
	v_cmp_ne_u32_e32 vcc_lo, 0, v1
	s_and_b32 s54, vcc_lo, exec_lo
	s_delay_alu instid0(SALU_CYCLE_1)
	s_or_b32 s52, s52, s54
	s_or_b32 exec_lo, exec_lo, s53
	v_mov_b32_e32 v5, 0
	s_and_saveexec_b32 s53, s52
	s_cbranch_execnz .LBB39_1098
	s_branch .LBB39_1099
.LBB39_2247:
	s_mov_b32 s13, -1
	s_mov_b32 s15, 0
.LBB39_2248:
                                        ; implicit-def: $vgpr14
.LBB39_2249:
	s_and_b32 vcc_lo, exec_lo, s16
	s_cbranch_vccz .LBB39_2253
; %bb.2250:
	s_cmp_eq_u32 s12, 44
	s_cbranch_scc0 .LBB39_2252
; %bb.2251:
	global_load_u8 v7, v[12:13], off
	s_mov_b32 s13, 0
	s_mov_b32 s15, -1
	s_wait_loadcnt 0x0
	v_lshlrev_b32_e32 v9, 23, v7
	v_cmp_ne_u32_e32 vcc_lo, 0, v7
	s_delay_alu instid0(VALU_DEP_2) | instskip(SKIP_1) | instid1(VALU_DEP_1)
	v_cvt_i32_f32_e32 v9, v9
	s_wait_xcnt 0x1
	v_cndmask_b32_e32 v14, 0, v9, vcc_lo
	s_branch .LBB39_2253
.LBB39_2252:
	s_mov_b32 s13, -1
                                        ; implicit-def: $vgpr14
.LBB39_2253:
	s_mov_b32 s16, 0
.LBB39_2254:
	s_delay_alu instid0(SALU_CYCLE_1)
	s_and_b32 vcc_lo, exec_lo, s16
	s_cbranch_vccz .LBB39_2258
; %bb.2255:
	s_cmp_eq_u32 s12, 29
	s_cbranch_scc0 .LBB39_2257
; %bb.2256:
	global_load_b32 v14, v[12:13], off
	s_mov_b32 s13, 0
	s_mov_b32 s15, -1
	s_branch .LBB39_2258
.LBB39_2257:
	s_mov_b32 s13, -1
                                        ; implicit-def: $vgpr14
.LBB39_2258:
	s_mov_b32 s16, 0
.LBB39_2259:
	s_delay_alu instid0(SALU_CYCLE_1)
	s_and_b32 vcc_lo, exec_lo, s16
	s_cbranch_vccz .LBB39_2275
; %bb.2260:
	s_cmp_lt_i32 s12, 27
	s_cbranch_scc1 .LBB39_2263
; %bb.2261:
	s_cmp_gt_i32 s12, 27
	s_cbranch_scc0 .LBB39_2264
; %bb.2262:
	s_wait_loadcnt 0x0
	global_load_b32 v14, v[12:13], off
	s_mov_b32 s15, 0
	s_branch .LBB39_2265
.LBB39_2263:
	s_mov_b32 s15, -1
                                        ; implicit-def: $vgpr14
	s_branch .LBB39_2268
.LBB39_2264:
	s_mov_b32 s15, -1
                                        ; implicit-def: $vgpr14
.LBB39_2265:
	s_delay_alu instid0(SALU_CYCLE_1)
	s_and_not1_b32 vcc_lo, exec_lo, s15
	s_cbranch_vccnz .LBB39_2267
; %bb.2266:
	s_wait_loadcnt 0x0
	global_load_u16 v14, v[12:13], off
.LBB39_2267:
	s_mov_b32 s15, 0
.LBB39_2268:
	s_delay_alu instid0(SALU_CYCLE_1)
	s_and_not1_b32 vcc_lo, exec_lo, s15
	s_cbranch_vccnz .LBB39_2274
; %bb.2269:
	global_load_u8 v7, v[12:13], off
	s_mov_b32 s16, 0
	s_mov_b32 s15, exec_lo
	s_wait_loadcnt 0x0
	v_cmpx_lt_i16_e32 0x7f, v7
	s_xor_b32 s15, exec_lo, s15
	s_cbranch_execz .LBB39_2286
; %bb.2270:
	v_cmp_ne_u16_e32 vcc_lo, 0x80, v7
	s_and_b32 s16, vcc_lo, exec_lo
	s_and_not1_saveexec_b32 s15, s15
	s_cbranch_execnz .LBB39_2287
.LBB39_2271:
	s_or_b32 exec_lo, exec_lo, s15
	v_mov_b32_e32 v14, 0
	s_and_saveexec_b32 s15, s16
	s_cbranch_execz .LBB39_2273
.LBB39_2272:
	v_and_b32_e32 v9, 0xffff, v7
	s_delay_alu instid0(VALU_DEP_1) | instskip(SKIP_1) | instid1(VALU_DEP_2)
	v_and_b32_e32 v11, 7, v9
	v_bfe_u32 v17, v9, 3, 4
	v_clz_i32_u32_e32 v14, v11
	s_delay_alu instid0(VALU_DEP_2) | instskip(NEXT) | instid1(VALU_DEP_2)
	v_cmp_eq_u32_e32 vcc_lo, 0, v17
	v_min_u32_e32 v14, 32, v14
	s_delay_alu instid0(VALU_DEP_1) | instskip(NEXT) | instid1(VALU_DEP_1)
	v_subrev_nc_u32_e32 v15, 28, v14
	v_dual_lshlrev_b32 v9, v15, v9 :: v_dual_sub_nc_u32 v14, 29, v14
	s_delay_alu instid0(VALU_DEP_1) | instskip(NEXT) | instid1(VALU_DEP_1)
	v_dual_lshlrev_b32 v7, 24, v7 :: v_dual_bitop2_b32 v9, 7, v9 bitop3:0x40
	v_dual_cndmask_b32 v14, v17, v14 :: v_dual_cndmask_b32 v9, v11, v9
	s_delay_alu instid0(VALU_DEP_2) | instskip(NEXT) | instid1(VALU_DEP_2)
	v_and_b32_e32 v7, 0x80000000, v7
	v_lshl_add_u32 v11, v14, 23, 0x3b800000
	s_delay_alu instid0(VALU_DEP_3) | instskip(NEXT) | instid1(VALU_DEP_1)
	v_lshlrev_b32_e32 v9, 20, v9
	v_or3_b32 v7, v7, v11, v9
	s_delay_alu instid0(VALU_DEP_1)
	v_cvt_i32_f32_e32 v14, v7
.LBB39_2273:
	s_or_b32 exec_lo, exec_lo, s15
.LBB39_2274:
	s_mov_b32 s15, -1
.LBB39_2275:
	s_mov_b32 s16, 0
.LBB39_2276:
	s_delay_alu instid0(SALU_CYCLE_1)
	s_and_b32 vcc_lo, exec_lo, s16
	s_cbranch_vccz .LBB39_2307
; %bb.2277:
	s_cmp_gt_i32 s12, 22
	s_cbranch_scc0 .LBB39_2285
; %bb.2278:
	s_cmp_lt_i32 s12, 24
	s_cbranch_scc1 .LBB39_2288
; %bb.2279:
	s_cmp_gt_i32 s12, 24
	s_cbranch_scc0 .LBB39_2289
; %bb.2280:
	global_load_u8 v7, v[12:13], off
	s_mov_b32 s15, 0
	s_mov_b32 s14, exec_lo
	s_wait_loadcnt 0x0
	v_cmpx_lt_i16_e32 0x7f, v7
	s_xor_b32 s14, exec_lo, s14
	s_cbranch_execz .LBB39_2301
; %bb.2281:
	v_cmp_ne_u16_e32 vcc_lo, 0x80, v7
	s_and_b32 s15, vcc_lo, exec_lo
	s_and_not1_saveexec_b32 s14, s14
	s_cbranch_execnz .LBB39_2302
.LBB39_2282:
	s_or_b32 exec_lo, exec_lo, s14
	v_mov_b32_e32 v14, 0
	s_and_saveexec_b32 s14, s15
	s_cbranch_execz .LBB39_2284
.LBB39_2283:
	v_and_b32_e32 v9, 0xffff, v7
	s_delay_alu instid0(VALU_DEP_1) | instskip(SKIP_1) | instid1(VALU_DEP_2)
	v_and_b32_e32 v11, 3, v9
	v_bfe_u32 v17, v9, 2, 5
	v_clz_i32_u32_e32 v14, v11
	s_delay_alu instid0(VALU_DEP_2) | instskip(NEXT) | instid1(VALU_DEP_2)
	v_cmp_eq_u32_e32 vcc_lo, 0, v17
	v_min_u32_e32 v14, 32, v14
	s_delay_alu instid0(VALU_DEP_1) | instskip(NEXT) | instid1(VALU_DEP_1)
	v_subrev_nc_u32_e32 v15, 29, v14
	v_dual_lshlrev_b32 v9, v15, v9 :: v_dual_sub_nc_u32 v14, 30, v14
	s_delay_alu instid0(VALU_DEP_1) | instskip(NEXT) | instid1(VALU_DEP_1)
	v_dual_lshlrev_b32 v7, 24, v7 :: v_dual_bitop2_b32 v9, 3, v9 bitop3:0x40
	v_dual_cndmask_b32 v14, v17, v14 :: v_dual_cndmask_b32 v9, v11, v9
	s_delay_alu instid0(VALU_DEP_2) | instskip(NEXT) | instid1(VALU_DEP_2)
	v_and_b32_e32 v7, 0x80000000, v7
	v_lshl_add_u32 v11, v14, 23, 0x37800000
	s_delay_alu instid0(VALU_DEP_3) | instskip(NEXT) | instid1(VALU_DEP_1)
	v_lshlrev_b32_e32 v9, 21, v9
	v_or3_b32 v7, v7, v11, v9
	s_delay_alu instid0(VALU_DEP_1)
	v_cvt_i32_f32_e32 v14, v7
.LBB39_2284:
	s_or_b32 exec_lo, exec_lo, s14
	s_mov_b32 s14, 0
	s_branch .LBB39_2290
.LBB39_2285:
	s_mov_b32 s14, -1
                                        ; implicit-def: $vgpr14
	s_branch .LBB39_2296
.LBB39_2286:
	s_and_not1_saveexec_b32 s15, s15
	s_cbranch_execz .LBB39_2271
.LBB39_2287:
	v_cmp_ne_u16_e32 vcc_lo, 0, v7
	s_and_not1_b32 s16, s16, exec_lo
	s_and_b32 s17, vcc_lo, exec_lo
	s_delay_alu instid0(SALU_CYCLE_1)
	s_or_b32 s16, s16, s17
	s_or_b32 exec_lo, exec_lo, s15
	v_mov_b32_e32 v14, 0
	s_and_saveexec_b32 s15, s16
	s_cbranch_execnz .LBB39_2272
	s_branch .LBB39_2273
.LBB39_2288:
	s_mov_b32 s14, -1
                                        ; implicit-def: $vgpr14
	s_branch .LBB39_2293
.LBB39_2289:
	s_mov_b32 s14, -1
                                        ; implicit-def: $vgpr14
.LBB39_2290:
	s_delay_alu instid0(SALU_CYCLE_1)
	s_and_b32 vcc_lo, exec_lo, s14
	s_cbranch_vccz .LBB39_2292
; %bb.2291:
	global_load_u8 v7, v[12:13], off
	s_wait_loadcnt 0x0
	v_lshlrev_b32_e32 v7, 24, v7
	s_delay_alu instid0(VALU_DEP_1) | instskip(NEXT) | instid1(VALU_DEP_1)
	v_and_b32_e32 v9, 0x7f000000, v7
	v_clz_i32_u32_e32 v11, v9
	s_wait_xcnt 0x1
	v_add_nc_u32_e32 v15, 0x1000000, v9
	v_cmp_ne_u32_e32 vcc_lo, 0, v9
	s_delay_alu instid0(VALU_DEP_3) | instskip(NEXT) | instid1(VALU_DEP_1)
	v_min_u32_e32 v11, 32, v11
	v_sub_nc_u32_e64 v11, v11, 4 clamp
	s_delay_alu instid0(VALU_DEP_1) | instskip(NEXT) | instid1(VALU_DEP_1)
	v_dual_lshlrev_b32 v14, v11, v9 :: v_dual_lshlrev_b32 v11, 23, v11
	v_lshrrev_b32_e32 v14, 4, v14
	s_delay_alu instid0(VALU_DEP_1) | instskip(SKIP_1) | instid1(VALU_DEP_2)
	v_sub_nc_u32_e32 v11, v14, v11
	v_ashrrev_i32_e32 v14, 8, v15
	v_add_nc_u32_e32 v11, 0x3c000000, v11
	s_delay_alu instid0(VALU_DEP_1) | instskip(NEXT) | instid1(VALU_DEP_1)
	v_and_or_b32 v11, 0x7f800000, v14, v11
	v_cndmask_b32_e32 v9, 0, v11, vcc_lo
	s_delay_alu instid0(VALU_DEP_1) | instskip(NEXT) | instid1(VALU_DEP_1)
	v_and_or_b32 v7, 0x80000000, v7, v9
	v_cvt_i32_f32_e32 v14, v7
.LBB39_2292:
	s_mov_b32 s14, 0
.LBB39_2293:
	s_delay_alu instid0(SALU_CYCLE_1)
	s_and_not1_b32 vcc_lo, exec_lo, s14
	s_cbranch_vccnz .LBB39_2295
; %bb.2294:
	global_load_u8 v7, v[12:13], off
	s_wait_loadcnt 0x0
	v_lshlrev_b32_e32 v9, 25, v7
	v_lshlrev_b16 v7, 8, v7
	s_wait_xcnt 0x1
	s_delay_alu instid0(VALU_DEP_1) | instskip(SKIP_1) | instid1(VALU_DEP_2)
	v_and_or_b32 v14, 0x7f00, v7, 0.5
	v_bfe_i32 v7, v7, 0, 16
	v_dual_add_f32 v14, -0.5, v14 :: v_dual_lshrrev_b32 v11, 4, v9
	v_cmp_gt_u32_e32 vcc_lo, 0x8000000, v9
	s_delay_alu instid0(VALU_DEP_2) | instskip(NEXT) | instid1(VALU_DEP_1)
	v_or_b32_e32 v11, 0x70000000, v11
	v_mul_f32_e32 v11, 0x7800000, v11
	s_delay_alu instid0(VALU_DEP_1) | instskip(NEXT) | instid1(VALU_DEP_1)
	v_cndmask_b32_e32 v9, v11, v14, vcc_lo
	v_and_or_b32 v7, 0x80000000, v7, v9
	s_delay_alu instid0(VALU_DEP_1)
	v_cvt_i32_f32_e32 v14, v7
.LBB39_2295:
	s_mov_b32 s14, 0
	s_mov_b32 s15, -1
.LBB39_2296:
	s_and_not1_b32 vcc_lo, exec_lo, s14
	s_mov_b32 s14, 0
	s_cbranch_vccnz .LBB39_2307
; %bb.2297:
	s_cmp_gt_i32 s12, 14
	s_cbranch_scc0 .LBB39_2300
; %bb.2298:
	s_cmp_eq_u32 s12, 15
	s_cbranch_scc0 .LBB39_2303
; %bb.2299:
	global_load_u16 v7, v[12:13], off
	s_mov_b32 s13, 0
	s_mov_b32 s15, -1
	s_wait_loadcnt 0x0
	v_lshlrev_b32_e32 v7, 16, v7
	s_wait_xcnt 0x1
	s_delay_alu instid0(VALU_DEP_1)
	v_cvt_i32_f32_e32 v14, v7
	s_branch .LBB39_2305
.LBB39_2300:
	s_mov_b32 s14, -1
	s_branch .LBB39_2304
.LBB39_2301:
	s_and_not1_saveexec_b32 s14, s14
	s_cbranch_execz .LBB39_2282
.LBB39_2302:
	v_cmp_ne_u16_e32 vcc_lo, 0, v7
	s_and_not1_b32 s15, s15, exec_lo
	s_and_b32 s16, vcc_lo, exec_lo
	s_delay_alu instid0(SALU_CYCLE_1)
	s_or_b32 s15, s15, s16
	s_or_b32 exec_lo, exec_lo, s14
	v_mov_b32_e32 v14, 0
	s_and_saveexec_b32 s14, s15
	s_cbranch_execnz .LBB39_2283
	s_branch .LBB39_2284
.LBB39_2303:
	s_mov_b32 s13, -1
.LBB39_2304:
                                        ; implicit-def: $vgpr14
.LBB39_2305:
	s_and_b32 vcc_lo, exec_lo, s14
	s_mov_b32 s14, 0
	s_cbranch_vccz .LBB39_2307
; %bb.2306:
	s_cmp_lg_u32 s12, 11
	s_mov_b32 s14, -1
	s_cselect_b32 s13, -1, 0
.LBB39_2307:
	s_delay_alu instid0(SALU_CYCLE_1)
	s_and_b32 vcc_lo, exec_lo, s13
	s_cbranch_vccnz .LBB39_2372
; %bb.2308:
	s_and_not1_b32 vcc_lo, exec_lo, s14
	s_cbranch_vccnz .LBB39_2310
.LBB39_2309:
	global_load_u8 v7, v[12:13], off
	s_mov_b32 s15, -1
	s_wait_loadcnt 0x0
	v_cmp_ne_u16_e32 vcc_lo, 0, v7
	s_wait_xcnt 0x1
	v_cndmask_b32_e64 v14, 0, 1, vcc_lo
.LBB39_2310:
	s_mov_b32 s13, 0
.LBB39_2311:
	s_delay_alu instid0(SALU_CYCLE_1)
	s_and_b32 vcc_lo, exec_lo, s13
	s_cbranch_vccz .LBB39_2360
; %bb.2312:
	s_cmp_lt_i32 s12, 5
	s_cbranch_scc1 .LBB39_2317
; %bb.2313:
	s_cmp_lt_i32 s12, 8
	s_cbranch_scc1 .LBB39_2318
	;; [unrolled: 3-line block ×3, first 2 shown]
; %bb.2315:
	s_cmp_gt_i32 s12, 9
	s_cbranch_scc0 .LBB39_2320
; %bb.2316:
	s_wait_loadcnt 0x0
	global_load_b64 v[14:15], v[12:13], off
	s_mov_b32 s13, 0
	s_wait_loadcnt 0x0
	v_cvt_i32_f64_e32 v14, v[14:15]
	s_branch .LBB39_2321
.LBB39_2317:
	s_mov_b32 s13, -1
                                        ; implicit-def: $vgpr14
	s_branch .LBB39_2339
.LBB39_2318:
	s_mov_b32 s13, -1
                                        ; implicit-def: $vgpr14
	s_branch .LBB39_2327
.LBB39_2319:
	s_mov_b32 s13, -1
                                        ; implicit-def: $vgpr14
	s_branch .LBB39_2324
.LBB39_2320:
	s_mov_b32 s13, -1
                                        ; implicit-def: $vgpr14
.LBB39_2321:
	s_delay_alu instid0(SALU_CYCLE_1)
	s_and_not1_b32 vcc_lo, exec_lo, s13
	s_cbranch_vccnz .LBB39_2323
; %bb.2322:
	global_load_b32 v7, v[12:13], off
	s_wait_loadcnt 0x0
	s_wait_xcnt 0x1
	v_cvt_i32_f32_e32 v14, v7
.LBB39_2323:
	s_mov_b32 s13, 0
.LBB39_2324:
	s_delay_alu instid0(SALU_CYCLE_1)
	s_and_not1_b32 vcc_lo, exec_lo, s13
	s_cbranch_vccnz .LBB39_2326
; %bb.2325:
	global_load_b32 v7, v[12:13], off
	s_wait_loadcnt 0x0
	v_cvt_f32_f16_e32 v7, v7
	s_wait_xcnt 0x1
	s_delay_alu instid0(VALU_DEP_1)
	v_cvt_i32_f32_e32 v14, v7
.LBB39_2326:
	s_mov_b32 s13, 0
.LBB39_2327:
	s_delay_alu instid0(SALU_CYCLE_1)
	s_and_not1_b32 vcc_lo, exec_lo, s13
	s_cbranch_vccnz .LBB39_2338
; %bb.2328:
	s_cmp_lt_i32 s12, 6
	s_cbranch_scc1 .LBB39_2331
; %bb.2329:
	s_cmp_gt_i32 s12, 6
	s_cbranch_scc0 .LBB39_2332
; %bb.2330:
	s_wait_loadcnt 0x0
	global_load_b64 v[14:15], v[12:13], off
	s_mov_b32 s13, 0
	s_wait_loadcnt 0x0
	v_cvt_i32_f64_e32 v14, v[14:15]
	s_branch .LBB39_2333
.LBB39_2331:
	s_mov_b32 s13, -1
                                        ; implicit-def: $vgpr14
	s_branch .LBB39_2336
.LBB39_2332:
	s_mov_b32 s13, -1
                                        ; implicit-def: $vgpr14
.LBB39_2333:
	s_delay_alu instid0(SALU_CYCLE_1)
	s_and_not1_b32 vcc_lo, exec_lo, s13
	s_cbranch_vccnz .LBB39_2335
; %bb.2334:
	global_load_b32 v7, v[12:13], off
	s_wait_loadcnt 0x0
	s_wait_xcnt 0x1
	v_cvt_i32_f32_e32 v14, v7
.LBB39_2335:
	s_mov_b32 s13, 0
.LBB39_2336:
	s_delay_alu instid0(SALU_CYCLE_1)
	s_and_not1_b32 vcc_lo, exec_lo, s13
	s_cbranch_vccnz .LBB39_2338
; %bb.2337:
	global_load_u16 v7, v[12:13], off
	s_wait_loadcnt 0x0
	v_cvt_f32_f16_e32 v7, v7
	s_wait_xcnt 0x1
	s_delay_alu instid0(VALU_DEP_1)
	v_cvt_i32_f32_e32 v14, v7
.LBB39_2338:
	s_mov_b32 s13, 0
.LBB39_2339:
	s_delay_alu instid0(SALU_CYCLE_1)
	s_and_not1_b32 vcc_lo, exec_lo, s13
	s_cbranch_vccnz .LBB39_2359
; %bb.2340:
	s_cmp_lt_i32 s12, 2
	s_cbranch_scc1 .LBB39_2344
; %bb.2341:
	s_cmp_lt_i32 s12, 3
	s_cbranch_scc1 .LBB39_2345
; %bb.2342:
	s_cmp_gt_i32 s12, 3
	s_cbranch_scc0 .LBB39_2346
; %bb.2343:
	s_wait_loadcnt 0x0
	global_load_b32 v14, v[12:13], off
	s_mov_b32 s13, 0
	s_branch .LBB39_2347
.LBB39_2344:
	s_mov_b32 s13, -1
                                        ; implicit-def: $vgpr14
	s_branch .LBB39_2353
.LBB39_2345:
	s_mov_b32 s13, -1
                                        ; implicit-def: $vgpr14
	s_branch .LBB39_2350
.LBB39_2346:
	s_mov_b32 s13, -1
                                        ; implicit-def: $vgpr14
.LBB39_2347:
	s_delay_alu instid0(SALU_CYCLE_1)
	s_and_not1_b32 vcc_lo, exec_lo, s13
	s_cbranch_vccnz .LBB39_2349
; %bb.2348:
	s_wait_loadcnt 0x0
	global_load_b32 v14, v[12:13], off
.LBB39_2349:
	s_mov_b32 s13, 0
.LBB39_2350:
	s_delay_alu instid0(SALU_CYCLE_1)
	s_and_not1_b32 vcc_lo, exec_lo, s13
	s_cbranch_vccnz .LBB39_2352
; %bb.2351:
	s_wait_loadcnt 0x0
	global_load_i16 v14, v[12:13], off
.LBB39_2352:
	s_mov_b32 s13, 0
.LBB39_2353:
	s_delay_alu instid0(SALU_CYCLE_1)
	s_and_not1_b32 vcc_lo, exec_lo, s13
	s_cbranch_vccnz .LBB39_2359
; %bb.2354:
	s_cmp_gt_i32 s12, 0
	s_mov_b32 s13, 0
	s_cbranch_scc0 .LBB39_2356
; %bb.2355:
	s_wait_loadcnt 0x0
	global_load_i8 v14, v[12:13], off
	s_branch .LBB39_2357
.LBB39_2356:
	s_mov_b32 s13, -1
                                        ; implicit-def: $vgpr14
.LBB39_2357:
	s_delay_alu instid0(SALU_CYCLE_1)
	s_and_not1_b32 vcc_lo, exec_lo, s13
	s_cbranch_vccnz .LBB39_2359
; %bb.2358:
	s_wait_loadcnt 0x0
	global_load_u8 v14, v[12:13], off
.LBB39_2359:
	s_mov_b32 s15, -1
.LBB39_2360:
	s_delay_alu instid0(SALU_CYCLE_1)
	s_and_not1_b32 vcc_lo, exec_lo, s15
	s_cbranch_vccnz .LBB39_3047
; %bb.2361:
	v_mov_b32_e32 v11, 0
	s_cmp_lt_i32 s11, 11
	s_delay_alu instid0(VALU_DEP_1)
	v_add_nc_u64_e32 v[10:11], s[6:7], v[10:11]
	s_cbranch_scc1 .LBB39_2368
; %bb.2362:
	s_cmp_gt_i32 s11, 25
	s_mov_b32 s7, 0
	s_cbranch_scc0 .LBB39_2369
; %bb.2363:
	s_cmp_gt_i32 s11, 28
	s_cbranch_scc0 .LBB39_2370
; %bb.2364:
	s_cmp_gt_i32 s11, 43
	;; [unrolled: 3-line block ×3, first 2 shown]
	s_cbranch_scc0 .LBB39_2373
; %bb.2366:
	s_cmp_eq_u32 s11, 46
	s_mov_b32 s14, 0
	s_cbranch_scc0 .LBB39_2374
; %bb.2367:
	global_load_b32 v7, v[10:11], off
	s_mov_b32 s6, 0
	s_mov_b32 s13, -1
	s_wait_loadcnt 0x0
	v_lshlrev_b32_e32 v7, 16, v7
	s_wait_xcnt 0x1
	s_delay_alu instid0(VALU_DEP_1)
	v_cvt_i32_f32_e32 v12, v7
	s_branch .LBB39_2376
.LBB39_2368:
	s_mov_b32 s6, -1
	s_mov_b32 s13, 0
                                        ; implicit-def: $vgpr12
	s_branch .LBB39_2438
.LBB39_2369:
	s_mov_b32 s14, -1
	s_mov_b32 s13, 0
	s_mov_b32 s6, 0
                                        ; implicit-def: $vgpr12
	s_branch .LBB39_2403
.LBB39_2370:
	s_mov_b32 s14, -1
	s_mov_b32 s13, 0
	s_mov_b32 s6, 0
                                        ; implicit-def: $vgpr12
	s_branch .LBB39_2386
.LBB39_2371:
	s_mov_b32 s14, -1
	s_mov_b32 s13, 0
	s_mov_b32 s6, 0
                                        ; implicit-def: $vgpr12
	s_branch .LBB39_2381
.LBB39_2372:
	s_or_b32 s10, s10, exec_lo
	s_trap 2
	s_cbranch_execz .LBB39_2309
	s_branch .LBB39_2310
.LBB39_2373:
	s_mov_b32 s14, -1
	s_mov_b32 s13, 0
	s_mov_b32 s6, 0
	s_branch .LBB39_2375
.LBB39_2374:
	s_mov_b32 s6, -1
	s_mov_b32 s13, 0
.LBB39_2375:
                                        ; implicit-def: $vgpr12
.LBB39_2376:
	s_and_b32 vcc_lo, exec_lo, s14
	s_cbranch_vccz .LBB39_2380
; %bb.2377:
	s_cmp_eq_u32 s11, 44
	s_cbranch_scc0 .LBB39_2379
; %bb.2378:
	global_load_u8 v7, v[10:11], off
	s_mov_b32 s6, 0
	s_mov_b32 s13, -1
	s_wait_loadcnt 0x0
	v_lshlrev_b32_e32 v9, 23, v7
	v_cmp_ne_u32_e32 vcc_lo, 0, v7
	s_delay_alu instid0(VALU_DEP_2) | instskip(SKIP_1) | instid1(VALU_DEP_1)
	v_cvt_i32_f32_e32 v9, v9
	s_wait_xcnt 0x1
	v_cndmask_b32_e32 v12, 0, v9, vcc_lo
	s_branch .LBB39_2380
.LBB39_2379:
	s_mov_b32 s6, -1
                                        ; implicit-def: $vgpr12
.LBB39_2380:
	s_mov_b32 s14, 0
.LBB39_2381:
	s_delay_alu instid0(SALU_CYCLE_1)
	s_and_b32 vcc_lo, exec_lo, s14
	s_cbranch_vccz .LBB39_2385
; %bb.2382:
	s_cmp_eq_u32 s11, 29
	s_cbranch_scc0 .LBB39_2384
; %bb.2383:
	global_load_b32 v12, v[10:11], off
	s_mov_b32 s6, 0
	s_mov_b32 s13, -1
	s_branch .LBB39_2385
.LBB39_2384:
	s_mov_b32 s6, -1
                                        ; implicit-def: $vgpr12
.LBB39_2385:
	s_mov_b32 s14, 0
.LBB39_2386:
	s_delay_alu instid0(SALU_CYCLE_1)
	s_and_b32 vcc_lo, exec_lo, s14
	s_cbranch_vccz .LBB39_2402
; %bb.2387:
	s_cmp_lt_i32 s11, 27
	s_cbranch_scc1 .LBB39_2390
; %bb.2388:
	s_cmp_gt_i32 s11, 27
	s_cbranch_scc0 .LBB39_2391
; %bb.2389:
	s_wait_loadcnt 0x0
	global_load_b32 v12, v[10:11], off
	s_mov_b32 s13, 0
	s_branch .LBB39_2392
.LBB39_2390:
	s_mov_b32 s13, -1
                                        ; implicit-def: $vgpr12
	s_branch .LBB39_2395
.LBB39_2391:
	s_mov_b32 s13, -1
                                        ; implicit-def: $vgpr12
.LBB39_2392:
	s_delay_alu instid0(SALU_CYCLE_1)
	s_and_not1_b32 vcc_lo, exec_lo, s13
	s_cbranch_vccnz .LBB39_2394
; %bb.2393:
	s_wait_loadcnt 0x0
	global_load_u16 v12, v[10:11], off
.LBB39_2394:
	s_mov_b32 s13, 0
.LBB39_2395:
	s_delay_alu instid0(SALU_CYCLE_1)
	s_and_not1_b32 vcc_lo, exec_lo, s13
	s_cbranch_vccnz .LBB39_2401
; %bb.2396:
	global_load_u8 v7, v[10:11], off
	s_mov_b32 s14, 0
	s_mov_b32 s13, exec_lo
	s_wait_loadcnt 0x0
	v_cmpx_lt_i16_e32 0x7f, v7
	s_xor_b32 s13, exec_lo, s13
	s_cbranch_execz .LBB39_2413
; %bb.2397:
	v_cmp_ne_u16_e32 vcc_lo, 0x80, v7
	s_and_b32 s14, vcc_lo, exec_lo
	s_and_not1_saveexec_b32 s13, s13
	s_cbranch_execnz .LBB39_2414
.LBB39_2398:
	s_or_b32 exec_lo, exec_lo, s13
	v_mov_b32_e32 v12, 0
	s_and_saveexec_b32 s13, s14
	s_cbranch_execz .LBB39_2400
.LBB39_2399:
	v_and_b32_e32 v9, 0xffff, v7
	s_delay_alu instid0(VALU_DEP_1) | instskip(SKIP_1) | instid1(VALU_DEP_2)
	v_dual_lshlrev_b32 v7, 24, v7 :: v_dual_bitop2_b32 v12, 7, v9 bitop3:0x40
	v_bfe_u32 v17, v9, 3, 4
	v_and_b32_e32 v7, 0x80000000, v7
	s_delay_alu instid0(VALU_DEP_3) | instskip(NEXT) | instid1(VALU_DEP_3)
	v_clz_i32_u32_e32 v13, v12
	v_cmp_eq_u32_e32 vcc_lo, 0, v17
	s_delay_alu instid0(VALU_DEP_2) | instskip(NEXT) | instid1(VALU_DEP_1)
	v_min_u32_e32 v13, 32, v13
	v_subrev_nc_u32_e32 v15, 28, v13
	v_sub_nc_u32_e32 v13, 29, v13
	s_delay_alu instid0(VALU_DEP_2) | instskip(NEXT) | instid1(VALU_DEP_2)
	v_lshlrev_b32_e32 v9, v15, v9
	v_cndmask_b32_e32 v13, v17, v13, vcc_lo
	s_delay_alu instid0(VALU_DEP_2) | instskip(NEXT) | instid1(VALU_DEP_1)
	v_and_b32_e32 v9, 7, v9
	v_cndmask_b32_e32 v9, v12, v9, vcc_lo
	s_delay_alu instid0(VALU_DEP_3) | instskip(NEXT) | instid1(VALU_DEP_2)
	v_lshl_add_u32 v12, v13, 23, 0x3b800000
	v_lshlrev_b32_e32 v9, 20, v9
	s_delay_alu instid0(VALU_DEP_1) | instskip(NEXT) | instid1(VALU_DEP_1)
	v_or3_b32 v7, v7, v12, v9
	v_cvt_i32_f32_e32 v12, v7
.LBB39_2400:
	s_or_b32 exec_lo, exec_lo, s13
.LBB39_2401:
	s_mov_b32 s13, -1
.LBB39_2402:
	s_mov_b32 s14, 0
.LBB39_2403:
	s_delay_alu instid0(SALU_CYCLE_1)
	s_and_b32 vcc_lo, exec_lo, s14
	s_cbranch_vccz .LBB39_2434
; %bb.2404:
	s_cmp_gt_i32 s11, 22
	s_cbranch_scc0 .LBB39_2412
; %bb.2405:
	s_cmp_lt_i32 s11, 24
	s_cbranch_scc1 .LBB39_2415
; %bb.2406:
	s_cmp_gt_i32 s11, 24
	s_cbranch_scc0 .LBB39_2416
; %bb.2407:
	global_load_u8 v7, v[10:11], off
	s_mov_b32 s13, 0
	s_mov_b32 s7, exec_lo
	s_wait_loadcnt 0x0
	v_cmpx_lt_i16_e32 0x7f, v7
	s_xor_b32 s7, exec_lo, s7
	s_cbranch_execz .LBB39_2428
; %bb.2408:
	v_cmp_ne_u16_e32 vcc_lo, 0x80, v7
	s_and_b32 s13, vcc_lo, exec_lo
	s_and_not1_saveexec_b32 s7, s7
	s_cbranch_execnz .LBB39_2429
.LBB39_2409:
	s_or_b32 exec_lo, exec_lo, s7
	v_mov_b32_e32 v12, 0
	s_and_saveexec_b32 s7, s13
	s_cbranch_execz .LBB39_2411
.LBB39_2410:
	v_and_b32_e32 v9, 0xffff, v7
	s_delay_alu instid0(VALU_DEP_1) | instskip(SKIP_1) | instid1(VALU_DEP_2)
	v_dual_lshlrev_b32 v7, 24, v7 :: v_dual_bitop2_b32 v12, 3, v9 bitop3:0x40
	v_bfe_u32 v17, v9, 2, 5
	v_and_b32_e32 v7, 0x80000000, v7
	s_delay_alu instid0(VALU_DEP_3) | instskip(NEXT) | instid1(VALU_DEP_3)
	v_clz_i32_u32_e32 v13, v12
	v_cmp_eq_u32_e32 vcc_lo, 0, v17
	s_delay_alu instid0(VALU_DEP_2) | instskip(NEXT) | instid1(VALU_DEP_1)
	v_min_u32_e32 v13, 32, v13
	v_subrev_nc_u32_e32 v15, 29, v13
	v_sub_nc_u32_e32 v13, 30, v13
	s_delay_alu instid0(VALU_DEP_2) | instskip(NEXT) | instid1(VALU_DEP_2)
	v_lshlrev_b32_e32 v9, v15, v9
	v_cndmask_b32_e32 v13, v17, v13, vcc_lo
	s_delay_alu instid0(VALU_DEP_2) | instskip(NEXT) | instid1(VALU_DEP_1)
	v_and_b32_e32 v9, 3, v9
	v_cndmask_b32_e32 v9, v12, v9, vcc_lo
	s_delay_alu instid0(VALU_DEP_3) | instskip(NEXT) | instid1(VALU_DEP_2)
	v_lshl_add_u32 v12, v13, 23, 0x37800000
	v_lshlrev_b32_e32 v9, 21, v9
	s_delay_alu instid0(VALU_DEP_1) | instskip(NEXT) | instid1(VALU_DEP_1)
	v_or3_b32 v7, v7, v12, v9
	v_cvt_i32_f32_e32 v12, v7
.LBB39_2411:
	s_or_b32 exec_lo, exec_lo, s7
	s_mov_b32 s7, 0
	s_branch .LBB39_2417
.LBB39_2412:
	s_mov_b32 s7, -1
                                        ; implicit-def: $vgpr12
	s_branch .LBB39_2423
.LBB39_2413:
	s_and_not1_saveexec_b32 s13, s13
	s_cbranch_execz .LBB39_2398
.LBB39_2414:
	v_cmp_ne_u16_e32 vcc_lo, 0, v7
	s_and_not1_b32 s14, s14, exec_lo
	s_and_b32 s15, vcc_lo, exec_lo
	s_delay_alu instid0(SALU_CYCLE_1)
	s_or_b32 s14, s14, s15
	s_or_b32 exec_lo, exec_lo, s13
	v_mov_b32_e32 v12, 0
	s_and_saveexec_b32 s13, s14
	s_cbranch_execnz .LBB39_2399
	s_branch .LBB39_2400
.LBB39_2415:
	s_mov_b32 s7, -1
                                        ; implicit-def: $vgpr12
	s_branch .LBB39_2420
.LBB39_2416:
	s_mov_b32 s7, -1
                                        ; implicit-def: $vgpr12
.LBB39_2417:
	s_delay_alu instid0(SALU_CYCLE_1)
	s_and_b32 vcc_lo, exec_lo, s7
	s_cbranch_vccz .LBB39_2419
; %bb.2418:
	global_load_u8 v7, v[10:11], off
	s_wait_loadcnt 0x0
	v_lshlrev_b32_e32 v7, 24, v7
	s_delay_alu instid0(VALU_DEP_1) | instskip(SKIP_1) | instid1(VALU_DEP_1)
	v_and_b32_e32 v9, 0x7f000000, v7
	s_wait_xcnt 0x1
	v_clz_i32_u32_e32 v12, v9
	v_add_nc_u32_e32 v15, 0x1000000, v9
	v_cmp_ne_u32_e32 vcc_lo, 0, v9
	s_delay_alu instid0(VALU_DEP_3) | instskip(NEXT) | instid1(VALU_DEP_1)
	v_min_u32_e32 v12, 32, v12
	v_sub_nc_u32_e64 v12, v12, 4 clamp
	s_delay_alu instid0(VALU_DEP_1) | instskip(NEXT) | instid1(VALU_DEP_1)
	v_dual_lshlrev_b32 v13, v12, v9 :: v_dual_lshlrev_b32 v12, 23, v12
	v_lshrrev_b32_e32 v13, 4, v13
	s_delay_alu instid0(VALU_DEP_1) | instskip(NEXT) | instid1(VALU_DEP_1)
	v_dual_sub_nc_u32 v12, v13, v12 :: v_dual_ashrrev_i32 v13, 8, v15
	v_add_nc_u32_e32 v12, 0x3c000000, v12
	s_delay_alu instid0(VALU_DEP_1) | instskip(NEXT) | instid1(VALU_DEP_1)
	v_and_or_b32 v12, 0x7f800000, v13, v12
	v_cndmask_b32_e32 v9, 0, v12, vcc_lo
	s_delay_alu instid0(VALU_DEP_1) | instskip(NEXT) | instid1(VALU_DEP_1)
	v_and_or_b32 v7, 0x80000000, v7, v9
	v_cvt_i32_f32_e32 v12, v7
.LBB39_2419:
	s_mov_b32 s7, 0
.LBB39_2420:
	s_delay_alu instid0(SALU_CYCLE_1)
	s_and_not1_b32 vcc_lo, exec_lo, s7
	s_cbranch_vccnz .LBB39_2422
; %bb.2421:
	global_load_u8 v7, v[10:11], off
	s_wait_loadcnt 0x0
	v_lshlrev_b32_e32 v9, 25, v7
	v_lshlrev_b16 v7, 8, v7
	s_wait_xcnt 0x1
	s_delay_alu instid0(VALU_DEP_1) | instskip(SKIP_1) | instid1(VALU_DEP_2)
	v_and_or_b32 v13, 0x7f00, v7, 0.5
	v_bfe_i32 v7, v7, 0, 16
	v_add_f32_e32 v13, -0.5, v13
	v_lshrrev_b32_e32 v12, 4, v9
	v_cmp_gt_u32_e32 vcc_lo, 0x8000000, v9
	s_delay_alu instid0(VALU_DEP_2) | instskip(NEXT) | instid1(VALU_DEP_1)
	v_or_b32_e32 v12, 0x70000000, v12
	v_mul_f32_e32 v12, 0x7800000, v12
	s_delay_alu instid0(VALU_DEP_1) | instskip(NEXT) | instid1(VALU_DEP_1)
	v_cndmask_b32_e32 v9, v12, v13, vcc_lo
	v_and_or_b32 v7, 0x80000000, v7, v9
	s_delay_alu instid0(VALU_DEP_1)
	v_cvt_i32_f32_e32 v12, v7
.LBB39_2422:
	s_mov_b32 s7, 0
	s_mov_b32 s13, -1
.LBB39_2423:
	s_and_not1_b32 vcc_lo, exec_lo, s7
	s_mov_b32 s7, 0
	s_cbranch_vccnz .LBB39_2434
; %bb.2424:
	s_cmp_gt_i32 s11, 14
	s_cbranch_scc0 .LBB39_2427
; %bb.2425:
	s_cmp_eq_u32 s11, 15
	s_cbranch_scc0 .LBB39_2430
; %bb.2426:
	global_load_u16 v7, v[10:11], off
	s_mov_b32 s6, 0
	s_mov_b32 s13, -1
	s_wait_loadcnt 0x0
	v_lshlrev_b32_e32 v7, 16, v7
	s_wait_xcnt 0x1
	s_delay_alu instid0(VALU_DEP_1)
	v_cvt_i32_f32_e32 v12, v7
	s_branch .LBB39_2432
.LBB39_2427:
	s_mov_b32 s7, -1
	s_branch .LBB39_2431
.LBB39_2428:
	s_and_not1_saveexec_b32 s7, s7
	s_cbranch_execz .LBB39_2409
.LBB39_2429:
	v_cmp_ne_u16_e32 vcc_lo, 0, v7
	s_and_not1_b32 s13, s13, exec_lo
	s_and_b32 s14, vcc_lo, exec_lo
	s_delay_alu instid0(SALU_CYCLE_1)
	s_or_b32 s13, s13, s14
	s_or_b32 exec_lo, exec_lo, s7
	v_mov_b32_e32 v12, 0
	s_and_saveexec_b32 s7, s13
	s_cbranch_execnz .LBB39_2410
	s_branch .LBB39_2411
.LBB39_2430:
	s_mov_b32 s6, -1
.LBB39_2431:
                                        ; implicit-def: $vgpr12
.LBB39_2432:
	s_and_b32 vcc_lo, exec_lo, s7
	s_mov_b32 s7, 0
	s_cbranch_vccz .LBB39_2434
; %bb.2433:
	s_cmp_lg_u32 s11, 11
	s_mov_b32 s7, -1
	s_cselect_b32 s6, -1, 0
.LBB39_2434:
	s_delay_alu instid0(SALU_CYCLE_1)
	s_and_b32 vcc_lo, exec_lo, s6
	s_cbranch_vccnz .LBB39_2499
; %bb.2435:
	s_and_not1_b32 vcc_lo, exec_lo, s7
	s_cbranch_vccnz .LBB39_2437
.LBB39_2436:
	global_load_u8 v7, v[10:11], off
	s_mov_b32 s13, -1
	s_wait_loadcnt 0x0
	v_cmp_ne_u16_e32 vcc_lo, 0, v7
	s_wait_xcnt 0x1
	v_cndmask_b32_e64 v12, 0, 1, vcc_lo
.LBB39_2437:
	s_mov_b32 s6, 0
.LBB39_2438:
	s_delay_alu instid0(SALU_CYCLE_1)
	s_and_b32 vcc_lo, exec_lo, s6
	s_cbranch_vccz .LBB39_2487
; %bb.2439:
	s_cmp_lt_i32 s11, 5
	s_cbranch_scc1 .LBB39_2444
; %bb.2440:
	s_cmp_lt_i32 s11, 8
	s_cbranch_scc1 .LBB39_2445
	;; [unrolled: 3-line block ×3, first 2 shown]
; %bb.2442:
	s_cmp_gt_i32 s11, 9
	s_cbranch_scc0 .LBB39_2447
; %bb.2443:
	s_wait_loadcnt 0x0
	global_load_b64 v[12:13], v[10:11], off
	s_mov_b32 s6, 0
	s_wait_loadcnt 0x0
	v_cvt_i32_f64_e32 v12, v[12:13]
	s_branch .LBB39_2448
.LBB39_2444:
	s_mov_b32 s6, -1
                                        ; implicit-def: $vgpr12
	s_branch .LBB39_2466
.LBB39_2445:
	s_mov_b32 s6, -1
                                        ; implicit-def: $vgpr12
	s_branch .LBB39_2454
.LBB39_2446:
	s_mov_b32 s6, -1
                                        ; implicit-def: $vgpr12
	s_branch .LBB39_2451
.LBB39_2447:
	s_mov_b32 s6, -1
                                        ; implicit-def: $vgpr12
.LBB39_2448:
	s_delay_alu instid0(SALU_CYCLE_1)
	s_and_not1_b32 vcc_lo, exec_lo, s6
	s_cbranch_vccnz .LBB39_2450
; %bb.2449:
	global_load_b32 v7, v[10:11], off
	s_wait_loadcnt 0x0
	s_wait_xcnt 0x1
	v_cvt_i32_f32_e32 v12, v7
.LBB39_2450:
	s_mov_b32 s6, 0
.LBB39_2451:
	s_delay_alu instid0(SALU_CYCLE_1)
	s_and_not1_b32 vcc_lo, exec_lo, s6
	s_cbranch_vccnz .LBB39_2453
; %bb.2452:
	global_load_b32 v7, v[10:11], off
	s_wait_loadcnt 0x0
	v_cvt_f32_f16_e32 v7, v7
	s_wait_xcnt 0x1
	s_delay_alu instid0(VALU_DEP_1)
	v_cvt_i32_f32_e32 v12, v7
.LBB39_2453:
	s_mov_b32 s6, 0
.LBB39_2454:
	s_delay_alu instid0(SALU_CYCLE_1)
	s_and_not1_b32 vcc_lo, exec_lo, s6
	s_cbranch_vccnz .LBB39_2465
; %bb.2455:
	s_cmp_lt_i32 s11, 6
	s_cbranch_scc1 .LBB39_2458
; %bb.2456:
	s_cmp_gt_i32 s11, 6
	s_cbranch_scc0 .LBB39_2459
; %bb.2457:
	s_wait_loadcnt 0x0
	global_load_b64 v[12:13], v[10:11], off
	s_mov_b32 s6, 0
	s_wait_loadcnt 0x0
	v_cvt_i32_f64_e32 v12, v[12:13]
	s_branch .LBB39_2460
.LBB39_2458:
	s_mov_b32 s6, -1
                                        ; implicit-def: $vgpr12
	s_branch .LBB39_2463
.LBB39_2459:
	s_mov_b32 s6, -1
                                        ; implicit-def: $vgpr12
.LBB39_2460:
	s_delay_alu instid0(SALU_CYCLE_1)
	s_and_not1_b32 vcc_lo, exec_lo, s6
	s_cbranch_vccnz .LBB39_2462
; %bb.2461:
	global_load_b32 v7, v[10:11], off
	s_wait_loadcnt 0x0
	s_wait_xcnt 0x1
	v_cvt_i32_f32_e32 v12, v7
.LBB39_2462:
	s_mov_b32 s6, 0
.LBB39_2463:
	s_delay_alu instid0(SALU_CYCLE_1)
	s_and_not1_b32 vcc_lo, exec_lo, s6
	s_cbranch_vccnz .LBB39_2465
; %bb.2464:
	global_load_u16 v7, v[10:11], off
	s_wait_loadcnt 0x0
	v_cvt_f32_f16_e32 v7, v7
	s_wait_xcnt 0x1
	s_delay_alu instid0(VALU_DEP_1)
	v_cvt_i32_f32_e32 v12, v7
.LBB39_2465:
	s_mov_b32 s6, 0
.LBB39_2466:
	s_delay_alu instid0(SALU_CYCLE_1)
	s_and_not1_b32 vcc_lo, exec_lo, s6
	s_cbranch_vccnz .LBB39_2486
; %bb.2467:
	s_cmp_lt_i32 s11, 2
	s_cbranch_scc1 .LBB39_2471
; %bb.2468:
	s_cmp_lt_i32 s11, 3
	s_cbranch_scc1 .LBB39_2472
; %bb.2469:
	s_cmp_gt_i32 s11, 3
	s_cbranch_scc0 .LBB39_2473
; %bb.2470:
	s_wait_loadcnt 0x0
	global_load_b32 v12, v[10:11], off
	s_mov_b32 s6, 0
	s_branch .LBB39_2474
.LBB39_2471:
	s_mov_b32 s6, -1
                                        ; implicit-def: $vgpr12
	s_branch .LBB39_2480
.LBB39_2472:
	s_mov_b32 s6, -1
                                        ; implicit-def: $vgpr12
	s_branch .LBB39_2477
.LBB39_2473:
	s_mov_b32 s6, -1
                                        ; implicit-def: $vgpr12
.LBB39_2474:
	s_delay_alu instid0(SALU_CYCLE_1)
	s_and_not1_b32 vcc_lo, exec_lo, s6
	s_cbranch_vccnz .LBB39_2476
; %bb.2475:
	s_wait_loadcnt 0x0
	global_load_b32 v12, v[10:11], off
.LBB39_2476:
	s_mov_b32 s6, 0
.LBB39_2477:
	s_delay_alu instid0(SALU_CYCLE_1)
	s_and_not1_b32 vcc_lo, exec_lo, s6
	s_cbranch_vccnz .LBB39_2479
; %bb.2478:
	s_wait_loadcnt 0x0
	global_load_i16 v12, v[10:11], off
.LBB39_2479:
	s_mov_b32 s6, 0
.LBB39_2480:
	s_delay_alu instid0(SALU_CYCLE_1)
	s_and_not1_b32 vcc_lo, exec_lo, s6
	s_cbranch_vccnz .LBB39_2486
; %bb.2481:
	s_cmp_gt_i32 s11, 0
	s_mov_b32 s6, 0
	s_cbranch_scc0 .LBB39_2483
; %bb.2482:
	s_wait_loadcnt 0x0
	global_load_i8 v12, v[10:11], off
	s_branch .LBB39_2484
.LBB39_2483:
	s_mov_b32 s6, -1
                                        ; implicit-def: $vgpr12
.LBB39_2484:
	s_delay_alu instid0(SALU_CYCLE_1)
	s_and_not1_b32 vcc_lo, exec_lo, s6
	s_cbranch_vccnz .LBB39_2486
; %bb.2485:
	s_wait_loadcnt 0x0
	global_load_u8 v12, v[10:11], off
.LBB39_2486:
	s_mov_b32 s13, -1
.LBB39_2487:
	s_delay_alu instid0(SALU_CYCLE_1)
	s_and_not1_b32 vcc_lo, exec_lo, s13
	s_cbranch_vccnz .LBB39_3047
; %bb.2488:
	v_mov_b32_e32 v9, 0
	s_cmp_lt_i32 s12, 11
	s_delay_alu instid0(VALU_DEP_1)
	v_add_nc_u64_e32 v[8:9], s[0:1], v[8:9]
	s_cbranch_scc1 .LBB39_2495
; %bb.2489:
	s_cmp_gt_i32 s12, 25
	s_mov_b32 s1, 0
	s_cbranch_scc0 .LBB39_2496
; %bb.2490:
	s_cmp_gt_i32 s12, 28
	s_cbranch_scc0 .LBB39_2497
; %bb.2491:
	s_cmp_gt_i32 s12, 43
	;; [unrolled: 3-line block ×3, first 2 shown]
	s_cbranch_scc0 .LBB39_2500
; %bb.2493:
	s_cmp_eq_u32 s12, 46
	s_mov_b32 s7, 0
	s_cbranch_scc0 .LBB39_2501
; %bb.2494:
	global_load_b32 v7, v[8:9], off
	s_mov_b32 s0, 0
	s_mov_b32 s6, -1
	s_wait_loadcnt 0x0
	v_lshlrev_b32_e32 v7, 16, v7
	s_wait_xcnt 0x1
	s_delay_alu instid0(VALU_DEP_1)
	v_cvt_i32_f32_e32 v10, v7
	s_branch .LBB39_2503
.LBB39_2495:
	s_mov_b32 s0, -1
	s_mov_b32 s6, 0
                                        ; implicit-def: $vgpr10
	s_branch .LBB39_2565
.LBB39_2496:
	s_mov_b32 s7, -1
	s_mov_b32 s6, 0
	s_mov_b32 s0, 0
                                        ; implicit-def: $vgpr10
	s_branch .LBB39_2530
.LBB39_2497:
	s_mov_b32 s7, -1
	s_mov_b32 s6, 0
	s_mov_b32 s0, 0
                                        ; implicit-def: $vgpr10
	s_branch .LBB39_2513
.LBB39_2498:
	s_mov_b32 s7, -1
	s_mov_b32 s6, 0
	s_mov_b32 s0, 0
                                        ; implicit-def: $vgpr10
	s_branch .LBB39_2508
.LBB39_2499:
	s_or_b32 s10, s10, exec_lo
	s_trap 2
	s_cbranch_execz .LBB39_2436
	s_branch .LBB39_2437
.LBB39_2500:
	s_mov_b32 s7, -1
	s_mov_b32 s6, 0
	s_mov_b32 s0, 0
	s_branch .LBB39_2502
.LBB39_2501:
	s_mov_b32 s0, -1
	s_mov_b32 s6, 0
.LBB39_2502:
                                        ; implicit-def: $vgpr10
.LBB39_2503:
	s_and_b32 vcc_lo, exec_lo, s7
	s_cbranch_vccz .LBB39_2507
; %bb.2504:
	s_cmp_eq_u32 s12, 44
	s_cbranch_scc0 .LBB39_2506
; %bb.2505:
	global_load_u8 v7, v[8:9], off
	s_mov_b32 s0, 0
	s_mov_b32 s6, -1
	s_wait_loadcnt 0x0
	s_wait_xcnt 0x1
	v_lshlrev_b32_e32 v10, 23, v7
	v_cmp_ne_u32_e32 vcc_lo, 0, v7
	s_delay_alu instid0(VALU_DEP_2) | instskip(NEXT) | instid1(VALU_DEP_1)
	v_cvt_i32_f32_e32 v10, v10
	v_cndmask_b32_e32 v10, 0, v10, vcc_lo
	s_branch .LBB39_2507
.LBB39_2506:
	s_mov_b32 s0, -1
                                        ; implicit-def: $vgpr10
.LBB39_2507:
	s_mov_b32 s7, 0
.LBB39_2508:
	s_delay_alu instid0(SALU_CYCLE_1)
	s_and_b32 vcc_lo, exec_lo, s7
	s_cbranch_vccz .LBB39_2512
; %bb.2509:
	s_cmp_eq_u32 s12, 29
	s_cbranch_scc0 .LBB39_2511
; %bb.2510:
	global_load_b32 v10, v[8:9], off
	s_mov_b32 s0, 0
	s_mov_b32 s6, -1
	s_branch .LBB39_2512
.LBB39_2511:
	s_mov_b32 s0, -1
                                        ; implicit-def: $vgpr10
.LBB39_2512:
	s_mov_b32 s7, 0
.LBB39_2513:
	s_delay_alu instid0(SALU_CYCLE_1)
	s_and_b32 vcc_lo, exec_lo, s7
	s_cbranch_vccz .LBB39_2529
; %bb.2514:
	s_cmp_lt_i32 s12, 27
	s_cbranch_scc1 .LBB39_2517
; %bb.2515:
	s_cmp_gt_i32 s12, 27
	s_cbranch_scc0 .LBB39_2518
; %bb.2516:
	s_wait_loadcnt 0x0
	global_load_b32 v10, v[8:9], off
	s_mov_b32 s6, 0
	s_branch .LBB39_2519
.LBB39_2517:
	s_mov_b32 s6, -1
                                        ; implicit-def: $vgpr10
	s_branch .LBB39_2522
.LBB39_2518:
	s_mov_b32 s6, -1
                                        ; implicit-def: $vgpr10
.LBB39_2519:
	s_delay_alu instid0(SALU_CYCLE_1)
	s_and_not1_b32 vcc_lo, exec_lo, s6
	s_cbranch_vccnz .LBB39_2521
; %bb.2520:
	s_wait_loadcnt 0x0
	global_load_u16 v10, v[8:9], off
.LBB39_2521:
	s_mov_b32 s6, 0
.LBB39_2522:
	s_delay_alu instid0(SALU_CYCLE_1)
	s_and_not1_b32 vcc_lo, exec_lo, s6
	s_cbranch_vccnz .LBB39_2528
; %bb.2523:
	global_load_u8 v7, v[8:9], off
	s_mov_b32 s7, 0
	s_mov_b32 s6, exec_lo
	s_wait_loadcnt 0x0
	v_cmpx_lt_i16_e32 0x7f, v7
	s_xor_b32 s6, exec_lo, s6
	s_cbranch_execz .LBB39_2540
; %bb.2524:
	v_cmp_ne_u16_e32 vcc_lo, 0x80, v7
	s_and_b32 s7, vcc_lo, exec_lo
	s_and_not1_saveexec_b32 s6, s6
	s_cbranch_execnz .LBB39_2541
.LBB39_2525:
	s_or_b32 exec_lo, exec_lo, s6
	v_mov_b32_e32 v10, 0
	s_and_saveexec_b32 s6, s7
	s_cbranch_execz .LBB39_2527
.LBB39_2526:
	v_and_b32_e32 v10, 0xffff, v7
	s_delay_alu instid0(VALU_DEP_1) | instskip(SKIP_1) | instid1(VALU_DEP_2)
	v_and_b32_e32 v11, 7, v10
	v_bfe_u32 v17, v10, 3, 4
	v_clz_i32_u32_e32 v13, v11
	s_delay_alu instid0(VALU_DEP_2) | instskip(NEXT) | instid1(VALU_DEP_2)
	v_cmp_eq_u32_e32 vcc_lo, 0, v17
	v_min_u32_e32 v13, 32, v13
	s_delay_alu instid0(VALU_DEP_1) | instskip(NEXT) | instid1(VALU_DEP_1)
	v_subrev_nc_u32_e32 v15, 28, v13
	v_dual_lshlrev_b32 v10, v15, v10 :: v_dual_sub_nc_u32 v13, 29, v13
	s_delay_alu instid0(VALU_DEP_1) | instskip(NEXT) | instid1(VALU_DEP_1)
	v_dual_lshlrev_b32 v7, 24, v7 :: v_dual_bitop2_b32 v10, 7, v10 bitop3:0x40
	v_dual_cndmask_b32 v13, v17, v13 :: v_dual_cndmask_b32 v10, v11, v10
	s_delay_alu instid0(VALU_DEP_2) | instskip(NEXT) | instid1(VALU_DEP_2)
	v_and_b32_e32 v7, 0x80000000, v7
	v_lshl_add_u32 v11, v13, 23, 0x3b800000
	s_delay_alu instid0(VALU_DEP_3) | instskip(NEXT) | instid1(VALU_DEP_1)
	v_lshlrev_b32_e32 v10, 20, v10
	v_or3_b32 v7, v7, v11, v10
	s_delay_alu instid0(VALU_DEP_1)
	v_cvt_i32_f32_e32 v10, v7
.LBB39_2527:
	s_or_b32 exec_lo, exec_lo, s6
.LBB39_2528:
	s_mov_b32 s6, -1
.LBB39_2529:
	s_mov_b32 s7, 0
.LBB39_2530:
	s_delay_alu instid0(SALU_CYCLE_1)
	s_and_b32 vcc_lo, exec_lo, s7
	s_cbranch_vccz .LBB39_2561
; %bb.2531:
	s_cmp_gt_i32 s12, 22
	s_cbranch_scc0 .LBB39_2539
; %bb.2532:
	s_cmp_lt_i32 s12, 24
	s_cbranch_scc1 .LBB39_2542
; %bb.2533:
	s_cmp_gt_i32 s12, 24
	s_cbranch_scc0 .LBB39_2543
; %bb.2534:
	global_load_u8 v7, v[8:9], off
	s_mov_b32 s6, 0
	s_mov_b32 s1, exec_lo
	s_wait_loadcnt 0x0
	v_cmpx_lt_i16_e32 0x7f, v7
	s_xor_b32 s1, exec_lo, s1
	s_cbranch_execz .LBB39_2555
; %bb.2535:
	v_cmp_ne_u16_e32 vcc_lo, 0x80, v7
	s_and_b32 s6, vcc_lo, exec_lo
	s_and_not1_saveexec_b32 s1, s1
	s_cbranch_execnz .LBB39_2556
.LBB39_2536:
	s_or_b32 exec_lo, exec_lo, s1
	v_mov_b32_e32 v10, 0
	s_and_saveexec_b32 s1, s6
	s_cbranch_execz .LBB39_2538
.LBB39_2537:
	v_and_b32_e32 v10, 0xffff, v7
	s_delay_alu instid0(VALU_DEP_1) | instskip(SKIP_1) | instid1(VALU_DEP_2)
	v_and_b32_e32 v11, 3, v10
	v_bfe_u32 v17, v10, 2, 5
	v_clz_i32_u32_e32 v13, v11
	s_delay_alu instid0(VALU_DEP_2) | instskip(NEXT) | instid1(VALU_DEP_2)
	v_cmp_eq_u32_e32 vcc_lo, 0, v17
	v_min_u32_e32 v13, 32, v13
	s_delay_alu instid0(VALU_DEP_1) | instskip(NEXT) | instid1(VALU_DEP_1)
	v_subrev_nc_u32_e32 v15, 29, v13
	v_dual_lshlrev_b32 v10, v15, v10 :: v_dual_sub_nc_u32 v13, 30, v13
	s_delay_alu instid0(VALU_DEP_1) | instskip(NEXT) | instid1(VALU_DEP_1)
	v_dual_lshlrev_b32 v7, 24, v7 :: v_dual_bitop2_b32 v10, 3, v10 bitop3:0x40
	v_dual_cndmask_b32 v13, v17, v13 :: v_dual_cndmask_b32 v10, v11, v10
	s_delay_alu instid0(VALU_DEP_2) | instskip(NEXT) | instid1(VALU_DEP_2)
	v_and_b32_e32 v7, 0x80000000, v7
	v_lshl_add_u32 v11, v13, 23, 0x37800000
	s_delay_alu instid0(VALU_DEP_3) | instskip(NEXT) | instid1(VALU_DEP_1)
	v_lshlrev_b32_e32 v10, 21, v10
	v_or3_b32 v7, v7, v11, v10
	s_delay_alu instid0(VALU_DEP_1)
	v_cvt_i32_f32_e32 v10, v7
.LBB39_2538:
	s_or_b32 exec_lo, exec_lo, s1
	s_mov_b32 s1, 0
	s_branch .LBB39_2544
.LBB39_2539:
	s_mov_b32 s1, -1
                                        ; implicit-def: $vgpr10
	s_branch .LBB39_2550
.LBB39_2540:
	s_and_not1_saveexec_b32 s6, s6
	s_cbranch_execz .LBB39_2525
.LBB39_2541:
	v_cmp_ne_u16_e32 vcc_lo, 0, v7
	s_and_not1_b32 s7, s7, exec_lo
	s_and_b32 s11, vcc_lo, exec_lo
	s_delay_alu instid0(SALU_CYCLE_1)
	s_or_b32 s7, s7, s11
	s_or_b32 exec_lo, exec_lo, s6
	v_mov_b32_e32 v10, 0
	s_and_saveexec_b32 s6, s7
	s_cbranch_execnz .LBB39_2526
	s_branch .LBB39_2527
.LBB39_2542:
	s_mov_b32 s1, -1
                                        ; implicit-def: $vgpr10
	s_branch .LBB39_2547
.LBB39_2543:
	s_mov_b32 s1, -1
                                        ; implicit-def: $vgpr10
.LBB39_2544:
	s_delay_alu instid0(SALU_CYCLE_1)
	s_and_b32 vcc_lo, exec_lo, s1
	s_cbranch_vccz .LBB39_2546
; %bb.2545:
	global_load_u8 v7, v[8:9], off
	s_wait_loadcnt 0x0
	v_lshlrev_b32_e32 v7, 24, v7
	s_wait_xcnt 0x1
	s_delay_alu instid0(VALU_DEP_1) | instskip(NEXT) | instid1(VALU_DEP_1)
	v_and_b32_e32 v10, 0x7f000000, v7
	v_clz_i32_u32_e32 v11, v10
	v_cmp_ne_u32_e32 vcc_lo, 0, v10
	v_add_nc_u32_e32 v15, 0x1000000, v10
	s_delay_alu instid0(VALU_DEP_3) | instskip(NEXT) | instid1(VALU_DEP_1)
	v_min_u32_e32 v11, 32, v11
	v_sub_nc_u32_e64 v11, v11, 4 clamp
	s_delay_alu instid0(VALU_DEP_1) | instskip(NEXT) | instid1(VALU_DEP_1)
	v_dual_lshlrev_b32 v13, v11, v10 :: v_dual_lshlrev_b32 v11, 23, v11
	v_lshrrev_b32_e32 v13, 4, v13
	s_delay_alu instid0(VALU_DEP_1) | instskip(SKIP_1) | instid1(VALU_DEP_2)
	v_sub_nc_u32_e32 v11, v13, v11
	v_ashrrev_i32_e32 v13, 8, v15
	v_add_nc_u32_e32 v11, 0x3c000000, v11
	s_delay_alu instid0(VALU_DEP_1) | instskip(NEXT) | instid1(VALU_DEP_1)
	v_and_or_b32 v11, 0x7f800000, v13, v11
	v_cndmask_b32_e32 v10, 0, v11, vcc_lo
	s_delay_alu instid0(VALU_DEP_1) | instskip(NEXT) | instid1(VALU_DEP_1)
	v_and_or_b32 v7, 0x80000000, v7, v10
	v_cvt_i32_f32_e32 v10, v7
.LBB39_2546:
	s_mov_b32 s1, 0
.LBB39_2547:
	s_delay_alu instid0(SALU_CYCLE_1)
	s_and_not1_b32 vcc_lo, exec_lo, s1
	s_cbranch_vccnz .LBB39_2549
; %bb.2548:
	global_load_u8 v7, v[8:9], off
	s_wait_loadcnt 0x0
	s_wait_xcnt 0x1
	v_lshlrev_b32_e32 v10, 25, v7
	v_lshlrev_b16 v7, 8, v7
	s_delay_alu instid0(VALU_DEP_1) | instskip(SKIP_1) | instid1(VALU_DEP_2)
	v_and_or_b32 v13, 0x7f00, v7, 0.5
	v_bfe_i32 v7, v7, 0, 16
	v_dual_add_f32 v13, -0.5, v13 :: v_dual_lshrrev_b32 v11, 4, v10
	v_cmp_gt_u32_e32 vcc_lo, 0x8000000, v10
	s_delay_alu instid0(VALU_DEP_2) | instskip(NEXT) | instid1(VALU_DEP_1)
	v_or_b32_e32 v11, 0x70000000, v11
	v_mul_f32_e32 v11, 0x7800000, v11
	s_delay_alu instid0(VALU_DEP_1) | instskip(NEXT) | instid1(VALU_DEP_1)
	v_cndmask_b32_e32 v10, v11, v13, vcc_lo
	v_and_or_b32 v7, 0x80000000, v7, v10
	s_delay_alu instid0(VALU_DEP_1)
	v_cvt_i32_f32_e32 v10, v7
.LBB39_2549:
	s_mov_b32 s1, 0
	s_mov_b32 s6, -1
.LBB39_2550:
	s_and_not1_b32 vcc_lo, exec_lo, s1
	s_mov_b32 s1, 0
	s_cbranch_vccnz .LBB39_2561
; %bb.2551:
	s_cmp_gt_i32 s12, 14
	s_cbranch_scc0 .LBB39_2554
; %bb.2552:
	s_cmp_eq_u32 s12, 15
	s_cbranch_scc0 .LBB39_2557
; %bb.2553:
	global_load_u16 v7, v[8:9], off
	s_mov_b32 s0, 0
	s_mov_b32 s6, -1
	s_wait_loadcnt 0x0
	v_lshlrev_b32_e32 v7, 16, v7
	s_wait_xcnt 0x1
	s_delay_alu instid0(VALU_DEP_1)
	v_cvt_i32_f32_e32 v10, v7
	s_branch .LBB39_2559
.LBB39_2554:
	s_mov_b32 s1, -1
	s_branch .LBB39_2558
.LBB39_2555:
	s_and_not1_saveexec_b32 s1, s1
	s_cbranch_execz .LBB39_2536
.LBB39_2556:
	v_cmp_ne_u16_e32 vcc_lo, 0, v7
	s_and_not1_b32 s6, s6, exec_lo
	s_and_b32 s7, vcc_lo, exec_lo
	s_delay_alu instid0(SALU_CYCLE_1)
	s_or_b32 s6, s6, s7
	s_or_b32 exec_lo, exec_lo, s1
	v_mov_b32_e32 v10, 0
	s_and_saveexec_b32 s1, s6
	s_cbranch_execnz .LBB39_2537
	s_branch .LBB39_2538
.LBB39_2557:
	s_mov_b32 s0, -1
.LBB39_2558:
                                        ; implicit-def: $vgpr10
.LBB39_2559:
	s_and_b32 vcc_lo, exec_lo, s1
	s_mov_b32 s1, 0
	s_cbranch_vccz .LBB39_2561
; %bb.2560:
	s_cmp_lg_u32 s12, 11
	s_mov_b32 s1, -1
	s_cselect_b32 s0, -1, 0
.LBB39_2561:
	s_delay_alu instid0(SALU_CYCLE_1)
	s_and_b32 vcc_lo, exec_lo, s0
	s_cbranch_vccnz .LBB39_3093
; %bb.2562:
	s_and_not1_b32 vcc_lo, exec_lo, s1
	s_cbranch_vccnz .LBB39_2564
.LBB39_2563:
	global_load_u8 v7, v[8:9], off
	s_mov_b32 s6, -1
	s_wait_loadcnt 0x0
	v_cmp_ne_u16_e32 vcc_lo, 0, v7
	s_wait_xcnt 0x1
	v_cndmask_b32_e64 v10, 0, 1, vcc_lo
.LBB39_2564:
	s_mov_b32 s0, 0
.LBB39_2565:
	s_delay_alu instid0(SALU_CYCLE_1)
	s_and_b32 vcc_lo, exec_lo, s0
	s_cbranch_vccz .LBB39_2614
; %bb.2566:
	s_cmp_lt_i32 s12, 5
	s_cbranch_scc1 .LBB39_2571
; %bb.2567:
	s_cmp_lt_i32 s12, 8
	s_cbranch_scc1 .LBB39_2572
	;; [unrolled: 3-line block ×3, first 2 shown]
; %bb.2569:
	s_cmp_gt_i32 s12, 9
	s_cbranch_scc0 .LBB39_2574
; %bb.2570:
	s_wait_loadcnt 0x0
	global_load_b64 v[10:11], v[8:9], off
	s_mov_b32 s0, 0
	s_wait_loadcnt 0x0
	v_cvt_i32_f64_e32 v10, v[10:11]
	s_branch .LBB39_2575
.LBB39_2571:
	s_mov_b32 s0, -1
                                        ; implicit-def: $vgpr10
	s_branch .LBB39_2593
.LBB39_2572:
	s_mov_b32 s0, -1
                                        ; implicit-def: $vgpr10
	s_branch .LBB39_2581
.LBB39_2573:
	s_mov_b32 s0, -1
                                        ; implicit-def: $vgpr10
	s_branch .LBB39_2578
.LBB39_2574:
	s_mov_b32 s0, -1
                                        ; implicit-def: $vgpr10
.LBB39_2575:
	s_delay_alu instid0(SALU_CYCLE_1)
	s_and_not1_b32 vcc_lo, exec_lo, s0
	s_cbranch_vccnz .LBB39_2577
; %bb.2576:
	global_load_b32 v7, v[8:9], off
	s_wait_loadcnt 0x0
	s_wait_xcnt 0x1
	v_cvt_i32_f32_e32 v10, v7
.LBB39_2577:
	s_mov_b32 s0, 0
.LBB39_2578:
	s_delay_alu instid0(SALU_CYCLE_1)
	s_and_not1_b32 vcc_lo, exec_lo, s0
	s_cbranch_vccnz .LBB39_2580
; %bb.2579:
	global_load_b32 v7, v[8:9], off
	s_wait_loadcnt 0x0
	v_cvt_f32_f16_e32 v7, v7
	s_wait_xcnt 0x1
	s_delay_alu instid0(VALU_DEP_1)
	v_cvt_i32_f32_e32 v10, v7
.LBB39_2580:
	s_mov_b32 s0, 0
.LBB39_2581:
	s_delay_alu instid0(SALU_CYCLE_1)
	s_and_not1_b32 vcc_lo, exec_lo, s0
	s_cbranch_vccnz .LBB39_2592
; %bb.2582:
	s_cmp_lt_i32 s12, 6
	s_cbranch_scc1 .LBB39_2585
; %bb.2583:
	s_cmp_gt_i32 s12, 6
	s_cbranch_scc0 .LBB39_2586
; %bb.2584:
	s_wait_loadcnt 0x0
	global_load_b64 v[10:11], v[8:9], off
	s_mov_b32 s0, 0
	s_wait_loadcnt 0x0
	v_cvt_i32_f64_e32 v10, v[10:11]
	s_branch .LBB39_2587
.LBB39_2585:
	s_mov_b32 s0, -1
                                        ; implicit-def: $vgpr10
	s_branch .LBB39_2590
.LBB39_2586:
	s_mov_b32 s0, -1
                                        ; implicit-def: $vgpr10
.LBB39_2587:
	s_delay_alu instid0(SALU_CYCLE_1)
	s_and_not1_b32 vcc_lo, exec_lo, s0
	s_cbranch_vccnz .LBB39_2589
; %bb.2588:
	global_load_b32 v7, v[8:9], off
	s_wait_loadcnt 0x0
	s_wait_xcnt 0x1
	v_cvt_i32_f32_e32 v10, v7
.LBB39_2589:
	s_mov_b32 s0, 0
.LBB39_2590:
	s_delay_alu instid0(SALU_CYCLE_1)
	s_and_not1_b32 vcc_lo, exec_lo, s0
	s_cbranch_vccnz .LBB39_2592
; %bb.2591:
	global_load_u16 v7, v[8:9], off
	s_wait_loadcnt 0x0
	v_cvt_f32_f16_e32 v7, v7
	s_wait_xcnt 0x1
	s_delay_alu instid0(VALU_DEP_1)
	v_cvt_i32_f32_e32 v10, v7
.LBB39_2592:
	s_mov_b32 s0, 0
.LBB39_2593:
	s_delay_alu instid0(SALU_CYCLE_1)
	s_and_not1_b32 vcc_lo, exec_lo, s0
	s_cbranch_vccnz .LBB39_2613
; %bb.2594:
	s_cmp_lt_i32 s12, 2
	s_cbranch_scc1 .LBB39_2598
; %bb.2595:
	s_cmp_lt_i32 s12, 3
	s_cbranch_scc1 .LBB39_2599
; %bb.2596:
	s_cmp_gt_i32 s12, 3
	s_cbranch_scc0 .LBB39_2600
; %bb.2597:
	s_wait_loadcnt 0x0
	global_load_b32 v10, v[8:9], off
	s_mov_b32 s0, 0
	s_branch .LBB39_2601
.LBB39_2598:
	s_mov_b32 s0, -1
                                        ; implicit-def: $vgpr10
	s_branch .LBB39_2607
.LBB39_2599:
	s_mov_b32 s0, -1
                                        ; implicit-def: $vgpr10
	s_branch .LBB39_2604
.LBB39_2600:
	s_mov_b32 s0, -1
                                        ; implicit-def: $vgpr10
.LBB39_2601:
	s_delay_alu instid0(SALU_CYCLE_1)
	s_and_not1_b32 vcc_lo, exec_lo, s0
	s_cbranch_vccnz .LBB39_2603
; %bb.2602:
	s_wait_loadcnt 0x0
	global_load_b32 v10, v[8:9], off
.LBB39_2603:
	s_mov_b32 s0, 0
.LBB39_2604:
	s_delay_alu instid0(SALU_CYCLE_1)
	s_and_not1_b32 vcc_lo, exec_lo, s0
	s_cbranch_vccnz .LBB39_2606
; %bb.2605:
	s_wait_loadcnt 0x0
	global_load_i16 v10, v[8:9], off
.LBB39_2606:
	s_mov_b32 s0, 0
.LBB39_2607:
	s_delay_alu instid0(SALU_CYCLE_1)
	s_and_not1_b32 vcc_lo, exec_lo, s0
	s_cbranch_vccnz .LBB39_2613
; %bb.2608:
	s_cmp_gt_i32 s12, 0
	s_mov_b32 s0, 0
	s_cbranch_scc0 .LBB39_2610
; %bb.2609:
	s_wait_loadcnt 0x0
	global_load_i8 v10, v[8:9], off
	s_branch .LBB39_2611
.LBB39_2610:
	s_mov_b32 s0, -1
                                        ; implicit-def: $vgpr10
.LBB39_2611:
	s_delay_alu instid0(SALU_CYCLE_1)
	s_and_not1_b32 vcc_lo, exec_lo, s0
	s_cbranch_vccnz .LBB39_2613
; %bb.2612:
	s_wait_loadcnt 0x0
	global_load_u8 v10, v[8:9], off
.LBB39_2613:
	s_mov_b32 s6, -1
.LBB39_2614:
	s_delay_alu instid0(SALU_CYCLE_1)
	s_and_not1_b32 vcc_lo, exec_lo, s6
	s_cbranch_vccnz .LBB39_3047
; %bb.2615:
	s_load_b64 s[0:1], s[2:3], 0x1a0
	v_mov_b32_e32 v7, 0
	s_wait_loadcnt 0x0
	v_cmp_ne_u32_e32 vcc_lo, v1, v5
	s_mov_b32 s11, 0
	s_delay_alu instid0(VALU_DEP_2)
	v_add_nc_u64_e32 v[6:7], s[4:5], v[6:7]
	s_wait_kmcnt 0x0
	s_cmp_eq_u32 s0, 0
	s_mov_b32 s0, -1
	s_cselect_b32 s2, -1, 0
	s_and_b32 s1, s1, 0xff
	s_xor_b32 s3, s2, vcc_lo
	s_cmp_lt_i32 s1, 11
	s_cbranch_scc1 .LBB39_2694
; %bb.2616:
	s_and_b32 s6, 0xffff, s1
	s_mov_b32 s12, -1
	s_mov_b32 s7, 0
	s_cmp_gt_i32 s6, 25
	s_mov_b32 s0, 0
	s_cbranch_scc0 .LBB39_2649
; %bb.2617:
	s_cmp_gt_i32 s6, 28
	s_cbranch_scc0 .LBB39_2632
; %bb.2618:
	s_cmp_gt_i32 s6, 43
	;; [unrolled: 3-line block ×3, first 2 shown]
	s_cbranch_scc0 .LBB39_2622
; %bb.2620:
	s_mov_b32 s0, -1
	s_mov_b32 s12, 0
	s_cmp_eq_u32 s6, 46
	s_cbranch_scc0 .LBB39_2622
; %bb.2621:
	v_cndmask_b32_e64 v1, 0, 1.0, s3
	s_mov_b32 s0, 0
	s_mov_b32 s11, -1
	s_delay_alu instid0(VALU_DEP_1) | instskip(NEXT) | instid1(VALU_DEP_1)
	v_bfe_u32 v5, v1, 16, 1
	v_add3_u32 v1, v1, v5, 0x7fff
	s_delay_alu instid0(VALU_DEP_1)
	v_lshrrev_b32_e32 v1, 16, v1
	global_store_b32 v[6:7], v1, off
.LBB39_2622:
	s_and_b32 vcc_lo, exec_lo, s12
	s_cbranch_vccz .LBB39_2627
; %bb.2623:
	s_cmp_eq_u32 s6, 44
	s_mov_b32 s0, -1
	s_cbranch_scc0 .LBB39_2627
; %bb.2624:
	v_cndmask_b32_e64 v8, 0, 1.0, s3
	v_mov_b32_e32 v5, 0xff
	s_mov_b32 s11, exec_lo
	s_wait_xcnt 0x0
	s_delay_alu instid0(VALU_DEP_2) | instskip(NEXT) | instid1(VALU_DEP_1)
	v_lshrrev_b32_e32 v1, 23, v8
	v_cmpx_ne_u32_e32 0xff, v1
; %bb.2625:
	v_and_b32_e32 v5, 0x400000, v8
	v_and_or_b32 v8, 0x3fffff, v8, v1
	s_delay_alu instid0(VALU_DEP_2) | instskip(NEXT) | instid1(VALU_DEP_2)
	v_cmp_ne_u32_e32 vcc_lo, 0, v5
	v_cmp_ne_u32_e64 s0, 0, v8
	s_and_b32 s0, vcc_lo, s0
	s_delay_alu instid0(SALU_CYCLE_1) | instskip(NEXT) | instid1(VALU_DEP_1)
	v_cndmask_b32_e64 v5, 0, 1, s0
	v_add_nc_u32_e32 v5, v1, v5
; %bb.2626:
	s_or_b32 exec_lo, exec_lo, s11
	s_mov_b32 s0, 0
	s_mov_b32 s11, -1
	global_store_b8 v[6:7], v5, off
.LBB39_2627:
	s_mov_b32 s12, 0
.LBB39_2628:
	s_delay_alu instid0(SALU_CYCLE_1)
	s_and_b32 vcc_lo, exec_lo, s12
	s_cbranch_vccz .LBB39_2631
; %bb.2629:
	s_cmp_eq_u32 s6, 29
	s_mov_b32 s0, -1
	s_cbranch_scc0 .LBB39_2631
; %bb.2630:
	s_mov_b32 s0, 0
	v_cndmask_b32_e64 v8, 0, 1, s3
	v_mov_b32_e32 v9, s0
	s_mov_b32 s11, -1
	global_store_b64 v[6:7], v[8:9], off
.LBB39_2631:
	s_mov_b32 s12, 0
.LBB39_2632:
	s_delay_alu instid0(SALU_CYCLE_1)
	s_and_b32 vcc_lo, exec_lo, s12
	s_cbranch_vccz .LBB39_2648
; %bb.2633:
	s_cmp_lt_i32 s6, 27
	s_mov_b32 s11, -1
	s_cbranch_scc1 .LBB39_2639
; %bb.2634:
	s_cmp_gt_i32 s6, 27
	s_cbranch_scc0 .LBB39_2636
; %bb.2635:
	s_wait_xcnt 0x0
	v_cndmask_b32_e64 v1, 0, 1, s3
	s_mov_b32 s11, 0
	global_store_b32 v[6:7], v1, off
.LBB39_2636:
	s_and_not1_b32 vcc_lo, exec_lo, s11
	s_cbranch_vccnz .LBB39_2638
; %bb.2637:
	s_wait_xcnt 0x0
	v_cndmask_b32_e64 v1, 0, 1, s3
	global_store_b16 v[6:7], v1, off
.LBB39_2638:
	s_mov_b32 s11, 0
.LBB39_2639:
	s_delay_alu instid0(SALU_CYCLE_1)
	s_and_not1_b32 vcc_lo, exec_lo, s11
	s_cbranch_vccnz .LBB39_2647
; %bb.2640:
	s_wait_xcnt 0x0
	v_cndmask_b32_e64 v5, 0, 1.0, s3
	v_mov_b32_e32 v8, 0x80
	s_mov_b32 s11, exec_lo
	s_delay_alu instid0(VALU_DEP_2)
	v_cmpx_gt_u32_e32 0x43800000, v5
	s_cbranch_execz .LBB39_2646
; %bb.2641:
	s_mov_b32 s12, 0
	s_mov_b32 s13, exec_lo
                                        ; implicit-def: $vgpr1
	v_cmpx_lt_u32_e32 0x3bffffff, v5
	s_xor_b32 s13, exec_lo, s13
	s_cbranch_execz .LBB39_3094
; %bb.2642:
	v_bfe_u32 v1, v5, 20, 1
	s_mov_b32 s12, exec_lo
	s_delay_alu instid0(VALU_DEP_1) | instskip(NEXT) | instid1(VALU_DEP_1)
	v_add3_u32 v1, v5, v1, 0x487ffff
                                        ; implicit-def: $vgpr5
	v_lshrrev_b32_e32 v1, 20, v1
	s_and_not1_saveexec_b32 s13, s13
	s_cbranch_execnz .LBB39_3095
.LBB39_2643:
	s_or_b32 exec_lo, exec_lo, s13
	v_mov_b32_e32 v8, 0
	s_and_saveexec_b32 s13, s12
.LBB39_2644:
	v_mov_b32_e32 v8, v1
.LBB39_2645:
	s_or_b32 exec_lo, exec_lo, s13
.LBB39_2646:
	s_delay_alu instid0(SALU_CYCLE_1)
	s_or_b32 exec_lo, exec_lo, s11
	global_store_b8 v[6:7], v8, off
.LBB39_2647:
	s_mov_b32 s11, -1
.LBB39_2648:
	s_mov_b32 s12, 0
.LBB39_2649:
	s_delay_alu instid0(SALU_CYCLE_1)
	s_and_b32 vcc_lo, exec_lo, s12
	s_cbranch_vccz .LBB39_2689
; %bb.2650:
	s_cmp_gt_i32 s6, 22
	s_mov_b32 s7, -1
	s_cbranch_scc0 .LBB39_2682
; %bb.2651:
	s_cmp_lt_i32 s6, 24
	s_cbranch_scc1 .LBB39_2671
; %bb.2652:
	s_cmp_gt_i32 s6, 24
	s_cbranch_scc0 .LBB39_2660
; %bb.2653:
	s_wait_xcnt 0x0
	v_cndmask_b32_e64 v5, 0, 1.0, s3
	v_mov_b32_e32 v8, 0x80
	s_mov_b32 s7, exec_lo
	s_delay_alu instid0(VALU_DEP_2)
	v_cmpx_gt_u32_e32 0x47800000, v5
	s_cbranch_execz .LBB39_2659
; %bb.2654:
	s_mov_b32 s11, 0
	s_mov_b32 s12, exec_lo
                                        ; implicit-def: $vgpr1
	v_cmpx_lt_u32_e32 0x37ffffff, v5
	s_xor_b32 s12, exec_lo, s12
	s_cbranch_execz .LBB39_3097
; %bb.2655:
	v_bfe_u32 v1, v5, 21, 1
	s_mov_b32 s11, exec_lo
	s_delay_alu instid0(VALU_DEP_1) | instskip(NEXT) | instid1(VALU_DEP_1)
	v_add3_u32 v1, v5, v1, 0x88fffff
                                        ; implicit-def: $vgpr5
	v_lshrrev_b32_e32 v1, 21, v1
	s_and_not1_saveexec_b32 s12, s12
	s_cbranch_execnz .LBB39_3098
.LBB39_2656:
	s_or_b32 exec_lo, exec_lo, s12
	v_mov_b32_e32 v8, 0
	s_and_saveexec_b32 s12, s11
.LBB39_2657:
	v_mov_b32_e32 v8, v1
.LBB39_2658:
	s_or_b32 exec_lo, exec_lo, s12
.LBB39_2659:
	s_delay_alu instid0(SALU_CYCLE_1)
	s_or_b32 exec_lo, exec_lo, s7
	s_mov_b32 s7, 0
	global_store_b8 v[6:7], v8, off
.LBB39_2660:
	s_and_b32 vcc_lo, exec_lo, s7
	s_cbranch_vccz .LBB39_2670
; %bb.2661:
	s_wait_xcnt 0x0
	v_cndmask_b32_e64 v5, 0, 1.0, s3
	s_mov_b32 s7, exec_lo
                                        ; implicit-def: $vgpr1
	s_delay_alu instid0(VALU_DEP_1)
	v_cmpx_gt_u32_e32 0x43f00000, v5
	s_xor_b32 s7, exec_lo, s7
	s_cbranch_execz .LBB39_2667
; %bb.2662:
	s_mov_b32 s11, exec_lo
                                        ; implicit-def: $vgpr1
	v_cmpx_lt_u32_e32 0x3c7fffff, v5
	s_xor_b32 s11, exec_lo, s11
; %bb.2663:
	v_bfe_u32 v1, v5, 20, 1
	s_delay_alu instid0(VALU_DEP_1) | instskip(NEXT) | instid1(VALU_DEP_1)
	v_add3_u32 v1, v5, v1, 0x407ffff
	v_and_b32_e32 v5, 0xff00000, v1
	v_lshrrev_b32_e32 v1, 20, v1
	s_delay_alu instid0(VALU_DEP_2) | instskip(NEXT) | instid1(VALU_DEP_2)
	v_cmp_ne_u32_e32 vcc_lo, 0x7f00000, v5
                                        ; implicit-def: $vgpr5
	v_cndmask_b32_e32 v1, 0x7e, v1, vcc_lo
; %bb.2664:
	s_and_not1_saveexec_b32 s11, s11
; %bb.2665:
	v_add_f32_e32 v1, 0x46800000, v5
; %bb.2666:
	s_or_b32 exec_lo, exec_lo, s11
                                        ; implicit-def: $vgpr5
.LBB39_2667:
	s_and_not1_saveexec_b32 s7, s7
; %bb.2668:
	v_mov_b32_e32 v1, 0x7f
	v_cmp_lt_u32_e32 vcc_lo, 0x7f800000, v5
	s_delay_alu instid0(VALU_DEP_2)
	v_cndmask_b32_e32 v1, 0x7e, v1, vcc_lo
; %bb.2669:
	s_or_b32 exec_lo, exec_lo, s7
	global_store_b8 v[6:7], v1, off
.LBB39_2670:
	s_mov_b32 s7, 0
.LBB39_2671:
	s_delay_alu instid0(SALU_CYCLE_1)
	s_and_not1_b32 vcc_lo, exec_lo, s7
	s_cbranch_vccnz .LBB39_2681
; %bb.2672:
	s_wait_xcnt 0x0
	v_cndmask_b32_e64 v5, 0, 1.0, s3
	s_mov_b32 s7, exec_lo
                                        ; implicit-def: $vgpr1
	s_delay_alu instid0(VALU_DEP_1)
	v_cmpx_gt_u32_e32 0x47800000, v5
	s_xor_b32 s7, exec_lo, s7
	s_cbranch_execz .LBB39_2678
; %bb.2673:
	s_mov_b32 s11, exec_lo
                                        ; implicit-def: $vgpr1
	v_cmpx_lt_u32_e32 0x387fffff, v5
	s_xor_b32 s11, exec_lo, s11
; %bb.2674:
	v_bfe_u32 v1, v5, 21, 1
	s_delay_alu instid0(VALU_DEP_1) | instskip(NEXT) | instid1(VALU_DEP_1)
	v_add3_u32 v1, v5, v1, 0x80fffff
                                        ; implicit-def: $vgpr5
	v_lshrrev_b32_e32 v1, 21, v1
; %bb.2675:
	s_and_not1_saveexec_b32 s11, s11
; %bb.2676:
	v_add_f32_e32 v1, 0x43000000, v5
; %bb.2677:
	s_or_b32 exec_lo, exec_lo, s11
                                        ; implicit-def: $vgpr5
.LBB39_2678:
	s_and_not1_saveexec_b32 s7, s7
; %bb.2679:
	v_mov_b32_e32 v1, 0x7f
	v_cmp_lt_u32_e32 vcc_lo, 0x7f800000, v5
	s_delay_alu instid0(VALU_DEP_2)
	v_cndmask_b32_e32 v1, 0x7c, v1, vcc_lo
; %bb.2680:
	s_or_b32 exec_lo, exec_lo, s7
	global_store_b8 v[6:7], v1, off
.LBB39_2681:
	s_mov_b32 s7, 0
	s_mov_b32 s11, -1
.LBB39_2682:
	s_and_not1_b32 vcc_lo, exec_lo, s7
	s_mov_b32 s7, 0
	s_cbranch_vccnz .LBB39_2689
; %bb.2683:
	s_cmp_gt_i32 s6, 14
	s_mov_b32 s7, -1
	s_cbranch_scc0 .LBB39_2687
; %bb.2684:
	s_cmp_eq_u32 s6, 15
	s_mov_b32 s0, -1
	s_cbranch_scc0 .LBB39_2686
; %bb.2685:
	s_wait_xcnt 0x0
	v_cndmask_b32_e64 v1, 0, 1.0, s3
	s_mov_b32 s0, 0
	s_mov_b32 s11, -1
	s_delay_alu instid0(VALU_DEP_1) | instskip(NEXT) | instid1(VALU_DEP_1)
	v_bfe_u32 v5, v1, 16, 1
	v_add3_u32 v1, v1, v5, 0x7fff
	global_store_d16_hi_b16 v[6:7], v1, off
.LBB39_2686:
	s_mov_b32 s7, 0
.LBB39_2687:
	s_delay_alu instid0(SALU_CYCLE_1)
	s_and_b32 vcc_lo, exec_lo, s7
	s_mov_b32 s7, 0
	s_cbranch_vccz .LBB39_2689
; %bb.2688:
	s_cmp_lg_u32 s6, 11
	s_mov_b32 s7, -1
	s_cselect_b32 s0, -1, 0
.LBB39_2689:
	s_delay_alu instid0(SALU_CYCLE_1)
	s_and_b32 vcc_lo, exec_lo, s0
	s_cbranch_vccnz .LBB39_3096
; %bb.2690:
	s_and_not1_b32 vcc_lo, exec_lo, s7
	s_cbranch_vccnz .LBB39_2692
.LBB39_2691:
	s_wait_xcnt 0x0
	v_cndmask_b32_e64 v1, 0, 1, s3
	s_mov_b32 s11, -1
	global_store_b8 v[6:7], v1, off
.LBB39_2692:
.LBB39_2693:
	s_and_not1_b32 vcc_lo, exec_lo, s11
	s_cbranch_vccnz .LBB39_3047
	s_branch .LBB39_2733
.LBB39_2694:
	s_and_b32 vcc_lo, exec_lo, s0
	s_cbranch_vccz .LBB39_2693
; %bb.2695:
	s_and_b32 s0, 0xffff, s1
	s_mov_b32 s6, -1
	s_cmp_lt_i32 s0, 5
	s_cbranch_scc1 .LBB39_2716
; %bb.2696:
	s_cmp_lt_i32 s0, 8
	s_cbranch_scc1 .LBB39_2706
; %bb.2697:
	;; [unrolled: 3-line block ×3, first 2 shown]
	s_cmp_gt_i32 s0, 9
	s_cbranch_scc0 .LBB39_2700
; %bb.2699:
	s_wait_xcnt 0x0
	v_cndmask_b32_e64 v1, 0, 1, s3
	v_mov_b32_e32 v22, 0
	s_mov_b32 s6, 0
	s_delay_alu instid0(VALU_DEP_2) | instskip(NEXT) | instid1(VALU_DEP_2)
	v_cvt_f64_u32_e32 v[20:21], v1
	v_mov_b32_e32 v23, v22
	global_store_b128 v[6:7], v[20:23], off
.LBB39_2700:
	s_and_not1_b32 vcc_lo, exec_lo, s6
	s_cbranch_vccnz .LBB39_2702
; %bb.2701:
	s_wait_xcnt 0x0
	v_cndmask_b32_e64 v8, 0, 1.0, s3
	v_mov_b32_e32 v9, 0
	global_store_b64 v[6:7], v[8:9], off
.LBB39_2702:
	s_mov_b32 s6, 0
.LBB39_2703:
	s_delay_alu instid0(SALU_CYCLE_1)
	s_and_not1_b32 vcc_lo, exec_lo, s6
	s_cbranch_vccnz .LBB39_2705
; %bb.2704:
	s_wait_xcnt 0x0
	v_cndmask_b32_e64 v1, 0, 1.0, s3
	s_delay_alu instid0(VALU_DEP_1) | instskip(NEXT) | instid1(VALU_DEP_1)
	v_cvt_f16_f32_e32 v1, v1
	v_and_b32_e32 v1, 0xffff, v1
	global_store_b32 v[6:7], v1, off
.LBB39_2705:
	s_mov_b32 s6, 0
.LBB39_2706:
	s_delay_alu instid0(SALU_CYCLE_1)
	s_and_not1_b32 vcc_lo, exec_lo, s6
	s_cbranch_vccnz .LBB39_2715
; %bb.2707:
	s_cmp_lt_i32 s0, 6
	s_mov_b32 s6, -1
	s_cbranch_scc1 .LBB39_2713
; %bb.2708:
	s_cmp_gt_i32 s0, 6
	s_cbranch_scc0 .LBB39_2710
; %bb.2709:
	s_wait_xcnt 0x0
	v_cndmask_b32_e64 v1, 0, 1, s3
	s_mov_b32 s6, 0
	s_delay_alu instid0(VALU_DEP_1)
	v_cvt_f64_u32_e32 v[8:9], v1
	global_store_b64 v[6:7], v[8:9], off
.LBB39_2710:
	s_and_not1_b32 vcc_lo, exec_lo, s6
	s_cbranch_vccnz .LBB39_2712
; %bb.2711:
	s_wait_xcnt 0x0
	v_cndmask_b32_e64 v1, 0, 1.0, s3
	global_store_b32 v[6:7], v1, off
.LBB39_2712:
	s_mov_b32 s6, 0
.LBB39_2713:
	s_delay_alu instid0(SALU_CYCLE_1)
	s_and_not1_b32 vcc_lo, exec_lo, s6
	s_cbranch_vccnz .LBB39_2715
; %bb.2714:
	s_wait_xcnt 0x0
	v_cndmask_b32_e64 v1, 0, 1.0, s3
	s_delay_alu instid0(VALU_DEP_1)
	v_cvt_f16_f32_e32 v1, v1
	global_store_b16 v[6:7], v1, off
.LBB39_2715:
	s_mov_b32 s6, 0
.LBB39_2716:
	s_delay_alu instid0(SALU_CYCLE_1)
	s_and_not1_b32 vcc_lo, exec_lo, s6
	s_cbranch_vccnz .LBB39_2732
; %bb.2717:
	s_cmp_lt_i32 s0, 2
	s_mov_b32 s6, -1
	s_cbranch_scc1 .LBB39_2727
; %bb.2718:
	s_cmp_lt_i32 s0, 3
	s_cbranch_scc1 .LBB39_2724
; %bb.2719:
	s_cmp_gt_i32 s0, 3
	s_cbranch_scc0 .LBB39_2721
; %bb.2720:
	s_mov_b32 s6, 0
	s_wait_xcnt 0x0
	v_cndmask_b32_e64 v8, 0, 1, s3
	v_mov_b32_e32 v9, s6
	global_store_b64 v[6:7], v[8:9], off
.LBB39_2721:
	s_and_not1_b32 vcc_lo, exec_lo, s6
	s_cbranch_vccnz .LBB39_2723
; %bb.2722:
	s_wait_xcnt 0x0
	v_cndmask_b32_e64 v1, 0, 1, s3
	global_store_b32 v[6:7], v1, off
.LBB39_2723:
	s_mov_b32 s6, 0
.LBB39_2724:
	s_delay_alu instid0(SALU_CYCLE_1)
	s_and_not1_b32 vcc_lo, exec_lo, s6
	s_cbranch_vccnz .LBB39_2726
; %bb.2725:
	s_wait_xcnt 0x0
	v_cndmask_b32_e64 v1, 0, 1, s3
	global_store_b16 v[6:7], v1, off
.LBB39_2726:
	s_mov_b32 s6, 0
.LBB39_2727:
	s_delay_alu instid0(SALU_CYCLE_1)
	s_and_not1_b32 vcc_lo, exec_lo, s6
	s_cbranch_vccnz .LBB39_2732
; %bb.2728:
	s_wait_xcnt 0x0
	v_cndmask_b32_e64 v1, 0, 1, s3
	s_cmp_gt_i32 s0, 0
	s_mov_b32 s0, -1
	s_cbranch_scc0 .LBB39_2730
; %bb.2729:
	s_mov_b32 s0, 0
	global_store_b8 v[6:7], v1, off
.LBB39_2730:
	s_and_not1_b32 vcc_lo, exec_lo, s0
	s_cbranch_vccnz .LBB39_2732
; %bb.2731:
	global_store_b8 v[6:7], v1, off
.LBB39_2732:
.LBB39_2733:
	s_wait_xcnt 0x0
	v_mov_b32_e32 v5, 0
	v_cmp_ne_u32_e32 vcc_lo, v3, v18
	s_and_b32 s3, 0xffff, s1
	s_delay_alu instid0(VALU_DEP_2)
	v_add_nc_u64_e32 v[4:5], s[4:5], v[4:5]
	s_xor_b32 s6, s2, vcc_lo
	s_cmp_lt_i32 s3, 11
	s_cbranch_scc1 .LBB39_2811
; %bb.2734:
	s_mov_b32 s12, -1
	s_mov_b32 s7, 0
	s_cmp_gt_i32 s3, 25
	s_mov_b32 s11, 0
	s_mov_b32 s0, 0
	s_cbranch_scc0 .LBB39_2767
; %bb.2735:
	s_cmp_gt_i32 s3, 28
	s_cbranch_scc0 .LBB39_2750
; %bb.2736:
	s_cmp_gt_i32 s3, 43
	;; [unrolled: 3-line block ×3, first 2 shown]
	s_cbranch_scc0 .LBB39_2740
; %bb.2738:
	s_mov_b32 s0, -1
	s_mov_b32 s12, 0
	s_cmp_eq_u32 s3, 46
	s_cbranch_scc0 .LBB39_2740
; %bb.2739:
	v_cndmask_b32_e64 v1, 0, 1.0, s6
	s_mov_b32 s0, 0
	s_mov_b32 s11, -1
	s_delay_alu instid0(VALU_DEP_1) | instskip(NEXT) | instid1(VALU_DEP_1)
	v_bfe_u32 v3, v1, 16, 1
	v_add3_u32 v1, v1, v3, 0x7fff
	s_delay_alu instid0(VALU_DEP_1)
	v_lshrrev_b32_e32 v1, 16, v1
	global_store_b32 v[4:5], v1, off
.LBB39_2740:
	s_and_b32 vcc_lo, exec_lo, s12
	s_cbranch_vccz .LBB39_2745
; %bb.2741:
	s_cmp_eq_u32 s3, 44
	s_mov_b32 s0, -1
	s_cbranch_scc0 .LBB39_2745
; %bb.2742:
	v_cndmask_b32_e64 v6, 0, 1.0, s6
	v_mov_b32_e32 v3, 0xff
	s_mov_b32 s11, exec_lo
	s_wait_xcnt 0x0
	s_delay_alu instid0(VALU_DEP_2) | instskip(NEXT) | instid1(VALU_DEP_1)
	v_lshrrev_b32_e32 v1, 23, v6
	v_cmpx_ne_u32_e32 0xff, v1
; %bb.2743:
	v_and_b32_e32 v3, 0x400000, v6
	v_and_or_b32 v6, 0x3fffff, v6, v1
	s_delay_alu instid0(VALU_DEP_2) | instskip(NEXT) | instid1(VALU_DEP_2)
	v_cmp_ne_u32_e32 vcc_lo, 0, v3
	v_cmp_ne_u32_e64 s0, 0, v6
	s_and_b32 s0, vcc_lo, s0
	s_delay_alu instid0(SALU_CYCLE_1) | instskip(NEXT) | instid1(VALU_DEP_1)
	v_cndmask_b32_e64 v3, 0, 1, s0
	v_add_nc_u32_e32 v3, v1, v3
; %bb.2744:
	s_or_b32 exec_lo, exec_lo, s11
	s_mov_b32 s0, 0
	s_mov_b32 s11, -1
	global_store_b8 v[4:5], v3, off
.LBB39_2745:
	s_mov_b32 s12, 0
.LBB39_2746:
	s_delay_alu instid0(SALU_CYCLE_1)
	s_and_b32 vcc_lo, exec_lo, s12
	s_cbranch_vccz .LBB39_2749
; %bb.2747:
	s_cmp_eq_u32 s3, 29
	s_mov_b32 s0, -1
	s_cbranch_scc0 .LBB39_2749
; %bb.2748:
	s_mov_b32 s0, 0
	v_cndmask_b32_e64 v6, 0, 1, s6
	v_mov_b32_e32 v7, s0
	s_mov_b32 s11, -1
	global_store_b64 v[4:5], v[6:7], off
.LBB39_2749:
	s_mov_b32 s12, 0
.LBB39_2750:
	s_delay_alu instid0(SALU_CYCLE_1)
	s_and_b32 vcc_lo, exec_lo, s12
	s_cbranch_vccz .LBB39_2766
; %bb.2751:
	s_cmp_lt_i32 s3, 27
	s_mov_b32 s11, -1
	s_cbranch_scc1 .LBB39_2757
; %bb.2752:
	s_cmp_gt_i32 s3, 27
	s_cbranch_scc0 .LBB39_2754
; %bb.2753:
	s_wait_xcnt 0x0
	v_cndmask_b32_e64 v1, 0, 1, s6
	s_mov_b32 s11, 0
	global_store_b32 v[4:5], v1, off
.LBB39_2754:
	s_and_not1_b32 vcc_lo, exec_lo, s11
	s_cbranch_vccnz .LBB39_2756
; %bb.2755:
	s_wait_xcnt 0x0
	v_cndmask_b32_e64 v1, 0, 1, s6
	global_store_b16 v[4:5], v1, off
.LBB39_2756:
	s_mov_b32 s11, 0
.LBB39_2757:
	s_delay_alu instid0(SALU_CYCLE_1)
	s_and_not1_b32 vcc_lo, exec_lo, s11
	s_cbranch_vccnz .LBB39_2765
; %bb.2758:
	s_wait_xcnt 0x0
	v_cndmask_b32_e64 v3, 0, 1.0, s6
	v_mov_b32_e32 v6, 0x80
	s_mov_b32 s11, exec_lo
	s_delay_alu instid0(VALU_DEP_2)
	v_cmpx_gt_u32_e32 0x43800000, v3
	s_cbranch_execz .LBB39_2764
; %bb.2759:
	s_mov_b32 s12, 0
	s_mov_b32 s13, exec_lo
                                        ; implicit-def: $vgpr1
	v_cmpx_lt_u32_e32 0x3bffffff, v3
	s_xor_b32 s13, exec_lo, s13
	s_cbranch_execz .LBB39_3099
; %bb.2760:
	v_bfe_u32 v1, v3, 20, 1
	s_mov_b32 s12, exec_lo
	s_delay_alu instid0(VALU_DEP_1) | instskip(NEXT) | instid1(VALU_DEP_1)
	v_add3_u32 v1, v3, v1, 0x487ffff
                                        ; implicit-def: $vgpr3
	v_lshrrev_b32_e32 v1, 20, v1
	s_and_not1_saveexec_b32 s13, s13
	s_cbranch_execnz .LBB39_3100
.LBB39_2761:
	s_or_b32 exec_lo, exec_lo, s13
	v_mov_b32_e32 v6, 0
	s_and_saveexec_b32 s13, s12
.LBB39_2762:
	v_mov_b32_e32 v6, v1
.LBB39_2763:
	s_or_b32 exec_lo, exec_lo, s13
.LBB39_2764:
	s_delay_alu instid0(SALU_CYCLE_1)
	s_or_b32 exec_lo, exec_lo, s11
	global_store_b8 v[4:5], v6, off
.LBB39_2765:
	s_mov_b32 s11, -1
.LBB39_2766:
	s_mov_b32 s12, 0
.LBB39_2767:
	s_delay_alu instid0(SALU_CYCLE_1)
	s_and_b32 vcc_lo, exec_lo, s12
	s_cbranch_vccz .LBB39_2807
; %bb.2768:
	s_cmp_gt_i32 s3, 22
	s_mov_b32 s7, -1
	s_cbranch_scc0 .LBB39_2800
; %bb.2769:
	s_cmp_lt_i32 s3, 24
	s_cbranch_scc1 .LBB39_2789
; %bb.2770:
	s_cmp_gt_i32 s3, 24
	s_cbranch_scc0 .LBB39_2778
; %bb.2771:
	s_wait_xcnt 0x0
	v_cndmask_b32_e64 v3, 0, 1.0, s6
	v_mov_b32_e32 v6, 0x80
	s_mov_b32 s7, exec_lo
	s_delay_alu instid0(VALU_DEP_2)
	v_cmpx_gt_u32_e32 0x47800000, v3
	s_cbranch_execz .LBB39_2777
; %bb.2772:
	s_mov_b32 s11, 0
	s_mov_b32 s12, exec_lo
                                        ; implicit-def: $vgpr1
	v_cmpx_lt_u32_e32 0x37ffffff, v3
	s_xor_b32 s12, exec_lo, s12
	s_cbranch_execz .LBB39_3102
; %bb.2773:
	v_bfe_u32 v1, v3, 21, 1
	s_mov_b32 s11, exec_lo
	s_delay_alu instid0(VALU_DEP_1) | instskip(NEXT) | instid1(VALU_DEP_1)
	v_add3_u32 v1, v3, v1, 0x88fffff
                                        ; implicit-def: $vgpr3
	v_lshrrev_b32_e32 v1, 21, v1
	s_and_not1_saveexec_b32 s12, s12
	s_cbranch_execnz .LBB39_3103
.LBB39_2774:
	s_or_b32 exec_lo, exec_lo, s12
	v_mov_b32_e32 v6, 0
	s_and_saveexec_b32 s12, s11
.LBB39_2775:
	v_mov_b32_e32 v6, v1
.LBB39_2776:
	s_or_b32 exec_lo, exec_lo, s12
.LBB39_2777:
	s_delay_alu instid0(SALU_CYCLE_1)
	s_or_b32 exec_lo, exec_lo, s7
	s_mov_b32 s7, 0
	global_store_b8 v[4:5], v6, off
.LBB39_2778:
	s_and_b32 vcc_lo, exec_lo, s7
	s_cbranch_vccz .LBB39_2788
; %bb.2779:
	s_wait_xcnt 0x0
	v_cndmask_b32_e64 v3, 0, 1.0, s6
	s_mov_b32 s7, exec_lo
                                        ; implicit-def: $vgpr1
	s_delay_alu instid0(VALU_DEP_1)
	v_cmpx_gt_u32_e32 0x43f00000, v3
	s_xor_b32 s7, exec_lo, s7
	s_cbranch_execz .LBB39_2785
; %bb.2780:
	s_mov_b32 s11, exec_lo
                                        ; implicit-def: $vgpr1
	v_cmpx_lt_u32_e32 0x3c7fffff, v3
	s_xor_b32 s11, exec_lo, s11
; %bb.2781:
	v_bfe_u32 v1, v3, 20, 1
	s_delay_alu instid0(VALU_DEP_1) | instskip(NEXT) | instid1(VALU_DEP_1)
	v_add3_u32 v1, v3, v1, 0x407ffff
	v_and_b32_e32 v3, 0xff00000, v1
	v_lshrrev_b32_e32 v1, 20, v1
	s_delay_alu instid0(VALU_DEP_2) | instskip(NEXT) | instid1(VALU_DEP_2)
	v_cmp_ne_u32_e32 vcc_lo, 0x7f00000, v3
                                        ; implicit-def: $vgpr3
	v_cndmask_b32_e32 v1, 0x7e, v1, vcc_lo
; %bb.2782:
	s_and_not1_saveexec_b32 s11, s11
; %bb.2783:
	v_add_f32_e32 v1, 0x46800000, v3
; %bb.2784:
	s_or_b32 exec_lo, exec_lo, s11
                                        ; implicit-def: $vgpr3
.LBB39_2785:
	s_and_not1_saveexec_b32 s7, s7
; %bb.2786:
	v_mov_b32_e32 v1, 0x7f
	v_cmp_lt_u32_e32 vcc_lo, 0x7f800000, v3
	s_delay_alu instid0(VALU_DEP_2)
	v_cndmask_b32_e32 v1, 0x7e, v1, vcc_lo
; %bb.2787:
	s_or_b32 exec_lo, exec_lo, s7
	global_store_b8 v[4:5], v1, off
.LBB39_2788:
	s_mov_b32 s7, 0
.LBB39_2789:
	s_delay_alu instid0(SALU_CYCLE_1)
	s_and_not1_b32 vcc_lo, exec_lo, s7
	s_cbranch_vccnz .LBB39_2799
; %bb.2790:
	s_wait_xcnt 0x0
	v_cndmask_b32_e64 v3, 0, 1.0, s6
	s_mov_b32 s7, exec_lo
                                        ; implicit-def: $vgpr1
	s_delay_alu instid0(VALU_DEP_1)
	v_cmpx_gt_u32_e32 0x47800000, v3
	s_xor_b32 s7, exec_lo, s7
	s_cbranch_execz .LBB39_2796
; %bb.2791:
	s_mov_b32 s11, exec_lo
                                        ; implicit-def: $vgpr1
	v_cmpx_lt_u32_e32 0x387fffff, v3
	s_xor_b32 s11, exec_lo, s11
; %bb.2792:
	v_bfe_u32 v1, v3, 21, 1
	s_delay_alu instid0(VALU_DEP_1) | instskip(NEXT) | instid1(VALU_DEP_1)
	v_add3_u32 v1, v3, v1, 0x80fffff
                                        ; implicit-def: $vgpr3
	v_lshrrev_b32_e32 v1, 21, v1
; %bb.2793:
	s_and_not1_saveexec_b32 s11, s11
; %bb.2794:
	v_add_f32_e32 v1, 0x43000000, v3
; %bb.2795:
	s_or_b32 exec_lo, exec_lo, s11
                                        ; implicit-def: $vgpr3
.LBB39_2796:
	s_and_not1_saveexec_b32 s7, s7
; %bb.2797:
	v_mov_b32_e32 v1, 0x7f
	v_cmp_lt_u32_e32 vcc_lo, 0x7f800000, v3
	s_delay_alu instid0(VALU_DEP_2)
	v_cndmask_b32_e32 v1, 0x7c, v1, vcc_lo
; %bb.2798:
	s_or_b32 exec_lo, exec_lo, s7
	global_store_b8 v[4:5], v1, off
.LBB39_2799:
	s_mov_b32 s7, 0
	s_mov_b32 s11, -1
.LBB39_2800:
	s_and_not1_b32 vcc_lo, exec_lo, s7
	s_mov_b32 s7, 0
	s_cbranch_vccnz .LBB39_2807
; %bb.2801:
	s_cmp_gt_i32 s3, 14
	s_mov_b32 s7, -1
	s_cbranch_scc0 .LBB39_2805
; %bb.2802:
	s_cmp_eq_u32 s3, 15
	s_mov_b32 s0, -1
	s_cbranch_scc0 .LBB39_2804
; %bb.2803:
	s_wait_xcnt 0x0
	v_cndmask_b32_e64 v1, 0, 1.0, s6
	s_mov_b32 s0, 0
	s_mov_b32 s11, -1
	s_delay_alu instid0(VALU_DEP_1) | instskip(NEXT) | instid1(VALU_DEP_1)
	v_bfe_u32 v3, v1, 16, 1
	v_add3_u32 v1, v1, v3, 0x7fff
	global_store_d16_hi_b16 v[4:5], v1, off
.LBB39_2804:
	s_mov_b32 s7, 0
.LBB39_2805:
	s_delay_alu instid0(SALU_CYCLE_1)
	s_and_b32 vcc_lo, exec_lo, s7
	s_mov_b32 s7, 0
	s_cbranch_vccz .LBB39_2807
; %bb.2806:
	s_cmp_lg_u32 s3, 11
	s_mov_b32 s7, -1
	s_cselect_b32 s0, -1, 0
.LBB39_2807:
	s_delay_alu instid0(SALU_CYCLE_1)
	s_and_b32 vcc_lo, exec_lo, s0
	s_cbranch_vccnz .LBB39_3101
; %bb.2808:
	s_and_not1_b32 vcc_lo, exec_lo, s7
	s_cbranch_vccnz .LBB39_2810
.LBB39_2809:
	s_wait_xcnt 0x0
	v_cndmask_b32_e64 v1, 0, 1, s6
	s_mov_b32 s11, -1
	global_store_b8 v[4:5], v1, off
.LBB39_2810:
	s_mov_b32 s0, 0
	s_branch .LBB39_2812
.LBB39_2811:
	s_mov_b32 s0, -1
	s_mov_b32 s11, 0
.LBB39_2812:
	s_and_b32 vcc_lo, exec_lo, s0
	s_cbranch_vccz .LBB39_2851
; %bb.2813:
	s_cmp_lt_i32 s3, 5
	s_mov_b32 s0, -1
	s_cbranch_scc1 .LBB39_2834
; %bb.2814:
	s_cmp_lt_i32 s3, 8
	s_cbranch_scc1 .LBB39_2824
; %bb.2815:
	s_cmp_lt_i32 s3, 9
	s_cbranch_scc1 .LBB39_2821
; %bb.2816:
	s_cmp_gt_i32 s3, 9
	s_cbranch_scc0 .LBB39_2818
; %bb.2817:
	s_wait_xcnt 0x0
	v_cndmask_b32_e64 v1, 0, 1, s6
	v_mov_b32_e32 v8, 0
	s_mov_b32 s0, 0
	s_delay_alu instid0(VALU_DEP_2) | instskip(NEXT) | instid1(VALU_DEP_2)
	v_cvt_f64_u32_e32 v[6:7], v1
	v_mov_b32_e32 v9, v8
	global_store_b128 v[4:5], v[6:9], off
.LBB39_2818:
	s_and_not1_b32 vcc_lo, exec_lo, s0
	s_cbranch_vccnz .LBB39_2820
; %bb.2819:
	s_wait_xcnt 0x0
	v_cndmask_b32_e64 v6, 0, 1.0, s6
	v_mov_b32_e32 v7, 0
	global_store_b64 v[4:5], v[6:7], off
.LBB39_2820:
	s_mov_b32 s0, 0
.LBB39_2821:
	s_delay_alu instid0(SALU_CYCLE_1)
	s_and_not1_b32 vcc_lo, exec_lo, s0
	s_cbranch_vccnz .LBB39_2823
; %bb.2822:
	s_wait_xcnt 0x0
	v_cndmask_b32_e64 v1, 0, 1.0, s6
	s_delay_alu instid0(VALU_DEP_1) | instskip(NEXT) | instid1(VALU_DEP_1)
	v_cvt_f16_f32_e32 v1, v1
	v_and_b32_e32 v1, 0xffff, v1
	global_store_b32 v[4:5], v1, off
.LBB39_2823:
	s_mov_b32 s0, 0
.LBB39_2824:
	s_delay_alu instid0(SALU_CYCLE_1)
	s_and_not1_b32 vcc_lo, exec_lo, s0
	s_cbranch_vccnz .LBB39_2833
; %bb.2825:
	s_cmp_lt_i32 s3, 6
	s_mov_b32 s0, -1
	s_cbranch_scc1 .LBB39_2831
; %bb.2826:
	s_cmp_gt_i32 s3, 6
	s_cbranch_scc0 .LBB39_2828
; %bb.2827:
	s_wait_xcnt 0x0
	v_cndmask_b32_e64 v1, 0, 1, s6
	s_mov_b32 s0, 0
	s_delay_alu instid0(VALU_DEP_1)
	v_cvt_f64_u32_e32 v[6:7], v1
	global_store_b64 v[4:5], v[6:7], off
.LBB39_2828:
	s_and_not1_b32 vcc_lo, exec_lo, s0
	s_cbranch_vccnz .LBB39_2830
; %bb.2829:
	s_wait_xcnt 0x0
	v_cndmask_b32_e64 v1, 0, 1.0, s6
	global_store_b32 v[4:5], v1, off
.LBB39_2830:
	s_mov_b32 s0, 0
.LBB39_2831:
	s_delay_alu instid0(SALU_CYCLE_1)
	s_and_not1_b32 vcc_lo, exec_lo, s0
	s_cbranch_vccnz .LBB39_2833
; %bb.2832:
	s_wait_xcnt 0x0
	v_cndmask_b32_e64 v1, 0, 1.0, s6
	s_delay_alu instid0(VALU_DEP_1)
	v_cvt_f16_f32_e32 v1, v1
	global_store_b16 v[4:5], v1, off
.LBB39_2833:
	s_mov_b32 s0, 0
.LBB39_2834:
	s_delay_alu instid0(SALU_CYCLE_1)
	s_and_not1_b32 vcc_lo, exec_lo, s0
	s_cbranch_vccnz .LBB39_2850
; %bb.2835:
	s_cmp_lt_i32 s3, 2
	s_mov_b32 s0, -1
	s_cbranch_scc1 .LBB39_2845
; %bb.2836:
	s_cmp_lt_i32 s3, 3
	s_cbranch_scc1 .LBB39_2842
; %bb.2837:
	s_cmp_gt_i32 s3, 3
	s_cbranch_scc0 .LBB39_2839
; %bb.2838:
	s_mov_b32 s0, 0
	s_wait_xcnt 0x0
	v_cndmask_b32_e64 v6, 0, 1, s6
	v_mov_b32_e32 v7, s0
	global_store_b64 v[4:5], v[6:7], off
.LBB39_2839:
	s_and_not1_b32 vcc_lo, exec_lo, s0
	s_cbranch_vccnz .LBB39_2841
; %bb.2840:
	s_wait_xcnt 0x0
	v_cndmask_b32_e64 v1, 0, 1, s6
	global_store_b32 v[4:5], v1, off
.LBB39_2841:
	s_mov_b32 s0, 0
.LBB39_2842:
	s_delay_alu instid0(SALU_CYCLE_1)
	s_and_not1_b32 vcc_lo, exec_lo, s0
	s_cbranch_vccnz .LBB39_2844
; %bb.2843:
	s_wait_xcnt 0x0
	v_cndmask_b32_e64 v1, 0, 1, s6
	global_store_b16 v[4:5], v1, off
.LBB39_2844:
	s_mov_b32 s0, 0
.LBB39_2845:
	s_delay_alu instid0(SALU_CYCLE_1)
	s_and_not1_b32 vcc_lo, exec_lo, s0
	s_cbranch_vccnz .LBB39_2850
; %bb.2846:
	s_wait_xcnt 0x0
	v_cndmask_b32_e64 v1, 0, 1, s6
	s_cmp_gt_i32 s3, 0
	s_mov_b32 s0, -1
	s_cbranch_scc0 .LBB39_2848
; %bb.2847:
	s_mov_b32 s0, 0
	global_store_b8 v[4:5], v1, off
.LBB39_2848:
	s_and_not1_b32 vcc_lo, exec_lo, s0
	s_cbranch_vccnz .LBB39_2850
; %bb.2849:
	global_store_b8 v[4:5], v1, off
.LBB39_2850:
	s_mov_b32 s11, -1
.LBB39_2851:
	s_delay_alu instid0(SALU_CYCLE_1)
	s_and_not1_b32 vcc_lo, exec_lo, s11
	s_cbranch_vccnz .LBB39_3047
; %bb.2852:
	s_wait_xcnt 0x0
	v_mov_b32_e32 v3, 0
	v_cmp_ne_u32_e32 vcc_lo, v16, v14
	s_delay_alu instid0(VALU_DEP_2)
	v_add_nc_u64_e32 v[2:3], s[4:5], v[2:3]
	s_xor_b32 s6, s2, vcc_lo
	s_cmp_lt_i32 s3, 11
	s_cbranch_scc1 .LBB39_2930
; %bb.2853:
	s_mov_b32 s12, -1
	s_mov_b32 s7, 0
	s_cmp_gt_i32 s3, 25
	s_mov_b32 s11, 0
	s_mov_b32 s0, 0
	s_cbranch_scc0 .LBB39_2886
; %bb.2854:
	s_cmp_gt_i32 s3, 28
	s_cbranch_scc0 .LBB39_2869
; %bb.2855:
	s_cmp_gt_i32 s3, 43
	;; [unrolled: 3-line block ×3, first 2 shown]
	s_cbranch_scc0 .LBB39_2859
; %bb.2857:
	s_mov_b32 s0, -1
	s_mov_b32 s12, 0
	s_cmp_eq_u32 s3, 46
	s_cbranch_scc0 .LBB39_2859
; %bb.2858:
	v_cndmask_b32_e64 v1, 0, 1.0, s6
	s_mov_b32 s0, 0
	s_mov_b32 s11, -1
	s_delay_alu instid0(VALU_DEP_1) | instskip(NEXT) | instid1(VALU_DEP_1)
	v_bfe_u32 v4, v1, 16, 1
	v_add3_u32 v1, v1, v4, 0x7fff
	s_delay_alu instid0(VALU_DEP_1)
	v_lshrrev_b32_e32 v1, 16, v1
	global_store_b32 v[2:3], v1, off
.LBB39_2859:
	s_and_b32 vcc_lo, exec_lo, s12
	s_cbranch_vccz .LBB39_2864
; %bb.2860:
	s_cmp_eq_u32 s3, 44
	s_mov_b32 s0, -1
	s_cbranch_scc0 .LBB39_2864
; %bb.2861:
	v_cndmask_b32_e64 v5, 0, 1.0, s6
	s_mov_b32 s11, exec_lo
	s_wait_xcnt 0x0
	s_delay_alu instid0(VALU_DEP_1) | instskip(NEXT) | instid1(VALU_DEP_1)
	v_dual_mov_b32 v4, 0xff :: v_dual_lshrrev_b32 v1, 23, v5
	v_cmpx_ne_u32_e32 0xff, v1
; %bb.2862:
	v_and_b32_e32 v4, 0x400000, v5
	v_and_or_b32 v5, 0x3fffff, v5, v1
	s_delay_alu instid0(VALU_DEP_2) | instskip(NEXT) | instid1(VALU_DEP_2)
	v_cmp_ne_u32_e32 vcc_lo, 0, v4
	v_cmp_ne_u32_e64 s0, 0, v5
	s_and_b32 s0, vcc_lo, s0
	s_delay_alu instid0(SALU_CYCLE_1) | instskip(NEXT) | instid1(VALU_DEP_1)
	v_cndmask_b32_e64 v4, 0, 1, s0
	v_add_nc_u32_e32 v4, v1, v4
; %bb.2863:
	s_or_b32 exec_lo, exec_lo, s11
	s_mov_b32 s0, 0
	s_mov_b32 s11, -1
	global_store_b8 v[2:3], v4, off
.LBB39_2864:
	s_mov_b32 s12, 0
.LBB39_2865:
	s_delay_alu instid0(SALU_CYCLE_1)
	s_and_b32 vcc_lo, exec_lo, s12
	s_cbranch_vccz .LBB39_2868
; %bb.2866:
	s_cmp_eq_u32 s3, 29
	s_mov_b32 s0, -1
	s_cbranch_scc0 .LBB39_2868
; %bb.2867:
	s_mov_b32 s0, 0
	s_wait_xcnt 0x0
	v_cndmask_b32_e64 v4, 0, 1, s6
	v_mov_b32_e32 v5, s0
	s_mov_b32 s11, -1
	global_store_b64 v[2:3], v[4:5], off
.LBB39_2868:
	s_mov_b32 s12, 0
.LBB39_2869:
	s_delay_alu instid0(SALU_CYCLE_1)
	s_and_b32 vcc_lo, exec_lo, s12
	s_cbranch_vccz .LBB39_2885
; %bb.2870:
	s_cmp_lt_i32 s3, 27
	s_mov_b32 s11, -1
	s_cbranch_scc1 .LBB39_2876
; %bb.2871:
	s_cmp_gt_i32 s3, 27
	s_cbranch_scc0 .LBB39_2873
; %bb.2872:
	s_wait_xcnt 0x0
	v_cndmask_b32_e64 v1, 0, 1, s6
	s_mov_b32 s11, 0
	global_store_b32 v[2:3], v1, off
.LBB39_2873:
	s_and_not1_b32 vcc_lo, exec_lo, s11
	s_cbranch_vccnz .LBB39_2875
; %bb.2874:
	s_wait_xcnt 0x0
	v_cndmask_b32_e64 v1, 0, 1, s6
	global_store_b16 v[2:3], v1, off
.LBB39_2875:
	s_mov_b32 s11, 0
.LBB39_2876:
	s_delay_alu instid0(SALU_CYCLE_1)
	s_and_not1_b32 vcc_lo, exec_lo, s11
	s_cbranch_vccnz .LBB39_2884
; %bb.2877:
	s_wait_xcnt 0x0
	v_cndmask_b32_e64 v4, 0, 1.0, s6
	v_mov_b32_e32 v5, 0x80
	s_mov_b32 s11, exec_lo
	s_delay_alu instid0(VALU_DEP_2)
	v_cmpx_gt_u32_e32 0x43800000, v4
	s_cbranch_execz .LBB39_2883
; %bb.2878:
	s_mov_b32 s12, 0
	s_mov_b32 s13, exec_lo
                                        ; implicit-def: $vgpr1
	v_cmpx_lt_u32_e32 0x3bffffff, v4
	s_xor_b32 s13, exec_lo, s13
	s_cbranch_execz .LBB39_3104
; %bb.2879:
	v_bfe_u32 v1, v4, 20, 1
	s_mov_b32 s12, exec_lo
	s_delay_alu instid0(VALU_DEP_1) | instskip(NEXT) | instid1(VALU_DEP_1)
	v_add3_u32 v1, v4, v1, 0x487ffff
                                        ; implicit-def: $vgpr4
	v_lshrrev_b32_e32 v1, 20, v1
	s_and_not1_saveexec_b32 s13, s13
	s_cbranch_execnz .LBB39_3105
.LBB39_2880:
	s_or_b32 exec_lo, exec_lo, s13
	v_mov_b32_e32 v5, 0
	s_and_saveexec_b32 s13, s12
.LBB39_2881:
	v_mov_b32_e32 v5, v1
.LBB39_2882:
	s_or_b32 exec_lo, exec_lo, s13
.LBB39_2883:
	s_delay_alu instid0(SALU_CYCLE_1)
	s_or_b32 exec_lo, exec_lo, s11
	global_store_b8 v[2:3], v5, off
.LBB39_2884:
	s_mov_b32 s11, -1
.LBB39_2885:
	s_mov_b32 s12, 0
.LBB39_2886:
	s_delay_alu instid0(SALU_CYCLE_1)
	s_and_b32 vcc_lo, exec_lo, s12
	s_cbranch_vccz .LBB39_2926
; %bb.2887:
	s_cmp_gt_i32 s3, 22
	s_mov_b32 s7, -1
	s_cbranch_scc0 .LBB39_2919
; %bb.2888:
	s_cmp_lt_i32 s3, 24
	s_cbranch_scc1 .LBB39_2908
; %bb.2889:
	s_cmp_gt_i32 s3, 24
	s_cbranch_scc0 .LBB39_2897
; %bb.2890:
	s_wait_xcnt 0x0
	v_cndmask_b32_e64 v4, 0, 1.0, s6
	v_mov_b32_e32 v5, 0x80
	s_mov_b32 s7, exec_lo
	s_delay_alu instid0(VALU_DEP_2)
	v_cmpx_gt_u32_e32 0x47800000, v4
	s_cbranch_execz .LBB39_2896
; %bb.2891:
	s_mov_b32 s11, 0
	s_mov_b32 s12, exec_lo
                                        ; implicit-def: $vgpr1
	v_cmpx_lt_u32_e32 0x37ffffff, v4
	s_xor_b32 s12, exec_lo, s12
	s_cbranch_execz .LBB39_3107
; %bb.2892:
	v_bfe_u32 v1, v4, 21, 1
	s_mov_b32 s11, exec_lo
	s_delay_alu instid0(VALU_DEP_1) | instskip(NEXT) | instid1(VALU_DEP_1)
	v_add3_u32 v1, v4, v1, 0x88fffff
                                        ; implicit-def: $vgpr4
	v_lshrrev_b32_e32 v1, 21, v1
	s_and_not1_saveexec_b32 s12, s12
	s_cbranch_execnz .LBB39_3108
.LBB39_2893:
	s_or_b32 exec_lo, exec_lo, s12
	v_mov_b32_e32 v5, 0
	s_and_saveexec_b32 s12, s11
.LBB39_2894:
	v_mov_b32_e32 v5, v1
.LBB39_2895:
	s_or_b32 exec_lo, exec_lo, s12
.LBB39_2896:
	s_delay_alu instid0(SALU_CYCLE_1)
	s_or_b32 exec_lo, exec_lo, s7
	s_mov_b32 s7, 0
	global_store_b8 v[2:3], v5, off
.LBB39_2897:
	s_and_b32 vcc_lo, exec_lo, s7
	s_cbranch_vccz .LBB39_2907
; %bb.2898:
	s_wait_xcnt 0x0
	v_cndmask_b32_e64 v4, 0, 1.0, s6
	s_mov_b32 s7, exec_lo
                                        ; implicit-def: $vgpr1
	s_delay_alu instid0(VALU_DEP_1)
	v_cmpx_gt_u32_e32 0x43f00000, v4
	s_xor_b32 s7, exec_lo, s7
	s_cbranch_execz .LBB39_2904
; %bb.2899:
	s_mov_b32 s11, exec_lo
                                        ; implicit-def: $vgpr1
	v_cmpx_lt_u32_e32 0x3c7fffff, v4
	s_xor_b32 s11, exec_lo, s11
; %bb.2900:
	v_bfe_u32 v1, v4, 20, 1
	s_delay_alu instid0(VALU_DEP_1) | instskip(NEXT) | instid1(VALU_DEP_1)
	v_add3_u32 v1, v4, v1, 0x407ffff
	v_and_b32_e32 v4, 0xff00000, v1
	v_lshrrev_b32_e32 v1, 20, v1
	s_delay_alu instid0(VALU_DEP_2) | instskip(NEXT) | instid1(VALU_DEP_2)
	v_cmp_ne_u32_e32 vcc_lo, 0x7f00000, v4
                                        ; implicit-def: $vgpr4
	v_cndmask_b32_e32 v1, 0x7e, v1, vcc_lo
; %bb.2901:
	s_and_not1_saveexec_b32 s11, s11
; %bb.2902:
	v_add_f32_e32 v1, 0x46800000, v4
; %bb.2903:
	s_or_b32 exec_lo, exec_lo, s11
                                        ; implicit-def: $vgpr4
.LBB39_2904:
	s_and_not1_saveexec_b32 s7, s7
; %bb.2905:
	v_mov_b32_e32 v1, 0x7f
	v_cmp_lt_u32_e32 vcc_lo, 0x7f800000, v4
	s_delay_alu instid0(VALU_DEP_2)
	v_cndmask_b32_e32 v1, 0x7e, v1, vcc_lo
; %bb.2906:
	s_or_b32 exec_lo, exec_lo, s7
	global_store_b8 v[2:3], v1, off
.LBB39_2907:
	s_mov_b32 s7, 0
.LBB39_2908:
	s_delay_alu instid0(SALU_CYCLE_1)
	s_and_not1_b32 vcc_lo, exec_lo, s7
	s_cbranch_vccnz .LBB39_2918
; %bb.2909:
	s_wait_xcnt 0x0
	v_cndmask_b32_e64 v4, 0, 1.0, s6
	s_mov_b32 s7, exec_lo
                                        ; implicit-def: $vgpr1
	s_delay_alu instid0(VALU_DEP_1)
	v_cmpx_gt_u32_e32 0x47800000, v4
	s_xor_b32 s7, exec_lo, s7
	s_cbranch_execz .LBB39_2915
; %bb.2910:
	s_mov_b32 s11, exec_lo
                                        ; implicit-def: $vgpr1
	v_cmpx_lt_u32_e32 0x387fffff, v4
	s_xor_b32 s11, exec_lo, s11
; %bb.2911:
	v_bfe_u32 v1, v4, 21, 1
	s_delay_alu instid0(VALU_DEP_1) | instskip(NEXT) | instid1(VALU_DEP_1)
	v_add3_u32 v1, v4, v1, 0x80fffff
                                        ; implicit-def: $vgpr4
	v_lshrrev_b32_e32 v1, 21, v1
; %bb.2912:
	s_and_not1_saveexec_b32 s11, s11
; %bb.2913:
	v_add_f32_e32 v1, 0x43000000, v4
; %bb.2914:
	s_or_b32 exec_lo, exec_lo, s11
                                        ; implicit-def: $vgpr4
.LBB39_2915:
	s_and_not1_saveexec_b32 s7, s7
; %bb.2916:
	v_mov_b32_e32 v1, 0x7f
	v_cmp_lt_u32_e32 vcc_lo, 0x7f800000, v4
	s_delay_alu instid0(VALU_DEP_2)
	v_cndmask_b32_e32 v1, 0x7c, v1, vcc_lo
; %bb.2917:
	s_or_b32 exec_lo, exec_lo, s7
	global_store_b8 v[2:3], v1, off
.LBB39_2918:
	s_mov_b32 s7, 0
	s_mov_b32 s11, -1
.LBB39_2919:
	s_and_not1_b32 vcc_lo, exec_lo, s7
	s_mov_b32 s7, 0
	s_cbranch_vccnz .LBB39_2926
; %bb.2920:
	s_cmp_gt_i32 s3, 14
	s_mov_b32 s7, -1
	s_cbranch_scc0 .LBB39_2924
; %bb.2921:
	s_cmp_eq_u32 s3, 15
	s_mov_b32 s0, -1
	s_cbranch_scc0 .LBB39_2923
; %bb.2922:
	s_wait_xcnt 0x0
	v_cndmask_b32_e64 v1, 0, 1.0, s6
	s_mov_b32 s0, 0
	s_mov_b32 s11, -1
	s_delay_alu instid0(VALU_DEP_1) | instskip(NEXT) | instid1(VALU_DEP_1)
	v_bfe_u32 v4, v1, 16, 1
	v_add3_u32 v1, v1, v4, 0x7fff
	global_store_d16_hi_b16 v[2:3], v1, off
.LBB39_2923:
	s_mov_b32 s7, 0
.LBB39_2924:
	s_delay_alu instid0(SALU_CYCLE_1)
	s_and_b32 vcc_lo, exec_lo, s7
	s_mov_b32 s7, 0
	s_cbranch_vccz .LBB39_2926
; %bb.2925:
	s_cmp_lg_u32 s3, 11
	s_mov_b32 s7, -1
	s_cselect_b32 s0, -1, 0
.LBB39_2926:
	s_delay_alu instid0(SALU_CYCLE_1)
	s_and_b32 vcc_lo, exec_lo, s0
	s_cbranch_vccnz .LBB39_3106
; %bb.2927:
	s_and_not1_b32 vcc_lo, exec_lo, s7
	s_cbranch_vccnz .LBB39_2929
.LBB39_2928:
	s_wait_xcnt 0x0
	v_cndmask_b32_e64 v1, 0, 1, s6
	s_mov_b32 s11, -1
	global_store_b8 v[2:3], v1, off
.LBB39_2929:
	s_mov_b32 s0, 0
	s_branch .LBB39_2931
.LBB39_2930:
	s_mov_b32 s0, -1
	s_mov_b32 s11, 0
.LBB39_2931:
	s_and_b32 vcc_lo, exec_lo, s0
	s_cbranch_vccz .LBB39_2970
; %bb.2932:
	s_cmp_lt_i32 s3, 5
	s_mov_b32 s0, -1
	s_cbranch_scc1 .LBB39_2953
; %bb.2933:
	s_cmp_lt_i32 s3, 8
	s_cbranch_scc1 .LBB39_2943
; %bb.2934:
	s_cmp_lt_i32 s3, 9
	s_cbranch_scc1 .LBB39_2940
; %bb.2935:
	s_cmp_gt_i32 s3, 9
	s_cbranch_scc0 .LBB39_2937
; %bb.2936:
	s_wait_xcnt 0x0
	v_cndmask_b32_e64 v1, 0, 1, s6
	v_mov_b32_e32 v6, 0
	s_mov_b32 s0, 0
	s_delay_alu instid0(VALU_DEP_2) | instskip(NEXT) | instid1(VALU_DEP_2)
	v_cvt_f64_u32_e32 v[4:5], v1
	v_mov_b32_e32 v7, v6
	global_store_b128 v[2:3], v[4:7], off
.LBB39_2937:
	s_and_not1_b32 vcc_lo, exec_lo, s0
	s_cbranch_vccnz .LBB39_2939
; %bb.2938:
	s_wait_xcnt 0x0
	v_cndmask_b32_e64 v4, 0, 1.0, s6
	v_mov_b32_e32 v5, 0
	global_store_b64 v[2:3], v[4:5], off
.LBB39_2939:
	s_mov_b32 s0, 0
.LBB39_2940:
	s_delay_alu instid0(SALU_CYCLE_1)
	s_and_not1_b32 vcc_lo, exec_lo, s0
	s_cbranch_vccnz .LBB39_2942
; %bb.2941:
	s_wait_xcnt 0x0
	v_cndmask_b32_e64 v1, 0, 1.0, s6
	s_delay_alu instid0(VALU_DEP_1) | instskip(NEXT) | instid1(VALU_DEP_1)
	v_cvt_f16_f32_e32 v1, v1
	v_and_b32_e32 v1, 0xffff, v1
	global_store_b32 v[2:3], v1, off
.LBB39_2942:
	s_mov_b32 s0, 0
.LBB39_2943:
	s_delay_alu instid0(SALU_CYCLE_1)
	s_and_not1_b32 vcc_lo, exec_lo, s0
	s_cbranch_vccnz .LBB39_2952
; %bb.2944:
	s_cmp_lt_i32 s3, 6
	s_mov_b32 s0, -1
	s_cbranch_scc1 .LBB39_2950
; %bb.2945:
	s_cmp_gt_i32 s3, 6
	s_cbranch_scc0 .LBB39_2947
; %bb.2946:
	s_wait_xcnt 0x0
	v_cndmask_b32_e64 v1, 0, 1, s6
	s_mov_b32 s0, 0
	s_delay_alu instid0(VALU_DEP_1)
	v_cvt_f64_u32_e32 v[4:5], v1
	global_store_b64 v[2:3], v[4:5], off
.LBB39_2947:
	s_and_not1_b32 vcc_lo, exec_lo, s0
	s_cbranch_vccnz .LBB39_2949
; %bb.2948:
	s_wait_xcnt 0x0
	v_cndmask_b32_e64 v1, 0, 1.0, s6
	global_store_b32 v[2:3], v1, off
.LBB39_2949:
	s_mov_b32 s0, 0
.LBB39_2950:
	s_delay_alu instid0(SALU_CYCLE_1)
	s_and_not1_b32 vcc_lo, exec_lo, s0
	s_cbranch_vccnz .LBB39_2952
; %bb.2951:
	s_wait_xcnt 0x0
	v_cndmask_b32_e64 v1, 0, 1.0, s6
	s_delay_alu instid0(VALU_DEP_1)
	v_cvt_f16_f32_e32 v1, v1
	global_store_b16 v[2:3], v1, off
.LBB39_2952:
	s_mov_b32 s0, 0
.LBB39_2953:
	s_delay_alu instid0(SALU_CYCLE_1)
	s_and_not1_b32 vcc_lo, exec_lo, s0
	s_cbranch_vccnz .LBB39_2969
; %bb.2954:
	s_cmp_lt_i32 s3, 2
	s_mov_b32 s0, -1
	s_cbranch_scc1 .LBB39_2964
; %bb.2955:
	s_cmp_lt_i32 s3, 3
	s_cbranch_scc1 .LBB39_2961
; %bb.2956:
	s_cmp_gt_i32 s3, 3
	s_cbranch_scc0 .LBB39_2958
; %bb.2957:
	s_mov_b32 s0, 0
	s_wait_xcnt 0x0
	v_cndmask_b32_e64 v4, 0, 1, s6
	v_mov_b32_e32 v5, s0
	global_store_b64 v[2:3], v[4:5], off
.LBB39_2958:
	s_and_not1_b32 vcc_lo, exec_lo, s0
	s_cbranch_vccnz .LBB39_2960
; %bb.2959:
	s_wait_xcnt 0x0
	v_cndmask_b32_e64 v1, 0, 1, s6
	global_store_b32 v[2:3], v1, off
.LBB39_2960:
	s_mov_b32 s0, 0
.LBB39_2961:
	s_delay_alu instid0(SALU_CYCLE_1)
	s_and_not1_b32 vcc_lo, exec_lo, s0
	s_cbranch_vccnz .LBB39_2963
; %bb.2962:
	s_wait_xcnt 0x0
	v_cndmask_b32_e64 v1, 0, 1, s6
	global_store_b16 v[2:3], v1, off
.LBB39_2963:
	s_mov_b32 s0, 0
.LBB39_2964:
	s_delay_alu instid0(SALU_CYCLE_1)
	s_and_not1_b32 vcc_lo, exec_lo, s0
	s_cbranch_vccnz .LBB39_2969
; %bb.2965:
	s_cmp_gt_i32 s3, 0
	s_mov_b32 s0, -1
	s_cbranch_scc0 .LBB39_2967
; %bb.2966:
	s_wait_xcnt 0x0
	v_cndmask_b32_e64 v1, 0, 1, s6
	s_mov_b32 s0, 0
	global_store_b8 v[2:3], v1, off
.LBB39_2967:
	s_and_not1_b32 vcc_lo, exec_lo, s0
	s_cbranch_vccnz .LBB39_2969
; %bb.2968:
	s_wait_xcnt 0x0
	v_cndmask_b32_e64 v1, 0, 1, s6
	global_store_b8 v[2:3], v1, off
.LBB39_2969:
	s_mov_b32 s11, -1
.LBB39_2970:
	s_delay_alu instid0(SALU_CYCLE_1)
	s_and_not1_b32 vcc_lo, exec_lo, s11
	s_cbranch_vccnz .LBB39_3047
; %bb.2971:
	s_wait_xcnt 0x0
	v_mov_b32_e32 v1, 0
	v_cmp_ne_u32_e32 vcc_lo, v12, v10
	s_delay_alu instid0(VALU_DEP_2)
	v_add_nc_u64_e32 v[2:3], s[4:5], v[0:1]
	s_xor_b32 s4, s2, vcc_lo
	s_cmp_lt_i32 s3, 11
	s_cbranch_scc1 .LBB39_3092
; %bb.2972:
	s_mov_b32 s5, -1
	s_mov_b32 s2, 0
	s_cmp_gt_i32 s3, 25
	s_mov_b32 s0, 0
	s_cbranch_scc0 .LBB39_3005
; %bb.2973:
	s_cmp_gt_i32 s3, 28
	s_cbranch_scc0 .LBB39_2989
; %bb.2974:
	s_cmp_gt_i32 s3, 43
	;; [unrolled: 3-line block ×3, first 2 shown]
	s_cbranch_scc0 .LBB39_2979
; %bb.2976:
	s_cmp_eq_u32 s3, 46
	s_mov_b32 s0, -1
	s_cbranch_scc0 .LBB39_2978
; %bb.2977:
	v_cndmask_b32_e64 v0, 0, 1.0, s4
	s_mov_b32 s0, 0
	s_delay_alu instid0(VALU_DEP_1) | instskip(NEXT) | instid1(VALU_DEP_1)
	v_bfe_u32 v1, v0, 16, 1
	v_add3_u32 v0, v0, v1, 0x7fff
	s_delay_alu instid0(VALU_DEP_1)
	v_lshrrev_b32_e32 v0, 16, v0
	global_store_b32 v[2:3], v0, off
.LBB39_2978:
	s_mov_b32 s5, 0
.LBB39_2979:
	s_delay_alu instid0(SALU_CYCLE_1)
	s_and_b32 vcc_lo, exec_lo, s5
	s_cbranch_vccz .LBB39_2984
; %bb.2980:
	s_cmp_eq_u32 s3, 44
	s_mov_b32 s0, -1
	s_cbranch_scc0 .LBB39_2984
; %bb.2981:
	v_cndmask_b32_e64 v4, 0, 1.0, s4
	s_mov_b32 s5, exec_lo
	s_wait_xcnt 0x0
	s_delay_alu instid0(VALU_DEP_1) | instskip(NEXT) | instid1(VALU_DEP_1)
	v_dual_mov_b32 v1, 0xff :: v_dual_lshrrev_b32 v0, 23, v4
	v_cmpx_ne_u32_e32 0xff, v0
; %bb.2982:
	v_and_b32_e32 v1, 0x400000, v4
	v_and_or_b32 v4, 0x3fffff, v4, v0
	s_delay_alu instid0(VALU_DEP_2) | instskip(NEXT) | instid1(VALU_DEP_2)
	v_cmp_ne_u32_e32 vcc_lo, 0, v1
	v_cmp_ne_u32_e64 s0, 0, v4
	s_and_b32 s0, vcc_lo, s0
	s_delay_alu instid0(SALU_CYCLE_1) | instskip(NEXT) | instid1(VALU_DEP_1)
	v_cndmask_b32_e64 v1, 0, 1, s0
	v_add_nc_u32_e32 v1, v0, v1
; %bb.2983:
	s_or_b32 exec_lo, exec_lo, s5
	s_mov_b32 s0, 0
	global_store_b8 v[2:3], v1, off
.LBB39_2984:
	s_mov_b32 s5, 0
.LBB39_2985:
	s_delay_alu instid0(SALU_CYCLE_1)
	s_and_b32 vcc_lo, exec_lo, s5
	s_cbranch_vccz .LBB39_2988
; %bb.2986:
	s_cmp_eq_u32 s3, 29
	s_mov_b32 s0, -1
	s_cbranch_scc0 .LBB39_2988
; %bb.2987:
	s_mov_b32 s0, 0
	s_wait_xcnt 0x0
	v_cndmask_b32_e64 v0, 0, 1, s4
	v_mov_b32_e32 v1, s0
	global_store_b64 v[2:3], v[0:1], off
.LBB39_2988:
	s_mov_b32 s5, 0
.LBB39_2989:
	s_delay_alu instid0(SALU_CYCLE_1)
	s_and_b32 vcc_lo, exec_lo, s5
	s_cbranch_vccz .LBB39_3004
; %bb.2990:
	s_cmp_lt_i32 s3, 27
	s_mov_b32 s5, -1
	s_cbranch_scc1 .LBB39_2996
; %bb.2991:
	s_wait_xcnt 0x0
	v_cndmask_b32_e64 v0, 0, 1, s4
	s_cmp_gt_i32 s3, 27
	s_cbranch_scc0 .LBB39_2993
; %bb.2992:
	s_mov_b32 s5, 0
	global_store_b32 v[2:3], v0, off
.LBB39_2993:
	s_and_not1_b32 vcc_lo, exec_lo, s5
	s_cbranch_vccnz .LBB39_2995
; %bb.2994:
	global_store_b16 v[2:3], v0, off
.LBB39_2995:
	s_mov_b32 s5, 0
.LBB39_2996:
	s_delay_alu instid0(SALU_CYCLE_1)
	s_and_not1_b32 vcc_lo, exec_lo, s5
	s_cbranch_vccnz .LBB39_3004
; %bb.2997:
	s_wait_xcnt 0x0
	v_cndmask_b32_e64 v1, 0, 1.0, s4
	v_mov_b32_e32 v4, 0x80
	s_mov_b32 s5, exec_lo
	s_delay_alu instid0(VALU_DEP_2)
	v_cmpx_gt_u32_e32 0x43800000, v1
	s_cbranch_execz .LBB39_3003
; %bb.2998:
	s_mov_b32 s6, 0
	s_mov_b32 s7, exec_lo
                                        ; implicit-def: $vgpr0
	v_cmpx_lt_u32_e32 0x3bffffff, v1
	s_xor_b32 s7, exec_lo, s7
	s_cbranch_execz .LBB39_3109
; %bb.2999:
	v_bfe_u32 v0, v1, 20, 1
	s_mov_b32 s6, exec_lo
	s_delay_alu instid0(VALU_DEP_1) | instskip(NEXT) | instid1(VALU_DEP_1)
	v_add3_u32 v0, v1, v0, 0x487ffff
                                        ; implicit-def: $vgpr1
	v_lshrrev_b32_e32 v0, 20, v0
	s_and_not1_saveexec_b32 s7, s7
	s_cbranch_execnz .LBB39_3110
.LBB39_3000:
	s_or_b32 exec_lo, exec_lo, s7
	v_mov_b32_e32 v4, 0
	s_and_saveexec_b32 s7, s6
.LBB39_3001:
	v_mov_b32_e32 v4, v0
.LBB39_3002:
	s_or_b32 exec_lo, exec_lo, s7
.LBB39_3003:
	s_delay_alu instid0(SALU_CYCLE_1)
	s_or_b32 exec_lo, exec_lo, s5
	global_store_b8 v[2:3], v4, off
.LBB39_3004:
	s_mov_b32 s5, 0
.LBB39_3005:
	s_delay_alu instid0(SALU_CYCLE_1)
	s_and_b32 vcc_lo, exec_lo, s5
	s_cbranch_vccz .LBB39_3045
; %bb.3006:
	s_cmp_gt_i32 s3, 22
	s_mov_b32 s2, -1
	s_cbranch_scc0 .LBB39_3038
; %bb.3007:
	s_cmp_lt_i32 s3, 24
	s_cbranch_scc1 .LBB39_3027
; %bb.3008:
	s_cmp_gt_i32 s3, 24
	s_cbranch_scc0 .LBB39_3016
; %bb.3009:
	s_wait_xcnt 0x0
	v_cndmask_b32_e64 v1, 0, 1.0, s4
	v_mov_b32_e32 v4, 0x80
	s_mov_b32 s2, exec_lo
	s_delay_alu instid0(VALU_DEP_2)
	v_cmpx_gt_u32_e32 0x47800000, v1
	s_cbranch_execz .LBB39_3015
; %bb.3010:
	s_mov_b32 s5, 0
	s_mov_b32 s6, exec_lo
                                        ; implicit-def: $vgpr0
	v_cmpx_lt_u32_e32 0x37ffffff, v1
	s_xor_b32 s6, exec_lo, s6
	s_cbranch_execz .LBB39_3112
; %bb.3011:
	v_bfe_u32 v0, v1, 21, 1
	s_mov_b32 s5, exec_lo
	s_delay_alu instid0(VALU_DEP_1) | instskip(NEXT) | instid1(VALU_DEP_1)
	v_add3_u32 v0, v1, v0, 0x88fffff
                                        ; implicit-def: $vgpr1
	v_lshrrev_b32_e32 v0, 21, v0
	s_and_not1_saveexec_b32 s6, s6
	s_cbranch_execnz .LBB39_3113
.LBB39_3012:
	s_or_b32 exec_lo, exec_lo, s6
	v_mov_b32_e32 v4, 0
	s_and_saveexec_b32 s6, s5
.LBB39_3013:
	v_mov_b32_e32 v4, v0
.LBB39_3014:
	s_or_b32 exec_lo, exec_lo, s6
.LBB39_3015:
	s_delay_alu instid0(SALU_CYCLE_1)
	s_or_b32 exec_lo, exec_lo, s2
	s_mov_b32 s2, 0
	global_store_b8 v[2:3], v4, off
.LBB39_3016:
	s_and_b32 vcc_lo, exec_lo, s2
	s_cbranch_vccz .LBB39_3026
; %bb.3017:
	s_wait_xcnt 0x0
	v_cndmask_b32_e64 v1, 0, 1.0, s4
	s_mov_b32 s2, exec_lo
                                        ; implicit-def: $vgpr0
	s_delay_alu instid0(VALU_DEP_1)
	v_cmpx_gt_u32_e32 0x43f00000, v1
	s_xor_b32 s2, exec_lo, s2
	s_cbranch_execz .LBB39_3023
; %bb.3018:
	s_mov_b32 s5, exec_lo
                                        ; implicit-def: $vgpr0
	v_cmpx_lt_u32_e32 0x3c7fffff, v1
	s_xor_b32 s5, exec_lo, s5
; %bb.3019:
	v_bfe_u32 v0, v1, 20, 1
	s_delay_alu instid0(VALU_DEP_1) | instskip(NEXT) | instid1(VALU_DEP_1)
	v_add3_u32 v0, v1, v0, 0x407ffff
	v_and_b32_e32 v1, 0xff00000, v0
	v_lshrrev_b32_e32 v0, 20, v0
	s_delay_alu instid0(VALU_DEP_2) | instskip(NEXT) | instid1(VALU_DEP_2)
	v_cmp_ne_u32_e32 vcc_lo, 0x7f00000, v1
                                        ; implicit-def: $vgpr1
	v_cndmask_b32_e32 v0, 0x7e, v0, vcc_lo
; %bb.3020:
	s_and_not1_saveexec_b32 s5, s5
; %bb.3021:
	v_add_f32_e32 v0, 0x46800000, v1
; %bb.3022:
	s_or_b32 exec_lo, exec_lo, s5
                                        ; implicit-def: $vgpr1
.LBB39_3023:
	s_and_not1_saveexec_b32 s2, s2
; %bb.3024:
	v_mov_b32_e32 v0, 0x7f
	v_cmp_lt_u32_e32 vcc_lo, 0x7f800000, v1
	s_delay_alu instid0(VALU_DEP_2)
	v_cndmask_b32_e32 v0, 0x7e, v0, vcc_lo
; %bb.3025:
	s_or_b32 exec_lo, exec_lo, s2
	global_store_b8 v[2:3], v0, off
.LBB39_3026:
	s_mov_b32 s2, 0
.LBB39_3027:
	s_delay_alu instid0(SALU_CYCLE_1)
	s_and_not1_b32 vcc_lo, exec_lo, s2
	s_cbranch_vccnz .LBB39_3037
; %bb.3028:
	s_wait_xcnt 0x0
	v_cndmask_b32_e64 v1, 0, 1.0, s4
	s_mov_b32 s2, exec_lo
                                        ; implicit-def: $vgpr0
	s_delay_alu instid0(VALU_DEP_1)
	v_cmpx_gt_u32_e32 0x47800000, v1
	s_xor_b32 s2, exec_lo, s2
	s_cbranch_execz .LBB39_3034
; %bb.3029:
	s_mov_b32 s5, exec_lo
                                        ; implicit-def: $vgpr0
	v_cmpx_lt_u32_e32 0x387fffff, v1
	s_xor_b32 s5, exec_lo, s5
; %bb.3030:
	v_bfe_u32 v0, v1, 21, 1
	s_delay_alu instid0(VALU_DEP_1) | instskip(NEXT) | instid1(VALU_DEP_1)
	v_add3_u32 v0, v1, v0, 0x80fffff
                                        ; implicit-def: $vgpr1
	v_lshrrev_b32_e32 v0, 21, v0
; %bb.3031:
	s_and_not1_saveexec_b32 s5, s5
; %bb.3032:
	v_add_f32_e32 v0, 0x43000000, v1
; %bb.3033:
	s_or_b32 exec_lo, exec_lo, s5
                                        ; implicit-def: $vgpr1
.LBB39_3034:
	s_and_not1_saveexec_b32 s2, s2
; %bb.3035:
	v_mov_b32_e32 v0, 0x7f
	v_cmp_lt_u32_e32 vcc_lo, 0x7f800000, v1
	s_delay_alu instid0(VALU_DEP_2)
	v_cndmask_b32_e32 v0, 0x7c, v0, vcc_lo
; %bb.3036:
	s_or_b32 exec_lo, exec_lo, s2
	global_store_b8 v[2:3], v0, off
.LBB39_3037:
	s_mov_b32 s2, 0
.LBB39_3038:
	s_delay_alu instid0(SALU_CYCLE_1)
	s_and_not1_b32 vcc_lo, exec_lo, s2
	s_mov_b32 s2, 0
	s_cbranch_vccnz .LBB39_3045
; %bb.3039:
	s_cmp_gt_i32 s3, 14
	s_mov_b32 s2, -1
	s_cbranch_scc0 .LBB39_3043
; %bb.3040:
	s_cmp_eq_u32 s3, 15
	s_mov_b32 s0, -1
	s_cbranch_scc0 .LBB39_3042
; %bb.3041:
	s_wait_xcnt 0x0
	v_cndmask_b32_e64 v0, 0, 1.0, s4
	s_mov_b32 s0, 0
	s_delay_alu instid0(VALU_DEP_1) | instskip(NEXT) | instid1(VALU_DEP_1)
	v_bfe_u32 v1, v0, 16, 1
	v_add3_u32 v0, v0, v1, 0x7fff
	global_store_d16_hi_b16 v[2:3], v0, off
.LBB39_3042:
	s_mov_b32 s2, 0
.LBB39_3043:
	s_delay_alu instid0(SALU_CYCLE_1)
	s_and_b32 vcc_lo, exec_lo, s2
	s_mov_b32 s2, 0
	s_cbranch_vccz .LBB39_3045
; %bb.3044:
	s_cmp_lg_u32 s3, 11
	s_mov_b32 s2, -1
	s_cselect_b32 s0, -1, 0
.LBB39_3045:
	s_delay_alu instid0(SALU_CYCLE_1)
	s_and_b32 vcc_lo, exec_lo, s0
	s_cbranch_vccnz .LBB39_3111
.LBB39_3046:
	s_mov_b32 s0, 0
	s_branch .LBB39_3048
.LBB39_3047:
	s_mov_b32 s0, 0
	s_mov_b32 s2, 0
                                        ; implicit-def: $sgpr4
                                        ; implicit-def: $vgpr2_vgpr3
                                        ; implicit-def: $sgpr1
.LBB39_3048:
	s_and_not1_b32 s3, s8, exec_lo
	s_and_b32 s5, s10, exec_lo
	s_and_b32 s0, s0, exec_lo
	;; [unrolled: 1-line block ×3, first 2 shown]
	s_or_b32 s8, s3, s5
.LBB39_3049:
	s_wait_xcnt 0x0
	s_or_b32 exec_lo, exec_lo, s9
	s_and_saveexec_b32 s2, s8
	s_cbranch_execz .LBB39_3052
; %bb.3050:
	; divergent unreachable
	s_or_b32 exec_lo, exec_lo, s2
	s_and_saveexec_b32 s2, s30
	s_delay_alu instid0(SALU_CYCLE_1)
	s_xor_b32 s2, exec_lo, s2
	s_cbranch_execnz .LBB39_3053
.LBB39_3051:
	s_or_b32 exec_lo, exec_lo, s2
	s_and_saveexec_b32 s2, s0
	s_cbranch_execnz .LBB39_3054
	s_branch .LBB39_3091
.LBB39_3052:
	s_or_b32 exec_lo, exec_lo, s2
	s_and_saveexec_b32 s2, s30
	s_delay_alu instid0(SALU_CYCLE_1)
	s_xor_b32 s2, exec_lo, s2
	s_cbranch_execz .LBB39_3051
.LBB39_3053:
	v_cndmask_b32_e64 v0, 0, 1, s4
	s_wait_loadcnt 0x0
	global_store_b8 v[2:3], v0, off
	s_wait_xcnt 0x0
	s_or_b32 exec_lo, exec_lo, s2
	s_and_saveexec_b32 s2, s0
	s_cbranch_execz .LBB39_3091
.LBB39_3054:
	s_sext_i32_i16 s2, s1
	s_mov_b32 s0, -1
	s_cmp_lt_i32 s2, 5
	s_cbranch_scc1 .LBB39_3075
; %bb.3055:
	s_cmp_lt_i32 s2, 8
	s_cbranch_scc1 .LBB39_3065
; %bb.3056:
	s_cmp_lt_i32 s2, 9
	s_cbranch_scc1 .LBB39_3062
; %bb.3057:
	s_cmp_gt_i32 s2, 9
	s_cbranch_scc0 .LBB39_3059
; %bb.3058:
	v_cndmask_b32_e64 v0, 0, 1, s4
	s_wait_loadcnt 0x0
	v_mov_b32_e32 v6, 0
	s_mov_b32 s0, 0
	s_delay_alu instid0(VALU_DEP_2) | instskip(NEXT) | instid1(VALU_DEP_2)
	v_cvt_f64_u32_e32 v[4:5], v0
	v_mov_b32_e32 v7, v6
	global_store_b128 v[2:3], v[4:7], off
.LBB39_3059:
	s_and_not1_b32 vcc_lo, exec_lo, s0
	s_cbranch_vccnz .LBB39_3061
; %bb.3060:
	v_cndmask_b32_e64 v0, 0, 1.0, s4
	s_wait_loadcnt 0x0
	v_mov_b32_e32 v1, 0
	global_store_b64 v[2:3], v[0:1], off
.LBB39_3061:
	s_mov_b32 s0, 0
.LBB39_3062:
	s_delay_alu instid0(SALU_CYCLE_1)
	s_and_not1_b32 vcc_lo, exec_lo, s0
	s_cbranch_vccnz .LBB39_3064
; %bb.3063:
	s_wait_xcnt 0x0
	v_cndmask_b32_e64 v0, 0, 1.0, s4
	s_delay_alu instid0(VALU_DEP_1) | instskip(NEXT) | instid1(VALU_DEP_1)
	v_cvt_f16_f32_e32 v0, v0
	v_and_b32_e32 v0, 0xffff, v0
	s_wait_loadcnt 0x0
	global_store_b32 v[2:3], v0, off
.LBB39_3064:
	s_mov_b32 s0, 0
.LBB39_3065:
	s_delay_alu instid0(SALU_CYCLE_1)
	s_and_not1_b32 vcc_lo, exec_lo, s0
	s_cbranch_vccnz .LBB39_3074
; %bb.3066:
	s_sext_i32_i16 s2, s1
	s_mov_b32 s0, -1
	s_cmp_lt_i32 s2, 6
	s_cbranch_scc1 .LBB39_3072
; %bb.3067:
	s_cmp_gt_i32 s2, 6
	s_cbranch_scc0 .LBB39_3069
; %bb.3068:
	s_wait_xcnt 0x0
	v_cndmask_b32_e64 v0, 0, 1, s4
	s_mov_b32 s0, 0
	s_wait_loadcnt 0x0
	s_delay_alu instid0(VALU_DEP_1)
	v_cvt_f64_u32_e32 v[0:1], v0
	global_store_b64 v[2:3], v[0:1], off
.LBB39_3069:
	s_and_not1_b32 vcc_lo, exec_lo, s0
	s_cbranch_vccnz .LBB39_3071
; %bb.3070:
	s_wait_xcnt 0x0
	v_cndmask_b32_e64 v0, 0, 1.0, s4
	s_wait_loadcnt 0x0
	global_store_b32 v[2:3], v0, off
.LBB39_3071:
	s_mov_b32 s0, 0
.LBB39_3072:
	s_delay_alu instid0(SALU_CYCLE_1)
	s_and_not1_b32 vcc_lo, exec_lo, s0
	s_cbranch_vccnz .LBB39_3074
; %bb.3073:
	s_wait_xcnt 0x0
	v_cndmask_b32_e64 v0, 0, 1.0, s4
	s_delay_alu instid0(VALU_DEP_1)
	v_cvt_f16_f32_e32 v0, v0
	s_wait_loadcnt 0x0
	global_store_b16 v[2:3], v0, off
.LBB39_3074:
	s_mov_b32 s0, 0
.LBB39_3075:
	s_delay_alu instid0(SALU_CYCLE_1)
	s_and_not1_b32 vcc_lo, exec_lo, s0
	s_cbranch_vccnz .LBB39_3091
; %bb.3076:
	s_sext_i32_i16 s2, s1
	s_mov_b32 s0, -1
	s_cmp_lt_i32 s2, 2
	s_cbranch_scc1 .LBB39_3086
; %bb.3077:
	s_cmp_lt_i32 s2, 3
	s_cbranch_scc1 .LBB39_3083
; %bb.3078:
	s_cmp_gt_i32 s2, 3
	s_cbranch_scc0 .LBB39_3080
; %bb.3079:
	s_mov_b32 s0, 0
	s_wait_xcnt 0x0
	v_cndmask_b32_e64 v0, 0, 1, s4
	s_wait_loadcnt 0x0
	v_mov_b32_e32 v1, s0
	global_store_b64 v[2:3], v[0:1], off
.LBB39_3080:
	s_and_not1_b32 vcc_lo, exec_lo, s0
	s_cbranch_vccnz .LBB39_3082
; %bb.3081:
	s_wait_xcnt 0x0
	v_cndmask_b32_e64 v0, 0, 1, s4
	s_wait_loadcnt 0x0
	global_store_b32 v[2:3], v0, off
.LBB39_3082:
	s_mov_b32 s0, 0
.LBB39_3083:
	s_delay_alu instid0(SALU_CYCLE_1)
	s_and_not1_b32 vcc_lo, exec_lo, s0
	s_cbranch_vccnz .LBB39_3085
; %bb.3084:
	s_wait_xcnt 0x0
	v_cndmask_b32_e64 v0, 0, 1, s4
	s_wait_loadcnt 0x0
	global_store_b16 v[2:3], v0, off
.LBB39_3085:
	s_mov_b32 s0, 0
.LBB39_3086:
	s_delay_alu instid0(SALU_CYCLE_1)
	s_and_not1_b32 vcc_lo, exec_lo, s0
	s_cbranch_vccnz .LBB39_3091
; %bb.3087:
	s_sext_i32_i16 s0, s1
	s_delay_alu instid0(SALU_CYCLE_1)
	s_cmp_gt_i32 s0, 0
	s_mov_b32 s0, -1
	s_cbranch_scc0 .LBB39_3089
; %bb.3088:
	s_wait_xcnt 0x0
	v_cndmask_b32_e64 v0, 0, 1, s4
	s_mov_b32 s0, 0
	s_wait_loadcnt 0x0
	global_store_b8 v[2:3], v0, off
.LBB39_3089:
	s_and_not1_b32 vcc_lo, exec_lo, s0
	s_cbranch_vccnz .LBB39_3091
; %bb.3090:
	s_wait_xcnt 0x0
	v_cndmask_b32_e64 v0, 0, 1, s4
	s_wait_loadcnt 0x0
	global_store_b8 v[2:3], v0, off
	s_endpgm
.LBB39_3091:
	s_endpgm
.LBB39_3092:
	s_mov_b32 s2, 0
	s_mov_b32 s0, -1
	s_branch .LBB39_3048
.LBB39_3093:
	s_or_b32 s10, s10, exec_lo
	s_trap 2
	s_cbranch_execz .LBB39_2563
	s_branch .LBB39_2564
.LBB39_3094:
	s_and_not1_saveexec_b32 s13, s13
	s_cbranch_execz .LBB39_2643
.LBB39_3095:
	v_add_f32_e32 v1, 0x46000000, v5
	s_and_not1_b32 s12, s12, exec_lo
	s_delay_alu instid0(VALU_DEP_1) | instskip(NEXT) | instid1(VALU_DEP_1)
	v_and_b32_e32 v1, 0xff, v1
	v_cmp_ne_u32_e32 vcc_lo, 0, v1
	s_and_b32 s14, vcc_lo, exec_lo
	s_delay_alu instid0(SALU_CYCLE_1)
	s_or_b32 s12, s12, s14
	s_or_b32 exec_lo, exec_lo, s13
	v_mov_b32_e32 v8, 0
	s_and_saveexec_b32 s13, s12
	s_cbranch_execnz .LBB39_2644
	s_branch .LBB39_2645
.LBB39_3096:
	s_or_b32 s10, s10, exec_lo
	s_trap 2
	s_cbranch_execz .LBB39_2691
	s_branch .LBB39_2692
.LBB39_3097:
	s_and_not1_saveexec_b32 s12, s12
	s_cbranch_execz .LBB39_2656
.LBB39_3098:
	v_add_f32_e32 v1, 0x42800000, v5
	s_and_not1_b32 s11, s11, exec_lo
	s_delay_alu instid0(VALU_DEP_1) | instskip(NEXT) | instid1(VALU_DEP_1)
	v_and_b32_e32 v1, 0xff, v1
	v_cmp_ne_u32_e32 vcc_lo, 0, v1
	s_and_b32 s13, vcc_lo, exec_lo
	s_delay_alu instid0(SALU_CYCLE_1)
	s_or_b32 s11, s11, s13
	s_or_b32 exec_lo, exec_lo, s12
	v_mov_b32_e32 v8, 0
	s_and_saveexec_b32 s12, s11
	s_cbranch_execnz .LBB39_2657
	s_branch .LBB39_2658
.LBB39_3099:
	s_and_not1_saveexec_b32 s13, s13
	s_cbranch_execz .LBB39_2761
.LBB39_3100:
	v_add_f32_e32 v1, 0x46000000, v3
	s_and_not1_b32 s12, s12, exec_lo
	s_delay_alu instid0(VALU_DEP_1) | instskip(NEXT) | instid1(VALU_DEP_1)
	v_and_b32_e32 v1, 0xff, v1
	v_cmp_ne_u32_e32 vcc_lo, 0, v1
	s_and_b32 s14, vcc_lo, exec_lo
	s_delay_alu instid0(SALU_CYCLE_1)
	s_or_b32 s12, s12, s14
	s_or_b32 exec_lo, exec_lo, s13
	v_mov_b32_e32 v6, 0
	s_and_saveexec_b32 s13, s12
	s_cbranch_execnz .LBB39_2762
	s_branch .LBB39_2763
.LBB39_3101:
	s_or_b32 s10, s10, exec_lo
	s_trap 2
	s_cbranch_execz .LBB39_2809
	s_branch .LBB39_2810
.LBB39_3102:
	s_and_not1_saveexec_b32 s12, s12
	s_cbranch_execz .LBB39_2774
.LBB39_3103:
	v_add_f32_e32 v1, 0x42800000, v3
	s_and_not1_b32 s11, s11, exec_lo
	s_delay_alu instid0(VALU_DEP_1) | instskip(NEXT) | instid1(VALU_DEP_1)
	v_and_b32_e32 v1, 0xff, v1
	v_cmp_ne_u32_e32 vcc_lo, 0, v1
	s_and_b32 s13, vcc_lo, exec_lo
	s_delay_alu instid0(SALU_CYCLE_1)
	s_or_b32 s11, s11, s13
	s_or_b32 exec_lo, exec_lo, s12
	v_mov_b32_e32 v6, 0
	s_and_saveexec_b32 s12, s11
	s_cbranch_execnz .LBB39_2775
	s_branch .LBB39_2776
.LBB39_3104:
	s_and_not1_saveexec_b32 s13, s13
	s_cbranch_execz .LBB39_2880
.LBB39_3105:
	v_add_f32_e32 v1, 0x46000000, v4
	s_and_not1_b32 s12, s12, exec_lo
	s_delay_alu instid0(VALU_DEP_1) | instskip(NEXT) | instid1(VALU_DEP_1)
	v_and_b32_e32 v1, 0xff, v1
	v_cmp_ne_u32_e32 vcc_lo, 0, v1
	s_and_b32 s14, vcc_lo, exec_lo
	s_delay_alu instid0(SALU_CYCLE_1)
	s_or_b32 s12, s12, s14
	s_or_b32 exec_lo, exec_lo, s13
	v_mov_b32_e32 v5, 0
	s_and_saveexec_b32 s13, s12
	s_cbranch_execnz .LBB39_2881
	s_branch .LBB39_2882
.LBB39_3106:
	s_or_b32 s10, s10, exec_lo
	s_trap 2
	s_cbranch_execz .LBB39_2928
	s_branch .LBB39_2929
.LBB39_3107:
	s_and_not1_saveexec_b32 s12, s12
	s_cbranch_execz .LBB39_2893
.LBB39_3108:
	v_add_f32_e32 v1, 0x42800000, v4
	s_and_not1_b32 s11, s11, exec_lo
	s_delay_alu instid0(VALU_DEP_1) | instskip(NEXT) | instid1(VALU_DEP_1)
	v_and_b32_e32 v1, 0xff, v1
	v_cmp_ne_u32_e32 vcc_lo, 0, v1
	s_and_b32 s13, vcc_lo, exec_lo
	s_delay_alu instid0(SALU_CYCLE_1)
	s_or_b32 s11, s11, s13
	s_or_b32 exec_lo, exec_lo, s12
	v_mov_b32_e32 v5, 0
	s_and_saveexec_b32 s12, s11
	s_cbranch_execnz .LBB39_2894
	s_branch .LBB39_2895
.LBB39_3109:
	s_and_not1_saveexec_b32 s7, s7
	s_cbranch_execz .LBB39_3000
.LBB39_3110:
	v_add_f32_e32 v0, 0x46000000, v1
	s_and_not1_b32 s6, s6, exec_lo
	s_delay_alu instid0(VALU_DEP_1) | instskip(NEXT) | instid1(VALU_DEP_1)
	v_and_b32_e32 v0, 0xff, v0
	v_cmp_ne_u32_e32 vcc_lo, 0, v0
	s_and_b32 s11, vcc_lo, exec_lo
	s_delay_alu instid0(SALU_CYCLE_1)
	s_or_b32 s6, s6, s11
	s_or_b32 exec_lo, exec_lo, s7
	v_mov_b32_e32 v4, 0
	s_and_saveexec_b32 s7, s6
	s_cbranch_execnz .LBB39_3001
	s_branch .LBB39_3002
.LBB39_3111:
	s_mov_b32 s2, 0
	s_or_b32 s10, s10, exec_lo
	s_trap 2
	s_branch .LBB39_3046
.LBB39_3112:
	s_and_not1_saveexec_b32 s6, s6
	s_cbranch_execz .LBB39_3012
.LBB39_3113:
	v_add_f32_e32 v0, 0x42800000, v1
	s_and_not1_b32 s5, s5, exec_lo
	s_delay_alu instid0(VALU_DEP_1) | instskip(NEXT) | instid1(VALU_DEP_1)
	v_and_b32_e32 v0, 0xff, v0
	v_cmp_ne_u32_e32 vcc_lo, 0, v0
	s_and_b32 s7, vcc_lo, exec_lo
	s_delay_alu instid0(SALU_CYCLE_1)
	s_or_b32 s5, s5, s7
	s_or_b32 exec_lo, exec_lo, s6
	v_mov_b32_e32 v4, 0
	s_and_saveexec_b32 s6, s5
	s_cbranch_execnz .LBB39_3013
	s_branch .LBB39_3014
	.section	.rodata,"a",@progbits
	.p2align	6, 0x0
	.amdhsa_kernel _ZN2at6native32elementwise_kernel_manual_unrollILi128ELi4EZNS0_15gpu_kernel_implINS0_13BinaryFunctorIiibNS0_12_GLOBAL__N_116CompareEqFunctorIiEEEEEEvRNS_18TensorIteratorBaseERKT_EUlibE0_EEviT1_
		.amdhsa_group_segment_fixed_size 0
		.amdhsa_private_segment_fixed_size 0
		.amdhsa_kernarg_size 432
		.amdhsa_user_sgpr_count 2
		.amdhsa_user_sgpr_dispatch_ptr 0
		.amdhsa_user_sgpr_queue_ptr 0
		.amdhsa_user_sgpr_kernarg_segment_ptr 1
		.amdhsa_user_sgpr_dispatch_id 0
		.amdhsa_user_sgpr_kernarg_preload_length 0
		.amdhsa_user_sgpr_kernarg_preload_offset 0
		.amdhsa_user_sgpr_private_segment_size 0
		.amdhsa_wavefront_size32 1
		.amdhsa_uses_dynamic_stack 0
		.amdhsa_enable_private_segment 0
		.amdhsa_system_sgpr_workgroup_id_x 1
		.amdhsa_system_sgpr_workgroup_id_y 0
		.amdhsa_system_sgpr_workgroup_id_z 0
		.amdhsa_system_sgpr_workgroup_info 0
		.amdhsa_system_vgpr_workitem_id 0
		.amdhsa_next_free_vgpr 26
		.amdhsa_next_free_sgpr 62
		.amdhsa_named_barrier_count 0
		.amdhsa_reserve_vcc 1
		.amdhsa_float_round_mode_32 0
		.amdhsa_float_round_mode_16_64 0
		.amdhsa_float_denorm_mode_32 3
		.amdhsa_float_denorm_mode_16_64 3
		.amdhsa_fp16_overflow 0
		.amdhsa_memory_ordered 1
		.amdhsa_forward_progress 1
		.amdhsa_inst_pref_size 255
		.amdhsa_round_robin_scheduling 0
		.amdhsa_exception_fp_ieee_invalid_op 0
		.amdhsa_exception_fp_denorm_src 0
		.amdhsa_exception_fp_ieee_div_zero 0
		.amdhsa_exception_fp_ieee_overflow 0
		.amdhsa_exception_fp_ieee_underflow 0
		.amdhsa_exception_fp_ieee_inexact 0
		.amdhsa_exception_int_div_zero 0
	.end_amdhsa_kernel
	.section	.text._ZN2at6native32elementwise_kernel_manual_unrollILi128ELi4EZNS0_15gpu_kernel_implINS0_13BinaryFunctorIiibNS0_12_GLOBAL__N_116CompareEqFunctorIiEEEEEEvRNS_18TensorIteratorBaseERKT_EUlibE0_EEviT1_,"axG",@progbits,_ZN2at6native32elementwise_kernel_manual_unrollILi128ELi4EZNS0_15gpu_kernel_implINS0_13BinaryFunctorIiibNS0_12_GLOBAL__N_116CompareEqFunctorIiEEEEEEvRNS_18TensorIteratorBaseERKT_EUlibE0_EEviT1_,comdat
.Lfunc_end39:
	.size	_ZN2at6native32elementwise_kernel_manual_unrollILi128ELi4EZNS0_15gpu_kernel_implINS0_13BinaryFunctorIiibNS0_12_GLOBAL__N_116CompareEqFunctorIiEEEEEEvRNS_18TensorIteratorBaseERKT_EUlibE0_EEviT1_, .Lfunc_end39-_ZN2at6native32elementwise_kernel_manual_unrollILi128ELi4EZNS0_15gpu_kernel_implINS0_13BinaryFunctorIiibNS0_12_GLOBAL__N_116CompareEqFunctorIiEEEEEEvRNS_18TensorIteratorBaseERKT_EUlibE0_EEviT1_
                                        ; -- End function
	.set _ZN2at6native32elementwise_kernel_manual_unrollILi128ELi4EZNS0_15gpu_kernel_implINS0_13BinaryFunctorIiibNS0_12_GLOBAL__N_116CompareEqFunctorIiEEEEEEvRNS_18TensorIteratorBaseERKT_EUlibE0_EEviT1_.num_vgpr, 26
	.set _ZN2at6native32elementwise_kernel_manual_unrollILi128ELi4EZNS0_15gpu_kernel_implINS0_13BinaryFunctorIiibNS0_12_GLOBAL__N_116CompareEqFunctorIiEEEEEEvRNS_18TensorIteratorBaseERKT_EUlibE0_EEviT1_.num_agpr, 0
	.set _ZN2at6native32elementwise_kernel_manual_unrollILi128ELi4EZNS0_15gpu_kernel_implINS0_13BinaryFunctorIiibNS0_12_GLOBAL__N_116CompareEqFunctorIiEEEEEEvRNS_18TensorIteratorBaseERKT_EUlibE0_EEviT1_.numbered_sgpr, 62
	.set _ZN2at6native32elementwise_kernel_manual_unrollILi128ELi4EZNS0_15gpu_kernel_implINS0_13BinaryFunctorIiibNS0_12_GLOBAL__N_116CompareEqFunctorIiEEEEEEvRNS_18TensorIteratorBaseERKT_EUlibE0_EEviT1_.num_named_barrier, 0
	.set _ZN2at6native32elementwise_kernel_manual_unrollILi128ELi4EZNS0_15gpu_kernel_implINS0_13BinaryFunctorIiibNS0_12_GLOBAL__N_116CompareEqFunctorIiEEEEEEvRNS_18TensorIteratorBaseERKT_EUlibE0_EEviT1_.private_seg_size, 0
	.set _ZN2at6native32elementwise_kernel_manual_unrollILi128ELi4EZNS0_15gpu_kernel_implINS0_13BinaryFunctorIiibNS0_12_GLOBAL__N_116CompareEqFunctorIiEEEEEEvRNS_18TensorIteratorBaseERKT_EUlibE0_EEviT1_.uses_vcc, 1
	.set _ZN2at6native32elementwise_kernel_manual_unrollILi128ELi4EZNS0_15gpu_kernel_implINS0_13BinaryFunctorIiibNS0_12_GLOBAL__N_116CompareEqFunctorIiEEEEEEvRNS_18TensorIteratorBaseERKT_EUlibE0_EEviT1_.uses_flat_scratch, 0
	.set _ZN2at6native32elementwise_kernel_manual_unrollILi128ELi4EZNS0_15gpu_kernel_implINS0_13BinaryFunctorIiibNS0_12_GLOBAL__N_116CompareEqFunctorIiEEEEEEvRNS_18TensorIteratorBaseERKT_EUlibE0_EEviT1_.has_dyn_sized_stack, 0
	.set _ZN2at6native32elementwise_kernel_manual_unrollILi128ELi4EZNS0_15gpu_kernel_implINS0_13BinaryFunctorIiibNS0_12_GLOBAL__N_116CompareEqFunctorIiEEEEEEvRNS_18TensorIteratorBaseERKT_EUlibE0_EEviT1_.has_recursion, 0
	.set _ZN2at6native32elementwise_kernel_manual_unrollILi128ELi4EZNS0_15gpu_kernel_implINS0_13BinaryFunctorIiibNS0_12_GLOBAL__N_116CompareEqFunctorIiEEEEEEvRNS_18TensorIteratorBaseERKT_EUlibE0_EEviT1_.has_indirect_call, 0
	.section	.AMDGPU.csdata,"",@progbits
; Kernel info:
; codeLenInByte = 56192
; TotalNumSgprs: 64
; NumVgprs: 26
; ScratchSize: 0
; MemoryBound: 1
; FloatMode: 240
; IeeeMode: 1
; LDSByteSize: 0 bytes/workgroup (compile time only)
; SGPRBlocks: 0
; VGPRBlocks: 1
; NumSGPRsForWavesPerEU: 64
; NumVGPRsForWavesPerEU: 26
; NamedBarCnt: 0
; Occupancy: 16
; WaveLimiterHint : 1
; COMPUTE_PGM_RSRC2:SCRATCH_EN: 0
; COMPUTE_PGM_RSRC2:USER_SGPR: 2
; COMPUTE_PGM_RSRC2:TRAP_HANDLER: 0
; COMPUTE_PGM_RSRC2:TGID_X_EN: 1
; COMPUTE_PGM_RSRC2:TGID_Y_EN: 0
; COMPUTE_PGM_RSRC2:TGID_Z_EN: 0
; COMPUTE_PGM_RSRC2:TIDIG_COMP_CNT: 0
	.section	.text._ZN2at6native29vectorized_elementwise_kernelILi16ENS0_13AUnaryFunctorIiibNS0_12_GLOBAL__N_116CompareEqFunctorIiEEEESt5arrayIPcLm2EEEEviT0_T1_,"axG",@progbits,_ZN2at6native29vectorized_elementwise_kernelILi16ENS0_13AUnaryFunctorIiibNS0_12_GLOBAL__N_116CompareEqFunctorIiEEEESt5arrayIPcLm2EEEEviT0_T1_,comdat
	.globl	_ZN2at6native29vectorized_elementwise_kernelILi16ENS0_13AUnaryFunctorIiibNS0_12_GLOBAL__N_116CompareEqFunctorIiEEEESt5arrayIPcLm2EEEEviT0_T1_ ; -- Begin function _ZN2at6native29vectorized_elementwise_kernelILi16ENS0_13AUnaryFunctorIiibNS0_12_GLOBAL__N_116CompareEqFunctorIiEEEESt5arrayIPcLm2EEEEviT0_T1_
	.p2align	8
	.type	_ZN2at6native29vectorized_elementwise_kernelILi16ENS0_13AUnaryFunctorIiibNS0_12_GLOBAL__N_116CompareEqFunctorIiEEEESt5arrayIPcLm2EEEEviT0_T1_,@function
_ZN2at6native29vectorized_elementwise_kernelILi16ENS0_13AUnaryFunctorIiibNS0_12_GLOBAL__N_116CompareEqFunctorIiEEEESt5arrayIPcLm2EEEEviT0_T1_: ; @_ZN2at6native29vectorized_elementwise_kernelILi16ENS0_13AUnaryFunctorIiibNS0_12_GLOBAL__N_116CompareEqFunctorIiEEEESt5arrayIPcLm2EEEEviT0_T1_
; %bb.0:
	s_clause 0x1
	s_load_b96 s[20:22], s[0:1], 0x0
	s_load_b128 s[16:19], s[0:1], 0x10
	s_wait_xcnt 0x0
	s_bfe_u32 s0, ttmp6, 0x4000c
	s_and_b32 s1, ttmp6, 15
	s_add_co_i32 s0, s0, 1
	s_getreg_b32 s2, hwreg(HW_REG_IB_STS2, 6, 4)
	s_mul_i32 s0, ttmp9, s0
	s_delay_alu instid0(SALU_CYCLE_1) | instskip(SKIP_2) | instid1(SALU_CYCLE_1)
	s_add_co_i32 s1, s1, s0
	s_cmp_eq_u32 s2, 0
	s_cselect_b32 s0, ttmp9, s1
	s_lshl_b32 s24, s0, 12
	s_mov_b32 s0, -1
	s_wait_kmcnt 0x0
	s_sub_co_i32 s15, s20, s24
	s_delay_alu instid0(SALU_CYCLE_1)
	s_cmp_gt_i32 s15, 0xfff
	s_cbranch_scc0 .LBB40_2
; %bb.1:
	s_ashr_i32 s25, s24, 31
	v_lshlrev_b32_e32 v1, 6, v0
	s_lshl_b64 s[0:1], s[24:25], 2
	s_cmp_eq_u32 s21, 0
	s_add_nc_u64 s[0:1], s[18:19], s[0:1]
	s_cselect_b32 s20, -1, 0
	s_clause 0x3
	global_load_b128 v[2:5], v1, s[0:1] offset:16
	global_load_b128 v[6:9], v1, s[0:1]
	global_load_b128 v[10:13], v1, s[0:1] offset:48
	global_load_b128 v[14:17], v1, s[0:1] offset:32
	s_wait_loadcnt 0x3
	s_wait_xcnt 0x0
	v_cmp_ne_u32_e64 s0, s22, v2
	v_cmp_ne_u32_e64 s1, s22, v5
	;; [unrolled: 1-line block ×3, first 2 shown]
	s_wait_loadcnt 0x2
	v_cmp_ne_u32_e64 s3, s22, v7
	v_cmp_ne_u32_e64 s4, s22, v6
	s_xor_b32 s0, s20, s0
	v_cmp_ne_u32_e32 vcc_lo, s22, v3
	v_cndmask_b32_e64 v2, 0, 1, s0
	s_xor_b32 s0, s20, s1
	v_cmp_ne_u32_e64 s5, s22, v9
	v_cndmask_b32_e64 v3, 0, 1, s0
	s_xor_b32 s0, s20, s2
	v_cmp_ne_u32_e64 s6, s22, v8
	v_cndmask_b32_e64 v4, 0, 1, s0
	s_xor_b32 s0, s20, s3
	s_wait_loadcnt 0x1
	v_cmp_ne_u32_e64 s7, s22, v11
	v_cndmask_b32_e64 v5, 0, 1, s0
	s_xor_b32 s0, s20, s4
	v_cmp_ne_u32_e64 s8, s22, v10
	v_cndmask_b32_e64 v6, 0, 1, s0
	s_xor_b32 s0, s20, s5
	;; [unrolled: 3-line block ×4, first 2 shown]
	s_wait_loadcnt 0x0
	v_cmp_ne_u32_e64 s11, s22, v15
	v_cndmask_b32_e64 v9, 0, 1, s0
	s_xor_b32 s0, s20, s8
	v_cmp_ne_u32_e64 s12, s22, v14
	v_cndmask_b32_e64 v10, 0, 1, s0
	s_xor_b32 s0, s20, s9
	;; [unrolled: 3-line block ×4, first 2 shown]
	s_xor_b32 s23, s20, vcc_lo
	v_cndmask_b32_e64 v13, 0, 1, s0
	s_xor_b32 s0, s20, s12
	v_cndmask_b32_e64 v1, 0, 1, s23
	v_cndmask_b32_e64 v14, 0, 1, s0
	s_xor_b32 s0, s20, s13
	v_lshlrev_b16 v3, 8, v3
	v_cndmask_b32_e64 v15, 0, 1, s0
	s_xor_b32 s0, s20, s14
	v_lshlrev_b16 v1, 8, v1
	v_cndmask_b32_e64 v16, 0, 1, s0
	v_lshlrev_b16 v5, 8, v5
	v_lshlrev_b16 v7, 8, v7
	;; [unrolled: 1-line block ×6, first 2 shown]
	v_or_b32_e32 v1, v2, v1
	v_or_b32_e32 v2, v4, v3
	;; [unrolled: 1-line block ×7, first 2 shown]
	v_dual_lshlrev_b32 v2, 16, v2 :: v_dual_bitop2_b32 v5, v10, v9 bitop3:0x54
	v_and_b32_e32 v1, 0xffff, v1
	v_dual_lshlrev_b32 v6, 16, v6 :: v_dual_lshlrev_b32 v4, 16, v4
	v_and_b32_e32 v9, 0xffff, v3
	v_and_b32_e32 v7, 0xffff, v7
	v_lshlrev_b32_e32 v8, 16, v8
	v_and_b32_e32 v5, 0xffff, v5
	v_or_b32_e32 v3, v1, v2
	v_or_b32_e32 v2, v9, v4
	s_add_nc_u64 s[2:3], s[16:17], s[24:25]
	v_or_b32_e32 v4, v7, v8
	v_or_b32_e32 v5, v5, v6
	s_mov_b32 s0, 0
	global_store_b128 v0, v[2:5], s[2:3] scale_offset
.LBB40_2:
	s_and_not1_b32 vcc_lo, exec_lo, s0
	s_cbranch_vccnz .LBB40_52
; %bb.3:
	v_cmp_gt_i32_e32 vcc_lo, s15, v0
	v_or_b32_e32 v17, 0x100, v0
	v_dual_mov_b32 v1, 0 :: v_dual_bitop2_b32 v18, s24, v0 bitop3:0x54
	v_dual_mov_b32 v7, 0 :: v_dual_mov_b32 v6, 0
	v_dual_mov_b32 v8, 0 :: v_dual_mov_b32 v9, 0
	v_dual_mov_b32 v10, 0 :: v_dual_mov_b32 v11, 0
	v_dual_mov_b32 v12, 0 :: v_dual_mov_b32 v13, 0
	v_dual_mov_b32 v14, 0 :: v_dual_mov_b32 v15, 0
	s_wait_xcnt 0x0
	v_dual_mov_b32 v16, 0 :: v_dual_mov_b32 v4, 0
	v_dual_mov_b32 v3, 0 :: v_dual_mov_b32 v19, 0
	v_mov_b32_e32 v20, 0
	s_and_saveexec_b32 s1, vcc_lo
	s_cbranch_execz .LBB40_35
; %bb.4:
	global_load_b32 v20, v18, s[18:19] scale_offset
	v_dual_mov_b32 v19, 0 :: v_dual_mov_b32 v3, 0
	v_dual_mov_b32 v4, 0 :: v_dual_mov_b32 v16, 0
	;; [unrolled: 1-line block ×7, first 2 shown]
	v_mov_b32_e32 v1, 0
	s_mov_b32 s2, exec_lo
	s_wait_xcnt 0x0
	v_cmpx_gt_u32_e64 s15, v17
	s_cbranch_execz .LBB40_34
; %bb.5:
	v_dual_mov_b32 v3, 0 :: v_dual_add_nc_u32 v2, s24, v0
	v_or_b32_e32 v1, 0x200, v0
	v_dual_mov_b32 v4, 0 :: v_dual_mov_b32 v16, 0
	global_load_b32 v19, v2, s[18:19] offset:1024 scale_offset
	v_dual_mov_b32 v15, 0 :: v_dual_mov_b32 v14, 0
	v_cmp_gt_u32_e64 s0, s15, v1
	v_dual_mov_b32 v13, 0 :: v_dual_mov_b32 v12, 0
	v_dual_mov_b32 v11, 0 :: v_dual_mov_b32 v10, 0
	v_dual_mov_b32 v9, 0 :: v_dual_mov_b32 v8, 0
	v_dual_mov_b32 v6, 0 :: v_dual_mov_b32 v7, 0
	v_mov_b32_e32 v1, 0
	s_wait_xcnt 0x0
	s_and_saveexec_b32 s3, s0
	s_cbranch_execz .LBB40_33
; %bb.6:
	v_lshl_add_u64 v[4:5], v[2:3], 2, s[18:19]
	v_or_b32_e32 v1, 0x300, v0
	v_dual_mov_b32 v16, 0 :: v_dual_mov_b32 v15, 0
	v_dual_mov_b32 v14, 0 :: v_dual_mov_b32 v13, 0
	global_load_b32 v2, v[4:5], off offset:2048
	v_cmp_gt_u32_e64 s0, s15, v1
	v_dual_mov_b32 v12, 0 :: v_dual_mov_b32 v11, 0
	v_dual_mov_b32 v10, 0 :: v_dual_mov_b32 v9, 0
	;; [unrolled: 1-line block ×4, first 2 shown]
	s_wait_xcnt 0x0
	s_and_saveexec_b32 s4, s0
	s_cbranch_execz .LBB40_32
; %bb.7:
	global_load_b32 v3, v[4:5], off offset:3072
	v_or_b32_e32 v1, 0x400, v0
	v_dual_mov_b32 v16, 0 :: v_dual_mov_b32 v15, 0
	v_dual_mov_b32 v14, 0 :: v_dual_mov_b32 v13, 0
	s_delay_alu instid0(VALU_DEP_3)
	v_cmp_gt_u32_e64 s0, s15, v1
	v_dual_mov_b32 v12, 0 :: v_dual_mov_b32 v11, 0
	v_dual_mov_b32 v10, 0 :: v_dual_mov_b32 v9, 0
	;; [unrolled: 1-line block ×4, first 2 shown]
	s_wait_xcnt 0x0
	s_and_saveexec_b32 s5, s0
	s_cbranch_execz .LBB40_31
; %bb.8:
	global_load_b32 v16, v[4:5], off offset:4096
	v_or_b32_e32 v1, 0x500, v0
	v_dual_mov_b32 v15, 0 :: v_dual_mov_b32 v14, 0
	v_dual_mov_b32 v13, 0 :: v_dual_mov_b32 v12, 0
	s_delay_alu instid0(VALU_DEP_3)
	v_cmp_gt_u32_e64 s0, s15, v1
	v_dual_mov_b32 v11, 0 :: v_dual_mov_b32 v10, 0
	v_dual_mov_b32 v9, 0 :: v_dual_mov_b32 v8, 0
	;; [unrolled: 1-line block ×3, first 2 shown]
	v_mov_b32_e32 v1, 0
	s_wait_xcnt 0x0
	s_and_saveexec_b32 s6, s0
	s_cbranch_execz .LBB40_30
; %bb.9:
	global_load_b32 v15, v[4:5], off offset:5120
	v_or_b32_e32 v1, 0x600, v0
	v_dual_mov_b32 v14, 0 :: v_dual_mov_b32 v13, 0
	v_dual_mov_b32 v12, 0 :: v_dual_mov_b32 v11, 0
	s_delay_alu instid0(VALU_DEP_3)
	v_cmp_gt_u32_e64 s0, s15, v1
	v_dual_mov_b32 v10, 0 :: v_dual_mov_b32 v9, 0
	v_dual_mov_b32 v8, 0 :: v_dual_mov_b32 v6, 0
	;; [unrolled: 1-line block ×3, first 2 shown]
	s_wait_xcnt 0x0
	s_and_saveexec_b32 s7, s0
	s_cbranch_execz .LBB40_29
; %bb.10:
	global_load_b32 v14, v[4:5], off offset:6144
	v_or_b32_e32 v1, 0x700, v0
	v_dual_mov_b32 v13, 0 :: v_dual_mov_b32 v12, 0
	v_dual_mov_b32 v11, 0 :: v_dual_mov_b32 v10, 0
	s_delay_alu instid0(VALU_DEP_3)
	v_cmp_gt_u32_e64 s0, s15, v1
	v_dual_mov_b32 v9, 0 :: v_dual_mov_b32 v8, 0
	v_dual_mov_b32 v6, 0 :: v_dual_mov_b32 v7, 0
	v_mov_b32_e32 v1, 0
	s_wait_xcnt 0x0
	s_and_saveexec_b32 s8, s0
	s_cbranch_execz .LBB40_28
; %bb.11:
	global_load_b32 v13, v[4:5], off offset:7168
	v_or_b32_e32 v1, 0x800, v0
	v_dual_mov_b32 v12, 0 :: v_dual_mov_b32 v11, 0
	v_dual_mov_b32 v10, 0 :: v_dual_mov_b32 v9, 0
	s_delay_alu instid0(VALU_DEP_3)
	v_cmp_gt_u32_e64 s0, s15, v1
	v_dual_mov_b32 v8, 0 :: v_dual_mov_b32 v6, 0
	v_dual_mov_b32 v7, 0 :: v_dual_mov_b32 v1, 0
	s_wait_xcnt 0x0
	s_and_saveexec_b32 s9, s0
	s_cbranch_execz .LBB40_27
; %bb.12:
	global_load_b32 v12, v[4:5], off offset:8192
	v_or_b32_e32 v1, 0x900, v0
	v_dual_mov_b32 v11, 0 :: v_dual_mov_b32 v10, 0
	v_dual_mov_b32 v9, 0 :: v_dual_mov_b32 v8, 0
	s_delay_alu instid0(VALU_DEP_3)
	v_cmp_gt_u32_e64 s0, s15, v1
	v_dual_mov_b32 v6, 0 :: v_dual_mov_b32 v7, 0
	v_mov_b32_e32 v1, 0
	s_wait_xcnt 0x0
	s_and_saveexec_b32 s10, s0
	s_cbranch_execz .LBB40_26
; %bb.13:
	global_load_b32 v11, v[4:5], off offset:9216
	v_or_b32_e32 v1, 0xa00, v0
	v_dual_mov_b32 v10, 0 :: v_dual_mov_b32 v9, 0
	v_dual_mov_b32 v8, 0 :: v_dual_mov_b32 v6, 0
	s_delay_alu instid0(VALU_DEP_3)
	v_cmp_gt_u32_e64 s0, s15, v1
	v_dual_mov_b32 v7, 0 :: v_dual_mov_b32 v1, 0
	s_wait_xcnt 0x0
	s_and_saveexec_b32 s11, s0
	s_cbranch_execz .LBB40_25
; %bb.14:
	global_load_b32 v10, v[4:5], off offset:10240
	v_or_b32_e32 v1, 0xb00, v0
	v_dual_mov_b32 v9, 0 :: v_dual_mov_b32 v8, 0
	v_dual_mov_b32 v6, 0 :: v_dual_mov_b32 v7, 0
	s_delay_alu instid0(VALU_DEP_3)
	v_cmp_gt_u32_e64 s0, s15, v1
	v_mov_b32_e32 v1, 0
	s_wait_xcnt 0x0
	s_and_saveexec_b32 s12, s0
	s_cbranch_execz .LBB40_24
; %bb.15:
	global_load_b32 v9, v[4:5], off offset:11264
	v_or_b32_e32 v1, 0xc00, v0
	v_dual_mov_b32 v8, 0 :: v_dual_mov_b32 v6, 0
	v_mov_b32_e32 v7, 0
	s_delay_alu instid0(VALU_DEP_3)
	v_cmp_gt_u32_e64 s0, s15, v1
	v_mov_b32_e32 v1, 0
	s_wait_xcnt 0x0
	s_and_saveexec_b32 s13, s0
	s_cbranch_execz .LBB40_23
; %bb.16:
	global_load_b32 v8, v[4:5], off offset:12288
	v_or_b32_e32 v1, 0xd00, v0
	v_dual_mov_b32 v6, 0 :: v_dual_mov_b32 v7, 0
	s_delay_alu instid0(VALU_DEP_2)
	v_cmp_gt_u32_e64 s0, s15, v1
	v_mov_b32_e32 v1, 0
	s_wait_xcnt 0x0
	s_and_saveexec_b32 s14, s0
	s_cbranch_execz .LBB40_22
; %bb.17:
	global_load_b32 v6, v[4:5], off offset:13312
	v_or_b32_e32 v1, 0xe00, v0
	v_mov_b32_e32 v7, 0
	s_delay_alu instid0(VALU_DEP_2)
	v_cmp_gt_u32_e64 s0, s15, v1
	v_mov_b32_e32 v1, 0
	s_wait_xcnt 0x0
	s_and_saveexec_b32 s18, s0
	s_cbranch_execz .LBB40_21
; %bb.18:
	global_load_b32 v7, v[4:5], off offset:14336
	v_or_b32_e32 v1, 0xf00, v0
	s_delay_alu instid0(VALU_DEP_1)
	v_cmp_gt_u32_e64 s0, s15, v1
	v_mov_b32_e32 v1, 0
	s_wait_xcnt 0x0
	s_and_saveexec_b32 s19, s0
	s_cbranch_execz .LBB40_20
; %bb.19:
	global_load_b32 v1, v[4:5], off offset:15360
.LBB40_20:
	s_wait_xcnt 0x0
	s_or_b32 exec_lo, exec_lo, s19
.LBB40_21:
	s_delay_alu instid0(SALU_CYCLE_1)
	s_or_b32 exec_lo, exec_lo, s18
.LBB40_22:
	s_delay_alu instid0(SALU_CYCLE_1)
	s_or_b32 exec_lo, exec_lo, s14
.LBB40_23:
	s_delay_alu instid0(SALU_CYCLE_1)
	s_or_b32 exec_lo, exec_lo, s13
.LBB40_24:
	s_delay_alu instid0(SALU_CYCLE_1)
	s_or_b32 exec_lo, exec_lo, s12
.LBB40_25:
	s_delay_alu instid0(SALU_CYCLE_1)
	s_or_b32 exec_lo, exec_lo, s11
.LBB40_26:
	s_delay_alu instid0(SALU_CYCLE_1)
	s_or_b32 exec_lo, exec_lo, s10
.LBB40_27:
	s_delay_alu instid0(SALU_CYCLE_1)
	s_or_b32 exec_lo, exec_lo, s9
.LBB40_28:
	s_delay_alu instid0(SALU_CYCLE_1)
	s_or_b32 exec_lo, exec_lo, s8
.LBB40_29:
	s_delay_alu instid0(SALU_CYCLE_1)
	s_or_b32 exec_lo, exec_lo, s7
.LBB40_30:
	s_delay_alu instid0(SALU_CYCLE_1)
	s_or_b32 exec_lo, exec_lo, s6
.LBB40_31:
	s_delay_alu instid0(SALU_CYCLE_1)
	s_or_b32 exec_lo, exec_lo, s5
.LBB40_32:
	s_delay_alu instid0(SALU_CYCLE_1)
	s_or_b32 exec_lo, exec_lo, s4
	s_wait_loadcnt 0x0
	v_dual_mov_b32 v4, v3 :: v_dual_mov_b32 v3, v2
.LBB40_33:
	s_or_b32 exec_lo, exec_lo, s3
.LBB40_34:
	s_delay_alu instid0(SALU_CYCLE_1)
	s_or_b32 exec_lo, exec_lo, s2
.LBB40_35:
	s_delay_alu instid0(SALU_CYCLE_1)
	s_or_b32 exec_lo, exec_lo, s1
	s_cmp_eq_u32 s21, 0
	s_cselect_b32 s0, -1, 0
	s_and_saveexec_b32 s1, vcc_lo
	s_cbranch_execnz .LBB40_53
; %bb.36:
	s_or_b32 exec_lo, exec_lo, s1
	s_delay_alu instid0(SALU_CYCLE_1)
	s_mov_b32 s1, exec_lo
	v_cmpx_gt_i32_e64 s15, v0
	s_cbranch_execnz .LBB40_54
.LBB40_37:
	s_or_b32 exec_lo, exec_lo, s1
	s_delay_alu instid0(SALU_CYCLE_1)
	s_mov_b32 s1, exec_lo
	v_cmpx_gt_i32_e64 s15, v0
	s_cbranch_execnz .LBB40_55
.LBB40_38:
	s_or_b32 exec_lo, exec_lo, s1
	s_delay_alu instid0(SALU_CYCLE_1)
	s_mov_b32 s1, exec_lo
	v_cmpx_gt_i32_e64 s15, v0
	s_cbranch_execnz .LBB40_56
.LBB40_39:
	s_or_b32 exec_lo, exec_lo, s1
	s_delay_alu instid0(SALU_CYCLE_1)
	s_mov_b32 s1, exec_lo
	v_cmpx_gt_i32_e64 s15, v0
	s_cbranch_execnz .LBB40_57
.LBB40_40:
	s_or_b32 exec_lo, exec_lo, s1
	s_delay_alu instid0(SALU_CYCLE_1)
	s_mov_b32 s1, exec_lo
	v_cmpx_gt_i32_e64 s15, v0
	s_cbranch_execnz .LBB40_58
.LBB40_41:
	s_or_b32 exec_lo, exec_lo, s1
	s_delay_alu instid0(SALU_CYCLE_1)
	s_mov_b32 s1, exec_lo
	v_cmpx_gt_i32_e64 s15, v0
	s_cbranch_execnz .LBB40_59
.LBB40_42:
	s_or_b32 exec_lo, exec_lo, s1
	s_delay_alu instid0(SALU_CYCLE_1)
	s_mov_b32 s1, exec_lo
	v_cmpx_gt_i32_e64 s15, v0
	s_cbranch_execnz .LBB40_60
.LBB40_43:
	s_or_b32 exec_lo, exec_lo, s1
	s_delay_alu instid0(SALU_CYCLE_1)
	s_mov_b32 s1, exec_lo
	v_cmpx_gt_i32_e64 s15, v0
	s_cbranch_execnz .LBB40_61
.LBB40_44:
	s_or_b32 exec_lo, exec_lo, s1
	s_delay_alu instid0(SALU_CYCLE_1)
	s_mov_b32 s1, exec_lo
	v_cmpx_gt_i32_e64 s15, v0
	s_cbranch_execnz .LBB40_62
.LBB40_45:
	s_or_b32 exec_lo, exec_lo, s1
	s_delay_alu instid0(SALU_CYCLE_1)
	s_mov_b32 s1, exec_lo
	v_cmpx_gt_i32_e64 s15, v0
	s_cbranch_execnz .LBB40_63
.LBB40_46:
	s_or_b32 exec_lo, exec_lo, s1
	s_delay_alu instid0(SALU_CYCLE_1)
	s_mov_b32 s1, exec_lo
	v_cmpx_gt_i32_e64 s15, v0
	s_cbranch_execnz .LBB40_64
.LBB40_47:
	s_or_b32 exec_lo, exec_lo, s1
	s_delay_alu instid0(SALU_CYCLE_1)
	s_mov_b32 s1, exec_lo
	v_cmpx_gt_i32_e64 s15, v0
	s_cbranch_execnz .LBB40_65
.LBB40_48:
	s_or_b32 exec_lo, exec_lo, s1
	s_delay_alu instid0(SALU_CYCLE_1)
	s_mov_b32 s1, exec_lo
	v_cmpx_gt_i32_e64 s15, v0
	s_cbranch_execnz .LBB40_66
.LBB40_49:
	s_or_b32 exec_lo, exec_lo, s1
	s_delay_alu instid0(SALU_CYCLE_1)
	s_mov_b32 s1, exec_lo
	v_cmpx_gt_i32_e64 s15, v0
	s_cbranch_execnz .LBB40_67
.LBB40_50:
	s_or_b32 exec_lo, exec_lo, s1
	s_delay_alu instid0(SALU_CYCLE_1)
	s_mov_b32 s1, exec_lo
	v_cmpx_gt_i32_e64 s15, v0
	s_cbranch_execz .LBB40_52
.LBB40_51:
	v_cmp_ne_u32_e32 vcc_lo, s22, v1
	v_add_nc_u32_e32 v0, s24, v0
	s_xor_b32 s0, s0, vcc_lo
	s_delay_alu instid0(SALU_CYCLE_1)
	v_cndmask_b32_e64 v1, 0, 1, s0
	global_store_b8 v0, v1, s[16:17]
.LBB40_52:
	s_endpgm
.LBB40_53:
	s_wait_loadcnt 0x0
	v_cmp_ne_u32_e32 vcc_lo, s22, v20
	v_mov_b32_e32 v0, v17
	s_xor_b32 s2, s0, vcc_lo
	s_delay_alu instid0(SALU_CYCLE_1) | instskip(SKIP_3) | instid1(SALU_CYCLE_1)
	v_cndmask_b32_e64 v2, 0, 1, s2
	global_store_b8 v18, v2, s[16:17]
	s_wait_xcnt 0x0
	s_or_b32 exec_lo, exec_lo, s1
	s_mov_b32 s1, exec_lo
	v_cmpx_gt_i32_e64 s15, v0
	s_cbranch_execz .LBB40_37
.LBB40_54:
	s_wait_loadcnt 0x0
	v_cmp_ne_u32_e32 vcc_lo, s22, v19
	v_add_nc_u32_e32 v5, s24, v0
	v_add_nc_u32_e32 v0, 0x100, v0
	s_xor_b32 s2, s0, vcc_lo
	s_delay_alu instid0(SALU_CYCLE_1) | instskip(SKIP_3) | instid1(SALU_CYCLE_1)
	v_cndmask_b32_e64 v2, 0, 1, s2
	global_store_b8 v5, v2, s[16:17]
	s_wait_xcnt 0x0
	s_or_b32 exec_lo, exec_lo, s1
	s_mov_b32 s1, exec_lo
	v_cmpx_gt_i32_e64 s15, v0
	s_cbranch_execz .LBB40_38
.LBB40_55:
	v_cmp_ne_u32_e32 vcc_lo, s22, v3
	v_add_nc_u32_e32 v3, s24, v0
	v_add_nc_u32_e32 v0, 0x100, v0
	s_xor_b32 s2, s0, vcc_lo
	s_delay_alu instid0(SALU_CYCLE_1) | instskip(SKIP_3) | instid1(SALU_CYCLE_1)
	v_cndmask_b32_e64 v2, 0, 1, s2
	global_store_b8 v3, v2, s[16:17]
	s_wait_xcnt 0x0
	s_or_b32 exec_lo, exec_lo, s1
	s_mov_b32 s1, exec_lo
	v_cmpx_gt_i32_e64 s15, v0
	s_cbranch_execz .LBB40_39
.LBB40_56:
	v_cmp_ne_u32_e32 vcc_lo, s22, v4
	v_add_nc_u32_e32 v3, s24, v0
	v_add_nc_u32_e32 v0, 0x100, v0
	s_xor_b32 s2, s0, vcc_lo
	s_delay_alu instid0(SALU_CYCLE_1) | instskip(SKIP_3) | instid1(SALU_CYCLE_1)
	v_cndmask_b32_e64 v2, 0, 1, s2
	global_store_b8 v3, v2, s[16:17]
	s_wait_xcnt 0x0
	s_or_b32 exec_lo, exec_lo, s1
	s_mov_b32 s1, exec_lo
	v_cmpx_gt_i32_e64 s15, v0
	s_cbranch_execz .LBB40_40
.LBB40_57:
	v_cmp_ne_u32_e32 vcc_lo, s22, v16
	v_add_nc_u32_e32 v3, s24, v0
	v_add_nc_u32_e32 v0, 0x100, v0
	s_xor_b32 s2, s0, vcc_lo
	s_delay_alu instid0(SALU_CYCLE_1) | instskip(SKIP_3) | instid1(SALU_CYCLE_1)
	v_cndmask_b32_e64 v2, 0, 1, s2
	global_store_b8 v3, v2, s[16:17]
	s_wait_xcnt 0x0
	s_or_b32 exec_lo, exec_lo, s1
	s_mov_b32 s1, exec_lo
	v_cmpx_gt_i32_e64 s15, v0
	s_cbranch_execz .LBB40_41
.LBB40_58:
	v_cmp_ne_u32_e32 vcc_lo, s22, v15
	v_add_nc_u32_e32 v3, s24, v0
	v_add_nc_u32_e32 v0, 0x100, v0
	s_xor_b32 s2, s0, vcc_lo
	s_delay_alu instid0(SALU_CYCLE_1) | instskip(SKIP_3) | instid1(SALU_CYCLE_1)
	v_cndmask_b32_e64 v2, 0, 1, s2
	global_store_b8 v3, v2, s[16:17]
	s_wait_xcnt 0x0
	s_or_b32 exec_lo, exec_lo, s1
	s_mov_b32 s1, exec_lo
	v_cmpx_gt_i32_e64 s15, v0
	s_cbranch_execz .LBB40_42
.LBB40_59:
	v_cmp_ne_u32_e32 vcc_lo, s22, v14
	v_add_nc_u32_e32 v3, s24, v0
	v_add_nc_u32_e32 v0, 0x100, v0
	s_xor_b32 s2, s0, vcc_lo
	s_delay_alu instid0(SALU_CYCLE_1) | instskip(SKIP_3) | instid1(SALU_CYCLE_1)
	v_cndmask_b32_e64 v2, 0, 1, s2
	global_store_b8 v3, v2, s[16:17]
	s_wait_xcnt 0x0
	s_or_b32 exec_lo, exec_lo, s1
	s_mov_b32 s1, exec_lo
	v_cmpx_gt_i32_e64 s15, v0
	s_cbranch_execz .LBB40_43
.LBB40_60:
	v_cmp_ne_u32_e32 vcc_lo, s22, v13
	v_add_nc_u32_e32 v3, s24, v0
	v_add_nc_u32_e32 v0, 0x100, v0
	s_xor_b32 s2, s0, vcc_lo
	s_delay_alu instid0(SALU_CYCLE_1) | instskip(SKIP_3) | instid1(SALU_CYCLE_1)
	v_cndmask_b32_e64 v2, 0, 1, s2
	global_store_b8 v3, v2, s[16:17]
	s_wait_xcnt 0x0
	s_or_b32 exec_lo, exec_lo, s1
	s_mov_b32 s1, exec_lo
	v_cmpx_gt_i32_e64 s15, v0
	s_cbranch_execz .LBB40_44
.LBB40_61:
	v_cmp_ne_u32_e32 vcc_lo, s22, v12
	v_add_nc_u32_e32 v3, s24, v0
	v_add_nc_u32_e32 v0, 0x100, v0
	s_xor_b32 s2, s0, vcc_lo
	s_delay_alu instid0(SALU_CYCLE_1) | instskip(SKIP_3) | instid1(SALU_CYCLE_1)
	v_cndmask_b32_e64 v2, 0, 1, s2
	global_store_b8 v3, v2, s[16:17]
	s_wait_xcnt 0x0
	s_or_b32 exec_lo, exec_lo, s1
	s_mov_b32 s1, exec_lo
	v_cmpx_gt_i32_e64 s15, v0
	s_cbranch_execz .LBB40_45
.LBB40_62:
	v_cmp_ne_u32_e32 vcc_lo, s22, v11
	v_add_nc_u32_e32 v3, s24, v0
	v_add_nc_u32_e32 v0, 0x100, v0
	s_xor_b32 s2, s0, vcc_lo
	s_delay_alu instid0(SALU_CYCLE_1) | instskip(SKIP_3) | instid1(SALU_CYCLE_1)
	v_cndmask_b32_e64 v2, 0, 1, s2
	global_store_b8 v3, v2, s[16:17]
	s_wait_xcnt 0x0
	s_or_b32 exec_lo, exec_lo, s1
	s_mov_b32 s1, exec_lo
	v_cmpx_gt_i32_e64 s15, v0
	s_cbranch_execz .LBB40_46
.LBB40_63:
	v_cmp_ne_u32_e32 vcc_lo, s22, v10
	v_add_nc_u32_e32 v3, s24, v0
	v_add_nc_u32_e32 v0, 0x100, v0
	s_xor_b32 s2, s0, vcc_lo
	s_delay_alu instid0(SALU_CYCLE_1) | instskip(SKIP_3) | instid1(SALU_CYCLE_1)
	v_cndmask_b32_e64 v2, 0, 1, s2
	global_store_b8 v3, v2, s[16:17]
	s_wait_xcnt 0x0
	s_or_b32 exec_lo, exec_lo, s1
	s_mov_b32 s1, exec_lo
	v_cmpx_gt_i32_e64 s15, v0
	s_cbranch_execz .LBB40_47
.LBB40_64:
	v_cmp_ne_u32_e32 vcc_lo, s22, v9
	v_add_nc_u32_e32 v3, s24, v0
	v_add_nc_u32_e32 v0, 0x100, v0
	s_xor_b32 s2, s0, vcc_lo
	s_delay_alu instid0(SALU_CYCLE_1) | instskip(SKIP_3) | instid1(SALU_CYCLE_1)
	v_cndmask_b32_e64 v2, 0, 1, s2
	global_store_b8 v3, v2, s[16:17]
	s_wait_xcnt 0x0
	s_or_b32 exec_lo, exec_lo, s1
	s_mov_b32 s1, exec_lo
	v_cmpx_gt_i32_e64 s15, v0
	s_cbranch_execz .LBB40_48
.LBB40_65:
	v_cmp_ne_u32_e32 vcc_lo, s22, v8
	v_add_nc_u32_e32 v3, s24, v0
	v_add_nc_u32_e32 v0, 0x100, v0
	s_xor_b32 s2, s0, vcc_lo
	s_delay_alu instid0(SALU_CYCLE_1) | instskip(SKIP_3) | instid1(SALU_CYCLE_1)
	v_cndmask_b32_e64 v2, 0, 1, s2
	global_store_b8 v3, v2, s[16:17]
	s_wait_xcnt 0x0
	s_or_b32 exec_lo, exec_lo, s1
	s_mov_b32 s1, exec_lo
	v_cmpx_gt_i32_e64 s15, v0
	s_cbranch_execz .LBB40_49
.LBB40_66:
	v_cmp_ne_u32_e32 vcc_lo, s22, v6
	v_add_nc_u32_e32 v3, s24, v0
	v_add_nc_u32_e32 v0, 0x100, v0
	s_xor_b32 s2, s0, vcc_lo
	s_delay_alu instid0(SALU_CYCLE_1) | instskip(SKIP_3) | instid1(SALU_CYCLE_1)
	v_cndmask_b32_e64 v2, 0, 1, s2
	global_store_b8 v3, v2, s[16:17]
	s_wait_xcnt 0x0
	s_or_b32 exec_lo, exec_lo, s1
	s_mov_b32 s1, exec_lo
	v_cmpx_gt_i32_e64 s15, v0
	s_cbranch_execz .LBB40_50
.LBB40_67:
	v_cmp_ne_u32_e32 vcc_lo, s22, v7
	v_add_nc_u32_e32 v3, s24, v0
	v_add_nc_u32_e32 v0, 0x100, v0
	s_xor_b32 s2, s0, vcc_lo
	s_delay_alu instid0(SALU_CYCLE_1) | instskip(SKIP_3) | instid1(SALU_CYCLE_1)
	v_cndmask_b32_e64 v2, 0, 1, s2
	global_store_b8 v3, v2, s[16:17]
	s_wait_xcnt 0x0
	s_or_b32 exec_lo, exec_lo, s1
	s_mov_b32 s1, exec_lo
	v_cmpx_gt_i32_e64 s15, v0
	s_cbranch_execnz .LBB40_51
	s_branch .LBB40_52
	.section	.rodata,"a",@progbits
	.p2align	6, 0x0
	.amdhsa_kernel _ZN2at6native29vectorized_elementwise_kernelILi16ENS0_13AUnaryFunctorIiibNS0_12_GLOBAL__N_116CompareEqFunctorIiEEEESt5arrayIPcLm2EEEEviT0_T1_
		.amdhsa_group_segment_fixed_size 0
		.amdhsa_private_segment_fixed_size 0
		.amdhsa_kernarg_size 32
		.amdhsa_user_sgpr_count 2
		.amdhsa_user_sgpr_dispatch_ptr 0
		.amdhsa_user_sgpr_queue_ptr 0
		.amdhsa_user_sgpr_kernarg_segment_ptr 1
		.amdhsa_user_sgpr_dispatch_id 0
		.amdhsa_user_sgpr_kernarg_preload_length 0
		.amdhsa_user_sgpr_kernarg_preload_offset 0
		.amdhsa_user_sgpr_private_segment_size 0
		.amdhsa_wavefront_size32 1
		.amdhsa_uses_dynamic_stack 0
		.amdhsa_enable_private_segment 0
		.amdhsa_system_sgpr_workgroup_id_x 1
		.amdhsa_system_sgpr_workgroup_id_y 0
		.amdhsa_system_sgpr_workgroup_id_z 0
		.amdhsa_system_sgpr_workgroup_info 0
		.amdhsa_system_vgpr_workitem_id 0
		.amdhsa_next_free_vgpr 21
		.amdhsa_next_free_sgpr 26
		.amdhsa_named_barrier_count 0
		.amdhsa_reserve_vcc 1
		.amdhsa_float_round_mode_32 0
		.amdhsa_float_round_mode_16_64 0
		.amdhsa_float_denorm_mode_32 3
		.amdhsa_float_denorm_mode_16_64 3
		.amdhsa_fp16_overflow 0
		.amdhsa_memory_ordered 1
		.amdhsa_forward_progress 1
		.amdhsa_inst_pref_size 28
		.amdhsa_round_robin_scheduling 0
		.amdhsa_exception_fp_ieee_invalid_op 0
		.amdhsa_exception_fp_denorm_src 0
		.amdhsa_exception_fp_ieee_div_zero 0
		.amdhsa_exception_fp_ieee_overflow 0
		.amdhsa_exception_fp_ieee_underflow 0
		.amdhsa_exception_fp_ieee_inexact 0
		.amdhsa_exception_int_div_zero 0
	.end_amdhsa_kernel
	.section	.text._ZN2at6native29vectorized_elementwise_kernelILi16ENS0_13AUnaryFunctorIiibNS0_12_GLOBAL__N_116CompareEqFunctorIiEEEESt5arrayIPcLm2EEEEviT0_T1_,"axG",@progbits,_ZN2at6native29vectorized_elementwise_kernelILi16ENS0_13AUnaryFunctorIiibNS0_12_GLOBAL__N_116CompareEqFunctorIiEEEESt5arrayIPcLm2EEEEviT0_T1_,comdat
.Lfunc_end40:
	.size	_ZN2at6native29vectorized_elementwise_kernelILi16ENS0_13AUnaryFunctorIiibNS0_12_GLOBAL__N_116CompareEqFunctorIiEEEESt5arrayIPcLm2EEEEviT0_T1_, .Lfunc_end40-_ZN2at6native29vectorized_elementwise_kernelILi16ENS0_13AUnaryFunctorIiibNS0_12_GLOBAL__N_116CompareEqFunctorIiEEEESt5arrayIPcLm2EEEEviT0_T1_
                                        ; -- End function
	.set _ZN2at6native29vectorized_elementwise_kernelILi16ENS0_13AUnaryFunctorIiibNS0_12_GLOBAL__N_116CompareEqFunctorIiEEEESt5arrayIPcLm2EEEEviT0_T1_.num_vgpr, 21
	.set _ZN2at6native29vectorized_elementwise_kernelILi16ENS0_13AUnaryFunctorIiibNS0_12_GLOBAL__N_116CompareEqFunctorIiEEEESt5arrayIPcLm2EEEEviT0_T1_.num_agpr, 0
	.set _ZN2at6native29vectorized_elementwise_kernelILi16ENS0_13AUnaryFunctorIiibNS0_12_GLOBAL__N_116CompareEqFunctorIiEEEESt5arrayIPcLm2EEEEviT0_T1_.numbered_sgpr, 26
	.set _ZN2at6native29vectorized_elementwise_kernelILi16ENS0_13AUnaryFunctorIiibNS0_12_GLOBAL__N_116CompareEqFunctorIiEEEESt5arrayIPcLm2EEEEviT0_T1_.num_named_barrier, 0
	.set _ZN2at6native29vectorized_elementwise_kernelILi16ENS0_13AUnaryFunctorIiibNS0_12_GLOBAL__N_116CompareEqFunctorIiEEEESt5arrayIPcLm2EEEEviT0_T1_.private_seg_size, 0
	.set _ZN2at6native29vectorized_elementwise_kernelILi16ENS0_13AUnaryFunctorIiibNS0_12_GLOBAL__N_116CompareEqFunctorIiEEEESt5arrayIPcLm2EEEEviT0_T1_.uses_vcc, 1
	.set _ZN2at6native29vectorized_elementwise_kernelILi16ENS0_13AUnaryFunctorIiibNS0_12_GLOBAL__N_116CompareEqFunctorIiEEEESt5arrayIPcLm2EEEEviT0_T1_.uses_flat_scratch, 0
	.set _ZN2at6native29vectorized_elementwise_kernelILi16ENS0_13AUnaryFunctorIiibNS0_12_GLOBAL__N_116CompareEqFunctorIiEEEESt5arrayIPcLm2EEEEviT0_T1_.has_dyn_sized_stack, 0
	.set _ZN2at6native29vectorized_elementwise_kernelILi16ENS0_13AUnaryFunctorIiibNS0_12_GLOBAL__N_116CompareEqFunctorIiEEEESt5arrayIPcLm2EEEEviT0_T1_.has_recursion, 0
	.set _ZN2at6native29vectorized_elementwise_kernelILi16ENS0_13AUnaryFunctorIiibNS0_12_GLOBAL__N_116CompareEqFunctorIiEEEESt5arrayIPcLm2EEEEviT0_T1_.has_indirect_call, 0
	.section	.AMDGPU.csdata,"",@progbits
; Kernel info:
; codeLenInByte = 3580
; TotalNumSgprs: 28
; NumVgprs: 21
; ScratchSize: 0
; MemoryBound: 0
; FloatMode: 240
; IeeeMode: 1
; LDSByteSize: 0 bytes/workgroup (compile time only)
; SGPRBlocks: 0
; VGPRBlocks: 1
; NumSGPRsForWavesPerEU: 28
; NumVGPRsForWavesPerEU: 21
; NamedBarCnt: 0
; Occupancy: 16
; WaveLimiterHint : 0
; COMPUTE_PGM_RSRC2:SCRATCH_EN: 0
; COMPUTE_PGM_RSRC2:USER_SGPR: 2
; COMPUTE_PGM_RSRC2:TRAP_HANDLER: 0
; COMPUTE_PGM_RSRC2:TGID_X_EN: 1
; COMPUTE_PGM_RSRC2:TGID_Y_EN: 0
; COMPUTE_PGM_RSRC2:TGID_Z_EN: 0
; COMPUTE_PGM_RSRC2:TIDIG_COMP_CNT: 0
	.section	.text._ZN2at6native29vectorized_elementwise_kernelILi8ENS0_13AUnaryFunctorIiibNS0_12_GLOBAL__N_116CompareEqFunctorIiEEEESt5arrayIPcLm2EEEEviT0_T1_,"axG",@progbits,_ZN2at6native29vectorized_elementwise_kernelILi8ENS0_13AUnaryFunctorIiibNS0_12_GLOBAL__N_116CompareEqFunctorIiEEEESt5arrayIPcLm2EEEEviT0_T1_,comdat
	.globl	_ZN2at6native29vectorized_elementwise_kernelILi8ENS0_13AUnaryFunctorIiibNS0_12_GLOBAL__N_116CompareEqFunctorIiEEEESt5arrayIPcLm2EEEEviT0_T1_ ; -- Begin function _ZN2at6native29vectorized_elementwise_kernelILi8ENS0_13AUnaryFunctorIiibNS0_12_GLOBAL__N_116CompareEqFunctorIiEEEESt5arrayIPcLm2EEEEviT0_T1_
	.p2align	8
	.type	_ZN2at6native29vectorized_elementwise_kernelILi8ENS0_13AUnaryFunctorIiibNS0_12_GLOBAL__N_116CompareEqFunctorIiEEEESt5arrayIPcLm2EEEEviT0_T1_,@function
_ZN2at6native29vectorized_elementwise_kernelILi8ENS0_13AUnaryFunctorIiibNS0_12_GLOBAL__N_116CompareEqFunctorIiEEEESt5arrayIPcLm2EEEEviT0_T1_: ; @_ZN2at6native29vectorized_elementwise_kernelILi8ENS0_13AUnaryFunctorIiibNS0_12_GLOBAL__N_116CompareEqFunctorIiEEEESt5arrayIPcLm2EEEEviT0_T1_
; %bb.0:
	s_clause 0x1
	s_load_b96 s[20:22], s[0:1], 0x0
	s_load_b128 s[16:19], s[0:1], 0x10
	s_wait_xcnt 0x0
	s_bfe_u32 s0, ttmp6, 0x4000c
	s_and_b32 s1, ttmp6, 15
	s_add_co_i32 s0, s0, 1
	s_getreg_b32 s2, hwreg(HW_REG_IB_STS2, 6, 4)
	s_mul_i32 s0, ttmp9, s0
	s_delay_alu instid0(SALU_CYCLE_1) | instskip(SKIP_2) | instid1(SALU_CYCLE_1)
	s_add_co_i32 s1, s1, s0
	s_cmp_eq_u32 s2, 0
	s_cselect_b32 s0, ttmp9, s1
	s_lshl_b32 s24, s0, 12
	s_mov_b32 s0, -1
	s_wait_kmcnt 0x0
	s_sub_co_i32 s15, s20, s24
	s_delay_alu instid0(SALU_CYCLE_1)
	s_cmp_gt_i32 s15, 0xfff
	s_cbranch_scc0 .LBB41_2
; %bb.1:
	s_ashr_i32 s25, s24, 31
	v_lshlrev_b32_e32 v1, 5, v0
	s_lshl_b64 s[0:1], s[24:25], 2
	s_cmp_eq_u32 s21, 0
	s_add_nc_u64 s[0:1], s[18:19], s[0:1]
	s_cselect_b32 s20, -1, 0
	s_clause 0x3
	global_load_b128 v[2:5], v1, s[0:1]
	global_load_b128 v[6:9], v1, s[0:1] offset:16
	global_load_b128 v[10:13], v1, s[0:1] offset:8192
	;; [unrolled: 1-line block ×3, first 2 shown]
	s_wait_xcnt 0x0
	v_or3_b32 v1, 0, 0, 0
	s_wait_loadcnt 0x3
	v_cmp_ne_u32_e64 s0, s22, v3
	v_cmp_ne_u32_e64 s1, s22, v4
	v_cmp_ne_u32_e64 s2, s22, v5
	s_wait_loadcnt 0x2
	v_cmp_ne_u32_e64 s3, s22, v6
	v_cmp_ne_u32_e64 s4, s22, v7
	s_xor_b32 s0, s20, s0
	v_cmp_ne_u32_e64 s5, s22, v8
	v_cndmask_b32_e64 v3, 0, 0x100, s0
	s_xor_b32 s0, s20, s1
	v_cmp_ne_u32_e64 s6, s22, v9
	v_cndmask_b32_e64 v4, 0, 0x10000, s0
	s_xor_b32 s0, s20, s2
	s_wait_loadcnt 0x1
	v_cmp_ne_u32_e64 s7, s22, v10
	v_cndmask_b32_e64 v5, 0, 0x1000000, s0
	s_xor_b32 s0, s20, s3
	v_cmp_ne_u32_e32 vcc_lo, s22, v2
	v_cndmask_b32_e64 v6, 0, 1, s0
	s_xor_b32 s0, s20, s4
	v_cmp_ne_u32_e64 s8, s22, v11
	v_cndmask_b32_e64 v7, 0, 0x100, s0
	s_xor_b32 s0, s20, s5
	v_cmp_ne_u32_e64 s9, s22, v12
	v_cndmask_b32_e64 v8, 0, 0x10000, s0
	s_xor_b32 s0, s20, s6
	s_xor_b32 s23, s20, vcc_lo
	v_cndmask_b32_e64 v9, 0, 0x1000000, s0
	s_xor_b32 s0, s20, s7
	v_cmp_ne_u32_e64 s10, s22, v13
	v_cndmask_b32_e64 v10, 0, 1, s0
	s_xor_b32 s0, s20, s8
	v_cndmask_b32_e64 v2, 0, 1, s23
	v_cndmask_b32_e64 v11, 0, 0x100, s0
	s_wait_loadcnt 0x0
	v_cmp_ne_u32_e64 s11, s22, v14
	s_xor_b32 s0, s20, s9
	v_cmp_ne_u32_e64 s12, s22, v15
	v_cndmask_b32_e64 v12, 0, 0x10000, s0
	s_xor_b32 s0, s20, s10
	v_or_b32_e32 v2, v3, v2
	v_cndmask_b32_e64 v13, 0, 0x1000000, s0
	v_or_b32_e32 v3, v11, v10
	v_cmp_ne_u32_e64 s13, s22, v16
	s_xor_b32 s0, s20, s11
	v_cmp_ne_u32_e64 s14, s22, v17
	v_cndmask_b32_e64 v14, 0, 1, s0
	s_xor_b32 s0, s20, s12
	v_or3_b32 v2, v2, v4, v5
	v_cndmask_b32_e64 v10, 0, 0x100, s0
	v_or3_b32 v3, v3, v12, v13
	s_xor_b32 s0, s20, s13
	v_or3_b32 v5, v1, v6, v7
	v_cndmask_b32_e64 v11, 0, 0x10000, s0
	s_xor_b32 s0, s20, s14
	v_or3_b32 v2, v2, 0, 0
	v_cndmask_b32_e64 v4, 0, 0x1000000, s0
	v_or3_b32 v1, v1, v14, v10
	v_or3_b32 v6, v3, 0, 0
	;; [unrolled: 1-line block ×4, first 2 shown]
	s_add_nc_u64 s[2:3], s[16:17], s[24:25]
	v_or3_b32 v5, v1, v11, v4
	v_or3_b32 v4, v6, 0, 0
	s_mov_b32 s0, 0
	s_clause 0x1
	global_store_b64 v0, v[2:3], s[2:3] scale_offset
	global_store_b64 v0, v[4:5], s[2:3] offset:2048 scale_offset
.LBB41_2:
	s_and_not1_b32 vcc_lo, exec_lo, s0
	s_cbranch_vccnz .LBB41_52
; %bb.3:
	v_cmp_gt_i32_e32 vcc_lo, s15, v0
	v_or_b32_e32 v17, 0x100, v0
	v_dual_mov_b32 v1, 0 :: v_dual_bitop2_b32 v18, s24, v0 bitop3:0x54
	v_dual_mov_b32 v7, 0 :: v_dual_mov_b32 v6, 0
	v_dual_mov_b32 v8, 0 :: v_dual_mov_b32 v9, 0
	;; [unrolled: 1-line block ×5, first 2 shown]
	s_wait_xcnt 0x0
	v_dual_mov_b32 v16, 0 :: v_dual_mov_b32 v4, 0
	v_dual_mov_b32 v3, 0 :: v_dual_mov_b32 v19, 0
	v_mov_b32_e32 v20, 0
	s_and_saveexec_b32 s1, vcc_lo
	s_cbranch_execz .LBB41_35
; %bb.4:
	global_load_b32 v20, v18, s[18:19] scale_offset
	v_dual_mov_b32 v19, 0 :: v_dual_mov_b32 v3, 0
	v_dual_mov_b32 v4, 0 :: v_dual_mov_b32 v16, 0
	;; [unrolled: 1-line block ×7, first 2 shown]
	v_mov_b32_e32 v1, 0
	s_mov_b32 s2, exec_lo
	s_wait_xcnt 0x0
	v_cmpx_gt_u32_e64 s15, v17
	s_cbranch_execz .LBB41_34
; %bb.5:
	v_dual_mov_b32 v3, 0 :: v_dual_add_nc_u32 v2, s24, v0
	v_or_b32_e32 v1, 0x200, v0
	v_dual_mov_b32 v4, 0 :: v_dual_mov_b32 v16, 0
	global_load_b32 v19, v2, s[18:19] offset:1024 scale_offset
	v_dual_mov_b32 v15, 0 :: v_dual_mov_b32 v14, 0
	v_cmp_gt_u32_e64 s0, s15, v1
	v_dual_mov_b32 v13, 0 :: v_dual_mov_b32 v12, 0
	v_dual_mov_b32 v11, 0 :: v_dual_mov_b32 v10, 0
	;; [unrolled: 1-line block ×4, first 2 shown]
	v_mov_b32_e32 v1, 0
	s_wait_xcnt 0x0
	s_and_saveexec_b32 s3, s0
	s_cbranch_execz .LBB41_33
; %bb.6:
	v_lshl_add_u64 v[4:5], v[2:3], 2, s[18:19]
	v_or_b32_e32 v1, 0x300, v0
	v_dual_mov_b32 v16, 0 :: v_dual_mov_b32 v15, 0
	v_dual_mov_b32 v14, 0 :: v_dual_mov_b32 v13, 0
	global_load_b32 v2, v[4:5], off offset:2048
	v_cmp_gt_u32_e64 s0, s15, v1
	v_dual_mov_b32 v12, 0 :: v_dual_mov_b32 v11, 0
	v_dual_mov_b32 v10, 0 :: v_dual_mov_b32 v9, 0
	;; [unrolled: 1-line block ×4, first 2 shown]
	s_wait_xcnt 0x0
	s_and_saveexec_b32 s4, s0
	s_cbranch_execz .LBB41_32
; %bb.7:
	global_load_b32 v3, v[4:5], off offset:3072
	v_or_b32_e32 v1, 0x400, v0
	v_dual_mov_b32 v16, 0 :: v_dual_mov_b32 v15, 0
	v_dual_mov_b32 v14, 0 :: v_dual_mov_b32 v13, 0
	s_delay_alu instid0(VALU_DEP_3)
	v_cmp_gt_u32_e64 s0, s15, v1
	v_dual_mov_b32 v12, 0 :: v_dual_mov_b32 v11, 0
	v_dual_mov_b32 v10, 0 :: v_dual_mov_b32 v9, 0
	;; [unrolled: 1-line block ×4, first 2 shown]
	s_wait_xcnt 0x0
	s_and_saveexec_b32 s5, s0
	s_cbranch_execz .LBB41_31
; %bb.8:
	global_load_b32 v16, v[4:5], off offset:4096
	v_or_b32_e32 v1, 0x500, v0
	v_dual_mov_b32 v15, 0 :: v_dual_mov_b32 v14, 0
	v_dual_mov_b32 v13, 0 :: v_dual_mov_b32 v12, 0
	s_delay_alu instid0(VALU_DEP_3)
	v_cmp_gt_u32_e64 s0, s15, v1
	v_dual_mov_b32 v11, 0 :: v_dual_mov_b32 v10, 0
	v_dual_mov_b32 v9, 0 :: v_dual_mov_b32 v8, 0
	;; [unrolled: 1-line block ×3, first 2 shown]
	v_mov_b32_e32 v1, 0
	s_wait_xcnt 0x0
	s_and_saveexec_b32 s6, s0
	s_cbranch_execz .LBB41_30
; %bb.9:
	global_load_b32 v15, v[4:5], off offset:5120
	v_or_b32_e32 v1, 0x600, v0
	v_dual_mov_b32 v14, 0 :: v_dual_mov_b32 v13, 0
	v_dual_mov_b32 v12, 0 :: v_dual_mov_b32 v11, 0
	s_delay_alu instid0(VALU_DEP_3)
	v_cmp_gt_u32_e64 s0, s15, v1
	v_dual_mov_b32 v10, 0 :: v_dual_mov_b32 v9, 0
	v_dual_mov_b32 v8, 0 :: v_dual_mov_b32 v6, 0
	;; [unrolled: 1-line block ×3, first 2 shown]
	s_wait_xcnt 0x0
	s_and_saveexec_b32 s7, s0
	s_cbranch_execz .LBB41_29
; %bb.10:
	global_load_b32 v14, v[4:5], off offset:6144
	v_or_b32_e32 v1, 0x700, v0
	v_dual_mov_b32 v13, 0 :: v_dual_mov_b32 v12, 0
	v_dual_mov_b32 v11, 0 :: v_dual_mov_b32 v10, 0
	s_delay_alu instid0(VALU_DEP_3)
	v_cmp_gt_u32_e64 s0, s15, v1
	v_dual_mov_b32 v9, 0 :: v_dual_mov_b32 v8, 0
	v_dual_mov_b32 v6, 0 :: v_dual_mov_b32 v7, 0
	v_mov_b32_e32 v1, 0
	s_wait_xcnt 0x0
	s_and_saveexec_b32 s8, s0
	s_cbranch_execz .LBB41_28
; %bb.11:
	global_load_b32 v13, v[4:5], off offset:7168
	v_or_b32_e32 v1, 0x800, v0
	v_dual_mov_b32 v12, 0 :: v_dual_mov_b32 v11, 0
	v_dual_mov_b32 v10, 0 :: v_dual_mov_b32 v9, 0
	s_delay_alu instid0(VALU_DEP_3)
	v_cmp_gt_u32_e64 s0, s15, v1
	v_dual_mov_b32 v8, 0 :: v_dual_mov_b32 v6, 0
	v_dual_mov_b32 v7, 0 :: v_dual_mov_b32 v1, 0
	s_wait_xcnt 0x0
	s_and_saveexec_b32 s9, s0
	s_cbranch_execz .LBB41_27
; %bb.12:
	global_load_b32 v12, v[4:5], off offset:8192
	v_or_b32_e32 v1, 0x900, v0
	v_dual_mov_b32 v11, 0 :: v_dual_mov_b32 v10, 0
	v_dual_mov_b32 v9, 0 :: v_dual_mov_b32 v8, 0
	s_delay_alu instid0(VALU_DEP_3)
	v_cmp_gt_u32_e64 s0, s15, v1
	v_dual_mov_b32 v6, 0 :: v_dual_mov_b32 v7, 0
	v_mov_b32_e32 v1, 0
	s_wait_xcnt 0x0
	s_and_saveexec_b32 s10, s0
	s_cbranch_execz .LBB41_26
; %bb.13:
	global_load_b32 v11, v[4:5], off offset:9216
	v_or_b32_e32 v1, 0xa00, v0
	v_dual_mov_b32 v10, 0 :: v_dual_mov_b32 v9, 0
	v_dual_mov_b32 v8, 0 :: v_dual_mov_b32 v6, 0
	s_delay_alu instid0(VALU_DEP_3)
	v_cmp_gt_u32_e64 s0, s15, v1
	v_dual_mov_b32 v7, 0 :: v_dual_mov_b32 v1, 0
	s_wait_xcnt 0x0
	s_and_saveexec_b32 s11, s0
	s_cbranch_execz .LBB41_25
; %bb.14:
	global_load_b32 v10, v[4:5], off offset:10240
	v_or_b32_e32 v1, 0xb00, v0
	v_dual_mov_b32 v9, 0 :: v_dual_mov_b32 v8, 0
	v_dual_mov_b32 v6, 0 :: v_dual_mov_b32 v7, 0
	s_delay_alu instid0(VALU_DEP_3)
	v_cmp_gt_u32_e64 s0, s15, v1
	v_mov_b32_e32 v1, 0
	s_wait_xcnt 0x0
	s_and_saveexec_b32 s12, s0
	s_cbranch_execz .LBB41_24
; %bb.15:
	global_load_b32 v9, v[4:5], off offset:11264
	v_or_b32_e32 v1, 0xc00, v0
	v_dual_mov_b32 v8, 0 :: v_dual_mov_b32 v6, 0
	v_mov_b32_e32 v7, 0
	s_delay_alu instid0(VALU_DEP_3)
	v_cmp_gt_u32_e64 s0, s15, v1
	v_mov_b32_e32 v1, 0
	s_wait_xcnt 0x0
	s_and_saveexec_b32 s13, s0
	s_cbranch_execz .LBB41_23
; %bb.16:
	global_load_b32 v8, v[4:5], off offset:12288
	v_or_b32_e32 v1, 0xd00, v0
	v_dual_mov_b32 v6, 0 :: v_dual_mov_b32 v7, 0
	s_delay_alu instid0(VALU_DEP_2)
	v_cmp_gt_u32_e64 s0, s15, v1
	v_mov_b32_e32 v1, 0
	s_wait_xcnt 0x0
	s_and_saveexec_b32 s14, s0
	s_cbranch_execz .LBB41_22
; %bb.17:
	global_load_b32 v6, v[4:5], off offset:13312
	v_or_b32_e32 v1, 0xe00, v0
	v_mov_b32_e32 v7, 0
	s_delay_alu instid0(VALU_DEP_2)
	v_cmp_gt_u32_e64 s0, s15, v1
	v_mov_b32_e32 v1, 0
	s_wait_xcnt 0x0
	s_and_saveexec_b32 s18, s0
	s_cbranch_execz .LBB41_21
; %bb.18:
	global_load_b32 v7, v[4:5], off offset:14336
	v_or_b32_e32 v1, 0xf00, v0
	s_delay_alu instid0(VALU_DEP_1)
	v_cmp_gt_u32_e64 s0, s15, v1
	v_mov_b32_e32 v1, 0
	s_wait_xcnt 0x0
	s_and_saveexec_b32 s19, s0
	s_cbranch_execz .LBB41_20
; %bb.19:
	global_load_b32 v1, v[4:5], off offset:15360
.LBB41_20:
	s_wait_xcnt 0x0
	s_or_b32 exec_lo, exec_lo, s19
.LBB41_21:
	s_delay_alu instid0(SALU_CYCLE_1)
	s_or_b32 exec_lo, exec_lo, s18
.LBB41_22:
	s_delay_alu instid0(SALU_CYCLE_1)
	s_or_b32 exec_lo, exec_lo, s14
.LBB41_23:
	s_delay_alu instid0(SALU_CYCLE_1)
	s_or_b32 exec_lo, exec_lo, s13
.LBB41_24:
	s_delay_alu instid0(SALU_CYCLE_1)
	s_or_b32 exec_lo, exec_lo, s12
.LBB41_25:
	s_delay_alu instid0(SALU_CYCLE_1)
	s_or_b32 exec_lo, exec_lo, s11
.LBB41_26:
	s_delay_alu instid0(SALU_CYCLE_1)
	s_or_b32 exec_lo, exec_lo, s10
.LBB41_27:
	s_delay_alu instid0(SALU_CYCLE_1)
	s_or_b32 exec_lo, exec_lo, s9
.LBB41_28:
	s_delay_alu instid0(SALU_CYCLE_1)
	s_or_b32 exec_lo, exec_lo, s8
.LBB41_29:
	s_delay_alu instid0(SALU_CYCLE_1)
	s_or_b32 exec_lo, exec_lo, s7
.LBB41_30:
	s_delay_alu instid0(SALU_CYCLE_1)
	s_or_b32 exec_lo, exec_lo, s6
.LBB41_31:
	s_delay_alu instid0(SALU_CYCLE_1)
	s_or_b32 exec_lo, exec_lo, s5
.LBB41_32:
	s_delay_alu instid0(SALU_CYCLE_1)
	s_or_b32 exec_lo, exec_lo, s4
	s_wait_loadcnt 0x0
	v_dual_mov_b32 v4, v3 :: v_dual_mov_b32 v3, v2
.LBB41_33:
	s_or_b32 exec_lo, exec_lo, s3
.LBB41_34:
	s_delay_alu instid0(SALU_CYCLE_1)
	s_or_b32 exec_lo, exec_lo, s2
.LBB41_35:
	s_delay_alu instid0(SALU_CYCLE_1)
	s_or_b32 exec_lo, exec_lo, s1
	s_cmp_eq_u32 s21, 0
	s_cselect_b32 s0, -1, 0
	s_and_saveexec_b32 s1, vcc_lo
	s_cbranch_execnz .LBB41_53
; %bb.36:
	s_or_b32 exec_lo, exec_lo, s1
	s_delay_alu instid0(SALU_CYCLE_1)
	s_mov_b32 s1, exec_lo
	v_cmpx_gt_i32_e64 s15, v0
	s_cbranch_execnz .LBB41_54
.LBB41_37:
	s_or_b32 exec_lo, exec_lo, s1
	s_delay_alu instid0(SALU_CYCLE_1)
	s_mov_b32 s1, exec_lo
	v_cmpx_gt_i32_e64 s15, v0
	s_cbranch_execnz .LBB41_55
.LBB41_38:
	s_or_b32 exec_lo, exec_lo, s1
	s_delay_alu instid0(SALU_CYCLE_1)
	s_mov_b32 s1, exec_lo
	v_cmpx_gt_i32_e64 s15, v0
	s_cbranch_execnz .LBB41_56
.LBB41_39:
	s_or_b32 exec_lo, exec_lo, s1
	s_delay_alu instid0(SALU_CYCLE_1)
	s_mov_b32 s1, exec_lo
	v_cmpx_gt_i32_e64 s15, v0
	s_cbranch_execnz .LBB41_57
.LBB41_40:
	s_or_b32 exec_lo, exec_lo, s1
	s_delay_alu instid0(SALU_CYCLE_1)
	s_mov_b32 s1, exec_lo
	v_cmpx_gt_i32_e64 s15, v0
	s_cbranch_execnz .LBB41_58
.LBB41_41:
	s_or_b32 exec_lo, exec_lo, s1
	s_delay_alu instid0(SALU_CYCLE_1)
	s_mov_b32 s1, exec_lo
	v_cmpx_gt_i32_e64 s15, v0
	s_cbranch_execnz .LBB41_59
.LBB41_42:
	s_or_b32 exec_lo, exec_lo, s1
	s_delay_alu instid0(SALU_CYCLE_1)
	s_mov_b32 s1, exec_lo
	v_cmpx_gt_i32_e64 s15, v0
	s_cbranch_execnz .LBB41_60
.LBB41_43:
	s_or_b32 exec_lo, exec_lo, s1
	s_delay_alu instid0(SALU_CYCLE_1)
	s_mov_b32 s1, exec_lo
	v_cmpx_gt_i32_e64 s15, v0
	s_cbranch_execnz .LBB41_61
.LBB41_44:
	s_or_b32 exec_lo, exec_lo, s1
	s_delay_alu instid0(SALU_CYCLE_1)
	s_mov_b32 s1, exec_lo
	v_cmpx_gt_i32_e64 s15, v0
	s_cbranch_execnz .LBB41_62
.LBB41_45:
	s_or_b32 exec_lo, exec_lo, s1
	s_delay_alu instid0(SALU_CYCLE_1)
	s_mov_b32 s1, exec_lo
	v_cmpx_gt_i32_e64 s15, v0
	s_cbranch_execnz .LBB41_63
.LBB41_46:
	s_or_b32 exec_lo, exec_lo, s1
	s_delay_alu instid0(SALU_CYCLE_1)
	s_mov_b32 s1, exec_lo
	v_cmpx_gt_i32_e64 s15, v0
	s_cbranch_execnz .LBB41_64
.LBB41_47:
	s_or_b32 exec_lo, exec_lo, s1
	s_delay_alu instid0(SALU_CYCLE_1)
	s_mov_b32 s1, exec_lo
	v_cmpx_gt_i32_e64 s15, v0
	s_cbranch_execnz .LBB41_65
.LBB41_48:
	s_or_b32 exec_lo, exec_lo, s1
	s_delay_alu instid0(SALU_CYCLE_1)
	s_mov_b32 s1, exec_lo
	v_cmpx_gt_i32_e64 s15, v0
	s_cbranch_execnz .LBB41_66
.LBB41_49:
	s_or_b32 exec_lo, exec_lo, s1
	s_delay_alu instid0(SALU_CYCLE_1)
	s_mov_b32 s1, exec_lo
	v_cmpx_gt_i32_e64 s15, v0
	s_cbranch_execnz .LBB41_67
.LBB41_50:
	s_or_b32 exec_lo, exec_lo, s1
	s_delay_alu instid0(SALU_CYCLE_1)
	s_mov_b32 s1, exec_lo
	v_cmpx_gt_i32_e64 s15, v0
	s_cbranch_execz .LBB41_52
.LBB41_51:
	v_cmp_ne_u32_e32 vcc_lo, s22, v1
	v_add_nc_u32_e32 v0, s24, v0
	s_xor_b32 s0, s0, vcc_lo
	s_delay_alu instid0(SALU_CYCLE_1)
	v_cndmask_b32_e64 v1, 0, 1, s0
	global_store_b8 v0, v1, s[16:17]
.LBB41_52:
	s_endpgm
.LBB41_53:
	s_wait_loadcnt 0x0
	v_cmp_ne_u32_e32 vcc_lo, s22, v20
	v_mov_b32_e32 v0, v17
	s_xor_b32 s2, s0, vcc_lo
	s_delay_alu instid0(SALU_CYCLE_1) | instskip(SKIP_3) | instid1(SALU_CYCLE_1)
	v_cndmask_b32_e64 v2, 0, 1, s2
	global_store_b8 v18, v2, s[16:17]
	s_wait_xcnt 0x0
	s_or_b32 exec_lo, exec_lo, s1
	s_mov_b32 s1, exec_lo
	v_cmpx_gt_i32_e64 s15, v0
	s_cbranch_execz .LBB41_37
.LBB41_54:
	s_wait_loadcnt 0x0
	v_cmp_ne_u32_e32 vcc_lo, s22, v19
	v_add_nc_u32_e32 v5, s24, v0
	v_add_nc_u32_e32 v0, 0x100, v0
	s_xor_b32 s2, s0, vcc_lo
	s_delay_alu instid0(SALU_CYCLE_1) | instskip(SKIP_3) | instid1(SALU_CYCLE_1)
	v_cndmask_b32_e64 v2, 0, 1, s2
	global_store_b8 v5, v2, s[16:17]
	s_wait_xcnt 0x0
	s_or_b32 exec_lo, exec_lo, s1
	s_mov_b32 s1, exec_lo
	v_cmpx_gt_i32_e64 s15, v0
	s_cbranch_execz .LBB41_38
.LBB41_55:
	v_cmp_ne_u32_e32 vcc_lo, s22, v3
	v_add_nc_u32_e32 v3, s24, v0
	v_add_nc_u32_e32 v0, 0x100, v0
	s_xor_b32 s2, s0, vcc_lo
	s_delay_alu instid0(SALU_CYCLE_1) | instskip(SKIP_3) | instid1(SALU_CYCLE_1)
	v_cndmask_b32_e64 v2, 0, 1, s2
	global_store_b8 v3, v2, s[16:17]
	s_wait_xcnt 0x0
	s_or_b32 exec_lo, exec_lo, s1
	s_mov_b32 s1, exec_lo
	v_cmpx_gt_i32_e64 s15, v0
	s_cbranch_execz .LBB41_39
.LBB41_56:
	v_cmp_ne_u32_e32 vcc_lo, s22, v4
	v_add_nc_u32_e32 v3, s24, v0
	v_add_nc_u32_e32 v0, 0x100, v0
	s_xor_b32 s2, s0, vcc_lo
	s_delay_alu instid0(SALU_CYCLE_1) | instskip(SKIP_3) | instid1(SALU_CYCLE_1)
	v_cndmask_b32_e64 v2, 0, 1, s2
	global_store_b8 v3, v2, s[16:17]
	s_wait_xcnt 0x0
	s_or_b32 exec_lo, exec_lo, s1
	s_mov_b32 s1, exec_lo
	v_cmpx_gt_i32_e64 s15, v0
	s_cbranch_execz .LBB41_40
.LBB41_57:
	v_cmp_ne_u32_e32 vcc_lo, s22, v16
	v_add_nc_u32_e32 v3, s24, v0
	v_add_nc_u32_e32 v0, 0x100, v0
	s_xor_b32 s2, s0, vcc_lo
	s_delay_alu instid0(SALU_CYCLE_1) | instskip(SKIP_3) | instid1(SALU_CYCLE_1)
	v_cndmask_b32_e64 v2, 0, 1, s2
	global_store_b8 v3, v2, s[16:17]
	s_wait_xcnt 0x0
	s_or_b32 exec_lo, exec_lo, s1
	s_mov_b32 s1, exec_lo
	v_cmpx_gt_i32_e64 s15, v0
	s_cbranch_execz .LBB41_41
.LBB41_58:
	v_cmp_ne_u32_e32 vcc_lo, s22, v15
	v_add_nc_u32_e32 v3, s24, v0
	v_add_nc_u32_e32 v0, 0x100, v0
	s_xor_b32 s2, s0, vcc_lo
	s_delay_alu instid0(SALU_CYCLE_1) | instskip(SKIP_3) | instid1(SALU_CYCLE_1)
	v_cndmask_b32_e64 v2, 0, 1, s2
	global_store_b8 v3, v2, s[16:17]
	s_wait_xcnt 0x0
	s_or_b32 exec_lo, exec_lo, s1
	s_mov_b32 s1, exec_lo
	v_cmpx_gt_i32_e64 s15, v0
	s_cbranch_execz .LBB41_42
.LBB41_59:
	v_cmp_ne_u32_e32 vcc_lo, s22, v14
	v_add_nc_u32_e32 v3, s24, v0
	v_add_nc_u32_e32 v0, 0x100, v0
	s_xor_b32 s2, s0, vcc_lo
	s_delay_alu instid0(SALU_CYCLE_1) | instskip(SKIP_3) | instid1(SALU_CYCLE_1)
	v_cndmask_b32_e64 v2, 0, 1, s2
	global_store_b8 v3, v2, s[16:17]
	s_wait_xcnt 0x0
	s_or_b32 exec_lo, exec_lo, s1
	s_mov_b32 s1, exec_lo
	v_cmpx_gt_i32_e64 s15, v0
	s_cbranch_execz .LBB41_43
.LBB41_60:
	v_cmp_ne_u32_e32 vcc_lo, s22, v13
	v_add_nc_u32_e32 v3, s24, v0
	v_add_nc_u32_e32 v0, 0x100, v0
	s_xor_b32 s2, s0, vcc_lo
	s_delay_alu instid0(SALU_CYCLE_1) | instskip(SKIP_3) | instid1(SALU_CYCLE_1)
	v_cndmask_b32_e64 v2, 0, 1, s2
	global_store_b8 v3, v2, s[16:17]
	s_wait_xcnt 0x0
	s_or_b32 exec_lo, exec_lo, s1
	s_mov_b32 s1, exec_lo
	v_cmpx_gt_i32_e64 s15, v0
	s_cbranch_execz .LBB41_44
.LBB41_61:
	v_cmp_ne_u32_e32 vcc_lo, s22, v12
	v_add_nc_u32_e32 v3, s24, v0
	v_add_nc_u32_e32 v0, 0x100, v0
	s_xor_b32 s2, s0, vcc_lo
	s_delay_alu instid0(SALU_CYCLE_1) | instskip(SKIP_3) | instid1(SALU_CYCLE_1)
	v_cndmask_b32_e64 v2, 0, 1, s2
	global_store_b8 v3, v2, s[16:17]
	s_wait_xcnt 0x0
	s_or_b32 exec_lo, exec_lo, s1
	s_mov_b32 s1, exec_lo
	v_cmpx_gt_i32_e64 s15, v0
	s_cbranch_execz .LBB41_45
.LBB41_62:
	v_cmp_ne_u32_e32 vcc_lo, s22, v11
	v_add_nc_u32_e32 v3, s24, v0
	v_add_nc_u32_e32 v0, 0x100, v0
	s_xor_b32 s2, s0, vcc_lo
	s_delay_alu instid0(SALU_CYCLE_1) | instskip(SKIP_3) | instid1(SALU_CYCLE_1)
	v_cndmask_b32_e64 v2, 0, 1, s2
	global_store_b8 v3, v2, s[16:17]
	s_wait_xcnt 0x0
	s_or_b32 exec_lo, exec_lo, s1
	s_mov_b32 s1, exec_lo
	v_cmpx_gt_i32_e64 s15, v0
	s_cbranch_execz .LBB41_46
.LBB41_63:
	v_cmp_ne_u32_e32 vcc_lo, s22, v10
	v_add_nc_u32_e32 v3, s24, v0
	v_add_nc_u32_e32 v0, 0x100, v0
	s_xor_b32 s2, s0, vcc_lo
	s_delay_alu instid0(SALU_CYCLE_1) | instskip(SKIP_3) | instid1(SALU_CYCLE_1)
	v_cndmask_b32_e64 v2, 0, 1, s2
	global_store_b8 v3, v2, s[16:17]
	s_wait_xcnt 0x0
	s_or_b32 exec_lo, exec_lo, s1
	s_mov_b32 s1, exec_lo
	v_cmpx_gt_i32_e64 s15, v0
	s_cbranch_execz .LBB41_47
.LBB41_64:
	v_cmp_ne_u32_e32 vcc_lo, s22, v9
	v_add_nc_u32_e32 v3, s24, v0
	v_add_nc_u32_e32 v0, 0x100, v0
	s_xor_b32 s2, s0, vcc_lo
	s_delay_alu instid0(SALU_CYCLE_1) | instskip(SKIP_3) | instid1(SALU_CYCLE_1)
	v_cndmask_b32_e64 v2, 0, 1, s2
	global_store_b8 v3, v2, s[16:17]
	s_wait_xcnt 0x0
	s_or_b32 exec_lo, exec_lo, s1
	s_mov_b32 s1, exec_lo
	v_cmpx_gt_i32_e64 s15, v0
	s_cbranch_execz .LBB41_48
.LBB41_65:
	v_cmp_ne_u32_e32 vcc_lo, s22, v8
	v_add_nc_u32_e32 v3, s24, v0
	v_add_nc_u32_e32 v0, 0x100, v0
	s_xor_b32 s2, s0, vcc_lo
	s_delay_alu instid0(SALU_CYCLE_1) | instskip(SKIP_3) | instid1(SALU_CYCLE_1)
	v_cndmask_b32_e64 v2, 0, 1, s2
	global_store_b8 v3, v2, s[16:17]
	s_wait_xcnt 0x0
	s_or_b32 exec_lo, exec_lo, s1
	s_mov_b32 s1, exec_lo
	v_cmpx_gt_i32_e64 s15, v0
	s_cbranch_execz .LBB41_49
.LBB41_66:
	v_cmp_ne_u32_e32 vcc_lo, s22, v6
	v_add_nc_u32_e32 v3, s24, v0
	v_add_nc_u32_e32 v0, 0x100, v0
	s_xor_b32 s2, s0, vcc_lo
	s_delay_alu instid0(SALU_CYCLE_1) | instskip(SKIP_3) | instid1(SALU_CYCLE_1)
	v_cndmask_b32_e64 v2, 0, 1, s2
	global_store_b8 v3, v2, s[16:17]
	s_wait_xcnt 0x0
	s_or_b32 exec_lo, exec_lo, s1
	s_mov_b32 s1, exec_lo
	v_cmpx_gt_i32_e64 s15, v0
	s_cbranch_execz .LBB41_50
.LBB41_67:
	v_cmp_ne_u32_e32 vcc_lo, s22, v7
	v_add_nc_u32_e32 v3, s24, v0
	v_add_nc_u32_e32 v0, 0x100, v0
	s_xor_b32 s2, s0, vcc_lo
	s_delay_alu instid0(SALU_CYCLE_1) | instskip(SKIP_3) | instid1(SALU_CYCLE_1)
	v_cndmask_b32_e64 v2, 0, 1, s2
	global_store_b8 v3, v2, s[16:17]
	s_wait_xcnt 0x0
	s_or_b32 exec_lo, exec_lo, s1
	s_mov_b32 s1, exec_lo
	v_cmpx_gt_i32_e64 s15, v0
	s_cbranch_execnz .LBB41_51
	s_branch .LBB41_52
	.section	.rodata,"a",@progbits
	.p2align	6, 0x0
	.amdhsa_kernel _ZN2at6native29vectorized_elementwise_kernelILi8ENS0_13AUnaryFunctorIiibNS0_12_GLOBAL__N_116CompareEqFunctorIiEEEESt5arrayIPcLm2EEEEviT0_T1_
		.amdhsa_group_segment_fixed_size 0
		.amdhsa_private_segment_fixed_size 0
		.amdhsa_kernarg_size 32
		.amdhsa_user_sgpr_count 2
		.amdhsa_user_sgpr_dispatch_ptr 0
		.amdhsa_user_sgpr_queue_ptr 0
		.amdhsa_user_sgpr_kernarg_segment_ptr 1
		.amdhsa_user_sgpr_dispatch_id 0
		.amdhsa_user_sgpr_kernarg_preload_length 0
		.amdhsa_user_sgpr_kernarg_preload_offset 0
		.amdhsa_user_sgpr_private_segment_size 0
		.amdhsa_wavefront_size32 1
		.amdhsa_uses_dynamic_stack 0
		.amdhsa_enable_private_segment 0
		.amdhsa_system_sgpr_workgroup_id_x 1
		.amdhsa_system_sgpr_workgroup_id_y 0
		.amdhsa_system_sgpr_workgroup_id_z 0
		.amdhsa_system_sgpr_workgroup_info 0
		.amdhsa_system_vgpr_workitem_id 0
		.amdhsa_next_free_vgpr 21
		.amdhsa_next_free_sgpr 26
		.amdhsa_named_barrier_count 0
		.amdhsa_reserve_vcc 1
		.amdhsa_float_round_mode_32 0
		.amdhsa_float_round_mode_16_64 0
		.amdhsa_float_denorm_mode_32 3
		.amdhsa_float_denorm_mode_16_64 3
		.amdhsa_fp16_overflow 0
		.amdhsa_memory_ordered 1
		.amdhsa_forward_progress 1
		.amdhsa_inst_pref_size 28
		.amdhsa_round_robin_scheduling 0
		.amdhsa_exception_fp_ieee_invalid_op 0
		.amdhsa_exception_fp_denorm_src 0
		.amdhsa_exception_fp_ieee_div_zero 0
		.amdhsa_exception_fp_ieee_overflow 0
		.amdhsa_exception_fp_ieee_underflow 0
		.amdhsa_exception_fp_ieee_inexact 0
		.amdhsa_exception_int_div_zero 0
	.end_amdhsa_kernel
	.section	.text._ZN2at6native29vectorized_elementwise_kernelILi8ENS0_13AUnaryFunctorIiibNS0_12_GLOBAL__N_116CompareEqFunctorIiEEEESt5arrayIPcLm2EEEEviT0_T1_,"axG",@progbits,_ZN2at6native29vectorized_elementwise_kernelILi8ENS0_13AUnaryFunctorIiibNS0_12_GLOBAL__N_116CompareEqFunctorIiEEEESt5arrayIPcLm2EEEEviT0_T1_,comdat
.Lfunc_end41:
	.size	_ZN2at6native29vectorized_elementwise_kernelILi8ENS0_13AUnaryFunctorIiibNS0_12_GLOBAL__N_116CompareEqFunctorIiEEEESt5arrayIPcLm2EEEEviT0_T1_, .Lfunc_end41-_ZN2at6native29vectorized_elementwise_kernelILi8ENS0_13AUnaryFunctorIiibNS0_12_GLOBAL__N_116CompareEqFunctorIiEEEESt5arrayIPcLm2EEEEviT0_T1_
                                        ; -- End function
	.set _ZN2at6native29vectorized_elementwise_kernelILi8ENS0_13AUnaryFunctorIiibNS0_12_GLOBAL__N_116CompareEqFunctorIiEEEESt5arrayIPcLm2EEEEviT0_T1_.num_vgpr, 21
	.set _ZN2at6native29vectorized_elementwise_kernelILi8ENS0_13AUnaryFunctorIiibNS0_12_GLOBAL__N_116CompareEqFunctorIiEEEESt5arrayIPcLm2EEEEviT0_T1_.num_agpr, 0
	.set _ZN2at6native29vectorized_elementwise_kernelILi8ENS0_13AUnaryFunctorIiibNS0_12_GLOBAL__N_116CompareEqFunctorIiEEEESt5arrayIPcLm2EEEEviT0_T1_.numbered_sgpr, 26
	.set _ZN2at6native29vectorized_elementwise_kernelILi8ENS0_13AUnaryFunctorIiibNS0_12_GLOBAL__N_116CompareEqFunctorIiEEEESt5arrayIPcLm2EEEEviT0_T1_.num_named_barrier, 0
	.set _ZN2at6native29vectorized_elementwise_kernelILi8ENS0_13AUnaryFunctorIiibNS0_12_GLOBAL__N_116CompareEqFunctorIiEEEESt5arrayIPcLm2EEEEviT0_T1_.private_seg_size, 0
	.set _ZN2at6native29vectorized_elementwise_kernelILi8ENS0_13AUnaryFunctorIiibNS0_12_GLOBAL__N_116CompareEqFunctorIiEEEESt5arrayIPcLm2EEEEviT0_T1_.uses_vcc, 1
	.set _ZN2at6native29vectorized_elementwise_kernelILi8ENS0_13AUnaryFunctorIiibNS0_12_GLOBAL__N_116CompareEqFunctorIiEEEESt5arrayIPcLm2EEEEviT0_T1_.uses_flat_scratch, 0
	.set _ZN2at6native29vectorized_elementwise_kernelILi8ENS0_13AUnaryFunctorIiibNS0_12_GLOBAL__N_116CompareEqFunctorIiEEEESt5arrayIPcLm2EEEEviT0_T1_.has_dyn_sized_stack, 0
	.set _ZN2at6native29vectorized_elementwise_kernelILi8ENS0_13AUnaryFunctorIiibNS0_12_GLOBAL__N_116CompareEqFunctorIiEEEESt5arrayIPcLm2EEEEviT0_T1_.has_recursion, 0
	.set _ZN2at6native29vectorized_elementwise_kernelILi8ENS0_13AUnaryFunctorIiibNS0_12_GLOBAL__N_116CompareEqFunctorIiEEEESt5arrayIPcLm2EEEEviT0_T1_.has_indirect_call, 0
	.section	.AMDGPU.csdata,"",@progbits
; Kernel info:
; codeLenInByte = 3572
; TotalNumSgprs: 28
; NumVgprs: 21
; ScratchSize: 0
; MemoryBound: 0
; FloatMode: 240
; IeeeMode: 1
; LDSByteSize: 0 bytes/workgroup (compile time only)
; SGPRBlocks: 0
; VGPRBlocks: 1
; NumSGPRsForWavesPerEU: 28
; NumVGPRsForWavesPerEU: 21
; NamedBarCnt: 0
; Occupancy: 16
; WaveLimiterHint : 1
; COMPUTE_PGM_RSRC2:SCRATCH_EN: 0
; COMPUTE_PGM_RSRC2:USER_SGPR: 2
; COMPUTE_PGM_RSRC2:TRAP_HANDLER: 0
; COMPUTE_PGM_RSRC2:TGID_X_EN: 1
; COMPUTE_PGM_RSRC2:TGID_Y_EN: 0
; COMPUTE_PGM_RSRC2:TGID_Z_EN: 0
; COMPUTE_PGM_RSRC2:TIDIG_COMP_CNT: 0
	.section	.text._ZN2at6native29vectorized_elementwise_kernelILi4ENS0_13AUnaryFunctorIiibNS0_12_GLOBAL__N_116CompareEqFunctorIiEEEESt5arrayIPcLm2EEEEviT0_T1_,"axG",@progbits,_ZN2at6native29vectorized_elementwise_kernelILi4ENS0_13AUnaryFunctorIiibNS0_12_GLOBAL__N_116CompareEqFunctorIiEEEESt5arrayIPcLm2EEEEviT0_T1_,comdat
	.globl	_ZN2at6native29vectorized_elementwise_kernelILi4ENS0_13AUnaryFunctorIiibNS0_12_GLOBAL__N_116CompareEqFunctorIiEEEESt5arrayIPcLm2EEEEviT0_T1_ ; -- Begin function _ZN2at6native29vectorized_elementwise_kernelILi4ENS0_13AUnaryFunctorIiibNS0_12_GLOBAL__N_116CompareEqFunctorIiEEEESt5arrayIPcLm2EEEEviT0_T1_
	.p2align	8
	.type	_ZN2at6native29vectorized_elementwise_kernelILi4ENS0_13AUnaryFunctorIiibNS0_12_GLOBAL__N_116CompareEqFunctorIiEEEESt5arrayIPcLm2EEEEviT0_T1_,@function
_ZN2at6native29vectorized_elementwise_kernelILi4ENS0_13AUnaryFunctorIiibNS0_12_GLOBAL__N_116CompareEqFunctorIiEEEESt5arrayIPcLm2EEEEviT0_T1_: ; @_ZN2at6native29vectorized_elementwise_kernelILi4ENS0_13AUnaryFunctorIiibNS0_12_GLOBAL__N_116CompareEqFunctorIiEEEESt5arrayIPcLm2EEEEviT0_T1_
; %bb.0:
	s_clause 0x1
	s_load_b96 s[20:22], s[0:1], 0x0
	s_load_b128 s[16:19], s[0:1], 0x10
	s_wait_xcnt 0x0
	s_bfe_u32 s0, ttmp6, 0x4000c
	s_and_b32 s1, ttmp6, 15
	s_add_co_i32 s0, s0, 1
	s_getreg_b32 s2, hwreg(HW_REG_IB_STS2, 6, 4)
	s_mul_i32 s0, ttmp9, s0
	s_delay_alu instid0(SALU_CYCLE_1) | instskip(SKIP_2) | instid1(SALU_CYCLE_1)
	s_add_co_i32 s1, s1, s0
	s_cmp_eq_u32 s2, 0
	s_cselect_b32 s0, ttmp9, s1
	s_lshl_b32 s24, s0, 12
	s_mov_b32 s0, -1
	s_wait_kmcnt 0x0
	s_sub_co_i32 s15, s20, s24
	s_delay_alu instid0(SALU_CYCLE_1)
	s_cmp_gt_i32 s15, 0xfff
	s_cbranch_scc0 .LBB42_2
; %bb.1:
	s_ashr_i32 s25, s24, 31
	s_delay_alu instid0(SALU_CYCLE_1)
	s_lshl_b64 s[0:1], s[24:25], 2
	s_cmp_eq_u32 s21, 0
	s_add_nc_u64 s[0:1], s[18:19], s[0:1]
	s_cselect_b32 s20, -1, 0
	s_clause 0x3
	global_load_b128 v[2:5], v0, s[0:1] scale_offset
	global_load_b128 v[6:9], v0, s[0:1] offset:4096 scale_offset
	global_load_b128 v[10:13], v0, s[0:1] offset:8192 scale_offset
	;; [unrolled: 1-line block ×3, first 2 shown]
	s_wait_loadcnt 0x3
	s_wait_xcnt 0x0
	v_cmp_ne_u32_e64 s0, s22, v3
	v_cmp_ne_u32_e64 s1, s22, v4
	;; [unrolled: 1-line block ×3, first 2 shown]
	s_wait_loadcnt 0x2
	v_cmp_ne_u32_e64 s3, s22, v6
	v_cmp_ne_u32_e32 vcc_lo, s22, v2
	s_xor_b32 s0, s20, s0
	v_cmp_ne_u32_e64 s4, s22, v7
	v_cndmask_b32_e64 v2, 0, 0x100, s0
	s_xor_b32 s0, s20, s1
	v_cmp_ne_u32_e64 s5, s22, v8
	v_cndmask_b32_e64 v3, 0, 0x10000, s0
	;; [unrolled: 3-line block ×3, first 2 shown]
	s_xor_b32 s0, s20, s3
	s_wait_loadcnt 0x1
	v_cmp_ne_u32_e64 s7, s22, v10
	v_cndmask_b32_e64 v5, 0, 1, s0
	s_xor_b32 s0, s20, s4
	v_cmp_ne_u32_e64 s8, s22, v11
	v_cndmask_b32_e64 v6, 0, 0x100, s0
	s_xor_b32 s0, s20, s5
	;; [unrolled: 3-line block ×4, first 2 shown]
	s_wait_loadcnt 0x0
	v_cmp_ne_u32_e64 s11, s22, v14
	v_cndmask_b32_e64 v9, 0, 1, s0
	s_xor_b32 s0, s20, s8
	v_cmp_ne_u32_e64 s12, s22, v15
	v_cndmask_b32_e64 v10, 0, 0x100, s0
	s_xor_b32 s0, s20, s9
	s_xor_b32 s23, s20, vcc_lo
	v_cndmask_b32_e64 v11, 0, 0x10000, s0
	s_xor_b32 s0, s20, s10
	v_cmp_ne_u32_e64 s13, s22, v16
	v_cndmask_b32_e64 v12, 0, 0x1000000, s0
	s_xor_b32 s0, s20, s11
	v_cndmask_b32_e64 v1, 0, 1, s23
	v_cmp_ne_u32_e64 s14, s22, v17
	v_cndmask_b32_e64 v13, 0, 1, s0
	s_xor_b32 s0, s20, s12
	s_add_nc_u64 s[2:3], s[16:17], s[24:25]
	v_cndmask_b32_e64 v14, 0, 0x100, s0
	s_xor_b32 s0, s20, s13
	v_or_b32_e32 v1, v2, v1
	v_cndmask_b32_e64 v15, 0, 0x10000, s0
	s_xor_b32 s0, s20, s14
	v_or_b32_e32 v2, v6, v5
	v_or_b32_e32 v5, v10, v9
	v_cndmask_b32_e64 v16, 0, 0x1000000, s0
	v_or_b32_e32 v6, v14, v13
	v_or3_b32 v1, v1, v3, v4
	v_or3_b32 v2, v2, v7, v8
	;; [unrolled: 1-line block ×3, first 2 shown]
	s_mov_b32 s0, 0
	v_or3_b32 v4, v6, v15, v16
	s_clause 0x3
	global_store_b32 v0, v1, s[2:3] scale_offset
	global_store_b32 v0, v2, s[2:3] offset:1024 scale_offset
	global_store_b32 v0, v3, s[2:3] offset:2048 scale_offset
	;; [unrolled: 1-line block ×3, first 2 shown]
.LBB42_2:
	s_and_not1_b32 vcc_lo, exec_lo, s0
	s_cbranch_vccnz .LBB42_52
; %bb.3:
	v_cmp_gt_i32_e32 vcc_lo, s15, v0
	v_or_b32_e32 v17, 0x100, v0
	s_wait_xcnt 0x3
	v_dual_mov_b32 v1, 0 :: v_dual_bitop2_b32 v18, s24, v0 bitop3:0x54
	v_dual_mov_b32 v7, 0 :: v_dual_mov_b32 v6, 0
	v_dual_mov_b32 v8, 0 :: v_dual_mov_b32 v9, 0
	;; [unrolled: 1-line block ×5, first 2 shown]
	s_wait_xcnt 0x0
	v_dual_mov_b32 v16, 0 :: v_dual_mov_b32 v4, 0
	v_dual_mov_b32 v3, 0 :: v_dual_mov_b32 v19, 0
	v_mov_b32_e32 v20, 0
	s_and_saveexec_b32 s1, vcc_lo
	s_cbranch_execz .LBB42_35
; %bb.4:
	global_load_b32 v20, v18, s[18:19] scale_offset
	v_dual_mov_b32 v19, 0 :: v_dual_mov_b32 v3, 0
	v_dual_mov_b32 v4, 0 :: v_dual_mov_b32 v16, 0
	v_dual_mov_b32 v15, 0 :: v_dual_mov_b32 v14, 0
	v_dual_mov_b32 v13, 0 :: v_dual_mov_b32 v12, 0
	v_dual_mov_b32 v11, 0 :: v_dual_mov_b32 v10, 0
	v_dual_mov_b32 v9, 0 :: v_dual_mov_b32 v8, 0
	v_dual_mov_b32 v6, 0 :: v_dual_mov_b32 v7, 0
	v_mov_b32_e32 v1, 0
	s_mov_b32 s2, exec_lo
	s_wait_xcnt 0x0
	v_cmpx_gt_u32_e64 s15, v17
	s_cbranch_execz .LBB42_34
; %bb.5:
	v_dual_mov_b32 v3, 0 :: v_dual_add_nc_u32 v2, s24, v0
	v_or_b32_e32 v1, 0x200, v0
	v_dual_mov_b32 v4, 0 :: v_dual_mov_b32 v16, 0
	global_load_b32 v19, v2, s[18:19] offset:1024 scale_offset
	v_dual_mov_b32 v15, 0 :: v_dual_mov_b32 v14, 0
	v_cmp_gt_u32_e64 s0, s15, v1
	v_dual_mov_b32 v13, 0 :: v_dual_mov_b32 v12, 0
	v_dual_mov_b32 v11, 0 :: v_dual_mov_b32 v10, 0
	;; [unrolled: 1-line block ×4, first 2 shown]
	v_mov_b32_e32 v1, 0
	s_wait_xcnt 0x0
	s_and_saveexec_b32 s3, s0
	s_cbranch_execz .LBB42_33
; %bb.6:
	v_lshl_add_u64 v[4:5], v[2:3], 2, s[18:19]
	v_or_b32_e32 v1, 0x300, v0
	v_dual_mov_b32 v16, 0 :: v_dual_mov_b32 v15, 0
	v_dual_mov_b32 v14, 0 :: v_dual_mov_b32 v13, 0
	global_load_b32 v2, v[4:5], off offset:2048
	v_cmp_gt_u32_e64 s0, s15, v1
	v_dual_mov_b32 v12, 0 :: v_dual_mov_b32 v11, 0
	v_dual_mov_b32 v10, 0 :: v_dual_mov_b32 v9, 0
	;; [unrolled: 1-line block ×4, first 2 shown]
	s_wait_xcnt 0x0
	s_and_saveexec_b32 s4, s0
	s_cbranch_execz .LBB42_32
; %bb.7:
	global_load_b32 v3, v[4:5], off offset:3072
	v_or_b32_e32 v1, 0x400, v0
	v_dual_mov_b32 v16, 0 :: v_dual_mov_b32 v15, 0
	v_dual_mov_b32 v14, 0 :: v_dual_mov_b32 v13, 0
	s_delay_alu instid0(VALU_DEP_3)
	v_cmp_gt_u32_e64 s0, s15, v1
	v_dual_mov_b32 v12, 0 :: v_dual_mov_b32 v11, 0
	v_dual_mov_b32 v10, 0 :: v_dual_mov_b32 v9, 0
	;; [unrolled: 1-line block ×4, first 2 shown]
	s_wait_xcnt 0x0
	s_and_saveexec_b32 s5, s0
	s_cbranch_execz .LBB42_31
; %bb.8:
	global_load_b32 v16, v[4:5], off offset:4096
	v_or_b32_e32 v1, 0x500, v0
	v_dual_mov_b32 v15, 0 :: v_dual_mov_b32 v14, 0
	v_dual_mov_b32 v13, 0 :: v_dual_mov_b32 v12, 0
	s_delay_alu instid0(VALU_DEP_3)
	v_cmp_gt_u32_e64 s0, s15, v1
	v_dual_mov_b32 v11, 0 :: v_dual_mov_b32 v10, 0
	v_dual_mov_b32 v9, 0 :: v_dual_mov_b32 v8, 0
	;; [unrolled: 1-line block ×3, first 2 shown]
	v_mov_b32_e32 v1, 0
	s_wait_xcnt 0x0
	s_and_saveexec_b32 s6, s0
	s_cbranch_execz .LBB42_30
; %bb.9:
	global_load_b32 v15, v[4:5], off offset:5120
	v_or_b32_e32 v1, 0x600, v0
	v_dual_mov_b32 v14, 0 :: v_dual_mov_b32 v13, 0
	v_dual_mov_b32 v12, 0 :: v_dual_mov_b32 v11, 0
	s_delay_alu instid0(VALU_DEP_3)
	v_cmp_gt_u32_e64 s0, s15, v1
	v_dual_mov_b32 v10, 0 :: v_dual_mov_b32 v9, 0
	v_dual_mov_b32 v8, 0 :: v_dual_mov_b32 v6, 0
	;; [unrolled: 1-line block ×3, first 2 shown]
	s_wait_xcnt 0x0
	s_and_saveexec_b32 s7, s0
	s_cbranch_execz .LBB42_29
; %bb.10:
	global_load_b32 v14, v[4:5], off offset:6144
	v_or_b32_e32 v1, 0x700, v0
	v_dual_mov_b32 v13, 0 :: v_dual_mov_b32 v12, 0
	v_dual_mov_b32 v11, 0 :: v_dual_mov_b32 v10, 0
	s_delay_alu instid0(VALU_DEP_3)
	v_cmp_gt_u32_e64 s0, s15, v1
	v_dual_mov_b32 v9, 0 :: v_dual_mov_b32 v8, 0
	v_dual_mov_b32 v6, 0 :: v_dual_mov_b32 v7, 0
	v_mov_b32_e32 v1, 0
	s_wait_xcnt 0x0
	s_and_saveexec_b32 s8, s0
	s_cbranch_execz .LBB42_28
; %bb.11:
	global_load_b32 v13, v[4:5], off offset:7168
	v_or_b32_e32 v1, 0x800, v0
	v_dual_mov_b32 v12, 0 :: v_dual_mov_b32 v11, 0
	v_dual_mov_b32 v10, 0 :: v_dual_mov_b32 v9, 0
	s_delay_alu instid0(VALU_DEP_3)
	v_cmp_gt_u32_e64 s0, s15, v1
	v_dual_mov_b32 v8, 0 :: v_dual_mov_b32 v6, 0
	v_dual_mov_b32 v7, 0 :: v_dual_mov_b32 v1, 0
	s_wait_xcnt 0x0
	s_and_saveexec_b32 s9, s0
	s_cbranch_execz .LBB42_27
; %bb.12:
	global_load_b32 v12, v[4:5], off offset:8192
	v_or_b32_e32 v1, 0x900, v0
	v_dual_mov_b32 v11, 0 :: v_dual_mov_b32 v10, 0
	v_dual_mov_b32 v9, 0 :: v_dual_mov_b32 v8, 0
	s_delay_alu instid0(VALU_DEP_3)
	v_cmp_gt_u32_e64 s0, s15, v1
	v_dual_mov_b32 v6, 0 :: v_dual_mov_b32 v7, 0
	v_mov_b32_e32 v1, 0
	s_wait_xcnt 0x0
	s_and_saveexec_b32 s10, s0
	s_cbranch_execz .LBB42_26
; %bb.13:
	global_load_b32 v11, v[4:5], off offset:9216
	v_or_b32_e32 v1, 0xa00, v0
	v_dual_mov_b32 v10, 0 :: v_dual_mov_b32 v9, 0
	v_dual_mov_b32 v8, 0 :: v_dual_mov_b32 v6, 0
	s_delay_alu instid0(VALU_DEP_3)
	v_cmp_gt_u32_e64 s0, s15, v1
	v_dual_mov_b32 v7, 0 :: v_dual_mov_b32 v1, 0
	s_wait_xcnt 0x0
	s_and_saveexec_b32 s11, s0
	s_cbranch_execz .LBB42_25
; %bb.14:
	global_load_b32 v10, v[4:5], off offset:10240
	v_or_b32_e32 v1, 0xb00, v0
	v_dual_mov_b32 v9, 0 :: v_dual_mov_b32 v8, 0
	v_dual_mov_b32 v6, 0 :: v_dual_mov_b32 v7, 0
	s_delay_alu instid0(VALU_DEP_3)
	v_cmp_gt_u32_e64 s0, s15, v1
	v_mov_b32_e32 v1, 0
	s_wait_xcnt 0x0
	s_and_saveexec_b32 s12, s0
	s_cbranch_execz .LBB42_24
; %bb.15:
	global_load_b32 v9, v[4:5], off offset:11264
	v_or_b32_e32 v1, 0xc00, v0
	v_dual_mov_b32 v8, 0 :: v_dual_mov_b32 v6, 0
	v_mov_b32_e32 v7, 0
	s_delay_alu instid0(VALU_DEP_3)
	v_cmp_gt_u32_e64 s0, s15, v1
	v_mov_b32_e32 v1, 0
	s_wait_xcnt 0x0
	s_and_saveexec_b32 s13, s0
	s_cbranch_execz .LBB42_23
; %bb.16:
	global_load_b32 v8, v[4:5], off offset:12288
	v_or_b32_e32 v1, 0xd00, v0
	v_dual_mov_b32 v6, 0 :: v_dual_mov_b32 v7, 0
	s_delay_alu instid0(VALU_DEP_2)
	v_cmp_gt_u32_e64 s0, s15, v1
	v_mov_b32_e32 v1, 0
	s_wait_xcnt 0x0
	s_and_saveexec_b32 s14, s0
	s_cbranch_execz .LBB42_22
; %bb.17:
	global_load_b32 v6, v[4:5], off offset:13312
	v_or_b32_e32 v1, 0xe00, v0
	v_mov_b32_e32 v7, 0
	s_delay_alu instid0(VALU_DEP_2)
	v_cmp_gt_u32_e64 s0, s15, v1
	v_mov_b32_e32 v1, 0
	s_wait_xcnt 0x0
	s_and_saveexec_b32 s18, s0
	s_cbranch_execz .LBB42_21
; %bb.18:
	global_load_b32 v7, v[4:5], off offset:14336
	v_or_b32_e32 v1, 0xf00, v0
	s_delay_alu instid0(VALU_DEP_1)
	v_cmp_gt_u32_e64 s0, s15, v1
	v_mov_b32_e32 v1, 0
	s_wait_xcnt 0x0
	s_and_saveexec_b32 s19, s0
	s_cbranch_execz .LBB42_20
; %bb.19:
	global_load_b32 v1, v[4:5], off offset:15360
.LBB42_20:
	s_wait_xcnt 0x0
	s_or_b32 exec_lo, exec_lo, s19
.LBB42_21:
	s_delay_alu instid0(SALU_CYCLE_1)
	s_or_b32 exec_lo, exec_lo, s18
.LBB42_22:
	s_delay_alu instid0(SALU_CYCLE_1)
	s_or_b32 exec_lo, exec_lo, s14
.LBB42_23:
	s_delay_alu instid0(SALU_CYCLE_1)
	s_or_b32 exec_lo, exec_lo, s13
.LBB42_24:
	s_delay_alu instid0(SALU_CYCLE_1)
	s_or_b32 exec_lo, exec_lo, s12
.LBB42_25:
	s_delay_alu instid0(SALU_CYCLE_1)
	s_or_b32 exec_lo, exec_lo, s11
.LBB42_26:
	s_delay_alu instid0(SALU_CYCLE_1)
	s_or_b32 exec_lo, exec_lo, s10
.LBB42_27:
	s_delay_alu instid0(SALU_CYCLE_1)
	s_or_b32 exec_lo, exec_lo, s9
.LBB42_28:
	s_delay_alu instid0(SALU_CYCLE_1)
	s_or_b32 exec_lo, exec_lo, s8
.LBB42_29:
	s_delay_alu instid0(SALU_CYCLE_1)
	s_or_b32 exec_lo, exec_lo, s7
.LBB42_30:
	s_delay_alu instid0(SALU_CYCLE_1)
	s_or_b32 exec_lo, exec_lo, s6
.LBB42_31:
	s_delay_alu instid0(SALU_CYCLE_1)
	s_or_b32 exec_lo, exec_lo, s5
.LBB42_32:
	s_delay_alu instid0(SALU_CYCLE_1)
	s_or_b32 exec_lo, exec_lo, s4
	s_wait_loadcnt 0x0
	v_dual_mov_b32 v4, v3 :: v_dual_mov_b32 v3, v2
.LBB42_33:
	s_or_b32 exec_lo, exec_lo, s3
.LBB42_34:
	s_delay_alu instid0(SALU_CYCLE_1)
	s_or_b32 exec_lo, exec_lo, s2
.LBB42_35:
	s_delay_alu instid0(SALU_CYCLE_1)
	s_or_b32 exec_lo, exec_lo, s1
	s_cmp_eq_u32 s21, 0
	s_cselect_b32 s0, -1, 0
	s_and_saveexec_b32 s1, vcc_lo
	s_cbranch_execnz .LBB42_53
; %bb.36:
	s_or_b32 exec_lo, exec_lo, s1
	s_delay_alu instid0(SALU_CYCLE_1)
	s_mov_b32 s1, exec_lo
	v_cmpx_gt_i32_e64 s15, v0
	s_cbranch_execnz .LBB42_54
.LBB42_37:
	s_or_b32 exec_lo, exec_lo, s1
	s_delay_alu instid0(SALU_CYCLE_1)
	s_mov_b32 s1, exec_lo
	v_cmpx_gt_i32_e64 s15, v0
	s_cbranch_execnz .LBB42_55
.LBB42_38:
	s_or_b32 exec_lo, exec_lo, s1
	s_delay_alu instid0(SALU_CYCLE_1)
	s_mov_b32 s1, exec_lo
	v_cmpx_gt_i32_e64 s15, v0
	s_cbranch_execnz .LBB42_56
.LBB42_39:
	s_or_b32 exec_lo, exec_lo, s1
	s_delay_alu instid0(SALU_CYCLE_1)
	s_mov_b32 s1, exec_lo
	v_cmpx_gt_i32_e64 s15, v0
	s_cbranch_execnz .LBB42_57
.LBB42_40:
	s_or_b32 exec_lo, exec_lo, s1
	s_delay_alu instid0(SALU_CYCLE_1)
	s_mov_b32 s1, exec_lo
	v_cmpx_gt_i32_e64 s15, v0
	s_cbranch_execnz .LBB42_58
.LBB42_41:
	s_or_b32 exec_lo, exec_lo, s1
	s_delay_alu instid0(SALU_CYCLE_1)
	s_mov_b32 s1, exec_lo
	v_cmpx_gt_i32_e64 s15, v0
	s_cbranch_execnz .LBB42_59
.LBB42_42:
	s_or_b32 exec_lo, exec_lo, s1
	s_delay_alu instid0(SALU_CYCLE_1)
	s_mov_b32 s1, exec_lo
	v_cmpx_gt_i32_e64 s15, v0
	s_cbranch_execnz .LBB42_60
.LBB42_43:
	s_or_b32 exec_lo, exec_lo, s1
	s_delay_alu instid0(SALU_CYCLE_1)
	s_mov_b32 s1, exec_lo
	v_cmpx_gt_i32_e64 s15, v0
	s_cbranch_execnz .LBB42_61
.LBB42_44:
	s_or_b32 exec_lo, exec_lo, s1
	s_delay_alu instid0(SALU_CYCLE_1)
	s_mov_b32 s1, exec_lo
	v_cmpx_gt_i32_e64 s15, v0
	s_cbranch_execnz .LBB42_62
.LBB42_45:
	s_or_b32 exec_lo, exec_lo, s1
	s_delay_alu instid0(SALU_CYCLE_1)
	s_mov_b32 s1, exec_lo
	v_cmpx_gt_i32_e64 s15, v0
	s_cbranch_execnz .LBB42_63
.LBB42_46:
	s_or_b32 exec_lo, exec_lo, s1
	s_delay_alu instid0(SALU_CYCLE_1)
	s_mov_b32 s1, exec_lo
	v_cmpx_gt_i32_e64 s15, v0
	s_cbranch_execnz .LBB42_64
.LBB42_47:
	s_or_b32 exec_lo, exec_lo, s1
	s_delay_alu instid0(SALU_CYCLE_1)
	s_mov_b32 s1, exec_lo
	v_cmpx_gt_i32_e64 s15, v0
	s_cbranch_execnz .LBB42_65
.LBB42_48:
	s_or_b32 exec_lo, exec_lo, s1
	s_delay_alu instid0(SALU_CYCLE_1)
	s_mov_b32 s1, exec_lo
	v_cmpx_gt_i32_e64 s15, v0
	s_cbranch_execnz .LBB42_66
.LBB42_49:
	s_or_b32 exec_lo, exec_lo, s1
	s_delay_alu instid0(SALU_CYCLE_1)
	s_mov_b32 s1, exec_lo
	v_cmpx_gt_i32_e64 s15, v0
	s_cbranch_execnz .LBB42_67
.LBB42_50:
	s_or_b32 exec_lo, exec_lo, s1
	s_delay_alu instid0(SALU_CYCLE_1)
	s_mov_b32 s1, exec_lo
	v_cmpx_gt_i32_e64 s15, v0
	s_cbranch_execz .LBB42_52
.LBB42_51:
	v_cmp_ne_u32_e32 vcc_lo, s22, v1
	v_add_nc_u32_e32 v0, s24, v0
	s_xor_b32 s0, s0, vcc_lo
	s_delay_alu instid0(SALU_CYCLE_1)
	v_cndmask_b32_e64 v1, 0, 1, s0
	global_store_b8 v0, v1, s[16:17]
.LBB42_52:
	s_endpgm
.LBB42_53:
	s_wait_loadcnt 0x0
	v_cmp_ne_u32_e32 vcc_lo, s22, v20
	v_mov_b32_e32 v0, v17
	s_xor_b32 s2, s0, vcc_lo
	s_delay_alu instid0(SALU_CYCLE_1) | instskip(SKIP_3) | instid1(SALU_CYCLE_1)
	v_cndmask_b32_e64 v2, 0, 1, s2
	global_store_b8 v18, v2, s[16:17]
	s_wait_xcnt 0x0
	s_or_b32 exec_lo, exec_lo, s1
	s_mov_b32 s1, exec_lo
	v_cmpx_gt_i32_e64 s15, v0
	s_cbranch_execz .LBB42_37
.LBB42_54:
	s_wait_loadcnt 0x0
	v_cmp_ne_u32_e32 vcc_lo, s22, v19
	v_add_nc_u32_e32 v5, s24, v0
	v_add_nc_u32_e32 v0, 0x100, v0
	s_xor_b32 s2, s0, vcc_lo
	s_delay_alu instid0(SALU_CYCLE_1) | instskip(SKIP_3) | instid1(SALU_CYCLE_1)
	v_cndmask_b32_e64 v2, 0, 1, s2
	global_store_b8 v5, v2, s[16:17]
	s_wait_xcnt 0x0
	s_or_b32 exec_lo, exec_lo, s1
	s_mov_b32 s1, exec_lo
	v_cmpx_gt_i32_e64 s15, v0
	s_cbranch_execz .LBB42_38
.LBB42_55:
	v_cmp_ne_u32_e32 vcc_lo, s22, v3
	v_add_nc_u32_e32 v3, s24, v0
	v_add_nc_u32_e32 v0, 0x100, v0
	s_xor_b32 s2, s0, vcc_lo
	s_delay_alu instid0(SALU_CYCLE_1) | instskip(SKIP_3) | instid1(SALU_CYCLE_1)
	v_cndmask_b32_e64 v2, 0, 1, s2
	global_store_b8 v3, v2, s[16:17]
	s_wait_xcnt 0x0
	s_or_b32 exec_lo, exec_lo, s1
	s_mov_b32 s1, exec_lo
	v_cmpx_gt_i32_e64 s15, v0
	s_cbranch_execz .LBB42_39
.LBB42_56:
	v_cmp_ne_u32_e32 vcc_lo, s22, v4
	v_add_nc_u32_e32 v3, s24, v0
	v_add_nc_u32_e32 v0, 0x100, v0
	s_xor_b32 s2, s0, vcc_lo
	s_delay_alu instid0(SALU_CYCLE_1) | instskip(SKIP_3) | instid1(SALU_CYCLE_1)
	v_cndmask_b32_e64 v2, 0, 1, s2
	global_store_b8 v3, v2, s[16:17]
	s_wait_xcnt 0x0
	s_or_b32 exec_lo, exec_lo, s1
	s_mov_b32 s1, exec_lo
	v_cmpx_gt_i32_e64 s15, v0
	s_cbranch_execz .LBB42_40
.LBB42_57:
	v_cmp_ne_u32_e32 vcc_lo, s22, v16
	v_add_nc_u32_e32 v3, s24, v0
	v_add_nc_u32_e32 v0, 0x100, v0
	s_xor_b32 s2, s0, vcc_lo
	s_delay_alu instid0(SALU_CYCLE_1) | instskip(SKIP_3) | instid1(SALU_CYCLE_1)
	v_cndmask_b32_e64 v2, 0, 1, s2
	global_store_b8 v3, v2, s[16:17]
	s_wait_xcnt 0x0
	s_or_b32 exec_lo, exec_lo, s1
	s_mov_b32 s1, exec_lo
	v_cmpx_gt_i32_e64 s15, v0
	s_cbranch_execz .LBB42_41
.LBB42_58:
	v_cmp_ne_u32_e32 vcc_lo, s22, v15
	v_add_nc_u32_e32 v3, s24, v0
	v_add_nc_u32_e32 v0, 0x100, v0
	s_xor_b32 s2, s0, vcc_lo
	s_delay_alu instid0(SALU_CYCLE_1) | instskip(SKIP_3) | instid1(SALU_CYCLE_1)
	v_cndmask_b32_e64 v2, 0, 1, s2
	global_store_b8 v3, v2, s[16:17]
	s_wait_xcnt 0x0
	s_or_b32 exec_lo, exec_lo, s1
	s_mov_b32 s1, exec_lo
	v_cmpx_gt_i32_e64 s15, v0
	s_cbranch_execz .LBB42_42
.LBB42_59:
	v_cmp_ne_u32_e32 vcc_lo, s22, v14
	v_add_nc_u32_e32 v3, s24, v0
	v_add_nc_u32_e32 v0, 0x100, v0
	s_xor_b32 s2, s0, vcc_lo
	s_delay_alu instid0(SALU_CYCLE_1) | instskip(SKIP_3) | instid1(SALU_CYCLE_1)
	v_cndmask_b32_e64 v2, 0, 1, s2
	global_store_b8 v3, v2, s[16:17]
	s_wait_xcnt 0x0
	s_or_b32 exec_lo, exec_lo, s1
	s_mov_b32 s1, exec_lo
	v_cmpx_gt_i32_e64 s15, v0
	s_cbranch_execz .LBB42_43
.LBB42_60:
	v_cmp_ne_u32_e32 vcc_lo, s22, v13
	v_add_nc_u32_e32 v3, s24, v0
	v_add_nc_u32_e32 v0, 0x100, v0
	s_xor_b32 s2, s0, vcc_lo
	s_delay_alu instid0(SALU_CYCLE_1) | instskip(SKIP_3) | instid1(SALU_CYCLE_1)
	v_cndmask_b32_e64 v2, 0, 1, s2
	global_store_b8 v3, v2, s[16:17]
	s_wait_xcnt 0x0
	s_or_b32 exec_lo, exec_lo, s1
	s_mov_b32 s1, exec_lo
	v_cmpx_gt_i32_e64 s15, v0
	s_cbranch_execz .LBB42_44
.LBB42_61:
	v_cmp_ne_u32_e32 vcc_lo, s22, v12
	v_add_nc_u32_e32 v3, s24, v0
	v_add_nc_u32_e32 v0, 0x100, v0
	s_xor_b32 s2, s0, vcc_lo
	s_delay_alu instid0(SALU_CYCLE_1) | instskip(SKIP_3) | instid1(SALU_CYCLE_1)
	v_cndmask_b32_e64 v2, 0, 1, s2
	global_store_b8 v3, v2, s[16:17]
	s_wait_xcnt 0x0
	s_or_b32 exec_lo, exec_lo, s1
	s_mov_b32 s1, exec_lo
	v_cmpx_gt_i32_e64 s15, v0
	s_cbranch_execz .LBB42_45
.LBB42_62:
	v_cmp_ne_u32_e32 vcc_lo, s22, v11
	v_add_nc_u32_e32 v3, s24, v0
	v_add_nc_u32_e32 v0, 0x100, v0
	s_xor_b32 s2, s0, vcc_lo
	s_delay_alu instid0(SALU_CYCLE_1) | instskip(SKIP_3) | instid1(SALU_CYCLE_1)
	v_cndmask_b32_e64 v2, 0, 1, s2
	global_store_b8 v3, v2, s[16:17]
	s_wait_xcnt 0x0
	s_or_b32 exec_lo, exec_lo, s1
	s_mov_b32 s1, exec_lo
	v_cmpx_gt_i32_e64 s15, v0
	s_cbranch_execz .LBB42_46
.LBB42_63:
	v_cmp_ne_u32_e32 vcc_lo, s22, v10
	v_add_nc_u32_e32 v3, s24, v0
	v_add_nc_u32_e32 v0, 0x100, v0
	s_xor_b32 s2, s0, vcc_lo
	s_delay_alu instid0(SALU_CYCLE_1) | instskip(SKIP_3) | instid1(SALU_CYCLE_1)
	v_cndmask_b32_e64 v2, 0, 1, s2
	global_store_b8 v3, v2, s[16:17]
	s_wait_xcnt 0x0
	s_or_b32 exec_lo, exec_lo, s1
	s_mov_b32 s1, exec_lo
	v_cmpx_gt_i32_e64 s15, v0
	s_cbranch_execz .LBB42_47
.LBB42_64:
	v_cmp_ne_u32_e32 vcc_lo, s22, v9
	v_add_nc_u32_e32 v3, s24, v0
	v_add_nc_u32_e32 v0, 0x100, v0
	s_xor_b32 s2, s0, vcc_lo
	s_delay_alu instid0(SALU_CYCLE_1) | instskip(SKIP_3) | instid1(SALU_CYCLE_1)
	v_cndmask_b32_e64 v2, 0, 1, s2
	global_store_b8 v3, v2, s[16:17]
	s_wait_xcnt 0x0
	s_or_b32 exec_lo, exec_lo, s1
	s_mov_b32 s1, exec_lo
	v_cmpx_gt_i32_e64 s15, v0
	s_cbranch_execz .LBB42_48
.LBB42_65:
	v_cmp_ne_u32_e32 vcc_lo, s22, v8
	v_add_nc_u32_e32 v3, s24, v0
	v_add_nc_u32_e32 v0, 0x100, v0
	s_xor_b32 s2, s0, vcc_lo
	s_delay_alu instid0(SALU_CYCLE_1) | instskip(SKIP_3) | instid1(SALU_CYCLE_1)
	v_cndmask_b32_e64 v2, 0, 1, s2
	global_store_b8 v3, v2, s[16:17]
	s_wait_xcnt 0x0
	s_or_b32 exec_lo, exec_lo, s1
	s_mov_b32 s1, exec_lo
	v_cmpx_gt_i32_e64 s15, v0
	s_cbranch_execz .LBB42_49
.LBB42_66:
	v_cmp_ne_u32_e32 vcc_lo, s22, v6
	v_add_nc_u32_e32 v3, s24, v0
	v_add_nc_u32_e32 v0, 0x100, v0
	s_xor_b32 s2, s0, vcc_lo
	s_delay_alu instid0(SALU_CYCLE_1) | instskip(SKIP_3) | instid1(SALU_CYCLE_1)
	v_cndmask_b32_e64 v2, 0, 1, s2
	global_store_b8 v3, v2, s[16:17]
	s_wait_xcnt 0x0
	s_or_b32 exec_lo, exec_lo, s1
	s_mov_b32 s1, exec_lo
	v_cmpx_gt_i32_e64 s15, v0
	s_cbranch_execz .LBB42_50
.LBB42_67:
	v_cmp_ne_u32_e32 vcc_lo, s22, v7
	v_add_nc_u32_e32 v3, s24, v0
	v_add_nc_u32_e32 v0, 0x100, v0
	s_xor_b32 s2, s0, vcc_lo
	s_delay_alu instid0(SALU_CYCLE_1) | instskip(SKIP_3) | instid1(SALU_CYCLE_1)
	v_cndmask_b32_e64 v2, 0, 1, s2
	global_store_b8 v3, v2, s[16:17]
	s_wait_xcnt 0x0
	s_or_b32 exec_lo, exec_lo, s1
	s_mov_b32 s1, exec_lo
	v_cmpx_gt_i32_e64 s15, v0
	s_cbranch_execnz .LBB42_51
	s_branch .LBB42_52
	.section	.rodata,"a",@progbits
	.p2align	6, 0x0
	.amdhsa_kernel _ZN2at6native29vectorized_elementwise_kernelILi4ENS0_13AUnaryFunctorIiibNS0_12_GLOBAL__N_116CompareEqFunctorIiEEEESt5arrayIPcLm2EEEEviT0_T1_
		.amdhsa_group_segment_fixed_size 0
		.amdhsa_private_segment_fixed_size 0
		.amdhsa_kernarg_size 32
		.amdhsa_user_sgpr_count 2
		.amdhsa_user_sgpr_dispatch_ptr 0
		.amdhsa_user_sgpr_queue_ptr 0
		.amdhsa_user_sgpr_kernarg_segment_ptr 1
		.amdhsa_user_sgpr_dispatch_id 0
		.amdhsa_user_sgpr_kernarg_preload_length 0
		.amdhsa_user_sgpr_kernarg_preload_offset 0
		.amdhsa_user_sgpr_private_segment_size 0
		.amdhsa_wavefront_size32 1
		.amdhsa_uses_dynamic_stack 0
		.amdhsa_enable_private_segment 0
		.amdhsa_system_sgpr_workgroup_id_x 1
		.amdhsa_system_sgpr_workgroup_id_y 0
		.amdhsa_system_sgpr_workgroup_id_z 0
		.amdhsa_system_sgpr_workgroup_info 0
		.amdhsa_system_vgpr_workitem_id 0
		.amdhsa_next_free_vgpr 21
		.amdhsa_next_free_sgpr 26
		.amdhsa_named_barrier_count 0
		.amdhsa_reserve_vcc 1
		.amdhsa_float_round_mode_32 0
		.amdhsa_float_round_mode_16_64 0
		.amdhsa_float_denorm_mode_32 3
		.amdhsa_float_denorm_mode_16_64 3
		.amdhsa_fp16_overflow 0
		.amdhsa_memory_ordered 1
		.amdhsa_forward_progress 1
		.amdhsa_inst_pref_size 28
		.amdhsa_round_robin_scheduling 0
		.amdhsa_exception_fp_ieee_invalid_op 0
		.amdhsa_exception_fp_denorm_src 0
		.amdhsa_exception_fp_ieee_div_zero 0
		.amdhsa_exception_fp_ieee_overflow 0
		.amdhsa_exception_fp_ieee_underflow 0
		.amdhsa_exception_fp_ieee_inexact 0
		.amdhsa_exception_int_div_zero 0
	.end_amdhsa_kernel
	.section	.text._ZN2at6native29vectorized_elementwise_kernelILi4ENS0_13AUnaryFunctorIiibNS0_12_GLOBAL__N_116CompareEqFunctorIiEEEESt5arrayIPcLm2EEEEviT0_T1_,"axG",@progbits,_ZN2at6native29vectorized_elementwise_kernelILi4ENS0_13AUnaryFunctorIiibNS0_12_GLOBAL__N_116CompareEqFunctorIiEEEESt5arrayIPcLm2EEEEviT0_T1_,comdat
.Lfunc_end42:
	.size	_ZN2at6native29vectorized_elementwise_kernelILi4ENS0_13AUnaryFunctorIiibNS0_12_GLOBAL__N_116CompareEqFunctorIiEEEESt5arrayIPcLm2EEEEviT0_T1_, .Lfunc_end42-_ZN2at6native29vectorized_elementwise_kernelILi4ENS0_13AUnaryFunctorIiibNS0_12_GLOBAL__N_116CompareEqFunctorIiEEEESt5arrayIPcLm2EEEEviT0_T1_
                                        ; -- End function
	.set _ZN2at6native29vectorized_elementwise_kernelILi4ENS0_13AUnaryFunctorIiibNS0_12_GLOBAL__N_116CompareEqFunctorIiEEEESt5arrayIPcLm2EEEEviT0_T1_.num_vgpr, 21
	.set _ZN2at6native29vectorized_elementwise_kernelILi4ENS0_13AUnaryFunctorIiibNS0_12_GLOBAL__N_116CompareEqFunctorIiEEEESt5arrayIPcLm2EEEEviT0_T1_.num_agpr, 0
	.set _ZN2at6native29vectorized_elementwise_kernelILi4ENS0_13AUnaryFunctorIiibNS0_12_GLOBAL__N_116CompareEqFunctorIiEEEESt5arrayIPcLm2EEEEviT0_T1_.numbered_sgpr, 26
	.set _ZN2at6native29vectorized_elementwise_kernelILi4ENS0_13AUnaryFunctorIiibNS0_12_GLOBAL__N_116CompareEqFunctorIiEEEESt5arrayIPcLm2EEEEviT0_T1_.num_named_barrier, 0
	.set _ZN2at6native29vectorized_elementwise_kernelILi4ENS0_13AUnaryFunctorIiibNS0_12_GLOBAL__N_116CompareEqFunctorIiEEEESt5arrayIPcLm2EEEEviT0_T1_.private_seg_size, 0
	.set _ZN2at6native29vectorized_elementwise_kernelILi4ENS0_13AUnaryFunctorIiibNS0_12_GLOBAL__N_116CompareEqFunctorIiEEEESt5arrayIPcLm2EEEEviT0_T1_.uses_vcc, 1
	.set _ZN2at6native29vectorized_elementwise_kernelILi4ENS0_13AUnaryFunctorIiibNS0_12_GLOBAL__N_116CompareEqFunctorIiEEEESt5arrayIPcLm2EEEEviT0_T1_.uses_flat_scratch, 0
	.set _ZN2at6native29vectorized_elementwise_kernelILi4ENS0_13AUnaryFunctorIiibNS0_12_GLOBAL__N_116CompareEqFunctorIiEEEESt5arrayIPcLm2EEEEviT0_T1_.has_dyn_sized_stack, 0
	.set _ZN2at6native29vectorized_elementwise_kernelILi4ENS0_13AUnaryFunctorIiibNS0_12_GLOBAL__N_116CompareEqFunctorIiEEEESt5arrayIPcLm2EEEEviT0_T1_.has_recursion, 0
	.set _ZN2at6native29vectorized_elementwise_kernelILi4ENS0_13AUnaryFunctorIiibNS0_12_GLOBAL__N_116CompareEqFunctorIiEEEESt5arrayIPcLm2EEEEviT0_T1_.has_indirect_call, 0
	.section	.AMDGPU.csdata,"",@progbits
; Kernel info:
; codeLenInByte = 3552
; TotalNumSgprs: 28
; NumVgprs: 21
; ScratchSize: 0
; MemoryBound: 0
; FloatMode: 240
; IeeeMode: 1
; LDSByteSize: 0 bytes/workgroup (compile time only)
; SGPRBlocks: 0
; VGPRBlocks: 1
; NumSGPRsForWavesPerEU: 28
; NumVGPRsForWavesPerEU: 21
; NamedBarCnt: 0
; Occupancy: 16
; WaveLimiterHint : 1
; COMPUTE_PGM_RSRC2:SCRATCH_EN: 0
; COMPUTE_PGM_RSRC2:USER_SGPR: 2
; COMPUTE_PGM_RSRC2:TRAP_HANDLER: 0
; COMPUTE_PGM_RSRC2:TGID_X_EN: 1
; COMPUTE_PGM_RSRC2:TGID_Y_EN: 0
; COMPUTE_PGM_RSRC2:TGID_Z_EN: 0
; COMPUTE_PGM_RSRC2:TIDIG_COMP_CNT: 0
	.section	.text._ZN2at6native29vectorized_elementwise_kernelILi2ENS0_13AUnaryFunctorIiibNS0_12_GLOBAL__N_116CompareEqFunctorIiEEEESt5arrayIPcLm2EEEEviT0_T1_,"axG",@progbits,_ZN2at6native29vectorized_elementwise_kernelILi2ENS0_13AUnaryFunctorIiibNS0_12_GLOBAL__N_116CompareEqFunctorIiEEEESt5arrayIPcLm2EEEEviT0_T1_,comdat
	.globl	_ZN2at6native29vectorized_elementwise_kernelILi2ENS0_13AUnaryFunctorIiibNS0_12_GLOBAL__N_116CompareEqFunctorIiEEEESt5arrayIPcLm2EEEEviT0_T1_ ; -- Begin function _ZN2at6native29vectorized_elementwise_kernelILi2ENS0_13AUnaryFunctorIiibNS0_12_GLOBAL__N_116CompareEqFunctorIiEEEESt5arrayIPcLm2EEEEviT0_T1_
	.p2align	8
	.type	_ZN2at6native29vectorized_elementwise_kernelILi2ENS0_13AUnaryFunctorIiibNS0_12_GLOBAL__N_116CompareEqFunctorIiEEEESt5arrayIPcLm2EEEEviT0_T1_,@function
_ZN2at6native29vectorized_elementwise_kernelILi2ENS0_13AUnaryFunctorIiibNS0_12_GLOBAL__N_116CompareEqFunctorIiEEEESt5arrayIPcLm2EEEEviT0_T1_: ; @_ZN2at6native29vectorized_elementwise_kernelILi2ENS0_13AUnaryFunctorIiibNS0_12_GLOBAL__N_116CompareEqFunctorIiEEEESt5arrayIPcLm2EEEEviT0_T1_
; %bb.0:
	s_clause 0x1
	s_load_b96 s[20:22], s[0:1], 0x0
	s_load_b128 s[16:19], s[0:1], 0x10
	s_wait_xcnt 0x0
	s_bfe_u32 s0, ttmp6, 0x4000c
	s_and_b32 s1, ttmp6, 15
	s_add_co_i32 s0, s0, 1
	s_getreg_b32 s2, hwreg(HW_REG_IB_STS2, 6, 4)
	s_mul_i32 s0, ttmp9, s0
	s_delay_alu instid0(SALU_CYCLE_1) | instskip(SKIP_2) | instid1(SALU_CYCLE_1)
	s_add_co_i32 s1, s1, s0
	s_cmp_eq_u32 s2, 0
	s_cselect_b32 s0, ttmp9, s1
	s_lshl_b32 s24, s0, 12
	s_wait_kmcnt 0x0
	s_sub_co_i32 s15, s20, s24
	s_mov_b32 s20, -1
	s_cmp_gt_i32 s15, 0xfff
	s_cbranch_scc0 .LBB43_2
; %bb.1:
	s_ashr_i32 s25, s24, 31
	s_mov_b32 s20, 0
	s_lshl_b64 s[0:1], s[24:25], 2
	s_cmp_eq_u32 s21, 0
	s_add_nc_u64 s[0:1], s[18:19], s[0:1]
	s_cselect_b32 s23, -1, 0
	s_clause 0x7
	global_load_b64 v[2:3], v0, s[0:1] scale_offset
	global_load_b64 v[4:5], v0, s[0:1] offset:2048 scale_offset
	global_load_b64 v[6:7], v0, s[0:1] offset:4096 scale_offset
	;; [unrolled: 1-line block ×7, first 2 shown]
	s_add_nc_u64 s[26:27], s[16:17], s[24:25]
	s_wait_loadcnt 0x7
	s_wait_xcnt 0x0
	v_cmp_ne_u32_e64 s0, s22, v3
	s_wait_loadcnt 0x6
	v_cmp_ne_u32_e64 s1, s22, v4
	v_cmp_ne_u32_e64 s2, s22, v5
	s_wait_loadcnt 0x5
	v_cmp_ne_u32_e64 s3, s22, v6
	v_cmp_ne_u32_e32 vcc_lo, s22, v2
	s_xor_b32 s0, s23, s0
	v_cmp_ne_u32_e64 s4, s22, v7
	v_cndmask_b32_e64 v2, 0, 0x100, s0
	s_xor_b32 s0, s23, s1
	s_wait_loadcnt 0x4
	v_cmp_ne_u32_e64 s5, s22, v8
	v_cndmask_b32_e64 v3, 0, 1, s0
	s_xor_b32 s0, s23, s2
	v_cmp_ne_u32_e64 s6, s22, v9
	v_cndmask_b32_e64 v4, 0, 0x100, s0
	s_xor_b32 s0, s23, s3
	s_wait_loadcnt 0x3
	v_cmp_ne_u32_e64 s7, s22, v10
	v_cndmask_b32_e64 v5, 0, 1, s0
	;; [unrolled: 7-line block ×5, first 2 shown]
	s_xor_b32 s0, s23, s10
	v_cmp_ne_u32_e64 s14, s22, v17
	v_cndmask_b32_e64 v12, 0, 0x100, s0
	s_xor_b32 s0, s23, s11
	s_xor_b32 s25, s23, vcc_lo
	v_cndmask_b32_e64 v13, 0, 1, s0
	s_xor_b32 s0, s23, s12
	v_cndmask_b32_e64 v1, 0, 1, s25
	v_cndmask_b32_e64 v14, 0, 0x100, s0
	s_xor_b32 s0, s23, s13
	s_delay_alu instid0(SALU_CYCLE_1)
	v_cndmask_b32_e64 v15, 0, 1, s0
	s_xor_b32 s0, s23, s14
	v_or_b32_e32 v1, v2, v1
	v_cndmask_b32_e64 v16, 0, 0x100, s0
	v_or_b32_e32 v2, v4, v3
	v_or_b32_e32 v3, v6, v5
	;; [unrolled: 1-line block ×7, first 2 shown]
	s_clause 0x7
	global_store_b16 v0, v1, s[26:27] scale_offset
	global_store_b16 v0, v2, s[26:27] offset:512 scale_offset
	global_store_b16 v0, v3, s[26:27] offset:1024 scale_offset
	;; [unrolled: 1-line block ×7, first 2 shown]
.LBB43_2:
	s_and_not1_b32 vcc_lo, exec_lo, s20
	s_cbranch_vccnz .LBB43_52
; %bb.3:
	v_cmp_gt_i32_e32 vcc_lo, s15, v0
	v_or_b32_e32 v17, 0x100, v0
	s_wait_xcnt 0x7
	v_dual_mov_b32 v1, 0 :: v_dual_bitop2_b32 v18, s24, v0 bitop3:0x54
	s_wait_xcnt 0x1
	v_dual_mov_b32 v7, 0 :: v_dual_mov_b32 v6, 0
	s_wait_xcnt 0x0
	v_dual_mov_b32 v8, 0 :: v_dual_mov_b32 v9, 0
	v_dual_mov_b32 v10, 0 :: v_dual_mov_b32 v11, 0
	;; [unrolled: 1-line block ×6, first 2 shown]
	v_mov_b32_e32 v20, 0
	s_and_saveexec_b32 s1, vcc_lo
	s_cbranch_execz .LBB43_35
; %bb.4:
	global_load_b32 v20, v18, s[18:19] scale_offset
	v_dual_mov_b32 v19, 0 :: v_dual_mov_b32 v3, 0
	v_dual_mov_b32 v4, 0 :: v_dual_mov_b32 v16, 0
	;; [unrolled: 1-line block ×7, first 2 shown]
	v_mov_b32_e32 v1, 0
	s_mov_b32 s2, exec_lo
	s_wait_xcnt 0x0
	v_cmpx_gt_u32_e64 s15, v17
	s_cbranch_execz .LBB43_34
; %bb.5:
	v_dual_mov_b32 v3, 0 :: v_dual_add_nc_u32 v2, s24, v0
	v_or_b32_e32 v1, 0x200, v0
	v_dual_mov_b32 v4, 0 :: v_dual_mov_b32 v16, 0
	global_load_b32 v19, v2, s[18:19] offset:1024 scale_offset
	v_dual_mov_b32 v15, 0 :: v_dual_mov_b32 v14, 0
	v_cmp_gt_u32_e64 s0, s15, v1
	v_dual_mov_b32 v13, 0 :: v_dual_mov_b32 v12, 0
	v_dual_mov_b32 v11, 0 :: v_dual_mov_b32 v10, 0
	v_dual_mov_b32 v9, 0 :: v_dual_mov_b32 v8, 0
	v_dual_mov_b32 v6, 0 :: v_dual_mov_b32 v7, 0
	v_mov_b32_e32 v1, 0
	s_wait_xcnt 0x0
	s_and_saveexec_b32 s3, s0
	s_cbranch_execz .LBB43_33
; %bb.6:
	v_lshl_add_u64 v[4:5], v[2:3], 2, s[18:19]
	v_or_b32_e32 v1, 0x300, v0
	v_dual_mov_b32 v16, 0 :: v_dual_mov_b32 v15, 0
	v_dual_mov_b32 v14, 0 :: v_dual_mov_b32 v13, 0
	global_load_b32 v2, v[4:5], off offset:2048
	v_cmp_gt_u32_e64 s0, s15, v1
	v_dual_mov_b32 v12, 0 :: v_dual_mov_b32 v11, 0
	v_dual_mov_b32 v10, 0 :: v_dual_mov_b32 v9, 0
	;; [unrolled: 1-line block ×4, first 2 shown]
	s_wait_xcnt 0x0
	s_and_saveexec_b32 s4, s0
	s_cbranch_execz .LBB43_32
; %bb.7:
	global_load_b32 v3, v[4:5], off offset:3072
	v_or_b32_e32 v1, 0x400, v0
	v_dual_mov_b32 v16, 0 :: v_dual_mov_b32 v15, 0
	v_dual_mov_b32 v14, 0 :: v_dual_mov_b32 v13, 0
	s_delay_alu instid0(VALU_DEP_3)
	v_cmp_gt_u32_e64 s0, s15, v1
	v_dual_mov_b32 v12, 0 :: v_dual_mov_b32 v11, 0
	v_dual_mov_b32 v10, 0 :: v_dual_mov_b32 v9, 0
	;; [unrolled: 1-line block ×4, first 2 shown]
	s_wait_xcnt 0x0
	s_and_saveexec_b32 s5, s0
	s_cbranch_execz .LBB43_31
; %bb.8:
	global_load_b32 v16, v[4:5], off offset:4096
	v_or_b32_e32 v1, 0x500, v0
	v_dual_mov_b32 v15, 0 :: v_dual_mov_b32 v14, 0
	v_dual_mov_b32 v13, 0 :: v_dual_mov_b32 v12, 0
	s_delay_alu instid0(VALU_DEP_3)
	v_cmp_gt_u32_e64 s0, s15, v1
	v_dual_mov_b32 v11, 0 :: v_dual_mov_b32 v10, 0
	v_dual_mov_b32 v9, 0 :: v_dual_mov_b32 v8, 0
	;; [unrolled: 1-line block ×3, first 2 shown]
	v_mov_b32_e32 v1, 0
	s_wait_xcnt 0x0
	s_and_saveexec_b32 s6, s0
	s_cbranch_execz .LBB43_30
; %bb.9:
	global_load_b32 v15, v[4:5], off offset:5120
	v_or_b32_e32 v1, 0x600, v0
	v_dual_mov_b32 v14, 0 :: v_dual_mov_b32 v13, 0
	v_dual_mov_b32 v12, 0 :: v_dual_mov_b32 v11, 0
	s_delay_alu instid0(VALU_DEP_3)
	v_cmp_gt_u32_e64 s0, s15, v1
	v_dual_mov_b32 v10, 0 :: v_dual_mov_b32 v9, 0
	v_dual_mov_b32 v8, 0 :: v_dual_mov_b32 v6, 0
	;; [unrolled: 1-line block ×3, first 2 shown]
	s_wait_xcnt 0x0
	s_and_saveexec_b32 s7, s0
	s_cbranch_execz .LBB43_29
; %bb.10:
	global_load_b32 v14, v[4:5], off offset:6144
	v_or_b32_e32 v1, 0x700, v0
	v_dual_mov_b32 v13, 0 :: v_dual_mov_b32 v12, 0
	v_dual_mov_b32 v11, 0 :: v_dual_mov_b32 v10, 0
	s_delay_alu instid0(VALU_DEP_3)
	v_cmp_gt_u32_e64 s0, s15, v1
	v_dual_mov_b32 v9, 0 :: v_dual_mov_b32 v8, 0
	v_dual_mov_b32 v6, 0 :: v_dual_mov_b32 v7, 0
	v_mov_b32_e32 v1, 0
	s_wait_xcnt 0x0
	s_and_saveexec_b32 s8, s0
	s_cbranch_execz .LBB43_28
; %bb.11:
	global_load_b32 v13, v[4:5], off offset:7168
	v_or_b32_e32 v1, 0x800, v0
	v_dual_mov_b32 v12, 0 :: v_dual_mov_b32 v11, 0
	v_dual_mov_b32 v10, 0 :: v_dual_mov_b32 v9, 0
	s_delay_alu instid0(VALU_DEP_3)
	v_cmp_gt_u32_e64 s0, s15, v1
	v_dual_mov_b32 v8, 0 :: v_dual_mov_b32 v6, 0
	v_dual_mov_b32 v7, 0 :: v_dual_mov_b32 v1, 0
	s_wait_xcnt 0x0
	s_and_saveexec_b32 s9, s0
	s_cbranch_execz .LBB43_27
; %bb.12:
	global_load_b32 v12, v[4:5], off offset:8192
	v_or_b32_e32 v1, 0x900, v0
	v_dual_mov_b32 v11, 0 :: v_dual_mov_b32 v10, 0
	v_dual_mov_b32 v9, 0 :: v_dual_mov_b32 v8, 0
	s_delay_alu instid0(VALU_DEP_3)
	v_cmp_gt_u32_e64 s0, s15, v1
	v_dual_mov_b32 v6, 0 :: v_dual_mov_b32 v7, 0
	v_mov_b32_e32 v1, 0
	s_wait_xcnt 0x0
	s_and_saveexec_b32 s10, s0
	s_cbranch_execz .LBB43_26
; %bb.13:
	global_load_b32 v11, v[4:5], off offset:9216
	v_or_b32_e32 v1, 0xa00, v0
	v_dual_mov_b32 v10, 0 :: v_dual_mov_b32 v9, 0
	v_dual_mov_b32 v8, 0 :: v_dual_mov_b32 v6, 0
	s_delay_alu instid0(VALU_DEP_3)
	v_cmp_gt_u32_e64 s0, s15, v1
	v_dual_mov_b32 v7, 0 :: v_dual_mov_b32 v1, 0
	s_wait_xcnt 0x0
	s_and_saveexec_b32 s11, s0
	s_cbranch_execz .LBB43_25
; %bb.14:
	global_load_b32 v10, v[4:5], off offset:10240
	v_or_b32_e32 v1, 0xb00, v0
	v_dual_mov_b32 v9, 0 :: v_dual_mov_b32 v8, 0
	v_dual_mov_b32 v6, 0 :: v_dual_mov_b32 v7, 0
	s_delay_alu instid0(VALU_DEP_3)
	v_cmp_gt_u32_e64 s0, s15, v1
	v_mov_b32_e32 v1, 0
	s_wait_xcnt 0x0
	s_and_saveexec_b32 s12, s0
	s_cbranch_execz .LBB43_24
; %bb.15:
	global_load_b32 v9, v[4:5], off offset:11264
	v_or_b32_e32 v1, 0xc00, v0
	v_dual_mov_b32 v8, 0 :: v_dual_mov_b32 v6, 0
	v_mov_b32_e32 v7, 0
	s_delay_alu instid0(VALU_DEP_3)
	v_cmp_gt_u32_e64 s0, s15, v1
	v_mov_b32_e32 v1, 0
	s_wait_xcnt 0x0
	s_and_saveexec_b32 s13, s0
	s_cbranch_execz .LBB43_23
; %bb.16:
	global_load_b32 v8, v[4:5], off offset:12288
	v_or_b32_e32 v1, 0xd00, v0
	v_dual_mov_b32 v6, 0 :: v_dual_mov_b32 v7, 0
	s_delay_alu instid0(VALU_DEP_2)
	v_cmp_gt_u32_e64 s0, s15, v1
	v_mov_b32_e32 v1, 0
	s_wait_xcnt 0x0
	s_and_saveexec_b32 s14, s0
	s_cbranch_execz .LBB43_22
; %bb.17:
	global_load_b32 v6, v[4:5], off offset:13312
	v_or_b32_e32 v1, 0xe00, v0
	v_mov_b32_e32 v7, 0
	s_delay_alu instid0(VALU_DEP_2)
	v_cmp_gt_u32_e64 s0, s15, v1
	v_mov_b32_e32 v1, 0
	s_wait_xcnt 0x0
	s_and_saveexec_b32 s18, s0
	s_cbranch_execz .LBB43_21
; %bb.18:
	global_load_b32 v7, v[4:5], off offset:14336
	v_or_b32_e32 v1, 0xf00, v0
	s_delay_alu instid0(VALU_DEP_1)
	v_cmp_gt_u32_e64 s0, s15, v1
	v_mov_b32_e32 v1, 0
	s_wait_xcnt 0x0
	s_and_saveexec_b32 s19, s0
	s_cbranch_execz .LBB43_20
; %bb.19:
	global_load_b32 v1, v[4:5], off offset:15360
.LBB43_20:
	s_wait_xcnt 0x0
	s_or_b32 exec_lo, exec_lo, s19
.LBB43_21:
	s_delay_alu instid0(SALU_CYCLE_1)
	s_or_b32 exec_lo, exec_lo, s18
.LBB43_22:
	s_delay_alu instid0(SALU_CYCLE_1)
	s_or_b32 exec_lo, exec_lo, s14
.LBB43_23:
	s_delay_alu instid0(SALU_CYCLE_1)
	s_or_b32 exec_lo, exec_lo, s13
.LBB43_24:
	s_delay_alu instid0(SALU_CYCLE_1)
	s_or_b32 exec_lo, exec_lo, s12
.LBB43_25:
	s_delay_alu instid0(SALU_CYCLE_1)
	s_or_b32 exec_lo, exec_lo, s11
.LBB43_26:
	s_delay_alu instid0(SALU_CYCLE_1)
	s_or_b32 exec_lo, exec_lo, s10
.LBB43_27:
	s_delay_alu instid0(SALU_CYCLE_1)
	s_or_b32 exec_lo, exec_lo, s9
.LBB43_28:
	s_delay_alu instid0(SALU_CYCLE_1)
	s_or_b32 exec_lo, exec_lo, s8
.LBB43_29:
	s_delay_alu instid0(SALU_CYCLE_1)
	s_or_b32 exec_lo, exec_lo, s7
.LBB43_30:
	s_delay_alu instid0(SALU_CYCLE_1)
	s_or_b32 exec_lo, exec_lo, s6
.LBB43_31:
	s_delay_alu instid0(SALU_CYCLE_1)
	s_or_b32 exec_lo, exec_lo, s5
.LBB43_32:
	s_delay_alu instid0(SALU_CYCLE_1)
	s_or_b32 exec_lo, exec_lo, s4
	s_wait_loadcnt 0x0
	v_dual_mov_b32 v4, v3 :: v_dual_mov_b32 v3, v2
.LBB43_33:
	s_or_b32 exec_lo, exec_lo, s3
.LBB43_34:
	s_delay_alu instid0(SALU_CYCLE_1)
	s_or_b32 exec_lo, exec_lo, s2
.LBB43_35:
	s_delay_alu instid0(SALU_CYCLE_1)
	s_or_b32 exec_lo, exec_lo, s1
	s_cmp_eq_u32 s21, 0
	s_cselect_b32 s0, -1, 0
	s_and_saveexec_b32 s1, vcc_lo
	s_cbranch_execnz .LBB43_53
; %bb.36:
	s_or_b32 exec_lo, exec_lo, s1
	s_delay_alu instid0(SALU_CYCLE_1)
	s_mov_b32 s1, exec_lo
	v_cmpx_gt_i32_e64 s15, v0
	s_cbranch_execnz .LBB43_54
.LBB43_37:
	s_or_b32 exec_lo, exec_lo, s1
	s_delay_alu instid0(SALU_CYCLE_1)
	s_mov_b32 s1, exec_lo
	v_cmpx_gt_i32_e64 s15, v0
	s_cbranch_execnz .LBB43_55
.LBB43_38:
	s_or_b32 exec_lo, exec_lo, s1
	s_delay_alu instid0(SALU_CYCLE_1)
	s_mov_b32 s1, exec_lo
	v_cmpx_gt_i32_e64 s15, v0
	s_cbranch_execnz .LBB43_56
.LBB43_39:
	s_or_b32 exec_lo, exec_lo, s1
	s_delay_alu instid0(SALU_CYCLE_1)
	s_mov_b32 s1, exec_lo
	v_cmpx_gt_i32_e64 s15, v0
	s_cbranch_execnz .LBB43_57
.LBB43_40:
	s_or_b32 exec_lo, exec_lo, s1
	s_delay_alu instid0(SALU_CYCLE_1)
	s_mov_b32 s1, exec_lo
	v_cmpx_gt_i32_e64 s15, v0
	s_cbranch_execnz .LBB43_58
.LBB43_41:
	s_or_b32 exec_lo, exec_lo, s1
	s_delay_alu instid0(SALU_CYCLE_1)
	s_mov_b32 s1, exec_lo
	v_cmpx_gt_i32_e64 s15, v0
	s_cbranch_execnz .LBB43_59
.LBB43_42:
	s_or_b32 exec_lo, exec_lo, s1
	s_delay_alu instid0(SALU_CYCLE_1)
	s_mov_b32 s1, exec_lo
	v_cmpx_gt_i32_e64 s15, v0
	s_cbranch_execnz .LBB43_60
.LBB43_43:
	s_or_b32 exec_lo, exec_lo, s1
	s_delay_alu instid0(SALU_CYCLE_1)
	s_mov_b32 s1, exec_lo
	v_cmpx_gt_i32_e64 s15, v0
	s_cbranch_execnz .LBB43_61
.LBB43_44:
	s_or_b32 exec_lo, exec_lo, s1
	s_delay_alu instid0(SALU_CYCLE_1)
	s_mov_b32 s1, exec_lo
	v_cmpx_gt_i32_e64 s15, v0
	s_cbranch_execnz .LBB43_62
.LBB43_45:
	s_or_b32 exec_lo, exec_lo, s1
	s_delay_alu instid0(SALU_CYCLE_1)
	s_mov_b32 s1, exec_lo
	v_cmpx_gt_i32_e64 s15, v0
	s_cbranch_execnz .LBB43_63
.LBB43_46:
	s_or_b32 exec_lo, exec_lo, s1
	s_delay_alu instid0(SALU_CYCLE_1)
	s_mov_b32 s1, exec_lo
	v_cmpx_gt_i32_e64 s15, v0
	s_cbranch_execnz .LBB43_64
.LBB43_47:
	s_or_b32 exec_lo, exec_lo, s1
	s_delay_alu instid0(SALU_CYCLE_1)
	s_mov_b32 s1, exec_lo
	v_cmpx_gt_i32_e64 s15, v0
	s_cbranch_execnz .LBB43_65
.LBB43_48:
	s_or_b32 exec_lo, exec_lo, s1
	s_delay_alu instid0(SALU_CYCLE_1)
	s_mov_b32 s1, exec_lo
	v_cmpx_gt_i32_e64 s15, v0
	s_cbranch_execnz .LBB43_66
.LBB43_49:
	s_or_b32 exec_lo, exec_lo, s1
	s_delay_alu instid0(SALU_CYCLE_1)
	s_mov_b32 s1, exec_lo
	v_cmpx_gt_i32_e64 s15, v0
	s_cbranch_execnz .LBB43_67
.LBB43_50:
	s_or_b32 exec_lo, exec_lo, s1
	s_delay_alu instid0(SALU_CYCLE_1)
	s_mov_b32 s1, exec_lo
	v_cmpx_gt_i32_e64 s15, v0
	s_cbranch_execz .LBB43_52
.LBB43_51:
	v_cmp_ne_u32_e32 vcc_lo, s22, v1
	v_add_nc_u32_e32 v0, s24, v0
	s_xor_b32 s0, s0, vcc_lo
	s_delay_alu instid0(SALU_CYCLE_1)
	v_cndmask_b32_e64 v1, 0, 1, s0
	global_store_b8 v0, v1, s[16:17]
.LBB43_52:
	s_endpgm
.LBB43_53:
	s_wait_loadcnt 0x0
	v_cmp_ne_u32_e32 vcc_lo, s22, v20
	v_mov_b32_e32 v0, v17
	s_xor_b32 s2, s0, vcc_lo
	s_delay_alu instid0(SALU_CYCLE_1) | instskip(SKIP_3) | instid1(SALU_CYCLE_1)
	v_cndmask_b32_e64 v2, 0, 1, s2
	global_store_b8 v18, v2, s[16:17]
	s_wait_xcnt 0x0
	s_or_b32 exec_lo, exec_lo, s1
	s_mov_b32 s1, exec_lo
	v_cmpx_gt_i32_e64 s15, v0
	s_cbranch_execz .LBB43_37
.LBB43_54:
	s_wait_loadcnt 0x0
	v_cmp_ne_u32_e32 vcc_lo, s22, v19
	v_add_nc_u32_e32 v5, s24, v0
	v_add_nc_u32_e32 v0, 0x100, v0
	s_xor_b32 s2, s0, vcc_lo
	s_delay_alu instid0(SALU_CYCLE_1) | instskip(SKIP_3) | instid1(SALU_CYCLE_1)
	v_cndmask_b32_e64 v2, 0, 1, s2
	global_store_b8 v5, v2, s[16:17]
	s_wait_xcnt 0x0
	s_or_b32 exec_lo, exec_lo, s1
	s_mov_b32 s1, exec_lo
	v_cmpx_gt_i32_e64 s15, v0
	s_cbranch_execz .LBB43_38
.LBB43_55:
	v_cmp_ne_u32_e32 vcc_lo, s22, v3
	v_add_nc_u32_e32 v3, s24, v0
	v_add_nc_u32_e32 v0, 0x100, v0
	s_xor_b32 s2, s0, vcc_lo
	s_delay_alu instid0(SALU_CYCLE_1) | instskip(SKIP_3) | instid1(SALU_CYCLE_1)
	v_cndmask_b32_e64 v2, 0, 1, s2
	global_store_b8 v3, v2, s[16:17]
	s_wait_xcnt 0x0
	s_or_b32 exec_lo, exec_lo, s1
	s_mov_b32 s1, exec_lo
	v_cmpx_gt_i32_e64 s15, v0
	s_cbranch_execz .LBB43_39
.LBB43_56:
	v_cmp_ne_u32_e32 vcc_lo, s22, v4
	v_add_nc_u32_e32 v3, s24, v0
	v_add_nc_u32_e32 v0, 0x100, v0
	s_xor_b32 s2, s0, vcc_lo
	s_delay_alu instid0(SALU_CYCLE_1) | instskip(SKIP_3) | instid1(SALU_CYCLE_1)
	v_cndmask_b32_e64 v2, 0, 1, s2
	global_store_b8 v3, v2, s[16:17]
	s_wait_xcnt 0x0
	s_or_b32 exec_lo, exec_lo, s1
	s_mov_b32 s1, exec_lo
	v_cmpx_gt_i32_e64 s15, v0
	s_cbranch_execz .LBB43_40
.LBB43_57:
	v_cmp_ne_u32_e32 vcc_lo, s22, v16
	v_add_nc_u32_e32 v3, s24, v0
	v_add_nc_u32_e32 v0, 0x100, v0
	s_xor_b32 s2, s0, vcc_lo
	s_delay_alu instid0(SALU_CYCLE_1) | instskip(SKIP_3) | instid1(SALU_CYCLE_1)
	v_cndmask_b32_e64 v2, 0, 1, s2
	global_store_b8 v3, v2, s[16:17]
	s_wait_xcnt 0x0
	s_or_b32 exec_lo, exec_lo, s1
	s_mov_b32 s1, exec_lo
	v_cmpx_gt_i32_e64 s15, v0
	s_cbranch_execz .LBB43_41
.LBB43_58:
	v_cmp_ne_u32_e32 vcc_lo, s22, v15
	v_add_nc_u32_e32 v3, s24, v0
	v_add_nc_u32_e32 v0, 0x100, v0
	s_xor_b32 s2, s0, vcc_lo
	s_delay_alu instid0(SALU_CYCLE_1) | instskip(SKIP_3) | instid1(SALU_CYCLE_1)
	v_cndmask_b32_e64 v2, 0, 1, s2
	global_store_b8 v3, v2, s[16:17]
	s_wait_xcnt 0x0
	s_or_b32 exec_lo, exec_lo, s1
	s_mov_b32 s1, exec_lo
	v_cmpx_gt_i32_e64 s15, v0
	s_cbranch_execz .LBB43_42
.LBB43_59:
	v_cmp_ne_u32_e32 vcc_lo, s22, v14
	v_add_nc_u32_e32 v3, s24, v0
	v_add_nc_u32_e32 v0, 0x100, v0
	s_xor_b32 s2, s0, vcc_lo
	s_delay_alu instid0(SALU_CYCLE_1) | instskip(SKIP_3) | instid1(SALU_CYCLE_1)
	v_cndmask_b32_e64 v2, 0, 1, s2
	global_store_b8 v3, v2, s[16:17]
	s_wait_xcnt 0x0
	s_or_b32 exec_lo, exec_lo, s1
	s_mov_b32 s1, exec_lo
	v_cmpx_gt_i32_e64 s15, v0
	s_cbranch_execz .LBB43_43
.LBB43_60:
	v_cmp_ne_u32_e32 vcc_lo, s22, v13
	v_add_nc_u32_e32 v3, s24, v0
	v_add_nc_u32_e32 v0, 0x100, v0
	s_xor_b32 s2, s0, vcc_lo
	s_delay_alu instid0(SALU_CYCLE_1) | instskip(SKIP_3) | instid1(SALU_CYCLE_1)
	v_cndmask_b32_e64 v2, 0, 1, s2
	global_store_b8 v3, v2, s[16:17]
	s_wait_xcnt 0x0
	s_or_b32 exec_lo, exec_lo, s1
	s_mov_b32 s1, exec_lo
	v_cmpx_gt_i32_e64 s15, v0
	s_cbranch_execz .LBB43_44
.LBB43_61:
	v_cmp_ne_u32_e32 vcc_lo, s22, v12
	v_add_nc_u32_e32 v3, s24, v0
	v_add_nc_u32_e32 v0, 0x100, v0
	s_xor_b32 s2, s0, vcc_lo
	s_delay_alu instid0(SALU_CYCLE_1) | instskip(SKIP_3) | instid1(SALU_CYCLE_1)
	v_cndmask_b32_e64 v2, 0, 1, s2
	global_store_b8 v3, v2, s[16:17]
	s_wait_xcnt 0x0
	s_or_b32 exec_lo, exec_lo, s1
	s_mov_b32 s1, exec_lo
	v_cmpx_gt_i32_e64 s15, v0
	s_cbranch_execz .LBB43_45
.LBB43_62:
	v_cmp_ne_u32_e32 vcc_lo, s22, v11
	v_add_nc_u32_e32 v3, s24, v0
	v_add_nc_u32_e32 v0, 0x100, v0
	s_xor_b32 s2, s0, vcc_lo
	s_delay_alu instid0(SALU_CYCLE_1) | instskip(SKIP_3) | instid1(SALU_CYCLE_1)
	v_cndmask_b32_e64 v2, 0, 1, s2
	global_store_b8 v3, v2, s[16:17]
	s_wait_xcnt 0x0
	s_or_b32 exec_lo, exec_lo, s1
	s_mov_b32 s1, exec_lo
	v_cmpx_gt_i32_e64 s15, v0
	s_cbranch_execz .LBB43_46
.LBB43_63:
	v_cmp_ne_u32_e32 vcc_lo, s22, v10
	v_add_nc_u32_e32 v3, s24, v0
	v_add_nc_u32_e32 v0, 0x100, v0
	s_xor_b32 s2, s0, vcc_lo
	s_delay_alu instid0(SALU_CYCLE_1) | instskip(SKIP_3) | instid1(SALU_CYCLE_1)
	v_cndmask_b32_e64 v2, 0, 1, s2
	global_store_b8 v3, v2, s[16:17]
	s_wait_xcnt 0x0
	s_or_b32 exec_lo, exec_lo, s1
	s_mov_b32 s1, exec_lo
	v_cmpx_gt_i32_e64 s15, v0
	s_cbranch_execz .LBB43_47
.LBB43_64:
	v_cmp_ne_u32_e32 vcc_lo, s22, v9
	v_add_nc_u32_e32 v3, s24, v0
	v_add_nc_u32_e32 v0, 0x100, v0
	s_xor_b32 s2, s0, vcc_lo
	s_delay_alu instid0(SALU_CYCLE_1) | instskip(SKIP_3) | instid1(SALU_CYCLE_1)
	v_cndmask_b32_e64 v2, 0, 1, s2
	global_store_b8 v3, v2, s[16:17]
	s_wait_xcnt 0x0
	s_or_b32 exec_lo, exec_lo, s1
	s_mov_b32 s1, exec_lo
	v_cmpx_gt_i32_e64 s15, v0
	s_cbranch_execz .LBB43_48
.LBB43_65:
	v_cmp_ne_u32_e32 vcc_lo, s22, v8
	v_add_nc_u32_e32 v3, s24, v0
	v_add_nc_u32_e32 v0, 0x100, v0
	s_xor_b32 s2, s0, vcc_lo
	s_delay_alu instid0(SALU_CYCLE_1) | instskip(SKIP_3) | instid1(SALU_CYCLE_1)
	v_cndmask_b32_e64 v2, 0, 1, s2
	global_store_b8 v3, v2, s[16:17]
	s_wait_xcnt 0x0
	s_or_b32 exec_lo, exec_lo, s1
	s_mov_b32 s1, exec_lo
	v_cmpx_gt_i32_e64 s15, v0
	s_cbranch_execz .LBB43_49
.LBB43_66:
	v_cmp_ne_u32_e32 vcc_lo, s22, v6
	v_add_nc_u32_e32 v3, s24, v0
	v_add_nc_u32_e32 v0, 0x100, v0
	s_xor_b32 s2, s0, vcc_lo
	s_delay_alu instid0(SALU_CYCLE_1) | instskip(SKIP_3) | instid1(SALU_CYCLE_1)
	v_cndmask_b32_e64 v2, 0, 1, s2
	global_store_b8 v3, v2, s[16:17]
	s_wait_xcnt 0x0
	s_or_b32 exec_lo, exec_lo, s1
	s_mov_b32 s1, exec_lo
	v_cmpx_gt_i32_e64 s15, v0
	s_cbranch_execz .LBB43_50
.LBB43_67:
	v_cmp_ne_u32_e32 vcc_lo, s22, v7
	v_add_nc_u32_e32 v3, s24, v0
	v_add_nc_u32_e32 v0, 0x100, v0
	s_xor_b32 s2, s0, vcc_lo
	s_delay_alu instid0(SALU_CYCLE_1) | instskip(SKIP_3) | instid1(SALU_CYCLE_1)
	v_cndmask_b32_e64 v2, 0, 1, s2
	global_store_b8 v3, v2, s[16:17]
	s_wait_xcnt 0x0
	s_or_b32 exec_lo, exec_lo, s1
	s_mov_b32 s1, exec_lo
	v_cmpx_gt_i32_e64 s15, v0
	s_cbranch_execnz .LBB43_51
	s_branch .LBB43_52
	.section	.rodata,"a",@progbits
	.p2align	6, 0x0
	.amdhsa_kernel _ZN2at6native29vectorized_elementwise_kernelILi2ENS0_13AUnaryFunctorIiibNS0_12_GLOBAL__N_116CompareEqFunctorIiEEEESt5arrayIPcLm2EEEEviT0_T1_
		.amdhsa_group_segment_fixed_size 0
		.amdhsa_private_segment_fixed_size 0
		.amdhsa_kernarg_size 32
		.amdhsa_user_sgpr_count 2
		.amdhsa_user_sgpr_dispatch_ptr 0
		.amdhsa_user_sgpr_queue_ptr 0
		.amdhsa_user_sgpr_kernarg_segment_ptr 1
		.amdhsa_user_sgpr_dispatch_id 0
		.amdhsa_user_sgpr_kernarg_preload_length 0
		.amdhsa_user_sgpr_kernarg_preload_offset 0
		.amdhsa_user_sgpr_private_segment_size 0
		.amdhsa_wavefront_size32 1
		.amdhsa_uses_dynamic_stack 0
		.amdhsa_enable_private_segment 0
		.amdhsa_system_sgpr_workgroup_id_x 1
		.amdhsa_system_sgpr_workgroup_id_y 0
		.amdhsa_system_sgpr_workgroup_id_z 0
		.amdhsa_system_sgpr_workgroup_info 0
		.amdhsa_system_vgpr_workitem_id 0
		.amdhsa_next_free_vgpr 21
		.amdhsa_next_free_sgpr 28
		.amdhsa_named_barrier_count 0
		.amdhsa_reserve_vcc 1
		.amdhsa_float_round_mode_32 0
		.amdhsa_float_round_mode_16_64 0
		.amdhsa_float_denorm_mode_32 3
		.amdhsa_float_denorm_mode_16_64 3
		.amdhsa_fp16_overflow 0
		.amdhsa_memory_ordered 1
		.amdhsa_forward_progress 1
		.amdhsa_inst_pref_size 29
		.amdhsa_round_robin_scheduling 0
		.amdhsa_exception_fp_ieee_invalid_op 0
		.amdhsa_exception_fp_denorm_src 0
		.amdhsa_exception_fp_ieee_div_zero 0
		.amdhsa_exception_fp_ieee_overflow 0
		.amdhsa_exception_fp_ieee_underflow 0
		.amdhsa_exception_fp_ieee_inexact 0
		.amdhsa_exception_int_div_zero 0
	.end_amdhsa_kernel
	.section	.text._ZN2at6native29vectorized_elementwise_kernelILi2ENS0_13AUnaryFunctorIiibNS0_12_GLOBAL__N_116CompareEqFunctorIiEEEESt5arrayIPcLm2EEEEviT0_T1_,"axG",@progbits,_ZN2at6native29vectorized_elementwise_kernelILi2ENS0_13AUnaryFunctorIiibNS0_12_GLOBAL__N_116CompareEqFunctorIiEEEESt5arrayIPcLm2EEEEviT0_T1_,comdat
.Lfunc_end43:
	.size	_ZN2at6native29vectorized_elementwise_kernelILi2ENS0_13AUnaryFunctorIiibNS0_12_GLOBAL__N_116CompareEqFunctorIiEEEESt5arrayIPcLm2EEEEviT0_T1_, .Lfunc_end43-_ZN2at6native29vectorized_elementwise_kernelILi2ENS0_13AUnaryFunctorIiibNS0_12_GLOBAL__N_116CompareEqFunctorIiEEEESt5arrayIPcLm2EEEEviT0_T1_
                                        ; -- End function
	.set _ZN2at6native29vectorized_elementwise_kernelILi2ENS0_13AUnaryFunctorIiibNS0_12_GLOBAL__N_116CompareEqFunctorIiEEEESt5arrayIPcLm2EEEEviT0_T1_.num_vgpr, 21
	.set _ZN2at6native29vectorized_elementwise_kernelILi2ENS0_13AUnaryFunctorIiibNS0_12_GLOBAL__N_116CompareEqFunctorIiEEEESt5arrayIPcLm2EEEEviT0_T1_.num_agpr, 0
	.set _ZN2at6native29vectorized_elementwise_kernelILi2ENS0_13AUnaryFunctorIiibNS0_12_GLOBAL__N_116CompareEqFunctorIiEEEESt5arrayIPcLm2EEEEviT0_T1_.numbered_sgpr, 28
	.set _ZN2at6native29vectorized_elementwise_kernelILi2ENS0_13AUnaryFunctorIiibNS0_12_GLOBAL__N_116CompareEqFunctorIiEEEESt5arrayIPcLm2EEEEviT0_T1_.num_named_barrier, 0
	.set _ZN2at6native29vectorized_elementwise_kernelILi2ENS0_13AUnaryFunctorIiibNS0_12_GLOBAL__N_116CompareEqFunctorIiEEEESt5arrayIPcLm2EEEEviT0_T1_.private_seg_size, 0
	.set _ZN2at6native29vectorized_elementwise_kernelILi2ENS0_13AUnaryFunctorIiibNS0_12_GLOBAL__N_116CompareEqFunctorIiEEEESt5arrayIPcLm2EEEEviT0_T1_.uses_vcc, 1
	.set _ZN2at6native29vectorized_elementwise_kernelILi2ENS0_13AUnaryFunctorIiibNS0_12_GLOBAL__N_116CompareEqFunctorIiEEEESt5arrayIPcLm2EEEEviT0_T1_.uses_flat_scratch, 0
	.set _ZN2at6native29vectorized_elementwise_kernelILi2ENS0_13AUnaryFunctorIiibNS0_12_GLOBAL__N_116CompareEqFunctorIiEEEESt5arrayIPcLm2EEEEviT0_T1_.has_dyn_sized_stack, 0
	.set _ZN2at6native29vectorized_elementwise_kernelILi2ENS0_13AUnaryFunctorIiibNS0_12_GLOBAL__N_116CompareEqFunctorIiEEEESt5arrayIPcLm2EEEEviT0_T1_.has_recursion, 0
	.set _ZN2at6native29vectorized_elementwise_kernelILi2ENS0_13AUnaryFunctorIiibNS0_12_GLOBAL__N_116CompareEqFunctorIiEEEESt5arrayIPcLm2EEEEviT0_T1_.has_indirect_call, 0
	.section	.AMDGPU.csdata,"",@progbits
; Kernel info:
; codeLenInByte = 3632
; TotalNumSgprs: 30
; NumVgprs: 21
; ScratchSize: 0
; MemoryBound: 0
; FloatMode: 240
; IeeeMode: 1
; LDSByteSize: 0 bytes/workgroup (compile time only)
; SGPRBlocks: 0
; VGPRBlocks: 1
; NumSGPRsForWavesPerEU: 30
; NumVGPRsForWavesPerEU: 21
; NamedBarCnt: 0
; Occupancy: 16
; WaveLimiterHint : 1
; COMPUTE_PGM_RSRC2:SCRATCH_EN: 0
; COMPUTE_PGM_RSRC2:USER_SGPR: 2
; COMPUTE_PGM_RSRC2:TRAP_HANDLER: 0
; COMPUTE_PGM_RSRC2:TGID_X_EN: 1
; COMPUTE_PGM_RSRC2:TGID_Y_EN: 0
; COMPUTE_PGM_RSRC2:TGID_Z_EN: 0
; COMPUTE_PGM_RSRC2:TIDIG_COMP_CNT: 0
	.section	.text._ZN2at6native27unrolled_elementwise_kernelINS0_13AUnaryFunctorIiibNS0_12_GLOBAL__N_116CompareEqFunctorIiEEEESt5arrayIPcLm2EELi4E23TrivialOffsetCalculatorILi1EjESB_NS0_6memory15LoadWithoutCastENSC_16StoreWithoutCastEEEviT_T0_T2_T3_T4_T5_,"axG",@progbits,_ZN2at6native27unrolled_elementwise_kernelINS0_13AUnaryFunctorIiibNS0_12_GLOBAL__N_116CompareEqFunctorIiEEEESt5arrayIPcLm2EELi4E23TrivialOffsetCalculatorILi1EjESB_NS0_6memory15LoadWithoutCastENSC_16StoreWithoutCastEEEviT_T0_T2_T3_T4_T5_,comdat
	.globl	_ZN2at6native27unrolled_elementwise_kernelINS0_13AUnaryFunctorIiibNS0_12_GLOBAL__N_116CompareEqFunctorIiEEEESt5arrayIPcLm2EELi4E23TrivialOffsetCalculatorILi1EjESB_NS0_6memory15LoadWithoutCastENSC_16StoreWithoutCastEEEviT_T0_T2_T3_T4_T5_ ; -- Begin function _ZN2at6native27unrolled_elementwise_kernelINS0_13AUnaryFunctorIiibNS0_12_GLOBAL__N_116CompareEqFunctorIiEEEESt5arrayIPcLm2EELi4E23TrivialOffsetCalculatorILi1EjESB_NS0_6memory15LoadWithoutCastENSC_16StoreWithoutCastEEEviT_T0_T2_T3_T4_T5_
	.p2align	8
	.type	_ZN2at6native27unrolled_elementwise_kernelINS0_13AUnaryFunctorIiibNS0_12_GLOBAL__N_116CompareEqFunctorIiEEEESt5arrayIPcLm2EELi4E23TrivialOffsetCalculatorILi1EjESB_NS0_6memory15LoadWithoutCastENSC_16StoreWithoutCastEEEviT_T0_T2_T3_T4_T5_,@function
_ZN2at6native27unrolled_elementwise_kernelINS0_13AUnaryFunctorIiibNS0_12_GLOBAL__N_116CompareEqFunctorIiEEEESt5arrayIPcLm2EELi4E23TrivialOffsetCalculatorILi1EjESB_NS0_6memory15LoadWithoutCastENSC_16StoreWithoutCastEEEviT_T0_T2_T3_T4_T5_: ; @_ZN2at6native27unrolled_elementwise_kernelINS0_13AUnaryFunctorIiibNS0_12_GLOBAL__N_116CompareEqFunctorIiEEEESt5arrayIPcLm2EELi4E23TrivialOffsetCalculatorILi1EjESB_NS0_6memory15LoadWithoutCastENSC_16StoreWithoutCastEEEviT_T0_T2_T3_T4_T5_
; %bb.0:
	s_clause 0x1
	s_load_b96 s[8:10], s[0:1], 0x0
	s_load_b128 s[4:7], s[0:1], 0x10
	s_bfe_u32 s3, ttmp6, 0x4000c
	s_and_b32 s2, ttmp6, 15
	s_add_co_i32 s3, s3, 1
	s_wait_xcnt 0x0
	s_getreg_b32 s0, hwreg(HW_REG_IB_STS2, 6, 4)
	s_mul_i32 s1, ttmp9, s3
	v_dual_mov_b32 v3, 0 :: v_dual_mov_b32 v4, 0
	s_add_co_i32 s2, s2, s1
	s_cmp_eq_u32 s0, 0
	v_or_b32_e32 v1, 0x100, v0
	s_cselect_b32 s0, ttmp9, s2
	v_mov_b32_e32 v6, 0
	s_lshl_b32 s2, s0, 10
	s_delay_alu instid0(SALU_CYCLE_1) | instskip(SKIP_2) | instid1(SALU_CYCLE_1)
	v_dual_mov_b32 v5, 0 :: v_dual_bitop2_b32 v2, s2, v0 bitop3:0x54
	s_wait_kmcnt 0x0
	s_sub_co_i32 s3, s8, s2
	v_cmp_gt_i32_e32 vcc_lo, s3, v0
	s_and_saveexec_b32 s1, vcc_lo
	s_cbranch_execz .LBB44_8
; %bb.1:
	global_load_b32 v6, v2, s[6:7] scale_offset
	v_dual_mov_b32 v5, 0 :: v_dual_mov_b32 v4, 0
	v_mov_b32_e32 v3, 0
	s_mov_b32 s8, exec_lo
	s_wait_xcnt 0x0
	v_cmpx_gt_u32_e64 s3, v1
	s_cbranch_execz .LBB44_7
; %bb.2:
	v_dual_mov_b32 v4, 0 :: v_dual_add_nc_u32 v3, s2, v1
	v_or_b32_e32 v7, 0x200, v0
	s_mov_b32 s11, exec_lo
	global_load_b32 v5, v3, s[6:7] scale_offset
	s_wait_xcnt 0x0
	v_mov_b32_e32 v3, 0
	v_cmpx_gt_u32_e64 s3, v7
	s_cbranch_execz .LBB44_6
; %bb.3:
	v_add_nc_u32_e32 v3, s2, v7
	v_or_b32_e32 v7, 0x300, v0
	s_mov_b32 s12, exec_lo
	global_load_b32 v4, v3, s[6:7] scale_offset
	s_wait_xcnt 0x0
	v_mov_b32_e32 v3, 0
	v_cmpx_gt_u32_e64 s3, v7
	s_cbranch_execz .LBB44_5
; %bb.4:
	v_add_nc_u32_e32 v3, s2, v7
	global_load_b32 v3, v3, s[6:7] scale_offset
.LBB44_5:
	s_wait_xcnt 0x0
	s_or_b32 exec_lo, exec_lo, s12
.LBB44_6:
	s_delay_alu instid0(SALU_CYCLE_1)
	s_or_b32 exec_lo, exec_lo, s11
.LBB44_7:
	s_delay_alu instid0(SALU_CYCLE_1)
	s_or_b32 exec_lo, exec_lo, s8
.LBB44_8:
	s_delay_alu instid0(SALU_CYCLE_1)
	s_or_b32 exec_lo, exec_lo, s1
	s_wait_loadcnt 0x0
	v_cmp_ne_u32_e64 s0, s10, v6
	s_cmp_eq_u32 s9, 0
	v_cmp_ne_u32_e64 s1, s10, v5
	s_cselect_b32 s6, -1, 0
	s_delay_alu instid0(SALU_CYCLE_1) | instskip(NEXT) | instid1(SALU_CYCLE_1)
	s_xor_b32 s0, s6, s0
	v_cndmask_b32_e64 v5, 0, 1, s0
	s_xor_b32 s0, s6, s1
	s_delay_alu instid0(SALU_CYCLE_1) | instskip(SKIP_1) | instid1(VALU_DEP_3)
	v_cndmask_b32_e64 v6, 0, 1, s0
	v_cmp_ne_u32_e64 s0, s10, v4
	v_cndmask_b32_e32 v5, 0, v5, vcc_lo
	s_delay_alu instid0(VALU_DEP_3) | instskip(SKIP_1) | instid1(VALU_DEP_1)
	v_lshlrev_b16 v6, 8, v6
	s_xor_b32 s0, s6, s0
	v_or_b32_e32 v4, v5, v6
	v_cndmask_b32_e64 v6, 0, 1, s0
	v_cmp_gt_i32_e64 s0, s3, v1
	s_delay_alu instid0(VALU_DEP_3) | instskip(NEXT) | instid1(VALU_DEP_1)
	v_and_b32_e32 v4, 0xffff, v4
	v_dual_lshlrev_b32 v6, 16, v6 :: v_dual_cndmask_b32 v4, v5, v4, s0
	v_or_b32_e32 v5, 0x200, v0
	v_cmp_ne_u32_e64 s0, s10, v3
	s_delay_alu instid0(VALU_DEP_3) | instskip(NEXT) | instid1(VALU_DEP_3)
	v_or_b32_e32 v6, v4, v6
	v_cmp_gt_i32_e64 s1, s3, v5
	s_xor_b32 s0, s6, s0
	v_cndmask_b32_e64 v3, v4, v6, s1
	v_cndmask_b32_e64 v4, 0, 1, s0
	s_delay_alu instid0(VALU_DEP_2) | instskip(NEXT) | instid1(VALU_DEP_2)
	v_lshrrev_b32_e32 v5, 16, v3
	v_lshlrev_b16 v4, 8, v4
	s_delay_alu instid0(VALU_DEP_1) | instskip(SKIP_1) | instid1(VALU_DEP_2)
	v_bitop3_b16 v4, v5, v4, 0xff bitop3:0xec
	v_or_b32_e32 v5, 0x300, v0
	v_lshlrev_b32_e32 v4, 16, v4
	s_delay_alu instid0(VALU_DEP_2) | instskip(NEXT) | instid1(VALU_DEP_2)
	v_cmp_gt_i32_e64 s0, s3, v5
	v_and_or_b32 v4, 0xffff, v3, v4
	s_delay_alu instid0(VALU_DEP_1)
	v_cndmask_b32_e64 v3, v3, v4, s0
	s_and_saveexec_b32 s0, vcc_lo
	s_cbranch_execnz .LBB44_13
; %bb.9:
	s_or_b32 exec_lo, exec_lo, s0
	s_delay_alu instid0(SALU_CYCLE_1)
	s_mov_b32 s0, exec_lo
	v_cmpx_gt_i32_e64 s3, v0
	s_cbranch_execnz .LBB44_14
.LBB44_10:
	s_or_b32 exec_lo, exec_lo, s0
	s_delay_alu instid0(SALU_CYCLE_1)
	s_mov_b32 s0, exec_lo
	v_cmpx_gt_i32_e64 s3, v0
	s_cbranch_execnz .LBB44_15
.LBB44_11:
	s_or_b32 exec_lo, exec_lo, s0
	s_delay_alu instid0(SALU_CYCLE_1)
	s_mov_b32 s0, exec_lo
	v_cmpx_gt_i32_e64 s3, v0
	s_cbranch_execnz .LBB44_16
.LBB44_12:
	s_endpgm
.LBB44_13:
	v_mov_b32_e32 v0, v1
	global_store_b8 v2, v3, s[4:5]
	s_wait_xcnt 0x0
	s_or_b32 exec_lo, exec_lo, s0
	s_delay_alu instid0(SALU_CYCLE_1)
	s_mov_b32 s0, exec_lo
	v_cmpx_gt_i32_e64 s3, v0
	s_cbranch_execz .LBB44_10
.LBB44_14:
	v_add_nc_u32_e32 v1, 0x100, v0
	v_dual_add_nc_u32 v2, s2, v0 :: v_dual_lshrrev_b32 v4, 8, v3
	s_delay_alu instid0(VALU_DEP_2) | instskip(SKIP_3) | instid1(SALU_CYCLE_1)
	v_mov_b32_e32 v0, v1
	global_store_b8 v2, v4, s[4:5]
	s_wait_xcnt 0x0
	s_or_b32 exec_lo, exec_lo, s0
	s_mov_b32 s0, exec_lo
	v_cmpx_gt_i32_e64 s3, v0
	s_cbranch_execz .LBB44_11
.LBB44_15:
	v_add_nc_u32_e32 v1, 0x100, v0
	s_delay_alu instid0(VALU_DEP_1) | instskip(SKIP_3) | instid1(SALU_CYCLE_1)
	v_dual_add_nc_u32 v2, s2, v0 :: v_dual_mov_b32 v0, v1
	global_store_d16_hi_b8 v2, v3, s[4:5]
	s_wait_xcnt 0x0
	s_or_b32 exec_lo, exec_lo, s0
	s_mov_b32 s0, exec_lo
	v_cmpx_gt_i32_e64 s3, v0
	s_cbranch_execz .LBB44_12
.LBB44_16:
	v_dual_add_nc_u32 v0, s2, v0 :: v_dual_lshrrev_b32 v1, 24, v3
	global_store_b8 v0, v1, s[4:5]
	s_endpgm
	.section	.rodata,"a",@progbits
	.p2align	6, 0x0
	.amdhsa_kernel _ZN2at6native27unrolled_elementwise_kernelINS0_13AUnaryFunctorIiibNS0_12_GLOBAL__N_116CompareEqFunctorIiEEEESt5arrayIPcLm2EELi4E23TrivialOffsetCalculatorILi1EjESB_NS0_6memory15LoadWithoutCastENSC_16StoreWithoutCastEEEviT_T0_T2_T3_T4_T5_
		.amdhsa_group_segment_fixed_size 0
		.amdhsa_private_segment_fixed_size 0
		.amdhsa_kernarg_size 36
		.amdhsa_user_sgpr_count 2
		.amdhsa_user_sgpr_dispatch_ptr 0
		.amdhsa_user_sgpr_queue_ptr 0
		.amdhsa_user_sgpr_kernarg_segment_ptr 1
		.amdhsa_user_sgpr_dispatch_id 0
		.amdhsa_user_sgpr_kernarg_preload_length 0
		.amdhsa_user_sgpr_kernarg_preload_offset 0
		.amdhsa_user_sgpr_private_segment_size 0
		.amdhsa_wavefront_size32 1
		.amdhsa_uses_dynamic_stack 0
		.amdhsa_enable_private_segment 0
		.amdhsa_system_sgpr_workgroup_id_x 1
		.amdhsa_system_sgpr_workgroup_id_y 0
		.amdhsa_system_sgpr_workgroup_id_z 0
		.amdhsa_system_sgpr_workgroup_info 0
		.amdhsa_system_vgpr_workitem_id 0
		.amdhsa_next_free_vgpr 8
		.amdhsa_next_free_sgpr 13
		.amdhsa_named_barrier_count 0
		.amdhsa_reserve_vcc 1
		.amdhsa_float_round_mode_32 0
		.amdhsa_float_round_mode_16_64 0
		.amdhsa_float_denorm_mode_32 3
		.amdhsa_float_denorm_mode_16_64 3
		.amdhsa_fp16_overflow 0
		.amdhsa_memory_ordered 1
		.amdhsa_forward_progress 1
		.amdhsa_inst_pref_size 7
		.amdhsa_round_robin_scheduling 0
		.amdhsa_exception_fp_ieee_invalid_op 0
		.amdhsa_exception_fp_denorm_src 0
		.amdhsa_exception_fp_ieee_div_zero 0
		.amdhsa_exception_fp_ieee_overflow 0
		.amdhsa_exception_fp_ieee_underflow 0
		.amdhsa_exception_fp_ieee_inexact 0
		.amdhsa_exception_int_div_zero 0
	.end_amdhsa_kernel
	.section	.text._ZN2at6native27unrolled_elementwise_kernelINS0_13AUnaryFunctorIiibNS0_12_GLOBAL__N_116CompareEqFunctorIiEEEESt5arrayIPcLm2EELi4E23TrivialOffsetCalculatorILi1EjESB_NS0_6memory15LoadWithoutCastENSC_16StoreWithoutCastEEEviT_T0_T2_T3_T4_T5_,"axG",@progbits,_ZN2at6native27unrolled_elementwise_kernelINS0_13AUnaryFunctorIiibNS0_12_GLOBAL__N_116CompareEqFunctorIiEEEESt5arrayIPcLm2EELi4E23TrivialOffsetCalculatorILi1EjESB_NS0_6memory15LoadWithoutCastENSC_16StoreWithoutCastEEEviT_T0_T2_T3_T4_T5_,comdat
.Lfunc_end44:
	.size	_ZN2at6native27unrolled_elementwise_kernelINS0_13AUnaryFunctorIiibNS0_12_GLOBAL__N_116CompareEqFunctorIiEEEESt5arrayIPcLm2EELi4E23TrivialOffsetCalculatorILi1EjESB_NS0_6memory15LoadWithoutCastENSC_16StoreWithoutCastEEEviT_T0_T2_T3_T4_T5_, .Lfunc_end44-_ZN2at6native27unrolled_elementwise_kernelINS0_13AUnaryFunctorIiibNS0_12_GLOBAL__N_116CompareEqFunctorIiEEEESt5arrayIPcLm2EELi4E23TrivialOffsetCalculatorILi1EjESB_NS0_6memory15LoadWithoutCastENSC_16StoreWithoutCastEEEviT_T0_T2_T3_T4_T5_
                                        ; -- End function
	.set _ZN2at6native27unrolled_elementwise_kernelINS0_13AUnaryFunctorIiibNS0_12_GLOBAL__N_116CompareEqFunctorIiEEEESt5arrayIPcLm2EELi4E23TrivialOffsetCalculatorILi1EjESB_NS0_6memory15LoadWithoutCastENSC_16StoreWithoutCastEEEviT_T0_T2_T3_T4_T5_.num_vgpr, 8
	.set _ZN2at6native27unrolled_elementwise_kernelINS0_13AUnaryFunctorIiibNS0_12_GLOBAL__N_116CompareEqFunctorIiEEEESt5arrayIPcLm2EELi4E23TrivialOffsetCalculatorILi1EjESB_NS0_6memory15LoadWithoutCastENSC_16StoreWithoutCastEEEviT_T0_T2_T3_T4_T5_.num_agpr, 0
	.set _ZN2at6native27unrolled_elementwise_kernelINS0_13AUnaryFunctorIiibNS0_12_GLOBAL__N_116CompareEqFunctorIiEEEESt5arrayIPcLm2EELi4E23TrivialOffsetCalculatorILi1EjESB_NS0_6memory15LoadWithoutCastENSC_16StoreWithoutCastEEEviT_T0_T2_T3_T4_T5_.numbered_sgpr, 13
	.set _ZN2at6native27unrolled_elementwise_kernelINS0_13AUnaryFunctorIiibNS0_12_GLOBAL__N_116CompareEqFunctorIiEEEESt5arrayIPcLm2EELi4E23TrivialOffsetCalculatorILi1EjESB_NS0_6memory15LoadWithoutCastENSC_16StoreWithoutCastEEEviT_T0_T2_T3_T4_T5_.num_named_barrier, 0
	.set _ZN2at6native27unrolled_elementwise_kernelINS0_13AUnaryFunctorIiibNS0_12_GLOBAL__N_116CompareEqFunctorIiEEEESt5arrayIPcLm2EELi4E23TrivialOffsetCalculatorILi1EjESB_NS0_6memory15LoadWithoutCastENSC_16StoreWithoutCastEEEviT_T0_T2_T3_T4_T5_.private_seg_size, 0
	.set _ZN2at6native27unrolled_elementwise_kernelINS0_13AUnaryFunctorIiibNS0_12_GLOBAL__N_116CompareEqFunctorIiEEEESt5arrayIPcLm2EELi4E23TrivialOffsetCalculatorILi1EjESB_NS0_6memory15LoadWithoutCastENSC_16StoreWithoutCastEEEviT_T0_T2_T3_T4_T5_.uses_vcc, 1
	.set _ZN2at6native27unrolled_elementwise_kernelINS0_13AUnaryFunctorIiibNS0_12_GLOBAL__N_116CompareEqFunctorIiEEEESt5arrayIPcLm2EELi4E23TrivialOffsetCalculatorILi1EjESB_NS0_6memory15LoadWithoutCastENSC_16StoreWithoutCastEEEviT_T0_T2_T3_T4_T5_.uses_flat_scratch, 0
	.set _ZN2at6native27unrolled_elementwise_kernelINS0_13AUnaryFunctorIiibNS0_12_GLOBAL__N_116CompareEqFunctorIiEEEESt5arrayIPcLm2EELi4E23TrivialOffsetCalculatorILi1EjESB_NS0_6memory15LoadWithoutCastENSC_16StoreWithoutCastEEEviT_T0_T2_T3_T4_T5_.has_dyn_sized_stack, 0
	.set _ZN2at6native27unrolled_elementwise_kernelINS0_13AUnaryFunctorIiibNS0_12_GLOBAL__N_116CompareEqFunctorIiEEEESt5arrayIPcLm2EELi4E23TrivialOffsetCalculatorILi1EjESB_NS0_6memory15LoadWithoutCastENSC_16StoreWithoutCastEEEviT_T0_T2_T3_T4_T5_.has_recursion, 0
	.set _ZN2at6native27unrolled_elementwise_kernelINS0_13AUnaryFunctorIiibNS0_12_GLOBAL__N_116CompareEqFunctorIiEEEESt5arrayIPcLm2EELi4E23TrivialOffsetCalculatorILi1EjESB_NS0_6memory15LoadWithoutCastENSC_16StoreWithoutCastEEEviT_T0_T2_T3_T4_T5_.has_indirect_call, 0
	.section	.AMDGPU.csdata,"",@progbits
; Kernel info:
; codeLenInByte = 856
; TotalNumSgprs: 15
; NumVgprs: 8
; ScratchSize: 0
; MemoryBound: 0
; FloatMode: 240
; IeeeMode: 1
; LDSByteSize: 0 bytes/workgroup (compile time only)
; SGPRBlocks: 0
; VGPRBlocks: 0
; NumSGPRsForWavesPerEU: 15
; NumVGPRsForWavesPerEU: 8
; NamedBarCnt: 0
; Occupancy: 16
; WaveLimiterHint : 0
; COMPUTE_PGM_RSRC2:SCRATCH_EN: 0
; COMPUTE_PGM_RSRC2:USER_SGPR: 2
; COMPUTE_PGM_RSRC2:TRAP_HANDLER: 0
; COMPUTE_PGM_RSRC2:TGID_X_EN: 1
; COMPUTE_PGM_RSRC2:TGID_Y_EN: 0
; COMPUTE_PGM_RSRC2:TGID_Z_EN: 0
; COMPUTE_PGM_RSRC2:TIDIG_COMP_CNT: 0
	.section	.text._ZN2at6native32elementwise_kernel_manual_unrollILi128ELi8EZNS0_22gpu_kernel_impl_nocastINS0_13AUnaryFunctorIiibNS0_12_GLOBAL__N_116CompareEqFunctorIiEEEEEEvRNS_18TensorIteratorBaseERKT_EUlibE_EEviT1_,"axG",@progbits,_ZN2at6native32elementwise_kernel_manual_unrollILi128ELi8EZNS0_22gpu_kernel_impl_nocastINS0_13AUnaryFunctorIiibNS0_12_GLOBAL__N_116CompareEqFunctorIiEEEEEEvRNS_18TensorIteratorBaseERKT_EUlibE_EEviT1_,comdat
	.globl	_ZN2at6native32elementwise_kernel_manual_unrollILi128ELi8EZNS0_22gpu_kernel_impl_nocastINS0_13AUnaryFunctorIiibNS0_12_GLOBAL__N_116CompareEqFunctorIiEEEEEEvRNS_18TensorIteratorBaseERKT_EUlibE_EEviT1_ ; -- Begin function _ZN2at6native32elementwise_kernel_manual_unrollILi128ELi8EZNS0_22gpu_kernel_impl_nocastINS0_13AUnaryFunctorIiibNS0_12_GLOBAL__N_116CompareEqFunctorIiEEEEEEvRNS_18TensorIteratorBaseERKT_EUlibE_EEviT1_
	.p2align	8
	.type	_ZN2at6native32elementwise_kernel_manual_unrollILi128ELi8EZNS0_22gpu_kernel_impl_nocastINS0_13AUnaryFunctorIiibNS0_12_GLOBAL__N_116CompareEqFunctorIiEEEEEEvRNS_18TensorIteratorBaseERKT_EUlibE_EEviT1_,@function
_ZN2at6native32elementwise_kernel_manual_unrollILi128ELi8EZNS0_22gpu_kernel_impl_nocastINS0_13AUnaryFunctorIiibNS0_12_GLOBAL__N_116CompareEqFunctorIiEEEEEEvRNS_18TensorIteratorBaseERKT_EUlibE_EEviT1_: ; @_ZN2at6native32elementwise_kernel_manual_unrollILi128ELi8EZNS0_22gpu_kernel_impl_nocastINS0_13AUnaryFunctorIiibNS0_12_GLOBAL__N_116CompareEqFunctorIiEEEEEEvRNS_18TensorIteratorBaseERKT_EUlibE_EEviT1_
; %bb.0:
	s_clause 0x1
	s_load_b32 s30, s[0:1], 0x8
	s_load_b32 s36, s[0:1], 0x0
	s_bfe_u32 s2, ttmp6, 0x4000c
	s_and_b32 s3, ttmp6, 15
	s_add_co_i32 s2, s2, 1
	s_getreg_b32 s4, hwreg(HW_REG_IB_STS2, 6, 4)
	s_mul_i32 s2, ttmp9, s2
	s_add_nc_u64 s[12:13], s[0:1], 8
	s_add_co_i32 s3, s3, s2
	s_cmp_eq_u32 s4, 0
	s_mov_b32 s19, 0
	s_cselect_b32 s2, ttmp9, s3
	s_wait_xcnt 0x0
	s_mov_b32 s0, exec_lo
	v_lshl_or_b32 v0, s2, 10, v0
	s_delay_alu instid0(VALU_DEP_1) | instskip(SKIP_2) | instid1(SALU_CYCLE_1)
	v_or_b32_e32 v16, 0x380, v0
	s_wait_kmcnt 0x0
	s_add_co_i32 s31, s30, -1
	s_cmp_gt_u32 s31, 1
	s_cselect_b32 s33, -1, 0
	v_cmpx_le_i32_e64 s36, v16
	s_xor_b32 s34, exec_lo, s0
	s_cbranch_execz .LBB45_7
; %bb.1:
	s_clause 0x4
	s_load_b128 s[4:7], s[12:13], 0x4
	s_load_b64 s[16:17], s[12:13], 0x14
	s_load_b64 s[14:15], s[12:13], 0x158
	s_load_b128 s[8:11], s[12:13], 0xc4
	s_load_b128 s[0:3], s[12:13], 0x148
	s_cmp_lg_u32 s30, 0
	s_add_nc_u64 s[22:23], s[12:13], 0xc4
	s_cselect_b32 s38, -1, 0
	s_min_u32 s37, s31, 15
	s_cmp_gt_u32 s30, 1
	s_mov_b32 s21, s19
	s_cselect_b32 s35, -1, 0
	s_wait_kmcnt 0x0
	s_mov_b32 s18, s5
	s_mov_b32 s20, s16
	s_cmp_eq_u32 s14, 0
	s_mov_b32 s14, exec_lo
	s_cselect_b32 s5, -1, 0
	v_cmpx_gt_i32_e64 s36, v0
	s_cbranch_execz .LBB45_14
; %bb.2:
	s_and_not1_b32 vcc_lo, exec_lo, s33
	s_cbranch_vccnz .LBB45_21
; %bb.3:
	s_and_not1_b32 vcc_lo, exec_lo, s38
	s_cbranch_vccnz .LBB45_129
; %bb.4:
	s_add_co_i32 s16, s37, 1
	s_cmp_eq_u32 s31, 2
	s_cbranch_scc1 .LBB45_131
; %bb.5:
	v_dual_mov_b32 v2, 0 :: v_dual_mov_b32 v3, 0
	v_mov_b32_e32 v1, v0
	s_and_b32 s24, s16, 28
	s_mov_b32 s25, 0
	s_mov_b64 s[26:27], s[12:13]
	s_mov_b64 s[28:29], s[22:23]
.LBB45_6:                               ; =>This Inner Loop Header: Depth=1
	s_clause 0x1
	s_load_b256 s[40:47], s[26:27], 0x4
	s_load_b128 s[56:59], s[26:27], 0x24
	s_load_b256 s[48:55], s[28:29], 0x0
	s_add_co_i32 s25, s25, 4
	s_wait_xcnt 0x0
	s_add_nc_u64 s[26:27], s[26:27], 48
	s_cmp_lg_u32 s24, s25
	s_add_nc_u64 s[28:29], s[28:29], 32
	s_wait_kmcnt 0x0
	v_mul_hi_u32 v4, s41, v1
	s_delay_alu instid0(VALU_DEP_1) | instskip(NEXT) | instid1(VALU_DEP_1)
	v_add_nc_u32_e32 v4, v1, v4
	v_lshrrev_b32_e32 v4, s42, v4
	s_delay_alu instid0(VALU_DEP_1) | instskip(NEXT) | instid1(VALU_DEP_1)
	v_mul_hi_u32 v5, s44, v4
	v_add_nc_u32_e32 v5, v4, v5
	s_delay_alu instid0(VALU_DEP_1) | instskip(NEXT) | instid1(VALU_DEP_1)
	v_lshrrev_b32_e32 v5, s45, v5
	v_mul_hi_u32 v6, s47, v5
	s_delay_alu instid0(VALU_DEP_1) | instskip(SKIP_1) | instid1(VALU_DEP_1)
	v_add_nc_u32_e32 v6, v5, v6
	v_mul_lo_u32 v7, v4, s40
	v_sub_nc_u32_e32 v1, v1, v7
	v_mul_lo_u32 v7, v5, s43
	s_delay_alu instid0(VALU_DEP_4) | instskip(NEXT) | instid1(VALU_DEP_3)
	v_lshrrev_b32_e32 v6, s56, v6
	v_mad_u32 v3, v1, s49, v3
	v_mad_u32 v1, v1, s48, v2
	s_delay_alu instid0(VALU_DEP_4) | instskip(NEXT) | instid1(VALU_DEP_4)
	v_sub_nc_u32_e32 v2, v4, v7
	v_mul_hi_u32 v8, s58, v6
	v_mul_lo_u32 v4, v6, s46
	s_delay_alu instid0(VALU_DEP_3) | instskip(SKIP_1) | instid1(VALU_DEP_4)
	v_mad_u32 v3, v2, s51, v3
	v_mad_u32 v2, v2, s50, v1
	v_add_nc_u32_e32 v7, v6, v8
	s_delay_alu instid0(VALU_DEP_1) | instskip(NEXT) | instid1(VALU_DEP_1)
	v_dual_sub_nc_u32 v4, v5, v4 :: v_dual_lshrrev_b32 v1, s59, v7
	v_mad_u32 v3, v4, s53, v3
	s_delay_alu instid0(VALU_DEP_4) | instskip(NEXT) | instid1(VALU_DEP_3)
	v_mad_u32 v2, v4, s52, v2
	v_mul_lo_u32 v5, v1, s57
	s_delay_alu instid0(VALU_DEP_1) | instskip(NEXT) | instid1(VALU_DEP_1)
	v_sub_nc_u32_e32 v4, v6, v5
	v_mad_u32 v3, v4, s55, v3
	s_delay_alu instid0(VALU_DEP_4)
	v_mad_u32 v2, v4, s54, v2
	s_cbranch_scc1 .LBB45_6
	s_branch .LBB45_132
.LBB45_7:
	s_and_not1_saveexec_b32 s0, s34
	s_cbranch_execz .LBB45_221
.LBB45_8:
	v_cndmask_b32_e64 v14, 0, 1, s33
	s_and_not1_b32 vcc_lo, exec_lo, s33
	s_cbranch_vccnz .LBB45_20
; %bb.9:
	s_cmp_lg_u32 s30, 0
	s_mov_b32 s6, 0
	s_cbranch_scc0 .LBB45_23
; %bb.10:
	s_min_u32 s1, s31, 15
	s_delay_alu instid0(SALU_CYCLE_1)
	s_add_co_i32 s1, s1, 1
	s_cmp_eq_u32 s31, 2
	s_cbranch_scc1 .LBB45_24
; %bb.11:
	v_dual_mov_b32 v2, 0 :: v_dual_mov_b32 v3, 0
	v_mov_b32_e32 v1, v0
	s_and_b32 s0, s1, 28
	s_add_nc_u64 s[2:3], s[12:13], 0xc4
	s_mov_b32 s7, 0
	s_mov_b64 s[4:5], s[12:13]
.LBB45_12:                              ; =>This Inner Loop Header: Depth=1
	s_clause 0x1
	s_load_b256 s[16:23], s[4:5], 0x4
	s_load_b128 s[8:11], s[4:5], 0x24
	s_load_b256 s[36:43], s[2:3], 0x0
	s_add_co_i32 s7, s7, 4
	s_wait_xcnt 0x0
	s_add_nc_u64 s[4:5], s[4:5], 48
	s_cmp_lg_u32 s0, s7
	s_add_nc_u64 s[2:3], s[2:3], 32
	s_wait_kmcnt 0x0
	v_mul_hi_u32 v4, s17, v1
	s_delay_alu instid0(VALU_DEP_1) | instskip(NEXT) | instid1(VALU_DEP_1)
	v_add_nc_u32_e32 v4, v1, v4
	v_lshrrev_b32_e32 v4, s18, v4
	s_delay_alu instid0(VALU_DEP_1) | instskip(NEXT) | instid1(VALU_DEP_1)
	v_mul_hi_u32 v5, s20, v4
	v_add_nc_u32_e32 v5, v4, v5
	s_delay_alu instid0(VALU_DEP_1) | instskip(NEXT) | instid1(VALU_DEP_1)
	v_lshrrev_b32_e32 v5, s21, v5
	v_mul_hi_u32 v6, s23, v5
	s_delay_alu instid0(VALU_DEP_1) | instskip(SKIP_1) | instid1(VALU_DEP_1)
	v_add_nc_u32_e32 v6, v5, v6
	v_mul_lo_u32 v7, v4, s16
	v_sub_nc_u32_e32 v1, v1, v7
	v_mul_lo_u32 v7, v5, s19
	s_delay_alu instid0(VALU_DEP_4) | instskip(NEXT) | instid1(VALU_DEP_3)
	v_lshrrev_b32_e32 v6, s8, v6
	v_mad_u32 v3, v1, s37, v3
	v_mad_u32 v1, v1, s36, v2
	s_delay_alu instid0(VALU_DEP_4) | instskip(NEXT) | instid1(VALU_DEP_4)
	v_sub_nc_u32_e32 v2, v4, v7
	v_mul_hi_u32 v8, s10, v6
	v_mul_lo_u32 v4, v6, s22
	s_delay_alu instid0(VALU_DEP_3) | instskip(SKIP_1) | instid1(VALU_DEP_4)
	v_mad_u32 v3, v2, s39, v3
	v_mad_u32 v2, v2, s38, v1
	v_add_nc_u32_e32 v7, v6, v8
	s_delay_alu instid0(VALU_DEP_1) | instskip(NEXT) | instid1(VALU_DEP_1)
	v_dual_sub_nc_u32 v4, v5, v4 :: v_dual_lshrrev_b32 v1, s11, v7
	v_mad_u32 v3, v4, s41, v3
	s_delay_alu instid0(VALU_DEP_4) | instskip(NEXT) | instid1(VALU_DEP_3)
	v_mad_u32 v2, v4, s40, v2
	v_mul_lo_u32 v5, v1, s9
	s_delay_alu instid0(VALU_DEP_1) | instskip(NEXT) | instid1(VALU_DEP_1)
	v_sub_nc_u32_e32 v4, v6, v5
	v_mad_u32 v3, v4, s43, v3
	s_delay_alu instid0(VALU_DEP_4)
	v_mad_u32 v2, v4, s42, v2
	s_cbranch_scc1 .LBB45_12
; %bb.13:
	s_and_b32 s4, s1, 3
	s_mov_b32 s1, 0
	s_cmp_eq_u32 s4, 0
	s_cbranch_scc0 .LBB45_25
	s_branch .LBB45_27
.LBB45_14:
	s_or_b32 exec_lo, exec_lo, s14
	s_delay_alu instid0(SALU_CYCLE_1)
	s_mov_b32 s14, exec_lo
	v_cmpx_gt_i32_e64 s36, v0
	s_cbranch_execz .LBB45_139
.LBB45_15:
	s_and_not1_b32 vcc_lo, exec_lo, s33
	s_cbranch_vccnz .LBB45_22
; %bb.16:
	s_and_not1_b32 vcc_lo, exec_lo, s38
	s_cbranch_vccnz .LBB45_130
; %bb.17:
	s_add_co_i32 s16, s37, 1
	s_cmp_eq_u32 s31, 2
	s_cbranch_scc1 .LBB45_147
; %bb.18:
	v_dual_mov_b32 v2, 0 :: v_dual_mov_b32 v3, 0
	v_mov_b32_e32 v1, v0
	s_and_b32 s24, s16, 28
	s_mov_b32 s25, 0
	s_mov_b64 s[26:27], s[12:13]
	s_mov_b64 s[28:29], s[22:23]
.LBB45_19:                              ; =>This Inner Loop Header: Depth=1
	s_clause 0x1
	s_load_b256 s[40:47], s[26:27], 0x4
	s_load_b128 s[56:59], s[26:27], 0x24
	s_load_b256 s[48:55], s[28:29], 0x0
	s_add_co_i32 s25, s25, 4
	s_wait_xcnt 0x0
	s_add_nc_u64 s[26:27], s[26:27], 48
	s_cmp_eq_u32 s24, s25
	s_add_nc_u64 s[28:29], s[28:29], 32
	s_wait_kmcnt 0x0
	v_mul_hi_u32 v4, s41, v1
	s_delay_alu instid0(VALU_DEP_1) | instskip(NEXT) | instid1(VALU_DEP_1)
	v_add_nc_u32_e32 v4, v1, v4
	v_lshrrev_b32_e32 v4, s42, v4
	s_delay_alu instid0(VALU_DEP_1) | instskip(NEXT) | instid1(VALU_DEP_1)
	v_mul_hi_u32 v5, s44, v4
	v_add_nc_u32_e32 v5, v4, v5
	s_delay_alu instid0(VALU_DEP_1) | instskip(NEXT) | instid1(VALU_DEP_1)
	v_lshrrev_b32_e32 v5, s45, v5
	v_mul_hi_u32 v6, s47, v5
	s_delay_alu instid0(VALU_DEP_1) | instskip(SKIP_1) | instid1(VALU_DEP_1)
	v_add_nc_u32_e32 v6, v5, v6
	v_mul_lo_u32 v7, v4, s40
	v_sub_nc_u32_e32 v1, v1, v7
	v_mul_lo_u32 v7, v5, s43
	s_delay_alu instid0(VALU_DEP_4) | instskip(NEXT) | instid1(VALU_DEP_3)
	v_lshrrev_b32_e32 v6, s56, v6
	v_mad_u32 v3, v1, s49, v3
	v_mad_u32 v1, v1, s48, v2
	s_delay_alu instid0(VALU_DEP_4) | instskip(NEXT) | instid1(VALU_DEP_4)
	v_sub_nc_u32_e32 v2, v4, v7
	v_mul_hi_u32 v8, s58, v6
	v_mul_lo_u32 v4, v6, s46
	s_delay_alu instid0(VALU_DEP_3) | instskip(SKIP_1) | instid1(VALU_DEP_4)
	v_mad_u32 v3, v2, s51, v3
	v_mad_u32 v2, v2, s50, v1
	v_add_nc_u32_e32 v7, v6, v8
	s_delay_alu instid0(VALU_DEP_1) | instskip(NEXT) | instid1(VALU_DEP_1)
	v_dual_sub_nc_u32 v4, v5, v4 :: v_dual_lshrrev_b32 v1, s59, v7
	v_mad_u32 v3, v4, s53, v3
	s_delay_alu instid0(VALU_DEP_4) | instskip(NEXT) | instid1(VALU_DEP_3)
	v_mad_u32 v2, v4, s52, v2
	v_mul_lo_u32 v5, v1, s57
	s_delay_alu instid0(VALU_DEP_1) | instskip(NEXT) | instid1(VALU_DEP_1)
	v_sub_nc_u32_e32 v4, v6, v5
	v_mad_u32 v3, v4, s55, v3
	s_delay_alu instid0(VALU_DEP_4)
	v_mad_u32 v2, v4, s54, v2
	s_cbranch_scc0 .LBB45_19
	s_branch .LBB45_148
.LBB45_20:
	s_mov_b32 s6, -1
                                        ; implicit-def: $vgpr3
	s_branch .LBB45_27
.LBB45_21:
                                        ; implicit-def: $vgpr3
	s_branch .LBB45_136
.LBB45_22:
                                        ; implicit-def: $vgpr3
	s_branch .LBB45_152
.LBB45_23:
	v_dual_mov_b32 v3, 0 :: v_dual_mov_b32 v2, 0
	s_branch .LBB45_27
.LBB45_24:
	v_mov_b64_e32 v[2:3], 0
	v_mov_b32_e32 v1, v0
	s_mov_b32 s0, 0
	s_and_b32 s4, s1, 3
	s_mov_b32 s1, 0
	s_cmp_eq_u32 s4, 0
	s_cbranch_scc1 .LBB45_27
.LBB45_25:
	s_lshl_b32 s2, s0, 3
	s_mov_b32 s3, s1
	s_mul_u64 s[8:9], s[0:1], 12
	s_add_nc_u64 s[2:3], s[12:13], s[2:3]
	s_delay_alu instid0(SALU_CYCLE_1)
	s_add_nc_u64 s[0:1], s[2:3], 0xc4
	s_add_nc_u64 s[2:3], s[12:13], s[8:9]
.LBB45_26:                              ; =>This Inner Loop Header: Depth=1
	s_load_b96 s[8:10], s[2:3], 0x4
	s_add_co_i32 s4, s4, -1
	s_wait_xcnt 0x0
	s_add_nc_u64 s[2:3], s[2:3], 12
	s_cmp_lg_u32 s4, 0
	s_wait_kmcnt 0x0
	v_mul_hi_u32 v4, s9, v1
	s_delay_alu instid0(VALU_DEP_1) | instskip(NEXT) | instid1(VALU_DEP_1)
	v_add_nc_u32_e32 v4, v1, v4
	v_lshrrev_b32_e32 v4, s10, v4
	s_load_b64 s[10:11], s[0:1], 0x0
	s_wait_xcnt 0x0
	s_add_nc_u64 s[0:1], s[0:1], 8
	s_delay_alu instid0(VALU_DEP_1) | instskip(NEXT) | instid1(VALU_DEP_1)
	v_mul_lo_u32 v5, v4, s8
	v_sub_nc_u32_e32 v1, v1, v5
	s_wait_kmcnt 0x0
	s_delay_alu instid0(VALU_DEP_1)
	v_mad_u32 v3, v1, s11, v3
	v_mad_u32 v2, v1, s10, v2
	v_mov_b32_e32 v1, v4
	s_cbranch_scc1 .LBB45_26
.LBB45_27:
	s_and_not1_b32 vcc_lo, exec_lo, s6
	s_cbranch_vccnz .LBB45_30
; %bb.28:
	s_clause 0x1
	s_load_b96 s[0:2], s[12:13], 0x4
	s_load_b64 s[4:5], s[12:13], 0xc4
	s_cmp_lt_u32 s30, 2
	s_wait_kmcnt 0x0
	v_mul_hi_u32 v1, s1, v0
	s_delay_alu instid0(VALU_DEP_1) | instskip(NEXT) | instid1(VALU_DEP_1)
	v_add_nc_u32_e32 v1, v0, v1
	v_lshrrev_b32_e32 v1, s2, v1
	s_delay_alu instid0(VALU_DEP_1) | instskip(NEXT) | instid1(VALU_DEP_1)
	v_mul_lo_u32 v2, v1, s0
	v_sub_nc_u32_e32 v2, v0, v2
	s_delay_alu instid0(VALU_DEP_1)
	v_mul_lo_u32 v3, v2, s5
	v_mul_lo_u32 v2, v2, s4
	s_cbranch_scc1 .LBB45_30
; %bb.29:
	s_clause 0x1
	s_load_b96 s[0:2], s[12:13], 0x10
	s_load_b64 s[4:5], s[12:13], 0xcc
	s_wait_kmcnt 0x0
	v_mul_hi_u32 v4, s1, v1
	s_delay_alu instid0(VALU_DEP_1) | instskip(NEXT) | instid1(VALU_DEP_1)
	v_add_nc_u32_e32 v4, v1, v4
	v_lshrrev_b32_e32 v4, s2, v4
	s_delay_alu instid0(VALU_DEP_1) | instskip(NEXT) | instid1(VALU_DEP_1)
	v_mul_lo_u32 v4, v4, s0
	v_sub_nc_u32_e32 v1, v1, v4
	s_delay_alu instid0(VALU_DEP_1)
	v_mad_u32 v2, v1, s4, v2
	v_mad_u32 v3, v1, s5, v3
.LBB45_30:
	v_cmp_ne_u32_e32 vcc_lo, 1, v14
	v_add_nc_u32_e32 v1, 0x80, v0
	s_cbranch_vccnz .LBB45_36
; %bb.31:
	s_cmp_lg_u32 s30, 0
	s_mov_b32 s6, 0
	s_cbranch_scc0 .LBB45_37
; %bb.32:
	s_min_u32 s1, s31, 15
	s_delay_alu instid0(SALU_CYCLE_1)
	s_add_co_i32 s1, s1, 1
	s_cmp_eq_u32 s31, 2
	s_cbranch_scc1 .LBB45_38
; %bb.33:
	v_dual_mov_b32 v4, 0 :: v_dual_mov_b32 v5, 0
	v_mov_b32_e32 v6, v1
	s_and_b32 s0, s1, 28
	s_add_nc_u64 s[2:3], s[12:13], 0xc4
	s_mov_b32 s7, 0
	s_mov_b64 s[4:5], s[12:13]
.LBB45_34:                              ; =>This Inner Loop Header: Depth=1
	s_clause 0x1
	s_load_b256 s[16:23], s[4:5], 0x4
	s_load_b128 s[8:11], s[4:5], 0x24
	s_load_b256 s[36:43], s[2:3], 0x0
	s_add_co_i32 s7, s7, 4
	s_wait_xcnt 0x0
	s_add_nc_u64 s[4:5], s[4:5], 48
	s_cmp_lg_u32 s0, s7
	s_add_nc_u64 s[2:3], s[2:3], 32
	s_wait_kmcnt 0x0
	v_mul_hi_u32 v7, s17, v6
	s_delay_alu instid0(VALU_DEP_1) | instskip(NEXT) | instid1(VALU_DEP_1)
	v_add_nc_u32_e32 v7, v6, v7
	v_lshrrev_b32_e32 v7, s18, v7
	s_delay_alu instid0(VALU_DEP_1) | instskip(NEXT) | instid1(VALU_DEP_1)
	v_mul_hi_u32 v8, s20, v7
	v_add_nc_u32_e32 v8, v7, v8
	s_delay_alu instid0(VALU_DEP_1) | instskip(NEXT) | instid1(VALU_DEP_1)
	v_lshrrev_b32_e32 v8, s21, v8
	v_mul_hi_u32 v9, s23, v8
	s_delay_alu instid0(VALU_DEP_1) | instskip(SKIP_1) | instid1(VALU_DEP_1)
	v_add_nc_u32_e32 v9, v8, v9
	v_mul_lo_u32 v10, v7, s16
	v_sub_nc_u32_e32 v6, v6, v10
	v_mul_lo_u32 v10, v8, s19
	s_delay_alu instid0(VALU_DEP_4) | instskip(NEXT) | instid1(VALU_DEP_3)
	v_lshrrev_b32_e32 v9, s8, v9
	v_mad_u32 v5, v6, s37, v5
	v_mad_u32 v4, v6, s36, v4
	s_delay_alu instid0(VALU_DEP_4) | instskip(NEXT) | instid1(VALU_DEP_4)
	v_sub_nc_u32_e32 v6, v7, v10
	v_mul_hi_u32 v11, s10, v9
	v_mul_lo_u32 v7, v9, s22
	s_delay_alu instid0(VALU_DEP_3) | instskip(SKIP_1) | instid1(VALU_DEP_4)
	v_mad_u32 v5, v6, s39, v5
	v_mad_u32 v4, v6, s38, v4
	v_add_nc_u32_e32 v10, v9, v11
	s_delay_alu instid0(VALU_DEP_1) | instskip(NEXT) | instid1(VALU_DEP_1)
	v_dual_sub_nc_u32 v7, v8, v7 :: v_dual_lshrrev_b32 v6, s11, v10
	v_mad_u32 v5, v7, s41, v5
	s_delay_alu instid0(VALU_DEP_4) | instskip(NEXT) | instid1(VALU_DEP_3)
	v_mad_u32 v4, v7, s40, v4
	v_mul_lo_u32 v8, v6, s9
	s_delay_alu instid0(VALU_DEP_1) | instskip(NEXT) | instid1(VALU_DEP_1)
	v_sub_nc_u32_e32 v7, v9, v8
	v_mad_u32 v5, v7, s43, v5
	s_delay_alu instid0(VALU_DEP_4)
	v_mad_u32 v4, v7, s42, v4
	s_cbranch_scc1 .LBB45_34
; %bb.35:
	s_and_b32 s4, s1, 3
	s_mov_b32 s1, 0
	s_cmp_eq_u32 s4, 0
	s_cbranch_scc0 .LBB45_39
	s_branch .LBB45_41
.LBB45_36:
	s_mov_b32 s6, -1
                                        ; implicit-def: $vgpr5
	s_branch .LBB45_41
.LBB45_37:
	v_dual_mov_b32 v5, 0 :: v_dual_mov_b32 v4, 0
	s_branch .LBB45_41
.LBB45_38:
	v_mov_b64_e32 v[4:5], 0
	v_mov_b32_e32 v6, v1
	s_mov_b32 s0, 0
	s_and_b32 s4, s1, 3
	s_mov_b32 s1, 0
	s_cmp_eq_u32 s4, 0
	s_cbranch_scc1 .LBB45_41
.LBB45_39:
	s_lshl_b32 s2, s0, 3
	s_mov_b32 s3, s1
	s_mul_u64 s[8:9], s[0:1], 12
	s_add_nc_u64 s[2:3], s[12:13], s[2:3]
	s_delay_alu instid0(SALU_CYCLE_1)
	s_add_nc_u64 s[0:1], s[2:3], 0xc4
	s_add_nc_u64 s[2:3], s[12:13], s[8:9]
.LBB45_40:                              ; =>This Inner Loop Header: Depth=1
	s_load_b96 s[8:10], s[2:3], 0x4
	s_add_co_i32 s4, s4, -1
	s_wait_xcnt 0x0
	s_add_nc_u64 s[2:3], s[2:3], 12
	s_cmp_lg_u32 s4, 0
	s_wait_kmcnt 0x0
	v_mul_hi_u32 v7, s9, v6
	s_delay_alu instid0(VALU_DEP_1) | instskip(NEXT) | instid1(VALU_DEP_1)
	v_add_nc_u32_e32 v7, v6, v7
	v_lshrrev_b32_e32 v7, s10, v7
	s_load_b64 s[10:11], s[0:1], 0x0
	s_wait_xcnt 0x0
	s_add_nc_u64 s[0:1], s[0:1], 8
	s_delay_alu instid0(VALU_DEP_1) | instskip(NEXT) | instid1(VALU_DEP_1)
	v_mul_lo_u32 v8, v7, s8
	v_sub_nc_u32_e32 v6, v6, v8
	s_wait_kmcnt 0x0
	s_delay_alu instid0(VALU_DEP_1)
	v_mad_u32 v5, v6, s11, v5
	v_mad_u32 v4, v6, s10, v4
	v_mov_b32_e32 v6, v7
	s_cbranch_scc1 .LBB45_40
.LBB45_41:
	s_and_not1_b32 vcc_lo, exec_lo, s6
	s_cbranch_vccnz .LBB45_44
; %bb.42:
	s_clause 0x1
	s_load_b96 s[0:2], s[12:13], 0x4
	s_load_b64 s[4:5], s[12:13], 0xc4
	s_cmp_lt_u32 s30, 2
	s_wait_kmcnt 0x0
	v_mul_hi_u32 v4, s1, v1
	s_delay_alu instid0(VALU_DEP_1) | instskip(NEXT) | instid1(VALU_DEP_1)
	v_add_nc_u32_e32 v4, v1, v4
	v_lshrrev_b32_e32 v6, s2, v4
	s_delay_alu instid0(VALU_DEP_1) | instskip(NEXT) | instid1(VALU_DEP_1)
	v_mul_lo_u32 v4, v6, s0
	v_sub_nc_u32_e32 v1, v1, v4
	s_delay_alu instid0(VALU_DEP_1)
	v_mul_lo_u32 v5, v1, s5
	v_mul_lo_u32 v4, v1, s4
	s_cbranch_scc1 .LBB45_44
; %bb.43:
	s_clause 0x1
	s_load_b96 s[0:2], s[12:13], 0x10
	s_load_b64 s[4:5], s[12:13], 0xcc
	s_wait_kmcnt 0x0
	v_mul_hi_u32 v1, s1, v6
	s_delay_alu instid0(VALU_DEP_1) | instskip(NEXT) | instid1(VALU_DEP_1)
	v_add_nc_u32_e32 v1, v6, v1
	v_lshrrev_b32_e32 v1, s2, v1
	s_delay_alu instid0(VALU_DEP_1) | instskip(NEXT) | instid1(VALU_DEP_1)
	v_mul_lo_u32 v1, v1, s0
	v_sub_nc_u32_e32 v1, v6, v1
	s_delay_alu instid0(VALU_DEP_1)
	v_mad_u32 v4, v1, s4, v4
	v_mad_u32 v5, v1, s5, v5
.LBB45_44:
	v_cmp_ne_u32_e32 vcc_lo, 1, v14
	v_add_nc_u32_e32 v1, 0x100, v0
	s_cbranch_vccnz .LBB45_50
; %bb.45:
	s_cmp_lg_u32 s30, 0
	s_mov_b32 s6, 0
	s_cbranch_scc0 .LBB45_51
; %bb.46:
	s_min_u32 s1, s31, 15
	s_delay_alu instid0(SALU_CYCLE_1)
	s_add_co_i32 s1, s1, 1
	s_cmp_eq_u32 s31, 2
	s_cbranch_scc1 .LBB45_52
; %bb.47:
	v_dual_mov_b32 v6, 0 :: v_dual_mov_b32 v7, 0
	v_mov_b32_e32 v8, v1
	s_and_b32 s0, s1, 28
	s_add_nc_u64 s[2:3], s[12:13], 0xc4
	s_mov_b32 s7, 0
	s_mov_b64 s[4:5], s[12:13]
.LBB45_48:                              ; =>This Inner Loop Header: Depth=1
	s_clause 0x1
	s_load_b256 s[16:23], s[4:5], 0x4
	s_load_b128 s[8:11], s[4:5], 0x24
	s_load_b256 s[36:43], s[2:3], 0x0
	s_add_co_i32 s7, s7, 4
	s_wait_xcnt 0x0
	s_add_nc_u64 s[4:5], s[4:5], 48
	s_cmp_lg_u32 s0, s7
	s_add_nc_u64 s[2:3], s[2:3], 32
	s_wait_kmcnt 0x0
	v_mul_hi_u32 v9, s17, v8
	s_delay_alu instid0(VALU_DEP_1) | instskip(NEXT) | instid1(VALU_DEP_1)
	v_add_nc_u32_e32 v9, v8, v9
	v_lshrrev_b32_e32 v9, s18, v9
	s_delay_alu instid0(VALU_DEP_1) | instskip(NEXT) | instid1(VALU_DEP_1)
	v_mul_hi_u32 v10, s20, v9
	v_add_nc_u32_e32 v10, v9, v10
	s_delay_alu instid0(VALU_DEP_1) | instskip(NEXT) | instid1(VALU_DEP_1)
	v_lshrrev_b32_e32 v10, s21, v10
	v_mul_hi_u32 v11, s23, v10
	s_delay_alu instid0(VALU_DEP_1) | instskip(SKIP_1) | instid1(VALU_DEP_1)
	v_add_nc_u32_e32 v11, v10, v11
	v_mul_lo_u32 v12, v9, s16
	v_sub_nc_u32_e32 v8, v8, v12
	v_mul_lo_u32 v12, v10, s19
	s_delay_alu instid0(VALU_DEP_4) | instskip(NEXT) | instid1(VALU_DEP_3)
	v_lshrrev_b32_e32 v11, s8, v11
	v_mad_u32 v7, v8, s37, v7
	v_mad_u32 v6, v8, s36, v6
	s_delay_alu instid0(VALU_DEP_4) | instskip(NEXT) | instid1(VALU_DEP_4)
	v_sub_nc_u32_e32 v8, v9, v12
	v_mul_hi_u32 v13, s10, v11
	v_mul_lo_u32 v9, v11, s22
	s_delay_alu instid0(VALU_DEP_3) | instskip(SKIP_1) | instid1(VALU_DEP_4)
	v_mad_u32 v7, v8, s39, v7
	v_mad_u32 v6, v8, s38, v6
	v_add_nc_u32_e32 v12, v11, v13
	s_delay_alu instid0(VALU_DEP_1) | instskip(NEXT) | instid1(VALU_DEP_1)
	v_dual_sub_nc_u32 v9, v10, v9 :: v_dual_lshrrev_b32 v8, s11, v12
	v_mad_u32 v7, v9, s41, v7
	s_delay_alu instid0(VALU_DEP_4) | instskip(NEXT) | instid1(VALU_DEP_3)
	v_mad_u32 v6, v9, s40, v6
	v_mul_lo_u32 v10, v8, s9
	s_delay_alu instid0(VALU_DEP_1) | instskip(NEXT) | instid1(VALU_DEP_1)
	v_sub_nc_u32_e32 v9, v11, v10
	v_mad_u32 v7, v9, s43, v7
	s_delay_alu instid0(VALU_DEP_4)
	v_mad_u32 v6, v9, s42, v6
	s_cbranch_scc1 .LBB45_48
; %bb.49:
	s_and_b32 s4, s1, 3
	s_mov_b32 s1, 0
	s_cmp_eq_u32 s4, 0
	s_cbranch_scc0 .LBB45_53
	s_branch .LBB45_55
.LBB45_50:
	s_mov_b32 s6, -1
                                        ; implicit-def: $vgpr7
	s_branch .LBB45_55
.LBB45_51:
	v_dual_mov_b32 v7, 0 :: v_dual_mov_b32 v6, 0
	s_branch .LBB45_55
.LBB45_52:
	v_mov_b64_e32 v[6:7], 0
	v_mov_b32_e32 v8, v1
	s_mov_b32 s0, 0
	s_and_b32 s4, s1, 3
	s_mov_b32 s1, 0
	s_cmp_eq_u32 s4, 0
	s_cbranch_scc1 .LBB45_55
.LBB45_53:
	s_lshl_b32 s2, s0, 3
	s_mov_b32 s3, s1
	s_mul_u64 s[8:9], s[0:1], 12
	s_add_nc_u64 s[2:3], s[12:13], s[2:3]
	s_delay_alu instid0(SALU_CYCLE_1)
	s_add_nc_u64 s[0:1], s[2:3], 0xc4
	s_add_nc_u64 s[2:3], s[12:13], s[8:9]
.LBB45_54:                              ; =>This Inner Loop Header: Depth=1
	s_load_b96 s[8:10], s[2:3], 0x4
	s_add_co_i32 s4, s4, -1
	s_wait_xcnt 0x0
	s_add_nc_u64 s[2:3], s[2:3], 12
	s_cmp_lg_u32 s4, 0
	s_wait_kmcnt 0x0
	v_mul_hi_u32 v9, s9, v8
	s_delay_alu instid0(VALU_DEP_1) | instskip(NEXT) | instid1(VALU_DEP_1)
	v_add_nc_u32_e32 v9, v8, v9
	v_lshrrev_b32_e32 v9, s10, v9
	s_load_b64 s[10:11], s[0:1], 0x0
	s_wait_xcnt 0x0
	s_add_nc_u64 s[0:1], s[0:1], 8
	s_delay_alu instid0(VALU_DEP_1) | instskip(NEXT) | instid1(VALU_DEP_1)
	v_mul_lo_u32 v10, v9, s8
	v_sub_nc_u32_e32 v8, v8, v10
	s_wait_kmcnt 0x0
	s_delay_alu instid0(VALU_DEP_1)
	v_mad_u32 v7, v8, s11, v7
	v_mad_u32 v6, v8, s10, v6
	v_mov_b32_e32 v8, v9
	s_cbranch_scc1 .LBB45_54
.LBB45_55:
	s_and_not1_b32 vcc_lo, exec_lo, s6
	s_cbranch_vccnz .LBB45_58
; %bb.56:
	s_clause 0x1
	s_load_b96 s[0:2], s[12:13], 0x4
	s_load_b64 s[4:5], s[12:13], 0xc4
	s_cmp_lt_u32 s30, 2
	s_wait_kmcnt 0x0
	v_mul_hi_u32 v6, s1, v1
	s_delay_alu instid0(VALU_DEP_1) | instskip(NEXT) | instid1(VALU_DEP_1)
	v_add_nc_u32_e32 v6, v1, v6
	v_lshrrev_b32_e32 v8, s2, v6
	s_delay_alu instid0(VALU_DEP_1) | instskip(NEXT) | instid1(VALU_DEP_1)
	v_mul_lo_u32 v6, v8, s0
	v_sub_nc_u32_e32 v1, v1, v6
	s_delay_alu instid0(VALU_DEP_1)
	v_mul_lo_u32 v7, v1, s5
	v_mul_lo_u32 v6, v1, s4
	s_cbranch_scc1 .LBB45_58
; %bb.57:
	s_clause 0x1
	s_load_b96 s[0:2], s[12:13], 0x10
	s_load_b64 s[4:5], s[12:13], 0xcc
	s_wait_kmcnt 0x0
	v_mul_hi_u32 v1, s1, v8
	s_delay_alu instid0(VALU_DEP_1) | instskip(NEXT) | instid1(VALU_DEP_1)
	v_add_nc_u32_e32 v1, v8, v1
	v_lshrrev_b32_e32 v1, s2, v1
	s_delay_alu instid0(VALU_DEP_1) | instskip(NEXT) | instid1(VALU_DEP_1)
	v_mul_lo_u32 v1, v1, s0
	v_sub_nc_u32_e32 v1, v8, v1
	s_delay_alu instid0(VALU_DEP_1)
	v_mad_u32 v6, v1, s4, v6
	v_mad_u32 v7, v1, s5, v7
.LBB45_58:
	v_cmp_ne_u32_e32 vcc_lo, 1, v14
	v_add_nc_u32_e32 v1, 0x180, v0
	s_cbranch_vccnz .LBB45_64
; %bb.59:
	s_cmp_lg_u32 s30, 0
	s_mov_b32 s6, 0
	s_cbranch_scc0 .LBB45_65
; %bb.60:
	s_min_u32 s1, s31, 15
	s_delay_alu instid0(SALU_CYCLE_1)
	s_add_co_i32 s1, s1, 1
	s_cmp_eq_u32 s31, 2
	s_cbranch_scc1 .LBB45_66
; %bb.61:
	v_dual_mov_b32 v8, 0 :: v_dual_mov_b32 v9, 0
	v_mov_b32_e32 v10, v1
	s_and_b32 s0, s1, 28
	s_add_nc_u64 s[2:3], s[12:13], 0xc4
	s_mov_b32 s7, 0
	s_mov_b64 s[4:5], s[12:13]
.LBB45_62:                              ; =>This Inner Loop Header: Depth=1
	s_clause 0x1
	s_load_b256 s[16:23], s[4:5], 0x4
	s_load_b128 s[8:11], s[4:5], 0x24
	s_load_b256 s[36:43], s[2:3], 0x0
	s_add_co_i32 s7, s7, 4
	s_wait_xcnt 0x0
	s_add_nc_u64 s[4:5], s[4:5], 48
	s_cmp_lg_u32 s0, s7
	s_add_nc_u64 s[2:3], s[2:3], 32
	s_wait_kmcnt 0x0
	v_mul_hi_u32 v11, s17, v10
	s_delay_alu instid0(VALU_DEP_1) | instskip(NEXT) | instid1(VALU_DEP_1)
	v_add_nc_u32_e32 v11, v10, v11
	v_lshrrev_b32_e32 v11, s18, v11
	s_delay_alu instid0(VALU_DEP_1) | instskip(NEXT) | instid1(VALU_DEP_1)
	v_mul_hi_u32 v12, s20, v11
	v_add_nc_u32_e32 v12, v11, v12
	s_delay_alu instid0(VALU_DEP_1) | instskip(NEXT) | instid1(VALU_DEP_1)
	v_lshrrev_b32_e32 v12, s21, v12
	v_mul_hi_u32 v13, s23, v12
	s_delay_alu instid0(VALU_DEP_1) | instskip(SKIP_1) | instid1(VALU_DEP_1)
	v_add_nc_u32_e32 v13, v12, v13
	v_mul_lo_u32 v15, v11, s16
	v_sub_nc_u32_e32 v10, v10, v15
	v_mul_lo_u32 v15, v12, s19
	s_delay_alu instid0(VALU_DEP_4) | instskip(NEXT) | instid1(VALU_DEP_3)
	v_lshrrev_b32_e32 v13, s8, v13
	v_mad_u32 v9, v10, s37, v9
	v_mad_u32 v8, v10, s36, v8
	s_delay_alu instid0(VALU_DEP_4) | instskip(NEXT) | instid1(VALU_DEP_4)
	v_sub_nc_u32_e32 v10, v11, v15
	v_mul_hi_u32 v17, s10, v13
	v_mul_lo_u32 v11, v13, s22
	s_delay_alu instid0(VALU_DEP_3) | instskip(SKIP_1) | instid1(VALU_DEP_3)
	v_mad_u32 v9, v10, s39, v9
	v_mad_u32 v8, v10, s38, v8
	v_dual_add_nc_u32 v15, v13, v17 :: v_dual_sub_nc_u32 v11, v12, v11
	s_delay_alu instid0(VALU_DEP_1) | instskip(NEXT) | instid1(VALU_DEP_2)
	v_lshrrev_b32_e32 v10, s11, v15
	v_mad_u32 v9, v11, s41, v9
	s_delay_alu instid0(VALU_DEP_4) | instskip(NEXT) | instid1(VALU_DEP_3)
	v_mad_u32 v8, v11, s40, v8
	v_mul_lo_u32 v12, v10, s9
	s_delay_alu instid0(VALU_DEP_1) | instskip(NEXT) | instid1(VALU_DEP_1)
	v_sub_nc_u32_e32 v11, v13, v12
	v_mad_u32 v9, v11, s43, v9
	s_delay_alu instid0(VALU_DEP_4)
	v_mad_u32 v8, v11, s42, v8
	s_cbranch_scc1 .LBB45_62
; %bb.63:
	s_and_b32 s4, s1, 3
	s_mov_b32 s1, 0
	s_cmp_eq_u32 s4, 0
	s_cbranch_scc0 .LBB45_67
	s_branch .LBB45_69
.LBB45_64:
	s_mov_b32 s6, -1
                                        ; implicit-def: $vgpr9
	s_branch .LBB45_69
.LBB45_65:
	v_dual_mov_b32 v9, 0 :: v_dual_mov_b32 v8, 0
	s_branch .LBB45_69
.LBB45_66:
	v_mov_b64_e32 v[8:9], 0
	v_mov_b32_e32 v10, v1
	s_mov_b32 s0, 0
	s_and_b32 s4, s1, 3
	s_mov_b32 s1, 0
	s_cmp_eq_u32 s4, 0
	s_cbranch_scc1 .LBB45_69
.LBB45_67:
	s_lshl_b32 s2, s0, 3
	s_mov_b32 s3, s1
	s_mul_u64 s[8:9], s[0:1], 12
	s_add_nc_u64 s[2:3], s[12:13], s[2:3]
	s_delay_alu instid0(SALU_CYCLE_1)
	s_add_nc_u64 s[0:1], s[2:3], 0xc4
	s_add_nc_u64 s[2:3], s[12:13], s[8:9]
.LBB45_68:                              ; =>This Inner Loop Header: Depth=1
	s_load_b96 s[8:10], s[2:3], 0x4
	s_add_co_i32 s4, s4, -1
	s_wait_xcnt 0x0
	s_add_nc_u64 s[2:3], s[2:3], 12
	s_cmp_lg_u32 s4, 0
	s_wait_kmcnt 0x0
	v_mul_hi_u32 v11, s9, v10
	s_delay_alu instid0(VALU_DEP_1) | instskip(NEXT) | instid1(VALU_DEP_1)
	v_add_nc_u32_e32 v11, v10, v11
	v_lshrrev_b32_e32 v11, s10, v11
	s_load_b64 s[10:11], s[0:1], 0x0
	s_wait_xcnt 0x0
	s_add_nc_u64 s[0:1], s[0:1], 8
	s_delay_alu instid0(VALU_DEP_1) | instskip(NEXT) | instid1(VALU_DEP_1)
	v_mul_lo_u32 v12, v11, s8
	v_sub_nc_u32_e32 v10, v10, v12
	s_wait_kmcnt 0x0
	s_delay_alu instid0(VALU_DEP_1)
	v_mad_u32 v9, v10, s11, v9
	v_mad_u32 v8, v10, s10, v8
	v_mov_b32_e32 v10, v11
	s_cbranch_scc1 .LBB45_68
.LBB45_69:
	s_and_not1_b32 vcc_lo, exec_lo, s6
	s_cbranch_vccnz .LBB45_72
; %bb.70:
	s_clause 0x1
	s_load_b96 s[0:2], s[12:13], 0x4
	s_load_b64 s[4:5], s[12:13], 0xc4
	s_cmp_lt_u32 s30, 2
	s_wait_kmcnt 0x0
	v_mul_hi_u32 v8, s1, v1
	s_delay_alu instid0(VALU_DEP_1) | instskip(NEXT) | instid1(VALU_DEP_1)
	v_add_nc_u32_e32 v8, v1, v8
	v_lshrrev_b32_e32 v10, s2, v8
	s_delay_alu instid0(VALU_DEP_1) | instskip(NEXT) | instid1(VALU_DEP_1)
	v_mul_lo_u32 v8, v10, s0
	v_sub_nc_u32_e32 v1, v1, v8
	s_delay_alu instid0(VALU_DEP_1)
	v_mul_lo_u32 v9, v1, s5
	v_mul_lo_u32 v8, v1, s4
	s_cbranch_scc1 .LBB45_72
; %bb.71:
	s_clause 0x1
	s_load_b96 s[0:2], s[12:13], 0x10
	s_load_b64 s[4:5], s[12:13], 0xcc
	s_wait_kmcnt 0x0
	v_mul_hi_u32 v1, s1, v10
	s_delay_alu instid0(VALU_DEP_1) | instskip(NEXT) | instid1(VALU_DEP_1)
	v_add_nc_u32_e32 v1, v10, v1
	v_lshrrev_b32_e32 v1, s2, v1
	s_delay_alu instid0(VALU_DEP_1) | instskip(NEXT) | instid1(VALU_DEP_1)
	v_mul_lo_u32 v1, v1, s0
	v_sub_nc_u32_e32 v1, v10, v1
	s_delay_alu instid0(VALU_DEP_1)
	v_mad_u32 v8, v1, s4, v8
	v_mad_u32 v9, v1, s5, v9
.LBB45_72:
	v_cmp_ne_u32_e32 vcc_lo, 1, v14
	v_add_nc_u32_e32 v1, 0x200, v0
	s_cbranch_vccnz .LBB45_78
; %bb.73:
	s_cmp_lg_u32 s30, 0
	s_mov_b32 s6, 0
	s_cbranch_scc0 .LBB45_79
; %bb.74:
	s_min_u32 s1, s31, 15
	s_delay_alu instid0(SALU_CYCLE_1)
	s_add_co_i32 s1, s1, 1
	s_cmp_eq_u32 s31, 2
	s_cbranch_scc1 .LBB45_80
; %bb.75:
	v_dual_mov_b32 v10, 0 :: v_dual_mov_b32 v11, 0
	v_mov_b32_e32 v12, v1
	s_and_b32 s0, s1, 28
	s_add_nc_u64 s[2:3], s[12:13], 0xc4
	s_mov_b32 s7, 0
	s_mov_b64 s[4:5], s[12:13]
.LBB45_76:                              ; =>This Inner Loop Header: Depth=1
	s_clause 0x1
	s_load_b256 s[16:23], s[4:5], 0x4
	s_load_b128 s[8:11], s[4:5], 0x24
	s_load_b256 s[36:43], s[2:3], 0x0
	s_add_co_i32 s7, s7, 4
	s_wait_xcnt 0x0
	s_add_nc_u64 s[4:5], s[4:5], 48
	s_cmp_lg_u32 s0, s7
	s_add_nc_u64 s[2:3], s[2:3], 32
	s_wait_kmcnt 0x0
	v_mul_hi_u32 v13, s17, v12
	s_delay_alu instid0(VALU_DEP_1) | instskip(NEXT) | instid1(VALU_DEP_1)
	v_add_nc_u32_e32 v13, v12, v13
	v_lshrrev_b32_e32 v13, s18, v13
	s_delay_alu instid0(VALU_DEP_1) | instskip(NEXT) | instid1(VALU_DEP_1)
	v_mul_lo_u32 v18, v13, s16
	v_sub_nc_u32_e32 v12, v12, v18
	v_mul_hi_u32 v15, s20, v13
	s_delay_alu instid0(VALU_DEP_2) | instskip(SKIP_1) | instid1(VALU_DEP_3)
	v_mad_u32 v11, v12, s37, v11
	v_mad_u32 v10, v12, s36, v10
	v_add_nc_u32_e32 v15, v13, v15
	s_delay_alu instid0(VALU_DEP_1) | instskip(NEXT) | instid1(VALU_DEP_1)
	v_lshrrev_b32_e32 v15, s21, v15
	v_mul_hi_u32 v17, s23, v15
	v_mul_lo_u32 v18, v15, s19
	s_delay_alu instid0(VALU_DEP_1) | instskip(NEXT) | instid1(VALU_DEP_1)
	v_dual_add_nc_u32 v17, v15, v17 :: v_dual_sub_nc_u32 v12, v13, v18
	v_lshrrev_b32_e32 v17, s8, v17
	s_delay_alu instid0(VALU_DEP_2) | instskip(SKIP_1) | instid1(VALU_DEP_3)
	v_mad_u32 v11, v12, s39, v11
	v_mad_u32 v10, v12, s38, v10
	v_mul_hi_u32 v19, s10, v17
	v_mul_lo_u32 v13, v17, s22
	s_delay_alu instid0(VALU_DEP_1) | instskip(NEXT) | instid1(VALU_DEP_1)
	v_dual_add_nc_u32 v18, v17, v19 :: v_dual_sub_nc_u32 v13, v15, v13
	v_lshrrev_b32_e32 v12, s11, v18
	s_delay_alu instid0(VALU_DEP_2) | instskip(SKIP_1) | instid1(VALU_DEP_3)
	v_mad_u32 v11, v13, s41, v11
	v_mad_u32 v10, v13, s40, v10
	v_mul_lo_u32 v15, v12, s9
	s_delay_alu instid0(VALU_DEP_1) | instskip(NEXT) | instid1(VALU_DEP_1)
	v_sub_nc_u32_e32 v13, v17, v15
	v_mad_u32 v11, v13, s43, v11
	s_delay_alu instid0(VALU_DEP_4)
	v_mad_u32 v10, v13, s42, v10
	s_cbranch_scc1 .LBB45_76
; %bb.77:
	s_and_b32 s4, s1, 3
	s_mov_b32 s1, 0
	s_cmp_eq_u32 s4, 0
	s_cbranch_scc0 .LBB45_81
	s_branch .LBB45_83
.LBB45_78:
	s_mov_b32 s6, -1
                                        ; implicit-def: $vgpr11
	s_branch .LBB45_83
.LBB45_79:
	v_dual_mov_b32 v11, 0 :: v_dual_mov_b32 v10, 0
	s_branch .LBB45_83
.LBB45_80:
	v_mov_b64_e32 v[10:11], 0
	v_mov_b32_e32 v12, v1
	s_mov_b32 s0, 0
	s_and_b32 s4, s1, 3
	s_mov_b32 s1, 0
	s_cmp_eq_u32 s4, 0
	s_cbranch_scc1 .LBB45_83
.LBB45_81:
	s_lshl_b32 s2, s0, 3
	s_mov_b32 s3, s1
	s_mul_u64 s[8:9], s[0:1], 12
	s_add_nc_u64 s[2:3], s[12:13], s[2:3]
	s_delay_alu instid0(SALU_CYCLE_1)
	s_add_nc_u64 s[0:1], s[2:3], 0xc4
	s_add_nc_u64 s[2:3], s[12:13], s[8:9]
.LBB45_82:                              ; =>This Inner Loop Header: Depth=1
	s_load_b96 s[8:10], s[2:3], 0x4
	s_add_co_i32 s4, s4, -1
	s_wait_xcnt 0x0
	s_add_nc_u64 s[2:3], s[2:3], 12
	s_cmp_lg_u32 s4, 0
	s_wait_kmcnt 0x0
	v_mul_hi_u32 v13, s9, v12
	s_delay_alu instid0(VALU_DEP_1) | instskip(NEXT) | instid1(VALU_DEP_1)
	v_add_nc_u32_e32 v13, v12, v13
	v_lshrrev_b32_e32 v13, s10, v13
	s_load_b64 s[10:11], s[0:1], 0x0
	s_wait_xcnt 0x0
	s_add_nc_u64 s[0:1], s[0:1], 8
	s_delay_alu instid0(VALU_DEP_1) | instskip(NEXT) | instid1(VALU_DEP_1)
	v_mul_lo_u32 v15, v13, s8
	v_sub_nc_u32_e32 v12, v12, v15
	s_wait_kmcnt 0x0
	s_delay_alu instid0(VALU_DEP_1)
	v_mad_u32 v11, v12, s11, v11
	v_mad_u32 v10, v12, s10, v10
	v_mov_b32_e32 v12, v13
	s_cbranch_scc1 .LBB45_82
.LBB45_83:
	s_and_not1_b32 vcc_lo, exec_lo, s6
	s_cbranch_vccnz .LBB45_86
; %bb.84:
	s_clause 0x1
	s_load_b96 s[0:2], s[12:13], 0x4
	s_load_b64 s[4:5], s[12:13], 0xc4
	s_cmp_lt_u32 s30, 2
	s_wait_kmcnt 0x0
	v_mul_hi_u32 v10, s1, v1
	s_delay_alu instid0(VALU_DEP_1) | instskip(NEXT) | instid1(VALU_DEP_1)
	v_add_nc_u32_e32 v10, v1, v10
	v_lshrrev_b32_e32 v12, s2, v10
	s_delay_alu instid0(VALU_DEP_1) | instskip(NEXT) | instid1(VALU_DEP_1)
	v_mul_lo_u32 v10, v12, s0
	v_sub_nc_u32_e32 v1, v1, v10
	s_delay_alu instid0(VALU_DEP_1)
	v_mul_lo_u32 v11, v1, s5
	v_mul_lo_u32 v10, v1, s4
	s_cbranch_scc1 .LBB45_86
; %bb.85:
	s_clause 0x1
	s_load_b96 s[0:2], s[12:13], 0x10
	s_load_b64 s[4:5], s[12:13], 0xcc
	s_wait_kmcnt 0x0
	v_mul_hi_u32 v1, s1, v12
	s_delay_alu instid0(VALU_DEP_1) | instskip(NEXT) | instid1(VALU_DEP_1)
	v_add_nc_u32_e32 v1, v12, v1
	v_lshrrev_b32_e32 v1, s2, v1
	s_delay_alu instid0(VALU_DEP_1) | instskip(NEXT) | instid1(VALU_DEP_1)
	v_mul_lo_u32 v1, v1, s0
	v_sub_nc_u32_e32 v1, v12, v1
	s_delay_alu instid0(VALU_DEP_1)
	v_mad_u32 v10, v1, s4, v10
	v_mad_u32 v11, v1, s5, v11
.LBB45_86:
	v_cmp_ne_u32_e32 vcc_lo, 1, v14
	v_add_nc_u32_e32 v1, 0x280, v0
	s_cbranch_vccnz .LBB45_92
; %bb.87:
	s_cmp_lg_u32 s30, 0
	s_mov_b32 s6, 0
	s_cbranch_scc0 .LBB45_93
; %bb.88:
	s_min_u32 s1, s31, 15
	s_delay_alu instid0(SALU_CYCLE_1)
	s_add_co_i32 s1, s1, 1
	s_cmp_eq_u32 s31, 2
	s_cbranch_scc1 .LBB45_94
; %bb.89:
	v_dual_mov_b32 v12, 0 :: v_dual_mov_b32 v13, 0
	v_mov_b32_e32 v15, v1
	s_and_b32 s0, s1, 28
	s_add_nc_u64 s[2:3], s[12:13], 0xc4
	s_mov_b32 s7, 0
	s_mov_b64 s[4:5], s[12:13]
.LBB45_90:                              ; =>This Inner Loop Header: Depth=1
	s_clause 0x1
	s_load_b256 s[16:23], s[4:5], 0x4
	s_load_b128 s[8:11], s[4:5], 0x24
	s_load_b256 s[36:43], s[2:3], 0x0
	s_add_co_i32 s7, s7, 4
	s_wait_xcnt 0x0
	s_add_nc_u64 s[4:5], s[4:5], 48
	s_cmp_lg_u32 s0, s7
	s_add_nc_u64 s[2:3], s[2:3], 32
	s_wait_kmcnt 0x0
	v_mul_hi_u32 v17, s17, v15
	s_delay_alu instid0(VALU_DEP_1) | instskip(NEXT) | instid1(VALU_DEP_1)
	v_add_nc_u32_e32 v17, v15, v17
	v_lshrrev_b32_e32 v17, s18, v17
	s_delay_alu instid0(VALU_DEP_1) | instskip(NEXT) | instid1(VALU_DEP_1)
	v_mul_hi_u32 v18, s20, v17
	v_add_nc_u32_e32 v18, v17, v18
	s_delay_alu instid0(VALU_DEP_1) | instskip(NEXT) | instid1(VALU_DEP_1)
	v_lshrrev_b32_e32 v18, s21, v18
	v_mul_hi_u32 v19, s23, v18
	s_delay_alu instid0(VALU_DEP_1) | instskip(SKIP_1) | instid1(VALU_DEP_1)
	v_add_nc_u32_e32 v19, v18, v19
	v_mul_lo_u32 v20, v17, s16
	v_sub_nc_u32_e32 v15, v15, v20
	v_mul_lo_u32 v20, v18, s19
	s_delay_alu instid0(VALU_DEP_4) | instskip(NEXT) | instid1(VALU_DEP_3)
	v_lshrrev_b32_e32 v19, s8, v19
	v_mad_u32 v13, v15, s37, v13
	v_mad_u32 v12, v15, s36, v12
	s_delay_alu instid0(VALU_DEP_4) | instskip(NEXT) | instid1(VALU_DEP_4)
	v_sub_nc_u32_e32 v15, v17, v20
	v_mul_hi_u32 v21, s10, v19
	v_mul_lo_u32 v17, v19, s22
	s_delay_alu instid0(VALU_DEP_3) | instskip(SKIP_1) | instid1(VALU_DEP_4)
	v_mad_u32 v13, v15, s39, v13
	v_mad_u32 v12, v15, s38, v12
	v_add_nc_u32_e32 v20, v19, v21
	s_delay_alu instid0(VALU_DEP_1) | instskip(NEXT) | instid1(VALU_DEP_1)
	v_dual_sub_nc_u32 v17, v18, v17 :: v_dual_lshrrev_b32 v15, s11, v20
	v_mad_u32 v13, v17, s41, v13
	s_delay_alu instid0(VALU_DEP_4) | instskip(NEXT) | instid1(VALU_DEP_3)
	v_mad_u32 v12, v17, s40, v12
	v_mul_lo_u32 v18, v15, s9
	s_delay_alu instid0(VALU_DEP_1) | instskip(NEXT) | instid1(VALU_DEP_1)
	v_sub_nc_u32_e32 v17, v19, v18
	v_mad_u32 v13, v17, s43, v13
	s_delay_alu instid0(VALU_DEP_4)
	v_mad_u32 v12, v17, s42, v12
	s_cbranch_scc1 .LBB45_90
; %bb.91:
	s_and_b32 s4, s1, 3
	s_mov_b32 s1, 0
	s_cmp_eq_u32 s4, 0
	s_cbranch_scc0 .LBB45_95
	s_branch .LBB45_97
.LBB45_92:
	s_mov_b32 s6, -1
                                        ; implicit-def: $vgpr13
	s_branch .LBB45_97
.LBB45_93:
	v_dual_mov_b32 v13, 0 :: v_dual_mov_b32 v12, 0
	s_branch .LBB45_97
.LBB45_94:
	v_mov_b64_e32 v[12:13], 0
	v_mov_b32_e32 v15, v1
	s_mov_b32 s0, 0
	s_and_b32 s4, s1, 3
	s_mov_b32 s1, 0
	s_cmp_eq_u32 s4, 0
	s_cbranch_scc1 .LBB45_97
.LBB45_95:
	s_lshl_b32 s2, s0, 3
	s_mov_b32 s3, s1
	s_mul_u64 s[8:9], s[0:1], 12
	s_add_nc_u64 s[2:3], s[12:13], s[2:3]
	s_delay_alu instid0(SALU_CYCLE_1)
	s_add_nc_u64 s[0:1], s[2:3], 0xc4
	s_add_nc_u64 s[2:3], s[12:13], s[8:9]
.LBB45_96:                              ; =>This Inner Loop Header: Depth=1
	s_load_b96 s[8:10], s[2:3], 0x4
	s_add_co_i32 s4, s4, -1
	s_wait_xcnt 0x0
	s_add_nc_u64 s[2:3], s[2:3], 12
	s_cmp_lg_u32 s4, 0
	s_wait_kmcnt 0x0
	v_mul_hi_u32 v17, s9, v15
	s_delay_alu instid0(VALU_DEP_1) | instskip(NEXT) | instid1(VALU_DEP_1)
	v_add_nc_u32_e32 v17, v15, v17
	v_lshrrev_b32_e32 v17, s10, v17
	s_load_b64 s[10:11], s[0:1], 0x0
	s_wait_xcnt 0x0
	s_add_nc_u64 s[0:1], s[0:1], 8
	s_delay_alu instid0(VALU_DEP_1) | instskip(NEXT) | instid1(VALU_DEP_1)
	v_mul_lo_u32 v18, v17, s8
	v_sub_nc_u32_e32 v15, v15, v18
	s_wait_kmcnt 0x0
	s_delay_alu instid0(VALU_DEP_1)
	v_mad_u32 v13, v15, s11, v13
	v_mad_u32 v12, v15, s10, v12
	v_mov_b32_e32 v15, v17
	s_cbranch_scc1 .LBB45_96
.LBB45_97:
	s_and_not1_b32 vcc_lo, exec_lo, s6
	s_cbranch_vccnz .LBB45_100
; %bb.98:
	s_clause 0x1
	s_load_b96 s[0:2], s[12:13], 0x4
	s_load_b64 s[4:5], s[12:13], 0xc4
	s_cmp_lt_u32 s30, 2
	s_wait_kmcnt 0x0
	v_mul_hi_u32 v12, s1, v1
	s_delay_alu instid0(VALU_DEP_1) | instskip(NEXT) | instid1(VALU_DEP_1)
	v_add_nc_u32_e32 v12, v1, v12
	v_lshrrev_b32_e32 v15, s2, v12
	s_delay_alu instid0(VALU_DEP_1) | instskip(NEXT) | instid1(VALU_DEP_1)
	v_mul_lo_u32 v12, v15, s0
	v_sub_nc_u32_e32 v1, v1, v12
	s_delay_alu instid0(VALU_DEP_1)
	v_mul_lo_u32 v13, v1, s5
	v_mul_lo_u32 v12, v1, s4
	s_cbranch_scc1 .LBB45_100
; %bb.99:
	s_clause 0x1
	s_load_b96 s[0:2], s[12:13], 0x10
	s_load_b64 s[4:5], s[12:13], 0xcc
	s_wait_kmcnt 0x0
	v_mul_hi_u32 v1, s1, v15
	s_delay_alu instid0(VALU_DEP_1) | instskip(NEXT) | instid1(VALU_DEP_1)
	v_add_nc_u32_e32 v1, v15, v1
	v_lshrrev_b32_e32 v1, s2, v1
	s_delay_alu instid0(VALU_DEP_1) | instskip(NEXT) | instid1(VALU_DEP_1)
	v_mul_lo_u32 v1, v1, s0
	v_sub_nc_u32_e32 v1, v15, v1
	s_delay_alu instid0(VALU_DEP_1)
	v_mad_u32 v12, v1, s4, v12
	v_mad_u32 v13, v1, s5, v13
.LBB45_100:
	v_cmp_ne_u32_e32 vcc_lo, 1, v14
	v_add_nc_u32_e32 v15, 0x300, v0
	s_cbranch_vccnz .LBB45_106
; %bb.101:
	s_cmp_lg_u32 s30, 0
	s_mov_b32 s6, 0
	s_cbranch_scc0 .LBB45_107
; %bb.102:
	s_min_u32 s1, s31, 15
	s_delay_alu instid0(SALU_CYCLE_1)
	s_add_co_i32 s1, s1, 1
	s_cmp_eq_u32 s31, 2
	s_cbranch_scc1 .LBB45_108
; %bb.103:
	v_dual_mov_b32 v0, 0 :: v_dual_mov_b32 v1, 0
	v_mov_b32_e32 v17, v15
	s_and_b32 s0, s1, 28
	s_add_nc_u64 s[2:3], s[12:13], 0xc4
	s_mov_b32 s7, 0
	s_mov_b64 s[4:5], s[12:13]
.LBB45_104:                             ; =>This Inner Loop Header: Depth=1
	s_clause 0x1
	s_load_b256 s[16:23], s[4:5], 0x4
	s_load_b128 s[8:11], s[4:5], 0x24
	s_load_b256 s[36:43], s[2:3], 0x0
	s_add_co_i32 s7, s7, 4
	s_wait_xcnt 0x0
	s_add_nc_u64 s[4:5], s[4:5], 48
	s_cmp_lg_u32 s0, s7
	s_add_nc_u64 s[2:3], s[2:3], 32
	s_wait_kmcnt 0x0
	v_mul_hi_u32 v18, s17, v17
	s_delay_alu instid0(VALU_DEP_1) | instskip(NEXT) | instid1(VALU_DEP_1)
	v_add_nc_u32_e32 v18, v17, v18
	v_lshrrev_b32_e32 v18, s18, v18
	s_delay_alu instid0(VALU_DEP_1) | instskip(NEXT) | instid1(VALU_DEP_1)
	v_mul_hi_u32 v19, s20, v18
	v_add_nc_u32_e32 v19, v18, v19
	s_delay_alu instid0(VALU_DEP_1) | instskip(NEXT) | instid1(VALU_DEP_1)
	v_lshrrev_b32_e32 v19, s21, v19
	v_mul_hi_u32 v20, s23, v19
	s_delay_alu instid0(VALU_DEP_1) | instskip(SKIP_1) | instid1(VALU_DEP_1)
	v_add_nc_u32_e32 v20, v19, v20
	v_mul_lo_u32 v21, v18, s16
	v_sub_nc_u32_e32 v17, v17, v21
	v_mul_lo_u32 v21, v19, s19
	s_delay_alu instid0(VALU_DEP_4) | instskip(NEXT) | instid1(VALU_DEP_3)
	v_lshrrev_b32_e32 v20, s8, v20
	v_mad_u32 v1, v17, s37, v1
	v_mad_u32 v0, v17, s36, v0
	s_delay_alu instid0(VALU_DEP_4) | instskip(NEXT) | instid1(VALU_DEP_4)
	v_sub_nc_u32_e32 v17, v18, v21
	v_mul_hi_u32 v22, s10, v20
	v_mul_lo_u32 v18, v20, s22
	s_delay_alu instid0(VALU_DEP_3) | instskip(SKIP_1) | instid1(VALU_DEP_4)
	v_mad_u32 v1, v17, s39, v1
	v_mad_u32 v0, v17, s38, v0
	v_add_nc_u32_e32 v21, v20, v22
	s_delay_alu instid0(VALU_DEP_1) | instskip(NEXT) | instid1(VALU_DEP_1)
	v_dual_sub_nc_u32 v18, v19, v18 :: v_dual_lshrrev_b32 v17, s11, v21
	v_mad_u32 v1, v18, s41, v1
	s_delay_alu instid0(VALU_DEP_4) | instskip(NEXT) | instid1(VALU_DEP_3)
	v_mad_u32 v0, v18, s40, v0
	v_mul_lo_u32 v19, v17, s9
	s_delay_alu instid0(VALU_DEP_1) | instskip(NEXT) | instid1(VALU_DEP_1)
	v_sub_nc_u32_e32 v18, v20, v19
	v_mad_u32 v1, v18, s43, v1
	s_delay_alu instid0(VALU_DEP_4)
	v_mad_u32 v0, v18, s42, v0
	s_cbranch_scc1 .LBB45_104
; %bb.105:
	s_and_b32 s4, s1, 3
	s_mov_b32 s1, 0
	s_cmp_eq_u32 s4, 0
	s_cbranch_scc0 .LBB45_109
	s_branch .LBB45_111
.LBB45_106:
	s_mov_b32 s6, -1
                                        ; implicit-def: $vgpr1
	s_branch .LBB45_111
.LBB45_107:
	v_dual_mov_b32 v1, 0 :: v_dual_mov_b32 v0, 0
	s_branch .LBB45_111
.LBB45_108:
	v_mov_b64_e32 v[0:1], 0
	v_mov_b32_e32 v17, v15
	s_mov_b32 s0, 0
	s_and_b32 s4, s1, 3
	s_mov_b32 s1, 0
	s_cmp_eq_u32 s4, 0
	s_cbranch_scc1 .LBB45_111
.LBB45_109:
	s_lshl_b32 s2, s0, 3
	s_mov_b32 s3, s1
	s_mul_u64 s[8:9], s[0:1], 12
	s_add_nc_u64 s[2:3], s[12:13], s[2:3]
	s_delay_alu instid0(SALU_CYCLE_1)
	s_add_nc_u64 s[0:1], s[2:3], 0xc4
	s_add_nc_u64 s[2:3], s[12:13], s[8:9]
.LBB45_110:                             ; =>This Inner Loop Header: Depth=1
	s_load_b96 s[8:10], s[2:3], 0x4
	s_add_co_i32 s4, s4, -1
	s_wait_xcnt 0x0
	s_add_nc_u64 s[2:3], s[2:3], 12
	s_cmp_lg_u32 s4, 0
	s_wait_kmcnt 0x0
	v_mul_hi_u32 v18, s9, v17
	s_delay_alu instid0(VALU_DEP_1) | instskip(NEXT) | instid1(VALU_DEP_1)
	v_add_nc_u32_e32 v18, v17, v18
	v_lshrrev_b32_e32 v18, s10, v18
	s_load_b64 s[10:11], s[0:1], 0x0
	s_wait_xcnt 0x0
	s_add_nc_u64 s[0:1], s[0:1], 8
	s_delay_alu instid0(VALU_DEP_1) | instskip(NEXT) | instid1(VALU_DEP_1)
	v_mul_lo_u32 v19, v18, s8
	v_sub_nc_u32_e32 v17, v17, v19
	s_wait_kmcnt 0x0
	s_delay_alu instid0(VALU_DEP_1)
	v_mad_u32 v1, v17, s11, v1
	v_mad_u32 v0, v17, s10, v0
	v_mov_b32_e32 v17, v18
	s_cbranch_scc1 .LBB45_110
.LBB45_111:
	s_and_not1_b32 vcc_lo, exec_lo, s6
	s_cbranch_vccnz .LBB45_114
; %bb.112:
	s_clause 0x1
	s_load_b96 s[0:2], s[12:13], 0x4
	s_load_b64 s[4:5], s[12:13], 0xc4
	s_cmp_lt_u32 s30, 2
	s_wait_kmcnt 0x0
	v_mul_hi_u32 v0, s1, v15
	s_delay_alu instid0(VALU_DEP_1) | instskip(NEXT) | instid1(VALU_DEP_1)
	v_add_nc_u32_e32 v0, v15, v0
	v_lshrrev_b32_e32 v17, s2, v0
	s_delay_alu instid0(VALU_DEP_1) | instskip(NEXT) | instid1(VALU_DEP_1)
	v_mul_lo_u32 v0, v17, s0
	v_sub_nc_u32_e32 v0, v15, v0
	s_delay_alu instid0(VALU_DEP_1)
	v_mul_lo_u32 v1, v0, s5
	v_mul_lo_u32 v0, v0, s4
	s_cbranch_scc1 .LBB45_114
; %bb.113:
	s_clause 0x1
	s_load_b96 s[0:2], s[12:13], 0x10
	s_load_b64 s[4:5], s[12:13], 0xcc
	s_wait_kmcnt 0x0
	v_mul_hi_u32 v15, s1, v17
	s_delay_alu instid0(VALU_DEP_1) | instskip(NEXT) | instid1(VALU_DEP_1)
	v_add_nc_u32_e32 v15, v17, v15
	v_lshrrev_b32_e32 v15, s2, v15
	s_delay_alu instid0(VALU_DEP_1) | instskip(NEXT) | instid1(VALU_DEP_1)
	v_mul_lo_u32 v15, v15, s0
	v_sub_nc_u32_e32 v15, v17, v15
	s_delay_alu instid0(VALU_DEP_1)
	v_mad_u32 v0, v15, s4, v0
	v_mad_u32 v1, v15, s5, v1
.LBB45_114:
	v_cmp_ne_u32_e32 vcc_lo, 1, v14
	s_cbranch_vccnz .LBB45_120
; %bb.115:
	s_cmp_lg_u32 s30, 0
	s_mov_b32 s6, 0
	s_cbranch_scc0 .LBB45_121
; %bb.116:
	s_min_u32 s1, s31, 15
	s_delay_alu instid0(SALU_CYCLE_1)
	s_add_co_i32 s1, s1, 1
	s_cmp_eq_u32 s31, 2
	s_cbranch_scc1 .LBB45_122
; %bb.117:
	v_dual_mov_b32 v14, 0 :: v_dual_mov_b32 v15, 0
	v_mov_b32_e32 v17, v16
	s_and_b32 s0, s1, 28
	s_add_nc_u64 s[2:3], s[12:13], 0xc4
	s_mov_b32 s7, 0
	s_mov_b64 s[4:5], s[12:13]
.LBB45_118:                             ; =>This Inner Loop Header: Depth=1
	s_clause 0x1
	s_load_b256 s[16:23], s[4:5], 0x4
	s_load_b128 s[8:11], s[4:5], 0x24
	s_load_b256 s[36:43], s[2:3], 0x0
	s_add_co_i32 s7, s7, 4
	s_wait_xcnt 0x0
	s_add_nc_u64 s[4:5], s[4:5], 48
	s_cmp_lg_u32 s0, s7
	s_add_nc_u64 s[2:3], s[2:3], 32
	s_wait_kmcnt 0x0
	v_mul_hi_u32 v18, s17, v17
	s_delay_alu instid0(VALU_DEP_1) | instskip(NEXT) | instid1(VALU_DEP_1)
	v_add_nc_u32_e32 v18, v17, v18
	v_lshrrev_b32_e32 v18, s18, v18
	s_delay_alu instid0(VALU_DEP_1) | instskip(NEXT) | instid1(VALU_DEP_1)
	v_mul_hi_u32 v19, s20, v18
	v_add_nc_u32_e32 v19, v18, v19
	s_delay_alu instid0(VALU_DEP_1) | instskip(NEXT) | instid1(VALU_DEP_1)
	v_lshrrev_b32_e32 v19, s21, v19
	v_mul_hi_u32 v20, s23, v19
	s_delay_alu instid0(VALU_DEP_1) | instskip(SKIP_1) | instid1(VALU_DEP_1)
	v_add_nc_u32_e32 v20, v19, v20
	v_mul_lo_u32 v21, v18, s16
	v_sub_nc_u32_e32 v17, v17, v21
	v_mul_lo_u32 v21, v19, s19
	s_delay_alu instid0(VALU_DEP_4) | instskip(NEXT) | instid1(VALU_DEP_3)
	v_lshrrev_b32_e32 v20, s8, v20
	v_mad_u32 v15, v17, s37, v15
	v_mad_u32 v14, v17, s36, v14
	s_delay_alu instid0(VALU_DEP_4) | instskip(NEXT) | instid1(VALU_DEP_4)
	v_sub_nc_u32_e32 v17, v18, v21
	v_mul_hi_u32 v22, s10, v20
	v_mul_lo_u32 v18, v20, s22
	s_delay_alu instid0(VALU_DEP_3) | instskip(SKIP_1) | instid1(VALU_DEP_4)
	v_mad_u32 v15, v17, s39, v15
	v_mad_u32 v14, v17, s38, v14
	v_add_nc_u32_e32 v21, v20, v22
	s_delay_alu instid0(VALU_DEP_1) | instskip(NEXT) | instid1(VALU_DEP_1)
	v_dual_sub_nc_u32 v18, v19, v18 :: v_dual_lshrrev_b32 v17, s11, v21
	v_mad_u32 v15, v18, s41, v15
	s_delay_alu instid0(VALU_DEP_4) | instskip(NEXT) | instid1(VALU_DEP_3)
	v_mad_u32 v14, v18, s40, v14
	v_mul_lo_u32 v19, v17, s9
	s_delay_alu instid0(VALU_DEP_1) | instskip(NEXT) | instid1(VALU_DEP_1)
	v_sub_nc_u32_e32 v18, v20, v19
	v_mad_u32 v15, v18, s43, v15
	s_delay_alu instid0(VALU_DEP_4)
	v_mad_u32 v14, v18, s42, v14
	s_cbranch_scc1 .LBB45_118
; %bb.119:
	s_and_b32 s4, s1, 3
	s_mov_b32 s1, 0
	s_cmp_eq_u32 s4, 0
	s_cbranch_scc0 .LBB45_123
	s_branch .LBB45_125
.LBB45_120:
	s_mov_b32 s6, -1
                                        ; implicit-def: $vgpr15
	s_branch .LBB45_125
.LBB45_121:
	v_dual_mov_b32 v15, 0 :: v_dual_mov_b32 v14, 0
	s_branch .LBB45_125
.LBB45_122:
	v_mov_b64_e32 v[14:15], 0
	v_mov_b32_e32 v17, v16
	s_mov_b32 s0, 0
	s_and_b32 s4, s1, 3
	s_mov_b32 s1, 0
	s_cmp_eq_u32 s4, 0
	s_cbranch_scc1 .LBB45_125
.LBB45_123:
	s_lshl_b32 s2, s0, 3
	s_mov_b32 s3, s1
	s_mul_u64 s[8:9], s[0:1], 12
	s_add_nc_u64 s[2:3], s[12:13], s[2:3]
	s_delay_alu instid0(SALU_CYCLE_1)
	s_add_nc_u64 s[0:1], s[2:3], 0xc4
	s_add_nc_u64 s[2:3], s[12:13], s[8:9]
.LBB45_124:                             ; =>This Inner Loop Header: Depth=1
	s_load_b96 s[8:10], s[2:3], 0x4
	s_add_co_i32 s4, s4, -1
	s_wait_xcnt 0x0
	s_add_nc_u64 s[2:3], s[2:3], 12
	s_cmp_lg_u32 s4, 0
	s_wait_kmcnt 0x0
	v_mul_hi_u32 v18, s9, v17
	s_delay_alu instid0(VALU_DEP_1) | instskip(NEXT) | instid1(VALU_DEP_1)
	v_add_nc_u32_e32 v18, v17, v18
	v_lshrrev_b32_e32 v18, s10, v18
	s_load_b64 s[10:11], s[0:1], 0x0
	s_wait_xcnt 0x0
	s_add_nc_u64 s[0:1], s[0:1], 8
	s_delay_alu instid0(VALU_DEP_1) | instskip(NEXT) | instid1(VALU_DEP_1)
	v_mul_lo_u32 v19, v18, s8
	v_sub_nc_u32_e32 v17, v17, v19
	s_wait_kmcnt 0x0
	s_delay_alu instid0(VALU_DEP_1)
	v_mad_u32 v15, v17, s11, v15
	v_mad_u32 v14, v17, s10, v14
	v_mov_b32_e32 v17, v18
	s_cbranch_scc1 .LBB45_124
.LBB45_125:
	s_and_not1_b32 vcc_lo, exec_lo, s6
	s_cbranch_vccnz .LBB45_128
; %bb.126:
	s_clause 0x1
	s_load_b96 s[0:2], s[12:13], 0x4
	s_load_b64 s[4:5], s[12:13], 0xc4
	s_cmp_lt_u32 s30, 2
	s_wait_kmcnt 0x0
	v_mul_hi_u32 v14, s1, v16
	s_delay_alu instid0(VALU_DEP_1) | instskip(NEXT) | instid1(VALU_DEP_1)
	v_add_nc_u32_e32 v14, v16, v14
	v_lshrrev_b32_e32 v17, s2, v14
	s_delay_alu instid0(VALU_DEP_1) | instskip(NEXT) | instid1(VALU_DEP_1)
	v_mul_lo_u32 v14, v17, s0
	v_sub_nc_u32_e32 v14, v16, v14
	s_delay_alu instid0(VALU_DEP_1)
	v_mul_lo_u32 v15, v14, s5
	v_mul_lo_u32 v14, v14, s4
	s_cbranch_scc1 .LBB45_128
; %bb.127:
	s_clause 0x1
	s_load_b96 s[0:2], s[12:13], 0x10
	s_load_b64 s[4:5], s[12:13], 0xcc
	s_wait_kmcnt 0x0
	v_mul_hi_u32 v16, s1, v17
	s_delay_alu instid0(VALU_DEP_1) | instskip(NEXT) | instid1(VALU_DEP_1)
	v_add_nc_u32_e32 v16, v17, v16
	v_lshrrev_b32_e32 v16, s2, v16
	s_delay_alu instid0(VALU_DEP_1) | instskip(NEXT) | instid1(VALU_DEP_1)
	v_mul_lo_u32 v16, v16, s0
	v_sub_nc_u32_e32 v16, v17, v16
	s_delay_alu instid0(VALU_DEP_1)
	v_mad_u32 v14, v16, s4, v14
	v_mad_u32 v15, v16, s5, v15
.LBB45_128:
	s_clause 0x1
	s_load_b128 s[8:11], s[12:13], 0x148
	s_load_b64 s[6:7], s[12:13], 0x158
	s_wait_kmcnt 0x0
	s_clause 0x7
	global_load_b32 v16, v3, s[10:11]
	global_load_b32 v17, v5, s[10:11]
	;; [unrolled: 1-line block ×8, first 2 shown]
	s_cmp_eq_u32 s6, 0
	s_wait_xcnt 0x0
	s_cselect_b32 s10, -1, 0
	s_wait_loadcnt 0x7
	v_cmp_ne_u32_e32 vcc_lo, s7, v16
	s_wait_loadcnt 0x6
	v_cmp_ne_u32_e64 s0, s7, v17
	s_wait_loadcnt 0x5
	v_cmp_ne_u32_e64 s1, s7, v18
	s_wait_loadcnt 0x4
	v_cmp_ne_u32_e64 s2, s7, v19
	s_wait_loadcnt 0x3
	v_cmp_ne_u32_e64 s3, s7, v20
	s_wait_loadcnt 0x2
	v_cmp_ne_u32_e64 s4, s7, v21
	s_xor_b32 s0, s10, s0
	s_wait_loadcnt 0x1
	v_cmp_ne_u32_e64 s5, s7, v22
	v_cndmask_b32_e64 v3, 0, 1, s0
	s_xor_b32 s0, s10, s1
	s_wait_loadcnt 0x0
	v_cmp_ne_u32_e64 s6, s7, v23
	v_cndmask_b32_e64 v5, 0, 1, s0
	s_xor_b32 s0, s10, s2
	s_xor_b32 s7, s10, vcc_lo
	v_cndmask_b32_e64 v7, 0, 1, s0
	s_xor_b32 s0, s10, s3
	v_cndmask_b32_e64 v1, 0, 1, s7
	v_cndmask_b32_e64 v9, 0, 1, s0
	s_xor_b32 s0, s10, s4
	s_delay_alu instid0(SALU_CYCLE_1) | instskip(SKIP_1) | instid1(SALU_CYCLE_1)
	v_cndmask_b32_e64 v11, 0, 1, s0
	s_xor_b32 s0, s10, s5
	v_cndmask_b32_e64 v13, 0, 1, s0
	s_xor_b32 s0, s10, s6
	s_delay_alu instid0(SALU_CYCLE_1)
	v_cndmask_b32_e64 v15, 0, 1, s0
	s_clause 0x7
	global_store_b8 v2, v1, s[8:9]
	global_store_b8 v4, v3, s[8:9]
	;; [unrolled: 1-line block ×8, first 2 shown]
	s_endpgm
.LBB45_129:
	v_dual_mov_b32 v3, 0 :: v_dual_mov_b32 v2, 0
	s_branch .LBB45_135
.LBB45_130:
	v_dual_mov_b32 v3, 0 :: v_dual_mov_b32 v2, 0
	s_branch .LBB45_151
.LBB45_131:
	v_mov_b64_e32 v[2:3], 0
	v_mov_b32_e32 v1, v0
	s_mov_b32 s24, 0
.LBB45_132:
	s_and_b32 s16, s16, 3
	s_mov_b32 s25, 0
	s_cmp_eq_u32 s16, 0
	s_cbranch_scc1 .LBB45_135
; %bb.133:
	s_lshl_b32 s26, s24, 3
	s_mov_b32 s27, s25
	s_mul_u64 s[28:29], s[24:25], 12
	s_add_nc_u64 s[26:27], s[12:13], s[26:27]
	s_delay_alu instid0(SALU_CYCLE_1)
	s_add_nc_u64 s[24:25], s[26:27], 0xc4
	s_add_nc_u64 s[26:27], s[12:13], s[28:29]
.LBB45_134:                             ; =>This Inner Loop Header: Depth=1
	s_load_b96 s[40:42], s[26:27], 0x4
	s_load_b64 s[28:29], s[24:25], 0x0
	s_add_co_i32 s16, s16, -1
	s_wait_xcnt 0x0
	s_add_nc_u64 s[26:27], s[26:27], 12
	s_cmp_lg_u32 s16, 0
	s_add_nc_u64 s[24:25], s[24:25], 8
	s_wait_kmcnt 0x0
	v_mul_hi_u32 v4, s41, v1
	s_delay_alu instid0(VALU_DEP_1) | instskip(NEXT) | instid1(VALU_DEP_1)
	v_add_nc_u32_e32 v4, v1, v4
	v_lshrrev_b32_e32 v4, s42, v4
	s_delay_alu instid0(VALU_DEP_1) | instskip(NEXT) | instid1(VALU_DEP_1)
	v_mul_lo_u32 v5, v4, s40
	v_sub_nc_u32_e32 v1, v1, v5
	s_delay_alu instid0(VALU_DEP_1)
	v_mad_u32 v3, v1, s29, v3
	v_mad_u32 v2, v1, s28, v2
	v_mov_b32_e32 v1, v4
	s_cbranch_scc1 .LBB45_134
.LBB45_135:
	s_cbranch_execnz .LBB45_138
.LBB45_136:
	v_mov_b32_e32 v1, 0
	s_and_not1_b32 vcc_lo, exec_lo, s35
	s_delay_alu instid0(VALU_DEP_1) | instskip(NEXT) | instid1(VALU_DEP_1)
	v_mul_u64_e32 v[2:3], s[18:19], v[0:1]
	v_add_nc_u32_e32 v2, v0, v3
	s_delay_alu instid0(VALU_DEP_1) | instskip(NEXT) | instid1(VALU_DEP_1)
	v_lshrrev_b32_e32 v4, s6, v2
	v_mul_lo_u32 v2, v4, s4
	s_delay_alu instid0(VALU_DEP_1) | instskip(NEXT) | instid1(VALU_DEP_1)
	v_sub_nc_u32_e32 v2, v0, v2
	v_mul_lo_u32 v3, v2, s9
	v_mul_lo_u32 v2, v2, s8
	s_cbranch_vccnz .LBB45_138
; %bb.137:
	v_mov_b32_e32 v5, v1
	s_delay_alu instid0(VALU_DEP_1) | instskip(NEXT) | instid1(VALU_DEP_1)
	v_mul_u64_e32 v[6:7], s[20:21], v[4:5]
	v_add_nc_u32_e32 v1, v4, v7
	s_delay_alu instid0(VALU_DEP_1) | instskip(NEXT) | instid1(VALU_DEP_1)
	v_lshrrev_b32_e32 v1, s17, v1
	v_mul_lo_u32 v1, v1, s7
	s_delay_alu instid0(VALU_DEP_1) | instskip(NEXT) | instid1(VALU_DEP_1)
	v_sub_nc_u32_e32 v1, v4, v1
	v_mad_u32 v2, v1, s10, v2
	v_mad_u32 v3, v1, s11, v3
.LBB45_138:
	global_load_b32 v1, v3, s[2:3]
	v_add_nc_u32_e32 v0, 0x80, v0
	s_wait_loadcnt 0x0
	v_cmp_ne_u32_e32 vcc_lo, s15, v1
	s_xor_b32 s16, s5, vcc_lo
	s_delay_alu instid0(SALU_CYCLE_1) | instskip(SKIP_3) | instid1(SALU_CYCLE_1)
	v_cndmask_b32_e64 v1, 0, 1, s16
	global_store_b8 v2, v1, s[0:1]
	s_wait_xcnt 0x0
	s_or_b32 exec_lo, exec_lo, s14
	s_mov_b32 s14, exec_lo
	v_cmpx_gt_i32_e64 s36, v0
	s_cbranch_execnz .LBB45_15
.LBB45_139:
	s_or_b32 exec_lo, exec_lo, s14
	s_delay_alu instid0(SALU_CYCLE_1)
	s_mov_b32 s14, exec_lo
	v_cmpx_gt_i32_e64 s36, v0
	s_cbranch_execz .LBB45_155
.LBB45_140:
	s_and_not1_b32 vcc_lo, exec_lo, s33
	s_cbranch_vccnz .LBB45_145
; %bb.141:
	s_and_not1_b32 vcc_lo, exec_lo, s38
	s_cbranch_vccnz .LBB45_146
; %bb.142:
	s_add_co_i32 s16, s37, 1
	s_cmp_eq_u32 s31, 2
	s_cbranch_scc1 .LBB45_163
; %bb.143:
	v_dual_mov_b32 v2, 0 :: v_dual_mov_b32 v3, 0
	v_mov_b32_e32 v1, v0
	s_and_b32 s24, s16, 28
	s_mov_b32 s25, 0
	s_mov_b64 s[26:27], s[12:13]
	s_mov_b64 s[28:29], s[22:23]
.LBB45_144:                             ; =>This Inner Loop Header: Depth=1
	s_clause 0x1
	s_load_b256 s[40:47], s[26:27], 0x4
	s_load_b128 s[56:59], s[26:27], 0x24
	s_load_b256 s[48:55], s[28:29], 0x0
	s_add_co_i32 s25, s25, 4
	s_wait_xcnt 0x0
	s_add_nc_u64 s[26:27], s[26:27], 48
	s_cmp_eq_u32 s24, s25
	s_add_nc_u64 s[28:29], s[28:29], 32
	s_wait_kmcnt 0x0
	v_mul_hi_u32 v4, s41, v1
	s_delay_alu instid0(VALU_DEP_1) | instskip(NEXT) | instid1(VALU_DEP_1)
	v_add_nc_u32_e32 v4, v1, v4
	v_lshrrev_b32_e32 v4, s42, v4
	s_delay_alu instid0(VALU_DEP_1) | instskip(NEXT) | instid1(VALU_DEP_1)
	v_mul_hi_u32 v5, s44, v4
	v_add_nc_u32_e32 v5, v4, v5
	s_delay_alu instid0(VALU_DEP_1) | instskip(NEXT) | instid1(VALU_DEP_1)
	v_lshrrev_b32_e32 v5, s45, v5
	v_mul_hi_u32 v6, s47, v5
	s_delay_alu instid0(VALU_DEP_1) | instskip(SKIP_1) | instid1(VALU_DEP_1)
	v_add_nc_u32_e32 v6, v5, v6
	v_mul_lo_u32 v7, v4, s40
	v_sub_nc_u32_e32 v1, v1, v7
	v_mul_lo_u32 v7, v5, s43
	s_delay_alu instid0(VALU_DEP_4) | instskip(NEXT) | instid1(VALU_DEP_3)
	v_lshrrev_b32_e32 v6, s56, v6
	v_mad_u32 v3, v1, s49, v3
	v_mad_u32 v1, v1, s48, v2
	s_delay_alu instid0(VALU_DEP_4) | instskip(NEXT) | instid1(VALU_DEP_4)
	v_sub_nc_u32_e32 v2, v4, v7
	v_mul_hi_u32 v8, s58, v6
	v_mul_lo_u32 v4, v6, s46
	s_delay_alu instid0(VALU_DEP_3) | instskip(SKIP_1) | instid1(VALU_DEP_4)
	v_mad_u32 v3, v2, s51, v3
	v_mad_u32 v2, v2, s50, v1
	v_add_nc_u32_e32 v7, v6, v8
	s_delay_alu instid0(VALU_DEP_1) | instskip(NEXT) | instid1(VALU_DEP_1)
	v_dual_sub_nc_u32 v4, v5, v4 :: v_dual_lshrrev_b32 v1, s59, v7
	v_mad_u32 v3, v4, s53, v3
	s_delay_alu instid0(VALU_DEP_4) | instskip(NEXT) | instid1(VALU_DEP_3)
	v_mad_u32 v2, v4, s52, v2
	v_mul_lo_u32 v5, v1, s57
	s_delay_alu instid0(VALU_DEP_1) | instskip(NEXT) | instid1(VALU_DEP_1)
	v_sub_nc_u32_e32 v4, v6, v5
	v_mad_u32 v3, v4, s55, v3
	s_delay_alu instid0(VALU_DEP_4)
	v_mad_u32 v2, v4, s54, v2
	s_cbranch_scc0 .LBB45_144
	s_branch .LBB45_164
.LBB45_145:
                                        ; implicit-def: $vgpr3
	s_branch .LBB45_168
.LBB45_146:
	v_dual_mov_b32 v3, 0 :: v_dual_mov_b32 v2, 0
	s_branch .LBB45_167
.LBB45_147:
	v_mov_b64_e32 v[2:3], 0
	v_mov_b32_e32 v1, v0
	s_mov_b32 s24, 0
.LBB45_148:
	s_and_b32 s16, s16, 3
	s_mov_b32 s25, 0
	s_cmp_eq_u32 s16, 0
	s_cbranch_scc1 .LBB45_151
; %bb.149:
	s_lshl_b32 s26, s24, 3
	s_mov_b32 s27, s25
	s_mul_u64 s[28:29], s[24:25], 12
	s_add_nc_u64 s[26:27], s[12:13], s[26:27]
	s_delay_alu instid0(SALU_CYCLE_1)
	s_add_nc_u64 s[24:25], s[26:27], 0xc4
	s_add_nc_u64 s[26:27], s[12:13], s[28:29]
.LBB45_150:                             ; =>This Inner Loop Header: Depth=1
	s_load_b96 s[40:42], s[26:27], 0x4
	s_load_b64 s[28:29], s[24:25], 0x0
	s_add_co_i32 s16, s16, -1
	s_wait_xcnt 0x0
	s_add_nc_u64 s[26:27], s[26:27], 12
	s_cmp_lg_u32 s16, 0
	s_add_nc_u64 s[24:25], s[24:25], 8
	s_wait_kmcnt 0x0
	v_mul_hi_u32 v4, s41, v1
	s_delay_alu instid0(VALU_DEP_1) | instskip(NEXT) | instid1(VALU_DEP_1)
	v_add_nc_u32_e32 v4, v1, v4
	v_lshrrev_b32_e32 v4, s42, v4
	s_delay_alu instid0(VALU_DEP_1) | instskip(NEXT) | instid1(VALU_DEP_1)
	v_mul_lo_u32 v5, v4, s40
	v_sub_nc_u32_e32 v1, v1, v5
	s_delay_alu instid0(VALU_DEP_1)
	v_mad_u32 v3, v1, s29, v3
	v_mad_u32 v2, v1, s28, v2
	v_mov_b32_e32 v1, v4
	s_cbranch_scc1 .LBB45_150
.LBB45_151:
	s_cbranch_execnz .LBB45_154
.LBB45_152:
	v_mov_b32_e32 v1, 0
	s_and_not1_b32 vcc_lo, exec_lo, s35
	s_delay_alu instid0(VALU_DEP_1) | instskip(NEXT) | instid1(VALU_DEP_1)
	v_mul_u64_e32 v[2:3], s[18:19], v[0:1]
	v_add_nc_u32_e32 v2, v0, v3
	s_delay_alu instid0(VALU_DEP_1) | instskip(NEXT) | instid1(VALU_DEP_1)
	v_lshrrev_b32_e32 v4, s6, v2
	v_mul_lo_u32 v2, v4, s4
	s_delay_alu instid0(VALU_DEP_1) | instskip(NEXT) | instid1(VALU_DEP_1)
	v_sub_nc_u32_e32 v2, v0, v2
	v_mul_lo_u32 v3, v2, s9
	v_mul_lo_u32 v2, v2, s8
	s_cbranch_vccnz .LBB45_154
; %bb.153:
	v_mov_b32_e32 v5, v1
	s_delay_alu instid0(VALU_DEP_1) | instskip(NEXT) | instid1(VALU_DEP_1)
	v_mul_u64_e32 v[6:7], s[20:21], v[4:5]
	v_add_nc_u32_e32 v1, v4, v7
	s_delay_alu instid0(VALU_DEP_1) | instskip(NEXT) | instid1(VALU_DEP_1)
	v_lshrrev_b32_e32 v1, s17, v1
	v_mul_lo_u32 v1, v1, s7
	s_delay_alu instid0(VALU_DEP_1) | instskip(NEXT) | instid1(VALU_DEP_1)
	v_sub_nc_u32_e32 v1, v4, v1
	v_mad_u32 v2, v1, s10, v2
	v_mad_u32 v3, v1, s11, v3
.LBB45_154:
	global_load_b32 v1, v3, s[2:3]
	v_add_nc_u32_e32 v0, 0x80, v0
	s_wait_loadcnt 0x0
	v_cmp_ne_u32_e32 vcc_lo, s15, v1
	s_xor_b32 s16, s5, vcc_lo
	s_delay_alu instid0(SALU_CYCLE_1) | instskip(SKIP_3) | instid1(SALU_CYCLE_1)
	v_cndmask_b32_e64 v1, 0, 1, s16
	global_store_b8 v2, v1, s[0:1]
	s_wait_xcnt 0x0
	s_or_b32 exec_lo, exec_lo, s14
	s_mov_b32 s14, exec_lo
	v_cmpx_gt_i32_e64 s36, v0
	s_cbranch_execnz .LBB45_140
.LBB45_155:
	s_or_b32 exec_lo, exec_lo, s14
	s_delay_alu instid0(SALU_CYCLE_1)
	s_mov_b32 s14, exec_lo
	v_cmpx_gt_i32_e64 s36, v0
	s_cbranch_execz .LBB45_171
.LBB45_156:
	s_and_not1_b32 vcc_lo, exec_lo, s33
	s_cbranch_vccnz .LBB45_161
; %bb.157:
	s_and_not1_b32 vcc_lo, exec_lo, s38
	s_cbranch_vccnz .LBB45_162
; %bb.158:
	s_add_co_i32 s16, s37, 1
	s_cmp_eq_u32 s31, 2
	s_cbranch_scc1 .LBB45_179
; %bb.159:
	v_dual_mov_b32 v2, 0 :: v_dual_mov_b32 v3, 0
	v_mov_b32_e32 v1, v0
	s_and_b32 s24, s16, 28
	s_mov_b32 s25, 0
	s_mov_b64 s[26:27], s[12:13]
	s_mov_b64 s[28:29], s[22:23]
.LBB45_160:                             ; =>This Inner Loop Header: Depth=1
	s_clause 0x1
	s_load_b256 s[40:47], s[26:27], 0x4
	s_load_b128 s[56:59], s[26:27], 0x24
	s_load_b256 s[48:55], s[28:29], 0x0
	s_add_co_i32 s25, s25, 4
	s_wait_xcnt 0x0
	s_add_nc_u64 s[26:27], s[26:27], 48
	s_cmp_eq_u32 s24, s25
	s_add_nc_u64 s[28:29], s[28:29], 32
	s_wait_kmcnt 0x0
	v_mul_hi_u32 v4, s41, v1
	s_delay_alu instid0(VALU_DEP_1) | instskip(NEXT) | instid1(VALU_DEP_1)
	v_add_nc_u32_e32 v4, v1, v4
	v_lshrrev_b32_e32 v4, s42, v4
	s_delay_alu instid0(VALU_DEP_1) | instskip(NEXT) | instid1(VALU_DEP_1)
	v_mul_hi_u32 v5, s44, v4
	v_add_nc_u32_e32 v5, v4, v5
	s_delay_alu instid0(VALU_DEP_1) | instskip(NEXT) | instid1(VALU_DEP_1)
	v_lshrrev_b32_e32 v5, s45, v5
	v_mul_hi_u32 v6, s47, v5
	s_delay_alu instid0(VALU_DEP_1) | instskip(SKIP_1) | instid1(VALU_DEP_1)
	v_add_nc_u32_e32 v6, v5, v6
	v_mul_lo_u32 v7, v4, s40
	v_sub_nc_u32_e32 v1, v1, v7
	v_mul_lo_u32 v7, v5, s43
	s_delay_alu instid0(VALU_DEP_4) | instskip(NEXT) | instid1(VALU_DEP_3)
	v_lshrrev_b32_e32 v6, s56, v6
	v_mad_u32 v3, v1, s49, v3
	v_mad_u32 v1, v1, s48, v2
	s_delay_alu instid0(VALU_DEP_4) | instskip(NEXT) | instid1(VALU_DEP_4)
	v_sub_nc_u32_e32 v2, v4, v7
	v_mul_hi_u32 v8, s58, v6
	v_mul_lo_u32 v4, v6, s46
	s_delay_alu instid0(VALU_DEP_3) | instskip(SKIP_1) | instid1(VALU_DEP_4)
	v_mad_u32 v3, v2, s51, v3
	v_mad_u32 v2, v2, s50, v1
	v_add_nc_u32_e32 v7, v6, v8
	s_delay_alu instid0(VALU_DEP_1) | instskip(NEXT) | instid1(VALU_DEP_1)
	v_dual_sub_nc_u32 v4, v5, v4 :: v_dual_lshrrev_b32 v1, s59, v7
	v_mad_u32 v3, v4, s53, v3
	s_delay_alu instid0(VALU_DEP_4) | instskip(NEXT) | instid1(VALU_DEP_3)
	v_mad_u32 v2, v4, s52, v2
	v_mul_lo_u32 v5, v1, s57
	s_delay_alu instid0(VALU_DEP_1) | instskip(NEXT) | instid1(VALU_DEP_1)
	v_sub_nc_u32_e32 v4, v6, v5
	v_mad_u32 v3, v4, s55, v3
	s_delay_alu instid0(VALU_DEP_4)
	v_mad_u32 v2, v4, s54, v2
	s_cbranch_scc0 .LBB45_160
	s_branch .LBB45_180
.LBB45_161:
                                        ; implicit-def: $vgpr3
	s_branch .LBB45_184
.LBB45_162:
	v_dual_mov_b32 v3, 0 :: v_dual_mov_b32 v2, 0
	s_branch .LBB45_183
.LBB45_163:
	v_mov_b64_e32 v[2:3], 0
	v_mov_b32_e32 v1, v0
	s_mov_b32 s24, 0
.LBB45_164:
	s_and_b32 s16, s16, 3
	s_mov_b32 s25, 0
	s_cmp_eq_u32 s16, 0
	s_cbranch_scc1 .LBB45_167
; %bb.165:
	s_lshl_b32 s26, s24, 3
	s_mov_b32 s27, s25
	s_mul_u64 s[28:29], s[24:25], 12
	s_add_nc_u64 s[26:27], s[12:13], s[26:27]
	s_delay_alu instid0(SALU_CYCLE_1)
	s_add_nc_u64 s[24:25], s[26:27], 0xc4
	s_add_nc_u64 s[26:27], s[12:13], s[28:29]
.LBB45_166:                             ; =>This Inner Loop Header: Depth=1
	s_load_b96 s[40:42], s[26:27], 0x4
	s_load_b64 s[28:29], s[24:25], 0x0
	s_add_co_i32 s16, s16, -1
	s_wait_xcnt 0x0
	s_add_nc_u64 s[26:27], s[26:27], 12
	s_cmp_lg_u32 s16, 0
	s_add_nc_u64 s[24:25], s[24:25], 8
	s_wait_kmcnt 0x0
	v_mul_hi_u32 v4, s41, v1
	s_delay_alu instid0(VALU_DEP_1) | instskip(NEXT) | instid1(VALU_DEP_1)
	v_add_nc_u32_e32 v4, v1, v4
	v_lshrrev_b32_e32 v4, s42, v4
	s_delay_alu instid0(VALU_DEP_1) | instskip(NEXT) | instid1(VALU_DEP_1)
	v_mul_lo_u32 v5, v4, s40
	v_sub_nc_u32_e32 v1, v1, v5
	s_delay_alu instid0(VALU_DEP_1)
	v_mad_u32 v3, v1, s29, v3
	v_mad_u32 v2, v1, s28, v2
	v_mov_b32_e32 v1, v4
	s_cbranch_scc1 .LBB45_166
.LBB45_167:
	s_cbranch_execnz .LBB45_170
.LBB45_168:
	v_mov_b32_e32 v1, 0
	s_and_not1_b32 vcc_lo, exec_lo, s35
	s_delay_alu instid0(VALU_DEP_1) | instskip(NEXT) | instid1(VALU_DEP_1)
	v_mul_u64_e32 v[2:3], s[18:19], v[0:1]
	v_add_nc_u32_e32 v2, v0, v3
	s_delay_alu instid0(VALU_DEP_1) | instskip(NEXT) | instid1(VALU_DEP_1)
	v_lshrrev_b32_e32 v4, s6, v2
	v_mul_lo_u32 v2, v4, s4
	s_delay_alu instid0(VALU_DEP_1) | instskip(NEXT) | instid1(VALU_DEP_1)
	v_sub_nc_u32_e32 v2, v0, v2
	v_mul_lo_u32 v3, v2, s9
	v_mul_lo_u32 v2, v2, s8
	s_cbranch_vccnz .LBB45_170
; %bb.169:
	v_mov_b32_e32 v5, v1
	s_delay_alu instid0(VALU_DEP_1) | instskip(NEXT) | instid1(VALU_DEP_1)
	v_mul_u64_e32 v[6:7], s[20:21], v[4:5]
	v_add_nc_u32_e32 v1, v4, v7
	s_delay_alu instid0(VALU_DEP_1) | instskip(NEXT) | instid1(VALU_DEP_1)
	v_lshrrev_b32_e32 v1, s17, v1
	v_mul_lo_u32 v1, v1, s7
	s_delay_alu instid0(VALU_DEP_1) | instskip(NEXT) | instid1(VALU_DEP_1)
	v_sub_nc_u32_e32 v1, v4, v1
	v_mad_u32 v2, v1, s10, v2
	v_mad_u32 v3, v1, s11, v3
.LBB45_170:
	global_load_b32 v1, v3, s[2:3]
	v_add_nc_u32_e32 v0, 0x80, v0
	s_wait_loadcnt 0x0
	v_cmp_ne_u32_e32 vcc_lo, s15, v1
	s_xor_b32 s16, s5, vcc_lo
	s_delay_alu instid0(SALU_CYCLE_1) | instskip(SKIP_3) | instid1(SALU_CYCLE_1)
	v_cndmask_b32_e64 v1, 0, 1, s16
	global_store_b8 v2, v1, s[0:1]
	s_wait_xcnt 0x0
	s_or_b32 exec_lo, exec_lo, s14
	s_mov_b32 s14, exec_lo
	v_cmpx_gt_i32_e64 s36, v0
	s_cbranch_execnz .LBB45_156
.LBB45_171:
	s_or_b32 exec_lo, exec_lo, s14
	s_delay_alu instid0(SALU_CYCLE_1)
	s_mov_b32 s14, exec_lo
	v_cmpx_gt_i32_e64 s36, v0
	s_cbranch_execz .LBB45_187
.LBB45_172:
	s_and_not1_b32 vcc_lo, exec_lo, s33
	s_cbranch_vccnz .LBB45_177
; %bb.173:
	s_and_not1_b32 vcc_lo, exec_lo, s38
	s_cbranch_vccnz .LBB45_178
; %bb.174:
	s_add_co_i32 s16, s37, 1
	s_cmp_eq_u32 s31, 2
	s_cbranch_scc1 .LBB45_195
; %bb.175:
	v_dual_mov_b32 v2, 0 :: v_dual_mov_b32 v3, 0
	v_mov_b32_e32 v1, v0
	s_and_b32 s24, s16, 28
	s_mov_b32 s25, 0
	s_mov_b64 s[26:27], s[12:13]
	s_mov_b64 s[28:29], s[22:23]
.LBB45_176:                             ; =>This Inner Loop Header: Depth=1
	s_clause 0x1
	s_load_b256 s[40:47], s[26:27], 0x4
	s_load_b128 s[56:59], s[26:27], 0x24
	s_load_b256 s[48:55], s[28:29], 0x0
	s_add_co_i32 s25, s25, 4
	s_wait_xcnt 0x0
	s_add_nc_u64 s[26:27], s[26:27], 48
	s_cmp_eq_u32 s24, s25
	s_add_nc_u64 s[28:29], s[28:29], 32
	s_wait_kmcnt 0x0
	v_mul_hi_u32 v4, s41, v1
	s_delay_alu instid0(VALU_DEP_1) | instskip(NEXT) | instid1(VALU_DEP_1)
	v_add_nc_u32_e32 v4, v1, v4
	v_lshrrev_b32_e32 v4, s42, v4
	s_delay_alu instid0(VALU_DEP_1) | instskip(NEXT) | instid1(VALU_DEP_1)
	v_mul_hi_u32 v5, s44, v4
	v_add_nc_u32_e32 v5, v4, v5
	s_delay_alu instid0(VALU_DEP_1) | instskip(NEXT) | instid1(VALU_DEP_1)
	v_lshrrev_b32_e32 v5, s45, v5
	v_mul_hi_u32 v6, s47, v5
	s_delay_alu instid0(VALU_DEP_1) | instskip(SKIP_1) | instid1(VALU_DEP_1)
	v_add_nc_u32_e32 v6, v5, v6
	v_mul_lo_u32 v7, v4, s40
	v_sub_nc_u32_e32 v1, v1, v7
	v_mul_lo_u32 v7, v5, s43
	s_delay_alu instid0(VALU_DEP_4) | instskip(NEXT) | instid1(VALU_DEP_3)
	v_lshrrev_b32_e32 v6, s56, v6
	v_mad_u32 v3, v1, s49, v3
	v_mad_u32 v1, v1, s48, v2
	s_delay_alu instid0(VALU_DEP_4) | instskip(NEXT) | instid1(VALU_DEP_4)
	v_sub_nc_u32_e32 v2, v4, v7
	v_mul_hi_u32 v8, s58, v6
	v_mul_lo_u32 v4, v6, s46
	s_delay_alu instid0(VALU_DEP_3) | instskip(SKIP_1) | instid1(VALU_DEP_4)
	v_mad_u32 v3, v2, s51, v3
	v_mad_u32 v2, v2, s50, v1
	v_add_nc_u32_e32 v7, v6, v8
	s_delay_alu instid0(VALU_DEP_1) | instskip(NEXT) | instid1(VALU_DEP_1)
	v_dual_sub_nc_u32 v4, v5, v4 :: v_dual_lshrrev_b32 v1, s59, v7
	v_mad_u32 v3, v4, s53, v3
	s_delay_alu instid0(VALU_DEP_4) | instskip(NEXT) | instid1(VALU_DEP_3)
	v_mad_u32 v2, v4, s52, v2
	v_mul_lo_u32 v5, v1, s57
	s_delay_alu instid0(VALU_DEP_1) | instskip(NEXT) | instid1(VALU_DEP_1)
	v_sub_nc_u32_e32 v4, v6, v5
	v_mad_u32 v3, v4, s55, v3
	s_delay_alu instid0(VALU_DEP_4)
	v_mad_u32 v2, v4, s54, v2
	s_cbranch_scc0 .LBB45_176
	s_branch .LBB45_196
.LBB45_177:
                                        ; implicit-def: $vgpr3
	s_branch .LBB45_200
.LBB45_178:
	v_dual_mov_b32 v3, 0 :: v_dual_mov_b32 v2, 0
	s_branch .LBB45_199
.LBB45_179:
	v_mov_b64_e32 v[2:3], 0
	v_mov_b32_e32 v1, v0
	s_mov_b32 s24, 0
.LBB45_180:
	s_and_b32 s16, s16, 3
	s_mov_b32 s25, 0
	s_cmp_eq_u32 s16, 0
	s_cbranch_scc1 .LBB45_183
; %bb.181:
	s_lshl_b32 s26, s24, 3
	s_mov_b32 s27, s25
	s_mul_u64 s[28:29], s[24:25], 12
	s_add_nc_u64 s[26:27], s[12:13], s[26:27]
	s_delay_alu instid0(SALU_CYCLE_1)
	s_add_nc_u64 s[24:25], s[26:27], 0xc4
	s_add_nc_u64 s[26:27], s[12:13], s[28:29]
.LBB45_182:                             ; =>This Inner Loop Header: Depth=1
	s_load_b96 s[40:42], s[26:27], 0x4
	s_load_b64 s[28:29], s[24:25], 0x0
	s_add_co_i32 s16, s16, -1
	s_wait_xcnt 0x0
	s_add_nc_u64 s[26:27], s[26:27], 12
	s_cmp_lg_u32 s16, 0
	s_add_nc_u64 s[24:25], s[24:25], 8
	s_wait_kmcnt 0x0
	v_mul_hi_u32 v4, s41, v1
	s_delay_alu instid0(VALU_DEP_1) | instskip(NEXT) | instid1(VALU_DEP_1)
	v_add_nc_u32_e32 v4, v1, v4
	v_lshrrev_b32_e32 v4, s42, v4
	s_delay_alu instid0(VALU_DEP_1) | instskip(NEXT) | instid1(VALU_DEP_1)
	v_mul_lo_u32 v5, v4, s40
	v_sub_nc_u32_e32 v1, v1, v5
	s_delay_alu instid0(VALU_DEP_1)
	v_mad_u32 v3, v1, s29, v3
	v_mad_u32 v2, v1, s28, v2
	v_mov_b32_e32 v1, v4
	s_cbranch_scc1 .LBB45_182
.LBB45_183:
	s_cbranch_execnz .LBB45_186
.LBB45_184:
	v_mov_b32_e32 v1, 0
	s_and_not1_b32 vcc_lo, exec_lo, s35
	s_delay_alu instid0(VALU_DEP_1) | instskip(NEXT) | instid1(VALU_DEP_1)
	v_mul_u64_e32 v[2:3], s[18:19], v[0:1]
	v_add_nc_u32_e32 v2, v0, v3
	s_delay_alu instid0(VALU_DEP_1) | instskip(NEXT) | instid1(VALU_DEP_1)
	v_lshrrev_b32_e32 v4, s6, v2
	v_mul_lo_u32 v2, v4, s4
	s_delay_alu instid0(VALU_DEP_1) | instskip(NEXT) | instid1(VALU_DEP_1)
	v_sub_nc_u32_e32 v2, v0, v2
	v_mul_lo_u32 v3, v2, s9
	v_mul_lo_u32 v2, v2, s8
	s_cbranch_vccnz .LBB45_186
; %bb.185:
	v_mov_b32_e32 v5, v1
	s_delay_alu instid0(VALU_DEP_1) | instskip(NEXT) | instid1(VALU_DEP_1)
	v_mul_u64_e32 v[6:7], s[20:21], v[4:5]
	v_add_nc_u32_e32 v1, v4, v7
	s_delay_alu instid0(VALU_DEP_1) | instskip(NEXT) | instid1(VALU_DEP_1)
	v_lshrrev_b32_e32 v1, s17, v1
	v_mul_lo_u32 v1, v1, s7
	s_delay_alu instid0(VALU_DEP_1) | instskip(NEXT) | instid1(VALU_DEP_1)
	v_sub_nc_u32_e32 v1, v4, v1
	v_mad_u32 v2, v1, s10, v2
	v_mad_u32 v3, v1, s11, v3
.LBB45_186:
	global_load_b32 v1, v3, s[2:3]
	v_add_nc_u32_e32 v0, 0x80, v0
	s_wait_loadcnt 0x0
	v_cmp_ne_u32_e32 vcc_lo, s15, v1
	s_xor_b32 s16, s5, vcc_lo
	s_delay_alu instid0(SALU_CYCLE_1) | instskip(SKIP_3) | instid1(SALU_CYCLE_1)
	v_cndmask_b32_e64 v1, 0, 1, s16
	global_store_b8 v2, v1, s[0:1]
	s_wait_xcnt 0x0
	s_or_b32 exec_lo, exec_lo, s14
	s_mov_b32 s14, exec_lo
	v_cmpx_gt_i32_e64 s36, v0
	s_cbranch_execnz .LBB45_172
.LBB45_187:
	s_or_b32 exec_lo, exec_lo, s14
	s_delay_alu instid0(SALU_CYCLE_1)
	s_mov_b32 s14, exec_lo
	v_cmpx_gt_i32_e64 s36, v0
	s_cbranch_execz .LBB45_203
.LBB45_188:
	s_and_not1_b32 vcc_lo, exec_lo, s33
	s_cbranch_vccnz .LBB45_193
; %bb.189:
	s_and_not1_b32 vcc_lo, exec_lo, s38
	s_cbranch_vccnz .LBB45_194
; %bb.190:
	s_add_co_i32 s16, s37, 1
	s_cmp_eq_u32 s31, 2
	s_cbranch_scc1 .LBB45_211
; %bb.191:
	v_dual_mov_b32 v2, 0 :: v_dual_mov_b32 v3, 0
	v_mov_b32_e32 v1, v0
	s_and_b32 s24, s16, 28
	s_mov_b32 s25, 0
	s_mov_b64 s[26:27], s[12:13]
	s_mov_b64 s[28:29], s[22:23]
.LBB45_192:                             ; =>This Inner Loop Header: Depth=1
	s_clause 0x1
	s_load_b256 s[40:47], s[26:27], 0x4
	s_load_b128 s[56:59], s[26:27], 0x24
	s_load_b256 s[48:55], s[28:29], 0x0
	s_add_co_i32 s25, s25, 4
	s_wait_xcnt 0x0
	s_add_nc_u64 s[26:27], s[26:27], 48
	s_cmp_eq_u32 s24, s25
	s_add_nc_u64 s[28:29], s[28:29], 32
	s_wait_kmcnt 0x0
	v_mul_hi_u32 v4, s41, v1
	s_delay_alu instid0(VALU_DEP_1) | instskip(NEXT) | instid1(VALU_DEP_1)
	v_add_nc_u32_e32 v4, v1, v4
	v_lshrrev_b32_e32 v4, s42, v4
	s_delay_alu instid0(VALU_DEP_1) | instskip(NEXT) | instid1(VALU_DEP_1)
	v_mul_hi_u32 v5, s44, v4
	v_add_nc_u32_e32 v5, v4, v5
	s_delay_alu instid0(VALU_DEP_1) | instskip(NEXT) | instid1(VALU_DEP_1)
	v_lshrrev_b32_e32 v5, s45, v5
	v_mul_hi_u32 v6, s47, v5
	s_delay_alu instid0(VALU_DEP_1) | instskip(SKIP_1) | instid1(VALU_DEP_1)
	v_add_nc_u32_e32 v6, v5, v6
	v_mul_lo_u32 v7, v4, s40
	v_sub_nc_u32_e32 v1, v1, v7
	v_mul_lo_u32 v7, v5, s43
	s_delay_alu instid0(VALU_DEP_4) | instskip(NEXT) | instid1(VALU_DEP_3)
	v_lshrrev_b32_e32 v6, s56, v6
	v_mad_u32 v3, v1, s49, v3
	v_mad_u32 v1, v1, s48, v2
	s_delay_alu instid0(VALU_DEP_4) | instskip(NEXT) | instid1(VALU_DEP_4)
	v_sub_nc_u32_e32 v2, v4, v7
	v_mul_hi_u32 v8, s58, v6
	v_mul_lo_u32 v4, v6, s46
	s_delay_alu instid0(VALU_DEP_3) | instskip(SKIP_1) | instid1(VALU_DEP_4)
	v_mad_u32 v3, v2, s51, v3
	v_mad_u32 v2, v2, s50, v1
	v_add_nc_u32_e32 v7, v6, v8
	s_delay_alu instid0(VALU_DEP_1) | instskip(NEXT) | instid1(VALU_DEP_1)
	v_dual_sub_nc_u32 v4, v5, v4 :: v_dual_lshrrev_b32 v1, s59, v7
	v_mad_u32 v3, v4, s53, v3
	s_delay_alu instid0(VALU_DEP_4) | instskip(NEXT) | instid1(VALU_DEP_3)
	v_mad_u32 v2, v4, s52, v2
	v_mul_lo_u32 v5, v1, s57
	s_delay_alu instid0(VALU_DEP_1) | instskip(NEXT) | instid1(VALU_DEP_1)
	v_sub_nc_u32_e32 v4, v6, v5
	v_mad_u32 v3, v4, s55, v3
	s_delay_alu instid0(VALU_DEP_4)
	v_mad_u32 v2, v4, s54, v2
	s_cbranch_scc0 .LBB45_192
	s_branch .LBB45_212
.LBB45_193:
                                        ; implicit-def: $vgpr3
	s_branch .LBB45_216
.LBB45_194:
	v_dual_mov_b32 v3, 0 :: v_dual_mov_b32 v2, 0
	s_branch .LBB45_215
.LBB45_195:
	v_mov_b64_e32 v[2:3], 0
	v_mov_b32_e32 v1, v0
	s_mov_b32 s24, 0
.LBB45_196:
	s_and_b32 s16, s16, 3
	s_mov_b32 s25, 0
	s_cmp_eq_u32 s16, 0
	s_cbranch_scc1 .LBB45_199
; %bb.197:
	s_lshl_b32 s26, s24, 3
	s_mov_b32 s27, s25
	s_mul_u64 s[28:29], s[24:25], 12
	s_add_nc_u64 s[26:27], s[12:13], s[26:27]
	s_delay_alu instid0(SALU_CYCLE_1)
	s_add_nc_u64 s[24:25], s[26:27], 0xc4
	s_add_nc_u64 s[26:27], s[12:13], s[28:29]
.LBB45_198:                             ; =>This Inner Loop Header: Depth=1
	s_load_b96 s[40:42], s[26:27], 0x4
	s_load_b64 s[28:29], s[24:25], 0x0
	s_add_co_i32 s16, s16, -1
	s_wait_xcnt 0x0
	s_add_nc_u64 s[26:27], s[26:27], 12
	s_cmp_lg_u32 s16, 0
	s_add_nc_u64 s[24:25], s[24:25], 8
	s_wait_kmcnt 0x0
	v_mul_hi_u32 v4, s41, v1
	s_delay_alu instid0(VALU_DEP_1) | instskip(NEXT) | instid1(VALU_DEP_1)
	v_add_nc_u32_e32 v4, v1, v4
	v_lshrrev_b32_e32 v4, s42, v4
	s_delay_alu instid0(VALU_DEP_1) | instskip(NEXT) | instid1(VALU_DEP_1)
	v_mul_lo_u32 v5, v4, s40
	v_sub_nc_u32_e32 v1, v1, v5
	s_delay_alu instid0(VALU_DEP_1)
	v_mad_u32 v3, v1, s29, v3
	v_mad_u32 v2, v1, s28, v2
	v_mov_b32_e32 v1, v4
	s_cbranch_scc1 .LBB45_198
.LBB45_199:
	s_cbranch_execnz .LBB45_202
.LBB45_200:
	v_mov_b32_e32 v1, 0
	s_and_not1_b32 vcc_lo, exec_lo, s35
	s_delay_alu instid0(VALU_DEP_1) | instskip(NEXT) | instid1(VALU_DEP_1)
	v_mul_u64_e32 v[2:3], s[18:19], v[0:1]
	v_add_nc_u32_e32 v2, v0, v3
	s_delay_alu instid0(VALU_DEP_1) | instskip(NEXT) | instid1(VALU_DEP_1)
	v_lshrrev_b32_e32 v4, s6, v2
	v_mul_lo_u32 v2, v4, s4
	s_delay_alu instid0(VALU_DEP_1) | instskip(NEXT) | instid1(VALU_DEP_1)
	v_sub_nc_u32_e32 v2, v0, v2
	v_mul_lo_u32 v3, v2, s9
	v_mul_lo_u32 v2, v2, s8
	s_cbranch_vccnz .LBB45_202
; %bb.201:
	v_mov_b32_e32 v5, v1
	s_delay_alu instid0(VALU_DEP_1) | instskip(NEXT) | instid1(VALU_DEP_1)
	v_mul_u64_e32 v[6:7], s[20:21], v[4:5]
	v_add_nc_u32_e32 v1, v4, v7
	s_delay_alu instid0(VALU_DEP_1) | instskip(NEXT) | instid1(VALU_DEP_1)
	v_lshrrev_b32_e32 v1, s17, v1
	v_mul_lo_u32 v1, v1, s7
	s_delay_alu instid0(VALU_DEP_1) | instskip(NEXT) | instid1(VALU_DEP_1)
	v_sub_nc_u32_e32 v1, v4, v1
	v_mad_u32 v2, v1, s10, v2
	v_mad_u32 v3, v1, s11, v3
.LBB45_202:
	global_load_b32 v1, v3, s[2:3]
	v_add_nc_u32_e32 v0, 0x80, v0
	s_wait_loadcnt 0x0
	v_cmp_ne_u32_e32 vcc_lo, s15, v1
	s_xor_b32 s16, s5, vcc_lo
	s_delay_alu instid0(SALU_CYCLE_1) | instskip(SKIP_3) | instid1(SALU_CYCLE_1)
	v_cndmask_b32_e64 v1, 0, 1, s16
	global_store_b8 v2, v1, s[0:1]
	s_wait_xcnt 0x0
	s_or_b32 exec_lo, exec_lo, s14
	s_mov_b32 s14, exec_lo
	v_cmpx_gt_i32_e64 s36, v0
	s_cbranch_execnz .LBB45_188
.LBB45_203:
	s_or_b32 exec_lo, exec_lo, s14
	s_delay_alu instid0(SALU_CYCLE_1)
	s_mov_b32 s14, exec_lo
	v_cmpx_gt_i32_e64 s36, v0
	s_cbranch_execz .LBB45_219
.LBB45_204:
	s_and_not1_b32 vcc_lo, exec_lo, s33
	s_cbranch_vccnz .LBB45_209
; %bb.205:
	s_and_not1_b32 vcc_lo, exec_lo, s38
	s_cbranch_vccnz .LBB45_210
; %bb.206:
	s_add_co_i32 s16, s37, 1
	s_cmp_eq_u32 s31, 2
	s_cbranch_scc1 .LBB45_222
; %bb.207:
	v_dual_mov_b32 v2, 0 :: v_dual_mov_b32 v3, 0
	v_mov_b32_e32 v1, v0
	s_and_b32 s24, s16, 28
	s_mov_b32 s25, 0
	s_mov_b64 s[26:27], s[12:13]
	s_mov_b64 s[28:29], s[22:23]
.LBB45_208:                             ; =>This Inner Loop Header: Depth=1
	s_clause 0x1
	s_load_b256 s[40:47], s[26:27], 0x4
	s_load_b128 s[56:59], s[26:27], 0x24
	s_load_b256 s[48:55], s[28:29], 0x0
	s_add_co_i32 s25, s25, 4
	s_wait_xcnt 0x0
	s_add_nc_u64 s[26:27], s[26:27], 48
	s_cmp_eq_u32 s24, s25
	s_add_nc_u64 s[28:29], s[28:29], 32
	s_wait_kmcnt 0x0
	v_mul_hi_u32 v4, s41, v1
	s_delay_alu instid0(VALU_DEP_1) | instskip(NEXT) | instid1(VALU_DEP_1)
	v_add_nc_u32_e32 v4, v1, v4
	v_lshrrev_b32_e32 v4, s42, v4
	s_delay_alu instid0(VALU_DEP_1) | instskip(NEXT) | instid1(VALU_DEP_1)
	v_mul_hi_u32 v5, s44, v4
	v_add_nc_u32_e32 v5, v4, v5
	s_delay_alu instid0(VALU_DEP_1) | instskip(NEXT) | instid1(VALU_DEP_1)
	v_lshrrev_b32_e32 v5, s45, v5
	v_mul_hi_u32 v6, s47, v5
	s_delay_alu instid0(VALU_DEP_1) | instskip(SKIP_1) | instid1(VALU_DEP_1)
	v_add_nc_u32_e32 v6, v5, v6
	v_mul_lo_u32 v7, v4, s40
	v_sub_nc_u32_e32 v1, v1, v7
	v_mul_lo_u32 v7, v5, s43
	s_delay_alu instid0(VALU_DEP_4) | instskip(NEXT) | instid1(VALU_DEP_3)
	v_lshrrev_b32_e32 v6, s56, v6
	v_mad_u32 v3, v1, s49, v3
	v_mad_u32 v1, v1, s48, v2
	s_delay_alu instid0(VALU_DEP_4) | instskip(NEXT) | instid1(VALU_DEP_4)
	v_sub_nc_u32_e32 v2, v4, v7
	v_mul_hi_u32 v8, s58, v6
	v_mul_lo_u32 v4, v6, s46
	s_delay_alu instid0(VALU_DEP_3) | instskip(SKIP_1) | instid1(VALU_DEP_4)
	v_mad_u32 v3, v2, s51, v3
	v_mad_u32 v2, v2, s50, v1
	v_add_nc_u32_e32 v7, v6, v8
	s_delay_alu instid0(VALU_DEP_1) | instskip(NEXT) | instid1(VALU_DEP_1)
	v_dual_sub_nc_u32 v4, v5, v4 :: v_dual_lshrrev_b32 v1, s59, v7
	v_mad_u32 v3, v4, s53, v3
	s_delay_alu instid0(VALU_DEP_4) | instskip(NEXT) | instid1(VALU_DEP_3)
	v_mad_u32 v2, v4, s52, v2
	v_mul_lo_u32 v5, v1, s57
	s_delay_alu instid0(VALU_DEP_1) | instskip(NEXT) | instid1(VALU_DEP_1)
	v_sub_nc_u32_e32 v4, v6, v5
	v_mad_u32 v3, v4, s55, v3
	s_delay_alu instid0(VALU_DEP_4)
	v_mad_u32 v2, v4, s54, v2
	s_cbranch_scc0 .LBB45_208
	s_branch .LBB45_223
.LBB45_209:
                                        ; implicit-def: $vgpr3
	s_branch .LBB45_227
.LBB45_210:
	v_dual_mov_b32 v3, 0 :: v_dual_mov_b32 v2, 0
	s_branch .LBB45_226
.LBB45_211:
	v_mov_b64_e32 v[2:3], 0
	v_mov_b32_e32 v1, v0
	s_mov_b32 s24, 0
.LBB45_212:
	s_and_b32 s16, s16, 3
	s_mov_b32 s25, 0
	s_cmp_eq_u32 s16, 0
	s_cbranch_scc1 .LBB45_215
; %bb.213:
	s_lshl_b32 s26, s24, 3
	s_mov_b32 s27, s25
	s_mul_u64 s[28:29], s[24:25], 12
	s_add_nc_u64 s[26:27], s[12:13], s[26:27]
	s_delay_alu instid0(SALU_CYCLE_1)
	s_add_nc_u64 s[24:25], s[26:27], 0xc4
	s_add_nc_u64 s[26:27], s[12:13], s[28:29]
.LBB45_214:                             ; =>This Inner Loop Header: Depth=1
	s_load_b96 s[40:42], s[26:27], 0x4
	s_load_b64 s[28:29], s[24:25], 0x0
	s_add_co_i32 s16, s16, -1
	s_wait_xcnt 0x0
	s_add_nc_u64 s[26:27], s[26:27], 12
	s_cmp_lg_u32 s16, 0
	s_add_nc_u64 s[24:25], s[24:25], 8
	s_wait_kmcnt 0x0
	v_mul_hi_u32 v4, s41, v1
	s_delay_alu instid0(VALU_DEP_1) | instskip(NEXT) | instid1(VALU_DEP_1)
	v_add_nc_u32_e32 v4, v1, v4
	v_lshrrev_b32_e32 v4, s42, v4
	s_delay_alu instid0(VALU_DEP_1) | instskip(NEXT) | instid1(VALU_DEP_1)
	v_mul_lo_u32 v5, v4, s40
	v_sub_nc_u32_e32 v1, v1, v5
	s_delay_alu instid0(VALU_DEP_1)
	v_mad_u32 v3, v1, s29, v3
	v_mad_u32 v2, v1, s28, v2
	v_mov_b32_e32 v1, v4
	s_cbranch_scc1 .LBB45_214
.LBB45_215:
	s_cbranch_execnz .LBB45_218
.LBB45_216:
	v_mov_b32_e32 v1, 0
	s_and_not1_b32 vcc_lo, exec_lo, s35
	s_delay_alu instid0(VALU_DEP_1) | instskip(NEXT) | instid1(VALU_DEP_1)
	v_mul_u64_e32 v[2:3], s[18:19], v[0:1]
	v_add_nc_u32_e32 v2, v0, v3
	s_delay_alu instid0(VALU_DEP_1) | instskip(NEXT) | instid1(VALU_DEP_1)
	v_lshrrev_b32_e32 v4, s6, v2
	v_mul_lo_u32 v2, v4, s4
	s_delay_alu instid0(VALU_DEP_1) | instskip(NEXT) | instid1(VALU_DEP_1)
	v_sub_nc_u32_e32 v2, v0, v2
	v_mul_lo_u32 v3, v2, s9
	v_mul_lo_u32 v2, v2, s8
	s_cbranch_vccnz .LBB45_218
; %bb.217:
	v_mov_b32_e32 v5, v1
	s_delay_alu instid0(VALU_DEP_1) | instskip(NEXT) | instid1(VALU_DEP_1)
	v_mul_u64_e32 v[6:7], s[20:21], v[4:5]
	v_add_nc_u32_e32 v1, v4, v7
	s_delay_alu instid0(VALU_DEP_1) | instskip(NEXT) | instid1(VALU_DEP_1)
	v_lshrrev_b32_e32 v1, s17, v1
	v_mul_lo_u32 v1, v1, s7
	s_delay_alu instid0(VALU_DEP_1) | instskip(NEXT) | instid1(VALU_DEP_1)
	v_sub_nc_u32_e32 v1, v4, v1
	v_mad_u32 v2, v1, s10, v2
	v_mad_u32 v3, v1, s11, v3
.LBB45_218:
	global_load_b32 v1, v3, s[2:3]
	v_add_nc_u32_e32 v0, 0x80, v0
	s_wait_loadcnt 0x0
	v_cmp_ne_u32_e32 vcc_lo, s15, v1
	s_xor_b32 s16, s5, vcc_lo
	s_delay_alu instid0(SALU_CYCLE_1) | instskip(SKIP_3) | instid1(SALU_CYCLE_1)
	v_cndmask_b32_e64 v1, 0, 1, s16
	global_store_b8 v2, v1, s[0:1]
	s_wait_xcnt 0x0
	s_or_b32 exec_lo, exec_lo, s14
	s_mov_b32 s14, exec_lo
	v_cmpx_gt_i32_e64 s36, v0
	s_cbranch_execnz .LBB45_204
.LBB45_219:
	s_or_b32 exec_lo, exec_lo, s14
	s_delay_alu instid0(SALU_CYCLE_1)
	s_mov_b32 s14, exec_lo
	v_cmpx_gt_i32_e64 s36, v0
	s_cbranch_execnz .LBB45_230
.LBB45_220:
	s_or_b32 exec_lo, exec_lo, s14
                                        ; implicit-def: $vgpr16
                                        ; implicit-def: $vgpr0
	s_and_not1_saveexec_b32 s0, s34
	s_cbranch_execnz .LBB45_8
.LBB45_221:
	s_endpgm
.LBB45_222:
	v_mov_b64_e32 v[2:3], 0
	v_mov_b32_e32 v1, v0
	s_mov_b32 s24, 0
.LBB45_223:
	s_and_b32 s16, s16, 3
	s_mov_b32 s25, 0
	s_cmp_eq_u32 s16, 0
	s_cbranch_scc1 .LBB45_226
; %bb.224:
	s_lshl_b32 s26, s24, 3
	s_mov_b32 s27, s25
	s_mul_u64 s[28:29], s[24:25], 12
	s_add_nc_u64 s[26:27], s[12:13], s[26:27]
	s_delay_alu instid0(SALU_CYCLE_1)
	s_add_nc_u64 s[24:25], s[26:27], 0xc4
	s_add_nc_u64 s[26:27], s[12:13], s[28:29]
.LBB45_225:                             ; =>This Inner Loop Header: Depth=1
	s_load_b96 s[40:42], s[26:27], 0x4
	s_load_b64 s[28:29], s[24:25], 0x0
	s_add_co_i32 s16, s16, -1
	s_wait_xcnt 0x0
	s_add_nc_u64 s[26:27], s[26:27], 12
	s_cmp_lg_u32 s16, 0
	s_add_nc_u64 s[24:25], s[24:25], 8
	s_wait_kmcnt 0x0
	v_mul_hi_u32 v4, s41, v1
	s_delay_alu instid0(VALU_DEP_1) | instskip(NEXT) | instid1(VALU_DEP_1)
	v_add_nc_u32_e32 v4, v1, v4
	v_lshrrev_b32_e32 v4, s42, v4
	s_delay_alu instid0(VALU_DEP_1) | instskip(NEXT) | instid1(VALU_DEP_1)
	v_mul_lo_u32 v5, v4, s40
	v_sub_nc_u32_e32 v1, v1, v5
	s_delay_alu instid0(VALU_DEP_1)
	v_mad_u32 v3, v1, s29, v3
	v_mad_u32 v2, v1, s28, v2
	v_mov_b32_e32 v1, v4
	s_cbranch_scc1 .LBB45_225
.LBB45_226:
	s_cbranch_execnz .LBB45_229
.LBB45_227:
	v_mov_b32_e32 v1, 0
	s_and_not1_b32 vcc_lo, exec_lo, s35
	s_delay_alu instid0(VALU_DEP_1) | instskip(NEXT) | instid1(VALU_DEP_1)
	v_mul_u64_e32 v[2:3], s[18:19], v[0:1]
	v_add_nc_u32_e32 v2, v0, v3
	s_delay_alu instid0(VALU_DEP_1) | instskip(NEXT) | instid1(VALU_DEP_1)
	v_lshrrev_b32_e32 v4, s6, v2
	v_mul_lo_u32 v2, v4, s4
	s_delay_alu instid0(VALU_DEP_1) | instskip(NEXT) | instid1(VALU_DEP_1)
	v_sub_nc_u32_e32 v2, v0, v2
	v_mul_lo_u32 v3, v2, s9
	v_mul_lo_u32 v2, v2, s8
	s_cbranch_vccnz .LBB45_229
; %bb.228:
	v_mov_b32_e32 v5, v1
	s_delay_alu instid0(VALU_DEP_1) | instskip(NEXT) | instid1(VALU_DEP_1)
	v_mul_u64_e32 v[6:7], s[20:21], v[4:5]
	v_add_nc_u32_e32 v1, v4, v7
	s_delay_alu instid0(VALU_DEP_1) | instskip(NEXT) | instid1(VALU_DEP_1)
	v_lshrrev_b32_e32 v1, s17, v1
	v_mul_lo_u32 v1, v1, s7
	s_delay_alu instid0(VALU_DEP_1) | instskip(NEXT) | instid1(VALU_DEP_1)
	v_sub_nc_u32_e32 v1, v4, v1
	v_mad_u32 v2, v1, s10, v2
	v_mad_u32 v3, v1, s11, v3
.LBB45_229:
	global_load_b32 v1, v3, s[2:3]
	v_add_nc_u32_e32 v0, 0x80, v0
	s_wait_loadcnt 0x0
	v_cmp_ne_u32_e32 vcc_lo, s15, v1
	s_xor_b32 s16, s5, vcc_lo
	s_delay_alu instid0(SALU_CYCLE_1) | instskip(SKIP_3) | instid1(SALU_CYCLE_1)
	v_cndmask_b32_e64 v1, 0, 1, s16
	global_store_b8 v2, v1, s[0:1]
	s_wait_xcnt 0x0
	s_or_b32 exec_lo, exec_lo, s14
	s_mov_b32 s14, exec_lo
	v_cmpx_gt_i32_e64 s36, v0
	s_cbranch_execz .LBB45_220
.LBB45_230:
	s_and_not1_b32 vcc_lo, exec_lo, s33
	s_cbranch_vccnz .LBB45_235
; %bb.231:
	s_and_not1_b32 vcc_lo, exec_lo, s38
	s_cbranch_vccnz .LBB45_236
; %bb.232:
	s_add_co_i32 s37, s37, 1
	s_cmp_eq_u32 s31, 2
	s_cbranch_scc1 .LBB45_237
; %bb.233:
	v_dual_mov_b32 v2, 0 :: v_dual_mov_b32 v3, 0
	v_mov_b32_e32 v1, v0
	s_and_b32 s24, s37, 28
	s_mov_b32 s16, 0
	s_mov_b64 s[26:27], s[12:13]
.LBB45_234:                             ; =>This Inner Loop Header: Depth=1
	s_clause 0x1
	s_load_b256 s[40:47], s[26:27], 0x4
	s_load_b128 s[56:59], s[26:27], 0x24
	s_load_b256 s[48:55], s[22:23], 0x0
	s_add_co_i32 s16, s16, 4
	s_wait_xcnt 0x0
	s_add_nc_u64 s[26:27], s[26:27], 48
	s_cmp_eq_u32 s24, s16
	s_add_nc_u64 s[22:23], s[22:23], 32
	s_wait_kmcnt 0x0
	v_mul_hi_u32 v4, s41, v1
	s_delay_alu instid0(VALU_DEP_1) | instskip(NEXT) | instid1(VALU_DEP_1)
	v_add_nc_u32_e32 v4, v1, v4
	v_lshrrev_b32_e32 v4, s42, v4
	s_delay_alu instid0(VALU_DEP_1) | instskip(NEXT) | instid1(VALU_DEP_1)
	v_mul_hi_u32 v5, s44, v4
	v_add_nc_u32_e32 v5, v4, v5
	s_delay_alu instid0(VALU_DEP_1) | instskip(NEXT) | instid1(VALU_DEP_1)
	v_lshrrev_b32_e32 v5, s45, v5
	v_mul_hi_u32 v6, s47, v5
	s_delay_alu instid0(VALU_DEP_1) | instskip(SKIP_1) | instid1(VALU_DEP_1)
	v_add_nc_u32_e32 v6, v5, v6
	v_mul_lo_u32 v7, v4, s40
	v_sub_nc_u32_e32 v1, v1, v7
	v_mul_lo_u32 v7, v5, s43
	s_delay_alu instid0(VALU_DEP_4) | instskip(NEXT) | instid1(VALU_DEP_3)
	v_lshrrev_b32_e32 v6, s56, v6
	v_mad_u32 v3, v1, s49, v3
	v_mad_u32 v1, v1, s48, v2
	s_delay_alu instid0(VALU_DEP_4) | instskip(NEXT) | instid1(VALU_DEP_4)
	v_sub_nc_u32_e32 v2, v4, v7
	v_mul_hi_u32 v8, s58, v6
	v_mul_lo_u32 v4, v6, s46
	s_delay_alu instid0(VALU_DEP_3) | instskip(SKIP_1) | instid1(VALU_DEP_4)
	v_mad_u32 v3, v2, s51, v3
	v_mad_u32 v2, v2, s50, v1
	v_add_nc_u32_e32 v7, v6, v8
	s_delay_alu instid0(VALU_DEP_1) | instskip(NEXT) | instid1(VALU_DEP_1)
	v_dual_sub_nc_u32 v4, v5, v4 :: v_dual_lshrrev_b32 v1, s59, v7
	v_mad_u32 v3, v4, s53, v3
	s_delay_alu instid0(VALU_DEP_4) | instskip(NEXT) | instid1(VALU_DEP_3)
	v_mad_u32 v2, v4, s52, v2
	v_mul_lo_u32 v5, v1, s57
	s_delay_alu instid0(VALU_DEP_1) | instskip(NEXT) | instid1(VALU_DEP_1)
	v_sub_nc_u32_e32 v4, v6, v5
	v_mad_u32 v3, v4, s55, v3
	s_delay_alu instid0(VALU_DEP_4)
	v_mad_u32 v2, v4, s54, v2
	s_cbranch_scc0 .LBB45_234
	s_branch .LBB45_238
.LBB45_235:
                                        ; implicit-def: $vgpr3
	s_branch .LBB45_242
.LBB45_236:
	v_dual_mov_b32 v3, 0 :: v_dual_mov_b32 v2, 0
	s_branch .LBB45_241
.LBB45_237:
	v_mov_b64_e32 v[2:3], 0
	v_mov_b32_e32 v1, v0
	s_mov_b32 s24, 0
.LBB45_238:
	s_and_b32 s16, s37, 3
	s_mov_b32 s25, 0
	s_cmp_eq_u32 s16, 0
	s_cbranch_scc1 .LBB45_241
; %bb.239:
	s_lshl_b32 s22, s24, 3
	s_mov_b32 s23, s25
	s_mul_u64 s[24:25], s[24:25], 12
	s_add_nc_u64 s[22:23], s[12:13], s[22:23]
	s_add_nc_u64 s[24:25], s[12:13], s[24:25]
	s_add_nc_u64 s[22:23], s[22:23], 0xc4
.LBB45_240:                             ; =>This Inner Loop Header: Depth=1
	s_load_b96 s[36:38], s[24:25], 0x4
	s_load_b64 s[26:27], s[22:23], 0x0
	s_add_co_i32 s16, s16, -1
	s_wait_xcnt 0x0
	s_add_nc_u64 s[24:25], s[24:25], 12
	s_cmp_lg_u32 s16, 0
	s_add_nc_u64 s[22:23], s[22:23], 8
	s_wait_kmcnt 0x0
	v_mul_hi_u32 v4, s37, v1
	s_delay_alu instid0(VALU_DEP_1) | instskip(NEXT) | instid1(VALU_DEP_1)
	v_add_nc_u32_e32 v4, v1, v4
	v_lshrrev_b32_e32 v4, s38, v4
	s_delay_alu instid0(VALU_DEP_1) | instskip(NEXT) | instid1(VALU_DEP_1)
	v_mul_lo_u32 v5, v4, s36
	v_sub_nc_u32_e32 v1, v1, v5
	s_delay_alu instid0(VALU_DEP_1)
	v_mad_u32 v3, v1, s27, v3
	v_mad_u32 v2, v1, s26, v2
	v_mov_b32_e32 v1, v4
	s_cbranch_scc1 .LBB45_240
.LBB45_241:
	s_cbranch_execnz .LBB45_244
.LBB45_242:
	v_mov_b32_e32 v1, 0
	s_and_not1_b32 vcc_lo, exec_lo, s35
	s_delay_alu instid0(VALU_DEP_1) | instskip(NEXT) | instid1(VALU_DEP_1)
	v_mul_u64_e32 v[2:3], s[18:19], v[0:1]
	v_add_nc_u32_e32 v2, v0, v3
	s_delay_alu instid0(VALU_DEP_1) | instskip(NEXT) | instid1(VALU_DEP_1)
	v_lshrrev_b32_e32 v4, s6, v2
	v_mul_lo_u32 v2, v4, s4
	s_delay_alu instid0(VALU_DEP_1) | instskip(NEXT) | instid1(VALU_DEP_1)
	v_sub_nc_u32_e32 v0, v0, v2
	v_mul_lo_u32 v3, v0, s9
	v_mul_lo_u32 v2, v0, s8
	s_cbranch_vccnz .LBB45_244
; %bb.243:
	v_mov_b32_e32 v5, v1
	s_delay_alu instid0(VALU_DEP_1) | instskip(NEXT) | instid1(VALU_DEP_1)
	v_mul_u64_e32 v[0:1], s[20:21], v[4:5]
	v_add_nc_u32_e32 v0, v4, v1
	s_delay_alu instid0(VALU_DEP_1) | instskip(NEXT) | instid1(VALU_DEP_1)
	v_lshrrev_b32_e32 v0, s17, v0
	v_mul_lo_u32 v0, v0, s7
	s_delay_alu instid0(VALU_DEP_1) | instskip(NEXT) | instid1(VALU_DEP_1)
	v_sub_nc_u32_e32 v0, v4, v0
	v_mad_u32 v2, v0, s10, v2
	v_mad_u32 v3, v0, s11, v3
.LBB45_244:
	global_load_b32 v0, v3, s[2:3]
	s_wait_loadcnt 0x0
	v_cmp_ne_u32_e32 vcc_lo, s15, v0
	s_wait_xcnt 0x0
	s_xor_b32 s2, s5, vcc_lo
	s_delay_alu instid0(SALU_CYCLE_1)
	v_cndmask_b32_e64 v0, 0, 1, s2
	global_store_b8 v2, v0, s[0:1]
	s_wait_xcnt 0x0
	s_or_b32 exec_lo, exec_lo, s14
                                        ; implicit-def: $vgpr16
                                        ; implicit-def: $vgpr0
	s_and_not1_saveexec_b32 s0, s34
	s_cbranch_execz .LBB45_221
	s_branch .LBB45_8
	.section	.rodata,"a",@progbits
	.p2align	6, 0x0
	.amdhsa_kernel _ZN2at6native32elementwise_kernel_manual_unrollILi128ELi8EZNS0_22gpu_kernel_impl_nocastINS0_13AUnaryFunctorIiibNS0_12_GLOBAL__N_116CompareEqFunctorIiEEEEEEvRNS_18TensorIteratorBaseERKT_EUlibE_EEviT1_
		.amdhsa_group_segment_fixed_size 0
		.amdhsa_private_segment_fixed_size 0
		.amdhsa_kernarg_size 360
		.amdhsa_user_sgpr_count 2
		.amdhsa_user_sgpr_dispatch_ptr 0
		.amdhsa_user_sgpr_queue_ptr 0
		.amdhsa_user_sgpr_kernarg_segment_ptr 1
		.amdhsa_user_sgpr_dispatch_id 0
		.amdhsa_user_sgpr_kernarg_preload_length 0
		.amdhsa_user_sgpr_kernarg_preload_offset 0
		.amdhsa_user_sgpr_private_segment_size 0
		.amdhsa_wavefront_size32 1
		.amdhsa_uses_dynamic_stack 0
		.amdhsa_enable_private_segment 0
		.amdhsa_system_sgpr_workgroup_id_x 1
		.amdhsa_system_sgpr_workgroup_id_y 0
		.amdhsa_system_sgpr_workgroup_id_z 0
		.amdhsa_system_sgpr_workgroup_info 0
		.amdhsa_system_vgpr_workitem_id 0
		.amdhsa_next_free_vgpr 24
		.amdhsa_next_free_sgpr 60
		.amdhsa_named_barrier_count 0
		.amdhsa_reserve_vcc 1
		.amdhsa_float_round_mode_32 0
		.amdhsa_float_round_mode_16_64 0
		.amdhsa_float_denorm_mode_32 3
		.amdhsa_float_denorm_mode_16_64 3
		.amdhsa_fp16_overflow 0
		.amdhsa_memory_ordered 1
		.amdhsa_forward_progress 1
		.amdhsa_inst_pref_size 99
		.amdhsa_round_robin_scheduling 0
		.amdhsa_exception_fp_ieee_invalid_op 0
		.amdhsa_exception_fp_denorm_src 0
		.amdhsa_exception_fp_ieee_div_zero 0
		.amdhsa_exception_fp_ieee_overflow 0
		.amdhsa_exception_fp_ieee_underflow 0
		.amdhsa_exception_fp_ieee_inexact 0
		.amdhsa_exception_int_div_zero 0
	.end_amdhsa_kernel
	.section	.text._ZN2at6native32elementwise_kernel_manual_unrollILi128ELi8EZNS0_22gpu_kernel_impl_nocastINS0_13AUnaryFunctorIiibNS0_12_GLOBAL__N_116CompareEqFunctorIiEEEEEEvRNS_18TensorIteratorBaseERKT_EUlibE_EEviT1_,"axG",@progbits,_ZN2at6native32elementwise_kernel_manual_unrollILi128ELi8EZNS0_22gpu_kernel_impl_nocastINS0_13AUnaryFunctorIiibNS0_12_GLOBAL__N_116CompareEqFunctorIiEEEEEEvRNS_18TensorIteratorBaseERKT_EUlibE_EEviT1_,comdat
.Lfunc_end45:
	.size	_ZN2at6native32elementwise_kernel_manual_unrollILi128ELi8EZNS0_22gpu_kernel_impl_nocastINS0_13AUnaryFunctorIiibNS0_12_GLOBAL__N_116CompareEqFunctorIiEEEEEEvRNS_18TensorIteratorBaseERKT_EUlibE_EEviT1_, .Lfunc_end45-_ZN2at6native32elementwise_kernel_manual_unrollILi128ELi8EZNS0_22gpu_kernel_impl_nocastINS0_13AUnaryFunctorIiibNS0_12_GLOBAL__N_116CompareEqFunctorIiEEEEEEvRNS_18TensorIteratorBaseERKT_EUlibE_EEviT1_
                                        ; -- End function
	.set _ZN2at6native32elementwise_kernel_manual_unrollILi128ELi8EZNS0_22gpu_kernel_impl_nocastINS0_13AUnaryFunctorIiibNS0_12_GLOBAL__N_116CompareEqFunctorIiEEEEEEvRNS_18TensorIteratorBaseERKT_EUlibE_EEviT1_.num_vgpr, 24
	.set _ZN2at6native32elementwise_kernel_manual_unrollILi128ELi8EZNS0_22gpu_kernel_impl_nocastINS0_13AUnaryFunctorIiibNS0_12_GLOBAL__N_116CompareEqFunctorIiEEEEEEvRNS_18TensorIteratorBaseERKT_EUlibE_EEviT1_.num_agpr, 0
	.set _ZN2at6native32elementwise_kernel_manual_unrollILi128ELi8EZNS0_22gpu_kernel_impl_nocastINS0_13AUnaryFunctorIiibNS0_12_GLOBAL__N_116CompareEqFunctorIiEEEEEEvRNS_18TensorIteratorBaseERKT_EUlibE_EEviT1_.numbered_sgpr, 60
	.set _ZN2at6native32elementwise_kernel_manual_unrollILi128ELi8EZNS0_22gpu_kernel_impl_nocastINS0_13AUnaryFunctorIiibNS0_12_GLOBAL__N_116CompareEqFunctorIiEEEEEEvRNS_18TensorIteratorBaseERKT_EUlibE_EEviT1_.num_named_barrier, 0
	.set _ZN2at6native32elementwise_kernel_manual_unrollILi128ELi8EZNS0_22gpu_kernel_impl_nocastINS0_13AUnaryFunctorIiibNS0_12_GLOBAL__N_116CompareEqFunctorIiEEEEEEvRNS_18TensorIteratorBaseERKT_EUlibE_EEviT1_.private_seg_size, 0
	.set _ZN2at6native32elementwise_kernel_manual_unrollILi128ELi8EZNS0_22gpu_kernel_impl_nocastINS0_13AUnaryFunctorIiibNS0_12_GLOBAL__N_116CompareEqFunctorIiEEEEEEvRNS_18TensorIteratorBaseERKT_EUlibE_EEviT1_.uses_vcc, 1
	.set _ZN2at6native32elementwise_kernel_manual_unrollILi128ELi8EZNS0_22gpu_kernel_impl_nocastINS0_13AUnaryFunctorIiibNS0_12_GLOBAL__N_116CompareEqFunctorIiEEEEEEvRNS_18TensorIteratorBaseERKT_EUlibE_EEviT1_.uses_flat_scratch, 0
	.set _ZN2at6native32elementwise_kernel_manual_unrollILi128ELi8EZNS0_22gpu_kernel_impl_nocastINS0_13AUnaryFunctorIiibNS0_12_GLOBAL__N_116CompareEqFunctorIiEEEEEEvRNS_18TensorIteratorBaseERKT_EUlibE_EEviT1_.has_dyn_sized_stack, 0
	.set _ZN2at6native32elementwise_kernel_manual_unrollILi128ELi8EZNS0_22gpu_kernel_impl_nocastINS0_13AUnaryFunctorIiibNS0_12_GLOBAL__N_116CompareEqFunctorIiEEEEEEvRNS_18TensorIteratorBaseERKT_EUlibE_EEviT1_.has_recursion, 0
	.set _ZN2at6native32elementwise_kernel_manual_unrollILi128ELi8EZNS0_22gpu_kernel_impl_nocastINS0_13AUnaryFunctorIiibNS0_12_GLOBAL__N_116CompareEqFunctorIiEEEEEEvRNS_18TensorIteratorBaseERKT_EUlibE_EEviT1_.has_indirect_call, 0
	.section	.AMDGPU.csdata,"",@progbits
; Kernel info:
; codeLenInByte = 12616
; TotalNumSgprs: 62
; NumVgprs: 24
; ScratchSize: 0
; MemoryBound: 0
; FloatMode: 240
; IeeeMode: 1
; LDSByteSize: 0 bytes/workgroup (compile time only)
; SGPRBlocks: 0
; VGPRBlocks: 1
; NumSGPRsForWavesPerEU: 62
; NumVGPRsForWavesPerEU: 24
; NamedBarCnt: 0
; Occupancy: 16
; WaveLimiterHint : 1
; COMPUTE_PGM_RSRC2:SCRATCH_EN: 0
; COMPUTE_PGM_RSRC2:USER_SGPR: 2
; COMPUTE_PGM_RSRC2:TRAP_HANDLER: 0
; COMPUTE_PGM_RSRC2:TGID_X_EN: 1
; COMPUTE_PGM_RSRC2:TGID_Y_EN: 0
; COMPUTE_PGM_RSRC2:TGID_Z_EN: 0
; COMPUTE_PGM_RSRC2:TIDIG_COMP_CNT: 0
	.section	.text._ZN2at6native32elementwise_kernel_manual_unrollILi128ELi4EZNS0_15gpu_kernel_implINS0_13AUnaryFunctorIiibNS0_12_GLOBAL__N_116CompareEqFunctorIiEEEEEEvRNS_18TensorIteratorBaseERKT_EUlibE_EEviT1_,"axG",@progbits,_ZN2at6native32elementwise_kernel_manual_unrollILi128ELi4EZNS0_15gpu_kernel_implINS0_13AUnaryFunctorIiibNS0_12_GLOBAL__N_116CompareEqFunctorIiEEEEEEvRNS_18TensorIteratorBaseERKT_EUlibE_EEviT1_,comdat
	.globl	_ZN2at6native32elementwise_kernel_manual_unrollILi128ELi4EZNS0_15gpu_kernel_implINS0_13AUnaryFunctorIiibNS0_12_GLOBAL__N_116CompareEqFunctorIiEEEEEEvRNS_18TensorIteratorBaseERKT_EUlibE_EEviT1_ ; -- Begin function _ZN2at6native32elementwise_kernel_manual_unrollILi128ELi4EZNS0_15gpu_kernel_implINS0_13AUnaryFunctorIiibNS0_12_GLOBAL__N_116CompareEqFunctorIiEEEEEEvRNS_18TensorIteratorBaseERKT_EUlibE_EEviT1_
	.p2align	8
	.type	_ZN2at6native32elementwise_kernel_manual_unrollILi128ELi4EZNS0_15gpu_kernel_implINS0_13AUnaryFunctorIiibNS0_12_GLOBAL__N_116CompareEqFunctorIiEEEEEEvRNS_18TensorIteratorBaseERKT_EUlibE_EEviT1_,@function
_ZN2at6native32elementwise_kernel_manual_unrollILi128ELi4EZNS0_15gpu_kernel_implINS0_13AUnaryFunctorIiibNS0_12_GLOBAL__N_116CompareEqFunctorIiEEEEEEvRNS_18TensorIteratorBaseERKT_EUlibE_EEviT1_: ; @_ZN2at6native32elementwise_kernel_manual_unrollILi128ELi4EZNS0_15gpu_kernel_implINS0_13AUnaryFunctorIiibNS0_12_GLOBAL__N_116CompareEqFunctorIiEEEEEEvRNS_18TensorIteratorBaseERKT_EUlibE_EEviT1_
; %bb.0:
	s_load_b32 s2, s[0:1], 0x28
	s_bfe_u32 s3, ttmp6, 0x4000c
	s_clause 0x1
	s_load_b32 s14, s[0:1], 0x0
	s_load_b256 s[4:11], s[0:1], 0x8
	s_add_co_i32 s3, s3, 1
	s_and_b32 s12, ttmp6, 15
	s_wait_xcnt 0x0
	s_mul_i32 s0, ttmp9, s3
	s_getreg_b32 s13, hwreg(HW_REG_IB_STS2, 6, 4)
	s_add_co_i32 s12, s12, s0
	s_mov_b32 s1, 0
	s_wait_kmcnt 0x0
	s_bfe_u32 s3, s2, 0x80008
	s_cmp_eq_u32 s13, 0
	s_mov_b32 s13, 0
	s_cselect_b32 s0, ttmp9, s12
	s_delay_alu instid0(SALU_CYCLE_1) | instskip(SKIP_1) | instid1(VALU_DEP_1)
	v_lshl_or_b32 v4, s0, 9, v0
	s_mov_b32 s0, exec_lo
	v_or_b32_e32 v0, 0x180, v4
	s_delay_alu instid0(VALU_DEP_1)
	v_cmpx_le_i32_e64 s14, v0
	s_xor_b32 s12, exec_lo, s0
	s_cbranch_execz .LBB46_1015
; %bb.1:
	s_cmp_eq_u32 s10, 0
	s_mov_b32 s18, 0
	s_cselect_b32 s13, -1, 0
	s_mov_b32 s20, -1
	s_mov_b32 s16, 0
	s_mov_b32 s15, 0
	s_mov_b32 s17, exec_lo
	v_cmpx_gt_i32_e64 s14, v4
	s_cbranch_execz .LBB46_248
; %bb.2:
	v_mul_lo_u32 v0, v4, s9
	s_and_b32 s0, 0xffff, s3
	s_delay_alu instid0(SALU_CYCLE_1) | instskip(NEXT) | instid1(VALU_DEP_1)
	s_cmp_lt_i32 s0, 11
	v_ashrrev_i32_e32 v1, 31, v0
	s_delay_alu instid0(VALU_DEP_1)
	v_add_nc_u64_e32 v[0:1], s[6:7], v[0:1]
	s_cbranch_scc1 .LBB46_9
; %bb.3:
	s_cmp_gt_i32 s0, 25
	s_cbranch_scc0 .LBB46_18
; %bb.4:
	s_cmp_gt_i32 s0, 28
	s_cbranch_scc0 .LBB46_21
	;; [unrolled: 3-line block ×4, first 2 shown]
; %bb.7:
	s_cmp_eq_u32 s0, 46
	s_mov_b32 s19, 0
	s_cbranch_scc0 .LBB46_27
; %bb.8:
	global_load_b32 v2, v[0:1], off
	s_mov_b32 s15, -1
	s_wait_loadcnt 0x0
	v_lshlrev_b32_e32 v2, 16, v2
	s_delay_alu instid0(VALU_DEP_1)
	v_cvt_i32_f32_e32 v2, v2
	s_branch .LBB46_29
.LBB46_9:
                                        ; implicit-def: $vgpr2
	s_cbranch_execnz .LBB46_198
.LBB46_10:
	s_and_not1_b32 vcc_lo, exec_lo, s15
	s_cbranch_vccnz .LBB46_245
.LBB46_11:
	s_wait_xcnt 0x0
	v_mul_lo_u32 v0, v4, s8
	s_wait_loadcnt 0x0
	s_delay_alu instid0(VALU_DEP_2) | instskip(SKIP_3) | instid1(VALU_DEP_2)
	v_cmp_ne_u32_e32 vcc_lo, s11, v2
	s_and_b32 s19, s2, 0xff
	s_xor_b32 s15, s13, vcc_lo
	s_cmp_lt_i32 s19, 11
	v_ashrrev_i32_e32 v1, 31, v0
	s_delay_alu instid0(VALU_DEP_1)
	v_add_nc_u64_e32 v[0:1], s[4:5], v[0:1]
	s_cbranch_scc1 .LBB46_19
; %bb.12:
	s_and_b32 s20, 0xffff, s19
	s_delay_alu instid0(SALU_CYCLE_1)
	s_cmp_gt_i32 s20, 25
	s_cbranch_scc0 .LBB46_22
; %bb.13:
	s_cmp_gt_i32 s20, 28
	s_cbranch_scc0 .LBB46_24
; %bb.14:
	s_cmp_gt_i32 s20, 43
	s_cbranch_scc0 .LBB46_26
; %bb.15:
	s_cmp_gt_i32 s20, 45
	s_cbranch_scc0 .LBB46_32
; %bb.16:
	s_mov_b32 s22, 0
	s_mov_b32 s0, -1
	s_cmp_eq_u32 s20, 46
	s_mov_b32 s21, 0
	s_cbranch_scc0 .LBB46_33
; %bb.17:
	v_cndmask_b32_e64 v2, 0, 1.0, s15
	s_mov_b32 s21, -1
	s_mov_b32 s0, 0
	s_delay_alu instid0(VALU_DEP_1) | instskip(NEXT) | instid1(VALU_DEP_1)
	v_bfe_u32 v3, v2, 16, 1
	v_add3_u32 v2, v2, v3, 0x7fff
	s_delay_alu instid0(VALU_DEP_1)
	v_lshrrev_b32_e32 v2, 16, v2
	global_store_b32 v[0:1], v2, off
	s_branch .LBB46_33
.LBB46_18:
                                        ; implicit-def: $vgpr2
	s_cbranch_execnz .LBB46_165
	s_branch .LBB46_197
.LBB46_19:
	s_mov_b32 s0, 0
	s_mov_b32 s21, 0
	s_cbranch_execnz .LBB46_102
.LBB46_20:
	s_and_not1_b32 vcc_lo, exec_lo, s21
	s_cbranch_vccnz .LBB46_246
	s_branch .LBB46_140
.LBB46_21:
	s_mov_b32 s19, -1
                                        ; implicit-def: $vgpr2
	s_branch .LBB46_148
.LBB46_22:
	s_mov_b32 s22, -1
	s_mov_b32 s0, 0
	s_mov_b32 s21, 0
	s_branch .LBB46_60
.LBB46_23:
	s_mov_b32 s19, -1
                                        ; implicit-def: $vgpr2
	s_branch .LBB46_143
.LBB46_24:
	s_mov_b32 s22, -1
	s_mov_b32 s0, 0
	s_mov_b32 s21, 0
	s_branch .LBB46_43
.LBB46_25:
	s_mov_b32 s19, -1
	s_branch .LBB46_28
.LBB46_26:
	s_mov_b32 s22, -1
	s_mov_b32 s0, 0
	s_mov_b32 s21, 0
	s_branch .LBB46_39
.LBB46_27:
	s_mov_b32 s16, -1
.LBB46_28:
                                        ; implicit-def: $vgpr2
.LBB46_29:
	s_and_b32 vcc_lo, exec_lo, s19
	s_cbranch_vccz .LBB46_142
; %bb.30:
	s_cmp_eq_u32 s0, 44
	s_cbranch_scc0 .LBB46_141
; %bb.31:
	global_load_u8 v2, v[0:1], off
	s_mov_b32 s16, 0
	s_mov_b32 s15, -1
	s_wait_loadcnt 0x0
	v_lshlrev_b32_e32 v3, 23, v2
	v_cmp_ne_u32_e32 vcc_lo, 0, v2
	s_delay_alu instid0(VALU_DEP_2) | instskip(NEXT) | instid1(VALU_DEP_1)
	v_cvt_i32_f32_e32 v3, v3
	v_cndmask_b32_e32 v2, 0, v3, vcc_lo
	s_branch .LBB46_142
.LBB46_32:
	s_mov_b32 s22, -1
	s_mov_b32 s0, 0
	s_mov_b32 s21, 0
.LBB46_33:
	s_and_b32 vcc_lo, exec_lo, s22
	s_cbranch_vccz .LBB46_38
; %bb.34:
	s_cmp_eq_u32 s20, 44
	s_mov_b32 s0, -1
	s_cbranch_scc0 .LBB46_38
; %bb.35:
	v_cndmask_b32_e64 v5, 0, 1.0, s15
	s_mov_b32 s21, exec_lo
	s_wait_xcnt 0x0
	s_delay_alu instid0(VALU_DEP_1) | instskip(NEXT) | instid1(VALU_DEP_1)
	v_dual_mov_b32 v3, 0xff :: v_dual_lshrrev_b32 v2, 23, v5
	v_cmpx_ne_u32_e32 0xff, v2
; %bb.36:
	v_and_b32_e32 v3, 0x400000, v5
	v_and_or_b32 v5, 0x3fffff, v5, v2
	s_delay_alu instid0(VALU_DEP_2) | instskip(NEXT) | instid1(VALU_DEP_2)
	v_cmp_ne_u32_e32 vcc_lo, 0, v3
	v_cmp_ne_u32_e64 s0, 0, v5
	s_and_b32 s0, vcc_lo, s0
	s_delay_alu instid0(SALU_CYCLE_1) | instskip(NEXT) | instid1(VALU_DEP_1)
	v_cndmask_b32_e64 v3, 0, 1, s0
	v_add_nc_u32_e32 v3, v2, v3
; %bb.37:
	s_or_b32 exec_lo, exec_lo, s21
	s_mov_b32 s21, -1
	s_mov_b32 s0, 0
	global_store_b8 v[0:1], v3, off
.LBB46_38:
	s_mov_b32 s22, 0
.LBB46_39:
	s_delay_alu instid0(SALU_CYCLE_1)
	s_and_b32 vcc_lo, exec_lo, s22
	s_cbranch_vccz .LBB46_42
; %bb.40:
	s_cmp_eq_u32 s20, 29
	s_mov_b32 s0, -1
	s_cbranch_scc0 .LBB46_42
; %bb.41:
	s_mov_b32 s0, 0
	s_wait_xcnt 0x0
	v_cndmask_b32_e64 v2, 0, 1, s15
	v_mov_b32_e32 v3, s0
	s_mov_b32 s21, -1
	s_mov_b32 s22, 0
	global_store_b64 v[0:1], v[2:3], off
	s_branch .LBB46_43
.LBB46_42:
	s_mov_b32 s22, 0
.LBB46_43:
	s_delay_alu instid0(SALU_CYCLE_1)
	s_and_b32 vcc_lo, exec_lo, s22
	s_cbranch_vccz .LBB46_59
; %bb.44:
	s_cmp_lt_i32 s20, 27
	s_mov_b32 s21, -1
	s_cbranch_scc1 .LBB46_50
; %bb.45:
	s_cmp_gt_i32 s20, 27
	s_cbranch_scc0 .LBB46_47
; %bb.46:
	s_wait_xcnt 0x0
	v_cndmask_b32_e64 v2, 0, 1, s15
	s_mov_b32 s21, 0
	global_store_b32 v[0:1], v2, off
.LBB46_47:
	s_and_not1_b32 vcc_lo, exec_lo, s21
	s_cbranch_vccnz .LBB46_49
; %bb.48:
	s_wait_xcnt 0x0
	v_cndmask_b32_e64 v2, 0, 1, s15
	global_store_b16 v[0:1], v2, off
.LBB46_49:
	s_mov_b32 s21, 0
.LBB46_50:
	s_delay_alu instid0(SALU_CYCLE_1)
	s_and_not1_b32 vcc_lo, exec_lo, s21
	s_cbranch_vccnz .LBB46_58
; %bb.51:
	s_wait_xcnt 0x0
	v_cndmask_b32_e64 v3, 0, 1.0, s15
	v_mov_b32_e32 v5, 0x80
	s_mov_b32 s21, exec_lo
	s_delay_alu instid0(VALU_DEP_2)
	v_cmpx_gt_u32_e32 0x43800000, v3
	s_cbranch_execz .LBB46_57
; %bb.52:
	s_mov_b32 s22, 0
	s_mov_b32 s23, exec_lo
                                        ; implicit-def: $vgpr2
	v_cmpx_lt_u32_e32 0x3bffffff, v3
	s_xor_b32 s23, exec_lo, s23
	s_cbranch_execz .LBB46_275
; %bb.53:
	v_bfe_u32 v2, v3, 20, 1
	s_mov_b32 s22, exec_lo
	s_delay_alu instid0(VALU_DEP_1) | instskip(NEXT) | instid1(VALU_DEP_1)
	v_add3_u32 v2, v3, v2, 0x487ffff
                                        ; implicit-def: $vgpr3
	v_lshrrev_b32_e32 v2, 20, v2
	s_and_not1_saveexec_b32 s23, s23
	s_cbranch_execnz .LBB46_276
.LBB46_54:
	s_or_b32 exec_lo, exec_lo, s23
	v_mov_b32_e32 v5, 0
	s_and_saveexec_b32 s23, s22
.LBB46_55:
	v_mov_b32_e32 v5, v2
.LBB46_56:
	s_or_b32 exec_lo, exec_lo, s23
.LBB46_57:
	s_delay_alu instid0(SALU_CYCLE_1)
	s_or_b32 exec_lo, exec_lo, s21
	global_store_b8 v[0:1], v5, off
.LBB46_58:
	s_mov_b32 s21, -1
.LBB46_59:
	s_mov_b32 s22, 0
.LBB46_60:
	s_delay_alu instid0(SALU_CYCLE_1)
	s_and_b32 vcc_lo, exec_lo, s22
	s_cbranch_vccz .LBB46_101
; %bb.61:
	s_cmp_gt_i32 s20, 22
	s_mov_b32 s22, -1
	s_cbranch_scc0 .LBB46_93
; %bb.62:
	s_cmp_lt_i32 s20, 24
	s_mov_b32 s21, -1
	s_cbranch_scc1 .LBB46_82
; %bb.63:
	s_cmp_gt_i32 s20, 24
	s_cbranch_scc0 .LBB46_71
; %bb.64:
	s_wait_xcnt 0x0
	v_cndmask_b32_e64 v3, 0, 1.0, s15
	v_mov_b32_e32 v5, 0x80
	s_mov_b32 s21, exec_lo
	s_delay_alu instid0(VALU_DEP_2)
	v_cmpx_gt_u32_e32 0x47800000, v3
	s_cbranch_execz .LBB46_70
; %bb.65:
	s_mov_b32 s22, 0
	s_mov_b32 s23, exec_lo
                                        ; implicit-def: $vgpr2
	v_cmpx_lt_u32_e32 0x37ffffff, v3
	s_xor_b32 s23, exec_lo, s23
	s_cbranch_execz .LBB46_279
; %bb.66:
	v_bfe_u32 v2, v3, 21, 1
	s_mov_b32 s22, exec_lo
	s_delay_alu instid0(VALU_DEP_1) | instskip(NEXT) | instid1(VALU_DEP_1)
	v_add3_u32 v2, v3, v2, 0x88fffff
                                        ; implicit-def: $vgpr3
	v_lshrrev_b32_e32 v2, 21, v2
	s_and_not1_saveexec_b32 s23, s23
	s_cbranch_execnz .LBB46_280
.LBB46_67:
	s_or_b32 exec_lo, exec_lo, s23
	v_mov_b32_e32 v5, 0
	s_and_saveexec_b32 s23, s22
.LBB46_68:
	v_mov_b32_e32 v5, v2
.LBB46_69:
	s_or_b32 exec_lo, exec_lo, s23
.LBB46_70:
	s_delay_alu instid0(SALU_CYCLE_1)
	s_or_b32 exec_lo, exec_lo, s21
	s_mov_b32 s21, 0
	global_store_b8 v[0:1], v5, off
.LBB46_71:
	s_and_b32 vcc_lo, exec_lo, s21
	s_cbranch_vccz .LBB46_81
; %bb.72:
	s_wait_xcnt 0x0
	v_cndmask_b32_e64 v3, 0, 1.0, s15
	s_mov_b32 s21, exec_lo
                                        ; implicit-def: $vgpr2
	s_delay_alu instid0(VALU_DEP_1)
	v_cmpx_gt_u32_e32 0x43f00000, v3
	s_xor_b32 s21, exec_lo, s21
	s_cbranch_execz .LBB46_78
; %bb.73:
	s_mov_b32 s22, exec_lo
                                        ; implicit-def: $vgpr2
	v_cmpx_lt_u32_e32 0x3c7fffff, v3
	s_xor_b32 s22, exec_lo, s22
; %bb.74:
	v_bfe_u32 v2, v3, 20, 1
	s_delay_alu instid0(VALU_DEP_1) | instskip(NEXT) | instid1(VALU_DEP_1)
	v_add3_u32 v2, v3, v2, 0x407ffff
	v_and_b32_e32 v3, 0xff00000, v2
	v_lshrrev_b32_e32 v2, 20, v2
	s_delay_alu instid0(VALU_DEP_2) | instskip(NEXT) | instid1(VALU_DEP_2)
	v_cmp_ne_u32_e32 vcc_lo, 0x7f00000, v3
                                        ; implicit-def: $vgpr3
	v_cndmask_b32_e32 v2, 0x7e, v2, vcc_lo
; %bb.75:
	s_and_not1_saveexec_b32 s22, s22
; %bb.76:
	v_add_f32_e32 v2, 0x46800000, v3
; %bb.77:
	s_or_b32 exec_lo, exec_lo, s22
                                        ; implicit-def: $vgpr3
.LBB46_78:
	s_and_not1_saveexec_b32 s21, s21
; %bb.79:
	v_mov_b32_e32 v2, 0x7f
	v_cmp_lt_u32_e32 vcc_lo, 0x7f800000, v3
	s_delay_alu instid0(VALU_DEP_2)
	v_cndmask_b32_e32 v2, 0x7e, v2, vcc_lo
; %bb.80:
	s_or_b32 exec_lo, exec_lo, s21
	global_store_b8 v[0:1], v2, off
.LBB46_81:
	s_mov_b32 s21, 0
.LBB46_82:
	s_delay_alu instid0(SALU_CYCLE_1)
	s_and_not1_b32 vcc_lo, exec_lo, s21
	s_cbranch_vccnz .LBB46_92
; %bb.83:
	s_wait_xcnt 0x0
	v_cndmask_b32_e64 v3, 0, 1.0, s15
	s_mov_b32 s21, exec_lo
                                        ; implicit-def: $vgpr2
	s_delay_alu instid0(VALU_DEP_1)
	v_cmpx_gt_u32_e32 0x47800000, v3
	s_xor_b32 s21, exec_lo, s21
	s_cbranch_execz .LBB46_89
; %bb.84:
	s_mov_b32 s22, exec_lo
                                        ; implicit-def: $vgpr2
	v_cmpx_lt_u32_e32 0x387fffff, v3
	s_xor_b32 s22, exec_lo, s22
; %bb.85:
	v_bfe_u32 v2, v3, 21, 1
	s_delay_alu instid0(VALU_DEP_1) | instskip(NEXT) | instid1(VALU_DEP_1)
	v_add3_u32 v2, v3, v2, 0x80fffff
                                        ; implicit-def: $vgpr3
	v_lshrrev_b32_e32 v2, 21, v2
; %bb.86:
	s_and_not1_saveexec_b32 s22, s22
; %bb.87:
	v_add_f32_e32 v2, 0x43000000, v3
; %bb.88:
	s_or_b32 exec_lo, exec_lo, s22
                                        ; implicit-def: $vgpr3
.LBB46_89:
	s_and_not1_saveexec_b32 s21, s21
; %bb.90:
	v_mov_b32_e32 v2, 0x7f
	v_cmp_lt_u32_e32 vcc_lo, 0x7f800000, v3
	s_delay_alu instid0(VALU_DEP_2)
	v_cndmask_b32_e32 v2, 0x7c, v2, vcc_lo
; %bb.91:
	s_or_b32 exec_lo, exec_lo, s21
	global_store_b8 v[0:1], v2, off
.LBB46_92:
	s_mov_b32 s22, 0
	s_mov_b32 s21, -1
.LBB46_93:
	s_and_not1_b32 vcc_lo, exec_lo, s22
	s_cbranch_vccnz .LBB46_101
; %bb.94:
	s_cmp_gt_i32 s20, 14
	s_mov_b32 s22, -1
	s_cbranch_scc0 .LBB46_98
; %bb.95:
	s_cmp_eq_u32 s20, 15
	s_mov_b32 s0, -1
	s_cbranch_scc0 .LBB46_97
; %bb.96:
	s_wait_xcnt 0x0
	v_cndmask_b32_e64 v2, 0, 1.0, s15
	s_mov_b32 s21, -1
	s_mov_b32 s0, 0
	s_delay_alu instid0(VALU_DEP_1) | instskip(NEXT) | instid1(VALU_DEP_1)
	v_bfe_u32 v3, v2, 16, 1
	v_add3_u32 v2, v2, v3, 0x7fff
	global_store_d16_hi_b16 v[0:1], v2, off
.LBB46_97:
	s_mov_b32 s22, 0
.LBB46_98:
	s_delay_alu instid0(SALU_CYCLE_1)
	s_and_b32 vcc_lo, exec_lo, s22
	s_cbranch_vccz .LBB46_101
; %bb.99:
	s_cmp_eq_u32 s20, 11
	s_mov_b32 s0, -1
	s_cbranch_scc0 .LBB46_101
; %bb.100:
	s_wait_xcnt 0x0
	v_cndmask_b32_e64 v2, 0, 1, s15
	s_mov_b32 s21, -1
	s_mov_b32 s0, 0
	global_store_b8 v[0:1], v2, off
.LBB46_101:
	s_branch .LBB46_20
.LBB46_102:
	s_and_b32 s19, 0xffff, s19
	s_mov_b32 s20, -1
	s_cmp_lt_i32 s19, 5
	s_cbranch_scc1 .LBB46_123
; %bb.103:
	s_cmp_lt_i32 s19, 8
	s_cbranch_scc1 .LBB46_113
; %bb.104:
	;; [unrolled: 3-line block ×3, first 2 shown]
	s_cmp_gt_i32 s19, 9
	s_cbranch_scc0 .LBB46_107
; %bb.106:
	s_wait_xcnt 0x0
	v_cndmask_b32_e64 v2, 0, 1, s15
	v_mov_b32_e32 v8, 0
	s_mov_b32 s20, 0
	s_delay_alu instid0(VALU_DEP_2) | instskip(NEXT) | instid1(VALU_DEP_2)
	v_cvt_f64_u32_e32 v[6:7], v2
	v_mov_b32_e32 v9, v8
	global_store_b128 v[0:1], v[6:9], off
.LBB46_107:
	s_and_not1_b32 vcc_lo, exec_lo, s20
	s_cbranch_vccnz .LBB46_109
; %bb.108:
	s_wait_xcnt 0x0
	v_cndmask_b32_e64 v2, 0, 1.0, s15
	v_mov_b32_e32 v3, 0
	global_store_b64 v[0:1], v[2:3], off
.LBB46_109:
	s_mov_b32 s20, 0
.LBB46_110:
	s_delay_alu instid0(SALU_CYCLE_1)
	s_and_not1_b32 vcc_lo, exec_lo, s20
	s_cbranch_vccnz .LBB46_112
; %bb.111:
	s_wait_xcnt 0x0
	v_cndmask_b32_e64 v2, 0, 1.0, s15
	s_delay_alu instid0(VALU_DEP_1) | instskip(NEXT) | instid1(VALU_DEP_1)
	v_cvt_f16_f32_e32 v2, v2
	v_and_b32_e32 v2, 0xffff, v2
	global_store_b32 v[0:1], v2, off
.LBB46_112:
	s_mov_b32 s20, 0
.LBB46_113:
	s_delay_alu instid0(SALU_CYCLE_1)
	s_and_not1_b32 vcc_lo, exec_lo, s20
	s_cbranch_vccnz .LBB46_122
; %bb.114:
	s_cmp_lt_i32 s19, 6
	s_mov_b32 s20, -1
	s_cbranch_scc1 .LBB46_120
; %bb.115:
	s_cmp_gt_i32 s19, 6
	s_cbranch_scc0 .LBB46_117
; %bb.116:
	s_wait_xcnt 0x0
	v_cndmask_b32_e64 v2, 0, 1, s15
	s_mov_b32 s20, 0
	s_delay_alu instid0(VALU_DEP_1)
	v_cvt_f64_u32_e32 v[2:3], v2
	global_store_b64 v[0:1], v[2:3], off
.LBB46_117:
	s_and_not1_b32 vcc_lo, exec_lo, s20
	s_cbranch_vccnz .LBB46_119
; %bb.118:
	s_wait_xcnt 0x0
	v_cndmask_b32_e64 v2, 0, 1.0, s15
	global_store_b32 v[0:1], v2, off
.LBB46_119:
	s_mov_b32 s20, 0
.LBB46_120:
	s_delay_alu instid0(SALU_CYCLE_1)
	s_and_not1_b32 vcc_lo, exec_lo, s20
	s_cbranch_vccnz .LBB46_122
; %bb.121:
	s_wait_xcnt 0x0
	v_cndmask_b32_e64 v2, 0, 1.0, s15
	s_delay_alu instid0(VALU_DEP_1)
	v_cvt_f16_f32_e32 v2, v2
	global_store_b16 v[0:1], v2, off
.LBB46_122:
	s_mov_b32 s20, 0
.LBB46_123:
	s_delay_alu instid0(SALU_CYCLE_1)
	s_and_not1_b32 vcc_lo, exec_lo, s20
	s_cbranch_vccnz .LBB46_139
; %bb.124:
	s_cmp_lt_i32 s19, 2
	s_mov_b32 s20, -1
	s_cbranch_scc1 .LBB46_134
; %bb.125:
	s_cmp_lt_i32 s19, 3
	s_cbranch_scc1 .LBB46_131
; %bb.126:
	s_cmp_gt_i32 s19, 3
	s_cbranch_scc0 .LBB46_128
; %bb.127:
	s_mov_b32 s20, 0
	s_wait_xcnt 0x0
	v_cndmask_b32_e64 v2, 0, 1, s15
	v_mov_b32_e32 v3, s20
	global_store_b64 v[0:1], v[2:3], off
.LBB46_128:
	s_and_not1_b32 vcc_lo, exec_lo, s20
	s_cbranch_vccnz .LBB46_130
; %bb.129:
	s_wait_xcnt 0x0
	v_cndmask_b32_e64 v2, 0, 1, s15
	global_store_b32 v[0:1], v2, off
.LBB46_130:
	s_mov_b32 s20, 0
.LBB46_131:
	s_delay_alu instid0(SALU_CYCLE_1)
	s_and_not1_b32 vcc_lo, exec_lo, s20
	s_cbranch_vccnz .LBB46_133
; %bb.132:
	s_wait_xcnt 0x0
	v_cndmask_b32_e64 v2, 0, 1, s15
	global_store_b16 v[0:1], v2, off
.LBB46_133:
	s_mov_b32 s20, 0
.LBB46_134:
	s_delay_alu instid0(SALU_CYCLE_1)
	s_and_not1_b32 vcc_lo, exec_lo, s20
	s_cbranch_vccnz .LBB46_139
; %bb.135:
	s_wait_xcnt 0x0
	v_cndmask_b32_e64 v2, 0, 1, s15
	s_cmp_gt_i32 s19, 0
	s_mov_b32 s15, -1
	s_cbranch_scc0 .LBB46_137
; %bb.136:
	s_mov_b32 s15, 0
	global_store_b8 v[0:1], v2, off
.LBB46_137:
	s_and_not1_b32 vcc_lo, exec_lo, s15
	s_cbranch_vccnz .LBB46_139
; %bb.138:
	global_store_b8 v[0:1], v2, off
.LBB46_139:
.LBB46_140:
	v_add_nc_u32_e32 v4, 0x80, v4
	s_mov_b32 s19, -1
	s_branch .LBB46_247
.LBB46_141:
	s_mov_b32 s16, -1
                                        ; implicit-def: $vgpr2
.LBB46_142:
	s_mov_b32 s19, 0
.LBB46_143:
	s_delay_alu instid0(SALU_CYCLE_1)
	s_and_b32 vcc_lo, exec_lo, s19
	s_cbranch_vccz .LBB46_147
; %bb.144:
	s_cmp_eq_u32 s0, 29
	s_cbranch_scc0 .LBB46_146
; %bb.145:
	global_load_b32 v2, v[0:1], off
	s_mov_b32 s15, -1
	s_mov_b32 s16, 0
	s_branch .LBB46_147
.LBB46_146:
	s_mov_b32 s16, -1
                                        ; implicit-def: $vgpr2
.LBB46_147:
	s_mov_b32 s19, 0
.LBB46_148:
	s_delay_alu instid0(SALU_CYCLE_1)
	s_and_b32 vcc_lo, exec_lo, s19
	s_cbranch_vccz .LBB46_164
; %bb.149:
	s_cmp_lt_i32 s0, 27
	s_cbranch_scc1 .LBB46_152
; %bb.150:
	s_cmp_gt_i32 s0, 27
	s_cbranch_scc0 .LBB46_153
; %bb.151:
	s_wait_loadcnt 0x0
	global_load_b32 v2, v[0:1], off
	s_mov_b32 s15, 0
	s_branch .LBB46_154
.LBB46_152:
	s_mov_b32 s15, -1
                                        ; implicit-def: $vgpr2
	s_branch .LBB46_157
.LBB46_153:
	s_mov_b32 s15, -1
                                        ; implicit-def: $vgpr2
.LBB46_154:
	s_delay_alu instid0(SALU_CYCLE_1)
	s_and_not1_b32 vcc_lo, exec_lo, s15
	s_cbranch_vccnz .LBB46_156
; %bb.155:
	s_wait_loadcnt 0x0
	global_load_u16 v2, v[0:1], off
.LBB46_156:
	s_mov_b32 s15, 0
.LBB46_157:
	s_delay_alu instid0(SALU_CYCLE_1)
	s_and_not1_b32 vcc_lo, exec_lo, s15
	s_cbranch_vccnz .LBB46_163
; %bb.158:
	global_load_u8 v3, v[0:1], off
	s_mov_b32 s19, 0
	s_mov_b32 s15, exec_lo
	s_wait_loadcnt 0x0
	v_cmpx_lt_i16_e32 0x7f, v3
	s_xor_b32 s15, exec_lo, s15
	s_cbranch_execz .LBB46_174
; %bb.159:
	v_cmp_ne_u16_e32 vcc_lo, 0x80, v3
	s_and_b32 s19, vcc_lo, exec_lo
	s_and_not1_saveexec_b32 s15, s15
	s_cbranch_execnz .LBB46_175
.LBB46_160:
	s_or_b32 exec_lo, exec_lo, s15
	v_mov_b32_e32 v2, 0
	s_and_saveexec_b32 s15, s19
	s_cbranch_execz .LBB46_162
.LBB46_161:
	v_and_b32_e32 v2, 0xffff, v3
	s_delay_alu instid0(VALU_DEP_1) | instskip(SKIP_1) | instid1(VALU_DEP_2)
	v_dual_lshlrev_b32 v3, 24, v3 :: v_dual_bitop2_b32 v5, 7, v2 bitop3:0x40
	v_bfe_u32 v8, v2, 3, 4
	v_and_b32_e32 v3, 0x80000000, v3
	s_delay_alu instid0(VALU_DEP_3) | instskip(NEXT) | instid1(VALU_DEP_3)
	v_clz_i32_u32_e32 v6, v5
	v_cmp_eq_u32_e32 vcc_lo, 0, v8
	s_delay_alu instid0(VALU_DEP_2) | instskip(NEXT) | instid1(VALU_DEP_1)
	v_min_u32_e32 v6, 32, v6
	v_subrev_nc_u32_e32 v7, 28, v6
	v_sub_nc_u32_e32 v6, 29, v6
	s_delay_alu instid0(VALU_DEP_2) | instskip(NEXT) | instid1(VALU_DEP_2)
	v_lshlrev_b32_e32 v2, v7, v2
	v_cndmask_b32_e32 v6, v8, v6, vcc_lo
	s_delay_alu instid0(VALU_DEP_2) | instskip(NEXT) | instid1(VALU_DEP_1)
	v_and_b32_e32 v2, 7, v2
	v_cndmask_b32_e32 v2, v5, v2, vcc_lo
	s_delay_alu instid0(VALU_DEP_3) | instskip(NEXT) | instid1(VALU_DEP_2)
	v_lshl_add_u32 v5, v6, 23, 0x3b800000
	v_lshlrev_b32_e32 v2, 20, v2
	s_delay_alu instid0(VALU_DEP_1) | instskip(NEXT) | instid1(VALU_DEP_1)
	v_or3_b32 v2, v3, v5, v2
	v_cvt_i32_f32_e32 v2, v2
.LBB46_162:
	s_or_b32 exec_lo, exec_lo, s15
.LBB46_163:
	s_mov_b32 s15, -1
.LBB46_164:
	s_branch .LBB46_197
.LBB46_165:
	s_cmp_gt_i32 s0, 22
	s_cbranch_scc0 .LBB46_173
; %bb.166:
	s_cmp_lt_i32 s0, 24
	s_cbranch_scc1 .LBB46_176
; %bb.167:
	s_cmp_gt_i32 s0, 24
	s_cbranch_scc0 .LBB46_177
; %bb.168:
	global_load_u8 v3, v[0:1], off
	s_mov_b32 s19, 0
	s_mov_b32 s15, exec_lo
	s_wait_loadcnt 0x0
	v_cmpx_lt_i16_e32 0x7f, v3
	s_xor_b32 s15, exec_lo, s15
	s_cbranch_execz .LBB46_189
; %bb.169:
	v_cmp_ne_u16_e32 vcc_lo, 0x80, v3
	s_and_b32 s19, vcc_lo, exec_lo
	s_and_not1_saveexec_b32 s15, s15
	s_cbranch_execnz .LBB46_190
.LBB46_170:
	s_or_b32 exec_lo, exec_lo, s15
	v_mov_b32_e32 v2, 0
	s_and_saveexec_b32 s15, s19
	s_cbranch_execz .LBB46_172
.LBB46_171:
	v_and_b32_e32 v2, 0xffff, v3
	s_delay_alu instid0(VALU_DEP_1) | instskip(SKIP_1) | instid1(VALU_DEP_2)
	v_dual_lshlrev_b32 v3, 24, v3 :: v_dual_bitop2_b32 v5, 3, v2 bitop3:0x40
	v_bfe_u32 v8, v2, 2, 5
	v_and_b32_e32 v3, 0x80000000, v3
	s_delay_alu instid0(VALU_DEP_3) | instskip(NEXT) | instid1(VALU_DEP_3)
	v_clz_i32_u32_e32 v6, v5
	v_cmp_eq_u32_e32 vcc_lo, 0, v8
	s_delay_alu instid0(VALU_DEP_2) | instskip(NEXT) | instid1(VALU_DEP_1)
	v_min_u32_e32 v6, 32, v6
	v_subrev_nc_u32_e32 v7, 29, v6
	v_sub_nc_u32_e32 v6, 30, v6
	s_delay_alu instid0(VALU_DEP_2) | instskip(NEXT) | instid1(VALU_DEP_2)
	v_lshlrev_b32_e32 v2, v7, v2
	v_cndmask_b32_e32 v6, v8, v6, vcc_lo
	s_delay_alu instid0(VALU_DEP_2) | instskip(NEXT) | instid1(VALU_DEP_1)
	v_and_b32_e32 v2, 3, v2
	v_cndmask_b32_e32 v2, v5, v2, vcc_lo
	s_delay_alu instid0(VALU_DEP_3) | instskip(NEXT) | instid1(VALU_DEP_2)
	v_lshl_add_u32 v5, v6, 23, 0x37800000
	v_lshlrev_b32_e32 v2, 21, v2
	s_delay_alu instid0(VALU_DEP_1) | instskip(NEXT) | instid1(VALU_DEP_1)
	v_or3_b32 v2, v3, v5, v2
	v_cvt_i32_f32_e32 v2, v2
.LBB46_172:
	s_or_b32 exec_lo, exec_lo, s15
	s_mov_b32 s15, 0
	s_branch .LBB46_178
.LBB46_173:
	s_mov_b32 s19, -1
                                        ; implicit-def: $vgpr2
	s_branch .LBB46_184
.LBB46_174:
	s_and_not1_saveexec_b32 s15, s15
	s_cbranch_execz .LBB46_160
.LBB46_175:
	v_cmp_ne_u16_e32 vcc_lo, 0, v3
	s_and_not1_b32 s19, s19, exec_lo
	s_and_b32 s20, vcc_lo, exec_lo
	s_delay_alu instid0(SALU_CYCLE_1)
	s_or_b32 s19, s19, s20
	s_or_b32 exec_lo, exec_lo, s15
	v_mov_b32_e32 v2, 0
	s_and_saveexec_b32 s15, s19
	s_cbranch_execnz .LBB46_161
	s_branch .LBB46_162
.LBB46_176:
	s_mov_b32 s15, -1
                                        ; implicit-def: $vgpr2
	s_branch .LBB46_181
.LBB46_177:
	s_mov_b32 s15, -1
                                        ; implicit-def: $vgpr2
.LBB46_178:
	s_delay_alu instid0(SALU_CYCLE_1)
	s_and_b32 vcc_lo, exec_lo, s15
	s_cbranch_vccz .LBB46_180
; %bb.179:
	s_wait_loadcnt 0x0
	global_load_u8 v2, v[0:1], off
	s_wait_loadcnt 0x0
	v_lshlrev_b32_e32 v2, 24, v2
	s_delay_alu instid0(VALU_DEP_1) | instskip(NEXT) | instid1(VALU_DEP_1)
	v_and_b32_e32 v3, 0x7f000000, v2
	v_clz_i32_u32_e32 v5, v3
	v_add_nc_u32_e32 v7, 0x1000000, v3
	v_cmp_ne_u32_e32 vcc_lo, 0, v3
	s_delay_alu instid0(VALU_DEP_3) | instskip(NEXT) | instid1(VALU_DEP_1)
	v_min_u32_e32 v5, 32, v5
	v_sub_nc_u32_e64 v5, v5, 4 clamp
	s_delay_alu instid0(VALU_DEP_1) | instskip(NEXT) | instid1(VALU_DEP_1)
	v_dual_lshlrev_b32 v6, v5, v3 :: v_dual_lshlrev_b32 v5, 23, v5
	v_lshrrev_b32_e32 v6, 4, v6
	s_delay_alu instid0(VALU_DEP_1) | instskip(NEXT) | instid1(VALU_DEP_1)
	v_dual_sub_nc_u32 v5, v6, v5 :: v_dual_ashrrev_i32 v6, 8, v7
	v_add_nc_u32_e32 v5, 0x3c000000, v5
	s_delay_alu instid0(VALU_DEP_1) | instskip(NEXT) | instid1(VALU_DEP_1)
	v_and_or_b32 v5, 0x7f800000, v6, v5
	v_cndmask_b32_e32 v3, 0, v5, vcc_lo
	s_delay_alu instid0(VALU_DEP_1) | instskip(NEXT) | instid1(VALU_DEP_1)
	v_and_or_b32 v2, 0x80000000, v2, v3
	v_cvt_i32_f32_e32 v2, v2
.LBB46_180:
	s_mov_b32 s15, 0
.LBB46_181:
	s_delay_alu instid0(SALU_CYCLE_1)
	s_and_not1_b32 vcc_lo, exec_lo, s15
	s_cbranch_vccnz .LBB46_183
; %bb.182:
	s_wait_loadcnt 0x0
	global_load_u8 v2, v[0:1], off
	s_wait_loadcnt 0x0
	v_lshlrev_b32_e32 v3, 25, v2
	v_lshlrev_b16 v2, 8, v2
	s_delay_alu instid0(VALU_DEP_2) | instskip(NEXT) | instid1(VALU_DEP_2)
	v_cmp_gt_u32_e32 vcc_lo, 0x8000000, v3
	v_and_or_b32 v6, 0x7f00, v2, 0.5
	v_lshrrev_b32_e32 v5, 4, v3
	v_bfe_i32 v2, v2, 0, 16
	s_delay_alu instid0(VALU_DEP_3) | instskip(NEXT) | instid1(VALU_DEP_3)
	v_add_f32_e32 v6, -0.5, v6
	v_or_b32_e32 v5, 0x70000000, v5
	s_delay_alu instid0(VALU_DEP_1) | instskip(NEXT) | instid1(VALU_DEP_1)
	v_mul_f32_e32 v5, 0x7800000, v5
	v_cndmask_b32_e32 v3, v5, v6, vcc_lo
	s_delay_alu instid0(VALU_DEP_1) | instskip(NEXT) | instid1(VALU_DEP_1)
	v_and_or_b32 v2, 0x80000000, v2, v3
	v_cvt_i32_f32_e32 v2, v2
.LBB46_183:
	s_mov_b32 s19, 0
	s_mov_b32 s15, -1
.LBB46_184:
	s_and_not1_b32 vcc_lo, exec_lo, s19
	s_cbranch_vccnz .LBB46_197
; %bb.185:
	s_cmp_gt_i32 s0, 14
	s_cbranch_scc0 .LBB46_188
; %bb.186:
	s_cmp_eq_u32 s0, 15
	s_cbranch_scc0 .LBB46_191
; %bb.187:
	s_wait_loadcnt 0x0
	global_load_u16 v2, v[0:1], off
	s_mov_b32 s15, -1
	s_mov_b32 s16, 0
	s_wait_loadcnt 0x0
	v_lshlrev_b32_e32 v2, 16, v2
	s_delay_alu instid0(VALU_DEP_1)
	v_cvt_i32_f32_e32 v2, v2
	s_branch .LBB46_192
.LBB46_188:
	s_mov_b32 s19, -1
                                        ; implicit-def: $vgpr2
	s_branch .LBB46_193
.LBB46_189:
	s_and_not1_saveexec_b32 s15, s15
	s_cbranch_execz .LBB46_170
.LBB46_190:
	v_cmp_ne_u16_e32 vcc_lo, 0, v3
	s_and_not1_b32 s19, s19, exec_lo
	s_and_b32 s20, vcc_lo, exec_lo
	s_delay_alu instid0(SALU_CYCLE_1)
	s_or_b32 s19, s19, s20
	s_or_b32 exec_lo, exec_lo, s15
	v_mov_b32_e32 v2, 0
	s_and_saveexec_b32 s15, s19
	s_cbranch_execnz .LBB46_171
	s_branch .LBB46_172
.LBB46_191:
	s_mov_b32 s16, -1
                                        ; implicit-def: $vgpr2
.LBB46_192:
	s_mov_b32 s19, 0
.LBB46_193:
	s_delay_alu instid0(SALU_CYCLE_1)
	s_and_b32 vcc_lo, exec_lo, s19
	s_cbranch_vccz .LBB46_197
; %bb.194:
	s_cmp_eq_u32 s0, 11
	s_cbranch_scc0 .LBB46_196
; %bb.195:
	s_wait_loadcnt 0x0
	global_load_u8 v2, v[0:1], off
	s_mov_b32 s16, 0
	s_mov_b32 s15, -1
	s_wait_loadcnt 0x0
	v_cmp_ne_u16_e32 vcc_lo, 0, v2
	v_cndmask_b32_e64 v2, 0, 1, vcc_lo
	s_branch .LBB46_197
.LBB46_196:
	s_mov_b32 s16, -1
                                        ; implicit-def: $vgpr2
.LBB46_197:
	s_branch .LBB46_10
.LBB46_198:
	s_cmp_lt_i32 s0, 5
	s_cbranch_scc1 .LBB46_203
; %bb.199:
	s_cmp_lt_i32 s0, 8
	s_cbranch_scc1 .LBB46_204
; %bb.200:
	;; [unrolled: 3-line block ×3, first 2 shown]
	s_cmp_gt_i32 s0, 9
	s_cbranch_scc0 .LBB46_206
; %bb.202:
	s_wait_loadcnt 0x0
	global_load_b64 v[2:3], v[0:1], off
	s_mov_b32 s15, 0
	s_wait_loadcnt 0x0
	v_cvt_i32_f64_e32 v2, v[2:3]
	s_branch .LBB46_207
.LBB46_203:
                                        ; implicit-def: $vgpr2
	s_branch .LBB46_225
.LBB46_204:
	s_mov_b32 s15, -1
                                        ; implicit-def: $vgpr2
	s_branch .LBB46_213
.LBB46_205:
	s_mov_b32 s15, -1
                                        ; implicit-def: $vgpr2
	s_branch .LBB46_210
.LBB46_206:
	s_mov_b32 s15, -1
                                        ; implicit-def: $vgpr2
.LBB46_207:
	s_delay_alu instid0(SALU_CYCLE_1)
	s_and_not1_b32 vcc_lo, exec_lo, s15
	s_cbranch_vccnz .LBB46_209
; %bb.208:
	s_wait_loadcnt 0x0
	global_load_b32 v2, v[0:1], off
	s_wait_loadcnt 0x0
	v_cvt_i32_f32_e32 v2, v2
.LBB46_209:
	s_mov_b32 s15, 0
.LBB46_210:
	s_delay_alu instid0(SALU_CYCLE_1)
	s_and_not1_b32 vcc_lo, exec_lo, s15
	s_cbranch_vccnz .LBB46_212
; %bb.211:
	s_wait_loadcnt 0x0
	global_load_b32 v2, v[0:1], off
	s_wait_loadcnt 0x0
	v_cvt_f32_f16_e32 v2, v2
	s_delay_alu instid0(VALU_DEP_1)
	v_cvt_i32_f32_e32 v2, v2
.LBB46_212:
	s_mov_b32 s15, 0
.LBB46_213:
	s_delay_alu instid0(SALU_CYCLE_1)
	s_and_not1_b32 vcc_lo, exec_lo, s15
	s_cbranch_vccnz .LBB46_224
; %bb.214:
	s_cmp_lt_i32 s0, 6
	s_cbranch_scc1 .LBB46_217
; %bb.215:
	s_cmp_gt_i32 s0, 6
	s_cbranch_scc0 .LBB46_218
; %bb.216:
	s_wait_loadcnt 0x0
	global_load_b64 v[2:3], v[0:1], off
	s_mov_b32 s15, 0
	s_wait_loadcnt 0x0
	v_cvt_i32_f64_e32 v2, v[2:3]
	s_branch .LBB46_219
.LBB46_217:
	s_mov_b32 s15, -1
                                        ; implicit-def: $vgpr2
	s_branch .LBB46_222
.LBB46_218:
	s_mov_b32 s15, -1
                                        ; implicit-def: $vgpr2
.LBB46_219:
	s_delay_alu instid0(SALU_CYCLE_1)
	s_and_not1_b32 vcc_lo, exec_lo, s15
	s_cbranch_vccnz .LBB46_221
; %bb.220:
	s_wait_loadcnt 0x0
	global_load_b32 v2, v[0:1], off
	s_wait_loadcnt 0x0
	v_cvt_i32_f32_e32 v2, v2
.LBB46_221:
	s_mov_b32 s15, 0
.LBB46_222:
	s_delay_alu instid0(SALU_CYCLE_1)
	s_and_not1_b32 vcc_lo, exec_lo, s15
	s_cbranch_vccnz .LBB46_224
; %bb.223:
	s_wait_loadcnt 0x0
	global_load_u16 v2, v[0:1], off
	s_wait_loadcnt 0x0
	v_cvt_f32_f16_e32 v2, v2
	s_delay_alu instid0(VALU_DEP_1)
	v_cvt_i32_f32_e32 v2, v2
.LBB46_224:
	s_cbranch_execnz .LBB46_244
.LBB46_225:
	s_cmp_lt_i32 s0, 2
	s_cbranch_scc1 .LBB46_229
; %bb.226:
	s_cmp_lt_i32 s0, 3
	s_cbranch_scc1 .LBB46_230
; %bb.227:
	s_cmp_gt_i32 s0, 3
	s_cbranch_scc0 .LBB46_231
; %bb.228:
	s_wait_loadcnt 0x0
	global_load_b32 v2, v[0:1], off
	s_mov_b32 s15, 0
	s_branch .LBB46_232
.LBB46_229:
	s_mov_b32 s15, -1
                                        ; implicit-def: $vgpr2
	s_branch .LBB46_238
.LBB46_230:
	s_mov_b32 s15, -1
                                        ; implicit-def: $vgpr2
	s_branch .LBB46_235
.LBB46_231:
	s_mov_b32 s15, -1
                                        ; implicit-def: $vgpr2
.LBB46_232:
	s_delay_alu instid0(SALU_CYCLE_1)
	s_and_not1_b32 vcc_lo, exec_lo, s15
	s_cbranch_vccnz .LBB46_234
; %bb.233:
	s_wait_loadcnt 0x0
	global_load_b32 v2, v[0:1], off
.LBB46_234:
	s_mov_b32 s15, 0
.LBB46_235:
	s_delay_alu instid0(SALU_CYCLE_1)
	s_and_not1_b32 vcc_lo, exec_lo, s15
	s_cbranch_vccnz .LBB46_237
; %bb.236:
	s_wait_loadcnt 0x0
	global_load_i16 v2, v[0:1], off
.LBB46_237:
	s_mov_b32 s15, 0
.LBB46_238:
	s_delay_alu instid0(SALU_CYCLE_1)
	s_and_not1_b32 vcc_lo, exec_lo, s15
	s_cbranch_vccnz .LBB46_244
; %bb.239:
	s_cmp_gt_i32 s0, 0
	s_mov_b32 s0, 0
	s_cbranch_scc0 .LBB46_241
; %bb.240:
	s_wait_loadcnt 0x0
	global_load_i8 v2, v[0:1], off
	s_branch .LBB46_242
.LBB46_241:
	s_mov_b32 s0, -1
                                        ; implicit-def: $vgpr2
.LBB46_242:
	s_delay_alu instid0(SALU_CYCLE_1)
	s_and_not1_b32 vcc_lo, exec_lo, s0
	s_cbranch_vccnz .LBB46_244
; %bb.243:
	s_wait_loadcnt 0x0
	global_load_u8 v2, v[0:1], off
.LBB46_244:
	s_branch .LBB46_11
.LBB46_245:
	s_mov_b32 s0, 0
.LBB46_246:
	s_mov_b32 s19, 0
                                        ; implicit-def: $vgpr4
.LBB46_247:
	s_and_b32 s15, s0, exec_lo
	s_and_b32 s16, s16, exec_lo
	s_or_not1_b32 s20, s19, exec_lo
.LBB46_248:
	s_wait_xcnt 0x0
	s_or_b32 exec_lo, exec_lo, s17
	s_mov_b32 s19, 0
	s_mov_b32 s0, 0
                                        ; implicit-def: $vgpr0_vgpr1
                                        ; implicit-def: $vgpr2
	s_and_saveexec_b32 s17, s20
	s_cbranch_execz .LBB46_257
; %bb.249:
	s_mov_b32 s0, -1
	s_mov_b32 s18, s16
	s_mov_b32 s19, s15
	s_mov_b32 s20, exec_lo
	v_cmpx_gt_i32_e64 s14, v4
	s_cbranch_execz .LBB46_507
; %bb.250:
	v_mul_lo_u32 v0, v4, s9
	s_and_b32 s0, 0xffff, s3
	s_delay_alu instid0(SALU_CYCLE_1) | instskip(NEXT) | instid1(VALU_DEP_1)
	s_cmp_lt_i32 s0, 11
	v_ashrrev_i32_e32 v1, 31, v0
	s_delay_alu instid0(VALU_DEP_1)
	v_add_nc_u64_e32 v[0:1], s[6:7], v[0:1]
	s_cbranch_scc1 .LBB46_260
; %bb.251:
	s_cmp_gt_i32 s0, 25
	s_cbranch_scc0 .LBB46_269
; %bb.252:
	s_cmp_gt_i32 s0, 28
	s_cbranch_scc0 .LBB46_271
	;; [unrolled: 3-line block ×4, first 2 shown]
; %bb.255:
	s_cmp_eq_u32 s0, 46
	s_mov_b32 s21, 0
	s_cbranch_scc0 .LBB46_281
; %bb.256:
	s_wait_loadcnt 0x0
	global_load_b32 v2, v[0:1], off
	s_mov_b32 s19, -1
	s_mov_b32 s18, 0
	s_wait_loadcnt 0x0
	v_lshlrev_b32_e32 v2, 16, v2
	s_delay_alu instid0(VALU_DEP_1)
	v_cvt_i32_f32_e32 v2, v2
	s_branch .LBB46_283
.LBB46_257:
	s_or_b32 exec_lo, exec_lo, s17
	s_mov_b32 s14, 0
	s_and_saveexec_b32 s17, s16
	s_cbranch_execnz .LBB46_847
.LBB46_258:
	s_or_b32 exec_lo, exec_lo, s17
	s_and_saveexec_b32 s16, s18
	s_delay_alu instid0(SALU_CYCLE_1)
	s_xor_b32 s16, exec_lo, s16
	s_cbranch_execz .LBB46_848
.LBB46_259:
	s_wait_loadcnt 0x0
	global_load_u8 v2, v[0:1], off
	s_or_b32 s0, s0, exec_lo
	s_wait_loadcnt 0x0
	v_cmp_ne_u16_e32 vcc_lo, 0, v2
	v_cndmask_b32_e64 v2, 0, 1, vcc_lo
	s_wait_xcnt 0x0
	s_or_b32 exec_lo, exec_lo, s16
	s_and_saveexec_b32 s16, s19
	s_cbranch_execz .LBB46_894
	s_branch .LBB46_849
.LBB46_260:
	s_mov_b32 s19, 0
	s_mov_b32 s18, s16
                                        ; implicit-def: $vgpr2
	s_cbranch_execnz .LBB46_456
.LBB46_261:
	s_and_not1_b32 vcc_lo, exec_lo, s19
	s_cbranch_vccnz .LBB46_504
.LBB46_262:
	s_wait_xcnt 0x0
	v_mul_lo_u32 v0, v4, s8
	s_wait_loadcnt 0x0
	s_delay_alu instid0(VALU_DEP_2) | instskip(SKIP_3) | instid1(VALU_DEP_2)
	v_cmp_ne_u32_e32 vcc_lo, s11, v2
	s_and_b32 s21, s2, 0xff
	s_xor_b32 s19, s13, vcc_lo
	s_cmp_lt_i32 s21, 11
	v_ashrrev_i32_e32 v1, 31, v0
	s_delay_alu instid0(VALU_DEP_1)
	v_add_nc_u64_e32 v[0:1], s[4:5], v[0:1]
	s_cbranch_scc1 .LBB46_270
; %bb.263:
	s_and_b32 s22, 0xffff, s21
	s_delay_alu instid0(SALU_CYCLE_1)
	s_cmp_gt_i32 s22, 25
	s_cbranch_scc0 .LBB46_272
; %bb.264:
	s_cmp_gt_i32 s22, 28
	s_cbranch_scc0 .LBB46_274
; %bb.265:
	;; [unrolled: 3-line block ×4, first 2 shown]
	s_mov_b32 s24, 0
	s_mov_b32 s0, -1
	s_cmp_eq_u32 s22, 46
	s_mov_b32 s23, 0
	s_cbranch_scc0 .LBB46_287
; %bb.268:
	v_cndmask_b32_e64 v2, 0, 1.0, s19
	s_mov_b32 s23, -1
	s_mov_b32 s0, 0
	s_delay_alu instid0(VALU_DEP_1) | instskip(NEXT) | instid1(VALU_DEP_1)
	v_bfe_u32 v3, v2, 16, 1
	v_add3_u32 v2, v2, v3, 0x7fff
	s_delay_alu instid0(VALU_DEP_1)
	v_lshrrev_b32_e32 v2, 16, v2
	global_store_b32 v[0:1], v2, off
	s_branch .LBB46_287
.LBB46_269:
	s_mov_b32 s21, -1
	s_mov_b32 s19, 0
	s_mov_b32 s18, s16
                                        ; implicit-def: $vgpr2
	s_branch .LBB46_422
.LBB46_270:
	s_mov_b32 s22, -1
	s_mov_b32 s23, 0
	s_mov_b32 s0, s15
	s_branch .LBB46_356
.LBB46_271:
	s_mov_b32 s21, -1
	s_mov_b32 s19, 0
	s_mov_b32 s18, s16
                                        ; implicit-def: $vgpr2
	s_branch .LBB46_405
.LBB46_272:
	s_mov_b32 s24, -1
	s_mov_b32 s23, 0
	s_mov_b32 s0, s15
	s_branch .LBB46_314
.LBB46_273:
	s_mov_b32 s21, -1
	s_mov_b32 s19, 0
	s_mov_b32 s18, s16
                                        ; implicit-def: $vgpr2
	s_branch .LBB46_400
.LBB46_274:
	s_mov_b32 s24, -1
	s_mov_b32 s23, 0
	s_mov_b32 s0, s15
	s_branch .LBB46_297
.LBB46_275:
	s_and_not1_saveexec_b32 s23, s23
	s_cbranch_execz .LBB46_54
.LBB46_276:
	v_add_f32_e32 v2, 0x46000000, v3
	s_and_not1_b32 s22, s22, exec_lo
	s_delay_alu instid0(VALU_DEP_1) | instskip(NEXT) | instid1(VALU_DEP_1)
	v_and_b32_e32 v2, 0xff, v2
	v_cmp_ne_u32_e32 vcc_lo, 0, v2
	s_and_b32 s24, vcc_lo, exec_lo
	s_delay_alu instid0(SALU_CYCLE_1)
	s_or_b32 s22, s22, s24
	s_or_b32 exec_lo, exec_lo, s23
	v_mov_b32_e32 v5, 0
	s_and_saveexec_b32 s23, s22
	s_cbranch_execnz .LBB46_55
	s_branch .LBB46_56
.LBB46_277:
	s_mov_b32 s21, -1
	s_mov_b32 s19, 0
	s_mov_b32 s18, s16
	s_branch .LBB46_282
.LBB46_278:
	s_mov_b32 s24, -1
	s_mov_b32 s23, 0
	s_mov_b32 s0, s15
	s_branch .LBB46_293
.LBB46_279:
	s_and_not1_saveexec_b32 s23, s23
	s_cbranch_execz .LBB46_67
.LBB46_280:
	v_add_f32_e32 v2, 0x42800000, v3
	s_and_not1_b32 s22, s22, exec_lo
	s_delay_alu instid0(VALU_DEP_1) | instskip(NEXT) | instid1(VALU_DEP_1)
	v_and_b32_e32 v2, 0xff, v2
	v_cmp_ne_u32_e32 vcc_lo, 0, v2
	s_and_b32 s24, vcc_lo, exec_lo
	s_delay_alu instid0(SALU_CYCLE_1)
	s_or_b32 s22, s22, s24
	s_or_b32 exec_lo, exec_lo, s23
	v_mov_b32_e32 v5, 0
	s_and_saveexec_b32 s23, s22
	s_cbranch_execnz .LBB46_68
	s_branch .LBB46_69
.LBB46_281:
	s_mov_b32 s18, -1
	s_mov_b32 s19, 0
.LBB46_282:
                                        ; implicit-def: $vgpr2
.LBB46_283:
	s_and_b32 vcc_lo, exec_lo, s21
	s_cbranch_vccz .LBB46_399
; %bb.284:
	s_cmp_eq_u32 s0, 44
	s_cbranch_scc0 .LBB46_398
; %bb.285:
	s_wait_loadcnt 0x0
	global_load_u8 v2, v[0:1], off
	s_mov_b32 s18, 0
	s_mov_b32 s19, -1
	s_wait_loadcnt 0x0
	v_lshlrev_b32_e32 v3, 23, v2
	v_cmp_ne_u32_e32 vcc_lo, 0, v2
	s_delay_alu instid0(VALU_DEP_2) | instskip(NEXT) | instid1(VALU_DEP_1)
	v_cvt_i32_f32_e32 v3, v3
	v_cndmask_b32_e32 v2, 0, v3, vcc_lo
	s_branch .LBB46_399
.LBB46_286:
	s_mov_b32 s24, -1
	s_mov_b32 s23, 0
	s_mov_b32 s0, s15
.LBB46_287:
	s_and_b32 vcc_lo, exec_lo, s24
	s_cbranch_vccz .LBB46_292
; %bb.288:
	s_cmp_eq_u32 s22, 44
	s_mov_b32 s0, -1
	s_cbranch_scc0 .LBB46_292
; %bb.289:
	v_cndmask_b32_e64 v5, 0, 1.0, s19
	s_mov_b32 s23, exec_lo
	s_wait_xcnt 0x0
	s_delay_alu instid0(VALU_DEP_1) | instskip(NEXT) | instid1(VALU_DEP_1)
	v_dual_mov_b32 v3, 0xff :: v_dual_lshrrev_b32 v2, 23, v5
	v_cmpx_ne_u32_e32 0xff, v2
; %bb.290:
	v_and_b32_e32 v3, 0x400000, v5
	v_and_or_b32 v5, 0x3fffff, v5, v2
	s_delay_alu instid0(VALU_DEP_2) | instskip(NEXT) | instid1(VALU_DEP_2)
	v_cmp_ne_u32_e32 vcc_lo, 0, v3
	v_cmp_ne_u32_e64 s0, 0, v5
	s_and_b32 s0, vcc_lo, s0
	s_delay_alu instid0(SALU_CYCLE_1) | instskip(NEXT) | instid1(VALU_DEP_1)
	v_cndmask_b32_e64 v3, 0, 1, s0
	v_add_nc_u32_e32 v3, v2, v3
; %bb.291:
	s_or_b32 exec_lo, exec_lo, s23
	s_mov_b32 s23, -1
	s_mov_b32 s0, 0
	global_store_b8 v[0:1], v3, off
.LBB46_292:
	s_mov_b32 s24, 0
.LBB46_293:
	s_delay_alu instid0(SALU_CYCLE_1)
	s_and_b32 vcc_lo, exec_lo, s24
	s_cbranch_vccz .LBB46_296
; %bb.294:
	s_cmp_eq_u32 s22, 29
	s_mov_b32 s0, -1
	s_cbranch_scc0 .LBB46_296
; %bb.295:
	s_mov_b32 s0, 0
	s_wait_xcnt 0x0
	v_cndmask_b32_e64 v2, 0, 1, s19
	v_mov_b32_e32 v3, s0
	s_mov_b32 s23, -1
	s_mov_b32 s24, 0
	global_store_b64 v[0:1], v[2:3], off
	s_branch .LBB46_297
.LBB46_296:
	s_mov_b32 s24, 0
.LBB46_297:
	s_delay_alu instid0(SALU_CYCLE_1)
	s_and_b32 vcc_lo, exec_lo, s24
	s_cbranch_vccz .LBB46_313
; %bb.298:
	s_cmp_lt_i32 s22, 27
	s_mov_b32 s23, -1
	s_cbranch_scc1 .LBB46_304
; %bb.299:
	s_cmp_gt_i32 s22, 27
	s_cbranch_scc0 .LBB46_301
; %bb.300:
	s_wait_xcnt 0x0
	v_cndmask_b32_e64 v2, 0, 1, s19
	s_mov_b32 s23, 0
	global_store_b32 v[0:1], v2, off
.LBB46_301:
	s_and_not1_b32 vcc_lo, exec_lo, s23
	s_cbranch_vccnz .LBB46_303
; %bb.302:
	s_wait_xcnt 0x0
	v_cndmask_b32_e64 v2, 0, 1, s19
	global_store_b16 v[0:1], v2, off
.LBB46_303:
	s_mov_b32 s23, 0
.LBB46_304:
	s_delay_alu instid0(SALU_CYCLE_1)
	s_and_not1_b32 vcc_lo, exec_lo, s23
	s_cbranch_vccnz .LBB46_312
; %bb.305:
	s_wait_xcnt 0x0
	v_cndmask_b32_e64 v3, 0, 1.0, s19
	v_mov_b32_e32 v5, 0x80
	s_mov_b32 s23, exec_lo
	s_delay_alu instid0(VALU_DEP_2)
	v_cmpx_gt_u32_e32 0x43800000, v3
	s_cbranch_execz .LBB46_311
; %bb.306:
	s_mov_b32 s24, 0
	s_mov_b32 s25, exec_lo
                                        ; implicit-def: $vgpr2
	v_cmpx_lt_u32_e32 0x3bffffff, v3
	s_xor_b32 s25, exec_lo, s25
	s_cbranch_execz .LBB46_520
; %bb.307:
	v_bfe_u32 v2, v3, 20, 1
	s_mov_b32 s24, exec_lo
	s_delay_alu instid0(VALU_DEP_1) | instskip(NEXT) | instid1(VALU_DEP_1)
	v_add3_u32 v2, v3, v2, 0x487ffff
                                        ; implicit-def: $vgpr3
	v_lshrrev_b32_e32 v2, 20, v2
	s_and_not1_saveexec_b32 s25, s25
	s_cbranch_execnz .LBB46_521
.LBB46_308:
	s_or_b32 exec_lo, exec_lo, s25
	v_mov_b32_e32 v5, 0
	s_and_saveexec_b32 s25, s24
.LBB46_309:
	v_mov_b32_e32 v5, v2
.LBB46_310:
	s_or_b32 exec_lo, exec_lo, s25
.LBB46_311:
	s_delay_alu instid0(SALU_CYCLE_1)
	s_or_b32 exec_lo, exec_lo, s23
	global_store_b8 v[0:1], v5, off
.LBB46_312:
	s_mov_b32 s23, -1
.LBB46_313:
	s_mov_b32 s24, 0
.LBB46_314:
	s_delay_alu instid0(SALU_CYCLE_1)
	s_and_b32 vcc_lo, exec_lo, s24
	s_cbranch_vccz .LBB46_355
; %bb.315:
	s_cmp_gt_i32 s22, 22
	s_mov_b32 s24, -1
	s_cbranch_scc0 .LBB46_347
; %bb.316:
	s_cmp_lt_i32 s22, 24
	s_mov_b32 s23, -1
	s_cbranch_scc1 .LBB46_336
; %bb.317:
	s_cmp_gt_i32 s22, 24
	s_cbranch_scc0 .LBB46_325
; %bb.318:
	s_wait_xcnt 0x0
	v_cndmask_b32_e64 v3, 0, 1.0, s19
	v_mov_b32_e32 v5, 0x80
	s_mov_b32 s23, exec_lo
	s_delay_alu instid0(VALU_DEP_2)
	v_cmpx_gt_u32_e32 0x47800000, v3
	s_cbranch_execz .LBB46_324
; %bb.319:
	s_mov_b32 s24, 0
	s_mov_b32 s25, exec_lo
                                        ; implicit-def: $vgpr2
	v_cmpx_lt_u32_e32 0x37ffffff, v3
	s_xor_b32 s25, exec_lo, s25
	s_cbranch_execz .LBB46_523
; %bb.320:
	v_bfe_u32 v2, v3, 21, 1
	s_mov_b32 s24, exec_lo
	s_delay_alu instid0(VALU_DEP_1) | instskip(NEXT) | instid1(VALU_DEP_1)
	v_add3_u32 v2, v3, v2, 0x88fffff
                                        ; implicit-def: $vgpr3
	v_lshrrev_b32_e32 v2, 21, v2
	s_and_not1_saveexec_b32 s25, s25
	s_cbranch_execnz .LBB46_524
.LBB46_321:
	s_or_b32 exec_lo, exec_lo, s25
	v_mov_b32_e32 v5, 0
	s_and_saveexec_b32 s25, s24
.LBB46_322:
	v_mov_b32_e32 v5, v2
.LBB46_323:
	s_or_b32 exec_lo, exec_lo, s25
.LBB46_324:
	s_delay_alu instid0(SALU_CYCLE_1)
	s_or_b32 exec_lo, exec_lo, s23
	s_mov_b32 s23, 0
	global_store_b8 v[0:1], v5, off
.LBB46_325:
	s_and_b32 vcc_lo, exec_lo, s23
	s_cbranch_vccz .LBB46_335
; %bb.326:
	s_wait_xcnt 0x0
	v_cndmask_b32_e64 v3, 0, 1.0, s19
	s_mov_b32 s23, exec_lo
                                        ; implicit-def: $vgpr2
	s_delay_alu instid0(VALU_DEP_1)
	v_cmpx_gt_u32_e32 0x43f00000, v3
	s_xor_b32 s23, exec_lo, s23
	s_cbranch_execz .LBB46_332
; %bb.327:
	s_mov_b32 s24, exec_lo
                                        ; implicit-def: $vgpr2
	v_cmpx_lt_u32_e32 0x3c7fffff, v3
	s_xor_b32 s24, exec_lo, s24
; %bb.328:
	v_bfe_u32 v2, v3, 20, 1
	s_delay_alu instid0(VALU_DEP_1) | instskip(NEXT) | instid1(VALU_DEP_1)
	v_add3_u32 v2, v3, v2, 0x407ffff
	v_and_b32_e32 v3, 0xff00000, v2
	v_lshrrev_b32_e32 v2, 20, v2
	s_delay_alu instid0(VALU_DEP_2) | instskip(NEXT) | instid1(VALU_DEP_2)
	v_cmp_ne_u32_e32 vcc_lo, 0x7f00000, v3
                                        ; implicit-def: $vgpr3
	v_cndmask_b32_e32 v2, 0x7e, v2, vcc_lo
; %bb.329:
	s_and_not1_saveexec_b32 s24, s24
; %bb.330:
	v_add_f32_e32 v2, 0x46800000, v3
; %bb.331:
	s_or_b32 exec_lo, exec_lo, s24
                                        ; implicit-def: $vgpr3
.LBB46_332:
	s_and_not1_saveexec_b32 s23, s23
; %bb.333:
	v_mov_b32_e32 v2, 0x7f
	v_cmp_lt_u32_e32 vcc_lo, 0x7f800000, v3
	s_delay_alu instid0(VALU_DEP_2)
	v_cndmask_b32_e32 v2, 0x7e, v2, vcc_lo
; %bb.334:
	s_or_b32 exec_lo, exec_lo, s23
	global_store_b8 v[0:1], v2, off
.LBB46_335:
	s_mov_b32 s23, 0
.LBB46_336:
	s_delay_alu instid0(SALU_CYCLE_1)
	s_and_not1_b32 vcc_lo, exec_lo, s23
	s_cbranch_vccnz .LBB46_346
; %bb.337:
	s_wait_xcnt 0x0
	v_cndmask_b32_e64 v3, 0, 1.0, s19
	s_mov_b32 s23, exec_lo
                                        ; implicit-def: $vgpr2
	s_delay_alu instid0(VALU_DEP_1)
	v_cmpx_gt_u32_e32 0x47800000, v3
	s_xor_b32 s23, exec_lo, s23
	s_cbranch_execz .LBB46_343
; %bb.338:
	s_mov_b32 s24, exec_lo
                                        ; implicit-def: $vgpr2
	v_cmpx_lt_u32_e32 0x387fffff, v3
	s_xor_b32 s24, exec_lo, s24
; %bb.339:
	v_bfe_u32 v2, v3, 21, 1
	s_delay_alu instid0(VALU_DEP_1) | instskip(NEXT) | instid1(VALU_DEP_1)
	v_add3_u32 v2, v3, v2, 0x80fffff
                                        ; implicit-def: $vgpr3
	v_lshrrev_b32_e32 v2, 21, v2
; %bb.340:
	s_and_not1_saveexec_b32 s24, s24
; %bb.341:
	v_add_f32_e32 v2, 0x43000000, v3
; %bb.342:
	s_or_b32 exec_lo, exec_lo, s24
                                        ; implicit-def: $vgpr3
.LBB46_343:
	s_and_not1_saveexec_b32 s23, s23
; %bb.344:
	v_mov_b32_e32 v2, 0x7f
	v_cmp_lt_u32_e32 vcc_lo, 0x7f800000, v3
	s_delay_alu instid0(VALU_DEP_2)
	v_cndmask_b32_e32 v2, 0x7c, v2, vcc_lo
; %bb.345:
	s_or_b32 exec_lo, exec_lo, s23
	global_store_b8 v[0:1], v2, off
.LBB46_346:
	s_mov_b32 s24, 0
	s_mov_b32 s23, -1
.LBB46_347:
	s_and_not1_b32 vcc_lo, exec_lo, s24
	s_cbranch_vccnz .LBB46_355
; %bb.348:
	s_cmp_gt_i32 s22, 14
	s_mov_b32 s24, -1
	s_cbranch_scc0 .LBB46_352
; %bb.349:
	s_cmp_eq_u32 s22, 15
	s_mov_b32 s0, -1
	s_cbranch_scc0 .LBB46_351
; %bb.350:
	s_wait_xcnt 0x0
	v_cndmask_b32_e64 v2, 0, 1.0, s19
	s_mov_b32 s23, -1
	s_mov_b32 s0, 0
	s_delay_alu instid0(VALU_DEP_1) | instskip(NEXT) | instid1(VALU_DEP_1)
	v_bfe_u32 v3, v2, 16, 1
	v_add3_u32 v2, v2, v3, 0x7fff
	global_store_d16_hi_b16 v[0:1], v2, off
.LBB46_351:
	s_mov_b32 s24, 0
.LBB46_352:
	s_delay_alu instid0(SALU_CYCLE_1)
	s_and_b32 vcc_lo, exec_lo, s24
	s_cbranch_vccz .LBB46_355
; %bb.353:
	s_cmp_eq_u32 s22, 11
	s_mov_b32 s0, -1
	s_cbranch_scc0 .LBB46_355
; %bb.354:
	s_wait_xcnt 0x0
	v_cndmask_b32_e64 v2, 0, 1, s19
	s_mov_b32 s23, -1
	s_mov_b32 s0, 0
	global_store_b8 v[0:1], v2, off
.LBB46_355:
	s_mov_b32 s22, 0
.LBB46_356:
	s_delay_alu instid0(SALU_CYCLE_1)
	s_and_b32 vcc_lo, exec_lo, s22
	s_cbranch_vccz .LBB46_395
; %bb.357:
	s_and_b32 s21, 0xffff, s21
	s_mov_b32 s22, -1
	s_cmp_lt_i32 s21, 5
	s_cbranch_scc1 .LBB46_378
; %bb.358:
	s_cmp_lt_i32 s21, 8
	s_cbranch_scc1 .LBB46_368
; %bb.359:
	;; [unrolled: 3-line block ×3, first 2 shown]
	s_cmp_gt_i32 s21, 9
	s_cbranch_scc0 .LBB46_362
; %bb.361:
	s_wait_xcnt 0x0
	v_cndmask_b32_e64 v2, 0, 1, s19
	v_mov_b32_e32 v8, 0
	s_mov_b32 s22, 0
	s_delay_alu instid0(VALU_DEP_2) | instskip(NEXT) | instid1(VALU_DEP_2)
	v_cvt_f64_u32_e32 v[6:7], v2
	v_mov_b32_e32 v9, v8
	global_store_b128 v[0:1], v[6:9], off
.LBB46_362:
	s_and_not1_b32 vcc_lo, exec_lo, s22
	s_cbranch_vccnz .LBB46_364
; %bb.363:
	s_wait_xcnt 0x0
	v_cndmask_b32_e64 v2, 0, 1.0, s19
	v_mov_b32_e32 v3, 0
	global_store_b64 v[0:1], v[2:3], off
.LBB46_364:
	s_mov_b32 s22, 0
.LBB46_365:
	s_delay_alu instid0(SALU_CYCLE_1)
	s_and_not1_b32 vcc_lo, exec_lo, s22
	s_cbranch_vccnz .LBB46_367
; %bb.366:
	s_wait_xcnt 0x0
	v_cndmask_b32_e64 v2, 0, 1.0, s19
	s_delay_alu instid0(VALU_DEP_1) | instskip(NEXT) | instid1(VALU_DEP_1)
	v_cvt_f16_f32_e32 v2, v2
	v_and_b32_e32 v2, 0xffff, v2
	global_store_b32 v[0:1], v2, off
.LBB46_367:
	s_mov_b32 s22, 0
.LBB46_368:
	s_delay_alu instid0(SALU_CYCLE_1)
	s_and_not1_b32 vcc_lo, exec_lo, s22
	s_cbranch_vccnz .LBB46_377
; %bb.369:
	s_cmp_lt_i32 s21, 6
	s_mov_b32 s22, -1
	s_cbranch_scc1 .LBB46_375
; %bb.370:
	s_cmp_gt_i32 s21, 6
	s_cbranch_scc0 .LBB46_372
; %bb.371:
	s_wait_xcnt 0x0
	v_cndmask_b32_e64 v2, 0, 1, s19
	s_mov_b32 s22, 0
	s_delay_alu instid0(VALU_DEP_1)
	v_cvt_f64_u32_e32 v[2:3], v2
	global_store_b64 v[0:1], v[2:3], off
.LBB46_372:
	s_and_not1_b32 vcc_lo, exec_lo, s22
	s_cbranch_vccnz .LBB46_374
; %bb.373:
	s_wait_xcnt 0x0
	v_cndmask_b32_e64 v2, 0, 1.0, s19
	global_store_b32 v[0:1], v2, off
.LBB46_374:
	s_mov_b32 s22, 0
.LBB46_375:
	s_delay_alu instid0(SALU_CYCLE_1)
	s_and_not1_b32 vcc_lo, exec_lo, s22
	s_cbranch_vccnz .LBB46_377
; %bb.376:
	s_wait_xcnt 0x0
	v_cndmask_b32_e64 v2, 0, 1.0, s19
	s_delay_alu instid0(VALU_DEP_1)
	v_cvt_f16_f32_e32 v2, v2
	global_store_b16 v[0:1], v2, off
.LBB46_377:
	s_mov_b32 s22, 0
.LBB46_378:
	s_delay_alu instid0(SALU_CYCLE_1)
	s_and_not1_b32 vcc_lo, exec_lo, s22
	s_cbranch_vccnz .LBB46_394
; %bb.379:
	s_cmp_lt_i32 s21, 2
	s_mov_b32 s22, -1
	s_cbranch_scc1 .LBB46_389
; %bb.380:
	s_cmp_lt_i32 s21, 3
	s_cbranch_scc1 .LBB46_386
; %bb.381:
	s_cmp_gt_i32 s21, 3
	s_cbranch_scc0 .LBB46_383
; %bb.382:
	s_mov_b32 s22, 0
	s_wait_xcnt 0x0
	v_cndmask_b32_e64 v2, 0, 1, s19
	v_mov_b32_e32 v3, s22
	global_store_b64 v[0:1], v[2:3], off
.LBB46_383:
	s_and_not1_b32 vcc_lo, exec_lo, s22
	s_cbranch_vccnz .LBB46_385
; %bb.384:
	s_wait_xcnt 0x0
	v_cndmask_b32_e64 v2, 0, 1, s19
	global_store_b32 v[0:1], v2, off
.LBB46_385:
	s_mov_b32 s22, 0
.LBB46_386:
	s_delay_alu instid0(SALU_CYCLE_1)
	s_and_not1_b32 vcc_lo, exec_lo, s22
	s_cbranch_vccnz .LBB46_388
; %bb.387:
	s_wait_xcnt 0x0
	v_cndmask_b32_e64 v2, 0, 1, s19
	global_store_b16 v[0:1], v2, off
.LBB46_388:
	s_mov_b32 s22, 0
.LBB46_389:
	s_delay_alu instid0(SALU_CYCLE_1)
	s_and_not1_b32 vcc_lo, exec_lo, s22
	s_cbranch_vccnz .LBB46_394
; %bb.390:
	s_wait_xcnt 0x0
	v_cndmask_b32_e64 v2, 0, 1, s19
	s_cmp_gt_i32 s21, 0
	s_mov_b32 s19, -1
	s_cbranch_scc0 .LBB46_392
; %bb.391:
	s_mov_b32 s19, 0
	global_store_b8 v[0:1], v2, off
.LBB46_392:
	s_and_not1_b32 vcc_lo, exec_lo, s19
	s_cbranch_vccnz .LBB46_394
; %bb.393:
	global_store_b8 v[0:1], v2, off
.LBB46_394:
	s_mov_b32 s23, -1
.LBB46_395:
	s_delay_alu instid0(SALU_CYCLE_1)
	s_and_not1_b32 vcc_lo, exec_lo, s23
	s_cbranch_vccnz .LBB46_397
; %bb.396:
	v_add_nc_u32_e32 v4, 0x80, v4
	s_mov_b32 s21, -1
	s_branch .LBB46_506
.LBB46_397:
	s_mov_b32 s21, 0
	s_branch .LBB46_505
.LBB46_398:
	s_mov_b32 s18, -1
                                        ; implicit-def: $vgpr2
.LBB46_399:
	s_mov_b32 s21, 0
.LBB46_400:
	s_delay_alu instid0(SALU_CYCLE_1)
	s_and_b32 vcc_lo, exec_lo, s21
	s_cbranch_vccz .LBB46_404
; %bb.401:
	s_cmp_eq_u32 s0, 29
	s_cbranch_scc0 .LBB46_403
; %bb.402:
	s_wait_loadcnt 0x0
	global_load_b32 v2, v[0:1], off
	s_mov_b32 s19, -1
	s_mov_b32 s18, 0
	s_branch .LBB46_404
.LBB46_403:
	s_mov_b32 s18, -1
                                        ; implicit-def: $vgpr2
.LBB46_404:
	s_mov_b32 s21, 0
.LBB46_405:
	s_delay_alu instid0(SALU_CYCLE_1)
	s_and_b32 vcc_lo, exec_lo, s21
	s_cbranch_vccz .LBB46_421
; %bb.406:
	s_cmp_lt_i32 s0, 27
	s_cbranch_scc1 .LBB46_409
; %bb.407:
	s_cmp_gt_i32 s0, 27
	s_cbranch_scc0 .LBB46_410
; %bb.408:
	s_wait_loadcnt 0x0
	global_load_b32 v2, v[0:1], off
	s_mov_b32 s19, 0
	s_branch .LBB46_411
.LBB46_409:
	s_mov_b32 s19, -1
                                        ; implicit-def: $vgpr2
	s_branch .LBB46_414
.LBB46_410:
	s_mov_b32 s19, -1
                                        ; implicit-def: $vgpr2
.LBB46_411:
	s_delay_alu instid0(SALU_CYCLE_1)
	s_and_not1_b32 vcc_lo, exec_lo, s19
	s_cbranch_vccnz .LBB46_413
; %bb.412:
	s_wait_loadcnt 0x0
	global_load_u16 v2, v[0:1], off
.LBB46_413:
	s_mov_b32 s19, 0
.LBB46_414:
	s_delay_alu instid0(SALU_CYCLE_1)
	s_and_not1_b32 vcc_lo, exec_lo, s19
	s_cbranch_vccnz .LBB46_420
; %bb.415:
	global_load_u8 v3, v[0:1], off
	s_mov_b32 s21, 0
	s_mov_b32 s19, exec_lo
	s_wait_loadcnt 0x0
	v_cmpx_lt_i16_e32 0x7f, v3
	s_xor_b32 s19, exec_lo, s19
	s_cbranch_execz .LBB46_432
; %bb.416:
	v_cmp_ne_u16_e32 vcc_lo, 0x80, v3
	s_and_b32 s21, vcc_lo, exec_lo
	s_and_not1_saveexec_b32 s19, s19
	s_cbranch_execnz .LBB46_433
.LBB46_417:
	s_or_b32 exec_lo, exec_lo, s19
	v_mov_b32_e32 v2, 0
	s_and_saveexec_b32 s19, s21
	s_cbranch_execz .LBB46_419
.LBB46_418:
	v_and_b32_e32 v2, 0xffff, v3
	s_delay_alu instid0(VALU_DEP_1) | instskip(SKIP_1) | instid1(VALU_DEP_2)
	v_dual_lshlrev_b32 v3, 24, v3 :: v_dual_bitop2_b32 v5, 7, v2 bitop3:0x40
	v_bfe_u32 v8, v2, 3, 4
	v_and_b32_e32 v3, 0x80000000, v3
	s_delay_alu instid0(VALU_DEP_3) | instskip(NEXT) | instid1(VALU_DEP_3)
	v_clz_i32_u32_e32 v6, v5
	v_cmp_eq_u32_e32 vcc_lo, 0, v8
	s_delay_alu instid0(VALU_DEP_2) | instskip(NEXT) | instid1(VALU_DEP_1)
	v_min_u32_e32 v6, 32, v6
	v_subrev_nc_u32_e32 v7, 28, v6
	v_sub_nc_u32_e32 v6, 29, v6
	s_delay_alu instid0(VALU_DEP_2) | instskip(NEXT) | instid1(VALU_DEP_2)
	v_lshlrev_b32_e32 v2, v7, v2
	v_cndmask_b32_e32 v6, v8, v6, vcc_lo
	s_delay_alu instid0(VALU_DEP_2) | instskip(NEXT) | instid1(VALU_DEP_1)
	v_and_b32_e32 v2, 7, v2
	v_cndmask_b32_e32 v2, v5, v2, vcc_lo
	s_delay_alu instid0(VALU_DEP_3) | instskip(NEXT) | instid1(VALU_DEP_2)
	v_lshl_add_u32 v5, v6, 23, 0x3b800000
	v_lshlrev_b32_e32 v2, 20, v2
	s_delay_alu instid0(VALU_DEP_1) | instskip(NEXT) | instid1(VALU_DEP_1)
	v_or3_b32 v2, v3, v5, v2
	v_cvt_i32_f32_e32 v2, v2
.LBB46_419:
	s_or_b32 exec_lo, exec_lo, s19
.LBB46_420:
	s_mov_b32 s19, -1
.LBB46_421:
	s_mov_b32 s21, 0
.LBB46_422:
	s_delay_alu instid0(SALU_CYCLE_1)
	s_and_b32 vcc_lo, exec_lo, s21
	s_cbranch_vccz .LBB46_455
; %bb.423:
	s_cmp_gt_i32 s0, 22
	s_cbranch_scc0 .LBB46_431
; %bb.424:
	s_cmp_lt_i32 s0, 24
	s_cbranch_scc1 .LBB46_434
; %bb.425:
	s_cmp_gt_i32 s0, 24
	s_cbranch_scc0 .LBB46_435
; %bb.426:
	global_load_u8 v3, v[0:1], off
	s_mov_b32 s21, 0
	s_mov_b32 s19, exec_lo
	s_wait_loadcnt 0x0
	v_cmpx_lt_i16_e32 0x7f, v3
	s_xor_b32 s19, exec_lo, s19
	s_cbranch_execz .LBB46_447
; %bb.427:
	v_cmp_ne_u16_e32 vcc_lo, 0x80, v3
	s_and_b32 s21, vcc_lo, exec_lo
	s_and_not1_saveexec_b32 s19, s19
	s_cbranch_execnz .LBB46_448
.LBB46_428:
	s_or_b32 exec_lo, exec_lo, s19
	v_mov_b32_e32 v2, 0
	s_and_saveexec_b32 s19, s21
	s_cbranch_execz .LBB46_430
.LBB46_429:
	v_and_b32_e32 v2, 0xffff, v3
	s_delay_alu instid0(VALU_DEP_1) | instskip(SKIP_1) | instid1(VALU_DEP_2)
	v_dual_lshlrev_b32 v3, 24, v3 :: v_dual_bitop2_b32 v5, 3, v2 bitop3:0x40
	v_bfe_u32 v8, v2, 2, 5
	v_and_b32_e32 v3, 0x80000000, v3
	s_delay_alu instid0(VALU_DEP_3) | instskip(NEXT) | instid1(VALU_DEP_3)
	v_clz_i32_u32_e32 v6, v5
	v_cmp_eq_u32_e32 vcc_lo, 0, v8
	s_delay_alu instid0(VALU_DEP_2) | instskip(NEXT) | instid1(VALU_DEP_1)
	v_min_u32_e32 v6, 32, v6
	v_subrev_nc_u32_e32 v7, 29, v6
	v_sub_nc_u32_e32 v6, 30, v6
	s_delay_alu instid0(VALU_DEP_2) | instskip(NEXT) | instid1(VALU_DEP_2)
	v_lshlrev_b32_e32 v2, v7, v2
	v_cndmask_b32_e32 v6, v8, v6, vcc_lo
	s_delay_alu instid0(VALU_DEP_2) | instskip(NEXT) | instid1(VALU_DEP_1)
	v_and_b32_e32 v2, 3, v2
	v_cndmask_b32_e32 v2, v5, v2, vcc_lo
	s_delay_alu instid0(VALU_DEP_3) | instskip(NEXT) | instid1(VALU_DEP_2)
	v_lshl_add_u32 v5, v6, 23, 0x37800000
	v_lshlrev_b32_e32 v2, 21, v2
	s_delay_alu instid0(VALU_DEP_1) | instskip(NEXT) | instid1(VALU_DEP_1)
	v_or3_b32 v2, v3, v5, v2
	v_cvt_i32_f32_e32 v2, v2
.LBB46_430:
	s_or_b32 exec_lo, exec_lo, s19
	s_mov_b32 s19, 0
	s_branch .LBB46_436
.LBB46_431:
	s_mov_b32 s21, -1
                                        ; implicit-def: $vgpr2
	s_branch .LBB46_442
.LBB46_432:
	s_and_not1_saveexec_b32 s19, s19
	s_cbranch_execz .LBB46_417
.LBB46_433:
	v_cmp_ne_u16_e32 vcc_lo, 0, v3
	s_and_not1_b32 s21, s21, exec_lo
	s_and_b32 s22, vcc_lo, exec_lo
	s_delay_alu instid0(SALU_CYCLE_1)
	s_or_b32 s21, s21, s22
	s_or_b32 exec_lo, exec_lo, s19
	v_mov_b32_e32 v2, 0
	s_and_saveexec_b32 s19, s21
	s_cbranch_execnz .LBB46_418
	s_branch .LBB46_419
.LBB46_434:
	s_mov_b32 s19, -1
                                        ; implicit-def: $vgpr2
	s_branch .LBB46_439
.LBB46_435:
	s_mov_b32 s19, -1
                                        ; implicit-def: $vgpr2
.LBB46_436:
	s_delay_alu instid0(SALU_CYCLE_1)
	s_and_b32 vcc_lo, exec_lo, s19
	s_cbranch_vccz .LBB46_438
; %bb.437:
	s_wait_loadcnt 0x0
	global_load_u8 v2, v[0:1], off
	s_wait_loadcnt 0x0
	v_lshlrev_b32_e32 v2, 24, v2
	s_delay_alu instid0(VALU_DEP_1) | instskip(NEXT) | instid1(VALU_DEP_1)
	v_and_b32_e32 v3, 0x7f000000, v2
	v_clz_i32_u32_e32 v5, v3
	v_add_nc_u32_e32 v7, 0x1000000, v3
	v_cmp_ne_u32_e32 vcc_lo, 0, v3
	s_delay_alu instid0(VALU_DEP_3) | instskip(NEXT) | instid1(VALU_DEP_1)
	v_min_u32_e32 v5, 32, v5
	v_sub_nc_u32_e64 v5, v5, 4 clamp
	s_delay_alu instid0(VALU_DEP_1) | instskip(NEXT) | instid1(VALU_DEP_1)
	v_dual_lshlrev_b32 v6, v5, v3 :: v_dual_lshlrev_b32 v5, 23, v5
	v_lshrrev_b32_e32 v6, 4, v6
	s_delay_alu instid0(VALU_DEP_1) | instskip(NEXT) | instid1(VALU_DEP_1)
	v_dual_sub_nc_u32 v5, v6, v5 :: v_dual_ashrrev_i32 v6, 8, v7
	v_add_nc_u32_e32 v5, 0x3c000000, v5
	s_delay_alu instid0(VALU_DEP_1) | instskip(NEXT) | instid1(VALU_DEP_1)
	v_and_or_b32 v5, 0x7f800000, v6, v5
	v_cndmask_b32_e32 v3, 0, v5, vcc_lo
	s_delay_alu instid0(VALU_DEP_1) | instskip(NEXT) | instid1(VALU_DEP_1)
	v_and_or_b32 v2, 0x80000000, v2, v3
	v_cvt_i32_f32_e32 v2, v2
.LBB46_438:
	s_mov_b32 s19, 0
.LBB46_439:
	s_delay_alu instid0(SALU_CYCLE_1)
	s_and_not1_b32 vcc_lo, exec_lo, s19
	s_cbranch_vccnz .LBB46_441
; %bb.440:
	s_wait_loadcnt 0x0
	global_load_u8 v2, v[0:1], off
	s_wait_loadcnt 0x0
	v_lshlrev_b32_e32 v3, 25, v2
	v_lshlrev_b16 v2, 8, v2
	s_delay_alu instid0(VALU_DEP_2) | instskip(NEXT) | instid1(VALU_DEP_2)
	v_cmp_gt_u32_e32 vcc_lo, 0x8000000, v3
	v_and_or_b32 v6, 0x7f00, v2, 0.5
	v_lshrrev_b32_e32 v5, 4, v3
	v_bfe_i32 v2, v2, 0, 16
	s_delay_alu instid0(VALU_DEP_3) | instskip(NEXT) | instid1(VALU_DEP_3)
	v_add_f32_e32 v6, -0.5, v6
	v_or_b32_e32 v5, 0x70000000, v5
	s_delay_alu instid0(VALU_DEP_1) | instskip(NEXT) | instid1(VALU_DEP_1)
	v_mul_f32_e32 v5, 0x7800000, v5
	v_cndmask_b32_e32 v3, v5, v6, vcc_lo
	s_delay_alu instid0(VALU_DEP_1) | instskip(NEXT) | instid1(VALU_DEP_1)
	v_and_or_b32 v2, 0x80000000, v2, v3
	v_cvt_i32_f32_e32 v2, v2
.LBB46_441:
	s_mov_b32 s21, 0
	s_mov_b32 s19, -1
.LBB46_442:
	s_and_not1_b32 vcc_lo, exec_lo, s21
	s_cbranch_vccnz .LBB46_455
; %bb.443:
	s_cmp_gt_i32 s0, 14
	s_cbranch_scc0 .LBB46_446
; %bb.444:
	s_cmp_eq_u32 s0, 15
	s_cbranch_scc0 .LBB46_449
; %bb.445:
	s_wait_loadcnt 0x0
	global_load_u16 v2, v[0:1], off
	s_mov_b32 s19, -1
	s_mov_b32 s18, 0
	s_wait_loadcnt 0x0
	v_lshlrev_b32_e32 v2, 16, v2
	s_delay_alu instid0(VALU_DEP_1)
	v_cvt_i32_f32_e32 v2, v2
	s_branch .LBB46_450
.LBB46_446:
	s_mov_b32 s21, -1
                                        ; implicit-def: $vgpr2
	s_branch .LBB46_451
.LBB46_447:
	s_and_not1_saveexec_b32 s19, s19
	s_cbranch_execz .LBB46_428
.LBB46_448:
	v_cmp_ne_u16_e32 vcc_lo, 0, v3
	s_and_not1_b32 s21, s21, exec_lo
	s_and_b32 s22, vcc_lo, exec_lo
	s_delay_alu instid0(SALU_CYCLE_1)
	s_or_b32 s21, s21, s22
	s_or_b32 exec_lo, exec_lo, s19
	v_mov_b32_e32 v2, 0
	s_and_saveexec_b32 s19, s21
	s_cbranch_execnz .LBB46_429
	s_branch .LBB46_430
.LBB46_449:
	s_mov_b32 s18, -1
                                        ; implicit-def: $vgpr2
.LBB46_450:
	s_mov_b32 s21, 0
.LBB46_451:
	s_delay_alu instid0(SALU_CYCLE_1)
	s_and_b32 vcc_lo, exec_lo, s21
	s_cbranch_vccz .LBB46_455
; %bb.452:
	s_cmp_eq_u32 s0, 11
	s_cbranch_scc0 .LBB46_454
; %bb.453:
	s_wait_loadcnt 0x0
	global_load_u8 v2, v[0:1], off
	s_mov_b32 s18, 0
	s_mov_b32 s19, -1
	s_wait_loadcnt 0x0
	v_cmp_ne_u16_e32 vcc_lo, 0, v2
	v_cndmask_b32_e64 v2, 0, 1, vcc_lo
	s_branch .LBB46_455
.LBB46_454:
	s_mov_b32 s18, -1
                                        ; implicit-def: $vgpr2
.LBB46_455:
	s_branch .LBB46_261
.LBB46_456:
	s_cmp_lt_i32 s0, 5
	s_cbranch_scc1 .LBB46_461
; %bb.457:
	s_cmp_lt_i32 s0, 8
	s_cbranch_scc1 .LBB46_462
; %bb.458:
	s_cmp_lt_i32 s0, 9
	s_cbranch_scc1 .LBB46_463
; %bb.459:
	s_cmp_gt_i32 s0, 9
	s_cbranch_scc0 .LBB46_464
; %bb.460:
	s_wait_loadcnt 0x0
	global_load_b64 v[2:3], v[0:1], off
	s_mov_b32 s19, 0
	s_wait_loadcnt 0x0
	v_cvt_i32_f64_e32 v2, v[2:3]
	s_branch .LBB46_465
.LBB46_461:
	s_mov_b32 s19, -1
                                        ; implicit-def: $vgpr2
	s_branch .LBB46_483
.LBB46_462:
	s_mov_b32 s19, -1
                                        ; implicit-def: $vgpr2
	s_branch .LBB46_471
.LBB46_463:
	s_mov_b32 s19, -1
                                        ; implicit-def: $vgpr2
	s_branch .LBB46_468
.LBB46_464:
	s_mov_b32 s19, -1
                                        ; implicit-def: $vgpr2
.LBB46_465:
	s_delay_alu instid0(SALU_CYCLE_1)
	s_and_not1_b32 vcc_lo, exec_lo, s19
	s_cbranch_vccnz .LBB46_467
; %bb.466:
	s_wait_loadcnt 0x0
	global_load_b32 v2, v[0:1], off
	s_wait_loadcnt 0x0
	v_cvt_i32_f32_e32 v2, v2
.LBB46_467:
	s_mov_b32 s19, 0
.LBB46_468:
	s_delay_alu instid0(SALU_CYCLE_1)
	s_and_not1_b32 vcc_lo, exec_lo, s19
	s_cbranch_vccnz .LBB46_470
; %bb.469:
	s_wait_loadcnt 0x0
	global_load_b32 v2, v[0:1], off
	s_wait_loadcnt 0x0
	v_cvt_f32_f16_e32 v2, v2
	s_delay_alu instid0(VALU_DEP_1)
	v_cvt_i32_f32_e32 v2, v2
.LBB46_470:
	s_mov_b32 s19, 0
.LBB46_471:
	s_delay_alu instid0(SALU_CYCLE_1)
	s_and_not1_b32 vcc_lo, exec_lo, s19
	s_cbranch_vccnz .LBB46_482
; %bb.472:
	s_cmp_lt_i32 s0, 6
	s_cbranch_scc1 .LBB46_475
; %bb.473:
	s_cmp_gt_i32 s0, 6
	s_cbranch_scc0 .LBB46_476
; %bb.474:
	s_wait_loadcnt 0x0
	global_load_b64 v[2:3], v[0:1], off
	s_mov_b32 s19, 0
	s_wait_loadcnt 0x0
	v_cvt_i32_f64_e32 v2, v[2:3]
	s_branch .LBB46_477
.LBB46_475:
	s_mov_b32 s19, -1
                                        ; implicit-def: $vgpr2
	s_branch .LBB46_480
.LBB46_476:
	s_mov_b32 s19, -1
                                        ; implicit-def: $vgpr2
.LBB46_477:
	s_delay_alu instid0(SALU_CYCLE_1)
	s_and_not1_b32 vcc_lo, exec_lo, s19
	s_cbranch_vccnz .LBB46_479
; %bb.478:
	s_wait_loadcnt 0x0
	global_load_b32 v2, v[0:1], off
	s_wait_loadcnt 0x0
	v_cvt_i32_f32_e32 v2, v2
.LBB46_479:
	s_mov_b32 s19, 0
.LBB46_480:
	s_delay_alu instid0(SALU_CYCLE_1)
	s_and_not1_b32 vcc_lo, exec_lo, s19
	s_cbranch_vccnz .LBB46_482
; %bb.481:
	s_wait_loadcnt 0x0
	global_load_u16 v2, v[0:1], off
	s_wait_loadcnt 0x0
	v_cvt_f32_f16_e32 v2, v2
	s_delay_alu instid0(VALU_DEP_1)
	v_cvt_i32_f32_e32 v2, v2
.LBB46_482:
	s_mov_b32 s19, 0
.LBB46_483:
	s_delay_alu instid0(SALU_CYCLE_1)
	s_and_not1_b32 vcc_lo, exec_lo, s19
	s_cbranch_vccnz .LBB46_503
; %bb.484:
	s_cmp_lt_i32 s0, 2
	s_cbranch_scc1 .LBB46_488
; %bb.485:
	s_cmp_lt_i32 s0, 3
	s_cbranch_scc1 .LBB46_489
; %bb.486:
	s_cmp_gt_i32 s0, 3
	s_cbranch_scc0 .LBB46_490
; %bb.487:
	s_wait_loadcnt 0x0
	global_load_b32 v2, v[0:1], off
	s_mov_b32 s19, 0
	s_branch .LBB46_491
.LBB46_488:
	s_mov_b32 s19, -1
                                        ; implicit-def: $vgpr2
	s_branch .LBB46_497
.LBB46_489:
	s_mov_b32 s19, -1
                                        ; implicit-def: $vgpr2
	s_branch .LBB46_494
.LBB46_490:
	s_mov_b32 s19, -1
                                        ; implicit-def: $vgpr2
.LBB46_491:
	s_delay_alu instid0(SALU_CYCLE_1)
	s_and_not1_b32 vcc_lo, exec_lo, s19
	s_cbranch_vccnz .LBB46_493
; %bb.492:
	s_wait_loadcnt 0x0
	global_load_b32 v2, v[0:1], off
.LBB46_493:
	s_mov_b32 s19, 0
.LBB46_494:
	s_delay_alu instid0(SALU_CYCLE_1)
	s_and_not1_b32 vcc_lo, exec_lo, s19
	s_cbranch_vccnz .LBB46_496
; %bb.495:
	s_wait_loadcnt 0x0
	global_load_i16 v2, v[0:1], off
.LBB46_496:
	s_mov_b32 s19, 0
.LBB46_497:
	s_delay_alu instid0(SALU_CYCLE_1)
	s_and_not1_b32 vcc_lo, exec_lo, s19
	s_cbranch_vccnz .LBB46_503
; %bb.498:
	s_cmp_gt_i32 s0, 0
	s_mov_b32 s0, 0
	s_cbranch_scc0 .LBB46_500
; %bb.499:
	s_wait_loadcnt 0x0
	global_load_i8 v2, v[0:1], off
	s_branch .LBB46_501
.LBB46_500:
	s_mov_b32 s0, -1
                                        ; implicit-def: $vgpr2
.LBB46_501:
	s_delay_alu instid0(SALU_CYCLE_1)
	s_and_not1_b32 vcc_lo, exec_lo, s0
	s_cbranch_vccnz .LBB46_503
; %bb.502:
	s_wait_loadcnt 0x0
	global_load_u8 v2, v[0:1], off
.LBB46_503:
	s_branch .LBB46_262
.LBB46_504:
	s_mov_b32 s21, 0
	s_mov_b32 s0, s15
.LBB46_505:
                                        ; implicit-def: $vgpr4
.LBB46_506:
	s_and_not1_b32 s19, s15, exec_lo
	s_and_b32 s0, s0, exec_lo
	s_and_not1_b32 s22, s16, exec_lo
	s_and_b32 s18, s18, exec_lo
	s_or_b32 s19, s19, s0
	s_or_b32 s18, s22, s18
	s_or_not1_b32 s0, s21, exec_lo
.LBB46_507:
	s_wait_xcnt 0x0
	s_or_b32 exec_lo, exec_lo, s20
	s_mov_b32 s21, 0
	s_mov_b32 s22, 0
	;; [unrolled: 1-line block ×3, first 2 shown]
                                        ; implicit-def: $vgpr0_vgpr1
                                        ; implicit-def: $vgpr2
	s_and_saveexec_b32 s20, s0
	s_cbranch_execz .LBB46_846
; %bb.508:
	s_mov_b32 s23, -1
	s_mov_b32 s0, s18
	s_mov_b32 s22, s19
	s_mov_b32 s21, exec_lo
	v_cmpx_gt_i32_e64 s14, v4
	s_cbranch_execz .LBB46_764
; %bb.509:
	v_mul_lo_u32 v0, v4, s9
	s_and_b32 s0, 0xffff, s3
	s_delay_alu instid0(SALU_CYCLE_1) | instskip(NEXT) | instid1(VALU_DEP_1)
	s_cmp_lt_i32 s0, 11
	v_ashrrev_i32_e32 v1, 31, v0
	s_delay_alu instid0(VALU_DEP_1)
	v_add_nc_u64_e32 v[0:1], s[6:7], v[0:1]
	s_cbranch_scc1 .LBB46_516
; %bb.510:
	s_cmp_gt_i32 s0, 25
	s_cbranch_scc0 .LBB46_517
; %bb.511:
	s_cmp_gt_i32 s0, 28
	s_cbranch_scc0 .LBB46_518
	;; [unrolled: 3-line block ×4, first 2 shown]
; %bb.514:
	s_cmp_eq_u32 s0, 46
	s_mov_b32 s24, 0
	s_cbranch_scc0 .LBB46_525
; %bb.515:
	s_wait_loadcnt 0x0
	global_load_b32 v2, v[0:1], off
	s_mov_b32 s22, 0
	s_wait_loadcnt 0x0
	v_lshlrev_b32_e32 v2, 16, v2
	s_delay_alu instid0(VALU_DEP_1)
	v_cvt_i32_f32_e32 v2, v2
	s_branch .LBB46_527
.LBB46_516:
	s_mov_b32 s24, -1
	s_mov_b32 s23, 0
	s_mov_b32 s22, s18
                                        ; implicit-def: $vgpr2
	s_branch .LBB46_588
.LBB46_517:
	s_mov_b32 s24, -1
	s_mov_b32 s23, 0
	s_mov_b32 s22, s18
                                        ; implicit-def: $vgpr2
	s_branch .LBB46_554
.LBB46_518:
	s_mov_b32 s24, -1
	s_mov_b32 s23, 0
	s_mov_b32 s22, s18
                                        ; implicit-def: $vgpr2
	s_branch .LBB46_537
.LBB46_519:
	s_mov_b32 s24, -1
	s_mov_b32 s23, 0
	s_mov_b32 s22, s18
                                        ; implicit-def: $vgpr2
	s_branch .LBB46_532
.LBB46_520:
	s_and_not1_saveexec_b32 s25, s25
	s_cbranch_execz .LBB46_308
.LBB46_521:
	v_add_f32_e32 v2, 0x46000000, v3
	s_and_not1_b32 s24, s24, exec_lo
	s_delay_alu instid0(VALU_DEP_1) | instskip(NEXT) | instid1(VALU_DEP_1)
	v_and_b32_e32 v2, 0xff, v2
	v_cmp_ne_u32_e32 vcc_lo, 0, v2
	s_and_b32 s26, vcc_lo, exec_lo
	s_delay_alu instid0(SALU_CYCLE_1)
	s_or_b32 s24, s24, s26
	s_or_b32 exec_lo, exec_lo, s25
	v_mov_b32_e32 v5, 0
	s_and_saveexec_b32 s25, s24
	s_cbranch_execnz .LBB46_309
	s_branch .LBB46_310
.LBB46_522:
	s_mov_b32 s24, -1
	s_mov_b32 s23, 0
	s_mov_b32 s22, s18
	s_branch .LBB46_526
.LBB46_523:
	s_and_not1_saveexec_b32 s25, s25
	s_cbranch_execz .LBB46_321
.LBB46_524:
	v_add_f32_e32 v2, 0x42800000, v3
	s_and_not1_b32 s24, s24, exec_lo
	s_delay_alu instid0(VALU_DEP_1) | instskip(NEXT) | instid1(VALU_DEP_1)
	v_and_b32_e32 v2, 0xff, v2
	v_cmp_ne_u32_e32 vcc_lo, 0, v2
	s_and_b32 s26, vcc_lo, exec_lo
	s_delay_alu instid0(SALU_CYCLE_1)
	s_or_b32 s24, s24, s26
	s_or_b32 exec_lo, exec_lo, s25
	v_mov_b32_e32 v5, 0
	s_and_saveexec_b32 s25, s24
	s_cbranch_execnz .LBB46_322
	s_branch .LBB46_323
.LBB46_525:
	s_mov_b32 s22, -1
	s_mov_b32 s23, 0
.LBB46_526:
                                        ; implicit-def: $vgpr2
.LBB46_527:
	s_and_b32 vcc_lo, exec_lo, s24
	s_cbranch_vccz .LBB46_531
; %bb.528:
	s_cmp_eq_u32 s0, 44
	s_cbranch_scc0 .LBB46_530
; %bb.529:
	s_wait_loadcnt 0x0
	global_load_u8 v2, v[0:1], off
	s_mov_b32 s22, 0
	s_mov_b32 s23, -1
	s_wait_loadcnt 0x0
	v_lshlrev_b32_e32 v3, 23, v2
	v_cmp_ne_u32_e32 vcc_lo, 0, v2
	s_delay_alu instid0(VALU_DEP_2) | instskip(NEXT) | instid1(VALU_DEP_1)
	v_cvt_i32_f32_e32 v3, v3
	v_cndmask_b32_e32 v2, 0, v3, vcc_lo
	s_branch .LBB46_531
.LBB46_530:
	s_mov_b32 s22, -1
                                        ; implicit-def: $vgpr2
.LBB46_531:
	s_mov_b32 s24, 0
.LBB46_532:
	s_delay_alu instid0(SALU_CYCLE_1)
	s_and_b32 vcc_lo, exec_lo, s24
	s_cbranch_vccz .LBB46_536
; %bb.533:
	s_cmp_eq_u32 s0, 29
	s_cbranch_scc0 .LBB46_535
; %bb.534:
	s_wait_loadcnt 0x0
	global_load_b32 v2, v[0:1], off
	s_mov_b32 s23, -1
	s_mov_b32 s22, 0
	s_branch .LBB46_536
.LBB46_535:
	s_mov_b32 s22, -1
                                        ; implicit-def: $vgpr2
.LBB46_536:
	s_mov_b32 s24, 0
.LBB46_537:
	s_delay_alu instid0(SALU_CYCLE_1)
	s_and_b32 vcc_lo, exec_lo, s24
	s_cbranch_vccz .LBB46_553
; %bb.538:
	s_cmp_lt_i32 s0, 27
	s_cbranch_scc1 .LBB46_541
; %bb.539:
	s_cmp_gt_i32 s0, 27
	s_cbranch_scc0 .LBB46_542
; %bb.540:
	s_wait_loadcnt 0x0
	global_load_b32 v2, v[0:1], off
	s_mov_b32 s23, 0
	s_branch .LBB46_543
.LBB46_541:
	s_mov_b32 s23, -1
                                        ; implicit-def: $vgpr2
	s_branch .LBB46_546
.LBB46_542:
	s_mov_b32 s23, -1
                                        ; implicit-def: $vgpr2
.LBB46_543:
	s_delay_alu instid0(SALU_CYCLE_1)
	s_and_not1_b32 vcc_lo, exec_lo, s23
	s_cbranch_vccnz .LBB46_545
; %bb.544:
	s_wait_loadcnt 0x0
	global_load_u16 v2, v[0:1], off
.LBB46_545:
	s_mov_b32 s23, 0
.LBB46_546:
	s_delay_alu instid0(SALU_CYCLE_1)
	s_and_not1_b32 vcc_lo, exec_lo, s23
	s_cbranch_vccnz .LBB46_552
; %bb.547:
	global_load_u8 v3, v[0:1], off
	s_mov_b32 s24, 0
	s_mov_b32 s23, exec_lo
	s_wait_loadcnt 0x0
	v_cmpx_lt_i16_e32 0x7f, v3
	s_xor_b32 s23, exec_lo, s23
	s_cbranch_execz .LBB46_564
; %bb.548:
	v_cmp_ne_u16_e32 vcc_lo, 0x80, v3
	s_and_b32 s24, vcc_lo, exec_lo
	s_and_not1_saveexec_b32 s23, s23
	s_cbranch_execnz .LBB46_565
.LBB46_549:
	s_or_b32 exec_lo, exec_lo, s23
	v_mov_b32_e32 v2, 0
	s_and_saveexec_b32 s23, s24
	s_cbranch_execz .LBB46_551
.LBB46_550:
	v_and_b32_e32 v2, 0xffff, v3
	s_delay_alu instid0(VALU_DEP_1) | instskip(SKIP_1) | instid1(VALU_DEP_2)
	v_dual_lshlrev_b32 v3, 24, v3 :: v_dual_bitop2_b32 v5, 7, v2 bitop3:0x40
	v_bfe_u32 v8, v2, 3, 4
	v_and_b32_e32 v3, 0x80000000, v3
	s_delay_alu instid0(VALU_DEP_3) | instskip(NEXT) | instid1(VALU_DEP_3)
	v_clz_i32_u32_e32 v6, v5
	v_cmp_eq_u32_e32 vcc_lo, 0, v8
	s_delay_alu instid0(VALU_DEP_2) | instskip(NEXT) | instid1(VALU_DEP_1)
	v_min_u32_e32 v6, 32, v6
	v_subrev_nc_u32_e32 v7, 28, v6
	v_sub_nc_u32_e32 v6, 29, v6
	s_delay_alu instid0(VALU_DEP_2) | instskip(NEXT) | instid1(VALU_DEP_2)
	v_lshlrev_b32_e32 v2, v7, v2
	v_cndmask_b32_e32 v6, v8, v6, vcc_lo
	s_delay_alu instid0(VALU_DEP_2) | instskip(NEXT) | instid1(VALU_DEP_1)
	v_and_b32_e32 v2, 7, v2
	v_cndmask_b32_e32 v2, v5, v2, vcc_lo
	s_delay_alu instid0(VALU_DEP_3) | instskip(NEXT) | instid1(VALU_DEP_2)
	v_lshl_add_u32 v5, v6, 23, 0x3b800000
	v_lshlrev_b32_e32 v2, 20, v2
	s_delay_alu instid0(VALU_DEP_1) | instskip(NEXT) | instid1(VALU_DEP_1)
	v_or3_b32 v2, v3, v5, v2
	v_cvt_i32_f32_e32 v2, v2
.LBB46_551:
	s_or_b32 exec_lo, exec_lo, s23
.LBB46_552:
	s_mov_b32 s23, -1
.LBB46_553:
	s_mov_b32 s24, 0
.LBB46_554:
	s_delay_alu instid0(SALU_CYCLE_1)
	s_and_b32 vcc_lo, exec_lo, s24
	s_cbranch_vccz .LBB46_587
; %bb.555:
	s_cmp_gt_i32 s0, 22
	s_cbranch_scc0 .LBB46_563
; %bb.556:
	s_cmp_lt_i32 s0, 24
	s_cbranch_scc1 .LBB46_566
; %bb.557:
	s_cmp_gt_i32 s0, 24
	s_cbranch_scc0 .LBB46_567
; %bb.558:
	global_load_u8 v3, v[0:1], off
	s_mov_b32 s24, 0
	s_mov_b32 s23, exec_lo
	s_wait_loadcnt 0x0
	v_cmpx_lt_i16_e32 0x7f, v3
	s_xor_b32 s23, exec_lo, s23
	s_cbranch_execz .LBB46_579
; %bb.559:
	v_cmp_ne_u16_e32 vcc_lo, 0x80, v3
	s_and_b32 s24, vcc_lo, exec_lo
	s_and_not1_saveexec_b32 s23, s23
	s_cbranch_execnz .LBB46_580
.LBB46_560:
	s_or_b32 exec_lo, exec_lo, s23
	v_mov_b32_e32 v2, 0
	s_and_saveexec_b32 s23, s24
	s_cbranch_execz .LBB46_562
.LBB46_561:
	v_and_b32_e32 v2, 0xffff, v3
	s_delay_alu instid0(VALU_DEP_1) | instskip(SKIP_1) | instid1(VALU_DEP_2)
	v_dual_lshlrev_b32 v3, 24, v3 :: v_dual_bitop2_b32 v5, 3, v2 bitop3:0x40
	v_bfe_u32 v8, v2, 2, 5
	v_and_b32_e32 v3, 0x80000000, v3
	s_delay_alu instid0(VALU_DEP_3) | instskip(NEXT) | instid1(VALU_DEP_3)
	v_clz_i32_u32_e32 v6, v5
	v_cmp_eq_u32_e32 vcc_lo, 0, v8
	s_delay_alu instid0(VALU_DEP_2) | instskip(NEXT) | instid1(VALU_DEP_1)
	v_min_u32_e32 v6, 32, v6
	v_subrev_nc_u32_e32 v7, 29, v6
	v_sub_nc_u32_e32 v6, 30, v6
	s_delay_alu instid0(VALU_DEP_2) | instskip(NEXT) | instid1(VALU_DEP_2)
	v_lshlrev_b32_e32 v2, v7, v2
	v_cndmask_b32_e32 v6, v8, v6, vcc_lo
	s_delay_alu instid0(VALU_DEP_2) | instskip(NEXT) | instid1(VALU_DEP_1)
	v_and_b32_e32 v2, 3, v2
	v_cndmask_b32_e32 v2, v5, v2, vcc_lo
	s_delay_alu instid0(VALU_DEP_3) | instskip(NEXT) | instid1(VALU_DEP_2)
	v_lshl_add_u32 v5, v6, 23, 0x37800000
	v_lshlrev_b32_e32 v2, 21, v2
	s_delay_alu instid0(VALU_DEP_1) | instskip(NEXT) | instid1(VALU_DEP_1)
	v_or3_b32 v2, v3, v5, v2
	v_cvt_i32_f32_e32 v2, v2
.LBB46_562:
	s_or_b32 exec_lo, exec_lo, s23
	s_mov_b32 s23, 0
	s_branch .LBB46_568
.LBB46_563:
	s_mov_b32 s24, -1
                                        ; implicit-def: $vgpr2
	s_branch .LBB46_574
.LBB46_564:
	s_and_not1_saveexec_b32 s23, s23
	s_cbranch_execz .LBB46_549
.LBB46_565:
	v_cmp_ne_u16_e32 vcc_lo, 0, v3
	s_and_not1_b32 s24, s24, exec_lo
	s_and_b32 s25, vcc_lo, exec_lo
	s_delay_alu instid0(SALU_CYCLE_1)
	s_or_b32 s24, s24, s25
	s_or_b32 exec_lo, exec_lo, s23
	v_mov_b32_e32 v2, 0
	s_and_saveexec_b32 s23, s24
	s_cbranch_execnz .LBB46_550
	s_branch .LBB46_551
.LBB46_566:
	s_mov_b32 s23, -1
                                        ; implicit-def: $vgpr2
	s_branch .LBB46_571
.LBB46_567:
	s_mov_b32 s23, -1
                                        ; implicit-def: $vgpr2
.LBB46_568:
	s_delay_alu instid0(SALU_CYCLE_1)
	s_and_b32 vcc_lo, exec_lo, s23
	s_cbranch_vccz .LBB46_570
; %bb.569:
	s_wait_loadcnt 0x0
	global_load_u8 v2, v[0:1], off
	s_wait_loadcnt 0x0
	v_lshlrev_b32_e32 v2, 24, v2
	s_delay_alu instid0(VALU_DEP_1) | instskip(NEXT) | instid1(VALU_DEP_1)
	v_and_b32_e32 v3, 0x7f000000, v2
	v_clz_i32_u32_e32 v5, v3
	v_add_nc_u32_e32 v7, 0x1000000, v3
	v_cmp_ne_u32_e32 vcc_lo, 0, v3
	s_delay_alu instid0(VALU_DEP_3) | instskip(NEXT) | instid1(VALU_DEP_1)
	v_min_u32_e32 v5, 32, v5
	v_sub_nc_u32_e64 v5, v5, 4 clamp
	s_delay_alu instid0(VALU_DEP_1) | instskip(NEXT) | instid1(VALU_DEP_1)
	v_dual_lshlrev_b32 v6, v5, v3 :: v_dual_lshlrev_b32 v5, 23, v5
	v_lshrrev_b32_e32 v6, 4, v6
	s_delay_alu instid0(VALU_DEP_1) | instskip(NEXT) | instid1(VALU_DEP_1)
	v_dual_sub_nc_u32 v5, v6, v5 :: v_dual_ashrrev_i32 v6, 8, v7
	v_add_nc_u32_e32 v5, 0x3c000000, v5
	s_delay_alu instid0(VALU_DEP_1) | instskip(NEXT) | instid1(VALU_DEP_1)
	v_and_or_b32 v5, 0x7f800000, v6, v5
	v_cndmask_b32_e32 v3, 0, v5, vcc_lo
	s_delay_alu instid0(VALU_DEP_1) | instskip(NEXT) | instid1(VALU_DEP_1)
	v_and_or_b32 v2, 0x80000000, v2, v3
	v_cvt_i32_f32_e32 v2, v2
.LBB46_570:
	s_mov_b32 s23, 0
.LBB46_571:
	s_delay_alu instid0(SALU_CYCLE_1)
	s_and_not1_b32 vcc_lo, exec_lo, s23
	s_cbranch_vccnz .LBB46_573
; %bb.572:
	s_wait_loadcnt 0x0
	global_load_u8 v2, v[0:1], off
	s_wait_loadcnt 0x0
	v_lshlrev_b32_e32 v3, 25, v2
	v_lshlrev_b16 v2, 8, v2
	s_delay_alu instid0(VALU_DEP_2) | instskip(NEXT) | instid1(VALU_DEP_2)
	v_cmp_gt_u32_e32 vcc_lo, 0x8000000, v3
	v_and_or_b32 v6, 0x7f00, v2, 0.5
	v_lshrrev_b32_e32 v5, 4, v3
	v_bfe_i32 v2, v2, 0, 16
	s_delay_alu instid0(VALU_DEP_3) | instskip(NEXT) | instid1(VALU_DEP_3)
	v_add_f32_e32 v6, -0.5, v6
	v_or_b32_e32 v5, 0x70000000, v5
	s_delay_alu instid0(VALU_DEP_1) | instskip(NEXT) | instid1(VALU_DEP_1)
	v_mul_f32_e32 v5, 0x7800000, v5
	v_cndmask_b32_e32 v3, v5, v6, vcc_lo
	s_delay_alu instid0(VALU_DEP_1) | instskip(NEXT) | instid1(VALU_DEP_1)
	v_and_or_b32 v2, 0x80000000, v2, v3
	v_cvt_i32_f32_e32 v2, v2
.LBB46_573:
	s_mov_b32 s24, 0
	s_mov_b32 s23, -1
.LBB46_574:
	s_and_not1_b32 vcc_lo, exec_lo, s24
	s_cbranch_vccnz .LBB46_587
; %bb.575:
	s_cmp_gt_i32 s0, 14
	s_cbranch_scc0 .LBB46_578
; %bb.576:
	s_cmp_eq_u32 s0, 15
	s_cbranch_scc0 .LBB46_581
; %bb.577:
	s_wait_loadcnt 0x0
	global_load_u16 v2, v[0:1], off
	s_mov_b32 s23, -1
	s_mov_b32 s22, 0
	s_wait_loadcnt 0x0
	v_lshlrev_b32_e32 v2, 16, v2
	s_delay_alu instid0(VALU_DEP_1)
	v_cvt_i32_f32_e32 v2, v2
	s_branch .LBB46_582
.LBB46_578:
	s_mov_b32 s24, -1
                                        ; implicit-def: $vgpr2
	s_branch .LBB46_583
.LBB46_579:
	s_and_not1_saveexec_b32 s23, s23
	s_cbranch_execz .LBB46_560
.LBB46_580:
	v_cmp_ne_u16_e32 vcc_lo, 0, v3
	s_and_not1_b32 s24, s24, exec_lo
	s_and_b32 s25, vcc_lo, exec_lo
	s_delay_alu instid0(SALU_CYCLE_1)
	s_or_b32 s24, s24, s25
	s_or_b32 exec_lo, exec_lo, s23
	v_mov_b32_e32 v2, 0
	s_and_saveexec_b32 s23, s24
	s_cbranch_execnz .LBB46_561
	s_branch .LBB46_562
.LBB46_581:
	s_mov_b32 s22, -1
                                        ; implicit-def: $vgpr2
.LBB46_582:
	s_mov_b32 s24, 0
.LBB46_583:
	s_delay_alu instid0(SALU_CYCLE_1)
	s_and_b32 vcc_lo, exec_lo, s24
	s_cbranch_vccz .LBB46_587
; %bb.584:
	s_cmp_eq_u32 s0, 11
	s_cbranch_scc0 .LBB46_586
; %bb.585:
	s_wait_loadcnt 0x0
	global_load_u8 v2, v[0:1], off
	s_mov_b32 s22, 0
	s_mov_b32 s23, -1
	s_wait_loadcnt 0x0
	v_cmp_ne_u16_e32 vcc_lo, 0, v2
	v_cndmask_b32_e64 v2, 0, 1, vcc_lo
	s_branch .LBB46_587
.LBB46_586:
	s_mov_b32 s22, -1
                                        ; implicit-def: $vgpr2
.LBB46_587:
	s_mov_b32 s24, 0
.LBB46_588:
	s_delay_alu instid0(SALU_CYCLE_1)
	s_and_b32 vcc_lo, exec_lo, s24
	s_cbranch_vccz .LBB46_637
; %bb.589:
	s_cmp_lt_i32 s0, 5
	s_cbranch_scc1 .LBB46_594
; %bb.590:
	s_cmp_lt_i32 s0, 8
	s_cbranch_scc1 .LBB46_595
	;; [unrolled: 3-line block ×3, first 2 shown]
; %bb.592:
	s_cmp_gt_i32 s0, 9
	s_cbranch_scc0 .LBB46_597
; %bb.593:
	s_wait_loadcnt 0x0
	global_load_b64 v[2:3], v[0:1], off
	s_mov_b32 s23, 0
	s_wait_loadcnt 0x0
	v_cvt_i32_f64_e32 v2, v[2:3]
	s_branch .LBB46_598
.LBB46_594:
	s_mov_b32 s23, -1
                                        ; implicit-def: $vgpr2
	s_branch .LBB46_616
.LBB46_595:
	s_mov_b32 s23, -1
                                        ; implicit-def: $vgpr2
	s_branch .LBB46_604
.LBB46_596:
	s_mov_b32 s23, -1
                                        ; implicit-def: $vgpr2
	s_branch .LBB46_601
.LBB46_597:
	s_mov_b32 s23, -1
                                        ; implicit-def: $vgpr2
.LBB46_598:
	s_delay_alu instid0(SALU_CYCLE_1)
	s_and_not1_b32 vcc_lo, exec_lo, s23
	s_cbranch_vccnz .LBB46_600
; %bb.599:
	s_wait_loadcnt 0x0
	global_load_b32 v2, v[0:1], off
	s_wait_loadcnt 0x0
	v_cvt_i32_f32_e32 v2, v2
.LBB46_600:
	s_mov_b32 s23, 0
.LBB46_601:
	s_delay_alu instid0(SALU_CYCLE_1)
	s_and_not1_b32 vcc_lo, exec_lo, s23
	s_cbranch_vccnz .LBB46_603
; %bb.602:
	s_wait_loadcnt 0x0
	global_load_b32 v2, v[0:1], off
	s_wait_loadcnt 0x0
	v_cvt_f32_f16_e32 v2, v2
	s_delay_alu instid0(VALU_DEP_1)
	v_cvt_i32_f32_e32 v2, v2
.LBB46_603:
	s_mov_b32 s23, 0
.LBB46_604:
	s_delay_alu instid0(SALU_CYCLE_1)
	s_and_not1_b32 vcc_lo, exec_lo, s23
	s_cbranch_vccnz .LBB46_615
; %bb.605:
	s_cmp_lt_i32 s0, 6
	s_cbranch_scc1 .LBB46_608
; %bb.606:
	s_cmp_gt_i32 s0, 6
	s_cbranch_scc0 .LBB46_609
; %bb.607:
	s_wait_loadcnt 0x0
	global_load_b64 v[2:3], v[0:1], off
	s_mov_b32 s23, 0
	s_wait_loadcnt 0x0
	v_cvt_i32_f64_e32 v2, v[2:3]
	s_branch .LBB46_610
.LBB46_608:
	s_mov_b32 s23, -1
                                        ; implicit-def: $vgpr2
	s_branch .LBB46_613
.LBB46_609:
	s_mov_b32 s23, -1
                                        ; implicit-def: $vgpr2
.LBB46_610:
	s_delay_alu instid0(SALU_CYCLE_1)
	s_and_not1_b32 vcc_lo, exec_lo, s23
	s_cbranch_vccnz .LBB46_612
; %bb.611:
	s_wait_loadcnt 0x0
	global_load_b32 v2, v[0:1], off
	s_wait_loadcnt 0x0
	v_cvt_i32_f32_e32 v2, v2
.LBB46_612:
	s_mov_b32 s23, 0
.LBB46_613:
	s_delay_alu instid0(SALU_CYCLE_1)
	s_and_not1_b32 vcc_lo, exec_lo, s23
	s_cbranch_vccnz .LBB46_615
; %bb.614:
	s_wait_loadcnt 0x0
	global_load_u16 v2, v[0:1], off
	s_wait_loadcnt 0x0
	v_cvt_f32_f16_e32 v2, v2
	s_delay_alu instid0(VALU_DEP_1)
	v_cvt_i32_f32_e32 v2, v2
.LBB46_615:
	s_mov_b32 s23, 0
.LBB46_616:
	s_delay_alu instid0(SALU_CYCLE_1)
	s_and_not1_b32 vcc_lo, exec_lo, s23
	s_cbranch_vccnz .LBB46_636
; %bb.617:
	s_cmp_lt_i32 s0, 2
	s_cbranch_scc1 .LBB46_621
; %bb.618:
	s_cmp_lt_i32 s0, 3
	s_cbranch_scc1 .LBB46_622
; %bb.619:
	s_cmp_gt_i32 s0, 3
	s_cbranch_scc0 .LBB46_623
; %bb.620:
	s_wait_loadcnt 0x0
	global_load_b32 v2, v[0:1], off
	s_mov_b32 s23, 0
	s_branch .LBB46_624
.LBB46_621:
	s_mov_b32 s23, -1
                                        ; implicit-def: $vgpr2
	s_branch .LBB46_630
.LBB46_622:
	s_mov_b32 s23, -1
                                        ; implicit-def: $vgpr2
	s_branch .LBB46_627
.LBB46_623:
	s_mov_b32 s23, -1
                                        ; implicit-def: $vgpr2
.LBB46_624:
	s_delay_alu instid0(SALU_CYCLE_1)
	s_and_not1_b32 vcc_lo, exec_lo, s23
	s_cbranch_vccnz .LBB46_626
; %bb.625:
	s_wait_loadcnt 0x0
	global_load_b32 v2, v[0:1], off
.LBB46_626:
	s_mov_b32 s23, 0
.LBB46_627:
	s_delay_alu instid0(SALU_CYCLE_1)
	s_and_not1_b32 vcc_lo, exec_lo, s23
	s_cbranch_vccnz .LBB46_629
; %bb.628:
	s_wait_loadcnt 0x0
	global_load_i16 v2, v[0:1], off
.LBB46_629:
	s_mov_b32 s23, 0
.LBB46_630:
	s_delay_alu instid0(SALU_CYCLE_1)
	s_and_not1_b32 vcc_lo, exec_lo, s23
	s_cbranch_vccnz .LBB46_636
; %bb.631:
	s_cmp_gt_i32 s0, 0
	s_mov_b32 s0, 0
	s_cbranch_scc0 .LBB46_633
; %bb.632:
	s_wait_loadcnt 0x0
	global_load_i8 v2, v[0:1], off
	s_branch .LBB46_634
.LBB46_633:
	s_mov_b32 s0, -1
                                        ; implicit-def: $vgpr2
.LBB46_634:
	s_delay_alu instid0(SALU_CYCLE_1)
	s_and_not1_b32 vcc_lo, exec_lo, s0
	s_cbranch_vccnz .LBB46_636
; %bb.635:
	s_wait_loadcnt 0x0
	global_load_u8 v2, v[0:1], off
.LBB46_636:
	s_mov_b32 s23, -1
.LBB46_637:
	s_delay_alu instid0(SALU_CYCLE_1)
	s_and_not1_b32 vcc_lo, exec_lo, s23
	s_cbranch_vccnz .LBB46_645
; %bb.638:
	s_wait_xcnt 0x0
	v_mul_lo_u32 v0, v4, s8
	s_wait_loadcnt 0x0
	s_delay_alu instid0(VALU_DEP_2) | instskip(SKIP_3) | instid1(VALU_DEP_2)
	v_cmp_ne_u32_e32 vcc_lo, s11, v2
	s_and_b32 s24, s2, 0xff
	s_xor_b32 s23, s13, vcc_lo
	s_cmp_lt_i32 s24, 11
	v_ashrrev_i32_e32 v1, 31, v0
	s_delay_alu instid0(VALU_DEP_1)
	v_add_nc_u64_e32 v[0:1], s[4:5], v[0:1]
	s_cbranch_scc1 .LBB46_646
; %bb.639:
	s_and_b32 s25, 0xffff, s24
	s_delay_alu instid0(SALU_CYCLE_1)
	s_cmp_gt_i32 s25, 25
	s_cbranch_scc0 .LBB46_647
; %bb.640:
	s_cmp_gt_i32 s25, 28
	s_cbranch_scc0 .LBB46_648
; %bb.641:
	;; [unrolled: 3-line block ×4, first 2 shown]
	s_mov_b32 s27, 0
	s_mov_b32 s0, -1
	s_cmp_eq_u32 s25, 46
	s_mov_b32 s26, 0
	s_cbranch_scc0 .LBB46_651
; %bb.644:
	v_cndmask_b32_e64 v2, 0, 1.0, s23
	s_mov_b32 s26, -1
	s_mov_b32 s0, 0
	s_delay_alu instid0(VALU_DEP_1) | instskip(NEXT) | instid1(VALU_DEP_1)
	v_bfe_u32 v3, v2, 16, 1
	v_add3_u32 v2, v2, v3, 0x7fff
	s_delay_alu instid0(VALU_DEP_1)
	v_lshrrev_b32_e32 v2, 16, v2
	global_store_b32 v[0:1], v2, off
	s_branch .LBB46_651
.LBB46_645:
	s_mov_b32 s23, 0
	s_mov_b32 s0, s19
	s_branch .LBB46_762
.LBB46_646:
	s_mov_b32 s25, -1
	s_mov_b32 s26, 0
	s_mov_b32 s0, s19
	s_branch .LBB46_720
.LBB46_647:
	s_mov_b32 s27, -1
	s_mov_b32 s26, 0
	s_mov_b32 s0, s19
	s_branch .LBB46_678
.LBB46_648:
	s_mov_b32 s27, -1
	s_mov_b32 s26, 0
	s_mov_b32 s0, s19
	s_branch .LBB46_661
.LBB46_649:
	s_mov_b32 s27, -1
	s_mov_b32 s26, 0
	s_mov_b32 s0, s19
	s_branch .LBB46_657
.LBB46_650:
	s_mov_b32 s27, -1
	s_mov_b32 s26, 0
	s_mov_b32 s0, s19
.LBB46_651:
	s_and_b32 vcc_lo, exec_lo, s27
	s_cbranch_vccz .LBB46_656
; %bb.652:
	s_cmp_eq_u32 s25, 44
	s_mov_b32 s0, -1
	s_cbranch_scc0 .LBB46_656
; %bb.653:
	v_cndmask_b32_e64 v5, 0, 1.0, s23
	s_mov_b32 s26, exec_lo
	s_wait_xcnt 0x0
	s_delay_alu instid0(VALU_DEP_1) | instskip(NEXT) | instid1(VALU_DEP_1)
	v_dual_mov_b32 v3, 0xff :: v_dual_lshrrev_b32 v2, 23, v5
	v_cmpx_ne_u32_e32 0xff, v2
; %bb.654:
	v_and_b32_e32 v3, 0x400000, v5
	v_and_or_b32 v5, 0x3fffff, v5, v2
	s_delay_alu instid0(VALU_DEP_2) | instskip(NEXT) | instid1(VALU_DEP_2)
	v_cmp_ne_u32_e32 vcc_lo, 0, v3
	v_cmp_ne_u32_e64 s0, 0, v5
	s_and_b32 s0, vcc_lo, s0
	s_delay_alu instid0(SALU_CYCLE_1) | instskip(NEXT) | instid1(VALU_DEP_1)
	v_cndmask_b32_e64 v3, 0, 1, s0
	v_add_nc_u32_e32 v3, v2, v3
; %bb.655:
	s_or_b32 exec_lo, exec_lo, s26
	s_mov_b32 s26, -1
	s_mov_b32 s0, 0
	global_store_b8 v[0:1], v3, off
.LBB46_656:
	s_mov_b32 s27, 0
.LBB46_657:
	s_delay_alu instid0(SALU_CYCLE_1)
	s_and_b32 vcc_lo, exec_lo, s27
	s_cbranch_vccz .LBB46_660
; %bb.658:
	s_cmp_eq_u32 s25, 29
	s_mov_b32 s0, -1
	s_cbranch_scc0 .LBB46_660
; %bb.659:
	s_mov_b32 s0, 0
	s_wait_xcnt 0x0
	v_cndmask_b32_e64 v2, 0, 1, s23
	v_mov_b32_e32 v3, s0
	s_mov_b32 s26, -1
	s_mov_b32 s27, 0
	global_store_b64 v[0:1], v[2:3], off
	s_branch .LBB46_661
.LBB46_660:
	s_mov_b32 s27, 0
.LBB46_661:
	s_delay_alu instid0(SALU_CYCLE_1)
	s_and_b32 vcc_lo, exec_lo, s27
	s_cbranch_vccz .LBB46_677
; %bb.662:
	s_cmp_lt_i32 s25, 27
	s_mov_b32 s26, -1
	s_cbranch_scc1 .LBB46_668
; %bb.663:
	s_cmp_gt_i32 s25, 27
	s_cbranch_scc0 .LBB46_665
; %bb.664:
	s_wait_xcnt 0x0
	v_cndmask_b32_e64 v2, 0, 1, s23
	s_mov_b32 s26, 0
	global_store_b32 v[0:1], v2, off
.LBB46_665:
	s_and_not1_b32 vcc_lo, exec_lo, s26
	s_cbranch_vccnz .LBB46_667
; %bb.666:
	s_wait_xcnt 0x0
	v_cndmask_b32_e64 v2, 0, 1, s23
	global_store_b16 v[0:1], v2, off
.LBB46_667:
	s_mov_b32 s26, 0
.LBB46_668:
	s_delay_alu instid0(SALU_CYCLE_1)
	s_and_not1_b32 vcc_lo, exec_lo, s26
	s_cbranch_vccnz .LBB46_676
; %bb.669:
	s_wait_xcnt 0x0
	v_cndmask_b32_e64 v3, 0, 1.0, s23
	v_mov_b32_e32 v5, 0x80
	s_mov_b32 s26, exec_lo
	s_delay_alu instid0(VALU_DEP_2)
	v_cmpx_gt_u32_e32 0x43800000, v3
	s_cbranch_execz .LBB46_675
; %bb.670:
	s_mov_b32 s27, 0
	s_mov_b32 s28, exec_lo
                                        ; implicit-def: $vgpr2
	v_cmpx_lt_u32_e32 0x3bffffff, v3
	s_xor_b32 s28, exec_lo, s28
	s_cbranch_execz .LBB46_777
; %bb.671:
	v_bfe_u32 v2, v3, 20, 1
	s_mov_b32 s27, exec_lo
	s_delay_alu instid0(VALU_DEP_1) | instskip(NEXT) | instid1(VALU_DEP_1)
	v_add3_u32 v2, v3, v2, 0x487ffff
                                        ; implicit-def: $vgpr3
	v_lshrrev_b32_e32 v2, 20, v2
	s_and_not1_saveexec_b32 s28, s28
	s_cbranch_execnz .LBB46_778
.LBB46_672:
	s_or_b32 exec_lo, exec_lo, s28
	v_mov_b32_e32 v5, 0
	s_and_saveexec_b32 s28, s27
.LBB46_673:
	v_mov_b32_e32 v5, v2
.LBB46_674:
	s_or_b32 exec_lo, exec_lo, s28
.LBB46_675:
	s_delay_alu instid0(SALU_CYCLE_1)
	s_or_b32 exec_lo, exec_lo, s26
	global_store_b8 v[0:1], v5, off
.LBB46_676:
	s_mov_b32 s26, -1
.LBB46_677:
	s_mov_b32 s27, 0
.LBB46_678:
	s_delay_alu instid0(SALU_CYCLE_1)
	s_and_b32 vcc_lo, exec_lo, s27
	s_cbranch_vccz .LBB46_719
; %bb.679:
	s_cmp_gt_i32 s25, 22
	s_mov_b32 s27, -1
	s_cbranch_scc0 .LBB46_711
; %bb.680:
	s_cmp_lt_i32 s25, 24
	s_mov_b32 s26, -1
	s_cbranch_scc1 .LBB46_700
; %bb.681:
	s_cmp_gt_i32 s25, 24
	s_cbranch_scc0 .LBB46_689
; %bb.682:
	s_wait_xcnt 0x0
	v_cndmask_b32_e64 v3, 0, 1.0, s23
	v_mov_b32_e32 v5, 0x80
	s_mov_b32 s26, exec_lo
	s_delay_alu instid0(VALU_DEP_2)
	v_cmpx_gt_u32_e32 0x47800000, v3
	s_cbranch_execz .LBB46_688
; %bb.683:
	s_mov_b32 s27, 0
	s_mov_b32 s28, exec_lo
                                        ; implicit-def: $vgpr2
	v_cmpx_lt_u32_e32 0x37ffffff, v3
	s_xor_b32 s28, exec_lo, s28
	s_cbranch_execz .LBB46_780
; %bb.684:
	v_bfe_u32 v2, v3, 21, 1
	s_mov_b32 s27, exec_lo
	s_delay_alu instid0(VALU_DEP_1) | instskip(NEXT) | instid1(VALU_DEP_1)
	v_add3_u32 v2, v3, v2, 0x88fffff
                                        ; implicit-def: $vgpr3
	v_lshrrev_b32_e32 v2, 21, v2
	s_and_not1_saveexec_b32 s28, s28
	s_cbranch_execnz .LBB46_781
.LBB46_685:
	s_or_b32 exec_lo, exec_lo, s28
	v_mov_b32_e32 v5, 0
	s_and_saveexec_b32 s28, s27
.LBB46_686:
	v_mov_b32_e32 v5, v2
.LBB46_687:
	s_or_b32 exec_lo, exec_lo, s28
.LBB46_688:
	s_delay_alu instid0(SALU_CYCLE_1)
	s_or_b32 exec_lo, exec_lo, s26
	s_mov_b32 s26, 0
	global_store_b8 v[0:1], v5, off
.LBB46_689:
	s_and_b32 vcc_lo, exec_lo, s26
	s_cbranch_vccz .LBB46_699
; %bb.690:
	s_wait_xcnt 0x0
	v_cndmask_b32_e64 v3, 0, 1.0, s23
	s_mov_b32 s26, exec_lo
                                        ; implicit-def: $vgpr2
	s_delay_alu instid0(VALU_DEP_1)
	v_cmpx_gt_u32_e32 0x43f00000, v3
	s_xor_b32 s26, exec_lo, s26
	s_cbranch_execz .LBB46_696
; %bb.691:
	s_mov_b32 s27, exec_lo
                                        ; implicit-def: $vgpr2
	v_cmpx_lt_u32_e32 0x3c7fffff, v3
	s_xor_b32 s27, exec_lo, s27
; %bb.692:
	v_bfe_u32 v2, v3, 20, 1
	s_delay_alu instid0(VALU_DEP_1) | instskip(NEXT) | instid1(VALU_DEP_1)
	v_add3_u32 v2, v3, v2, 0x407ffff
	v_and_b32_e32 v3, 0xff00000, v2
	v_lshrrev_b32_e32 v2, 20, v2
	s_delay_alu instid0(VALU_DEP_2) | instskip(NEXT) | instid1(VALU_DEP_2)
	v_cmp_ne_u32_e32 vcc_lo, 0x7f00000, v3
                                        ; implicit-def: $vgpr3
	v_cndmask_b32_e32 v2, 0x7e, v2, vcc_lo
; %bb.693:
	s_and_not1_saveexec_b32 s27, s27
; %bb.694:
	v_add_f32_e32 v2, 0x46800000, v3
; %bb.695:
	s_or_b32 exec_lo, exec_lo, s27
                                        ; implicit-def: $vgpr3
.LBB46_696:
	s_and_not1_saveexec_b32 s26, s26
; %bb.697:
	v_mov_b32_e32 v2, 0x7f
	v_cmp_lt_u32_e32 vcc_lo, 0x7f800000, v3
	s_delay_alu instid0(VALU_DEP_2)
	v_cndmask_b32_e32 v2, 0x7e, v2, vcc_lo
; %bb.698:
	s_or_b32 exec_lo, exec_lo, s26
	global_store_b8 v[0:1], v2, off
.LBB46_699:
	s_mov_b32 s26, 0
.LBB46_700:
	s_delay_alu instid0(SALU_CYCLE_1)
	s_and_not1_b32 vcc_lo, exec_lo, s26
	s_cbranch_vccnz .LBB46_710
; %bb.701:
	s_wait_xcnt 0x0
	v_cndmask_b32_e64 v3, 0, 1.0, s23
	s_mov_b32 s26, exec_lo
                                        ; implicit-def: $vgpr2
	s_delay_alu instid0(VALU_DEP_1)
	v_cmpx_gt_u32_e32 0x47800000, v3
	s_xor_b32 s26, exec_lo, s26
	s_cbranch_execz .LBB46_707
; %bb.702:
	s_mov_b32 s27, exec_lo
                                        ; implicit-def: $vgpr2
	v_cmpx_lt_u32_e32 0x387fffff, v3
	s_xor_b32 s27, exec_lo, s27
; %bb.703:
	v_bfe_u32 v2, v3, 21, 1
	s_delay_alu instid0(VALU_DEP_1) | instskip(NEXT) | instid1(VALU_DEP_1)
	v_add3_u32 v2, v3, v2, 0x80fffff
                                        ; implicit-def: $vgpr3
	v_lshrrev_b32_e32 v2, 21, v2
; %bb.704:
	s_and_not1_saveexec_b32 s27, s27
; %bb.705:
	v_add_f32_e32 v2, 0x43000000, v3
; %bb.706:
	s_or_b32 exec_lo, exec_lo, s27
                                        ; implicit-def: $vgpr3
.LBB46_707:
	s_and_not1_saveexec_b32 s26, s26
; %bb.708:
	v_mov_b32_e32 v2, 0x7f
	v_cmp_lt_u32_e32 vcc_lo, 0x7f800000, v3
	s_delay_alu instid0(VALU_DEP_2)
	v_cndmask_b32_e32 v2, 0x7c, v2, vcc_lo
; %bb.709:
	s_or_b32 exec_lo, exec_lo, s26
	global_store_b8 v[0:1], v2, off
.LBB46_710:
	s_mov_b32 s27, 0
	s_mov_b32 s26, -1
.LBB46_711:
	s_and_not1_b32 vcc_lo, exec_lo, s27
	s_cbranch_vccnz .LBB46_719
; %bb.712:
	s_cmp_gt_i32 s25, 14
	s_mov_b32 s27, -1
	s_cbranch_scc0 .LBB46_716
; %bb.713:
	s_cmp_eq_u32 s25, 15
	s_mov_b32 s0, -1
	s_cbranch_scc0 .LBB46_715
; %bb.714:
	s_wait_xcnt 0x0
	v_cndmask_b32_e64 v2, 0, 1.0, s23
	s_mov_b32 s26, -1
	s_mov_b32 s0, 0
	s_delay_alu instid0(VALU_DEP_1) | instskip(NEXT) | instid1(VALU_DEP_1)
	v_bfe_u32 v3, v2, 16, 1
	v_add3_u32 v2, v2, v3, 0x7fff
	global_store_d16_hi_b16 v[0:1], v2, off
.LBB46_715:
	s_mov_b32 s27, 0
.LBB46_716:
	s_delay_alu instid0(SALU_CYCLE_1)
	s_and_b32 vcc_lo, exec_lo, s27
	s_cbranch_vccz .LBB46_719
; %bb.717:
	s_cmp_eq_u32 s25, 11
	s_mov_b32 s0, -1
	s_cbranch_scc0 .LBB46_719
; %bb.718:
	s_wait_xcnt 0x0
	v_cndmask_b32_e64 v2, 0, 1, s23
	s_mov_b32 s26, -1
	s_mov_b32 s0, 0
	global_store_b8 v[0:1], v2, off
.LBB46_719:
	s_mov_b32 s25, 0
.LBB46_720:
	s_delay_alu instid0(SALU_CYCLE_1)
	s_and_b32 vcc_lo, exec_lo, s25
	s_cbranch_vccz .LBB46_759
; %bb.721:
	s_and_b32 s24, 0xffff, s24
	s_mov_b32 s25, -1
	s_cmp_lt_i32 s24, 5
	s_cbranch_scc1 .LBB46_742
; %bb.722:
	s_cmp_lt_i32 s24, 8
	s_cbranch_scc1 .LBB46_732
; %bb.723:
	;; [unrolled: 3-line block ×3, first 2 shown]
	s_cmp_gt_i32 s24, 9
	s_cbranch_scc0 .LBB46_726
; %bb.725:
	s_wait_xcnt 0x0
	v_cndmask_b32_e64 v2, 0, 1, s23
	v_mov_b32_e32 v8, 0
	s_mov_b32 s25, 0
	s_delay_alu instid0(VALU_DEP_2) | instskip(NEXT) | instid1(VALU_DEP_2)
	v_cvt_f64_u32_e32 v[6:7], v2
	v_mov_b32_e32 v9, v8
	global_store_b128 v[0:1], v[6:9], off
.LBB46_726:
	s_and_not1_b32 vcc_lo, exec_lo, s25
	s_cbranch_vccnz .LBB46_728
; %bb.727:
	s_wait_xcnt 0x0
	v_cndmask_b32_e64 v2, 0, 1.0, s23
	v_mov_b32_e32 v3, 0
	global_store_b64 v[0:1], v[2:3], off
.LBB46_728:
	s_mov_b32 s25, 0
.LBB46_729:
	s_delay_alu instid0(SALU_CYCLE_1)
	s_and_not1_b32 vcc_lo, exec_lo, s25
	s_cbranch_vccnz .LBB46_731
; %bb.730:
	s_wait_xcnt 0x0
	v_cndmask_b32_e64 v2, 0, 1.0, s23
	s_delay_alu instid0(VALU_DEP_1) | instskip(NEXT) | instid1(VALU_DEP_1)
	v_cvt_f16_f32_e32 v2, v2
	v_and_b32_e32 v2, 0xffff, v2
	global_store_b32 v[0:1], v2, off
.LBB46_731:
	s_mov_b32 s25, 0
.LBB46_732:
	s_delay_alu instid0(SALU_CYCLE_1)
	s_and_not1_b32 vcc_lo, exec_lo, s25
	s_cbranch_vccnz .LBB46_741
; %bb.733:
	s_cmp_lt_i32 s24, 6
	s_mov_b32 s25, -1
	s_cbranch_scc1 .LBB46_739
; %bb.734:
	s_cmp_gt_i32 s24, 6
	s_cbranch_scc0 .LBB46_736
; %bb.735:
	s_wait_xcnt 0x0
	v_cndmask_b32_e64 v2, 0, 1, s23
	s_mov_b32 s25, 0
	s_delay_alu instid0(VALU_DEP_1)
	v_cvt_f64_u32_e32 v[2:3], v2
	global_store_b64 v[0:1], v[2:3], off
.LBB46_736:
	s_and_not1_b32 vcc_lo, exec_lo, s25
	s_cbranch_vccnz .LBB46_738
; %bb.737:
	s_wait_xcnt 0x0
	v_cndmask_b32_e64 v2, 0, 1.0, s23
	global_store_b32 v[0:1], v2, off
.LBB46_738:
	s_mov_b32 s25, 0
.LBB46_739:
	s_delay_alu instid0(SALU_CYCLE_1)
	s_and_not1_b32 vcc_lo, exec_lo, s25
	s_cbranch_vccnz .LBB46_741
; %bb.740:
	s_wait_xcnt 0x0
	v_cndmask_b32_e64 v2, 0, 1.0, s23
	s_delay_alu instid0(VALU_DEP_1)
	v_cvt_f16_f32_e32 v2, v2
	global_store_b16 v[0:1], v2, off
.LBB46_741:
	s_mov_b32 s25, 0
.LBB46_742:
	s_delay_alu instid0(SALU_CYCLE_1)
	s_and_not1_b32 vcc_lo, exec_lo, s25
	s_cbranch_vccnz .LBB46_758
; %bb.743:
	s_cmp_lt_i32 s24, 2
	s_mov_b32 s25, -1
	s_cbranch_scc1 .LBB46_753
; %bb.744:
	s_cmp_lt_i32 s24, 3
	s_cbranch_scc1 .LBB46_750
; %bb.745:
	s_cmp_gt_i32 s24, 3
	s_cbranch_scc0 .LBB46_747
; %bb.746:
	s_mov_b32 s25, 0
	s_wait_xcnt 0x0
	v_cndmask_b32_e64 v2, 0, 1, s23
	v_mov_b32_e32 v3, s25
	global_store_b64 v[0:1], v[2:3], off
.LBB46_747:
	s_and_not1_b32 vcc_lo, exec_lo, s25
	s_cbranch_vccnz .LBB46_749
; %bb.748:
	s_wait_xcnt 0x0
	v_cndmask_b32_e64 v2, 0, 1, s23
	global_store_b32 v[0:1], v2, off
.LBB46_749:
	s_mov_b32 s25, 0
.LBB46_750:
	s_delay_alu instid0(SALU_CYCLE_1)
	s_and_not1_b32 vcc_lo, exec_lo, s25
	s_cbranch_vccnz .LBB46_752
; %bb.751:
	s_wait_xcnt 0x0
	v_cndmask_b32_e64 v2, 0, 1, s23
	global_store_b16 v[0:1], v2, off
.LBB46_752:
	s_mov_b32 s25, 0
.LBB46_753:
	s_delay_alu instid0(SALU_CYCLE_1)
	s_and_not1_b32 vcc_lo, exec_lo, s25
	s_cbranch_vccnz .LBB46_758
; %bb.754:
	s_wait_xcnt 0x0
	v_cndmask_b32_e64 v2, 0, 1, s23
	s_cmp_gt_i32 s24, 0
	s_mov_b32 s23, -1
	s_cbranch_scc0 .LBB46_756
; %bb.755:
	s_mov_b32 s23, 0
	global_store_b8 v[0:1], v2, off
.LBB46_756:
	s_and_not1_b32 vcc_lo, exec_lo, s23
	s_cbranch_vccnz .LBB46_758
; %bb.757:
	global_store_b8 v[0:1], v2, off
.LBB46_758:
	s_mov_b32 s26, -1
.LBB46_759:
	s_delay_alu instid0(SALU_CYCLE_1)
	s_and_not1_b32 vcc_lo, exec_lo, s26
	s_cbranch_vccnz .LBB46_761
; %bb.760:
	v_add_nc_u32_e32 v4, 0x80, v4
	s_mov_b32 s23, -1
	s_branch .LBB46_763
.LBB46_761:
	s_mov_b32 s23, 0
.LBB46_762:
                                        ; implicit-def: $vgpr4
.LBB46_763:
	s_and_not1_b32 s24, s19, exec_lo
	s_and_b32 s0, s0, exec_lo
	s_and_not1_b32 s25, s18, exec_lo
	s_and_b32 s26, s22, exec_lo
	s_or_b32 s22, s24, s0
	s_or_b32 s0, s25, s26
	s_or_not1_b32 s23, s23, exec_lo
.LBB46_764:
	s_wait_xcnt 0x0
	s_or_b32 exec_lo, exec_lo, s21
	s_mov_b32 s24, 0
	s_mov_b32 s25, 0
	;; [unrolled: 1-line block ×3, first 2 shown]
                                        ; implicit-def: $vgpr0_vgpr1
                                        ; implicit-def: $vgpr2
	s_and_saveexec_b32 s21, s23
	s_cbranch_execz .LBB46_845
; %bb.765:
	v_cmp_gt_i32_e32 vcc_lo, s14, v4
	s_mov_b32 s23, 0
	s_mov_b32 s24, s0
	;; [unrolled: 1-line block ×3, first 2 shown]
                                        ; implicit-def: $vgpr0_vgpr1
                                        ; implicit-def: $vgpr2
	s_and_saveexec_b32 s14, vcc_lo
	s_cbranch_execz .LBB46_844
; %bb.766:
	v_mul_lo_u32 v0, v4, s9
	s_and_b32 s23, 0xffff, s3
	s_delay_alu instid0(SALU_CYCLE_1) | instskip(NEXT) | instid1(VALU_DEP_1)
	s_cmp_lt_i32 s23, 11
	v_ashrrev_i32_e32 v1, 31, v0
	s_delay_alu instid0(VALU_DEP_1)
	v_add_nc_u64_e32 v[0:1], s[6:7], v[0:1]
	s_cbranch_scc1 .LBB46_773
; %bb.767:
	s_cmp_gt_i32 s23, 25
	s_cbranch_scc0 .LBB46_774
; %bb.768:
	s_cmp_gt_i32 s23, 28
	s_cbranch_scc0 .LBB46_775
	;; [unrolled: 3-line block ×4, first 2 shown]
; %bb.771:
	s_cmp_eq_u32 s23, 46
	s_cbranch_scc0 .LBB46_782
; %bb.772:
	s_wait_loadcnt 0x0
	global_load_b32 v2, v[0:1], off
	s_mov_b32 s24, 0
	s_mov_b32 s26, -1
	s_wait_loadcnt 0x0
	v_lshlrev_b32_e32 v2, 16, v2
	s_delay_alu instid0(VALU_DEP_1)
	v_cvt_i32_f32_e32 v2, v2
	s_branch .LBB46_784
.LBB46_773:
	s_mov_b32 s23, -1
	s_mov_b32 s24, s0
                                        ; implicit-def: $vgpr2
	s_branch .LBB46_843
.LBB46_774:
	s_mov_b32 s27, -1
	s_mov_b32 s24, s0
                                        ; implicit-def: $vgpr2
	s_branch .LBB46_811
.LBB46_775:
	s_mov_b32 s27, -1
	s_mov_b32 s24, s0
                                        ; implicit-def: $vgpr2
	s_branch .LBB46_794
.LBB46_776:
	s_mov_b32 s27, -1
	s_mov_b32 s24, s0
                                        ; implicit-def: $vgpr2
	s_branch .LBB46_789
.LBB46_777:
	s_and_not1_saveexec_b32 s28, s28
	s_cbranch_execz .LBB46_672
.LBB46_778:
	v_add_f32_e32 v2, 0x46000000, v3
	s_and_not1_b32 s27, s27, exec_lo
	s_delay_alu instid0(VALU_DEP_1) | instskip(NEXT) | instid1(VALU_DEP_1)
	v_and_b32_e32 v2, 0xff, v2
	v_cmp_ne_u32_e32 vcc_lo, 0, v2
	s_and_b32 s29, vcc_lo, exec_lo
	s_delay_alu instid0(SALU_CYCLE_1)
	s_or_b32 s27, s27, s29
	s_or_b32 exec_lo, exec_lo, s28
	v_mov_b32_e32 v5, 0
	s_and_saveexec_b32 s28, s27
	s_cbranch_execnz .LBB46_673
	s_branch .LBB46_674
.LBB46_779:
	s_mov_b32 s27, -1
	s_mov_b32 s24, s0
	s_branch .LBB46_783
.LBB46_780:
	s_and_not1_saveexec_b32 s28, s28
	s_cbranch_execz .LBB46_685
.LBB46_781:
	v_add_f32_e32 v2, 0x42800000, v3
	s_and_not1_b32 s27, s27, exec_lo
	s_delay_alu instid0(VALU_DEP_1) | instskip(NEXT) | instid1(VALU_DEP_1)
	v_and_b32_e32 v2, 0xff, v2
	v_cmp_ne_u32_e32 vcc_lo, 0, v2
	s_and_b32 s29, vcc_lo, exec_lo
	s_delay_alu instid0(SALU_CYCLE_1)
	s_or_b32 s27, s27, s29
	s_or_b32 exec_lo, exec_lo, s28
	v_mov_b32_e32 v5, 0
	s_and_saveexec_b32 s28, s27
	s_cbranch_execnz .LBB46_686
	s_branch .LBB46_687
.LBB46_782:
	s_mov_b32 s24, -1
.LBB46_783:
                                        ; implicit-def: $vgpr2
.LBB46_784:
	s_and_b32 vcc_lo, exec_lo, s27
	s_cbranch_vccz .LBB46_788
; %bb.785:
	s_cmp_eq_u32 s23, 44
	s_cbranch_scc0 .LBB46_787
; %bb.786:
	s_wait_loadcnt 0x0
	global_load_u8 v2, v[0:1], off
	s_mov_b32 s24, 0
	s_mov_b32 s26, -1
	s_wait_loadcnt 0x0
	v_lshlrev_b32_e32 v3, 23, v2
	v_cmp_ne_u32_e32 vcc_lo, 0, v2
	s_delay_alu instid0(VALU_DEP_2) | instskip(NEXT) | instid1(VALU_DEP_1)
	v_cvt_i32_f32_e32 v3, v3
	v_cndmask_b32_e32 v2, 0, v3, vcc_lo
	s_branch .LBB46_788
.LBB46_787:
	s_mov_b32 s24, -1
                                        ; implicit-def: $vgpr2
.LBB46_788:
	s_mov_b32 s27, 0
.LBB46_789:
	s_delay_alu instid0(SALU_CYCLE_1)
	s_and_b32 vcc_lo, exec_lo, s27
	s_cbranch_vccz .LBB46_793
; %bb.790:
	s_cmp_eq_u32 s23, 29
	s_cbranch_scc0 .LBB46_792
; %bb.791:
	s_wait_loadcnt 0x0
	global_load_b32 v2, v[0:1], off
	s_mov_b32 s24, 0
	s_mov_b32 s26, -1
	s_branch .LBB46_793
.LBB46_792:
	s_mov_b32 s24, -1
                                        ; implicit-def: $vgpr2
.LBB46_793:
	s_mov_b32 s27, 0
.LBB46_794:
	s_delay_alu instid0(SALU_CYCLE_1)
	s_and_b32 vcc_lo, exec_lo, s27
	s_cbranch_vccz .LBB46_810
; %bb.795:
	s_cmp_lt_i32 s23, 27
	s_cbranch_scc1 .LBB46_798
; %bb.796:
	s_cmp_gt_i32 s23, 27
	s_cbranch_scc0 .LBB46_799
; %bb.797:
	s_wait_loadcnt 0x0
	global_load_b32 v2, v[0:1], off
	s_mov_b32 s26, 0
	s_branch .LBB46_800
.LBB46_798:
	s_mov_b32 s26, -1
                                        ; implicit-def: $vgpr2
	s_branch .LBB46_803
.LBB46_799:
	s_mov_b32 s26, -1
                                        ; implicit-def: $vgpr2
.LBB46_800:
	s_delay_alu instid0(SALU_CYCLE_1)
	s_and_not1_b32 vcc_lo, exec_lo, s26
	s_cbranch_vccnz .LBB46_802
; %bb.801:
	s_wait_loadcnt 0x0
	global_load_u16 v2, v[0:1], off
.LBB46_802:
	s_mov_b32 s26, 0
.LBB46_803:
	s_delay_alu instid0(SALU_CYCLE_1)
	s_and_not1_b32 vcc_lo, exec_lo, s26
	s_cbranch_vccnz .LBB46_809
; %bb.804:
	global_load_u8 v3, v[0:1], off
	s_mov_b32 s27, 0
	s_mov_b32 s26, exec_lo
	s_wait_loadcnt 0x0
	v_cmpx_lt_i16_e32 0x7f, v3
	s_xor_b32 s26, exec_lo, s26
	s_cbranch_execz .LBB46_821
; %bb.805:
	v_cmp_ne_u16_e32 vcc_lo, 0x80, v3
	s_and_b32 s27, vcc_lo, exec_lo
	s_and_not1_saveexec_b32 s26, s26
	s_cbranch_execnz .LBB46_822
.LBB46_806:
	s_or_b32 exec_lo, exec_lo, s26
	v_mov_b32_e32 v2, 0
	s_and_saveexec_b32 s26, s27
	s_cbranch_execz .LBB46_808
.LBB46_807:
	v_and_b32_e32 v2, 0xffff, v3
	s_delay_alu instid0(VALU_DEP_1) | instskip(SKIP_1) | instid1(VALU_DEP_2)
	v_dual_lshlrev_b32 v3, 24, v3 :: v_dual_bitop2_b32 v5, 7, v2 bitop3:0x40
	v_bfe_u32 v8, v2, 3, 4
	v_and_b32_e32 v3, 0x80000000, v3
	s_delay_alu instid0(VALU_DEP_3) | instskip(NEXT) | instid1(VALU_DEP_3)
	v_clz_i32_u32_e32 v6, v5
	v_cmp_eq_u32_e32 vcc_lo, 0, v8
	s_delay_alu instid0(VALU_DEP_2) | instskip(NEXT) | instid1(VALU_DEP_1)
	v_min_u32_e32 v6, 32, v6
	v_subrev_nc_u32_e32 v7, 28, v6
	v_sub_nc_u32_e32 v6, 29, v6
	s_delay_alu instid0(VALU_DEP_2) | instskip(NEXT) | instid1(VALU_DEP_2)
	v_lshlrev_b32_e32 v2, v7, v2
	v_cndmask_b32_e32 v6, v8, v6, vcc_lo
	s_delay_alu instid0(VALU_DEP_2) | instskip(NEXT) | instid1(VALU_DEP_1)
	v_and_b32_e32 v2, 7, v2
	v_cndmask_b32_e32 v2, v5, v2, vcc_lo
	s_delay_alu instid0(VALU_DEP_3) | instskip(NEXT) | instid1(VALU_DEP_2)
	v_lshl_add_u32 v5, v6, 23, 0x3b800000
	v_lshlrev_b32_e32 v2, 20, v2
	s_delay_alu instid0(VALU_DEP_1) | instskip(NEXT) | instid1(VALU_DEP_1)
	v_or3_b32 v2, v3, v5, v2
	v_cvt_i32_f32_e32 v2, v2
.LBB46_808:
	s_or_b32 exec_lo, exec_lo, s26
.LBB46_809:
	s_mov_b32 s26, -1
.LBB46_810:
	s_mov_b32 s27, 0
.LBB46_811:
	s_delay_alu instid0(SALU_CYCLE_1)
	s_and_b32 vcc_lo, exec_lo, s27
	s_cbranch_vccz .LBB46_842
; %bb.812:
	s_cmp_gt_i32 s23, 22
	s_cbranch_scc0 .LBB46_820
; %bb.813:
	s_cmp_lt_i32 s23, 24
	s_cbranch_scc1 .LBB46_823
; %bb.814:
	s_cmp_gt_i32 s23, 24
	s_cbranch_scc0 .LBB46_824
; %bb.815:
	global_load_u8 v3, v[0:1], off
	s_mov_b32 s26, 0
	s_mov_b32 s25, exec_lo
	s_wait_loadcnt 0x0
	v_cmpx_lt_i16_e32 0x7f, v3
	s_xor_b32 s25, exec_lo, s25
	s_cbranch_execz .LBB46_836
; %bb.816:
	v_cmp_ne_u16_e32 vcc_lo, 0x80, v3
	s_and_b32 s26, vcc_lo, exec_lo
	s_and_not1_saveexec_b32 s25, s25
	s_cbranch_execnz .LBB46_837
.LBB46_817:
	s_or_b32 exec_lo, exec_lo, s25
	v_mov_b32_e32 v2, 0
	s_and_saveexec_b32 s25, s26
	s_cbranch_execz .LBB46_819
.LBB46_818:
	v_and_b32_e32 v2, 0xffff, v3
	s_delay_alu instid0(VALU_DEP_1) | instskip(SKIP_1) | instid1(VALU_DEP_2)
	v_dual_lshlrev_b32 v3, 24, v3 :: v_dual_bitop2_b32 v5, 3, v2 bitop3:0x40
	v_bfe_u32 v8, v2, 2, 5
	v_and_b32_e32 v3, 0x80000000, v3
	s_delay_alu instid0(VALU_DEP_3) | instskip(NEXT) | instid1(VALU_DEP_3)
	v_clz_i32_u32_e32 v6, v5
	v_cmp_eq_u32_e32 vcc_lo, 0, v8
	s_delay_alu instid0(VALU_DEP_2) | instskip(NEXT) | instid1(VALU_DEP_1)
	v_min_u32_e32 v6, 32, v6
	v_subrev_nc_u32_e32 v7, 29, v6
	v_sub_nc_u32_e32 v6, 30, v6
	s_delay_alu instid0(VALU_DEP_2) | instskip(NEXT) | instid1(VALU_DEP_2)
	v_lshlrev_b32_e32 v2, v7, v2
	v_cndmask_b32_e32 v6, v8, v6, vcc_lo
	s_delay_alu instid0(VALU_DEP_2) | instskip(NEXT) | instid1(VALU_DEP_1)
	v_and_b32_e32 v2, 3, v2
	v_cndmask_b32_e32 v2, v5, v2, vcc_lo
	s_delay_alu instid0(VALU_DEP_3) | instskip(NEXT) | instid1(VALU_DEP_2)
	v_lshl_add_u32 v5, v6, 23, 0x37800000
	v_lshlrev_b32_e32 v2, 21, v2
	s_delay_alu instid0(VALU_DEP_1) | instskip(NEXT) | instid1(VALU_DEP_1)
	v_or3_b32 v2, v3, v5, v2
	v_cvt_i32_f32_e32 v2, v2
.LBB46_819:
	s_or_b32 exec_lo, exec_lo, s25
	s_mov_b32 s25, 0
	s_branch .LBB46_825
.LBB46_820:
	s_mov_b32 s25, -1
                                        ; implicit-def: $vgpr2
	s_branch .LBB46_831
.LBB46_821:
	s_and_not1_saveexec_b32 s26, s26
	s_cbranch_execz .LBB46_806
.LBB46_822:
	v_cmp_ne_u16_e32 vcc_lo, 0, v3
	s_and_not1_b32 s27, s27, exec_lo
	s_and_b32 s28, vcc_lo, exec_lo
	s_delay_alu instid0(SALU_CYCLE_1)
	s_or_b32 s27, s27, s28
	s_or_b32 exec_lo, exec_lo, s26
	v_mov_b32_e32 v2, 0
	s_and_saveexec_b32 s26, s27
	s_cbranch_execnz .LBB46_807
	s_branch .LBB46_808
.LBB46_823:
	s_mov_b32 s25, -1
                                        ; implicit-def: $vgpr2
	s_branch .LBB46_828
.LBB46_824:
	s_mov_b32 s25, -1
                                        ; implicit-def: $vgpr2
.LBB46_825:
	s_delay_alu instid0(SALU_CYCLE_1)
	s_and_b32 vcc_lo, exec_lo, s25
	s_cbranch_vccz .LBB46_827
; %bb.826:
	s_wait_loadcnt 0x0
	global_load_u8 v2, v[0:1], off
	s_wait_loadcnt 0x0
	v_lshlrev_b32_e32 v2, 24, v2
	s_delay_alu instid0(VALU_DEP_1) | instskip(NEXT) | instid1(VALU_DEP_1)
	v_and_b32_e32 v3, 0x7f000000, v2
	v_clz_i32_u32_e32 v5, v3
	v_add_nc_u32_e32 v7, 0x1000000, v3
	v_cmp_ne_u32_e32 vcc_lo, 0, v3
	s_delay_alu instid0(VALU_DEP_3) | instskip(NEXT) | instid1(VALU_DEP_1)
	v_min_u32_e32 v5, 32, v5
	v_sub_nc_u32_e64 v5, v5, 4 clamp
	s_delay_alu instid0(VALU_DEP_1) | instskip(NEXT) | instid1(VALU_DEP_1)
	v_dual_lshlrev_b32 v6, v5, v3 :: v_dual_lshlrev_b32 v5, 23, v5
	v_lshrrev_b32_e32 v6, 4, v6
	s_delay_alu instid0(VALU_DEP_1) | instskip(NEXT) | instid1(VALU_DEP_1)
	v_dual_sub_nc_u32 v5, v6, v5 :: v_dual_ashrrev_i32 v6, 8, v7
	v_add_nc_u32_e32 v5, 0x3c000000, v5
	s_delay_alu instid0(VALU_DEP_1) | instskip(NEXT) | instid1(VALU_DEP_1)
	v_and_or_b32 v5, 0x7f800000, v6, v5
	v_cndmask_b32_e32 v3, 0, v5, vcc_lo
	s_delay_alu instid0(VALU_DEP_1) | instskip(NEXT) | instid1(VALU_DEP_1)
	v_and_or_b32 v2, 0x80000000, v2, v3
	v_cvt_i32_f32_e32 v2, v2
.LBB46_827:
	s_mov_b32 s25, 0
.LBB46_828:
	s_delay_alu instid0(SALU_CYCLE_1)
	s_and_not1_b32 vcc_lo, exec_lo, s25
	s_cbranch_vccnz .LBB46_830
; %bb.829:
	s_wait_loadcnt 0x0
	global_load_u8 v2, v[0:1], off
	s_wait_loadcnt 0x0
	v_lshlrev_b32_e32 v3, 25, v2
	v_lshlrev_b16 v2, 8, v2
	s_delay_alu instid0(VALU_DEP_2) | instskip(NEXT) | instid1(VALU_DEP_2)
	v_cmp_gt_u32_e32 vcc_lo, 0x8000000, v3
	v_and_or_b32 v6, 0x7f00, v2, 0.5
	v_lshrrev_b32_e32 v5, 4, v3
	v_bfe_i32 v2, v2, 0, 16
	s_delay_alu instid0(VALU_DEP_3) | instskip(NEXT) | instid1(VALU_DEP_3)
	v_add_f32_e32 v6, -0.5, v6
	v_or_b32_e32 v5, 0x70000000, v5
	s_delay_alu instid0(VALU_DEP_1) | instskip(NEXT) | instid1(VALU_DEP_1)
	v_mul_f32_e32 v5, 0x7800000, v5
	v_cndmask_b32_e32 v3, v5, v6, vcc_lo
	s_delay_alu instid0(VALU_DEP_1) | instskip(NEXT) | instid1(VALU_DEP_1)
	v_and_or_b32 v2, 0x80000000, v2, v3
	v_cvt_i32_f32_e32 v2, v2
.LBB46_830:
	s_mov_b32 s25, 0
	s_mov_b32 s26, -1
.LBB46_831:
	s_and_not1_b32 vcc_lo, exec_lo, s25
	s_mov_b32 s25, 0
	s_cbranch_vccnz .LBB46_842
; %bb.832:
	s_cmp_gt_i32 s23, 14
	s_cbranch_scc0 .LBB46_835
; %bb.833:
	s_cmp_eq_u32 s23, 15
	s_cbranch_scc0 .LBB46_838
; %bb.834:
	s_wait_loadcnt 0x0
	global_load_u16 v2, v[0:1], off
	s_mov_b32 s24, 0
	s_mov_b32 s26, -1
	s_wait_loadcnt 0x0
	v_lshlrev_b32_e32 v2, 16, v2
	s_delay_alu instid0(VALU_DEP_1)
	v_cvt_i32_f32_e32 v2, v2
	s_branch .LBB46_840
.LBB46_835:
	s_mov_b32 s25, -1
	s_branch .LBB46_839
.LBB46_836:
	s_and_not1_saveexec_b32 s25, s25
	s_cbranch_execz .LBB46_817
.LBB46_837:
	v_cmp_ne_u16_e32 vcc_lo, 0, v3
	s_and_not1_b32 s26, s26, exec_lo
	s_and_b32 s27, vcc_lo, exec_lo
	s_delay_alu instid0(SALU_CYCLE_1)
	s_or_b32 s26, s26, s27
	s_or_b32 exec_lo, exec_lo, s25
	v_mov_b32_e32 v2, 0
	s_and_saveexec_b32 s25, s26
	s_cbranch_execnz .LBB46_818
	s_branch .LBB46_819
.LBB46_838:
	s_mov_b32 s24, -1
.LBB46_839:
                                        ; implicit-def: $vgpr2
.LBB46_840:
	s_and_b32 vcc_lo, exec_lo, s25
	s_mov_b32 s25, 0
	s_cbranch_vccz .LBB46_842
; %bb.841:
	s_cmp_lg_u32 s23, 11
	s_mov_b32 s25, -1
	s_cselect_b32 s23, -1, 0
	s_and_not1_b32 s24, s24, exec_lo
	s_and_b32 s23, s23, exec_lo
	s_delay_alu instid0(SALU_CYCLE_1)
	s_or_b32 s24, s24, s23
.LBB46_842:
	s_mov_b32 s23, 0
.LBB46_843:
	s_and_not1_b32 s28, s0, exec_lo
	s_and_b32 s24, s24, exec_lo
	s_and_b32 s26, s26, exec_lo
	;; [unrolled: 1-line block ×4, first 2 shown]
	s_or_b32 s24, s28, s24
.LBB46_844:
	s_wait_xcnt 0x0
	s_or_b32 exec_lo, exec_lo, s14
	s_delay_alu instid0(SALU_CYCLE_1)
	s_and_not1_b32 s0, s0, exec_lo
	s_and_b32 s14, s24, exec_lo
	s_and_b32 s26, s26, exec_lo
	;; [unrolled: 1-line block ×4, first 2 shown]
	s_or_b32 s0, s0, s14
.LBB46_845:
	s_or_b32 exec_lo, exec_lo, s21
	s_delay_alu instid0(SALU_CYCLE_1)
	s_and_not1_b32 s14, s19, exec_lo
	s_and_b32 s19, s22, exec_lo
	s_and_b32 s0, s0, exec_lo
	s_or_b32 s19, s14, s19
	s_and_not1_b32 s14, s18, exec_lo
	s_and_b32 s23, s26, exec_lo
	s_and_b32 s22, s25, exec_lo
	;; [unrolled: 1-line block ×3, first 2 shown]
	s_or_b32 s18, s14, s0
.LBB46_846:
	s_or_b32 exec_lo, exec_lo, s20
	s_delay_alu instid0(SALU_CYCLE_1)
	s_and_not1_b32 s0, s15, exec_lo
	s_and_b32 s14, s19, exec_lo
	s_and_b32 s19, s22, exec_lo
	s_or_b32 s15, s0, s14
	s_and_not1_b32 s14, s16, exec_lo
	s_and_b32 s16, s18, exec_lo
	s_and_b32 s0, s23, exec_lo
	;; [unrolled: 1-line block ×3, first 2 shown]
	s_or_b32 s16, s14, s16
	s_or_b32 exec_lo, exec_lo, s17
	s_mov_b32 s14, 0
	s_and_saveexec_b32 s17, s16
	s_cbranch_execz .LBB46_258
.LBB46_847:
	s_mov_b32 s14, exec_lo
	s_and_not1_b32 s18, s18, exec_lo
	s_trap 2
	s_or_b32 exec_lo, exec_lo, s17
	s_and_saveexec_b32 s16, s18
	s_delay_alu instid0(SALU_CYCLE_1)
	s_xor_b32 s16, exec_lo, s16
	s_cbranch_execnz .LBB46_259
.LBB46_848:
	s_or_b32 exec_lo, exec_lo, s16
	s_and_saveexec_b32 s16, s19
	s_cbranch_execz .LBB46_894
.LBB46_849:
	s_sext_i32_i16 s17, s3
	s_delay_alu instid0(SALU_CYCLE_1)
	s_cmp_lt_i32 s17, 5
	s_cbranch_scc1 .LBB46_854
; %bb.850:
	s_cmp_lt_i32 s17, 8
	s_cbranch_scc1 .LBB46_855
; %bb.851:
	;; [unrolled: 3-line block ×3, first 2 shown]
	s_cmp_gt_i32 s17, 9
	s_cbranch_scc0 .LBB46_857
; %bb.853:
	s_wait_loadcnt 0x0
	global_load_b64 v[2:3], v[0:1], off
	s_mov_b32 s17, 0
	s_wait_loadcnt 0x0
	v_cvt_i32_f64_e32 v2, v[2:3]
	s_branch .LBB46_858
.LBB46_854:
                                        ; implicit-def: $vgpr2
	s_branch .LBB46_875
.LBB46_855:
                                        ; implicit-def: $vgpr2
	s_branch .LBB46_864
.LBB46_856:
	s_mov_b32 s17, -1
                                        ; implicit-def: $vgpr2
	s_branch .LBB46_861
.LBB46_857:
	s_mov_b32 s17, -1
                                        ; implicit-def: $vgpr2
.LBB46_858:
	s_delay_alu instid0(SALU_CYCLE_1)
	s_and_not1_b32 vcc_lo, exec_lo, s17
	s_cbranch_vccnz .LBB46_860
; %bb.859:
	s_wait_loadcnt 0x0
	global_load_b32 v2, v[0:1], off
	s_wait_loadcnt 0x0
	v_cvt_i32_f32_e32 v2, v2
.LBB46_860:
	s_mov_b32 s17, 0
.LBB46_861:
	s_delay_alu instid0(SALU_CYCLE_1)
	s_and_not1_b32 vcc_lo, exec_lo, s17
	s_cbranch_vccnz .LBB46_863
; %bb.862:
	s_wait_loadcnt 0x0
	global_load_b32 v2, v[0:1], off
	s_wait_loadcnt 0x0
	v_cvt_f32_f16_e32 v2, v2
	s_delay_alu instid0(VALU_DEP_1)
	v_cvt_i32_f32_e32 v2, v2
.LBB46_863:
	s_cbranch_execnz .LBB46_874
.LBB46_864:
	s_sext_i32_i16 s17, s3
	s_delay_alu instid0(SALU_CYCLE_1)
	s_cmp_lt_i32 s17, 6
	s_cbranch_scc1 .LBB46_867
; %bb.865:
	s_cmp_gt_i32 s17, 6
	s_cbranch_scc0 .LBB46_868
; %bb.866:
	s_wait_loadcnt 0x0
	global_load_b64 v[2:3], v[0:1], off
	s_mov_b32 s17, 0
	s_wait_loadcnt 0x0
	v_cvt_i32_f64_e32 v2, v[2:3]
	s_branch .LBB46_869
.LBB46_867:
	s_mov_b32 s17, -1
                                        ; implicit-def: $vgpr2
	s_branch .LBB46_872
.LBB46_868:
	s_mov_b32 s17, -1
                                        ; implicit-def: $vgpr2
.LBB46_869:
	s_delay_alu instid0(SALU_CYCLE_1)
	s_and_not1_b32 vcc_lo, exec_lo, s17
	s_cbranch_vccnz .LBB46_871
; %bb.870:
	s_wait_loadcnt 0x0
	global_load_b32 v2, v[0:1], off
	s_wait_loadcnt 0x0
	v_cvt_i32_f32_e32 v2, v2
.LBB46_871:
	s_mov_b32 s17, 0
.LBB46_872:
	s_delay_alu instid0(SALU_CYCLE_1)
	s_and_not1_b32 vcc_lo, exec_lo, s17
	s_cbranch_vccnz .LBB46_874
; %bb.873:
	s_wait_loadcnt 0x0
	global_load_u16 v2, v[0:1], off
	s_wait_loadcnt 0x0
	v_cvt_f32_f16_e32 v2, v2
	s_delay_alu instid0(VALU_DEP_1)
	v_cvt_i32_f32_e32 v2, v2
.LBB46_874:
	s_cbranch_execnz .LBB46_893
.LBB46_875:
	s_sext_i32_i16 s17, s3
	s_delay_alu instid0(SALU_CYCLE_1)
	s_cmp_lt_i32 s17, 2
	s_cbranch_scc1 .LBB46_879
; %bb.876:
	s_cmp_lt_i32 s17, 3
	s_cbranch_scc1 .LBB46_880
; %bb.877:
	s_cmp_gt_i32 s17, 3
	s_cbranch_scc0 .LBB46_881
; %bb.878:
	s_wait_loadcnt 0x0
	global_load_b32 v2, v[0:1], off
	s_mov_b32 s17, 0
	s_branch .LBB46_882
.LBB46_879:
                                        ; implicit-def: $vgpr2
	s_branch .LBB46_888
.LBB46_880:
	s_mov_b32 s17, -1
                                        ; implicit-def: $vgpr2
	s_branch .LBB46_885
.LBB46_881:
	s_mov_b32 s17, -1
                                        ; implicit-def: $vgpr2
.LBB46_882:
	s_delay_alu instid0(SALU_CYCLE_1)
	s_and_not1_b32 vcc_lo, exec_lo, s17
	s_cbranch_vccnz .LBB46_884
; %bb.883:
	s_wait_loadcnt 0x0
	global_load_b32 v2, v[0:1], off
.LBB46_884:
	s_mov_b32 s17, 0
.LBB46_885:
	s_delay_alu instid0(SALU_CYCLE_1)
	s_and_not1_b32 vcc_lo, exec_lo, s17
	s_cbranch_vccnz .LBB46_887
; %bb.886:
	s_wait_loadcnt 0x0
	global_load_i16 v2, v[0:1], off
.LBB46_887:
	s_cbranch_execnz .LBB46_893
.LBB46_888:
	s_sext_i32_i16 s17, s3
	s_delay_alu instid0(SALU_CYCLE_1)
	s_cmp_gt_i32 s17, 0
	s_mov_b32 s17, 0
	s_cbranch_scc0 .LBB46_890
; %bb.889:
	s_wait_loadcnt 0x0
	global_load_i8 v2, v[0:1], off
	s_branch .LBB46_891
.LBB46_890:
	s_mov_b32 s17, -1
                                        ; implicit-def: $vgpr2
.LBB46_891:
	s_delay_alu instid0(SALU_CYCLE_1)
	s_and_not1_b32 vcc_lo, exec_lo, s17
	s_cbranch_vccnz .LBB46_893
; %bb.892:
	s_wait_loadcnt 0x0
	global_load_u8 v2, v[0:1], off
.LBB46_893:
	s_or_b32 s0, s0, exec_lo
.LBB46_894:
	s_wait_xcnt 0x0
	s_or_b32 exec_lo, exec_lo, s16
	s_mov_b32 s20, 0
	s_mov_b32 s19, 0
                                        ; implicit-def: $sgpr16
                                        ; implicit-def: $sgpr17
                                        ; implicit-def: $vgpr0_vgpr1
	s_and_saveexec_b32 s18, s0
	s_cbranch_execz .LBB46_902
; %bb.895:
	v_mul_lo_u32 v0, v4, s8
	s_wait_loadcnt 0x0
	s_delay_alu instid0(VALU_DEP_2) | instskip(SKIP_3) | instid1(VALU_DEP_2)
	v_cmp_ne_u32_e32 vcc_lo, s11, v2
	s_and_b32 s17, s2, 0xff
	s_xor_b32 s16, s13, vcc_lo
	s_cmp_lt_i32 s17, 11
	v_ashrrev_i32_e32 v1, 31, v0
	s_delay_alu instid0(VALU_DEP_1)
	v_add_nc_u64_e32 v[0:1], s[4:5], v[0:1]
	s_cbranch_scc1 .LBB46_905
; %bb.896:
	s_and_b32 s13, 0xffff, s17
	s_mov_b32 s19, -1
	s_cmp_gt_i32 s13, 25
	s_mov_b32 s0, s15
	s_cbranch_scc0 .LBB46_933
; %bb.897:
	s_cmp_gt_i32 s13, 28
	s_mov_b32 s0, s15
	s_cbranch_scc0 .LBB46_917
; %bb.898:
	;; [unrolled: 4-line block ×4, first 2 shown]
	s_cmp_eq_u32 s13, 46
	s_mov_b32 s0, -1
	s_cbranch_scc0 .LBB46_906
; %bb.901:
	v_cndmask_b32_e64 v2, 0, 1.0, s16
	s_mov_b32 s0, 0
	s_mov_b32 s19, 0
	s_delay_alu instid0(VALU_DEP_1) | instskip(NEXT) | instid1(VALU_DEP_1)
	v_bfe_u32 v3, v2, 16, 1
	v_add3_u32 v2, v2, v3, 0x7fff
	s_delay_alu instid0(VALU_DEP_1)
	v_lshrrev_b32_e32 v2, 16, v2
	global_store_b32 v[0:1], v2, off
	s_branch .LBB46_907
.LBB46_902:
	s_or_b32 exec_lo, exec_lo, s18
	s_and_saveexec_b32 s0, s15
	s_cbranch_execnz .LBB46_975
.LBB46_903:
	s_or_b32 exec_lo, exec_lo, s0
	s_and_saveexec_b32 s0, s20
	s_delay_alu instid0(SALU_CYCLE_1)
	s_xor_b32 s0, exec_lo, s0
	s_cbranch_execz .LBB46_976
.LBB46_904:
	s_wait_loadcnt 0x0
	v_cndmask_b32_e64 v2, 0, 1, s16
	global_store_b8 v[0:1], v2, off
	s_wait_xcnt 0x0
	s_or_b32 exec_lo, exec_lo, s0
	s_and_saveexec_b32 s0, s19
	s_delay_alu instid0(SALU_CYCLE_1)
	s_xor_b32 s0, exec_lo, s0
	s_cbranch_execz .LBB46_1014
	s_branch .LBB46_977
.LBB46_905:
	s_mov_b32 s19, -1
	s_mov_b32 s0, s15
	s_branch .LBB46_974
.LBB46_906:
	s_mov_b32 s19, 0
.LBB46_907:
	s_delay_alu instid0(SALU_CYCLE_1)
	s_and_b32 vcc_lo, exec_lo, s19
	s_cbranch_vccz .LBB46_912
; %bb.908:
	s_cmp_eq_u32 s13, 44
	s_mov_b32 s0, -1
	s_cbranch_scc0 .LBB46_912
; %bb.909:
	v_cndmask_b32_e64 v4, 0, 1.0, s16
	s_mov_b32 s19, exec_lo
	s_wait_xcnt 0x0
	s_delay_alu instid0(VALU_DEP_1) | instskip(NEXT) | instid1(VALU_DEP_1)
	v_dual_mov_b32 v3, 0xff :: v_dual_lshrrev_b32 v2, 23, v4
	v_cmpx_ne_u32_e32 0xff, v2
; %bb.910:
	v_and_b32_e32 v3, 0x400000, v4
	v_and_or_b32 v4, 0x3fffff, v4, v2
	s_delay_alu instid0(VALU_DEP_2) | instskip(NEXT) | instid1(VALU_DEP_2)
	v_cmp_ne_u32_e32 vcc_lo, 0, v3
	v_cmp_ne_u32_e64 s0, 0, v4
	s_and_b32 s0, vcc_lo, s0
	s_delay_alu instid0(SALU_CYCLE_1) | instskip(NEXT) | instid1(VALU_DEP_1)
	v_cndmask_b32_e64 v3, 0, 1, s0
	v_add_nc_u32_e32 v3, v2, v3
; %bb.911:
	s_or_b32 exec_lo, exec_lo, s19
	s_mov_b32 s0, 0
	global_store_b8 v[0:1], v3, off
.LBB46_912:
	s_mov_b32 s19, 0
.LBB46_913:
	s_delay_alu instid0(SALU_CYCLE_1)
	s_and_b32 vcc_lo, exec_lo, s19
	s_cbranch_vccz .LBB46_916
; %bb.914:
	s_cmp_eq_u32 s13, 29
	s_mov_b32 s0, -1
	s_cbranch_scc0 .LBB46_916
; %bb.915:
	s_mov_b32 s0, 0
	s_wait_xcnt 0x0
	v_cndmask_b32_e64 v2, 0, 1, s16
	v_mov_b32_e32 v3, s0
	s_mov_b32 s19, 0
	global_store_b64 v[0:1], v[2:3], off
	s_branch .LBB46_917
.LBB46_916:
	s_mov_b32 s19, 0
.LBB46_917:
	s_delay_alu instid0(SALU_CYCLE_1)
	s_and_b32 vcc_lo, exec_lo, s19
	s_cbranch_vccz .LBB46_932
; %bb.918:
	s_cmp_lt_i32 s13, 27
	s_mov_b32 s19, -1
	s_cbranch_scc1 .LBB46_924
; %bb.919:
	s_wait_xcnt 0x0
	v_cndmask_b32_e64 v2, 0, 1, s16
	s_cmp_gt_i32 s13, 27
	s_cbranch_scc0 .LBB46_921
; %bb.920:
	s_mov_b32 s19, 0
	global_store_b32 v[0:1], v2, off
.LBB46_921:
	s_and_not1_b32 vcc_lo, exec_lo, s19
	s_cbranch_vccnz .LBB46_923
; %bb.922:
	global_store_b16 v[0:1], v2, off
.LBB46_923:
	s_mov_b32 s19, 0
.LBB46_924:
	s_delay_alu instid0(SALU_CYCLE_1)
	s_and_not1_b32 vcc_lo, exec_lo, s19
	s_cbranch_vccnz .LBB46_932
; %bb.925:
	s_wait_xcnt 0x0
	v_cndmask_b32_e64 v3, 0, 1.0, s16
	v_mov_b32_e32 v4, 0x80
	s_mov_b32 s19, exec_lo
	s_delay_alu instid0(VALU_DEP_2)
	v_cmpx_gt_u32_e32 0x43800000, v3
	s_cbranch_execz .LBB46_931
; %bb.926:
	s_mov_b32 s21, exec_lo
                                        ; implicit-def: $vgpr2
	v_cmpx_lt_u32_e32 0x3bffffff, v3
	s_xor_b32 s21, exec_lo, s21
	s_cbranch_execz .LBB46_1029
; %bb.927:
	v_bfe_u32 v2, v3, 20, 1
	s_mov_b32 s20, exec_lo
	s_delay_alu instid0(VALU_DEP_1) | instskip(NEXT) | instid1(VALU_DEP_1)
	v_add3_u32 v2, v3, v2, 0x487ffff
                                        ; implicit-def: $vgpr3
	v_lshrrev_b32_e32 v2, 20, v2
	s_and_not1_saveexec_b32 s21, s21
	s_cbranch_execnz .LBB46_1030
.LBB46_928:
	s_or_b32 exec_lo, exec_lo, s21
	v_mov_b32_e32 v4, 0
	s_and_saveexec_b32 s21, s20
.LBB46_929:
	v_mov_b32_e32 v4, v2
.LBB46_930:
	s_or_b32 exec_lo, exec_lo, s21
.LBB46_931:
	s_delay_alu instid0(SALU_CYCLE_1)
	s_or_b32 exec_lo, exec_lo, s19
	global_store_b8 v[0:1], v4, off
.LBB46_932:
	s_mov_b32 s19, 0
.LBB46_933:
	s_delay_alu instid0(SALU_CYCLE_1)
	s_and_b32 vcc_lo, exec_lo, s19
	s_mov_b32 s19, 0
	s_cbranch_vccz .LBB46_973
; %bb.934:
	s_cmp_gt_i32 s13, 22
	s_mov_b32 s20, -1
	s_cbranch_scc0 .LBB46_966
; %bb.935:
	s_cmp_lt_i32 s13, 24
	s_cbranch_scc1 .LBB46_955
; %bb.936:
	s_cmp_gt_i32 s13, 24
	s_cbranch_scc0 .LBB46_944
; %bb.937:
	s_wait_xcnt 0x0
	v_cndmask_b32_e64 v3, 0, 1.0, s16
	v_mov_b32_e32 v4, 0x80
	s_mov_b32 s20, exec_lo
	s_delay_alu instid0(VALU_DEP_2)
	v_cmpx_gt_u32_e32 0x47800000, v3
	s_cbranch_execz .LBB46_943
; %bb.938:
	s_mov_b32 s21, 0
	s_mov_b32 s22, exec_lo
                                        ; implicit-def: $vgpr2
	v_cmpx_lt_u32_e32 0x37ffffff, v3
	s_xor_b32 s22, exec_lo, s22
	s_cbranch_execz .LBB46_1150
; %bb.939:
	v_bfe_u32 v2, v3, 21, 1
	s_mov_b32 s21, exec_lo
	s_delay_alu instid0(VALU_DEP_1) | instskip(NEXT) | instid1(VALU_DEP_1)
	v_add3_u32 v2, v3, v2, 0x88fffff
                                        ; implicit-def: $vgpr3
	v_lshrrev_b32_e32 v2, 21, v2
	s_and_not1_saveexec_b32 s22, s22
	s_cbranch_execnz .LBB46_1151
.LBB46_940:
	s_or_b32 exec_lo, exec_lo, s22
	v_mov_b32_e32 v4, 0
	s_and_saveexec_b32 s22, s21
.LBB46_941:
	v_mov_b32_e32 v4, v2
.LBB46_942:
	s_or_b32 exec_lo, exec_lo, s22
.LBB46_943:
	s_delay_alu instid0(SALU_CYCLE_1)
	s_or_b32 exec_lo, exec_lo, s20
	s_mov_b32 s20, 0
	global_store_b8 v[0:1], v4, off
.LBB46_944:
	s_and_b32 vcc_lo, exec_lo, s20
	s_cbranch_vccz .LBB46_954
; %bb.945:
	s_wait_xcnt 0x0
	v_cndmask_b32_e64 v3, 0, 1.0, s16
	s_mov_b32 s20, exec_lo
                                        ; implicit-def: $vgpr2
	s_delay_alu instid0(VALU_DEP_1)
	v_cmpx_gt_u32_e32 0x43f00000, v3
	s_xor_b32 s20, exec_lo, s20
	s_cbranch_execz .LBB46_951
; %bb.946:
	s_mov_b32 s21, exec_lo
                                        ; implicit-def: $vgpr2
	v_cmpx_lt_u32_e32 0x3c7fffff, v3
	s_xor_b32 s21, exec_lo, s21
; %bb.947:
	v_bfe_u32 v2, v3, 20, 1
	s_delay_alu instid0(VALU_DEP_1) | instskip(NEXT) | instid1(VALU_DEP_1)
	v_add3_u32 v2, v3, v2, 0x407ffff
	v_and_b32_e32 v3, 0xff00000, v2
	v_lshrrev_b32_e32 v2, 20, v2
	s_delay_alu instid0(VALU_DEP_2) | instskip(NEXT) | instid1(VALU_DEP_2)
	v_cmp_ne_u32_e32 vcc_lo, 0x7f00000, v3
                                        ; implicit-def: $vgpr3
	v_cndmask_b32_e32 v2, 0x7e, v2, vcc_lo
; %bb.948:
	s_and_not1_saveexec_b32 s21, s21
; %bb.949:
	v_add_f32_e32 v2, 0x46800000, v3
; %bb.950:
	s_or_b32 exec_lo, exec_lo, s21
                                        ; implicit-def: $vgpr3
.LBB46_951:
	s_and_not1_saveexec_b32 s20, s20
; %bb.952:
	v_mov_b32_e32 v2, 0x7f
	v_cmp_lt_u32_e32 vcc_lo, 0x7f800000, v3
	s_delay_alu instid0(VALU_DEP_2)
	v_cndmask_b32_e32 v2, 0x7e, v2, vcc_lo
; %bb.953:
	s_or_b32 exec_lo, exec_lo, s20
	global_store_b8 v[0:1], v2, off
.LBB46_954:
	s_mov_b32 s20, 0
.LBB46_955:
	s_delay_alu instid0(SALU_CYCLE_1)
	s_and_not1_b32 vcc_lo, exec_lo, s20
	s_cbranch_vccnz .LBB46_965
; %bb.956:
	s_wait_xcnt 0x0
	v_cndmask_b32_e64 v3, 0, 1.0, s16
	s_mov_b32 s20, exec_lo
                                        ; implicit-def: $vgpr2
	s_delay_alu instid0(VALU_DEP_1)
	v_cmpx_gt_u32_e32 0x47800000, v3
	s_xor_b32 s20, exec_lo, s20
	s_cbranch_execz .LBB46_962
; %bb.957:
	s_mov_b32 s21, exec_lo
                                        ; implicit-def: $vgpr2
	v_cmpx_lt_u32_e32 0x387fffff, v3
	s_xor_b32 s21, exec_lo, s21
; %bb.958:
	v_bfe_u32 v2, v3, 21, 1
	s_delay_alu instid0(VALU_DEP_1) | instskip(NEXT) | instid1(VALU_DEP_1)
	v_add3_u32 v2, v3, v2, 0x80fffff
                                        ; implicit-def: $vgpr3
	v_lshrrev_b32_e32 v2, 21, v2
; %bb.959:
	s_and_not1_saveexec_b32 s21, s21
; %bb.960:
	v_add_f32_e32 v2, 0x43000000, v3
; %bb.961:
	s_or_b32 exec_lo, exec_lo, s21
                                        ; implicit-def: $vgpr3
.LBB46_962:
	s_and_not1_saveexec_b32 s20, s20
; %bb.963:
	v_mov_b32_e32 v2, 0x7f
	v_cmp_lt_u32_e32 vcc_lo, 0x7f800000, v3
	s_delay_alu instid0(VALU_DEP_2)
	v_cndmask_b32_e32 v2, 0x7c, v2, vcc_lo
; %bb.964:
	s_or_b32 exec_lo, exec_lo, s20
	global_store_b8 v[0:1], v2, off
.LBB46_965:
	s_mov_b32 s20, 0
.LBB46_966:
	s_delay_alu instid0(SALU_CYCLE_1)
	s_and_not1_b32 vcc_lo, exec_lo, s20
	s_mov_b32 s20, 0
	s_cbranch_vccnz .LBB46_974
; %bb.967:
	s_cmp_gt_i32 s13, 14
	s_mov_b32 s20, -1
	s_cbranch_scc0 .LBB46_971
; %bb.968:
	s_cmp_eq_u32 s13, 15
	s_mov_b32 s0, -1
	s_cbranch_scc0 .LBB46_970
; %bb.969:
	s_wait_xcnt 0x0
	v_cndmask_b32_e64 v2, 0, 1.0, s16
	s_mov_b32 s0, 0
	s_delay_alu instid0(VALU_DEP_1) | instskip(NEXT) | instid1(VALU_DEP_1)
	v_bfe_u32 v3, v2, 16, 1
	v_add3_u32 v2, v2, v3, 0x7fff
	global_store_d16_hi_b16 v[0:1], v2, off
.LBB46_970:
	s_mov_b32 s20, 0
.LBB46_971:
	s_delay_alu instid0(SALU_CYCLE_1)
	s_and_b32 vcc_lo, exec_lo, s20
	s_mov_b32 s20, 0
	s_cbranch_vccz .LBB46_974
; %bb.972:
	s_cmp_lg_u32 s13, 11
	s_mov_b32 s20, -1
	s_cselect_b32 s13, -1, 0
	s_and_not1_b32 s0, s0, exec_lo
	s_and_b32 s13, s13, exec_lo
	s_delay_alu instid0(SALU_CYCLE_1)
	s_or_b32 s0, s0, s13
	s_branch .LBB46_974
.LBB46_973:
	s_mov_b32 s20, 0
.LBB46_974:
	s_and_not1_b32 s13, s15, exec_lo
	s_and_b32 s0, s0, exec_lo
	s_and_b32 s19, s19, exec_lo
	;; [unrolled: 1-line block ×3, first 2 shown]
	s_or_b32 s15, s13, s0
	s_wait_xcnt 0x0
	s_or_b32 exec_lo, exec_lo, s18
	s_and_saveexec_b32 s0, s15
	s_cbranch_execz .LBB46_903
.LBB46_975:
	s_or_b32 s14, s14, exec_lo
	s_and_not1_b32 s20, s20, exec_lo
	s_trap 2
	s_or_b32 exec_lo, exec_lo, s0
	s_and_saveexec_b32 s0, s20
	s_delay_alu instid0(SALU_CYCLE_1)
	s_xor_b32 s0, exec_lo, s0
	s_cbranch_execnz .LBB46_904
.LBB46_976:
	s_or_b32 exec_lo, exec_lo, s0
	s_and_saveexec_b32 s0, s19
	s_delay_alu instid0(SALU_CYCLE_1)
	s_xor_b32 s0, exec_lo, s0
	s_cbranch_execz .LBB46_1014
.LBB46_977:
	s_sext_i32_i16 s15, s17
	s_mov_b32 s13, -1
	s_cmp_lt_i32 s15, 5
	s_cbranch_scc1 .LBB46_998
; %bb.978:
	s_cmp_lt_i32 s15, 8
	s_cbranch_scc1 .LBB46_988
; %bb.979:
	;; [unrolled: 3-line block ×3, first 2 shown]
	s_cmp_gt_i32 s15, 9
	s_cbranch_scc0 .LBB46_982
; %bb.981:
	s_wait_loadcnt 0x0
	v_cndmask_b32_e64 v2, 0, 1, s16
	v_mov_b32_e32 v4, 0
	s_mov_b32 s13, 0
	s_delay_alu instid0(VALU_DEP_2) | instskip(NEXT) | instid1(VALU_DEP_2)
	v_cvt_f64_u32_e32 v[2:3], v2
	v_mov_b32_e32 v5, v4
	global_store_b128 v[0:1], v[2:5], off
.LBB46_982:
	s_and_not1_b32 vcc_lo, exec_lo, s13
	s_cbranch_vccnz .LBB46_984
; %bb.983:
	s_wait_loadcnt 0x0
	v_cndmask_b32_e64 v2, 0, 1.0, s16
	v_mov_b32_e32 v3, 0
	global_store_b64 v[0:1], v[2:3], off
.LBB46_984:
	s_mov_b32 s13, 0
.LBB46_985:
	s_delay_alu instid0(SALU_CYCLE_1)
	s_and_not1_b32 vcc_lo, exec_lo, s13
	s_cbranch_vccnz .LBB46_987
; %bb.986:
	s_wait_loadcnt 0x0
	v_cndmask_b32_e64 v2, 0, 1.0, s16
	s_delay_alu instid0(VALU_DEP_1) | instskip(NEXT) | instid1(VALU_DEP_1)
	v_cvt_f16_f32_e32 v2, v2
	v_and_b32_e32 v2, 0xffff, v2
	global_store_b32 v[0:1], v2, off
.LBB46_987:
	s_mov_b32 s13, 0
.LBB46_988:
	s_delay_alu instid0(SALU_CYCLE_1)
	s_and_not1_b32 vcc_lo, exec_lo, s13
	s_cbranch_vccnz .LBB46_997
; %bb.989:
	s_sext_i32_i16 s15, s17
	s_mov_b32 s13, -1
	s_cmp_lt_i32 s15, 6
	s_cbranch_scc1 .LBB46_995
; %bb.990:
	s_cmp_gt_i32 s15, 6
	s_cbranch_scc0 .LBB46_992
; %bb.991:
	s_wait_loadcnt 0x0
	v_cndmask_b32_e64 v2, 0, 1, s16
	s_mov_b32 s13, 0
	s_delay_alu instid0(VALU_DEP_1)
	v_cvt_f64_u32_e32 v[2:3], v2
	global_store_b64 v[0:1], v[2:3], off
.LBB46_992:
	s_and_not1_b32 vcc_lo, exec_lo, s13
	s_cbranch_vccnz .LBB46_994
; %bb.993:
	s_wait_loadcnt 0x0
	v_cndmask_b32_e64 v2, 0, 1.0, s16
	global_store_b32 v[0:1], v2, off
.LBB46_994:
	s_mov_b32 s13, 0
.LBB46_995:
	s_delay_alu instid0(SALU_CYCLE_1)
	s_and_not1_b32 vcc_lo, exec_lo, s13
	s_cbranch_vccnz .LBB46_997
; %bb.996:
	s_wait_loadcnt 0x0
	v_cndmask_b32_e64 v2, 0, 1.0, s16
	s_delay_alu instid0(VALU_DEP_1)
	v_cvt_f16_f32_e32 v2, v2
	global_store_b16 v[0:1], v2, off
.LBB46_997:
	s_mov_b32 s13, 0
.LBB46_998:
	s_delay_alu instid0(SALU_CYCLE_1)
	s_and_not1_b32 vcc_lo, exec_lo, s13
	s_cbranch_vccnz .LBB46_1014
; %bb.999:
	s_sext_i32_i16 s15, s17
	s_mov_b32 s13, -1
	s_cmp_lt_i32 s15, 2
	s_cbranch_scc1 .LBB46_1009
; %bb.1000:
	s_cmp_lt_i32 s15, 3
	s_cbranch_scc1 .LBB46_1006
; %bb.1001:
	s_cmp_gt_i32 s15, 3
	s_cbranch_scc0 .LBB46_1003
; %bb.1002:
	s_mov_b32 s13, 0
	s_wait_loadcnt 0x0
	v_cndmask_b32_e64 v2, 0, 1, s16
	v_mov_b32_e32 v3, s13
	global_store_b64 v[0:1], v[2:3], off
.LBB46_1003:
	s_and_not1_b32 vcc_lo, exec_lo, s13
	s_cbranch_vccnz .LBB46_1005
; %bb.1004:
	s_wait_loadcnt 0x0
	v_cndmask_b32_e64 v2, 0, 1, s16
	global_store_b32 v[0:1], v2, off
.LBB46_1005:
	s_mov_b32 s13, 0
.LBB46_1006:
	s_delay_alu instid0(SALU_CYCLE_1)
	s_and_not1_b32 vcc_lo, exec_lo, s13
	s_cbranch_vccnz .LBB46_1008
; %bb.1007:
	s_wait_loadcnt 0x0
	v_cndmask_b32_e64 v2, 0, 1, s16
	global_store_b16 v[0:1], v2, off
.LBB46_1008:
	s_mov_b32 s13, 0
.LBB46_1009:
	s_delay_alu instid0(SALU_CYCLE_1)
	s_and_not1_b32 vcc_lo, exec_lo, s13
	s_cbranch_vccnz .LBB46_1014
; %bb.1010:
	s_wait_loadcnt 0x0
	v_cndmask_b32_e64 v2, 0, 1, s16
	s_sext_i32_i16 s13, s17
	s_delay_alu instid0(SALU_CYCLE_1)
	s_cmp_gt_i32 s13, 0
	s_mov_b32 s13, -1
	s_cbranch_scc0 .LBB46_1012
; %bb.1011:
	s_mov_b32 s13, 0
	global_store_b8 v[0:1], v2, off
.LBB46_1012:
	s_and_not1_b32 vcc_lo, exec_lo, s13
	s_cbranch_vccnz .LBB46_1014
; %bb.1013:
	global_store_b8 v[0:1], v2, off
.LBB46_1014:
	s_wait_xcnt 0x0
	s_or_b32 exec_lo, exec_lo, s0
	s_delay_alu instid0(SALU_CYCLE_1)
	s_and_b32 s13, s14, exec_lo
                                        ; implicit-def: $vgpr4
.LBB46_1015:
	s_or_saveexec_b32 s12, s12
	s_mov_b32 s0, 0
                                        ; implicit-def: $sgpr15
                                        ; implicit-def: $sgpr14
                                        ; implicit-def: $vgpr0_vgpr1
	s_xor_b32 exec_lo, exec_lo, s12
	s_cbranch_execz .LBB46_1949
; %bb.1016:
	v_mul_lo_u32 v0, s9, v4
	s_and_b32 s0, 0xffff, s3
	s_delay_alu instid0(SALU_CYCLE_1) | instskip(NEXT) | instid1(VALU_DEP_1)
	s_cmp_lt_i32 s0, 11
	v_ashrrev_i32_e32 v1, 31, v0
	s_wait_loadcnt 0x0
	s_delay_alu instid0(VALU_DEP_1)
	v_add_nc_u64_e32 v[2:3], s[6:7], v[0:1]
	s_cbranch_scc1 .LBB46_1023
; %bb.1017:
	s_cmp_gt_i32 s0, 25
	s_mov_b32 s3, 0
	s_cbranch_scc0 .LBB46_1025
; %bb.1018:
	s_cmp_gt_i32 s0, 28
	s_cbranch_scc0 .LBB46_1026
; %bb.1019:
	s_cmp_gt_i32 s0, 43
	;; [unrolled: 3-line block ×3, first 2 shown]
	s_cbranch_scc0 .LBB46_1028
; %bb.1021:
	s_cmp_eq_u32 s0, 46
	s_mov_b32 s15, 0
	s_cbranch_scc0 .LBB46_1031
; %bb.1022:
	global_load_b32 v1, v[2:3], off
	s_mov_b32 s14, -1
	s_wait_loadcnt 0x0
	v_lshlrev_b32_e32 v1, 16, v1
	s_delay_alu instid0(VALU_DEP_1)
	v_cvt_i32_f32_e32 v8, v1
	s_branch .LBB46_1033
.LBB46_1023:
	s_mov_b32 s14, 0
	s_mov_b32 s1, s13
                                        ; implicit-def: $vgpr8
	s_cbranch_execnz .LBB46_1091
.LBB46_1024:
	s_and_not1_b32 vcc_lo, exec_lo, s14
	s_cbranch_vccz .LBB46_1136
	s_branch .LBB46_1947
.LBB46_1025:
	s_mov_b32 s14, 0
                                        ; implicit-def: $vgpr8
	s_cbranch_execnz .LBB46_1058
	s_branch .LBB46_1087
.LBB46_1026:
	s_mov_b32 s14, 0
                                        ; implicit-def: $vgpr8
	s_cbranch_execz .LBB46_1057
	s_branch .LBB46_1042
.LBB46_1027:
	s_mov_b32 s14, 0
                                        ; implicit-def: $vgpr8
	s_cbranch_execnz .LBB46_1038
	s_branch .LBB46_1041
.LBB46_1028:
	s_mov_b32 s15, -1
	s_branch .LBB46_1032
.LBB46_1029:
	s_and_not1_saveexec_b32 s21, s21
	s_cbranch_execz .LBB46_928
.LBB46_1030:
	v_add_f32_e32 v2, 0x46000000, v3
	s_and_not1_b32 s20, s20, exec_lo
	s_delay_alu instid0(VALU_DEP_1) | instskip(NEXT) | instid1(VALU_DEP_1)
	v_and_b32_e32 v2, 0xff, v2
	v_cmp_ne_u32_e32 vcc_lo, 0, v2
	s_and_b32 s22, vcc_lo, exec_lo
	s_delay_alu instid0(SALU_CYCLE_1)
	s_or_b32 s20, s20, s22
	s_or_b32 exec_lo, exec_lo, s21
	v_mov_b32_e32 v4, 0
	s_and_saveexec_b32 s21, s20
	s_cbranch_execnz .LBB46_929
	s_branch .LBB46_930
.LBB46_1031:
	s_mov_b32 s1, -1
.LBB46_1032:
	s_mov_b32 s14, 0
                                        ; implicit-def: $vgpr8
.LBB46_1033:
	s_and_b32 vcc_lo, exec_lo, s15
	s_cbranch_vccz .LBB46_1036
; %bb.1034:
	s_cmp_eq_u32 s0, 44
	s_cbranch_scc0 .LBB46_1037
; %bb.1035:
	global_load_u8 v1, v[2:3], off
	s_mov_b32 s1, 0
	s_mov_b32 s14, -1
	s_wait_loadcnt 0x0
	v_lshlrev_b32_e32 v5, 23, v1
	v_cmp_ne_u32_e32 vcc_lo, 0, v1
	s_delay_alu instid0(VALU_DEP_2) | instskip(NEXT) | instid1(VALU_DEP_1)
	v_cvt_i32_f32_e32 v5, v5
	v_cndmask_b32_e32 v8, 0, v5, vcc_lo
.LBB46_1036:
	s_branch .LBB46_1041
.LBB46_1037:
	s_mov_b32 s1, -1
                                        ; implicit-def: $vgpr8
	s_branch .LBB46_1041
.LBB46_1038:
	s_cmp_eq_u32 s0, 29
	s_cbranch_scc0 .LBB46_1040
; %bb.1039:
	global_load_b32 v8, v[2:3], off
	s_mov_b32 s1, 0
	s_mov_b32 s14, -1
	s_branch .LBB46_1041
.LBB46_1040:
	s_mov_b32 s1, -1
                                        ; implicit-def: $vgpr8
.LBB46_1041:
	s_branch .LBB46_1057
.LBB46_1042:
	s_cmp_lt_i32 s0, 27
	s_cbranch_scc1 .LBB46_1045
; %bb.1043:
	s_cmp_gt_i32 s0, 27
	s_cbranch_scc0 .LBB46_1046
; %bb.1044:
	s_wait_loadcnt 0x0
	global_load_b32 v8, v[2:3], off
	s_mov_b32 s14, 0
	s_branch .LBB46_1047
.LBB46_1045:
	s_mov_b32 s14, -1
                                        ; implicit-def: $vgpr8
	s_branch .LBB46_1050
.LBB46_1046:
	s_mov_b32 s14, -1
                                        ; implicit-def: $vgpr8
.LBB46_1047:
	s_delay_alu instid0(SALU_CYCLE_1)
	s_and_not1_b32 vcc_lo, exec_lo, s14
	s_cbranch_vccnz .LBB46_1049
; %bb.1048:
	s_wait_loadcnt 0x0
	global_load_u16 v8, v[2:3], off
.LBB46_1049:
	s_mov_b32 s14, 0
.LBB46_1050:
	s_delay_alu instid0(SALU_CYCLE_1)
	s_and_not1_b32 vcc_lo, exec_lo, s14
	s_cbranch_vccnz .LBB46_1056
; %bb.1051:
	global_load_u8 v1, v[2:3], off
	s_mov_b32 s15, 0
	s_mov_b32 s14, exec_lo
	s_wait_loadcnt 0x0
	v_cmpx_lt_i16_e32 0x7f, v1
	s_xor_b32 s14, exec_lo, s14
	s_cbranch_execz .LBB46_1067
; %bb.1052:
	v_cmp_ne_u16_e32 vcc_lo, 0x80, v1
	s_and_b32 s15, vcc_lo, exec_lo
	s_and_not1_saveexec_b32 s14, s14
	s_cbranch_execnz .LBB46_1068
.LBB46_1053:
	s_or_b32 exec_lo, exec_lo, s14
	v_mov_b32_e32 v8, 0
	s_and_saveexec_b32 s14, s15
	s_cbranch_execz .LBB46_1055
.LBB46_1054:
	v_and_b32_e32 v5, 0xffff, v1
	s_delay_alu instid0(VALU_DEP_1) | instskip(SKIP_1) | instid1(VALU_DEP_2)
	v_and_b32_e32 v6, 7, v5
	v_bfe_u32 v9, v5, 3, 4
	v_clz_i32_u32_e32 v7, v6
	s_delay_alu instid0(VALU_DEP_2) | instskip(NEXT) | instid1(VALU_DEP_2)
	v_cmp_eq_u32_e32 vcc_lo, 0, v9
	v_min_u32_e32 v7, 32, v7
	s_delay_alu instid0(VALU_DEP_1) | instskip(NEXT) | instid1(VALU_DEP_1)
	v_subrev_nc_u32_e32 v8, 28, v7
	v_dual_lshlrev_b32 v5, v8, v5 :: v_dual_sub_nc_u32 v7, 29, v7
	s_delay_alu instid0(VALU_DEP_1) | instskip(NEXT) | instid1(VALU_DEP_2)
	v_and_b32_e32 v5, 7, v5
	v_dual_lshlrev_b32 v1, 24, v1 :: v_dual_cndmask_b32 v7, v9, v7, vcc_lo
	s_delay_alu instid0(VALU_DEP_2) | instskip(NEXT) | instid1(VALU_DEP_2)
	v_cndmask_b32_e32 v5, v6, v5, vcc_lo
	v_and_b32_e32 v1, 0x80000000, v1
	s_delay_alu instid0(VALU_DEP_3) | instskip(NEXT) | instid1(VALU_DEP_3)
	v_lshl_add_u32 v6, v7, 23, 0x3b800000
	v_lshlrev_b32_e32 v5, 20, v5
	s_delay_alu instid0(VALU_DEP_1) | instskip(NEXT) | instid1(VALU_DEP_1)
	v_or3_b32 v1, v1, v6, v5
	v_cvt_i32_f32_e32 v8, v1
.LBB46_1055:
	s_or_b32 exec_lo, exec_lo, s14
.LBB46_1056:
	s_mov_b32 s14, -1
.LBB46_1057:
	s_branch .LBB46_1087
.LBB46_1058:
	s_cmp_gt_i32 s0, 22
	s_cbranch_scc0 .LBB46_1066
; %bb.1059:
	s_cmp_lt_i32 s0, 24
	s_cbranch_scc1 .LBB46_1069
; %bb.1060:
	s_cmp_gt_i32 s0, 24
	s_cbranch_scc0 .LBB46_1070
; %bb.1061:
	global_load_u8 v1, v[2:3], off
	s_mov_b32 s14, 0
	s_mov_b32 s3, exec_lo
	s_wait_loadcnt 0x0
	v_cmpx_lt_i16_e32 0x7f, v1
	s_xor_b32 s3, exec_lo, s3
	s_cbranch_execz .LBB46_1081
; %bb.1062:
	v_cmp_ne_u16_e32 vcc_lo, 0x80, v1
	s_and_b32 s14, vcc_lo, exec_lo
	s_and_not1_saveexec_b32 s3, s3
	s_cbranch_execnz .LBB46_1082
.LBB46_1063:
	s_or_b32 exec_lo, exec_lo, s3
	v_mov_b32_e32 v8, 0
	s_and_saveexec_b32 s3, s14
	s_cbranch_execz .LBB46_1065
.LBB46_1064:
	v_and_b32_e32 v5, 0xffff, v1
	s_delay_alu instid0(VALU_DEP_1) | instskip(SKIP_1) | instid1(VALU_DEP_2)
	v_and_b32_e32 v6, 3, v5
	v_bfe_u32 v9, v5, 2, 5
	v_clz_i32_u32_e32 v7, v6
	s_delay_alu instid0(VALU_DEP_2) | instskip(NEXT) | instid1(VALU_DEP_2)
	v_cmp_eq_u32_e32 vcc_lo, 0, v9
	v_min_u32_e32 v7, 32, v7
	s_delay_alu instid0(VALU_DEP_1) | instskip(NEXT) | instid1(VALU_DEP_1)
	v_subrev_nc_u32_e32 v8, 29, v7
	v_dual_lshlrev_b32 v5, v8, v5 :: v_dual_sub_nc_u32 v7, 30, v7
	s_delay_alu instid0(VALU_DEP_1) | instskip(NEXT) | instid1(VALU_DEP_2)
	v_and_b32_e32 v5, 3, v5
	v_dual_lshlrev_b32 v1, 24, v1 :: v_dual_cndmask_b32 v7, v9, v7, vcc_lo
	s_delay_alu instid0(VALU_DEP_2) | instskip(NEXT) | instid1(VALU_DEP_2)
	v_cndmask_b32_e32 v5, v6, v5, vcc_lo
	v_and_b32_e32 v1, 0x80000000, v1
	s_delay_alu instid0(VALU_DEP_3) | instskip(NEXT) | instid1(VALU_DEP_3)
	v_lshl_add_u32 v6, v7, 23, 0x37800000
	v_lshlrev_b32_e32 v5, 21, v5
	s_delay_alu instid0(VALU_DEP_1) | instskip(NEXT) | instid1(VALU_DEP_1)
	v_or3_b32 v1, v1, v6, v5
	v_cvt_i32_f32_e32 v8, v1
.LBB46_1065:
	s_or_b32 exec_lo, exec_lo, s3
	s_mov_b32 s3, 0
	s_branch .LBB46_1071
.LBB46_1066:
                                        ; implicit-def: $vgpr8
	s_mov_b32 s3, 0
	s_branch .LBB46_1077
.LBB46_1067:
	s_and_not1_saveexec_b32 s14, s14
	s_cbranch_execz .LBB46_1053
.LBB46_1068:
	v_cmp_ne_u16_e32 vcc_lo, 0, v1
	s_and_not1_b32 s15, s15, exec_lo
	s_and_b32 s16, vcc_lo, exec_lo
	s_delay_alu instid0(SALU_CYCLE_1)
	s_or_b32 s15, s15, s16
	s_or_b32 exec_lo, exec_lo, s14
	v_mov_b32_e32 v8, 0
	s_and_saveexec_b32 s14, s15
	s_cbranch_execnz .LBB46_1054
	s_branch .LBB46_1055
.LBB46_1069:
	s_mov_b32 s3, -1
                                        ; implicit-def: $vgpr8
	s_branch .LBB46_1074
.LBB46_1070:
	s_mov_b32 s3, -1
                                        ; implicit-def: $vgpr8
.LBB46_1071:
	s_delay_alu instid0(SALU_CYCLE_1)
	s_and_b32 vcc_lo, exec_lo, s3
	s_cbranch_vccz .LBB46_1073
; %bb.1072:
	global_load_u8 v1, v[2:3], off
	s_wait_loadcnt 0x0
	v_lshlrev_b32_e32 v1, 24, v1
	s_delay_alu instid0(VALU_DEP_1) | instskip(NEXT) | instid1(VALU_DEP_1)
	v_and_b32_e32 v5, 0x7f000000, v1
	v_clz_i32_u32_e32 v6, v5
	v_cmp_ne_u32_e32 vcc_lo, 0, v5
	v_add_nc_u32_e32 v8, 0x1000000, v5
	s_delay_alu instid0(VALU_DEP_3) | instskip(NEXT) | instid1(VALU_DEP_1)
	v_min_u32_e32 v6, 32, v6
	v_sub_nc_u32_e64 v6, v6, 4 clamp
	s_delay_alu instid0(VALU_DEP_1) | instskip(NEXT) | instid1(VALU_DEP_1)
	v_dual_lshlrev_b32 v7, v6, v5 :: v_dual_lshlrev_b32 v6, 23, v6
	v_lshrrev_b32_e32 v7, 4, v7
	s_delay_alu instid0(VALU_DEP_1) | instskip(NEXT) | instid1(VALU_DEP_1)
	v_dual_sub_nc_u32 v6, v7, v6 :: v_dual_ashrrev_i32 v7, 8, v8
	v_add_nc_u32_e32 v6, 0x3c000000, v6
	s_delay_alu instid0(VALU_DEP_1) | instskip(NEXT) | instid1(VALU_DEP_1)
	v_and_or_b32 v6, 0x7f800000, v7, v6
	v_cndmask_b32_e32 v5, 0, v6, vcc_lo
	s_delay_alu instid0(VALU_DEP_1) | instskip(NEXT) | instid1(VALU_DEP_1)
	v_and_or_b32 v1, 0x80000000, v1, v5
	v_cvt_i32_f32_e32 v8, v1
.LBB46_1073:
	s_mov_b32 s3, 0
.LBB46_1074:
	s_delay_alu instid0(SALU_CYCLE_1)
	s_and_not1_b32 vcc_lo, exec_lo, s3
	s_cbranch_vccnz .LBB46_1076
; %bb.1075:
	global_load_u8 v1, v[2:3], off
	s_wait_loadcnt 0x0
	v_lshlrev_b32_e32 v5, 25, v1
	v_lshlrev_b16 v1, 8, v1
	s_delay_alu instid0(VALU_DEP_1) | instskip(SKIP_1) | instid1(VALU_DEP_2)
	v_and_or_b32 v7, 0x7f00, v1, 0.5
	v_bfe_i32 v1, v1, 0, 16
	v_dual_add_f32 v7, -0.5, v7 :: v_dual_lshrrev_b32 v6, 4, v5
	v_cmp_gt_u32_e32 vcc_lo, 0x8000000, v5
	s_delay_alu instid0(VALU_DEP_2) | instskip(NEXT) | instid1(VALU_DEP_1)
	v_or_b32_e32 v6, 0x70000000, v6
	v_mul_f32_e32 v6, 0x7800000, v6
	s_delay_alu instid0(VALU_DEP_1) | instskip(NEXT) | instid1(VALU_DEP_1)
	v_cndmask_b32_e32 v5, v6, v7, vcc_lo
	v_and_or_b32 v1, 0x80000000, v1, v5
	s_delay_alu instid0(VALU_DEP_1)
	v_cvt_i32_f32_e32 v8, v1
.LBB46_1076:
	s_mov_b32 s14, -1
	s_mov_b32 s3, 0
	s_cbranch_execnz .LBB46_1087
.LBB46_1077:
	s_cmp_gt_i32 s0, 14
	s_cbranch_scc0 .LBB46_1080
; %bb.1078:
	s_cmp_eq_u32 s0, 15
	s_cbranch_scc0 .LBB46_1083
; %bb.1079:
	global_load_u16 v1, v[2:3], off
	s_mov_b32 s1, 0
	s_mov_b32 s14, -1
	s_wait_loadcnt 0x0
	v_lshlrev_b32_e32 v1, 16, v1
	s_delay_alu instid0(VALU_DEP_1)
	v_cvt_i32_f32_e32 v8, v1
	s_branch .LBB46_1085
.LBB46_1080:
	s_mov_b32 s3, -1
	s_branch .LBB46_1084
.LBB46_1081:
	s_and_not1_saveexec_b32 s3, s3
	s_cbranch_execz .LBB46_1063
.LBB46_1082:
	v_cmp_ne_u16_e32 vcc_lo, 0, v1
	s_and_not1_b32 s14, s14, exec_lo
	s_and_b32 s15, vcc_lo, exec_lo
	s_delay_alu instid0(SALU_CYCLE_1)
	s_or_b32 s14, s14, s15
	s_or_b32 exec_lo, exec_lo, s3
	v_mov_b32_e32 v8, 0
	s_and_saveexec_b32 s3, s14
	s_cbranch_execnz .LBB46_1064
	s_branch .LBB46_1065
.LBB46_1083:
	s_mov_b32 s1, -1
.LBB46_1084:
                                        ; implicit-def: $vgpr8
.LBB46_1085:
	s_and_b32 vcc_lo, exec_lo, s3
	s_mov_b32 s3, 0
	s_cbranch_vccz .LBB46_1087
; %bb.1086:
	s_cmp_lg_u32 s0, 11
	s_mov_b32 s3, -1
	s_cselect_b32 s1, -1, 0
.LBB46_1087:
	s_delay_alu instid0(SALU_CYCLE_1)
	s_and_b32 vcc_lo, exec_lo, s1
	s_mov_b32 s1, s13
	s_cbranch_vccnz .LBB46_1148
; %bb.1088:
	s_and_not1_b32 vcc_lo, exec_lo, s3
	s_cbranch_vccnz .LBB46_1090
.LBB46_1089:
	global_load_u8 v1, v[2:3], off
	s_mov_b32 s14, -1
	s_wait_loadcnt 0x0
	v_cmp_ne_u16_e32 vcc_lo, 0, v1
	v_cndmask_b32_e64 v8, 0, 1, vcc_lo
.LBB46_1090:
	s_branch .LBB46_1024
.LBB46_1091:
	s_cmp_lt_i32 s0, 5
	s_cbranch_scc1 .LBB46_1096
; %bb.1092:
	s_cmp_lt_i32 s0, 8
	s_cbranch_scc1 .LBB46_1097
; %bb.1093:
	;; [unrolled: 3-line block ×3, first 2 shown]
	s_cmp_gt_i32 s0, 9
	s_cbranch_scc0 .LBB46_1099
; %bb.1095:
	global_load_b64 v[6:7], v[2:3], off
	s_mov_b32 s3, 0
	s_wait_loadcnt 0x0
	v_cvt_i32_f64_e32 v8, v[6:7]
	s_branch .LBB46_1100
.LBB46_1096:
                                        ; implicit-def: $vgpr8
	s_branch .LBB46_1117
.LBB46_1097:
                                        ; implicit-def: $vgpr8
	s_branch .LBB46_1106
.LBB46_1098:
	s_mov_b32 s3, -1
                                        ; implicit-def: $vgpr8
	s_branch .LBB46_1103
.LBB46_1099:
	s_mov_b32 s3, -1
                                        ; implicit-def: $vgpr8
.LBB46_1100:
	s_delay_alu instid0(SALU_CYCLE_1)
	s_and_not1_b32 vcc_lo, exec_lo, s3
	s_cbranch_vccnz .LBB46_1102
; %bb.1101:
	global_load_b32 v1, v[2:3], off
	s_wait_loadcnt 0x0
	v_cvt_i32_f32_e32 v8, v1
.LBB46_1102:
	s_mov_b32 s3, 0
.LBB46_1103:
	s_delay_alu instid0(SALU_CYCLE_1)
	s_and_not1_b32 vcc_lo, exec_lo, s3
	s_cbranch_vccnz .LBB46_1105
; %bb.1104:
	global_load_b32 v1, v[2:3], off
	s_wait_loadcnt 0x0
	v_cvt_f32_f16_e32 v1, v1
	s_delay_alu instid0(VALU_DEP_1)
	v_cvt_i32_f32_e32 v8, v1
.LBB46_1105:
	s_cbranch_execnz .LBB46_1116
.LBB46_1106:
	s_cmp_lt_i32 s0, 6
	s_cbranch_scc1 .LBB46_1109
; %bb.1107:
	s_cmp_gt_i32 s0, 6
	s_cbranch_scc0 .LBB46_1110
; %bb.1108:
	global_load_b64 v[6:7], v[2:3], off
	s_mov_b32 s3, 0
	s_wait_loadcnt 0x0
	v_cvt_i32_f64_e32 v8, v[6:7]
	s_branch .LBB46_1111
.LBB46_1109:
	s_mov_b32 s3, -1
                                        ; implicit-def: $vgpr8
	s_branch .LBB46_1114
.LBB46_1110:
	s_mov_b32 s3, -1
                                        ; implicit-def: $vgpr8
.LBB46_1111:
	s_delay_alu instid0(SALU_CYCLE_1)
	s_and_not1_b32 vcc_lo, exec_lo, s3
	s_cbranch_vccnz .LBB46_1113
; %bb.1112:
	global_load_b32 v1, v[2:3], off
	s_wait_loadcnt 0x0
	v_cvt_i32_f32_e32 v8, v1
.LBB46_1113:
	s_mov_b32 s3, 0
.LBB46_1114:
	s_delay_alu instid0(SALU_CYCLE_1)
	s_and_not1_b32 vcc_lo, exec_lo, s3
	s_cbranch_vccnz .LBB46_1116
; %bb.1115:
	global_load_u16 v1, v[2:3], off
	s_wait_loadcnt 0x0
	v_cvt_f32_f16_e32 v1, v1
	s_delay_alu instid0(VALU_DEP_1)
	v_cvt_i32_f32_e32 v8, v1
.LBB46_1116:
	s_cbranch_execnz .LBB46_1135
.LBB46_1117:
	s_cmp_lt_i32 s0, 2
	s_cbranch_scc1 .LBB46_1121
; %bb.1118:
	s_cmp_lt_i32 s0, 3
	s_cbranch_scc1 .LBB46_1122
; %bb.1119:
	s_cmp_gt_i32 s0, 3
	s_cbranch_scc0 .LBB46_1123
; %bb.1120:
	s_wait_loadcnt 0x0
	global_load_b32 v8, v[2:3], off
	s_mov_b32 s3, 0
	s_branch .LBB46_1124
.LBB46_1121:
                                        ; implicit-def: $vgpr8
	s_branch .LBB46_1130
.LBB46_1122:
	s_mov_b32 s3, -1
                                        ; implicit-def: $vgpr8
	s_branch .LBB46_1127
.LBB46_1123:
	s_mov_b32 s3, -1
                                        ; implicit-def: $vgpr8
.LBB46_1124:
	s_delay_alu instid0(SALU_CYCLE_1)
	s_and_not1_b32 vcc_lo, exec_lo, s3
	s_cbranch_vccnz .LBB46_1126
; %bb.1125:
	s_wait_loadcnt 0x0
	global_load_b32 v8, v[2:3], off
.LBB46_1126:
	s_mov_b32 s3, 0
.LBB46_1127:
	s_delay_alu instid0(SALU_CYCLE_1)
	s_and_not1_b32 vcc_lo, exec_lo, s3
	s_cbranch_vccnz .LBB46_1129
; %bb.1128:
	s_wait_loadcnt 0x0
	global_load_i16 v8, v[2:3], off
.LBB46_1129:
	s_cbranch_execnz .LBB46_1135
.LBB46_1130:
	s_cmp_gt_i32 s0, 0
	s_mov_b32 s3, 0
	s_cbranch_scc0 .LBB46_1132
; %bb.1131:
	s_wait_loadcnt 0x0
	global_load_i8 v8, v[2:3], off
	s_branch .LBB46_1133
.LBB46_1132:
	s_mov_b32 s3, -1
                                        ; implicit-def: $vgpr8
.LBB46_1133:
	s_delay_alu instid0(SALU_CYCLE_1)
	s_and_not1_b32 vcc_lo, exec_lo, s3
	s_cbranch_vccnz .LBB46_1135
; %bb.1134:
	s_wait_loadcnt 0x0
	global_load_u8 v8, v[2:3], off
.LBB46_1135:
.LBB46_1136:
	s_lshl_b32 s3, s9, 7
	s_cmp_lt_i32 s0, 11
	v_add_nc_u32_e32 v0, s3, v0
	s_delay_alu instid0(VALU_DEP_1) | instskip(SKIP_1) | instid1(VALU_DEP_1)
	v_ashrrev_i32_e32 v1, 31, v0
	s_wait_xcnt 0x0
	v_add_nc_u64_e32 v[2:3], s[6:7], v[0:1]
	s_cbranch_scc1 .LBB46_1143
; %bb.1137:
	s_cmp_gt_i32 s0, 25
	s_mov_b32 s14, 0
	s_cbranch_scc0 .LBB46_1145
; %bb.1138:
	s_cmp_gt_i32 s0, 28
	s_cbranch_scc0 .LBB46_1146
; %bb.1139:
	s_cmp_gt_i32 s0, 43
	;; [unrolled: 3-line block ×3, first 2 shown]
	s_cbranch_scc0 .LBB46_1149
; %bb.1141:
	s_cmp_eq_u32 s0, 46
	s_mov_b32 s16, 0
	s_cbranch_scc0 .LBB46_1152
; %bb.1142:
	global_load_b32 v1, v[2:3], off
	s_mov_b32 s9, 0
	s_mov_b32 s15, -1
	s_wait_loadcnt 0x0
	v_lshlrev_b32_e32 v1, 16, v1
	s_delay_alu instid0(VALU_DEP_1)
	v_cvt_i32_f32_e32 v7, v1
	s_branch .LBB46_1154
.LBB46_1143:
	s_mov_b32 s15, 0
                                        ; implicit-def: $vgpr7
	s_cbranch_execnz .LBB46_1215
.LBB46_1144:
	s_and_not1_b32 vcc_lo, exec_lo, s15
	s_cbranch_vccnz .LBB46_1947
	s_branch .LBB46_1262
.LBB46_1145:
	s_mov_b32 s15, 0
	s_mov_b32 s9, 0
                                        ; implicit-def: $vgpr7
	s_cbranch_execnz .LBB46_1181
	s_branch .LBB46_1211
.LBB46_1146:
	s_mov_b32 s16, -1
	s_mov_b32 s15, 0
	s_mov_b32 s9, 0
                                        ; implicit-def: $vgpr7
	s_branch .LBB46_1164
.LBB46_1147:
	s_mov_b32 s16, -1
	s_mov_b32 s15, 0
	s_mov_b32 s9, 0
                                        ; implicit-def: $vgpr7
	s_branch .LBB46_1159
.LBB46_1148:
	s_or_b32 s1, s13, exec_lo
	s_trap 2
	s_cbranch_execz .LBB46_1089
	s_branch .LBB46_1090
.LBB46_1149:
	s_mov_b32 s16, -1
	s_mov_b32 s15, 0
	s_mov_b32 s9, 0
	s_branch .LBB46_1153
.LBB46_1150:
	s_and_not1_saveexec_b32 s22, s22
	s_cbranch_execz .LBB46_940
.LBB46_1151:
	v_add_f32_e32 v2, 0x42800000, v3
	s_and_not1_b32 s21, s21, exec_lo
	s_delay_alu instid0(VALU_DEP_1) | instskip(NEXT) | instid1(VALU_DEP_1)
	v_and_b32_e32 v2, 0xff, v2
	v_cmp_ne_u32_e32 vcc_lo, 0, v2
	s_and_b32 s23, vcc_lo, exec_lo
	s_delay_alu instid0(SALU_CYCLE_1)
	s_or_b32 s21, s21, s23
	s_or_b32 exec_lo, exec_lo, s22
	v_mov_b32_e32 v4, 0
	s_and_saveexec_b32 s22, s21
	s_cbranch_execnz .LBB46_941
	s_branch .LBB46_942
.LBB46_1152:
	s_mov_b32 s9, -1
	s_mov_b32 s15, 0
.LBB46_1153:
                                        ; implicit-def: $vgpr7
.LBB46_1154:
	s_and_b32 vcc_lo, exec_lo, s16
	s_cbranch_vccz .LBB46_1158
; %bb.1155:
	s_cmp_eq_u32 s0, 44
	s_cbranch_scc0 .LBB46_1157
; %bb.1156:
	global_load_u8 v1, v[2:3], off
	s_mov_b32 s9, 0
	s_mov_b32 s15, -1
	s_wait_loadcnt 0x0
	v_lshlrev_b32_e32 v5, 23, v1
	v_cmp_ne_u32_e32 vcc_lo, 0, v1
	s_delay_alu instid0(VALU_DEP_2) | instskip(NEXT) | instid1(VALU_DEP_1)
	v_cvt_i32_f32_e32 v5, v5
	v_cndmask_b32_e32 v7, 0, v5, vcc_lo
	s_branch .LBB46_1158
.LBB46_1157:
	s_mov_b32 s9, -1
                                        ; implicit-def: $vgpr7
.LBB46_1158:
	s_mov_b32 s16, 0
.LBB46_1159:
	s_delay_alu instid0(SALU_CYCLE_1)
	s_and_b32 vcc_lo, exec_lo, s16
	s_cbranch_vccz .LBB46_1163
; %bb.1160:
	s_cmp_eq_u32 s0, 29
	s_cbranch_scc0 .LBB46_1162
; %bb.1161:
	global_load_b32 v7, v[2:3], off
	s_mov_b32 s9, 0
	s_mov_b32 s15, -1
	s_branch .LBB46_1163
.LBB46_1162:
	s_mov_b32 s9, -1
                                        ; implicit-def: $vgpr7
.LBB46_1163:
	s_mov_b32 s16, 0
.LBB46_1164:
	s_delay_alu instid0(SALU_CYCLE_1)
	s_and_b32 vcc_lo, exec_lo, s16
	s_cbranch_vccz .LBB46_1180
; %bb.1165:
	s_cmp_lt_i32 s0, 27
	s_cbranch_scc1 .LBB46_1168
; %bb.1166:
	s_cmp_gt_i32 s0, 27
	s_cbranch_scc0 .LBB46_1169
; %bb.1167:
	s_wait_loadcnt 0x0
	global_load_b32 v7, v[2:3], off
	s_mov_b32 s15, 0
	s_branch .LBB46_1170
.LBB46_1168:
	s_mov_b32 s15, -1
                                        ; implicit-def: $vgpr7
	s_branch .LBB46_1173
.LBB46_1169:
	s_mov_b32 s15, -1
                                        ; implicit-def: $vgpr7
.LBB46_1170:
	s_delay_alu instid0(SALU_CYCLE_1)
	s_and_not1_b32 vcc_lo, exec_lo, s15
	s_cbranch_vccnz .LBB46_1172
; %bb.1171:
	s_wait_loadcnt 0x0
	global_load_u16 v7, v[2:3], off
.LBB46_1172:
	s_mov_b32 s15, 0
.LBB46_1173:
	s_delay_alu instid0(SALU_CYCLE_1)
	s_and_not1_b32 vcc_lo, exec_lo, s15
	s_cbranch_vccnz .LBB46_1179
; %bb.1174:
	global_load_u8 v1, v[2:3], off
	s_mov_b32 s16, 0
	s_mov_b32 s15, exec_lo
	s_wait_loadcnt 0x0
	v_cmpx_lt_i16_e32 0x7f, v1
	s_xor_b32 s15, exec_lo, s15
	s_cbranch_execz .LBB46_1190
; %bb.1175:
	v_cmp_ne_u16_e32 vcc_lo, 0x80, v1
	s_and_b32 s16, vcc_lo, exec_lo
	s_and_not1_saveexec_b32 s15, s15
	s_cbranch_execnz .LBB46_1191
.LBB46_1176:
	s_or_b32 exec_lo, exec_lo, s15
	v_mov_b32_e32 v7, 0
	s_and_saveexec_b32 s15, s16
	s_cbranch_execz .LBB46_1178
.LBB46_1177:
	v_and_b32_e32 v5, 0xffff, v1
	s_delay_alu instid0(VALU_DEP_1) | instskip(SKIP_1) | instid1(VALU_DEP_2)
	v_and_b32_e32 v6, 7, v5
	v_bfe_u32 v10, v5, 3, 4
	v_clz_i32_u32_e32 v7, v6
	s_delay_alu instid0(VALU_DEP_2) | instskip(NEXT) | instid1(VALU_DEP_2)
	v_cmp_eq_u32_e32 vcc_lo, 0, v10
	v_min_u32_e32 v7, 32, v7
	s_delay_alu instid0(VALU_DEP_1) | instskip(NEXT) | instid1(VALU_DEP_1)
	v_subrev_nc_u32_e32 v9, 28, v7
	v_dual_lshlrev_b32 v5, v9, v5 :: v_dual_sub_nc_u32 v7, 29, v7
	s_delay_alu instid0(VALU_DEP_1) | instskip(NEXT) | instid1(VALU_DEP_2)
	v_and_b32_e32 v5, 7, v5
	v_dual_lshlrev_b32 v1, 24, v1 :: v_dual_cndmask_b32 v7, v10, v7, vcc_lo
	s_delay_alu instid0(VALU_DEP_2) | instskip(NEXT) | instid1(VALU_DEP_2)
	v_cndmask_b32_e32 v5, v6, v5, vcc_lo
	v_and_b32_e32 v1, 0x80000000, v1
	s_delay_alu instid0(VALU_DEP_3) | instskip(NEXT) | instid1(VALU_DEP_3)
	v_lshl_add_u32 v6, v7, 23, 0x3b800000
	v_lshlrev_b32_e32 v5, 20, v5
	s_delay_alu instid0(VALU_DEP_1) | instskip(NEXT) | instid1(VALU_DEP_1)
	v_or3_b32 v1, v1, v6, v5
	v_cvt_i32_f32_e32 v7, v1
.LBB46_1178:
	s_or_b32 exec_lo, exec_lo, s15
.LBB46_1179:
	s_mov_b32 s15, -1
.LBB46_1180:
	s_branch .LBB46_1211
.LBB46_1181:
	s_cmp_gt_i32 s0, 22
	s_cbranch_scc0 .LBB46_1189
; %bb.1182:
	s_cmp_lt_i32 s0, 24
	s_cbranch_scc1 .LBB46_1192
; %bb.1183:
	s_cmp_gt_i32 s0, 24
	s_cbranch_scc0 .LBB46_1193
; %bb.1184:
	global_load_u8 v1, v[2:3], off
	s_mov_b32 s15, 0
	s_mov_b32 s14, exec_lo
	s_wait_loadcnt 0x0
	v_cmpx_lt_i16_e32 0x7f, v1
	s_xor_b32 s14, exec_lo, s14
	s_cbranch_execz .LBB46_1205
; %bb.1185:
	v_cmp_ne_u16_e32 vcc_lo, 0x80, v1
	s_and_b32 s15, vcc_lo, exec_lo
	s_and_not1_saveexec_b32 s14, s14
	s_cbranch_execnz .LBB46_1206
.LBB46_1186:
	s_or_b32 exec_lo, exec_lo, s14
	v_mov_b32_e32 v7, 0
	s_and_saveexec_b32 s14, s15
	s_cbranch_execz .LBB46_1188
.LBB46_1187:
	v_and_b32_e32 v5, 0xffff, v1
	s_delay_alu instid0(VALU_DEP_1) | instskip(SKIP_1) | instid1(VALU_DEP_2)
	v_and_b32_e32 v6, 3, v5
	v_bfe_u32 v10, v5, 2, 5
	v_clz_i32_u32_e32 v7, v6
	s_delay_alu instid0(VALU_DEP_2) | instskip(NEXT) | instid1(VALU_DEP_2)
	v_cmp_eq_u32_e32 vcc_lo, 0, v10
	v_min_u32_e32 v7, 32, v7
	s_delay_alu instid0(VALU_DEP_1) | instskip(NEXT) | instid1(VALU_DEP_1)
	v_subrev_nc_u32_e32 v9, 29, v7
	v_dual_lshlrev_b32 v5, v9, v5 :: v_dual_sub_nc_u32 v7, 30, v7
	s_delay_alu instid0(VALU_DEP_1) | instskip(NEXT) | instid1(VALU_DEP_2)
	v_and_b32_e32 v5, 3, v5
	v_dual_lshlrev_b32 v1, 24, v1 :: v_dual_cndmask_b32 v7, v10, v7, vcc_lo
	s_delay_alu instid0(VALU_DEP_2) | instskip(NEXT) | instid1(VALU_DEP_2)
	v_cndmask_b32_e32 v5, v6, v5, vcc_lo
	v_and_b32_e32 v1, 0x80000000, v1
	s_delay_alu instid0(VALU_DEP_3) | instskip(NEXT) | instid1(VALU_DEP_3)
	v_lshl_add_u32 v6, v7, 23, 0x37800000
	v_lshlrev_b32_e32 v5, 21, v5
	s_delay_alu instid0(VALU_DEP_1) | instskip(NEXT) | instid1(VALU_DEP_1)
	v_or3_b32 v1, v1, v6, v5
	v_cvt_i32_f32_e32 v7, v1
.LBB46_1188:
	s_or_b32 exec_lo, exec_lo, s14
	s_mov_b32 s14, 0
	s_branch .LBB46_1194
.LBB46_1189:
	s_mov_b32 s14, -1
                                        ; implicit-def: $vgpr7
	s_branch .LBB46_1200
.LBB46_1190:
	s_and_not1_saveexec_b32 s15, s15
	s_cbranch_execz .LBB46_1176
.LBB46_1191:
	v_cmp_ne_u16_e32 vcc_lo, 0, v1
	s_and_not1_b32 s16, s16, exec_lo
	s_and_b32 s17, vcc_lo, exec_lo
	s_delay_alu instid0(SALU_CYCLE_1)
	s_or_b32 s16, s16, s17
	s_or_b32 exec_lo, exec_lo, s15
	v_mov_b32_e32 v7, 0
	s_and_saveexec_b32 s15, s16
	s_cbranch_execnz .LBB46_1177
	s_branch .LBB46_1178
.LBB46_1192:
	s_mov_b32 s14, -1
                                        ; implicit-def: $vgpr7
	s_branch .LBB46_1197
.LBB46_1193:
	s_mov_b32 s14, -1
                                        ; implicit-def: $vgpr7
.LBB46_1194:
	s_delay_alu instid0(SALU_CYCLE_1)
	s_and_b32 vcc_lo, exec_lo, s14
	s_cbranch_vccz .LBB46_1196
; %bb.1195:
	global_load_u8 v1, v[2:3], off
	s_wait_loadcnt 0x0
	v_lshlrev_b32_e32 v1, 24, v1
	s_delay_alu instid0(VALU_DEP_1) | instskip(NEXT) | instid1(VALU_DEP_1)
	v_and_b32_e32 v5, 0x7f000000, v1
	v_clz_i32_u32_e32 v6, v5
	v_add_nc_u32_e32 v9, 0x1000000, v5
	v_cmp_ne_u32_e32 vcc_lo, 0, v5
	s_delay_alu instid0(VALU_DEP_3) | instskip(NEXT) | instid1(VALU_DEP_1)
	v_min_u32_e32 v6, 32, v6
	v_sub_nc_u32_e64 v6, v6, 4 clamp
	s_delay_alu instid0(VALU_DEP_1) | instskip(NEXT) | instid1(VALU_DEP_1)
	v_dual_lshlrev_b32 v7, v6, v5 :: v_dual_lshlrev_b32 v6, 23, v6
	v_lshrrev_b32_e32 v7, 4, v7
	s_delay_alu instid0(VALU_DEP_1) | instskip(NEXT) | instid1(VALU_DEP_1)
	v_dual_sub_nc_u32 v6, v7, v6 :: v_dual_ashrrev_i32 v7, 8, v9
	v_add_nc_u32_e32 v6, 0x3c000000, v6
	s_delay_alu instid0(VALU_DEP_1) | instskip(NEXT) | instid1(VALU_DEP_1)
	v_and_or_b32 v6, 0x7f800000, v7, v6
	v_cndmask_b32_e32 v5, 0, v6, vcc_lo
	s_delay_alu instid0(VALU_DEP_1) | instskip(NEXT) | instid1(VALU_DEP_1)
	v_and_or_b32 v1, 0x80000000, v1, v5
	v_cvt_i32_f32_e32 v7, v1
.LBB46_1196:
	s_mov_b32 s14, 0
.LBB46_1197:
	s_delay_alu instid0(SALU_CYCLE_1)
	s_and_not1_b32 vcc_lo, exec_lo, s14
	s_cbranch_vccnz .LBB46_1199
; %bb.1198:
	global_load_u8 v1, v[2:3], off
	s_wait_loadcnt 0x0
	v_lshlrev_b32_e32 v5, 25, v1
	v_lshlrev_b16 v1, 8, v1
	s_delay_alu instid0(VALU_DEP_1) | instskip(SKIP_1) | instid1(VALU_DEP_2)
	v_and_or_b32 v7, 0x7f00, v1, 0.5
	v_bfe_i32 v1, v1, 0, 16
	v_dual_add_f32 v7, -0.5, v7 :: v_dual_lshrrev_b32 v6, 4, v5
	v_cmp_gt_u32_e32 vcc_lo, 0x8000000, v5
	s_delay_alu instid0(VALU_DEP_2) | instskip(NEXT) | instid1(VALU_DEP_1)
	v_or_b32_e32 v6, 0x70000000, v6
	v_mul_f32_e32 v6, 0x7800000, v6
	s_delay_alu instid0(VALU_DEP_1) | instskip(NEXT) | instid1(VALU_DEP_1)
	v_cndmask_b32_e32 v5, v6, v7, vcc_lo
	v_and_or_b32 v1, 0x80000000, v1, v5
	s_delay_alu instid0(VALU_DEP_1)
	v_cvt_i32_f32_e32 v7, v1
.LBB46_1199:
	s_mov_b32 s14, 0
	s_mov_b32 s15, -1
.LBB46_1200:
	s_and_not1_b32 vcc_lo, exec_lo, s14
	s_mov_b32 s14, 0
	s_cbranch_vccnz .LBB46_1211
; %bb.1201:
	s_cmp_gt_i32 s0, 14
	s_cbranch_scc0 .LBB46_1204
; %bb.1202:
	s_cmp_eq_u32 s0, 15
	s_cbranch_scc0 .LBB46_1207
; %bb.1203:
	global_load_u16 v1, v[2:3], off
	s_mov_b32 s9, 0
	s_mov_b32 s15, -1
	s_wait_loadcnt 0x0
	v_lshlrev_b32_e32 v1, 16, v1
	s_delay_alu instid0(VALU_DEP_1)
	v_cvt_i32_f32_e32 v7, v1
	s_branch .LBB46_1209
.LBB46_1204:
	s_mov_b32 s14, -1
	s_branch .LBB46_1208
.LBB46_1205:
	s_and_not1_saveexec_b32 s14, s14
	s_cbranch_execz .LBB46_1186
.LBB46_1206:
	v_cmp_ne_u16_e32 vcc_lo, 0, v1
	s_and_not1_b32 s15, s15, exec_lo
	s_and_b32 s16, vcc_lo, exec_lo
	s_delay_alu instid0(SALU_CYCLE_1)
	s_or_b32 s15, s15, s16
	s_or_b32 exec_lo, exec_lo, s14
	v_mov_b32_e32 v7, 0
	s_and_saveexec_b32 s14, s15
	s_cbranch_execnz .LBB46_1187
	s_branch .LBB46_1188
.LBB46_1207:
	s_mov_b32 s9, -1
.LBB46_1208:
                                        ; implicit-def: $vgpr7
.LBB46_1209:
	s_and_b32 vcc_lo, exec_lo, s14
	s_mov_b32 s14, 0
	s_cbranch_vccz .LBB46_1211
; %bb.1210:
	s_cmp_lg_u32 s0, 11
	s_mov_b32 s14, -1
	s_cselect_b32 s9, -1, 0
.LBB46_1211:
	s_delay_alu instid0(SALU_CYCLE_1)
	s_and_b32 vcc_lo, exec_lo, s9
	s_cbranch_vccnz .LBB46_1274
; %bb.1212:
	s_and_not1_b32 vcc_lo, exec_lo, s14
	s_cbranch_vccnz .LBB46_1214
.LBB46_1213:
	global_load_u8 v1, v[2:3], off
	s_mov_b32 s15, -1
	s_wait_loadcnt 0x0
	v_cmp_ne_u16_e32 vcc_lo, 0, v1
	v_cndmask_b32_e64 v7, 0, 1, vcc_lo
.LBB46_1214:
	s_branch .LBB46_1144
.LBB46_1215:
	s_cmp_lt_i32 s0, 5
	s_cbranch_scc1 .LBB46_1220
; %bb.1216:
	s_cmp_lt_i32 s0, 8
	s_cbranch_scc1 .LBB46_1221
; %bb.1217:
	;; [unrolled: 3-line block ×3, first 2 shown]
	s_cmp_gt_i32 s0, 9
	s_cbranch_scc0 .LBB46_1223
; %bb.1219:
	s_wait_loadcnt 0x0
	global_load_b64 v[6:7], v[2:3], off
	s_mov_b32 s9, 0
	s_wait_loadcnt 0x0
	v_cvt_i32_f64_e32 v7, v[6:7]
	s_branch .LBB46_1224
.LBB46_1220:
                                        ; implicit-def: $vgpr7
	s_branch .LBB46_1242
.LBB46_1221:
	s_mov_b32 s9, -1
                                        ; implicit-def: $vgpr7
	s_branch .LBB46_1230
.LBB46_1222:
	s_mov_b32 s9, -1
                                        ; implicit-def: $vgpr7
	s_branch .LBB46_1227
.LBB46_1223:
	s_mov_b32 s9, -1
                                        ; implicit-def: $vgpr7
.LBB46_1224:
	s_delay_alu instid0(SALU_CYCLE_1)
	s_and_not1_b32 vcc_lo, exec_lo, s9
	s_cbranch_vccnz .LBB46_1226
; %bb.1225:
	global_load_b32 v1, v[2:3], off
	s_wait_loadcnt 0x0
	v_cvt_i32_f32_e32 v7, v1
.LBB46_1226:
	s_mov_b32 s9, 0
.LBB46_1227:
	s_delay_alu instid0(SALU_CYCLE_1)
	s_and_not1_b32 vcc_lo, exec_lo, s9
	s_cbranch_vccnz .LBB46_1229
; %bb.1228:
	global_load_b32 v1, v[2:3], off
	s_wait_loadcnt 0x0
	v_cvt_f32_f16_e32 v1, v1
	s_delay_alu instid0(VALU_DEP_1)
	v_cvt_i32_f32_e32 v7, v1
.LBB46_1229:
	s_mov_b32 s9, 0
.LBB46_1230:
	s_delay_alu instid0(SALU_CYCLE_1)
	s_and_not1_b32 vcc_lo, exec_lo, s9
	s_cbranch_vccnz .LBB46_1241
; %bb.1231:
	s_cmp_lt_i32 s0, 6
	s_cbranch_scc1 .LBB46_1234
; %bb.1232:
	s_cmp_gt_i32 s0, 6
	s_cbranch_scc0 .LBB46_1235
; %bb.1233:
	s_wait_loadcnt 0x0
	global_load_b64 v[6:7], v[2:3], off
	s_mov_b32 s9, 0
	s_wait_loadcnt 0x0
	v_cvt_i32_f64_e32 v7, v[6:7]
	s_branch .LBB46_1236
.LBB46_1234:
	s_mov_b32 s9, -1
                                        ; implicit-def: $vgpr7
	s_branch .LBB46_1239
.LBB46_1235:
	s_mov_b32 s9, -1
                                        ; implicit-def: $vgpr7
.LBB46_1236:
	s_delay_alu instid0(SALU_CYCLE_1)
	s_and_not1_b32 vcc_lo, exec_lo, s9
	s_cbranch_vccnz .LBB46_1238
; %bb.1237:
	global_load_b32 v1, v[2:3], off
	s_wait_loadcnt 0x0
	v_cvt_i32_f32_e32 v7, v1
.LBB46_1238:
	s_mov_b32 s9, 0
.LBB46_1239:
	s_delay_alu instid0(SALU_CYCLE_1)
	s_and_not1_b32 vcc_lo, exec_lo, s9
	s_cbranch_vccnz .LBB46_1241
; %bb.1240:
	global_load_u16 v1, v[2:3], off
	s_wait_loadcnt 0x0
	v_cvt_f32_f16_e32 v1, v1
	s_delay_alu instid0(VALU_DEP_1)
	v_cvt_i32_f32_e32 v7, v1
.LBB46_1241:
	s_cbranch_execnz .LBB46_1261
.LBB46_1242:
	s_cmp_lt_i32 s0, 2
	s_cbranch_scc1 .LBB46_1246
; %bb.1243:
	s_cmp_lt_i32 s0, 3
	s_cbranch_scc1 .LBB46_1247
; %bb.1244:
	s_cmp_gt_i32 s0, 3
	s_cbranch_scc0 .LBB46_1248
; %bb.1245:
	s_wait_loadcnt 0x0
	global_load_b32 v7, v[2:3], off
	s_mov_b32 s9, 0
	s_branch .LBB46_1249
.LBB46_1246:
	s_mov_b32 s9, -1
                                        ; implicit-def: $vgpr7
	s_branch .LBB46_1255
.LBB46_1247:
	s_mov_b32 s9, -1
                                        ; implicit-def: $vgpr7
	s_branch .LBB46_1252
.LBB46_1248:
	s_mov_b32 s9, -1
                                        ; implicit-def: $vgpr7
.LBB46_1249:
	s_delay_alu instid0(SALU_CYCLE_1)
	s_and_not1_b32 vcc_lo, exec_lo, s9
	s_cbranch_vccnz .LBB46_1251
; %bb.1250:
	s_wait_loadcnt 0x0
	global_load_b32 v7, v[2:3], off
.LBB46_1251:
	s_mov_b32 s9, 0
.LBB46_1252:
	s_delay_alu instid0(SALU_CYCLE_1)
	s_and_not1_b32 vcc_lo, exec_lo, s9
	s_cbranch_vccnz .LBB46_1254
; %bb.1253:
	s_wait_loadcnt 0x0
	global_load_i16 v7, v[2:3], off
.LBB46_1254:
	s_mov_b32 s9, 0
.LBB46_1255:
	s_delay_alu instid0(SALU_CYCLE_1)
	s_and_not1_b32 vcc_lo, exec_lo, s9
	s_cbranch_vccnz .LBB46_1261
; %bb.1256:
	s_cmp_gt_i32 s0, 0
	s_mov_b32 s9, 0
	s_cbranch_scc0 .LBB46_1258
; %bb.1257:
	s_wait_loadcnt 0x0
	global_load_i8 v7, v[2:3], off
	s_branch .LBB46_1259
.LBB46_1258:
	s_mov_b32 s9, -1
                                        ; implicit-def: $vgpr7
.LBB46_1259:
	s_delay_alu instid0(SALU_CYCLE_1)
	s_and_not1_b32 vcc_lo, exec_lo, s9
	s_cbranch_vccnz .LBB46_1261
; %bb.1260:
	s_wait_loadcnt 0x0
	global_load_u8 v7, v[2:3], off
.LBB46_1261:
.LBB46_1262:
	v_add_nc_u32_e32 v0, s3, v0
	s_cmp_lt_i32 s0, 11
	s_delay_alu instid0(VALU_DEP_1) | instskip(SKIP_1) | instid1(VALU_DEP_1)
	v_ashrrev_i32_e32 v1, 31, v0
	s_wait_xcnt 0x0
	v_add_nc_u64_e32 v[2:3], s[6:7], v[0:1]
	s_cbranch_scc1 .LBB46_1269
; %bb.1263:
	s_cmp_gt_i32 s0, 25
	s_mov_b32 s14, 0
	s_cbranch_scc0 .LBB46_1271
; %bb.1264:
	s_cmp_gt_i32 s0, 28
	s_cbranch_scc0 .LBB46_1272
; %bb.1265:
	s_cmp_gt_i32 s0, 43
	s_cbranch_scc0 .LBB46_1273
; %bb.1266:
	s_cmp_gt_i32 s0, 45
	s_cbranch_scc0 .LBB46_1275
; %bb.1267:
	s_cmp_eq_u32 s0, 46
	s_mov_b32 s16, 0
	s_cbranch_scc0 .LBB46_1276
; %bb.1268:
	global_load_b32 v1, v[2:3], off
	s_mov_b32 s9, 0
	s_mov_b32 s15, -1
	s_wait_loadcnt 0x0
	v_lshlrev_b32_e32 v1, 16, v1
	s_delay_alu instid0(VALU_DEP_1)
	v_cvt_i32_f32_e32 v6, v1
	s_branch .LBB46_1278
.LBB46_1269:
	s_mov_b32 s15, 0
                                        ; implicit-def: $vgpr6
	s_cbranch_execnz .LBB46_1340
.LBB46_1270:
	s_and_not1_b32 vcc_lo, exec_lo, s15
	s_cbranch_vccnz .LBB46_1947
	s_branch .LBB46_1388
.LBB46_1271:
	s_mov_b32 s16, -1
	s_mov_b32 s15, 0
	s_mov_b32 s9, 0
                                        ; implicit-def: $vgpr6
	s_branch .LBB46_1305
.LBB46_1272:
	s_mov_b32 s16, -1
	s_mov_b32 s15, 0
	s_mov_b32 s9, 0
                                        ; implicit-def: $vgpr6
	s_branch .LBB46_1288
.LBB46_1273:
	s_mov_b32 s16, -1
	s_mov_b32 s15, 0
	s_mov_b32 s9, 0
                                        ; implicit-def: $vgpr6
	s_branch .LBB46_1283
.LBB46_1274:
	s_or_b32 s1, s1, exec_lo
	s_trap 2
	s_cbranch_execz .LBB46_1213
	s_branch .LBB46_1214
.LBB46_1275:
	s_mov_b32 s16, -1
	s_mov_b32 s15, 0
	s_mov_b32 s9, 0
	s_branch .LBB46_1277
.LBB46_1276:
	s_mov_b32 s9, -1
	s_mov_b32 s15, 0
.LBB46_1277:
                                        ; implicit-def: $vgpr6
.LBB46_1278:
	s_and_b32 vcc_lo, exec_lo, s16
	s_cbranch_vccz .LBB46_1282
; %bb.1279:
	s_cmp_eq_u32 s0, 44
	s_cbranch_scc0 .LBB46_1281
; %bb.1280:
	global_load_u8 v1, v[2:3], off
	s_mov_b32 s9, 0
	s_mov_b32 s15, -1
	s_wait_loadcnt 0x0
	v_lshlrev_b32_e32 v5, 23, v1
	v_cmp_ne_u32_e32 vcc_lo, 0, v1
	s_delay_alu instid0(VALU_DEP_2) | instskip(NEXT) | instid1(VALU_DEP_1)
	v_cvt_i32_f32_e32 v5, v5
	v_cndmask_b32_e32 v6, 0, v5, vcc_lo
	s_branch .LBB46_1282
.LBB46_1281:
	s_mov_b32 s9, -1
                                        ; implicit-def: $vgpr6
.LBB46_1282:
	s_mov_b32 s16, 0
.LBB46_1283:
	s_delay_alu instid0(SALU_CYCLE_1)
	s_and_b32 vcc_lo, exec_lo, s16
	s_cbranch_vccz .LBB46_1287
; %bb.1284:
	s_cmp_eq_u32 s0, 29
	s_cbranch_scc0 .LBB46_1286
; %bb.1285:
	global_load_b32 v6, v[2:3], off
	s_mov_b32 s9, 0
	s_mov_b32 s15, -1
	s_branch .LBB46_1287
.LBB46_1286:
	s_mov_b32 s9, -1
                                        ; implicit-def: $vgpr6
.LBB46_1287:
	s_mov_b32 s16, 0
.LBB46_1288:
	s_delay_alu instid0(SALU_CYCLE_1)
	s_and_b32 vcc_lo, exec_lo, s16
	s_cbranch_vccz .LBB46_1304
; %bb.1289:
	s_cmp_lt_i32 s0, 27
	s_cbranch_scc1 .LBB46_1292
; %bb.1290:
	s_cmp_gt_i32 s0, 27
	s_cbranch_scc0 .LBB46_1293
; %bb.1291:
	s_wait_loadcnt 0x0
	global_load_b32 v6, v[2:3], off
	s_mov_b32 s15, 0
	s_branch .LBB46_1294
.LBB46_1292:
	s_mov_b32 s15, -1
                                        ; implicit-def: $vgpr6
	s_branch .LBB46_1297
.LBB46_1293:
	s_mov_b32 s15, -1
                                        ; implicit-def: $vgpr6
.LBB46_1294:
	s_delay_alu instid0(SALU_CYCLE_1)
	s_and_not1_b32 vcc_lo, exec_lo, s15
	s_cbranch_vccnz .LBB46_1296
; %bb.1295:
	s_wait_loadcnt 0x0
	global_load_u16 v6, v[2:3], off
.LBB46_1296:
	s_mov_b32 s15, 0
.LBB46_1297:
	s_delay_alu instid0(SALU_CYCLE_1)
	s_and_not1_b32 vcc_lo, exec_lo, s15
	s_cbranch_vccnz .LBB46_1303
; %bb.1298:
	global_load_u8 v1, v[2:3], off
	s_mov_b32 s16, 0
	s_mov_b32 s15, exec_lo
	s_wait_loadcnt 0x0
	v_cmpx_lt_i16_e32 0x7f, v1
	s_xor_b32 s15, exec_lo, s15
	s_cbranch_execz .LBB46_1315
; %bb.1299:
	v_cmp_ne_u16_e32 vcc_lo, 0x80, v1
	s_and_b32 s16, vcc_lo, exec_lo
	s_and_not1_saveexec_b32 s15, s15
	s_cbranch_execnz .LBB46_1316
.LBB46_1300:
	s_or_b32 exec_lo, exec_lo, s15
	v_mov_b32_e32 v6, 0
	s_and_saveexec_b32 s15, s16
	s_cbranch_execz .LBB46_1302
.LBB46_1301:
	v_and_b32_e32 v5, 0xffff, v1
	v_lshlrev_b32_e32 v1, 24, v1
	s_delay_alu instid0(VALU_DEP_2) | instskip(SKIP_1) | instid1(VALU_DEP_3)
	v_and_b32_e32 v6, 7, v5
	v_bfe_u32 v11, v5, 3, 4
	v_and_b32_e32 v1, 0x80000000, v1
	s_delay_alu instid0(VALU_DEP_3) | instskip(NEXT) | instid1(VALU_DEP_3)
	v_clz_i32_u32_e32 v9, v6
	v_cmp_eq_u32_e32 vcc_lo, 0, v11
	s_delay_alu instid0(VALU_DEP_2) | instskip(NEXT) | instid1(VALU_DEP_1)
	v_min_u32_e32 v9, 32, v9
	v_subrev_nc_u32_e32 v10, 28, v9
	v_sub_nc_u32_e32 v9, 29, v9
	s_delay_alu instid0(VALU_DEP_2) | instskip(NEXT) | instid1(VALU_DEP_2)
	v_lshlrev_b32_e32 v5, v10, v5
	v_cndmask_b32_e32 v9, v11, v9, vcc_lo
	s_delay_alu instid0(VALU_DEP_2) | instskip(NEXT) | instid1(VALU_DEP_1)
	v_and_b32_e32 v5, 7, v5
	v_cndmask_b32_e32 v5, v6, v5, vcc_lo
	s_delay_alu instid0(VALU_DEP_3) | instskip(NEXT) | instid1(VALU_DEP_2)
	v_lshl_add_u32 v6, v9, 23, 0x3b800000
	v_lshlrev_b32_e32 v5, 20, v5
	s_delay_alu instid0(VALU_DEP_1) | instskip(NEXT) | instid1(VALU_DEP_1)
	v_or3_b32 v1, v1, v6, v5
	v_cvt_i32_f32_e32 v6, v1
.LBB46_1302:
	s_or_b32 exec_lo, exec_lo, s15
.LBB46_1303:
	s_mov_b32 s15, -1
.LBB46_1304:
	s_mov_b32 s16, 0
.LBB46_1305:
	s_delay_alu instid0(SALU_CYCLE_1)
	s_and_b32 vcc_lo, exec_lo, s16
	s_cbranch_vccz .LBB46_1336
; %bb.1306:
	s_cmp_gt_i32 s0, 22
	s_cbranch_scc0 .LBB46_1314
; %bb.1307:
	s_cmp_lt_i32 s0, 24
	s_cbranch_scc1 .LBB46_1317
; %bb.1308:
	s_cmp_gt_i32 s0, 24
	s_cbranch_scc0 .LBB46_1318
; %bb.1309:
	global_load_u8 v1, v[2:3], off
	s_mov_b32 s15, 0
	s_mov_b32 s14, exec_lo
	s_wait_loadcnt 0x0
	v_cmpx_lt_i16_e32 0x7f, v1
	s_xor_b32 s14, exec_lo, s14
	s_cbranch_execz .LBB46_1330
; %bb.1310:
	v_cmp_ne_u16_e32 vcc_lo, 0x80, v1
	s_and_b32 s15, vcc_lo, exec_lo
	s_and_not1_saveexec_b32 s14, s14
	s_cbranch_execnz .LBB46_1331
.LBB46_1311:
	s_or_b32 exec_lo, exec_lo, s14
	v_mov_b32_e32 v6, 0
	s_and_saveexec_b32 s14, s15
	s_cbranch_execz .LBB46_1313
.LBB46_1312:
	v_and_b32_e32 v5, 0xffff, v1
	v_lshlrev_b32_e32 v1, 24, v1
	s_delay_alu instid0(VALU_DEP_2) | instskip(SKIP_1) | instid1(VALU_DEP_3)
	v_and_b32_e32 v6, 3, v5
	v_bfe_u32 v11, v5, 2, 5
	v_and_b32_e32 v1, 0x80000000, v1
	s_delay_alu instid0(VALU_DEP_3) | instskip(NEXT) | instid1(VALU_DEP_3)
	v_clz_i32_u32_e32 v9, v6
	v_cmp_eq_u32_e32 vcc_lo, 0, v11
	s_delay_alu instid0(VALU_DEP_2) | instskip(NEXT) | instid1(VALU_DEP_1)
	v_min_u32_e32 v9, 32, v9
	v_subrev_nc_u32_e32 v10, 29, v9
	v_sub_nc_u32_e32 v9, 30, v9
	s_delay_alu instid0(VALU_DEP_2) | instskip(NEXT) | instid1(VALU_DEP_2)
	v_lshlrev_b32_e32 v5, v10, v5
	v_cndmask_b32_e32 v9, v11, v9, vcc_lo
	s_delay_alu instid0(VALU_DEP_2) | instskip(NEXT) | instid1(VALU_DEP_1)
	v_and_b32_e32 v5, 3, v5
	v_cndmask_b32_e32 v5, v6, v5, vcc_lo
	s_delay_alu instid0(VALU_DEP_3) | instskip(NEXT) | instid1(VALU_DEP_2)
	v_lshl_add_u32 v6, v9, 23, 0x37800000
	v_lshlrev_b32_e32 v5, 21, v5
	s_delay_alu instid0(VALU_DEP_1) | instskip(NEXT) | instid1(VALU_DEP_1)
	v_or3_b32 v1, v1, v6, v5
	v_cvt_i32_f32_e32 v6, v1
.LBB46_1313:
	s_or_b32 exec_lo, exec_lo, s14
	s_mov_b32 s14, 0
	s_branch .LBB46_1319
.LBB46_1314:
	s_mov_b32 s14, -1
                                        ; implicit-def: $vgpr6
	s_branch .LBB46_1325
.LBB46_1315:
	s_and_not1_saveexec_b32 s15, s15
	s_cbranch_execz .LBB46_1300
.LBB46_1316:
	v_cmp_ne_u16_e32 vcc_lo, 0, v1
	s_and_not1_b32 s16, s16, exec_lo
	s_and_b32 s17, vcc_lo, exec_lo
	s_delay_alu instid0(SALU_CYCLE_1)
	s_or_b32 s16, s16, s17
	s_or_b32 exec_lo, exec_lo, s15
	v_mov_b32_e32 v6, 0
	s_and_saveexec_b32 s15, s16
	s_cbranch_execnz .LBB46_1301
	s_branch .LBB46_1302
.LBB46_1317:
	s_mov_b32 s14, -1
                                        ; implicit-def: $vgpr6
	s_branch .LBB46_1322
.LBB46_1318:
	s_mov_b32 s14, -1
                                        ; implicit-def: $vgpr6
.LBB46_1319:
	s_delay_alu instid0(SALU_CYCLE_1)
	s_and_b32 vcc_lo, exec_lo, s14
	s_cbranch_vccz .LBB46_1321
; %bb.1320:
	global_load_u8 v1, v[2:3], off
	s_wait_loadcnt 0x0
	v_lshlrev_b32_e32 v1, 24, v1
	s_delay_alu instid0(VALU_DEP_1) | instskip(NEXT) | instid1(VALU_DEP_1)
	v_and_b32_e32 v5, 0x7f000000, v1
	v_clz_i32_u32_e32 v6, v5
	v_cmp_ne_u32_e32 vcc_lo, 0, v5
	v_add_nc_u32_e32 v10, 0x1000000, v5
	s_delay_alu instid0(VALU_DEP_3) | instskip(NEXT) | instid1(VALU_DEP_1)
	v_min_u32_e32 v6, 32, v6
	v_sub_nc_u32_e64 v6, v6, 4 clamp
	s_delay_alu instid0(VALU_DEP_1) | instskip(NEXT) | instid1(VALU_DEP_1)
	v_dual_lshlrev_b32 v9, v6, v5 :: v_dual_lshlrev_b32 v6, 23, v6
	v_lshrrev_b32_e32 v9, 4, v9
	s_delay_alu instid0(VALU_DEP_1) | instskip(SKIP_1) | instid1(VALU_DEP_2)
	v_sub_nc_u32_e32 v6, v9, v6
	v_ashrrev_i32_e32 v9, 8, v10
	v_add_nc_u32_e32 v6, 0x3c000000, v6
	s_delay_alu instid0(VALU_DEP_1) | instskip(NEXT) | instid1(VALU_DEP_1)
	v_and_or_b32 v6, 0x7f800000, v9, v6
	v_cndmask_b32_e32 v5, 0, v6, vcc_lo
	s_delay_alu instid0(VALU_DEP_1) | instskip(NEXT) | instid1(VALU_DEP_1)
	v_and_or_b32 v1, 0x80000000, v1, v5
	v_cvt_i32_f32_e32 v6, v1
.LBB46_1321:
	s_mov_b32 s14, 0
.LBB46_1322:
	s_delay_alu instid0(SALU_CYCLE_1)
	s_and_not1_b32 vcc_lo, exec_lo, s14
	s_cbranch_vccnz .LBB46_1324
; %bb.1323:
	global_load_u8 v1, v[2:3], off
	s_wait_loadcnt 0x0
	v_lshlrev_b32_e32 v5, 25, v1
	v_lshlrev_b16 v1, 8, v1
	s_delay_alu instid0(VALU_DEP_2) | instskip(NEXT) | instid1(VALU_DEP_2)
	v_lshrrev_b32_e32 v6, 4, v5
	v_and_or_b32 v9, 0x7f00, v1, 0.5
	v_bfe_i32 v1, v1, 0, 16
	s_delay_alu instid0(VALU_DEP_3) | instskip(NEXT) | instid1(VALU_DEP_1)
	v_or_b32_e32 v6, 0x70000000, v6
	v_dual_add_f32 v9, -0.5, v9 :: v_dual_mul_f32 v6, 0x7800000, v6
	v_cmp_gt_u32_e32 vcc_lo, 0x8000000, v5
	s_delay_alu instid0(VALU_DEP_2) | instskip(NEXT) | instid1(VALU_DEP_1)
	v_cndmask_b32_e32 v5, v6, v9, vcc_lo
	v_and_or_b32 v1, 0x80000000, v1, v5
	s_delay_alu instid0(VALU_DEP_1)
	v_cvt_i32_f32_e32 v6, v1
.LBB46_1324:
	s_mov_b32 s14, 0
	s_mov_b32 s15, -1
.LBB46_1325:
	s_and_not1_b32 vcc_lo, exec_lo, s14
	s_mov_b32 s14, 0
	s_cbranch_vccnz .LBB46_1336
; %bb.1326:
	s_cmp_gt_i32 s0, 14
	s_cbranch_scc0 .LBB46_1329
; %bb.1327:
	s_cmp_eq_u32 s0, 15
	s_cbranch_scc0 .LBB46_1332
; %bb.1328:
	global_load_u16 v1, v[2:3], off
	s_mov_b32 s9, 0
	s_mov_b32 s15, -1
	s_wait_loadcnt 0x0
	v_lshlrev_b32_e32 v1, 16, v1
	s_delay_alu instid0(VALU_DEP_1)
	v_cvt_i32_f32_e32 v6, v1
	s_branch .LBB46_1334
.LBB46_1329:
	s_mov_b32 s14, -1
	s_branch .LBB46_1333
.LBB46_1330:
	s_and_not1_saveexec_b32 s14, s14
	s_cbranch_execz .LBB46_1311
.LBB46_1331:
	v_cmp_ne_u16_e32 vcc_lo, 0, v1
	s_and_not1_b32 s15, s15, exec_lo
	s_and_b32 s16, vcc_lo, exec_lo
	s_delay_alu instid0(SALU_CYCLE_1)
	s_or_b32 s15, s15, s16
	s_or_b32 exec_lo, exec_lo, s14
	v_mov_b32_e32 v6, 0
	s_and_saveexec_b32 s14, s15
	s_cbranch_execnz .LBB46_1312
	s_branch .LBB46_1313
.LBB46_1332:
	s_mov_b32 s9, -1
.LBB46_1333:
                                        ; implicit-def: $vgpr6
.LBB46_1334:
	s_and_b32 vcc_lo, exec_lo, s14
	s_mov_b32 s14, 0
	s_cbranch_vccz .LBB46_1336
; %bb.1335:
	s_cmp_lg_u32 s0, 11
	s_mov_b32 s14, -1
	s_cselect_b32 s9, -1, 0
.LBB46_1336:
	s_delay_alu instid0(SALU_CYCLE_1)
	s_and_b32 vcc_lo, exec_lo, s9
	s_cbranch_vccnz .LBB46_1399
; %bb.1337:
	s_and_not1_b32 vcc_lo, exec_lo, s14
	s_cbranch_vccnz .LBB46_1339
.LBB46_1338:
	global_load_u8 v1, v[2:3], off
	s_mov_b32 s15, -1
	s_wait_loadcnt 0x0
	v_cmp_ne_u16_e32 vcc_lo, 0, v1
	v_cndmask_b32_e64 v6, 0, 1, vcc_lo
.LBB46_1339:
	s_branch .LBB46_1270
.LBB46_1340:
	s_cmp_lt_i32 s0, 5
	s_cbranch_scc1 .LBB46_1345
; %bb.1341:
	s_cmp_lt_i32 s0, 8
	s_cbranch_scc1 .LBB46_1346
; %bb.1342:
	;; [unrolled: 3-line block ×3, first 2 shown]
	s_cmp_gt_i32 s0, 9
	s_cbranch_scc0 .LBB46_1348
; %bb.1344:
	global_load_b64 v[10:11], v[2:3], off
	s_mov_b32 s9, 0
	s_wait_loadcnt 0x0
	v_cvt_i32_f64_e32 v6, v[10:11]
	s_branch .LBB46_1349
.LBB46_1345:
	s_mov_b32 s9, -1
                                        ; implicit-def: $vgpr6
	s_branch .LBB46_1367
.LBB46_1346:
	s_mov_b32 s9, -1
                                        ; implicit-def: $vgpr6
	s_branch .LBB46_1355
.LBB46_1347:
	s_mov_b32 s9, -1
                                        ; implicit-def: $vgpr6
	s_branch .LBB46_1352
.LBB46_1348:
	s_mov_b32 s9, -1
                                        ; implicit-def: $vgpr6
.LBB46_1349:
	s_delay_alu instid0(SALU_CYCLE_1)
	s_and_not1_b32 vcc_lo, exec_lo, s9
	s_cbranch_vccnz .LBB46_1351
; %bb.1350:
	global_load_b32 v1, v[2:3], off
	s_wait_loadcnt 0x0
	v_cvt_i32_f32_e32 v6, v1
.LBB46_1351:
	s_mov_b32 s9, 0
.LBB46_1352:
	s_delay_alu instid0(SALU_CYCLE_1)
	s_and_not1_b32 vcc_lo, exec_lo, s9
	s_cbranch_vccnz .LBB46_1354
; %bb.1353:
	global_load_b32 v1, v[2:3], off
	s_wait_loadcnt 0x0
	v_cvt_f32_f16_e32 v1, v1
	s_delay_alu instid0(VALU_DEP_1)
	v_cvt_i32_f32_e32 v6, v1
.LBB46_1354:
	s_mov_b32 s9, 0
.LBB46_1355:
	s_delay_alu instid0(SALU_CYCLE_1)
	s_and_not1_b32 vcc_lo, exec_lo, s9
	s_cbranch_vccnz .LBB46_1366
; %bb.1356:
	s_cmp_lt_i32 s0, 6
	s_cbranch_scc1 .LBB46_1359
; %bb.1357:
	s_cmp_gt_i32 s0, 6
	s_cbranch_scc0 .LBB46_1360
; %bb.1358:
	global_load_b64 v[10:11], v[2:3], off
	s_mov_b32 s9, 0
	s_wait_loadcnt 0x0
	v_cvt_i32_f64_e32 v6, v[10:11]
	s_branch .LBB46_1361
.LBB46_1359:
	s_mov_b32 s9, -1
                                        ; implicit-def: $vgpr6
	s_branch .LBB46_1364
.LBB46_1360:
	s_mov_b32 s9, -1
                                        ; implicit-def: $vgpr6
.LBB46_1361:
	s_delay_alu instid0(SALU_CYCLE_1)
	s_and_not1_b32 vcc_lo, exec_lo, s9
	s_cbranch_vccnz .LBB46_1363
; %bb.1362:
	global_load_b32 v1, v[2:3], off
	s_wait_loadcnt 0x0
	v_cvt_i32_f32_e32 v6, v1
.LBB46_1363:
	s_mov_b32 s9, 0
.LBB46_1364:
	s_delay_alu instid0(SALU_CYCLE_1)
	s_and_not1_b32 vcc_lo, exec_lo, s9
	s_cbranch_vccnz .LBB46_1366
; %bb.1365:
	global_load_u16 v1, v[2:3], off
	s_wait_loadcnt 0x0
	v_cvt_f32_f16_e32 v1, v1
	s_delay_alu instid0(VALU_DEP_1)
	v_cvt_i32_f32_e32 v6, v1
.LBB46_1366:
	s_mov_b32 s9, 0
.LBB46_1367:
	s_delay_alu instid0(SALU_CYCLE_1)
	s_and_not1_b32 vcc_lo, exec_lo, s9
	s_cbranch_vccnz .LBB46_1387
; %bb.1368:
	s_cmp_lt_i32 s0, 2
	s_cbranch_scc1 .LBB46_1372
; %bb.1369:
	s_cmp_lt_i32 s0, 3
	s_cbranch_scc1 .LBB46_1373
; %bb.1370:
	s_cmp_gt_i32 s0, 3
	s_cbranch_scc0 .LBB46_1374
; %bb.1371:
	s_wait_loadcnt 0x0
	global_load_b32 v6, v[2:3], off
	s_mov_b32 s9, 0
	s_branch .LBB46_1375
.LBB46_1372:
	s_mov_b32 s9, -1
                                        ; implicit-def: $vgpr6
	s_branch .LBB46_1381
.LBB46_1373:
	s_mov_b32 s9, -1
                                        ; implicit-def: $vgpr6
	s_branch .LBB46_1378
.LBB46_1374:
	s_mov_b32 s9, -1
                                        ; implicit-def: $vgpr6
.LBB46_1375:
	s_delay_alu instid0(SALU_CYCLE_1)
	s_and_not1_b32 vcc_lo, exec_lo, s9
	s_cbranch_vccnz .LBB46_1377
; %bb.1376:
	s_wait_loadcnt 0x0
	global_load_b32 v6, v[2:3], off
.LBB46_1377:
	s_mov_b32 s9, 0
.LBB46_1378:
	s_delay_alu instid0(SALU_CYCLE_1)
	s_and_not1_b32 vcc_lo, exec_lo, s9
	s_cbranch_vccnz .LBB46_1380
; %bb.1379:
	s_wait_loadcnt 0x0
	global_load_i16 v6, v[2:3], off
.LBB46_1380:
	s_mov_b32 s9, 0
.LBB46_1381:
	s_delay_alu instid0(SALU_CYCLE_1)
	s_and_not1_b32 vcc_lo, exec_lo, s9
	s_cbranch_vccnz .LBB46_1387
; %bb.1382:
	s_cmp_gt_i32 s0, 0
	s_mov_b32 s9, 0
	s_cbranch_scc0 .LBB46_1384
; %bb.1383:
	s_wait_loadcnt 0x0
	global_load_i8 v6, v[2:3], off
	s_branch .LBB46_1385
.LBB46_1384:
	s_mov_b32 s9, -1
                                        ; implicit-def: $vgpr6
.LBB46_1385:
	s_delay_alu instid0(SALU_CYCLE_1)
	s_and_not1_b32 vcc_lo, exec_lo, s9
	s_cbranch_vccnz .LBB46_1387
; %bb.1386:
	s_wait_loadcnt 0x0
	global_load_u8 v6, v[2:3], off
.LBB46_1387:
.LBB46_1388:
	v_add_nc_u32_e32 v0, s3, v0
	s_cmp_lt_i32 s0, 11
	s_delay_alu instid0(VALU_DEP_1) | instskip(NEXT) | instid1(VALU_DEP_1)
	v_ashrrev_i32_e32 v1, 31, v0
	v_add_nc_u64_e32 v[0:1], s[6:7], v[0:1]
	s_cbranch_scc1 .LBB46_1395
; %bb.1389:
	s_cmp_gt_i32 s0, 25
	s_mov_b32 s6, 0
	s_cbranch_scc0 .LBB46_1396
; %bb.1390:
	s_cmp_gt_i32 s0, 28
	s_cbranch_scc0 .LBB46_1397
; %bb.1391:
	s_cmp_gt_i32 s0, 43
	;; [unrolled: 3-line block ×3, first 2 shown]
	s_cbranch_scc0 .LBB46_1400
; %bb.1393:
	s_cmp_eq_u32 s0, 46
	s_mov_b32 s9, 0
	s_cbranch_scc0 .LBB46_1401
; %bb.1394:
	global_load_b32 v2, v[0:1], off
	s_mov_b32 s3, 0
	s_mov_b32 s7, -1
	s_wait_loadcnt 0x0
	v_lshlrev_b32_e32 v2, 16, v2
	s_delay_alu instid0(VALU_DEP_1)
	v_cvt_i32_f32_e32 v5, v2
	s_branch .LBB46_1403
.LBB46_1395:
	s_mov_b32 s3, -1
	s_mov_b32 s7, 0
                                        ; implicit-def: $vgpr5
	s_branch .LBB46_1465
.LBB46_1396:
	s_mov_b32 s9, -1
	s_mov_b32 s7, 0
	s_mov_b32 s3, 0
                                        ; implicit-def: $vgpr5
	s_branch .LBB46_1430
.LBB46_1397:
	s_mov_b32 s9, -1
	s_mov_b32 s7, 0
	s_mov_b32 s3, 0
                                        ; implicit-def: $vgpr5
	s_branch .LBB46_1413
.LBB46_1398:
	s_mov_b32 s9, -1
	s_mov_b32 s7, 0
	s_mov_b32 s3, 0
                                        ; implicit-def: $vgpr5
	s_branch .LBB46_1408
.LBB46_1399:
	s_or_b32 s1, s1, exec_lo
	s_trap 2
	s_cbranch_execz .LBB46_1338
	s_branch .LBB46_1339
.LBB46_1400:
	s_mov_b32 s9, -1
	s_mov_b32 s7, 0
	s_mov_b32 s3, 0
	s_branch .LBB46_1402
.LBB46_1401:
	s_mov_b32 s3, -1
	s_mov_b32 s7, 0
.LBB46_1402:
                                        ; implicit-def: $vgpr5
.LBB46_1403:
	s_and_b32 vcc_lo, exec_lo, s9
	s_cbranch_vccz .LBB46_1407
; %bb.1404:
	s_cmp_eq_u32 s0, 44
	s_cbranch_scc0 .LBB46_1406
; %bb.1405:
	global_load_u8 v2, v[0:1], off
	s_mov_b32 s3, 0
	s_mov_b32 s7, -1
	s_wait_loadcnt 0x0
	v_lshlrev_b32_e32 v3, 23, v2
	v_cmp_ne_u32_e32 vcc_lo, 0, v2
	s_delay_alu instid0(VALU_DEP_2) | instskip(NEXT) | instid1(VALU_DEP_1)
	v_cvt_i32_f32_e32 v3, v3
	v_cndmask_b32_e32 v5, 0, v3, vcc_lo
	s_branch .LBB46_1407
.LBB46_1406:
	s_mov_b32 s3, -1
                                        ; implicit-def: $vgpr5
.LBB46_1407:
	s_mov_b32 s9, 0
.LBB46_1408:
	s_delay_alu instid0(SALU_CYCLE_1)
	s_and_b32 vcc_lo, exec_lo, s9
	s_cbranch_vccz .LBB46_1412
; %bb.1409:
	s_cmp_eq_u32 s0, 29
	s_cbranch_scc0 .LBB46_1411
; %bb.1410:
	global_load_b32 v5, v[0:1], off
	s_mov_b32 s3, 0
	s_mov_b32 s7, -1
	s_branch .LBB46_1412
.LBB46_1411:
	s_mov_b32 s3, -1
                                        ; implicit-def: $vgpr5
.LBB46_1412:
	s_mov_b32 s9, 0
.LBB46_1413:
	s_delay_alu instid0(SALU_CYCLE_1)
	s_and_b32 vcc_lo, exec_lo, s9
	s_cbranch_vccz .LBB46_1429
; %bb.1414:
	s_cmp_lt_i32 s0, 27
	s_cbranch_scc1 .LBB46_1417
; %bb.1415:
	s_cmp_gt_i32 s0, 27
	s_cbranch_scc0 .LBB46_1418
; %bb.1416:
	s_wait_loadcnt 0x0
	global_load_b32 v5, v[0:1], off
	s_mov_b32 s7, 0
	s_branch .LBB46_1419
.LBB46_1417:
	s_mov_b32 s7, -1
                                        ; implicit-def: $vgpr5
	s_branch .LBB46_1422
.LBB46_1418:
	s_mov_b32 s7, -1
                                        ; implicit-def: $vgpr5
.LBB46_1419:
	s_delay_alu instid0(SALU_CYCLE_1)
	s_and_not1_b32 vcc_lo, exec_lo, s7
	s_cbranch_vccnz .LBB46_1421
; %bb.1420:
	s_wait_loadcnt 0x0
	global_load_u16 v5, v[0:1], off
.LBB46_1421:
	s_mov_b32 s7, 0
.LBB46_1422:
	s_delay_alu instid0(SALU_CYCLE_1)
	s_and_not1_b32 vcc_lo, exec_lo, s7
	s_cbranch_vccnz .LBB46_1428
; %bb.1423:
	global_load_u8 v2, v[0:1], off
	s_mov_b32 s9, 0
	s_mov_b32 s7, exec_lo
	s_wait_loadcnt 0x0
	v_cmpx_lt_i16_e32 0x7f, v2
	s_xor_b32 s7, exec_lo, s7
	s_cbranch_execz .LBB46_1440
; %bb.1424:
	v_cmp_ne_u16_e32 vcc_lo, 0x80, v2
	s_and_b32 s9, vcc_lo, exec_lo
	s_and_not1_saveexec_b32 s7, s7
	s_cbranch_execnz .LBB46_1441
.LBB46_1425:
	s_or_b32 exec_lo, exec_lo, s7
	v_mov_b32_e32 v5, 0
	s_and_saveexec_b32 s7, s9
	s_cbranch_execz .LBB46_1427
.LBB46_1426:
	v_and_b32_e32 v3, 0xffff, v2
	s_delay_alu instid0(VALU_DEP_1) | instskip(SKIP_1) | instid1(VALU_DEP_2)
	v_and_b32_e32 v5, 7, v3
	v_bfe_u32 v11, v3, 3, 4
	v_clz_i32_u32_e32 v9, v5
	s_delay_alu instid0(VALU_DEP_2) | instskip(NEXT) | instid1(VALU_DEP_2)
	v_cmp_eq_u32_e32 vcc_lo, 0, v11
	v_min_u32_e32 v9, 32, v9
	s_delay_alu instid0(VALU_DEP_1) | instskip(NEXT) | instid1(VALU_DEP_1)
	v_subrev_nc_u32_e32 v10, 28, v9
	v_dual_lshlrev_b32 v3, v10, v3 :: v_dual_sub_nc_u32 v9, 29, v9
	s_delay_alu instid0(VALU_DEP_1) | instskip(NEXT) | instid1(VALU_DEP_1)
	v_dual_lshlrev_b32 v2, 24, v2 :: v_dual_bitop2_b32 v3, 7, v3 bitop3:0x40
	v_dual_cndmask_b32 v9, v11, v9, vcc_lo :: v_dual_cndmask_b32 v3, v5, v3, vcc_lo
	s_delay_alu instid0(VALU_DEP_2) | instskip(NEXT) | instid1(VALU_DEP_2)
	v_and_b32_e32 v2, 0x80000000, v2
	v_lshl_add_u32 v5, v9, 23, 0x3b800000
	s_delay_alu instid0(VALU_DEP_3) | instskip(NEXT) | instid1(VALU_DEP_1)
	v_lshlrev_b32_e32 v3, 20, v3
	v_or3_b32 v2, v2, v5, v3
	s_delay_alu instid0(VALU_DEP_1)
	v_cvt_i32_f32_e32 v5, v2
.LBB46_1427:
	s_or_b32 exec_lo, exec_lo, s7
.LBB46_1428:
	s_mov_b32 s7, -1
.LBB46_1429:
	s_mov_b32 s9, 0
.LBB46_1430:
	s_delay_alu instid0(SALU_CYCLE_1)
	s_and_b32 vcc_lo, exec_lo, s9
	s_cbranch_vccz .LBB46_1461
; %bb.1431:
	s_cmp_gt_i32 s0, 22
	s_cbranch_scc0 .LBB46_1439
; %bb.1432:
	s_cmp_lt_i32 s0, 24
	s_cbranch_scc1 .LBB46_1442
; %bb.1433:
	s_cmp_gt_i32 s0, 24
	s_cbranch_scc0 .LBB46_1443
; %bb.1434:
	global_load_u8 v2, v[0:1], off
	s_mov_b32 s7, 0
	s_mov_b32 s6, exec_lo
	s_wait_loadcnt 0x0
	v_cmpx_lt_i16_e32 0x7f, v2
	s_xor_b32 s6, exec_lo, s6
	s_cbranch_execz .LBB46_1455
; %bb.1435:
	v_cmp_ne_u16_e32 vcc_lo, 0x80, v2
	s_and_b32 s7, vcc_lo, exec_lo
	s_and_not1_saveexec_b32 s6, s6
	s_cbranch_execnz .LBB46_1456
.LBB46_1436:
	s_or_b32 exec_lo, exec_lo, s6
	v_mov_b32_e32 v5, 0
	s_and_saveexec_b32 s6, s7
	s_cbranch_execz .LBB46_1438
.LBB46_1437:
	v_and_b32_e32 v3, 0xffff, v2
	s_delay_alu instid0(VALU_DEP_1) | instskip(SKIP_1) | instid1(VALU_DEP_2)
	v_and_b32_e32 v5, 3, v3
	v_bfe_u32 v11, v3, 2, 5
	v_clz_i32_u32_e32 v9, v5
	s_delay_alu instid0(VALU_DEP_2) | instskip(NEXT) | instid1(VALU_DEP_2)
	v_cmp_eq_u32_e32 vcc_lo, 0, v11
	v_min_u32_e32 v9, 32, v9
	s_delay_alu instid0(VALU_DEP_1) | instskip(NEXT) | instid1(VALU_DEP_1)
	v_subrev_nc_u32_e32 v10, 29, v9
	v_dual_lshlrev_b32 v3, v10, v3 :: v_dual_sub_nc_u32 v9, 30, v9
	s_delay_alu instid0(VALU_DEP_1) | instskip(NEXT) | instid1(VALU_DEP_1)
	v_dual_lshlrev_b32 v2, 24, v2 :: v_dual_bitop2_b32 v3, 3, v3 bitop3:0x40
	v_dual_cndmask_b32 v9, v11, v9, vcc_lo :: v_dual_cndmask_b32 v3, v5, v3, vcc_lo
	s_delay_alu instid0(VALU_DEP_2) | instskip(NEXT) | instid1(VALU_DEP_2)
	v_and_b32_e32 v2, 0x80000000, v2
	v_lshl_add_u32 v5, v9, 23, 0x37800000
	s_delay_alu instid0(VALU_DEP_3) | instskip(NEXT) | instid1(VALU_DEP_1)
	v_lshlrev_b32_e32 v3, 21, v3
	v_or3_b32 v2, v2, v5, v3
	s_delay_alu instid0(VALU_DEP_1)
	v_cvt_i32_f32_e32 v5, v2
.LBB46_1438:
	s_or_b32 exec_lo, exec_lo, s6
	s_mov_b32 s6, 0
	s_branch .LBB46_1444
.LBB46_1439:
	s_mov_b32 s6, -1
                                        ; implicit-def: $vgpr5
	s_branch .LBB46_1450
.LBB46_1440:
	s_and_not1_saveexec_b32 s7, s7
	s_cbranch_execz .LBB46_1425
.LBB46_1441:
	v_cmp_ne_u16_e32 vcc_lo, 0, v2
	s_and_not1_b32 s9, s9, exec_lo
	s_and_b32 s14, vcc_lo, exec_lo
	s_delay_alu instid0(SALU_CYCLE_1)
	s_or_b32 s9, s9, s14
	s_or_b32 exec_lo, exec_lo, s7
	v_mov_b32_e32 v5, 0
	s_and_saveexec_b32 s7, s9
	s_cbranch_execnz .LBB46_1426
	s_branch .LBB46_1427
.LBB46_1442:
	s_mov_b32 s6, -1
                                        ; implicit-def: $vgpr5
	s_branch .LBB46_1447
.LBB46_1443:
	s_mov_b32 s6, -1
                                        ; implicit-def: $vgpr5
.LBB46_1444:
	s_delay_alu instid0(SALU_CYCLE_1)
	s_and_b32 vcc_lo, exec_lo, s6
	s_cbranch_vccz .LBB46_1446
; %bb.1445:
	global_load_u8 v2, v[0:1], off
	s_wait_loadcnt 0x0
	v_lshlrev_b32_e32 v2, 24, v2
	s_delay_alu instid0(VALU_DEP_1) | instskip(NEXT) | instid1(VALU_DEP_1)
	v_and_b32_e32 v3, 0x7f000000, v2
	v_clz_i32_u32_e32 v5, v3
	v_cmp_ne_u32_e32 vcc_lo, 0, v3
	v_add_nc_u32_e32 v10, 0x1000000, v3
	s_delay_alu instid0(VALU_DEP_3) | instskip(NEXT) | instid1(VALU_DEP_1)
	v_min_u32_e32 v5, 32, v5
	v_sub_nc_u32_e64 v5, v5, 4 clamp
	s_delay_alu instid0(VALU_DEP_1) | instskip(NEXT) | instid1(VALU_DEP_1)
	v_dual_lshlrev_b32 v9, v5, v3 :: v_dual_lshlrev_b32 v5, 23, v5
	v_lshrrev_b32_e32 v9, 4, v9
	s_delay_alu instid0(VALU_DEP_1) | instskip(NEXT) | instid1(VALU_DEP_1)
	v_dual_sub_nc_u32 v5, v9, v5 :: v_dual_ashrrev_i32 v9, 8, v10
	v_add_nc_u32_e32 v5, 0x3c000000, v5
	s_delay_alu instid0(VALU_DEP_1) | instskip(NEXT) | instid1(VALU_DEP_1)
	v_and_or_b32 v5, 0x7f800000, v9, v5
	v_cndmask_b32_e32 v3, 0, v5, vcc_lo
	s_delay_alu instid0(VALU_DEP_1) | instskip(NEXT) | instid1(VALU_DEP_1)
	v_and_or_b32 v2, 0x80000000, v2, v3
	v_cvt_i32_f32_e32 v5, v2
.LBB46_1446:
	s_mov_b32 s6, 0
.LBB46_1447:
	s_delay_alu instid0(SALU_CYCLE_1)
	s_and_not1_b32 vcc_lo, exec_lo, s6
	s_cbranch_vccnz .LBB46_1449
; %bb.1448:
	global_load_u8 v2, v[0:1], off
	s_wait_loadcnt 0x0
	v_lshlrev_b32_e32 v3, 25, v2
	v_lshlrev_b16 v2, 8, v2
	s_delay_alu instid0(VALU_DEP_1) | instskip(SKIP_1) | instid1(VALU_DEP_2)
	v_and_or_b32 v9, 0x7f00, v2, 0.5
	v_bfe_i32 v2, v2, 0, 16
	v_dual_add_f32 v9, -0.5, v9 :: v_dual_lshrrev_b32 v5, 4, v3
	v_cmp_gt_u32_e32 vcc_lo, 0x8000000, v3
	s_delay_alu instid0(VALU_DEP_2) | instskip(NEXT) | instid1(VALU_DEP_1)
	v_or_b32_e32 v5, 0x70000000, v5
	v_mul_f32_e32 v5, 0x7800000, v5
	s_delay_alu instid0(VALU_DEP_1) | instskip(NEXT) | instid1(VALU_DEP_1)
	v_cndmask_b32_e32 v3, v5, v9, vcc_lo
	v_and_or_b32 v2, 0x80000000, v2, v3
	s_delay_alu instid0(VALU_DEP_1)
	v_cvt_i32_f32_e32 v5, v2
.LBB46_1449:
	s_mov_b32 s6, 0
	s_mov_b32 s7, -1
.LBB46_1450:
	s_and_not1_b32 vcc_lo, exec_lo, s6
	s_mov_b32 s6, 0
	s_cbranch_vccnz .LBB46_1461
; %bb.1451:
	s_cmp_gt_i32 s0, 14
	s_cbranch_scc0 .LBB46_1454
; %bb.1452:
	s_cmp_eq_u32 s0, 15
	s_cbranch_scc0 .LBB46_1457
; %bb.1453:
	global_load_u16 v2, v[0:1], off
	s_mov_b32 s3, 0
	s_mov_b32 s7, -1
	s_wait_loadcnt 0x0
	v_lshlrev_b32_e32 v2, 16, v2
	s_delay_alu instid0(VALU_DEP_1)
	v_cvt_i32_f32_e32 v5, v2
	s_branch .LBB46_1459
.LBB46_1454:
	s_mov_b32 s6, -1
	s_branch .LBB46_1458
.LBB46_1455:
	s_and_not1_saveexec_b32 s6, s6
	s_cbranch_execz .LBB46_1436
.LBB46_1456:
	v_cmp_ne_u16_e32 vcc_lo, 0, v2
	s_and_not1_b32 s7, s7, exec_lo
	s_and_b32 s9, vcc_lo, exec_lo
	s_delay_alu instid0(SALU_CYCLE_1)
	s_or_b32 s7, s7, s9
	s_or_b32 exec_lo, exec_lo, s6
	v_mov_b32_e32 v5, 0
	s_and_saveexec_b32 s6, s7
	s_cbranch_execnz .LBB46_1437
	s_branch .LBB46_1438
.LBB46_1457:
	s_mov_b32 s3, -1
.LBB46_1458:
                                        ; implicit-def: $vgpr5
.LBB46_1459:
	s_and_b32 vcc_lo, exec_lo, s6
	s_mov_b32 s6, 0
	s_cbranch_vccz .LBB46_1461
; %bb.1460:
	s_cmp_lg_u32 s0, 11
	s_mov_b32 s6, -1
	s_cselect_b32 s3, -1, 0
.LBB46_1461:
	s_delay_alu instid0(SALU_CYCLE_1)
	s_and_b32 vcc_lo, exec_lo, s3
	s_cbranch_vccnz .LBB46_1993
; %bb.1462:
	s_and_not1_b32 vcc_lo, exec_lo, s6
	s_cbranch_vccnz .LBB46_1464
.LBB46_1463:
	global_load_u8 v2, v[0:1], off
	s_mov_b32 s7, -1
	s_wait_loadcnt 0x0
	v_cmp_ne_u16_e32 vcc_lo, 0, v2
	v_cndmask_b32_e64 v5, 0, 1, vcc_lo
.LBB46_1464:
	s_mov_b32 s3, 0
.LBB46_1465:
	s_delay_alu instid0(SALU_CYCLE_1)
	s_and_b32 vcc_lo, exec_lo, s3
	s_cbranch_vccz .LBB46_1514
; %bb.1466:
	s_cmp_lt_i32 s0, 5
	s_cbranch_scc1 .LBB46_1471
; %bb.1467:
	s_cmp_lt_i32 s0, 8
	s_cbranch_scc1 .LBB46_1472
	;; [unrolled: 3-line block ×3, first 2 shown]
; %bb.1469:
	s_cmp_gt_i32 s0, 9
	s_cbranch_scc0 .LBB46_1474
; %bb.1470:
	global_load_b64 v[2:3], v[0:1], off
	s_mov_b32 s3, 0
	s_wait_loadcnt 0x0
	v_cvt_i32_f64_e32 v5, v[2:3]
	s_branch .LBB46_1475
.LBB46_1471:
	s_mov_b32 s3, -1
                                        ; implicit-def: $vgpr5
	s_branch .LBB46_1493
.LBB46_1472:
	s_mov_b32 s3, -1
                                        ; implicit-def: $vgpr5
	s_branch .LBB46_1481
.LBB46_1473:
	s_mov_b32 s3, -1
                                        ; implicit-def: $vgpr5
	s_branch .LBB46_1478
.LBB46_1474:
	s_mov_b32 s3, -1
                                        ; implicit-def: $vgpr5
.LBB46_1475:
	s_delay_alu instid0(SALU_CYCLE_1)
	s_and_not1_b32 vcc_lo, exec_lo, s3
	s_cbranch_vccnz .LBB46_1477
; %bb.1476:
	global_load_b32 v2, v[0:1], off
	s_wait_loadcnt 0x0
	v_cvt_i32_f32_e32 v5, v2
.LBB46_1477:
	s_mov_b32 s3, 0
.LBB46_1478:
	s_delay_alu instid0(SALU_CYCLE_1)
	s_and_not1_b32 vcc_lo, exec_lo, s3
	s_cbranch_vccnz .LBB46_1480
; %bb.1479:
	global_load_b32 v2, v[0:1], off
	s_wait_loadcnt 0x0
	v_cvt_f32_f16_e32 v2, v2
	s_delay_alu instid0(VALU_DEP_1)
	v_cvt_i32_f32_e32 v5, v2
.LBB46_1480:
	s_mov_b32 s3, 0
.LBB46_1481:
	s_delay_alu instid0(SALU_CYCLE_1)
	s_and_not1_b32 vcc_lo, exec_lo, s3
	s_cbranch_vccnz .LBB46_1492
; %bb.1482:
	s_cmp_lt_i32 s0, 6
	s_cbranch_scc1 .LBB46_1485
; %bb.1483:
	s_cmp_gt_i32 s0, 6
	s_cbranch_scc0 .LBB46_1486
; %bb.1484:
	global_load_b64 v[2:3], v[0:1], off
	s_mov_b32 s3, 0
	s_wait_loadcnt 0x0
	v_cvt_i32_f64_e32 v5, v[2:3]
	s_branch .LBB46_1487
.LBB46_1485:
	s_mov_b32 s3, -1
                                        ; implicit-def: $vgpr5
	s_branch .LBB46_1490
.LBB46_1486:
	s_mov_b32 s3, -1
                                        ; implicit-def: $vgpr5
.LBB46_1487:
	s_delay_alu instid0(SALU_CYCLE_1)
	s_and_not1_b32 vcc_lo, exec_lo, s3
	s_cbranch_vccnz .LBB46_1489
; %bb.1488:
	global_load_b32 v2, v[0:1], off
	s_wait_loadcnt 0x0
	v_cvt_i32_f32_e32 v5, v2
.LBB46_1489:
	s_mov_b32 s3, 0
.LBB46_1490:
	s_delay_alu instid0(SALU_CYCLE_1)
	s_and_not1_b32 vcc_lo, exec_lo, s3
	s_cbranch_vccnz .LBB46_1492
; %bb.1491:
	global_load_u16 v2, v[0:1], off
	s_wait_loadcnt 0x0
	v_cvt_f32_f16_e32 v2, v2
	s_delay_alu instid0(VALU_DEP_1)
	v_cvt_i32_f32_e32 v5, v2
.LBB46_1492:
	s_mov_b32 s3, 0
.LBB46_1493:
	s_delay_alu instid0(SALU_CYCLE_1)
	s_and_not1_b32 vcc_lo, exec_lo, s3
	s_cbranch_vccnz .LBB46_1513
; %bb.1494:
	s_cmp_lt_i32 s0, 2
	s_cbranch_scc1 .LBB46_1498
; %bb.1495:
	s_cmp_lt_i32 s0, 3
	s_cbranch_scc1 .LBB46_1499
; %bb.1496:
	s_cmp_gt_i32 s0, 3
	s_cbranch_scc0 .LBB46_1500
; %bb.1497:
	s_wait_loadcnt 0x0
	global_load_b32 v5, v[0:1], off
	s_mov_b32 s3, 0
	s_branch .LBB46_1501
.LBB46_1498:
	s_mov_b32 s3, -1
                                        ; implicit-def: $vgpr5
	s_branch .LBB46_1507
.LBB46_1499:
	s_mov_b32 s3, -1
                                        ; implicit-def: $vgpr5
	s_branch .LBB46_1504
.LBB46_1500:
	s_mov_b32 s3, -1
                                        ; implicit-def: $vgpr5
.LBB46_1501:
	s_delay_alu instid0(SALU_CYCLE_1)
	s_and_not1_b32 vcc_lo, exec_lo, s3
	s_cbranch_vccnz .LBB46_1503
; %bb.1502:
	s_wait_loadcnt 0x0
	global_load_b32 v5, v[0:1], off
.LBB46_1503:
	s_mov_b32 s3, 0
.LBB46_1504:
	s_delay_alu instid0(SALU_CYCLE_1)
	s_and_not1_b32 vcc_lo, exec_lo, s3
	s_cbranch_vccnz .LBB46_1506
; %bb.1505:
	s_wait_loadcnt 0x0
	global_load_i16 v5, v[0:1], off
.LBB46_1506:
	s_mov_b32 s3, 0
.LBB46_1507:
	s_delay_alu instid0(SALU_CYCLE_1)
	s_and_not1_b32 vcc_lo, exec_lo, s3
	s_cbranch_vccnz .LBB46_1513
; %bb.1508:
	s_cmp_gt_i32 s0, 0
	s_mov_b32 s0, 0
	s_cbranch_scc0 .LBB46_1510
; %bb.1509:
	s_wait_loadcnt 0x0
	global_load_i8 v5, v[0:1], off
	s_branch .LBB46_1511
.LBB46_1510:
	s_mov_b32 s0, -1
                                        ; implicit-def: $vgpr5
.LBB46_1511:
	s_delay_alu instid0(SALU_CYCLE_1)
	s_and_not1_b32 vcc_lo, exec_lo, s0
	s_cbranch_vccnz .LBB46_1513
; %bb.1512:
	s_wait_loadcnt 0x0
	global_load_u8 v5, v[0:1], off
.LBB46_1513:
	s_mov_b32 s7, -1
.LBB46_1514:
	s_delay_alu instid0(SALU_CYCLE_1)
	s_and_not1_b32 vcc_lo, exec_lo, s7
	s_cbranch_vccnz .LBB46_1947
; %bb.1515:
	s_wait_xcnt 0x0
	v_mul_lo_u32 v0, s8, v4
	s_wait_loadcnt 0x0
	v_cmp_ne_u32_e32 vcc_lo, s11, v8
	s_cmp_eq_u32 s10, 0
	s_mov_b32 s9, 0
	s_cselect_b32 s3, -1, 0
	s_and_b32 s14, s2, 0xff
	s_xor_b32 s2, s3, vcc_lo
	s_cmp_lt_i32 s14, 11
	s_mov_b32 s0, -1
	s_delay_alu instid0(VALU_DEP_2) | instskip(NEXT) | instid1(VALU_DEP_1)
	v_ashrrev_i32_e32 v1, 31, v0
	v_add_nc_u64_e32 v[2:3], s[4:5], v[0:1]
	s_cbranch_scc1 .LBB46_1594
; %bb.1516:
	s_and_b32 s6, 0xffff, s14
	s_mov_b32 s10, -1
	s_mov_b32 s7, 0
	s_cmp_gt_i32 s6, 25
	s_mov_b32 s0, 0
	s_cbranch_scc0 .LBB46_1549
; %bb.1517:
	s_cmp_gt_i32 s6, 28
	s_cbranch_scc0 .LBB46_1532
; %bb.1518:
	s_cmp_gt_i32 s6, 43
	;; [unrolled: 3-line block ×3, first 2 shown]
	s_cbranch_scc0 .LBB46_1522
; %bb.1520:
	s_mov_b32 s0, -1
	s_mov_b32 s10, 0
	s_cmp_eq_u32 s6, 46
	s_cbranch_scc0 .LBB46_1522
; %bb.1521:
	v_cndmask_b32_e64 v1, 0, 1.0, s2
	s_mov_b32 s0, 0
	s_mov_b32 s9, -1
	s_delay_alu instid0(VALU_DEP_1) | instskip(NEXT) | instid1(VALU_DEP_1)
	v_bfe_u32 v4, v1, 16, 1
	v_add3_u32 v1, v1, v4, 0x7fff
	s_delay_alu instid0(VALU_DEP_1)
	v_lshrrev_b32_e32 v1, 16, v1
	global_store_b32 v[2:3], v1, off
.LBB46_1522:
	s_and_b32 vcc_lo, exec_lo, s10
	s_cbranch_vccz .LBB46_1527
; %bb.1523:
	s_cmp_eq_u32 s6, 44
	s_mov_b32 s0, -1
	s_cbranch_scc0 .LBB46_1527
; %bb.1524:
	v_cndmask_b32_e64 v8, 0, 1.0, s2
	s_mov_b32 s9, exec_lo
	s_wait_xcnt 0x0
	s_delay_alu instid0(VALU_DEP_1) | instskip(NEXT) | instid1(VALU_DEP_1)
	v_dual_mov_b32 v4, 0xff :: v_dual_lshrrev_b32 v1, 23, v8
	v_cmpx_ne_u32_e32 0xff, v1
; %bb.1525:
	v_and_b32_e32 v4, 0x400000, v8
	v_and_or_b32 v8, 0x3fffff, v8, v1
	s_delay_alu instid0(VALU_DEP_2) | instskip(NEXT) | instid1(VALU_DEP_2)
	v_cmp_ne_u32_e32 vcc_lo, 0, v4
	v_cmp_ne_u32_e64 s0, 0, v8
	s_and_b32 s0, vcc_lo, s0
	s_delay_alu instid0(SALU_CYCLE_1) | instskip(NEXT) | instid1(VALU_DEP_1)
	v_cndmask_b32_e64 v4, 0, 1, s0
	v_add_nc_u32_e32 v4, v1, v4
; %bb.1526:
	s_or_b32 exec_lo, exec_lo, s9
	s_mov_b32 s0, 0
	s_mov_b32 s9, -1
	global_store_b8 v[2:3], v4, off
.LBB46_1527:
	s_mov_b32 s10, 0
.LBB46_1528:
	s_delay_alu instid0(SALU_CYCLE_1)
	s_and_b32 vcc_lo, exec_lo, s10
	s_cbranch_vccz .LBB46_1531
; %bb.1529:
	s_cmp_eq_u32 s6, 29
	s_mov_b32 s0, -1
	s_cbranch_scc0 .LBB46_1531
; %bb.1530:
	s_mov_b32 s0, 0
	v_cndmask_b32_e64 v8, 0, 1, s2
	v_mov_b32_e32 v9, s0
	s_mov_b32 s9, -1
	global_store_b64 v[2:3], v[8:9], off
.LBB46_1531:
	s_mov_b32 s10, 0
.LBB46_1532:
	s_delay_alu instid0(SALU_CYCLE_1)
	s_and_b32 vcc_lo, exec_lo, s10
	s_cbranch_vccz .LBB46_1548
; %bb.1533:
	s_cmp_lt_i32 s6, 27
	s_mov_b32 s9, -1
	s_cbranch_scc1 .LBB46_1539
; %bb.1534:
	s_cmp_gt_i32 s6, 27
	s_cbranch_scc0 .LBB46_1536
; %bb.1535:
	s_wait_xcnt 0x0
	v_cndmask_b32_e64 v1, 0, 1, s2
	s_mov_b32 s9, 0
	global_store_b32 v[2:3], v1, off
.LBB46_1536:
	s_and_not1_b32 vcc_lo, exec_lo, s9
	s_cbranch_vccnz .LBB46_1538
; %bb.1537:
	s_wait_xcnt 0x0
	v_cndmask_b32_e64 v1, 0, 1, s2
	global_store_b16 v[2:3], v1, off
.LBB46_1538:
	s_mov_b32 s9, 0
.LBB46_1539:
	s_delay_alu instid0(SALU_CYCLE_1)
	s_and_not1_b32 vcc_lo, exec_lo, s9
	s_cbranch_vccnz .LBB46_1547
; %bb.1540:
	s_wait_xcnt 0x0
	v_cndmask_b32_e64 v4, 0, 1.0, s2
	v_mov_b32_e32 v8, 0x80
	s_mov_b32 s9, exec_lo
	s_delay_alu instid0(VALU_DEP_2)
	v_cmpx_gt_u32_e32 0x43800000, v4
	s_cbranch_execz .LBB46_1546
; %bb.1541:
	s_mov_b32 s10, 0
	s_mov_b32 s15, exec_lo
                                        ; implicit-def: $vgpr1
	v_cmpx_lt_u32_e32 0x3bffffff, v4
	s_xor_b32 s15, exec_lo, s15
	s_cbranch_execz .LBB46_1994
; %bb.1542:
	v_bfe_u32 v1, v4, 20, 1
	s_mov_b32 s10, exec_lo
	s_delay_alu instid0(VALU_DEP_1) | instskip(NEXT) | instid1(VALU_DEP_1)
	v_add3_u32 v1, v4, v1, 0x487ffff
                                        ; implicit-def: $vgpr4
	v_lshrrev_b32_e32 v1, 20, v1
	s_and_not1_saveexec_b32 s15, s15
	s_cbranch_execnz .LBB46_1995
.LBB46_1543:
	s_or_b32 exec_lo, exec_lo, s15
	v_mov_b32_e32 v8, 0
	s_and_saveexec_b32 s15, s10
.LBB46_1544:
	v_mov_b32_e32 v8, v1
.LBB46_1545:
	s_or_b32 exec_lo, exec_lo, s15
.LBB46_1546:
	s_delay_alu instid0(SALU_CYCLE_1)
	s_or_b32 exec_lo, exec_lo, s9
	global_store_b8 v[2:3], v8, off
.LBB46_1547:
	s_mov_b32 s9, -1
.LBB46_1548:
	s_mov_b32 s10, 0
.LBB46_1549:
	s_delay_alu instid0(SALU_CYCLE_1)
	s_and_b32 vcc_lo, exec_lo, s10
	s_cbranch_vccz .LBB46_1589
; %bb.1550:
	s_cmp_gt_i32 s6, 22
	s_mov_b32 s7, -1
	s_cbranch_scc0 .LBB46_1582
; %bb.1551:
	s_cmp_lt_i32 s6, 24
	s_cbranch_scc1 .LBB46_1571
; %bb.1552:
	s_cmp_gt_i32 s6, 24
	s_cbranch_scc0 .LBB46_1560
; %bb.1553:
	s_wait_xcnt 0x0
	v_cndmask_b32_e64 v4, 0, 1.0, s2
	v_mov_b32_e32 v8, 0x80
	s_mov_b32 s7, exec_lo
	s_delay_alu instid0(VALU_DEP_2)
	v_cmpx_gt_u32_e32 0x47800000, v4
	s_cbranch_execz .LBB46_1559
; %bb.1554:
	s_mov_b32 s9, 0
	s_mov_b32 s10, exec_lo
                                        ; implicit-def: $vgpr1
	v_cmpx_lt_u32_e32 0x37ffffff, v4
	s_xor_b32 s10, exec_lo, s10
	s_cbranch_execz .LBB46_1997
; %bb.1555:
	v_bfe_u32 v1, v4, 21, 1
	s_mov_b32 s9, exec_lo
	s_delay_alu instid0(VALU_DEP_1) | instskip(NEXT) | instid1(VALU_DEP_1)
	v_add3_u32 v1, v4, v1, 0x88fffff
                                        ; implicit-def: $vgpr4
	v_lshrrev_b32_e32 v1, 21, v1
	s_and_not1_saveexec_b32 s10, s10
	s_cbranch_execnz .LBB46_1998
.LBB46_1556:
	s_or_b32 exec_lo, exec_lo, s10
	v_mov_b32_e32 v8, 0
	s_and_saveexec_b32 s10, s9
.LBB46_1557:
	v_mov_b32_e32 v8, v1
.LBB46_1558:
	s_or_b32 exec_lo, exec_lo, s10
.LBB46_1559:
	s_delay_alu instid0(SALU_CYCLE_1)
	s_or_b32 exec_lo, exec_lo, s7
	s_mov_b32 s7, 0
	global_store_b8 v[2:3], v8, off
.LBB46_1560:
	s_and_b32 vcc_lo, exec_lo, s7
	s_cbranch_vccz .LBB46_1570
; %bb.1561:
	s_wait_xcnt 0x0
	v_cndmask_b32_e64 v4, 0, 1.0, s2
	s_mov_b32 s7, exec_lo
                                        ; implicit-def: $vgpr1
	s_delay_alu instid0(VALU_DEP_1)
	v_cmpx_gt_u32_e32 0x43f00000, v4
	s_xor_b32 s7, exec_lo, s7
	s_cbranch_execz .LBB46_1567
; %bb.1562:
	s_mov_b32 s9, exec_lo
                                        ; implicit-def: $vgpr1
	v_cmpx_lt_u32_e32 0x3c7fffff, v4
	s_xor_b32 s9, exec_lo, s9
; %bb.1563:
	v_bfe_u32 v1, v4, 20, 1
	s_delay_alu instid0(VALU_DEP_1) | instskip(NEXT) | instid1(VALU_DEP_1)
	v_add3_u32 v1, v4, v1, 0x407ffff
	v_and_b32_e32 v4, 0xff00000, v1
	v_lshrrev_b32_e32 v1, 20, v1
	s_delay_alu instid0(VALU_DEP_2) | instskip(NEXT) | instid1(VALU_DEP_2)
	v_cmp_ne_u32_e32 vcc_lo, 0x7f00000, v4
                                        ; implicit-def: $vgpr4
	v_cndmask_b32_e32 v1, 0x7e, v1, vcc_lo
; %bb.1564:
	s_and_not1_saveexec_b32 s9, s9
; %bb.1565:
	v_add_f32_e32 v1, 0x46800000, v4
; %bb.1566:
	s_or_b32 exec_lo, exec_lo, s9
                                        ; implicit-def: $vgpr4
.LBB46_1567:
	s_and_not1_saveexec_b32 s7, s7
; %bb.1568:
	v_mov_b32_e32 v1, 0x7f
	v_cmp_lt_u32_e32 vcc_lo, 0x7f800000, v4
	s_delay_alu instid0(VALU_DEP_2)
	v_cndmask_b32_e32 v1, 0x7e, v1, vcc_lo
; %bb.1569:
	s_or_b32 exec_lo, exec_lo, s7
	global_store_b8 v[2:3], v1, off
.LBB46_1570:
	s_mov_b32 s7, 0
.LBB46_1571:
	s_delay_alu instid0(SALU_CYCLE_1)
	s_and_not1_b32 vcc_lo, exec_lo, s7
	s_cbranch_vccnz .LBB46_1581
; %bb.1572:
	s_wait_xcnt 0x0
	v_cndmask_b32_e64 v4, 0, 1.0, s2
	s_mov_b32 s7, exec_lo
                                        ; implicit-def: $vgpr1
	s_delay_alu instid0(VALU_DEP_1)
	v_cmpx_gt_u32_e32 0x47800000, v4
	s_xor_b32 s7, exec_lo, s7
	s_cbranch_execz .LBB46_1578
; %bb.1573:
	s_mov_b32 s9, exec_lo
                                        ; implicit-def: $vgpr1
	v_cmpx_lt_u32_e32 0x387fffff, v4
	s_xor_b32 s9, exec_lo, s9
; %bb.1574:
	v_bfe_u32 v1, v4, 21, 1
	s_delay_alu instid0(VALU_DEP_1) | instskip(NEXT) | instid1(VALU_DEP_1)
	v_add3_u32 v1, v4, v1, 0x80fffff
                                        ; implicit-def: $vgpr4
	v_lshrrev_b32_e32 v1, 21, v1
; %bb.1575:
	s_and_not1_saveexec_b32 s9, s9
; %bb.1576:
	v_add_f32_e32 v1, 0x43000000, v4
; %bb.1577:
	s_or_b32 exec_lo, exec_lo, s9
                                        ; implicit-def: $vgpr4
.LBB46_1578:
	s_and_not1_saveexec_b32 s7, s7
; %bb.1579:
	v_mov_b32_e32 v1, 0x7f
	v_cmp_lt_u32_e32 vcc_lo, 0x7f800000, v4
	s_delay_alu instid0(VALU_DEP_2)
	v_cndmask_b32_e32 v1, 0x7c, v1, vcc_lo
; %bb.1580:
	s_or_b32 exec_lo, exec_lo, s7
	global_store_b8 v[2:3], v1, off
.LBB46_1581:
	s_mov_b32 s7, 0
	s_mov_b32 s9, -1
.LBB46_1582:
	s_and_not1_b32 vcc_lo, exec_lo, s7
	s_mov_b32 s7, 0
	s_cbranch_vccnz .LBB46_1589
; %bb.1583:
	s_cmp_gt_i32 s6, 14
	s_mov_b32 s7, -1
	s_cbranch_scc0 .LBB46_1587
; %bb.1584:
	s_cmp_eq_u32 s6, 15
	s_mov_b32 s0, -1
	s_cbranch_scc0 .LBB46_1586
; %bb.1585:
	s_wait_xcnt 0x0
	v_cndmask_b32_e64 v1, 0, 1.0, s2
	s_mov_b32 s0, 0
	s_mov_b32 s9, -1
	s_delay_alu instid0(VALU_DEP_1) | instskip(NEXT) | instid1(VALU_DEP_1)
	v_bfe_u32 v4, v1, 16, 1
	v_add3_u32 v1, v1, v4, 0x7fff
	global_store_d16_hi_b16 v[2:3], v1, off
.LBB46_1586:
	s_mov_b32 s7, 0
.LBB46_1587:
	s_delay_alu instid0(SALU_CYCLE_1)
	s_and_b32 vcc_lo, exec_lo, s7
	s_mov_b32 s7, 0
	s_cbranch_vccz .LBB46_1589
; %bb.1588:
	s_cmp_lg_u32 s6, 11
	s_mov_b32 s7, -1
	s_cselect_b32 s0, -1, 0
.LBB46_1589:
	s_delay_alu instid0(SALU_CYCLE_1)
	s_and_b32 vcc_lo, exec_lo, s0
	s_cbranch_vccnz .LBB46_1996
; %bb.1590:
	s_and_not1_b32 vcc_lo, exec_lo, s7
	s_cbranch_vccnz .LBB46_1592
.LBB46_1591:
	s_wait_xcnt 0x0
	v_cndmask_b32_e64 v1, 0, 1, s2
	s_mov_b32 s9, -1
	global_store_b8 v[2:3], v1, off
.LBB46_1592:
.LBB46_1593:
	s_and_not1_b32 vcc_lo, exec_lo, s9
	s_cbranch_vccnz .LBB46_1947
	s_branch .LBB46_1633
.LBB46_1594:
	s_and_b32 vcc_lo, exec_lo, s0
	s_cbranch_vccz .LBB46_1593
; %bb.1595:
	s_and_b32 s0, 0xffff, s14
	s_mov_b32 s6, -1
	s_cmp_lt_i32 s0, 5
	s_cbranch_scc1 .LBB46_1616
; %bb.1596:
	s_cmp_lt_i32 s0, 8
	s_cbranch_scc1 .LBB46_1606
; %bb.1597:
	;; [unrolled: 3-line block ×3, first 2 shown]
	s_cmp_gt_i32 s0, 9
	s_cbranch_scc0 .LBB46_1600
; %bb.1599:
	s_wait_xcnt 0x0
	v_cndmask_b32_e64 v1, 0, 1, s2
	v_mov_b32_e32 v10, 0
	s_mov_b32 s6, 0
	s_delay_alu instid0(VALU_DEP_2) | instskip(NEXT) | instid1(VALU_DEP_2)
	v_cvt_f64_u32_e32 v[8:9], v1
	v_mov_b32_e32 v11, v10
	global_store_b128 v[2:3], v[8:11], off
.LBB46_1600:
	s_and_not1_b32 vcc_lo, exec_lo, s6
	s_cbranch_vccnz .LBB46_1602
; %bb.1601:
	s_wait_xcnt 0x0
	v_cndmask_b32_e64 v8, 0, 1.0, s2
	v_mov_b32_e32 v9, 0
	global_store_b64 v[2:3], v[8:9], off
.LBB46_1602:
	s_mov_b32 s6, 0
.LBB46_1603:
	s_delay_alu instid0(SALU_CYCLE_1)
	s_and_not1_b32 vcc_lo, exec_lo, s6
	s_cbranch_vccnz .LBB46_1605
; %bb.1604:
	s_wait_xcnt 0x0
	v_cndmask_b32_e64 v1, 0, 1.0, s2
	s_delay_alu instid0(VALU_DEP_1) | instskip(NEXT) | instid1(VALU_DEP_1)
	v_cvt_f16_f32_e32 v1, v1
	v_and_b32_e32 v1, 0xffff, v1
	global_store_b32 v[2:3], v1, off
.LBB46_1605:
	s_mov_b32 s6, 0
.LBB46_1606:
	s_delay_alu instid0(SALU_CYCLE_1)
	s_and_not1_b32 vcc_lo, exec_lo, s6
	s_cbranch_vccnz .LBB46_1615
; %bb.1607:
	s_cmp_lt_i32 s0, 6
	s_mov_b32 s6, -1
	s_cbranch_scc1 .LBB46_1613
; %bb.1608:
	s_cmp_gt_i32 s0, 6
	s_cbranch_scc0 .LBB46_1610
; %bb.1609:
	s_wait_xcnt 0x0
	v_cndmask_b32_e64 v1, 0, 1, s2
	s_mov_b32 s6, 0
	s_delay_alu instid0(VALU_DEP_1)
	v_cvt_f64_u32_e32 v[8:9], v1
	global_store_b64 v[2:3], v[8:9], off
.LBB46_1610:
	s_and_not1_b32 vcc_lo, exec_lo, s6
	s_cbranch_vccnz .LBB46_1612
; %bb.1611:
	s_wait_xcnt 0x0
	v_cndmask_b32_e64 v1, 0, 1.0, s2
	global_store_b32 v[2:3], v1, off
.LBB46_1612:
	s_mov_b32 s6, 0
.LBB46_1613:
	s_delay_alu instid0(SALU_CYCLE_1)
	s_and_not1_b32 vcc_lo, exec_lo, s6
	s_cbranch_vccnz .LBB46_1615
; %bb.1614:
	s_wait_xcnt 0x0
	v_cndmask_b32_e64 v1, 0, 1.0, s2
	s_delay_alu instid0(VALU_DEP_1)
	v_cvt_f16_f32_e32 v1, v1
	global_store_b16 v[2:3], v1, off
.LBB46_1615:
	s_mov_b32 s6, 0
.LBB46_1616:
	s_delay_alu instid0(SALU_CYCLE_1)
	s_and_not1_b32 vcc_lo, exec_lo, s6
	s_cbranch_vccnz .LBB46_1632
; %bb.1617:
	s_cmp_lt_i32 s0, 2
	s_mov_b32 s6, -1
	s_cbranch_scc1 .LBB46_1627
; %bb.1618:
	s_cmp_lt_i32 s0, 3
	s_cbranch_scc1 .LBB46_1624
; %bb.1619:
	s_cmp_gt_i32 s0, 3
	s_cbranch_scc0 .LBB46_1621
; %bb.1620:
	s_mov_b32 s6, 0
	s_wait_xcnt 0x0
	v_cndmask_b32_e64 v8, 0, 1, s2
	v_mov_b32_e32 v9, s6
	global_store_b64 v[2:3], v[8:9], off
.LBB46_1621:
	s_and_not1_b32 vcc_lo, exec_lo, s6
	s_cbranch_vccnz .LBB46_1623
; %bb.1622:
	s_wait_xcnt 0x0
	v_cndmask_b32_e64 v1, 0, 1, s2
	global_store_b32 v[2:3], v1, off
.LBB46_1623:
	s_mov_b32 s6, 0
.LBB46_1624:
	s_delay_alu instid0(SALU_CYCLE_1)
	s_and_not1_b32 vcc_lo, exec_lo, s6
	s_cbranch_vccnz .LBB46_1626
; %bb.1625:
	s_wait_xcnt 0x0
	v_cndmask_b32_e64 v1, 0, 1, s2
	global_store_b16 v[2:3], v1, off
.LBB46_1626:
	s_mov_b32 s6, 0
.LBB46_1627:
	s_delay_alu instid0(SALU_CYCLE_1)
	s_and_not1_b32 vcc_lo, exec_lo, s6
	s_cbranch_vccnz .LBB46_1632
; %bb.1628:
	s_wait_xcnt 0x0
	v_cndmask_b32_e64 v1, 0, 1, s2
	s_cmp_gt_i32 s0, 0
	s_mov_b32 s0, -1
	s_cbranch_scc0 .LBB46_1630
; %bb.1629:
	s_mov_b32 s0, 0
	global_store_b8 v[2:3], v1, off
.LBB46_1630:
	s_and_not1_b32 vcc_lo, exec_lo, s0
	s_cbranch_vccnz .LBB46_1632
; %bb.1631:
	global_store_b8 v[2:3], v1, off
.LBB46_1632:
.LBB46_1633:
	s_lshl_b32 s2, s8, 7
	v_cmp_ne_u32_e32 vcc_lo, s11, v7
	v_add_nc_u32_e32 v0, s2, v0
	s_xor_b32 s6, s3, vcc_lo
	s_wait_xcnt 0x0
	s_delay_alu instid0(VALU_DEP_1) | instskip(SKIP_1) | instid1(VALU_DEP_1)
	v_ashrrev_i32_e32 v1, 31, v0
	s_cmp_lt_i32 s14, 11
	v_add_nc_u64_e32 v[2:3], s[4:5], v[0:1]
	s_cbranch_scc1 .LBB46_1711
; %bb.1634:
	s_and_b32 s7, 0xffff, s14
	s_mov_b32 s10, -1
	s_mov_b32 s8, 0
	s_cmp_gt_i32 s7, 25
	s_mov_b32 s9, 0
	s_mov_b32 s0, 0
	s_cbranch_scc0 .LBB46_1667
; %bb.1635:
	s_cmp_gt_i32 s7, 28
	s_cbranch_scc0 .LBB46_1650
; %bb.1636:
	s_cmp_gt_i32 s7, 43
	;; [unrolled: 3-line block ×3, first 2 shown]
	s_cbranch_scc0 .LBB46_1640
; %bb.1638:
	s_mov_b32 s0, -1
	s_mov_b32 s10, 0
	s_cmp_eq_u32 s7, 46
	s_cbranch_scc0 .LBB46_1640
; %bb.1639:
	v_cndmask_b32_e64 v1, 0, 1.0, s6
	s_mov_b32 s0, 0
	s_mov_b32 s9, -1
	s_delay_alu instid0(VALU_DEP_1) | instskip(NEXT) | instid1(VALU_DEP_1)
	v_bfe_u32 v4, v1, 16, 1
	v_add3_u32 v1, v1, v4, 0x7fff
	s_delay_alu instid0(VALU_DEP_1)
	v_lshrrev_b32_e32 v1, 16, v1
	global_store_b32 v[2:3], v1, off
.LBB46_1640:
	s_and_b32 vcc_lo, exec_lo, s10
	s_cbranch_vccz .LBB46_1645
; %bb.1641:
	s_cmp_eq_u32 s7, 44
	s_mov_b32 s0, -1
	s_cbranch_scc0 .LBB46_1645
; %bb.1642:
	v_cndmask_b32_e64 v7, 0, 1.0, s6
	s_mov_b32 s9, exec_lo
	s_wait_xcnt 0x0
	s_delay_alu instid0(VALU_DEP_1) | instskip(NEXT) | instid1(VALU_DEP_1)
	v_dual_mov_b32 v4, 0xff :: v_dual_lshrrev_b32 v1, 23, v7
	v_cmpx_ne_u32_e32 0xff, v1
; %bb.1643:
	v_and_b32_e32 v4, 0x400000, v7
	v_and_or_b32 v7, 0x3fffff, v7, v1
	s_delay_alu instid0(VALU_DEP_2) | instskip(NEXT) | instid1(VALU_DEP_2)
	v_cmp_ne_u32_e32 vcc_lo, 0, v4
	v_cmp_ne_u32_e64 s0, 0, v7
	s_and_b32 s0, vcc_lo, s0
	s_delay_alu instid0(SALU_CYCLE_1) | instskip(NEXT) | instid1(VALU_DEP_1)
	v_cndmask_b32_e64 v4, 0, 1, s0
	v_add_nc_u32_e32 v4, v1, v4
; %bb.1644:
	s_or_b32 exec_lo, exec_lo, s9
	s_mov_b32 s0, 0
	s_mov_b32 s9, -1
	global_store_b8 v[2:3], v4, off
.LBB46_1645:
	s_mov_b32 s10, 0
.LBB46_1646:
	s_delay_alu instid0(SALU_CYCLE_1)
	s_and_b32 vcc_lo, exec_lo, s10
	s_cbranch_vccz .LBB46_1649
; %bb.1647:
	s_cmp_eq_u32 s7, 29
	s_mov_b32 s0, -1
	s_cbranch_scc0 .LBB46_1649
; %bb.1648:
	s_mov_b32 s0, 0
	v_cndmask_b32_e64 v8, 0, 1, s6
	v_mov_b32_e32 v9, s0
	s_mov_b32 s9, -1
	global_store_b64 v[2:3], v[8:9], off
.LBB46_1649:
	s_mov_b32 s10, 0
.LBB46_1650:
	s_delay_alu instid0(SALU_CYCLE_1)
	s_and_b32 vcc_lo, exec_lo, s10
	s_cbranch_vccz .LBB46_1666
; %bb.1651:
	s_cmp_lt_i32 s7, 27
	s_mov_b32 s9, -1
	s_cbranch_scc1 .LBB46_1657
; %bb.1652:
	s_cmp_gt_i32 s7, 27
	s_cbranch_scc0 .LBB46_1654
; %bb.1653:
	s_wait_xcnt 0x0
	v_cndmask_b32_e64 v1, 0, 1, s6
	s_mov_b32 s9, 0
	global_store_b32 v[2:3], v1, off
.LBB46_1654:
	s_and_not1_b32 vcc_lo, exec_lo, s9
	s_cbranch_vccnz .LBB46_1656
; %bb.1655:
	s_wait_xcnt 0x0
	v_cndmask_b32_e64 v1, 0, 1, s6
	global_store_b16 v[2:3], v1, off
.LBB46_1656:
	s_mov_b32 s9, 0
.LBB46_1657:
	s_delay_alu instid0(SALU_CYCLE_1)
	s_and_not1_b32 vcc_lo, exec_lo, s9
	s_cbranch_vccnz .LBB46_1665
; %bb.1658:
	s_wait_xcnt 0x0
	v_cndmask_b32_e64 v4, 0, 1.0, s6
	v_mov_b32_e32 v7, 0x80
	s_mov_b32 s9, exec_lo
	s_delay_alu instid0(VALU_DEP_2)
	v_cmpx_gt_u32_e32 0x43800000, v4
	s_cbranch_execz .LBB46_1664
; %bb.1659:
	s_mov_b32 s10, 0
	s_mov_b32 s15, exec_lo
                                        ; implicit-def: $vgpr1
	v_cmpx_lt_u32_e32 0x3bffffff, v4
	s_xor_b32 s15, exec_lo, s15
	s_cbranch_execz .LBB46_1999
; %bb.1660:
	v_bfe_u32 v1, v4, 20, 1
	s_mov_b32 s10, exec_lo
	s_delay_alu instid0(VALU_DEP_1) | instskip(NEXT) | instid1(VALU_DEP_1)
	v_add3_u32 v1, v4, v1, 0x487ffff
                                        ; implicit-def: $vgpr4
	v_lshrrev_b32_e32 v1, 20, v1
	s_and_not1_saveexec_b32 s15, s15
	s_cbranch_execnz .LBB46_2000
.LBB46_1661:
	s_or_b32 exec_lo, exec_lo, s15
	v_mov_b32_e32 v7, 0
	s_and_saveexec_b32 s15, s10
.LBB46_1662:
	v_mov_b32_e32 v7, v1
.LBB46_1663:
	s_or_b32 exec_lo, exec_lo, s15
.LBB46_1664:
	s_delay_alu instid0(SALU_CYCLE_1)
	s_or_b32 exec_lo, exec_lo, s9
	global_store_b8 v[2:3], v7, off
.LBB46_1665:
	s_mov_b32 s9, -1
.LBB46_1666:
	s_mov_b32 s10, 0
.LBB46_1667:
	s_delay_alu instid0(SALU_CYCLE_1)
	s_and_b32 vcc_lo, exec_lo, s10
	s_cbranch_vccz .LBB46_1707
; %bb.1668:
	s_cmp_gt_i32 s7, 22
	s_mov_b32 s8, -1
	s_cbranch_scc0 .LBB46_1700
; %bb.1669:
	s_cmp_lt_i32 s7, 24
	s_cbranch_scc1 .LBB46_1689
; %bb.1670:
	s_cmp_gt_i32 s7, 24
	s_cbranch_scc0 .LBB46_1678
; %bb.1671:
	s_wait_xcnt 0x0
	v_cndmask_b32_e64 v4, 0, 1.0, s6
	v_mov_b32_e32 v7, 0x80
	s_mov_b32 s8, exec_lo
	s_delay_alu instid0(VALU_DEP_2)
	v_cmpx_gt_u32_e32 0x47800000, v4
	s_cbranch_execz .LBB46_1677
; %bb.1672:
	s_mov_b32 s9, 0
	s_mov_b32 s10, exec_lo
                                        ; implicit-def: $vgpr1
	v_cmpx_lt_u32_e32 0x37ffffff, v4
	s_xor_b32 s10, exec_lo, s10
	s_cbranch_execz .LBB46_2002
; %bb.1673:
	v_bfe_u32 v1, v4, 21, 1
	s_mov_b32 s9, exec_lo
	s_delay_alu instid0(VALU_DEP_1) | instskip(NEXT) | instid1(VALU_DEP_1)
	v_add3_u32 v1, v4, v1, 0x88fffff
                                        ; implicit-def: $vgpr4
	v_lshrrev_b32_e32 v1, 21, v1
	s_and_not1_saveexec_b32 s10, s10
	s_cbranch_execnz .LBB46_2003
.LBB46_1674:
	s_or_b32 exec_lo, exec_lo, s10
	v_mov_b32_e32 v7, 0
	s_and_saveexec_b32 s10, s9
.LBB46_1675:
	v_mov_b32_e32 v7, v1
.LBB46_1676:
	s_or_b32 exec_lo, exec_lo, s10
.LBB46_1677:
	s_delay_alu instid0(SALU_CYCLE_1)
	s_or_b32 exec_lo, exec_lo, s8
	s_mov_b32 s8, 0
	global_store_b8 v[2:3], v7, off
.LBB46_1678:
	s_and_b32 vcc_lo, exec_lo, s8
	s_cbranch_vccz .LBB46_1688
; %bb.1679:
	s_wait_xcnt 0x0
	v_cndmask_b32_e64 v4, 0, 1.0, s6
	s_mov_b32 s8, exec_lo
                                        ; implicit-def: $vgpr1
	s_delay_alu instid0(VALU_DEP_1)
	v_cmpx_gt_u32_e32 0x43f00000, v4
	s_xor_b32 s8, exec_lo, s8
	s_cbranch_execz .LBB46_1685
; %bb.1680:
	s_mov_b32 s9, exec_lo
                                        ; implicit-def: $vgpr1
	v_cmpx_lt_u32_e32 0x3c7fffff, v4
	s_xor_b32 s9, exec_lo, s9
; %bb.1681:
	v_bfe_u32 v1, v4, 20, 1
	s_delay_alu instid0(VALU_DEP_1) | instskip(NEXT) | instid1(VALU_DEP_1)
	v_add3_u32 v1, v4, v1, 0x407ffff
	v_and_b32_e32 v4, 0xff00000, v1
	v_lshrrev_b32_e32 v1, 20, v1
	s_delay_alu instid0(VALU_DEP_2) | instskip(NEXT) | instid1(VALU_DEP_2)
	v_cmp_ne_u32_e32 vcc_lo, 0x7f00000, v4
                                        ; implicit-def: $vgpr4
	v_cndmask_b32_e32 v1, 0x7e, v1, vcc_lo
; %bb.1682:
	s_and_not1_saveexec_b32 s9, s9
; %bb.1683:
	v_add_f32_e32 v1, 0x46800000, v4
; %bb.1684:
	s_or_b32 exec_lo, exec_lo, s9
                                        ; implicit-def: $vgpr4
.LBB46_1685:
	s_and_not1_saveexec_b32 s8, s8
; %bb.1686:
	v_mov_b32_e32 v1, 0x7f
	v_cmp_lt_u32_e32 vcc_lo, 0x7f800000, v4
	s_delay_alu instid0(VALU_DEP_2)
	v_cndmask_b32_e32 v1, 0x7e, v1, vcc_lo
; %bb.1687:
	s_or_b32 exec_lo, exec_lo, s8
	global_store_b8 v[2:3], v1, off
.LBB46_1688:
	s_mov_b32 s8, 0
.LBB46_1689:
	s_delay_alu instid0(SALU_CYCLE_1)
	s_and_not1_b32 vcc_lo, exec_lo, s8
	s_cbranch_vccnz .LBB46_1699
; %bb.1690:
	s_wait_xcnt 0x0
	v_cndmask_b32_e64 v4, 0, 1.0, s6
	s_mov_b32 s8, exec_lo
                                        ; implicit-def: $vgpr1
	s_delay_alu instid0(VALU_DEP_1)
	v_cmpx_gt_u32_e32 0x47800000, v4
	s_xor_b32 s8, exec_lo, s8
	s_cbranch_execz .LBB46_1696
; %bb.1691:
	s_mov_b32 s9, exec_lo
                                        ; implicit-def: $vgpr1
	v_cmpx_lt_u32_e32 0x387fffff, v4
	s_xor_b32 s9, exec_lo, s9
; %bb.1692:
	v_bfe_u32 v1, v4, 21, 1
	s_delay_alu instid0(VALU_DEP_1) | instskip(NEXT) | instid1(VALU_DEP_1)
	v_add3_u32 v1, v4, v1, 0x80fffff
                                        ; implicit-def: $vgpr4
	v_lshrrev_b32_e32 v1, 21, v1
; %bb.1693:
	s_and_not1_saveexec_b32 s9, s9
; %bb.1694:
	v_add_f32_e32 v1, 0x43000000, v4
; %bb.1695:
	s_or_b32 exec_lo, exec_lo, s9
                                        ; implicit-def: $vgpr4
.LBB46_1696:
	s_and_not1_saveexec_b32 s8, s8
; %bb.1697:
	v_mov_b32_e32 v1, 0x7f
	v_cmp_lt_u32_e32 vcc_lo, 0x7f800000, v4
	s_delay_alu instid0(VALU_DEP_2)
	v_cndmask_b32_e32 v1, 0x7c, v1, vcc_lo
; %bb.1698:
	s_or_b32 exec_lo, exec_lo, s8
	global_store_b8 v[2:3], v1, off
.LBB46_1699:
	s_mov_b32 s8, 0
	s_mov_b32 s9, -1
.LBB46_1700:
	s_and_not1_b32 vcc_lo, exec_lo, s8
	s_mov_b32 s8, 0
	s_cbranch_vccnz .LBB46_1707
; %bb.1701:
	s_cmp_gt_i32 s7, 14
	s_mov_b32 s8, -1
	s_cbranch_scc0 .LBB46_1705
; %bb.1702:
	s_cmp_eq_u32 s7, 15
	s_mov_b32 s0, -1
	s_cbranch_scc0 .LBB46_1704
; %bb.1703:
	s_wait_xcnt 0x0
	v_cndmask_b32_e64 v1, 0, 1.0, s6
	s_mov_b32 s0, 0
	s_mov_b32 s9, -1
	s_delay_alu instid0(VALU_DEP_1) | instskip(NEXT) | instid1(VALU_DEP_1)
	v_bfe_u32 v4, v1, 16, 1
	v_add3_u32 v1, v1, v4, 0x7fff
	global_store_d16_hi_b16 v[2:3], v1, off
.LBB46_1704:
	s_mov_b32 s8, 0
.LBB46_1705:
	s_delay_alu instid0(SALU_CYCLE_1)
	s_and_b32 vcc_lo, exec_lo, s8
	s_mov_b32 s8, 0
	s_cbranch_vccz .LBB46_1707
; %bb.1706:
	s_cmp_lg_u32 s7, 11
	s_mov_b32 s8, -1
	s_cselect_b32 s0, -1, 0
.LBB46_1707:
	s_delay_alu instid0(SALU_CYCLE_1)
	s_and_b32 vcc_lo, exec_lo, s0
	s_cbranch_vccnz .LBB46_2001
; %bb.1708:
	s_and_not1_b32 vcc_lo, exec_lo, s8
	s_cbranch_vccnz .LBB46_1710
.LBB46_1709:
	s_wait_xcnt 0x0
	v_cndmask_b32_e64 v1, 0, 1, s6
	s_mov_b32 s9, -1
	global_store_b8 v[2:3], v1, off
.LBB46_1710:
	s_mov_b32 s0, 0
	s_branch .LBB46_1712
.LBB46_1711:
	s_mov_b32 s0, -1
	s_mov_b32 s9, 0
.LBB46_1712:
	s_and_b32 vcc_lo, exec_lo, s0
	s_cbranch_vccz .LBB46_1751
; %bb.1713:
	s_and_b32 s0, 0xffff, s14
	s_mov_b32 s7, -1
	s_cmp_lt_i32 s0, 5
	s_cbranch_scc1 .LBB46_1734
; %bb.1714:
	s_cmp_lt_i32 s0, 8
	s_cbranch_scc1 .LBB46_1724
; %bb.1715:
	;; [unrolled: 3-line block ×3, first 2 shown]
	s_cmp_gt_i32 s0, 9
	s_cbranch_scc0 .LBB46_1718
; %bb.1717:
	s_wait_xcnt 0x0
	v_cndmask_b32_e64 v1, 0, 1, s6
	v_mov_b32_e32 v10, 0
	s_mov_b32 s7, 0
	s_delay_alu instid0(VALU_DEP_2) | instskip(NEXT) | instid1(VALU_DEP_2)
	v_cvt_f64_u32_e32 v[8:9], v1
	v_mov_b32_e32 v11, v10
	global_store_b128 v[2:3], v[8:11], off
.LBB46_1718:
	s_and_not1_b32 vcc_lo, exec_lo, s7
	s_cbranch_vccnz .LBB46_1720
; %bb.1719:
	s_wait_xcnt 0x0
	v_cndmask_b32_e64 v8, 0, 1.0, s6
	v_mov_b32_e32 v9, 0
	global_store_b64 v[2:3], v[8:9], off
.LBB46_1720:
	s_mov_b32 s7, 0
.LBB46_1721:
	s_delay_alu instid0(SALU_CYCLE_1)
	s_and_not1_b32 vcc_lo, exec_lo, s7
	s_cbranch_vccnz .LBB46_1723
; %bb.1722:
	s_wait_xcnt 0x0
	v_cndmask_b32_e64 v1, 0, 1.0, s6
	s_delay_alu instid0(VALU_DEP_1) | instskip(NEXT) | instid1(VALU_DEP_1)
	v_cvt_f16_f32_e32 v1, v1
	v_and_b32_e32 v1, 0xffff, v1
	global_store_b32 v[2:3], v1, off
.LBB46_1723:
	s_mov_b32 s7, 0
.LBB46_1724:
	s_delay_alu instid0(SALU_CYCLE_1)
	s_and_not1_b32 vcc_lo, exec_lo, s7
	s_cbranch_vccnz .LBB46_1733
; %bb.1725:
	s_cmp_lt_i32 s0, 6
	s_mov_b32 s7, -1
	s_cbranch_scc1 .LBB46_1731
; %bb.1726:
	s_cmp_gt_i32 s0, 6
	s_cbranch_scc0 .LBB46_1728
; %bb.1727:
	s_wait_xcnt 0x0
	v_cndmask_b32_e64 v1, 0, 1, s6
	s_mov_b32 s7, 0
	s_delay_alu instid0(VALU_DEP_1)
	v_cvt_f64_u32_e32 v[8:9], v1
	global_store_b64 v[2:3], v[8:9], off
.LBB46_1728:
	s_and_not1_b32 vcc_lo, exec_lo, s7
	s_cbranch_vccnz .LBB46_1730
; %bb.1729:
	s_wait_xcnt 0x0
	v_cndmask_b32_e64 v1, 0, 1.0, s6
	global_store_b32 v[2:3], v1, off
.LBB46_1730:
	s_mov_b32 s7, 0
.LBB46_1731:
	s_delay_alu instid0(SALU_CYCLE_1)
	s_and_not1_b32 vcc_lo, exec_lo, s7
	s_cbranch_vccnz .LBB46_1733
; %bb.1732:
	s_wait_xcnt 0x0
	v_cndmask_b32_e64 v1, 0, 1.0, s6
	s_delay_alu instid0(VALU_DEP_1)
	v_cvt_f16_f32_e32 v1, v1
	global_store_b16 v[2:3], v1, off
.LBB46_1733:
	s_mov_b32 s7, 0
.LBB46_1734:
	s_delay_alu instid0(SALU_CYCLE_1)
	s_and_not1_b32 vcc_lo, exec_lo, s7
	s_cbranch_vccnz .LBB46_1750
; %bb.1735:
	s_cmp_lt_i32 s0, 2
	s_mov_b32 s7, -1
	s_cbranch_scc1 .LBB46_1745
; %bb.1736:
	s_cmp_lt_i32 s0, 3
	s_cbranch_scc1 .LBB46_1742
; %bb.1737:
	s_cmp_gt_i32 s0, 3
	s_cbranch_scc0 .LBB46_1739
; %bb.1738:
	s_mov_b32 s7, 0
	s_wait_xcnt 0x0
	v_cndmask_b32_e64 v8, 0, 1, s6
	v_mov_b32_e32 v9, s7
	global_store_b64 v[2:3], v[8:9], off
.LBB46_1739:
	s_and_not1_b32 vcc_lo, exec_lo, s7
	s_cbranch_vccnz .LBB46_1741
; %bb.1740:
	s_wait_xcnt 0x0
	v_cndmask_b32_e64 v1, 0, 1, s6
	global_store_b32 v[2:3], v1, off
.LBB46_1741:
	s_mov_b32 s7, 0
.LBB46_1742:
	s_delay_alu instid0(SALU_CYCLE_1)
	s_and_not1_b32 vcc_lo, exec_lo, s7
	s_cbranch_vccnz .LBB46_1744
; %bb.1743:
	s_wait_xcnt 0x0
	v_cndmask_b32_e64 v1, 0, 1, s6
	global_store_b16 v[2:3], v1, off
.LBB46_1744:
	s_mov_b32 s7, 0
.LBB46_1745:
	s_delay_alu instid0(SALU_CYCLE_1)
	s_and_not1_b32 vcc_lo, exec_lo, s7
	s_cbranch_vccnz .LBB46_1750
; %bb.1746:
	s_wait_xcnt 0x0
	v_cndmask_b32_e64 v1, 0, 1, s6
	s_cmp_gt_i32 s0, 0
	s_mov_b32 s0, -1
	s_cbranch_scc0 .LBB46_1748
; %bb.1747:
	s_mov_b32 s0, 0
	global_store_b8 v[2:3], v1, off
.LBB46_1748:
	s_and_not1_b32 vcc_lo, exec_lo, s0
	s_cbranch_vccnz .LBB46_1750
; %bb.1749:
	global_store_b8 v[2:3], v1, off
.LBB46_1750:
	s_mov_b32 s9, -1
.LBB46_1751:
	s_delay_alu instid0(SALU_CYCLE_1)
	s_and_not1_b32 vcc_lo, exec_lo, s9
	s_cbranch_vccnz .LBB46_1947
; %bb.1752:
	v_add_nc_u32_e32 v0, s2, v0
	v_cmp_ne_u32_e32 vcc_lo, s11, v6
	s_wait_xcnt 0x0
	s_delay_alu instid0(VALU_DEP_2) | instskip(SKIP_2) | instid1(VALU_DEP_1)
	v_ashrrev_i32_e32 v1, 31, v0
	s_xor_b32 s6, s3, vcc_lo
	s_cmp_lt_i32 s14, 11
	v_add_nc_u64_e32 v[2:3], s[4:5], v[0:1]
	s_cbranch_scc1 .LBB46_1830
; %bb.1753:
	s_and_b32 s7, 0xffff, s14
	s_mov_b32 s10, -1
	s_mov_b32 s8, 0
	s_cmp_gt_i32 s7, 25
	s_mov_b32 s9, 0
	s_mov_b32 s0, 0
	s_cbranch_scc0 .LBB46_1786
; %bb.1754:
	s_cmp_gt_i32 s7, 28
	s_cbranch_scc0 .LBB46_1769
; %bb.1755:
	s_cmp_gt_i32 s7, 43
	;; [unrolled: 3-line block ×3, first 2 shown]
	s_cbranch_scc0 .LBB46_1759
; %bb.1757:
	s_mov_b32 s0, -1
	s_mov_b32 s10, 0
	s_cmp_eq_u32 s7, 46
	s_cbranch_scc0 .LBB46_1759
; %bb.1758:
	v_cndmask_b32_e64 v1, 0, 1.0, s6
	s_mov_b32 s0, 0
	s_mov_b32 s9, -1
	s_delay_alu instid0(VALU_DEP_1) | instskip(NEXT) | instid1(VALU_DEP_1)
	v_bfe_u32 v4, v1, 16, 1
	v_add3_u32 v1, v1, v4, 0x7fff
	s_delay_alu instid0(VALU_DEP_1)
	v_lshrrev_b32_e32 v1, 16, v1
	global_store_b32 v[2:3], v1, off
.LBB46_1759:
	s_and_b32 vcc_lo, exec_lo, s10
	s_cbranch_vccz .LBB46_1764
; %bb.1760:
	s_cmp_eq_u32 s7, 44
	s_mov_b32 s0, -1
	s_cbranch_scc0 .LBB46_1764
; %bb.1761:
	v_cndmask_b32_e64 v6, 0, 1.0, s6
	s_mov_b32 s9, exec_lo
	s_wait_xcnt 0x0
	s_delay_alu instid0(VALU_DEP_1) | instskip(NEXT) | instid1(VALU_DEP_1)
	v_dual_mov_b32 v4, 0xff :: v_dual_lshrrev_b32 v1, 23, v6
	v_cmpx_ne_u32_e32 0xff, v1
; %bb.1762:
	v_and_b32_e32 v4, 0x400000, v6
	v_and_or_b32 v6, 0x3fffff, v6, v1
	s_delay_alu instid0(VALU_DEP_2) | instskip(NEXT) | instid1(VALU_DEP_2)
	v_cmp_ne_u32_e32 vcc_lo, 0, v4
	v_cmp_ne_u32_e64 s0, 0, v6
	s_and_b32 s0, vcc_lo, s0
	s_delay_alu instid0(SALU_CYCLE_1) | instskip(NEXT) | instid1(VALU_DEP_1)
	v_cndmask_b32_e64 v4, 0, 1, s0
	v_add_nc_u32_e32 v4, v1, v4
; %bb.1763:
	s_or_b32 exec_lo, exec_lo, s9
	s_mov_b32 s0, 0
	s_mov_b32 s9, -1
	global_store_b8 v[2:3], v4, off
.LBB46_1764:
	s_mov_b32 s10, 0
.LBB46_1765:
	s_delay_alu instid0(SALU_CYCLE_1)
	s_and_b32 vcc_lo, exec_lo, s10
	s_cbranch_vccz .LBB46_1768
; %bb.1766:
	s_cmp_eq_u32 s7, 29
	s_mov_b32 s0, -1
	s_cbranch_scc0 .LBB46_1768
; %bb.1767:
	s_mov_b32 s0, 0
	v_cndmask_b32_e64 v6, 0, 1, s6
	v_mov_b32_e32 v7, s0
	s_mov_b32 s9, -1
	global_store_b64 v[2:3], v[6:7], off
.LBB46_1768:
	s_mov_b32 s10, 0
.LBB46_1769:
	s_delay_alu instid0(SALU_CYCLE_1)
	s_and_b32 vcc_lo, exec_lo, s10
	s_cbranch_vccz .LBB46_1785
; %bb.1770:
	s_cmp_lt_i32 s7, 27
	s_mov_b32 s9, -1
	s_cbranch_scc1 .LBB46_1776
; %bb.1771:
	s_cmp_gt_i32 s7, 27
	s_cbranch_scc0 .LBB46_1773
; %bb.1772:
	s_wait_xcnt 0x0
	v_cndmask_b32_e64 v1, 0, 1, s6
	s_mov_b32 s9, 0
	global_store_b32 v[2:3], v1, off
.LBB46_1773:
	s_and_not1_b32 vcc_lo, exec_lo, s9
	s_cbranch_vccnz .LBB46_1775
; %bb.1774:
	s_wait_xcnt 0x0
	v_cndmask_b32_e64 v1, 0, 1, s6
	global_store_b16 v[2:3], v1, off
.LBB46_1775:
	s_mov_b32 s9, 0
.LBB46_1776:
	s_delay_alu instid0(SALU_CYCLE_1)
	s_and_not1_b32 vcc_lo, exec_lo, s9
	s_cbranch_vccnz .LBB46_1784
; %bb.1777:
	s_wait_xcnt 0x0
	v_cndmask_b32_e64 v4, 0, 1.0, s6
	v_mov_b32_e32 v6, 0x80
	s_mov_b32 s9, exec_lo
	s_delay_alu instid0(VALU_DEP_2)
	v_cmpx_gt_u32_e32 0x43800000, v4
	s_cbranch_execz .LBB46_1783
; %bb.1778:
	s_mov_b32 s10, 0
	s_mov_b32 s15, exec_lo
                                        ; implicit-def: $vgpr1
	v_cmpx_lt_u32_e32 0x3bffffff, v4
	s_xor_b32 s15, exec_lo, s15
	s_cbranch_execz .LBB46_2004
; %bb.1779:
	v_bfe_u32 v1, v4, 20, 1
	s_mov_b32 s10, exec_lo
	s_delay_alu instid0(VALU_DEP_1) | instskip(NEXT) | instid1(VALU_DEP_1)
	v_add3_u32 v1, v4, v1, 0x487ffff
                                        ; implicit-def: $vgpr4
	v_lshrrev_b32_e32 v1, 20, v1
	s_and_not1_saveexec_b32 s15, s15
	s_cbranch_execnz .LBB46_2005
.LBB46_1780:
	s_or_b32 exec_lo, exec_lo, s15
	v_mov_b32_e32 v6, 0
	s_and_saveexec_b32 s15, s10
.LBB46_1781:
	v_mov_b32_e32 v6, v1
.LBB46_1782:
	s_or_b32 exec_lo, exec_lo, s15
.LBB46_1783:
	s_delay_alu instid0(SALU_CYCLE_1)
	s_or_b32 exec_lo, exec_lo, s9
	global_store_b8 v[2:3], v6, off
.LBB46_1784:
	s_mov_b32 s9, -1
.LBB46_1785:
	s_mov_b32 s10, 0
.LBB46_1786:
	s_delay_alu instid0(SALU_CYCLE_1)
	s_and_b32 vcc_lo, exec_lo, s10
	s_cbranch_vccz .LBB46_1826
; %bb.1787:
	s_cmp_gt_i32 s7, 22
	s_mov_b32 s8, -1
	s_cbranch_scc0 .LBB46_1819
; %bb.1788:
	s_cmp_lt_i32 s7, 24
	s_cbranch_scc1 .LBB46_1808
; %bb.1789:
	s_cmp_gt_i32 s7, 24
	s_cbranch_scc0 .LBB46_1797
; %bb.1790:
	s_wait_xcnt 0x0
	v_cndmask_b32_e64 v4, 0, 1.0, s6
	v_mov_b32_e32 v6, 0x80
	s_mov_b32 s8, exec_lo
	s_delay_alu instid0(VALU_DEP_2)
	v_cmpx_gt_u32_e32 0x47800000, v4
	s_cbranch_execz .LBB46_1796
; %bb.1791:
	s_mov_b32 s9, 0
	s_mov_b32 s10, exec_lo
                                        ; implicit-def: $vgpr1
	v_cmpx_lt_u32_e32 0x37ffffff, v4
	s_xor_b32 s10, exec_lo, s10
	s_cbranch_execz .LBB46_2007
; %bb.1792:
	v_bfe_u32 v1, v4, 21, 1
	s_mov_b32 s9, exec_lo
	s_delay_alu instid0(VALU_DEP_1) | instskip(NEXT) | instid1(VALU_DEP_1)
	v_add3_u32 v1, v4, v1, 0x88fffff
                                        ; implicit-def: $vgpr4
	v_lshrrev_b32_e32 v1, 21, v1
	s_and_not1_saveexec_b32 s10, s10
	s_cbranch_execnz .LBB46_2008
.LBB46_1793:
	s_or_b32 exec_lo, exec_lo, s10
	v_mov_b32_e32 v6, 0
	s_and_saveexec_b32 s10, s9
.LBB46_1794:
	v_mov_b32_e32 v6, v1
.LBB46_1795:
	s_or_b32 exec_lo, exec_lo, s10
.LBB46_1796:
	s_delay_alu instid0(SALU_CYCLE_1)
	s_or_b32 exec_lo, exec_lo, s8
	s_mov_b32 s8, 0
	global_store_b8 v[2:3], v6, off
.LBB46_1797:
	s_and_b32 vcc_lo, exec_lo, s8
	s_cbranch_vccz .LBB46_1807
; %bb.1798:
	s_wait_xcnt 0x0
	v_cndmask_b32_e64 v4, 0, 1.0, s6
	s_mov_b32 s8, exec_lo
                                        ; implicit-def: $vgpr1
	s_delay_alu instid0(VALU_DEP_1)
	v_cmpx_gt_u32_e32 0x43f00000, v4
	s_xor_b32 s8, exec_lo, s8
	s_cbranch_execz .LBB46_1804
; %bb.1799:
	s_mov_b32 s9, exec_lo
                                        ; implicit-def: $vgpr1
	v_cmpx_lt_u32_e32 0x3c7fffff, v4
	s_xor_b32 s9, exec_lo, s9
; %bb.1800:
	v_bfe_u32 v1, v4, 20, 1
	s_delay_alu instid0(VALU_DEP_1) | instskip(NEXT) | instid1(VALU_DEP_1)
	v_add3_u32 v1, v4, v1, 0x407ffff
	v_and_b32_e32 v4, 0xff00000, v1
	v_lshrrev_b32_e32 v1, 20, v1
	s_delay_alu instid0(VALU_DEP_2) | instskip(NEXT) | instid1(VALU_DEP_2)
	v_cmp_ne_u32_e32 vcc_lo, 0x7f00000, v4
                                        ; implicit-def: $vgpr4
	v_cndmask_b32_e32 v1, 0x7e, v1, vcc_lo
; %bb.1801:
	s_and_not1_saveexec_b32 s9, s9
; %bb.1802:
	v_add_f32_e32 v1, 0x46800000, v4
; %bb.1803:
	s_or_b32 exec_lo, exec_lo, s9
                                        ; implicit-def: $vgpr4
.LBB46_1804:
	s_and_not1_saveexec_b32 s8, s8
; %bb.1805:
	v_mov_b32_e32 v1, 0x7f
	v_cmp_lt_u32_e32 vcc_lo, 0x7f800000, v4
	s_delay_alu instid0(VALU_DEP_2)
	v_cndmask_b32_e32 v1, 0x7e, v1, vcc_lo
; %bb.1806:
	s_or_b32 exec_lo, exec_lo, s8
	global_store_b8 v[2:3], v1, off
.LBB46_1807:
	s_mov_b32 s8, 0
.LBB46_1808:
	s_delay_alu instid0(SALU_CYCLE_1)
	s_and_not1_b32 vcc_lo, exec_lo, s8
	s_cbranch_vccnz .LBB46_1818
; %bb.1809:
	s_wait_xcnt 0x0
	v_cndmask_b32_e64 v4, 0, 1.0, s6
	s_mov_b32 s8, exec_lo
                                        ; implicit-def: $vgpr1
	s_delay_alu instid0(VALU_DEP_1)
	v_cmpx_gt_u32_e32 0x47800000, v4
	s_xor_b32 s8, exec_lo, s8
	s_cbranch_execz .LBB46_1815
; %bb.1810:
	s_mov_b32 s9, exec_lo
                                        ; implicit-def: $vgpr1
	v_cmpx_lt_u32_e32 0x387fffff, v4
	s_xor_b32 s9, exec_lo, s9
; %bb.1811:
	v_bfe_u32 v1, v4, 21, 1
	s_delay_alu instid0(VALU_DEP_1) | instskip(NEXT) | instid1(VALU_DEP_1)
	v_add3_u32 v1, v4, v1, 0x80fffff
                                        ; implicit-def: $vgpr4
	v_lshrrev_b32_e32 v1, 21, v1
; %bb.1812:
	s_and_not1_saveexec_b32 s9, s9
; %bb.1813:
	v_add_f32_e32 v1, 0x43000000, v4
; %bb.1814:
	s_or_b32 exec_lo, exec_lo, s9
                                        ; implicit-def: $vgpr4
.LBB46_1815:
	s_and_not1_saveexec_b32 s8, s8
; %bb.1816:
	v_mov_b32_e32 v1, 0x7f
	v_cmp_lt_u32_e32 vcc_lo, 0x7f800000, v4
	s_delay_alu instid0(VALU_DEP_2)
	v_cndmask_b32_e32 v1, 0x7c, v1, vcc_lo
; %bb.1817:
	s_or_b32 exec_lo, exec_lo, s8
	global_store_b8 v[2:3], v1, off
.LBB46_1818:
	s_mov_b32 s8, 0
	s_mov_b32 s9, -1
.LBB46_1819:
	s_and_not1_b32 vcc_lo, exec_lo, s8
	s_mov_b32 s8, 0
	s_cbranch_vccnz .LBB46_1826
; %bb.1820:
	s_cmp_gt_i32 s7, 14
	s_mov_b32 s8, -1
	s_cbranch_scc0 .LBB46_1824
; %bb.1821:
	s_cmp_eq_u32 s7, 15
	s_mov_b32 s0, -1
	s_cbranch_scc0 .LBB46_1823
; %bb.1822:
	s_wait_xcnt 0x0
	v_cndmask_b32_e64 v1, 0, 1.0, s6
	s_mov_b32 s0, 0
	s_mov_b32 s9, -1
	s_delay_alu instid0(VALU_DEP_1) | instskip(NEXT) | instid1(VALU_DEP_1)
	v_bfe_u32 v4, v1, 16, 1
	v_add3_u32 v1, v1, v4, 0x7fff
	global_store_d16_hi_b16 v[2:3], v1, off
.LBB46_1823:
	s_mov_b32 s8, 0
.LBB46_1824:
	s_delay_alu instid0(SALU_CYCLE_1)
	s_and_b32 vcc_lo, exec_lo, s8
	s_mov_b32 s8, 0
	s_cbranch_vccz .LBB46_1826
; %bb.1825:
	s_cmp_lg_u32 s7, 11
	s_mov_b32 s8, -1
	s_cselect_b32 s0, -1, 0
.LBB46_1826:
	s_delay_alu instid0(SALU_CYCLE_1)
	s_and_b32 vcc_lo, exec_lo, s0
	s_cbranch_vccnz .LBB46_2006
; %bb.1827:
	s_and_not1_b32 vcc_lo, exec_lo, s8
	s_cbranch_vccnz .LBB46_1829
.LBB46_1828:
	s_wait_xcnt 0x0
	v_cndmask_b32_e64 v1, 0, 1, s6
	s_mov_b32 s9, -1
	global_store_b8 v[2:3], v1, off
.LBB46_1829:
	s_mov_b32 s0, 0
	s_branch .LBB46_1831
.LBB46_1830:
	s_mov_b32 s0, -1
	s_mov_b32 s9, 0
.LBB46_1831:
	s_and_b32 vcc_lo, exec_lo, s0
	s_cbranch_vccz .LBB46_1870
; %bb.1832:
	s_and_b32 s0, 0xffff, s14
	s_mov_b32 s7, -1
	s_cmp_lt_i32 s0, 5
	s_cbranch_scc1 .LBB46_1853
; %bb.1833:
	s_cmp_lt_i32 s0, 8
	s_cbranch_scc1 .LBB46_1843
; %bb.1834:
	;; [unrolled: 3-line block ×3, first 2 shown]
	s_cmp_gt_i32 s0, 9
	s_cbranch_scc0 .LBB46_1837
; %bb.1836:
	s_wait_xcnt 0x0
	v_cndmask_b32_e64 v1, 0, 1, s6
	v_mov_b32_e32 v8, 0
	s_mov_b32 s7, 0
	s_delay_alu instid0(VALU_DEP_2) | instskip(NEXT) | instid1(VALU_DEP_2)
	v_cvt_f64_u32_e32 v[6:7], v1
	v_mov_b32_e32 v9, v8
	global_store_b128 v[2:3], v[6:9], off
.LBB46_1837:
	s_and_not1_b32 vcc_lo, exec_lo, s7
	s_cbranch_vccnz .LBB46_1839
; %bb.1838:
	s_wait_xcnt 0x0
	v_cndmask_b32_e64 v6, 0, 1.0, s6
	v_mov_b32_e32 v7, 0
	global_store_b64 v[2:3], v[6:7], off
.LBB46_1839:
	s_mov_b32 s7, 0
.LBB46_1840:
	s_delay_alu instid0(SALU_CYCLE_1)
	s_and_not1_b32 vcc_lo, exec_lo, s7
	s_cbranch_vccnz .LBB46_1842
; %bb.1841:
	s_wait_xcnt 0x0
	v_cndmask_b32_e64 v1, 0, 1.0, s6
	s_delay_alu instid0(VALU_DEP_1) | instskip(NEXT) | instid1(VALU_DEP_1)
	v_cvt_f16_f32_e32 v1, v1
	v_and_b32_e32 v1, 0xffff, v1
	global_store_b32 v[2:3], v1, off
.LBB46_1842:
	s_mov_b32 s7, 0
.LBB46_1843:
	s_delay_alu instid0(SALU_CYCLE_1)
	s_and_not1_b32 vcc_lo, exec_lo, s7
	s_cbranch_vccnz .LBB46_1852
; %bb.1844:
	s_cmp_lt_i32 s0, 6
	s_mov_b32 s7, -1
	s_cbranch_scc1 .LBB46_1850
; %bb.1845:
	s_cmp_gt_i32 s0, 6
	s_cbranch_scc0 .LBB46_1847
; %bb.1846:
	s_wait_xcnt 0x0
	v_cndmask_b32_e64 v1, 0, 1, s6
	s_mov_b32 s7, 0
	s_delay_alu instid0(VALU_DEP_1)
	v_cvt_f64_u32_e32 v[6:7], v1
	global_store_b64 v[2:3], v[6:7], off
.LBB46_1847:
	s_and_not1_b32 vcc_lo, exec_lo, s7
	s_cbranch_vccnz .LBB46_1849
; %bb.1848:
	s_wait_xcnt 0x0
	v_cndmask_b32_e64 v1, 0, 1.0, s6
	global_store_b32 v[2:3], v1, off
.LBB46_1849:
	s_mov_b32 s7, 0
.LBB46_1850:
	s_delay_alu instid0(SALU_CYCLE_1)
	s_and_not1_b32 vcc_lo, exec_lo, s7
	s_cbranch_vccnz .LBB46_1852
; %bb.1851:
	s_wait_xcnt 0x0
	v_cndmask_b32_e64 v1, 0, 1.0, s6
	s_delay_alu instid0(VALU_DEP_1)
	v_cvt_f16_f32_e32 v1, v1
	global_store_b16 v[2:3], v1, off
.LBB46_1852:
	s_mov_b32 s7, 0
.LBB46_1853:
	s_delay_alu instid0(SALU_CYCLE_1)
	s_and_not1_b32 vcc_lo, exec_lo, s7
	s_cbranch_vccnz .LBB46_1869
; %bb.1854:
	s_cmp_lt_i32 s0, 2
	s_mov_b32 s7, -1
	s_cbranch_scc1 .LBB46_1864
; %bb.1855:
	s_cmp_lt_i32 s0, 3
	s_cbranch_scc1 .LBB46_1861
; %bb.1856:
	s_cmp_gt_i32 s0, 3
	s_cbranch_scc0 .LBB46_1858
; %bb.1857:
	s_mov_b32 s7, 0
	s_wait_xcnt 0x0
	v_cndmask_b32_e64 v6, 0, 1, s6
	v_mov_b32_e32 v7, s7
	global_store_b64 v[2:3], v[6:7], off
.LBB46_1858:
	s_and_not1_b32 vcc_lo, exec_lo, s7
	s_cbranch_vccnz .LBB46_1860
; %bb.1859:
	s_wait_xcnt 0x0
	v_cndmask_b32_e64 v1, 0, 1, s6
	global_store_b32 v[2:3], v1, off
.LBB46_1860:
	s_mov_b32 s7, 0
.LBB46_1861:
	s_delay_alu instid0(SALU_CYCLE_1)
	s_and_not1_b32 vcc_lo, exec_lo, s7
	s_cbranch_vccnz .LBB46_1863
; %bb.1862:
	s_wait_xcnt 0x0
	v_cndmask_b32_e64 v1, 0, 1, s6
	global_store_b16 v[2:3], v1, off
.LBB46_1863:
	s_mov_b32 s7, 0
.LBB46_1864:
	s_delay_alu instid0(SALU_CYCLE_1)
	s_and_not1_b32 vcc_lo, exec_lo, s7
	s_cbranch_vccnz .LBB46_1869
; %bb.1865:
	s_wait_xcnt 0x0
	v_cndmask_b32_e64 v1, 0, 1, s6
	s_cmp_gt_i32 s0, 0
	s_mov_b32 s0, -1
	s_cbranch_scc0 .LBB46_1867
; %bb.1866:
	s_mov_b32 s0, 0
	global_store_b8 v[2:3], v1, off
.LBB46_1867:
	s_and_not1_b32 vcc_lo, exec_lo, s0
	s_cbranch_vccnz .LBB46_1869
; %bb.1868:
	global_store_b8 v[2:3], v1, off
.LBB46_1869:
	s_mov_b32 s9, -1
.LBB46_1870:
	s_delay_alu instid0(SALU_CYCLE_1)
	s_and_not1_b32 vcc_lo, exec_lo, s9
	s_cbranch_vccnz .LBB46_1947
; %bb.1871:
	v_add_nc_u32_e32 v0, s2, v0
	v_cmp_ne_u32_e32 vcc_lo, s11, v5
	s_wait_xcnt 0x0
	s_delay_alu instid0(VALU_DEP_2) | instskip(SKIP_2) | instid1(VALU_DEP_1)
	v_ashrrev_i32_e32 v1, 31, v0
	s_xor_b32 s15, s3, vcc_lo
	s_cmp_lt_i32 s14, 11
	v_add_nc_u64_e32 v[0:1], s[4:5], v[0:1]
	s_cbranch_scc1 .LBB46_1992
; %bb.1872:
	s_and_b32 s2, 0xffff, s14
	s_mov_b32 s4, -1
	s_mov_b32 s3, 0
	s_cmp_gt_i32 s2, 25
	s_mov_b32 s0, 0
	s_cbranch_scc0 .LBB46_1905
; %bb.1873:
	s_cmp_gt_i32 s2, 28
	s_cbranch_scc0 .LBB46_1889
; %bb.1874:
	s_cmp_gt_i32 s2, 43
	;; [unrolled: 3-line block ×3, first 2 shown]
	s_cbranch_scc0 .LBB46_1879
; %bb.1876:
	s_cmp_eq_u32 s2, 46
	s_mov_b32 s0, -1
	s_cbranch_scc0 .LBB46_1878
; %bb.1877:
	v_cndmask_b32_e64 v2, 0, 1.0, s15
	s_mov_b32 s0, 0
	s_delay_alu instid0(VALU_DEP_1) | instskip(NEXT) | instid1(VALU_DEP_1)
	v_bfe_u32 v3, v2, 16, 1
	v_add3_u32 v2, v2, v3, 0x7fff
	s_delay_alu instid0(VALU_DEP_1)
	v_lshrrev_b32_e32 v2, 16, v2
	global_store_b32 v[0:1], v2, off
.LBB46_1878:
	s_mov_b32 s4, 0
.LBB46_1879:
	s_delay_alu instid0(SALU_CYCLE_1)
	s_and_b32 vcc_lo, exec_lo, s4
	s_cbranch_vccz .LBB46_1884
; %bb.1880:
	s_cmp_eq_u32 s2, 44
	s_mov_b32 s0, -1
	s_cbranch_scc0 .LBB46_1884
; %bb.1881:
	v_cndmask_b32_e64 v4, 0, 1.0, s15
	s_mov_b32 s4, exec_lo
	s_wait_xcnt 0x0
	s_delay_alu instid0(VALU_DEP_1) | instskip(NEXT) | instid1(VALU_DEP_1)
	v_dual_mov_b32 v3, 0xff :: v_dual_lshrrev_b32 v2, 23, v4
	v_cmpx_ne_u32_e32 0xff, v2
; %bb.1882:
	v_and_b32_e32 v3, 0x400000, v4
	v_and_or_b32 v4, 0x3fffff, v4, v2
	s_delay_alu instid0(VALU_DEP_2) | instskip(NEXT) | instid1(VALU_DEP_2)
	v_cmp_ne_u32_e32 vcc_lo, 0, v3
	v_cmp_ne_u32_e64 s0, 0, v4
	s_and_b32 s0, vcc_lo, s0
	s_delay_alu instid0(SALU_CYCLE_1) | instskip(NEXT) | instid1(VALU_DEP_1)
	v_cndmask_b32_e64 v3, 0, 1, s0
	v_add_nc_u32_e32 v3, v2, v3
; %bb.1883:
	s_or_b32 exec_lo, exec_lo, s4
	s_mov_b32 s0, 0
	global_store_b8 v[0:1], v3, off
.LBB46_1884:
	s_mov_b32 s4, 0
.LBB46_1885:
	s_delay_alu instid0(SALU_CYCLE_1)
	s_and_b32 vcc_lo, exec_lo, s4
	s_cbranch_vccz .LBB46_1888
; %bb.1886:
	s_cmp_eq_u32 s2, 29
	s_mov_b32 s0, -1
	s_cbranch_scc0 .LBB46_1888
; %bb.1887:
	s_mov_b32 s0, 0
	s_wait_xcnt 0x0
	v_cndmask_b32_e64 v2, 0, 1, s15
	v_mov_b32_e32 v3, s0
	global_store_b64 v[0:1], v[2:3], off
.LBB46_1888:
	s_mov_b32 s4, 0
.LBB46_1889:
	s_delay_alu instid0(SALU_CYCLE_1)
	s_and_b32 vcc_lo, exec_lo, s4
	s_cbranch_vccz .LBB46_1904
; %bb.1890:
	s_cmp_lt_i32 s2, 27
	s_mov_b32 s4, -1
	s_cbranch_scc1 .LBB46_1896
; %bb.1891:
	s_wait_xcnt 0x0
	v_cndmask_b32_e64 v2, 0, 1, s15
	s_cmp_gt_i32 s2, 27
	s_cbranch_scc0 .LBB46_1893
; %bb.1892:
	s_mov_b32 s4, 0
	global_store_b32 v[0:1], v2, off
.LBB46_1893:
	s_and_not1_b32 vcc_lo, exec_lo, s4
	s_cbranch_vccnz .LBB46_1895
; %bb.1894:
	global_store_b16 v[0:1], v2, off
.LBB46_1895:
	s_mov_b32 s4, 0
.LBB46_1896:
	s_delay_alu instid0(SALU_CYCLE_1)
	s_and_not1_b32 vcc_lo, exec_lo, s4
	s_cbranch_vccnz .LBB46_1904
; %bb.1897:
	s_wait_xcnt 0x0
	v_cndmask_b32_e64 v3, 0, 1.0, s15
	v_mov_b32_e32 v4, 0x80
	s_mov_b32 s4, exec_lo
	s_delay_alu instid0(VALU_DEP_2)
	v_cmpx_gt_u32_e32 0x43800000, v3
	s_cbranch_execz .LBB46_1903
; %bb.1898:
	s_mov_b32 s5, 0
	s_mov_b32 s6, exec_lo
                                        ; implicit-def: $vgpr2
	v_cmpx_lt_u32_e32 0x3bffffff, v3
	s_xor_b32 s6, exec_lo, s6
	s_cbranch_execz .LBB46_2009
; %bb.1899:
	v_bfe_u32 v2, v3, 20, 1
	s_mov_b32 s5, exec_lo
	s_delay_alu instid0(VALU_DEP_1) | instskip(NEXT) | instid1(VALU_DEP_1)
	v_add3_u32 v2, v3, v2, 0x487ffff
                                        ; implicit-def: $vgpr3
	v_lshrrev_b32_e32 v2, 20, v2
	s_and_not1_saveexec_b32 s6, s6
	s_cbranch_execnz .LBB46_2010
.LBB46_1900:
	s_or_b32 exec_lo, exec_lo, s6
	v_mov_b32_e32 v4, 0
	s_and_saveexec_b32 s6, s5
.LBB46_1901:
	v_mov_b32_e32 v4, v2
.LBB46_1902:
	s_or_b32 exec_lo, exec_lo, s6
.LBB46_1903:
	s_delay_alu instid0(SALU_CYCLE_1)
	s_or_b32 exec_lo, exec_lo, s4
	global_store_b8 v[0:1], v4, off
.LBB46_1904:
	s_mov_b32 s4, 0
.LBB46_1905:
	s_delay_alu instid0(SALU_CYCLE_1)
	s_and_b32 vcc_lo, exec_lo, s4
	s_cbranch_vccz .LBB46_1945
; %bb.1906:
	s_cmp_gt_i32 s2, 22
	s_mov_b32 s3, -1
	s_cbranch_scc0 .LBB46_1938
; %bb.1907:
	s_cmp_lt_i32 s2, 24
	s_cbranch_scc1 .LBB46_1927
; %bb.1908:
	s_cmp_gt_i32 s2, 24
	s_cbranch_scc0 .LBB46_1916
; %bb.1909:
	s_wait_xcnt 0x0
	v_cndmask_b32_e64 v3, 0, 1.0, s15
	v_mov_b32_e32 v4, 0x80
	s_mov_b32 s3, exec_lo
	s_delay_alu instid0(VALU_DEP_2)
	v_cmpx_gt_u32_e32 0x47800000, v3
	s_cbranch_execz .LBB46_1915
; %bb.1910:
	s_mov_b32 s4, 0
	s_mov_b32 s5, exec_lo
                                        ; implicit-def: $vgpr2
	v_cmpx_lt_u32_e32 0x37ffffff, v3
	s_xor_b32 s5, exec_lo, s5
	s_cbranch_execz .LBB46_2012
; %bb.1911:
	v_bfe_u32 v2, v3, 21, 1
	s_mov_b32 s4, exec_lo
	s_delay_alu instid0(VALU_DEP_1) | instskip(NEXT) | instid1(VALU_DEP_1)
	v_add3_u32 v2, v3, v2, 0x88fffff
                                        ; implicit-def: $vgpr3
	v_lshrrev_b32_e32 v2, 21, v2
	s_and_not1_saveexec_b32 s5, s5
	s_cbranch_execnz .LBB46_2013
.LBB46_1912:
	s_or_b32 exec_lo, exec_lo, s5
	v_mov_b32_e32 v4, 0
	s_and_saveexec_b32 s5, s4
.LBB46_1913:
	v_mov_b32_e32 v4, v2
.LBB46_1914:
	s_or_b32 exec_lo, exec_lo, s5
.LBB46_1915:
	s_delay_alu instid0(SALU_CYCLE_1)
	s_or_b32 exec_lo, exec_lo, s3
	s_mov_b32 s3, 0
	global_store_b8 v[0:1], v4, off
.LBB46_1916:
	s_and_b32 vcc_lo, exec_lo, s3
	s_cbranch_vccz .LBB46_1926
; %bb.1917:
	s_wait_xcnt 0x0
	v_cndmask_b32_e64 v3, 0, 1.0, s15
	s_mov_b32 s3, exec_lo
                                        ; implicit-def: $vgpr2
	s_delay_alu instid0(VALU_DEP_1)
	v_cmpx_gt_u32_e32 0x43f00000, v3
	s_xor_b32 s3, exec_lo, s3
	s_cbranch_execz .LBB46_1923
; %bb.1918:
	s_mov_b32 s4, exec_lo
                                        ; implicit-def: $vgpr2
	v_cmpx_lt_u32_e32 0x3c7fffff, v3
	s_xor_b32 s4, exec_lo, s4
; %bb.1919:
	v_bfe_u32 v2, v3, 20, 1
	s_delay_alu instid0(VALU_DEP_1) | instskip(NEXT) | instid1(VALU_DEP_1)
	v_add3_u32 v2, v3, v2, 0x407ffff
	v_and_b32_e32 v3, 0xff00000, v2
	v_lshrrev_b32_e32 v2, 20, v2
	s_delay_alu instid0(VALU_DEP_2) | instskip(NEXT) | instid1(VALU_DEP_2)
	v_cmp_ne_u32_e32 vcc_lo, 0x7f00000, v3
                                        ; implicit-def: $vgpr3
	v_cndmask_b32_e32 v2, 0x7e, v2, vcc_lo
; %bb.1920:
	s_and_not1_saveexec_b32 s4, s4
; %bb.1921:
	v_add_f32_e32 v2, 0x46800000, v3
; %bb.1922:
	s_or_b32 exec_lo, exec_lo, s4
                                        ; implicit-def: $vgpr3
.LBB46_1923:
	s_and_not1_saveexec_b32 s3, s3
; %bb.1924:
	v_mov_b32_e32 v2, 0x7f
	v_cmp_lt_u32_e32 vcc_lo, 0x7f800000, v3
	s_delay_alu instid0(VALU_DEP_2)
	v_cndmask_b32_e32 v2, 0x7e, v2, vcc_lo
; %bb.1925:
	s_or_b32 exec_lo, exec_lo, s3
	global_store_b8 v[0:1], v2, off
.LBB46_1926:
	s_mov_b32 s3, 0
.LBB46_1927:
	s_delay_alu instid0(SALU_CYCLE_1)
	s_and_not1_b32 vcc_lo, exec_lo, s3
	s_cbranch_vccnz .LBB46_1937
; %bb.1928:
	s_wait_xcnt 0x0
	v_cndmask_b32_e64 v3, 0, 1.0, s15
	s_mov_b32 s3, exec_lo
                                        ; implicit-def: $vgpr2
	s_delay_alu instid0(VALU_DEP_1)
	v_cmpx_gt_u32_e32 0x47800000, v3
	s_xor_b32 s3, exec_lo, s3
	s_cbranch_execz .LBB46_1934
; %bb.1929:
	s_mov_b32 s4, exec_lo
                                        ; implicit-def: $vgpr2
	v_cmpx_lt_u32_e32 0x387fffff, v3
	s_xor_b32 s4, exec_lo, s4
; %bb.1930:
	v_bfe_u32 v2, v3, 21, 1
	s_delay_alu instid0(VALU_DEP_1) | instskip(NEXT) | instid1(VALU_DEP_1)
	v_add3_u32 v2, v3, v2, 0x80fffff
                                        ; implicit-def: $vgpr3
	v_lshrrev_b32_e32 v2, 21, v2
; %bb.1931:
	s_and_not1_saveexec_b32 s4, s4
; %bb.1932:
	v_add_f32_e32 v2, 0x43000000, v3
; %bb.1933:
	s_or_b32 exec_lo, exec_lo, s4
                                        ; implicit-def: $vgpr3
.LBB46_1934:
	s_and_not1_saveexec_b32 s3, s3
; %bb.1935:
	v_mov_b32_e32 v2, 0x7f
	v_cmp_lt_u32_e32 vcc_lo, 0x7f800000, v3
	s_delay_alu instid0(VALU_DEP_2)
	v_cndmask_b32_e32 v2, 0x7c, v2, vcc_lo
; %bb.1936:
	s_or_b32 exec_lo, exec_lo, s3
	global_store_b8 v[0:1], v2, off
.LBB46_1937:
	s_mov_b32 s3, 0
.LBB46_1938:
	s_delay_alu instid0(SALU_CYCLE_1)
	s_and_not1_b32 vcc_lo, exec_lo, s3
	s_mov_b32 s3, 0
	s_cbranch_vccnz .LBB46_1945
; %bb.1939:
	s_cmp_gt_i32 s2, 14
	s_mov_b32 s3, -1
	s_cbranch_scc0 .LBB46_1943
; %bb.1940:
	s_cmp_eq_u32 s2, 15
	s_mov_b32 s0, -1
	s_cbranch_scc0 .LBB46_1942
; %bb.1941:
	s_wait_xcnt 0x0
	v_cndmask_b32_e64 v2, 0, 1.0, s15
	s_mov_b32 s0, 0
	s_delay_alu instid0(VALU_DEP_1) | instskip(NEXT) | instid1(VALU_DEP_1)
	v_bfe_u32 v3, v2, 16, 1
	v_add3_u32 v2, v2, v3, 0x7fff
	global_store_d16_hi_b16 v[0:1], v2, off
.LBB46_1942:
	s_mov_b32 s3, 0
.LBB46_1943:
	s_delay_alu instid0(SALU_CYCLE_1)
	s_and_b32 vcc_lo, exec_lo, s3
	s_mov_b32 s3, 0
	s_cbranch_vccz .LBB46_1945
; %bb.1944:
	s_cmp_lg_u32 s2, 11
	s_mov_b32 s3, -1
	s_cselect_b32 s0, -1, 0
.LBB46_1945:
	s_delay_alu instid0(SALU_CYCLE_1)
	s_and_b32 vcc_lo, exec_lo, s0
	s_cbranch_vccnz .LBB46_2011
.LBB46_1946:
	s_mov_b32 s0, 0
	s_branch .LBB46_1948
.LBB46_1947:
	s_mov_b32 s0, 0
	s_mov_b32 s3, 0
                                        ; implicit-def: $sgpr15
                                        ; implicit-def: $sgpr14
                                        ; implicit-def: $vgpr0_vgpr1
.LBB46_1948:
	s_and_not1_b32 s2, s13, exec_lo
	s_and_b32 s4, s1, exec_lo
	s_and_b32 s0, s0, exec_lo
	;; [unrolled: 1-line block ×3, first 2 shown]
	s_or_b32 s13, s2, s4
.LBB46_1949:
	s_wait_xcnt 0x0
	s_or_b32 exec_lo, exec_lo, s12
	s_and_saveexec_b32 s2, s13
	s_cbranch_execz .LBB46_1952
; %bb.1950:
	; divergent unreachable
	s_or_b32 exec_lo, exec_lo, s2
	s_and_saveexec_b32 s2, s1
	s_delay_alu instid0(SALU_CYCLE_1)
	s_xor_b32 s1, exec_lo, s2
	s_cbranch_execnz .LBB46_1953
.LBB46_1951:
	s_or_b32 exec_lo, exec_lo, s1
	s_and_saveexec_b32 s1, s0
	s_cbranch_execnz .LBB46_1954
	s_branch .LBB46_1991
.LBB46_1952:
	s_or_b32 exec_lo, exec_lo, s2
	s_and_saveexec_b32 s2, s1
	s_delay_alu instid0(SALU_CYCLE_1)
	s_xor_b32 s1, exec_lo, s2
	s_cbranch_execz .LBB46_1951
.LBB46_1953:
	s_wait_loadcnt 0x0
	v_cndmask_b32_e64 v2, 0, 1, s15
	global_store_b8 v[0:1], v2, off
	s_wait_xcnt 0x0
	s_or_b32 exec_lo, exec_lo, s1
	s_and_saveexec_b32 s1, s0
	s_cbranch_execz .LBB46_1991
.LBB46_1954:
	s_sext_i32_i16 s1, s14
	s_mov_b32 s0, -1
	s_cmp_lt_i32 s1, 5
	s_cbranch_scc1 .LBB46_1975
; %bb.1955:
	s_cmp_lt_i32 s1, 8
	s_cbranch_scc1 .LBB46_1965
; %bb.1956:
	;; [unrolled: 3-line block ×3, first 2 shown]
	s_cmp_gt_i32 s1, 9
	s_cbranch_scc0 .LBB46_1959
; %bb.1958:
	s_wait_loadcnt 0x0
	v_cndmask_b32_e64 v2, 0, 1, s15
	v_mov_b32_e32 v4, 0
	s_mov_b32 s0, 0
	s_delay_alu instid0(VALU_DEP_2) | instskip(NEXT) | instid1(VALU_DEP_2)
	v_cvt_f64_u32_e32 v[2:3], v2
	v_mov_b32_e32 v5, v4
	global_store_b128 v[0:1], v[2:5], off
.LBB46_1959:
	s_and_not1_b32 vcc_lo, exec_lo, s0
	s_cbranch_vccnz .LBB46_1961
; %bb.1960:
	s_wait_loadcnt 0x0
	v_cndmask_b32_e64 v2, 0, 1.0, s15
	v_mov_b32_e32 v3, 0
	global_store_b64 v[0:1], v[2:3], off
.LBB46_1961:
	s_mov_b32 s0, 0
.LBB46_1962:
	s_delay_alu instid0(SALU_CYCLE_1)
	s_and_not1_b32 vcc_lo, exec_lo, s0
	s_cbranch_vccnz .LBB46_1964
; %bb.1963:
	s_wait_loadcnt 0x0
	v_cndmask_b32_e64 v2, 0, 1.0, s15
	s_delay_alu instid0(VALU_DEP_1) | instskip(NEXT) | instid1(VALU_DEP_1)
	v_cvt_f16_f32_e32 v2, v2
	v_and_b32_e32 v2, 0xffff, v2
	global_store_b32 v[0:1], v2, off
.LBB46_1964:
	s_mov_b32 s0, 0
.LBB46_1965:
	s_delay_alu instid0(SALU_CYCLE_1)
	s_and_not1_b32 vcc_lo, exec_lo, s0
	s_cbranch_vccnz .LBB46_1974
; %bb.1966:
	s_sext_i32_i16 s1, s14
	s_mov_b32 s0, -1
	s_cmp_lt_i32 s1, 6
	s_cbranch_scc1 .LBB46_1972
; %bb.1967:
	s_cmp_gt_i32 s1, 6
	s_cbranch_scc0 .LBB46_1969
; %bb.1968:
	s_wait_loadcnt 0x0
	v_cndmask_b32_e64 v2, 0, 1, s15
	s_mov_b32 s0, 0
	s_delay_alu instid0(VALU_DEP_1)
	v_cvt_f64_u32_e32 v[2:3], v2
	global_store_b64 v[0:1], v[2:3], off
.LBB46_1969:
	s_and_not1_b32 vcc_lo, exec_lo, s0
	s_cbranch_vccnz .LBB46_1971
; %bb.1970:
	s_wait_loadcnt 0x0
	v_cndmask_b32_e64 v2, 0, 1.0, s15
	global_store_b32 v[0:1], v2, off
.LBB46_1971:
	s_mov_b32 s0, 0
.LBB46_1972:
	s_delay_alu instid0(SALU_CYCLE_1)
	s_and_not1_b32 vcc_lo, exec_lo, s0
	s_cbranch_vccnz .LBB46_1974
; %bb.1973:
	s_wait_loadcnt 0x0
	v_cndmask_b32_e64 v2, 0, 1.0, s15
	s_delay_alu instid0(VALU_DEP_1)
	v_cvt_f16_f32_e32 v2, v2
	global_store_b16 v[0:1], v2, off
.LBB46_1974:
	s_mov_b32 s0, 0
.LBB46_1975:
	s_delay_alu instid0(SALU_CYCLE_1)
	s_and_not1_b32 vcc_lo, exec_lo, s0
	s_cbranch_vccnz .LBB46_1991
; %bb.1976:
	s_sext_i32_i16 s1, s14
	s_mov_b32 s0, -1
	s_cmp_lt_i32 s1, 2
	s_cbranch_scc1 .LBB46_1986
; %bb.1977:
	s_cmp_lt_i32 s1, 3
	s_cbranch_scc1 .LBB46_1983
; %bb.1978:
	s_cmp_gt_i32 s1, 3
	s_cbranch_scc0 .LBB46_1980
; %bb.1979:
	s_mov_b32 s0, 0
	s_wait_loadcnt 0x0
	v_cndmask_b32_e64 v2, 0, 1, s15
	v_mov_b32_e32 v3, s0
	global_store_b64 v[0:1], v[2:3], off
.LBB46_1980:
	s_and_not1_b32 vcc_lo, exec_lo, s0
	s_cbranch_vccnz .LBB46_1982
; %bb.1981:
	s_wait_loadcnt 0x0
	v_cndmask_b32_e64 v2, 0, 1, s15
	global_store_b32 v[0:1], v2, off
.LBB46_1982:
	s_mov_b32 s0, 0
.LBB46_1983:
	s_delay_alu instid0(SALU_CYCLE_1)
	s_and_not1_b32 vcc_lo, exec_lo, s0
	s_cbranch_vccnz .LBB46_1985
; %bb.1984:
	s_wait_loadcnt 0x0
	v_cndmask_b32_e64 v2, 0, 1, s15
	global_store_b16 v[0:1], v2, off
.LBB46_1985:
	s_mov_b32 s0, 0
.LBB46_1986:
	s_delay_alu instid0(SALU_CYCLE_1)
	s_and_not1_b32 vcc_lo, exec_lo, s0
	s_cbranch_vccnz .LBB46_1991
; %bb.1987:
	s_wait_loadcnt 0x0
	v_cndmask_b32_e64 v2, 0, 1, s15
	s_sext_i32_i16 s0, s14
	s_delay_alu instid0(SALU_CYCLE_1)
	s_cmp_gt_i32 s0, 0
	s_mov_b32 s0, -1
	s_cbranch_scc0 .LBB46_1989
; %bb.1988:
	s_mov_b32 s0, 0
	global_store_b8 v[0:1], v2, off
.LBB46_1989:
	s_and_not1_b32 vcc_lo, exec_lo, s0
	s_cbranch_vccnz .LBB46_1991
; %bb.1990:
	global_store_b8 v[0:1], v2, off
	s_endpgm
.LBB46_1991:
	s_endpgm
.LBB46_1992:
	s_mov_b32 s3, 0
	s_mov_b32 s0, -1
	s_branch .LBB46_1948
.LBB46_1993:
	s_or_b32 s1, s1, exec_lo
	s_trap 2
	s_cbranch_execz .LBB46_1463
	s_branch .LBB46_1464
.LBB46_1994:
	s_and_not1_saveexec_b32 s15, s15
	s_cbranch_execz .LBB46_1543
.LBB46_1995:
	v_add_f32_e32 v1, 0x46000000, v4
	s_and_not1_b32 s10, s10, exec_lo
	s_delay_alu instid0(VALU_DEP_1) | instskip(NEXT) | instid1(VALU_DEP_1)
	v_and_b32_e32 v1, 0xff, v1
	v_cmp_ne_u32_e32 vcc_lo, 0, v1
	s_and_b32 s16, vcc_lo, exec_lo
	s_delay_alu instid0(SALU_CYCLE_1)
	s_or_b32 s10, s10, s16
	s_or_b32 exec_lo, exec_lo, s15
	v_mov_b32_e32 v8, 0
	s_and_saveexec_b32 s15, s10
	s_cbranch_execnz .LBB46_1544
	s_branch .LBB46_1545
.LBB46_1996:
	s_or_b32 s1, s1, exec_lo
	s_trap 2
	s_cbranch_execz .LBB46_1591
	s_branch .LBB46_1592
.LBB46_1997:
	s_and_not1_saveexec_b32 s10, s10
	s_cbranch_execz .LBB46_1556
.LBB46_1998:
	v_add_f32_e32 v1, 0x42800000, v4
	s_and_not1_b32 s9, s9, exec_lo
	s_delay_alu instid0(VALU_DEP_1) | instskip(NEXT) | instid1(VALU_DEP_1)
	v_and_b32_e32 v1, 0xff, v1
	v_cmp_ne_u32_e32 vcc_lo, 0, v1
	s_and_b32 s15, vcc_lo, exec_lo
	s_delay_alu instid0(SALU_CYCLE_1)
	s_or_b32 s9, s9, s15
	s_or_b32 exec_lo, exec_lo, s10
	v_mov_b32_e32 v8, 0
	s_and_saveexec_b32 s10, s9
	s_cbranch_execnz .LBB46_1557
	s_branch .LBB46_1558
.LBB46_1999:
	s_and_not1_saveexec_b32 s15, s15
	s_cbranch_execz .LBB46_1661
.LBB46_2000:
	v_add_f32_e32 v1, 0x46000000, v4
	s_and_not1_b32 s10, s10, exec_lo
	s_delay_alu instid0(VALU_DEP_1) | instskip(NEXT) | instid1(VALU_DEP_1)
	v_and_b32_e32 v1, 0xff, v1
	v_cmp_ne_u32_e32 vcc_lo, 0, v1
	s_and_b32 s16, vcc_lo, exec_lo
	s_delay_alu instid0(SALU_CYCLE_1)
	s_or_b32 s10, s10, s16
	s_or_b32 exec_lo, exec_lo, s15
	v_mov_b32_e32 v7, 0
	s_and_saveexec_b32 s15, s10
	s_cbranch_execnz .LBB46_1662
	s_branch .LBB46_1663
.LBB46_2001:
	s_or_b32 s1, s1, exec_lo
	s_trap 2
	s_cbranch_execz .LBB46_1709
	s_branch .LBB46_1710
.LBB46_2002:
	s_and_not1_saveexec_b32 s10, s10
	s_cbranch_execz .LBB46_1674
.LBB46_2003:
	v_add_f32_e32 v1, 0x42800000, v4
	s_and_not1_b32 s9, s9, exec_lo
	s_delay_alu instid0(VALU_DEP_1) | instskip(NEXT) | instid1(VALU_DEP_1)
	v_and_b32_e32 v1, 0xff, v1
	v_cmp_ne_u32_e32 vcc_lo, 0, v1
	s_and_b32 s15, vcc_lo, exec_lo
	s_delay_alu instid0(SALU_CYCLE_1)
	s_or_b32 s9, s9, s15
	s_or_b32 exec_lo, exec_lo, s10
	v_mov_b32_e32 v7, 0
	s_and_saveexec_b32 s10, s9
	s_cbranch_execnz .LBB46_1675
	s_branch .LBB46_1676
.LBB46_2004:
	s_and_not1_saveexec_b32 s15, s15
	s_cbranch_execz .LBB46_1780
.LBB46_2005:
	v_add_f32_e32 v1, 0x46000000, v4
	s_and_not1_b32 s10, s10, exec_lo
	s_delay_alu instid0(VALU_DEP_1) | instskip(NEXT) | instid1(VALU_DEP_1)
	v_and_b32_e32 v1, 0xff, v1
	v_cmp_ne_u32_e32 vcc_lo, 0, v1
	s_and_b32 s16, vcc_lo, exec_lo
	s_delay_alu instid0(SALU_CYCLE_1)
	s_or_b32 s10, s10, s16
	s_or_b32 exec_lo, exec_lo, s15
	v_mov_b32_e32 v6, 0
	s_and_saveexec_b32 s15, s10
	s_cbranch_execnz .LBB46_1781
	s_branch .LBB46_1782
.LBB46_2006:
	s_or_b32 s1, s1, exec_lo
	s_trap 2
	s_cbranch_execz .LBB46_1828
	s_branch .LBB46_1829
.LBB46_2007:
	s_and_not1_saveexec_b32 s10, s10
	s_cbranch_execz .LBB46_1793
.LBB46_2008:
	v_add_f32_e32 v1, 0x42800000, v4
	s_and_not1_b32 s9, s9, exec_lo
	s_delay_alu instid0(VALU_DEP_1) | instskip(NEXT) | instid1(VALU_DEP_1)
	v_and_b32_e32 v1, 0xff, v1
	v_cmp_ne_u32_e32 vcc_lo, 0, v1
	s_and_b32 s15, vcc_lo, exec_lo
	s_delay_alu instid0(SALU_CYCLE_1)
	s_or_b32 s9, s9, s15
	s_or_b32 exec_lo, exec_lo, s10
	v_mov_b32_e32 v6, 0
	s_and_saveexec_b32 s10, s9
	s_cbranch_execnz .LBB46_1794
	s_branch .LBB46_1795
.LBB46_2009:
	s_and_not1_saveexec_b32 s6, s6
	s_cbranch_execz .LBB46_1900
.LBB46_2010:
	v_add_f32_e32 v2, 0x46000000, v3
	s_and_not1_b32 s5, s5, exec_lo
	s_delay_alu instid0(VALU_DEP_1) | instskip(NEXT) | instid1(VALU_DEP_1)
	v_and_b32_e32 v2, 0xff, v2
	v_cmp_ne_u32_e32 vcc_lo, 0, v2
	s_and_b32 s7, vcc_lo, exec_lo
	s_delay_alu instid0(SALU_CYCLE_1)
	s_or_b32 s5, s5, s7
	s_or_b32 exec_lo, exec_lo, s6
	v_mov_b32_e32 v4, 0
	s_and_saveexec_b32 s6, s5
	s_cbranch_execnz .LBB46_1901
	s_branch .LBB46_1902
.LBB46_2011:
	s_mov_b32 s3, 0
	s_or_b32 s1, s1, exec_lo
	s_trap 2
	s_branch .LBB46_1946
.LBB46_2012:
	s_and_not1_saveexec_b32 s5, s5
	s_cbranch_execz .LBB46_1912
.LBB46_2013:
	v_add_f32_e32 v2, 0x42800000, v3
	s_and_not1_b32 s4, s4, exec_lo
	s_delay_alu instid0(VALU_DEP_1) | instskip(NEXT) | instid1(VALU_DEP_1)
	v_and_b32_e32 v2, 0xff, v2
	v_cmp_ne_u32_e32 vcc_lo, 0, v2
	s_and_b32 s6, vcc_lo, exec_lo
	s_delay_alu instid0(SALU_CYCLE_1)
	s_or_b32 s4, s4, s6
	s_or_b32 exec_lo, exec_lo, s5
	v_mov_b32_e32 v4, 0
	s_and_saveexec_b32 s5, s4
	s_cbranch_execnz .LBB46_1913
	s_branch .LBB46_1914
	.section	.rodata,"a",@progbits
	.p2align	6, 0x0
	.amdhsa_kernel _ZN2at6native32elementwise_kernel_manual_unrollILi128ELi4EZNS0_15gpu_kernel_implINS0_13AUnaryFunctorIiibNS0_12_GLOBAL__N_116CompareEqFunctorIiEEEEEEvRNS_18TensorIteratorBaseERKT_EUlibE_EEviT1_
		.amdhsa_group_segment_fixed_size 0
		.amdhsa_private_segment_fixed_size 0
		.amdhsa_kernarg_size 48
		.amdhsa_user_sgpr_count 2
		.amdhsa_user_sgpr_dispatch_ptr 0
		.amdhsa_user_sgpr_queue_ptr 0
		.amdhsa_user_sgpr_kernarg_segment_ptr 1
		.amdhsa_user_sgpr_dispatch_id 0
		.amdhsa_user_sgpr_kernarg_preload_length 0
		.amdhsa_user_sgpr_kernarg_preload_offset 0
		.amdhsa_user_sgpr_private_segment_size 0
		.amdhsa_wavefront_size32 1
		.amdhsa_uses_dynamic_stack 0
		.amdhsa_enable_private_segment 0
		.amdhsa_system_sgpr_workgroup_id_x 1
		.amdhsa_system_sgpr_workgroup_id_y 0
		.amdhsa_system_sgpr_workgroup_id_z 0
		.amdhsa_system_sgpr_workgroup_info 0
		.amdhsa_system_vgpr_workitem_id 0
		.amdhsa_next_free_vgpr 12
		.amdhsa_next_free_sgpr 30
		.amdhsa_named_barrier_count 0
		.amdhsa_reserve_vcc 1
		.amdhsa_float_round_mode_32 0
		.amdhsa_float_round_mode_16_64 0
		.amdhsa_float_denorm_mode_32 3
		.amdhsa_float_denorm_mode_16_64 3
		.amdhsa_fp16_overflow 0
		.amdhsa_memory_ordered 1
		.amdhsa_forward_progress 1
		.amdhsa_inst_pref_size 255
		.amdhsa_round_robin_scheduling 0
		.amdhsa_exception_fp_ieee_invalid_op 0
		.amdhsa_exception_fp_denorm_src 0
		.amdhsa_exception_fp_ieee_div_zero 0
		.amdhsa_exception_fp_ieee_overflow 0
		.amdhsa_exception_fp_ieee_underflow 0
		.amdhsa_exception_fp_ieee_inexact 0
		.amdhsa_exception_int_div_zero 0
	.end_amdhsa_kernel
	.section	.text._ZN2at6native32elementwise_kernel_manual_unrollILi128ELi4EZNS0_15gpu_kernel_implINS0_13AUnaryFunctorIiibNS0_12_GLOBAL__N_116CompareEqFunctorIiEEEEEEvRNS_18TensorIteratorBaseERKT_EUlibE_EEviT1_,"axG",@progbits,_ZN2at6native32elementwise_kernel_manual_unrollILi128ELi4EZNS0_15gpu_kernel_implINS0_13AUnaryFunctorIiibNS0_12_GLOBAL__N_116CompareEqFunctorIiEEEEEEvRNS_18TensorIteratorBaseERKT_EUlibE_EEviT1_,comdat
.Lfunc_end46:
	.size	_ZN2at6native32elementwise_kernel_manual_unrollILi128ELi4EZNS0_15gpu_kernel_implINS0_13AUnaryFunctorIiibNS0_12_GLOBAL__N_116CompareEqFunctorIiEEEEEEvRNS_18TensorIteratorBaseERKT_EUlibE_EEviT1_, .Lfunc_end46-_ZN2at6native32elementwise_kernel_manual_unrollILi128ELi4EZNS0_15gpu_kernel_implINS0_13AUnaryFunctorIiibNS0_12_GLOBAL__N_116CompareEqFunctorIiEEEEEEvRNS_18TensorIteratorBaseERKT_EUlibE_EEviT1_
                                        ; -- End function
	.set _ZN2at6native32elementwise_kernel_manual_unrollILi128ELi4EZNS0_15gpu_kernel_implINS0_13AUnaryFunctorIiibNS0_12_GLOBAL__N_116CompareEqFunctorIiEEEEEEvRNS_18TensorIteratorBaseERKT_EUlibE_EEviT1_.num_vgpr, 12
	.set _ZN2at6native32elementwise_kernel_manual_unrollILi128ELi4EZNS0_15gpu_kernel_implINS0_13AUnaryFunctorIiibNS0_12_GLOBAL__N_116CompareEqFunctorIiEEEEEEvRNS_18TensorIteratorBaseERKT_EUlibE_EEviT1_.num_agpr, 0
	.set _ZN2at6native32elementwise_kernel_manual_unrollILi128ELi4EZNS0_15gpu_kernel_implINS0_13AUnaryFunctorIiibNS0_12_GLOBAL__N_116CompareEqFunctorIiEEEEEEvRNS_18TensorIteratorBaseERKT_EUlibE_EEviT1_.numbered_sgpr, 30
	.set _ZN2at6native32elementwise_kernel_manual_unrollILi128ELi4EZNS0_15gpu_kernel_implINS0_13AUnaryFunctorIiibNS0_12_GLOBAL__N_116CompareEqFunctorIiEEEEEEvRNS_18TensorIteratorBaseERKT_EUlibE_EEviT1_.num_named_barrier, 0
	.set _ZN2at6native32elementwise_kernel_manual_unrollILi128ELi4EZNS0_15gpu_kernel_implINS0_13AUnaryFunctorIiibNS0_12_GLOBAL__N_116CompareEqFunctorIiEEEEEEvRNS_18TensorIteratorBaseERKT_EUlibE_EEviT1_.private_seg_size, 0
	.set _ZN2at6native32elementwise_kernel_manual_unrollILi128ELi4EZNS0_15gpu_kernel_implINS0_13AUnaryFunctorIiibNS0_12_GLOBAL__N_116CompareEqFunctorIiEEEEEEvRNS_18TensorIteratorBaseERKT_EUlibE_EEviT1_.uses_vcc, 1
	.set _ZN2at6native32elementwise_kernel_manual_unrollILi128ELi4EZNS0_15gpu_kernel_implINS0_13AUnaryFunctorIiibNS0_12_GLOBAL__N_116CompareEqFunctorIiEEEEEEvRNS_18TensorIteratorBaseERKT_EUlibE_EEviT1_.uses_flat_scratch, 0
	.set _ZN2at6native32elementwise_kernel_manual_unrollILi128ELi4EZNS0_15gpu_kernel_implINS0_13AUnaryFunctorIiibNS0_12_GLOBAL__N_116CompareEqFunctorIiEEEEEEvRNS_18TensorIteratorBaseERKT_EUlibE_EEviT1_.has_dyn_sized_stack, 0
	.set _ZN2at6native32elementwise_kernel_manual_unrollILi128ELi4EZNS0_15gpu_kernel_implINS0_13AUnaryFunctorIiibNS0_12_GLOBAL__N_116CompareEqFunctorIiEEEEEEvRNS_18TensorIteratorBaseERKT_EUlibE_EEviT1_.has_recursion, 0
	.set _ZN2at6native32elementwise_kernel_manual_unrollILi128ELi4EZNS0_15gpu_kernel_implINS0_13AUnaryFunctorIiibNS0_12_GLOBAL__N_116CompareEqFunctorIiEEEEEEvRNS_18TensorIteratorBaseERKT_EUlibE_EEviT1_.has_indirect_call, 0
	.section	.AMDGPU.csdata,"",@progbits
; Kernel info:
; codeLenInByte = 34140
; TotalNumSgprs: 32
; NumVgprs: 12
; ScratchSize: 0
; MemoryBound: 1
; FloatMode: 240
; IeeeMode: 1
; LDSByteSize: 0 bytes/workgroup (compile time only)
; SGPRBlocks: 0
; VGPRBlocks: 0
; NumSGPRsForWavesPerEU: 32
; NumVGPRsForWavesPerEU: 12
; NamedBarCnt: 0
; Occupancy: 16
; WaveLimiterHint : 0
; COMPUTE_PGM_RSRC2:SCRATCH_EN: 0
; COMPUTE_PGM_RSRC2:USER_SGPR: 2
; COMPUTE_PGM_RSRC2:TRAP_HANDLER: 0
; COMPUTE_PGM_RSRC2:TGID_X_EN: 1
; COMPUTE_PGM_RSRC2:TGID_Y_EN: 0
; COMPUTE_PGM_RSRC2:TGID_Z_EN: 0
; COMPUTE_PGM_RSRC2:TIDIG_COMP_CNT: 0
	.section	.text._ZN2at6native32elementwise_kernel_manual_unrollILi128ELi4EZNS0_15gpu_kernel_implINS0_13AUnaryFunctorIiibNS0_12_GLOBAL__N_116CompareEqFunctorIiEEEEEEvRNS_18TensorIteratorBaseERKT_EUlibE0_EEviT1_,"axG",@progbits,_ZN2at6native32elementwise_kernel_manual_unrollILi128ELi4EZNS0_15gpu_kernel_implINS0_13AUnaryFunctorIiibNS0_12_GLOBAL__N_116CompareEqFunctorIiEEEEEEvRNS_18TensorIteratorBaseERKT_EUlibE0_EEviT1_,comdat
	.globl	_ZN2at6native32elementwise_kernel_manual_unrollILi128ELi4EZNS0_15gpu_kernel_implINS0_13AUnaryFunctorIiibNS0_12_GLOBAL__N_116CompareEqFunctorIiEEEEEEvRNS_18TensorIteratorBaseERKT_EUlibE0_EEviT1_ ; -- Begin function _ZN2at6native32elementwise_kernel_manual_unrollILi128ELi4EZNS0_15gpu_kernel_implINS0_13AUnaryFunctorIiibNS0_12_GLOBAL__N_116CompareEqFunctorIiEEEEEEvRNS_18TensorIteratorBaseERKT_EUlibE0_EEviT1_
	.p2align	8
	.type	_ZN2at6native32elementwise_kernel_manual_unrollILi128ELi4EZNS0_15gpu_kernel_implINS0_13AUnaryFunctorIiibNS0_12_GLOBAL__N_116CompareEqFunctorIiEEEEEEvRNS_18TensorIteratorBaseERKT_EUlibE0_EEviT1_,@function
_ZN2at6native32elementwise_kernel_manual_unrollILi128ELi4EZNS0_15gpu_kernel_implINS0_13AUnaryFunctorIiibNS0_12_GLOBAL__N_116CompareEqFunctorIiEEEEEEvRNS_18TensorIteratorBaseERKT_EUlibE0_EEviT1_: ; @_ZN2at6native32elementwise_kernel_manual_unrollILi128ELi4EZNS0_15gpu_kernel_implINS0_13AUnaryFunctorIiibNS0_12_GLOBAL__N_116CompareEqFunctorIiEEEEEEvRNS_18TensorIteratorBaseERKT_EUlibE0_EEviT1_
; %bb.0:
	s_clause 0x1
	s_load_b32 s33, s[0:1], 0x8
	s_load_b32 s39, s[0:1], 0x0
	s_bfe_u32 s2, ttmp6, 0x4000c
	s_and_b32 s3, ttmp6, 15
	s_add_co_i32 s2, s2, 1
	s_getreg_b32 s4, hwreg(HW_REG_IB_STS2, 6, 4)
	s_mul_i32 s2, ttmp9, s2
	s_mov_b32 s26, -1
	s_add_co_i32 s3, s3, s2
	s_cmp_eq_u32 s4, 0
	s_add_nc_u64 s[16:17], s[0:1], 8
	s_cselect_b32 s2, ttmp9, s3
	s_mov_b32 s3, 0
	v_lshl_or_b32 v0, s2, 9, v0
	s_mov_b32 s8, 0
	s_wait_xcnt 0x0
	s_mov_b32 s0, exec_lo
	s_delay_alu instid0(VALU_DEP_1) | instskip(SKIP_2) | instid1(SALU_CYCLE_1)
	v_or_b32_e32 v9, 0x180, v0
	s_wait_kmcnt 0x0
	s_add_co_i32 s34, s33, -1
	s_cmp_gt_u32 s34, 1
	s_cselect_b32 s35, -1, 0
	v_cmpx_le_i32_e64 s39, v9
	s_xor_b32 s36, exec_lo, s0
	s_cbranch_execz .LBB47_1080
; %bb.1:
	s_clause 0x4
	s_load_b128 s[8:11], s[16:17], 0x4
	s_load_b96 s[0:2], s[16:17], 0x158
	s_load_b64 s[20:21], s[16:17], 0x14
	s_load_b128 s[12:15], s[16:17], 0xc4
	s_load_b128 s[4:7], s[16:17], 0x148
	s_cmp_lg_u32 s33, 0
	s_mov_b32 s19, 0
	s_cselect_b32 s41, -1, 0
	s_min_u32 s40, s34, 15
	s_cmp_gt_u32 s33, 1
	s_add_nc_u64 s[24:25], s[16:17], 0xc4
	s_cselect_b32 s38, -1, 0
	s_mov_b32 s23, s19
	s_mov_b32 s42, s19
	s_mov_b32 s43, exec_lo
	s_wait_kmcnt 0x0
	s_mov_b32 s18, s9
	s_bfe_u32 s37, s2, 0x80008
	s_cmp_eq_u32 s0, 0
	s_mov_b32 s22, s20
	s_cselect_b32 s9, -1, 0
	s_mov_b32 s20, s19
	v_cmpx_gt_i32_e64 s39, v0
	s_cbranch_execz .LBB47_263
; %bb.2:
	s_and_not1_b32 vcc_lo, exec_lo, s35
	s_cbranch_vccnz .LBB47_8
; %bb.3:
	s_and_not1_b32 vcc_lo, exec_lo, s41
	s_cbranch_vccnz .LBB47_9
; %bb.4:
	s_add_co_i32 s0, s40, 1
	s_cmp_eq_u32 s34, 2
	s_cbranch_scc1 .LBB47_10
; %bb.5:
	v_dual_mov_b32 v2, 0 :: v_dual_mov_b32 v4, 0
	v_mov_b32_e32 v1, v0
	s_and_b32 s26, s0, 28
	s_mov_b32 s20, 0
	s_mov_b64 s[28:29], s[16:17]
	s_mov_b64 s[30:31], s[24:25]
.LBB47_6:                               ; =>This Inner Loop Header: Depth=1
	s_clause 0x1
	s_load_b256 s[44:51], s[28:29], 0x4
	s_load_b128 s[60:63], s[28:29], 0x24
	s_load_b256 s[52:59], s[30:31], 0x0
	s_add_co_i32 s20, s20, 4
	s_wait_xcnt 0x0
	s_add_nc_u64 s[28:29], s[28:29], 48
	s_cmp_lg_u32 s26, s20
	s_add_nc_u64 s[30:31], s[30:31], 32
	s_wait_kmcnt 0x0
	v_mul_hi_u32 v3, s45, v1
	s_delay_alu instid0(VALU_DEP_1) | instskip(NEXT) | instid1(VALU_DEP_1)
	v_add_nc_u32_e32 v3, v1, v3
	v_lshrrev_b32_e32 v3, s46, v3
	s_delay_alu instid0(VALU_DEP_1) | instskip(NEXT) | instid1(VALU_DEP_1)
	v_mul_hi_u32 v5, s48, v3
	v_add_nc_u32_e32 v5, v3, v5
	s_delay_alu instid0(VALU_DEP_1) | instskip(NEXT) | instid1(VALU_DEP_1)
	v_lshrrev_b32_e32 v5, s49, v5
	v_mul_hi_u32 v6, s51, v5
	s_delay_alu instid0(VALU_DEP_1) | instskip(SKIP_1) | instid1(VALU_DEP_1)
	v_add_nc_u32_e32 v6, v5, v6
	v_mul_lo_u32 v7, v3, s44
	v_sub_nc_u32_e32 v1, v1, v7
	v_mul_lo_u32 v7, v5, s47
	s_delay_alu instid0(VALU_DEP_4) | instskip(NEXT) | instid1(VALU_DEP_3)
	v_lshrrev_b32_e32 v6, s60, v6
	v_mad_u32 v4, v1, s53, v4
	v_mad_u32 v1, v1, s52, v2
	s_delay_alu instid0(VALU_DEP_4) | instskip(NEXT) | instid1(VALU_DEP_4)
	v_sub_nc_u32_e32 v2, v3, v7
	v_mul_hi_u32 v8, s62, v6
	v_mul_lo_u32 v3, v6, s50
	s_delay_alu instid0(VALU_DEP_3) | instskip(SKIP_1) | instid1(VALU_DEP_3)
	v_mad_u32 v4, v2, s55, v4
	v_mad_u32 v2, v2, s54, v1
	v_dual_add_nc_u32 v7, v6, v8 :: v_dual_sub_nc_u32 v3, v5, v3
	s_delay_alu instid0(VALU_DEP_1) | instskip(NEXT) | instid1(VALU_DEP_2)
	v_lshrrev_b32_e32 v1, s63, v7
	v_mad_u32 v4, v3, s57, v4
	s_delay_alu instid0(VALU_DEP_4) | instskip(NEXT) | instid1(VALU_DEP_3)
	v_mad_u32 v2, v3, s56, v2
	v_mul_lo_u32 v5, v1, s61
	s_delay_alu instid0(VALU_DEP_1) | instskip(NEXT) | instid1(VALU_DEP_1)
	v_sub_nc_u32_e32 v3, v6, v5
	v_mad_u32 v4, v3, s59, v4
	s_delay_alu instid0(VALU_DEP_4)
	v_mad_u32 v2, v3, s58, v2
	s_cbranch_scc1 .LBB47_6
; %bb.7:
	s_delay_alu instid0(VALU_DEP_2)
	v_mov_b32_e32 v3, v4
	s_and_b32 s0, s0, 3
	s_mov_b32 s27, 0
	s_cmp_eq_u32 s0, 0
	s_cbranch_scc0 .LBB47_11
	s_branch .LBB47_14
.LBB47_8:
                                        ; implicit-def: $vgpr4
                                        ; implicit-def: $vgpr2
	s_branch .LBB47_15
.LBB47_9:
	v_dual_mov_b32 v4, 0 :: v_dual_mov_b32 v2, 0
	s_branch .LBB47_14
.LBB47_10:
	v_mov_b64_e32 v[2:3], 0
	v_mov_b32_e32 v1, v0
	s_mov_b32 s26, 0
                                        ; implicit-def: $vgpr4
	s_and_b32 s0, s0, 3
	s_mov_b32 s27, 0
	s_cmp_eq_u32 s0, 0
	s_cbranch_scc1 .LBB47_14
.LBB47_11:
	s_lshl_b32 s28, s26, 3
	s_mov_b32 s29, s27
	s_mul_u64 s[30:31], s[26:27], 12
	s_add_nc_u64 s[28:29], s[16:17], s[28:29]
	s_delay_alu instid0(SALU_CYCLE_1)
	s_add_nc_u64 s[26:27], s[28:29], 0xc4
	s_add_nc_u64 s[28:29], s[16:17], s[30:31]
.LBB47_12:                              ; =>This Inner Loop Header: Depth=1
	s_load_b96 s[44:46], s[28:29], 0x4
	s_load_b64 s[30:31], s[26:27], 0x0
	s_add_co_i32 s0, s0, -1
	s_wait_xcnt 0x0
	s_add_nc_u64 s[28:29], s[28:29], 12
	s_cmp_lg_u32 s0, 0
	s_add_nc_u64 s[26:27], s[26:27], 8
	s_wait_kmcnt 0x0
	v_mul_hi_u32 v4, s45, v1
	s_delay_alu instid0(VALU_DEP_1) | instskip(NEXT) | instid1(VALU_DEP_1)
	v_add_nc_u32_e32 v4, v1, v4
	v_lshrrev_b32_e32 v4, s46, v4
	s_delay_alu instid0(VALU_DEP_1) | instskip(NEXT) | instid1(VALU_DEP_1)
	v_mul_lo_u32 v5, v4, s44
	v_sub_nc_u32_e32 v1, v1, v5
	s_delay_alu instid0(VALU_DEP_1)
	v_mad_u32 v3, v1, s31, v3
	v_mad_u32 v2, v1, s30, v2
	v_mov_b32_e32 v1, v4
	s_cbranch_scc1 .LBB47_12
; %bb.13:
	s_delay_alu instid0(VALU_DEP_3)
	v_mov_b32_e32 v4, v3
.LBB47_14:
	s_cbranch_execnz .LBB47_17
.LBB47_15:
	v_mov_b32_e32 v1, 0
	s_and_not1_b32 vcc_lo, exec_lo, s38
	s_delay_alu instid0(VALU_DEP_1) | instskip(NEXT) | instid1(VALU_DEP_1)
	v_mul_u64_e32 v[2:3], s[18:19], v[0:1]
	v_add_nc_u32_e32 v2, v0, v3
	s_delay_alu instid0(VALU_DEP_1) | instskip(NEXT) | instid1(VALU_DEP_1)
	v_lshrrev_b32_e32 v6, s10, v2
	v_mul_lo_u32 v2, v6, s8
	s_delay_alu instid0(VALU_DEP_1) | instskip(NEXT) | instid1(VALU_DEP_1)
	v_sub_nc_u32_e32 v2, v0, v2
	v_mul_lo_u32 v4, v2, s13
	v_mul_lo_u32 v2, v2, s12
	s_cbranch_vccnz .LBB47_17
; %bb.16:
	v_mov_b32_e32 v7, v1
	s_delay_alu instid0(VALU_DEP_1) | instskip(NEXT) | instid1(VALU_DEP_1)
	v_mul_u64_e32 v[8:9], s[22:23], v[6:7]
	v_add_nc_u32_e32 v1, v6, v9
	s_delay_alu instid0(VALU_DEP_1) | instskip(NEXT) | instid1(VALU_DEP_1)
	v_lshrrev_b32_e32 v1, s21, v1
	v_mul_lo_u32 v1, v1, s11
	s_delay_alu instid0(VALU_DEP_1) | instskip(NEXT) | instid1(VALU_DEP_1)
	v_sub_nc_u32_e32 v1, v6, v1
	v_mad_u32 v2, v1, s14, v2
	v_mad_u32 v4, v1, s15, v4
.LBB47_17:
	v_mov_b32_e32 v5, 0
	s_and_b32 s0, 0xffff, s37
	s_delay_alu instid0(SALU_CYCLE_1) | instskip(NEXT) | instid1(VALU_DEP_1)
	s_cmp_lt_i32 s0, 11
	v_add_nc_u64_e32 v[4:5], s[6:7], v[4:5]
	s_cbranch_scc1 .LBB47_24
; %bb.18:
	s_cmp_gt_i32 s0, 25
	s_cbranch_scc0 .LBB47_33
; %bb.19:
	s_cmp_gt_i32 s0, 28
	s_cbranch_scc0 .LBB47_36
	;; [unrolled: 3-line block ×4, first 2 shown]
; %bb.22:
	s_cmp_eq_u32 s0, 46
	s_mov_b32 s27, 0
	s_cbranch_scc0 .LBB47_42
; %bb.23:
	global_load_b32 v1, v[4:5], off
	s_mov_b32 s20, -1
	s_mov_b32 s26, 0
	s_wait_loadcnt 0x0
	v_lshlrev_b32_e32 v1, 16, v1
	s_delay_alu instid0(VALU_DEP_1)
	v_cvt_i32_f32_e32 v1, v1
	s_branch .LBB47_44
.LBB47_24:
	s_mov_b32 s26, 0
	s_mov_b32 s20, 0
                                        ; implicit-def: $vgpr1
	s_cbranch_execnz .LBB47_213
.LBB47_25:
	s_and_not1_b32 vcc_lo, exec_lo, s20
	s_cbranch_vccnz .LBB47_260
.LBB47_26:
	v_mov_b32_e32 v3, 0
	s_wait_loadcnt 0x0
	s_delay_alu instid0(VALU_DEP_2) | instskip(SKIP_1) | instid1(VALU_DEP_2)
	v_cmp_ne_u32_e32 vcc_lo, s1, v1
	s_and_b32 s27, s2, 0xff
	v_add_nc_u64_e32 v[2:3], s[4:5], v[2:3]
	s_xor_b32 s20, s9, vcc_lo
	s_cmp_lt_i32 s27, 11
	s_cbranch_scc1 .LBB47_34
; %bb.27:
	s_and_b32 s28, 0xffff, s27
	s_delay_alu instid0(SALU_CYCLE_1)
	s_cmp_gt_i32 s28, 25
	s_cbranch_scc0 .LBB47_37
; %bb.28:
	s_cmp_gt_i32 s28, 28
	s_cbranch_scc0 .LBB47_39
; %bb.29:
	;; [unrolled: 3-line block ×4, first 2 shown]
	s_mov_b32 s30, 0
	s_mov_b32 s0, -1
	s_cmp_eq_u32 s28, 46
	s_mov_b32 s29, 0
	s_cbranch_scc0 .LBB47_48
; %bb.32:
	v_cndmask_b32_e64 v1, 0, 1.0, s20
	s_mov_b32 s29, -1
	s_mov_b32 s0, 0
	s_delay_alu instid0(VALU_DEP_1) | instskip(NEXT) | instid1(VALU_DEP_1)
	v_bfe_u32 v4, v1, 16, 1
	v_add3_u32 v1, v1, v4, 0x7fff
	s_delay_alu instid0(VALU_DEP_1)
	v_lshrrev_b32_e32 v1, 16, v1
	global_store_b32 v[2:3], v1, off
	s_branch .LBB47_48
.LBB47_33:
	s_mov_b32 s26, 0
	s_mov_b32 s20, 0
                                        ; implicit-def: $vgpr1
	s_cbranch_execnz .LBB47_180
	s_branch .LBB47_212
.LBB47_34:
	s_mov_b32 s0, 0
	s_mov_b32 s29, 0
	s_cbranch_execnz .LBB47_117
.LBB47_35:
	s_and_not1_b32 vcc_lo, exec_lo, s29
	s_cbranch_vccz .LBB47_155
	s_branch .LBB47_261
.LBB47_36:
	s_mov_b32 s27, -1
	s_mov_b32 s26, 0
	s_mov_b32 s20, 0
                                        ; implicit-def: $vgpr1
	s_branch .LBB47_163
.LBB47_37:
	s_mov_b32 s30, -1
	s_mov_b32 s0, 0
	s_mov_b32 s29, 0
	s_branch .LBB47_75
.LBB47_38:
	s_mov_b32 s27, -1
	s_mov_b32 s26, 0
	s_mov_b32 s20, 0
                                        ; implicit-def: $vgpr1
	s_branch .LBB47_158
.LBB47_39:
	s_mov_b32 s30, -1
	s_mov_b32 s0, 0
	s_mov_b32 s29, 0
	s_branch .LBB47_58
.LBB47_40:
	s_mov_b32 s27, -1
	s_mov_b32 s26, 0
	s_branch .LBB47_43
.LBB47_41:
	s_mov_b32 s30, -1
	s_mov_b32 s0, 0
	s_mov_b32 s29, 0
	s_branch .LBB47_54
.LBB47_42:
	s_mov_b32 s26, -1
.LBB47_43:
	s_mov_b32 s20, 0
                                        ; implicit-def: $vgpr1
.LBB47_44:
	s_and_b32 vcc_lo, exec_lo, s27
	s_cbranch_vccz .LBB47_157
; %bb.45:
	s_cmp_eq_u32 s0, 44
	s_cbranch_scc0 .LBB47_156
; %bb.46:
	global_load_u8 v1, v[4:5], off
	s_mov_b32 s26, 0
	s_mov_b32 s20, -1
	s_wait_loadcnt 0x0
	v_lshlrev_b32_e32 v3, 23, v1
	v_cmp_ne_u32_e32 vcc_lo, 0, v1
	s_delay_alu instid0(VALU_DEP_2) | instskip(NEXT) | instid1(VALU_DEP_1)
	v_cvt_i32_f32_e32 v3, v3
	v_cndmask_b32_e32 v1, 0, v3, vcc_lo
	s_branch .LBB47_157
.LBB47_47:
	s_mov_b32 s30, -1
	s_mov_b32 s0, 0
	s_mov_b32 s29, 0
.LBB47_48:
	s_and_b32 vcc_lo, exec_lo, s30
	s_cbranch_vccz .LBB47_53
; %bb.49:
	s_cmp_eq_u32 s28, 44
	s_mov_b32 s0, -1
	s_cbranch_scc0 .LBB47_53
; %bb.50:
	v_cndmask_b32_e64 v5, 0, 1.0, s20
	s_mov_b32 s29, exec_lo
	s_wait_xcnt 0x0
	s_delay_alu instid0(VALU_DEP_1) | instskip(NEXT) | instid1(VALU_DEP_1)
	v_dual_mov_b32 v4, 0xff :: v_dual_lshrrev_b32 v1, 23, v5
	v_cmpx_ne_u32_e32 0xff, v1
; %bb.51:
	v_and_b32_e32 v4, 0x400000, v5
	v_and_or_b32 v5, 0x3fffff, v5, v1
	s_delay_alu instid0(VALU_DEP_2) | instskip(NEXT) | instid1(VALU_DEP_2)
	v_cmp_ne_u32_e32 vcc_lo, 0, v4
	v_cmp_ne_u32_e64 s0, 0, v5
	s_and_b32 s0, vcc_lo, s0
	s_delay_alu instid0(SALU_CYCLE_1) | instskip(NEXT) | instid1(VALU_DEP_1)
	v_cndmask_b32_e64 v4, 0, 1, s0
	v_add_nc_u32_e32 v4, v1, v4
; %bb.52:
	s_or_b32 exec_lo, exec_lo, s29
	s_mov_b32 s29, -1
	s_mov_b32 s0, 0
	global_store_b8 v[2:3], v4, off
.LBB47_53:
	s_mov_b32 s30, 0
.LBB47_54:
	s_delay_alu instid0(SALU_CYCLE_1)
	s_and_b32 vcc_lo, exec_lo, s30
	s_cbranch_vccz .LBB47_57
; %bb.55:
	s_cmp_eq_u32 s28, 29
	s_mov_b32 s0, -1
	s_cbranch_scc0 .LBB47_57
; %bb.56:
	s_mov_b32 s0, 0
	s_wait_xcnt 0x0
	v_cndmask_b32_e64 v4, 0, 1, s20
	v_mov_b32_e32 v5, s0
	s_mov_b32 s29, -1
	s_mov_b32 s30, 0
	global_store_b64 v[2:3], v[4:5], off
	s_branch .LBB47_58
.LBB47_57:
	s_mov_b32 s30, 0
.LBB47_58:
	s_delay_alu instid0(SALU_CYCLE_1)
	s_and_b32 vcc_lo, exec_lo, s30
	s_cbranch_vccz .LBB47_74
; %bb.59:
	s_cmp_lt_i32 s28, 27
	s_mov_b32 s29, -1
	s_cbranch_scc1 .LBB47_65
; %bb.60:
	s_cmp_gt_i32 s28, 27
	s_cbranch_scc0 .LBB47_62
; %bb.61:
	s_wait_xcnt 0x0
	v_cndmask_b32_e64 v1, 0, 1, s20
	s_mov_b32 s29, 0
	global_store_b32 v[2:3], v1, off
.LBB47_62:
	s_and_not1_b32 vcc_lo, exec_lo, s29
	s_cbranch_vccnz .LBB47_64
; %bb.63:
	s_wait_xcnt 0x0
	v_cndmask_b32_e64 v1, 0, 1, s20
	global_store_b16 v[2:3], v1, off
.LBB47_64:
	s_mov_b32 s29, 0
.LBB47_65:
	s_delay_alu instid0(SALU_CYCLE_1)
	s_and_not1_b32 vcc_lo, exec_lo, s29
	s_cbranch_vccnz .LBB47_73
; %bb.66:
	s_wait_xcnt 0x0
	v_cndmask_b32_e64 v4, 0, 1.0, s20
	v_mov_b32_e32 v5, 0x80
	s_mov_b32 s29, exec_lo
	s_delay_alu instid0(VALU_DEP_2)
	v_cmpx_gt_u32_e32 0x43800000, v4
	s_cbranch_execz .LBB47_72
; %bb.67:
	s_mov_b32 s30, 0
	s_mov_b32 s31, exec_lo
                                        ; implicit-def: $vgpr1
	v_cmpx_lt_u32_e32 0x3bffffff, v4
	s_xor_b32 s31, exec_lo, s31
	s_cbranch_execz .LBB47_306
; %bb.68:
	v_bfe_u32 v1, v4, 20, 1
	s_mov_b32 s30, exec_lo
	s_delay_alu instid0(VALU_DEP_1) | instskip(NEXT) | instid1(VALU_DEP_1)
	v_add3_u32 v1, v4, v1, 0x487ffff
                                        ; implicit-def: $vgpr4
	v_lshrrev_b32_e32 v1, 20, v1
	s_and_not1_saveexec_b32 s31, s31
	s_cbranch_execnz .LBB47_307
.LBB47_69:
	s_or_b32 exec_lo, exec_lo, s31
	v_mov_b32_e32 v5, 0
	s_and_saveexec_b32 s31, s30
.LBB47_70:
	v_mov_b32_e32 v5, v1
.LBB47_71:
	s_or_b32 exec_lo, exec_lo, s31
.LBB47_72:
	s_delay_alu instid0(SALU_CYCLE_1)
	s_or_b32 exec_lo, exec_lo, s29
	global_store_b8 v[2:3], v5, off
.LBB47_73:
	s_mov_b32 s29, -1
.LBB47_74:
	s_mov_b32 s30, 0
.LBB47_75:
	s_delay_alu instid0(SALU_CYCLE_1)
	s_and_b32 vcc_lo, exec_lo, s30
	s_cbranch_vccz .LBB47_116
; %bb.76:
	s_cmp_gt_i32 s28, 22
	s_mov_b32 s30, -1
	s_cbranch_scc0 .LBB47_108
; %bb.77:
	s_cmp_lt_i32 s28, 24
	s_mov_b32 s29, -1
	s_cbranch_scc1 .LBB47_97
; %bb.78:
	s_cmp_gt_i32 s28, 24
	s_cbranch_scc0 .LBB47_86
; %bb.79:
	s_wait_xcnt 0x0
	v_cndmask_b32_e64 v4, 0, 1.0, s20
	v_mov_b32_e32 v5, 0x80
	s_mov_b32 s29, exec_lo
	s_delay_alu instid0(VALU_DEP_2)
	v_cmpx_gt_u32_e32 0x47800000, v4
	s_cbranch_execz .LBB47_85
; %bb.80:
	s_mov_b32 s30, 0
	s_mov_b32 s31, exec_lo
                                        ; implicit-def: $vgpr1
	v_cmpx_lt_u32_e32 0x37ffffff, v4
	s_xor_b32 s31, exec_lo, s31
	s_cbranch_execz .LBB47_310
; %bb.81:
	v_bfe_u32 v1, v4, 21, 1
	s_mov_b32 s30, exec_lo
	s_delay_alu instid0(VALU_DEP_1) | instskip(NEXT) | instid1(VALU_DEP_1)
	v_add3_u32 v1, v4, v1, 0x88fffff
                                        ; implicit-def: $vgpr4
	v_lshrrev_b32_e32 v1, 21, v1
	s_and_not1_saveexec_b32 s31, s31
	s_cbranch_execnz .LBB47_311
.LBB47_82:
	s_or_b32 exec_lo, exec_lo, s31
	v_mov_b32_e32 v5, 0
	s_and_saveexec_b32 s31, s30
.LBB47_83:
	v_mov_b32_e32 v5, v1
.LBB47_84:
	s_or_b32 exec_lo, exec_lo, s31
.LBB47_85:
	s_delay_alu instid0(SALU_CYCLE_1)
	s_or_b32 exec_lo, exec_lo, s29
	s_mov_b32 s29, 0
	global_store_b8 v[2:3], v5, off
.LBB47_86:
	s_and_b32 vcc_lo, exec_lo, s29
	s_cbranch_vccz .LBB47_96
; %bb.87:
	s_wait_xcnt 0x0
	v_cndmask_b32_e64 v4, 0, 1.0, s20
	s_mov_b32 s29, exec_lo
                                        ; implicit-def: $vgpr1
	s_delay_alu instid0(VALU_DEP_1)
	v_cmpx_gt_u32_e32 0x43f00000, v4
	s_xor_b32 s29, exec_lo, s29
	s_cbranch_execz .LBB47_93
; %bb.88:
	s_mov_b32 s30, exec_lo
                                        ; implicit-def: $vgpr1
	v_cmpx_lt_u32_e32 0x3c7fffff, v4
	s_xor_b32 s30, exec_lo, s30
; %bb.89:
	v_bfe_u32 v1, v4, 20, 1
	s_delay_alu instid0(VALU_DEP_1) | instskip(NEXT) | instid1(VALU_DEP_1)
	v_add3_u32 v1, v4, v1, 0x407ffff
	v_and_b32_e32 v4, 0xff00000, v1
	v_lshrrev_b32_e32 v1, 20, v1
	s_delay_alu instid0(VALU_DEP_2) | instskip(NEXT) | instid1(VALU_DEP_2)
	v_cmp_ne_u32_e32 vcc_lo, 0x7f00000, v4
                                        ; implicit-def: $vgpr4
	v_cndmask_b32_e32 v1, 0x7e, v1, vcc_lo
; %bb.90:
	s_and_not1_saveexec_b32 s30, s30
; %bb.91:
	v_add_f32_e32 v1, 0x46800000, v4
; %bb.92:
	s_or_b32 exec_lo, exec_lo, s30
                                        ; implicit-def: $vgpr4
.LBB47_93:
	s_and_not1_saveexec_b32 s29, s29
; %bb.94:
	v_mov_b32_e32 v1, 0x7f
	v_cmp_lt_u32_e32 vcc_lo, 0x7f800000, v4
	s_delay_alu instid0(VALU_DEP_2)
	v_cndmask_b32_e32 v1, 0x7e, v1, vcc_lo
; %bb.95:
	s_or_b32 exec_lo, exec_lo, s29
	global_store_b8 v[2:3], v1, off
.LBB47_96:
	s_mov_b32 s29, 0
.LBB47_97:
	s_delay_alu instid0(SALU_CYCLE_1)
	s_and_not1_b32 vcc_lo, exec_lo, s29
	s_cbranch_vccnz .LBB47_107
; %bb.98:
	s_wait_xcnt 0x0
	v_cndmask_b32_e64 v4, 0, 1.0, s20
	s_mov_b32 s29, exec_lo
                                        ; implicit-def: $vgpr1
	s_delay_alu instid0(VALU_DEP_1)
	v_cmpx_gt_u32_e32 0x47800000, v4
	s_xor_b32 s29, exec_lo, s29
	s_cbranch_execz .LBB47_104
; %bb.99:
	s_mov_b32 s30, exec_lo
                                        ; implicit-def: $vgpr1
	v_cmpx_lt_u32_e32 0x387fffff, v4
	s_xor_b32 s30, exec_lo, s30
; %bb.100:
	v_bfe_u32 v1, v4, 21, 1
	s_delay_alu instid0(VALU_DEP_1) | instskip(NEXT) | instid1(VALU_DEP_1)
	v_add3_u32 v1, v4, v1, 0x80fffff
                                        ; implicit-def: $vgpr4
	v_lshrrev_b32_e32 v1, 21, v1
; %bb.101:
	s_and_not1_saveexec_b32 s30, s30
; %bb.102:
	v_add_f32_e32 v1, 0x43000000, v4
; %bb.103:
	s_or_b32 exec_lo, exec_lo, s30
                                        ; implicit-def: $vgpr4
.LBB47_104:
	s_and_not1_saveexec_b32 s29, s29
; %bb.105:
	v_mov_b32_e32 v1, 0x7f
	v_cmp_lt_u32_e32 vcc_lo, 0x7f800000, v4
	s_delay_alu instid0(VALU_DEP_2)
	v_cndmask_b32_e32 v1, 0x7c, v1, vcc_lo
; %bb.106:
	s_or_b32 exec_lo, exec_lo, s29
	global_store_b8 v[2:3], v1, off
.LBB47_107:
	s_mov_b32 s30, 0
	s_mov_b32 s29, -1
.LBB47_108:
	s_and_not1_b32 vcc_lo, exec_lo, s30
	s_cbranch_vccnz .LBB47_116
; %bb.109:
	s_cmp_gt_i32 s28, 14
	s_mov_b32 s30, -1
	s_cbranch_scc0 .LBB47_113
; %bb.110:
	s_cmp_eq_u32 s28, 15
	s_mov_b32 s0, -1
	s_cbranch_scc0 .LBB47_112
; %bb.111:
	s_wait_xcnt 0x0
	v_cndmask_b32_e64 v1, 0, 1.0, s20
	s_mov_b32 s29, -1
	s_mov_b32 s0, 0
	s_delay_alu instid0(VALU_DEP_1) | instskip(NEXT) | instid1(VALU_DEP_1)
	v_bfe_u32 v4, v1, 16, 1
	v_add3_u32 v1, v1, v4, 0x7fff
	global_store_d16_hi_b16 v[2:3], v1, off
.LBB47_112:
	s_mov_b32 s30, 0
.LBB47_113:
	s_delay_alu instid0(SALU_CYCLE_1)
	s_and_b32 vcc_lo, exec_lo, s30
	s_cbranch_vccz .LBB47_116
; %bb.114:
	s_cmp_eq_u32 s28, 11
	s_mov_b32 s0, -1
	s_cbranch_scc0 .LBB47_116
; %bb.115:
	s_wait_xcnt 0x0
	v_cndmask_b32_e64 v1, 0, 1, s20
	s_mov_b32 s29, -1
	s_mov_b32 s0, 0
	global_store_b8 v[2:3], v1, off
.LBB47_116:
	s_branch .LBB47_35
.LBB47_117:
	s_and_b32 s27, 0xffff, s27
	s_mov_b32 s28, -1
	s_cmp_lt_i32 s27, 5
	s_cbranch_scc1 .LBB47_138
; %bb.118:
	s_cmp_lt_i32 s27, 8
	s_cbranch_scc1 .LBB47_128
; %bb.119:
	;; [unrolled: 3-line block ×3, first 2 shown]
	s_cmp_gt_i32 s27, 9
	s_cbranch_scc0 .LBB47_122
; %bb.121:
	s_wait_xcnt 0x0
	v_cndmask_b32_e64 v1, 0, 1, s20
	v_mov_b32_e32 v6, 0
	s_mov_b32 s28, 0
	s_delay_alu instid0(VALU_DEP_2) | instskip(NEXT) | instid1(VALU_DEP_2)
	v_cvt_f64_u32_e32 v[4:5], v1
	v_mov_b32_e32 v7, v6
	global_store_b128 v[2:3], v[4:7], off
.LBB47_122:
	s_and_not1_b32 vcc_lo, exec_lo, s28
	s_cbranch_vccnz .LBB47_124
; %bb.123:
	s_wait_xcnt 0x0
	v_cndmask_b32_e64 v4, 0, 1.0, s20
	v_mov_b32_e32 v5, 0
	global_store_b64 v[2:3], v[4:5], off
.LBB47_124:
	s_mov_b32 s28, 0
.LBB47_125:
	s_delay_alu instid0(SALU_CYCLE_1)
	s_and_not1_b32 vcc_lo, exec_lo, s28
	s_cbranch_vccnz .LBB47_127
; %bb.126:
	s_wait_xcnt 0x0
	v_cndmask_b32_e64 v1, 0, 1.0, s20
	s_delay_alu instid0(VALU_DEP_1) | instskip(NEXT) | instid1(VALU_DEP_1)
	v_cvt_f16_f32_e32 v1, v1
	v_and_b32_e32 v1, 0xffff, v1
	global_store_b32 v[2:3], v1, off
.LBB47_127:
	s_mov_b32 s28, 0
.LBB47_128:
	s_delay_alu instid0(SALU_CYCLE_1)
	s_and_not1_b32 vcc_lo, exec_lo, s28
	s_cbranch_vccnz .LBB47_137
; %bb.129:
	s_cmp_lt_i32 s27, 6
	s_mov_b32 s28, -1
	s_cbranch_scc1 .LBB47_135
; %bb.130:
	s_cmp_gt_i32 s27, 6
	s_cbranch_scc0 .LBB47_132
; %bb.131:
	s_wait_xcnt 0x0
	v_cndmask_b32_e64 v1, 0, 1, s20
	s_mov_b32 s28, 0
	s_delay_alu instid0(VALU_DEP_1)
	v_cvt_f64_u32_e32 v[4:5], v1
	global_store_b64 v[2:3], v[4:5], off
.LBB47_132:
	s_and_not1_b32 vcc_lo, exec_lo, s28
	s_cbranch_vccnz .LBB47_134
; %bb.133:
	s_wait_xcnt 0x0
	v_cndmask_b32_e64 v1, 0, 1.0, s20
	global_store_b32 v[2:3], v1, off
.LBB47_134:
	s_mov_b32 s28, 0
.LBB47_135:
	s_delay_alu instid0(SALU_CYCLE_1)
	s_and_not1_b32 vcc_lo, exec_lo, s28
	s_cbranch_vccnz .LBB47_137
; %bb.136:
	s_wait_xcnt 0x0
	v_cndmask_b32_e64 v1, 0, 1.0, s20
	s_delay_alu instid0(VALU_DEP_1)
	v_cvt_f16_f32_e32 v1, v1
	global_store_b16 v[2:3], v1, off
.LBB47_137:
	s_mov_b32 s28, 0
.LBB47_138:
	s_delay_alu instid0(SALU_CYCLE_1)
	s_and_not1_b32 vcc_lo, exec_lo, s28
	s_cbranch_vccnz .LBB47_154
; %bb.139:
	s_cmp_lt_i32 s27, 2
	s_mov_b32 s28, -1
	s_cbranch_scc1 .LBB47_149
; %bb.140:
	s_cmp_lt_i32 s27, 3
	s_cbranch_scc1 .LBB47_146
; %bb.141:
	s_cmp_gt_i32 s27, 3
	s_cbranch_scc0 .LBB47_143
; %bb.142:
	s_mov_b32 s28, 0
	s_wait_xcnt 0x0
	v_cndmask_b32_e64 v4, 0, 1, s20
	v_mov_b32_e32 v5, s28
	global_store_b64 v[2:3], v[4:5], off
.LBB47_143:
	s_and_not1_b32 vcc_lo, exec_lo, s28
	s_cbranch_vccnz .LBB47_145
; %bb.144:
	s_wait_xcnt 0x0
	v_cndmask_b32_e64 v1, 0, 1, s20
	global_store_b32 v[2:3], v1, off
.LBB47_145:
	s_mov_b32 s28, 0
.LBB47_146:
	s_delay_alu instid0(SALU_CYCLE_1)
	s_and_not1_b32 vcc_lo, exec_lo, s28
	s_cbranch_vccnz .LBB47_148
; %bb.147:
	s_wait_xcnt 0x0
	v_cndmask_b32_e64 v1, 0, 1, s20
	global_store_b16 v[2:3], v1, off
.LBB47_148:
	s_mov_b32 s28, 0
.LBB47_149:
	s_delay_alu instid0(SALU_CYCLE_1)
	s_and_not1_b32 vcc_lo, exec_lo, s28
	s_cbranch_vccnz .LBB47_154
; %bb.150:
	s_cmp_gt_i32 s27, 0
	s_mov_b32 s27, -1
	s_cbranch_scc0 .LBB47_152
; %bb.151:
	s_wait_xcnt 0x0
	v_cndmask_b32_e64 v1, 0, 1, s20
	s_mov_b32 s27, 0
	global_store_b8 v[2:3], v1, off
.LBB47_152:
	s_and_not1_b32 vcc_lo, exec_lo, s27
	s_cbranch_vccnz .LBB47_154
; %bb.153:
	s_wait_xcnt 0x0
	v_cndmask_b32_e64 v1, 0, 1, s20
	global_store_b8 v[2:3], v1, off
.LBB47_154:
.LBB47_155:
	v_add_nc_u32_e32 v0, 0x80, v0
	s_mov_b32 s27, -1
	s_branch .LBB47_262
.LBB47_156:
	s_mov_b32 s26, -1
                                        ; implicit-def: $vgpr1
.LBB47_157:
	s_mov_b32 s27, 0
.LBB47_158:
	s_delay_alu instid0(SALU_CYCLE_1)
	s_and_b32 vcc_lo, exec_lo, s27
	s_cbranch_vccz .LBB47_162
; %bb.159:
	s_cmp_eq_u32 s0, 29
	s_cbranch_scc0 .LBB47_161
; %bb.160:
	global_load_b32 v1, v[4:5], off
	s_mov_b32 s20, -1
	s_mov_b32 s26, 0
	s_branch .LBB47_162
.LBB47_161:
	s_mov_b32 s26, -1
                                        ; implicit-def: $vgpr1
.LBB47_162:
	s_mov_b32 s27, 0
.LBB47_163:
	s_delay_alu instid0(SALU_CYCLE_1)
	s_and_b32 vcc_lo, exec_lo, s27
	s_cbranch_vccz .LBB47_179
; %bb.164:
	s_cmp_lt_i32 s0, 27
	s_cbranch_scc1 .LBB47_167
; %bb.165:
	s_cmp_gt_i32 s0, 27
	s_cbranch_scc0 .LBB47_168
; %bb.166:
	s_wait_loadcnt 0x0
	global_load_b32 v1, v[4:5], off
	s_mov_b32 s20, 0
	s_branch .LBB47_169
.LBB47_167:
	s_mov_b32 s20, -1
                                        ; implicit-def: $vgpr1
	s_branch .LBB47_172
.LBB47_168:
	s_mov_b32 s20, -1
                                        ; implicit-def: $vgpr1
.LBB47_169:
	s_delay_alu instid0(SALU_CYCLE_1)
	s_and_not1_b32 vcc_lo, exec_lo, s20
	s_cbranch_vccnz .LBB47_171
; %bb.170:
	s_wait_loadcnt 0x0
	global_load_u16 v1, v[4:5], off
.LBB47_171:
	s_mov_b32 s20, 0
.LBB47_172:
	s_delay_alu instid0(SALU_CYCLE_1)
	s_and_not1_b32 vcc_lo, exec_lo, s20
	s_cbranch_vccnz .LBB47_178
; %bb.173:
	global_load_u8 v3, v[4:5], off
	s_mov_b32 s27, 0
	s_mov_b32 s20, exec_lo
	s_wait_loadcnt 0x0
	v_cmpx_lt_i16_e32 0x7f, v3
	s_xor_b32 s20, exec_lo, s20
	s_cbranch_execz .LBB47_189
; %bb.174:
	v_cmp_ne_u16_e32 vcc_lo, 0x80, v3
	s_and_b32 s27, vcc_lo, exec_lo
	s_and_not1_saveexec_b32 s20, s20
	s_cbranch_execnz .LBB47_190
.LBB47_175:
	s_or_b32 exec_lo, exec_lo, s20
	v_mov_b32_e32 v1, 0
	s_and_saveexec_b32 s20, s27
	s_cbranch_execz .LBB47_177
.LBB47_176:
	v_and_b32_e32 v1, 0xffff, v3
	s_delay_alu instid0(VALU_DEP_1) | instskip(SKIP_1) | instid1(VALU_DEP_2)
	v_and_b32_e32 v6, 7, v1
	v_bfe_u32 v9, v1, 3, 4
	v_clz_i32_u32_e32 v7, v6
	s_delay_alu instid0(VALU_DEP_2) | instskip(NEXT) | instid1(VALU_DEP_2)
	v_cmp_eq_u32_e32 vcc_lo, 0, v9
	v_min_u32_e32 v7, 32, v7
	s_delay_alu instid0(VALU_DEP_1) | instskip(NEXT) | instid1(VALU_DEP_1)
	v_subrev_nc_u32_e32 v8, 28, v7
	v_dual_lshlrev_b32 v1, v8, v1 :: v_dual_sub_nc_u32 v7, 29, v7
	s_delay_alu instid0(VALU_DEP_1) | instskip(NEXT) | instid1(VALU_DEP_1)
	v_dual_lshlrev_b32 v3, 24, v3 :: v_dual_bitop2_b32 v1, 7, v1 bitop3:0x40
	v_dual_cndmask_b32 v1, v6, v1, vcc_lo :: v_dual_cndmask_b32 v7, v9, v7, vcc_lo
	s_delay_alu instid0(VALU_DEP_2) | instskip(NEXT) | instid1(VALU_DEP_2)
	v_and_b32_e32 v3, 0x80000000, v3
	v_lshlrev_b32_e32 v1, 20, v1
	s_delay_alu instid0(VALU_DEP_3) | instskip(NEXT) | instid1(VALU_DEP_1)
	v_lshl_add_u32 v6, v7, 23, 0x3b800000
	v_or3_b32 v1, v3, v6, v1
	s_delay_alu instid0(VALU_DEP_1)
	v_cvt_i32_f32_e32 v1, v1
.LBB47_177:
	s_or_b32 exec_lo, exec_lo, s20
.LBB47_178:
	s_mov_b32 s20, -1
.LBB47_179:
	s_branch .LBB47_212
.LBB47_180:
	s_cmp_gt_i32 s0, 22
	s_cbranch_scc0 .LBB47_188
; %bb.181:
	s_cmp_lt_i32 s0, 24
	s_cbranch_scc1 .LBB47_191
; %bb.182:
	s_cmp_gt_i32 s0, 24
	s_cbranch_scc0 .LBB47_192
; %bb.183:
	global_load_u8 v3, v[4:5], off
	s_mov_b32 s27, 0
	s_mov_b32 s20, exec_lo
	s_wait_loadcnt 0x0
	v_cmpx_lt_i16_e32 0x7f, v3
	s_xor_b32 s20, exec_lo, s20
	s_cbranch_execz .LBB47_204
; %bb.184:
	v_cmp_ne_u16_e32 vcc_lo, 0x80, v3
	s_and_b32 s27, vcc_lo, exec_lo
	s_and_not1_saveexec_b32 s20, s20
	s_cbranch_execnz .LBB47_205
.LBB47_185:
	s_or_b32 exec_lo, exec_lo, s20
	v_mov_b32_e32 v1, 0
	s_and_saveexec_b32 s20, s27
	s_cbranch_execz .LBB47_187
.LBB47_186:
	v_and_b32_e32 v1, 0xffff, v3
	s_delay_alu instid0(VALU_DEP_1) | instskip(SKIP_1) | instid1(VALU_DEP_2)
	v_and_b32_e32 v6, 3, v1
	v_bfe_u32 v9, v1, 2, 5
	v_clz_i32_u32_e32 v7, v6
	s_delay_alu instid0(VALU_DEP_2) | instskip(NEXT) | instid1(VALU_DEP_2)
	v_cmp_eq_u32_e32 vcc_lo, 0, v9
	v_min_u32_e32 v7, 32, v7
	s_delay_alu instid0(VALU_DEP_1) | instskip(NEXT) | instid1(VALU_DEP_1)
	v_subrev_nc_u32_e32 v8, 29, v7
	v_dual_lshlrev_b32 v1, v8, v1 :: v_dual_sub_nc_u32 v7, 30, v7
	s_delay_alu instid0(VALU_DEP_1) | instskip(NEXT) | instid1(VALU_DEP_1)
	v_dual_lshlrev_b32 v3, 24, v3 :: v_dual_bitop2_b32 v1, 3, v1 bitop3:0x40
	v_dual_cndmask_b32 v1, v6, v1, vcc_lo :: v_dual_cndmask_b32 v7, v9, v7, vcc_lo
	s_delay_alu instid0(VALU_DEP_2) | instskip(NEXT) | instid1(VALU_DEP_2)
	v_and_b32_e32 v3, 0x80000000, v3
	v_lshlrev_b32_e32 v1, 21, v1
	s_delay_alu instid0(VALU_DEP_3) | instskip(NEXT) | instid1(VALU_DEP_1)
	v_lshl_add_u32 v6, v7, 23, 0x37800000
	v_or3_b32 v1, v3, v6, v1
	s_delay_alu instid0(VALU_DEP_1)
	v_cvt_i32_f32_e32 v1, v1
.LBB47_187:
	s_or_b32 exec_lo, exec_lo, s20
	s_mov_b32 s20, 0
	s_branch .LBB47_193
.LBB47_188:
	s_mov_b32 s27, -1
                                        ; implicit-def: $vgpr1
	s_branch .LBB47_199
.LBB47_189:
	s_and_not1_saveexec_b32 s20, s20
	s_cbranch_execz .LBB47_175
.LBB47_190:
	v_cmp_ne_u16_e32 vcc_lo, 0, v3
	s_and_not1_b32 s27, s27, exec_lo
	s_and_b32 s28, vcc_lo, exec_lo
	s_delay_alu instid0(SALU_CYCLE_1)
	s_or_b32 s27, s27, s28
	s_or_b32 exec_lo, exec_lo, s20
	v_mov_b32_e32 v1, 0
	s_and_saveexec_b32 s20, s27
	s_cbranch_execnz .LBB47_176
	s_branch .LBB47_177
.LBB47_191:
	s_mov_b32 s20, -1
                                        ; implicit-def: $vgpr1
	s_branch .LBB47_196
.LBB47_192:
	s_mov_b32 s20, -1
                                        ; implicit-def: $vgpr1
.LBB47_193:
	s_delay_alu instid0(SALU_CYCLE_1)
	s_and_b32 vcc_lo, exec_lo, s20
	s_cbranch_vccz .LBB47_195
; %bb.194:
	s_wait_loadcnt 0x0
	global_load_u8 v1, v[4:5], off
	s_wait_loadcnt 0x0
	v_lshlrev_b32_e32 v1, 24, v1
	s_delay_alu instid0(VALU_DEP_1) | instskip(NEXT) | instid1(VALU_DEP_1)
	v_and_b32_e32 v3, 0x7f000000, v1
	v_clz_i32_u32_e32 v6, v3
	v_cmp_ne_u32_e32 vcc_lo, 0, v3
	v_add_nc_u32_e32 v8, 0x1000000, v3
	s_delay_alu instid0(VALU_DEP_3) | instskip(NEXT) | instid1(VALU_DEP_1)
	v_min_u32_e32 v6, 32, v6
	v_sub_nc_u32_e64 v6, v6, 4 clamp
	s_delay_alu instid0(VALU_DEP_1) | instskip(NEXT) | instid1(VALU_DEP_1)
	v_dual_lshlrev_b32 v7, v6, v3 :: v_dual_lshlrev_b32 v6, 23, v6
	v_lshrrev_b32_e32 v7, 4, v7
	s_delay_alu instid0(VALU_DEP_1) | instskip(NEXT) | instid1(VALU_DEP_1)
	v_dual_sub_nc_u32 v6, v7, v6 :: v_dual_ashrrev_i32 v7, 8, v8
	v_add_nc_u32_e32 v6, 0x3c000000, v6
	s_delay_alu instid0(VALU_DEP_1) | instskip(NEXT) | instid1(VALU_DEP_1)
	v_and_or_b32 v6, 0x7f800000, v7, v6
	v_cndmask_b32_e32 v3, 0, v6, vcc_lo
	s_delay_alu instid0(VALU_DEP_1) | instskip(NEXT) | instid1(VALU_DEP_1)
	v_and_or_b32 v1, 0x80000000, v1, v3
	v_cvt_i32_f32_e32 v1, v1
.LBB47_195:
	s_mov_b32 s20, 0
.LBB47_196:
	s_delay_alu instid0(SALU_CYCLE_1)
	s_and_not1_b32 vcc_lo, exec_lo, s20
	s_cbranch_vccnz .LBB47_198
; %bb.197:
	s_wait_loadcnt 0x0
	global_load_u8 v1, v[4:5], off
	s_wait_loadcnt 0x0
	v_lshlrev_b32_e32 v3, 25, v1
	v_lshlrev_b16 v1, 8, v1
	s_delay_alu instid0(VALU_DEP_1) | instskip(SKIP_1) | instid1(VALU_DEP_2)
	v_and_or_b32 v7, 0x7f00, v1, 0.5
	v_bfe_i32 v1, v1, 0, 16
	v_add_f32_e32 v7, -0.5, v7
	v_lshrrev_b32_e32 v6, 4, v3
	v_cmp_gt_u32_e32 vcc_lo, 0x8000000, v3
	s_delay_alu instid0(VALU_DEP_2) | instskip(NEXT) | instid1(VALU_DEP_1)
	v_or_b32_e32 v6, 0x70000000, v6
	v_mul_f32_e32 v6, 0x7800000, v6
	s_delay_alu instid0(VALU_DEP_1) | instskip(NEXT) | instid1(VALU_DEP_1)
	v_cndmask_b32_e32 v3, v6, v7, vcc_lo
	v_and_or_b32 v1, 0x80000000, v1, v3
	s_delay_alu instid0(VALU_DEP_1)
	v_cvt_i32_f32_e32 v1, v1
.LBB47_198:
	s_mov_b32 s27, 0
	s_mov_b32 s20, -1
.LBB47_199:
	s_and_not1_b32 vcc_lo, exec_lo, s27
	s_cbranch_vccnz .LBB47_212
; %bb.200:
	s_cmp_gt_i32 s0, 14
	s_cbranch_scc0 .LBB47_203
; %bb.201:
	s_cmp_eq_u32 s0, 15
	s_cbranch_scc0 .LBB47_206
; %bb.202:
	s_wait_loadcnt 0x0
	global_load_u16 v1, v[4:5], off
	s_mov_b32 s20, -1
	s_mov_b32 s26, 0
	s_wait_loadcnt 0x0
	v_lshlrev_b32_e32 v1, 16, v1
	s_delay_alu instid0(VALU_DEP_1)
	v_cvt_i32_f32_e32 v1, v1
	s_branch .LBB47_207
.LBB47_203:
	s_mov_b32 s27, -1
                                        ; implicit-def: $vgpr1
	s_branch .LBB47_208
.LBB47_204:
	s_and_not1_saveexec_b32 s20, s20
	s_cbranch_execz .LBB47_185
.LBB47_205:
	v_cmp_ne_u16_e32 vcc_lo, 0, v3
	s_and_not1_b32 s27, s27, exec_lo
	s_and_b32 s28, vcc_lo, exec_lo
	s_delay_alu instid0(SALU_CYCLE_1)
	s_or_b32 s27, s27, s28
	s_or_b32 exec_lo, exec_lo, s20
	v_mov_b32_e32 v1, 0
	s_and_saveexec_b32 s20, s27
	s_cbranch_execnz .LBB47_186
	s_branch .LBB47_187
.LBB47_206:
	s_mov_b32 s26, -1
                                        ; implicit-def: $vgpr1
.LBB47_207:
	s_mov_b32 s27, 0
.LBB47_208:
	s_delay_alu instid0(SALU_CYCLE_1)
	s_and_b32 vcc_lo, exec_lo, s27
	s_cbranch_vccz .LBB47_212
; %bb.209:
	s_cmp_eq_u32 s0, 11
	s_cbranch_scc0 .LBB47_211
; %bb.210:
	s_wait_loadcnt 0x0
	global_load_u8 v1, v[4:5], off
	s_mov_b32 s26, 0
	s_mov_b32 s20, -1
	s_wait_loadcnt 0x0
	v_cmp_ne_u16_e32 vcc_lo, 0, v1
	v_cndmask_b32_e64 v1, 0, 1, vcc_lo
	s_branch .LBB47_212
.LBB47_211:
	s_mov_b32 s26, -1
                                        ; implicit-def: $vgpr1
.LBB47_212:
	s_branch .LBB47_25
.LBB47_213:
	s_cmp_lt_i32 s0, 5
	s_cbranch_scc1 .LBB47_218
; %bb.214:
	s_cmp_lt_i32 s0, 8
	s_cbranch_scc1 .LBB47_219
; %bb.215:
	;; [unrolled: 3-line block ×3, first 2 shown]
	s_cmp_gt_i32 s0, 9
	s_cbranch_scc0 .LBB47_221
; %bb.217:
	global_load_b64 v[6:7], v[4:5], off
	s_mov_b32 s20, 0
	s_wait_loadcnt 0x0
	v_cvt_i32_f64_e32 v1, v[6:7]
	s_branch .LBB47_222
.LBB47_218:
                                        ; implicit-def: $vgpr1
	s_branch .LBB47_240
.LBB47_219:
	s_mov_b32 s20, -1
                                        ; implicit-def: $vgpr1
	s_branch .LBB47_228
.LBB47_220:
	s_mov_b32 s20, -1
                                        ; implicit-def: $vgpr1
	s_branch .LBB47_225
.LBB47_221:
	s_mov_b32 s20, -1
                                        ; implicit-def: $vgpr1
.LBB47_222:
	s_delay_alu instid0(SALU_CYCLE_1)
	s_and_not1_b32 vcc_lo, exec_lo, s20
	s_cbranch_vccnz .LBB47_224
; %bb.223:
	s_wait_loadcnt 0x0
	global_load_b32 v1, v[4:5], off
	s_wait_loadcnt 0x0
	v_cvt_i32_f32_e32 v1, v1
.LBB47_224:
	s_mov_b32 s20, 0
.LBB47_225:
	s_delay_alu instid0(SALU_CYCLE_1)
	s_and_not1_b32 vcc_lo, exec_lo, s20
	s_cbranch_vccnz .LBB47_227
; %bb.226:
	s_wait_loadcnt 0x0
	global_load_b32 v1, v[4:5], off
	s_wait_loadcnt 0x0
	v_cvt_f32_f16_e32 v1, v1
	s_delay_alu instid0(VALU_DEP_1)
	v_cvt_i32_f32_e32 v1, v1
.LBB47_227:
	s_mov_b32 s20, 0
.LBB47_228:
	s_delay_alu instid0(SALU_CYCLE_1)
	s_and_not1_b32 vcc_lo, exec_lo, s20
	s_cbranch_vccnz .LBB47_239
; %bb.229:
	s_cmp_lt_i32 s0, 6
	s_cbranch_scc1 .LBB47_232
; %bb.230:
	s_cmp_gt_i32 s0, 6
	s_cbranch_scc0 .LBB47_233
; %bb.231:
	global_load_b64 v[6:7], v[4:5], off
	s_mov_b32 s20, 0
	s_wait_loadcnt 0x0
	v_cvt_i32_f64_e32 v1, v[6:7]
	s_branch .LBB47_234
.LBB47_232:
	s_mov_b32 s20, -1
                                        ; implicit-def: $vgpr1
	s_branch .LBB47_237
.LBB47_233:
	s_mov_b32 s20, -1
                                        ; implicit-def: $vgpr1
.LBB47_234:
	s_delay_alu instid0(SALU_CYCLE_1)
	s_and_not1_b32 vcc_lo, exec_lo, s20
	s_cbranch_vccnz .LBB47_236
; %bb.235:
	s_wait_loadcnt 0x0
	global_load_b32 v1, v[4:5], off
	s_wait_loadcnt 0x0
	v_cvt_i32_f32_e32 v1, v1
.LBB47_236:
	s_mov_b32 s20, 0
.LBB47_237:
	s_delay_alu instid0(SALU_CYCLE_1)
	s_and_not1_b32 vcc_lo, exec_lo, s20
	s_cbranch_vccnz .LBB47_239
; %bb.238:
	s_wait_loadcnt 0x0
	global_load_u16 v1, v[4:5], off
	s_wait_loadcnt 0x0
	v_cvt_f32_f16_e32 v1, v1
	s_delay_alu instid0(VALU_DEP_1)
	v_cvt_i32_f32_e32 v1, v1
.LBB47_239:
	s_cbranch_execnz .LBB47_259
.LBB47_240:
	s_cmp_lt_i32 s0, 2
	s_cbranch_scc1 .LBB47_244
; %bb.241:
	s_cmp_lt_i32 s0, 3
	s_cbranch_scc1 .LBB47_245
; %bb.242:
	s_cmp_gt_i32 s0, 3
	s_cbranch_scc0 .LBB47_246
; %bb.243:
	s_wait_loadcnt 0x0
	global_load_b32 v1, v[4:5], off
	s_mov_b32 s20, 0
	s_branch .LBB47_247
.LBB47_244:
	s_mov_b32 s20, -1
                                        ; implicit-def: $vgpr1
	s_branch .LBB47_253
.LBB47_245:
	s_mov_b32 s20, -1
                                        ; implicit-def: $vgpr1
	s_branch .LBB47_250
.LBB47_246:
	s_mov_b32 s20, -1
                                        ; implicit-def: $vgpr1
.LBB47_247:
	s_delay_alu instid0(SALU_CYCLE_1)
	s_and_not1_b32 vcc_lo, exec_lo, s20
	s_cbranch_vccnz .LBB47_249
; %bb.248:
	s_wait_loadcnt 0x0
	global_load_b32 v1, v[4:5], off
.LBB47_249:
	s_mov_b32 s20, 0
.LBB47_250:
	s_delay_alu instid0(SALU_CYCLE_1)
	s_and_not1_b32 vcc_lo, exec_lo, s20
	s_cbranch_vccnz .LBB47_252
; %bb.251:
	s_wait_loadcnt 0x0
	global_load_i16 v1, v[4:5], off
.LBB47_252:
	s_mov_b32 s20, 0
.LBB47_253:
	s_delay_alu instid0(SALU_CYCLE_1)
	s_and_not1_b32 vcc_lo, exec_lo, s20
	s_cbranch_vccnz .LBB47_259
; %bb.254:
	s_cmp_gt_i32 s0, 0
	s_mov_b32 s0, 0
	s_cbranch_scc0 .LBB47_256
; %bb.255:
	s_wait_loadcnt 0x0
	global_load_i8 v1, v[4:5], off
	s_branch .LBB47_257
.LBB47_256:
	s_mov_b32 s0, -1
                                        ; implicit-def: $vgpr1
.LBB47_257:
	s_delay_alu instid0(SALU_CYCLE_1)
	s_and_not1_b32 vcc_lo, exec_lo, s0
	s_cbranch_vccnz .LBB47_259
; %bb.258:
	s_wait_loadcnt 0x0
	global_load_u8 v1, v[4:5], off
.LBB47_259:
	s_branch .LBB47_26
.LBB47_260:
	s_mov_b32 s0, 0
.LBB47_261:
	s_mov_b32 s27, 0
                                        ; implicit-def: $vgpr0
.LBB47_262:
	s_and_b32 s20, s0, exec_lo
	s_and_b32 s42, s26, exec_lo
	s_or_not1_b32 s26, s27, exec_lo
.LBB47_263:
	s_wait_xcnt 0x0
	s_or_b32 exec_lo, exec_lo, s43
	s_mov_b32 s27, 0
	s_mov_b32 s0, 0
                                        ; implicit-def: $vgpr4_vgpr5
                                        ; implicit-def: $vgpr2
                                        ; implicit-def: $vgpr6
	s_and_saveexec_b32 s43, s26
	s_cbranch_execz .LBB47_271
; %bb.264:
	s_mov_b32 s0, -1
	s_mov_b32 s44, s42
	s_mov_b32 s45, s20
	s_mov_b32 s46, exec_lo
	v_cmpx_gt_i32_e64 s39, v0
	s_cbranch_execz .LBB47_538
; %bb.265:
	s_and_not1_b32 vcc_lo, exec_lo, s35
	s_cbranch_vccnz .LBB47_274
; %bb.266:
	s_and_not1_b32 vcc_lo, exec_lo, s41
	s_cbranch_vccnz .LBB47_275
; %bb.267:
	s_add_co_i32 s0, s40, 1
	s_cmp_eq_u32 s34, 2
	s_cbranch_scc1 .LBB47_276
; %bb.268:
	v_dual_mov_b32 v2, 0 :: v_dual_mov_b32 v4, 0
	s_wait_loadcnt 0x0
	v_mov_b32_e32 v1, v0
	s_and_b32 s26, s0, 28
	s_mov_b64 s[28:29], s[16:17]
	s_mov_b64 s[30:31], s[24:25]
.LBB47_269:                             ; =>This Inner Loop Header: Depth=1
	s_clause 0x1
	s_load_b256 s[48:55], s[28:29], 0x4
	s_load_b128 s[64:67], s[28:29], 0x24
	s_load_b256 s[56:63], s[30:31], 0x0
	s_add_co_i32 s27, s27, 4
	s_wait_xcnt 0x0
	s_add_nc_u64 s[28:29], s[28:29], 48
	s_cmp_eq_u32 s26, s27
	s_add_nc_u64 s[30:31], s[30:31], 32
	s_wait_kmcnt 0x0
	v_mul_hi_u32 v3, s49, v1
	s_delay_alu instid0(VALU_DEP_1) | instskip(NEXT) | instid1(VALU_DEP_1)
	v_add_nc_u32_e32 v3, v1, v3
	v_lshrrev_b32_e32 v3, s50, v3
	s_delay_alu instid0(VALU_DEP_1) | instskip(NEXT) | instid1(VALU_DEP_1)
	v_mul_hi_u32 v5, s52, v3
	v_add_nc_u32_e32 v5, v3, v5
	s_delay_alu instid0(VALU_DEP_1) | instskip(NEXT) | instid1(VALU_DEP_1)
	v_lshrrev_b32_e32 v5, s53, v5
	v_mul_hi_u32 v6, s55, v5
	s_delay_alu instid0(VALU_DEP_1) | instskip(SKIP_1) | instid1(VALU_DEP_1)
	v_add_nc_u32_e32 v6, v5, v6
	v_mul_lo_u32 v7, v3, s48
	v_sub_nc_u32_e32 v1, v1, v7
	v_mul_lo_u32 v7, v5, s51
	s_delay_alu instid0(VALU_DEP_4) | instskip(NEXT) | instid1(VALU_DEP_3)
	v_lshrrev_b32_e32 v6, s64, v6
	v_mad_u32 v4, v1, s57, v4
	v_mad_u32 v1, v1, s56, v2
	s_delay_alu instid0(VALU_DEP_4) | instskip(NEXT) | instid1(VALU_DEP_4)
	v_sub_nc_u32_e32 v2, v3, v7
	v_mul_hi_u32 v8, s66, v6
	v_mul_lo_u32 v3, v6, s54
	s_delay_alu instid0(VALU_DEP_3) | instskip(SKIP_1) | instid1(VALU_DEP_3)
	v_mad_u32 v4, v2, s59, v4
	v_mad_u32 v2, v2, s58, v1
	v_dual_add_nc_u32 v7, v6, v8 :: v_dual_sub_nc_u32 v3, v5, v3
	s_delay_alu instid0(VALU_DEP_1) | instskip(NEXT) | instid1(VALU_DEP_2)
	v_lshrrev_b32_e32 v1, s67, v7
	v_mad_u32 v4, v3, s61, v4
	s_delay_alu instid0(VALU_DEP_4) | instskip(NEXT) | instid1(VALU_DEP_3)
	v_mad_u32 v2, v3, s60, v2
	v_mul_lo_u32 v5, v1, s65
	s_delay_alu instid0(VALU_DEP_1) | instskip(NEXT) | instid1(VALU_DEP_1)
	v_sub_nc_u32_e32 v3, v6, v5
	v_mad_u32 v4, v3, s63, v4
	s_delay_alu instid0(VALU_DEP_4)
	v_mad_u32 v2, v3, s62, v2
	s_cbranch_scc0 .LBB47_269
; %bb.270:
	s_delay_alu instid0(VALU_DEP_2)
	v_mov_b32_e32 v3, v4
	s_branch .LBB47_277
.LBB47_271:
	s_or_b32 exec_lo, exec_lo, s43
	s_mov_b32 s6, 0
	s_and_saveexec_b32 s7, s42
	s_cbranch_execnz .LBB47_912
.LBB47_272:
	s_or_b32 exec_lo, exec_lo, s7
	s_and_saveexec_b32 s7, s19
	s_delay_alu instid0(SALU_CYCLE_1)
	s_xor_b32 s7, exec_lo, s7
	s_cbranch_execz .LBB47_913
.LBB47_273:
	global_load_u8 v0, v[4:5], off
	s_or_b32 s0, s0, exec_lo
	s_wait_loadcnt 0x0
	v_cmp_ne_u16_e32 vcc_lo, 0, v0
	v_cndmask_b32_e64 v6, 0, 1, vcc_lo
	s_wait_xcnt 0x0
	s_or_b32 exec_lo, exec_lo, s7
	s_and_saveexec_b32 s7, s27
	s_cbranch_execz .LBB47_959
	s_branch .LBB47_914
.LBB47_274:
                                        ; implicit-def: $vgpr4
                                        ; implicit-def: $vgpr2
	s_and_not1_b32 vcc_lo, exec_lo, s0
	s_cbranch_vccnz .LBB47_284
	s_branch .LBB47_282
.LBB47_275:
	v_dual_mov_b32 v4, 0 :: v_dual_mov_b32 v2, 0
	s_branch .LBB47_281
.LBB47_276:
	v_mov_b64_e32 v[2:3], 0
	s_wait_loadcnt 0x0
	v_mov_b32_e32 v1, v0
	s_mov_b32 s26, 0
                                        ; implicit-def: $vgpr4
.LBB47_277:
	s_and_b32 s0, s0, 3
	s_mov_b32 s27, 0
	s_cmp_eq_u32 s0, 0
	s_cbranch_scc1 .LBB47_281
; %bb.278:
	s_lshl_b32 s28, s26, 3
	s_mov_b32 s29, s27
	s_mul_u64 s[30:31], s[26:27], 12
	s_add_nc_u64 s[28:29], s[16:17], s[28:29]
	s_delay_alu instid0(SALU_CYCLE_1)
	s_add_nc_u64 s[26:27], s[28:29], 0xc4
	s_add_nc_u64 s[28:29], s[16:17], s[30:31]
.LBB47_279:                             ; =>This Inner Loop Header: Depth=1
	s_load_b96 s[48:50], s[28:29], 0x4
	s_load_b64 s[30:31], s[26:27], 0x0
	s_add_co_i32 s0, s0, -1
	s_wait_xcnt 0x0
	s_add_nc_u64 s[28:29], s[28:29], 12
	s_cmp_lg_u32 s0, 0
	s_add_nc_u64 s[26:27], s[26:27], 8
	s_wait_kmcnt 0x0
	v_mul_hi_u32 v4, s49, v1
	s_delay_alu instid0(VALU_DEP_1) | instskip(NEXT) | instid1(VALU_DEP_1)
	v_add_nc_u32_e32 v4, v1, v4
	v_lshrrev_b32_e32 v4, s50, v4
	s_delay_alu instid0(VALU_DEP_1) | instskip(NEXT) | instid1(VALU_DEP_1)
	v_mul_lo_u32 v5, v4, s48
	v_sub_nc_u32_e32 v1, v1, v5
	s_delay_alu instid0(VALU_DEP_1)
	v_mad_u32 v3, v1, s31, v3
	v_mad_u32 v2, v1, s30, v2
	v_mov_b32_e32 v1, v4
	s_cbranch_scc1 .LBB47_279
; %bb.280:
	s_delay_alu instid0(VALU_DEP_3)
	v_mov_b32_e32 v4, v3
.LBB47_281:
	s_cbranch_execnz .LBB47_284
.LBB47_282:
	s_wait_loadcnt 0x0
	v_mov_b32_e32 v1, 0
	s_and_not1_b32 vcc_lo, exec_lo, s38
	s_delay_alu instid0(VALU_DEP_1) | instskip(NEXT) | instid1(VALU_DEP_1)
	v_mul_u64_e32 v[2:3], s[18:19], v[0:1]
	v_add_nc_u32_e32 v2, v0, v3
	s_delay_alu instid0(VALU_DEP_1) | instskip(NEXT) | instid1(VALU_DEP_1)
	v_lshrrev_b32_e32 v6, s10, v2
	v_mul_lo_u32 v2, v6, s8
	s_delay_alu instid0(VALU_DEP_1) | instskip(NEXT) | instid1(VALU_DEP_1)
	v_sub_nc_u32_e32 v2, v0, v2
	v_mul_lo_u32 v4, v2, s13
	v_mul_lo_u32 v2, v2, s12
	s_cbranch_vccnz .LBB47_284
; %bb.283:
	v_mov_b32_e32 v7, v1
	s_delay_alu instid0(VALU_DEP_1) | instskip(NEXT) | instid1(VALU_DEP_1)
	v_mul_u64_e32 v[8:9], s[22:23], v[6:7]
	v_add_nc_u32_e32 v1, v6, v9
	s_delay_alu instid0(VALU_DEP_1) | instskip(NEXT) | instid1(VALU_DEP_1)
	v_lshrrev_b32_e32 v1, s21, v1
	v_mul_lo_u32 v1, v1, s11
	s_delay_alu instid0(VALU_DEP_1) | instskip(NEXT) | instid1(VALU_DEP_1)
	v_sub_nc_u32_e32 v1, v6, v1
	v_mad_u32 v2, v1, s14, v2
	v_mad_u32 v4, v1, s15, v4
.LBB47_284:
	v_mov_b32_e32 v5, 0
	s_and_b32 s0, 0xffff, s37
	s_delay_alu instid0(SALU_CYCLE_1) | instskip(NEXT) | instid1(VALU_DEP_1)
	s_cmp_lt_i32 s0, 11
	v_add_nc_u64_e32 v[4:5], s[6:7], v[4:5]
	s_cbranch_scc1 .LBB47_291
; %bb.285:
	s_cmp_gt_i32 s0, 25
	s_cbranch_scc0 .LBB47_300
; %bb.286:
	s_cmp_gt_i32 s0, 28
	s_cbranch_scc0 .LBB47_302
	;; [unrolled: 3-line block ×4, first 2 shown]
; %bb.289:
	s_cmp_eq_u32 s0, 46
	s_mov_b32 s28, 0
	s_cbranch_scc0 .LBB47_312
; %bb.290:
	s_wait_loadcnt 0x0
	global_load_b32 v1, v[4:5], off
	s_mov_b32 s27, -1
	s_mov_b32 s26, 0
	s_wait_loadcnt 0x0
	v_lshlrev_b32_e32 v1, 16, v1
	s_delay_alu instid0(VALU_DEP_1)
	v_cvt_i32_f32_e32 v1, v1
	s_branch .LBB47_314
.LBB47_291:
	s_mov_b32 s27, 0
	s_mov_b32 s26, s42
                                        ; implicit-def: $vgpr1
	s_cbranch_execnz .LBB47_487
.LBB47_292:
	s_and_not1_b32 vcc_lo, exec_lo, s27
	s_cbranch_vccnz .LBB47_535
.LBB47_293:
	v_mov_b32_e32 v3, 0
	s_wait_loadcnt 0x0
	s_delay_alu instid0(VALU_DEP_2) | instskip(SKIP_1) | instid1(VALU_DEP_2)
	v_cmp_ne_u32_e32 vcc_lo, s1, v1
	s_and_b32 s28, s2, 0xff
	v_add_nc_u64_e32 v[2:3], s[4:5], v[2:3]
	s_xor_b32 s27, s9, vcc_lo
	s_cmp_lt_i32 s28, 11
	s_cbranch_scc1 .LBB47_301
; %bb.294:
	s_and_b32 s29, 0xffff, s28
	s_delay_alu instid0(SALU_CYCLE_1)
	s_cmp_gt_i32 s29, 25
	s_cbranch_scc0 .LBB47_303
; %bb.295:
	s_cmp_gt_i32 s29, 28
	s_cbranch_scc0 .LBB47_305
; %bb.296:
	s_cmp_gt_i32 s29, 43
	s_cbranch_scc0 .LBB47_309
; %bb.297:
	s_cmp_gt_i32 s29, 45
	s_cbranch_scc0 .LBB47_317
; %bb.298:
	s_mov_b32 s31, 0
	s_mov_b32 s0, -1
	s_cmp_eq_u32 s29, 46
	s_mov_b32 s30, 0
	s_cbranch_scc0 .LBB47_318
; %bb.299:
	v_cndmask_b32_e64 v1, 0, 1.0, s27
	s_mov_b32 s30, -1
	s_mov_b32 s0, 0
	s_wait_xcnt 0x0
	s_delay_alu instid0(VALU_DEP_1) | instskip(NEXT) | instid1(VALU_DEP_1)
	v_bfe_u32 v4, v1, 16, 1
	v_add3_u32 v1, v1, v4, 0x7fff
	s_delay_alu instid0(VALU_DEP_1)
	v_lshrrev_b32_e32 v1, 16, v1
	global_store_b32 v[2:3], v1, off
	s_branch .LBB47_318
.LBB47_300:
	s_mov_b32 s28, -1
	s_mov_b32 s27, 0
	s_mov_b32 s26, s42
                                        ; implicit-def: $vgpr1
	s_branch .LBB47_453
.LBB47_301:
	s_mov_b32 s29, -1
	s_mov_b32 s30, 0
	s_mov_b32 s0, s20
	s_branch .LBB47_387
.LBB47_302:
	s_mov_b32 s28, -1
	s_mov_b32 s27, 0
	s_mov_b32 s26, s42
                                        ; implicit-def: $vgpr1
	s_branch .LBB47_436
.LBB47_303:
	s_mov_b32 s31, -1
	s_mov_b32 s30, 0
	s_mov_b32 s0, s20
	s_branch .LBB47_345
.LBB47_304:
	s_mov_b32 s28, -1
	s_mov_b32 s27, 0
	s_mov_b32 s26, s42
                                        ; implicit-def: $vgpr1
	s_branch .LBB47_431
.LBB47_305:
	s_mov_b32 s31, -1
	s_mov_b32 s30, 0
	s_mov_b32 s0, s20
	s_branch .LBB47_328
.LBB47_306:
	s_and_not1_saveexec_b32 s31, s31
	s_cbranch_execz .LBB47_69
.LBB47_307:
	v_add_f32_e32 v1, 0x46000000, v4
	s_and_not1_b32 s30, s30, exec_lo
	s_delay_alu instid0(VALU_DEP_1) | instskip(NEXT) | instid1(VALU_DEP_1)
	v_and_b32_e32 v1, 0xff, v1
	v_cmp_ne_u32_e32 vcc_lo, 0, v1
	s_and_b32 s42, vcc_lo, exec_lo
	s_delay_alu instid0(SALU_CYCLE_1)
	s_or_b32 s30, s30, s42
	s_or_b32 exec_lo, exec_lo, s31
	v_mov_b32_e32 v5, 0
	s_and_saveexec_b32 s31, s30
	s_cbranch_execnz .LBB47_70
	s_branch .LBB47_71
.LBB47_308:
	s_mov_b32 s28, -1
	s_mov_b32 s27, 0
	s_mov_b32 s26, s42
	s_branch .LBB47_313
.LBB47_309:
	s_mov_b32 s31, -1
	s_mov_b32 s30, 0
	s_mov_b32 s0, s20
	s_branch .LBB47_324
.LBB47_310:
	s_and_not1_saveexec_b32 s31, s31
	s_cbranch_execz .LBB47_82
.LBB47_311:
	v_add_f32_e32 v1, 0x42800000, v4
	s_and_not1_b32 s30, s30, exec_lo
	s_delay_alu instid0(VALU_DEP_1) | instskip(NEXT) | instid1(VALU_DEP_1)
	v_and_b32_e32 v1, 0xff, v1
	v_cmp_ne_u32_e32 vcc_lo, 0, v1
	s_and_b32 s42, vcc_lo, exec_lo
	s_delay_alu instid0(SALU_CYCLE_1)
	s_or_b32 s30, s30, s42
	s_or_b32 exec_lo, exec_lo, s31
	v_mov_b32_e32 v5, 0
	s_and_saveexec_b32 s31, s30
	s_cbranch_execnz .LBB47_83
	s_branch .LBB47_84
.LBB47_312:
	s_mov_b32 s26, -1
	s_mov_b32 s27, 0
.LBB47_313:
                                        ; implicit-def: $vgpr1
.LBB47_314:
	s_and_b32 vcc_lo, exec_lo, s28
	s_cbranch_vccz .LBB47_430
; %bb.315:
	s_cmp_eq_u32 s0, 44
	s_cbranch_scc0 .LBB47_429
; %bb.316:
	s_wait_loadcnt 0x0
	global_load_u8 v1, v[4:5], off
	s_mov_b32 s26, 0
	s_mov_b32 s27, -1
	s_wait_loadcnt 0x0
	v_lshlrev_b32_e32 v3, 23, v1
	v_cmp_ne_u32_e32 vcc_lo, 0, v1
	s_delay_alu instid0(VALU_DEP_2) | instskip(NEXT) | instid1(VALU_DEP_1)
	v_cvt_i32_f32_e32 v3, v3
	v_cndmask_b32_e32 v1, 0, v3, vcc_lo
	s_branch .LBB47_430
.LBB47_317:
	s_mov_b32 s31, -1
	s_mov_b32 s30, 0
	s_mov_b32 s0, s20
.LBB47_318:
	s_and_b32 vcc_lo, exec_lo, s31
	s_cbranch_vccz .LBB47_323
; %bb.319:
	s_cmp_eq_u32 s29, 44
	s_mov_b32 s0, -1
	s_cbranch_scc0 .LBB47_323
; %bb.320:
	s_wait_xcnt 0x0
	v_cndmask_b32_e64 v5, 0, 1.0, s27
	s_mov_b32 s30, exec_lo
	s_delay_alu instid0(VALU_DEP_1) | instskip(NEXT) | instid1(VALU_DEP_1)
	v_dual_mov_b32 v4, 0xff :: v_dual_lshrrev_b32 v1, 23, v5
	v_cmpx_ne_u32_e32 0xff, v1
; %bb.321:
	v_and_b32_e32 v4, 0x400000, v5
	v_and_or_b32 v5, 0x3fffff, v5, v1
	s_delay_alu instid0(VALU_DEP_2) | instskip(NEXT) | instid1(VALU_DEP_2)
	v_cmp_ne_u32_e32 vcc_lo, 0, v4
	v_cmp_ne_u32_e64 s0, 0, v5
	s_and_b32 s0, vcc_lo, s0
	s_delay_alu instid0(SALU_CYCLE_1) | instskip(NEXT) | instid1(VALU_DEP_1)
	v_cndmask_b32_e64 v4, 0, 1, s0
	v_add_nc_u32_e32 v4, v1, v4
; %bb.322:
	s_or_b32 exec_lo, exec_lo, s30
	s_mov_b32 s30, -1
	s_mov_b32 s0, 0
	global_store_b8 v[2:3], v4, off
.LBB47_323:
	s_mov_b32 s31, 0
.LBB47_324:
	s_delay_alu instid0(SALU_CYCLE_1)
	s_and_b32 vcc_lo, exec_lo, s31
	s_cbranch_vccz .LBB47_327
; %bb.325:
	s_cmp_eq_u32 s29, 29
	s_mov_b32 s0, -1
	s_cbranch_scc0 .LBB47_327
; %bb.326:
	s_mov_b32 s0, 0
	s_wait_xcnt 0x0
	v_cndmask_b32_e64 v4, 0, 1, s27
	v_mov_b32_e32 v5, s0
	s_mov_b32 s30, -1
	s_mov_b32 s31, 0
	global_store_b64 v[2:3], v[4:5], off
	s_branch .LBB47_328
.LBB47_327:
	s_mov_b32 s31, 0
.LBB47_328:
	s_delay_alu instid0(SALU_CYCLE_1)
	s_and_b32 vcc_lo, exec_lo, s31
	s_cbranch_vccz .LBB47_344
; %bb.329:
	s_cmp_lt_i32 s29, 27
	s_mov_b32 s30, -1
	s_cbranch_scc1 .LBB47_335
; %bb.330:
	s_cmp_gt_i32 s29, 27
	s_cbranch_scc0 .LBB47_332
; %bb.331:
	s_wait_xcnt 0x0
	v_cndmask_b32_e64 v1, 0, 1, s27
	s_mov_b32 s30, 0
	global_store_b32 v[2:3], v1, off
.LBB47_332:
	s_and_not1_b32 vcc_lo, exec_lo, s30
	s_cbranch_vccnz .LBB47_334
; %bb.333:
	s_wait_xcnt 0x0
	v_cndmask_b32_e64 v1, 0, 1, s27
	global_store_b16 v[2:3], v1, off
.LBB47_334:
	s_mov_b32 s30, 0
.LBB47_335:
	s_delay_alu instid0(SALU_CYCLE_1)
	s_and_not1_b32 vcc_lo, exec_lo, s30
	s_cbranch_vccnz .LBB47_343
; %bb.336:
	s_wait_xcnt 0x0
	v_cndmask_b32_e64 v4, 0, 1.0, s27
	v_mov_b32_e32 v5, 0x80
	s_mov_b32 s30, exec_lo
	s_delay_alu instid0(VALU_DEP_2)
	v_cmpx_gt_u32_e32 0x43800000, v4
	s_cbranch_execz .LBB47_342
; %bb.337:
	s_mov_b32 s31, 0
	s_mov_b32 s44, exec_lo
                                        ; implicit-def: $vgpr1
	v_cmpx_lt_u32_e32 0x3bffffff, v4
	s_xor_b32 s44, exec_lo, s44
	s_cbranch_execz .LBB47_568
; %bb.338:
	v_bfe_u32 v1, v4, 20, 1
	s_mov_b32 s31, exec_lo
	s_delay_alu instid0(VALU_DEP_1) | instskip(NEXT) | instid1(VALU_DEP_1)
	v_add3_u32 v1, v4, v1, 0x487ffff
                                        ; implicit-def: $vgpr4
	v_lshrrev_b32_e32 v1, 20, v1
	s_and_not1_saveexec_b32 s44, s44
	s_cbranch_execnz .LBB47_569
.LBB47_339:
	s_or_b32 exec_lo, exec_lo, s44
	v_mov_b32_e32 v5, 0
	s_and_saveexec_b32 s44, s31
.LBB47_340:
	v_mov_b32_e32 v5, v1
.LBB47_341:
	s_or_b32 exec_lo, exec_lo, s44
.LBB47_342:
	s_delay_alu instid0(SALU_CYCLE_1)
	s_or_b32 exec_lo, exec_lo, s30
	global_store_b8 v[2:3], v5, off
.LBB47_343:
	s_mov_b32 s30, -1
.LBB47_344:
	s_mov_b32 s31, 0
.LBB47_345:
	s_delay_alu instid0(SALU_CYCLE_1)
	s_and_b32 vcc_lo, exec_lo, s31
	s_cbranch_vccz .LBB47_386
; %bb.346:
	s_cmp_gt_i32 s29, 22
	s_mov_b32 s31, -1
	s_cbranch_scc0 .LBB47_378
; %bb.347:
	s_cmp_lt_i32 s29, 24
	s_mov_b32 s30, -1
	s_cbranch_scc1 .LBB47_367
; %bb.348:
	s_cmp_gt_i32 s29, 24
	s_cbranch_scc0 .LBB47_356
; %bb.349:
	s_wait_xcnt 0x0
	v_cndmask_b32_e64 v4, 0, 1.0, s27
	v_mov_b32_e32 v5, 0x80
	s_mov_b32 s30, exec_lo
	s_delay_alu instid0(VALU_DEP_2)
	v_cmpx_gt_u32_e32 0x47800000, v4
	s_cbranch_execz .LBB47_355
; %bb.350:
	s_mov_b32 s31, 0
	s_mov_b32 s44, exec_lo
                                        ; implicit-def: $vgpr1
	v_cmpx_lt_u32_e32 0x37ffffff, v4
	s_xor_b32 s44, exec_lo, s44
	s_cbranch_execz .LBB47_571
; %bb.351:
	v_bfe_u32 v1, v4, 21, 1
	s_mov_b32 s31, exec_lo
	s_delay_alu instid0(VALU_DEP_1) | instskip(NEXT) | instid1(VALU_DEP_1)
	v_add3_u32 v1, v4, v1, 0x88fffff
                                        ; implicit-def: $vgpr4
	v_lshrrev_b32_e32 v1, 21, v1
	s_and_not1_saveexec_b32 s44, s44
	s_cbranch_execnz .LBB47_572
.LBB47_352:
	s_or_b32 exec_lo, exec_lo, s44
	v_mov_b32_e32 v5, 0
	s_and_saveexec_b32 s44, s31
.LBB47_353:
	v_mov_b32_e32 v5, v1
.LBB47_354:
	s_or_b32 exec_lo, exec_lo, s44
.LBB47_355:
	s_delay_alu instid0(SALU_CYCLE_1)
	s_or_b32 exec_lo, exec_lo, s30
	s_mov_b32 s30, 0
	global_store_b8 v[2:3], v5, off
.LBB47_356:
	s_and_b32 vcc_lo, exec_lo, s30
	s_cbranch_vccz .LBB47_366
; %bb.357:
	s_wait_xcnt 0x0
	v_cndmask_b32_e64 v4, 0, 1.0, s27
	s_mov_b32 s30, exec_lo
                                        ; implicit-def: $vgpr1
	s_delay_alu instid0(VALU_DEP_1)
	v_cmpx_gt_u32_e32 0x43f00000, v4
	s_xor_b32 s30, exec_lo, s30
	s_cbranch_execz .LBB47_363
; %bb.358:
	s_mov_b32 s31, exec_lo
                                        ; implicit-def: $vgpr1
	v_cmpx_lt_u32_e32 0x3c7fffff, v4
	s_xor_b32 s31, exec_lo, s31
; %bb.359:
	v_bfe_u32 v1, v4, 20, 1
	s_delay_alu instid0(VALU_DEP_1) | instskip(NEXT) | instid1(VALU_DEP_1)
	v_add3_u32 v1, v4, v1, 0x407ffff
	v_and_b32_e32 v4, 0xff00000, v1
	v_lshrrev_b32_e32 v1, 20, v1
	s_delay_alu instid0(VALU_DEP_2) | instskip(NEXT) | instid1(VALU_DEP_2)
	v_cmp_ne_u32_e32 vcc_lo, 0x7f00000, v4
                                        ; implicit-def: $vgpr4
	v_cndmask_b32_e32 v1, 0x7e, v1, vcc_lo
; %bb.360:
	s_and_not1_saveexec_b32 s31, s31
; %bb.361:
	v_add_f32_e32 v1, 0x46800000, v4
; %bb.362:
	s_or_b32 exec_lo, exec_lo, s31
                                        ; implicit-def: $vgpr4
.LBB47_363:
	s_and_not1_saveexec_b32 s30, s30
; %bb.364:
	v_mov_b32_e32 v1, 0x7f
	v_cmp_lt_u32_e32 vcc_lo, 0x7f800000, v4
	s_delay_alu instid0(VALU_DEP_2)
	v_cndmask_b32_e32 v1, 0x7e, v1, vcc_lo
; %bb.365:
	s_or_b32 exec_lo, exec_lo, s30
	global_store_b8 v[2:3], v1, off
.LBB47_366:
	s_mov_b32 s30, 0
.LBB47_367:
	s_delay_alu instid0(SALU_CYCLE_1)
	s_and_not1_b32 vcc_lo, exec_lo, s30
	s_cbranch_vccnz .LBB47_377
; %bb.368:
	s_wait_xcnt 0x0
	v_cndmask_b32_e64 v4, 0, 1.0, s27
	s_mov_b32 s30, exec_lo
                                        ; implicit-def: $vgpr1
	s_delay_alu instid0(VALU_DEP_1)
	v_cmpx_gt_u32_e32 0x47800000, v4
	s_xor_b32 s30, exec_lo, s30
	s_cbranch_execz .LBB47_374
; %bb.369:
	s_mov_b32 s31, exec_lo
                                        ; implicit-def: $vgpr1
	v_cmpx_lt_u32_e32 0x387fffff, v4
	s_xor_b32 s31, exec_lo, s31
; %bb.370:
	v_bfe_u32 v1, v4, 21, 1
	s_delay_alu instid0(VALU_DEP_1) | instskip(NEXT) | instid1(VALU_DEP_1)
	v_add3_u32 v1, v4, v1, 0x80fffff
                                        ; implicit-def: $vgpr4
	v_lshrrev_b32_e32 v1, 21, v1
; %bb.371:
	s_and_not1_saveexec_b32 s31, s31
; %bb.372:
	v_add_f32_e32 v1, 0x43000000, v4
; %bb.373:
	s_or_b32 exec_lo, exec_lo, s31
                                        ; implicit-def: $vgpr4
.LBB47_374:
	s_and_not1_saveexec_b32 s30, s30
; %bb.375:
	v_mov_b32_e32 v1, 0x7f
	v_cmp_lt_u32_e32 vcc_lo, 0x7f800000, v4
	s_delay_alu instid0(VALU_DEP_2)
	v_cndmask_b32_e32 v1, 0x7c, v1, vcc_lo
; %bb.376:
	s_or_b32 exec_lo, exec_lo, s30
	global_store_b8 v[2:3], v1, off
.LBB47_377:
	s_mov_b32 s31, 0
	s_mov_b32 s30, -1
.LBB47_378:
	s_and_not1_b32 vcc_lo, exec_lo, s31
	s_cbranch_vccnz .LBB47_386
; %bb.379:
	s_cmp_gt_i32 s29, 14
	s_mov_b32 s31, -1
	s_cbranch_scc0 .LBB47_383
; %bb.380:
	s_cmp_eq_u32 s29, 15
	s_mov_b32 s0, -1
	s_cbranch_scc0 .LBB47_382
; %bb.381:
	s_wait_xcnt 0x0
	v_cndmask_b32_e64 v1, 0, 1.0, s27
	s_mov_b32 s30, -1
	s_mov_b32 s0, 0
	s_delay_alu instid0(VALU_DEP_1) | instskip(NEXT) | instid1(VALU_DEP_1)
	v_bfe_u32 v4, v1, 16, 1
	v_add3_u32 v1, v1, v4, 0x7fff
	global_store_d16_hi_b16 v[2:3], v1, off
.LBB47_382:
	s_mov_b32 s31, 0
.LBB47_383:
	s_delay_alu instid0(SALU_CYCLE_1)
	s_and_b32 vcc_lo, exec_lo, s31
	s_cbranch_vccz .LBB47_386
; %bb.384:
	s_cmp_eq_u32 s29, 11
	s_mov_b32 s0, -1
	s_cbranch_scc0 .LBB47_386
; %bb.385:
	s_wait_xcnt 0x0
	v_cndmask_b32_e64 v1, 0, 1, s27
	s_mov_b32 s30, -1
	s_mov_b32 s0, 0
	global_store_b8 v[2:3], v1, off
.LBB47_386:
	s_mov_b32 s29, 0
.LBB47_387:
	s_delay_alu instid0(SALU_CYCLE_1)
	s_and_b32 vcc_lo, exec_lo, s29
	s_cbranch_vccz .LBB47_426
; %bb.388:
	s_and_b32 s28, 0xffff, s28
	s_mov_b32 s29, -1
	s_cmp_lt_i32 s28, 5
	s_cbranch_scc1 .LBB47_409
; %bb.389:
	s_cmp_lt_i32 s28, 8
	s_cbranch_scc1 .LBB47_399
; %bb.390:
	;; [unrolled: 3-line block ×3, first 2 shown]
	s_cmp_gt_i32 s28, 9
	s_cbranch_scc0 .LBB47_393
; %bb.392:
	s_wait_xcnt 0x0
	v_cndmask_b32_e64 v1, 0, 1, s27
	v_mov_b32_e32 v6, 0
	s_mov_b32 s29, 0
	s_delay_alu instid0(VALU_DEP_2) | instskip(NEXT) | instid1(VALU_DEP_2)
	v_cvt_f64_u32_e32 v[4:5], v1
	v_mov_b32_e32 v7, v6
	global_store_b128 v[2:3], v[4:7], off
.LBB47_393:
	s_and_not1_b32 vcc_lo, exec_lo, s29
	s_cbranch_vccnz .LBB47_395
; %bb.394:
	s_wait_xcnt 0x0
	v_cndmask_b32_e64 v4, 0, 1.0, s27
	v_mov_b32_e32 v5, 0
	global_store_b64 v[2:3], v[4:5], off
.LBB47_395:
	s_mov_b32 s29, 0
.LBB47_396:
	s_delay_alu instid0(SALU_CYCLE_1)
	s_and_not1_b32 vcc_lo, exec_lo, s29
	s_cbranch_vccnz .LBB47_398
; %bb.397:
	s_wait_xcnt 0x0
	v_cndmask_b32_e64 v1, 0, 1.0, s27
	s_delay_alu instid0(VALU_DEP_1) | instskip(NEXT) | instid1(VALU_DEP_1)
	v_cvt_f16_f32_e32 v1, v1
	v_and_b32_e32 v1, 0xffff, v1
	global_store_b32 v[2:3], v1, off
.LBB47_398:
	s_mov_b32 s29, 0
.LBB47_399:
	s_delay_alu instid0(SALU_CYCLE_1)
	s_and_not1_b32 vcc_lo, exec_lo, s29
	s_cbranch_vccnz .LBB47_408
; %bb.400:
	s_cmp_lt_i32 s28, 6
	s_mov_b32 s29, -1
	s_cbranch_scc1 .LBB47_406
; %bb.401:
	s_cmp_gt_i32 s28, 6
	s_cbranch_scc0 .LBB47_403
; %bb.402:
	s_wait_xcnt 0x0
	v_cndmask_b32_e64 v1, 0, 1, s27
	s_mov_b32 s29, 0
	s_delay_alu instid0(VALU_DEP_1)
	v_cvt_f64_u32_e32 v[4:5], v1
	global_store_b64 v[2:3], v[4:5], off
.LBB47_403:
	s_and_not1_b32 vcc_lo, exec_lo, s29
	s_cbranch_vccnz .LBB47_405
; %bb.404:
	s_wait_xcnt 0x0
	v_cndmask_b32_e64 v1, 0, 1.0, s27
	global_store_b32 v[2:3], v1, off
.LBB47_405:
	s_mov_b32 s29, 0
.LBB47_406:
	s_delay_alu instid0(SALU_CYCLE_1)
	s_and_not1_b32 vcc_lo, exec_lo, s29
	s_cbranch_vccnz .LBB47_408
; %bb.407:
	s_wait_xcnt 0x0
	v_cndmask_b32_e64 v1, 0, 1.0, s27
	s_delay_alu instid0(VALU_DEP_1)
	v_cvt_f16_f32_e32 v1, v1
	global_store_b16 v[2:3], v1, off
.LBB47_408:
	s_mov_b32 s29, 0
.LBB47_409:
	s_delay_alu instid0(SALU_CYCLE_1)
	s_and_not1_b32 vcc_lo, exec_lo, s29
	s_cbranch_vccnz .LBB47_425
; %bb.410:
	s_cmp_lt_i32 s28, 2
	s_mov_b32 s29, -1
	s_cbranch_scc1 .LBB47_420
; %bb.411:
	s_cmp_lt_i32 s28, 3
	s_cbranch_scc1 .LBB47_417
; %bb.412:
	s_cmp_gt_i32 s28, 3
	s_cbranch_scc0 .LBB47_414
; %bb.413:
	s_mov_b32 s29, 0
	s_wait_xcnt 0x0
	v_cndmask_b32_e64 v4, 0, 1, s27
	v_mov_b32_e32 v5, s29
	global_store_b64 v[2:3], v[4:5], off
.LBB47_414:
	s_and_not1_b32 vcc_lo, exec_lo, s29
	s_cbranch_vccnz .LBB47_416
; %bb.415:
	s_wait_xcnt 0x0
	v_cndmask_b32_e64 v1, 0, 1, s27
	global_store_b32 v[2:3], v1, off
.LBB47_416:
	s_mov_b32 s29, 0
.LBB47_417:
	s_delay_alu instid0(SALU_CYCLE_1)
	s_and_not1_b32 vcc_lo, exec_lo, s29
	s_cbranch_vccnz .LBB47_419
; %bb.418:
	s_wait_xcnt 0x0
	v_cndmask_b32_e64 v1, 0, 1, s27
	global_store_b16 v[2:3], v1, off
.LBB47_419:
	s_mov_b32 s29, 0
.LBB47_420:
	s_delay_alu instid0(SALU_CYCLE_1)
	s_and_not1_b32 vcc_lo, exec_lo, s29
	s_cbranch_vccnz .LBB47_425
; %bb.421:
	s_wait_xcnt 0x0
	v_cndmask_b32_e64 v1, 0, 1, s27
	s_cmp_gt_i32 s28, 0
	s_mov_b32 s27, -1
	s_cbranch_scc0 .LBB47_423
; %bb.422:
	s_mov_b32 s27, 0
	global_store_b8 v[2:3], v1, off
.LBB47_423:
	s_and_not1_b32 vcc_lo, exec_lo, s27
	s_cbranch_vccnz .LBB47_425
; %bb.424:
	global_store_b8 v[2:3], v1, off
.LBB47_425:
	s_mov_b32 s30, -1
.LBB47_426:
	s_delay_alu instid0(SALU_CYCLE_1)
	s_and_not1_b32 vcc_lo, exec_lo, s30
	s_cbranch_vccnz .LBB47_428
; %bb.427:
	v_add_nc_u32_e32 v0, 0x80, v0
	s_mov_b32 s27, -1
	s_branch .LBB47_537
.LBB47_428:
	s_mov_b32 s27, 0
	s_branch .LBB47_536
.LBB47_429:
	s_mov_b32 s26, -1
                                        ; implicit-def: $vgpr1
.LBB47_430:
	s_mov_b32 s28, 0
.LBB47_431:
	s_delay_alu instid0(SALU_CYCLE_1)
	s_and_b32 vcc_lo, exec_lo, s28
	s_cbranch_vccz .LBB47_435
; %bb.432:
	s_cmp_eq_u32 s0, 29
	s_cbranch_scc0 .LBB47_434
; %bb.433:
	s_wait_loadcnt 0x0
	global_load_b32 v1, v[4:5], off
	s_mov_b32 s27, -1
	s_mov_b32 s26, 0
	s_branch .LBB47_435
.LBB47_434:
	s_mov_b32 s26, -1
                                        ; implicit-def: $vgpr1
.LBB47_435:
	s_mov_b32 s28, 0
.LBB47_436:
	s_delay_alu instid0(SALU_CYCLE_1)
	s_and_b32 vcc_lo, exec_lo, s28
	s_cbranch_vccz .LBB47_452
; %bb.437:
	s_cmp_lt_i32 s0, 27
	s_cbranch_scc1 .LBB47_440
; %bb.438:
	s_cmp_gt_i32 s0, 27
	s_cbranch_scc0 .LBB47_441
; %bb.439:
	s_wait_loadcnt 0x0
	global_load_b32 v1, v[4:5], off
	s_mov_b32 s27, 0
	s_branch .LBB47_442
.LBB47_440:
	s_mov_b32 s27, -1
                                        ; implicit-def: $vgpr1
	s_branch .LBB47_445
.LBB47_441:
	s_mov_b32 s27, -1
                                        ; implicit-def: $vgpr1
.LBB47_442:
	s_delay_alu instid0(SALU_CYCLE_1)
	s_and_not1_b32 vcc_lo, exec_lo, s27
	s_cbranch_vccnz .LBB47_444
; %bb.443:
	s_wait_loadcnt 0x0
	global_load_u16 v1, v[4:5], off
.LBB47_444:
	s_mov_b32 s27, 0
.LBB47_445:
	s_delay_alu instid0(SALU_CYCLE_1)
	s_and_not1_b32 vcc_lo, exec_lo, s27
	s_cbranch_vccnz .LBB47_451
; %bb.446:
	global_load_u8 v3, v[4:5], off
	s_mov_b32 s28, 0
	s_mov_b32 s27, exec_lo
	s_wait_loadcnt 0x0
	v_cmpx_lt_i16_e32 0x7f, v3
	s_xor_b32 s27, exec_lo, s27
	s_cbranch_execz .LBB47_463
; %bb.447:
	v_cmp_ne_u16_e32 vcc_lo, 0x80, v3
	s_and_b32 s28, vcc_lo, exec_lo
	s_and_not1_saveexec_b32 s27, s27
	s_cbranch_execnz .LBB47_464
.LBB47_448:
	s_or_b32 exec_lo, exec_lo, s27
	v_mov_b32_e32 v1, 0
	s_and_saveexec_b32 s27, s28
	s_cbranch_execz .LBB47_450
.LBB47_449:
	v_and_b32_e32 v1, 0xffff, v3
	s_delay_alu instid0(VALU_DEP_1) | instskip(SKIP_1) | instid1(VALU_DEP_2)
	v_and_b32_e32 v6, 7, v1
	v_bfe_u32 v9, v1, 3, 4
	v_clz_i32_u32_e32 v7, v6
	s_delay_alu instid0(VALU_DEP_2) | instskip(NEXT) | instid1(VALU_DEP_2)
	v_cmp_eq_u32_e32 vcc_lo, 0, v9
	v_min_u32_e32 v7, 32, v7
	s_delay_alu instid0(VALU_DEP_1) | instskip(NEXT) | instid1(VALU_DEP_1)
	v_subrev_nc_u32_e32 v8, 28, v7
	v_dual_lshlrev_b32 v1, v8, v1 :: v_dual_sub_nc_u32 v7, 29, v7
	s_delay_alu instid0(VALU_DEP_1) | instskip(NEXT) | instid1(VALU_DEP_1)
	v_dual_lshlrev_b32 v3, 24, v3 :: v_dual_bitop2_b32 v1, 7, v1 bitop3:0x40
	v_dual_cndmask_b32 v1, v6, v1, vcc_lo :: v_dual_cndmask_b32 v7, v9, v7, vcc_lo
	s_delay_alu instid0(VALU_DEP_2) | instskip(NEXT) | instid1(VALU_DEP_2)
	v_and_b32_e32 v3, 0x80000000, v3
	v_lshlrev_b32_e32 v1, 20, v1
	s_delay_alu instid0(VALU_DEP_3) | instskip(NEXT) | instid1(VALU_DEP_1)
	v_lshl_add_u32 v6, v7, 23, 0x3b800000
	v_or3_b32 v1, v3, v6, v1
	s_delay_alu instid0(VALU_DEP_1)
	v_cvt_i32_f32_e32 v1, v1
.LBB47_450:
	s_or_b32 exec_lo, exec_lo, s27
.LBB47_451:
	s_mov_b32 s27, -1
.LBB47_452:
	s_mov_b32 s28, 0
.LBB47_453:
	s_delay_alu instid0(SALU_CYCLE_1)
	s_and_b32 vcc_lo, exec_lo, s28
	s_cbranch_vccz .LBB47_486
; %bb.454:
	s_cmp_gt_i32 s0, 22
	s_cbranch_scc0 .LBB47_462
; %bb.455:
	s_cmp_lt_i32 s0, 24
	s_cbranch_scc1 .LBB47_465
; %bb.456:
	s_cmp_gt_i32 s0, 24
	s_cbranch_scc0 .LBB47_466
; %bb.457:
	global_load_u8 v3, v[4:5], off
	s_mov_b32 s28, 0
	s_mov_b32 s27, exec_lo
	s_wait_loadcnt 0x0
	v_cmpx_lt_i16_e32 0x7f, v3
	s_xor_b32 s27, exec_lo, s27
	s_cbranch_execz .LBB47_478
; %bb.458:
	v_cmp_ne_u16_e32 vcc_lo, 0x80, v3
	s_and_b32 s28, vcc_lo, exec_lo
	s_and_not1_saveexec_b32 s27, s27
	s_cbranch_execnz .LBB47_479
.LBB47_459:
	s_or_b32 exec_lo, exec_lo, s27
	v_mov_b32_e32 v1, 0
	s_and_saveexec_b32 s27, s28
	s_cbranch_execz .LBB47_461
.LBB47_460:
	v_and_b32_e32 v1, 0xffff, v3
	s_delay_alu instid0(VALU_DEP_1) | instskip(SKIP_1) | instid1(VALU_DEP_2)
	v_and_b32_e32 v6, 3, v1
	v_bfe_u32 v9, v1, 2, 5
	v_clz_i32_u32_e32 v7, v6
	s_delay_alu instid0(VALU_DEP_2) | instskip(NEXT) | instid1(VALU_DEP_2)
	v_cmp_eq_u32_e32 vcc_lo, 0, v9
	v_min_u32_e32 v7, 32, v7
	s_delay_alu instid0(VALU_DEP_1) | instskip(NEXT) | instid1(VALU_DEP_1)
	v_subrev_nc_u32_e32 v8, 29, v7
	v_dual_lshlrev_b32 v1, v8, v1 :: v_dual_sub_nc_u32 v7, 30, v7
	s_delay_alu instid0(VALU_DEP_1) | instskip(NEXT) | instid1(VALU_DEP_1)
	v_dual_lshlrev_b32 v3, 24, v3 :: v_dual_bitop2_b32 v1, 3, v1 bitop3:0x40
	v_dual_cndmask_b32 v1, v6, v1, vcc_lo :: v_dual_cndmask_b32 v7, v9, v7, vcc_lo
	s_delay_alu instid0(VALU_DEP_2) | instskip(NEXT) | instid1(VALU_DEP_2)
	v_and_b32_e32 v3, 0x80000000, v3
	v_lshlrev_b32_e32 v1, 21, v1
	s_delay_alu instid0(VALU_DEP_3) | instskip(NEXT) | instid1(VALU_DEP_1)
	v_lshl_add_u32 v6, v7, 23, 0x37800000
	v_or3_b32 v1, v3, v6, v1
	s_delay_alu instid0(VALU_DEP_1)
	v_cvt_i32_f32_e32 v1, v1
.LBB47_461:
	s_or_b32 exec_lo, exec_lo, s27
	s_mov_b32 s27, 0
	s_branch .LBB47_467
.LBB47_462:
	s_mov_b32 s28, -1
                                        ; implicit-def: $vgpr1
	s_branch .LBB47_473
.LBB47_463:
	s_and_not1_saveexec_b32 s27, s27
	s_cbranch_execz .LBB47_448
.LBB47_464:
	v_cmp_ne_u16_e32 vcc_lo, 0, v3
	s_and_not1_b32 s28, s28, exec_lo
	s_and_b32 s29, vcc_lo, exec_lo
	s_delay_alu instid0(SALU_CYCLE_1)
	s_or_b32 s28, s28, s29
	s_or_b32 exec_lo, exec_lo, s27
	v_mov_b32_e32 v1, 0
	s_and_saveexec_b32 s27, s28
	s_cbranch_execnz .LBB47_449
	s_branch .LBB47_450
.LBB47_465:
	s_mov_b32 s27, -1
                                        ; implicit-def: $vgpr1
	s_branch .LBB47_470
.LBB47_466:
	s_mov_b32 s27, -1
                                        ; implicit-def: $vgpr1
.LBB47_467:
	s_delay_alu instid0(SALU_CYCLE_1)
	s_and_b32 vcc_lo, exec_lo, s27
	s_cbranch_vccz .LBB47_469
; %bb.468:
	s_wait_loadcnt 0x0
	global_load_u8 v1, v[4:5], off
	s_wait_loadcnt 0x0
	v_lshlrev_b32_e32 v1, 24, v1
	s_delay_alu instid0(VALU_DEP_1) | instskip(NEXT) | instid1(VALU_DEP_1)
	v_and_b32_e32 v3, 0x7f000000, v1
	v_clz_i32_u32_e32 v6, v3
	v_cmp_ne_u32_e32 vcc_lo, 0, v3
	v_add_nc_u32_e32 v8, 0x1000000, v3
	s_delay_alu instid0(VALU_DEP_3) | instskip(NEXT) | instid1(VALU_DEP_1)
	v_min_u32_e32 v6, 32, v6
	v_sub_nc_u32_e64 v6, v6, 4 clamp
	s_delay_alu instid0(VALU_DEP_1) | instskip(NEXT) | instid1(VALU_DEP_1)
	v_dual_lshlrev_b32 v7, v6, v3 :: v_dual_lshlrev_b32 v6, 23, v6
	v_lshrrev_b32_e32 v7, 4, v7
	s_delay_alu instid0(VALU_DEP_1) | instskip(NEXT) | instid1(VALU_DEP_1)
	v_dual_sub_nc_u32 v6, v7, v6 :: v_dual_ashrrev_i32 v7, 8, v8
	v_add_nc_u32_e32 v6, 0x3c000000, v6
	s_delay_alu instid0(VALU_DEP_1) | instskip(NEXT) | instid1(VALU_DEP_1)
	v_and_or_b32 v6, 0x7f800000, v7, v6
	v_cndmask_b32_e32 v3, 0, v6, vcc_lo
	s_delay_alu instid0(VALU_DEP_1) | instskip(NEXT) | instid1(VALU_DEP_1)
	v_and_or_b32 v1, 0x80000000, v1, v3
	v_cvt_i32_f32_e32 v1, v1
.LBB47_469:
	s_mov_b32 s27, 0
.LBB47_470:
	s_delay_alu instid0(SALU_CYCLE_1)
	s_and_not1_b32 vcc_lo, exec_lo, s27
	s_cbranch_vccnz .LBB47_472
; %bb.471:
	s_wait_loadcnt 0x0
	global_load_u8 v1, v[4:5], off
	s_wait_loadcnt 0x0
	v_lshlrev_b32_e32 v3, 25, v1
	v_lshlrev_b16 v1, 8, v1
	s_delay_alu instid0(VALU_DEP_1) | instskip(SKIP_1) | instid1(VALU_DEP_2)
	v_and_or_b32 v7, 0x7f00, v1, 0.5
	v_bfe_i32 v1, v1, 0, 16
	v_add_f32_e32 v7, -0.5, v7
	v_lshrrev_b32_e32 v6, 4, v3
	v_cmp_gt_u32_e32 vcc_lo, 0x8000000, v3
	s_delay_alu instid0(VALU_DEP_2) | instskip(NEXT) | instid1(VALU_DEP_1)
	v_or_b32_e32 v6, 0x70000000, v6
	v_mul_f32_e32 v6, 0x7800000, v6
	s_delay_alu instid0(VALU_DEP_1) | instskip(NEXT) | instid1(VALU_DEP_1)
	v_cndmask_b32_e32 v3, v6, v7, vcc_lo
	v_and_or_b32 v1, 0x80000000, v1, v3
	s_delay_alu instid0(VALU_DEP_1)
	v_cvt_i32_f32_e32 v1, v1
.LBB47_472:
	s_mov_b32 s28, 0
	s_mov_b32 s27, -1
.LBB47_473:
	s_and_not1_b32 vcc_lo, exec_lo, s28
	s_cbranch_vccnz .LBB47_486
; %bb.474:
	s_cmp_gt_i32 s0, 14
	s_cbranch_scc0 .LBB47_477
; %bb.475:
	s_cmp_eq_u32 s0, 15
	s_cbranch_scc0 .LBB47_480
; %bb.476:
	s_wait_loadcnt 0x0
	global_load_u16 v1, v[4:5], off
	s_mov_b32 s27, -1
	s_mov_b32 s26, 0
	s_wait_loadcnt 0x0
	v_lshlrev_b32_e32 v1, 16, v1
	s_delay_alu instid0(VALU_DEP_1)
	v_cvt_i32_f32_e32 v1, v1
	s_branch .LBB47_481
.LBB47_477:
	s_mov_b32 s28, -1
                                        ; implicit-def: $vgpr1
	s_branch .LBB47_482
.LBB47_478:
	s_and_not1_saveexec_b32 s27, s27
	s_cbranch_execz .LBB47_459
.LBB47_479:
	v_cmp_ne_u16_e32 vcc_lo, 0, v3
	s_and_not1_b32 s28, s28, exec_lo
	s_and_b32 s29, vcc_lo, exec_lo
	s_delay_alu instid0(SALU_CYCLE_1)
	s_or_b32 s28, s28, s29
	s_or_b32 exec_lo, exec_lo, s27
	v_mov_b32_e32 v1, 0
	s_and_saveexec_b32 s27, s28
	s_cbranch_execnz .LBB47_460
	s_branch .LBB47_461
.LBB47_480:
	s_mov_b32 s26, -1
                                        ; implicit-def: $vgpr1
.LBB47_481:
	s_mov_b32 s28, 0
.LBB47_482:
	s_delay_alu instid0(SALU_CYCLE_1)
	s_and_b32 vcc_lo, exec_lo, s28
	s_cbranch_vccz .LBB47_486
; %bb.483:
	s_cmp_eq_u32 s0, 11
	s_cbranch_scc0 .LBB47_485
; %bb.484:
	s_wait_loadcnt 0x0
	global_load_u8 v1, v[4:5], off
	s_mov_b32 s26, 0
	s_mov_b32 s27, -1
	s_wait_loadcnt 0x0
	v_cmp_ne_u16_e32 vcc_lo, 0, v1
	v_cndmask_b32_e64 v1, 0, 1, vcc_lo
	s_branch .LBB47_486
.LBB47_485:
	s_mov_b32 s26, -1
                                        ; implicit-def: $vgpr1
.LBB47_486:
	s_branch .LBB47_292
.LBB47_487:
	s_cmp_lt_i32 s0, 5
	s_cbranch_scc1 .LBB47_492
; %bb.488:
	s_cmp_lt_i32 s0, 8
	s_cbranch_scc1 .LBB47_493
; %bb.489:
	;; [unrolled: 3-line block ×3, first 2 shown]
	s_cmp_gt_i32 s0, 9
	s_cbranch_scc0 .LBB47_495
; %bb.491:
	global_load_b64 v[6:7], v[4:5], off
	s_mov_b32 s27, 0
	s_wait_loadcnt 0x0
	v_cvt_i32_f64_e32 v1, v[6:7]
	s_branch .LBB47_496
.LBB47_492:
	s_mov_b32 s27, -1
                                        ; implicit-def: $vgpr1
	s_branch .LBB47_514
.LBB47_493:
	s_mov_b32 s27, -1
                                        ; implicit-def: $vgpr1
	s_branch .LBB47_502
.LBB47_494:
	s_mov_b32 s27, -1
                                        ; implicit-def: $vgpr1
	s_branch .LBB47_499
.LBB47_495:
	s_mov_b32 s27, -1
                                        ; implicit-def: $vgpr1
.LBB47_496:
	s_delay_alu instid0(SALU_CYCLE_1)
	s_and_not1_b32 vcc_lo, exec_lo, s27
	s_cbranch_vccnz .LBB47_498
; %bb.497:
	s_wait_loadcnt 0x0
	global_load_b32 v1, v[4:5], off
	s_wait_loadcnt 0x0
	v_cvt_i32_f32_e32 v1, v1
.LBB47_498:
	s_mov_b32 s27, 0
.LBB47_499:
	s_delay_alu instid0(SALU_CYCLE_1)
	s_and_not1_b32 vcc_lo, exec_lo, s27
	s_cbranch_vccnz .LBB47_501
; %bb.500:
	s_wait_loadcnt 0x0
	global_load_b32 v1, v[4:5], off
	s_wait_loadcnt 0x0
	v_cvt_f32_f16_e32 v1, v1
	s_delay_alu instid0(VALU_DEP_1)
	v_cvt_i32_f32_e32 v1, v1
.LBB47_501:
	s_mov_b32 s27, 0
.LBB47_502:
	s_delay_alu instid0(SALU_CYCLE_1)
	s_and_not1_b32 vcc_lo, exec_lo, s27
	s_cbranch_vccnz .LBB47_513
; %bb.503:
	s_cmp_lt_i32 s0, 6
	s_cbranch_scc1 .LBB47_506
; %bb.504:
	s_cmp_gt_i32 s0, 6
	s_cbranch_scc0 .LBB47_507
; %bb.505:
	global_load_b64 v[6:7], v[4:5], off
	s_mov_b32 s27, 0
	s_wait_loadcnt 0x0
	v_cvt_i32_f64_e32 v1, v[6:7]
	s_branch .LBB47_508
.LBB47_506:
	s_mov_b32 s27, -1
                                        ; implicit-def: $vgpr1
	s_branch .LBB47_511
.LBB47_507:
	s_mov_b32 s27, -1
                                        ; implicit-def: $vgpr1
.LBB47_508:
	s_delay_alu instid0(SALU_CYCLE_1)
	s_and_not1_b32 vcc_lo, exec_lo, s27
	s_cbranch_vccnz .LBB47_510
; %bb.509:
	s_wait_loadcnt 0x0
	global_load_b32 v1, v[4:5], off
	s_wait_loadcnt 0x0
	v_cvt_i32_f32_e32 v1, v1
.LBB47_510:
	s_mov_b32 s27, 0
.LBB47_511:
	s_delay_alu instid0(SALU_CYCLE_1)
	s_and_not1_b32 vcc_lo, exec_lo, s27
	s_cbranch_vccnz .LBB47_513
; %bb.512:
	s_wait_loadcnt 0x0
	global_load_u16 v1, v[4:5], off
	s_wait_loadcnt 0x0
	v_cvt_f32_f16_e32 v1, v1
	s_delay_alu instid0(VALU_DEP_1)
	v_cvt_i32_f32_e32 v1, v1
.LBB47_513:
	s_mov_b32 s27, 0
.LBB47_514:
	s_delay_alu instid0(SALU_CYCLE_1)
	s_and_not1_b32 vcc_lo, exec_lo, s27
	s_cbranch_vccnz .LBB47_534
; %bb.515:
	s_cmp_lt_i32 s0, 2
	s_cbranch_scc1 .LBB47_519
; %bb.516:
	s_cmp_lt_i32 s0, 3
	s_cbranch_scc1 .LBB47_520
; %bb.517:
	s_cmp_gt_i32 s0, 3
	s_cbranch_scc0 .LBB47_521
; %bb.518:
	s_wait_loadcnt 0x0
	global_load_b32 v1, v[4:5], off
	s_mov_b32 s27, 0
	s_branch .LBB47_522
.LBB47_519:
	s_mov_b32 s27, -1
                                        ; implicit-def: $vgpr1
	s_branch .LBB47_528
.LBB47_520:
	s_mov_b32 s27, -1
                                        ; implicit-def: $vgpr1
	s_branch .LBB47_525
.LBB47_521:
	s_mov_b32 s27, -1
                                        ; implicit-def: $vgpr1
.LBB47_522:
	s_delay_alu instid0(SALU_CYCLE_1)
	s_and_not1_b32 vcc_lo, exec_lo, s27
	s_cbranch_vccnz .LBB47_524
; %bb.523:
	s_wait_loadcnt 0x0
	global_load_b32 v1, v[4:5], off
.LBB47_524:
	s_mov_b32 s27, 0
.LBB47_525:
	s_delay_alu instid0(SALU_CYCLE_1)
	s_and_not1_b32 vcc_lo, exec_lo, s27
	s_cbranch_vccnz .LBB47_527
; %bb.526:
	s_wait_loadcnt 0x0
	global_load_i16 v1, v[4:5], off
.LBB47_527:
	s_mov_b32 s27, 0
.LBB47_528:
	s_delay_alu instid0(SALU_CYCLE_1)
	s_and_not1_b32 vcc_lo, exec_lo, s27
	s_cbranch_vccnz .LBB47_534
; %bb.529:
	s_cmp_gt_i32 s0, 0
	s_mov_b32 s0, 0
	s_cbranch_scc0 .LBB47_531
; %bb.530:
	s_wait_loadcnt 0x0
	global_load_i8 v1, v[4:5], off
	s_branch .LBB47_532
.LBB47_531:
	s_mov_b32 s0, -1
                                        ; implicit-def: $vgpr1
.LBB47_532:
	s_delay_alu instid0(SALU_CYCLE_1)
	s_and_not1_b32 vcc_lo, exec_lo, s0
	s_cbranch_vccnz .LBB47_534
; %bb.533:
	s_wait_loadcnt 0x0
	global_load_u8 v1, v[4:5], off
.LBB47_534:
	s_branch .LBB47_293
.LBB47_535:
	s_mov_b32 s27, 0
	s_mov_b32 s0, s20
.LBB47_536:
                                        ; implicit-def: $vgpr0
.LBB47_537:
	s_and_not1_b32 s28, s20, exec_lo
	s_and_b32 s0, s0, exec_lo
	s_and_not1_b32 s29, s42, exec_lo
	s_and_b32 s26, s26, exec_lo
	s_or_b32 s45, s28, s0
	s_or_b32 s44, s29, s26
	s_or_not1_b32 s0, s27, exec_lo
.LBB47_538:
	s_wait_xcnt 0x0
	s_or_b32 exec_lo, exec_lo, s46
	s_mov_b32 s26, 0
	s_mov_b32 s27, 0
	;; [unrolled: 1-line block ×3, first 2 shown]
                                        ; implicit-def: $vgpr4_vgpr5
                                        ; implicit-def: $vgpr2
                                        ; implicit-def: $vgpr6
	s_and_saveexec_b32 s46, s0
	s_cbranch_execz .LBB47_911
; %bb.539:
	s_mov_b32 s29, -1
	s_mov_b32 s0, s44
	s_mov_b32 s30, s45
	s_mov_b32 s47, exec_lo
	v_cmpx_gt_i32_e64 s39, v0
	s_cbranch_execz .LBB47_812
; %bb.540:
	s_and_not1_b32 vcc_lo, exec_lo, s35
	s_cbranch_vccnz .LBB47_546
; %bb.541:
	s_and_not1_b32 vcc_lo, exec_lo, s41
	s_cbranch_vccnz .LBB47_547
; %bb.542:
	s_add_co_i32 s0, s40, 1
	s_cmp_eq_u32 s34, 2
	s_cbranch_scc1 .LBB47_548
; %bb.543:
	v_dual_mov_b32 v2, 0 :: v_dual_mov_b32 v4, 0
	s_wait_loadcnt 0x0
	v_mov_b32_e32 v1, v0
	s_and_b32 s26, s0, 28
	s_mov_b64 s[28:29], s[16:17]
	s_mov_b64 s[30:31], s[24:25]
.LBB47_544:                             ; =>This Inner Loop Header: Depth=1
	s_clause 0x1
	s_load_b256 s[48:55], s[28:29], 0x4
	s_load_b128 s[64:67], s[28:29], 0x24
	s_load_b256 s[56:63], s[30:31], 0x0
	s_add_co_i32 s27, s27, 4
	s_wait_xcnt 0x0
	s_add_nc_u64 s[28:29], s[28:29], 48
	s_cmp_eq_u32 s26, s27
	s_add_nc_u64 s[30:31], s[30:31], 32
	s_wait_kmcnt 0x0
	v_mul_hi_u32 v3, s49, v1
	s_delay_alu instid0(VALU_DEP_1) | instskip(NEXT) | instid1(VALU_DEP_1)
	v_add_nc_u32_e32 v3, v1, v3
	v_lshrrev_b32_e32 v3, s50, v3
	s_delay_alu instid0(VALU_DEP_1) | instskip(NEXT) | instid1(VALU_DEP_1)
	v_mul_hi_u32 v5, s52, v3
	v_add_nc_u32_e32 v5, v3, v5
	s_delay_alu instid0(VALU_DEP_1) | instskip(NEXT) | instid1(VALU_DEP_1)
	v_lshrrev_b32_e32 v5, s53, v5
	v_mul_hi_u32 v6, s55, v5
	s_delay_alu instid0(VALU_DEP_1) | instskip(SKIP_1) | instid1(VALU_DEP_1)
	v_add_nc_u32_e32 v6, v5, v6
	v_mul_lo_u32 v7, v3, s48
	v_sub_nc_u32_e32 v1, v1, v7
	v_mul_lo_u32 v7, v5, s51
	s_delay_alu instid0(VALU_DEP_4) | instskip(NEXT) | instid1(VALU_DEP_3)
	v_lshrrev_b32_e32 v6, s64, v6
	v_mad_u32 v4, v1, s57, v4
	v_mad_u32 v1, v1, s56, v2
	s_delay_alu instid0(VALU_DEP_4) | instskip(NEXT) | instid1(VALU_DEP_4)
	v_sub_nc_u32_e32 v2, v3, v7
	v_mul_hi_u32 v8, s66, v6
	v_mul_lo_u32 v3, v6, s54
	s_delay_alu instid0(VALU_DEP_3) | instskip(SKIP_1) | instid1(VALU_DEP_3)
	v_mad_u32 v4, v2, s59, v4
	v_mad_u32 v2, v2, s58, v1
	v_dual_add_nc_u32 v7, v6, v8 :: v_dual_sub_nc_u32 v3, v5, v3
	s_delay_alu instid0(VALU_DEP_1) | instskip(NEXT) | instid1(VALU_DEP_2)
	v_lshrrev_b32_e32 v1, s67, v7
	v_mad_u32 v4, v3, s61, v4
	s_delay_alu instid0(VALU_DEP_4) | instskip(NEXT) | instid1(VALU_DEP_3)
	v_mad_u32 v2, v3, s60, v2
	v_mul_lo_u32 v5, v1, s65
	s_delay_alu instid0(VALU_DEP_1) | instskip(NEXT) | instid1(VALU_DEP_1)
	v_sub_nc_u32_e32 v3, v6, v5
	v_mad_u32 v4, v3, s63, v4
	s_delay_alu instid0(VALU_DEP_4)
	v_mad_u32 v2, v3, s62, v2
	s_cbranch_scc0 .LBB47_544
; %bb.545:
	s_delay_alu instid0(VALU_DEP_2)
	v_mov_b32_e32 v3, v4
	s_branch .LBB47_549
.LBB47_546:
	s_mov_b32 s0, -1
                                        ; implicit-def: $vgpr4
                                        ; implicit-def: $vgpr2
	s_branch .LBB47_554
.LBB47_547:
	v_dual_mov_b32 v4, 0 :: v_dual_mov_b32 v2, 0
	s_branch .LBB47_553
.LBB47_548:
	v_mov_b64_e32 v[2:3], 0
	s_wait_loadcnt 0x0
	v_mov_b32_e32 v1, v0
                                        ; implicit-def: $vgpr4
.LBB47_549:
	s_and_b32 s0, s0, 3
	s_mov_b32 s27, 0
	s_cmp_eq_u32 s0, 0
	s_cbranch_scc1 .LBB47_553
; %bb.550:
	s_lshl_b32 s28, s26, 3
	s_mov_b32 s29, s27
	s_mul_u64 s[30:31], s[26:27], 12
	s_add_nc_u64 s[28:29], s[16:17], s[28:29]
	s_delay_alu instid0(SALU_CYCLE_1)
	s_add_nc_u64 s[26:27], s[28:29], 0xc4
	s_add_nc_u64 s[28:29], s[16:17], s[30:31]
.LBB47_551:                             ; =>This Inner Loop Header: Depth=1
	s_load_b96 s[48:50], s[28:29], 0x4
	s_load_b64 s[30:31], s[26:27], 0x0
	s_add_co_i32 s0, s0, -1
	s_wait_xcnt 0x0
	s_add_nc_u64 s[28:29], s[28:29], 12
	s_cmp_lg_u32 s0, 0
	s_add_nc_u64 s[26:27], s[26:27], 8
	s_wait_kmcnt 0x0
	v_mul_hi_u32 v4, s49, v1
	s_delay_alu instid0(VALU_DEP_1) | instskip(NEXT) | instid1(VALU_DEP_1)
	v_add_nc_u32_e32 v4, v1, v4
	v_lshrrev_b32_e32 v4, s50, v4
	s_delay_alu instid0(VALU_DEP_1) | instskip(NEXT) | instid1(VALU_DEP_1)
	v_mul_lo_u32 v5, v4, s48
	v_sub_nc_u32_e32 v1, v1, v5
	s_delay_alu instid0(VALU_DEP_1)
	v_mad_u32 v3, v1, s31, v3
	v_mad_u32 v2, v1, s30, v2
	v_mov_b32_e32 v1, v4
	s_cbranch_scc1 .LBB47_551
; %bb.552:
	s_delay_alu instid0(VALU_DEP_3)
	v_mov_b32_e32 v4, v3
.LBB47_553:
	s_mov_b32 s0, 0
.LBB47_554:
	s_delay_alu instid0(SALU_CYCLE_1)
	s_and_not1_b32 vcc_lo, exec_lo, s0
	s_cbranch_vccnz .LBB47_557
; %bb.555:
	s_wait_loadcnt 0x0
	v_mov_b32_e32 v1, 0
	s_and_not1_b32 vcc_lo, exec_lo, s38
	s_delay_alu instid0(VALU_DEP_1) | instskip(NEXT) | instid1(VALU_DEP_1)
	v_mul_u64_e32 v[2:3], s[18:19], v[0:1]
	v_add_nc_u32_e32 v2, v0, v3
	s_delay_alu instid0(VALU_DEP_1) | instskip(NEXT) | instid1(VALU_DEP_1)
	v_lshrrev_b32_e32 v6, s10, v2
	v_mul_lo_u32 v2, v6, s8
	s_delay_alu instid0(VALU_DEP_1) | instskip(NEXT) | instid1(VALU_DEP_1)
	v_sub_nc_u32_e32 v2, v0, v2
	v_mul_lo_u32 v4, v2, s13
	v_mul_lo_u32 v2, v2, s12
	s_cbranch_vccnz .LBB47_557
; %bb.556:
	v_mov_b32_e32 v7, v1
	s_delay_alu instid0(VALU_DEP_1) | instskip(NEXT) | instid1(VALU_DEP_1)
	v_mul_u64_e32 v[8:9], s[22:23], v[6:7]
	v_add_nc_u32_e32 v1, v6, v9
	s_delay_alu instid0(VALU_DEP_1) | instskip(NEXT) | instid1(VALU_DEP_1)
	v_lshrrev_b32_e32 v1, s21, v1
	v_mul_lo_u32 v1, v1, s11
	s_delay_alu instid0(VALU_DEP_1) | instskip(NEXT) | instid1(VALU_DEP_1)
	v_sub_nc_u32_e32 v1, v6, v1
	v_mad_u32 v2, v1, s14, v2
	v_mad_u32 v4, v1, s15, v4
.LBB47_557:
	v_mov_b32_e32 v5, 0
	s_and_b32 s0, 0xffff, s37
	s_delay_alu instid0(SALU_CYCLE_1) | instskip(NEXT) | instid1(VALU_DEP_1)
	s_cmp_lt_i32 s0, 11
	v_add_nc_u64_e32 v[4:5], s[6:7], v[4:5]
	s_cbranch_scc1 .LBB47_564
; %bb.558:
	s_cmp_gt_i32 s0, 25
	s_cbranch_scc0 .LBB47_565
; %bb.559:
	s_cmp_gt_i32 s0, 28
	s_cbranch_scc0 .LBB47_566
	;; [unrolled: 3-line block ×4, first 2 shown]
; %bb.562:
	s_cmp_eq_u32 s0, 46
	s_mov_b32 s28, 0
	s_cbranch_scc0 .LBB47_573
; %bb.563:
	s_wait_loadcnt 0x0
	global_load_b32 v1, v[4:5], off
	s_mov_b32 s27, -1
	s_mov_b32 s26, 0
	s_wait_loadcnt 0x0
	v_lshlrev_b32_e32 v1, 16, v1
	s_delay_alu instid0(VALU_DEP_1)
	v_cvt_i32_f32_e32 v1, v1
	s_branch .LBB47_575
.LBB47_564:
	s_mov_b32 s28, -1
	s_mov_b32 s27, 0
	s_mov_b32 s26, s44
                                        ; implicit-def: $vgpr1
	s_branch .LBB47_636
.LBB47_565:
	s_mov_b32 s28, -1
	s_mov_b32 s27, 0
	s_mov_b32 s26, s44
                                        ; implicit-def: $vgpr1
	s_branch .LBB47_602
.LBB47_566:
	s_mov_b32 s28, -1
	s_mov_b32 s27, 0
	s_mov_b32 s26, s44
                                        ; implicit-def: $vgpr1
	s_branch .LBB47_585
.LBB47_567:
	s_mov_b32 s28, -1
	s_mov_b32 s27, 0
	s_mov_b32 s26, s44
                                        ; implicit-def: $vgpr1
	s_branch .LBB47_580
.LBB47_568:
	s_and_not1_saveexec_b32 s44, s44
	s_cbranch_execz .LBB47_339
.LBB47_569:
	v_add_f32_e32 v1, 0x46000000, v4
	s_and_not1_b32 s31, s31, exec_lo
	s_delay_alu instid0(VALU_DEP_1) | instskip(NEXT) | instid1(VALU_DEP_1)
	v_and_b32_e32 v1, 0xff, v1
	v_cmp_ne_u32_e32 vcc_lo, 0, v1
	s_and_b32 s45, vcc_lo, exec_lo
	s_delay_alu instid0(SALU_CYCLE_1)
	s_or_b32 s31, s31, s45
	s_or_b32 exec_lo, exec_lo, s44
	v_mov_b32_e32 v5, 0
	s_and_saveexec_b32 s44, s31
	s_cbranch_execnz .LBB47_340
	s_branch .LBB47_341
.LBB47_570:
	s_mov_b32 s28, -1
	s_mov_b32 s27, 0
	s_mov_b32 s26, s44
	s_branch .LBB47_574
.LBB47_571:
	s_and_not1_saveexec_b32 s44, s44
	s_cbranch_execz .LBB47_352
.LBB47_572:
	v_add_f32_e32 v1, 0x42800000, v4
	s_and_not1_b32 s31, s31, exec_lo
	s_delay_alu instid0(VALU_DEP_1) | instskip(NEXT) | instid1(VALU_DEP_1)
	v_and_b32_e32 v1, 0xff, v1
	v_cmp_ne_u32_e32 vcc_lo, 0, v1
	s_and_b32 s45, vcc_lo, exec_lo
	s_delay_alu instid0(SALU_CYCLE_1)
	s_or_b32 s31, s31, s45
	s_or_b32 exec_lo, exec_lo, s44
	v_mov_b32_e32 v5, 0
	s_and_saveexec_b32 s44, s31
	s_cbranch_execnz .LBB47_353
	s_branch .LBB47_354
.LBB47_573:
	s_mov_b32 s26, -1
	s_mov_b32 s27, 0
.LBB47_574:
                                        ; implicit-def: $vgpr1
.LBB47_575:
	s_and_b32 vcc_lo, exec_lo, s28
	s_cbranch_vccz .LBB47_579
; %bb.576:
	s_cmp_eq_u32 s0, 44
	s_cbranch_scc0 .LBB47_578
; %bb.577:
	s_wait_loadcnt 0x0
	global_load_u8 v1, v[4:5], off
	s_mov_b32 s26, 0
	s_mov_b32 s27, -1
	s_wait_loadcnt 0x0
	v_lshlrev_b32_e32 v3, 23, v1
	v_cmp_ne_u32_e32 vcc_lo, 0, v1
	s_delay_alu instid0(VALU_DEP_2) | instskip(NEXT) | instid1(VALU_DEP_1)
	v_cvt_i32_f32_e32 v3, v3
	v_cndmask_b32_e32 v1, 0, v3, vcc_lo
	s_branch .LBB47_579
.LBB47_578:
	s_mov_b32 s26, -1
                                        ; implicit-def: $vgpr1
.LBB47_579:
	s_mov_b32 s28, 0
.LBB47_580:
	s_delay_alu instid0(SALU_CYCLE_1)
	s_and_b32 vcc_lo, exec_lo, s28
	s_cbranch_vccz .LBB47_584
; %bb.581:
	s_cmp_eq_u32 s0, 29
	s_cbranch_scc0 .LBB47_583
; %bb.582:
	s_wait_loadcnt 0x0
	global_load_b32 v1, v[4:5], off
	s_mov_b32 s27, -1
	s_mov_b32 s26, 0
	s_branch .LBB47_584
.LBB47_583:
	s_mov_b32 s26, -1
                                        ; implicit-def: $vgpr1
.LBB47_584:
	s_mov_b32 s28, 0
.LBB47_585:
	s_delay_alu instid0(SALU_CYCLE_1)
	s_and_b32 vcc_lo, exec_lo, s28
	s_cbranch_vccz .LBB47_601
; %bb.586:
	s_cmp_lt_i32 s0, 27
	s_cbranch_scc1 .LBB47_589
; %bb.587:
	s_cmp_gt_i32 s0, 27
	s_cbranch_scc0 .LBB47_590
; %bb.588:
	s_wait_loadcnt 0x0
	global_load_b32 v1, v[4:5], off
	s_mov_b32 s27, 0
	s_branch .LBB47_591
.LBB47_589:
	s_mov_b32 s27, -1
                                        ; implicit-def: $vgpr1
	s_branch .LBB47_594
.LBB47_590:
	s_mov_b32 s27, -1
                                        ; implicit-def: $vgpr1
.LBB47_591:
	s_delay_alu instid0(SALU_CYCLE_1)
	s_and_not1_b32 vcc_lo, exec_lo, s27
	s_cbranch_vccnz .LBB47_593
; %bb.592:
	s_wait_loadcnt 0x0
	global_load_u16 v1, v[4:5], off
.LBB47_593:
	s_mov_b32 s27, 0
.LBB47_594:
	s_delay_alu instid0(SALU_CYCLE_1)
	s_and_not1_b32 vcc_lo, exec_lo, s27
	s_cbranch_vccnz .LBB47_600
; %bb.595:
	global_load_u8 v3, v[4:5], off
	s_mov_b32 s28, 0
	s_mov_b32 s27, exec_lo
	s_wait_loadcnt 0x0
	v_cmpx_lt_i16_e32 0x7f, v3
	s_xor_b32 s27, exec_lo, s27
	s_cbranch_execz .LBB47_612
; %bb.596:
	v_cmp_ne_u16_e32 vcc_lo, 0x80, v3
	s_and_b32 s28, vcc_lo, exec_lo
	s_and_not1_saveexec_b32 s27, s27
	s_cbranch_execnz .LBB47_613
.LBB47_597:
	s_or_b32 exec_lo, exec_lo, s27
	v_mov_b32_e32 v1, 0
	s_and_saveexec_b32 s27, s28
	s_cbranch_execz .LBB47_599
.LBB47_598:
	v_and_b32_e32 v1, 0xffff, v3
	s_delay_alu instid0(VALU_DEP_1) | instskip(SKIP_1) | instid1(VALU_DEP_2)
	v_and_b32_e32 v6, 7, v1
	v_bfe_u32 v9, v1, 3, 4
	v_clz_i32_u32_e32 v7, v6
	s_delay_alu instid0(VALU_DEP_2) | instskip(NEXT) | instid1(VALU_DEP_2)
	v_cmp_eq_u32_e32 vcc_lo, 0, v9
	v_min_u32_e32 v7, 32, v7
	s_delay_alu instid0(VALU_DEP_1) | instskip(NEXT) | instid1(VALU_DEP_1)
	v_subrev_nc_u32_e32 v8, 28, v7
	v_dual_lshlrev_b32 v1, v8, v1 :: v_dual_sub_nc_u32 v7, 29, v7
	s_delay_alu instid0(VALU_DEP_1) | instskip(NEXT) | instid1(VALU_DEP_1)
	v_dual_lshlrev_b32 v3, 24, v3 :: v_dual_bitop2_b32 v1, 7, v1 bitop3:0x40
	v_dual_cndmask_b32 v1, v6, v1, vcc_lo :: v_dual_cndmask_b32 v7, v9, v7, vcc_lo
	s_delay_alu instid0(VALU_DEP_2) | instskip(NEXT) | instid1(VALU_DEP_2)
	v_and_b32_e32 v3, 0x80000000, v3
	v_lshlrev_b32_e32 v1, 20, v1
	s_delay_alu instid0(VALU_DEP_3) | instskip(NEXT) | instid1(VALU_DEP_1)
	v_lshl_add_u32 v6, v7, 23, 0x3b800000
	v_or3_b32 v1, v3, v6, v1
	s_delay_alu instid0(VALU_DEP_1)
	v_cvt_i32_f32_e32 v1, v1
.LBB47_599:
	s_or_b32 exec_lo, exec_lo, s27
.LBB47_600:
	s_mov_b32 s27, -1
.LBB47_601:
	s_mov_b32 s28, 0
.LBB47_602:
	s_delay_alu instid0(SALU_CYCLE_1)
	s_and_b32 vcc_lo, exec_lo, s28
	s_cbranch_vccz .LBB47_635
; %bb.603:
	s_cmp_gt_i32 s0, 22
	s_cbranch_scc0 .LBB47_611
; %bb.604:
	s_cmp_lt_i32 s0, 24
	s_cbranch_scc1 .LBB47_614
; %bb.605:
	s_cmp_gt_i32 s0, 24
	s_cbranch_scc0 .LBB47_615
; %bb.606:
	global_load_u8 v3, v[4:5], off
	s_mov_b32 s28, 0
	s_mov_b32 s27, exec_lo
	s_wait_loadcnt 0x0
	v_cmpx_lt_i16_e32 0x7f, v3
	s_xor_b32 s27, exec_lo, s27
	s_cbranch_execz .LBB47_627
; %bb.607:
	v_cmp_ne_u16_e32 vcc_lo, 0x80, v3
	s_and_b32 s28, vcc_lo, exec_lo
	s_and_not1_saveexec_b32 s27, s27
	s_cbranch_execnz .LBB47_628
.LBB47_608:
	s_or_b32 exec_lo, exec_lo, s27
	v_mov_b32_e32 v1, 0
	s_and_saveexec_b32 s27, s28
	s_cbranch_execz .LBB47_610
.LBB47_609:
	v_and_b32_e32 v1, 0xffff, v3
	s_delay_alu instid0(VALU_DEP_1) | instskip(SKIP_1) | instid1(VALU_DEP_2)
	v_and_b32_e32 v6, 3, v1
	v_bfe_u32 v9, v1, 2, 5
	v_clz_i32_u32_e32 v7, v6
	s_delay_alu instid0(VALU_DEP_2) | instskip(NEXT) | instid1(VALU_DEP_2)
	v_cmp_eq_u32_e32 vcc_lo, 0, v9
	v_min_u32_e32 v7, 32, v7
	s_delay_alu instid0(VALU_DEP_1) | instskip(NEXT) | instid1(VALU_DEP_1)
	v_subrev_nc_u32_e32 v8, 29, v7
	v_dual_lshlrev_b32 v1, v8, v1 :: v_dual_sub_nc_u32 v7, 30, v7
	s_delay_alu instid0(VALU_DEP_1) | instskip(NEXT) | instid1(VALU_DEP_1)
	v_dual_lshlrev_b32 v3, 24, v3 :: v_dual_bitop2_b32 v1, 3, v1 bitop3:0x40
	v_dual_cndmask_b32 v1, v6, v1, vcc_lo :: v_dual_cndmask_b32 v7, v9, v7, vcc_lo
	s_delay_alu instid0(VALU_DEP_2) | instskip(NEXT) | instid1(VALU_DEP_2)
	v_and_b32_e32 v3, 0x80000000, v3
	v_lshlrev_b32_e32 v1, 21, v1
	s_delay_alu instid0(VALU_DEP_3) | instskip(NEXT) | instid1(VALU_DEP_1)
	v_lshl_add_u32 v6, v7, 23, 0x37800000
	v_or3_b32 v1, v3, v6, v1
	s_delay_alu instid0(VALU_DEP_1)
	v_cvt_i32_f32_e32 v1, v1
.LBB47_610:
	s_or_b32 exec_lo, exec_lo, s27
	s_mov_b32 s27, 0
	s_branch .LBB47_616
.LBB47_611:
	s_mov_b32 s28, -1
                                        ; implicit-def: $vgpr1
	s_branch .LBB47_622
.LBB47_612:
	s_and_not1_saveexec_b32 s27, s27
	s_cbranch_execz .LBB47_597
.LBB47_613:
	v_cmp_ne_u16_e32 vcc_lo, 0, v3
	s_and_not1_b32 s28, s28, exec_lo
	s_and_b32 s29, vcc_lo, exec_lo
	s_delay_alu instid0(SALU_CYCLE_1)
	s_or_b32 s28, s28, s29
	s_or_b32 exec_lo, exec_lo, s27
	v_mov_b32_e32 v1, 0
	s_and_saveexec_b32 s27, s28
	s_cbranch_execnz .LBB47_598
	s_branch .LBB47_599
.LBB47_614:
	s_mov_b32 s27, -1
                                        ; implicit-def: $vgpr1
	s_branch .LBB47_619
.LBB47_615:
	s_mov_b32 s27, -1
                                        ; implicit-def: $vgpr1
.LBB47_616:
	s_delay_alu instid0(SALU_CYCLE_1)
	s_and_b32 vcc_lo, exec_lo, s27
	s_cbranch_vccz .LBB47_618
; %bb.617:
	s_wait_loadcnt 0x0
	global_load_u8 v1, v[4:5], off
	s_wait_loadcnt 0x0
	v_lshlrev_b32_e32 v1, 24, v1
	s_delay_alu instid0(VALU_DEP_1) | instskip(NEXT) | instid1(VALU_DEP_1)
	v_and_b32_e32 v3, 0x7f000000, v1
	v_clz_i32_u32_e32 v6, v3
	v_cmp_ne_u32_e32 vcc_lo, 0, v3
	v_add_nc_u32_e32 v8, 0x1000000, v3
	s_delay_alu instid0(VALU_DEP_3) | instskip(NEXT) | instid1(VALU_DEP_1)
	v_min_u32_e32 v6, 32, v6
	v_sub_nc_u32_e64 v6, v6, 4 clamp
	s_delay_alu instid0(VALU_DEP_1) | instskip(NEXT) | instid1(VALU_DEP_1)
	v_dual_lshlrev_b32 v7, v6, v3 :: v_dual_lshlrev_b32 v6, 23, v6
	v_lshrrev_b32_e32 v7, 4, v7
	s_delay_alu instid0(VALU_DEP_1) | instskip(NEXT) | instid1(VALU_DEP_1)
	v_dual_sub_nc_u32 v6, v7, v6 :: v_dual_ashrrev_i32 v7, 8, v8
	v_add_nc_u32_e32 v6, 0x3c000000, v6
	s_delay_alu instid0(VALU_DEP_1) | instskip(NEXT) | instid1(VALU_DEP_1)
	v_and_or_b32 v6, 0x7f800000, v7, v6
	v_cndmask_b32_e32 v3, 0, v6, vcc_lo
	s_delay_alu instid0(VALU_DEP_1) | instskip(NEXT) | instid1(VALU_DEP_1)
	v_and_or_b32 v1, 0x80000000, v1, v3
	v_cvt_i32_f32_e32 v1, v1
.LBB47_618:
	s_mov_b32 s27, 0
.LBB47_619:
	s_delay_alu instid0(SALU_CYCLE_1)
	s_and_not1_b32 vcc_lo, exec_lo, s27
	s_cbranch_vccnz .LBB47_621
; %bb.620:
	s_wait_loadcnt 0x0
	global_load_u8 v1, v[4:5], off
	s_wait_loadcnt 0x0
	v_lshlrev_b32_e32 v3, 25, v1
	v_lshlrev_b16 v1, 8, v1
	s_delay_alu instid0(VALU_DEP_1) | instskip(SKIP_1) | instid1(VALU_DEP_2)
	v_and_or_b32 v7, 0x7f00, v1, 0.5
	v_bfe_i32 v1, v1, 0, 16
	v_add_f32_e32 v7, -0.5, v7
	v_lshrrev_b32_e32 v6, 4, v3
	v_cmp_gt_u32_e32 vcc_lo, 0x8000000, v3
	s_delay_alu instid0(VALU_DEP_2) | instskip(NEXT) | instid1(VALU_DEP_1)
	v_or_b32_e32 v6, 0x70000000, v6
	v_mul_f32_e32 v6, 0x7800000, v6
	s_delay_alu instid0(VALU_DEP_1) | instskip(NEXT) | instid1(VALU_DEP_1)
	v_cndmask_b32_e32 v3, v6, v7, vcc_lo
	v_and_or_b32 v1, 0x80000000, v1, v3
	s_delay_alu instid0(VALU_DEP_1)
	v_cvt_i32_f32_e32 v1, v1
.LBB47_621:
	s_mov_b32 s28, 0
	s_mov_b32 s27, -1
.LBB47_622:
	s_and_not1_b32 vcc_lo, exec_lo, s28
	s_cbranch_vccnz .LBB47_635
; %bb.623:
	s_cmp_gt_i32 s0, 14
	s_cbranch_scc0 .LBB47_626
; %bb.624:
	s_cmp_eq_u32 s0, 15
	s_cbranch_scc0 .LBB47_629
; %bb.625:
	s_wait_loadcnt 0x0
	global_load_u16 v1, v[4:5], off
	s_mov_b32 s27, -1
	s_mov_b32 s26, 0
	s_wait_loadcnt 0x0
	v_lshlrev_b32_e32 v1, 16, v1
	s_delay_alu instid0(VALU_DEP_1)
	v_cvt_i32_f32_e32 v1, v1
	s_branch .LBB47_630
.LBB47_626:
	s_mov_b32 s28, -1
                                        ; implicit-def: $vgpr1
	s_branch .LBB47_631
.LBB47_627:
	s_and_not1_saveexec_b32 s27, s27
	s_cbranch_execz .LBB47_608
.LBB47_628:
	v_cmp_ne_u16_e32 vcc_lo, 0, v3
	s_and_not1_b32 s28, s28, exec_lo
	s_and_b32 s29, vcc_lo, exec_lo
	s_delay_alu instid0(SALU_CYCLE_1)
	s_or_b32 s28, s28, s29
	s_or_b32 exec_lo, exec_lo, s27
	v_mov_b32_e32 v1, 0
	s_and_saveexec_b32 s27, s28
	s_cbranch_execnz .LBB47_609
	s_branch .LBB47_610
.LBB47_629:
	s_mov_b32 s26, -1
                                        ; implicit-def: $vgpr1
.LBB47_630:
	s_mov_b32 s28, 0
.LBB47_631:
	s_delay_alu instid0(SALU_CYCLE_1)
	s_and_b32 vcc_lo, exec_lo, s28
	s_cbranch_vccz .LBB47_635
; %bb.632:
	s_cmp_eq_u32 s0, 11
	s_cbranch_scc0 .LBB47_634
; %bb.633:
	s_wait_loadcnt 0x0
	global_load_u8 v1, v[4:5], off
	s_mov_b32 s26, 0
	s_mov_b32 s27, -1
	s_wait_loadcnt 0x0
	v_cmp_ne_u16_e32 vcc_lo, 0, v1
	v_cndmask_b32_e64 v1, 0, 1, vcc_lo
	s_branch .LBB47_635
.LBB47_634:
	s_mov_b32 s26, -1
                                        ; implicit-def: $vgpr1
.LBB47_635:
	s_mov_b32 s28, 0
.LBB47_636:
	s_delay_alu instid0(SALU_CYCLE_1)
	s_and_b32 vcc_lo, exec_lo, s28
	s_cbranch_vccz .LBB47_685
; %bb.637:
	s_cmp_lt_i32 s0, 5
	s_cbranch_scc1 .LBB47_642
; %bb.638:
	s_cmp_lt_i32 s0, 8
	s_cbranch_scc1 .LBB47_643
	;; [unrolled: 3-line block ×3, first 2 shown]
; %bb.640:
	s_cmp_gt_i32 s0, 9
	s_cbranch_scc0 .LBB47_645
; %bb.641:
	global_load_b64 v[6:7], v[4:5], off
	s_mov_b32 s27, 0
	s_wait_loadcnt 0x0
	v_cvt_i32_f64_e32 v1, v[6:7]
	s_branch .LBB47_646
.LBB47_642:
	s_mov_b32 s27, -1
                                        ; implicit-def: $vgpr1
	s_branch .LBB47_664
.LBB47_643:
	s_mov_b32 s27, -1
                                        ; implicit-def: $vgpr1
	s_branch .LBB47_652
.LBB47_644:
	s_mov_b32 s27, -1
                                        ; implicit-def: $vgpr1
	s_branch .LBB47_649
.LBB47_645:
	s_mov_b32 s27, -1
                                        ; implicit-def: $vgpr1
.LBB47_646:
	s_delay_alu instid0(SALU_CYCLE_1)
	s_and_not1_b32 vcc_lo, exec_lo, s27
	s_cbranch_vccnz .LBB47_648
; %bb.647:
	s_wait_loadcnt 0x0
	global_load_b32 v1, v[4:5], off
	s_wait_loadcnt 0x0
	v_cvt_i32_f32_e32 v1, v1
.LBB47_648:
	s_mov_b32 s27, 0
.LBB47_649:
	s_delay_alu instid0(SALU_CYCLE_1)
	s_and_not1_b32 vcc_lo, exec_lo, s27
	s_cbranch_vccnz .LBB47_651
; %bb.650:
	s_wait_loadcnt 0x0
	global_load_b32 v1, v[4:5], off
	s_wait_loadcnt 0x0
	v_cvt_f32_f16_e32 v1, v1
	s_delay_alu instid0(VALU_DEP_1)
	v_cvt_i32_f32_e32 v1, v1
.LBB47_651:
	s_mov_b32 s27, 0
.LBB47_652:
	s_delay_alu instid0(SALU_CYCLE_1)
	s_and_not1_b32 vcc_lo, exec_lo, s27
	s_cbranch_vccnz .LBB47_663
; %bb.653:
	s_cmp_lt_i32 s0, 6
	s_cbranch_scc1 .LBB47_656
; %bb.654:
	s_cmp_gt_i32 s0, 6
	s_cbranch_scc0 .LBB47_657
; %bb.655:
	global_load_b64 v[6:7], v[4:5], off
	s_mov_b32 s27, 0
	s_wait_loadcnt 0x0
	v_cvt_i32_f64_e32 v1, v[6:7]
	s_branch .LBB47_658
.LBB47_656:
	s_mov_b32 s27, -1
                                        ; implicit-def: $vgpr1
	s_branch .LBB47_661
.LBB47_657:
	s_mov_b32 s27, -1
                                        ; implicit-def: $vgpr1
.LBB47_658:
	s_delay_alu instid0(SALU_CYCLE_1)
	s_and_not1_b32 vcc_lo, exec_lo, s27
	s_cbranch_vccnz .LBB47_660
; %bb.659:
	s_wait_loadcnt 0x0
	global_load_b32 v1, v[4:5], off
	s_wait_loadcnt 0x0
	v_cvt_i32_f32_e32 v1, v1
.LBB47_660:
	s_mov_b32 s27, 0
.LBB47_661:
	s_delay_alu instid0(SALU_CYCLE_1)
	s_and_not1_b32 vcc_lo, exec_lo, s27
	s_cbranch_vccnz .LBB47_663
; %bb.662:
	s_wait_loadcnt 0x0
	global_load_u16 v1, v[4:5], off
	s_wait_loadcnt 0x0
	v_cvt_f32_f16_e32 v1, v1
	s_delay_alu instid0(VALU_DEP_1)
	v_cvt_i32_f32_e32 v1, v1
.LBB47_663:
	s_mov_b32 s27, 0
.LBB47_664:
	s_delay_alu instid0(SALU_CYCLE_1)
	s_and_not1_b32 vcc_lo, exec_lo, s27
	s_cbranch_vccnz .LBB47_684
; %bb.665:
	s_cmp_lt_i32 s0, 2
	s_cbranch_scc1 .LBB47_669
; %bb.666:
	s_cmp_lt_i32 s0, 3
	s_cbranch_scc1 .LBB47_670
; %bb.667:
	s_cmp_gt_i32 s0, 3
	s_cbranch_scc0 .LBB47_671
; %bb.668:
	s_wait_loadcnt 0x0
	global_load_b32 v1, v[4:5], off
	s_mov_b32 s27, 0
	s_branch .LBB47_672
.LBB47_669:
	s_mov_b32 s27, -1
                                        ; implicit-def: $vgpr1
	s_branch .LBB47_678
.LBB47_670:
	s_mov_b32 s27, -1
                                        ; implicit-def: $vgpr1
	s_branch .LBB47_675
.LBB47_671:
	s_mov_b32 s27, -1
                                        ; implicit-def: $vgpr1
.LBB47_672:
	s_delay_alu instid0(SALU_CYCLE_1)
	s_and_not1_b32 vcc_lo, exec_lo, s27
	s_cbranch_vccnz .LBB47_674
; %bb.673:
	s_wait_loadcnt 0x0
	global_load_b32 v1, v[4:5], off
.LBB47_674:
	s_mov_b32 s27, 0
.LBB47_675:
	s_delay_alu instid0(SALU_CYCLE_1)
	s_and_not1_b32 vcc_lo, exec_lo, s27
	s_cbranch_vccnz .LBB47_677
; %bb.676:
	s_wait_loadcnt 0x0
	global_load_i16 v1, v[4:5], off
.LBB47_677:
	s_mov_b32 s27, 0
.LBB47_678:
	s_delay_alu instid0(SALU_CYCLE_1)
	s_and_not1_b32 vcc_lo, exec_lo, s27
	s_cbranch_vccnz .LBB47_684
; %bb.679:
	s_cmp_gt_i32 s0, 0
	s_mov_b32 s0, 0
	s_cbranch_scc0 .LBB47_681
; %bb.680:
	s_wait_loadcnt 0x0
	global_load_i8 v1, v[4:5], off
	s_branch .LBB47_682
.LBB47_681:
	s_mov_b32 s0, -1
                                        ; implicit-def: $vgpr1
.LBB47_682:
	s_delay_alu instid0(SALU_CYCLE_1)
	s_and_not1_b32 vcc_lo, exec_lo, s0
	s_cbranch_vccnz .LBB47_684
; %bb.683:
	s_wait_loadcnt 0x0
	global_load_u8 v1, v[4:5], off
.LBB47_684:
	s_mov_b32 s27, -1
.LBB47_685:
	s_delay_alu instid0(SALU_CYCLE_1)
	s_and_not1_b32 vcc_lo, exec_lo, s27
	s_cbranch_vccnz .LBB47_693
; %bb.686:
	v_mov_b32_e32 v3, 0
	s_wait_loadcnt 0x0
	s_delay_alu instid0(VALU_DEP_2) | instskip(SKIP_1) | instid1(VALU_DEP_2)
	v_cmp_ne_u32_e32 vcc_lo, s1, v1
	s_and_b32 s28, s2, 0xff
	v_add_nc_u64_e32 v[2:3], s[4:5], v[2:3]
	s_xor_b32 s27, s9, vcc_lo
	s_cmp_lt_i32 s28, 11
	s_cbranch_scc1 .LBB47_694
; %bb.687:
	s_and_b32 s29, 0xffff, s28
	s_delay_alu instid0(SALU_CYCLE_1)
	s_cmp_gt_i32 s29, 25
	s_cbranch_scc0 .LBB47_695
; %bb.688:
	s_cmp_gt_i32 s29, 28
	s_cbranch_scc0 .LBB47_696
; %bb.689:
	s_cmp_gt_i32 s29, 43
	s_cbranch_scc0 .LBB47_697
; %bb.690:
	s_cmp_gt_i32 s29, 45
	s_cbranch_scc0 .LBB47_698
; %bb.691:
	s_mov_b32 s31, 0
	s_mov_b32 s0, -1
	s_cmp_eq_u32 s29, 46
	s_mov_b32 s30, 0
	s_cbranch_scc0 .LBB47_699
; %bb.692:
	v_cndmask_b32_e64 v1, 0, 1.0, s27
	s_mov_b32 s30, -1
	s_mov_b32 s0, 0
	s_wait_xcnt 0x0
	s_delay_alu instid0(VALU_DEP_1) | instskip(NEXT) | instid1(VALU_DEP_1)
	v_bfe_u32 v4, v1, 16, 1
	v_add3_u32 v1, v1, v4, 0x7fff
	s_delay_alu instid0(VALU_DEP_1)
	v_lshrrev_b32_e32 v1, 16, v1
	global_store_b32 v[2:3], v1, off
	s_branch .LBB47_699
.LBB47_693:
	s_mov_b32 s27, 0
	s_mov_b32 s0, s45
	s_branch .LBB47_810
.LBB47_694:
	s_mov_b32 s29, -1
	s_mov_b32 s30, 0
	s_mov_b32 s0, s45
	s_branch .LBB47_768
.LBB47_695:
	s_mov_b32 s31, -1
	s_mov_b32 s30, 0
	s_mov_b32 s0, s45
	s_branch .LBB47_726
.LBB47_696:
	s_mov_b32 s31, -1
	s_mov_b32 s30, 0
	s_mov_b32 s0, s45
	s_branch .LBB47_709
.LBB47_697:
	s_mov_b32 s31, -1
	s_mov_b32 s30, 0
	s_mov_b32 s0, s45
	s_branch .LBB47_705
.LBB47_698:
	s_mov_b32 s31, -1
	s_mov_b32 s30, 0
	s_mov_b32 s0, s45
.LBB47_699:
	s_and_b32 vcc_lo, exec_lo, s31
	s_cbranch_vccz .LBB47_704
; %bb.700:
	s_cmp_eq_u32 s29, 44
	s_mov_b32 s0, -1
	s_cbranch_scc0 .LBB47_704
; %bb.701:
	s_wait_xcnt 0x0
	v_cndmask_b32_e64 v5, 0, 1.0, s27
	s_mov_b32 s30, exec_lo
	s_delay_alu instid0(VALU_DEP_1) | instskip(NEXT) | instid1(VALU_DEP_1)
	v_dual_mov_b32 v4, 0xff :: v_dual_lshrrev_b32 v1, 23, v5
	v_cmpx_ne_u32_e32 0xff, v1
; %bb.702:
	v_and_b32_e32 v4, 0x400000, v5
	v_and_or_b32 v5, 0x3fffff, v5, v1
	s_delay_alu instid0(VALU_DEP_2) | instskip(NEXT) | instid1(VALU_DEP_2)
	v_cmp_ne_u32_e32 vcc_lo, 0, v4
	v_cmp_ne_u32_e64 s0, 0, v5
	s_and_b32 s0, vcc_lo, s0
	s_delay_alu instid0(SALU_CYCLE_1) | instskip(NEXT) | instid1(VALU_DEP_1)
	v_cndmask_b32_e64 v4, 0, 1, s0
	v_add_nc_u32_e32 v4, v1, v4
; %bb.703:
	s_or_b32 exec_lo, exec_lo, s30
	s_mov_b32 s30, -1
	s_mov_b32 s0, 0
	global_store_b8 v[2:3], v4, off
.LBB47_704:
	s_mov_b32 s31, 0
.LBB47_705:
	s_delay_alu instid0(SALU_CYCLE_1)
	s_and_b32 vcc_lo, exec_lo, s31
	s_cbranch_vccz .LBB47_708
; %bb.706:
	s_cmp_eq_u32 s29, 29
	s_mov_b32 s0, -1
	s_cbranch_scc0 .LBB47_708
; %bb.707:
	s_mov_b32 s0, 0
	s_wait_xcnt 0x0
	v_cndmask_b32_e64 v4, 0, 1, s27
	v_mov_b32_e32 v5, s0
	s_mov_b32 s30, -1
	s_mov_b32 s31, 0
	global_store_b64 v[2:3], v[4:5], off
	s_branch .LBB47_709
.LBB47_708:
	s_mov_b32 s31, 0
.LBB47_709:
	s_delay_alu instid0(SALU_CYCLE_1)
	s_and_b32 vcc_lo, exec_lo, s31
	s_cbranch_vccz .LBB47_725
; %bb.710:
	s_cmp_lt_i32 s29, 27
	s_mov_b32 s30, -1
	s_cbranch_scc1 .LBB47_716
; %bb.711:
	s_cmp_gt_i32 s29, 27
	s_cbranch_scc0 .LBB47_713
; %bb.712:
	s_wait_xcnt 0x0
	v_cndmask_b32_e64 v1, 0, 1, s27
	s_mov_b32 s30, 0
	global_store_b32 v[2:3], v1, off
.LBB47_713:
	s_and_not1_b32 vcc_lo, exec_lo, s30
	s_cbranch_vccnz .LBB47_715
; %bb.714:
	s_wait_xcnt 0x0
	v_cndmask_b32_e64 v1, 0, 1, s27
	global_store_b16 v[2:3], v1, off
.LBB47_715:
	s_mov_b32 s30, 0
.LBB47_716:
	s_delay_alu instid0(SALU_CYCLE_1)
	s_and_not1_b32 vcc_lo, exec_lo, s30
	s_cbranch_vccnz .LBB47_724
; %bb.717:
	s_wait_xcnt 0x0
	v_cndmask_b32_e64 v4, 0, 1.0, s27
	v_mov_b32_e32 v5, 0x80
	s_mov_b32 s30, exec_lo
	s_delay_alu instid0(VALU_DEP_2)
	v_cmpx_gt_u32_e32 0x43800000, v4
	s_cbranch_execz .LBB47_723
; %bb.718:
	s_mov_b32 s31, 0
	s_mov_b32 s48, exec_lo
                                        ; implicit-def: $vgpr1
	v_cmpx_lt_u32_e32 0x3bffffff, v4
	s_xor_b32 s48, exec_lo, s48
	s_cbranch_execz .LBB47_842
; %bb.719:
	v_bfe_u32 v1, v4, 20, 1
	s_mov_b32 s31, exec_lo
	s_delay_alu instid0(VALU_DEP_1) | instskip(NEXT) | instid1(VALU_DEP_1)
	v_add3_u32 v1, v4, v1, 0x487ffff
                                        ; implicit-def: $vgpr4
	v_lshrrev_b32_e32 v1, 20, v1
	s_and_not1_saveexec_b32 s48, s48
	s_cbranch_execnz .LBB47_843
.LBB47_720:
	s_or_b32 exec_lo, exec_lo, s48
	v_mov_b32_e32 v5, 0
	s_and_saveexec_b32 s48, s31
.LBB47_721:
	v_mov_b32_e32 v5, v1
.LBB47_722:
	s_or_b32 exec_lo, exec_lo, s48
.LBB47_723:
	s_delay_alu instid0(SALU_CYCLE_1)
	s_or_b32 exec_lo, exec_lo, s30
	global_store_b8 v[2:3], v5, off
.LBB47_724:
	s_mov_b32 s30, -1
.LBB47_725:
	s_mov_b32 s31, 0
.LBB47_726:
	s_delay_alu instid0(SALU_CYCLE_1)
	s_and_b32 vcc_lo, exec_lo, s31
	s_cbranch_vccz .LBB47_767
; %bb.727:
	s_cmp_gt_i32 s29, 22
	s_mov_b32 s31, -1
	s_cbranch_scc0 .LBB47_759
; %bb.728:
	s_cmp_lt_i32 s29, 24
	s_mov_b32 s30, -1
	s_cbranch_scc1 .LBB47_748
; %bb.729:
	s_cmp_gt_i32 s29, 24
	s_cbranch_scc0 .LBB47_737
; %bb.730:
	s_wait_xcnt 0x0
	v_cndmask_b32_e64 v4, 0, 1.0, s27
	v_mov_b32_e32 v5, 0x80
	s_mov_b32 s30, exec_lo
	s_delay_alu instid0(VALU_DEP_2)
	v_cmpx_gt_u32_e32 0x47800000, v4
	s_cbranch_execz .LBB47_736
; %bb.731:
	s_mov_b32 s31, 0
	s_mov_b32 s48, exec_lo
                                        ; implicit-def: $vgpr1
	v_cmpx_lt_u32_e32 0x37ffffff, v4
	s_xor_b32 s48, exec_lo, s48
	s_cbranch_execz .LBB47_845
; %bb.732:
	v_bfe_u32 v1, v4, 21, 1
	s_mov_b32 s31, exec_lo
	s_delay_alu instid0(VALU_DEP_1) | instskip(NEXT) | instid1(VALU_DEP_1)
	v_add3_u32 v1, v4, v1, 0x88fffff
                                        ; implicit-def: $vgpr4
	v_lshrrev_b32_e32 v1, 21, v1
	s_and_not1_saveexec_b32 s48, s48
	s_cbranch_execnz .LBB47_846
.LBB47_733:
	s_or_b32 exec_lo, exec_lo, s48
	v_mov_b32_e32 v5, 0
	s_and_saveexec_b32 s48, s31
.LBB47_734:
	v_mov_b32_e32 v5, v1
.LBB47_735:
	s_or_b32 exec_lo, exec_lo, s48
.LBB47_736:
	s_delay_alu instid0(SALU_CYCLE_1)
	s_or_b32 exec_lo, exec_lo, s30
	s_mov_b32 s30, 0
	global_store_b8 v[2:3], v5, off
.LBB47_737:
	s_and_b32 vcc_lo, exec_lo, s30
	s_cbranch_vccz .LBB47_747
; %bb.738:
	s_wait_xcnt 0x0
	v_cndmask_b32_e64 v4, 0, 1.0, s27
	s_mov_b32 s30, exec_lo
                                        ; implicit-def: $vgpr1
	s_delay_alu instid0(VALU_DEP_1)
	v_cmpx_gt_u32_e32 0x43f00000, v4
	s_xor_b32 s30, exec_lo, s30
	s_cbranch_execz .LBB47_744
; %bb.739:
	s_mov_b32 s31, exec_lo
                                        ; implicit-def: $vgpr1
	v_cmpx_lt_u32_e32 0x3c7fffff, v4
	s_xor_b32 s31, exec_lo, s31
; %bb.740:
	v_bfe_u32 v1, v4, 20, 1
	s_delay_alu instid0(VALU_DEP_1) | instskip(NEXT) | instid1(VALU_DEP_1)
	v_add3_u32 v1, v4, v1, 0x407ffff
	v_and_b32_e32 v4, 0xff00000, v1
	v_lshrrev_b32_e32 v1, 20, v1
	s_delay_alu instid0(VALU_DEP_2) | instskip(NEXT) | instid1(VALU_DEP_2)
	v_cmp_ne_u32_e32 vcc_lo, 0x7f00000, v4
                                        ; implicit-def: $vgpr4
	v_cndmask_b32_e32 v1, 0x7e, v1, vcc_lo
; %bb.741:
	s_and_not1_saveexec_b32 s31, s31
; %bb.742:
	v_add_f32_e32 v1, 0x46800000, v4
; %bb.743:
	s_or_b32 exec_lo, exec_lo, s31
                                        ; implicit-def: $vgpr4
.LBB47_744:
	s_and_not1_saveexec_b32 s30, s30
; %bb.745:
	v_mov_b32_e32 v1, 0x7f
	v_cmp_lt_u32_e32 vcc_lo, 0x7f800000, v4
	s_delay_alu instid0(VALU_DEP_2)
	v_cndmask_b32_e32 v1, 0x7e, v1, vcc_lo
; %bb.746:
	s_or_b32 exec_lo, exec_lo, s30
	global_store_b8 v[2:3], v1, off
.LBB47_747:
	s_mov_b32 s30, 0
.LBB47_748:
	s_delay_alu instid0(SALU_CYCLE_1)
	s_and_not1_b32 vcc_lo, exec_lo, s30
	s_cbranch_vccnz .LBB47_758
; %bb.749:
	s_wait_xcnt 0x0
	v_cndmask_b32_e64 v4, 0, 1.0, s27
	s_mov_b32 s30, exec_lo
                                        ; implicit-def: $vgpr1
	s_delay_alu instid0(VALU_DEP_1)
	v_cmpx_gt_u32_e32 0x47800000, v4
	s_xor_b32 s30, exec_lo, s30
	s_cbranch_execz .LBB47_755
; %bb.750:
	s_mov_b32 s31, exec_lo
                                        ; implicit-def: $vgpr1
	v_cmpx_lt_u32_e32 0x387fffff, v4
	s_xor_b32 s31, exec_lo, s31
; %bb.751:
	v_bfe_u32 v1, v4, 21, 1
	s_delay_alu instid0(VALU_DEP_1) | instskip(NEXT) | instid1(VALU_DEP_1)
	v_add3_u32 v1, v4, v1, 0x80fffff
                                        ; implicit-def: $vgpr4
	v_lshrrev_b32_e32 v1, 21, v1
; %bb.752:
	s_and_not1_saveexec_b32 s31, s31
; %bb.753:
	v_add_f32_e32 v1, 0x43000000, v4
; %bb.754:
	s_or_b32 exec_lo, exec_lo, s31
                                        ; implicit-def: $vgpr4
.LBB47_755:
	s_and_not1_saveexec_b32 s30, s30
; %bb.756:
	v_mov_b32_e32 v1, 0x7f
	v_cmp_lt_u32_e32 vcc_lo, 0x7f800000, v4
	s_delay_alu instid0(VALU_DEP_2)
	v_cndmask_b32_e32 v1, 0x7c, v1, vcc_lo
; %bb.757:
	s_or_b32 exec_lo, exec_lo, s30
	global_store_b8 v[2:3], v1, off
.LBB47_758:
	s_mov_b32 s31, 0
	s_mov_b32 s30, -1
.LBB47_759:
	s_and_not1_b32 vcc_lo, exec_lo, s31
	s_cbranch_vccnz .LBB47_767
; %bb.760:
	s_cmp_gt_i32 s29, 14
	s_mov_b32 s31, -1
	s_cbranch_scc0 .LBB47_764
; %bb.761:
	s_cmp_eq_u32 s29, 15
	s_mov_b32 s0, -1
	s_cbranch_scc0 .LBB47_763
; %bb.762:
	s_wait_xcnt 0x0
	v_cndmask_b32_e64 v1, 0, 1.0, s27
	s_mov_b32 s30, -1
	s_mov_b32 s0, 0
	s_delay_alu instid0(VALU_DEP_1) | instskip(NEXT) | instid1(VALU_DEP_1)
	v_bfe_u32 v4, v1, 16, 1
	v_add3_u32 v1, v1, v4, 0x7fff
	global_store_d16_hi_b16 v[2:3], v1, off
.LBB47_763:
	s_mov_b32 s31, 0
.LBB47_764:
	s_delay_alu instid0(SALU_CYCLE_1)
	s_and_b32 vcc_lo, exec_lo, s31
	s_cbranch_vccz .LBB47_767
; %bb.765:
	s_cmp_eq_u32 s29, 11
	s_mov_b32 s0, -1
	s_cbranch_scc0 .LBB47_767
; %bb.766:
	s_wait_xcnt 0x0
	v_cndmask_b32_e64 v1, 0, 1, s27
	s_mov_b32 s30, -1
	s_mov_b32 s0, 0
	global_store_b8 v[2:3], v1, off
.LBB47_767:
	s_mov_b32 s29, 0
.LBB47_768:
	s_delay_alu instid0(SALU_CYCLE_1)
	s_and_b32 vcc_lo, exec_lo, s29
	s_cbranch_vccz .LBB47_807
; %bb.769:
	s_and_b32 s28, 0xffff, s28
	s_mov_b32 s29, -1
	s_cmp_lt_i32 s28, 5
	s_cbranch_scc1 .LBB47_790
; %bb.770:
	s_cmp_lt_i32 s28, 8
	s_cbranch_scc1 .LBB47_780
; %bb.771:
	s_cmp_lt_i32 s28, 9
	s_cbranch_scc1 .LBB47_777
; %bb.772:
	s_cmp_gt_i32 s28, 9
	s_cbranch_scc0 .LBB47_774
; %bb.773:
	s_wait_xcnt 0x0
	v_cndmask_b32_e64 v1, 0, 1, s27
	v_mov_b32_e32 v6, 0
	s_mov_b32 s29, 0
	s_delay_alu instid0(VALU_DEP_2) | instskip(NEXT) | instid1(VALU_DEP_2)
	v_cvt_f64_u32_e32 v[4:5], v1
	v_mov_b32_e32 v7, v6
	global_store_b128 v[2:3], v[4:7], off
.LBB47_774:
	s_and_not1_b32 vcc_lo, exec_lo, s29
	s_cbranch_vccnz .LBB47_776
; %bb.775:
	s_wait_xcnt 0x0
	v_cndmask_b32_e64 v4, 0, 1.0, s27
	v_mov_b32_e32 v5, 0
	global_store_b64 v[2:3], v[4:5], off
.LBB47_776:
	s_mov_b32 s29, 0
.LBB47_777:
	s_delay_alu instid0(SALU_CYCLE_1)
	s_and_not1_b32 vcc_lo, exec_lo, s29
	s_cbranch_vccnz .LBB47_779
; %bb.778:
	s_wait_xcnt 0x0
	v_cndmask_b32_e64 v1, 0, 1.0, s27
	s_delay_alu instid0(VALU_DEP_1) | instskip(NEXT) | instid1(VALU_DEP_1)
	v_cvt_f16_f32_e32 v1, v1
	v_and_b32_e32 v1, 0xffff, v1
	global_store_b32 v[2:3], v1, off
.LBB47_779:
	s_mov_b32 s29, 0
.LBB47_780:
	s_delay_alu instid0(SALU_CYCLE_1)
	s_and_not1_b32 vcc_lo, exec_lo, s29
	s_cbranch_vccnz .LBB47_789
; %bb.781:
	s_cmp_lt_i32 s28, 6
	s_mov_b32 s29, -1
	s_cbranch_scc1 .LBB47_787
; %bb.782:
	s_cmp_gt_i32 s28, 6
	s_cbranch_scc0 .LBB47_784
; %bb.783:
	s_wait_xcnt 0x0
	v_cndmask_b32_e64 v1, 0, 1, s27
	s_mov_b32 s29, 0
	s_delay_alu instid0(VALU_DEP_1)
	v_cvt_f64_u32_e32 v[4:5], v1
	global_store_b64 v[2:3], v[4:5], off
.LBB47_784:
	s_and_not1_b32 vcc_lo, exec_lo, s29
	s_cbranch_vccnz .LBB47_786
; %bb.785:
	s_wait_xcnt 0x0
	v_cndmask_b32_e64 v1, 0, 1.0, s27
	global_store_b32 v[2:3], v1, off
.LBB47_786:
	s_mov_b32 s29, 0
.LBB47_787:
	s_delay_alu instid0(SALU_CYCLE_1)
	s_and_not1_b32 vcc_lo, exec_lo, s29
	s_cbranch_vccnz .LBB47_789
; %bb.788:
	s_wait_xcnt 0x0
	v_cndmask_b32_e64 v1, 0, 1.0, s27
	s_delay_alu instid0(VALU_DEP_1)
	v_cvt_f16_f32_e32 v1, v1
	global_store_b16 v[2:3], v1, off
.LBB47_789:
	s_mov_b32 s29, 0
.LBB47_790:
	s_delay_alu instid0(SALU_CYCLE_1)
	s_and_not1_b32 vcc_lo, exec_lo, s29
	s_cbranch_vccnz .LBB47_806
; %bb.791:
	s_cmp_lt_i32 s28, 2
	s_mov_b32 s29, -1
	s_cbranch_scc1 .LBB47_801
; %bb.792:
	s_cmp_lt_i32 s28, 3
	s_cbranch_scc1 .LBB47_798
; %bb.793:
	s_cmp_gt_i32 s28, 3
	s_cbranch_scc0 .LBB47_795
; %bb.794:
	s_mov_b32 s29, 0
	s_wait_xcnt 0x0
	v_cndmask_b32_e64 v4, 0, 1, s27
	v_mov_b32_e32 v5, s29
	global_store_b64 v[2:3], v[4:5], off
.LBB47_795:
	s_and_not1_b32 vcc_lo, exec_lo, s29
	s_cbranch_vccnz .LBB47_797
; %bb.796:
	s_wait_xcnt 0x0
	v_cndmask_b32_e64 v1, 0, 1, s27
	global_store_b32 v[2:3], v1, off
.LBB47_797:
	s_mov_b32 s29, 0
.LBB47_798:
	s_delay_alu instid0(SALU_CYCLE_1)
	s_and_not1_b32 vcc_lo, exec_lo, s29
	s_cbranch_vccnz .LBB47_800
; %bb.799:
	s_wait_xcnt 0x0
	v_cndmask_b32_e64 v1, 0, 1, s27
	global_store_b16 v[2:3], v1, off
.LBB47_800:
	s_mov_b32 s29, 0
.LBB47_801:
	s_delay_alu instid0(SALU_CYCLE_1)
	s_and_not1_b32 vcc_lo, exec_lo, s29
	s_cbranch_vccnz .LBB47_806
; %bb.802:
	s_wait_xcnt 0x0
	v_cndmask_b32_e64 v1, 0, 1, s27
	s_cmp_gt_i32 s28, 0
	s_mov_b32 s27, -1
	s_cbranch_scc0 .LBB47_804
; %bb.803:
	s_mov_b32 s27, 0
	global_store_b8 v[2:3], v1, off
.LBB47_804:
	s_and_not1_b32 vcc_lo, exec_lo, s27
	s_cbranch_vccnz .LBB47_806
; %bb.805:
	global_store_b8 v[2:3], v1, off
.LBB47_806:
	s_mov_b32 s30, -1
.LBB47_807:
	s_delay_alu instid0(SALU_CYCLE_1)
	s_and_not1_b32 vcc_lo, exec_lo, s30
	s_cbranch_vccnz .LBB47_809
; %bb.808:
	v_add_nc_u32_e32 v0, 0x80, v0
	s_mov_b32 s27, -1
	s_branch .LBB47_811
.LBB47_809:
	s_mov_b32 s27, 0
.LBB47_810:
                                        ; implicit-def: $vgpr0
.LBB47_811:
	s_and_not1_b32 s28, s45, exec_lo
	s_and_b32 s0, s0, exec_lo
	s_and_not1_b32 s29, s44, exec_lo
	s_and_b32 s26, s26, exec_lo
	s_or_b32 s30, s28, s0
	s_or_b32 s0, s29, s26
	s_or_not1_b32 s29, s27, exec_lo
.LBB47_812:
	s_wait_xcnt 0x0
	s_or_b32 exec_lo, exec_lo, s47
	s_mov_b32 s26, 0
	s_mov_b32 s27, 0
	;; [unrolled: 1-line block ×3, first 2 shown]
                                        ; implicit-def: $vgpr4_vgpr5
                                        ; implicit-def: $vgpr2
                                        ; implicit-def: $vgpr6
	s_and_saveexec_b32 s31, s29
	s_cbranch_execz .LBB47_910
; %bb.813:
	v_cmp_gt_i32_e32 vcc_lo, s39, v0
	s_mov_b32 s29, s0
                                        ; implicit-def: $vgpr4_vgpr5
                                        ; implicit-def: $vgpr2
                                        ; implicit-def: $vgpr6
	s_and_saveexec_b32 s39, vcc_lo
	s_cbranch_execz .LBB47_909
; %bb.814:
	s_and_not1_b32 vcc_lo, exec_lo, s35
	s_cbranch_vccnz .LBB47_820
; %bb.815:
	s_and_not1_b32 vcc_lo, exec_lo, s41
	s_cbranch_vccnz .LBB47_821
; %bb.816:
	s_add_co_i32 s40, s40, 1
	s_cmp_eq_u32 s34, 2
	s_cbranch_scc1 .LBB47_822
; %bb.817:
	v_dual_mov_b32 v2, 0 :: v_dual_mov_b32 v4, 0
	s_wait_loadcnt 0x0
	v_mov_b32_e32 v1, v0
	s_and_b32 s26, s40, 28
	s_mov_b64 s[28:29], s[16:17]
.LBB47_818:                             ; =>This Inner Loop Header: Depth=1
	s_clause 0x1
	s_load_b256 s[48:55], s[28:29], 0x4
	s_load_b128 s[64:67], s[28:29], 0x24
	s_load_b256 s[56:63], s[24:25], 0x0
	s_add_co_i32 s27, s27, 4
	s_wait_xcnt 0x0
	s_add_nc_u64 s[28:29], s[28:29], 48
	s_cmp_eq_u32 s26, s27
	s_add_nc_u64 s[24:25], s[24:25], 32
	s_wait_kmcnt 0x0
	v_mul_hi_u32 v3, s49, v1
	s_delay_alu instid0(VALU_DEP_1) | instskip(NEXT) | instid1(VALU_DEP_1)
	v_add_nc_u32_e32 v3, v1, v3
	v_lshrrev_b32_e32 v3, s50, v3
	s_delay_alu instid0(VALU_DEP_1) | instskip(NEXT) | instid1(VALU_DEP_1)
	v_mul_hi_u32 v5, s52, v3
	v_add_nc_u32_e32 v5, v3, v5
	s_delay_alu instid0(VALU_DEP_1) | instskip(NEXT) | instid1(VALU_DEP_1)
	v_lshrrev_b32_e32 v5, s53, v5
	v_mul_hi_u32 v6, s55, v5
	s_delay_alu instid0(VALU_DEP_1) | instskip(SKIP_1) | instid1(VALU_DEP_1)
	v_add_nc_u32_e32 v6, v5, v6
	v_mul_lo_u32 v7, v3, s48
	v_sub_nc_u32_e32 v1, v1, v7
	v_mul_lo_u32 v7, v5, s51
	s_delay_alu instid0(VALU_DEP_4) | instskip(NEXT) | instid1(VALU_DEP_3)
	v_lshrrev_b32_e32 v6, s64, v6
	v_mad_u32 v4, v1, s57, v4
	v_mad_u32 v1, v1, s56, v2
	s_delay_alu instid0(VALU_DEP_4) | instskip(NEXT) | instid1(VALU_DEP_4)
	v_sub_nc_u32_e32 v2, v3, v7
	v_mul_hi_u32 v8, s66, v6
	v_mul_lo_u32 v3, v6, s54
	s_delay_alu instid0(VALU_DEP_3) | instskip(SKIP_1) | instid1(VALU_DEP_3)
	v_mad_u32 v4, v2, s59, v4
	v_mad_u32 v2, v2, s58, v1
	v_dual_add_nc_u32 v7, v6, v8 :: v_dual_sub_nc_u32 v3, v5, v3
	s_delay_alu instid0(VALU_DEP_1) | instskip(NEXT) | instid1(VALU_DEP_2)
	v_lshrrev_b32_e32 v1, s67, v7
	v_mad_u32 v4, v3, s61, v4
	s_delay_alu instid0(VALU_DEP_4) | instskip(NEXT) | instid1(VALU_DEP_3)
	v_mad_u32 v2, v3, s60, v2
	v_mul_lo_u32 v5, v1, s65
	s_delay_alu instid0(VALU_DEP_1) | instskip(NEXT) | instid1(VALU_DEP_1)
	v_sub_nc_u32_e32 v3, v6, v5
	v_mad_u32 v4, v3, s63, v4
	s_delay_alu instid0(VALU_DEP_4)
	v_mad_u32 v2, v3, s62, v2
	s_cbranch_scc0 .LBB47_818
; %bb.819:
	s_delay_alu instid0(VALU_DEP_2)
	v_mov_b32_e32 v3, v4
	s_branch .LBB47_823
.LBB47_820:
	s_mov_b32 s24, -1
                                        ; implicit-def: $vgpr4
                                        ; implicit-def: $vgpr2
	s_branch .LBB47_828
.LBB47_821:
	v_dual_mov_b32 v4, 0 :: v_dual_mov_b32 v2, 0
	s_branch .LBB47_827
.LBB47_822:
	v_mov_b64_e32 v[2:3], 0
	s_wait_loadcnt 0x0
	v_mov_b32_e32 v1, v0
                                        ; implicit-def: $vgpr4
.LBB47_823:
	s_and_b32 s28, s40, 3
	s_mov_b32 s27, 0
	s_cmp_eq_u32 s28, 0
	s_cbranch_scc1 .LBB47_827
; %bb.824:
	s_lshl_b32 s24, s26, 3
	s_mov_b32 s25, s27
	s_mul_u64 s[26:27], s[26:27], 12
	s_add_nc_u64 s[24:25], s[16:17], s[24:25]
	s_add_nc_u64 s[26:27], s[16:17], s[26:27]
	s_add_nc_u64 s[24:25], s[24:25], 0xc4
.LBB47_825:                             ; =>This Inner Loop Header: Depth=1
	s_load_b96 s[48:50], s[26:27], 0x4
	s_load_b64 s[40:41], s[24:25], 0x0
	s_add_co_i32 s28, s28, -1
	s_wait_xcnt 0x0
	s_add_nc_u64 s[26:27], s[26:27], 12
	s_cmp_lg_u32 s28, 0
	s_add_nc_u64 s[24:25], s[24:25], 8
	s_wait_kmcnt 0x0
	v_mul_hi_u32 v4, s49, v1
	s_delay_alu instid0(VALU_DEP_1) | instskip(NEXT) | instid1(VALU_DEP_1)
	v_add_nc_u32_e32 v4, v1, v4
	v_lshrrev_b32_e32 v4, s50, v4
	s_delay_alu instid0(VALU_DEP_1) | instskip(NEXT) | instid1(VALU_DEP_1)
	v_mul_lo_u32 v5, v4, s48
	v_sub_nc_u32_e32 v1, v1, v5
	s_delay_alu instid0(VALU_DEP_1)
	v_mad_u32 v3, v1, s41, v3
	v_mad_u32 v2, v1, s40, v2
	v_mov_b32_e32 v1, v4
	s_cbranch_scc1 .LBB47_825
; %bb.826:
	s_delay_alu instid0(VALU_DEP_3)
	v_mov_b32_e32 v4, v3
.LBB47_827:
	s_mov_b32 s24, 0
.LBB47_828:
	s_delay_alu instid0(SALU_CYCLE_1)
	s_and_not1_b32 vcc_lo, exec_lo, s24
	s_cbranch_vccnz .LBB47_831
; %bb.829:
	s_wait_loadcnt 0x0
	v_mov_b32_e32 v1, 0
	s_and_not1_b32 vcc_lo, exec_lo, s38
	s_delay_alu instid0(VALU_DEP_1) | instskip(NEXT) | instid1(VALU_DEP_1)
	v_mul_u64_e32 v[2:3], s[18:19], v[0:1]
	v_add_nc_u32_e32 v2, v0, v3
	s_delay_alu instid0(VALU_DEP_1) | instskip(NEXT) | instid1(VALU_DEP_1)
	v_lshrrev_b32_e32 v6, s10, v2
	v_mul_lo_u32 v2, v6, s8
	s_delay_alu instid0(VALU_DEP_1) | instskip(NEXT) | instid1(VALU_DEP_1)
	v_sub_nc_u32_e32 v0, v0, v2
	v_mul_lo_u32 v4, v0, s13
	v_mul_lo_u32 v2, v0, s12
	s_cbranch_vccnz .LBB47_831
; %bb.830:
	v_mov_b32_e32 v7, v1
	s_delay_alu instid0(VALU_DEP_1) | instskip(NEXT) | instid1(VALU_DEP_1)
	v_mul_u64_e32 v[0:1], s[22:23], v[6:7]
	v_add_nc_u32_e32 v0, v6, v1
	s_delay_alu instid0(VALU_DEP_1) | instskip(NEXT) | instid1(VALU_DEP_1)
	v_lshrrev_b32_e32 v0, s21, v0
	v_mul_lo_u32 v0, v0, s11
	s_delay_alu instid0(VALU_DEP_1) | instskip(NEXT) | instid1(VALU_DEP_1)
	v_sub_nc_u32_e32 v0, v6, v0
	v_mad_u32 v2, v0, s14, v2
	v_mad_u32 v4, v0, s15, v4
.LBB47_831:
	v_mov_b32_e32 v5, 0
	s_delay_alu instid0(VALU_DEP_1) | instskip(SKIP_1) | instid1(SALU_CYCLE_1)
	v_add_nc_u64_e32 v[4:5], s[6:7], v[4:5]
	s_and_b32 s6, 0xffff, s37
	s_cmp_lt_i32 s6, 11
	s_cbranch_scc1 .LBB47_838
; %bb.832:
	s_cmp_gt_i32 s6, 25
	s_mov_b32 s8, 0
	s_cbranch_scc0 .LBB47_839
; %bb.833:
	s_cmp_gt_i32 s6, 28
	s_cbranch_scc0 .LBB47_840
; %bb.834:
	s_cmp_gt_i32 s6, 43
	;; [unrolled: 3-line block ×3, first 2 shown]
	s_cbranch_scc0 .LBB47_844
; %bb.836:
	s_cmp_eq_u32 s6, 46
	s_mov_b32 s11, 0
	s_cbranch_scc0 .LBB47_847
; %bb.837:
	global_load_b32 v0, v[4:5], off
	s_mov_b32 s7, 0
	s_mov_b32 s10, -1
	s_wait_loadcnt 0x0
	v_lshlrev_b32_e32 v0, 16, v0
	s_delay_alu instid0(VALU_DEP_1)
	v_cvt_i32_f32_e32 v6, v0
	s_branch .LBB47_849
.LBB47_838:
	s_mov_b32 s6, -1
	s_mov_b32 s10, 0
	s_mov_b32 s8, 0
	;; [unrolled: 1-line block ×3, first 2 shown]
                                        ; implicit-def: $vgpr6
	s_branch .LBB47_908
.LBB47_839:
	s_mov_b32 s11, -1
	s_mov_b32 s10, 0
	s_mov_b32 s7, s0
                                        ; implicit-def: $vgpr6
	s_branch .LBB47_876
.LBB47_840:
	s_mov_b32 s11, -1
	s_mov_b32 s10, 0
	s_mov_b32 s7, s0
                                        ; implicit-def: $vgpr6
	s_branch .LBB47_859
.LBB47_841:
	s_mov_b32 s11, -1
	s_mov_b32 s10, 0
	s_mov_b32 s7, s0
                                        ; implicit-def: $vgpr6
	s_branch .LBB47_854
.LBB47_842:
	s_and_not1_saveexec_b32 s48, s48
	s_cbranch_execz .LBB47_720
.LBB47_843:
	v_add_f32_e32 v1, 0x46000000, v4
	s_and_not1_b32 s31, s31, exec_lo
	s_delay_alu instid0(VALU_DEP_1) | instskip(NEXT) | instid1(VALU_DEP_1)
	v_and_b32_e32 v1, 0xff, v1
	v_cmp_ne_u32_e32 vcc_lo, 0, v1
	s_and_b32 s49, vcc_lo, exec_lo
	s_delay_alu instid0(SALU_CYCLE_1)
	s_or_b32 s31, s31, s49
	s_or_b32 exec_lo, exec_lo, s48
	v_mov_b32_e32 v5, 0
	s_and_saveexec_b32 s48, s31
	s_cbranch_execnz .LBB47_721
	s_branch .LBB47_722
.LBB47_844:
	s_mov_b32 s11, -1
	s_mov_b32 s10, 0
	s_mov_b32 s7, s0
	s_branch .LBB47_848
.LBB47_845:
	s_and_not1_saveexec_b32 s48, s48
	s_cbranch_execz .LBB47_733
.LBB47_846:
	v_add_f32_e32 v1, 0x42800000, v4
	s_and_not1_b32 s31, s31, exec_lo
	s_delay_alu instid0(VALU_DEP_1) | instskip(NEXT) | instid1(VALU_DEP_1)
	v_and_b32_e32 v1, 0xff, v1
	v_cmp_ne_u32_e32 vcc_lo, 0, v1
	s_and_b32 s49, vcc_lo, exec_lo
	s_delay_alu instid0(SALU_CYCLE_1)
	s_or_b32 s31, s31, s49
	s_or_b32 exec_lo, exec_lo, s48
	v_mov_b32_e32 v5, 0
	s_and_saveexec_b32 s48, s31
	s_cbranch_execnz .LBB47_734
	s_branch .LBB47_735
.LBB47_847:
	s_mov_b32 s7, -1
	s_mov_b32 s10, 0
.LBB47_848:
                                        ; implicit-def: $vgpr6
.LBB47_849:
	s_and_b32 vcc_lo, exec_lo, s11
	s_cbranch_vccz .LBB47_853
; %bb.850:
	s_cmp_eq_u32 s6, 44
	s_cbranch_scc0 .LBB47_852
; %bb.851:
	global_load_u8 v0, v[4:5], off
	s_mov_b32 s7, 0
	s_mov_b32 s10, -1
	s_wait_loadcnt 0x0
	v_lshlrev_b32_e32 v1, 23, v0
	v_cmp_ne_u32_e32 vcc_lo, 0, v0
	s_delay_alu instid0(VALU_DEP_2) | instskip(NEXT) | instid1(VALU_DEP_1)
	v_cvt_i32_f32_e32 v1, v1
	v_cndmask_b32_e32 v6, 0, v1, vcc_lo
	s_branch .LBB47_853
.LBB47_852:
	s_mov_b32 s7, -1
                                        ; implicit-def: $vgpr6
.LBB47_853:
	s_mov_b32 s11, 0
.LBB47_854:
	s_delay_alu instid0(SALU_CYCLE_1)
	s_and_b32 vcc_lo, exec_lo, s11
	s_cbranch_vccz .LBB47_858
; %bb.855:
	s_cmp_eq_u32 s6, 29
	s_cbranch_scc0 .LBB47_857
; %bb.856:
	global_load_b32 v6, v[4:5], off
	s_mov_b32 s7, 0
	s_mov_b32 s10, -1
	s_branch .LBB47_858
.LBB47_857:
	s_mov_b32 s7, -1
                                        ; implicit-def: $vgpr6
.LBB47_858:
	s_mov_b32 s11, 0
.LBB47_859:
	s_delay_alu instid0(SALU_CYCLE_1)
	s_and_b32 vcc_lo, exec_lo, s11
	s_cbranch_vccz .LBB47_875
; %bb.860:
	s_cmp_lt_i32 s6, 27
	s_cbranch_scc1 .LBB47_863
; %bb.861:
	s_cmp_gt_i32 s6, 27
	s_cbranch_scc0 .LBB47_864
; %bb.862:
	s_wait_loadcnt 0x0
	global_load_b32 v6, v[4:5], off
	s_mov_b32 s10, 0
	s_branch .LBB47_865
.LBB47_863:
	s_mov_b32 s10, -1
                                        ; implicit-def: $vgpr6
	s_branch .LBB47_868
.LBB47_864:
	s_mov_b32 s10, -1
                                        ; implicit-def: $vgpr6
.LBB47_865:
	s_delay_alu instid0(SALU_CYCLE_1)
	s_and_not1_b32 vcc_lo, exec_lo, s10
	s_cbranch_vccnz .LBB47_867
; %bb.866:
	s_wait_loadcnt 0x0
	global_load_u16 v6, v[4:5], off
.LBB47_867:
	s_mov_b32 s10, 0
.LBB47_868:
	s_delay_alu instid0(SALU_CYCLE_1)
	s_and_not1_b32 vcc_lo, exec_lo, s10
	s_cbranch_vccnz .LBB47_874
; %bb.869:
	global_load_u8 v0, v[4:5], off
	s_mov_b32 s11, 0
	s_mov_b32 s10, exec_lo
	s_wait_loadcnt 0x0
	v_cmpx_lt_i16_e32 0x7f, v0
	s_xor_b32 s10, exec_lo, s10
	s_cbranch_execz .LBB47_886
; %bb.870:
	v_cmp_ne_u16_e32 vcc_lo, 0x80, v0
	s_and_b32 s11, vcc_lo, exec_lo
	s_and_not1_saveexec_b32 s10, s10
	s_cbranch_execnz .LBB47_887
.LBB47_871:
	s_or_b32 exec_lo, exec_lo, s10
	v_mov_b32_e32 v6, 0
	s_and_saveexec_b32 s10, s11
	s_cbranch_execz .LBB47_873
.LBB47_872:
	v_and_b32_e32 v1, 0xffff, v0
	s_delay_alu instid0(VALU_DEP_1) | instskip(SKIP_1) | instid1(VALU_DEP_2)
	v_and_b32_e32 v3, 7, v1
	v_bfe_u32 v8, v1, 3, 4
	v_clz_i32_u32_e32 v6, v3
	s_delay_alu instid0(VALU_DEP_2) | instskip(NEXT) | instid1(VALU_DEP_2)
	v_cmp_eq_u32_e32 vcc_lo, 0, v8
	v_min_u32_e32 v6, 32, v6
	s_delay_alu instid0(VALU_DEP_1) | instskip(NEXT) | instid1(VALU_DEP_1)
	v_subrev_nc_u32_e32 v7, 28, v6
	v_dual_lshlrev_b32 v1, v7, v1 :: v_dual_sub_nc_u32 v6, 29, v6
	s_delay_alu instid0(VALU_DEP_1) | instskip(NEXT) | instid1(VALU_DEP_1)
	v_dual_lshlrev_b32 v0, 24, v0 :: v_dual_bitop2_b32 v1, 7, v1 bitop3:0x40
	v_dual_cndmask_b32 v6, v8, v6 :: v_dual_cndmask_b32 v1, v3, v1
	s_delay_alu instid0(VALU_DEP_2) | instskip(NEXT) | instid1(VALU_DEP_2)
	v_and_b32_e32 v0, 0x80000000, v0
	v_lshl_add_u32 v3, v6, 23, 0x3b800000
	s_delay_alu instid0(VALU_DEP_3) | instskip(NEXT) | instid1(VALU_DEP_1)
	v_lshlrev_b32_e32 v1, 20, v1
	v_or3_b32 v0, v0, v3, v1
	s_delay_alu instid0(VALU_DEP_1)
	v_cvt_i32_f32_e32 v6, v0
.LBB47_873:
	s_or_b32 exec_lo, exec_lo, s10
.LBB47_874:
	s_mov_b32 s10, -1
.LBB47_875:
	s_mov_b32 s11, 0
.LBB47_876:
	s_delay_alu instid0(SALU_CYCLE_1)
	s_and_b32 vcc_lo, exec_lo, s11
	s_cbranch_vccz .LBB47_907
; %bb.877:
	s_cmp_gt_i32 s6, 22
	s_cbranch_scc0 .LBB47_885
; %bb.878:
	s_cmp_lt_i32 s6, 24
	s_cbranch_scc1 .LBB47_888
; %bb.879:
	s_cmp_gt_i32 s6, 24
	s_cbranch_scc0 .LBB47_889
; %bb.880:
	global_load_u8 v0, v[4:5], off
	s_mov_b32 s10, 0
	s_mov_b32 s8, exec_lo
	s_wait_loadcnt 0x0
	v_cmpx_lt_i16_e32 0x7f, v0
	s_xor_b32 s8, exec_lo, s8
	s_cbranch_execz .LBB47_901
; %bb.881:
	v_cmp_ne_u16_e32 vcc_lo, 0x80, v0
	s_and_b32 s10, vcc_lo, exec_lo
	s_and_not1_saveexec_b32 s8, s8
	s_cbranch_execnz .LBB47_902
.LBB47_882:
	s_or_b32 exec_lo, exec_lo, s8
	v_mov_b32_e32 v6, 0
	s_and_saveexec_b32 s8, s10
	s_cbranch_execz .LBB47_884
.LBB47_883:
	v_and_b32_e32 v1, 0xffff, v0
	s_delay_alu instid0(VALU_DEP_1) | instskip(SKIP_1) | instid1(VALU_DEP_2)
	v_and_b32_e32 v3, 3, v1
	v_bfe_u32 v8, v1, 2, 5
	v_clz_i32_u32_e32 v6, v3
	s_delay_alu instid0(VALU_DEP_2) | instskip(NEXT) | instid1(VALU_DEP_2)
	v_cmp_eq_u32_e32 vcc_lo, 0, v8
	v_min_u32_e32 v6, 32, v6
	s_delay_alu instid0(VALU_DEP_1) | instskip(NEXT) | instid1(VALU_DEP_1)
	v_subrev_nc_u32_e32 v7, 29, v6
	v_dual_lshlrev_b32 v1, v7, v1 :: v_dual_sub_nc_u32 v6, 30, v6
	s_delay_alu instid0(VALU_DEP_1) | instskip(NEXT) | instid1(VALU_DEP_1)
	v_dual_lshlrev_b32 v0, 24, v0 :: v_dual_bitop2_b32 v1, 3, v1 bitop3:0x40
	v_dual_cndmask_b32 v6, v8, v6 :: v_dual_cndmask_b32 v1, v3, v1
	s_delay_alu instid0(VALU_DEP_2) | instskip(NEXT) | instid1(VALU_DEP_2)
	v_and_b32_e32 v0, 0x80000000, v0
	v_lshl_add_u32 v3, v6, 23, 0x37800000
	s_delay_alu instid0(VALU_DEP_3) | instskip(NEXT) | instid1(VALU_DEP_1)
	v_lshlrev_b32_e32 v1, 21, v1
	v_or3_b32 v0, v0, v3, v1
	s_delay_alu instid0(VALU_DEP_1)
	v_cvt_i32_f32_e32 v6, v0
.LBB47_884:
	s_or_b32 exec_lo, exec_lo, s8
	s_mov_b32 s8, 0
	s_branch .LBB47_890
.LBB47_885:
	s_mov_b32 s8, -1
                                        ; implicit-def: $vgpr6
	s_branch .LBB47_896
.LBB47_886:
	s_and_not1_saveexec_b32 s10, s10
	s_cbranch_execz .LBB47_871
.LBB47_887:
	v_cmp_ne_u16_e32 vcc_lo, 0, v0
	s_and_not1_b32 s11, s11, exec_lo
	s_and_b32 s12, vcc_lo, exec_lo
	s_delay_alu instid0(SALU_CYCLE_1)
	s_or_b32 s11, s11, s12
	s_or_b32 exec_lo, exec_lo, s10
	v_mov_b32_e32 v6, 0
	s_and_saveexec_b32 s10, s11
	s_cbranch_execnz .LBB47_872
	s_branch .LBB47_873
.LBB47_888:
	s_mov_b32 s8, -1
                                        ; implicit-def: $vgpr6
	s_branch .LBB47_893
.LBB47_889:
	s_mov_b32 s8, -1
                                        ; implicit-def: $vgpr6
.LBB47_890:
	s_delay_alu instid0(SALU_CYCLE_1)
	s_and_b32 vcc_lo, exec_lo, s8
	s_cbranch_vccz .LBB47_892
; %bb.891:
	global_load_u8 v0, v[4:5], off
	s_wait_loadcnt 0x0
	v_lshlrev_b32_e32 v0, 24, v0
	s_delay_alu instid0(VALU_DEP_1) | instskip(NEXT) | instid1(VALU_DEP_1)
	v_and_b32_e32 v1, 0x7f000000, v0
	v_clz_i32_u32_e32 v3, v1
	v_add_nc_u32_e32 v7, 0x1000000, v1
	v_cmp_ne_u32_e32 vcc_lo, 0, v1
	s_delay_alu instid0(VALU_DEP_3) | instskip(NEXT) | instid1(VALU_DEP_1)
	v_min_u32_e32 v3, 32, v3
	v_sub_nc_u32_e64 v3, v3, 4 clamp
	s_delay_alu instid0(VALU_DEP_1) | instskip(NEXT) | instid1(VALU_DEP_1)
	v_dual_lshlrev_b32 v6, v3, v1 :: v_dual_lshlrev_b32 v3, 23, v3
	v_lshrrev_b32_e32 v6, 4, v6
	s_delay_alu instid0(VALU_DEP_1) | instskip(SKIP_1) | instid1(VALU_DEP_2)
	v_sub_nc_u32_e32 v3, v6, v3
	v_ashrrev_i32_e32 v6, 8, v7
	v_add_nc_u32_e32 v3, 0x3c000000, v3
	s_delay_alu instid0(VALU_DEP_1) | instskip(NEXT) | instid1(VALU_DEP_1)
	v_and_or_b32 v3, 0x7f800000, v6, v3
	v_cndmask_b32_e32 v1, 0, v3, vcc_lo
	s_delay_alu instid0(VALU_DEP_1) | instskip(NEXT) | instid1(VALU_DEP_1)
	v_and_or_b32 v0, 0x80000000, v0, v1
	v_cvt_i32_f32_e32 v6, v0
.LBB47_892:
	s_mov_b32 s8, 0
.LBB47_893:
	s_delay_alu instid0(SALU_CYCLE_1)
	s_and_not1_b32 vcc_lo, exec_lo, s8
	s_cbranch_vccnz .LBB47_895
; %bb.894:
	global_load_u8 v0, v[4:5], off
	s_wait_loadcnt 0x0
	v_lshlrev_b32_e32 v1, 25, v0
	v_lshlrev_b16 v0, 8, v0
	s_delay_alu instid0(VALU_DEP_1) | instskip(SKIP_1) | instid1(VALU_DEP_2)
	v_and_or_b32 v6, 0x7f00, v0, 0.5
	v_bfe_i32 v0, v0, 0, 16
	v_dual_add_f32 v6, -0.5, v6 :: v_dual_lshrrev_b32 v3, 4, v1
	v_cmp_gt_u32_e32 vcc_lo, 0x8000000, v1
	s_delay_alu instid0(VALU_DEP_2) | instskip(NEXT) | instid1(VALU_DEP_1)
	v_or_b32_e32 v3, 0x70000000, v3
	v_mul_f32_e32 v3, 0x7800000, v3
	s_delay_alu instid0(VALU_DEP_1) | instskip(NEXT) | instid1(VALU_DEP_1)
	v_cndmask_b32_e32 v1, v3, v6, vcc_lo
	v_and_or_b32 v0, 0x80000000, v0, v1
	s_delay_alu instid0(VALU_DEP_1)
	v_cvt_i32_f32_e32 v6, v0
.LBB47_895:
	s_mov_b32 s8, 0
	s_mov_b32 s10, -1
.LBB47_896:
	s_and_not1_b32 vcc_lo, exec_lo, s8
	s_mov_b32 s8, 0
	s_cbranch_vccnz .LBB47_907
; %bb.897:
	s_cmp_gt_i32 s6, 14
	s_cbranch_scc0 .LBB47_900
; %bb.898:
	s_cmp_eq_u32 s6, 15
	s_cbranch_scc0 .LBB47_903
; %bb.899:
	global_load_u16 v0, v[4:5], off
	s_mov_b32 s7, 0
	s_mov_b32 s10, -1
	s_wait_loadcnt 0x0
	v_lshlrev_b32_e32 v0, 16, v0
	s_delay_alu instid0(VALU_DEP_1)
	v_cvt_i32_f32_e32 v6, v0
	s_branch .LBB47_905
.LBB47_900:
	s_mov_b32 s8, -1
	s_branch .LBB47_904
.LBB47_901:
	s_and_not1_saveexec_b32 s8, s8
	s_cbranch_execz .LBB47_882
.LBB47_902:
	v_cmp_ne_u16_e32 vcc_lo, 0, v0
	s_and_not1_b32 s10, s10, exec_lo
	s_and_b32 s11, vcc_lo, exec_lo
	s_delay_alu instid0(SALU_CYCLE_1)
	s_or_b32 s10, s10, s11
	s_or_b32 exec_lo, exec_lo, s8
	v_mov_b32_e32 v6, 0
	s_and_saveexec_b32 s8, s10
	s_cbranch_execnz .LBB47_883
	s_branch .LBB47_884
.LBB47_903:
	s_mov_b32 s7, -1
.LBB47_904:
                                        ; implicit-def: $vgpr6
.LBB47_905:
	s_and_b32 vcc_lo, exec_lo, s8
	s_mov_b32 s8, 0
	s_cbranch_vccz .LBB47_907
; %bb.906:
	s_cmp_lg_u32 s6, 11
	s_mov_b32 s8, -1
	s_cselect_b32 s6, -1, 0
	s_and_not1_b32 s7, s7, exec_lo
	s_and_b32 s6, s6, exec_lo
	s_delay_alu instid0(SALU_CYCLE_1)
	s_or_b32 s7, s7, s6
.LBB47_907:
	s_mov_b32 s6, 0
.LBB47_908:
	s_delay_alu instid0(SALU_CYCLE_1)
	s_and_b32 s27, s6, exec_lo
	s_and_not1_b32 s6, s0, exec_lo
	s_and_b32 s7, s7, exec_lo
	s_and_b32 s28, s10, exec_lo
	;; [unrolled: 1-line block ×3, first 2 shown]
	s_or_b32 s29, s6, s7
.LBB47_909:
	s_wait_xcnt 0x0
	s_or_b32 exec_lo, exec_lo, s39
	s_delay_alu instid0(SALU_CYCLE_1)
	s_and_not1_b32 s0, s0, exec_lo
	s_and_b32 s6, s29, exec_lo
	s_and_b32 s28, s28, exec_lo
	;; [unrolled: 1-line block ×4, first 2 shown]
	s_or_b32 s0, s0, s6
.LBB47_910:
	s_or_b32 exec_lo, exec_lo, s31
	s_delay_alu instid0(SALU_CYCLE_1)
	s_and_not1_b32 s6, s45, exec_lo
	s_and_b32 s7, s30, exec_lo
	s_and_b32 s0, s0, exec_lo
	s_or_b32 s45, s6, s7
	s_and_not1_b32 s6, s44, exec_lo
	s_and_b32 s28, s28, exec_lo
	s_and_b32 s27, s27, exec_lo
	;; [unrolled: 1-line block ×3, first 2 shown]
	s_or_b32 s44, s6, s0
.LBB47_911:
	s_or_b32 exec_lo, exec_lo, s46
	s_delay_alu instid0(SALU_CYCLE_1)
	s_and_not1_b32 s0, s20, exec_lo
	s_and_b32 s6, s45, exec_lo
	s_and_b32 s7, s44, exec_lo
	s_or_b32 s20, s0, s6
	s_and_not1_b32 s6, s42, exec_lo
	s_and_b32 s0, s28, exec_lo
	s_and_b32 s27, s27, exec_lo
	;; [unrolled: 1-line block ×3, first 2 shown]
	s_or_b32 s42, s6, s7
	s_or_b32 exec_lo, exec_lo, s43
	s_mov_b32 s6, 0
	s_and_saveexec_b32 s7, s42
	s_cbranch_execz .LBB47_272
.LBB47_912:
	s_mov_b32 s6, exec_lo
	s_and_not1_b32 s19, s19, exec_lo
	s_trap 2
	s_or_b32 exec_lo, exec_lo, s7
	s_and_saveexec_b32 s7, s19
	s_delay_alu instid0(SALU_CYCLE_1)
	s_xor_b32 s7, exec_lo, s7
	s_cbranch_execnz .LBB47_273
.LBB47_913:
	s_or_b32 exec_lo, exec_lo, s7
	s_and_saveexec_b32 s7, s27
	s_cbranch_execz .LBB47_959
.LBB47_914:
	s_sext_i32_i16 s8, s37
	s_delay_alu instid0(SALU_CYCLE_1)
	s_cmp_lt_i32 s8, 5
	s_cbranch_scc1 .LBB47_919
; %bb.915:
	s_cmp_lt_i32 s8, 8
	s_cbranch_scc1 .LBB47_920
; %bb.916:
	;; [unrolled: 3-line block ×3, first 2 shown]
	s_cmp_gt_i32 s8, 9
	s_cbranch_scc0 .LBB47_922
; %bb.918:
	s_wait_loadcnt 0x0
	global_load_b64 v[0:1], v[4:5], off
	s_mov_b32 s8, 0
	s_wait_loadcnt 0x0
	v_cvt_i32_f64_e32 v6, v[0:1]
	s_branch .LBB47_923
.LBB47_919:
                                        ; implicit-def: $vgpr6
	s_branch .LBB47_940
.LBB47_920:
                                        ; implicit-def: $vgpr6
	s_branch .LBB47_929
.LBB47_921:
	s_mov_b32 s8, -1
                                        ; implicit-def: $vgpr6
	s_branch .LBB47_926
.LBB47_922:
	s_mov_b32 s8, -1
                                        ; implicit-def: $vgpr6
.LBB47_923:
	s_delay_alu instid0(SALU_CYCLE_1)
	s_and_not1_b32 vcc_lo, exec_lo, s8
	s_cbranch_vccnz .LBB47_925
; %bb.924:
	global_load_b32 v0, v[4:5], off
	s_wait_loadcnt 0x0
	v_cvt_i32_f32_e32 v6, v0
.LBB47_925:
	s_mov_b32 s8, 0
.LBB47_926:
	s_delay_alu instid0(SALU_CYCLE_1)
	s_and_not1_b32 vcc_lo, exec_lo, s8
	s_cbranch_vccnz .LBB47_928
; %bb.927:
	global_load_b32 v0, v[4:5], off
	s_wait_loadcnt 0x0
	v_cvt_f32_f16_e32 v0, v0
	s_delay_alu instid0(VALU_DEP_1)
	v_cvt_i32_f32_e32 v6, v0
.LBB47_928:
	s_cbranch_execnz .LBB47_939
.LBB47_929:
	s_sext_i32_i16 s8, s37
	s_delay_alu instid0(SALU_CYCLE_1)
	s_cmp_lt_i32 s8, 6
	s_cbranch_scc1 .LBB47_932
; %bb.930:
	s_cmp_gt_i32 s8, 6
	s_cbranch_scc0 .LBB47_933
; %bb.931:
	s_wait_loadcnt 0x0
	global_load_b64 v[0:1], v[4:5], off
	s_mov_b32 s8, 0
	s_wait_loadcnt 0x0
	v_cvt_i32_f64_e32 v6, v[0:1]
	s_branch .LBB47_934
.LBB47_932:
	s_mov_b32 s8, -1
                                        ; implicit-def: $vgpr6
	s_branch .LBB47_937
.LBB47_933:
	s_mov_b32 s8, -1
                                        ; implicit-def: $vgpr6
.LBB47_934:
	s_delay_alu instid0(SALU_CYCLE_1)
	s_and_not1_b32 vcc_lo, exec_lo, s8
	s_cbranch_vccnz .LBB47_936
; %bb.935:
	global_load_b32 v0, v[4:5], off
	s_wait_loadcnt 0x0
	v_cvt_i32_f32_e32 v6, v0
.LBB47_936:
	s_mov_b32 s8, 0
.LBB47_937:
	s_delay_alu instid0(SALU_CYCLE_1)
	s_and_not1_b32 vcc_lo, exec_lo, s8
	s_cbranch_vccnz .LBB47_939
; %bb.938:
	global_load_u16 v0, v[4:5], off
	s_wait_loadcnt 0x0
	v_cvt_f32_f16_e32 v0, v0
	s_delay_alu instid0(VALU_DEP_1)
	v_cvt_i32_f32_e32 v6, v0
.LBB47_939:
	s_cbranch_execnz .LBB47_958
.LBB47_940:
	s_sext_i32_i16 s8, s37
	s_delay_alu instid0(SALU_CYCLE_1)
	s_cmp_lt_i32 s8, 2
	s_cbranch_scc1 .LBB47_944
; %bb.941:
	s_cmp_lt_i32 s8, 3
	s_cbranch_scc1 .LBB47_945
; %bb.942:
	s_cmp_gt_i32 s8, 3
	s_cbranch_scc0 .LBB47_946
; %bb.943:
	s_wait_loadcnt 0x0
	global_load_b32 v6, v[4:5], off
	s_mov_b32 s8, 0
	s_branch .LBB47_947
.LBB47_944:
                                        ; implicit-def: $vgpr6
	s_branch .LBB47_953
.LBB47_945:
	s_mov_b32 s8, -1
                                        ; implicit-def: $vgpr6
	s_branch .LBB47_950
.LBB47_946:
	s_mov_b32 s8, -1
                                        ; implicit-def: $vgpr6
.LBB47_947:
	s_delay_alu instid0(SALU_CYCLE_1)
	s_and_not1_b32 vcc_lo, exec_lo, s8
	s_cbranch_vccnz .LBB47_949
; %bb.948:
	s_wait_loadcnt 0x0
	global_load_b32 v6, v[4:5], off
.LBB47_949:
	s_mov_b32 s8, 0
.LBB47_950:
	s_delay_alu instid0(SALU_CYCLE_1)
	s_and_not1_b32 vcc_lo, exec_lo, s8
	s_cbranch_vccnz .LBB47_952
; %bb.951:
	s_wait_loadcnt 0x0
	global_load_i16 v6, v[4:5], off
.LBB47_952:
	s_cbranch_execnz .LBB47_958
.LBB47_953:
	s_sext_i32_i16 s8, s37
	s_delay_alu instid0(SALU_CYCLE_1)
	s_cmp_gt_i32 s8, 0
	s_mov_b32 s8, 0
	s_cbranch_scc0 .LBB47_955
; %bb.954:
	s_wait_loadcnt 0x0
	global_load_i8 v6, v[4:5], off
	s_branch .LBB47_956
.LBB47_955:
	s_mov_b32 s8, -1
                                        ; implicit-def: $vgpr6
.LBB47_956:
	s_delay_alu instid0(SALU_CYCLE_1)
	s_and_not1_b32 vcc_lo, exec_lo, s8
	s_cbranch_vccnz .LBB47_958
; %bb.957:
	s_wait_loadcnt 0x0
	global_load_u8 v6, v[4:5], off
.LBB47_958:
	s_or_b32 s0, s0, exec_lo
.LBB47_959:
	s_wait_xcnt 0x0
	s_or_b32 exec_lo, exec_lo, s7
	s_mov_b32 s12, 0
	s_mov_b32 s11, 0
                                        ; implicit-def: $sgpr7
                                        ; implicit-def: $sgpr8
                                        ; implicit-def: $vgpr0_vgpr1
	s_and_saveexec_b32 s10, s0
	s_cbranch_execz .LBB47_967
; %bb.960:
	v_mov_b32_e32 v3, 0
	s_wait_loadcnt 0x0
	s_delay_alu instid0(VALU_DEP_2) | instskip(SKIP_1) | instid1(VALU_DEP_2)
	v_cmp_ne_u32_e32 vcc_lo, s1, v6
	s_and_b32 s8, s2, 0xff
	v_add_nc_u64_e32 v[0:1], s[4:5], v[2:3]
	s_xor_b32 s7, s9, vcc_lo
	s_cmp_lt_i32 s8, 11
	s_cbranch_scc1 .LBB47_970
; %bb.961:
	s_and_b32 s1, 0xffff, s8
	s_mov_b32 s2, -1
	s_cmp_gt_i32 s1, 25
	s_mov_b32 s0, s20
	s_cbranch_scc0 .LBB47_998
; %bb.962:
	s_cmp_gt_i32 s1, 28
	s_mov_b32 s0, s20
	s_cbranch_scc0 .LBB47_982
; %bb.963:
	;; [unrolled: 4-line block ×4, first 2 shown]
	s_cmp_eq_u32 s1, 46
	s_mov_b32 s0, -1
	s_cbranch_scc0 .LBB47_971
; %bb.966:
	v_cndmask_b32_e64 v2, 0, 1.0, s7
	s_mov_b32 s0, 0
	s_mov_b32 s2, 0
	s_delay_alu instid0(VALU_DEP_1) | instskip(NEXT) | instid1(VALU_DEP_1)
	v_bfe_u32 v3, v2, 16, 1
	v_add3_u32 v2, v2, v3, 0x7fff
	s_delay_alu instid0(VALU_DEP_1)
	v_lshrrev_b32_e32 v2, 16, v2
	global_store_b32 v[0:1], v2, off
	s_branch .LBB47_972
.LBB47_967:
	s_or_b32 exec_lo, exec_lo, s10
	s_and_saveexec_b32 s0, s20
	s_cbranch_execnz .LBB47_1040
.LBB47_968:
	s_or_b32 exec_lo, exec_lo, s0
	s_and_saveexec_b32 s0, s12
	s_delay_alu instid0(SALU_CYCLE_1)
	s_xor_b32 s0, exec_lo, s0
	s_cbranch_execz .LBB47_1041
.LBB47_969:
	v_cndmask_b32_e64 v2, 0, 1, s7
	s_wait_loadcnt 0x0
	global_store_b8 v[0:1], v2, off
	s_wait_xcnt 0x0
	s_or_b32 exec_lo, exec_lo, s0
	s_and_saveexec_b32 s0, s11
	s_delay_alu instid0(SALU_CYCLE_1)
	s_xor_b32 s0, exec_lo, s0
	s_cbranch_execz .LBB47_1079
	s_branch .LBB47_1042
.LBB47_970:
	s_mov_b32 s4, 0
	s_mov_b32 s2, -1
	s_mov_b32 s0, s20
	s_branch .LBB47_1039
.LBB47_971:
	s_mov_b32 s2, 0
.LBB47_972:
	s_delay_alu instid0(SALU_CYCLE_1)
	s_and_b32 vcc_lo, exec_lo, s2
	s_cbranch_vccz .LBB47_977
; %bb.973:
	s_cmp_eq_u32 s1, 44
	s_mov_b32 s0, -1
	s_cbranch_scc0 .LBB47_977
; %bb.974:
	v_cndmask_b32_e64 v4, 0, 1.0, s7
	s_mov_b32 s2, exec_lo
	s_wait_xcnt 0x0
	s_delay_alu instid0(VALU_DEP_1) | instskip(NEXT) | instid1(VALU_DEP_1)
	v_dual_mov_b32 v3, 0xff :: v_dual_lshrrev_b32 v2, 23, v4
	v_cmpx_ne_u32_e32 0xff, v2
; %bb.975:
	v_and_b32_e32 v3, 0x400000, v4
	v_and_or_b32 v4, 0x3fffff, v4, v2
	s_delay_alu instid0(VALU_DEP_2) | instskip(NEXT) | instid1(VALU_DEP_2)
	v_cmp_ne_u32_e32 vcc_lo, 0, v3
	v_cmp_ne_u32_e64 s0, 0, v4
	s_and_b32 s0, vcc_lo, s0
	s_delay_alu instid0(SALU_CYCLE_1) | instskip(NEXT) | instid1(VALU_DEP_1)
	v_cndmask_b32_e64 v3, 0, 1, s0
	v_add_nc_u32_e32 v3, v2, v3
; %bb.976:
	s_or_b32 exec_lo, exec_lo, s2
	s_mov_b32 s0, 0
	global_store_b8 v[0:1], v3, off
.LBB47_977:
	s_mov_b32 s2, 0
.LBB47_978:
	s_delay_alu instid0(SALU_CYCLE_1)
	s_and_b32 vcc_lo, exec_lo, s2
	s_cbranch_vccz .LBB47_981
; %bb.979:
	s_cmp_eq_u32 s1, 29
	s_mov_b32 s0, -1
	s_cbranch_scc0 .LBB47_981
; %bb.980:
	s_mov_b32 s0, 0
	s_wait_xcnt 0x0
	v_cndmask_b32_e64 v2, 0, 1, s7
	v_mov_b32_e32 v3, s0
	s_mov_b32 s2, 0
	global_store_b64 v[0:1], v[2:3], off
	s_branch .LBB47_982
.LBB47_981:
	s_mov_b32 s2, 0
.LBB47_982:
	s_delay_alu instid0(SALU_CYCLE_1)
	s_and_b32 vcc_lo, exec_lo, s2
	s_cbranch_vccz .LBB47_997
; %bb.983:
	s_cmp_lt_i32 s1, 27
	s_mov_b32 s2, -1
	s_cbranch_scc1 .LBB47_989
; %bb.984:
	s_cmp_gt_i32 s1, 27
	s_cbranch_scc0 .LBB47_986
; %bb.985:
	s_wait_xcnt 0x0
	v_cndmask_b32_e64 v2, 0, 1, s7
	s_mov_b32 s2, 0
	global_store_b32 v[0:1], v2, off
.LBB47_986:
	s_and_not1_b32 vcc_lo, exec_lo, s2
	s_cbranch_vccnz .LBB47_988
; %bb.987:
	s_wait_xcnt 0x0
	v_cndmask_b32_e64 v2, 0, 1, s7
	global_store_b16 v[0:1], v2, off
.LBB47_988:
	s_mov_b32 s2, 0
.LBB47_989:
	s_delay_alu instid0(SALU_CYCLE_1)
	s_and_not1_b32 vcc_lo, exec_lo, s2
	s_cbranch_vccnz .LBB47_997
; %bb.990:
	s_wait_xcnt 0x0
	v_cndmask_b32_e64 v3, 0, 1.0, s7
	v_mov_b32_e32 v4, 0x80
	s_mov_b32 s2, exec_lo
	s_delay_alu instid0(VALU_DEP_2)
	v_cmpx_gt_u32_e32 0x43800000, v3
	s_cbranch_execz .LBB47_996
; %bb.991:
	s_mov_b32 s4, 0
	s_mov_b32 s5, exec_lo
                                        ; implicit-def: $vgpr2
	v_cmpx_lt_u32_e32 0x3bffffff, v3
	s_xor_b32 s5, exec_lo, s5
	s_cbranch_execz .LBB47_1154
; %bb.992:
	v_bfe_u32 v2, v3, 20, 1
	s_mov_b32 s4, exec_lo
	s_delay_alu instid0(VALU_DEP_1) | instskip(NEXT) | instid1(VALU_DEP_1)
	v_add3_u32 v2, v3, v2, 0x487ffff
                                        ; implicit-def: $vgpr3
	v_lshrrev_b32_e32 v2, 20, v2
	s_and_not1_saveexec_b32 s5, s5
	s_cbranch_execnz .LBB47_1155
.LBB47_993:
	s_or_b32 exec_lo, exec_lo, s5
	v_mov_b32_e32 v4, 0
	s_and_saveexec_b32 s5, s4
.LBB47_994:
	v_mov_b32_e32 v4, v2
.LBB47_995:
	s_or_b32 exec_lo, exec_lo, s5
.LBB47_996:
	s_delay_alu instid0(SALU_CYCLE_1)
	s_or_b32 exec_lo, exec_lo, s2
	global_store_b8 v[0:1], v4, off
.LBB47_997:
	s_mov_b32 s2, 0
.LBB47_998:
	s_delay_alu instid0(SALU_CYCLE_1)
	s_and_b32 vcc_lo, exec_lo, s2
	s_mov_b32 s2, 0
	s_cbranch_vccz .LBB47_1038
; %bb.999:
	s_cmp_gt_i32 s1, 22
	s_mov_b32 s4, -1
	s_cbranch_scc0 .LBB47_1031
; %bb.1000:
	s_cmp_lt_i32 s1, 24
	s_cbranch_scc1 .LBB47_1020
; %bb.1001:
	s_cmp_gt_i32 s1, 24
	s_cbranch_scc0 .LBB47_1009
; %bb.1002:
	s_wait_xcnt 0x0
	v_cndmask_b32_e64 v3, 0, 1.0, s7
	v_mov_b32_e32 v4, 0x80
	s_mov_b32 s4, exec_lo
	s_delay_alu instid0(VALU_DEP_2)
	v_cmpx_gt_u32_e32 0x47800000, v3
	s_cbranch_execz .LBB47_1008
; %bb.1003:
	s_mov_b32 s5, 0
	s_mov_b32 s9, exec_lo
                                        ; implicit-def: $vgpr2
	v_cmpx_lt_u32_e32 0x37ffffff, v3
	s_xor_b32 s9, exec_lo, s9
	s_cbranch_execz .LBB47_1275
; %bb.1004:
	v_bfe_u32 v2, v3, 21, 1
	s_mov_b32 s5, exec_lo
	s_delay_alu instid0(VALU_DEP_1) | instskip(NEXT) | instid1(VALU_DEP_1)
	v_add3_u32 v2, v3, v2, 0x88fffff
                                        ; implicit-def: $vgpr3
	v_lshrrev_b32_e32 v2, 21, v2
	s_and_not1_saveexec_b32 s9, s9
	s_cbranch_execnz .LBB47_1276
.LBB47_1005:
	s_or_b32 exec_lo, exec_lo, s9
	v_mov_b32_e32 v4, 0
	s_and_saveexec_b32 s9, s5
.LBB47_1006:
	v_mov_b32_e32 v4, v2
.LBB47_1007:
	s_or_b32 exec_lo, exec_lo, s9
.LBB47_1008:
	s_delay_alu instid0(SALU_CYCLE_1)
	s_or_b32 exec_lo, exec_lo, s4
	s_mov_b32 s4, 0
	global_store_b8 v[0:1], v4, off
.LBB47_1009:
	s_and_b32 vcc_lo, exec_lo, s4
	s_cbranch_vccz .LBB47_1019
; %bb.1010:
	s_wait_xcnt 0x0
	v_cndmask_b32_e64 v3, 0, 1.0, s7
	s_mov_b32 s4, exec_lo
                                        ; implicit-def: $vgpr2
	s_delay_alu instid0(VALU_DEP_1)
	v_cmpx_gt_u32_e32 0x43f00000, v3
	s_xor_b32 s4, exec_lo, s4
	s_cbranch_execz .LBB47_1016
; %bb.1011:
	s_mov_b32 s5, exec_lo
                                        ; implicit-def: $vgpr2
	v_cmpx_lt_u32_e32 0x3c7fffff, v3
	s_xor_b32 s5, exec_lo, s5
; %bb.1012:
	v_bfe_u32 v2, v3, 20, 1
	s_delay_alu instid0(VALU_DEP_1) | instskip(NEXT) | instid1(VALU_DEP_1)
	v_add3_u32 v2, v3, v2, 0x407ffff
	v_and_b32_e32 v3, 0xff00000, v2
	v_lshrrev_b32_e32 v2, 20, v2
	s_delay_alu instid0(VALU_DEP_2) | instskip(NEXT) | instid1(VALU_DEP_2)
	v_cmp_ne_u32_e32 vcc_lo, 0x7f00000, v3
                                        ; implicit-def: $vgpr3
	v_cndmask_b32_e32 v2, 0x7e, v2, vcc_lo
; %bb.1013:
	s_and_not1_saveexec_b32 s5, s5
; %bb.1014:
	v_add_f32_e32 v2, 0x46800000, v3
; %bb.1015:
	s_or_b32 exec_lo, exec_lo, s5
                                        ; implicit-def: $vgpr3
.LBB47_1016:
	s_and_not1_saveexec_b32 s4, s4
; %bb.1017:
	v_mov_b32_e32 v2, 0x7f
	v_cmp_lt_u32_e32 vcc_lo, 0x7f800000, v3
	s_delay_alu instid0(VALU_DEP_2)
	v_cndmask_b32_e32 v2, 0x7e, v2, vcc_lo
; %bb.1018:
	s_or_b32 exec_lo, exec_lo, s4
	global_store_b8 v[0:1], v2, off
.LBB47_1019:
	s_mov_b32 s4, 0
.LBB47_1020:
	s_delay_alu instid0(SALU_CYCLE_1)
	s_and_not1_b32 vcc_lo, exec_lo, s4
	s_cbranch_vccnz .LBB47_1030
; %bb.1021:
	s_wait_xcnt 0x0
	v_cndmask_b32_e64 v3, 0, 1.0, s7
	s_mov_b32 s4, exec_lo
                                        ; implicit-def: $vgpr2
	s_delay_alu instid0(VALU_DEP_1)
	v_cmpx_gt_u32_e32 0x47800000, v3
	s_xor_b32 s4, exec_lo, s4
	s_cbranch_execz .LBB47_1027
; %bb.1022:
	s_mov_b32 s5, exec_lo
                                        ; implicit-def: $vgpr2
	v_cmpx_lt_u32_e32 0x387fffff, v3
	s_xor_b32 s5, exec_lo, s5
; %bb.1023:
	v_bfe_u32 v2, v3, 21, 1
	s_delay_alu instid0(VALU_DEP_1) | instskip(NEXT) | instid1(VALU_DEP_1)
	v_add3_u32 v2, v3, v2, 0x80fffff
                                        ; implicit-def: $vgpr3
	v_lshrrev_b32_e32 v2, 21, v2
; %bb.1024:
	s_and_not1_saveexec_b32 s5, s5
; %bb.1025:
	v_add_f32_e32 v2, 0x43000000, v3
; %bb.1026:
	s_or_b32 exec_lo, exec_lo, s5
                                        ; implicit-def: $vgpr3
.LBB47_1027:
	s_and_not1_saveexec_b32 s4, s4
; %bb.1028:
	v_mov_b32_e32 v2, 0x7f
	v_cmp_lt_u32_e32 vcc_lo, 0x7f800000, v3
	s_delay_alu instid0(VALU_DEP_2)
	v_cndmask_b32_e32 v2, 0x7c, v2, vcc_lo
; %bb.1029:
	s_or_b32 exec_lo, exec_lo, s4
	global_store_b8 v[0:1], v2, off
.LBB47_1030:
	s_mov_b32 s4, 0
.LBB47_1031:
	s_delay_alu instid0(SALU_CYCLE_1)
	s_and_not1_b32 vcc_lo, exec_lo, s4
	s_mov_b32 s4, 0
	s_cbranch_vccnz .LBB47_1039
; %bb.1032:
	s_cmp_gt_i32 s1, 14
	s_mov_b32 s4, -1
	s_cbranch_scc0 .LBB47_1036
; %bb.1033:
	s_cmp_eq_u32 s1, 15
	s_mov_b32 s0, -1
	s_cbranch_scc0 .LBB47_1035
; %bb.1034:
	s_wait_xcnt 0x0
	v_cndmask_b32_e64 v2, 0, 1.0, s7
	s_mov_b32 s0, 0
	s_delay_alu instid0(VALU_DEP_1) | instskip(NEXT) | instid1(VALU_DEP_1)
	v_bfe_u32 v3, v2, 16, 1
	v_add3_u32 v2, v2, v3, 0x7fff
	global_store_d16_hi_b16 v[0:1], v2, off
.LBB47_1035:
	s_mov_b32 s4, 0
.LBB47_1036:
	s_delay_alu instid0(SALU_CYCLE_1)
	s_and_b32 vcc_lo, exec_lo, s4
	s_mov_b32 s4, 0
	s_cbranch_vccz .LBB47_1039
; %bb.1037:
	s_cmp_lg_u32 s1, 11
	s_mov_b32 s4, -1
	s_cselect_b32 s1, -1, 0
	s_and_not1_b32 s0, s0, exec_lo
	s_and_b32 s1, s1, exec_lo
	s_delay_alu instid0(SALU_CYCLE_1)
	s_or_b32 s0, s0, s1
	s_branch .LBB47_1039
.LBB47_1038:
	s_mov_b32 s4, 0
.LBB47_1039:
	s_and_not1_b32 s1, s20, exec_lo
	s_and_b32 s0, s0, exec_lo
	s_and_b32 s11, s2, exec_lo
	;; [unrolled: 1-line block ×3, first 2 shown]
	s_or_b32 s20, s1, s0
	s_wait_xcnt 0x0
	s_or_b32 exec_lo, exec_lo, s10
	s_and_saveexec_b32 s0, s20
	s_cbranch_execz .LBB47_968
.LBB47_1040:
	s_or_b32 s6, s6, exec_lo
	s_and_not1_b32 s12, s12, exec_lo
	s_trap 2
	s_or_b32 exec_lo, exec_lo, s0
	s_and_saveexec_b32 s0, s12
	s_delay_alu instid0(SALU_CYCLE_1)
	s_xor_b32 s0, exec_lo, s0
	s_cbranch_execnz .LBB47_969
.LBB47_1041:
	s_or_b32 exec_lo, exec_lo, s0
	s_and_saveexec_b32 s0, s11
	s_delay_alu instid0(SALU_CYCLE_1)
	s_xor_b32 s0, exec_lo, s0
	s_cbranch_execz .LBB47_1079
.LBB47_1042:
	s_sext_i32_i16 s2, s8
	s_mov_b32 s1, -1
	s_cmp_lt_i32 s2, 5
	s_cbranch_scc1 .LBB47_1063
; %bb.1043:
	s_cmp_lt_i32 s2, 8
	s_cbranch_scc1 .LBB47_1053
; %bb.1044:
	;; [unrolled: 3-line block ×3, first 2 shown]
	s_cmp_gt_i32 s2, 9
	s_cbranch_scc0 .LBB47_1047
; %bb.1046:
	v_cndmask_b32_e64 v2, 0, 1, s7
	v_mov_b32_e32 v4, 0
	s_mov_b32 s1, 0
	s_delay_alu instid0(VALU_DEP_2) | instskip(NEXT) | instid1(VALU_DEP_2)
	v_cvt_f64_u32_e32 v[2:3], v2
	v_mov_b32_e32 v5, v4
	s_wait_loadcnt 0x0
	global_store_b128 v[0:1], v[2:5], off
.LBB47_1047:
	s_and_not1_b32 vcc_lo, exec_lo, s1
	s_cbranch_vccnz .LBB47_1049
; %bb.1048:
	s_wait_xcnt 0x0
	v_cndmask_b32_e64 v2, 0, 1.0, s7
	v_mov_b32_e32 v3, 0
	s_wait_loadcnt 0x0
	global_store_b64 v[0:1], v[2:3], off
.LBB47_1049:
	s_mov_b32 s1, 0
.LBB47_1050:
	s_delay_alu instid0(SALU_CYCLE_1)
	s_and_not1_b32 vcc_lo, exec_lo, s1
	s_cbranch_vccnz .LBB47_1052
; %bb.1051:
	s_wait_xcnt 0x0
	v_cndmask_b32_e64 v2, 0, 1.0, s7
	s_delay_alu instid0(VALU_DEP_1) | instskip(NEXT) | instid1(VALU_DEP_1)
	v_cvt_f16_f32_e32 v2, v2
	v_and_b32_e32 v2, 0xffff, v2
	s_wait_loadcnt 0x0
	global_store_b32 v[0:1], v2, off
.LBB47_1052:
	s_mov_b32 s1, 0
.LBB47_1053:
	s_delay_alu instid0(SALU_CYCLE_1)
	s_and_not1_b32 vcc_lo, exec_lo, s1
	s_cbranch_vccnz .LBB47_1062
; %bb.1054:
	s_sext_i32_i16 s2, s8
	s_mov_b32 s1, -1
	s_cmp_lt_i32 s2, 6
	s_cbranch_scc1 .LBB47_1060
; %bb.1055:
	s_cmp_gt_i32 s2, 6
	s_cbranch_scc0 .LBB47_1057
; %bb.1056:
	s_wait_xcnt 0x0
	v_cndmask_b32_e64 v2, 0, 1, s7
	s_mov_b32 s1, 0
	s_delay_alu instid0(VALU_DEP_1)
	v_cvt_f64_u32_e32 v[2:3], v2
	s_wait_loadcnt 0x0
	global_store_b64 v[0:1], v[2:3], off
.LBB47_1057:
	s_and_not1_b32 vcc_lo, exec_lo, s1
	s_cbranch_vccnz .LBB47_1059
; %bb.1058:
	s_wait_xcnt 0x0
	v_cndmask_b32_e64 v2, 0, 1.0, s7
	s_wait_loadcnt 0x0
	global_store_b32 v[0:1], v2, off
.LBB47_1059:
	s_mov_b32 s1, 0
.LBB47_1060:
	s_delay_alu instid0(SALU_CYCLE_1)
	s_and_not1_b32 vcc_lo, exec_lo, s1
	s_cbranch_vccnz .LBB47_1062
; %bb.1061:
	s_wait_xcnt 0x0
	v_cndmask_b32_e64 v2, 0, 1.0, s7
	s_delay_alu instid0(VALU_DEP_1)
	v_cvt_f16_f32_e32 v2, v2
	s_wait_loadcnt 0x0
	global_store_b16 v[0:1], v2, off
.LBB47_1062:
	s_mov_b32 s1, 0
.LBB47_1063:
	s_delay_alu instid0(SALU_CYCLE_1)
	s_and_not1_b32 vcc_lo, exec_lo, s1
	s_cbranch_vccnz .LBB47_1079
; %bb.1064:
	s_sext_i32_i16 s2, s8
	s_mov_b32 s1, -1
	s_cmp_lt_i32 s2, 2
	s_cbranch_scc1 .LBB47_1074
; %bb.1065:
	s_cmp_lt_i32 s2, 3
	s_cbranch_scc1 .LBB47_1071
; %bb.1066:
	s_cmp_gt_i32 s2, 3
	s_cbranch_scc0 .LBB47_1068
; %bb.1067:
	s_mov_b32 s1, 0
	s_wait_xcnt 0x0
	v_cndmask_b32_e64 v2, 0, 1, s7
	v_mov_b32_e32 v3, s1
	s_wait_loadcnt 0x0
	global_store_b64 v[0:1], v[2:3], off
.LBB47_1068:
	s_and_not1_b32 vcc_lo, exec_lo, s1
	s_cbranch_vccnz .LBB47_1070
; %bb.1069:
	s_wait_xcnt 0x0
	v_cndmask_b32_e64 v2, 0, 1, s7
	s_wait_loadcnt 0x0
	global_store_b32 v[0:1], v2, off
.LBB47_1070:
	s_mov_b32 s1, 0
.LBB47_1071:
	s_delay_alu instid0(SALU_CYCLE_1)
	s_and_not1_b32 vcc_lo, exec_lo, s1
	s_cbranch_vccnz .LBB47_1073
; %bb.1072:
	s_wait_xcnt 0x0
	v_cndmask_b32_e64 v2, 0, 1, s7
	s_wait_loadcnt 0x0
	global_store_b16 v[0:1], v2, off
.LBB47_1073:
	s_mov_b32 s1, 0
.LBB47_1074:
	s_delay_alu instid0(SALU_CYCLE_1)
	s_and_not1_b32 vcc_lo, exec_lo, s1
	s_cbranch_vccnz .LBB47_1079
; %bb.1075:
	s_sext_i32_i16 s1, s8
	s_delay_alu instid0(SALU_CYCLE_1)
	s_cmp_gt_i32 s1, 0
	s_mov_b32 s1, -1
	s_cbranch_scc0 .LBB47_1077
; %bb.1076:
	s_wait_xcnt 0x0
	v_cndmask_b32_e64 v2, 0, 1, s7
	s_mov_b32 s1, 0
	s_wait_loadcnt 0x0
	global_store_b8 v[0:1], v2, off
.LBB47_1077:
	s_and_not1_b32 vcc_lo, exec_lo, s1
	s_cbranch_vccnz .LBB47_1079
; %bb.1078:
	s_wait_xcnt 0x0
	v_cndmask_b32_e64 v2, 0, 1, s7
	s_wait_loadcnt 0x0
	global_store_b8 v[0:1], v2, off
.LBB47_1079:
	s_wait_xcnt 0x0
	s_or_b32 exec_lo, exec_lo, s0
	s_delay_alu instid0(SALU_CYCLE_1)
	s_and_b32 s8, s6, exec_lo
                                        ; implicit-def: $vgpr9
                                        ; implicit-def: $vgpr0
.LBB47_1080:
	s_or_saveexec_b32 s9, s36
	s_mov_b32 s0, 0
                                        ; implicit-def: $sgpr1
                                        ; implicit-def: $vgpr2_vgpr3
                                        ; implicit-def: $sgpr2
	s_xor_b32 exec_lo, exec_lo, s9
	s_cbranch_execz .LBB47_2074
; %bb.1081:
	s_wait_loadcnt 0x0
	v_cndmask_b32_e64 v1, 0, 1, s35
	s_and_not1_b32 vcc_lo, exec_lo, s35
	s_cbranch_vccnz .LBB47_1087
; %bb.1082:
	s_cmp_lg_u32 s33, 0
	s_mov_b32 s6, 0
	s_cbranch_scc0 .LBB47_1088
; %bb.1083:
	s_min_u32 s1, s34, 15
	s_delay_alu instid0(SALU_CYCLE_1)
	s_add_co_i32 s1, s1, 1
	s_cmp_eq_u32 s34, 2
	s_cbranch_scc1 .LBB47_1089
; %bb.1084:
	v_dual_mov_b32 v6, 0 :: v_dual_mov_b32 v14, 0
	v_mov_b32_e32 v2, v0
	s_and_b32 s0, s1, 28
	s_add_nc_u64 s[2:3], s[16:17], 0xc4
	s_mov_b32 s7, 0
	s_mov_b64 s[4:5], s[16:17]
.LBB47_1085:                            ; =>This Inner Loop Header: Depth=1
	s_clause 0x1
	s_load_b256 s[20:27], s[4:5], 0x4
	s_load_b128 s[12:15], s[4:5], 0x24
	s_load_b256 s[36:43], s[2:3], 0x0
	s_add_co_i32 s7, s7, 4
	s_wait_xcnt 0x0
	s_add_nc_u64 s[4:5], s[4:5], 48
	s_cmp_lg_u32 s0, s7
	s_add_nc_u64 s[2:3], s[2:3], 32
	s_wait_kmcnt 0x0
	v_mul_hi_u32 v3, s21, v2
	s_delay_alu instid0(VALU_DEP_1) | instskip(NEXT) | instid1(VALU_DEP_1)
	v_add_nc_u32_e32 v3, v2, v3
	v_lshrrev_b32_e32 v3, s22, v3
	s_delay_alu instid0(VALU_DEP_1) | instskip(NEXT) | instid1(VALU_DEP_1)
	v_mul_hi_u32 v4, s24, v3
	v_add_nc_u32_e32 v4, v3, v4
	s_delay_alu instid0(VALU_DEP_1) | instskip(NEXT) | instid1(VALU_DEP_1)
	v_lshrrev_b32_e32 v4, s25, v4
	v_mul_hi_u32 v5, s27, v4
	s_delay_alu instid0(VALU_DEP_1) | instskip(SKIP_1) | instid1(VALU_DEP_1)
	v_add_nc_u32_e32 v5, v4, v5
	v_mul_lo_u32 v7, v3, s20
	v_sub_nc_u32_e32 v2, v2, v7
	v_mul_lo_u32 v7, v4, s23
	s_delay_alu instid0(VALU_DEP_4) | instskip(NEXT) | instid1(VALU_DEP_3)
	v_lshrrev_b32_e32 v5, s12, v5
	v_mad_u32 v10, v2, s37, v14
	v_mad_u32 v2, v2, s36, v6
	s_delay_alu instid0(VALU_DEP_4) | instskip(NEXT) | instid1(VALU_DEP_4)
	v_sub_nc_u32_e32 v3, v3, v7
	v_mul_hi_u32 v8, s14, v5
	v_mul_lo_u32 v6, v5, s26
	s_delay_alu instid0(VALU_DEP_1) | instskip(NEXT) | instid1(VALU_DEP_4)
	v_dual_add_nc_u32 v7, v5, v8 :: v_dual_sub_nc_u32 v4, v4, v6
	v_mad_u32 v8, v3, s39, v10
	v_mad_u32 v3, v3, s38, v2
	s_delay_alu instid0(VALU_DEP_3) | instskip(NEXT) | instid1(VALU_DEP_1)
	v_lshrrev_b32_e32 v2, s15, v7
	v_mul_lo_u32 v6, v2, s13
	s_delay_alu instid0(VALU_DEP_4) | instskip(NEXT) | instid1(VALU_DEP_4)
	v_mad_u32 v7, v4, s41, v8
	v_mad_u32 v3, v4, s40, v3
	s_delay_alu instid0(VALU_DEP_3) | instskip(NEXT) | instid1(VALU_DEP_1)
	v_sub_nc_u32_e32 v4, v5, v6
	v_mad_u32 v14, v4, s43, v7
	s_delay_alu instid0(VALU_DEP_3)
	v_mad_u32 v6, v4, s42, v3
	s_cbranch_scc1 .LBB47_1085
; %bb.1086:
	s_delay_alu instid0(VALU_DEP_2)
	v_mov_b32_e32 v7, v14
	s_and_b32 s4, s1, 3
	s_mov_b32 s1, 0
	s_cmp_eq_u32 s4, 0
	s_cbranch_scc0 .LBB47_1090
	s_branch .LBB47_1093
.LBB47_1087:
	s_mov_b32 s6, -1
                                        ; implicit-def: $vgpr14
                                        ; implicit-def: $vgpr6
	s_branch .LBB47_1093
.LBB47_1088:
	v_dual_mov_b32 v14, 0 :: v_dual_mov_b32 v6, 0
	s_branch .LBB47_1093
.LBB47_1089:
	v_mov_b64_e32 v[6:7], 0
	v_mov_b32_e32 v2, v0
                                        ; implicit-def: $vgpr14
	s_and_b32 s4, s1, 3
	s_mov_b32 s1, 0
	s_cmp_eq_u32 s4, 0
	s_cbranch_scc1 .LBB47_1093
.LBB47_1090:
	s_lshl_b32 s2, s0, 3
	s_mov_b32 s3, s1
	s_mul_u64 s[10:11], s[0:1], 12
	s_add_nc_u64 s[2:3], s[16:17], s[2:3]
	s_delay_alu instid0(SALU_CYCLE_1)
	s_add_nc_u64 s[0:1], s[2:3], 0xc4
	s_add_nc_u64 s[2:3], s[16:17], s[10:11]
.LBB47_1091:                            ; =>This Inner Loop Header: Depth=1
	s_load_b96 s[12:14], s[2:3], 0x4
	s_load_b64 s[10:11], s[0:1], 0x0
	s_add_co_i32 s4, s4, -1
	s_wait_xcnt 0x0
	s_add_nc_u64 s[2:3], s[2:3], 12
	s_cmp_lg_u32 s4, 0
	s_add_nc_u64 s[0:1], s[0:1], 8
	s_wait_kmcnt 0x0
	v_mul_hi_u32 v3, s13, v2
	s_delay_alu instid0(VALU_DEP_1) | instskip(NEXT) | instid1(VALU_DEP_1)
	v_add_nc_u32_e32 v3, v2, v3
	v_lshrrev_b32_e32 v3, s14, v3
	s_delay_alu instid0(VALU_DEP_1) | instskip(NEXT) | instid1(VALU_DEP_1)
	v_mul_lo_u32 v4, v3, s12
	v_sub_nc_u32_e32 v2, v2, v4
	s_delay_alu instid0(VALU_DEP_1)
	v_mad_u32 v7, v2, s11, v7
	v_mad_u32 v6, v2, s10, v6
	v_mov_b32_e32 v2, v3
	s_cbranch_scc1 .LBB47_1091
; %bb.1092:
	s_delay_alu instid0(VALU_DEP_3)
	v_mov_b32_e32 v14, v7
.LBB47_1093:
	s_and_not1_b32 vcc_lo, exec_lo, s6
	s_cbranch_vccnz .LBB47_1096
; %bb.1094:
	s_clause 0x1
	s_load_b96 s[0:2], s[16:17], 0x4
	s_load_b64 s[4:5], s[16:17], 0xc4
	s_cmp_lt_u32 s33, 2
	s_wait_kmcnt 0x0
	v_mul_hi_u32 v2, s1, v0
	s_delay_alu instid0(VALU_DEP_1) | instskip(NEXT) | instid1(VALU_DEP_1)
	v_add_nc_u32_e32 v2, v0, v2
	v_lshrrev_b32_e32 v2, s2, v2
	s_delay_alu instid0(VALU_DEP_1) | instskip(NEXT) | instid1(VALU_DEP_1)
	v_mul_lo_u32 v3, v2, s0
	v_sub_nc_u32_e32 v3, v0, v3
	s_delay_alu instid0(VALU_DEP_1)
	v_mul_lo_u32 v14, v3, s5
	v_mul_lo_u32 v6, v3, s4
	s_cbranch_scc1 .LBB47_1096
; %bb.1095:
	s_clause 0x1
	s_load_b96 s[0:2], s[16:17], 0x10
	s_load_b64 s[4:5], s[16:17], 0xcc
	s_wait_kmcnt 0x0
	v_mul_hi_u32 v3, s1, v2
	s_delay_alu instid0(VALU_DEP_1) | instskip(NEXT) | instid1(VALU_DEP_1)
	v_add_nc_u32_e32 v3, v2, v3
	v_lshrrev_b32_e32 v3, s2, v3
	s_delay_alu instid0(VALU_DEP_1) | instskip(NEXT) | instid1(VALU_DEP_1)
	v_mul_lo_u32 v3, v3, s0
	v_sub_nc_u32_e32 v2, v2, v3
	s_delay_alu instid0(VALU_DEP_1)
	v_mad_u32 v6, v2, s4, v6
	v_mad_u32 v14, v2, s5, v14
.LBB47_1096:
	v_cmp_ne_u32_e32 vcc_lo, 1, v1
	v_add_nc_u32_e32 v2, 0x80, v0
	s_cbranch_vccnz .LBB47_1102
; %bb.1097:
	s_cmp_lg_u32 s33, 0
	s_mov_b32 s6, 0
	s_cbranch_scc0 .LBB47_1103
; %bb.1098:
	s_min_u32 s1, s34, 15
	s_delay_alu instid0(SALU_CYCLE_1)
	s_add_co_i32 s1, s1, 1
	s_cmp_eq_u32 s34, 2
	s_cbranch_scc1 .LBB47_1104
; %bb.1099:
	v_dual_mov_b32 v4, 0 :: v_dual_mov_b32 v12, 0
	v_mov_b32_e32 v3, v2
	s_and_b32 s0, s1, 28
	s_add_nc_u64 s[2:3], s[16:17], 0xc4
	s_mov_b32 s7, 0
	s_mov_b64 s[4:5], s[16:17]
.LBB47_1100:                            ; =>This Inner Loop Header: Depth=1
	s_clause 0x1
	s_load_b256 s[20:27], s[4:5], 0x4
	s_load_b128 s[12:15], s[4:5], 0x24
	s_load_b256 s[36:43], s[2:3], 0x0
	s_add_co_i32 s7, s7, 4
	s_wait_xcnt 0x0
	s_add_nc_u64 s[4:5], s[4:5], 48
	s_cmp_lg_u32 s0, s7
	s_add_nc_u64 s[2:3], s[2:3], 32
	s_wait_kmcnt 0x0
	v_mul_hi_u32 v5, s21, v3
	s_delay_alu instid0(VALU_DEP_1) | instskip(NEXT) | instid1(VALU_DEP_1)
	v_add_nc_u32_e32 v5, v3, v5
	v_lshrrev_b32_e32 v5, s22, v5
	s_delay_alu instid0(VALU_DEP_1) | instskip(NEXT) | instid1(VALU_DEP_1)
	v_mul_hi_u32 v7, s24, v5
	v_add_nc_u32_e32 v7, v5, v7
	s_delay_alu instid0(VALU_DEP_1) | instskip(NEXT) | instid1(VALU_DEP_1)
	v_lshrrev_b32_e32 v7, s25, v7
	v_mul_hi_u32 v8, s27, v7
	s_delay_alu instid0(VALU_DEP_1) | instskip(SKIP_1) | instid1(VALU_DEP_1)
	v_add_nc_u32_e32 v8, v7, v8
	v_mul_lo_u32 v10, v5, s20
	v_sub_nc_u32_e32 v3, v3, v10
	v_mul_lo_u32 v10, v7, s23
	s_delay_alu instid0(VALU_DEP_4) | instskip(NEXT) | instid1(VALU_DEP_3)
	v_lshrrev_b32_e32 v8, s12, v8
	v_mad_u32 v12, v3, s37, v12
	v_mad_u32 v3, v3, s36, v4
	s_delay_alu instid0(VALU_DEP_4) | instskip(NEXT) | instid1(VALU_DEP_4)
	v_sub_nc_u32_e32 v4, v5, v10
	v_mul_hi_u32 v11, s14, v8
	v_mul_lo_u32 v5, v8, s26
	s_delay_alu instid0(VALU_DEP_1) | instskip(NEXT) | instid1(VALU_DEP_4)
	v_dual_add_nc_u32 v10, v8, v11 :: v_dual_sub_nc_u32 v5, v7, v5
	v_mad_u32 v11, v4, s39, v12
	v_mad_u32 v4, v4, s38, v3
	s_delay_alu instid0(VALU_DEP_3) | instskip(NEXT) | instid1(VALU_DEP_1)
	v_lshrrev_b32_e32 v3, s15, v10
	v_mul_lo_u32 v7, v3, s13
	s_delay_alu instid0(VALU_DEP_4) | instskip(NEXT) | instid1(VALU_DEP_4)
	v_mad_u32 v10, v5, s41, v11
	v_mad_u32 v4, v5, s40, v4
	s_delay_alu instid0(VALU_DEP_3) | instskip(NEXT) | instid1(VALU_DEP_1)
	v_sub_nc_u32_e32 v5, v8, v7
	v_mad_u32 v12, v5, s43, v10
	s_delay_alu instid0(VALU_DEP_3)
	v_mad_u32 v4, v5, s42, v4
	s_cbranch_scc1 .LBB47_1100
; %bb.1101:
	s_delay_alu instid0(VALU_DEP_2)
	v_mov_b32_e32 v5, v12
	s_and_b32 s4, s1, 3
	s_mov_b32 s1, 0
	s_cmp_eq_u32 s4, 0
	s_cbranch_scc0 .LBB47_1105
	s_branch .LBB47_1108
.LBB47_1102:
	s_mov_b32 s6, -1
                                        ; implicit-def: $vgpr12
                                        ; implicit-def: $vgpr4
	s_branch .LBB47_1108
.LBB47_1103:
	v_dual_mov_b32 v12, 0 :: v_dual_mov_b32 v4, 0
	s_branch .LBB47_1108
.LBB47_1104:
	v_mov_b64_e32 v[4:5], 0
	v_mov_b32_e32 v3, v2
	s_mov_b32 s0, 0
                                        ; implicit-def: $vgpr12
	s_and_b32 s4, s1, 3
	s_mov_b32 s1, 0
	s_cmp_eq_u32 s4, 0
	s_cbranch_scc1 .LBB47_1108
.LBB47_1105:
	s_lshl_b32 s2, s0, 3
	s_mov_b32 s3, s1
	s_mul_u64 s[10:11], s[0:1], 12
	s_add_nc_u64 s[2:3], s[16:17], s[2:3]
	s_delay_alu instid0(SALU_CYCLE_1)
	s_add_nc_u64 s[0:1], s[2:3], 0xc4
	s_add_nc_u64 s[2:3], s[16:17], s[10:11]
.LBB47_1106:                            ; =>This Inner Loop Header: Depth=1
	s_load_b96 s[12:14], s[2:3], 0x4
	s_load_b64 s[10:11], s[0:1], 0x0
	s_add_co_i32 s4, s4, -1
	s_wait_xcnt 0x0
	s_add_nc_u64 s[2:3], s[2:3], 12
	s_cmp_lg_u32 s4, 0
	s_add_nc_u64 s[0:1], s[0:1], 8
	s_wait_kmcnt 0x0
	v_mul_hi_u32 v7, s13, v3
	s_delay_alu instid0(VALU_DEP_1) | instskip(NEXT) | instid1(VALU_DEP_1)
	v_add_nc_u32_e32 v7, v3, v7
	v_lshrrev_b32_e32 v7, s14, v7
	s_delay_alu instid0(VALU_DEP_1) | instskip(NEXT) | instid1(VALU_DEP_1)
	v_mul_lo_u32 v8, v7, s12
	v_sub_nc_u32_e32 v3, v3, v8
	s_delay_alu instid0(VALU_DEP_1)
	v_mad_u32 v5, v3, s11, v5
	v_mad_u32 v4, v3, s10, v4
	v_mov_b32_e32 v3, v7
	s_cbranch_scc1 .LBB47_1106
; %bb.1107:
	s_delay_alu instid0(VALU_DEP_3)
	v_mov_b32_e32 v12, v5
.LBB47_1108:
	s_and_not1_b32 vcc_lo, exec_lo, s6
	s_cbranch_vccnz .LBB47_1111
; %bb.1109:
	s_clause 0x1
	s_load_b96 s[0:2], s[16:17], 0x4
	s_load_b64 s[4:5], s[16:17], 0xc4
	s_cmp_lt_u32 s33, 2
	s_wait_kmcnt 0x0
	v_mul_hi_u32 v3, s1, v2
	s_delay_alu instid0(VALU_DEP_1) | instskip(NEXT) | instid1(VALU_DEP_1)
	v_add_nc_u32_e32 v3, v2, v3
	v_lshrrev_b32_e32 v3, s2, v3
	s_delay_alu instid0(VALU_DEP_1) | instskip(NEXT) | instid1(VALU_DEP_1)
	v_mul_lo_u32 v4, v3, s0
	v_sub_nc_u32_e32 v2, v2, v4
	s_delay_alu instid0(VALU_DEP_1)
	v_mul_lo_u32 v12, v2, s5
	v_mul_lo_u32 v4, v2, s4
	s_cbranch_scc1 .LBB47_1111
; %bb.1110:
	s_clause 0x1
	s_load_b96 s[0:2], s[16:17], 0x10
	s_load_b64 s[4:5], s[16:17], 0xcc
	s_wait_kmcnt 0x0
	v_mul_hi_u32 v2, s1, v3
	s_delay_alu instid0(VALU_DEP_1) | instskip(NEXT) | instid1(VALU_DEP_1)
	v_add_nc_u32_e32 v2, v3, v2
	v_lshrrev_b32_e32 v2, s2, v2
	s_delay_alu instid0(VALU_DEP_1) | instskip(NEXT) | instid1(VALU_DEP_1)
	v_mul_lo_u32 v2, v2, s0
	v_sub_nc_u32_e32 v2, v3, v2
	s_delay_alu instid0(VALU_DEP_1)
	v_mad_u32 v4, v2, s4, v4
	v_mad_u32 v12, v2, s5, v12
.LBB47_1111:
	v_cmp_ne_u32_e32 vcc_lo, 1, v1
	v_add_nc_u32_e32 v0, 0x100, v0
	s_cbranch_vccnz .LBB47_1117
; %bb.1112:
	s_cmp_lg_u32 s33, 0
	s_mov_b32 s6, 0
	s_cbranch_scc0 .LBB47_1118
; %bb.1113:
	s_min_u32 s1, s34, 15
	s_delay_alu instid0(SALU_CYCLE_1)
	s_add_co_i32 s1, s1, 1
	s_cmp_eq_u32 s34, 2
	s_cbranch_scc1 .LBB47_1119
; %bb.1114:
	v_dual_mov_b32 v2, 0 :: v_dual_mov_b32 v10, 0
	v_mov_b32_e32 v5, v0
	s_and_b32 s0, s1, 28
	s_add_nc_u64 s[2:3], s[16:17], 0xc4
	s_mov_b32 s7, 0
	s_mov_b64 s[4:5], s[16:17]
.LBB47_1115:                            ; =>This Inner Loop Header: Depth=1
	s_clause 0x1
	s_load_b256 s[20:27], s[4:5], 0x4
	s_load_b128 s[12:15], s[4:5], 0x24
	s_load_b256 s[36:43], s[2:3], 0x0
	s_add_co_i32 s7, s7, 4
	s_wait_xcnt 0x0
	s_add_nc_u64 s[4:5], s[4:5], 48
	s_cmp_lg_u32 s0, s7
	s_add_nc_u64 s[2:3], s[2:3], 32
	s_wait_kmcnt 0x0
	v_mul_hi_u32 v3, s21, v5
	s_delay_alu instid0(VALU_DEP_1) | instskip(NEXT) | instid1(VALU_DEP_1)
	v_add_nc_u32_e32 v3, v5, v3
	v_lshrrev_b32_e32 v3, s22, v3
	s_delay_alu instid0(VALU_DEP_1) | instskip(NEXT) | instid1(VALU_DEP_1)
	v_mul_hi_u32 v7, s24, v3
	v_add_nc_u32_e32 v7, v3, v7
	s_delay_alu instid0(VALU_DEP_1) | instskip(NEXT) | instid1(VALU_DEP_1)
	v_lshrrev_b32_e32 v7, s25, v7
	v_mul_hi_u32 v8, s27, v7
	s_delay_alu instid0(VALU_DEP_1) | instskip(NEXT) | instid1(VALU_DEP_1)
	v_add_nc_u32_e32 v8, v7, v8
	v_lshrrev_b32_e32 v8, s12, v8
	v_mul_lo_u32 v11, v3, s20
	s_delay_alu instid0(VALU_DEP_2) | instskip(NEXT) | instid1(VALU_DEP_2)
	v_mul_hi_u32 v13, s14, v8
	v_sub_nc_u32_e32 v5, v5, v11
	s_delay_alu instid0(VALU_DEP_1) | instskip(SKIP_1) | instid1(VALU_DEP_4)
	v_mad_u32 v10, v5, s37, v10
	v_mad_u32 v2, v5, s36, v2
	v_add_nc_u32_e32 v5, v8, v13
	s_delay_alu instid0(VALU_DEP_1) | instskip(SKIP_1) | instid1(VALU_DEP_1)
	v_lshrrev_b32_e32 v5, s15, v5
	v_mul_lo_u32 v11, v7, s23
	v_sub_nc_u32_e32 v3, v3, v11
	v_mul_lo_u32 v11, v8, s26
	s_delay_alu instid0(VALU_DEP_2) | instskip(SKIP_1) | instid1(VALU_DEP_3)
	v_mad_u32 v10, v3, s39, v10
	v_mad_u32 v2, v3, s38, v2
	v_sub_nc_u32_e32 v3, v7, v11
	v_mul_lo_u32 v7, v5, s13
	s_delay_alu instid0(VALU_DEP_2) | instskip(NEXT) | instid1(VALU_DEP_4)
	v_mad_u32 v10, v3, s41, v10
	v_mad_u32 v2, v3, s40, v2
	s_delay_alu instid0(VALU_DEP_3) | instskip(NEXT) | instid1(VALU_DEP_1)
	v_sub_nc_u32_e32 v3, v8, v7
	v_mad_u32 v10, v3, s43, v10
	s_delay_alu instid0(VALU_DEP_3)
	v_mad_u32 v2, v3, s42, v2
	s_cbranch_scc1 .LBB47_1115
; %bb.1116:
	s_delay_alu instid0(VALU_DEP_2)
	v_mov_b32_e32 v3, v10
	s_and_b32 s4, s1, 3
	s_mov_b32 s1, 0
	s_cmp_eq_u32 s4, 0
	s_cbranch_scc0 .LBB47_1120
	s_branch .LBB47_1123
.LBB47_1117:
	s_mov_b32 s6, -1
                                        ; implicit-def: $vgpr10
                                        ; implicit-def: $vgpr2
	s_branch .LBB47_1123
.LBB47_1118:
	v_dual_mov_b32 v10, 0 :: v_dual_mov_b32 v2, 0
	s_branch .LBB47_1123
.LBB47_1119:
	v_mov_b64_e32 v[2:3], 0
	v_mov_b32_e32 v5, v0
	s_mov_b32 s0, 0
                                        ; implicit-def: $vgpr10
	s_and_b32 s4, s1, 3
	s_mov_b32 s1, 0
	s_cmp_eq_u32 s4, 0
	s_cbranch_scc1 .LBB47_1123
.LBB47_1120:
	s_lshl_b32 s2, s0, 3
	s_mov_b32 s3, s1
	s_mul_u64 s[10:11], s[0:1], 12
	s_add_nc_u64 s[2:3], s[16:17], s[2:3]
	s_delay_alu instid0(SALU_CYCLE_1)
	s_add_nc_u64 s[0:1], s[2:3], 0xc4
	s_add_nc_u64 s[2:3], s[16:17], s[10:11]
.LBB47_1121:                            ; =>This Inner Loop Header: Depth=1
	s_load_b96 s[12:14], s[2:3], 0x4
	s_load_b64 s[10:11], s[0:1], 0x0
	s_add_co_i32 s4, s4, -1
	s_wait_xcnt 0x0
	s_add_nc_u64 s[2:3], s[2:3], 12
	s_cmp_lg_u32 s4, 0
	s_add_nc_u64 s[0:1], s[0:1], 8
	s_wait_kmcnt 0x0
	v_mul_hi_u32 v7, s13, v5
	s_delay_alu instid0(VALU_DEP_1) | instskip(NEXT) | instid1(VALU_DEP_1)
	v_add_nc_u32_e32 v7, v5, v7
	v_lshrrev_b32_e32 v7, s14, v7
	s_delay_alu instid0(VALU_DEP_1) | instskip(NEXT) | instid1(VALU_DEP_1)
	v_mul_lo_u32 v8, v7, s12
	v_sub_nc_u32_e32 v5, v5, v8
	s_delay_alu instid0(VALU_DEP_1)
	v_mad_u32 v3, v5, s11, v3
	v_mad_u32 v2, v5, s10, v2
	v_mov_b32_e32 v5, v7
	s_cbranch_scc1 .LBB47_1121
; %bb.1122:
	s_delay_alu instid0(VALU_DEP_3)
	v_mov_b32_e32 v10, v3
.LBB47_1123:
	s_and_not1_b32 vcc_lo, exec_lo, s6
	s_cbranch_vccnz .LBB47_1126
; %bb.1124:
	s_clause 0x1
	s_load_b96 s[0:2], s[16:17], 0x4
	s_load_b64 s[4:5], s[16:17], 0xc4
	s_cmp_lt_u32 s33, 2
	s_wait_kmcnt 0x0
	v_mul_hi_u32 v2, s1, v0
	s_delay_alu instid0(VALU_DEP_1) | instskip(NEXT) | instid1(VALU_DEP_1)
	v_add_nc_u32_e32 v2, v0, v2
	v_lshrrev_b32_e32 v3, s2, v2
	s_delay_alu instid0(VALU_DEP_1) | instskip(NEXT) | instid1(VALU_DEP_1)
	v_mul_lo_u32 v2, v3, s0
	v_sub_nc_u32_e32 v0, v0, v2
	s_delay_alu instid0(VALU_DEP_1)
	v_mul_lo_u32 v10, v0, s5
	v_mul_lo_u32 v2, v0, s4
	s_cbranch_scc1 .LBB47_1126
; %bb.1125:
	s_clause 0x1
	s_load_b96 s[0:2], s[16:17], 0x10
	s_load_b64 s[4:5], s[16:17], 0xcc
	s_wait_kmcnt 0x0
	v_mul_hi_u32 v0, s1, v3
	s_delay_alu instid0(VALU_DEP_1) | instskip(NEXT) | instid1(VALU_DEP_1)
	v_add_nc_u32_e32 v0, v3, v0
	v_lshrrev_b32_e32 v0, s2, v0
	s_delay_alu instid0(VALU_DEP_1) | instskip(NEXT) | instid1(VALU_DEP_1)
	v_mul_lo_u32 v0, v0, s0
	v_sub_nc_u32_e32 v0, v3, v0
	s_delay_alu instid0(VALU_DEP_1)
	v_mad_u32 v2, v0, s4, v2
	v_mad_u32 v10, v0, s5, v10
.LBB47_1126:
	v_cmp_ne_u32_e32 vcc_lo, 1, v1
	s_cbranch_vccnz .LBB47_1132
; %bb.1127:
	s_cmp_lg_u32 s33, 0
	s_mov_b32 s6, 0
	s_cbranch_scc0 .LBB47_1133
; %bb.1128:
	s_min_u32 s1, s34, 15
	s_delay_alu instid0(SALU_CYCLE_1)
	s_add_co_i32 s1, s1, 1
	s_cmp_eq_u32 s34, 2
	s_cbranch_scc1 .LBB47_1134
; %bb.1129:
	v_dual_mov_b32 v0, 0 :: v_dual_mov_b32 v8, 0
	v_mov_b32_e32 v3, v9
	s_and_b32 s0, s1, 28
	s_add_nc_u64 s[2:3], s[16:17], 0xc4
	s_mov_b32 s7, 0
	s_mov_b64 s[4:5], s[16:17]
.LBB47_1130:                            ; =>This Inner Loop Header: Depth=1
	s_clause 0x1
	s_load_b256 s[20:27], s[4:5], 0x4
	s_load_b128 s[12:15], s[4:5], 0x24
	s_load_b256 s[36:43], s[2:3], 0x0
	s_add_co_i32 s7, s7, 4
	s_wait_xcnt 0x0
	s_add_nc_u64 s[4:5], s[4:5], 48
	s_cmp_lg_u32 s0, s7
	s_add_nc_u64 s[2:3], s[2:3], 32
	s_wait_kmcnt 0x0
	v_mul_hi_u32 v1, s21, v3
	s_delay_alu instid0(VALU_DEP_1) | instskip(NEXT) | instid1(VALU_DEP_1)
	v_add_nc_u32_e32 v1, v3, v1
	v_lshrrev_b32_e32 v1, s22, v1
	s_delay_alu instid0(VALU_DEP_1) | instskip(NEXT) | instid1(VALU_DEP_1)
	v_mul_lo_u32 v11, v1, s20
	v_sub_nc_u32_e32 v3, v3, v11
	v_mul_hi_u32 v5, s24, v1
	s_delay_alu instid0(VALU_DEP_2) | instskip(SKIP_1) | instid1(VALU_DEP_3)
	v_mad_u32 v8, v3, s37, v8
	v_mad_u32 v0, v3, s36, v0
	v_add_nc_u32_e32 v5, v1, v5
	s_delay_alu instid0(VALU_DEP_1) | instskip(NEXT) | instid1(VALU_DEP_1)
	v_lshrrev_b32_e32 v5, s25, v5
	v_mul_lo_u32 v11, v5, s23
	s_delay_alu instid0(VALU_DEP_1) | instskip(SKIP_1) | instid1(VALU_DEP_2)
	v_sub_nc_u32_e32 v1, v1, v11
	v_mul_hi_u32 v7, s27, v5
	v_mad_u32 v8, v1, s39, v8
	v_mad_u32 v0, v1, s38, v0
	s_delay_alu instid0(VALU_DEP_3) | instskip(NEXT) | instid1(VALU_DEP_1)
	v_add_nc_u32_e32 v7, v5, v7
	v_lshrrev_b32_e32 v7, s12, v7
	s_delay_alu instid0(VALU_DEP_1) | instskip(SKIP_1) | instid1(VALU_DEP_1)
	v_mul_hi_u32 v13, s14, v7
	v_mul_lo_u32 v11, v7, s26
	v_dual_add_nc_u32 v3, v7, v13 :: v_dual_sub_nc_u32 v1, v5, v11
	s_delay_alu instid0(VALU_DEP_1) | instskip(NEXT) | instid1(VALU_DEP_2)
	v_lshrrev_b32_e32 v3, s15, v3
	v_mad_u32 v8, v1, s41, v8
	v_mad_u32 v0, v1, s40, v0
	s_delay_alu instid0(VALU_DEP_3) | instskip(NEXT) | instid1(VALU_DEP_1)
	v_mul_lo_u32 v5, v3, s13
	v_sub_nc_u32_e32 v1, v7, v5
	s_delay_alu instid0(VALU_DEP_1) | instskip(NEXT) | instid1(VALU_DEP_4)
	v_mad_u32 v8, v1, s43, v8
	v_mad_u32 v0, v1, s42, v0
	s_cbranch_scc1 .LBB47_1130
; %bb.1131:
	s_delay_alu instid0(VALU_DEP_2)
	v_mov_b32_e32 v1, v8
	s_and_b32 s4, s1, 3
	s_mov_b32 s1, 0
	s_cmp_eq_u32 s4, 0
	s_cbranch_scc0 .LBB47_1135
	s_branch .LBB47_1138
.LBB47_1132:
	s_mov_b32 s6, -1
                                        ; implicit-def: $vgpr8
                                        ; implicit-def: $vgpr0
	s_branch .LBB47_1138
.LBB47_1133:
	v_dual_mov_b32 v8, 0 :: v_dual_mov_b32 v0, 0
	s_branch .LBB47_1138
.LBB47_1134:
	v_mov_b64_e32 v[0:1], 0
	v_mov_b32_e32 v3, v9
	s_mov_b32 s0, 0
                                        ; implicit-def: $vgpr8
	s_and_b32 s4, s1, 3
	s_mov_b32 s1, 0
	s_cmp_eq_u32 s4, 0
	s_cbranch_scc1 .LBB47_1138
.LBB47_1135:
	s_lshl_b32 s2, s0, 3
	s_mov_b32 s3, s1
	s_mul_u64 s[10:11], s[0:1], 12
	s_add_nc_u64 s[2:3], s[16:17], s[2:3]
	s_delay_alu instid0(SALU_CYCLE_1)
	s_add_nc_u64 s[0:1], s[2:3], 0xc4
	s_add_nc_u64 s[2:3], s[16:17], s[10:11]
.LBB47_1136:                            ; =>This Inner Loop Header: Depth=1
	s_load_b96 s[12:14], s[2:3], 0x4
	s_load_b64 s[10:11], s[0:1], 0x0
	s_add_co_i32 s4, s4, -1
	s_wait_xcnt 0x0
	s_add_nc_u64 s[2:3], s[2:3], 12
	s_cmp_lg_u32 s4, 0
	s_add_nc_u64 s[0:1], s[0:1], 8
	s_wait_kmcnt 0x0
	v_mul_hi_u32 v5, s13, v3
	s_delay_alu instid0(VALU_DEP_1) | instskip(NEXT) | instid1(VALU_DEP_1)
	v_add_nc_u32_e32 v5, v3, v5
	v_lshrrev_b32_e32 v5, s14, v5
	s_delay_alu instid0(VALU_DEP_1) | instskip(NEXT) | instid1(VALU_DEP_1)
	v_mul_lo_u32 v7, v5, s12
	v_sub_nc_u32_e32 v3, v3, v7
	s_delay_alu instid0(VALU_DEP_1)
	v_mad_u32 v1, v3, s11, v1
	v_mad_u32 v0, v3, s10, v0
	v_mov_b32_e32 v3, v5
	s_cbranch_scc1 .LBB47_1136
; %bb.1137:
	s_delay_alu instid0(VALU_DEP_3)
	v_mov_b32_e32 v8, v1
.LBB47_1138:
	s_and_not1_b32 vcc_lo, exec_lo, s6
	s_cbranch_vccnz .LBB47_1141
; %bb.1139:
	s_clause 0x1
	s_load_b96 s[0:2], s[16:17], 0x4
	s_load_b64 s[4:5], s[16:17], 0xc4
	s_cmp_lt_u32 s33, 2
	s_wait_kmcnt 0x0
	v_mul_hi_u32 v0, s1, v9
	s_delay_alu instid0(VALU_DEP_1) | instskip(NEXT) | instid1(VALU_DEP_1)
	v_add_nc_u32_e32 v0, v9, v0
	v_lshrrev_b32_e32 v1, s2, v0
	s_delay_alu instid0(VALU_DEP_1) | instskip(NEXT) | instid1(VALU_DEP_1)
	v_mul_lo_u32 v0, v1, s0
	v_sub_nc_u32_e32 v0, v9, v0
	s_delay_alu instid0(VALU_DEP_1)
	v_mul_lo_u32 v8, v0, s5
	v_mul_lo_u32 v0, v0, s4
	s_cbranch_scc1 .LBB47_1141
; %bb.1140:
	s_clause 0x1
	s_load_b96 s[0:2], s[16:17], 0x10
	s_load_b64 s[4:5], s[16:17], 0xcc
	s_wait_kmcnt 0x0
	v_mul_hi_u32 v3, s1, v1
	s_delay_alu instid0(VALU_DEP_1) | instskip(NEXT) | instid1(VALU_DEP_1)
	v_add_nc_u32_e32 v3, v1, v3
	v_lshrrev_b32_e32 v3, s2, v3
	s_delay_alu instid0(VALU_DEP_1) | instskip(NEXT) | instid1(VALU_DEP_1)
	v_mul_lo_u32 v3, v3, s0
	v_sub_nc_u32_e32 v1, v1, v3
	s_delay_alu instid0(VALU_DEP_1)
	v_mad_u32 v0, v1, s4, v0
	v_mad_u32 v8, v1, s5, v8
.LBB47_1141:
	v_mov_b32_e32 v15, 0
	s_load_b128 s[4:7], s[16:17], 0x148
	global_load_u8 v1, v15, s[16:17] offset:353
	s_wait_kmcnt 0x0
	v_add_nc_u64_e32 v[14:15], s[6:7], v[14:15]
	s_wait_loadcnt 0x0
	v_and_b32_e32 v3, 0xffff, v1
	v_readfirstlane_b32 s0, v1
	s_delay_alu instid0(VALU_DEP_2)
	v_cmp_gt_i32_e32 vcc_lo, 11, v3
	s_cbranch_vccnz .LBB47_1148
; %bb.1142:
	s_and_b32 s1, 0xffff, s0
	s_mov_b32 s10, 0
	s_cmp_gt_i32 s1, 25
	s_cbranch_scc0 .LBB47_1150
; %bb.1143:
	s_cmp_gt_i32 s1, 28
	s_cbranch_scc0 .LBB47_1151
; %bb.1144:
	;; [unrolled: 3-line block ×4, first 2 shown]
	s_cmp_eq_u32 s1, 46
	s_mov_b32 s3, 0
	s_cbranch_scc0 .LBB47_1156
; %bb.1147:
	global_load_b32 v1, v[14:15], off
	s_mov_b32 s2, 0
	s_mov_b32 s11, -1
	s_wait_loadcnt 0x0
	v_lshlrev_b32_e32 v1, 16, v1
	s_delay_alu instid0(VALU_DEP_1)
	v_cvt_i32_f32_e32 v5, v1
	s_branch .LBB47_1158
.LBB47_1148:
	s_mov_b32 s11, 0
	s_mov_b32 s3, s8
                                        ; implicit-def: $vgpr5
	s_cbranch_execnz .LBB47_1216
.LBB47_1149:
	s_and_not1_b32 vcc_lo, exec_lo, s11
	s_cbranch_vccz .LBB47_1261
	s_branch .LBB47_2072
.LBB47_1150:
	s_mov_b32 s11, 0
	s_mov_b32 s2, 0
                                        ; implicit-def: $vgpr5
	s_cbranch_execnz .LBB47_1183
	s_branch .LBB47_1212
.LBB47_1151:
	s_mov_b32 s11, 0
	s_mov_b32 s2, 0
                                        ; implicit-def: $vgpr5
	s_cbranch_execz .LBB47_1182
	s_branch .LBB47_1167
.LBB47_1152:
	s_mov_b32 s11, 0
	s_mov_b32 s2, 0
                                        ; implicit-def: $vgpr5
	s_cbranch_execnz .LBB47_1163
	s_branch .LBB47_1166
.LBB47_1153:
	s_mov_b32 s3, -1
	s_mov_b32 s11, 0
	s_mov_b32 s2, 0
	s_branch .LBB47_1157
.LBB47_1154:
	s_and_not1_saveexec_b32 s5, s5
	s_cbranch_execz .LBB47_993
.LBB47_1155:
	v_add_f32_e32 v2, 0x46000000, v3
	s_and_not1_b32 s4, s4, exec_lo
	s_delay_alu instid0(VALU_DEP_1) | instskip(NEXT) | instid1(VALU_DEP_1)
	v_and_b32_e32 v2, 0xff, v2
	v_cmp_ne_u32_e32 vcc_lo, 0, v2
	s_and_b32 s9, vcc_lo, exec_lo
	s_delay_alu instid0(SALU_CYCLE_1)
	s_or_b32 s4, s4, s9
	s_or_b32 exec_lo, exec_lo, s5
	v_mov_b32_e32 v4, 0
	s_and_saveexec_b32 s5, s4
	s_cbranch_execnz .LBB47_994
	s_branch .LBB47_995
.LBB47_1156:
	s_mov_b32 s2, -1
	s_mov_b32 s11, 0
.LBB47_1157:
                                        ; implicit-def: $vgpr5
.LBB47_1158:
	s_and_b32 vcc_lo, exec_lo, s3
	s_cbranch_vccz .LBB47_1161
; %bb.1159:
	s_cmp_eq_u32 s1, 44
	s_cbranch_scc0 .LBB47_1162
; %bb.1160:
	global_load_u8 v1, v[14:15], off
	s_mov_b32 s2, 0
	s_mov_b32 s11, -1
	s_wait_loadcnt 0x0
	v_lshlrev_b32_e32 v3, 23, v1
	v_cmp_ne_u32_e32 vcc_lo, 0, v1
	s_delay_alu instid0(VALU_DEP_2) | instskip(NEXT) | instid1(VALU_DEP_1)
	v_cvt_i32_f32_e32 v3, v3
	v_cndmask_b32_e32 v5, 0, v3, vcc_lo
.LBB47_1161:
	s_branch .LBB47_1166
.LBB47_1162:
	s_mov_b32 s2, -1
                                        ; implicit-def: $vgpr5
	s_branch .LBB47_1166
.LBB47_1163:
	s_cmp_eq_u32 s1, 29
	s_cbranch_scc0 .LBB47_1165
; %bb.1164:
	global_load_b32 v5, v[14:15], off
	s_mov_b32 s2, 0
	s_mov_b32 s11, -1
	s_branch .LBB47_1166
.LBB47_1165:
	s_mov_b32 s2, -1
                                        ; implicit-def: $vgpr5
.LBB47_1166:
	s_branch .LBB47_1182
.LBB47_1167:
	s_cmp_lt_i32 s1, 27
	s_cbranch_scc1 .LBB47_1170
; %bb.1168:
	s_cmp_gt_i32 s1, 27
	s_cbranch_scc0 .LBB47_1171
; %bb.1169:
	s_wait_loadcnt 0x0
	global_load_b32 v5, v[14:15], off
	s_mov_b32 s3, 0
	s_branch .LBB47_1172
.LBB47_1170:
	s_mov_b32 s3, -1
                                        ; implicit-def: $vgpr5
	s_branch .LBB47_1175
.LBB47_1171:
	s_mov_b32 s3, -1
                                        ; implicit-def: $vgpr5
.LBB47_1172:
	s_delay_alu instid0(SALU_CYCLE_1)
	s_and_not1_b32 vcc_lo, exec_lo, s3
	s_cbranch_vccnz .LBB47_1174
; %bb.1173:
	s_wait_loadcnt 0x0
	global_load_u16 v5, v[14:15], off
.LBB47_1174:
	s_mov_b32 s3, 0
.LBB47_1175:
	s_delay_alu instid0(SALU_CYCLE_1)
	s_and_not1_b32 vcc_lo, exec_lo, s3
	s_cbranch_vccnz .LBB47_1181
; %bb.1176:
	global_load_u8 v1, v[14:15], off
	s_mov_b32 s11, 0
	s_mov_b32 s3, exec_lo
	s_wait_loadcnt 0x0
	v_cmpx_lt_i16_e32 0x7f, v1
	s_xor_b32 s3, exec_lo, s3
	s_cbranch_execz .LBB47_1192
; %bb.1177:
	v_cmp_ne_u16_e32 vcc_lo, 0x80, v1
	s_and_b32 s11, vcc_lo, exec_lo
	s_and_not1_saveexec_b32 s3, s3
	s_cbranch_execnz .LBB47_1193
.LBB47_1178:
	s_or_b32 exec_lo, exec_lo, s3
	v_mov_b32_e32 v5, 0
	s_and_saveexec_b32 s3, s11
	s_cbranch_execz .LBB47_1180
.LBB47_1179:
	v_and_b32_e32 v3, 0xffff, v1
	s_delay_alu instid0(VALU_DEP_1) | instskip(SKIP_1) | instid1(VALU_DEP_2)
	v_dual_lshlrev_b32 v1, 24, v1 :: v_dual_bitop2_b32 v5, 7, v3 bitop3:0x40
	v_bfe_u32 v11, v3, 3, 4
	v_and_b32_e32 v1, 0x80000000, v1
	s_delay_alu instid0(VALU_DEP_3) | instskip(NEXT) | instid1(VALU_DEP_3)
	v_clz_i32_u32_e32 v7, v5
	v_cmp_eq_u32_e32 vcc_lo, 0, v11
	s_delay_alu instid0(VALU_DEP_2) | instskip(NEXT) | instid1(VALU_DEP_1)
	v_min_u32_e32 v7, 32, v7
	v_subrev_nc_u32_e32 v9, 28, v7
	v_sub_nc_u32_e32 v7, 29, v7
	s_delay_alu instid0(VALU_DEP_2) | instskip(NEXT) | instid1(VALU_DEP_2)
	v_lshlrev_b32_e32 v3, v9, v3
	v_cndmask_b32_e32 v7, v11, v7, vcc_lo
	s_delay_alu instid0(VALU_DEP_2) | instskip(NEXT) | instid1(VALU_DEP_1)
	v_and_b32_e32 v3, 7, v3
	v_cndmask_b32_e32 v3, v5, v3, vcc_lo
	s_delay_alu instid0(VALU_DEP_3) | instskip(NEXT) | instid1(VALU_DEP_2)
	v_lshl_add_u32 v5, v7, 23, 0x3b800000
	v_lshlrev_b32_e32 v3, 20, v3
	s_delay_alu instid0(VALU_DEP_1) | instskip(NEXT) | instid1(VALU_DEP_1)
	v_or3_b32 v1, v1, v5, v3
	v_cvt_i32_f32_e32 v5, v1
.LBB47_1180:
	s_or_b32 exec_lo, exec_lo, s3
.LBB47_1181:
	s_mov_b32 s11, -1
.LBB47_1182:
	s_branch .LBB47_1212
.LBB47_1183:
	s_cmp_gt_i32 s1, 22
	s_cbranch_scc0 .LBB47_1191
; %bb.1184:
	s_cmp_lt_i32 s1, 24
	s_cbranch_scc1 .LBB47_1194
; %bb.1185:
	s_cmp_gt_i32 s1, 24
	s_cbranch_scc0 .LBB47_1195
; %bb.1186:
	global_load_u8 v1, v[14:15], off
	s_mov_b32 s3, exec_lo
	s_wait_loadcnt 0x0
	v_cmpx_lt_i16_e32 0x7f, v1
	s_xor_b32 s3, exec_lo, s3
	s_cbranch_execz .LBB47_1206
; %bb.1187:
	v_cmp_ne_u16_e32 vcc_lo, 0x80, v1
	s_and_b32 s10, vcc_lo, exec_lo
	s_and_not1_saveexec_b32 s3, s3
	s_cbranch_execnz .LBB47_1207
.LBB47_1188:
	s_or_b32 exec_lo, exec_lo, s3
	v_mov_b32_e32 v5, 0
	s_and_saveexec_b32 s3, s10
	s_cbranch_execz .LBB47_1190
.LBB47_1189:
	v_and_b32_e32 v3, 0xffff, v1
	s_delay_alu instid0(VALU_DEP_1) | instskip(SKIP_1) | instid1(VALU_DEP_2)
	v_dual_lshlrev_b32 v1, 24, v1 :: v_dual_bitop2_b32 v5, 3, v3 bitop3:0x40
	v_bfe_u32 v11, v3, 2, 5
	v_and_b32_e32 v1, 0x80000000, v1
	s_delay_alu instid0(VALU_DEP_3) | instskip(NEXT) | instid1(VALU_DEP_3)
	v_clz_i32_u32_e32 v7, v5
	v_cmp_eq_u32_e32 vcc_lo, 0, v11
	s_delay_alu instid0(VALU_DEP_2) | instskip(NEXT) | instid1(VALU_DEP_1)
	v_min_u32_e32 v7, 32, v7
	v_subrev_nc_u32_e32 v9, 29, v7
	v_sub_nc_u32_e32 v7, 30, v7
	s_delay_alu instid0(VALU_DEP_2) | instskip(NEXT) | instid1(VALU_DEP_2)
	v_lshlrev_b32_e32 v3, v9, v3
	v_cndmask_b32_e32 v7, v11, v7, vcc_lo
	s_delay_alu instid0(VALU_DEP_2) | instskip(NEXT) | instid1(VALU_DEP_1)
	v_and_b32_e32 v3, 3, v3
	v_cndmask_b32_e32 v3, v5, v3, vcc_lo
	s_delay_alu instid0(VALU_DEP_3) | instskip(NEXT) | instid1(VALU_DEP_2)
	v_lshl_add_u32 v5, v7, 23, 0x37800000
	v_lshlrev_b32_e32 v3, 21, v3
	s_delay_alu instid0(VALU_DEP_1) | instskip(NEXT) | instid1(VALU_DEP_1)
	v_or3_b32 v1, v1, v5, v3
	v_cvt_i32_f32_e32 v5, v1
.LBB47_1190:
	s_or_b32 exec_lo, exec_lo, s3
	s_mov_b32 s3, 0
	s_branch .LBB47_1196
.LBB47_1191:
                                        ; implicit-def: $vgpr5
	s_mov_b32 s10, 0
	s_branch .LBB47_1202
.LBB47_1192:
	s_and_not1_saveexec_b32 s3, s3
	s_cbranch_execz .LBB47_1178
.LBB47_1193:
	v_cmp_ne_u16_e32 vcc_lo, 0, v1
	s_and_not1_b32 s11, s11, exec_lo
	s_and_b32 s12, vcc_lo, exec_lo
	s_delay_alu instid0(SALU_CYCLE_1)
	s_or_b32 s11, s11, s12
	s_or_b32 exec_lo, exec_lo, s3
	v_mov_b32_e32 v5, 0
	s_and_saveexec_b32 s3, s11
	s_cbranch_execnz .LBB47_1179
	s_branch .LBB47_1180
.LBB47_1194:
	s_mov_b32 s3, -1
                                        ; implicit-def: $vgpr5
	s_branch .LBB47_1199
.LBB47_1195:
	s_mov_b32 s3, -1
                                        ; implicit-def: $vgpr5
.LBB47_1196:
	s_delay_alu instid0(SALU_CYCLE_1)
	s_and_b32 vcc_lo, exec_lo, s3
	s_cbranch_vccz .LBB47_1198
; %bb.1197:
	global_load_u8 v1, v[14:15], off
	s_wait_loadcnt 0x0
	v_lshlrev_b32_e32 v1, 24, v1
	s_delay_alu instid0(VALU_DEP_1) | instskip(NEXT) | instid1(VALU_DEP_1)
	v_and_b32_e32 v3, 0x7f000000, v1
	v_clz_i32_u32_e32 v5, v3
	v_add_nc_u32_e32 v9, 0x1000000, v3
	v_cmp_ne_u32_e32 vcc_lo, 0, v3
	s_delay_alu instid0(VALU_DEP_3) | instskip(NEXT) | instid1(VALU_DEP_1)
	v_min_u32_e32 v5, 32, v5
	v_sub_nc_u32_e64 v5, v5, 4 clamp
	s_delay_alu instid0(VALU_DEP_1) | instskip(NEXT) | instid1(VALU_DEP_1)
	v_dual_lshlrev_b32 v7, v5, v3 :: v_dual_lshlrev_b32 v5, 23, v5
	v_lshrrev_b32_e32 v7, 4, v7
	s_delay_alu instid0(VALU_DEP_1) | instskip(SKIP_1) | instid1(VALU_DEP_2)
	v_sub_nc_u32_e32 v5, v7, v5
	v_ashrrev_i32_e32 v7, 8, v9
	v_add_nc_u32_e32 v5, 0x3c000000, v5
	s_delay_alu instid0(VALU_DEP_1) | instskip(NEXT) | instid1(VALU_DEP_1)
	v_and_or_b32 v5, 0x7f800000, v7, v5
	v_cndmask_b32_e32 v3, 0, v5, vcc_lo
	s_delay_alu instid0(VALU_DEP_1) | instskip(NEXT) | instid1(VALU_DEP_1)
	v_and_or_b32 v1, 0x80000000, v1, v3
	v_cvt_i32_f32_e32 v5, v1
.LBB47_1198:
	s_mov_b32 s3, 0
.LBB47_1199:
	s_delay_alu instid0(SALU_CYCLE_1)
	s_and_not1_b32 vcc_lo, exec_lo, s3
	s_cbranch_vccnz .LBB47_1201
; %bb.1200:
	global_load_u8 v1, v[14:15], off
	s_wait_loadcnt 0x0
	v_lshlrev_b32_e32 v3, 25, v1
	v_lshlrev_b16 v1, 8, v1
	s_delay_alu instid0(VALU_DEP_1) | instskip(SKIP_1) | instid1(VALU_DEP_2)
	v_and_or_b32 v7, 0x7f00, v1, 0.5
	v_bfe_i32 v1, v1, 0, 16
	v_add_f32_e32 v7, -0.5, v7
	v_lshrrev_b32_e32 v5, 4, v3
	v_cmp_gt_u32_e32 vcc_lo, 0x8000000, v3
	s_delay_alu instid0(VALU_DEP_2) | instskip(NEXT) | instid1(VALU_DEP_1)
	v_or_b32_e32 v5, 0x70000000, v5
	v_mul_f32_e32 v5, 0x7800000, v5
	s_delay_alu instid0(VALU_DEP_1) | instskip(NEXT) | instid1(VALU_DEP_1)
	v_cndmask_b32_e32 v3, v5, v7, vcc_lo
	v_and_or_b32 v1, 0x80000000, v1, v3
	s_delay_alu instid0(VALU_DEP_1)
	v_cvt_i32_f32_e32 v5, v1
.LBB47_1201:
	s_mov_b32 s11, -1
	s_mov_b32 s10, 0
	s_cbranch_execnz .LBB47_1212
.LBB47_1202:
	s_cmp_gt_i32 s1, 14
	s_cbranch_scc0 .LBB47_1205
; %bb.1203:
	s_cmp_eq_u32 s1, 15
	s_cbranch_scc0 .LBB47_1208
; %bb.1204:
	global_load_u16 v1, v[14:15], off
	s_mov_b32 s2, 0
	s_mov_b32 s11, -1
	s_wait_loadcnt 0x0
	v_lshlrev_b32_e32 v1, 16, v1
	s_delay_alu instid0(VALU_DEP_1)
	v_cvt_i32_f32_e32 v5, v1
	s_branch .LBB47_1209
.LBB47_1205:
	s_mov_b32 s3, -1
                                        ; implicit-def: $vgpr5
	s_branch .LBB47_1210
.LBB47_1206:
	s_and_not1_saveexec_b32 s3, s3
	s_cbranch_execz .LBB47_1188
.LBB47_1207:
	v_cmp_ne_u16_e32 vcc_lo, 0, v1
	s_and_not1_b32 s10, s10, exec_lo
	s_and_b32 s11, vcc_lo, exec_lo
	s_delay_alu instid0(SALU_CYCLE_1)
	s_or_b32 s10, s10, s11
	s_or_b32 exec_lo, exec_lo, s3
	v_mov_b32_e32 v5, 0
	s_and_saveexec_b32 s3, s10
	s_cbranch_execnz .LBB47_1189
	s_branch .LBB47_1190
.LBB47_1208:
	s_mov_b32 s2, -1
                                        ; implicit-def: $vgpr5
.LBB47_1209:
	s_mov_b32 s3, 0
.LBB47_1210:
	s_delay_alu instid0(SALU_CYCLE_1)
	s_and_b32 vcc_lo, exec_lo, s3
	s_cbranch_vccz .LBB47_1212
; %bb.1211:
	s_cmp_lg_u32 s1, 11
	s_mov_b32 s10, -1
	s_cselect_b32 s2, -1, 0
.LBB47_1212:
	s_delay_alu instid0(SALU_CYCLE_1)
	s_and_b32 vcc_lo, exec_lo, s2
	s_mov_b32 s3, s8
	s_cbranch_vccnz .LBB47_1273
; %bb.1213:
	s_and_not1_b32 vcc_lo, exec_lo, s10
	s_cbranch_vccnz .LBB47_1215
.LBB47_1214:
	global_load_u8 v1, v[14:15], off
	s_mov_b32 s11, -1
	s_wait_loadcnt 0x0
	v_cmp_ne_u16_e32 vcc_lo, 0, v1
	v_cndmask_b32_e64 v5, 0, 1, vcc_lo
.LBB47_1215:
	s_branch .LBB47_1149
.LBB47_1216:
	s_and_b32 s1, 0xffff, s0
	s_delay_alu instid0(SALU_CYCLE_1)
	s_cmp_lt_i32 s1, 5
	s_cbranch_scc1 .LBB47_1221
; %bb.1217:
	s_cmp_lt_i32 s1, 8
	s_cbranch_scc1 .LBB47_1222
; %bb.1218:
	;; [unrolled: 3-line block ×3, first 2 shown]
	s_cmp_gt_i32 s1, 9
	s_cbranch_scc0 .LBB47_1224
; %bb.1220:
	global_load_b64 v[16:17], v[14:15], off
	s_mov_b32 s2, 0
	s_wait_loadcnt 0x0
	v_cvt_i32_f64_e32 v5, v[16:17]
	s_branch .LBB47_1225
.LBB47_1221:
                                        ; implicit-def: $vgpr5
	s_branch .LBB47_1242
.LBB47_1222:
                                        ; implicit-def: $vgpr5
	s_branch .LBB47_1231
.LBB47_1223:
	s_mov_b32 s2, -1
                                        ; implicit-def: $vgpr5
	s_branch .LBB47_1228
.LBB47_1224:
	s_mov_b32 s2, -1
                                        ; implicit-def: $vgpr5
.LBB47_1225:
	s_delay_alu instid0(SALU_CYCLE_1)
	s_and_not1_b32 vcc_lo, exec_lo, s2
	s_cbranch_vccnz .LBB47_1227
; %bb.1226:
	global_load_b32 v1, v[14:15], off
	s_wait_loadcnt 0x0
	v_cvt_i32_f32_e32 v5, v1
.LBB47_1227:
	s_mov_b32 s2, 0
.LBB47_1228:
	s_delay_alu instid0(SALU_CYCLE_1)
	s_and_not1_b32 vcc_lo, exec_lo, s2
	s_cbranch_vccnz .LBB47_1230
; %bb.1229:
	global_load_b32 v1, v[14:15], off
	s_wait_loadcnt 0x0
	v_cvt_f32_f16_e32 v1, v1
	s_delay_alu instid0(VALU_DEP_1)
	v_cvt_i32_f32_e32 v5, v1
.LBB47_1230:
	s_cbranch_execnz .LBB47_1241
.LBB47_1231:
	s_cmp_lt_i32 s1, 6
	s_cbranch_scc1 .LBB47_1234
; %bb.1232:
	s_cmp_gt_i32 s1, 6
	s_cbranch_scc0 .LBB47_1235
; %bb.1233:
	global_load_b64 v[16:17], v[14:15], off
	s_mov_b32 s2, 0
	s_wait_loadcnt 0x0
	v_cvt_i32_f64_e32 v5, v[16:17]
	s_branch .LBB47_1236
.LBB47_1234:
	s_mov_b32 s2, -1
                                        ; implicit-def: $vgpr5
	s_branch .LBB47_1239
.LBB47_1235:
	s_mov_b32 s2, -1
                                        ; implicit-def: $vgpr5
.LBB47_1236:
	s_delay_alu instid0(SALU_CYCLE_1)
	s_and_not1_b32 vcc_lo, exec_lo, s2
	s_cbranch_vccnz .LBB47_1238
; %bb.1237:
	global_load_b32 v1, v[14:15], off
	s_wait_loadcnt 0x0
	v_cvt_i32_f32_e32 v5, v1
.LBB47_1238:
	s_mov_b32 s2, 0
.LBB47_1239:
	s_delay_alu instid0(SALU_CYCLE_1)
	s_and_not1_b32 vcc_lo, exec_lo, s2
	s_cbranch_vccnz .LBB47_1241
; %bb.1240:
	global_load_u16 v1, v[14:15], off
	s_wait_loadcnt 0x0
	v_cvt_f32_f16_e32 v1, v1
	s_delay_alu instid0(VALU_DEP_1)
	v_cvt_i32_f32_e32 v5, v1
.LBB47_1241:
	s_cbranch_execnz .LBB47_1260
.LBB47_1242:
	s_cmp_lt_i32 s1, 2
	s_cbranch_scc1 .LBB47_1246
; %bb.1243:
	s_cmp_lt_i32 s1, 3
	s_cbranch_scc1 .LBB47_1247
; %bb.1244:
	s_cmp_gt_i32 s1, 3
	s_cbranch_scc0 .LBB47_1248
; %bb.1245:
	s_wait_loadcnt 0x0
	global_load_b32 v5, v[14:15], off
	s_mov_b32 s2, 0
	s_branch .LBB47_1249
.LBB47_1246:
                                        ; implicit-def: $vgpr5
	s_branch .LBB47_1255
.LBB47_1247:
	s_mov_b32 s2, -1
                                        ; implicit-def: $vgpr5
	s_branch .LBB47_1252
.LBB47_1248:
	s_mov_b32 s2, -1
                                        ; implicit-def: $vgpr5
.LBB47_1249:
	s_delay_alu instid0(SALU_CYCLE_1)
	s_and_not1_b32 vcc_lo, exec_lo, s2
	s_cbranch_vccnz .LBB47_1251
; %bb.1250:
	s_wait_loadcnt 0x0
	global_load_b32 v5, v[14:15], off
.LBB47_1251:
	s_mov_b32 s2, 0
.LBB47_1252:
	s_delay_alu instid0(SALU_CYCLE_1)
	s_and_not1_b32 vcc_lo, exec_lo, s2
	s_cbranch_vccnz .LBB47_1254
; %bb.1253:
	s_wait_loadcnt 0x0
	global_load_i16 v5, v[14:15], off
.LBB47_1254:
	s_cbranch_execnz .LBB47_1260
.LBB47_1255:
	s_cmp_gt_i32 s1, 0
	s_mov_b32 s1, 0
	s_cbranch_scc0 .LBB47_1257
; %bb.1256:
	s_wait_loadcnt 0x0
	global_load_i8 v5, v[14:15], off
	s_branch .LBB47_1258
.LBB47_1257:
	s_mov_b32 s1, -1
                                        ; implicit-def: $vgpr5
.LBB47_1258:
	s_delay_alu instid0(SALU_CYCLE_1)
	s_and_not1_b32 vcc_lo, exec_lo, s1
	s_cbranch_vccnz .LBB47_1260
; %bb.1259:
	s_wait_loadcnt 0x0
	global_load_u8 v5, v[14:15], off
.LBB47_1260:
.LBB47_1261:
	v_mov_b32_e32 v13, 0
	s_and_b32 s0, 0xffff, s0
	s_delay_alu instid0(SALU_CYCLE_1) | instskip(NEXT) | instid1(VALU_DEP_1)
	s_cmp_lt_i32 s0, 11
	v_add_nc_u64_e32 v[12:13], s[6:7], v[12:13]
	s_cbranch_scc1 .LBB47_1268
; %bb.1262:
	s_cmp_gt_i32 s0, 25
	s_mov_b32 s2, 0
	s_cbranch_scc0 .LBB47_1270
; %bb.1263:
	s_cmp_gt_i32 s0, 28
	s_cbranch_scc0 .LBB47_1271
; %bb.1264:
	s_cmp_gt_i32 s0, 43
	;; [unrolled: 3-line block ×3, first 2 shown]
	s_cbranch_scc0 .LBB47_1274
; %bb.1266:
	s_cmp_eq_u32 s0, 46
	s_mov_b32 s11, 0
	s_cbranch_scc0 .LBB47_1277
; %bb.1267:
	global_load_b32 v1, v[12:13], off
	s_mov_b32 s1, 0
	s_mov_b32 s10, -1
	s_wait_loadcnt 0x0
	v_lshlrev_b32_e32 v1, 16, v1
	s_delay_alu instid0(VALU_DEP_1)
	v_cvt_i32_f32_e32 v3, v1
	s_branch .LBB47_1279
.LBB47_1268:
	s_mov_b32 s10, 0
                                        ; implicit-def: $vgpr3
	s_cbranch_execnz .LBB47_1340
.LBB47_1269:
	s_and_not1_b32 vcc_lo, exec_lo, s10
	s_cbranch_vccnz .LBB47_2072
	s_branch .LBB47_1387
.LBB47_1270:
	s_mov_b32 s10, 0
	s_mov_b32 s1, 0
                                        ; implicit-def: $vgpr3
	s_cbranch_execnz .LBB47_1306
	s_branch .LBB47_1336
.LBB47_1271:
	s_mov_b32 s11, -1
	s_mov_b32 s10, 0
	s_mov_b32 s1, 0
                                        ; implicit-def: $vgpr3
	s_branch .LBB47_1289
.LBB47_1272:
	s_mov_b32 s11, -1
	s_mov_b32 s10, 0
	s_mov_b32 s1, 0
                                        ; implicit-def: $vgpr3
	s_branch .LBB47_1284
.LBB47_1273:
	s_or_b32 s3, s8, exec_lo
	s_trap 2
	s_cbranch_execz .LBB47_1214
	s_branch .LBB47_1215
.LBB47_1274:
	s_mov_b32 s11, -1
	s_mov_b32 s10, 0
	s_mov_b32 s1, 0
	s_branch .LBB47_1278
.LBB47_1275:
	s_and_not1_saveexec_b32 s9, s9
	s_cbranch_execz .LBB47_1005
.LBB47_1276:
	v_add_f32_e32 v2, 0x42800000, v3
	s_and_not1_b32 s5, s5, exec_lo
	s_delay_alu instid0(VALU_DEP_1) | instskip(NEXT) | instid1(VALU_DEP_1)
	v_and_b32_e32 v2, 0xff, v2
	v_cmp_ne_u32_e32 vcc_lo, 0, v2
	s_and_b32 s11, vcc_lo, exec_lo
	s_delay_alu instid0(SALU_CYCLE_1)
	s_or_b32 s5, s5, s11
	s_or_b32 exec_lo, exec_lo, s9
	v_mov_b32_e32 v4, 0
	s_and_saveexec_b32 s9, s5
	s_cbranch_execnz .LBB47_1006
	s_branch .LBB47_1007
.LBB47_1277:
	s_mov_b32 s1, -1
	s_mov_b32 s10, 0
.LBB47_1278:
                                        ; implicit-def: $vgpr3
.LBB47_1279:
	s_and_b32 vcc_lo, exec_lo, s11
	s_cbranch_vccz .LBB47_1283
; %bb.1280:
	s_cmp_eq_u32 s0, 44
	s_cbranch_scc0 .LBB47_1282
; %bb.1281:
	global_load_u8 v1, v[12:13], off
	s_mov_b32 s1, 0
	s_mov_b32 s10, -1
	s_wait_loadcnt 0x0
	v_lshlrev_b32_e32 v3, 23, v1
	v_cmp_ne_u32_e32 vcc_lo, 0, v1
	s_delay_alu instid0(VALU_DEP_2) | instskip(NEXT) | instid1(VALU_DEP_1)
	v_cvt_i32_f32_e32 v3, v3
	v_cndmask_b32_e32 v3, 0, v3, vcc_lo
	s_branch .LBB47_1283
.LBB47_1282:
	s_mov_b32 s1, -1
                                        ; implicit-def: $vgpr3
.LBB47_1283:
	s_mov_b32 s11, 0
.LBB47_1284:
	s_delay_alu instid0(SALU_CYCLE_1)
	s_and_b32 vcc_lo, exec_lo, s11
	s_cbranch_vccz .LBB47_1288
; %bb.1285:
	s_cmp_eq_u32 s0, 29
	s_cbranch_scc0 .LBB47_1287
; %bb.1286:
	global_load_b32 v3, v[12:13], off
	s_mov_b32 s1, 0
	s_mov_b32 s10, -1
	s_branch .LBB47_1288
.LBB47_1287:
	s_mov_b32 s1, -1
                                        ; implicit-def: $vgpr3
.LBB47_1288:
	s_mov_b32 s11, 0
.LBB47_1289:
	s_delay_alu instid0(SALU_CYCLE_1)
	s_and_b32 vcc_lo, exec_lo, s11
	s_cbranch_vccz .LBB47_1305
; %bb.1290:
	s_cmp_lt_i32 s0, 27
	s_cbranch_scc1 .LBB47_1293
; %bb.1291:
	s_cmp_gt_i32 s0, 27
	s_cbranch_scc0 .LBB47_1294
; %bb.1292:
	s_wait_loadcnt 0x0
	global_load_b32 v3, v[12:13], off
	s_mov_b32 s10, 0
	s_branch .LBB47_1295
.LBB47_1293:
	s_mov_b32 s10, -1
                                        ; implicit-def: $vgpr3
	s_branch .LBB47_1298
.LBB47_1294:
	s_mov_b32 s10, -1
                                        ; implicit-def: $vgpr3
.LBB47_1295:
	s_delay_alu instid0(SALU_CYCLE_1)
	s_and_not1_b32 vcc_lo, exec_lo, s10
	s_cbranch_vccnz .LBB47_1297
; %bb.1296:
	s_wait_loadcnt 0x0
	global_load_u16 v3, v[12:13], off
.LBB47_1297:
	s_mov_b32 s10, 0
.LBB47_1298:
	s_delay_alu instid0(SALU_CYCLE_1)
	s_and_not1_b32 vcc_lo, exec_lo, s10
	s_cbranch_vccnz .LBB47_1304
; %bb.1299:
	global_load_u8 v1, v[12:13], off
	s_mov_b32 s11, 0
	s_mov_b32 s10, exec_lo
	s_wait_loadcnt 0x0
	v_cmpx_lt_i16_e32 0x7f, v1
	s_xor_b32 s10, exec_lo, s10
	s_cbranch_execz .LBB47_1315
; %bb.1300:
	v_cmp_ne_u16_e32 vcc_lo, 0x80, v1
	s_and_b32 s11, vcc_lo, exec_lo
	s_and_not1_saveexec_b32 s10, s10
	s_cbranch_execnz .LBB47_1316
.LBB47_1301:
	s_or_b32 exec_lo, exec_lo, s10
	v_mov_b32_e32 v3, 0
	s_and_saveexec_b32 s10, s11
	s_cbranch_execz .LBB47_1303
.LBB47_1302:
	v_and_b32_e32 v3, 0xffff, v1
	s_delay_alu instid0(VALU_DEP_1) | instskip(SKIP_1) | instid1(VALU_DEP_2)
	v_and_b32_e32 v7, 7, v3
	v_bfe_u32 v14, v3, 3, 4
	v_clz_i32_u32_e32 v9, v7
	s_delay_alu instid0(VALU_DEP_2) | instskip(NEXT) | instid1(VALU_DEP_2)
	v_cmp_eq_u32_e32 vcc_lo, 0, v14
	v_min_u32_e32 v9, 32, v9
	s_delay_alu instid0(VALU_DEP_1) | instskip(NEXT) | instid1(VALU_DEP_1)
	v_subrev_nc_u32_e32 v11, 28, v9
	v_dual_lshlrev_b32 v3, v11, v3 :: v_dual_sub_nc_u32 v9, 29, v9
	s_delay_alu instid0(VALU_DEP_1) | instskip(NEXT) | instid1(VALU_DEP_1)
	v_dual_lshlrev_b32 v1, 24, v1 :: v_dual_bitop2_b32 v3, 7, v3 bitop3:0x40
	v_dual_cndmask_b32 v3, v7, v3, vcc_lo :: v_dual_cndmask_b32 v9, v14, v9, vcc_lo
	s_delay_alu instid0(VALU_DEP_2) | instskip(NEXT) | instid1(VALU_DEP_2)
	v_and_b32_e32 v1, 0x80000000, v1
	v_lshlrev_b32_e32 v3, 20, v3
	s_delay_alu instid0(VALU_DEP_3) | instskip(NEXT) | instid1(VALU_DEP_1)
	v_lshl_add_u32 v7, v9, 23, 0x3b800000
	v_or3_b32 v1, v1, v7, v3
	s_delay_alu instid0(VALU_DEP_1)
	v_cvt_i32_f32_e32 v3, v1
.LBB47_1303:
	s_or_b32 exec_lo, exec_lo, s10
.LBB47_1304:
	s_mov_b32 s10, -1
.LBB47_1305:
	s_branch .LBB47_1336
.LBB47_1306:
	s_cmp_gt_i32 s0, 22
	s_cbranch_scc0 .LBB47_1314
; %bb.1307:
	s_cmp_lt_i32 s0, 24
	s_cbranch_scc1 .LBB47_1317
; %bb.1308:
	s_cmp_gt_i32 s0, 24
	s_cbranch_scc0 .LBB47_1318
; %bb.1309:
	global_load_u8 v1, v[12:13], off
	s_mov_b32 s10, 0
	s_mov_b32 s2, exec_lo
	s_wait_loadcnt 0x0
	v_cmpx_lt_i16_e32 0x7f, v1
	s_xor_b32 s2, exec_lo, s2
	s_cbranch_execz .LBB47_1330
; %bb.1310:
	v_cmp_ne_u16_e32 vcc_lo, 0x80, v1
	s_and_b32 s10, vcc_lo, exec_lo
	s_and_not1_saveexec_b32 s2, s2
	s_cbranch_execnz .LBB47_1331
.LBB47_1311:
	s_or_b32 exec_lo, exec_lo, s2
	v_mov_b32_e32 v3, 0
	s_and_saveexec_b32 s2, s10
	s_cbranch_execz .LBB47_1313
.LBB47_1312:
	v_and_b32_e32 v3, 0xffff, v1
	s_delay_alu instid0(VALU_DEP_1) | instskip(SKIP_1) | instid1(VALU_DEP_2)
	v_and_b32_e32 v7, 3, v3
	v_bfe_u32 v14, v3, 2, 5
	v_clz_i32_u32_e32 v9, v7
	s_delay_alu instid0(VALU_DEP_2) | instskip(NEXT) | instid1(VALU_DEP_2)
	v_cmp_eq_u32_e32 vcc_lo, 0, v14
	v_min_u32_e32 v9, 32, v9
	s_delay_alu instid0(VALU_DEP_1) | instskip(NEXT) | instid1(VALU_DEP_1)
	v_subrev_nc_u32_e32 v11, 29, v9
	v_dual_lshlrev_b32 v3, v11, v3 :: v_dual_sub_nc_u32 v9, 30, v9
	s_delay_alu instid0(VALU_DEP_1) | instskip(NEXT) | instid1(VALU_DEP_1)
	v_dual_lshlrev_b32 v1, 24, v1 :: v_dual_bitop2_b32 v3, 3, v3 bitop3:0x40
	v_dual_cndmask_b32 v3, v7, v3, vcc_lo :: v_dual_cndmask_b32 v9, v14, v9, vcc_lo
	s_delay_alu instid0(VALU_DEP_2) | instskip(NEXT) | instid1(VALU_DEP_2)
	v_and_b32_e32 v1, 0x80000000, v1
	v_lshlrev_b32_e32 v3, 21, v3
	s_delay_alu instid0(VALU_DEP_3) | instskip(NEXT) | instid1(VALU_DEP_1)
	v_lshl_add_u32 v7, v9, 23, 0x37800000
	v_or3_b32 v1, v1, v7, v3
	s_delay_alu instid0(VALU_DEP_1)
	v_cvt_i32_f32_e32 v3, v1
.LBB47_1313:
	s_or_b32 exec_lo, exec_lo, s2
	s_mov_b32 s2, 0
	s_branch .LBB47_1319
.LBB47_1314:
	s_mov_b32 s2, -1
                                        ; implicit-def: $vgpr3
	s_branch .LBB47_1325
.LBB47_1315:
	s_and_not1_saveexec_b32 s10, s10
	s_cbranch_execz .LBB47_1301
.LBB47_1316:
	v_cmp_ne_u16_e32 vcc_lo, 0, v1
	s_and_not1_b32 s11, s11, exec_lo
	s_and_b32 s12, vcc_lo, exec_lo
	s_delay_alu instid0(SALU_CYCLE_1)
	s_or_b32 s11, s11, s12
	s_or_b32 exec_lo, exec_lo, s10
	v_mov_b32_e32 v3, 0
	s_and_saveexec_b32 s10, s11
	s_cbranch_execnz .LBB47_1302
	s_branch .LBB47_1303
.LBB47_1317:
	s_mov_b32 s2, -1
                                        ; implicit-def: $vgpr3
	s_branch .LBB47_1322
.LBB47_1318:
	s_mov_b32 s2, -1
                                        ; implicit-def: $vgpr3
.LBB47_1319:
	s_delay_alu instid0(SALU_CYCLE_1)
	s_and_b32 vcc_lo, exec_lo, s2
	s_cbranch_vccz .LBB47_1321
; %bb.1320:
	global_load_u8 v1, v[12:13], off
	s_wait_loadcnt 0x0
	v_lshlrev_b32_e32 v1, 24, v1
	s_delay_alu instid0(VALU_DEP_1) | instskip(NEXT) | instid1(VALU_DEP_1)
	v_and_b32_e32 v3, 0x7f000000, v1
	v_clz_i32_u32_e32 v7, v3
	v_add_nc_u32_e32 v11, 0x1000000, v3
	v_cmp_ne_u32_e32 vcc_lo, 0, v3
	s_delay_alu instid0(VALU_DEP_3) | instskip(NEXT) | instid1(VALU_DEP_1)
	v_min_u32_e32 v7, 32, v7
	v_sub_nc_u32_e64 v7, v7, 4 clamp
	s_delay_alu instid0(VALU_DEP_1) | instskip(NEXT) | instid1(VALU_DEP_1)
	v_lshlrev_b32_e32 v9, v7, v3
	v_dual_lshlrev_b32 v7, 23, v7 :: v_dual_lshrrev_b32 v9, 4, v9
	s_delay_alu instid0(VALU_DEP_1) | instskip(SKIP_1) | instid1(VALU_DEP_2)
	v_sub_nc_u32_e32 v7, v9, v7
	v_ashrrev_i32_e32 v9, 8, v11
	v_add_nc_u32_e32 v7, 0x3c000000, v7
	s_delay_alu instid0(VALU_DEP_1) | instskip(NEXT) | instid1(VALU_DEP_1)
	v_and_or_b32 v7, 0x7f800000, v9, v7
	v_cndmask_b32_e32 v3, 0, v7, vcc_lo
	s_delay_alu instid0(VALU_DEP_1) | instskip(NEXT) | instid1(VALU_DEP_1)
	v_and_or_b32 v1, 0x80000000, v1, v3
	v_cvt_i32_f32_e32 v3, v1
.LBB47_1321:
	s_mov_b32 s2, 0
.LBB47_1322:
	s_delay_alu instid0(SALU_CYCLE_1)
	s_and_not1_b32 vcc_lo, exec_lo, s2
	s_cbranch_vccnz .LBB47_1324
; %bb.1323:
	global_load_u8 v1, v[12:13], off
	s_wait_loadcnt 0x0
	v_lshlrev_b32_e32 v3, 25, v1
	v_lshlrev_b16 v1, 8, v1
	s_delay_alu instid0(VALU_DEP_2) | instskip(NEXT) | instid1(VALU_DEP_2)
	v_cmp_gt_u32_e32 vcc_lo, 0x8000000, v3
	v_and_or_b32 v9, 0x7f00, v1, 0.5
	v_lshrrev_b32_e32 v7, 4, v3
	v_bfe_i32 v1, v1, 0, 16
	s_delay_alu instid0(VALU_DEP_3) | instskip(NEXT) | instid1(VALU_DEP_3)
	v_add_f32_e32 v9, -0.5, v9
	v_or_b32_e32 v7, 0x70000000, v7
	s_delay_alu instid0(VALU_DEP_1) | instskip(NEXT) | instid1(VALU_DEP_1)
	v_mul_f32_e32 v7, 0x7800000, v7
	v_cndmask_b32_e32 v3, v7, v9, vcc_lo
	s_delay_alu instid0(VALU_DEP_1) | instskip(NEXT) | instid1(VALU_DEP_1)
	v_and_or_b32 v1, 0x80000000, v1, v3
	v_cvt_i32_f32_e32 v3, v1
.LBB47_1324:
	s_mov_b32 s2, 0
	s_mov_b32 s10, -1
.LBB47_1325:
	s_and_not1_b32 vcc_lo, exec_lo, s2
	s_mov_b32 s2, 0
	s_cbranch_vccnz .LBB47_1336
; %bb.1326:
	s_cmp_gt_i32 s0, 14
	s_cbranch_scc0 .LBB47_1329
; %bb.1327:
	s_cmp_eq_u32 s0, 15
	s_cbranch_scc0 .LBB47_1332
; %bb.1328:
	global_load_u16 v1, v[12:13], off
	s_mov_b32 s1, 0
	s_mov_b32 s10, -1
	s_wait_loadcnt 0x0
	v_lshlrev_b32_e32 v1, 16, v1
	s_delay_alu instid0(VALU_DEP_1)
	v_cvt_i32_f32_e32 v3, v1
	s_branch .LBB47_1334
.LBB47_1329:
	s_mov_b32 s2, -1
	s_branch .LBB47_1333
.LBB47_1330:
	s_and_not1_saveexec_b32 s2, s2
	s_cbranch_execz .LBB47_1311
.LBB47_1331:
	v_cmp_ne_u16_e32 vcc_lo, 0, v1
	s_and_not1_b32 s10, s10, exec_lo
	s_and_b32 s11, vcc_lo, exec_lo
	s_delay_alu instid0(SALU_CYCLE_1)
	s_or_b32 s10, s10, s11
	s_or_b32 exec_lo, exec_lo, s2
	v_mov_b32_e32 v3, 0
	s_and_saveexec_b32 s2, s10
	s_cbranch_execnz .LBB47_1312
	s_branch .LBB47_1313
.LBB47_1332:
	s_mov_b32 s1, -1
.LBB47_1333:
                                        ; implicit-def: $vgpr3
.LBB47_1334:
	s_and_b32 vcc_lo, exec_lo, s2
	s_mov_b32 s2, 0
	s_cbranch_vccz .LBB47_1336
; %bb.1335:
	s_cmp_lg_u32 s0, 11
	s_mov_b32 s2, -1
	s_cselect_b32 s1, -1, 0
.LBB47_1336:
	s_delay_alu instid0(SALU_CYCLE_1)
	s_and_b32 vcc_lo, exec_lo, s1
	s_cbranch_vccnz .LBB47_1399
; %bb.1337:
	s_and_not1_b32 vcc_lo, exec_lo, s2
	s_cbranch_vccnz .LBB47_1339
.LBB47_1338:
	global_load_u8 v1, v[12:13], off
	s_mov_b32 s10, -1
	s_wait_loadcnt 0x0
	v_cmp_ne_u16_e32 vcc_lo, 0, v1
	v_cndmask_b32_e64 v3, 0, 1, vcc_lo
.LBB47_1339:
	s_branch .LBB47_1269
.LBB47_1340:
	s_cmp_lt_i32 s0, 5
	s_cbranch_scc1 .LBB47_1345
; %bb.1341:
	s_cmp_lt_i32 s0, 8
	s_cbranch_scc1 .LBB47_1346
; %bb.1342:
	;; [unrolled: 3-line block ×3, first 2 shown]
	s_cmp_gt_i32 s0, 9
	s_cbranch_scc0 .LBB47_1348
; %bb.1344:
	global_load_b64 v[14:15], v[12:13], off
	s_mov_b32 s1, 0
	s_wait_loadcnt 0x0
	v_cvt_i32_f64_e32 v3, v[14:15]
	s_branch .LBB47_1349
.LBB47_1345:
                                        ; implicit-def: $vgpr3
	s_branch .LBB47_1367
.LBB47_1346:
	s_mov_b32 s1, -1
                                        ; implicit-def: $vgpr3
	s_branch .LBB47_1355
.LBB47_1347:
	s_mov_b32 s1, -1
                                        ; implicit-def: $vgpr3
	s_branch .LBB47_1352
.LBB47_1348:
	s_mov_b32 s1, -1
                                        ; implicit-def: $vgpr3
.LBB47_1349:
	s_delay_alu instid0(SALU_CYCLE_1)
	s_and_not1_b32 vcc_lo, exec_lo, s1
	s_cbranch_vccnz .LBB47_1351
; %bb.1350:
	global_load_b32 v1, v[12:13], off
	s_wait_loadcnt 0x0
	v_cvt_i32_f32_e32 v3, v1
.LBB47_1351:
	s_mov_b32 s1, 0
.LBB47_1352:
	s_delay_alu instid0(SALU_CYCLE_1)
	s_and_not1_b32 vcc_lo, exec_lo, s1
	s_cbranch_vccnz .LBB47_1354
; %bb.1353:
	global_load_b32 v1, v[12:13], off
	s_wait_loadcnt 0x0
	v_cvt_f32_f16_e32 v1, v1
	s_delay_alu instid0(VALU_DEP_1)
	v_cvt_i32_f32_e32 v3, v1
.LBB47_1354:
	s_mov_b32 s1, 0
.LBB47_1355:
	s_delay_alu instid0(SALU_CYCLE_1)
	s_and_not1_b32 vcc_lo, exec_lo, s1
	s_cbranch_vccnz .LBB47_1366
; %bb.1356:
	s_cmp_lt_i32 s0, 6
	s_cbranch_scc1 .LBB47_1359
; %bb.1357:
	s_cmp_gt_i32 s0, 6
	s_cbranch_scc0 .LBB47_1360
; %bb.1358:
	global_load_b64 v[14:15], v[12:13], off
	s_mov_b32 s1, 0
	s_wait_loadcnt 0x0
	v_cvt_i32_f64_e32 v3, v[14:15]
	s_branch .LBB47_1361
.LBB47_1359:
	s_mov_b32 s1, -1
                                        ; implicit-def: $vgpr3
	s_branch .LBB47_1364
.LBB47_1360:
	s_mov_b32 s1, -1
                                        ; implicit-def: $vgpr3
.LBB47_1361:
	s_delay_alu instid0(SALU_CYCLE_1)
	s_and_not1_b32 vcc_lo, exec_lo, s1
	s_cbranch_vccnz .LBB47_1363
; %bb.1362:
	global_load_b32 v1, v[12:13], off
	s_wait_loadcnt 0x0
	v_cvt_i32_f32_e32 v3, v1
.LBB47_1363:
	s_mov_b32 s1, 0
.LBB47_1364:
	s_delay_alu instid0(SALU_CYCLE_1)
	s_and_not1_b32 vcc_lo, exec_lo, s1
	s_cbranch_vccnz .LBB47_1366
; %bb.1365:
	global_load_u16 v1, v[12:13], off
	s_wait_loadcnt 0x0
	v_cvt_f32_f16_e32 v1, v1
	s_delay_alu instid0(VALU_DEP_1)
	v_cvt_i32_f32_e32 v3, v1
.LBB47_1366:
	s_cbranch_execnz .LBB47_1386
.LBB47_1367:
	s_cmp_lt_i32 s0, 2
	s_cbranch_scc1 .LBB47_1371
; %bb.1368:
	s_cmp_lt_i32 s0, 3
	s_cbranch_scc1 .LBB47_1372
; %bb.1369:
	s_cmp_gt_i32 s0, 3
	s_cbranch_scc0 .LBB47_1373
; %bb.1370:
	s_wait_loadcnt 0x0
	global_load_b32 v3, v[12:13], off
	s_mov_b32 s1, 0
	s_branch .LBB47_1374
.LBB47_1371:
	s_mov_b32 s1, -1
                                        ; implicit-def: $vgpr3
	s_branch .LBB47_1380
.LBB47_1372:
	s_mov_b32 s1, -1
                                        ; implicit-def: $vgpr3
	s_branch .LBB47_1377
.LBB47_1373:
	s_mov_b32 s1, -1
                                        ; implicit-def: $vgpr3
.LBB47_1374:
	s_delay_alu instid0(SALU_CYCLE_1)
	s_and_not1_b32 vcc_lo, exec_lo, s1
	s_cbranch_vccnz .LBB47_1376
; %bb.1375:
	s_wait_loadcnt 0x0
	global_load_b32 v3, v[12:13], off
.LBB47_1376:
	s_mov_b32 s1, 0
.LBB47_1377:
	s_delay_alu instid0(SALU_CYCLE_1)
	s_and_not1_b32 vcc_lo, exec_lo, s1
	s_cbranch_vccnz .LBB47_1379
; %bb.1378:
	s_wait_loadcnt 0x0
	global_load_i16 v3, v[12:13], off
.LBB47_1379:
	s_mov_b32 s1, 0
.LBB47_1380:
	s_delay_alu instid0(SALU_CYCLE_1)
	s_and_not1_b32 vcc_lo, exec_lo, s1
	s_cbranch_vccnz .LBB47_1386
; %bb.1381:
	s_cmp_gt_i32 s0, 0
	s_mov_b32 s1, 0
	s_cbranch_scc0 .LBB47_1383
; %bb.1382:
	s_wait_loadcnt 0x0
	global_load_i8 v3, v[12:13], off
	s_branch .LBB47_1384
.LBB47_1383:
	s_mov_b32 s1, -1
                                        ; implicit-def: $vgpr3
.LBB47_1384:
	s_delay_alu instid0(SALU_CYCLE_1)
	s_and_not1_b32 vcc_lo, exec_lo, s1
	s_cbranch_vccnz .LBB47_1386
; %bb.1385:
	s_wait_loadcnt 0x0
	global_load_u8 v3, v[12:13], off
.LBB47_1386:
.LBB47_1387:
	v_mov_b32_e32 v11, 0
	s_cmp_lt_i32 s0, 11
	s_delay_alu instid0(VALU_DEP_1)
	v_add_nc_u64_e32 v[10:11], s[6:7], v[10:11]
	s_cbranch_scc1 .LBB47_1394
; %bb.1388:
	s_cmp_gt_i32 s0, 25
	s_mov_b32 s2, 0
	s_cbranch_scc0 .LBB47_1396
; %bb.1389:
	s_cmp_gt_i32 s0, 28
	s_cbranch_scc0 .LBB47_1397
; %bb.1390:
	s_cmp_gt_i32 s0, 43
	;; [unrolled: 3-line block ×3, first 2 shown]
	s_cbranch_scc0 .LBB47_1400
; %bb.1392:
	s_cmp_eq_u32 s0, 46
	s_mov_b32 s11, 0
	s_cbranch_scc0 .LBB47_1401
; %bb.1393:
	global_load_b32 v1, v[10:11], off
	s_mov_b32 s1, 0
	s_mov_b32 s10, -1
	s_wait_loadcnt 0x0
	v_lshlrev_b32_e32 v1, 16, v1
	s_delay_alu instid0(VALU_DEP_1)
	v_cvt_i32_f32_e32 v1, v1
	s_branch .LBB47_1403
.LBB47_1394:
	s_mov_b32 s10, 0
                                        ; implicit-def: $vgpr1
	s_cbranch_execnz .LBB47_1465
.LBB47_1395:
	s_and_not1_b32 vcc_lo, exec_lo, s10
	s_cbranch_vccnz .LBB47_2072
	s_branch .LBB47_1513
.LBB47_1396:
	s_mov_b32 s11, -1
	s_mov_b32 s10, 0
	s_mov_b32 s1, 0
                                        ; implicit-def: $vgpr1
	s_branch .LBB47_1430
.LBB47_1397:
	s_mov_b32 s11, -1
	s_mov_b32 s10, 0
	s_mov_b32 s1, 0
                                        ; implicit-def: $vgpr1
	s_branch .LBB47_1413
.LBB47_1398:
	s_mov_b32 s11, -1
	s_mov_b32 s10, 0
	s_mov_b32 s1, 0
                                        ; implicit-def: $vgpr1
	s_branch .LBB47_1408
.LBB47_1399:
	s_or_b32 s3, s3, exec_lo
	s_trap 2
	s_cbranch_execz .LBB47_1338
	s_branch .LBB47_1339
.LBB47_1400:
	s_mov_b32 s11, -1
	s_mov_b32 s10, 0
	s_mov_b32 s1, 0
	s_branch .LBB47_1402
.LBB47_1401:
	s_mov_b32 s1, -1
	s_mov_b32 s10, 0
.LBB47_1402:
                                        ; implicit-def: $vgpr1
.LBB47_1403:
	s_and_b32 vcc_lo, exec_lo, s11
	s_cbranch_vccz .LBB47_1407
; %bb.1404:
	s_cmp_eq_u32 s0, 44
	s_cbranch_scc0 .LBB47_1406
; %bb.1405:
	global_load_u8 v1, v[10:11], off
	s_mov_b32 s1, 0
	s_mov_b32 s10, -1
	s_wait_loadcnt 0x0
	v_lshlrev_b32_e32 v7, 23, v1
	v_cmp_ne_u32_e32 vcc_lo, 0, v1
	s_delay_alu instid0(VALU_DEP_2) | instskip(NEXT) | instid1(VALU_DEP_1)
	v_cvt_i32_f32_e32 v7, v7
	v_cndmask_b32_e32 v1, 0, v7, vcc_lo
	s_branch .LBB47_1407
.LBB47_1406:
	s_mov_b32 s1, -1
                                        ; implicit-def: $vgpr1
.LBB47_1407:
	s_mov_b32 s11, 0
.LBB47_1408:
	s_delay_alu instid0(SALU_CYCLE_1)
	s_and_b32 vcc_lo, exec_lo, s11
	s_cbranch_vccz .LBB47_1412
; %bb.1409:
	s_cmp_eq_u32 s0, 29
	s_cbranch_scc0 .LBB47_1411
; %bb.1410:
	global_load_b32 v1, v[10:11], off
	s_mov_b32 s1, 0
	s_mov_b32 s10, -1
	s_branch .LBB47_1412
.LBB47_1411:
	s_mov_b32 s1, -1
                                        ; implicit-def: $vgpr1
.LBB47_1412:
	s_mov_b32 s11, 0
.LBB47_1413:
	s_delay_alu instid0(SALU_CYCLE_1)
	s_and_b32 vcc_lo, exec_lo, s11
	s_cbranch_vccz .LBB47_1429
; %bb.1414:
	s_cmp_lt_i32 s0, 27
	s_cbranch_scc1 .LBB47_1417
; %bb.1415:
	s_cmp_gt_i32 s0, 27
	s_cbranch_scc0 .LBB47_1418
; %bb.1416:
	s_wait_loadcnt 0x0
	global_load_b32 v1, v[10:11], off
	s_mov_b32 s10, 0
	s_branch .LBB47_1419
.LBB47_1417:
	s_mov_b32 s10, -1
                                        ; implicit-def: $vgpr1
	s_branch .LBB47_1422
.LBB47_1418:
	s_mov_b32 s10, -1
                                        ; implicit-def: $vgpr1
.LBB47_1419:
	s_delay_alu instid0(SALU_CYCLE_1)
	s_and_not1_b32 vcc_lo, exec_lo, s10
	s_cbranch_vccnz .LBB47_1421
; %bb.1420:
	s_wait_loadcnt 0x0
	global_load_u16 v1, v[10:11], off
.LBB47_1421:
	s_mov_b32 s10, 0
.LBB47_1422:
	s_delay_alu instid0(SALU_CYCLE_1)
	s_and_not1_b32 vcc_lo, exec_lo, s10
	s_cbranch_vccnz .LBB47_1428
; %bb.1423:
	global_load_u8 v7, v[10:11], off
	s_mov_b32 s11, 0
	s_mov_b32 s10, exec_lo
	s_wait_loadcnt 0x0
	v_cmpx_lt_i16_e32 0x7f, v7
	s_xor_b32 s10, exec_lo, s10
	s_cbranch_execz .LBB47_1440
; %bb.1424:
	v_cmp_ne_u16_e32 vcc_lo, 0x80, v7
	s_and_b32 s11, vcc_lo, exec_lo
	s_and_not1_saveexec_b32 s10, s10
	s_cbranch_execnz .LBB47_1441
.LBB47_1425:
	s_or_b32 exec_lo, exec_lo, s10
	v_mov_b32_e32 v1, 0
	s_and_saveexec_b32 s10, s11
	s_cbranch_execz .LBB47_1427
.LBB47_1426:
	v_and_b32_e32 v1, 0xffff, v7
	s_delay_alu instid0(VALU_DEP_1) | instskip(SKIP_1) | instid1(VALU_DEP_2)
	v_and_b32_e32 v9, 7, v1
	v_bfe_u32 v14, v1, 3, 4
	v_clz_i32_u32_e32 v12, v9
	s_delay_alu instid0(VALU_DEP_2) | instskip(NEXT) | instid1(VALU_DEP_2)
	v_cmp_eq_u32_e32 vcc_lo, 0, v14
	v_min_u32_e32 v12, 32, v12
	s_delay_alu instid0(VALU_DEP_1) | instskip(NEXT) | instid1(VALU_DEP_1)
	v_subrev_nc_u32_e32 v13, 28, v12
	v_dual_lshlrev_b32 v1, v13, v1 :: v_dual_sub_nc_u32 v12, 29, v12
	s_delay_alu instid0(VALU_DEP_1) | instskip(NEXT) | instid1(VALU_DEP_1)
	v_dual_lshlrev_b32 v7, 24, v7 :: v_dual_bitop2_b32 v1, 7, v1 bitop3:0x40
	v_dual_cndmask_b32 v12, v14, v12 :: v_dual_cndmask_b32 v1, v9, v1
	s_delay_alu instid0(VALU_DEP_2) | instskip(NEXT) | instid1(VALU_DEP_2)
	v_and_b32_e32 v7, 0x80000000, v7
	v_lshl_add_u32 v9, v12, 23, 0x3b800000
	s_delay_alu instid0(VALU_DEP_3) | instskip(NEXT) | instid1(VALU_DEP_1)
	v_lshlrev_b32_e32 v1, 20, v1
	v_or3_b32 v1, v7, v9, v1
	s_delay_alu instid0(VALU_DEP_1)
	v_cvt_i32_f32_e32 v1, v1
.LBB47_1427:
	s_or_b32 exec_lo, exec_lo, s10
.LBB47_1428:
	s_mov_b32 s10, -1
.LBB47_1429:
	s_mov_b32 s11, 0
.LBB47_1430:
	s_delay_alu instid0(SALU_CYCLE_1)
	s_and_b32 vcc_lo, exec_lo, s11
	s_cbranch_vccz .LBB47_1461
; %bb.1431:
	s_cmp_gt_i32 s0, 22
	s_cbranch_scc0 .LBB47_1439
; %bb.1432:
	s_cmp_lt_i32 s0, 24
	s_cbranch_scc1 .LBB47_1442
; %bb.1433:
	s_cmp_gt_i32 s0, 24
	s_cbranch_scc0 .LBB47_1443
; %bb.1434:
	global_load_u8 v7, v[10:11], off
	s_mov_b32 s10, 0
	s_mov_b32 s2, exec_lo
	s_wait_loadcnt 0x0
	v_cmpx_lt_i16_e32 0x7f, v7
	s_xor_b32 s2, exec_lo, s2
	s_cbranch_execz .LBB47_1455
; %bb.1435:
	v_cmp_ne_u16_e32 vcc_lo, 0x80, v7
	s_and_b32 s10, vcc_lo, exec_lo
	s_and_not1_saveexec_b32 s2, s2
	s_cbranch_execnz .LBB47_1456
.LBB47_1436:
	s_or_b32 exec_lo, exec_lo, s2
	v_mov_b32_e32 v1, 0
	s_and_saveexec_b32 s2, s10
	s_cbranch_execz .LBB47_1438
.LBB47_1437:
	v_and_b32_e32 v1, 0xffff, v7
	s_delay_alu instid0(VALU_DEP_1) | instskip(SKIP_1) | instid1(VALU_DEP_2)
	v_and_b32_e32 v9, 3, v1
	v_bfe_u32 v14, v1, 2, 5
	v_clz_i32_u32_e32 v12, v9
	s_delay_alu instid0(VALU_DEP_2) | instskip(NEXT) | instid1(VALU_DEP_2)
	v_cmp_eq_u32_e32 vcc_lo, 0, v14
	v_min_u32_e32 v12, 32, v12
	s_delay_alu instid0(VALU_DEP_1) | instskip(NEXT) | instid1(VALU_DEP_1)
	v_subrev_nc_u32_e32 v13, 29, v12
	v_dual_lshlrev_b32 v1, v13, v1 :: v_dual_sub_nc_u32 v12, 30, v12
	s_delay_alu instid0(VALU_DEP_1) | instskip(NEXT) | instid1(VALU_DEP_1)
	v_dual_lshlrev_b32 v7, 24, v7 :: v_dual_bitop2_b32 v1, 3, v1 bitop3:0x40
	v_dual_cndmask_b32 v12, v14, v12 :: v_dual_cndmask_b32 v1, v9, v1
	s_delay_alu instid0(VALU_DEP_2) | instskip(NEXT) | instid1(VALU_DEP_2)
	v_and_b32_e32 v7, 0x80000000, v7
	v_lshl_add_u32 v9, v12, 23, 0x37800000
	s_delay_alu instid0(VALU_DEP_3) | instskip(NEXT) | instid1(VALU_DEP_1)
	v_lshlrev_b32_e32 v1, 21, v1
	v_or3_b32 v1, v7, v9, v1
	s_delay_alu instid0(VALU_DEP_1)
	v_cvt_i32_f32_e32 v1, v1
.LBB47_1438:
	s_or_b32 exec_lo, exec_lo, s2
	s_mov_b32 s2, 0
	s_branch .LBB47_1444
.LBB47_1439:
	s_mov_b32 s2, -1
                                        ; implicit-def: $vgpr1
	s_branch .LBB47_1450
.LBB47_1440:
	s_and_not1_saveexec_b32 s10, s10
	s_cbranch_execz .LBB47_1425
.LBB47_1441:
	v_cmp_ne_u16_e32 vcc_lo, 0, v7
	s_and_not1_b32 s11, s11, exec_lo
	s_and_b32 s12, vcc_lo, exec_lo
	s_delay_alu instid0(SALU_CYCLE_1)
	s_or_b32 s11, s11, s12
	s_or_b32 exec_lo, exec_lo, s10
	v_mov_b32_e32 v1, 0
	s_and_saveexec_b32 s10, s11
	s_cbranch_execnz .LBB47_1426
	s_branch .LBB47_1427
.LBB47_1442:
	s_mov_b32 s2, -1
                                        ; implicit-def: $vgpr1
	s_branch .LBB47_1447
.LBB47_1443:
	s_mov_b32 s2, -1
                                        ; implicit-def: $vgpr1
.LBB47_1444:
	s_delay_alu instid0(SALU_CYCLE_1)
	s_and_b32 vcc_lo, exec_lo, s2
	s_cbranch_vccz .LBB47_1446
; %bb.1445:
	s_wait_loadcnt 0x0
	global_load_u8 v1, v[10:11], off
	s_wait_loadcnt 0x0
	v_lshlrev_b32_e32 v1, 24, v1
	s_delay_alu instid0(VALU_DEP_1) | instskip(NEXT) | instid1(VALU_DEP_1)
	v_and_b32_e32 v7, 0x7f000000, v1
	v_clz_i32_u32_e32 v9, v7
	s_wait_xcnt 0x1
	v_add_nc_u32_e32 v13, 0x1000000, v7
	v_cmp_ne_u32_e32 vcc_lo, 0, v7
	s_delay_alu instid0(VALU_DEP_3) | instskip(NEXT) | instid1(VALU_DEP_1)
	v_min_u32_e32 v9, 32, v9
	v_sub_nc_u32_e64 v9, v9, 4 clamp
	s_delay_alu instid0(VALU_DEP_1) | instskip(NEXT) | instid1(VALU_DEP_1)
	v_dual_lshlrev_b32 v12, v9, v7 :: v_dual_lshlrev_b32 v9, 23, v9
	v_lshrrev_b32_e32 v12, 4, v12
	s_delay_alu instid0(VALU_DEP_1) | instskip(SKIP_1) | instid1(VALU_DEP_2)
	v_sub_nc_u32_e32 v9, v12, v9
	v_ashrrev_i32_e32 v12, 8, v13
	v_add_nc_u32_e32 v9, 0x3c000000, v9
	s_delay_alu instid0(VALU_DEP_1) | instskip(NEXT) | instid1(VALU_DEP_1)
	v_and_or_b32 v9, 0x7f800000, v12, v9
	v_cndmask_b32_e32 v7, 0, v9, vcc_lo
	s_delay_alu instid0(VALU_DEP_1) | instskip(NEXT) | instid1(VALU_DEP_1)
	v_and_or_b32 v1, 0x80000000, v1, v7
	v_cvt_i32_f32_e32 v1, v1
.LBB47_1446:
	s_mov_b32 s2, 0
.LBB47_1447:
	s_delay_alu instid0(SALU_CYCLE_1)
	s_and_not1_b32 vcc_lo, exec_lo, s2
	s_cbranch_vccnz .LBB47_1449
; %bb.1448:
	s_wait_loadcnt 0x0
	global_load_u8 v1, v[10:11], off
	s_wait_loadcnt 0x0
	v_lshlrev_b32_e32 v7, 25, v1
	v_lshlrev_b16 v1, 8, v1
	s_wait_xcnt 0x1
	s_delay_alu instid0(VALU_DEP_1) | instskip(SKIP_1) | instid1(VALU_DEP_2)
	v_and_or_b32 v12, 0x7f00, v1, 0.5
	v_bfe_i32 v1, v1, 0, 16
	v_dual_add_f32 v12, -0.5, v12 :: v_dual_lshrrev_b32 v9, 4, v7
	v_cmp_gt_u32_e32 vcc_lo, 0x8000000, v7
	s_delay_alu instid0(VALU_DEP_2) | instskip(NEXT) | instid1(VALU_DEP_1)
	v_or_b32_e32 v9, 0x70000000, v9
	v_mul_f32_e32 v9, 0x7800000, v9
	s_delay_alu instid0(VALU_DEP_1) | instskip(NEXT) | instid1(VALU_DEP_1)
	v_cndmask_b32_e32 v7, v9, v12, vcc_lo
	v_and_or_b32 v1, 0x80000000, v1, v7
	s_delay_alu instid0(VALU_DEP_1)
	v_cvt_i32_f32_e32 v1, v1
.LBB47_1449:
	s_mov_b32 s2, 0
	s_mov_b32 s10, -1
.LBB47_1450:
	s_and_not1_b32 vcc_lo, exec_lo, s2
	s_mov_b32 s2, 0
	s_cbranch_vccnz .LBB47_1461
; %bb.1451:
	s_cmp_gt_i32 s0, 14
	s_cbranch_scc0 .LBB47_1454
; %bb.1452:
	s_cmp_eq_u32 s0, 15
	s_cbranch_scc0 .LBB47_1457
; %bb.1453:
	s_wait_loadcnt 0x0
	global_load_u16 v1, v[10:11], off
	s_mov_b32 s1, 0
	s_mov_b32 s10, -1
	s_wait_loadcnt 0x0
	v_lshlrev_b32_e32 v1, 16, v1
	s_delay_alu instid0(VALU_DEP_1)
	v_cvt_i32_f32_e32 v1, v1
	s_branch .LBB47_1459
.LBB47_1454:
	s_mov_b32 s2, -1
	s_branch .LBB47_1458
.LBB47_1455:
	s_and_not1_saveexec_b32 s2, s2
	s_cbranch_execz .LBB47_1436
.LBB47_1456:
	v_cmp_ne_u16_e32 vcc_lo, 0, v7
	s_and_not1_b32 s10, s10, exec_lo
	s_and_b32 s11, vcc_lo, exec_lo
	s_delay_alu instid0(SALU_CYCLE_1)
	s_or_b32 s10, s10, s11
	s_or_b32 exec_lo, exec_lo, s2
	v_mov_b32_e32 v1, 0
	s_and_saveexec_b32 s2, s10
	s_cbranch_execnz .LBB47_1437
	s_branch .LBB47_1438
.LBB47_1457:
	s_mov_b32 s1, -1
.LBB47_1458:
                                        ; implicit-def: $vgpr1
.LBB47_1459:
	s_and_b32 vcc_lo, exec_lo, s2
	s_mov_b32 s2, 0
	s_cbranch_vccz .LBB47_1461
; %bb.1460:
	s_cmp_lg_u32 s0, 11
	s_mov_b32 s2, -1
	s_cselect_b32 s1, -1, 0
.LBB47_1461:
	s_delay_alu instid0(SALU_CYCLE_1)
	s_and_b32 vcc_lo, exec_lo, s1
	s_cbranch_vccnz .LBB47_1524
; %bb.1462:
	s_and_not1_b32 vcc_lo, exec_lo, s2
	s_cbranch_vccnz .LBB47_1464
.LBB47_1463:
	s_wait_loadcnt 0x0
	global_load_u8 v1, v[10:11], off
	s_mov_b32 s10, -1
	s_wait_loadcnt 0x0
	v_cmp_ne_u16_e32 vcc_lo, 0, v1
	v_cndmask_b32_e64 v1, 0, 1, vcc_lo
.LBB47_1464:
	s_branch .LBB47_1395
.LBB47_1465:
	s_cmp_lt_i32 s0, 5
	s_cbranch_scc1 .LBB47_1470
; %bb.1466:
	s_cmp_lt_i32 s0, 8
	s_cbranch_scc1 .LBB47_1471
; %bb.1467:
	;; [unrolled: 3-line block ×3, first 2 shown]
	s_cmp_gt_i32 s0, 9
	s_cbranch_scc0 .LBB47_1473
; %bb.1469:
	global_load_b64 v[12:13], v[10:11], off
	s_mov_b32 s1, 0
	s_wait_loadcnt 0x0
	v_cvt_i32_f64_e32 v1, v[12:13]
	s_branch .LBB47_1474
.LBB47_1470:
	s_mov_b32 s1, -1
                                        ; implicit-def: $vgpr1
	s_branch .LBB47_1492
.LBB47_1471:
	s_mov_b32 s1, -1
                                        ; implicit-def: $vgpr1
	s_branch .LBB47_1480
.LBB47_1472:
	s_mov_b32 s1, -1
                                        ; implicit-def: $vgpr1
	s_branch .LBB47_1477
.LBB47_1473:
	s_mov_b32 s1, -1
                                        ; implicit-def: $vgpr1
.LBB47_1474:
	s_delay_alu instid0(SALU_CYCLE_1)
	s_and_not1_b32 vcc_lo, exec_lo, s1
	s_cbranch_vccnz .LBB47_1476
; %bb.1475:
	s_wait_loadcnt 0x0
	global_load_b32 v1, v[10:11], off
	s_wait_loadcnt 0x0
	v_cvt_i32_f32_e32 v1, v1
.LBB47_1476:
	s_mov_b32 s1, 0
.LBB47_1477:
	s_delay_alu instid0(SALU_CYCLE_1)
	s_and_not1_b32 vcc_lo, exec_lo, s1
	s_cbranch_vccnz .LBB47_1479
; %bb.1478:
	s_wait_loadcnt 0x0
	global_load_b32 v1, v[10:11], off
	s_wait_loadcnt 0x0
	v_cvt_f32_f16_e32 v1, v1
	s_delay_alu instid0(VALU_DEP_1)
	v_cvt_i32_f32_e32 v1, v1
.LBB47_1479:
	s_mov_b32 s1, 0
.LBB47_1480:
	s_delay_alu instid0(SALU_CYCLE_1)
	s_and_not1_b32 vcc_lo, exec_lo, s1
	s_cbranch_vccnz .LBB47_1491
; %bb.1481:
	s_cmp_lt_i32 s0, 6
	s_cbranch_scc1 .LBB47_1484
; %bb.1482:
	s_cmp_gt_i32 s0, 6
	s_cbranch_scc0 .LBB47_1485
; %bb.1483:
	global_load_b64 v[12:13], v[10:11], off
	s_mov_b32 s1, 0
	s_wait_loadcnt 0x0
	v_cvt_i32_f64_e32 v1, v[12:13]
	s_branch .LBB47_1486
.LBB47_1484:
	s_mov_b32 s1, -1
                                        ; implicit-def: $vgpr1
	s_branch .LBB47_1489
.LBB47_1485:
	s_mov_b32 s1, -1
                                        ; implicit-def: $vgpr1
.LBB47_1486:
	s_delay_alu instid0(SALU_CYCLE_1)
	s_and_not1_b32 vcc_lo, exec_lo, s1
	s_cbranch_vccnz .LBB47_1488
; %bb.1487:
	s_wait_loadcnt 0x0
	global_load_b32 v1, v[10:11], off
	s_wait_loadcnt 0x0
	v_cvt_i32_f32_e32 v1, v1
.LBB47_1488:
	s_mov_b32 s1, 0
.LBB47_1489:
	s_delay_alu instid0(SALU_CYCLE_1)
	s_and_not1_b32 vcc_lo, exec_lo, s1
	s_cbranch_vccnz .LBB47_1491
; %bb.1490:
	s_wait_loadcnt 0x0
	global_load_u16 v1, v[10:11], off
	s_wait_loadcnt 0x0
	v_cvt_f32_f16_e32 v1, v1
	s_delay_alu instid0(VALU_DEP_1)
	v_cvt_i32_f32_e32 v1, v1
.LBB47_1491:
	s_mov_b32 s1, 0
.LBB47_1492:
	s_delay_alu instid0(SALU_CYCLE_1)
	s_and_not1_b32 vcc_lo, exec_lo, s1
	s_cbranch_vccnz .LBB47_1512
; %bb.1493:
	s_cmp_lt_i32 s0, 2
	s_cbranch_scc1 .LBB47_1497
; %bb.1494:
	s_cmp_lt_i32 s0, 3
	s_cbranch_scc1 .LBB47_1498
; %bb.1495:
	s_cmp_gt_i32 s0, 3
	s_cbranch_scc0 .LBB47_1499
; %bb.1496:
	s_wait_loadcnt 0x0
	global_load_b32 v1, v[10:11], off
	s_mov_b32 s1, 0
	s_branch .LBB47_1500
.LBB47_1497:
	s_mov_b32 s1, -1
                                        ; implicit-def: $vgpr1
	s_branch .LBB47_1506
.LBB47_1498:
	s_mov_b32 s1, -1
                                        ; implicit-def: $vgpr1
	s_branch .LBB47_1503
.LBB47_1499:
	s_mov_b32 s1, -1
                                        ; implicit-def: $vgpr1
.LBB47_1500:
	s_delay_alu instid0(SALU_CYCLE_1)
	s_and_not1_b32 vcc_lo, exec_lo, s1
	s_cbranch_vccnz .LBB47_1502
; %bb.1501:
	s_wait_loadcnt 0x0
	global_load_b32 v1, v[10:11], off
.LBB47_1502:
	s_mov_b32 s1, 0
.LBB47_1503:
	s_delay_alu instid0(SALU_CYCLE_1)
	s_and_not1_b32 vcc_lo, exec_lo, s1
	s_cbranch_vccnz .LBB47_1505
; %bb.1504:
	s_wait_loadcnt 0x0
	global_load_i16 v1, v[10:11], off
.LBB47_1505:
	s_mov_b32 s1, 0
.LBB47_1506:
	s_delay_alu instid0(SALU_CYCLE_1)
	s_and_not1_b32 vcc_lo, exec_lo, s1
	s_cbranch_vccnz .LBB47_1512
; %bb.1507:
	s_cmp_gt_i32 s0, 0
	s_mov_b32 s1, 0
	s_cbranch_scc0 .LBB47_1509
; %bb.1508:
	s_wait_loadcnt 0x0
	global_load_i8 v1, v[10:11], off
	s_branch .LBB47_1510
.LBB47_1509:
	s_mov_b32 s1, -1
                                        ; implicit-def: $vgpr1
.LBB47_1510:
	s_delay_alu instid0(SALU_CYCLE_1)
	s_and_not1_b32 vcc_lo, exec_lo, s1
	s_cbranch_vccnz .LBB47_1512
; %bb.1511:
	s_wait_loadcnt 0x0
	global_load_u8 v1, v[10:11], off
.LBB47_1512:
.LBB47_1513:
	v_mov_b32_e32 v9, 0
	s_cmp_lt_i32 s0, 11
	s_delay_alu instid0(VALU_DEP_1)
	v_add_nc_u64_e32 v[8:9], s[6:7], v[8:9]
	s_cbranch_scc1 .LBB47_1520
; %bb.1514:
	s_cmp_gt_i32 s0, 25
	s_mov_b32 s2, 0
	s_cbranch_scc0 .LBB47_1521
; %bb.1515:
	s_cmp_gt_i32 s0, 28
	s_cbranch_scc0 .LBB47_1522
; %bb.1516:
	s_cmp_gt_i32 s0, 43
	;; [unrolled: 3-line block ×3, first 2 shown]
	s_cbranch_scc0 .LBB47_1525
; %bb.1518:
	s_cmp_eq_u32 s0, 46
	s_mov_b32 s7, 0
	s_cbranch_scc0 .LBB47_1526
; %bb.1519:
	global_load_b32 v7, v[8:9], off
	s_mov_b32 s1, 0
	s_mov_b32 s6, -1
	s_wait_loadcnt 0x0
	v_lshlrev_b32_e32 v7, 16, v7
	s_wait_xcnt 0x1
	s_delay_alu instid0(VALU_DEP_1)
	v_cvt_i32_f32_e32 v10, v7
	s_branch .LBB47_1528
.LBB47_1520:
	s_mov_b32 s1, -1
	s_mov_b32 s6, 0
                                        ; implicit-def: $vgpr10
	s_branch .LBB47_1590
.LBB47_1521:
	s_mov_b32 s7, -1
	s_mov_b32 s6, 0
	s_mov_b32 s1, 0
                                        ; implicit-def: $vgpr10
	s_branch .LBB47_1555
.LBB47_1522:
	s_mov_b32 s7, -1
	s_mov_b32 s6, 0
	s_mov_b32 s1, 0
                                        ; implicit-def: $vgpr10
	s_branch .LBB47_1538
.LBB47_1523:
	s_mov_b32 s7, -1
	s_mov_b32 s6, 0
	s_mov_b32 s1, 0
                                        ; implicit-def: $vgpr10
	s_branch .LBB47_1533
.LBB47_1524:
	s_or_b32 s3, s3, exec_lo
	s_trap 2
	s_cbranch_execz .LBB47_1463
	s_branch .LBB47_1464
.LBB47_1525:
	s_mov_b32 s7, -1
	s_mov_b32 s6, 0
	s_mov_b32 s1, 0
	s_branch .LBB47_1527
.LBB47_1526:
	s_mov_b32 s1, -1
	s_mov_b32 s6, 0
.LBB47_1527:
                                        ; implicit-def: $vgpr10
.LBB47_1528:
	s_and_b32 vcc_lo, exec_lo, s7
	s_cbranch_vccz .LBB47_1532
; %bb.1529:
	s_cmp_eq_u32 s0, 44
	s_cbranch_scc0 .LBB47_1531
; %bb.1530:
	global_load_u8 v7, v[8:9], off
	s_mov_b32 s1, 0
	s_mov_b32 s6, -1
	s_wait_loadcnt 0x0
	s_wait_xcnt 0x1
	v_lshlrev_b32_e32 v10, 23, v7
	v_cmp_ne_u32_e32 vcc_lo, 0, v7
	s_delay_alu instid0(VALU_DEP_2) | instskip(NEXT) | instid1(VALU_DEP_1)
	v_cvt_i32_f32_e32 v10, v10
	v_cndmask_b32_e32 v10, 0, v10, vcc_lo
	s_branch .LBB47_1532
.LBB47_1531:
	s_mov_b32 s1, -1
                                        ; implicit-def: $vgpr10
.LBB47_1532:
	s_mov_b32 s7, 0
.LBB47_1533:
	s_delay_alu instid0(SALU_CYCLE_1)
	s_and_b32 vcc_lo, exec_lo, s7
	s_cbranch_vccz .LBB47_1537
; %bb.1534:
	s_cmp_eq_u32 s0, 29
	s_cbranch_scc0 .LBB47_1536
; %bb.1535:
	global_load_b32 v10, v[8:9], off
	s_mov_b32 s1, 0
	s_mov_b32 s6, -1
	s_branch .LBB47_1537
.LBB47_1536:
	s_mov_b32 s1, -1
                                        ; implicit-def: $vgpr10
.LBB47_1537:
	s_mov_b32 s7, 0
.LBB47_1538:
	s_delay_alu instid0(SALU_CYCLE_1)
	s_and_b32 vcc_lo, exec_lo, s7
	s_cbranch_vccz .LBB47_1554
; %bb.1539:
	s_cmp_lt_i32 s0, 27
	s_cbranch_scc1 .LBB47_1542
; %bb.1540:
	s_cmp_gt_i32 s0, 27
	s_cbranch_scc0 .LBB47_1543
; %bb.1541:
	s_wait_loadcnt 0x0
	global_load_b32 v10, v[8:9], off
	s_mov_b32 s6, 0
	s_branch .LBB47_1544
.LBB47_1542:
	s_mov_b32 s6, -1
                                        ; implicit-def: $vgpr10
	s_branch .LBB47_1547
.LBB47_1543:
	s_mov_b32 s6, -1
                                        ; implicit-def: $vgpr10
.LBB47_1544:
	s_delay_alu instid0(SALU_CYCLE_1)
	s_and_not1_b32 vcc_lo, exec_lo, s6
	s_cbranch_vccnz .LBB47_1546
; %bb.1545:
	s_wait_loadcnt 0x0
	global_load_u16 v10, v[8:9], off
.LBB47_1546:
	s_mov_b32 s6, 0
.LBB47_1547:
	s_delay_alu instid0(SALU_CYCLE_1)
	s_and_not1_b32 vcc_lo, exec_lo, s6
	s_cbranch_vccnz .LBB47_1553
; %bb.1548:
	global_load_u8 v7, v[8:9], off
	s_mov_b32 s7, 0
	s_mov_b32 s6, exec_lo
	s_wait_loadcnt 0x0
	v_cmpx_lt_i16_e32 0x7f, v7
	s_xor_b32 s6, exec_lo, s6
	s_cbranch_execz .LBB47_1565
; %bb.1549:
	v_cmp_ne_u16_e32 vcc_lo, 0x80, v7
	s_and_b32 s7, vcc_lo, exec_lo
	s_and_not1_saveexec_b32 s6, s6
	s_cbranch_execnz .LBB47_1566
.LBB47_1550:
	s_or_b32 exec_lo, exec_lo, s6
	v_mov_b32_e32 v10, 0
	s_and_saveexec_b32 s6, s7
	s_cbranch_execz .LBB47_1552
.LBB47_1551:
	v_and_b32_e32 v10, 0xffff, v7
	s_delay_alu instid0(VALU_DEP_1) | instskip(SKIP_1) | instid1(VALU_DEP_2)
	v_and_b32_e32 v11, 7, v10
	v_bfe_u32 v14, v10, 3, 4
	v_clz_i32_u32_e32 v12, v11
	s_delay_alu instid0(VALU_DEP_2) | instskip(NEXT) | instid1(VALU_DEP_2)
	v_cmp_eq_u32_e32 vcc_lo, 0, v14
	v_min_u32_e32 v12, 32, v12
	s_delay_alu instid0(VALU_DEP_1) | instskip(NEXT) | instid1(VALU_DEP_1)
	v_subrev_nc_u32_e32 v13, 28, v12
	v_dual_lshlrev_b32 v10, v13, v10 :: v_dual_sub_nc_u32 v12, 29, v12
	s_delay_alu instid0(VALU_DEP_1) | instskip(NEXT) | instid1(VALU_DEP_1)
	v_dual_lshlrev_b32 v7, 24, v7 :: v_dual_bitop2_b32 v10, 7, v10 bitop3:0x40
	v_dual_cndmask_b32 v12, v14, v12, vcc_lo :: v_dual_cndmask_b32 v10, v11, v10, vcc_lo
	s_delay_alu instid0(VALU_DEP_2) | instskip(NEXT) | instid1(VALU_DEP_2)
	v_and_b32_e32 v7, 0x80000000, v7
	v_lshl_add_u32 v11, v12, 23, 0x3b800000
	s_delay_alu instid0(VALU_DEP_3) | instskip(NEXT) | instid1(VALU_DEP_1)
	v_lshlrev_b32_e32 v10, 20, v10
	v_or3_b32 v7, v7, v11, v10
	s_delay_alu instid0(VALU_DEP_1)
	v_cvt_i32_f32_e32 v10, v7
.LBB47_1552:
	s_or_b32 exec_lo, exec_lo, s6
.LBB47_1553:
	s_mov_b32 s6, -1
.LBB47_1554:
	s_mov_b32 s7, 0
.LBB47_1555:
	s_delay_alu instid0(SALU_CYCLE_1)
	s_and_b32 vcc_lo, exec_lo, s7
	s_cbranch_vccz .LBB47_1586
; %bb.1556:
	s_cmp_gt_i32 s0, 22
	s_cbranch_scc0 .LBB47_1564
; %bb.1557:
	s_cmp_lt_i32 s0, 24
	s_cbranch_scc1 .LBB47_1567
; %bb.1558:
	s_cmp_gt_i32 s0, 24
	s_cbranch_scc0 .LBB47_1568
; %bb.1559:
	global_load_u8 v7, v[8:9], off
	s_mov_b32 s6, 0
	s_mov_b32 s2, exec_lo
	s_wait_loadcnt 0x0
	v_cmpx_lt_i16_e32 0x7f, v7
	s_xor_b32 s2, exec_lo, s2
	s_cbranch_execz .LBB47_1580
; %bb.1560:
	v_cmp_ne_u16_e32 vcc_lo, 0x80, v7
	s_and_b32 s6, vcc_lo, exec_lo
	s_and_not1_saveexec_b32 s2, s2
	s_cbranch_execnz .LBB47_1581
.LBB47_1561:
	s_or_b32 exec_lo, exec_lo, s2
	v_mov_b32_e32 v10, 0
	s_and_saveexec_b32 s2, s6
	s_cbranch_execz .LBB47_1563
.LBB47_1562:
	v_and_b32_e32 v10, 0xffff, v7
	s_delay_alu instid0(VALU_DEP_1) | instskip(SKIP_1) | instid1(VALU_DEP_2)
	v_and_b32_e32 v11, 3, v10
	v_bfe_u32 v14, v10, 2, 5
	v_clz_i32_u32_e32 v12, v11
	s_delay_alu instid0(VALU_DEP_2) | instskip(NEXT) | instid1(VALU_DEP_2)
	v_cmp_eq_u32_e32 vcc_lo, 0, v14
	v_min_u32_e32 v12, 32, v12
	s_delay_alu instid0(VALU_DEP_1) | instskip(NEXT) | instid1(VALU_DEP_1)
	v_subrev_nc_u32_e32 v13, 29, v12
	v_dual_lshlrev_b32 v10, v13, v10 :: v_dual_sub_nc_u32 v12, 30, v12
	s_delay_alu instid0(VALU_DEP_1) | instskip(NEXT) | instid1(VALU_DEP_1)
	v_dual_lshlrev_b32 v7, 24, v7 :: v_dual_bitop2_b32 v10, 3, v10 bitop3:0x40
	v_dual_cndmask_b32 v12, v14, v12, vcc_lo :: v_dual_cndmask_b32 v10, v11, v10, vcc_lo
	s_delay_alu instid0(VALU_DEP_2) | instskip(NEXT) | instid1(VALU_DEP_2)
	v_and_b32_e32 v7, 0x80000000, v7
	v_lshl_add_u32 v11, v12, 23, 0x37800000
	s_delay_alu instid0(VALU_DEP_3) | instskip(NEXT) | instid1(VALU_DEP_1)
	v_lshlrev_b32_e32 v10, 21, v10
	v_or3_b32 v7, v7, v11, v10
	s_delay_alu instid0(VALU_DEP_1)
	v_cvt_i32_f32_e32 v10, v7
.LBB47_1563:
	s_or_b32 exec_lo, exec_lo, s2
	s_mov_b32 s2, 0
	s_branch .LBB47_1569
.LBB47_1564:
	s_mov_b32 s2, -1
                                        ; implicit-def: $vgpr10
	s_branch .LBB47_1575
.LBB47_1565:
	s_and_not1_saveexec_b32 s6, s6
	s_cbranch_execz .LBB47_1550
.LBB47_1566:
	v_cmp_ne_u16_e32 vcc_lo, 0, v7
	s_and_not1_b32 s7, s7, exec_lo
	s_and_b32 s10, vcc_lo, exec_lo
	s_delay_alu instid0(SALU_CYCLE_1)
	s_or_b32 s7, s7, s10
	s_or_b32 exec_lo, exec_lo, s6
	v_mov_b32_e32 v10, 0
	s_and_saveexec_b32 s6, s7
	s_cbranch_execnz .LBB47_1551
	s_branch .LBB47_1552
.LBB47_1567:
	s_mov_b32 s2, -1
                                        ; implicit-def: $vgpr10
	s_branch .LBB47_1572
.LBB47_1568:
	s_mov_b32 s2, -1
                                        ; implicit-def: $vgpr10
.LBB47_1569:
	s_delay_alu instid0(SALU_CYCLE_1)
	s_and_b32 vcc_lo, exec_lo, s2
	s_cbranch_vccz .LBB47_1571
; %bb.1570:
	global_load_u8 v7, v[8:9], off
	s_wait_loadcnt 0x0
	v_lshlrev_b32_e32 v7, 24, v7
	s_wait_xcnt 0x1
	s_delay_alu instid0(VALU_DEP_1) | instskip(NEXT) | instid1(VALU_DEP_1)
	v_and_b32_e32 v10, 0x7f000000, v7
	v_clz_i32_u32_e32 v11, v10
	v_cmp_ne_u32_e32 vcc_lo, 0, v10
	v_add_nc_u32_e32 v13, 0x1000000, v10
	s_delay_alu instid0(VALU_DEP_3) | instskip(NEXT) | instid1(VALU_DEP_1)
	v_min_u32_e32 v11, 32, v11
	v_sub_nc_u32_e64 v11, v11, 4 clamp
	s_delay_alu instid0(VALU_DEP_1) | instskip(NEXT) | instid1(VALU_DEP_1)
	v_dual_lshlrev_b32 v12, v11, v10 :: v_dual_lshlrev_b32 v11, 23, v11
	v_lshrrev_b32_e32 v12, 4, v12
	s_delay_alu instid0(VALU_DEP_1) | instskip(NEXT) | instid1(VALU_DEP_1)
	v_dual_sub_nc_u32 v11, v12, v11 :: v_dual_ashrrev_i32 v12, 8, v13
	v_add_nc_u32_e32 v11, 0x3c000000, v11
	s_delay_alu instid0(VALU_DEP_1) | instskip(NEXT) | instid1(VALU_DEP_1)
	v_and_or_b32 v11, 0x7f800000, v12, v11
	v_cndmask_b32_e32 v10, 0, v11, vcc_lo
	s_delay_alu instid0(VALU_DEP_1) | instskip(NEXT) | instid1(VALU_DEP_1)
	v_and_or_b32 v7, 0x80000000, v7, v10
	v_cvt_i32_f32_e32 v10, v7
.LBB47_1571:
	s_mov_b32 s2, 0
.LBB47_1572:
	s_delay_alu instid0(SALU_CYCLE_1)
	s_and_not1_b32 vcc_lo, exec_lo, s2
	s_cbranch_vccnz .LBB47_1574
; %bb.1573:
	global_load_u8 v7, v[8:9], off
	s_wait_loadcnt 0x0
	s_wait_xcnt 0x1
	v_lshlrev_b32_e32 v10, 25, v7
	v_lshlrev_b16 v7, 8, v7
	s_delay_alu instid0(VALU_DEP_1) | instskip(SKIP_1) | instid1(VALU_DEP_2)
	v_and_or_b32 v12, 0x7f00, v7, 0.5
	v_bfe_i32 v7, v7, 0, 16
	v_dual_add_f32 v12, -0.5, v12 :: v_dual_lshrrev_b32 v11, 4, v10
	v_cmp_gt_u32_e32 vcc_lo, 0x8000000, v10
	s_delay_alu instid0(VALU_DEP_2) | instskip(NEXT) | instid1(VALU_DEP_1)
	v_or_b32_e32 v11, 0x70000000, v11
	v_mul_f32_e32 v11, 0x7800000, v11
	s_delay_alu instid0(VALU_DEP_1) | instskip(NEXT) | instid1(VALU_DEP_1)
	v_cndmask_b32_e32 v10, v11, v12, vcc_lo
	v_and_or_b32 v7, 0x80000000, v7, v10
	s_delay_alu instid0(VALU_DEP_1)
	v_cvt_i32_f32_e32 v10, v7
.LBB47_1574:
	s_mov_b32 s2, 0
	s_mov_b32 s6, -1
.LBB47_1575:
	s_and_not1_b32 vcc_lo, exec_lo, s2
	s_mov_b32 s2, 0
	s_cbranch_vccnz .LBB47_1586
; %bb.1576:
	s_cmp_gt_i32 s0, 14
	s_cbranch_scc0 .LBB47_1579
; %bb.1577:
	s_cmp_eq_u32 s0, 15
	s_cbranch_scc0 .LBB47_1582
; %bb.1578:
	global_load_u16 v7, v[8:9], off
	s_mov_b32 s1, 0
	s_mov_b32 s6, -1
	s_wait_loadcnt 0x0
	v_lshlrev_b32_e32 v7, 16, v7
	s_wait_xcnt 0x1
	s_delay_alu instid0(VALU_DEP_1)
	v_cvt_i32_f32_e32 v10, v7
	s_branch .LBB47_1584
.LBB47_1579:
	s_mov_b32 s2, -1
	s_branch .LBB47_1583
.LBB47_1580:
	s_and_not1_saveexec_b32 s2, s2
	s_cbranch_execz .LBB47_1561
.LBB47_1581:
	v_cmp_ne_u16_e32 vcc_lo, 0, v7
	s_and_not1_b32 s6, s6, exec_lo
	s_and_b32 s7, vcc_lo, exec_lo
	s_delay_alu instid0(SALU_CYCLE_1)
	s_or_b32 s6, s6, s7
	s_or_b32 exec_lo, exec_lo, s2
	v_mov_b32_e32 v10, 0
	s_and_saveexec_b32 s2, s6
	s_cbranch_execnz .LBB47_1562
	s_branch .LBB47_1563
.LBB47_1582:
	s_mov_b32 s1, -1
.LBB47_1583:
                                        ; implicit-def: $vgpr10
.LBB47_1584:
	s_and_b32 vcc_lo, exec_lo, s2
	s_mov_b32 s2, 0
	s_cbranch_vccz .LBB47_1586
; %bb.1585:
	s_cmp_lg_u32 s0, 11
	s_mov_b32 s2, -1
	s_cselect_b32 s1, -1, 0
.LBB47_1586:
	s_delay_alu instid0(SALU_CYCLE_1)
	s_and_b32 vcc_lo, exec_lo, s1
	s_cbranch_vccnz .LBB47_2118
; %bb.1587:
	s_and_not1_b32 vcc_lo, exec_lo, s2
	s_cbranch_vccnz .LBB47_1589
.LBB47_1588:
	global_load_u8 v7, v[8:9], off
	s_mov_b32 s6, -1
	s_wait_loadcnt 0x0
	v_cmp_ne_u16_e32 vcc_lo, 0, v7
	s_wait_xcnt 0x1
	v_cndmask_b32_e64 v10, 0, 1, vcc_lo
.LBB47_1589:
	s_mov_b32 s1, 0
.LBB47_1590:
	s_delay_alu instid0(SALU_CYCLE_1)
	s_and_b32 vcc_lo, exec_lo, s1
	s_cbranch_vccz .LBB47_1639
; %bb.1591:
	s_cmp_lt_i32 s0, 5
	s_cbranch_scc1 .LBB47_1596
; %bb.1592:
	s_cmp_lt_i32 s0, 8
	s_cbranch_scc1 .LBB47_1597
	;; [unrolled: 3-line block ×3, first 2 shown]
; %bb.1594:
	s_cmp_gt_i32 s0, 9
	s_cbranch_scc0 .LBB47_1599
; %bb.1595:
	s_wait_loadcnt 0x0
	global_load_b64 v[10:11], v[8:9], off
	s_mov_b32 s1, 0
	s_wait_loadcnt 0x0
	v_cvt_i32_f64_e32 v10, v[10:11]
	s_branch .LBB47_1600
.LBB47_1596:
	s_mov_b32 s1, -1
                                        ; implicit-def: $vgpr10
	s_branch .LBB47_1618
.LBB47_1597:
	s_mov_b32 s1, -1
                                        ; implicit-def: $vgpr10
	s_branch .LBB47_1606
.LBB47_1598:
	s_mov_b32 s1, -1
                                        ; implicit-def: $vgpr10
	s_branch .LBB47_1603
.LBB47_1599:
	s_mov_b32 s1, -1
                                        ; implicit-def: $vgpr10
.LBB47_1600:
	s_delay_alu instid0(SALU_CYCLE_1)
	s_and_not1_b32 vcc_lo, exec_lo, s1
	s_cbranch_vccnz .LBB47_1602
; %bb.1601:
	global_load_b32 v7, v[8:9], off
	s_wait_loadcnt 0x0
	s_wait_xcnt 0x1
	v_cvt_i32_f32_e32 v10, v7
.LBB47_1602:
	s_mov_b32 s1, 0
.LBB47_1603:
	s_delay_alu instid0(SALU_CYCLE_1)
	s_and_not1_b32 vcc_lo, exec_lo, s1
	s_cbranch_vccnz .LBB47_1605
; %bb.1604:
	global_load_b32 v7, v[8:9], off
	s_wait_loadcnt 0x0
	v_cvt_f32_f16_e32 v7, v7
	s_wait_xcnt 0x1
	s_delay_alu instid0(VALU_DEP_1)
	v_cvt_i32_f32_e32 v10, v7
.LBB47_1605:
	s_mov_b32 s1, 0
.LBB47_1606:
	s_delay_alu instid0(SALU_CYCLE_1)
	s_and_not1_b32 vcc_lo, exec_lo, s1
	s_cbranch_vccnz .LBB47_1617
; %bb.1607:
	s_cmp_lt_i32 s0, 6
	s_cbranch_scc1 .LBB47_1610
; %bb.1608:
	s_cmp_gt_i32 s0, 6
	s_cbranch_scc0 .LBB47_1611
; %bb.1609:
	s_wait_loadcnt 0x0
	global_load_b64 v[10:11], v[8:9], off
	s_mov_b32 s1, 0
	s_wait_loadcnt 0x0
	v_cvt_i32_f64_e32 v10, v[10:11]
	s_branch .LBB47_1612
.LBB47_1610:
	s_mov_b32 s1, -1
                                        ; implicit-def: $vgpr10
	s_branch .LBB47_1615
.LBB47_1611:
	s_mov_b32 s1, -1
                                        ; implicit-def: $vgpr10
.LBB47_1612:
	s_delay_alu instid0(SALU_CYCLE_1)
	s_and_not1_b32 vcc_lo, exec_lo, s1
	s_cbranch_vccnz .LBB47_1614
; %bb.1613:
	global_load_b32 v7, v[8:9], off
	s_wait_loadcnt 0x0
	s_wait_xcnt 0x1
	v_cvt_i32_f32_e32 v10, v7
.LBB47_1614:
	s_mov_b32 s1, 0
.LBB47_1615:
	s_delay_alu instid0(SALU_CYCLE_1)
	s_and_not1_b32 vcc_lo, exec_lo, s1
	s_cbranch_vccnz .LBB47_1617
; %bb.1616:
	global_load_u16 v7, v[8:9], off
	s_wait_loadcnt 0x0
	v_cvt_f32_f16_e32 v7, v7
	s_wait_xcnt 0x1
	s_delay_alu instid0(VALU_DEP_1)
	v_cvt_i32_f32_e32 v10, v7
.LBB47_1617:
	s_mov_b32 s1, 0
.LBB47_1618:
	s_delay_alu instid0(SALU_CYCLE_1)
	s_and_not1_b32 vcc_lo, exec_lo, s1
	s_cbranch_vccnz .LBB47_1638
; %bb.1619:
	s_cmp_lt_i32 s0, 2
	s_cbranch_scc1 .LBB47_1623
; %bb.1620:
	s_cmp_lt_i32 s0, 3
	s_cbranch_scc1 .LBB47_1624
; %bb.1621:
	s_cmp_gt_i32 s0, 3
	s_cbranch_scc0 .LBB47_1625
; %bb.1622:
	s_wait_loadcnt 0x0
	global_load_b32 v10, v[8:9], off
	s_mov_b32 s1, 0
	s_branch .LBB47_1626
.LBB47_1623:
	s_mov_b32 s1, -1
                                        ; implicit-def: $vgpr10
	s_branch .LBB47_1632
.LBB47_1624:
	s_mov_b32 s1, -1
                                        ; implicit-def: $vgpr10
	s_branch .LBB47_1629
.LBB47_1625:
	s_mov_b32 s1, -1
                                        ; implicit-def: $vgpr10
.LBB47_1626:
	s_delay_alu instid0(SALU_CYCLE_1)
	s_and_not1_b32 vcc_lo, exec_lo, s1
	s_cbranch_vccnz .LBB47_1628
; %bb.1627:
	s_wait_loadcnt 0x0
	global_load_b32 v10, v[8:9], off
.LBB47_1628:
	s_mov_b32 s1, 0
.LBB47_1629:
	s_delay_alu instid0(SALU_CYCLE_1)
	s_and_not1_b32 vcc_lo, exec_lo, s1
	s_cbranch_vccnz .LBB47_1631
; %bb.1630:
	s_wait_loadcnt 0x0
	global_load_i16 v10, v[8:9], off
.LBB47_1631:
	s_mov_b32 s1, 0
.LBB47_1632:
	s_delay_alu instid0(SALU_CYCLE_1)
	s_and_not1_b32 vcc_lo, exec_lo, s1
	s_cbranch_vccnz .LBB47_1638
; %bb.1633:
	s_cmp_gt_i32 s0, 0
	s_mov_b32 s0, 0
	s_cbranch_scc0 .LBB47_1635
; %bb.1634:
	s_wait_loadcnt 0x0
	global_load_i8 v10, v[8:9], off
	s_branch .LBB47_1636
.LBB47_1635:
	s_mov_b32 s0, -1
                                        ; implicit-def: $vgpr10
.LBB47_1636:
	s_delay_alu instid0(SALU_CYCLE_1)
	s_and_not1_b32 vcc_lo, exec_lo, s0
	s_cbranch_vccnz .LBB47_1638
; %bb.1637:
	s_wait_loadcnt 0x0
	global_load_u8 v10, v[8:9], off
.LBB47_1638:
	s_mov_b32 s6, -1
.LBB47_1639:
	s_delay_alu instid0(SALU_CYCLE_1)
	s_and_not1_b32 vcc_lo, exec_lo, s6
	s_cbranch_vccnz .LBB47_2072
; %bb.1640:
	s_load_b96 s[0:2], s[16:17], 0x158
	v_mov_b32_e32 v7, 0
	s_mov_b32 s12, 0
	s_delay_alu instid0(VALU_DEP_1)
	v_add_nc_u64_e32 v[6:7], s[4:5], v[6:7]
	s_wait_loadcnt 0x0
	s_wait_kmcnt 0x0
	v_cmp_ne_u32_e32 vcc_lo, s1, v5
	s_cmp_eq_u32 s0, 0
	s_mov_b32 s0, -1
	s_cselect_b32 s6, -1, 0
	s_and_b32 s2, s2, 0xff
	s_xor_b32 s7, s6, vcc_lo
	s_cmp_lt_i32 s2, 11
	s_cbranch_scc1 .LBB47_1719
; %bb.1641:
	s_and_b32 s10, 0xffff, s2
	s_mov_b32 s13, -1
	s_mov_b32 s11, 0
	s_cmp_gt_i32 s10, 25
	s_mov_b32 s0, 0
	s_cbranch_scc0 .LBB47_1674
; %bb.1642:
	s_cmp_gt_i32 s10, 28
	s_cbranch_scc0 .LBB47_1657
; %bb.1643:
	s_cmp_gt_i32 s10, 43
	s_cbranch_scc0 .LBB47_1653
; %bb.1644:
	s_cmp_gt_i32 s10, 45
	s_cbranch_scc0 .LBB47_1647
; %bb.1645:
	s_mov_b32 s0, -1
	s_mov_b32 s13, 0
	s_cmp_eq_u32 s10, 46
	s_cbranch_scc0 .LBB47_1647
; %bb.1646:
	v_cndmask_b32_e64 v5, 0, 1.0, s7
	s_mov_b32 s0, 0
	s_mov_b32 s12, -1
	s_delay_alu instid0(VALU_DEP_1) | instskip(NEXT) | instid1(VALU_DEP_1)
	v_bfe_u32 v8, v5, 16, 1
	v_add3_u32 v5, v5, v8, 0x7fff
	s_delay_alu instid0(VALU_DEP_1)
	v_lshrrev_b32_e32 v5, 16, v5
	global_store_b32 v[6:7], v5, off
.LBB47_1647:
	s_and_b32 vcc_lo, exec_lo, s13
	s_cbranch_vccz .LBB47_1652
; %bb.1648:
	s_cmp_eq_u32 s10, 44
	s_mov_b32 s0, -1
	s_cbranch_scc0 .LBB47_1652
; %bb.1649:
	v_cndmask_b32_e64 v9, 0, 1.0, s7
	s_mov_b32 s12, exec_lo
	s_wait_xcnt 0x0
	s_delay_alu instid0(VALU_DEP_1) | instskip(NEXT) | instid1(VALU_DEP_1)
	v_dual_mov_b32 v8, 0xff :: v_dual_lshrrev_b32 v5, 23, v9
	v_cmpx_ne_u32_e32 0xff, v5
; %bb.1650:
	v_and_b32_e32 v8, 0x400000, v9
	v_and_or_b32 v9, 0x3fffff, v9, v5
	s_delay_alu instid0(VALU_DEP_2) | instskip(NEXT) | instid1(VALU_DEP_2)
	v_cmp_ne_u32_e32 vcc_lo, 0, v8
	v_cmp_ne_u32_e64 s0, 0, v9
	s_and_b32 s0, vcc_lo, s0
	s_delay_alu instid0(SALU_CYCLE_1) | instskip(NEXT) | instid1(VALU_DEP_1)
	v_cndmask_b32_e64 v8, 0, 1, s0
	v_add_nc_u32_e32 v8, v5, v8
; %bb.1651:
	s_or_b32 exec_lo, exec_lo, s12
	s_mov_b32 s0, 0
	s_mov_b32 s12, -1
	global_store_b8 v[6:7], v8, off
.LBB47_1652:
	s_mov_b32 s13, 0
.LBB47_1653:
	s_delay_alu instid0(SALU_CYCLE_1)
	s_and_b32 vcc_lo, exec_lo, s13
	s_cbranch_vccz .LBB47_1656
; %bb.1654:
	s_cmp_eq_u32 s10, 29
	s_mov_b32 s0, -1
	s_cbranch_scc0 .LBB47_1656
; %bb.1655:
	s_mov_b32 s0, 0
	s_wait_xcnt 0x0
	v_cndmask_b32_e64 v8, 0, 1, s7
	v_mov_b32_e32 v9, s0
	s_mov_b32 s12, -1
	global_store_b64 v[6:7], v[8:9], off
.LBB47_1656:
	s_mov_b32 s13, 0
.LBB47_1657:
	s_delay_alu instid0(SALU_CYCLE_1)
	s_and_b32 vcc_lo, exec_lo, s13
	s_cbranch_vccz .LBB47_1673
; %bb.1658:
	s_cmp_lt_i32 s10, 27
	s_mov_b32 s12, -1
	s_cbranch_scc1 .LBB47_1664
; %bb.1659:
	s_cmp_gt_i32 s10, 27
	s_cbranch_scc0 .LBB47_1661
; %bb.1660:
	s_wait_xcnt 0x0
	v_cndmask_b32_e64 v5, 0, 1, s7
	s_mov_b32 s12, 0
	global_store_b32 v[6:7], v5, off
.LBB47_1661:
	s_and_not1_b32 vcc_lo, exec_lo, s12
	s_cbranch_vccnz .LBB47_1663
; %bb.1662:
	s_wait_xcnt 0x0
	v_cndmask_b32_e64 v5, 0, 1, s7
	global_store_b16 v[6:7], v5, off
.LBB47_1663:
	s_mov_b32 s12, 0
.LBB47_1664:
	s_delay_alu instid0(SALU_CYCLE_1)
	s_and_not1_b32 vcc_lo, exec_lo, s12
	s_cbranch_vccnz .LBB47_1672
; %bb.1665:
	s_wait_xcnt 0x0
	v_cndmask_b32_e64 v8, 0, 1.0, s7
	v_mov_b32_e32 v9, 0x80
	s_mov_b32 s12, exec_lo
	s_delay_alu instid0(VALU_DEP_2)
	v_cmpx_gt_u32_e32 0x43800000, v8
	s_cbranch_execz .LBB47_1671
; %bb.1666:
	s_mov_b32 s13, 0
	s_mov_b32 s14, exec_lo
                                        ; implicit-def: $vgpr5
	v_cmpx_lt_u32_e32 0x3bffffff, v8
	s_xor_b32 s14, exec_lo, s14
	s_cbranch_execz .LBB47_2119
; %bb.1667:
	v_bfe_u32 v5, v8, 20, 1
	s_mov_b32 s13, exec_lo
	s_delay_alu instid0(VALU_DEP_1) | instskip(NEXT) | instid1(VALU_DEP_1)
	v_add3_u32 v5, v8, v5, 0x487ffff
                                        ; implicit-def: $vgpr8
	v_lshrrev_b32_e32 v5, 20, v5
	s_and_not1_saveexec_b32 s14, s14
	s_cbranch_execnz .LBB47_2120
.LBB47_1668:
	s_or_b32 exec_lo, exec_lo, s14
	v_mov_b32_e32 v9, 0
	s_and_saveexec_b32 s14, s13
.LBB47_1669:
	v_mov_b32_e32 v9, v5
.LBB47_1670:
	s_or_b32 exec_lo, exec_lo, s14
.LBB47_1671:
	s_delay_alu instid0(SALU_CYCLE_1)
	s_or_b32 exec_lo, exec_lo, s12
	global_store_b8 v[6:7], v9, off
.LBB47_1672:
	s_mov_b32 s12, -1
.LBB47_1673:
	s_mov_b32 s13, 0
.LBB47_1674:
	s_delay_alu instid0(SALU_CYCLE_1)
	s_and_b32 vcc_lo, exec_lo, s13
	s_cbranch_vccz .LBB47_1714
; %bb.1675:
	s_cmp_gt_i32 s10, 22
	s_mov_b32 s11, -1
	s_cbranch_scc0 .LBB47_1707
; %bb.1676:
	s_cmp_lt_i32 s10, 24
	s_cbranch_scc1 .LBB47_1696
; %bb.1677:
	s_cmp_gt_i32 s10, 24
	s_cbranch_scc0 .LBB47_1685
; %bb.1678:
	s_wait_xcnt 0x0
	v_cndmask_b32_e64 v8, 0, 1.0, s7
	v_mov_b32_e32 v9, 0x80
	s_mov_b32 s11, exec_lo
	s_delay_alu instid0(VALU_DEP_2)
	v_cmpx_gt_u32_e32 0x47800000, v8
	s_cbranch_execz .LBB47_1684
; %bb.1679:
	s_mov_b32 s12, 0
	s_mov_b32 s13, exec_lo
                                        ; implicit-def: $vgpr5
	v_cmpx_lt_u32_e32 0x37ffffff, v8
	s_xor_b32 s13, exec_lo, s13
	s_cbranch_execz .LBB47_2122
; %bb.1680:
	v_bfe_u32 v5, v8, 21, 1
	s_mov_b32 s12, exec_lo
	s_delay_alu instid0(VALU_DEP_1) | instskip(NEXT) | instid1(VALU_DEP_1)
	v_add3_u32 v5, v8, v5, 0x88fffff
                                        ; implicit-def: $vgpr8
	v_lshrrev_b32_e32 v5, 21, v5
	s_and_not1_saveexec_b32 s13, s13
	s_cbranch_execnz .LBB47_2123
.LBB47_1681:
	s_or_b32 exec_lo, exec_lo, s13
	v_mov_b32_e32 v9, 0
	s_and_saveexec_b32 s13, s12
.LBB47_1682:
	v_mov_b32_e32 v9, v5
.LBB47_1683:
	s_or_b32 exec_lo, exec_lo, s13
.LBB47_1684:
	s_delay_alu instid0(SALU_CYCLE_1)
	s_or_b32 exec_lo, exec_lo, s11
	s_mov_b32 s11, 0
	global_store_b8 v[6:7], v9, off
.LBB47_1685:
	s_and_b32 vcc_lo, exec_lo, s11
	s_cbranch_vccz .LBB47_1695
; %bb.1686:
	s_wait_xcnt 0x0
	v_cndmask_b32_e64 v8, 0, 1.0, s7
	s_mov_b32 s11, exec_lo
                                        ; implicit-def: $vgpr5
	s_delay_alu instid0(VALU_DEP_1)
	v_cmpx_gt_u32_e32 0x43f00000, v8
	s_xor_b32 s11, exec_lo, s11
	s_cbranch_execz .LBB47_1692
; %bb.1687:
	s_mov_b32 s12, exec_lo
                                        ; implicit-def: $vgpr5
	v_cmpx_lt_u32_e32 0x3c7fffff, v8
	s_xor_b32 s12, exec_lo, s12
; %bb.1688:
	v_bfe_u32 v5, v8, 20, 1
	s_delay_alu instid0(VALU_DEP_1) | instskip(NEXT) | instid1(VALU_DEP_1)
	v_add3_u32 v5, v8, v5, 0x407ffff
	v_and_b32_e32 v8, 0xff00000, v5
	v_lshrrev_b32_e32 v5, 20, v5
	s_delay_alu instid0(VALU_DEP_2) | instskip(NEXT) | instid1(VALU_DEP_2)
	v_cmp_ne_u32_e32 vcc_lo, 0x7f00000, v8
                                        ; implicit-def: $vgpr8
	v_cndmask_b32_e32 v5, 0x7e, v5, vcc_lo
; %bb.1689:
	s_and_not1_saveexec_b32 s12, s12
; %bb.1690:
	v_add_f32_e32 v5, 0x46800000, v8
; %bb.1691:
	s_or_b32 exec_lo, exec_lo, s12
                                        ; implicit-def: $vgpr8
.LBB47_1692:
	s_and_not1_saveexec_b32 s11, s11
; %bb.1693:
	v_mov_b32_e32 v5, 0x7f
	v_cmp_lt_u32_e32 vcc_lo, 0x7f800000, v8
	s_delay_alu instid0(VALU_DEP_2)
	v_cndmask_b32_e32 v5, 0x7e, v5, vcc_lo
; %bb.1694:
	s_or_b32 exec_lo, exec_lo, s11
	global_store_b8 v[6:7], v5, off
.LBB47_1695:
	s_mov_b32 s11, 0
.LBB47_1696:
	s_delay_alu instid0(SALU_CYCLE_1)
	s_and_not1_b32 vcc_lo, exec_lo, s11
	s_cbranch_vccnz .LBB47_1706
; %bb.1697:
	s_wait_xcnt 0x0
	v_cndmask_b32_e64 v8, 0, 1.0, s7
	s_mov_b32 s11, exec_lo
                                        ; implicit-def: $vgpr5
	s_delay_alu instid0(VALU_DEP_1)
	v_cmpx_gt_u32_e32 0x47800000, v8
	s_xor_b32 s11, exec_lo, s11
	s_cbranch_execz .LBB47_1703
; %bb.1698:
	s_mov_b32 s12, exec_lo
                                        ; implicit-def: $vgpr5
	v_cmpx_lt_u32_e32 0x387fffff, v8
	s_xor_b32 s12, exec_lo, s12
; %bb.1699:
	v_bfe_u32 v5, v8, 21, 1
	s_delay_alu instid0(VALU_DEP_1) | instskip(NEXT) | instid1(VALU_DEP_1)
	v_add3_u32 v5, v8, v5, 0x80fffff
                                        ; implicit-def: $vgpr8
	v_lshrrev_b32_e32 v5, 21, v5
; %bb.1700:
	s_and_not1_saveexec_b32 s12, s12
; %bb.1701:
	v_add_f32_e32 v5, 0x43000000, v8
; %bb.1702:
	s_or_b32 exec_lo, exec_lo, s12
                                        ; implicit-def: $vgpr8
.LBB47_1703:
	s_and_not1_saveexec_b32 s11, s11
; %bb.1704:
	v_mov_b32_e32 v5, 0x7f
	v_cmp_lt_u32_e32 vcc_lo, 0x7f800000, v8
	s_delay_alu instid0(VALU_DEP_2)
	v_cndmask_b32_e32 v5, 0x7c, v5, vcc_lo
; %bb.1705:
	s_or_b32 exec_lo, exec_lo, s11
	global_store_b8 v[6:7], v5, off
.LBB47_1706:
	s_mov_b32 s11, 0
	s_mov_b32 s12, -1
.LBB47_1707:
	s_and_not1_b32 vcc_lo, exec_lo, s11
	s_mov_b32 s11, 0
	s_cbranch_vccnz .LBB47_1714
; %bb.1708:
	s_cmp_gt_i32 s10, 14
	s_mov_b32 s11, -1
	s_cbranch_scc0 .LBB47_1712
; %bb.1709:
	s_cmp_eq_u32 s10, 15
	s_mov_b32 s0, -1
	s_cbranch_scc0 .LBB47_1711
; %bb.1710:
	s_wait_xcnt 0x0
	v_cndmask_b32_e64 v5, 0, 1.0, s7
	s_mov_b32 s0, 0
	s_mov_b32 s12, -1
	s_delay_alu instid0(VALU_DEP_1) | instskip(NEXT) | instid1(VALU_DEP_1)
	v_bfe_u32 v8, v5, 16, 1
	v_add3_u32 v5, v5, v8, 0x7fff
	global_store_d16_hi_b16 v[6:7], v5, off
.LBB47_1711:
	s_mov_b32 s11, 0
.LBB47_1712:
	s_delay_alu instid0(SALU_CYCLE_1)
	s_and_b32 vcc_lo, exec_lo, s11
	s_mov_b32 s11, 0
	s_cbranch_vccz .LBB47_1714
; %bb.1713:
	s_cmp_lg_u32 s10, 11
	s_mov_b32 s11, -1
	s_cselect_b32 s0, -1, 0
.LBB47_1714:
	s_delay_alu instid0(SALU_CYCLE_1)
	s_and_b32 vcc_lo, exec_lo, s0
	s_cbranch_vccnz .LBB47_2121
; %bb.1715:
	s_and_not1_b32 vcc_lo, exec_lo, s11
	s_cbranch_vccnz .LBB47_1717
.LBB47_1716:
	s_wait_xcnt 0x0
	v_cndmask_b32_e64 v5, 0, 1, s7
	s_mov_b32 s12, -1
	global_store_b8 v[6:7], v5, off
.LBB47_1717:
.LBB47_1718:
	s_and_not1_b32 vcc_lo, exec_lo, s12
	s_cbranch_vccnz .LBB47_2072
	s_branch .LBB47_1758
.LBB47_1719:
	s_and_b32 vcc_lo, exec_lo, s0
	s_cbranch_vccz .LBB47_1718
; %bb.1720:
	s_and_b32 s0, 0xffff, s2
	s_mov_b32 s10, -1
	s_cmp_lt_i32 s0, 5
	s_cbranch_scc1 .LBB47_1741
; %bb.1721:
	s_cmp_lt_i32 s0, 8
	s_cbranch_scc1 .LBB47_1731
; %bb.1722:
	;; [unrolled: 3-line block ×3, first 2 shown]
	s_cmp_gt_i32 s0, 9
	s_cbranch_scc0 .LBB47_1725
; %bb.1724:
	s_wait_xcnt 0x0
	v_cndmask_b32_e64 v5, 0, 1, s7
	v_mov_b32_e32 v14, 0
	s_mov_b32 s10, 0
	s_delay_alu instid0(VALU_DEP_2) | instskip(NEXT) | instid1(VALU_DEP_2)
	v_cvt_f64_u32_e32 v[12:13], v5
	v_mov_b32_e32 v15, v14
	global_store_b128 v[6:7], v[12:15], off
.LBB47_1725:
	s_and_not1_b32 vcc_lo, exec_lo, s10
	s_cbranch_vccnz .LBB47_1727
; %bb.1726:
	s_wait_xcnt 0x0
	v_cndmask_b32_e64 v8, 0, 1.0, s7
	v_mov_b32_e32 v9, 0
	global_store_b64 v[6:7], v[8:9], off
.LBB47_1727:
	s_mov_b32 s10, 0
.LBB47_1728:
	s_delay_alu instid0(SALU_CYCLE_1)
	s_and_not1_b32 vcc_lo, exec_lo, s10
	s_cbranch_vccnz .LBB47_1730
; %bb.1729:
	s_wait_xcnt 0x0
	v_cndmask_b32_e64 v5, 0, 1.0, s7
	s_delay_alu instid0(VALU_DEP_1) | instskip(NEXT) | instid1(VALU_DEP_1)
	v_cvt_f16_f32_e32 v5, v5
	v_and_b32_e32 v5, 0xffff, v5
	global_store_b32 v[6:7], v5, off
.LBB47_1730:
	s_mov_b32 s10, 0
.LBB47_1731:
	s_delay_alu instid0(SALU_CYCLE_1)
	s_and_not1_b32 vcc_lo, exec_lo, s10
	s_cbranch_vccnz .LBB47_1740
; %bb.1732:
	s_cmp_lt_i32 s0, 6
	s_mov_b32 s10, -1
	s_cbranch_scc1 .LBB47_1738
; %bb.1733:
	s_cmp_gt_i32 s0, 6
	s_cbranch_scc0 .LBB47_1735
; %bb.1734:
	s_wait_xcnt 0x0
	v_cndmask_b32_e64 v5, 0, 1, s7
	s_mov_b32 s10, 0
	s_delay_alu instid0(VALU_DEP_1)
	v_cvt_f64_u32_e32 v[8:9], v5
	global_store_b64 v[6:7], v[8:9], off
.LBB47_1735:
	s_and_not1_b32 vcc_lo, exec_lo, s10
	s_cbranch_vccnz .LBB47_1737
; %bb.1736:
	s_wait_xcnt 0x0
	v_cndmask_b32_e64 v5, 0, 1.0, s7
	global_store_b32 v[6:7], v5, off
.LBB47_1737:
	s_mov_b32 s10, 0
.LBB47_1738:
	s_delay_alu instid0(SALU_CYCLE_1)
	s_and_not1_b32 vcc_lo, exec_lo, s10
	s_cbranch_vccnz .LBB47_1740
; %bb.1739:
	s_wait_xcnt 0x0
	v_cndmask_b32_e64 v5, 0, 1.0, s7
	s_delay_alu instid0(VALU_DEP_1)
	v_cvt_f16_f32_e32 v5, v5
	global_store_b16 v[6:7], v5, off
.LBB47_1740:
	s_mov_b32 s10, 0
.LBB47_1741:
	s_delay_alu instid0(SALU_CYCLE_1)
	s_and_not1_b32 vcc_lo, exec_lo, s10
	s_cbranch_vccnz .LBB47_1757
; %bb.1742:
	s_cmp_lt_i32 s0, 2
	s_mov_b32 s10, -1
	s_cbranch_scc1 .LBB47_1752
; %bb.1743:
	s_cmp_lt_i32 s0, 3
	s_cbranch_scc1 .LBB47_1749
; %bb.1744:
	s_cmp_gt_i32 s0, 3
	s_cbranch_scc0 .LBB47_1746
; %bb.1745:
	s_mov_b32 s10, 0
	s_wait_xcnt 0x0
	v_cndmask_b32_e64 v8, 0, 1, s7
	v_mov_b32_e32 v9, s10
	global_store_b64 v[6:7], v[8:9], off
.LBB47_1746:
	s_and_not1_b32 vcc_lo, exec_lo, s10
	s_cbranch_vccnz .LBB47_1748
; %bb.1747:
	s_wait_xcnt 0x0
	v_cndmask_b32_e64 v5, 0, 1, s7
	global_store_b32 v[6:7], v5, off
.LBB47_1748:
	s_mov_b32 s10, 0
.LBB47_1749:
	s_delay_alu instid0(SALU_CYCLE_1)
	s_and_not1_b32 vcc_lo, exec_lo, s10
	s_cbranch_vccnz .LBB47_1751
; %bb.1750:
	s_wait_xcnt 0x0
	v_cndmask_b32_e64 v5, 0, 1, s7
	global_store_b16 v[6:7], v5, off
.LBB47_1751:
	s_mov_b32 s10, 0
.LBB47_1752:
	s_delay_alu instid0(SALU_CYCLE_1)
	s_and_not1_b32 vcc_lo, exec_lo, s10
	s_cbranch_vccnz .LBB47_1757
; %bb.1753:
	s_wait_xcnt 0x0
	v_cndmask_b32_e64 v5, 0, 1, s7
	s_cmp_gt_i32 s0, 0
	s_mov_b32 s0, -1
	s_cbranch_scc0 .LBB47_1755
; %bb.1754:
	s_mov_b32 s0, 0
	global_store_b8 v[6:7], v5, off
.LBB47_1755:
	s_and_not1_b32 vcc_lo, exec_lo, s0
	s_cbranch_vccnz .LBB47_1757
; %bb.1756:
	global_store_b8 v[6:7], v5, off
.LBB47_1757:
.LBB47_1758:
	s_wait_xcnt 0x0
	v_mov_b32_e32 v5, 0
	v_cmp_ne_u32_e32 vcc_lo, s1, v3
	s_and_b32 s7, 0xffff, s2
	s_delay_alu instid0(VALU_DEP_2)
	v_add_nc_u64_e32 v[4:5], s[4:5], v[4:5]
	s_xor_b32 s10, s6, vcc_lo
	s_cmp_lt_i32 s7, 11
	s_cbranch_scc1 .LBB47_1836
; %bb.1759:
	s_mov_b32 s13, -1
	s_mov_b32 s11, 0
	s_cmp_gt_i32 s7, 25
	s_mov_b32 s12, 0
	s_mov_b32 s0, 0
	s_cbranch_scc0 .LBB47_1792
; %bb.1760:
	s_cmp_gt_i32 s7, 28
	s_cbranch_scc0 .LBB47_1775
; %bb.1761:
	s_cmp_gt_i32 s7, 43
	;; [unrolled: 3-line block ×3, first 2 shown]
	s_cbranch_scc0 .LBB47_1765
; %bb.1763:
	s_mov_b32 s0, -1
	s_mov_b32 s13, 0
	s_cmp_eq_u32 s7, 46
	s_cbranch_scc0 .LBB47_1765
; %bb.1764:
	v_cndmask_b32_e64 v3, 0, 1.0, s10
	s_mov_b32 s0, 0
	s_mov_b32 s12, -1
	s_delay_alu instid0(VALU_DEP_1) | instskip(NEXT) | instid1(VALU_DEP_1)
	v_bfe_u32 v6, v3, 16, 1
	v_add3_u32 v3, v3, v6, 0x7fff
	s_delay_alu instid0(VALU_DEP_1)
	v_lshrrev_b32_e32 v3, 16, v3
	global_store_b32 v[4:5], v3, off
.LBB47_1765:
	s_and_b32 vcc_lo, exec_lo, s13
	s_cbranch_vccz .LBB47_1770
; %bb.1766:
	s_cmp_eq_u32 s7, 44
	s_mov_b32 s0, -1
	s_cbranch_scc0 .LBB47_1770
; %bb.1767:
	v_cndmask_b32_e64 v7, 0, 1.0, s10
	s_mov_b32 s12, exec_lo
	s_wait_xcnt 0x0
	s_delay_alu instid0(VALU_DEP_1) | instskip(NEXT) | instid1(VALU_DEP_1)
	v_dual_mov_b32 v6, 0xff :: v_dual_lshrrev_b32 v3, 23, v7
	v_cmpx_ne_u32_e32 0xff, v3
; %bb.1768:
	v_and_b32_e32 v6, 0x400000, v7
	v_and_or_b32 v7, 0x3fffff, v7, v3
	s_delay_alu instid0(VALU_DEP_2) | instskip(NEXT) | instid1(VALU_DEP_2)
	v_cmp_ne_u32_e32 vcc_lo, 0, v6
	v_cmp_ne_u32_e64 s0, 0, v7
	s_and_b32 s0, vcc_lo, s0
	s_delay_alu instid0(SALU_CYCLE_1) | instskip(NEXT) | instid1(VALU_DEP_1)
	v_cndmask_b32_e64 v6, 0, 1, s0
	v_add_nc_u32_e32 v6, v3, v6
; %bb.1769:
	s_or_b32 exec_lo, exec_lo, s12
	s_mov_b32 s0, 0
	s_mov_b32 s12, -1
	global_store_b8 v[4:5], v6, off
.LBB47_1770:
	s_mov_b32 s13, 0
.LBB47_1771:
	s_delay_alu instid0(SALU_CYCLE_1)
	s_and_b32 vcc_lo, exec_lo, s13
	s_cbranch_vccz .LBB47_1774
; %bb.1772:
	s_cmp_eq_u32 s7, 29
	s_mov_b32 s0, -1
	s_cbranch_scc0 .LBB47_1774
; %bb.1773:
	s_mov_b32 s0, 0
	s_wait_xcnt 0x0
	v_cndmask_b32_e64 v6, 0, 1, s10
	v_mov_b32_e32 v7, s0
	s_mov_b32 s12, -1
	global_store_b64 v[4:5], v[6:7], off
.LBB47_1774:
	s_mov_b32 s13, 0
.LBB47_1775:
	s_delay_alu instid0(SALU_CYCLE_1)
	s_and_b32 vcc_lo, exec_lo, s13
	s_cbranch_vccz .LBB47_1791
; %bb.1776:
	s_cmp_lt_i32 s7, 27
	s_mov_b32 s12, -1
	s_cbranch_scc1 .LBB47_1782
; %bb.1777:
	s_cmp_gt_i32 s7, 27
	s_cbranch_scc0 .LBB47_1779
; %bb.1778:
	s_wait_xcnt 0x0
	v_cndmask_b32_e64 v3, 0, 1, s10
	s_mov_b32 s12, 0
	global_store_b32 v[4:5], v3, off
.LBB47_1779:
	s_and_not1_b32 vcc_lo, exec_lo, s12
	s_cbranch_vccnz .LBB47_1781
; %bb.1780:
	s_wait_xcnt 0x0
	v_cndmask_b32_e64 v3, 0, 1, s10
	global_store_b16 v[4:5], v3, off
.LBB47_1781:
	s_mov_b32 s12, 0
.LBB47_1782:
	s_delay_alu instid0(SALU_CYCLE_1)
	s_and_not1_b32 vcc_lo, exec_lo, s12
	s_cbranch_vccnz .LBB47_1790
; %bb.1783:
	s_wait_xcnt 0x0
	v_cndmask_b32_e64 v6, 0, 1.0, s10
	v_mov_b32_e32 v7, 0x80
	s_mov_b32 s12, exec_lo
	s_delay_alu instid0(VALU_DEP_2)
	v_cmpx_gt_u32_e32 0x43800000, v6
	s_cbranch_execz .LBB47_1789
; %bb.1784:
	s_mov_b32 s13, 0
	s_mov_b32 s14, exec_lo
                                        ; implicit-def: $vgpr3
	v_cmpx_lt_u32_e32 0x3bffffff, v6
	s_xor_b32 s14, exec_lo, s14
	s_cbranch_execz .LBB47_2124
; %bb.1785:
	v_bfe_u32 v3, v6, 20, 1
	s_mov_b32 s13, exec_lo
	s_delay_alu instid0(VALU_DEP_1) | instskip(NEXT) | instid1(VALU_DEP_1)
	v_add3_u32 v3, v6, v3, 0x487ffff
                                        ; implicit-def: $vgpr6
	v_lshrrev_b32_e32 v3, 20, v3
	s_and_not1_saveexec_b32 s14, s14
	s_cbranch_execnz .LBB47_2125
.LBB47_1786:
	s_or_b32 exec_lo, exec_lo, s14
	v_mov_b32_e32 v7, 0
	s_and_saveexec_b32 s14, s13
.LBB47_1787:
	v_mov_b32_e32 v7, v3
.LBB47_1788:
	s_or_b32 exec_lo, exec_lo, s14
.LBB47_1789:
	s_delay_alu instid0(SALU_CYCLE_1)
	s_or_b32 exec_lo, exec_lo, s12
	global_store_b8 v[4:5], v7, off
.LBB47_1790:
	s_mov_b32 s12, -1
.LBB47_1791:
	s_mov_b32 s13, 0
.LBB47_1792:
	s_delay_alu instid0(SALU_CYCLE_1)
	s_and_b32 vcc_lo, exec_lo, s13
	s_cbranch_vccz .LBB47_1832
; %bb.1793:
	s_cmp_gt_i32 s7, 22
	s_mov_b32 s11, -1
	s_cbranch_scc0 .LBB47_1825
; %bb.1794:
	s_cmp_lt_i32 s7, 24
	s_cbranch_scc1 .LBB47_1814
; %bb.1795:
	s_cmp_gt_i32 s7, 24
	s_cbranch_scc0 .LBB47_1803
; %bb.1796:
	s_wait_xcnt 0x0
	v_cndmask_b32_e64 v6, 0, 1.0, s10
	v_mov_b32_e32 v7, 0x80
	s_mov_b32 s11, exec_lo
	s_delay_alu instid0(VALU_DEP_2)
	v_cmpx_gt_u32_e32 0x47800000, v6
	s_cbranch_execz .LBB47_1802
; %bb.1797:
	s_mov_b32 s12, 0
	s_mov_b32 s13, exec_lo
                                        ; implicit-def: $vgpr3
	v_cmpx_lt_u32_e32 0x37ffffff, v6
	s_xor_b32 s13, exec_lo, s13
	s_cbranch_execz .LBB47_2127
; %bb.1798:
	v_bfe_u32 v3, v6, 21, 1
	s_mov_b32 s12, exec_lo
	s_delay_alu instid0(VALU_DEP_1) | instskip(NEXT) | instid1(VALU_DEP_1)
	v_add3_u32 v3, v6, v3, 0x88fffff
                                        ; implicit-def: $vgpr6
	v_lshrrev_b32_e32 v3, 21, v3
	s_and_not1_saveexec_b32 s13, s13
	s_cbranch_execnz .LBB47_2128
.LBB47_1799:
	s_or_b32 exec_lo, exec_lo, s13
	v_mov_b32_e32 v7, 0
	s_and_saveexec_b32 s13, s12
.LBB47_1800:
	v_mov_b32_e32 v7, v3
.LBB47_1801:
	s_or_b32 exec_lo, exec_lo, s13
.LBB47_1802:
	s_delay_alu instid0(SALU_CYCLE_1)
	s_or_b32 exec_lo, exec_lo, s11
	s_mov_b32 s11, 0
	global_store_b8 v[4:5], v7, off
.LBB47_1803:
	s_and_b32 vcc_lo, exec_lo, s11
	s_cbranch_vccz .LBB47_1813
; %bb.1804:
	s_wait_xcnt 0x0
	v_cndmask_b32_e64 v6, 0, 1.0, s10
	s_mov_b32 s11, exec_lo
                                        ; implicit-def: $vgpr3
	s_delay_alu instid0(VALU_DEP_1)
	v_cmpx_gt_u32_e32 0x43f00000, v6
	s_xor_b32 s11, exec_lo, s11
	s_cbranch_execz .LBB47_1810
; %bb.1805:
	s_mov_b32 s12, exec_lo
                                        ; implicit-def: $vgpr3
	v_cmpx_lt_u32_e32 0x3c7fffff, v6
	s_xor_b32 s12, exec_lo, s12
; %bb.1806:
	v_bfe_u32 v3, v6, 20, 1
	s_delay_alu instid0(VALU_DEP_1) | instskip(NEXT) | instid1(VALU_DEP_1)
	v_add3_u32 v3, v6, v3, 0x407ffff
	v_and_b32_e32 v6, 0xff00000, v3
	v_lshrrev_b32_e32 v3, 20, v3
	s_delay_alu instid0(VALU_DEP_2) | instskip(NEXT) | instid1(VALU_DEP_2)
	v_cmp_ne_u32_e32 vcc_lo, 0x7f00000, v6
                                        ; implicit-def: $vgpr6
	v_cndmask_b32_e32 v3, 0x7e, v3, vcc_lo
; %bb.1807:
	s_and_not1_saveexec_b32 s12, s12
; %bb.1808:
	v_add_f32_e32 v3, 0x46800000, v6
; %bb.1809:
	s_or_b32 exec_lo, exec_lo, s12
                                        ; implicit-def: $vgpr6
.LBB47_1810:
	s_and_not1_saveexec_b32 s11, s11
; %bb.1811:
	v_mov_b32_e32 v3, 0x7f
	v_cmp_lt_u32_e32 vcc_lo, 0x7f800000, v6
	s_delay_alu instid0(VALU_DEP_2)
	v_cndmask_b32_e32 v3, 0x7e, v3, vcc_lo
; %bb.1812:
	s_or_b32 exec_lo, exec_lo, s11
	global_store_b8 v[4:5], v3, off
.LBB47_1813:
	s_mov_b32 s11, 0
.LBB47_1814:
	s_delay_alu instid0(SALU_CYCLE_1)
	s_and_not1_b32 vcc_lo, exec_lo, s11
	s_cbranch_vccnz .LBB47_1824
; %bb.1815:
	s_wait_xcnt 0x0
	v_cndmask_b32_e64 v6, 0, 1.0, s10
	s_mov_b32 s11, exec_lo
                                        ; implicit-def: $vgpr3
	s_delay_alu instid0(VALU_DEP_1)
	v_cmpx_gt_u32_e32 0x47800000, v6
	s_xor_b32 s11, exec_lo, s11
	s_cbranch_execz .LBB47_1821
; %bb.1816:
	s_mov_b32 s12, exec_lo
                                        ; implicit-def: $vgpr3
	v_cmpx_lt_u32_e32 0x387fffff, v6
	s_xor_b32 s12, exec_lo, s12
; %bb.1817:
	v_bfe_u32 v3, v6, 21, 1
	s_delay_alu instid0(VALU_DEP_1) | instskip(NEXT) | instid1(VALU_DEP_1)
	v_add3_u32 v3, v6, v3, 0x80fffff
                                        ; implicit-def: $vgpr6
	v_lshrrev_b32_e32 v3, 21, v3
; %bb.1818:
	s_and_not1_saveexec_b32 s12, s12
; %bb.1819:
	v_add_f32_e32 v3, 0x43000000, v6
; %bb.1820:
	s_or_b32 exec_lo, exec_lo, s12
                                        ; implicit-def: $vgpr6
.LBB47_1821:
	s_and_not1_saveexec_b32 s11, s11
; %bb.1822:
	v_mov_b32_e32 v3, 0x7f
	v_cmp_lt_u32_e32 vcc_lo, 0x7f800000, v6
	s_delay_alu instid0(VALU_DEP_2)
	v_cndmask_b32_e32 v3, 0x7c, v3, vcc_lo
; %bb.1823:
	s_or_b32 exec_lo, exec_lo, s11
	global_store_b8 v[4:5], v3, off
.LBB47_1824:
	s_mov_b32 s11, 0
	s_mov_b32 s12, -1
.LBB47_1825:
	s_and_not1_b32 vcc_lo, exec_lo, s11
	s_mov_b32 s11, 0
	s_cbranch_vccnz .LBB47_1832
; %bb.1826:
	s_cmp_gt_i32 s7, 14
	s_mov_b32 s11, -1
	s_cbranch_scc0 .LBB47_1830
; %bb.1827:
	s_cmp_eq_u32 s7, 15
	s_mov_b32 s0, -1
	s_cbranch_scc0 .LBB47_1829
; %bb.1828:
	s_wait_xcnt 0x0
	v_cndmask_b32_e64 v3, 0, 1.0, s10
	s_mov_b32 s0, 0
	s_mov_b32 s12, -1
	s_delay_alu instid0(VALU_DEP_1) | instskip(NEXT) | instid1(VALU_DEP_1)
	v_bfe_u32 v6, v3, 16, 1
	v_add3_u32 v3, v3, v6, 0x7fff
	global_store_d16_hi_b16 v[4:5], v3, off
.LBB47_1829:
	s_mov_b32 s11, 0
.LBB47_1830:
	s_delay_alu instid0(SALU_CYCLE_1)
	s_and_b32 vcc_lo, exec_lo, s11
	s_mov_b32 s11, 0
	s_cbranch_vccz .LBB47_1832
; %bb.1831:
	s_cmp_lg_u32 s7, 11
	s_mov_b32 s11, -1
	s_cselect_b32 s0, -1, 0
.LBB47_1832:
	s_delay_alu instid0(SALU_CYCLE_1)
	s_and_b32 vcc_lo, exec_lo, s0
	s_cbranch_vccnz .LBB47_2126
; %bb.1833:
	s_and_not1_b32 vcc_lo, exec_lo, s11
	s_cbranch_vccnz .LBB47_1835
.LBB47_1834:
	s_wait_xcnt 0x0
	v_cndmask_b32_e64 v3, 0, 1, s10
	s_mov_b32 s12, -1
	global_store_b8 v[4:5], v3, off
.LBB47_1835:
	s_mov_b32 s0, 0
	s_branch .LBB47_1837
.LBB47_1836:
	s_mov_b32 s0, -1
	s_mov_b32 s12, 0
.LBB47_1837:
	s_and_b32 vcc_lo, exec_lo, s0
	s_cbranch_vccz .LBB47_1876
; %bb.1838:
	s_cmp_lt_i32 s7, 5
	s_mov_b32 s0, -1
	s_cbranch_scc1 .LBB47_1859
; %bb.1839:
	s_cmp_lt_i32 s7, 8
	s_cbranch_scc1 .LBB47_1849
; %bb.1840:
	s_cmp_lt_i32 s7, 9
	s_cbranch_scc1 .LBB47_1846
; %bb.1841:
	s_cmp_gt_i32 s7, 9
	s_cbranch_scc0 .LBB47_1843
; %bb.1842:
	s_wait_xcnt 0x0
	v_cndmask_b32_e64 v3, 0, 1, s10
	v_mov_b32_e32 v8, 0
	s_mov_b32 s0, 0
	s_delay_alu instid0(VALU_DEP_2) | instskip(NEXT) | instid1(VALU_DEP_2)
	v_cvt_f64_u32_e32 v[6:7], v3
	v_mov_b32_e32 v9, v8
	global_store_b128 v[4:5], v[6:9], off
.LBB47_1843:
	s_and_not1_b32 vcc_lo, exec_lo, s0
	s_cbranch_vccnz .LBB47_1845
; %bb.1844:
	s_wait_xcnt 0x0
	v_cndmask_b32_e64 v6, 0, 1.0, s10
	v_mov_b32_e32 v7, 0
	global_store_b64 v[4:5], v[6:7], off
.LBB47_1845:
	s_mov_b32 s0, 0
.LBB47_1846:
	s_delay_alu instid0(SALU_CYCLE_1)
	s_and_not1_b32 vcc_lo, exec_lo, s0
	s_cbranch_vccnz .LBB47_1848
; %bb.1847:
	s_wait_xcnt 0x0
	v_cndmask_b32_e64 v3, 0, 1.0, s10
	s_delay_alu instid0(VALU_DEP_1) | instskip(NEXT) | instid1(VALU_DEP_1)
	v_cvt_f16_f32_e32 v3, v3
	v_and_b32_e32 v3, 0xffff, v3
	global_store_b32 v[4:5], v3, off
.LBB47_1848:
	s_mov_b32 s0, 0
.LBB47_1849:
	s_delay_alu instid0(SALU_CYCLE_1)
	s_and_not1_b32 vcc_lo, exec_lo, s0
	s_cbranch_vccnz .LBB47_1858
; %bb.1850:
	s_cmp_lt_i32 s7, 6
	s_mov_b32 s0, -1
	s_cbranch_scc1 .LBB47_1856
; %bb.1851:
	s_cmp_gt_i32 s7, 6
	s_cbranch_scc0 .LBB47_1853
; %bb.1852:
	s_wait_xcnt 0x0
	v_cndmask_b32_e64 v3, 0, 1, s10
	s_mov_b32 s0, 0
	s_delay_alu instid0(VALU_DEP_1)
	v_cvt_f64_u32_e32 v[6:7], v3
	global_store_b64 v[4:5], v[6:7], off
.LBB47_1853:
	s_and_not1_b32 vcc_lo, exec_lo, s0
	s_cbranch_vccnz .LBB47_1855
; %bb.1854:
	s_wait_xcnt 0x0
	v_cndmask_b32_e64 v3, 0, 1.0, s10
	global_store_b32 v[4:5], v3, off
.LBB47_1855:
	s_mov_b32 s0, 0
.LBB47_1856:
	s_delay_alu instid0(SALU_CYCLE_1)
	s_and_not1_b32 vcc_lo, exec_lo, s0
	s_cbranch_vccnz .LBB47_1858
; %bb.1857:
	s_wait_xcnt 0x0
	v_cndmask_b32_e64 v3, 0, 1.0, s10
	s_delay_alu instid0(VALU_DEP_1)
	v_cvt_f16_f32_e32 v3, v3
	global_store_b16 v[4:5], v3, off
.LBB47_1858:
	s_mov_b32 s0, 0
.LBB47_1859:
	s_delay_alu instid0(SALU_CYCLE_1)
	s_and_not1_b32 vcc_lo, exec_lo, s0
	s_cbranch_vccnz .LBB47_1875
; %bb.1860:
	s_cmp_lt_i32 s7, 2
	s_mov_b32 s0, -1
	s_cbranch_scc1 .LBB47_1870
; %bb.1861:
	s_cmp_lt_i32 s7, 3
	s_cbranch_scc1 .LBB47_1867
; %bb.1862:
	s_cmp_gt_i32 s7, 3
	s_cbranch_scc0 .LBB47_1864
; %bb.1863:
	s_mov_b32 s0, 0
	s_wait_xcnt 0x0
	v_cndmask_b32_e64 v6, 0, 1, s10
	v_mov_b32_e32 v7, s0
	global_store_b64 v[4:5], v[6:7], off
.LBB47_1864:
	s_and_not1_b32 vcc_lo, exec_lo, s0
	s_cbranch_vccnz .LBB47_1866
; %bb.1865:
	s_wait_xcnt 0x0
	v_cndmask_b32_e64 v3, 0, 1, s10
	global_store_b32 v[4:5], v3, off
.LBB47_1866:
	s_mov_b32 s0, 0
.LBB47_1867:
	s_delay_alu instid0(SALU_CYCLE_1)
	s_and_not1_b32 vcc_lo, exec_lo, s0
	s_cbranch_vccnz .LBB47_1869
; %bb.1868:
	s_wait_xcnt 0x0
	v_cndmask_b32_e64 v3, 0, 1, s10
	global_store_b16 v[4:5], v3, off
.LBB47_1869:
	s_mov_b32 s0, 0
.LBB47_1870:
	s_delay_alu instid0(SALU_CYCLE_1)
	s_and_not1_b32 vcc_lo, exec_lo, s0
	s_cbranch_vccnz .LBB47_1875
; %bb.1871:
	s_wait_xcnt 0x0
	v_cndmask_b32_e64 v3, 0, 1, s10
	s_cmp_gt_i32 s7, 0
	s_mov_b32 s0, -1
	s_cbranch_scc0 .LBB47_1873
; %bb.1872:
	s_mov_b32 s0, 0
	global_store_b8 v[4:5], v3, off
.LBB47_1873:
	s_and_not1_b32 vcc_lo, exec_lo, s0
	s_cbranch_vccnz .LBB47_1875
; %bb.1874:
	global_store_b8 v[4:5], v3, off
.LBB47_1875:
	s_mov_b32 s12, -1
.LBB47_1876:
	s_delay_alu instid0(SALU_CYCLE_1)
	s_and_not1_b32 vcc_lo, exec_lo, s12
	s_cbranch_vccnz .LBB47_2072
; %bb.1877:
	s_wait_xcnt 0x0
	v_mov_b32_e32 v3, 0
	v_cmp_ne_u32_e32 vcc_lo, s1, v1
	s_delay_alu instid0(VALU_DEP_2)
	v_add_nc_u64_e32 v[2:3], s[4:5], v[2:3]
	s_xor_b32 s10, s6, vcc_lo
	s_cmp_lt_i32 s7, 11
	s_cbranch_scc1 .LBB47_1955
; %bb.1878:
	s_mov_b32 s13, -1
	s_mov_b32 s11, 0
	s_cmp_gt_i32 s7, 25
	s_mov_b32 s12, 0
	s_mov_b32 s0, 0
	s_cbranch_scc0 .LBB47_1911
; %bb.1879:
	s_cmp_gt_i32 s7, 28
	s_cbranch_scc0 .LBB47_1894
; %bb.1880:
	s_cmp_gt_i32 s7, 43
	;; [unrolled: 3-line block ×3, first 2 shown]
	s_cbranch_scc0 .LBB47_1884
; %bb.1882:
	s_mov_b32 s0, -1
	s_mov_b32 s13, 0
	s_cmp_eq_u32 s7, 46
	s_cbranch_scc0 .LBB47_1884
; %bb.1883:
	v_cndmask_b32_e64 v1, 0, 1.0, s10
	s_mov_b32 s0, 0
	s_mov_b32 s12, -1
	s_delay_alu instid0(VALU_DEP_1) | instskip(NEXT) | instid1(VALU_DEP_1)
	v_bfe_u32 v4, v1, 16, 1
	v_add3_u32 v1, v1, v4, 0x7fff
	s_delay_alu instid0(VALU_DEP_1)
	v_lshrrev_b32_e32 v1, 16, v1
	global_store_b32 v[2:3], v1, off
.LBB47_1884:
	s_and_b32 vcc_lo, exec_lo, s13
	s_cbranch_vccz .LBB47_1889
; %bb.1885:
	s_cmp_eq_u32 s7, 44
	s_mov_b32 s0, -1
	s_cbranch_scc0 .LBB47_1889
; %bb.1886:
	v_cndmask_b32_e64 v5, 0, 1.0, s10
	s_mov_b32 s12, exec_lo
	s_wait_xcnt 0x0
	s_delay_alu instid0(VALU_DEP_1) | instskip(NEXT) | instid1(VALU_DEP_1)
	v_dual_mov_b32 v4, 0xff :: v_dual_lshrrev_b32 v1, 23, v5
	v_cmpx_ne_u32_e32 0xff, v1
; %bb.1887:
	v_and_b32_e32 v4, 0x400000, v5
	v_and_or_b32 v5, 0x3fffff, v5, v1
	s_delay_alu instid0(VALU_DEP_2) | instskip(NEXT) | instid1(VALU_DEP_2)
	v_cmp_ne_u32_e32 vcc_lo, 0, v4
	v_cmp_ne_u32_e64 s0, 0, v5
	s_and_b32 s0, vcc_lo, s0
	s_delay_alu instid0(SALU_CYCLE_1) | instskip(NEXT) | instid1(VALU_DEP_1)
	v_cndmask_b32_e64 v4, 0, 1, s0
	v_add_nc_u32_e32 v4, v1, v4
; %bb.1888:
	s_or_b32 exec_lo, exec_lo, s12
	s_mov_b32 s0, 0
	s_mov_b32 s12, -1
	global_store_b8 v[2:3], v4, off
.LBB47_1889:
	s_mov_b32 s13, 0
.LBB47_1890:
	s_delay_alu instid0(SALU_CYCLE_1)
	s_and_b32 vcc_lo, exec_lo, s13
	s_cbranch_vccz .LBB47_1893
; %bb.1891:
	s_cmp_eq_u32 s7, 29
	s_mov_b32 s0, -1
	s_cbranch_scc0 .LBB47_1893
; %bb.1892:
	s_mov_b32 s0, 0
	s_wait_xcnt 0x0
	v_cndmask_b32_e64 v4, 0, 1, s10
	v_mov_b32_e32 v5, s0
	s_mov_b32 s12, -1
	global_store_b64 v[2:3], v[4:5], off
.LBB47_1893:
	s_mov_b32 s13, 0
.LBB47_1894:
	s_delay_alu instid0(SALU_CYCLE_1)
	s_and_b32 vcc_lo, exec_lo, s13
	s_cbranch_vccz .LBB47_1910
; %bb.1895:
	s_cmp_lt_i32 s7, 27
	s_mov_b32 s12, -1
	s_cbranch_scc1 .LBB47_1901
; %bb.1896:
	s_cmp_gt_i32 s7, 27
	s_cbranch_scc0 .LBB47_1898
; %bb.1897:
	s_wait_xcnt 0x0
	v_cndmask_b32_e64 v1, 0, 1, s10
	s_mov_b32 s12, 0
	global_store_b32 v[2:3], v1, off
.LBB47_1898:
	s_and_not1_b32 vcc_lo, exec_lo, s12
	s_cbranch_vccnz .LBB47_1900
; %bb.1899:
	s_wait_xcnt 0x0
	v_cndmask_b32_e64 v1, 0, 1, s10
	global_store_b16 v[2:3], v1, off
.LBB47_1900:
	s_mov_b32 s12, 0
.LBB47_1901:
	s_delay_alu instid0(SALU_CYCLE_1)
	s_and_not1_b32 vcc_lo, exec_lo, s12
	s_cbranch_vccnz .LBB47_1909
; %bb.1902:
	s_wait_xcnt 0x0
	v_cndmask_b32_e64 v4, 0, 1.0, s10
	v_mov_b32_e32 v5, 0x80
	s_mov_b32 s12, exec_lo
	s_delay_alu instid0(VALU_DEP_2)
	v_cmpx_gt_u32_e32 0x43800000, v4
	s_cbranch_execz .LBB47_1908
; %bb.1903:
	s_mov_b32 s13, 0
	s_mov_b32 s14, exec_lo
                                        ; implicit-def: $vgpr1
	v_cmpx_lt_u32_e32 0x3bffffff, v4
	s_xor_b32 s14, exec_lo, s14
	s_cbranch_execz .LBB47_2129
; %bb.1904:
	v_bfe_u32 v1, v4, 20, 1
	s_mov_b32 s13, exec_lo
	s_delay_alu instid0(VALU_DEP_1) | instskip(NEXT) | instid1(VALU_DEP_1)
	v_add3_u32 v1, v4, v1, 0x487ffff
                                        ; implicit-def: $vgpr4
	v_lshrrev_b32_e32 v1, 20, v1
	s_and_not1_saveexec_b32 s14, s14
	s_cbranch_execnz .LBB47_2130
.LBB47_1905:
	s_or_b32 exec_lo, exec_lo, s14
	v_mov_b32_e32 v5, 0
	s_and_saveexec_b32 s14, s13
.LBB47_1906:
	v_mov_b32_e32 v5, v1
.LBB47_1907:
	s_or_b32 exec_lo, exec_lo, s14
.LBB47_1908:
	s_delay_alu instid0(SALU_CYCLE_1)
	s_or_b32 exec_lo, exec_lo, s12
	global_store_b8 v[2:3], v5, off
.LBB47_1909:
	s_mov_b32 s12, -1
.LBB47_1910:
	s_mov_b32 s13, 0
.LBB47_1911:
	s_delay_alu instid0(SALU_CYCLE_1)
	s_and_b32 vcc_lo, exec_lo, s13
	s_cbranch_vccz .LBB47_1951
; %bb.1912:
	s_cmp_gt_i32 s7, 22
	s_mov_b32 s11, -1
	s_cbranch_scc0 .LBB47_1944
; %bb.1913:
	s_cmp_lt_i32 s7, 24
	s_cbranch_scc1 .LBB47_1933
; %bb.1914:
	s_cmp_gt_i32 s7, 24
	s_cbranch_scc0 .LBB47_1922
; %bb.1915:
	s_wait_xcnt 0x0
	v_cndmask_b32_e64 v4, 0, 1.0, s10
	v_mov_b32_e32 v5, 0x80
	s_mov_b32 s11, exec_lo
	s_delay_alu instid0(VALU_DEP_2)
	v_cmpx_gt_u32_e32 0x47800000, v4
	s_cbranch_execz .LBB47_1921
; %bb.1916:
	s_mov_b32 s12, 0
	s_mov_b32 s13, exec_lo
                                        ; implicit-def: $vgpr1
	v_cmpx_lt_u32_e32 0x37ffffff, v4
	s_xor_b32 s13, exec_lo, s13
	s_cbranch_execz .LBB47_2132
; %bb.1917:
	v_bfe_u32 v1, v4, 21, 1
	s_mov_b32 s12, exec_lo
	s_delay_alu instid0(VALU_DEP_1) | instskip(NEXT) | instid1(VALU_DEP_1)
	v_add3_u32 v1, v4, v1, 0x88fffff
                                        ; implicit-def: $vgpr4
	v_lshrrev_b32_e32 v1, 21, v1
	s_and_not1_saveexec_b32 s13, s13
	s_cbranch_execnz .LBB47_2133
.LBB47_1918:
	s_or_b32 exec_lo, exec_lo, s13
	v_mov_b32_e32 v5, 0
	s_and_saveexec_b32 s13, s12
.LBB47_1919:
	v_mov_b32_e32 v5, v1
.LBB47_1920:
	s_or_b32 exec_lo, exec_lo, s13
.LBB47_1921:
	s_delay_alu instid0(SALU_CYCLE_1)
	s_or_b32 exec_lo, exec_lo, s11
	s_mov_b32 s11, 0
	global_store_b8 v[2:3], v5, off
.LBB47_1922:
	s_and_b32 vcc_lo, exec_lo, s11
	s_cbranch_vccz .LBB47_1932
; %bb.1923:
	s_wait_xcnt 0x0
	v_cndmask_b32_e64 v4, 0, 1.0, s10
	s_mov_b32 s11, exec_lo
                                        ; implicit-def: $vgpr1
	s_delay_alu instid0(VALU_DEP_1)
	v_cmpx_gt_u32_e32 0x43f00000, v4
	s_xor_b32 s11, exec_lo, s11
	s_cbranch_execz .LBB47_1929
; %bb.1924:
	s_mov_b32 s12, exec_lo
                                        ; implicit-def: $vgpr1
	v_cmpx_lt_u32_e32 0x3c7fffff, v4
	s_xor_b32 s12, exec_lo, s12
; %bb.1925:
	v_bfe_u32 v1, v4, 20, 1
	s_delay_alu instid0(VALU_DEP_1) | instskip(NEXT) | instid1(VALU_DEP_1)
	v_add3_u32 v1, v4, v1, 0x407ffff
	v_and_b32_e32 v4, 0xff00000, v1
	v_lshrrev_b32_e32 v1, 20, v1
	s_delay_alu instid0(VALU_DEP_2) | instskip(NEXT) | instid1(VALU_DEP_2)
	v_cmp_ne_u32_e32 vcc_lo, 0x7f00000, v4
                                        ; implicit-def: $vgpr4
	v_cndmask_b32_e32 v1, 0x7e, v1, vcc_lo
; %bb.1926:
	s_and_not1_saveexec_b32 s12, s12
; %bb.1927:
	v_add_f32_e32 v1, 0x46800000, v4
; %bb.1928:
	s_or_b32 exec_lo, exec_lo, s12
                                        ; implicit-def: $vgpr4
.LBB47_1929:
	s_and_not1_saveexec_b32 s11, s11
; %bb.1930:
	v_mov_b32_e32 v1, 0x7f
	v_cmp_lt_u32_e32 vcc_lo, 0x7f800000, v4
	s_delay_alu instid0(VALU_DEP_2)
	v_cndmask_b32_e32 v1, 0x7e, v1, vcc_lo
; %bb.1931:
	s_or_b32 exec_lo, exec_lo, s11
	global_store_b8 v[2:3], v1, off
.LBB47_1932:
	s_mov_b32 s11, 0
.LBB47_1933:
	s_delay_alu instid0(SALU_CYCLE_1)
	s_and_not1_b32 vcc_lo, exec_lo, s11
	s_cbranch_vccnz .LBB47_1943
; %bb.1934:
	s_wait_xcnt 0x0
	v_cndmask_b32_e64 v4, 0, 1.0, s10
	s_mov_b32 s11, exec_lo
                                        ; implicit-def: $vgpr1
	s_delay_alu instid0(VALU_DEP_1)
	v_cmpx_gt_u32_e32 0x47800000, v4
	s_xor_b32 s11, exec_lo, s11
	s_cbranch_execz .LBB47_1940
; %bb.1935:
	s_mov_b32 s12, exec_lo
                                        ; implicit-def: $vgpr1
	v_cmpx_lt_u32_e32 0x387fffff, v4
	s_xor_b32 s12, exec_lo, s12
; %bb.1936:
	v_bfe_u32 v1, v4, 21, 1
	s_delay_alu instid0(VALU_DEP_1) | instskip(NEXT) | instid1(VALU_DEP_1)
	v_add3_u32 v1, v4, v1, 0x80fffff
                                        ; implicit-def: $vgpr4
	v_lshrrev_b32_e32 v1, 21, v1
; %bb.1937:
	s_and_not1_saveexec_b32 s12, s12
; %bb.1938:
	v_add_f32_e32 v1, 0x43000000, v4
; %bb.1939:
	s_or_b32 exec_lo, exec_lo, s12
                                        ; implicit-def: $vgpr4
.LBB47_1940:
	s_and_not1_saveexec_b32 s11, s11
; %bb.1941:
	v_mov_b32_e32 v1, 0x7f
	v_cmp_lt_u32_e32 vcc_lo, 0x7f800000, v4
	s_delay_alu instid0(VALU_DEP_2)
	v_cndmask_b32_e32 v1, 0x7c, v1, vcc_lo
; %bb.1942:
	s_or_b32 exec_lo, exec_lo, s11
	global_store_b8 v[2:3], v1, off
.LBB47_1943:
	s_mov_b32 s11, 0
	s_mov_b32 s12, -1
.LBB47_1944:
	s_and_not1_b32 vcc_lo, exec_lo, s11
	s_mov_b32 s11, 0
	s_cbranch_vccnz .LBB47_1951
; %bb.1945:
	s_cmp_gt_i32 s7, 14
	s_mov_b32 s11, -1
	s_cbranch_scc0 .LBB47_1949
; %bb.1946:
	s_cmp_eq_u32 s7, 15
	s_mov_b32 s0, -1
	s_cbranch_scc0 .LBB47_1948
; %bb.1947:
	s_wait_xcnt 0x0
	v_cndmask_b32_e64 v1, 0, 1.0, s10
	s_mov_b32 s0, 0
	s_mov_b32 s12, -1
	s_delay_alu instid0(VALU_DEP_1) | instskip(NEXT) | instid1(VALU_DEP_1)
	v_bfe_u32 v4, v1, 16, 1
	v_add3_u32 v1, v1, v4, 0x7fff
	global_store_d16_hi_b16 v[2:3], v1, off
.LBB47_1948:
	s_mov_b32 s11, 0
.LBB47_1949:
	s_delay_alu instid0(SALU_CYCLE_1)
	s_and_b32 vcc_lo, exec_lo, s11
	s_mov_b32 s11, 0
	s_cbranch_vccz .LBB47_1951
; %bb.1950:
	s_cmp_lg_u32 s7, 11
	s_mov_b32 s11, -1
	s_cselect_b32 s0, -1, 0
.LBB47_1951:
	s_delay_alu instid0(SALU_CYCLE_1)
	s_and_b32 vcc_lo, exec_lo, s0
	s_cbranch_vccnz .LBB47_2131
; %bb.1952:
	s_and_not1_b32 vcc_lo, exec_lo, s11
	s_cbranch_vccnz .LBB47_1954
.LBB47_1953:
	s_wait_xcnt 0x0
	v_cndmask_b32_e64 v1, 0, 1, s10
	s_mov_b32 s12, -1
	global_store_b8 v[2:3], v1, off
.LBB47_1954:
	s_mov_b32 s0, 0
	s_branch .LBB47_1956
.LBB47_1955:
	s_mov_b32 s0, -1
	s_mov_b32 s12, 0
.LBB47_1956:
	s_and_b32 vcc_lo, exec_lo, s0
	s_cbranch_vccz .LBB47_1995
; %bb.1957:
	s_cmp_lt_i32 s7, 5
	s_mov_b32 s0, -1
	s_cbranch_scc1 .LBB47_1978
; %bb.1958:
	s_cmp_lt_i32 s7, 8
	s_cbranch_scc1 .LBB47_1968
; %bb.1959:
	s_cmp_lt_i32 s7, 9
	s_cbranch_scc1 .LBB47_1965
; %bb.1960:
	s_cmp_gt_i32 s7, 9
	s_cbranch_scc0 .LBB47_1962
; %bb.1961:
	s_wait_xcnt 0x0
	v_cndmask_b32_e64 v1, 0, 1, s10
	v_mov_b32_e32 v6, 0
	s_mov_b32 s0, 0
	s_delay_alu instid0(VALU_DEP_2) | instskip(NEXT) | instid1(VALU_DEP_2)
	v_cvt_f64_u32_e32 v[4:5], v1
	v_mov_b32_e32 v7, v6
	global_store_b128 v[2:3], v[4:7], off
.LBB47_1962:
	s_and_not1_b32 vcc_lo, exec_lo, s0
	s_cbranch_vccnz .LBB47_1964
; %bb.1963:
	s_wait_xcnt 0x0
	v_cndmask_b32_e64 v4, 0, 1.0, s10
	v_mov_b32_e32 v5, 0
	global_store_b64 v[2:3], v[4:5], off
.LBB47_1964:
	s_mov_b32 s0, 0
.LBB47_1965:
	s_delay_alu instid0(SALU_CYCLE_1)
	s_and_not1_b32 vcc_lo, exec_lo, s0
	s_cbranch_vccnz .LBB47_1967
; %bb.1966:
	s_wait_xcnt 0x0
	v_cndmask_b32_e64 v1, 0, 1.0, s10
	s_delay_alu instid0(VALU_DEP_1) | instskip(NEXT) | instid1(VALU_DEP_1)
	v_cvt_f16_f32_e32 v1, v1
	v_and_b32_e32 v1, 0xffff, v1
	global_store_b32 v[2:3], v1, off
.LBB47_1967:
	s_mov_b32 s0, 0
.LBB47_1968:
	s_delay_alu instid0(SALU_CYCLE_1)
	s_and_not1_b32 vcc_lo, exec_lo, s0
	s_cbranch_vccnz .LBB47_1977
; %bb.1969:
	s_cmp_lt_i32 s7, 6
	s_mov_b32 s0, -1
	s_cbranch_scc1 .LBB47_1975
; %bb.1970:
	s_cmp_gt_i32 s7, 6
	s_cbranch_scc0 .LBB47_1972
; %bb.1971:
	s_wait_xcnt 0x0
	v_cndmask_b32_e64 v1, 0, 1, s10
	s_mov_b32 s0, 0
	s_delay_alu instid0(VALU_DEP_1)
	v_cvt_f64_u32_e32 v[4:5], v1
	global_store_b64 v[2:3], v[4:5], off
.LBB47_1972:
	s_and_not1_b32 vcc_lo, exec_lo, s0
	s_cbranch_vccnz .LBB47_1974
; %bb.1973:
	s_wait_xcnt 0x0
	v_cndmask_b32_e64 v1, 0, 1.0, s10
	global_store_b32 v[2:3], v1, off
.LBB47_1974:
	s_mov_b32 s0, 0
.LBB47_1975:
	s_delay_alu instid0(SALU_CYCLE_1)
	s_and_not1_b32 vcc_lo, exec_lo, s0
	s_cbranch_vccnz .LBB47_1977
; %bb.1976:
	s_wait_xcnt 0x0
	v_cndmask_b32_e64 v1, 0, 1.0, s10
	s_delay_alu instid0(VALU_DEP_1)
	v_cvt_f16_f32_e32 v1, v1
	global_store_b16 v[2:3], v1, off
.LBB47_1977:
	s_mov_b32 s0, 0
.LBB47_1978:
	s_delay_alu instid0(SALU_CYCLE_1)
	s_and_not1_b32 vcc_lo, exec_lo, s0
	s_cbranch_vccnz .LBB47_1994
; %bb.1979:
	s_cmp_lt_i32 s7, 2
	s_mov_b32 s0, -1
	s_cbranch_scc1 .LBB47_1989
; %bb.1980:
	s_cmp_lt_i32 s7, 3
	s_cbranch_scc1 .LBB47_1986
; %bb.1981:
	s_cmp_gt_i32 s7, 3
	s_cbranch_scc0 .LBB47_1983
; %bb.1982:
	s_mov_b32 s0, 0
	s_wait_xcnt 0x0
	v_cndmask_b32_e64 v4, 0, 1, s10
	v_mov_b32_e32 v5, s0
	global_store_b64 v[2:3], v[4:5], off
.LBB47_1983:
	s_and_not1_b32 vcc_lo, exec_lo, s0
	s_cbranch_vccnz .LBB47_1985
; %bb.1984:
	s_wait_xcnt 0x0
	v_cndmask_b32_e64 v1, 0, 1, s10
	global_store_b32 v[2:3], v1, off
.LBB47_1985:
	s_mov_b32 s0, 0
.LBB47_1986:
	s_delay_alu instid0(SALU_CYCLE_1)
	s_and_not1_b32 vcc_lo, exec_lo, s0
	s_cbranch_vccnz .LBB47_1988
; %bb.1987:
	s_wait_xcnt 0x0
	v_cndmask_b32_e64 v1, 0, 1, s10
	global_store_b16 v[2:3], v1, off
.LBB47_1988:
	s_mov_b32 s0, 0
.LBB47_1989:
	s_delay_alu instid0(SALU_CYCLE_1)
	s_and_not1_b32 vcc_lo, exec_lo, s0
	s_cbranch_vccnz .LBB47_1994
; %bb.1990:
	s_cmp_gt_i32 s7, 0
	s_mov_b32 s0, -1
	s_cbranch_scc0 .LBB47_1992
; %bb.1991:
	s_wait_xcnt 0x0
	v_cndmask_b32_e64 v1, 0, 1, s10
	s_mov_b32 s0, 0
	global_store_b8 v[2:3], v1, off
.LBB47_1992:
	s_and_not1_b32 vcc_lo, exec_lo, s0
	s_cbranch_vccnz .LBB47_1994
; %bb.1993:
	s_wait_xcnt 0x0
	v_cndmask_b32_e64 v1, 0, 1, s10
	global_store_b8 v[2:3], v1, off
.LBB47_1994:
	s_mov_b32 s12, -1
.LBB47_1995:
	s_delay_alu instid0(SALU_CYCLE_1)
	s_and_not1_b32 vcc_lo, exec_lo, s12
	s_cbranch_vccnz .LBB47_2072
; %bb.1996:
	s_wait_xcnt 0x0
	v_mov_b32_e32 v1, 0
	v_cmp_ne_u32_e32 vcc_lo, s1, v10
	s_delay_alu instid0(VALU_DEP_2)
	v_add_nc_u64_e32 v[2:3], s[4:5], v[0:1]
	s_xor_b32 s1, s6, vcc_lo
	s_cmp_lt_i32 s7, 11
	s_cbranch_scc1 .LBB47_2117
; %bb.1997:
	s_mov_b32 s5, -1
	s_mov_b32 s4, 0
	s_cmp_gt_i32 s7, 25
	s_mov_b32 s0, 0
	s_cbranch_scc0 .LBB47_2030
; %bb.1998:
	s_cmp_gt_i32 s7, 28
	s_cbranch_scc0 .LBB47_2014
; %bb.1999:
	s_cmp_gt_i32 s7, 43
	;; [unrolled: 3-line block ×3, first 2 shown]
	s_cbranch_scc0 .LBB47_2004
; %bb.2001:
	s_cmp_eq_u32 s7, 46
	s_mov_b32 s0, -1
	s_cbranch_scc0 .LBB47_2003
; %bb.2002:
	v_cndmask_b32_e64 v0, 0, 1.0, s1
	s_mov_b32 s0, 0
	s_delay_alu instid0(VALU_DEP_1) | instskip(NEXT) | instid1(VALU_DEP_1)
	v_bfe_u32 v1, v0, 16, 1
	v_add3_u32 v0, v0, v1, 0x7fff
	s_delay_alu instid0(VALU_DEP_1)
	v_lshrrev_b32_e32 v0, 16, v0
	global_store_b32 v[2:3], v0, off
.LBB47_2003:
	s_mov_b32 s5, 0
.LBB47_2004:
	s_delay_alu instid0(SALU_CYCLE_1)
	s_and_b32 vcc_lo, exec_lo, s5
	s_cbranch_vccz .LBB47_2009
; %bb.2005:
	s_cmp_eq_u32 s7, 44
	s_mov_b32 s0, -1
	s_cbranch_scc0 .LBB47_2009
; %bb.2006:
	v_cndmask_b32_e64 v4, 0, 1.0, s1
	s_mov_b32 s5, exec_lo
	s_wait_xcnt 0x0
	s_delay_alu instid0(VALU_DEP_1) | instskip(NEXT) | instid1(VALU_DEP_1)
	v_dual_mov_b32 v1, 0xff :: v_dual_lshrrev_b32 v0, 23, v4
	v_cmpx_ne_u32_e32 0xff, v0
; %bb.2007:
	v_and_b32_e32 v1, 0x400000, v4
	v_and_or_b32 v4, 0x3fffff, v4, v0
	s_delay_alu instid0(VALU_DEP_2) | instskip(NEXT) | instid1(VALU_DEP_2)
	v_cmp_ne_u32_e32 vcc_lo, 0, v1
	v_cmp_ne_u32_e64 s0, 0, v4
	s_and_b32 s0, vcc_lo, s0
	s_delay_alu instid0(SALU_CYCLE_1) | instskip(NEXT) | instid1(VALU_DEP_1)
	v_cndmask_b32_e64 v1, 0, 1, s0
	v_add_nc_u32_e32 v1, v0, v1
; %bb.2008:
	s_or_b32 exec_lo, exec_lo, s5
	s_mov_b32 s0, 0
	global_store_b8 v[2:3], v1, off
.LBB47_2009:
	s_mov_b32 s5, 0
.LBB47_2010:
	s_delay_alu instid0(SALU_CYCLE_1)
	s_and_b32 vcc_lo, exec_lo, s5
	s_cbranch_vccz .LBB47_2013
; %bb.2011:
	s_cmp_eq_u32 s7, 29
	s_mov_b32 s0, -1
	s_cbranch_scc0 .LBB47_2013
; %bb.2012:
	s_mov_b32 s0, 0
	s_wait_xcnt 0x0
	v_cndmask_b32_e64 v0, 0, 1, s1
	v_mov_b32_e32 v1, s0
	global_store_b64 v[2:3], v[0:1], off
.LBB47_2013:
	s_mov_b32 s5, 0
.LBB47_2014:
	s_delay_alu instid0(SALU_CYCLE_1)
	s_and_b32 vcc_lo, exec_lo, s5
	s_cbranch_vccz .LBB47_2029
; %bb.2015:
	s_cmp_lt_i32 s7, 27
	s_mov_b32 s5, -1
	s_cbranch_scc1 .LBB47_2021
; %bb.2016:
	s_cmp_gt_i32 s7, 27
	s_cbranch_scc0 .LBB47_2018
; %bb.2017:
	s_wait_xcnt 0x0
	v_cndmask_b32_e64 v0, 0, 1, s1
	s_mov_b32 s5, 0
	global_store_b32 v[2:3], v0, off
.LBB47_2018:
	s_and_not1_b32 vcc_lo, exec_lo, s5
	s_cbranch_vccnz .LBB47_2020
; %bb.2019:
	s_wait_xcnt 0x0
	v_cndmask_b32_e64 v0, 0, 1, s1
	global_store_b16 v[2:3], v0, off
.LBB47_2020:
	s_mov_b32 s5, 0
.LBB47_2021:
	s_delay_alu instid0(SALU_CYCLE_1)
	s_and_not1_b32 vcc_lo, exec_lo, s5
	s_cbranch_vccnz .LBB47_2029
; %bb.2022:
	s_wait_xcnt 0x0
	v_cndmask_b32_e64 v1, 0, 1.0, s1
	v_mov_b32_e32 v4, 0x80
	s_mov_b32 s5, exec_lo
	s_delay_alu instid0(VALU_DEP_2)
	v_cmpx_gt_u32_e32 0x43800000, v1
	s_cbranch_execz .LBB47_2028
; %bb.2023:
	s_mov_b32 s6, 0
	s_mov_b32 s10, exec_lo
                                        ; implicit-def: $vgpr0
	v_cmpx_lt_u32_e32 0x3bffffff, v1
	s_xor_b32 s10, exec_lo, s10
	s_cbranch_execz .LBB47_2134
; %bb.2024:
	v_bfe_u32 v0, v1, 20, 1
	s_mov_b32 s6, exec_lo
	s_delay_alu instid0(VALU_DEP_1) | instskip(NEXT) | instid1(VALU_DEP_1)
	v_add3_u32 v0, v1, v0, 0x487ffff
                                        ; implicit-def: $vgpr1
	v_lshrrev_b32_e32 v0, 20, v0
	s_and_not1_saveexec_b32 s10, s10
	s_cbranch_execnz .LBB47_2135
.LBB47_2025:
	s_or_b32 exec_lo, exec_lo, s10
	v_mov_b32_e32 v4, 0
	s_and_saveexec_b32 s10, s6
.LBB47_2026:
	v_mov_b32_e32 v4, v0
.LBB47_2027:
	s_or_b32 exec_lo, exec_lo, s10
.LBB47_2028:
	s_delay_alu instid0(SALU_CYCLE_1)
	s_or_b32 exec_lo, exec_lo, s5
	global_store_b8 v[2:3], v4, off
.LBB47_2029:
	s_mov_b32 s5, 0
.LBB47_2030:
	s_delay_alu instid0(SALU_CYCLE_1)
	s_and_b32 vcc_lo, exec_lo, s5
	s_cbranch_vccz .LBB47_2070
; %bb.2031:
	s_cmp_gt_i32 s7, 22
	s_mov_b32 s4, -1
	s_cbranch_scc0 .LBB47_2063
; %bb.2032:
	s_cmp_lt_i32 s7, 24
	s_cbranch_scc1 .LBB47_2052
; %bb.2033:
	s_cmp_gt_i32 s7, 24
	s_cbranch_scc0 .LBB47_2041
; %bb.2034:
	s_wait_xcnt 0x0
	v_cndmask_b32_e64 v1, 0, 1.0, s1
	v_mov_b32_e32 v4, 0x80
	s_mov_b32 s4, exec_lo
	s_delay_alu instid0(VALU_DEP_2)
	v_cmpx_gt_u32_e32 0x47800000, v1
	s_cbranch_execz .LBB47_2040
; %bb.2035:
	s_mov_b32 s5, 0
	s_mov_b32 s6, exec_lo
                                        ; implicit-def: $vgpr0
	v_cmpx_lt_u32_e32 0x37ffffff, v1
	s_xor_b32 s6, exec_lo, s6
	s_cbranch_execz .LBB47_2137
; %bb.2036:
	v_bfe_u32 v0, v1, 21, 1
	s_mov_b32 s5, exec_lo
	s_delay_alu instid0(VALU_DEP_1) | instskip(NEXT) | instid1(VALU_DEP_1)
	v_add3_u32 v0, v1, v0, 0x88fffff
                                        ; implicit-def: $vgpr1
	v_lshrrev_b32_e32 v0, 21, v0
	s_and_not1_saveexec_b32 s6, s6
	s_cbranch_execnz .LBB47_2138
.LBB47_2037:
	s_or_b32 exec_lo, exec_lo, s6
	v_mov_b32_e32 v4, 0
	s_and_saveexec_b32 s6, s5
.LBB47_2038:
	v_mov_b32_e32 v4, v0
.LBB47_2039:
	s_or_b32 exec_lo, exec_lo, s6
.LBB47_2040:
	s_delay_alu instid0(SALU_CYCLE_1)
	s_or_b32 exec_lo, exec_lo, s4
	s_mov_b32 s4, 0
	global_store_b8 v[2:3], v4, off
.LBB47_2041:
	s_and_b32 vcc_lo, exec_lo, s4
	s_cbranch_vccz .LBB47_2051
; %bb.2042:
	s_wait_xcnt 0x0
	v_cndmask_b32_e64 v1, 0, 1.0, s1
	s_mov_b32 s4, exec_lo
                                        ; implicit-def: $vgpr0
	s_delay_alu instid0(VALU_DEP_1)
	v_cmpx_gt_u32_e32 0x43f00000, v1
	s_xor_b32 s4, exec_lo, s4
	s_cbranch_execz .LBB47_2048
; %bb.2043:
	s_mov_b32 s5, exec_lo
                                        ; implicit-def: $vgpr0
	v_cmpx_lt_u32_e32 0x3c7fffff, v1
	s_xor_b32 s5, exec_lo, s5
; %bb.2044:
	v_bfe_u32 v0, v1, 20, 1
	s_delay_alu instid0(VALU_DEP_1) | instskip(NEXT) | instid1(VALU_DEP_1)
	v_add3_u32 v0, v1, v0, 0x407ffff
	v_and_b32_e32 v1, 0xff00000, v0
	v_lshrrev_b32_e32 v0, 20, v0
	s_delay_alu instid0(VALU_DEP_2) | instskip(NEXT) | instid1(VALU_DEP_2)
	v_cmp_ne_u32_e32 vcc_lo, 0x7f00000, v1
                                        ; implicit-def: $vgpr1
	v_cndmask_b32_e32 v0, 0x7e, v0, vcc_lo
; %bb.2045:
	s_and_not1_saveexec_b32 s5, s5
; %bb.2046:
	v_add_f32_e32 v0, 0x46800000, v1
; %bb.2047:
	s_or_b32 exec_lo, exec_lo, s5
                                        ; implicit-def: $vgpr1
.LBB47_2048:
	s_and_not1_saveexec_b32 s4, s4
; %bb.2049:
	v_mov_b32_e32 v0, 0x7f
	v_cmp_lt_u32_e32 vcc_lo, 0x7f800000, v1
	s_delay_alu instid0(VALU_DEP_2)
	v_cndmask_b32_e32 v0, 0x7e, v0, vcc_lo
; %bb.2050:
	s_or_b32 exec_lo, exec_lo, s4
	global_store_b8 v[2:3], v0, off
.LBB47_2051:
	s_mov_b32 s4, 0
.LBB47_2052:
	s_delay_alu instid0(SALU_CYCLE_1)
	s_and_not1_b32 vcc_lo, exec_lo, s4
	s_cbranch_vccnz .LBB47_2062
; %bb.2053:
	s_wait_xcnt 0x0
	v_cndmask_b32_e64 v1, 0, 1.0, s1
	s_mov_b32 s4, exec_lo
                                        ; implicit-def: $vgpr0
	s_delay_alu instid0(VALU_DEP_1)
	v_cmpx_gt_u32_e32 0x47800000, v1
	s_xor_b32 s4, exec_lo, s4
	s_cbranch_execz .LBB47_2059
; %bb.2054:
	s_mov_b32 s5, exec_lo
                                        ; implicit-def: $vgpr0
	v_cmpx_lt_u32_e32 0x387fffff, v1
	s_xor_b32 s5, exec_lo, s5
; %bb.2055:
	v_bfe_u32 v0, v1, 21, 1
	s_delay_alu instid0(VALU_DEP_1) | instskip(NEXT) | instid1(VALU_DEP_1)
	v_add3_u32 v0, v1, v0, 0x80fffff
                                        ; implicit-def: $vgpr1
	v_lshrrev_b32_e32 v0, 21, v0
; %bb.2056:
	s_and_not1_saveexec_b32 s5, s5
; %bb.2057:
	v_add_f32_e32 v0, 0x43000000, v1
; %bb.2058:
	s_or_b32 exec_lo, exec_lo, s5
                                        ; implicit-def: $vgpr1
.LBB47_2059:
	s_and_not1_saveexec_b32 s4, s4
; %bb.2060:
	v_mov_b32_e32 v0, 0x7f
	v_cmp_lt_u32_e32 vcc_lo, 0x7f800000, v1
	s_delay_alu instid0(VALU_DEP_2)
	v_cndmask_b32_e32 v0, 0x7c, v0, vcc_lo
; %bb.2061:
	s_or_b32 exec_lo, exec_lo, s4
	global_store_b8 v[2:3], v0, off
.LBB47_2062:
	s_mov_b32 s4, 0
.LBB47_2063:
	s_delay_alu instid0(SALU_CYCLE_1)
	s_and_not1_b32 vcc_lo, exec_lo, s4
	s_mov_b32 s4, 0
	s_cbranch_vccnz .LBB47_2070
; %bb.2064:
	s_cmp_gt_i32 s7, 14
	s_mov_b32 s4, -1
	s_cbranch_scc0 .LBB47_2068
; %bb.2065:
	s_cmp_eq_u32 s7, 15
	s_mov_b32 s0, -1
	s_cbranch_scc0 .LBB47_2067
; %bb.2066:
	s_wait_xcnt 0x0
	v_cndmask_b32_e64 v0, 0, 1.0, s1
	s_mov_b32 s0, 0
	s_delay_alu instid0(VALU_DEP_1) | instskip(NEXT) | instid1(VALU_DEP_1)
	v_bfe_u32 v1, v0, 16, 1
	v_add3_u32 v0, v0, v1, 0x7fff
	global_store_d16_hi_b16 v[2:3], v0, off
.LBB47_2067:
	s_mov_b32 s4, 0
.LBB47_2068:
	s_delay_alu instid0(SALU_CYCLE_1)
	s_and_b32 vcc_lo, exec_lo, s4
	s_mov_b32 s4, 0
	s_cbranch_vccz .LBB47_2070
; %bb.2069:
	s_cmp_lg_u32 s7, 11
	s_mov_b32 s4, -1
	s_cselect_b32 s0, -1, 0
.LBB47_2070:
	s_delay_alu instid0(SALU_CYCLE_1)
	s_and_b32 vcc_lo, exec_lo, s0
	s_cbranch_vccnz .LBB47_2136
.LBB47_2071:
	s_mov_b32 s0, 0
	s_branch .LBB47_2073
.LBB47_2072:
	s_mov_b32 s0, 0
	s_mov_b32 s4, 0
                                        ; implicit-def: $sgpr1
                                        ; implicit-def: $vgpr2_vgpr3
                                        ; implicit-def: $sgpr2
.LBB47_2073:
	s_and_not1_b32 s5, s8, exec_lo
	s_and_b32 s6, s3, exec_lo
	s_and_b32 s0, s0, exec_lo
	;; [unrolled: 1-line block ×3, first 2 shown]
	s_or_b32 s8, s5, s6
.LBB47_2074:
	s_wait_xcnt 0x0
	s_or_b32 exec_lo, exec_lo, s9
	s_and_saveexec_b32 s4, s8
	s_cbranch_execz .LBB47_2077
; %bb.2075:
	; divergent unreachable
	s_or_b32 exec_lo, exec_lo, s4
	s_and_saveexec_b32 s4, s3
	s_delay_alu instid0(SALU_CYCLE_1)
	s_xor_b32 s3, exec_lo, s4
	s_cbranch_execnz .LBB47_2078
.LBB47_2076:
	s_or_b32 exec_lo, exec_lo, s3
	s_and_saveexec_b32 s3, s0
	s_cbranch_execnz .LBB47_2079
	s_branch .LBB47_2116
.LBB47_2077:
	s_or_b32 exec_lo, exec_lo, s4
	s_and_saveexec_b32 s4, s3
	s_delay_alu instid0(SALU_CYCLE_1)
	s_xor_b32 s3, exec_lo, s4
	s_cbranch_execz .LBB47_2076
.LBB47_2078:
	v_cndmask_b32_e64 v0, 0, 1, s1
	s_wait_loadcnt 0x0
	global_store_b8 v[2:3], v0, off
	s_wait_xcnt 0x0
	s_or_b32 exec_lo, exec_lo, s3
	s_and_saveexec_b32 s3, s0
	s_cbranch_execz .LBB47_2116
.LBB47_2079:
	s_sext_i32_i16 s3, s2
	s_mov_b32 s0, -1
	s_cmp_lt_i32 s3, 5
	s_cbranch_scc1 .LBB47_2100
; %bb.2080:
	s_cmp_lt_i32 s3, 8
	s_cbranch_scc1 .LBB47_2090
; %bb.2081:
	;; [unrolled: 3-line block ×3, first 2 shown]
	s_cmp_gt_i32 s3, 9
	s_cbranch_scc0 .LBB47_2084
; %bb.2083:
	v_cndmask_b32_e64 v0, 0, 1, s1
	s_wait_loadcnt 0x0
	v_mov_b32_e32 v6, 0
	s_mov_b32 s0, 0
	s_delay_alu instid0(VALU_DEP_2) | instskip(NEXT) | instid1(VALU_DEP_2)
	v_cvt_f64_u32_e32 v[4:5], v0
	v_mov_b32_e32 v7, v6
	global_store_b128 v[2:3], v[4:7], off
.LBB47_2084:
	s_and_not1_b32 vcc_lo, exec_lo, s0
	s_cbranch_vccnz .LBB47_2086
; %bb.2085:
	v_cndmask_b32_e64 v0, 0, 1.0, s1
	s_wait_loadcnt 0x0
	v_mov_b32_e32 v1, 0
	global_store_b64 v[2:3], v[0:1], off
.LBB47_2086:
	s_mov_b32 s0, 0
.LBB47_2087:
	s_delay_alu instid0(SALU_CYCLE_1)
	s_and_not1_b32 vcc_lo, exec_lo, s0
	s_cbranch_vccnz .LBB47_2089
; %bb.2088:
	s_wait_xcnt 0x0
	v_cndmask_b32_e64 v0, 0, 1.0, s1
	s_delay_alu instid0(VALU_DEP_1) | instskip(NEXT) | instid1(VALU_DEP_1)
	v_cvt_f16_f32_e32 v0, v0
	v_and_b32_e32 v0, 0xffff, v0
	s_wait_loadcnt 0x0
	global_store_b32 v[2:3], v0, off
.LBB47_2089:
	s_mov_b32 s0, 0
.LBB47_2090:
	s_delay_alu instid0(SALU_CYCLE_1)
	s_and_not1_b32 vcc_lo, exec_lo, s0
	s_cbranch_vccnz .LBB47_2099
; %bb.2091:
	s_sext_i32_i16 s3, s2
	s_mov_b32 s0, -1
	s_cmp_lt_i32 s3, 6
	s_cbranch_scc1 .LBB47_2097
; %bb.2092:
	s_cmp_gt_i32 s3, 6
	s_cbranch_scc0 .LBB47_2094
; %bb.2093:
	s_wait_xcnt 0x0
	v_cndmask_b32_e64 v0, 0, 1, s1
	s_mov_b32 s0, 0
	s_wait_loadcnt 0x0
	s_delay_alu instid0(VALU_DEP_1)
	v_cvt_f64_u32_e32 v[0:1], v0
	global_store_b64 v[2:3], v[0:1], off
.LBB47_2094:
	s_and_not1_b32 vcc_lo, exec_lo, s0
	s_cbranch_vccnz .LBB47_2096
; %bb.2095:
	s_wait_xcnt 0x0
	v_cndmask_b32_e64 v0, 0, 1.0, s1
	s_wait_loadcnt 0x0
	global_store_b32 v[2:3], v0, off
.LBB47_2096:
	s_mov_b32 s0, 0
.LBB47_2097:
	s_delay_alu instid0(SALU_CYCLE_1)
	s_and_not1_b32 vcc_lo, exec_lo, s0
	s_cbranch_vccnz .LBB47_2099
; %bb.2098:
	s_wait_xcnt 0x0
	v_cndmask_b32_e64 v0, 0, 1.0, s1
	s_delay_alu instid0(VALU_DEP_1)
	v_cvt_f16_f32_e32 v0, v0
	s_wait_loadcnt 0x0
	global_store_b16 v[2:3], v0, off
.LBB47_2099:
	s_mov_b32 s0, 0
.LBB47_2100:
	s_delay_alu instid0(SALU_CYCLE_1)
	s_and_not1_b32 vcc_lo, exec_lo, s0
	s_cbranch_vccnz .LBB47_2116
; %bb.2101:
	s_sext_i32_i16 s3, s2
	s_mov_b32 s0, -1
	s_cmp_lt_i32 s3, 2
	s_cbranch_scc1 .LBB47_2111
; %bb.2102:
	s_cmp_lt_i32 s3, 3
	s_cbranch_scc1 .LBB47_2108
; %bb.2103:
	s_cmp_gt_i32 s3, 3
	s_cbranch_scc0 .LBB47_2105
; %bb.2104:
	s_mov_b32 s0, 0
	s_wait_xcnt 0x0
	v_cndmask_b32_e64 v0, 0, 1, s1
	s_wait_loadcnt 0x0
	v_mov_b32_e32 v1, s0
	global_store_b64 v[2:3], v[0:1], off
.LBB47_2105:
	s_and_not1_b32 vcc_lo, exec_lo, s0
	s_cbranch_vccnz .LBB47_2107
; %bb.2106:
	s_wait_xcnt 0x0
	v_cndmask_b32_e64 v0, 0, 1, s1
	s_wait_loadcnt 0x0
	global_store_b32 v[2:3], v0, off
.LBB47_2107:
	s_mov_b32 s0, 0
.LBB47_2108:
	s_delay_alu instid0(SALU_CYCLE_1)
	s_and_not1_b32 vcc_lo, exec_lo, s0
	s_cbranch_vccnz .LBB47_2110
; %bb.2109:
	s_wait_xcnt 0x0
	v_cndmask_b32_e64 v0, 0, 1, s1
	s_wait_loadcnt 0x0
	global_store_b16 v[2:3], v0, off
.LBB47_2110:
	s_mov_b32 s0, 0
.LBB47_2111:
	s_delay_alu instid0(SALU_CYCLE_1)
	s_and_not1_b32 vcc_lo, exec_lo, s0
	s_cbranch_vccnz .LBB47_2116
; %bb.2112:
	s_sext_i32_i16 s0, s2
	s_delay_alu instid0(SALU_CYCLE_1)
	s_cmp_gt_i32 s0, 0
	s_mov_b32 s0, -1
	s_cbranch_scc0 .LBB47_2114
; %bb.2113:
	s_wait_xcnt 0x0
	v_cndmask_b32_e64 v0, 0, 1, s1
	s_mov_b32 s0, 0
	s_wait_loadcnt 0x0
	global_store_b8 v[2:3], v0, off
.LBB47_2114:
	s_and_not1_b32 vcc_lo, exec_lo, s0
	s_cbranch_vccnz .LBB47_2116
; %bb.2115:
	s_wait_xcnt 0x0
	v_cndmask_b32_e64 v0, 0, 1, s1
	s_wait_loadcnt 0x0
	global_store_b8 v[2:3], v0, off
	s_endpgm
.LBB47_2116:
	s_endpgm
.LBB47_2117:
	s_mov_b32 s4, 0
	s_mov_b32 s0, -1
	s_branch .LBB47_2073
.LBB47_2118:
	s_or_b32 s3, s3, exec_lo
	s_trap 2
	s_cbranch_execz .LBB47_1588
	s_branch .LBB47_1589
.LBB47_2119:
	s_and_not1_saveexec_b32 s14, s14
	s_cbranch_execz .LBB47_1668
.LBB47_2120:
	v_add_f32_e32 v5, 0x46000000, v8
	s_and_not1_b32 s13, s13, exec_lo
	s_delay_alu instid0(VALU_DEP_1) | instskip(NEXT) | instid1(VALU_DEP_1)
	v_and_b32_e32 v5, 0xff, v5
	v_cmp_ne_u32_e32 vcc_lo, 0, v5
	s_and_b32 s15, vcc_lo, exec_lo
	s_delay_alu instid0(SALU_CYCLE_1)
	s_or_b32 s13, s13, s15
	s_or_b32 exec_lo, exec_lo, s14
	v_mov_b32_e32 v9, 0
	s_and_saveexec_b32 s14, s13
	s_cbranch_execnz .LBB47_1669
	s_branch .LBB47_1670
.LBB47_2121:
	s_or_b32 s3, s3, exec_lo
	s_trap 2
	s_cbranch_execz .LBB47_1716
	s_branch .LBB47_1717
.LBB47_2122:
	s_and_not1_saveexec_b32 s13, s13
	s_cbranch_execz .LBB47_1681
.LBB47_2123:
	v_add_f32_e32 v5, 0x42800000, v8
	s_and_not1_b32 s12, s12, exec_lo
	s_delay_alu instid0(VALU_DEP_1) | instskip(NEXT) | instid1(VALU_DEP_1)
	v_and_b32_e32 v5, 0xff, v5
	v_cmp_ne_u32_e32 vcc_lo, 0, v5
	s_and_b32 s14, vcc_lo, exec_lo
	s_delay_alu instid0(SALU_CYCLE_1)
	s_or_b32 s12, s12, s14
	s_or_b32 exec_lo, exec_lo, s13
	v_mov_b32_e32 v9, 0
	s_and_saveexec_b32 s13, s12
	s_cbranch_execnz .LBB47_1682
	s_branch .LBB47_1683
.LBB47_2124:
	s_and_not1_saveexec_b32 s14, s14
	s_cbranch_execz .LBB47_1786
.LBB47_2125:
	v_add_f32_e32 v3, 0x46000000, v6
	s_and_not1_b32 s13, s13, exec_lo
	s_delay_alu instid0(VALU_DEP_1) | instskip(NEXT) | instid1(VALU_DEP_1)
	v_and_b32_e32 v3, 0xff, v3
	v_cmp_ne_u32_e32 vcc_lo, 0, v3
	s_and_b32 s15, vcc_lo, exec_lo
	s_delay_alu instid0(SALU_CYCLE_1)
	s_or_b32 s13, s13, s15
	s_or_b32 exec_lo, exec_lo, s14
	v_mov_b32_e32 v7, 0
	s_and_saveexec_b32 s14, s13
	s_cbranch_execnz .LBB47_1787
	s_branch .LBB47_1788
.LBB47_2126:
	s_or_b32 s3, s3, exec_lo
	s_trap 2
	s_cbranch_execz .LBB47_1834
	s_branch .LBB47_1835
.LBB47_2127:
	s_and_not1_saveexec_b32 s13, s13
	s_cbranch_execz .LBB47_1799
.LBB47_2128:
	v_add_f32_e32 v3, 0x42800000, v6
	s_and_not1_b32 s12, s12, exec_lo
	s_delay_alu instid0(VALU_DEP_1) | instskip(NEXT) | instid1(VALU_DEP_1)
	v_and_b32_e32 v3, 0xff, v3
	v_cmp_ne_u32_e32 vcc_lo, 0, v3
	s_and_b32 s14, vcc_lo, exec_lo
	s_delay_alu instid0(SALU_CYCLE_1)
	s_or_b32 s12, s12, s14
	s_or_b32 exec_lo, exec_lo, s13
	v_mov_b32_e32 v7, 0
	s_and_saveexec_b32 s13, s12
	s_cbranch_execnz .LBB47_1800
	s_branch .LBB47_1801
.LBB47_2129:
	s_and_not1_saveexec_b32 s14, s14
	s_cbranch_execz .LBB47_1905
.LBB47_2130:
	v_add_f32_e32 v1, 0x46000000, v4
	s_and_not1_b32 s13, s13, exec_lo
	s_delay_alu instid0(VALU_DEP_1) | instskip(NEXT) | instid1(VALU_DEP_1)
	v_and_b32_e32 v1, 0xff, v1
	v_cmp_ne_u32_e32 vcc_lo, 0, v1
	s_and_b32 s15, vcc_lo, exec_lo
	s_delay_alu instid0(SALU_CYCLE_1)
	s_or_b32 s13, s13, s15
	s_or_b32 exec_lo, exec_lo, s14
	v_mov_b32_e32 v5, 0
	s_and_saveexec_b32 s14, s13
	s_cbranch_execnz .LBB47_1906
	s_branch .LBB47_1907
.LBB47_2131:
	s_or_b32 s3, s3, exec_lo
	s_trap 2
	s_cbranch_execz .LBB47_1953
	s_branch .LBB47_1954
.LBB47_2132:
	s_and_not1_saveexec_b32 s13, s13
	s_cbranch_execz .LBB47_1918
.LBB47_2133:
	v_add_f32_e32 v1, 0x42800000, v4
	s_and_not1_b32 s12, s12, exec_lo
	s_delay_alu instid0(VALU_DEP_1) | instskip(NEXT) | instid1(VALU_DEP_1)
	v_and_b32_e32 v1, 0xff, v1
	v_cmp_ne_u32_e32 vcc_lo, 0, v1
	s_and_b32 s14, vcc_lo, exec_lo
	s_delay_alu instid0(SALU_CYCLE_1)
	s_or_b32 s12, s12, s14
	s_or_b32 exec_lo, exec_lo, s13
	v_mov_b32_e32 v5, 0
	s_and_saveexec_b32 s13, s12
	s_cbranch_execnz .LBB47_1919
	s_branch .LBB47_1920
.LBB47_2134:
	s_and_not1_saveexec_b32 s10, s10
	s_cbranch_execz .LBB47_2025
.LBB47_2135:
	v_add_f32_e32 v0, 0x46000000, v1
	s_and_not1_b32 s6, s6, exec_lo
	s_delay_alu instid0(VALU_DEP_1) | instskip(NEXT) | instid1(VALU_DEP_1)
	v_and_b32_e32 v0, 0xff, v0
	v_cmp_ne_u32_e32 vcc_lo, 0, v0
	s_and_b32 s11, vcc_lo, exec_lo
	s_delay_alu instid0(SALU_CYCLE_1)
	s_or_b32 s6, s6, s11
	s_or_b32 exec_lo, exec_lo, s10
	v_mov_b32_e32 v4, 0
	s_and_saveexec_b32 s10, s6
	s_cbranch_execnz .LBB47_2026
	s_branch .LBB47_2027
.LBB47_2136:
	s_mov_b32 s4, 0
	s_or_b32 s3, s3, exec_lo
	s_trap 2
	s_branch .LBB47_2071
.LBB47_2137:
	s_and_not1_saveexec_b32 s6, s6
	s_cbranch_execz .LBB47_2037
.LBB47_2138:
	v_add_f32_e32 v0, 0x42800000, v1
	s_and_not1_b32 s5, s5, exec_lo
	s_delay_alu instid0(VALU_DEP_1) | instskip(NEXT) | instid1(VALU_DEP_1)
	v_and_b32_e32 v0, 0xff, v0
	v_cmp_ne_u32_e32 vcc_lo, 0, v0
	s_and_b32 s10, vcc_lo, exec_lo
	s_delay_alu instid0(SALU_CYCLE_1)
	s_or_b32 s5, s5, s10
	s_or_b32 exec_lo, exec_lo, s6
	v_mov_b32_e32 v4, 0
	s_and_saveexec_b32 s6, s5
	s_cbranch_execnz .LBB47_2038
	s_branch .LBB47_2039
	.section	.rodata,"a",@progbits
	.p2align	6, 0x0
	.amdhsa_kernel _ZN2at6native32elementwise_kernel_manual_unrollILi128ELi4EZNS0_15gpu_kernel_implINS0_13AUnaryFunctorIiibNS0_12_GLOBAL__N_116CompareEqFunctorIiEEEEEEvRNS_18TensorIteratorBaseERKT_EUlibE0_EEviT1_
		.amdhsa_group_segment_fixed_size 0
		.amdhsa_private_segment_fixed_size 0
		.amdhsa_kernarg_size 368
		.amdhsa_user_sgpr_count 2
		.amdhsa_user_sgpr_dispatch_ptr 0
		.amdhsa_user_sgpr_queue_ptr 0
		.amdhsa_user_sgpr_kernarg_segment_ptr 1
		.amdhsa_user_sgpr_dispatch_id 0
		.amdhsa_user_sgpr_kernarg_preload_length 0
		.amdhsa_user_sgpr_kernarg_preload_offset 0
		.amdhsa_user_sgpr_private_segment_size 0
		.amdhsa_wavefront_size32 1
		.amdhsa_uses_dynamic_stack 0
		.amdhsa_enable_private_segment 0
		.amdhsa_system_sgpr_workgroup_id_x 1
		.amdhsa_system_sgpr_workgroup_id_y 0
		.amdhsa_system_sgpr_workgroup_id_z 0
		.amdhsa_system_sgpr_workgroup_info 0
		.amdhsa_system_vgpr_workitem_id 0
		.amdhsa_next_free_vgpr 18
		.amdhsa_next_free_sgpr 68
		.amdhsa_named_barrier_count 0
		.amdhsa_reserve_vcc 1
		.amdhsa_float_round_mode_32 0
		.amdhsa_float_round_mode_16_64 0
		.amdhsa_float_denorm_mode_32 3
		.amdhsa_float_denorm_mode_16_64 3
		.amdhsa_fp16_overflow 0
		.amdhsa_memory_ordered 1
		.amdhsa_forward_progress 1
		.amdhsa_inst_pref_size 255
		.amdhsa_round_robin_scheduling 0
		.amdhsa_exception_fp_ieee_invalid_op 0
		.amdhsa_exception_fp_denorm_src 0
		.amdhsa_exception_fp_ieee_div_zero 0
		.amdhsa_exception_fp_ieee_overflow 0
		.amdhsa_exception_fp_ieee_underflow 0
		.amdhsa_exception_fp_ieee_inexact 0
		.amdhsa_exception_int_div_zero 0
	.end_amdhsa_kernel
	.section	.text._ZN2at6native32elementwise_kernel_manual_unrollILi128ELi4EZNS0_15gpu_kernel_implINS0_13AUnaryFunctorIiibNS0_12_GLOBAL__N_116CompareEqFunctorIiEEEEEEvRNS_18TensorIteratorBaseERKT_EUlibE0_EEviT1_,"axG",@progbits,_ZN2at6native32elementwise_kernel_manual_unrollILi128ELi4EZNS0_15gpu_kernel_implINS0_13AUnaryFunctorIiibNS0_12_GLOBAL__N_116CompareEqFunctorIiEEEEEEvRNS_18TensorIteratorBaseERKT_EUlibE0_EEviT1_,comdat
.Lfunc_end47:
	.size	_ZN2at6native32elementwise_kernel_manual_unrollILi128ELi4EZNS0_15gpu_kernel_implINS0_13AUnaryFunctorIiibNS0_12_GLOBAL__N_116CompareEqFunctorIiEEEEEEvRNS_18TensorIteratorBaseERKT_EUlibE0_EEviT1_, .Lfunc_end47-_ZN2at6native32elementwise_kernel_manual_unrollILi128ELi4EZNS0_15gpu_kernel_implINS0_13AUnaryFunctorIiibNS0_12_GLOBAL__N_116CompareEqFunctorIiEEEEEEvRNS_18TensorIteratorBaseERKT_EUlibE0_EEviT1_
                                        ; -- End function
	.set _ZN2at6native32elementwise_kernel_manual_unrollILi128ELi4EZNS0_15gpu_kernel_implINS0_13AUnaryFunctorIiibNS0_12_GLOBAL__N_116CompareEqFunctorIiEEEEEEvRNS_18TensorIteratorBaseERKT_EUlibE0_EEviT1_.num_vgpr, 18
	.set _ZN2at6native32elementwise_kernel_manual_unrollILi128ELi4EZNS0_15gpu_kernel_implINS0_13AUnaryFunctorIiibNS0_12_GLOBAL__N_116CompareEqFunctorIiEEEEEEvRNS_18TensorIteratorBaseERKT_EUlibE0_EEviT1_.num_agpr, 0
	.set _ZN2at6native32elementwise_kernel_manual_unrollILi128ELi4EZNS0_15gpu_kernel_implINS0_13AUnaryFunctorIiibNS0_12_GLOBAL__N_116CompareEqFunctorIiEEEEEEvRNS_18TensorIteratorBaseERKT_EUlibE0_EEviT1_.numbered_sgpr, 68
	.set _ZN2at6native32elementwise_kernel_manual_unrollILi128ELi4EZNS0_15gpu_kernel_implINS0_13AUnaryFunctorIiibNS0_12_GLOBAL__N_116CompareEqFunctorIiEEEEEEvRNS_18TensorIteratorBaseERKT_EUlibE0_EEviT1_.num_named_barrier, 0
	.set _ZN2at6native32elementwise_kernel_manual_unrollILi128ELi4EZNS0_15gpu_kernel_implINS0_13AUnaryFunctorIiibNS0_12_GLOBAL__N_116CompareEqFunctorIiEEEEEEvRNS_18TensorIteratorBaseERKT_EUlibE0_EEviT1_.private_seg_size, 0
	.set _ZN2at6native32elementwise_kernel_manual_unrollILi128ELi4EZNS0_15gpu_kernel_implINS0_13AUnaryFunctorIiibNS0_12_GLOBAL__N_116CompareEqFunctorIiEEEEEEvRNS_18TensorIteratorBaseERKT_EUlibE0_EEviT1_.uses_vcc, 1
	.set _ZN2at6native32elementwise_kernel_manual_unrollILi128ELi4EZNS0_15gpu_kernel_implINS0_13AUnaryFunctorIiibNS0_12_GLOBAL__N_116CompareEqFunctorIiEEEEEEvRNS_18TensorIteratorBaseERKT_EUlibE0_EEviT1_.uses_flat_scratch, 0
	.set _ZN2at6native32elementwise_kernel_manual_unrollILi128ELi4EZNS0_15gpu_kernel_implINS0_13AUnaryFunctorIiibNS0_12_GLOBAL__N_116CompareEqFunctorIiEEEEEEvRNS_18TensorIteratorBaseERKT_EUlibE0_EEviT1_.has_dyn_sized_stack, 0
	.set _ZN2at6native32elementwise_kernel_manual_unrollILi128ELi4EZNS0_15gpu_kernel_implINS0_13AUnaryFunctorIiibNS0_12_GLOBAL__N_116CompareEqFunctorIiEEEEEEvRNS_18TensorIteratorBaseERKT_EUlibE0_EEviT1_.has_recursion, 0
	.set _ZN2at6native32elementwise_kernel_manual_unrollILi128ELi4EZNS0_15gpu_kernel_implINS0_13AUnaryFunctorIiibNS0_12_GLOBAL__N_116CompareEqFunctorIiEEEEEEvRNS_18TensorIteratorBaseERKT_EUlibE0_EEviT1_.has_indirect_call, 0
	.section	.AMDGPU.csdata,"",@progbits
; Kernel info:
; codeLenInByte = 40220
; TotalNumSgprs: 70
; NumVgprs: 18
; ScratchSize: 0
; MemoryBound: 1
; FloatMode: 240
; IeeeMode: 1
; LDSByteSize: 0 bytes/workgroup (compile time only)
; SGPRBlocks: 0
; VGPRBlocks: 1
; NumSGPRsForWavesPerEU: 70
; NumVGPRsForWavesPerEU: 18
; NamedBarCnt: 0
; Occupancy: 16
; WaveLimiterHint : 1
; COMPUTE_PGM_RSRC2:SCRATCH_EN: 0
; COMPUTE_PGM_RSRC2:USER_SGPR: 2
; COMPUTE_PGM_RSRC2:TRAP_HANDLER: 0
; COMPUTE_PGM_RSRC2:TGID_X_EN: 1
; COMPUTE_PGM_RSRC2:TGID_Y_EN: 0
; COMPUTE_PGM_RSRC2:TGID_Z_EN: 0
; COMPUTE_PGM_RSRC2:TIDIG_COMP_CNT: 0
	.section	.text._ZN2at6native29vectorized_elementwise_kernelILi16ENS0_13BinaryFunctorIllbNS0_12_GLOBAL__N_116CompareEqFunctorIlEEEESt5arrayIPcLm3EEEEviT0_T1_,"axG",@progbits,_ZN2at6native29vectorized_elementwise_kernelILi16ENS0_13BinaryFunctorIllbNS0_12_GLOBAL__N_116CompareEqFunctorIlEEEESt5arrayIPcLm3EEEEviT0_T1_,comdat
	.globl	_ZN2at6native29vectorized_elementwise_kernelILi16ENS0_13BinaryFunctorIllbNS0_12_GLOBAL__N_116CompareEqFunctorIlEEEESt5arrayIPcLm3EEEEviT0_T1_ ; -- Begin function _ZN2at6native29vectorized_elementwise_kernelILi16ENS0_13BinaryFunctorIllbNS0_12_GLOBAL__N_116CompareEqFunctorIlEEEESt5arrayIPcLm3EEEEviT0_T1_
	.p2align	8
	.type	_ZN2at6native29vectorized_elementwise_kernelILi16ENS0_13BinaryFunctorIllbNS0_12_GLOBAL__N_116CompareEqFunctorIlEEEESt5arrayIPcLm3EEEEviT0_T1_,@function
_ZN2at6native29vectorized_elementwise_kernelILi16ENS0_13BinaryFunctorIllbNS0_12_GLOBAL__N_116CompareEqFunctorIlEEEESt5arrayIPcLm3EEEEviT0_T1_: ; @_ZN2at6native29vectorized_elementwise_kernelILi16ENS0_13BinaryFunctorIllbNS0_12_GLOBAL__N_116CompareEqFunctorIlEEEESt5arrayIPcLm3EEEEviT0_T1_
; %bb.0:
	s_clause 0x2
	s_load_b64 s[14:15], s[0:1], 0x0
	s_load_b128 s[16:19], s[0:1], 0x8
	s_load_b64 s[22:23], s[0:1], 0x18
	s_wait_xcnt 0x0
	s_bfe_u32 s0, ttmp6, 0x4000c
	s_and_b32 s1, ttmp6, 15
	s_add_co_i32 s0, s0, 1
	s_getreg_b32 s2, hwreg(HW_REG_IB_STS2, 6, 4)
	s_mul_i32 s0, ttmp9, s0
	s_delay_alu instid0(SALU_CYCLE_1) | instskip(SKIP_2) | instid1(SALU_CYCLE_1)
	s_add_co_i32 s1, s1, s0
	s_cmp_eq_u32 s2, 0
	s_cselect_b32 s0, ttmp9, s1
	s_lshl_b32 s20, s0, 12
	s_mov_b32 s0, -1
	s_wait_kmcnt 0x0
	s_sub_co_i32 s24, s14, s20
	s_delay_alu instid0(SALU_CYCLE_1)
	s_cmp_gt_i32 s24, 0xfff
	s_cbranch_scc0 .LBB48_2
; %bb.1:
	s_ashr_i32 s21, s20, 31
	v_lshlrev_b32_e32 v1, 7, v0
	s_lshl_b64 s[0:1], s[20:21], 3
	s_cmp_eq_u32 s15, 0
	s_add_nc_u64 s[2:3], s[22:23], s[0:1]
	s_add_nc_u64 s[4:5], s[18:19], s[0:1]
	s_clause 0xc
	global_load_b128 v[2:5], v1, s[2:3] offset:32
	global_load_b128 v[6:9], v1, s[4:5] offset:32
	;; [unrolled: 1-line block ×5, first 2 shown]
	global_load_b128 v[22:25], v1, s[4:5]
	global_load_b128 v[26:29], v1, s[2:3] offset:16
	global_load_b128 v[30:33], v1, s[2:3]
	global_load_b128 v[34:37], v1, s[4:5] offset:112
	global_load_b128 v[38:41], v1, s[4:5] offset:96
	;; [unrolled: 1-line block ×5, first 2 shown]
	s_cselect_b32 s25, -1, 0
	s_wait_loadcnt 0xb
	v_cmp_ne_u64_e32 vcc_lo, v[8:9], v[4:5]
	v_cmp_ne_u64_e64 s0, v[6:7], v[2:3]
	s_clause 0x2
	global_load_b128 v[2:5], v1, s[4:5] offset:64
	global_load_b128 v[6:9], v1, s[4:5] offset:80
	;; [unrolled: 1-line block ×3, first 2 shown]
	s_wait_loadcnt 0xc
	v_cmp_ne_u64_e64 s1, v[12:13], v[16:17]
	s_wait_xcnt 0x0
	v_cmp_ne_u64_e64 s2, v[10:11], v[14:15]
	s_wait_loadcnt 0x9
	v_cmp_ne_u64_e64 s5, v[20:21], v[28:29]
	s_wait_loadcnt 0x8
	v_cmp_ne_u64_e64 s3, v[24:25], v[32:33]
	v_cmp_ne_u64_e64 s4, v[22:23], v[30:31]
	s_xor_b32 s0, s25, s0
	v_cmp_ne_u64_e64 s6, v[18:19], v[26:27]
	s_wait_loadcnt 0x4
	v_cmp_ne_u64_e64 s7, v[40:41], v[48:49]
	v_cmp_ne_u64_e64 s8, v[38:39], v[46:47]
	;; [unrolled: 1-line block ×4, first 2 shown]
	s_xor_b32 s26, s25, vcc_lo
	s_delay_alu instid0(SALU_CYCLE_1) | instskip(NEXT) | instid1(VALU_DEP_1)
	v_cndmask_b32_e64 v1, 0, 1, s26
	v_lshlrev_b16 v1, 8, v1
	s_wait_loadcnt 0x2
	v_cmp_ne_u64_e64 s12, v[2:3], v[50:51]
	v_cndmask_b32_e64 v2, 0, 1, s0
	s_xor_b32 s0, s25, s1
	v_cmp_ne_u64_e64 s11, v[4:5], v[52:53]
	v_cndmask_b32_e64 v3, 0, 1, s0
	s_xor_b32 s0, s25, s2
	s_wait_loadcnt 0x0
	v_cmp_ne_u64_e64 s14, v[6:7], v[54:55]
	v_cndmask_b32_e64 v4, 0, 1, s0
	s_xor_b32 s0, s25, s3
	v_cmp_ne_u64_e64 s13, v[8:9], v[56:57]
	v_cndmask_b32_e64 v5, 0, 1, s0
	s_xor_b32 s0, s25, s4
	v_lshlrev_b16 v3, 8, v3
	v_cndmask_b32_e64 v6, 0, 1, s0
	s_xor_b32 s0, s25, s5
	v_lshlrev_b16 v5, 8, v5
	v_cndmask_b32_e64 v7, 0, 1, s0
	s_xor_b32 s0, s25, s6
	v_or_b32_e32 v1, v2, v1
	v_cndmask_b32_e64 v8, 0, 1, s0
	s_xor_b32 s0, s25, s7
	v_lshlrev_b16 v7, 8, v7
	v_cndmask_b32_e64 v9, 0, 1, s0
	s_xor_b32 s0, s25, s8
	v_or_b32_e32 v2, v4, v3
	;; [unrolled: 6-line block ×5, first 2 shown]
	v_cndmask_b32_e64 v16, 0, 1, s0
	v_or_b32_e32 v7, v14, v13
	v_lshlrev_b16 v15, 8, v15
	v_lshlrev_b32_e32 v2, 16, v2
	v_and_b32_e32 v1, 0xffff, v1
	v_dual_lshlrev_b32 v6, 16, v6 :: v_dual_lshlrev_b32 v4, 16, v4
	s_delay_alu instid0(VALU_DEP_4) | instskip(SKIP_3) | instid1(VALU_DEP_4)
	v_or_b32_e32 v8, v16, v15
	v_or_b32_e32 v5, v10, v9
	v_and_b32_e32 v9, 0xffff, v3
	v_and_b32_e32 v7, 0xffff, v7
	v_dual_lshlrev_b32 v8, 16, v8 :: v_dual_bitop2_b32 v3, v1, v2 bitop3:0x54
	s_delay_alu instid0(VALU_DEP_4) | instskip(NEXT) | instid1(VALU_DEP_4)
	v_and_b32_e32 v5, 0xffff, v5
	v_or_b32_e32 v2, v9, v4
	s_add_nc_u64 s[2:3], s[16:17], s[20:21]
	s_mov_b32 s0, 0
	v_or_b32_e32 v4, v7, v8
	v_or_b32_e32 v5, v5, v6
	global_store_b128 v0, v[2:5], s[2:3] scale_offset
.LBB48_2:
	s_and_not1_b32 vcc_lo, exec_lo, s0
	s_cbranch_vccnz .LBB48_52
; %bb.3:
	v_cmp_gt_i32_e32 vcc_lo, s24, v0
	s_wait_xcnt 0x0
	v_dual_mov_b32 v3, v0 :: v_dual_bitop2_b32 v1, s20, v0 bitop3:0x54
	v_or_b32_e32 v2, 0x100, v0
	s_mov_b32 s1, 0
	s_mov_b32 s2, 0
	s_and_saveexec_b32 s3, vcc_lo
	s_cbranch_execz .LBB48_5
; %bb.4:
	s_clause 0x1
	global_load_b64 v[4:5], v1, s[18:19] scale_offset
	global_load_b64 v[6:7], v1, s[22:23] scale_offset
	v_or_b32_e32 v3, 0x100, v0
	s_wait_loadcnt 0x0
	v_cmp_ne_u64_e64 s0, v[4:5], v[6:7]
	s_and_b32 s2, s0, exec_lo
.LBB48_5:
	s_wait_xcnt 0x0
	s_or_b32 exec_lo, exec_lo, s3
	s_delay_alu instid0(SALU_CYCLE_1)
	s_mov_b32 s3, exec_lo
	v_cmpx_gt_i32_e64 s24, v3
	s_cbranch_execz .LBB48_7
; %bb.6:
	v_add_nc_u32_e32 v8, s20, v3
	v_add_nc_u32_e32 v3, 0x100, v3
	s_clause 0x1
	global_load_b64 v[4:5], v8, s[18:19] scale_offset
	global_load_b64 v[6:7], v8, s[22:23] scale_offset
	s_wait_loadcnt 0x0
	v_cmp_ne_u64_e64 s0, v[4:5], v[6:7]
	s_and_b32 s1, s0, exec_lo
.LBB48_7:
	s_wait_xcnt 0x0
	s_or_b32 exec_lo, exec_lo, s3
	s_mov_b32 s3, 0
	s_mov_b32 s5, 0
	s_mov_b32 s4, exec_lo
	v_cmpx_gt_i32_e64 s24, v3
	s_cbranch_execz .LBB48_9
; %bb.8:
	v_add_nc_u32_e32 v8, s20, v3
	v_add_nc_u32_e32 v3, 0x100, v3
	s_clause 0x1
	global_load_b64 v[4:5], v8, s[18:19] scale_offset
	global_load_b64 v[6:7], v8, s[22:23] scale_offset
	s_wait_loadcnt 0x0
	v_cmp_ne_u64_e64 s0, v[4:5], v[6:7]
	s_and_b32 s5, s0, exec_lo
.LBB48_9:
	s_wait_xcnt 0x0
	s_or_b32 exec_lo, exec_lo, s4
	s_delay_alu instid0(SALU_CYCLE_1)
	s_mov_b32 s4, exec_lo
	v_cmpx_gt_i32_e64 s24, v3
	s_cbranch_execz .LBB48_11
; %bb.10:
	v_add_nc_u32_e32 v8, s20, v3
	v_add_nc_u32_e32 v3, 0x100, v3
	s_clause 0x1
	global_load_b64 v[4:5], v8, s[18:19] scale_offset
	global_load_b64 v[6:7], v8, s[22:23] scale_offset
	s_wait_loadcnt 0x0
	v_cmp_ne_u64_e64 s0, v[4:5], v[6:7]
	s_and_b32 s3, s0, exec_lo
.LBB48_11:
	s_wait_xcnt 0x0
	s_or_b32 exec_lo, exec_lo, s4
	s_mov_b32 s4, 0
	s_mov_b32 s7, 0
	s_mov_b32 s6, exec_lo
	v_cmpx_gt_i32_e64 s24, v3
	s_cbranch_execz .LBB48_13
; %bb.12:
	v_add_nc_u32_e32 v8, s20, v3
	v_add_nc_u32_e32 v3, 0x100, v3
	s_clause 0x1
	global_load_b64 v[4:5], v8, s[18:19] scale_offset
	global_load_b64 v[6:7], v8, s[22:23] scale_offset
	s_wait_loadcnt 0x0
	v_cmp_ne_u64_e64 s0, v[4:5], v[6:7]
	s_and_b32 s7, s0, exec_lo
.LBB48_13:
	s_wait_xcnt 0x0
	s_or_b32 exec_lo, exec_lo, s6
	s_delay_alu instid0(SALU_CYCLE_1)
	s_mov_b32 s6, exec_lo
	v_cmpx_gt_i32_e64 s24, v3
	s_cbranch_execz .LBB48_15
; %bb.14:
	v_add_nc_u32_e32 v8, s20, v3
	v_add_nc_u32_e32 v3, 0x100, v3
	s_clause 0x1
	global_load_b64 v[4:5], v8, s[18:19] scale_offset
	global_load_b64 v[6:7], v8, s[22:23] scale_offset
	s_wait_loadcnt 0x0
	v_cmp_ne_u64_e64 s0, v[4:5], v[6:7]
	s_and_b32 s4, s0, exec_lo
.LBB48_15:
	s_wait_xcnt 0x0
	s_or_b32 exec_lo, exec_lo, s6
	s_mov_b32 s6, 0
	s_mov_b32 s9, 0
	s_mov_b32 s8, exec_lo
	v_cmpx_gt_i32_e64 s24, v3
	s_cbranch_execz .LBB48_17
; %bb.16:
	v_add_nc_u32_e32 v8, s20, v3
	v_add_nc_u32_e32 v3, 0x100, v3
	s_clause 0x1
	global_load_b64 v[4:5], v8, s[18:19] scale_offset
	global_load_b64 v[6:7], v8, s[22:23] scale_offset
	s_wait_loadcnt 0x0
	v_cmp_ne_u64_e64 s0, v[4:5], v[6:7]
	s_and_b32 s9, s0, exec_lo
.LBB48_17:
	s_wait_xcnt 0x0
	s_or_b32 exec_lo, exec_lo, s8
	s_delay_alu instid0(SALU_CYCLE_1)
	s_mov_b32 s8, exec_lo
	v_cmpx_gt_i32_e64 s24, v3
	s_cbranch_execz .LBB48_19
; %bb.18:
	v_add_nc_u32_e32 v8, s20, v3
	v_add_nc_u32_e32 v3, 0x100, v3
	s_clause 0x1
	global_load_b64 v[4:5], v8, s[18:19] scale_offset
	global_load_b64 v[6:7], v8, s[22:23] scale_offset
	s_wait_loadcnt 0x0
	v_cmp_ne_u64_e64 s0, v[4:5], v[6:7]
	s_and_b32 s6, s0, exec_lo
.LBB48_19:
	s_wait_xcnt 0x0
	s_or_b32 exec_lo, exec_lo, s8
	s_mov_b32 s8, 0
	s_mov_b32 s11, 0
	s_mov_b32 s10, exec_lo
	v_cmpx_gt_i32_e64 s24, v3
	s_cbranch_execz .LBB48_21
; %bb.20:
	v_add_nc_u32_e32 v8, s20, v3
	v_add_nc_u32_e32 v3, 0x100, v3
	s_clause 0x1
	global_load_b64 v[4:5], v8, s[18:19] scale_offset
	global_load_b64 v[6:7], v8, s[22:23] scale_offset
	s_wait_loadcnt 0x0
	v_cmp_ne_u64_e64 s0, v[4:5], v[6:7]
	s_and_b32 s11, s0, exec_lo
.LBB48_21:
	s_wait_xcnt 0x0
	s_or_b32 exec_lo, exec_lo, s10
	s_delay_alu instid0(SALU_CYCLE_1)
	s_mov_b32 s10, exec_lo
	v_cmpx_gt_i32_e64 s24, v3
	s_cbranch_execz .LBB48_23
; %bb.22:
	v_add_nc_u32_e32 v8, s20, v3
	v_add_nc_u32_e32 v3, 0x100, v3
	s_clause 0x1
	global_load_b64 v[4:5], v8, s[18:19] scale_offset
	global_load_b64 v[6:7], v8, s[22:23] scale_offset
	s_wait_loadcnt 0x0
	v_cmp_ne_u64_e64 s0, v[4:5], v[6:7]
	s_and_b32 s8, s0, exec_lo
.LBB48_23:
	s_wait_xcnt 0x0
	s_or_b32 exec_lo, exec_lo, s10
	s_mov_b32 s10, 0
	s_mov_b32 s13, 0
	s_mov_b32 s12, exec_lo
	v_cmpx_gt_i32_e64 s24, v3
	s_cbranch_execz .LBB48_25
; %bb.24:
	v_add_nc_u32_e32 v8, s20, v3
	v_add_nc_u32_e32 v3, 0x100, v3
	s_clause 0x1
	global_load_b64 v[4:5], v8, s[18:19] scale_offset
	global_load_b64 v[6:7], v8, s[22:23] scale_offset
	s_wait_loadcnt 0x0
	v_cmp_ne_u64_e64 s0, v[4:5], v[6:7]
	s_and_b32 s13, s0, exec_lo
.LBB48_25:
	s_wait_xcnt 0x0
	s_or_b32 exec_lo, exec_lo, s12
	s_delay_alu instid0(SALU_CYCLE_1)
	s_mov_b32 s12, exec_lo
	v_cmpx_gt_i32_e64 s24, v3
	s_cbranch_execz .LBB48_27
; %bb.26:
	v_add_nc_u32_e32 v8, s20, v3
	v_add_nc_u32_e32 v3, 0x100, v3
	s_clause 0x1
	global_load_b64 v[4:5], v8, s[18:19] scale_offset
	global_load_b64 v[6:7], v8, s[22:23] scale_offset
	s_wait_loadcnt 0x0
	v_cmp_ne_u64_e64 s0, v[4:5], v[6:7]
	s_and_b32 s10, s0, exec_lo
.LBB48_27:
	s_wait_xcnt 0x0
	s_or_b32 exec_lo, exec_lo, s12
	s_mov_b32 s12, 0
	s_mov_b32 s21, 0
	s_mov_b32 s14, exec_lo
	v_cmpx_gt_i32_e64 s24, v3
	s_cbranch_execz .LBB48_29
; %bb.28:
	v_add_nc_u32_e32 v8, s20, v3
	v_add_nc_u32_e32 v3, 0x100, v3
	s_clause 0x1
	global_load_b64 v[4:5], v8, s[18:19] scale_offset
	global_load_b64 v[6:7], v8, s[22:23] scale_offset
	s_wait_loadcnt 0x0
	v_cmp_ne_u64_e64 s0, v[4:5], v[6:7]
	s_and_b32 s21, s0, exec_lo
.LBB48_29:
	s_wait_xcnt 0x0
	s_or_b32 exec_lo, exec_lo, s14
	s_delay_alu instid0(SALU_CYCLE_1)
	s_mov_b32 s14, exec_lo
	v_cmpx_gt_i32_e64 s24, v3
	s_cbranch_execz .LBB48_31
; %bb.30:
	v_add_nc_u32_e32 v8, s20, v3
	v_add_nc_u32_e32 v3, 0x100, v3
	s_clause 0x1
	global_load_b64 v[4:5], v8, s[18:19] scale_offset
	global_load_b64 v[6:7], v8, s[22:23] scale_offset
	s_wait_loadcnt 0x0
	v_cmp_ne_u64_e64 s0, v[4:5], v[6:7]
	s_and_b32 s12, s0, exec_lo
.LBB48_31:
	s_wait_xcnt 0x0
	s_or_b32 exec_lo, exec_lo, s14
	s_mov_b32 s14, 0
	s_mov_b32 s25, 0
	s_mov_b32 s26, exec_lo
	v_cmpx_gt_i32_e64 s24, v3
	s_cbranch_execz .LBB48_33
; %bb.32:
	v_add_nc_u32_e32 v8, s20, v3
	v_add_nc_u32_e32 v3, 0x100, v3
	s_clause 0x1
	global_load_b64 v[4:5], v8, s[18:19] scale_offset
	global_load_b64 v[6:7], v8, s[22:23] scale_offset
	s_wait_loadcnt 0x0
	v_cmp_ne_u64_e64 s0, v[4:5], v[6:7]
	s_and_b32 s25, s0, exec_lo
.LBB48_33:
	s_wait_xcnt 0x0
	s_or_b32 exec_lo, exec_lo, s26
	s_delay_alu instid0(SALU_CYCLE_1)
	s_mov_b32 s26, exec_lo
	v_cmpx_gt_i32_e64 s24, v3
	s_cbranch_execz .LBB48_35
; %bb.34:
	v_add_nc_u32_e32 v3, s20, v3
	s_clause 0x1
	global_load_b64 v[4:5], v3, s[18:19] scale_offset
	global_load_b64 v[6:7], v3, s[22:23] scale_offset
	s_wait_loadcnt 0x0
	v_cmp_ne_u64_e64 s0, v[4:5], v[6:7]
	s_and_b32 s14, s0, exec_lo
.LBB48_35:
	s_wait_xcnt 0x0
	s_or_b32 exec_lo, exec_lo, s26
	s_cmp_eq_u32 s15, 0
	s_cselect_b32 s0, -1, 0
	s_and_saveexec_b32 s15, vcc_lo
	s_cbranch_execnz .LBB48_53
; %bb.36:
	s_or_b32 exec_lo, exec_lo, s15
	s_delay_alu instid0(SALU_CYCLE_1)
	s_mov_b32 s2, exec_lo
	v_cmpx_gt_i32_e64 s24, v0
	s_cbranch_execnz .LBB48_54
.LBB48_37:
	s_or_b32 exec_lo, exec_lo, s2
	s_delay_alu instid0(SALU_CYCLE_1)
	s_mov_b32 s1, exec_lo
	v_cmpx_gt_i32_e64 s24, v0
	s_cbranch_execnz .LBB48_55
.LBB48_38:
	s_or_b32 exec_lo, exec_lo, s1
	s_delay_alu instid0(SALU_CYCLE_1)
	s_mov_b32 s1, exec_lo
	v_cmpx_gt_i32_e64 s24, v0
	s_cbranch_execnz .LBB48_56
.LBB48_39:
	s_or_b32 exec_lo, exec_lo, s1
	s_delay_alu instid0(SALU_CYCLE_1)
	s_mov_b32 s1, exec_lo
	v_cmpx_gt_i32_e64 s24, v0
	s_cbranch_execnz .LBB48_57
.LBB48_40:
	s_or_b32 exec_lo, exec_lo, s1
	s_delay_alu instid0(SALU_CYCLE_1)
	s_mov_b32 s1, exec_lo
	v_cmpx_gt_i32_e64 s24, v0
	s_cbranch_execnz .LBB48_58
.LBB48_41:
	s_or_b32 exec_lo, exec_lo, s1
	s_delay_alu instid0(SALU_CYCLE_1)
	s_mov_b32 s1, exec_lo
	v_cmpx_gt_i32_e64 s24, v0
	s_cbranch_execnz .LBB48_59
.LBB48_42:
	s_or_b32 exec_lo, exec_lo, s1
	s_delay_alu instid0(SALU_CYCLE_1)
	s_mov_b32 s1, exec_lo
	v_cmpx_gt_i32_e64 s24, v0
	s_cbranch_execnz .LBB48_60
.LBB48_43:
	s_or_b32 exec_lo, exec_lo, s1
	s_delay_alu instid0(SALU_CYCLE_1)
	s_mov_b32 s1, exec_lo
	v_cmpx_gt_i32_e64 s24, v0
	s_cbranch_execnz .LBB48_61
.LBB48_44:
	s_or_b32 exec_lo, exec_lo, s1
	s_delay_alu instid0(SALU_CYCLE_1)
	s_mov_b32 s1, exec_lo
	v_cmpx_gt_i32_e64 s24, v0
	s_cbranch_execnz .LBB48_62
.LBB48_45:
	s_or_b32 exec_lo, exec_lo, s1
	s_delay_alu instid0(SALU_CYCLE_1)
	s_mov_b32 s1, exec_lo
	v_cmpx_gt_i32_e64 s24, v0
	s_cbranch_execnz .LBB48_63
.LBB48_46:
	s_or_b32 exec_lo, exec_lo, s1
	s_delay_alu instid0(SALU_CYCLE_1)
	s_mov_b32 s1, exec_lo
	v_cmpx_gt_i32_e64 s24, v0
	s_cbranch_execnz .LBB48_64
.LBB48_47:
	s_or_b32 exec_lo, exec_lo, s1
	s_delay_alu instid0(SALU_CYCLE_1)
	s_mov_b32 s1, exec_lo
	v_cmpx_gt_i32_e64 s24, v0
	s_cbranch_execnz .LBB48_65
.LBB48_48:
	s_or_b32 exec_lo, exec_lo, s1
	s_delay_alu instid0(SALU_CYCLE_1)
	s_mov_b32 s1, exec_lo
	v_cmpx_gt_i32_e64 s24, v0
	s_cbranch_execnz .LBB48_66
.LBB48_49:
	s_or_b32 exec_lo, exec_lo, s1
	s_delay_alu instid0(SALU_CYCLE_1)
	s_mov_b32 s1, exec_lo
	v_cmpx_gt_i32_e64 s24, v0
	s_cbranch_execnz .LBB48_67
.LBB48_50:
	s_or_b32 exec_lo, exec_lo, s1
	s_delay_alu instid0(SALU_CYCLE_1)
	s_mov_b32 s1, exec_lo
	v_cmpx_gt_i32_e64 s24, v0
	s_cbranch_execz .LBB48_52
.LBB48_51:
	s_xor_b32 s0, s0, s14
	v_add_nc_u32_e32 v0, s20, v0
	v_cndmask_b32_e64 v1, 0, 1, s0
	global_store_b8 v0, v1, s[16:17]
.LBB48_52:
	s_endpgm
.LBB48_53:
	s_xor_b32 s2, s0, s2
	v_mov_b32_e32 v0, v2
	v_cndmask_b32_e64 v3, 0, 1, s2
	global_store_b8 v1, v3, s[16:17]
	s_wait_xcnt 0x0
	s_or_b32 exec_lo, exec_lo, s15
	s_delay_alu instid0(SALU_CYCLE_1)
	s_mov_b32 s2, exec_lo
	v_cmpx_gt_i32_e64 s24, v0
	s_cbranch_execz .LBB48_37
.LBB48_54:
	s_xor_b32 s1, s0, s1
	v_add_nc_u32_e32 v2, s20, v0
	v_cndmask_b32_e64 v1, 0, 1, s1
	v_add_nc_u32_e32 v0, 0x100, v0
	global_store_b8 v2, v1, s[16:17]
	s_wait_xcnt 0x0
	s_or_b32 exec_lo, exec_lo, s2
	s_delay_alu instid0(SALU_CYCLE_1)
	s_mov_b32 s1, exec_lo
	v_cmpx_gt_i32_e64 s24, v0
	s_cbranch_execz .LBB48_38
.LBB48_55:
	s_xor_b32 s2, s0, s5
	v_add_nc_u32_e32 v2, s20, v0
	v_cndmask_b32_e64 v1, 0, 1, s2
	v_add_nc_u32_e32 v0, 0x100, v0
	global_store_b8 v2, v1, s[16:17]
	s_wait_xcnt 0x0
	s_or_b32 exec_lo, exec_lo, s1
	s_delay_alu instid0(SALU_CYCLE_1)
	s_mov_b32 s1, exec_lo
	v_cmpx_gt_i32_e64 s24, v0
	s_cbranch_execz .LBB48_39
.LBB48_56:
	s_xor_b32 s2, s0, s3
	v_add_nc_u32_e32 v2, s20, v0
	v_cndmask_b32_e64 v1, 0, 1, s2
	v_add_nc_u32_e32 v0, 0x100, v0
	global_store_b8 v2, v1, s[16:17]
	s_wait_xcnt 0x0
	s_or_b32 exec_lo, exec_lo, s1
	s_delay_alu instid0(SALU_CYCLE_1)
	s_mov_b32 s1, exec_lo
	v_cmpx_gt_i32_e64 s24, v0
	s_cbranch_execz .LBB48_40
.LBB48_57:
	s_xor_b32 s2, s0, s7
	v_add_nc_u32_e32 v2, s20, v0
	v_cndmask_b32_e64 v1, 0, 1, s2
	v_add_nc_u32_e32 v0, 0x100, v0
	global_store_b8 v2, v1, s[16:17]
	s_wait_xcnt 0x0
	s_or_b32 exec_lo, exec_lo, s1
	s_delay_alu instid0(SALU_CYCLE_1)
	s_mov_b32 s1, exec_lo
	v_cmpx_gt_i32_e64 s24, v0
	s_cbranch_execz .LBB48_41
.LBB48_58:
	s_xor_b32 s2, s0, s4
	v_add_nc_u32_e32 v2, s20, v0
	v_cndmask_b32_e64 v1, 0, 1, s2
	v_add_nc_u32_e32 v0, 0x100, v0
	global_store_b8 v2, v1, s[16:17]
	s_wait_xcnt 0x0
	s_or_b32 exec_lo, exec_lo, s1
	s_delay_alu instid0(SALU_CYCLE_1)
	s_mov_b32 s1, exec_lo
	v_cmpx_gt_i32_e64 s24, v0
	s_cbranch_execz .LBB48_42
.LBB48_59:
	s_xor_b32 s2, s0, s9
	v_add_nc_u32_e32 v2, s20, v0
	v_cndmask_b32_e64 v1, 0, 1, s2
	v_add_nc_u32_e32 v0, 0x100, v0
	global_store_b8 v2, v1, s[16:17]
	s_wait_xcnt 0x0
	s_or_b32 exec_lo, exec_lo, s1
	s_delay_alu instid0(SALU_CYCLE_1)
	s_mov_b32 s1, exec_lo
	v_cmpx_gt_i32_e64 s24, v0
	s_cbranch_execz .LBB48_43
.LBB48_60:
	s_xor_b32 s2, s0, s6
	v_add_nc_u32_e32 v2, s20, v0
	v_cndmask_b32_e64 v1, 0, 1, s2
	v_add_nc_u32_e32 v0, 0x100, v0
	global_store_b8 v2, v1, s[16:17]
	s_wait_xcnt 0x0
	s_or_b32 exec_lo, exec_lo, s1
	s_delay_alu instid0(SALU_CYCLE_1)
	s_mov_b32 s1, exec_lo
	v_cmpx_gt_i32_e64 s24, v0
	s_cbranch_execz .LBB48_44
.LBB48_61:
	s_xor_b32 s2, s0, s11
	v_add_nc_u32_e32 v2, s20, v0
	v_cndmask_b32_e64 v1, 0, 1, s2
	v_add_nc_u32_e32 v0, 0x100, v0
	global_store_b8 v2, v1, s[16:17]
	s_wait_xcnt 0x0
	s_or_b32 exec_lo, exec_lo, s1
	s_delay_alu instid0(SALU_CYCLE_1)
	s_mov_b32 s1, exec_lo
	v_cmpx_gt_i32_e64 s24, v0
	s_cbranch_execz .LBB48_45
.LBB48_62:
	s_xor_b32 s2, s0, s8
	v_add_nc_u32_e32 v2, s20, v0
	v_cndmask_b32_e64 v1, 0, 1, s2
	v_add_nc_u32_e32 v0, 0x100, v0
	global_store_b8 v2, v1, s[16:17]
	s_wait_xcnt 0x0
	s_or_b32 exec_lo, exec_lo, s1
	s_delay_alu instid0(SALU_CYCLE_1)
	s_mov_b32 s1, exec_lo
	v_cmpx_gt_i32_e64 s24, v0
	s_cbranch_execz .LBB48_46
.LBB48_63:
	s_xor_b32 s2, s0, s13
	v_add_nc_u32_e32 v2, s20, v0
	v_cndmask_b32_e64 v1, 0, 1, s2
	v_add_nc_u32_e32 v0, 0x100, v0
	global_store_b8 v2, v1, s[16:17]
	s_wait_xcnt 0x0
	s_or_b32 exec_lo, exec_lo, s1
	s_delay_alu instid0(SALU_CYCLE_1)
	s_mov_b32 s1, exec_lo
	v_cmpx_gt_i32_e64 s24, v0
	s_cbranch_execz .LBB48_47
.LBB48_64:
	s_xor_b32 s2, s0, s10
	v_add_nc_u32_e32 v2, s20, v0
	v_cndmask_b32_e64 v1, 0, 1, s2
	v_add_nc_u32_e32 v0, 0x100, v0
	global_store_b8 v2, v1, s[16:17]
	s_wait_xcnt 0x0
	s_or_b32 exec_lo, exec_lo, s1
	s_delay_alu instid0(SALU_CYCLE_1)
	s_mov_b32 s1, exec_lo
	v_cmpx_gt_i32_e64 s24, v0
	s_cbranch_execz .LBB48_48
.LBB48_65:
	s_xor_b32 s2, s0, s21
	v_add_nc_u32_e32 v2, s20, v0
	v_cndmask_b32_e64 v1, 0, 1, s2
	v_add_nc_u32_e32 v0, 0x100, v0
	global_store_b8 v2, v1, s[16:17]
	s_wait_xcnt 0x0
	s_or_b32 exec_lo, exec_lo, s1
	s_delay_alu instid0(SALU_CYCLE_1)
	s_mov_b32 s1, exec_lo
	v_cmpx_gt_i32_e64 s24, v0
	s_cbranch_execz .LBB48_49
.LBB48_66:
	s_xor_b32 s2, s0, s12
	v_add_nc_u32_e32 v2, s20, v0
	v_cndmask_b32_e64 v1, 0, 1, s2
	v_add_nc_u32_e32 v0, 0x100, v0
	global_store_b8 v2, v1, s[16:17]
	s_wait_xcnt 0x0
	s_or_b32 exec_lo, exec_lo, s1
	s_delay_alu instid0(SALU_CYCLE_1)
	s_mov_b32 s1, exec_lo
	v_cmpx_gt_i32_e64 s24, v0
	s_cbranch_execz .LBB48_50
.LBB48_67:
	s_xor_b32 s2, s0, s25
	v_add_nc_u32_e32 v2, s20, v0
	v_cndmask_b32_e64 v1, 0, 1, s2
	v_add_nc_u32_e32 v0, 0x100, v0
	global_store_b8 v2, v1, s[16:17]
	s_wait_xcnt 0x0
	s_or_b32 exec_lo, exec_lo, s1
	s_delay_alu instid0(SALU_CYCLE_1)
	s_mov_b32 s1, exec_lo
	v_cmpx_gt_i32_e64 s24, v0
	s_cbranch_execnz .LBB48_51
	s_branch .LBB48_52
	.section	.rodata,"a",@progbits
	.p2align	6, 0x0
	.amdhsa_kernel _ZN2at6native29vectorized_elementwise_kernelILi16ENS0_13BinaryFunctorIllbNS0_12_GLOBAL__N_116CompareEqFunctorIlEEEESt5arrayIPcLm3EEEEviT0_T1_
		.amdhsa_group_segment_fixed_size 0
		.amdhsa_private_segment_fixed_size 0
		.amdhsa_kernarg_size 32
		.amdhsa_user_sgpr_count 2
		.amdhsa_user_sgpr_dispatch_ptr 0
		.amdhsa_user_sgpr_queue_ptr 0
		.amdhsa_user_sgpr_kernarg_segment_ptr 1
		.amdhsa_user_sgpr_dispatch_id 0
		.amdhsa_user_sgpr_kernarg_preload_length 0
		.amdhsa_user_sgpr_kernarg_preload_offset 0
		.amdhsa_user_sgpr_private_segment_size 0
		.amdhsa_wavefront_size32 1
		.amdhsa_uses_dynamic_stack 0
		.amdhsa_enable_private_segment 0
		.amdhsa_system_sgpr_workgroup_id_x 1
		.amdhsa_system_sgpr_workgroup_id_y 0
		.amdhsa_system_sgpr_workgroup_id_z 0
		.amdhsa_system_sgpr_workgroup_info 0
		.amdhsa_system_vgpr_workitem_id 0
		.amdhsa_next_free_vgpr 58
		.amdhsa_next_free_sgpr 27
		.amdhsa_named_barrier_count 0
		.amdhsa_reserve_vcc 1
		.amdhsa_float_round_mode_32 0
		.amdhsa_float_round_mode_16_64 0
		.amdhsa_float_denorm_mode_32 3
		.amdhsa_float_denorm_mode_16_64 3
		.amdhsa_fp16_overflow 0
		.amdhsa_memory_ordered 1
		.amdhsa_forward_progress 1
		.amdhsa_inst_pref_size 29
		.amdhsa_round_robin_scheduling 0
		.amdhsa_exception_fp_ieee_invalid_op 0
		.amdhsa_exception_fp_denorm_src 0
		.amdhsa_exception_fp_ieee_div_zero 0
		.amdhsa_exception_fp_ieee_overflow 0
		.amdhsa_exception_fp_ieee_underflow 0
		.amdhsa_exception_fp_ieee_inexact 0
		.amdhsa_exception_int_div_zero 0
	.end_amdhsa_kernel
	.section	.text._ZN2at6native29vectorized_elementwise_kernelILi16ENS0_13BinaryFunctorIllbNS0_12_GLOBAL__N_116CompareEqFunctorIlEEEESt5arrayIPcLm3EEEEviT0_T1_,"axG",@progbits,_ZN2at6native29vectorized_elementwise_kernelILi16ENS0_13BinaryFunctorIllbNS0_12_GLOBAL__N_116CompareEqFunctorIlEEEESt5arrayIPcLm3EEEEviT0_T1_,comdat
.Lfunc_end48:
	.size	_ZN2at6native29vectorized_elementwise_kernelILi16ENS0_13BinaryFunctorIllbNS0_12_GLOBAL__N_116CompareEqFunctorIlEEEESt5arrayIPcLm3EEEEviT0_T1_, .Lfunc_end48-_ZN2at6native29vectorized_elementwise_kernelILi16ENS0_13BinaryFunctorIllbNS0_12_GLOBAL__N_116CompareEqFunctorIlEEEESt5arrayIPcLm3EEEEviT0_T1_
                                        ; -- End function
	.set _ZN2at6native29vectorized_elementwise_kernelILi16ENS0_13BinaryFunctorIllbNS0_12_GLOBAL__N_116CompareEqFunctorIlEEEESt5arrayIPcLm3EEEEviT0_T1_.num_vgpr, 58
	.set _ZN2at6native29vectorized_elementwise_kernelILi16ENS0_13BinaryFunctorIllbNS0_12_GLOBAL__N_116CompareEqFunctorIlEEEESt5arrayIPcLm3EEEEviT0_T1_.num_agpr, 0
	.set _ZN2at6native29vectorized_elementwise_kernelILi16ENS0_13BinaryFunctorIllbNS0_12_GLOBAL__N_116CompareEqFunctorIlEEEESt5arrayIPcLm3EEEEviT0_T1_.numbered_sgpr, 27
	.set _ZN2at6native29vectorized_elementwise_kernelILi16ENS0_13BinaryFunctorIllbNS0_12_GLOBAL__N_116CompareEqFunctorIlEEEESt5arrayIPcLm3EEEEviT0_T1_.num_named_barrier, 0
	.set _ZN2at6native29vectorized_elementwise_kernelILi16ENS0_13BinaryFunctorIllbNS0_12_GLOBAL__N_116CompareEqFunctorIlEEEESt5arrayIPcLm3EEEEviT0_T1_.private_seg_size, 0
	.set _ZN2at6native29vectorized_elementwise_kernelILi16ENS0_13BinaryFunctorIllbNS0_12_GLOBAL__N_116CompareEqFunctorIlEEEESt5arrayIPcLm3EEEEviT0_T1_.uses_vcc, 1
	.set _ZN2at6native29vectorized_elementwise_kernelILi16ENS0_13BinaryFunctorIllbNS0_12_GLOBAL__N_116CompareEqFunctorIlEEEESt5arrayIPcLm3EEEEviT0_T1_.uses_flat_scratch, 0
	.set _ZN2at6native29vectorized_elementwise_kernelILi16ENS0_13BinaryFunctorIllbNS0_12_GLOBAL__N_116CompareEqFunctorIlEEEESt5arrayIPcLm3EEEEviT0_T1_.has_dyn_sized_stack, 0
	.set _ZN2at6native29vectorized_elementwise_kernelILi16ENS0_13BinaryFunctorIllbNS0_12_GLOBAL__N_116CompareEqFunctorIlEEEESt5arrayIPcLm3EEEEviT0_T1_.has_recursion, 0
	.set _ZN2at6native29vectorized_elementwise_kernelILi16ENS0_13BinaryFunctorIllbNS0_12_GLOBAL__N_116CompareEqFunctorIlEEEESt5arrayIPcLm3EEEEviT0_T1_.has_indirect_call, 0
	.section	.AMDGPU.csdata,"",@progbits
; Kernel info:
; codeLenInByte = 3636
; TotalNumSgprs: 29
; NumVgprs: 58
; ScratchSize: 0
; MemoryBound: 1
; FloatMode: 240
; IeeeMode: 1
; LDSByteSize: 0 bytes/workgroup (compile time only)
; SGPRBlocks: 0
; VGPRBlocks: 3
; NumSGPRsForWavesPerEU: 29
; NumVGPRsForWavesPerEU: 58
; NamedBarCnt: 0
; Occupancy: 16
; WaveLimiterHint : 0
; COMPUTE_PGM_RSRC2:SCRATCH_EN: 0
; COMPUTE_PGM_RSRC2:USER_SGPR: 2
; COMPUTE_PGM_RSRC2:TRAP_HANDLER: 0
; COMPUTE_PGM_RSRC2:TGID_X_EN: 1
; COMPUTE_PGM_RSRC2:TGID_Y_EN: 0
; COMPUTE_PGM_RSRC2:TGID_Z_EN: 0
; COMPUTE_PGM_RSRC2:TIDIG_COMP_CNT: 0
	.section	.text._ZN2at6native29vectorized_elementwise_kernelILi8ENS0_13BinaryFunctorIllbNS0_12_GLOBAL__N_116CompareEqFunctorIlEEEESt5arrayIPcLm3EEEEviT0_T1_,"axG",@progbits,_ZN2at6native29vectorized_elementwise_kernelILi8ENS0_13BinaryFunctorIllbNS0_12_GLOBAL__N_116CompareEqFunctorIlEEEESt5arrayIPcLm3EEEEviT0_T1_,comdat
	.globl	_ZN2at6native29vectorized_elementwise_kernelILi8ENS0_13BinaryFunctorIllbNS0_12_GLOBAL__N_116CompareEqFunctorIlEEEESt5arrayIPcLm3EEEEviT0_T1_ ; -- Begin function _ZN2at6native29vectorized_elementwise_kernelILi8ENS0_13BinaryFunctorIllbNS0_12_GLOBAL__N_116CompareEqFunctorIlEEEESt5arrayIPcLm3EEEEviT0_T1_
	.p2align	8
	.type	_ZN2at6native29vectorized_elementwise_kernelILi8ENS0_13BinaryFunctorIllbNS0_12_GLOBAL__N_116CompareEqFunctorIlEEEESt5arrayIPcLm3EEEEviT0_T1_,@function
_ZN2at6native29vectorized_elementwise_kernelILi8ENS0_13BinaryFunctorIllbNS0_12_GLOBAL__N_116CompareEqFunctorIlEEEESt5arrayIPcLm3EEEEviT0_T1_: ; @_ZN2at6native29vectorized_elementwise_kernelILi8ENS0_13BinaryFunctorIllbNS0_12_GLOBAL__N_116CompareEqFunctorIlEEEESt5arrayIPcLm3EEEEviT0_T1_
; %bb.0:
	s_clause 0x2
	s_load_b64 s[14:15], s[0:1], 0x0
	s_load_b128 s[16:19], s[0:1], 0x8
	s_load_b64 s[22:23], s[0:1], 0x18
	s_wait_xcnt 0x0
	s_bfe_u32 s0, ttmp6, 0x4000c
	s_and_b32 s1, ttmp6, 15
	s_add_co_i32 s0, s0, 1
	s_getreg_b32 s2, hwreg(HW_REG_IB_STS2, 6, 4)
	s_mul_i32 s0, ttmp9, s0
	s_delay_alu instid0(SALU_CYCLE_1) | instskip(SKIP_2) | instid1(SALU_CYCLE_1)
	s_add_co_i32 s1, s1, s0
	s_cmp_eq_u32 s2, 0
	s_cselect_b32 s0, ttmp9, s1
	s_lshl_b32 s20, s0, 12
	s_mov_b32 s0, -1
	s_wait_kmcnt 0x0
	s_sub_co_i32 s24, s14, s20
	s_delay_alu instid0(SALU_CYCLE_1)
	s_cmp_gt_i32 s24, 0xfff
	s_cbranch_scc0 .LBB49_2
; %bb.1:
	s_ashr_i32 s21, s20, 31
	v_lshlrev_b32_e32 v1, 6, v0
	s_lshl_b64 s[0:1], s[20:21], 3
	s_cmp_eq_u32 s15, 0
	s_add_nc_u64 s[2:3], s[22:23], s[0:1]
	s_add_nc_u64 s[4:5], s[18:19], s[0:1]
	s_clause 0xc
	global_load_b128 v[2:5], v1, s[2:3]
	global_load_b128 v[6:9], v1, s[4:5]
	global_load_b128 v[10:13], v1, s[4:5] offset:16
	global_load_b128 v[14:17], v1, s[2:3] offset:16
	;; [unrolled: 1-line block ×11, first 2 shown]
	s_cselect_b32 s25, -1, 0
	s_wait_loadcnt 0xb
	v_cmp_ne_u64_e32 vcc_lo, v[6:7], v[2:3]
	v_cmp_ne_u64_e64 s0, v[8:9], v[4:5]
	s_clause 0x2
	global_load_b128 v[2:5], v1, s[4:5] offset:16416
	global_load_b128 v[6:9], v1, s[4:5] offset:16432
	;; [unrolled: 1-line block ×3, first 2 shown]
	s_wait_loadcnt 0xc
	v_cmp_ne_u64_e64 s1, v[10:11], v[14:15]
	s_wait_xcnt 0x0
	v_cmp_ne_u64_e64 s2, v[12:13], v[16:17]
	s_wait_loadcnt 0x9
	v_cmp_ne_u64_e64 s5, v[18:19], v[26:27]
	s_wait_loadcnt 0x8
	v_cmp_ne_u64_e64 s3, v[22:23], v[30:31]
	v_cmp_ne_u64_e64 s4, v[24:25], v[32:33]
	s_xor_b32 s0, s25, s0
	v_cmp_ne_u64_e64 s6, v[20:21], v[28:29]
	s_wait_loadcnt 0x4
	v_cmp_ne_u64_e64 s7, v[38:39], v[46:47]
	v_cmp_ne_u64_e64 s8, v[40:41], v[48:49]
	;; [unrolled: 1-line block ×4, first 2 shown]
	s_xor_b32 s26, s25, vcc_lo
	v_or3_b32 v1, 0, 0, 0
	s_wait_loadcnt 0x2
	v_cmp_ne_u64_e64 s11, v[2:3], v[50:51]
	v_cndmask_b32_e64 v3, 0, 0x100, s0
	s_xor_b32 s0, s25, s1
	v_cmp_ne_u64_e64 s12, v[4:5], v[52:53]
	v_cndmask_b32_e64 v4, 0, 0x10000, s0
	s_xor_b32 s0, s25, s2
	s_wait_loadcnt 0x0
	v_cmp_ne_u64_e64 s13, v[6:7], v[54:55]
	v_cndmask_b32_e64 v5, 0, 0x1000000, s0
	s_xor_b32 s0, s25, s3
	v_cmp_ne_u64_e64 s14, v[8:9], v[56:57]
	v_cndmask_b32_e64 v6, 0, 1, s0
	s_xor_b32 s0, s25, s4
	v_cndmask_b32_e64 v2, 0, 1, s26
	v_cndmask_b32_e64 v7, 0, 0x100, s0
	s_xor_b32 s0, s25, s5
	s_add_nc_u64 s[2:3], s[16:17], s[20:21]
	v_cndmask_b32_e64 v8, 0, 0x10000, s0
	s_xor_b32 s0, s25, s6
	v_or_b32_e32 v2, v3, v2
	v_cndmask_b32_e64 v9, 0, 0x1000000, s0
	s_xor_b32 s0, s25, s7
	s_delay_alu instid0(SALU_CYCLE_1)
	v_cndmask_b32_e64 v10, 0, 1, s0
	s_xor_b32 s0, s25, s8
	v_or3_b32 v2, v2, v4, v5
	v_cndmask_b32_e64 v11, 0, 0x100, s0
	s_xor_b32 s0, s25, s9
	v_or3_b32 v5, v1, v6, v7
	v_cndmask_b32_e64 v12, 0, 0x10000, s0
	s_xor_b32 s0, s25, s10
	v_or_b32_e32 v3, v11, v10
	v_cndmask_b32_e64 v13, 0, 0x1000000, s0
	s_xor_b32 s0, s25, s11
	v_or3_b32 v2, v2, 0, 0
	v_cndmask_b32_e64 v14, 0, 1, s0
	s_xor_b32 s0, s25, s12
	v_or3_b32 v3, v3, v12, v13
	;; [unrolled: 3-line block ×4, first 2 shown]
	v_cndmask_b32_e64 v4, 0, 0x1000000, s0
	v_or3_b32 v6, v3, 0, 0
	v_or3_b32 v3, v5, v8, v9
	s_mov_b32 s0, 0
	s_delay_alu instid0(VALU_DEP_3) | instskip(NEXT) | instid1(VALU_DEP_3)
	v_or3_b32 v5, v1, v11, v4
	v_or3_b32 v4, v6, 0, 0
	s_clause 0x1
	global_store_b64 v0, v[2:3], s[2:3] scale_offset
	global_store_b64 v0, v[4:5], s[2:3] offset:2048 scale_offset
.LBB49_2:
	s_and_not1_b32 vcc_lo, exec_lo, s0
	s_cbranch_vccnz .LBB49_52
; %bb.3:
	v_cmp_gt_i32_e32 vcc_lo, s24, v0
	s_wait_xcnt 0x1
	v_dual_mov_b32 v3, v0 :: v_dual_bitop2_b32 v1, s20, v0 bitop3:0x54
	v_or_b32_e32 v2, 0x100, v0
	s_mov_b32 s1, 0
	s_wait_xcnt 0x0
	s_mov_b32 s2, 0
	s_and_saveexec_b32 s3, vcc_lo
	s_cbranch_execz .LBB49_5
; %bb.4:
	s_clause 0x1
	global_load_b64 v[4:5], v1, s[18:19] scale_offset
	global_load_b64 v[6:7], v1, s[22:23] scale_offset
	v_or_b32_e32 v3, 0x100, v0
	s_wait_loadcnt 0x0
	v_cmp_ne_u64_e64 s0, v[4:5], v[6:7]
	s_and_b32 s2, s0, exec_lo
.LBB49_5:
	s_wait_xcnt 0x0
	s_or_b32 exec_lo, exec_lo, s3
	s_delay_alu instid0(SALU_CYCLE_1)
	s_mov_b32 s3, exec_lo
	v_cmpx_gt_i32_e64 s24, v3
	s_cbranch_execz .LBB49_7
; %bb.6:
	v_add_nc_u32_e32 v8, s20, v3
	v_add_nc_u32_e32 v3, 0x100, v3
	s_clause 0x1
	global_load_b64 v[4:5], v8, s[18:19] scale_offset
	global_load_b64 v[6:7], v8, s[22:23] scale_offset
	s_wait_loadcnt 0x0
	v_cmp_ne_u64_e64 s0, v[4:5], v[6:7]
	s_and_b32 s1, s0, exec_lo
.LBB49_7:
	s_wait_xcnt 0x0
	s_or_b32 exec_lo, exec_lo, s3
	s_mov_b32 s3, 0
	s_mov_b32 s5, 0
	s_mov_b32 s4, exec_lo
	v_cmpx_gt_i32_e64 s24, v3
	s_cbranch_execz .LBB49_9
; %bb.8:
	v_add_nc_u32_e32 v8, s20, v3
	v_add_nc_u32_e32 v3, 0x100, v3
	s_clause 0x1
	global_load_b64 v[4:5], v8, s[18:19] scale_offset
	global_load_b64 v[6:7], v8, s[22:23] scale_offset
	s_wait_loadcnt 0x0
	v_cmp_ne_u64_e64 s0, v[4:5], v[6:7]
	s_and_b32 s5, s0, exec_lo
.LBB49_9:
	s_wait_xcnt 0x0
	s_or_b32 exec_lo, exec_lo, s4
	s_delay_alu instid0(SALU_CYCLE_1)
	s_mov_b32 s4, exec_lo
	v_cmpx_gt_i32_e64 s24, v3
	s_cbranch_execz .LBB49_11
; %bb.10:
	v_add_nc_u32_e32 v8, s20, v3
	v_add_nc_u32_e32 v3, 0x100, v3
	s_clause 0x1
	global_load_b64 v[4:5], v8, s[18:19] scale_offset
	global_load_b64 v[6:7], v8, s[22:23] scale_offset
	s_wait_loadcnt 0x0
	v_cmp_ne_u64_e64 s0, v[4:5], v[6:7]
	s_and_b32 s3, s0, exec_lo
.LBB49_11:
	s_wait_xcnt 0x0
	s_or_b32 exec_lo, exec_lo, s4
	s_mov_b32 s4, 0
	s_mov_b32 s7, 0
	s_mov_b32 s6, exec_lo
	v_cmpx_gt_i32_e64 s24, v3
	s_cbranch_execz .LBB49_13
; %bb.12:
	v_add_nc_u32_e32 v8, s20, v3
	v_add_nc_u32_e32 v3, 0x100, v3
	s_clause 0x1
	global_load_b64 v[4:5], v8, s[18:19] scale_offset
	global_load_b64 v[6:7], v8, s[22:23] scale_offset
	s_wait_loadcnt 0x0
	v_cmp_ne_u64_e64 s0, v[4:5], v[6:7]
	s_and_b32 s7, s0, exec_lo
.LBB49_13:
	;; [unrolled: 33-line block ×7, first 2 shown]
	s_wait_xcnt 0x0
	s_or_b32 exec_lo, exec_lo, s26
	s_delay_alu instid0(SALU_CYCLE_1)
	s_mov_b32 s26, exec_lo
	v_cmpx_gt_i32_e64 s24, v3
	s_cbranch_execz .LBB49_35
; %bb.34:
	v_add_nc_u32_e32 v3, s20, v3
	s_clause 0x1
	global_load_b64 v[4:5], v3, s[18:19] scale_offset
	global_load_b64 v[6:7], v3, s[22:23] scale_offset
	s_wait_loadcnt 0x0
	v_cmp_ne_u64_e64 s0, v[4:5], v[6:7]
	s_and_b32 s14, s0, exec_lo
.LBB49_35:
	s_wait_xcnt 0x0
	s_or_b32 exec_lo, exec_lo, s26
	s_cmp_eq_u32 s15, 0
	s_cselect_b32 s0, -1, 0
	s_and_saveexec_b32 s15, vcc_lo
	s_cbranch_execnz .LBB49_53
; %bb.36:
	s_or_b32 exec_lo, exec_lo, s15
	s_delay_alu instid0(SALU_CYCLE_1)
	s_mov_b32 s2, exec_lo
	v_cmpx_gt_i32_e64 s24, v0
	s_cbranch_execnz .LBB49_54
.LBB49_37:
	s_or_b32 exec_lo, exec_lo, s2
	s_delay_alu instid0(SALU_CYCLE_1)
	s_mov_b32 s1, exec_lo
	v_cmpx_gt_i32_e64 s24, v0
	s_cbranch_execnz .LBB49_55
.LBB49_38:
	s_or_b32 exec_lo, exec_lo, s1
	s_delay_alu instid0(SALU_CYCLE_1)
	s_mov_b32 s1, exec_lo
	v_cmpx_gt_i32_e64 s24, v0
	s_cbranch_execnz .LBB49_56
.LBB49_39:
	s_or_b32 exec_lo, exec_lo, s1
	s_delay_alu instid0(SALU_CYCLE_1)
	s_mov_b32 s1, exec_lo
	v_cmpx_gt_i32_e64 s24, v0
	s_cbranch_execnz .LBB49_57
.LBB49_40:
	s_or_b32 exec_lo, exec_lo, s1
	s_delay_alu instid0(SALU_CYCLE_1)
	s_mov_b32 s1, exec_lo
	v_cmpx_gt_i32_e64 s24, v0
	s_cbranch_execnz .LBB49_58
.LBB49_41:
	s_or_b32 exec_lo, exec_lo, s1
	s_delay_alu instid0(SALU_CYCLE_1)
	s_mov_b32 s1, exec_lo
	v_cmpx_gt_i32_e64 s24, v0
	s_cbranch_execnz .LBB49_59
.LBB49_42:
	s_or_b32 exec_lo, exec_lo, s1
	s_delay_alu instid0(SALU_CYCLE_1)
	s_mov_b32 s1, exec_lo
	v_cmpx_gt_i32_e64 s24, v0
	s_cbranch_execnz .LBB49_60
.LBB49_43:
	s_or_b32 exec_lo, exec_lo, s1
	s_delay_alu instid0(SALU_CYCLE_1)
	s_mov_b32 s1, exec_lo
	v_cmpx_gt_i32_e64 s24, v0
	s_cbranch_execnz .LBB49_61
.LBB49_44:
	s_or_b32 exec_lo, exec_lo, s1
	s_delay_alu instid0(SALU_CYCLE_1)
	s_mov_b32 s1, exec_lo
	v_cmpx_gt_i32_e64 s24, v0
	s_cbranch_execnz .LBB49_62
.LBB49_45:
	s_or_b32 exec_lo, exec_lo, s1
	s_delay_alu instid0(SALU_CYCLE_1)
	s_mov_b32 s1, exec_lo
	v_cmpx_gt_i32_e64 s24, v0
	s_cbranch_execnz .LBB49_63
.LBB49_46:
	s_or_b32 exec_lo, exec_lo, s1
	s_delay_alu instid0(SALU_CYCLE_1)
	s_mov_b32 s1, exec_lo
	v_cmpx_gt_i32_e64 s24, v0
	s_cbranch_execnz .LBB49_64
.LBB49_47:
	s_or_b32 exec_lo, exec_lo, s1
	s_delay_alu instid0(SALU_CYCLE_1)
	s_mov_b32 s1, exec_lo
	v_cmpx_gt_i32_e64 s24, v0
	s_cbranch_execnz .LBB49_65
.LBB49_48:
	s_or_b32 exec_lo, exec_lo, s1
	s_delay_alu instid0(SALU_CYCLE_1)
	s_mov_b32 s1, exec_lo
	v_cmpx_gt_i32_e64 s24, v0
	s_cbranch_execnz .LBB49_66
.LBB49_49:
	s_or_b32 exec_lo, exec_lo, s1
	s_delay_alu instid0(SALU_CYCLE_1)
	s_mov_b32 s1, exec_lo
	v_cmpx_gt_i32_e64 s24, v0
	s_cbranch_execnz .LBB49_67
.LBB49_50:
	s_or_b32 exec_lo, exec_lo, s1
	s_delay_alu instid0(SALU_CYCLE_1)
	s_mov_b32 s1, exec_lo
	v_cmpx_gt_i32_e64 s24, v0
	s_cbranch_execz .LBB49_52
.LBB49_51:
	s_xor_b32 s0, s0, s14
	v_add_nc_u32_e32 v0, s20, v0
	v_cndmask_b32_e64 v1, 0, 1, s0
	global_store_b8 v0, v1, s[16:17]
.LBB49_52:
	s_endpgm
.LBB49_53:
	s_xor_b32 s2, s0, s2
	v_mov_b32_e32 v0, v2
	v_cndmask_b32_e64 v3, 0, 1, s2
	global_store_b8 v1, v3, s[16:17]
	s_wait_xcnt 0x0
	s_or_b32 exec_lo, exec_lo, s15
	s_delay_alu instid0(SALU_CYCLE_1)
	s_mov_b32 s2, exec_lo
	v_cmpx_gt_i32_e64 s24, v0
	s_cbranch_execz .LBB49_37
.LBB49_54:
	s_xor_b32 s1, s0, s1
	v_add_nc_u32_e32 v2, s20, v0
	v_cndmask_b32_e64 v1, 0, 1, s1
	v_add_nc_u32_e32 v0, 0x100, v0
	global_store_b8 v2, v1, s[16:17]
	s_wait_xcnt 0x0
	s_or_b32 exec_lo, exec_lo, s2
	s_delay_alu instid0(SALU_CYCLE_1)
	s_mov_b32 s1, exec_lo
	v_cmpx_gt_i32_e64 s24, v0
	s_cbranch_execz .LBB49_38
.LBB49_55:
	s_xor_b32 s2, s0, s5
	v_add_nc_u32_e32 v2, s20, v0
	v_cndmask_b32_e64 v1, 0, 1, s2
	v_add_nc_u32_e32 v0, 0x100, v0
	global_store_b8 v2, v1, s[16:17]
	s_wait_xcnt 0x0
	s_or_b32 exec_lo, exec_lo, s1
	s_delay_alu instid0(SALU_CYCLE_1)
	s_mov_b32 s1, exec_lo
	v_cmpx_gt_i32_e64 s24, v0
	s_cbranch_execz .LBB49_39
.LBB49_56:
	s_xor_b32 s2, s0, s3
	v_add_nc_u32_e32 v2, s20, v0
	v_cndmask_b32_e64 v1, 0, 1, s2
	v_add_nc_u32_e32 v0, 0x100, v0
	global_store_b8 v2, v1, s[16:17]
	s_wait_xcnt 0x0
	s_or_b32 exec_lo, exec_lo, s1
	s_delay_alu instid0(SALU_CYCLE_1)
	s_mov_b32 s1, exec_lo
	v_cmpx_gt_i32_e64 s24, v0
	s_cbranch_execz .LBB49_40
.LBB49_57:
	s_xor_b32 s2, s0, s7
	v_add_nc_u32_e32 v2, s20, v0
	v_cndmask_b32_e64 v1, 0, 1, s2
	v_add_nc_u32_e32 v0, 0x100, v0
	global_store_b8 v2, v1, s[16:17]
	s_wait_xcnt 0x0
	s_or_b32 exec_lo, exec_lo, s1
	s_delay_alu instid0(SALU_CYCLE_1)
	s_mov_b32 s1, exec_lo
	v_cmpx_gt_i32_e64 s24, v0
	s_cbranch_execz .LBB49_41
.LBB49_58:
	s_xor_b32 s2, s0, s4
	v_add_nc_u32_e32 v2, s20, v0
	v_cndmask_b32_e64 v1, 0, 1, s2
	v_add_nc_u32_e32 v0, 0x100, v0
	global_store_b8 v2, v1, s[16:17]
	s_wait_xcnt 0x0
	s_or_b32 exec_lo, exec_lo, s1
	s_delay_alu instid0(SALU_CYCLE_1)
	s_mov_b32 s1, exec_lo
	v_cmpx_gt_i32_e64 s24, v0
	s_cbranch_execz .LBB49_42
.LBB49_59:
	s_xor_b32 s2, s0, s9
	v_add_nc_u32_e32 v2, s20, v0
	v_cndmask_b32_e64 v1, 0, 1, s2
	v_add_nc_u32_e32 v0, 0x100, v0
	global_store_b8 v2, v1, s[16:17]
	s_wait_xcnt 0x0
	s_or_b32 exec_lo, exec_lo, s1
	s_delay_alu instid0(SALU_CYCLE_1)
	s_mov_b32 s1, exec_lo
	v_cmpx_gt_i32_e64 s24, v0
	s_cbranch_execz .LBB49_43
.LBB49_60:
	s_xor_b32 s2, s0, s6
	v_add_nc_u32_e32 v2, s20, v0
	v_cndmask_b32_e64 v1, 0, 1, s2
	v_add_nc_u32_e32 v0, 0x100, v0
	global_store_b8 v2, v1, s[16:17]
	s_wait_xcnt 0x0
	s_or_b32 exec_lo, exec_lo, s1
	s_delay_alu instid0(SALU_CYCLE_1)
	s_mov_b32 s1, exec_lo
	v_cmpx_gt_i32_e64 s24, v0
	s_cbranch_execz .LBB49_44
.LBB49_61:
	s_xor_b32 s2, s0, s11
	v_add_nc_u32_e32 v2, s20, v0
	v_cndmask_b32_e64 v1, 0, 1, s2
	v_add_nc_u32_e32 v0, 0x100, v0
	global_store_b8 v2, v1, s[16:17]
	s_wait_xcnt 0x0
	s_or_b32 exec_lo, exec_lo, s1
	s_delay_alu instid0(SALU_CYCLE_1)
	s_mov_b32 s1, exec_lo
	v_cmpx_gt_i32_e64 s24, v0
	s_cbranch_execz .LBB49_45
.LBB49_62:
	s_xor_b32 s2, s0, s8
	v_add_nc_u32_e32 v2, s20, v0
	v_cndmask_b32_e64 v1, 0, 1, s2
	v_add_nc_u32_e32 v0, 0x100, v0
	global_store_b8 v2, v1, s[16:17]
	s_wait_xcnt 0x0
	s_or_b32 exec_lo, exec_lo, s1
	s_delay_alu instid0(SALU_CYCLE_1)
	s_mov_b32 s1, exec_lo
	v_cmpx_gt_i32_e64 s24, v0
	s_cbranch_execz .LBB49_46
.LBB49_63:
	s_xor_b32 s2, s0, s13
	v_add_nc_u32_e32 v2, s20, v0
	v_cndmask_b32_e64 v1, 0, 1, s2
	v_add_nc_u32_e32 v0, 0x100, v0
	global_store_b8 v2, v1, s[16:17]
	s_wait_xcnt 0x0
	s_or_b32 exec_lo, exec_lo, s1
	s_delay_alu instid0(SALU_CYCLE_1)
	s_mov_b32 s1, exec_lo
	v_cmpx_gt_i32_e64 s24, v0
	s_cbranch_execz .LBB49_47
.LBB49_64:
	s_xor_b32 s2, s0, s10
	v_add_nc_u32_e32 v2, s20, v0
	v_cndmask_b32_e64 v1, 0, 1, s2
	v_add_nc_u32_e32 v0, 0x100, v0
	global_store_b8 v2, v1, s[16:17]
	s_wait_xcnt 0x0
	s_or_b32 exec_lo, exec_lo, s1
	s_delay_alu instid0(SALU_CYCLE_1)
	s_mov_b32 s1, exec_lo
	v_cmpx_gt_i32_e64 s24, v0
	s_cbranch_execz .LBB49_48
.LBB49_65:
	s_xor_b32 s2, s0, s21
	v_add_nc_u32_e32 v2, s20, v0
	v_cndmask_b32_e64 v1, 0, 1, s2
	v_add_nc_u32_e32 v0, 0x100, v0
	global_store_b8 v2, v1, s[16:17]
	s_wait_xcnt 0x0
	s_or_b32 exec_lo, exec_lo, s1
	s_delay_alu instid0(SALU_CYCLE_1)
	s_mov_b32 s1, exec_lo
	v_cmpx_gt_i32_e64 s24, v0
	s_cbranch_execz .LBB49_49
.LBB49_66:
	s_xor_b32 s2, s0, s12
	v_add_nc_u32_e32 v2, s20, v0
	v_cndmask_b32_e64 v1, 0, 1, s2
	v_add_nc_u32_e32 v0, 0x100, v0
	global_store_b8 v2, v1, s[16:17]
	s_wait_xcnt 0x0
	s_or_b32 exec_lo, exec_lo, s1
	s_delay_alu instid0(SALU_CYCLE_1)
	s_mov_b32 s1, exec_lo
	v_cmpx_gt_i32_e64 s24, v0
	s_cbranch_execz .LBB49_50
.LBB49_67:
	s_xor_b32 s2, s0, s25
	v_add_nc_u32_e32 v2, s20, v0
	v_cndmask_b32_e64 v1, 0, 1, s2
	v_add_nc_u32_e32 v0, 0x100, v0
	global_store_b8 v2, v1, s[16:17]
	s_wait_xcnt 0x0
	s_or_b32 exec_lo, exec_lo, s1
	s_delay_alu instid0(SALU_CYCLE_1)
	s_mov_b32 s1, exec_lo
	v_cmpx_gt_i32_e64 s24, v0
	s_cbranch_execnz .LBB49_51
	s_branch .LBB49_52
	.section	.rodata,"a",@progbits
	.p2align	6, 0x0
	.amdhsa_kernel _ZN2at6native29vectorized_elementwise_kernelILi8ENS0_13BinaryFunctorIllbNS0_12_GLOBAL__N_116CompareEqFunctorIlEEEESt5arrayIPcLm3EEEEviT0_T1_
		.amdhsa_group_segment_fixed_size 0
		.amdhsa_private_segment_fixed_size 0
		.amdhsa_kernarg_size 32
		.amdhsa_user_sgpr_count 2
		.amdhsa_user_sgpr_dispatch_ptr 0
		.amdhsa_user_sgpr_queue_ptr 0
		.amdhsa_user_sgpr_kernarg_segment_ptr 1
		.amdhsa_user_sgpr_dispatch_id 0
		.amdhsa_user_sgpr_kernarg_preload_length 0
		.amdhsa_user_sgpr_kernarg_preload_offset 0
		.amdhsa_user_sgpr_private_segment_size 0
		.amdhsa_wavefront_size32 1
		.amdhsa_uses_dynamic_stack 0
		.amdhsa_enable_private_segment 0
		.amdhsa_system_sgpr_workgroup_id_x 1
		.amdhsa_system_sgpr_workgroup_id_y 0
		.amdhsa_system_sgpr_workgroup_id_z 0
		.amdhsa_system_sgpr_workgroup_info 0
		.amdhsa_system_vgpr_workitem_id 0
		.amdhsa_next_free_vgpr 58
		.amdhsa_next_free_sgpr 27
		.amdhsa_named_barrier_count 0
		.amdhsa_reserve_vcc 1
		.amdhsa_float_round_mode_32 0
		.amdhsa_float_round_mode_16_64 0
		.amdhsa_float_denorm_mode_32 3
		.amdhsa_float_denorm_mode_16_64 3
		.amdhsa_fp16_overflow 0
		.amdhsa_memory_ordered 1
		.amdhsa_forward_progress 1
		.amdhsa_inst_pref_size 29
		.amdhsa_round_robin_scheduling 0
		.amdhsa_exception_fp_ieee_invalid_op 0
		.amdhsa_exception_fp_denorm_src 0
		.amdhsa_exception_fp_ieee_div_zero 0
		.amdhsa_exception_fp_ieee_overflow 0
		.amdhsa_exception_fp_ieee_underflow 0
		.amdhsa_exception_fp_ieee_inexact 0
		.amdhsa_exception_int_div_zero 0
	.end_amdhsa_kernel
	.section	.text._ZN2at6native29vectorized_elementwise_kernelILi8ENS0_13BinaryFunctorIllbNS0_12_GLOBAL__N_116CompareEqFunctorIlEEEESt5arrayIPcLm3EEEEviT0_T1_,"axG",@progbits,_ZN2at6native29vectorized_elementwise_kernelILi8ENS0_13BinaryFunctorIllbNS0_12_GLOBAL__N_116CompareEqFunctorIlEEEESt5arrayIPcLm3EEEEviT0_T1_,comdat
.Lfunc_end49:
	.size	_ZN2at6native29vectorized_elementwise_kernelILi8ENS0_13BinaryFunctorIllbNS0_12_GLOBAL__N_116CompareEqFunctorIlEEEESt5arrayIPcLm3EEEEviT0_T1_, .Lfunc_end49-_ZN2at6native29vectorized_elementwise_kernelILi8ENS0_13BinaryFunctorIllbNS0_12_GLOBAL__N_116CompareEqFunctorIlEEEESt5arrayIPcLm3EEEEviT0_T1_
                                        ; -- End function
	.set _ZN2at6native29vectorized_elementwise_kernelILi8ENS0_13BinaryFunctorIllbNS0_12_GLOBAL__N_116CompareEqFunctorIlEEEESt5arrayIPcLm3EEEEviT0_T1_.num_vgpr, 58
	.set _ZN2at6native29vectorized_elementwise_kernelILi8ENS0_13BinaryFunctorIllbNS0_12_GLOBAL__N_116CompareEqFunctorIlEEEESt5arrayIPcLm3EEEEviT0_T1_.num_agpr, 0
	.set _ZN2at6native29vectorized_elementwise_kernelILi8ENS0_13BinaryFunctorIllbNS0_12_GLOBAL__N_116CompareEqFunctorIlEEEESt5arrayIPcLm3EEEEviT0_T1_.numbered_sgpr, 27
	.set _ZN2at6native29vectorized_elementwise_kernelILi8ENS0_13BinaryFunctorIllbNS0_12_GLOBAL__N_116CompareEqFunctorIlEEEESt5arrayIPcLm3EEEEviT0_T1_.num_named_barrier, 0
	.set _ZN2at6native29vectorized_elementwise_kernelILi8ENS0_13BinaryFunctorIllbNS0_12_GLOBAL__N_116CompareEqFunctorIlEEEESt5arrayIPcLm3EEEEviT0_T1_.private_seg_size, 0
	.set _ZN2at6native29vectorized_elementwise_kernelILi8ENS0_13BinaryFunctorIllbNS0_12_GLOBAL__N_116CompareEqFunctorIlEEEESt5arrayIPcLm3EEEEviT0_T1_.uses_vcc, 1
	.set _ZN2at6native29vectorized_elementwise_kernelILi8ENS0_13BinaryFunctorIllbNS0_12_GLOBAL__N_116CompareEqFunctorIlEEEESt5arrayIPcLm3EEEEviT0_T1_.uses_flat_scratch, 0
	.set _ZN2at6native29vectorized_elementwise_kernelILi8ENS0_13BinaryFunctorIllbNS0_12_GLOBAL__N_116CompareEqFunctorIlEEEESt5arrayIPcLm3EEEEviT0_T1_.has_dyn_sized_stack, 0
	.set _ZN2at6native29vectorized_elementwise_kernelILi8ENS0_13BinaryFunctorIllbNS0_12_GLOBAL__N_116CompareEqFunctorIlEEEESt5arrayIPcLm3EEEEviT0_T1_.has_recursion, 0
	.set _ZN2at6native29vectorized_elementwise_kernelILi8ENS0_13BinaryFunctorIllbNS0_12_GLOBAL__N_116CompareEqFunctorIlEEEESt5arrayIPcLm3EEEEviT0_T1_.has_indirect_call, 0
	.section	.AMDGPU.csdata,"",@progbits
; Kernel info:
; codeLenInByte = 3628
; TotalNumSgprs: 29
; NumVgprs: 58
; ScratchSize: 0
; MemoryBound: 1
; FloatMode: 240
; IeeeMode: 1
; LDSByteSize: 0 bytes/workgroup (compile time only)
; SGPRBlocks: 0
; VGPRBlocks: 3
; NumSGPRsForWavesPerEU: 29
; NumVGPRsForWavesPerEU: 58
; NamedBarCnt: 0
; Occupancy: 16
; WaveLimiterHint : 1
; COMPUTE_PGM_RSRC2:SCRATCH_EN: 0
; COMPUTE_PGM_RSRC2:USER_SGPR: 2
; COMPUTE_PGM_RSRC2:TRAP_HANDLER: 0
; COMPUTE_PGM_RSRC2:TGID_X_EN: 1
; COMPUTE_PGM_RSRC2:TGID_Y_EN: 0
; COMPUTE_PGM_RSRC2:TGID_Z_EN: 0
; COMPUTE_PGM_RSRC2:TIDIG_COMP_CNT: 0
	.section	.text._ZN2at6native29vectorized_elementwise_kernelILi4ENS0_13BinaryFunctorIllbNS0_12_GLOBAL__N_116CompareEqFunctorIlEEEESt5arrayIPcLm3EEEEviT0_T1_,"axG",@progbits,_ZN2at6native29vectorized_elementwise_kernelILi4ENS0_13BinaryFunctorIllbNS0_12_GLOBAL__N_116CompareEqFunctorIlEEEESt5arrayIPcLm3EEEEviT0_T1_,comdat
	.globl	_ZN2at6native29vectorized_elementwise_kernelILi4ENS0_13BinaryFunctorIllbNS0_12_GLOBAL__N_116CompareEqFunctorIlEEEESt5arrayIPcLm3EEEEviT0_T1_ ; -- Begin function _ZN2at6native29vectorized_elementwise_kernelILi4ENS0_13BinaryFunctorIllbNS0_12_GLOBAL__N_116CompareEqFunctorIlEEEESt5arrayIPcLm3EEEEviT0_T1_
	.p2align	8
	.type	_ZN2at6native29vectorized_elementwise_kernelILi4ENS0_13BinaryFunctorIllbNS0_12_GLOBAL__N_116CompareEqFunctorIlEEEESt5arrayIPcLm3EEEEviT0_T1_,@function
_ZN2at6native29vectorized_elementwise_kernelILi4ENS0_13BinaryFunctorIllbNS0_12_GLOBAL__N_116CompareEqFunctorIlEEEESt5arrayIPcLm3EEEEviT0_T1_: ; @_ZN2at6native29vectorized_elementwise_kernelILi4ENS0_13BinaryFunctorIllbNS0_12_GLOBAL__N_116CompareEqFunctorIlEEEESt5arrayIPcLm3EEEEviT0_T1_
; %bb.0:
	s_clause 0x2
	s_load_b64 s[14:15], s[0:1], 0x0
	s_load_b128 s[16:19], s[0:1], 0x8
	s_load_b64 s[22:23], s[0:1], 0x18
	s_wait_xcnt 0x0
	s_bfe_u32 s0, ttmp6, 0x4000c
	s_and_b32 s1, ttmp6, 15
	s_add_co_i32 s0, s0, 1
	s_getreg_b32 s2, hwreg(HW_REG_IB_STS2, 6, 4)
	s_mul_i32 s0, ttmp9, s0
	s_delay_alu instid0(SALU_CYCLE_1) | instskip(SKIP_2) | instid1(SALU_CYCLE_1)
	s_add_co_i32 s1, s1, s0
	s_cmp_eq_u32 s2, 0
	s_cselect_b32 s0, ttmp9, s1
	s_lshl_b32 s20, s0, 12
	s_mov_b32 s0, -1
	s_wait_kmcnt 0x0
	s_sub_co_i32 s24, s14, s20
	s_delay_alu instid0(SALU_CYCLE_1)
	s_cmp_gt_i32 s24, 0xfff
	s_cbranch_scc0 .LBB50_2
; %bb.1:
	s_ashr_i32 s21, s20, 31
	v_lshlrev_b32_e32 v1, 5, v0
	s_lshl_b64 s[0:1], s[20:21], 3
	s_cmp_eq_u32 s15, 0
	s_add_nc_u64 s[2:3], s[22:23], s[0:1]
	s_add_nc_u64 s[4:5], s[18:19], s[0:1]
	s_clause 0xc
	global_load_b128 v[2:5], v1, s[2:3]
	global_load_b128 v[6:9], v1, s[4:5]
	global_load_b128 v[10:13], v1, s[4:5] offset:16
	global_load_b128 v[14:17], v1, s[2:3] offset:16
	;; [unrolled: 1-line block ×11, first 2 shown]
	s_cselect_b32 s25, -1, 0
	s_wait_loadcnt 0xb
	v_cmp_ne_u64_e32 vcc_lo, v[6:7], v[2:3]
	v_cmp_ne_u64_e64 s0, v[8:9], v[4:5]
	s_clause 0x2
	global_load_b128 v[2:5], v1, s[4:5] offset:24576
	global_load_b128 v[6:9], v1, s[4:5] offset:24592
	;; [unrolled: 1-line block ×3, first 2 shown]
	s_wait_loadcnt 0xc
	v_cmp_ne_u64_e64 s1, v[10:11], v[14:15]
	s_wait_xcnt 0x0
	v_cmp_ne_u64_e64 s2, v[12:13], v[16:17]
	s_wait_loadcnt 0x9
	v_cmp_ne_u64_e64 s5, v[18:19], v[26:27]
	s_wait_loadcnt 0x8
	v_cmp_ne_u64_e64 s3, v[22:23], v[30:31]
	v_cmp_ne_u64_e64 s4, v[24:25], v[32:33]
	s_xor_b32 s0, s25, s0
	v_cmp_ne_u64_e64 s6, v[20:21], v[28:29]
	s_wait_loadcnt 0x4
	v_cmp_ne_u64_e64 s7, v[38:39], v[46:47]
	v_cmp_ne_u64_e64 s8, v[40:41], v[48:49]
	;; [unrolled: 1-line block ×4, first 2 shown]
	s_xor_b32 s26, s25, vcc_lo
	s_delay_alu instid0(SALU_CYCLE_1)
	v_cndmask_b32_e64 v1, 0, 1, s26
	s_wait_loadcnt 0x2
	v_cmp_ne_u64_e64 s11, v[2:3], v[50:51]
	v_cndmask_b32_e64 v2, 0, 0x100, s0
	s_xor_b32 s0, s25, s1
	v_cmp_ne_u64_e64 s12, v[4:5], v[52:53]
	v_cndmask_b32_e64 v3, 0, 0x10000, s0
	s_xor_b32 s0, s25, s2
	s_wait_loadcnt 0x0
	v_cmp_ne_u64_e64 s13, v[6:7], v[54:55]
	v_cndmask_b32_e64 v4, 0, 0x1000000, s0
	s_xor_b32 s0, s25, s3
	v_cmp_ne_u64_e64 s14, v[8:9], v[56:57]
	v_cndmask_b32_e64 v5, 0, 1, s0
	s_xor_b32 s0, s25, s4
	v_or_b32_e32 v1, v2, v1
	v_cndmask_b32_e64 v6, 0, 0x100, s0
	s_xor_b32 s0, s25, s5
	s_add_nc_u64 s[2:3], s[16:17], s[20:21]
	v_cndmask_b32_e64 v7, 0, 0x10000, s0
	s_xor_b32 s0, s25, s6
	v_or_b32_e32 v2, v6, v5
	v_cndmask_b32_e64 v8, 0, 0x1000000, s0
	s_xor_b32 s0, s25, s7
	v_or3_b32 v1, v1, v3, v4
	v_cndmask_b32_e64 v9, 0, 1, s0
	s_xor_b32 s0, s25, s8
	v_or3_b32 v2, v2, v7, v8
	v_cndmask_b32_e64 v10, 0, 0x100, s0
	s_xor_b32 s0, s25, s9
	s_delay_alu instid0(SALU_CYCLE_1) | instskip(SKIP_1) | instid1(VALU_DEP_2)
	v_cndmask_b32_e64 v11, 0, 0x10000, s0
	s_xor_b32 s0, s25, s10
	v_or_b32_e32 v5, v10, v9
	v_cndmask_b32_e64 v12, 0, 0x1000000, s0
	s_xor_b32 s0, s25, s11
	s_delay_alu instid0(SALU_CYCLE_1) | instskip(SKIP_1) | instid1(VALU_DEP_2)
	v_cndmask_b32_e64 v13, 0, 1, s0
	s_xor_b32 s0, s25, s12
	v_or3_b32 v3, v5, v11, v12
	v_cndmask_b32_e64 v14, 0, 0x100, s0
	s_xor_b32 s0, s25, s13
	s_delay_alu instid0(SALU_CYCLE_1) | instskip(SKIP_1) | instid1(VALU_DEP_2)
	v_cndmask_b32_e64 v15, 0, 0x10000, s0
	s_xor_b32 s0, s25, s14
	v_or_b32_e32 v6, v14, v13
	v_cndmask_b32_e64 v16, 0, 0x1000000, s0
	s_mov_b32 s0, 0
	s_delay_alu instid0(VALU_DEP_1)
	v_or3_b32 v4, v6, v15, v16
	s_clause 0x3
	global_store_b32 v0, v1, s[2:3] scale_offset
	global_store_b32 v0, v2, s[2:3] offset:1024 scale_offset
	global_store_b32 v0, v3, s[2:3] offset:2048 scale_offset
	;; [unrolled: 1-line block ×3, first 2 shown]
.LBB50_2:
	s_and_not1_b32 vcc_lo, exec_lo, s0
	s_cbranch_vccnz .LBB50_52
; %bb.3:
	v_cmp_gt_i32_e32 vcc_lo, s24, v0
	s_wait_xcnt 0x1
	v_dual_mov_b32 v3, v0 :: v_dual_bitop2_b32 v1, s20, v0 bitop3:0x54
	v_or_b32_e32 v2, 0x100, v0
	s_mov_b32 s1, 0
	s_wait_xcnt 0x0
	s_mov_b32 s2, 0
	s_and_saveexec_b32 s3, vcc_lo
	s_cbranch_execz .LBB50_5
; %bb.4:
	s_clause 0x1
	global_load_b64 v[4:5], v1, s[18:19] scale_offset
	global_load_b64 v[6:7], v1, s[22:23] scale_offset
	v_or_b32_e32 v3, 0x100, v0
	s_wait_loadcnt 0x0
	v_cmp_ne_u64_e64 s0, v[4:5], v[6:7]
	s_and_b32 s2, s0, exec_lo
.LBB50_5:
	s_wait_xcnt 0x0
	s_or_b32 exec_lo, exec_lo, s3
	s_delay_alu instid0(SALU_CYCLE_1)
	s_mov_b32 s3, exec_lo
	v_cmpx_gt_i32_e64 s24, v3
	s_cbranch_execz .LBB50_7
; %bb.6:
	v_add_nc_u32_e32 v8, s20, v3
	v_add_nc_u32_e32 v3, 0x100, v3
	s_clause 0x1
	global_load_b64 v[4:5], v8, s[18:19] scale_offset
	global_load_b64 v[6:7], v8, s[22:23] scale_offset
	s_wait_loadcnt 0x0
	v_cmp_ne_u64_e64 s0, v[4:5], v[6:7]
	s_and_b32 s1, s0, exec_lo
.LBB50_7:
	s_wait_xcnt 0x0
	s_or_b32 exec_lo, exec_lo, s3
	s_mov_b32 s3, 0
	s_mov_b32 s5, 0
	s_mov_b32 s4, exec_lo
	v_cmpx_gt_i32_e64 s24, v3
	s_cbranch_execz .LBB50_9
; %bb.8:
	v_add_nc_u32_e32 v8, s20, v3
	v_add_nc_u32_e32 v3, 0x100, v3
	s_clause 0x1
	global_load_b64 v[4:5], v8, s[18:19] scale_offset
	global_load_b64 v[6:7], v8, s[22:23] scale_offset
	s_wait_loadcnt 0x0
	v_cmp_ne_u64_e64 s0, v[4:5], v[6:7]
	s_and_b32 s5, s0, exec_lo
.LBB50_9:
	s_wait_xcnt 0x0
	s_or_b32 exec_lo, exec_lo, s4
	s_delay_alu instid0(SALU_CYCLE_1)
	s_mov_b32 s4, exec_lo
	v_cmpx_gt_i32_e64 s24, v3
	s_cbranch_execz .LBB50_11
; %bb.10:
	v_add_nc_u32_e32 v8, s20, v3
	v_add_nc_u32_e32 v3, 0x100, v3
	s_clause 0x1
	global_load_b64 v[4:5], v8, s[18:19] scale_offset
	global_load_b64 v[6:7], v8, s[22:23] scale_offset
	s_wait_loadcnt 0x0
	v_cmp_ne_u64_e64 s0, v[4:5], v[6:7]
	s_and_b32 s3, s0, exec_lo
.LBB50_11:
	s_wait_xcnt 0x0
	s_or_b32 exec_lo, exec_lo, s4
	s_mov_b32 s4, 0
	s_mov_b32 s7, 0
	s_mov_b32 s6, exec_lo
	v_cmpx_gt_i32_e64 s24, v3
	s_cbranch_execz .LBB50_13
; %bb.12:
	v_add_nc_u32_e32 v8, s20, v3
	v_add_nc_u32_e32 v3, 0x100, v3
	s_clause 0x1
	global_load_b64 v[4:5], v8, s[18:19] scale_offset
	global_load_b64 v[6:7], v8, s[22:23] scale_offset
	s_wait_loadcnt 0x0
	v_cmp_ne_u64_e64 s0, v[4:5], v[6:7]
	s_and_b32 s7, s0, exec_lo
.LBB50_13:
	;; [unrolled: 33-line block ×7, first 2 shown]
	s_wait_xcnt 0x0
	s_or_b32 exec_lo, exec_lo, s26
	s_delay_alu instid0(SALU_CYCLE_1)
	s_mov_b32 s26, exec_lo
	v_cmpx_gt_i32_e64 s24, v3
	s_cbranch_execz .LBB50_35
; %bb.34:
	v_add_nc_u32_e32 v3, s20, v3
	s_clause 0x1
	global_load_b64 v[4:5], v3, s[18:19] scale_offset
	global_load_b64 v[6:7], v3, s[22:23] scale_offset
	s_wait_loadcnt 0x0
	v_cmp_ne_u64_e64 s0, v[4:5], v[6:7]
	s_and_b32 s14, s0, exec_lo
.LBB50_35:
	s_wait_xcnt 0x0
	s_or_b32 exec_lo, exec_lo, s26
	s_cmp_eq_u32 s15, 0
	s_cselect_b32 s0, -1, 0
	s_and_saveexec_b32 s15, vcc_lo
	s_cbranch_execnz .LBB50_53
; %bb.36:
	s_or_b32 exec_lo, exec_lo, s15
	s_delay_alu instid0(SALU_CYCLE_1)
	s_mov_b32 s2, exec_lo
	v_cmpx_gt_i32_e64 s24, v0
	s_cbranch_execnz .LBB50_54
.LBB50_37:
	s_or_b32 exec_lo, exec_lo, s2
	s_delay_alu instid0(SALU_CYCLE_1)
	s_mov_b32 s1, exec_lo
	v_cmpx_gt_i32_e64 s24, v0
	s_cbranch_execnz .LBB50_55
.LBB50_38:
	s_or_b32 exec_lo, exec_lo, s1
	s_delay_alu instid0(SALU_CYCLE_1)
	s_mov_b32 s1, exec_lo
	v_cmpx_gt_i32_e64 s24, v0
	s_cbranch_execnz .LBB50_56
.LBB50_39:
	s_or_b32 exec_lo, exec_lo, s1
	s_delay_alu instid0(SALU_CYCLE_1)
	s_mov_b32 s1, exec_lo
	v_cmpx_gt_i32_e64 s24, v0
	s_cbranch_execnz .LBB50_57
.LBB50_40:
	s_or_b32 exec_lo, exec_lo, s1
	s_delay_alu instid0(SALU_CYCLE_1)
	s_mov_b32 s1, exec_lo
	v_cmpx_gt_i32_e64 s24, v0
	s_cbranch_execnz .LBB50_58
.LBB50_41:
	s_or_b32 exec_lo, exec_lo, s1
	s_delay_alu instid0(SALU_CYCLE_1)
	s_mov_b32 s1, exec_lo
	v_cmpx_gt_i32_e64 s24, v0
	s_cbranch_execnz .LBB50_59
.LBB50_42:
	s_or_b32 exec_lo, exec_lo, s1
	s_delay_alu instid0(SALU_CYCLE_1)
	s_mov_b32 s1, exec_lo
	v_cmpx_gt_i32_e64 s24, v0
	s_cbranch_execnz .LBB50_60
.LBB50_43:
	s_or_b32 exec_lo, exec_lo, s1
	s_delay_alu instid0(SALU_CYCLE_1)
	s_mov_b32 s1, exec_lo
	v_cmpx_gt_i32_e64 s24, v0
	s_cbranch_execnz .LBB50_61
.LBB50_44:
	s_or_b32 exec_lo, exec_lo, s1
	s_delay_alu instid0(SALU_CYCLE_1)
	s_mov_b32 s1, exec_lo
	v_cmpx_gt_i32_e64 s24, v0
	s_cbranch_execnz .LBB50_62
.LBB50_45:
	s_or_b32 exec_lo, exec_lo, s1
	s_delay_alu instid0(SALU_CYCLE_1)
	s_mov_b32 s1, exec_lo
	v_cmpx_gt_i32_e64 s24, v0
	s_cbranch_execnz .LBB50_63
.LBB50_46:
	s_or_b32 exec_lo, exec_lo, s1
	s_delay_alu instid0(SALU_CYCLE_1)
	s_mov_b32 s1, exec_lo
	v_cmpx_gt_i32_e64 s24, v0
	s_cbranch_execnz .LBB50_64
.LBB50_47:
	s_or_b32 exec_lo, exec_lo, s1
	s_delay_alu instid0(SALU_CYCLE_1)
	s_mov_b32 s1, exec_lo
	v_cmpx_gt_i32_e64 s24, v0
	s_cbranch_execnz .LBB50_65
.LBB50_48:
	s_or_b32 exec_lo, exec_lo, s1
	s_delay_alu instid0(SALU_CYCLE_1)
	s_mov_b32 s1, exec_lo
	v_cmpx_gt_i32_e64 s24, v0
	s_cbranch_execnz .LBB50_66
.LBB50_49:
	s_or_b32 exec_lo, exec_lo, s1
	s_delay_alu instid0(SALU_CYCLE_1)
	s_mov_b32 s1, exec_lo
	v_cmpx_gt_i32_e64 s24, v0
	s_cbranch_execnz .LBB50_67
.LBB50_50:
	s_or_b32 exec_lo, exec_lo, s1
	s_delay_alu instid0(SALU_CYCLE_1)
	s_mov_b32 s1, exec_lo
	v_cmpx_gt_i32_e64 s24, v0
	s_cbranch_execz .LBB50_52
.LBB50_51:
	s_xor_b32 s0, s0, s14
	v_add_nc_u32_e32 v0, s20, v0
	v_cndmask_b32_e64 v1, 0, 1, s0
	global_store_b8 v0, v1, s[16:17]
.LBB50_52:
	s_endpgm
.LBB50_53:
	s_xor_b32 s2, s0, s2
	v_mov_b32_e32 v0, v2
	v_cndmask_b32_e64 v3, 0, 1, s2
	global_store_b8 v1, v3, s[16:17]
	s_wait_xcnt 0x0
	s_or_b32 exec_lo, exec_lo, s15
	s_delay_alu instid0(SALU_CYCLE_1)
	s_mov_b32 s2, exec_lo
	v_cmpx_gt_i32_e64 s24, v0
	s_cbranch_execz .LBB50_37
.LBB50_54:
	s_xor_b32 s1, s0, s1
	v_add_nc_u32_e32 v2, s20, v0
	v_cndmask_b32_e64 v1, 0, 1, s1
	v_add_nc_u32_e32 v0, 0x100, v0
	global_store_b8 v2, v1, s[16:17]
	s_wait_xcnt 0x0
	s_or_b32 exec_lo, exec_lo, s2
	s_delay_alu instid0(SALU_CYCLE_1)
	s_mov_b32 s1, exec_lo
	v_cmpx_gt_i32_e64 s24, v0
	s_cbranch_execz .LBB50_38
.LBB50_55:
	s_xor_b32 s2, s0, s5
	v_add_nc_u32_e32 v2, s20, v0
	v_cndmask_b32_e64 v1, 0, 1, s2
	v_add_nc_u32_e32 v0, 0x100, v0
	global_store_b8 v2, v1, s[16:17]
	s_wait_xcnt 0x0
	s_or_b32 exec_lo, exec_lo, s1
	s_delay_alu instid0(SALU_CYCLE_1)
	s_mov_b32 s1, exec_lo
	v_cmpx_gt_i32_e64 s24, v0
	s_cbranch_execz .LBB50_39
.LBB50_56:
	s_xor_b32 s2, s0, s3
	v_add_nc_u32_e32 v2, s20, v0
	v_cndmask_b32_e64 v1, 0, 1, s2
	v_add_nc_u32_e32 v0, 0x100, v0
	global_store_b8 v2, v1, s[16:17]
	s_wait_xcnt 0x0
	s_or_b32 exec_lo, exec_lo, s1
	s_delay_alu instid0(SALU_CYCLE_1)
	s_mov_b32 s1, exec_lo
	v_cmpx_gt_i32_e64 s24, v0
	s_cbranch_execz .LBB50_40
.LBB50_57:
	s_xor_b32 s2, s0, s7
	v_add_nc_u32_e32 v2, s20, v0
	v_cndmask_b32_e64 v1, 0, 1, s2
	v_add_nc_u32_e32 v0, 0x100, v0
	global_store_b8 v2, v1, s[16:17]
	s_wait_xcnt 0x0
	s_or_b32 exec_lo, exec_lo, s1
	s_delay_alu instid0(SALU_CYCLE_1)
	s_mov_b32 s1, exec_lo
	v_cmpx_gt_i32_e64 s24, v0
	s_cbranch_execz .LBB50_41
.LBB50_58:
	s_xor_b32 s2, s0, s4
	v_add_nc_u32_e32 v2, s20, v0
	v_cndmask_b32_e64 v1, 0, 1, s2
	v_add_nc_u32_e32 v0, 0x100, v0
	global_store_b8 v2, v1, s[16:17]
	s_wait_xcnt 0x0
	s_or_b32 exec_lo, exec_lo, s1
	s_delay_alu instid0(SALU_CYCLE_1)
	s_mov_b32 s1, exec_lo
	v_cmpx_gt_i32_e64 s24, v0
	s_cbranch_execz .LBB50_42
.LBB50_59:
	s_xor_b32 s2, s0, s9
	v_add_nc_u32_e32 v2, s20, v0
	v_cndmask_b32_e64 v1, 0, 1, s2
	v_add_nc_u32_e32 v0, 0x100, v0
	global_store_b8 v2, v1, s[16:17]
	s_wait_xcnt 0x0
	s_or_b32 exec_lo, exec_lo, s1
	s_delay_alu instid0(SALU_CYCLE_1)
	s_mov_b32 s1, exec_lo
	v_cmpx_gt_i32_e64 s24, v0
	s_cbranch_execz .LBB50_43
.LBB50_60:
	s_xor_b32 s2, s0, s6
	v_add_nc_u32_e32 v2, s20, v0
	v_cndmask_b32_e64 v1, 0, 1, s2
	v_add_nc_u32_e32 v0, 0x100, v0
	global_store_b8 v2, v1, s[16:17]
	s_wait_xcnt 0x0
	s_or_b32 exec_lo, exec_lo, s1
	s_delay_alu instid0(SALU_CYCLE_1)
	s_mov_b32 s1, exec_lo
	v_cmpx_gt_i32_e64 s24, v0
	s_cbranch_execz .LBB50_44
.LBB50_61:
	s_xor_b32 s2, s0, s11
	v_add_nc_u32_e32 v2, s20, v0
	v_cndmask_b32_e64 v1, 0, 1, s2
	v_add_nc_u32_e32 v0, 0x100, v0
	global_store_b8 v2, v1, s[16:17]
	s_wait_xcnt 0x0
	s_or_b32 exec_lo, exec_lo, s1
	s_delay_alu instid0(SALU_CYCLE_1)
	s_mov_b32 s1, exec_lo
	v_cmpx_gt_i32_e64 s24, v0
	s_cbranch_execz .LBB50_45
.LBB50_62:
	s_xor_b32 s2, s0, s8
	v_add_nc_u32_e32 v2, s20, v0
	v_cndmask_b32_e64 v1, 0, 1, s2
	v_add_nc_u32_e32 v0, 0x100, v0
	global_store_b8 v2, v1, s[16:17]
	s_wait_xcnt 0x0
	s_or_b32 exec_lo, exec_lo, s1
	s_delay_alu instid0(SALU_CYCLE_1)
	s_mov_b32 s1, exec_lo
	v_cmpx_gt_i32_e64 s24, v0
	s_cbranch_execz .LBB50_46
.LBB50_63:
	s_xor_b32 s2, s0, s13
	v_add_nc_u32_e32 v2, s20, v0
	v_cndmask_b32_e64 v1, 0, 1, s2
	v_add_nc_u32_e32 v0, 0x100, v0
	global_store_b8 v2, v1, s[16:17]
	s_wait_xcnt 0x0
	s_or_b32 exec_lo, exec_lo, s1
	s_delay_alu instid0(SALU_CYCLE_1)
	s_mov_b32 s1, exec_lo
	v_cmpx_gt_i32_e64 s24, v0
	s_cbranch_execz .LBB50_47
.LBB50_64:
	s_xor_b32 s2, s0, s10
	v_add_nc_u32_e32 v2, s20, v0
	v_cndmask_b32_e64 v1, 0, 1, s2
	v_add_nc_u32_e32 v0, 0x100, v0
	global_store_b8 v2, v1, s[16:17]
	s_wait_xcnt 0x0
	s_or_b32 exec_lo, exec_lo, s1
	s_delay_alu instid0(SALU_CYCLE_1)
	s_mov_b32 s1, exec_lo
	v_cmpx_gt_i32_e64 s24, v0
	s_cbranch_execz .LBB50_48
.LBB50_65:
	s_xor_b32 s2, s0, s21
	v_add_nc_u32_e32 v2, s20, v0
	v_cndmask_b32_e64 v1, 0, 1, s2
	v_add_nc_u32_e32 v0, 0x100, v0
	global_store_b8 v2, v1, s[16:17]
	s_wait_xcnt 0x0
	s_or_b32 exec_lo, exec_lo, s1
	s_delay_alu instid0(SALU_CYCLE_1)
	s_mov_b32 s1, exec_lo
	v_cmpx_gt_i32_e64 s24, v0
	s_cbranch_execz .LBB50_49
.LBB50_66:
	s_xor_b32 s2, s0, s12
	v_add_nc_u32_e32 v2, s20, v0
	v_cndmask_b32_e64 v1, 0, 1, s2
	v_add_nc_u32_e32 v0, 0x100, v0
	global_store_b8 v2, v1, s[16:17]
	s_wait_xcnt 0x0
	s_or_b32 exec_lo, exec_lo, s1
	s_delay_alu instid0(SALU_CYCLE_1)
	s_mov_b32 s1, exec_lo
	v_cmpx_gt_i32_e64 s24, v0
	s_cbranch_execz .LBB50_50
.LBB50_67:
	s_xor_b32 s2, s0, s25
	v_add_nc_u32_e32 v2, s20, v0
	v_cndmask_b32_e64 v1, 0, 1, s2
	v_add_nc_u32_e32 v0, 0x100, v0
	global_store_b8 v2, v1, s[16:17]
	s_wait_xcnt 0x0
	s_or_b32 exec_lo, exec_lo, s1
	s_delay_alu instid0(SALU_CYCLE_1)
	s_mov_b32 s1, exec_lo
	v_cmpx_gt_i32_e64 s24, v0
	s_cbranch_execnz .LBB50_51
	s_branch .LBB50_52
	.section	.rodata,"a",@progbits
	.p2align	6, 0x0
	.amdhsa_kernel _ZN2at6native29vectorized_elementwise_kernelILi4ENS0_13BinaryFunctorIllbNS0_12_GLOBAL__N_116CompareEqFunctorIlEEEESt5arrayIPcLm3EEEEviT0_T1_
		.amdhsa_group_segment_fixed_size 0
		.amdhsa_private_segment_fixed_size 0
		.amdhsa_kernarg_size 32
		.amdhsa_user_sgpr_count 2
		.amdhsa_user_sgpr_dispatch_ptr 0
		.amdhsa_user_sgpr_queue_ptr 0
		.amdhsa_user_sgpr_kernarg_segment_ptr 1
		.amdhsa_user_sgpr_dispatch_id 0
		.amdhsa_user_sgpr_kernarg_preload_length 0
		.amdhsa_user_sgpr_kernarg_preload_offset 0
		.amdhsa_user_sgpr_private_segment_size 0
		.amdhsa_wavefront_size32 1
		.amdhsa_uses_dynamic_stack 0
		.amdhsa_enable_private_segment 0
		.amdhsa_system_sgpr_workgroup_id_x 1
		.amdhsa_system_sgpr_workgroup_id_y 0
		.amdhsa_system_sgpr_workgroup_id_z 0
		.amdhsa_system_sgpr_workgroup_info 0
		.amdhsa_system_vgpr_workitem_id 0
		.amdhsa_next_free_vgpr 58
		.amdhsa_next_free_sgpr 27
		.amdhsa_named_barrier_count 0
		.amdhsa_reserve_vcc 1
		.amdhsa_float_round_mode_32 0
		.amdhsa_float_round_mode_16_64 0
		.amdhsa_float_denorm_mode_32 3
		.amdhsa_float_denorm_mode_16_64 3
		.amdhsa_fp16_overflow 0
		.amdhsa_memory_ordered 1
		.amdhsa_forward_progress 1
		.amdhsa_inst_pref_size 29
		.amdhsa_round_robin_scheduling 0
		.amdhsa_exception_fp_ieee_invalid_op 0
		.amdhsa_exception_fp_denorm_src 0
		.amdhsa_exception_fp_ieee_div_zero 0
		.amdhsa_exception_fp_ieee_overflow 0
		.amdhsa_exception_fp_ieee_underflow 0
		.amdhsa_exception_fp_ieee_inexact 0
		.amdhsa_exception_int_div_zero 0
	.end_amdhsa_kernel
	.section	.text._ZN2at6native29vectorized_elementwise_kernelILi4ENS0_13BinaryFunctorIllbNS0_12_GLOBAL__N_116CompareEqFunctorIlEEEESt5arrayIPcLm3EEEEviT0_T1_,"axG",@progbits,_ZN2at6native29vectorized_elementwise_kernelILi4ENS0_13BinaryFunctorIllbNS0_12_GLOBAL__N_116CompareEqFunctorIlEEEESt5arrayIPcLm3EEEEviT0_T1_,comdat
.Lfunc_end50:
	.size	_ZN2at6native29vectorized_elementwise_kernelILi4ENS0_13BinaryFunctorIllbNS0_12_GLOBAL__N_116CompareEqFunctorIlEEEESt5arrayIPcLm3EEEEviT0_T1_, .Lfunc_end50-_ZN2at6native29vectorized_elementwise_kernelILi4ENS0_13BinaryFunctorIllbNS0_12_GLOBAL__N_116CompareEqFunctorIlEEEESt5arrayIPcLm3EEEEviT0_T1_
                                        ; -- End function
	.set _ZN2at6native29vectorized_elementwise_kernelILi4ENS0_13BinaryFunctorIllbNS0_12_GLOBAL__N_116CompareEqFunctorIlEEEESt5arrayIPcLm3EEEEviT0_T1_.num_vgpr, 58
	.set _ZN2at6native29vectorized_elementwise_kernelILi4ENS0_13BinaryFunctorIllbNS0_12_GLOBAL__N_116CompareEqFunctorIlEEEESt5arrayIPcLm3EEEEviT0_T1_.num_agpr, 0
	.set _ZN2at6native29vectorized_elementwise_kernelILi4ENS0_13BinaryFunctorIllbNS0_12_GLOBAL__N_116CompareEqFunctorIlEEEESt5arrayIPcLm3EEEEviT0_T1_.numbered_sgpr, 27
	.set _ZN2at6native29vectorized_elementwise_kernelILi4ENS0_13BinaryFunctorIllbNS0_12_GLOBAL__N_116CompareEqFunctorIlEEEESt5arrayIPcLm3EEEEviT0_T1_.num_named_barrier, 0
	.set _ZN2at6native29vectorized_elementwise_kernelILi4ENS0_13BinaryFunctorIllbNS0_12_GLOBAL__N_116CompareEqFunctorIlEEEESt5arrayIPcLm3EEEEviT0_T1_.private_seg_size, 0
	.set _ZN2at6native29vectorized_elementwise_kernelILi4ENS0_13BinaryFunctorIllbNS0_12_GLOBAL__N_116CompareEqFunctorIlEEEESt5arrayIPcLm3EEEEviT0_T1_.uses_vcc, 1
	.set _ZN2at6native29vectorized_elementwise_kernelILi4ENS0_13BinaryFunctorIllbNS0_12_GLOBAL__N_116CompareEqFunctorIlEEEESt5arrayIPcLm3EEEEviT0_T1_.uses_flat_scratch, 0
	.set _ZN2at6native29vectorized_elementwise_kernelILi4ENS0_13BinaryFunctorIllbNS0_12_GLOBAL__N_116CompareEqFunctorIlEEEESt5arrayIPcLm3EEEEviT0_T1_.has_dyn_sized_stack, 0
	.set _ZN2at6native29vectorized_elementwise_kernelILi4ENS0_13BinaryFunctorIllbNS0_12_GLOBAL__N_116CompareEqFunctorIlEEEESt5arrayIPcLm3EEEEviT0_T1_.has_recursion, 0
	.set _ZN2at6native29vectorized_elementwise_kernelILi4ENS0_13BinaryFunctorIllbNS0_12_GLOBAL__N_116CompareEqFunctorIlEEEESt5arrayIPcLm3EEEEviT0_T1_.has_indirect_call, 0
	.section	.AMDGPU.csdata,"",@progbits
; Kernel info:
; codeLenInByte = 3616
; TotalNumSgprs: 29
; NumVgprs: 58
; ScratchSize: 0
; MemoryBound: 0
; FloatMode: 240
; IeeeMode: 1
; LDSByteSize: 0 bytes/workgroup (compile time only)
; SGPRBlocks: 0
; VGPRBlocks: 3
; NumSGPRsForWavesPerEU: 29
; NumVGPRsForWavesPerEU: 58
; NamedBarCnt: 0
; Occupancy: 16
; WaveLimiterHint : 1
; COMPUTE_PGM_RSRC2:SCRATCH_EN: 0
; COMPUTE_PGM_RSRC2:USER_SGPR: 2
; COMPUTE_PGM_RSRC2:TRAP_HANDLER: 0
; COMPUTE_PGM_RSRC2:TGID_X_EN: 1
; COMPUTE_PGM_RSRC2:TGID_Y_EN: 0
; COMPUTE_PGM_RSRC2:TGID_Z_EN: 0
; COMPUTE_PGM_RSRC2:TIDIG_COMP_CNT: 0
	.section	.text._ZN2at6native29vectorized_elementwise_kernelILi2ENS0_13BinaryFunctorIllbNS0_12_GLOBAL__N_116CompareEqFunctorIlEEEESt5arrayIPcLm3EEEEviT0_T1_,"axG",@progbits,_ZN2at6native29vectorized_elementwise_kernelILi2ENS0_13BinaryFunctorIllbNS0_12_GLOBAL__N_116CompareEqFunctorIlEEEESt5arrayIPcLm3EEEEviT0_T1_,comdat
	.globl	_ZN2at6native29vectorized_elementwise_kernelILi2ENS0_13BinaryFunctorIllbNS0_12_GLOBAL__N_116CompareEqFunctorIlEEEESt5arrayIPcLm3EEEEviT0_T1_ ; -- Begin function _ZN2at6native29vectorized_elementwise_kernelILi2ENS0_13BinaryFunctorIllbNS0_12_GLOBAL__N_116CompareEqFunctorIlEEEESt5arrayIPcLm3EEEEviT0_T1_
	.p2align	8
	.type	_ZN2at6native29vectorized_elementwise_kernelILi2ENS0_13BinaryFunctorIllbNS0_12_GLOBAL__N_116CompareEqFunctorIlEEEESt5arrayIPcLm3EEEEviT0_T1_,@function
_ZN2at6native29vectorized_elementwise_kernelILi2ENS0_13BinaryFunctorIllbNS0_12_GLOBAL__N_116CompareEqFunctorIlEEEESt5arrayIPcLm3EEEEviT0_T1_: ; @_ZN2at6native29vectorized_elementwise_kernelILi2ENS0_13BinaryFunctorIllbNS0_12_GLOBAL__N_116CompareEqFunctorIlEEEESt5arrayIPcLm3EEEEviT0_T1_
; %bb.0:
	s_clause 0x2
	s_load_b64 s[14:15], s[0:1], 0x0
	s_load_b128 s[16:19], s[0:1], 0x8
	s_load_b64 s[22:23], s[0:1], 0x18
	s_wait_xcnt 0x0
	s_bfe_u32 s0, ttmp6, 0x4000c
	s_and_b32 s1, ttmp6, 15
	s_add_co_i32 s0, s0, 1
	s_getreg_b32 s2, hwreg(HW_REG_IB_STS2, 6, 4)
	s_mul_i32 s0, ttmp9, s0
	s_mov_b32 s25, -1
	s_add_co_i32 s1, s1, s0
	s_cmp_eq_u32 s2, 0
	s_cselect_b32 s0, ttmp9, s1
	s_delay_alu instid0(SALU_CYCLE_1) | instskip(SKIP_2) | instid1(SALU_CYCLE_1)
	s_lshl_b32 s20, s0, 12
	s_wait_kmcnt 0x0
	s_sub_co_i32 s24, s14, s20
	s_cmp_gt_i32 s24, 0xfff
	s_cbranch_scc0 .LBB51_2
; %bb.1:
	s_ashr_i32 s21, s20, 31
	s_mov_b32 s25, 0
	s_lshl_b64 s[0:1], s[20:21], 3
	s_cmp_eq_u32 s15, 0
	s_add_nc_u64 s[2:3], s[22:23], s[0:1]
	s_add_nc_u64 s[4:5], s[18:19], s[0:1]
	s_clause 0xc
	global_load_b128 v[2:5], v0, s[2:3] scale_offset
	global_load_b128 v[6:9], v0, s[4:5] scale_offset
	global_load_b128 v[10:13], v0, s[4:5] offset:4096 scale_offset
	global_load_b128 v[14:17], v0, s[4:5] offset:8192 scale_offset
	;; [unrolled: 1-line block ×11, first 2 shown]
	s_add_nc_u64 s[26:27], s[16:17], s[20:21]
	s_cselect_b32 s21, -1, 0
	s_wait_loadcnt 0xb
	v_cmp_ne_u64_e32 vcc_lo, v[6:7], v[2:3]
	v_cmp_ne_u64_e64 s0, v[8:9], v[4:5]
	s_clause 0x2
	global_load_b128 v[2:5], v0, s[4:5] offset:24576 scale_offset
	global_load_b128 v[6:9], v0, s[4:5] offset:28672 scale_offset
	;; [unrolled: 1-line block ×3, first 2 shown]
	s_wait_loadcnt 0xa
	v_cmp_ne_u64_e64 s1, v[10:11], v[22:23]
	s_wait_xcnt 0x0
	v_cmp_ne_u64_e64 s2, v[12:13], v[24:25]
	s_wait_loadcnt 0x9
	v_cmp_ne_u64_e64 s3, v[14:15], v[26:27]
	v_cmp_ne_u64_e64 s4, v[16:17], v[28:29]
	s_xor_b32 s0, s21, s0
	s_wait_loadcnt 0x6
	v_cmp_ne_u64_e64 s5, v[18:19], v[38:39]
	v_cmp_ne_u64_e64 s6, v[20:21], v[40:41]
	s_wait_loadcnt 0x5
	v_cmp_ne_u64_e64 s7, v[30:31], v[42:43]
	v_cmp_ne_u64_e64 s8, v[32:33], v[44:45]
	;; [unrolled: 3-line block ×3, first 2 shown]
	s_xor_b32 s28, s21, vcc_lo
	s_delay_alu instid0(SALU_CYCLE_1)
	v_cndmask_b32_e64 v1, 0, 1, s28
	s_wait_loadcnt 0x2
	v_cmp_ne_u64_e64 s11, v[2:3], v[50:51]
	v_cndmask_b32_e64 v2, 0, 0x100, s0
	s_xor_b32 s0, s21, s1
	v_cmp_ne_u64_e64 s12, v[4:5], v[52:53]
	v_cndmask_b32_e64 v3, 0, 1, s0
	s_xor_b32 s0, s21, s2
	s_wait_loadcnt 0x0
	v_cmp_ne_u64_e64 s13, v[6:7], v[54:55]
	v_cndmask_b32_e64 v4, 0, 0x100, s0
	s_xor_b32 s0, s21, s3
	v_cmp_ne_u64_e64 s14, v[8:9], v[56:57]
	v_cndmask_b32_e64 v5, 0, 1, s0
	s_xor_b32 s0, s21, s4
	v_or_b32_e32 v1, v2, v1
	v_cndmask_b32_e64 v6, 0, 0x100, s0
	s_xor_b32 s0, s21, s5
	v_or_b32_e32 v2, v4, v3
	;; [unrolled: 3-line block ×3, first 2 shown]
	v_cndmask_b32_e64 v8, 0, 0x100, s0
	s_xor_b32 s0, s21, s7
	s_delay_alu instid0(SALU_CYCLE_1) | instskip(SKIP_1) | instid1(VALU_DEP_2)
	v_cndmask_b32_e64 v9, 0, 1, s0
	s_xor_b32 s0, s21, s8
	v_or_b32_e32 v4, v8, v7
	v_cndmask_b32_e64 v10, 0, 0x100, s0
	s_xor_b32 s0, s21, s9
	s_delay_alu instid0(SALU_CYCLE_1) | instskip(SKIP_1) | instid1(VALU_DEP_2)
	v_cndmask_b32_e64 v11, 0, 1, s0
	s_xor_b32 s0, s21, s10
	v_or_b32_e32 v5, v10, v9
	;; [unrolled: 6-line block ×4, first 2 shown]
	v_cndmask_b32_e64 v16, 0, 0x100, s0
	s_delay_alu instid0(VALU_DEP_1)
	v_or_b32_e32 v8, v16, v15
	s_clause 0x7
	global_store_b16 v0, v1, s[26:27] scale_offset
	global_store_b16 v0, v2, s[26:27] offset:512 scale_offset
	global_store_b16 v0, v3, s[26:27] offset:1024 scale_offset
	global_store_b16 v0, v4, s[26:27] offset:1536 scale_offset
	global_store_b16 v0, v5, s[26:27] offset:2048 scale_offset
	global_store_b16 v0, v6, s[26:27] offset:2560 scale_offset
	global_store_b16 v0, v7, s[26:27] offset:3072 scale_offset
	global_store_b16 v0, v8, s[26:27] offset:3584 scale_offset
.LBB51_2:
	s_and_not1_b32 vcc_lo, exec_lo, s25
	s_cbranch_vccnz .LBB51_52
; %bb.3:
	v_cmp_gt_i32_e32 vcc_lo, s24, v0
	s_wait_xcnt 0x5
	v_dual_mov_b32 v3, v0 :: v_dual_bitop2_b32 v1, s20, v0 bitop3:0x54
	v_or_b32_e32 v2, 0x100, v0
	s_mov_b32 s1, 0
	s_mov_b32 s2, 0
	s_wait_xcnt 0x0
	s_and_saveexec_b32 s3, vcc_lo
	s_cbranch_execz .LBB51_5
; %bb.4:
	s_clause 0x1
	global_load_b64 v[4:5], v1, s[18:19] scale_offset
	global_load_b64 v[6:7], v1, s[22:23] scale_offset
	v_or_b32_e32 v3, 0x100, v0
	s_wait_loadcnt 0x0
	v_cmp_ne_u64_e64 s0, v[4:5], v[6:7]
	s_and_b32 s2, s0, exec_lo
.LBB51_5:
	s_wait_xcnt 0x0
	s_or_b32 exec_lo, exec_lo, s3
	s_delay_alu instid0(SALU_CYCLE_1)
	s_mov_b32 s3, exec_lo
	v_cmpx_gt_i32_e64 s24, v3
	s_cbranch_execz .LBB51_7
; %bb.6:
	v_add_nc_u32_e32 v8, s20, v3
	v_add_nc_u32_e32 v3, 0x100, v3
	s_clause 0x1
	global_load_b64 v[4:5], v8, s[18:19] scale_offset
	global_load_b64 v[6:7], v8, s[22:23] scale_offset
	s_wait_loadcnt 0x0
	v_cmp_ne_u64_e64 s0, v[4:5], v[6:7]
	s_and_b32 s1, s0, exec_lo
.LBB51_7:
	s_wait_xcnt 0x0
	s_or_b32 exec_lo, exec_lo, s3
	s_mov_b32 s3, 0
	s_mov_b32 s5, 0
	s_mov_b32 s4, exec_lo
	v_cmpx_gt_i32_e64 s24, v3
	s_cbranch_execz .LBB51_9
; %bb.8:
	v_add_nc_u32_e32 v8, s20, v3
	v_add_nc_u32_e32 v3, 0x100, v3
	s_clause 0x1
	global_load_b64 v[4:5], v8, s[18:19] scale_offset
	global_load_b64 v[6:7], v8, s[22:23] scale_offset
	s_wait_loadcnt 0x0
	v_cmp_ne_u64_e64 s0, v[4:5], v[6:7]
	s_and_b32 s5, s0, exec_lo
.LBB51_9:
	s_wait_xcnt 0x0
	s_or_b32 exec_lo, exec_lo, s4
	s_delay_alu instid0(SALU_CYCLE_1)
	s_mov_b32 s4, exec_lo
	v_cmpx_gt_i32_e64 s24, v3
	s_cbranch_execz .LBB51_11
; %bb.10:
	v_add_nc_u32_e32 v8, s20, v3
	v_add_nc_u32_e32 v3, 0x100, v3
	s_clause 0x1
	global_load_b64 v[4:5], v8, s[18:19] scale_offset
	global_load_b64 v[6:7], v8, s[22:23] scale_offset
	s_wait_loadcnt 0x0
	v_cmp_ne_u64_e64 s0, v[4:5], v[6:7]
	s_and_b32 s3, s0, exec_lo
.LBB51_11:
	s_wait_xcnt 0x0
	s_or_b32 exec_lo, exec_lo, s4
	s_mov_b32 s4, 0
	s_mov_b32 s7, 0
	s_mov_b32 s6, exec_lo
	v_cmpx_gt_i32_e64 s24, v3
	s_cbranch_execz .LBB51_13
; %bb.12:
	v_add_nc_u32_e32 v8, s20, v3
	v_add_nc_u32_e32 v3, 0x100, v3
	s_clause 0x1
	global_load_b64 v[4:5], v8, s[18:19] scale_offset
	global_load_b64 v[6:7], v8, s[22:23] scale_offset
	s_wait_loadcnt 0x0
	v_cmp_ne_u64_e64 s0, v[4:5], v[6:7]
	s_and_b32 s7, s0, exec_lo
.LBB51_13:
	s_wait_xcnt 0x0
	s_or_b32 exec_lo, exec_lo, s6
	s_delay_alu instid0(SALU_CYCLE_1)
	s_mov_b32 s6, exec_lo
	v_cmpx_gt_i32_e64 s24, v3
	s_cbranch_execz .LBB51_15
; %bb.14:
	v_add_nc_u32_e32 v8, s20, v3
	v_add_nc_u32_e32 v3, 0x100, v3
	s_clause 0x1
	global_load_b64 v[4:5], v8, s[18:19] scale_offset
	global_load_b64 v[6:7], v8, s[22:23] scale_offset
	s_wait_loadcnt 0x0
	v_cmp_ne_u64_e64 s0, v[4:5], v[6:7]
	s_and_b32 s4, s0, exec_lo
.LBB51_15:
	s_wait_xcnt 0x0
	s_or_b32 exec_lo, exec_lo, s6
	s_mov_b32 s6, 0
	s_mov_b32 s9, 0
	s_mov_b32 s8, exec_lo
	v_cmpx_gt_i32_e64 s24, v3
	s_cbranch_execz .LBB51_17
; %bb.16:
	v_add_nc_u32_e32 v8, s20, v3
	v_add_nc_u32_e32 v3, 0x100, v3
	s_clause 0x1
	global_load_b64 v[4:5], v8, s[18:19] scale_offset
	global_load_b64 v[6:7], v8, s[22:23] scale_offset
	s_wait_loadcnt 0x0
	v_cmp_ne_u64_e64 s0, v[4:5], v[6:7]
	s_and_b32 s9, s0, exec_lo
.LBB51_17:
	s_wait_xcnt 0x0
	s_or_b32 exec_lo, exec_lo, s8
	s_delay_alu instid0(SALU_CYCLE_1)
	s_mov_b32 s8, exec_lo
	v_cmpx_gt_i32_e64 s24, v3
	s_cbranch_execz .LBB51_19
; %bb.18:
	v_add_nc_u32_e32 v8, s20, v3
	v_add_nc_u32_e32 v3, 0x100, v3
	s_clause 0x1
	global_load_b64 v[4:5], v8, s[18:19] scale_offset
	global_load_b64 v[6:7], v8, s[22:23] scale_offset
	s_wait_loadcnt 0x0
	v_cmp_ne_u64_e64 s0, v[4:5], v[6:7]
	s_and_b32 s6, s0, exec_lo
.LBB51_19:
	s_wait_xcnt 0x0
	s_or_b32 exec_lo, exec_lo, s8
	s_mov_b32 s8, 0
	s_mov_b32 s11, 0
	s_mov_b32 s10, exec_lo
	v_cmpx_gt_i32_e64 s24, v3
	s_cbranch_execz .LBB51_21
; %bb.20:
	v_add_nc_u32_e32 v8, s20, v3
	v_add_nc_u32_e32 v3, 0x100, v3
	s_clause 0x1
	global_load_b64 v[4:5], v8, s[18:19] scale_offset
	global_load_b64 v[6:7], v8, s[22:23] scale_offset
	s_wait_loadcnt 0x0
	v_cmp_ne_u64_e64 s0, v[4:5], v[6:7]
	s_and_b32 s11, s0, exec_lo
.LBB51_21:
	s_wait_xcnt 0x0
	s_or_b32 exec_lo, exec_lo, s10
	s_delay_alu instid0(SALU_CYCLE_1)
	s_mov_b32 s10, exec_lo
	v_cmpx_gt_i32_e64 s24, v3
	s_cbranch_execz .LBB51_23
; %bb.22:
	v_add_nc_u32_e32 v8, s20, v3
	v_add_nc_u32_e32 v3, 0x100, v3
	s_clause 0x1
	global_load_b64 v[4:5], v8, s[18:19] scale_offset
	global_load_b64 v[6:7], v8, s[22:23] scale_offset
	s_wait_loadcnt 0x0
	v_cmp_ne_u64_e64 s0, v[4:5], v[6:7]
	s_and_b32 s8, s0, exec_lo
.LBB51_23:
	s_wait_xcnt 0x0
	s_or_b32 exec_lo, exec_lo, s10
	s_mov_b32 s10, 0
	s_mov_b32 s13, 0
	s_mov_b32 s12, exec_lo
	v_cmpx_gt_i32_e64 s24, v3
	s_cbranch_execz .LBB51_25
; %bb.24:
	v_add_nc_u32_e32 v8, s20, v3
	v_add_nc_u32_e32 v3, 0x100, v3
	s_clause 0x1
	global_load_b64 v[4:5], v8, s[18:19] scale_offset
	global_load_b64 v[6:7], v8, s[22:23] scale_offset
	s_wait_loadcnt 0x0
	v_cmp_ne_u64_e64 s0, v[4:5], v[6:7]
	s_and_b32 s13, s0, exec_lo
.LBB51_25:
	s_wait_xcnt 0x0
	s_or_b32 exec_lo, exec_lo, s12
	s_delay_alu instid0(SALU_CYCLE_1)
	s_mov_b32 s12, exec_lo
	v_cmpx_gt_i32_e64 s24, v3
	s_cbranch_execz .LBB51_27
; %bb.26:
	v_add_nc_u32_e32 v8, s20, v3
	v_add_nc_u32_e32 v3, 0x100, v3
	s_clause 0x1
	global_load_b64 v[4:5], v8, s[18:19] scale_offset
	global_load_b64 v[6:7], v8, s[22:23] scale_offset
	s_wait_loadcnt 0x0
	v_cmp_ne_u64_e64 s0, v[4:5], v[6:7]
	s_and_b32 s10, s0, exec_lo
.LBB51_27:
	s_wait_xcnt 0x0
	s_or_b32 exec_lo, exec_lo, s12
	s_mov_b32 s12, 0
	s_mov_b32 s21, 0
	s_mov_b32 s14, exec_lo
	v_cmpx_gt_i32_e64 s24, v3
	s_cbranch_execz .LBB51_29
; %bb.28:
	v_add_nc_u32_e32 v8, s20, v3
	v_add_nc_u32_e32 v3, 0x100, v3
	s_clause 0x1
	global_load_b64 v[4:5], v8, s[18:19] scale_offset
	global_load_b64 v[6:7], v8, s[22:23] scale_offset
	s_wait_loadcnt 0x0
	v_cmp_ne_u64_e64 s0, v[4:5], v[6:7]
	s_and_b32 s21, s0, exec_lo
.LBB51_29:
	s_wait_xcnt 0x0
	s_or_b32 exec_lo, exec_lo, s14
	s_delay_alu instid0(SALU_CYCLE_1)
	s_mov_b32 s14, exec_lo
	v_cmpx_gt_i32_e64 s24, v3
	s_cbranch_execz .LBB51_31
; %bb.30:
	v_add_nc_u32_e32 v8, s20, v3
	v_add_nc_u32_e32 v3, 0x100, v3
	s_clause 0x1
	global_load_b64 v[4:5], v8, s[18:19] scale_offset
	global_load_b64 v[6:7], v8, s[22:23] scale_offset
	s_wait_loadcnt 0x0
	v_cmp_ne_u64_e64 s0, v[4:5], v[6:7]
	s_and_b32 s12, s0, exec_lo
.LBB51_31:
	s_wait_xcnt 0x0
	s_or_b32 exec_lo, exec_lo, s14
	s_mov_b32 s14, 0
	s_mov_b32 s25, 0
	s_mov_b32 s26, exec_lo
	v_cmpx_gt_i32_e64 s24, v3
	s_cbranch_execz .LBB51_33
; %bb.32:
	v_add_nc_u32_e32 v8, s20, v3
	v_add_nc_u32_e32 v3, 0x100, v3
	s_clause 0x1
	global_load_b64 v[4:5], v8, s[18:19] scale_offset
	global_load_b64 v[6:7], v8, s[22:23] scale_offset
	s_wait_loadcnt 0x0
	v_cmp_ne_u64_e64 s0, v[4:5], v[6:7]
	s_and_b32 s25, s0, exec_lo
.LBB51_33:
	s_wait_xcnt 0x0
	s_or_b32 exec_lo, exec_lo, s26
	s_delay_alu instid0(SALU_CYCLE_1)
	s_mov_b32 s26, exec_lo
	v_cmpx_gt_i32_e64 s24, v3
	s_cbranch_execz .LBB51_35
; %bb.34:
	v_add_nc_u32_e32 v3, s20, v3
	s_clause 0x1
	global_load_b64 v[4:5], v3, s[18:19] scale_offset
	global_load_b64 v[6:7], v3, s[22:23] scale_offset
	s_wait_loadcnt 0x0
	v_cmp_ne_u64_e64 s0, v[4:5], v[6:7]
	s_and_b32 s14, s0, exec_lo
.LBB51_35:
	s_wait_xcnt 0x0
	s_or_b32 exec_lo, exec_lo, s26
	s_cmp_eq_u32 s15, 0
	s_cselect_b32 s0, -1, 0
	s_and_saveexec_b32 s15, vcc_lo
	s_cbranch_execnz .LBB51_53
; %bb.36:
	s_or_b32 exec_lo, exec_lo, s15
	s_delay_alu instid0(SALU_CYCLE_1)
	s_mov_b32 s2, exec_lo
	v_cmpx_gt_i32_e64 s24, v0
	s_cbranch_execnz .LBB51_54
.LBB51_37:
	s_or_b32 exec_lo, exec_lo, s2
	s_delay_alu instid0(SALU_CYCLE_1)
	s_mov_b32 s1, exec_lo
	v_cmpx_gt_i32_e64 s24, v0
	s_cbranch_execnz .LBB51_55
.LBB51_38:
	s_or_b32 exec_lo, exec_lo, s1
	s_delay_alu instid0(SALU_CYCLE_1)
	s_mov_b32 s1, exec_lo
	v_cmpx_gt_i32_e64 s24, v0
	s_cbranch_execnz .LBB51_56
.LBB51_39:
	s_or_b32 exec_lo, exec_lo, s1
	s_delay_alu instid0(SALU_CYCLE_1)
	s_mov_b32 s1, exec_lo
	v_cmpx_gt_i32_e64 s24, v0
	s_cbranch_execnz .LBB51_57
.LBB51_40:
	s_or_b32 exec_lo, exec_lo, s1
	s_delay_alu instid0(SALU_CYCLE_1)
	s_mov_b32 s1, exec_lo
	v_cmpx_gt_i32_e64 s24, v0
	s_cbranch_execnz .LBB51_58
.LBB51_41:
	s_or_b32 exec_lo, exec_lo, s1
	s_delay_alu instid0(SALU_CYCLE_1)
	s_mov_b32 s1, exec_lo
	v_cmpx_gt_i32_e64 s24, v0
	s_cbranch_execnz .LBB51_59
.LBB51_42:
	s_or_b32 exec_lo, exec_lo, s1
	s_delay_alu instid0(SALU_CYCLE_1)
	s_mov_b32 s1, exec_lo
	v_cmpx_gt_i32_e64 s24, v0
	s_cbranch_execnz .LBB51_60
.LBB51_43:
	s_or_b32 exec_lo, exec_lo, s1
	s_delay_alu instid0(SALU_CYCLE_1)
	s_mov_b32 s1, exec_lo
	v_cmpx_gt_i32_e64 s24, v0
	s_cbranch_execnz .LBB51_61
.LBB51_44:
	s_or_b32 exec_lo, exec_lo, s1
	s_delay_alu instid0(SALU_CYCLE_1)
	s_mov_b32 s1, exec_lo
	v_cmpx_gt_i32_e64 s24, v0
	s_cbranch_execnz .LBB51_62
.LBB51_45:
	s_or_b32 exec_lo, exec_lo, s1
	s_delay_alu instid0(SALU_CYCLE_1)
	s_mov_b32 s1, exec_lo
	v_cmpx_gt_i32_e64 s24, v0
	s_cbranch_execnz .LBB51_63
.LBB51_46:
	s_or_b32 exec_lo, exec_lo, s1
	s_delay_alu instid0(SALU_CYCLE_1)
	s_mov_b32 s1, exec_lo
	v_cmpx_gt_i32_e64 s24, v0
	s_cbranch_execnz .LBB51_64
.LBB51_47:
	s_or_b32 exec_lo, exec_lo, s1
	s_delay_alu instid0(SALU_CYCLE_1)
	s_mov_b32 s1, exec_lo
	v_cmpx_gt_i32_e64 s24, v0
	s_cbranch_execnz .LBB51_65
.LBB51_48:
	s_or_b32 exec_lo, exec_lo, s1
	s_delay_alu instid0(SALU_CYCLE_1)
	s_mov_b32 s1, exec_lo
	v_cmpx_gt_i32_e64 s24, v0
	s_cbranch_execnz .LBB51_66
.LBB51_49:
	s_or_b32 exec_lo, exec_lo, s1
	s_delay_alu instid0(SALU_CYCLE_1)
	s_mov_b32 s1, exec_lo
	v_cmpx_gt_i32_e64 s24, v0
	s_cbranch_execnz .LBB51_67
.LBB51_50:
	s_or_b32 exec_lo, exec_lo, s1
	s_delay_alu instid0(SALU_CYCLE_1)
	s_mov_b32 s1, exec_lo
	v_cmpx_gt_i32_e64 s24, v0
	s_cbranch_execz .LBB51_52
.LBB51_51:
	s_xor_b32 s0, s0, s14
	v_add_nc_u32_e32 v0, s20, v0
	v_cndmask_b32_e64 v1, 0, 1, s0
	global_store_b8 v0, v1, s[16:17]
.LBB51_52:
	s_endpgm
.LBB51_53:
	s_xor_b32 s2, s0, s2
	v_mov_b32_e32 v0, v2
	v_cndmask_b32_e64 v3, 0, 1, s2
	global_store_b8 v1, v3, s[16:17]
	s_wait_xcnt 0x0
	s_or_b32 exec_lo, exec_lo, s15
	s_delay_alu instid0(SALU_CYCLE_1)
	s_mov_b32 s2, exec_lo
	v_cmpx_gt_i32_e64 s24, v0
	s_cbranch_execz .LBB51_37
.LBB51_54:
	s_xor_b32 s1, s0, s1
	v_add_nc_u32_e32 v2, s20, v0
	v_cndmask_b32_e64 v1, 0, 1, s1
	v_add_nc_u32_e32 v0, 0x100, v0
	global_store_b8 v2, v1, s[16:17]
	s_wait_xcnt 0x0
	s_or_b32 exec_lo, exec_lo, s2
	s_delay_alu instid0(SALU_CYCLE_1)
	s_mov_b32 s1, exec_lo
	v_cmpx_gt_i32_e64 s24, v0
	s_cbranch_execz .LBB51_38
.LBB51_55:
	s_xor_b32 s2, s0, s5
	v_add_nc_u32_e32 v2, s20, v0
	v_cndmask_b32_e64 v1, 0, 1, s2
	v_add_nc_u32_e32 v0, 0x100, v0
	global_store_b8 v2, v1, s[16:17]
	s_wait_xcnt 0x0
	s_or_b32 exec_lo, exec_lo, s1
	s_delay_alu instid0(SALU_CYCLE_1)
	s_mov_b32 s1, exec_lo
	v_cmpx_gt_i32_e64 s24, v0
	s_cbranch_execz .LBB51_39
.LBB51_56:
	s_xor_b32 s2, s0, s3
	v_add_nc_u32_e32 v2, s20, v0
	v_cndmask_b32_e64 v1, 0, 1, s2
	v_add_nc_u32_e32 v0, 0x100, v0
	global_store_b8 v2, v1, s[16:17]
	s_wait_xcnt 0x0
	s_or_b32 exec_lo, exec_lo, s1
	s_delay_alu instid0(SALU_CYCLE_1)
	s_mov_b32 s1, exec_lo
	v_cmpx_gt_i32_e64 s24, v0
	s_cbranch_execz .LBB51_40
.LBB51_57:
	s_xor_b32 s2, s0, s7
	v_add_nc_u32_e32 v2, s20, v0
	v_cndmask_b32_e64 v1, 0, 1, s2
	v_add_nc_u32_e32 v0, 0x100, v0
	global_store_b8 v2, v1, s[16:17]
	s_wait_xcnt 0x0
	s_or_b32 exec_lo, exec_lo, s1
	s_delay_alu instid0(SALU_CYCLE_1)
	s_mov_b32 s1, exec_lo
	v_cmpx_gt_i32_e64 s24, v0
	s_cbranch_execz .LBB51_41
.LBB51_58:
	s_xor_b32 s2, s0, s4
	v_add_nc_u32_e32 v2, s20, v0
	v_cndmask_b32_e64 v1, 0, 1, s2
	v_add_nc_u32_e32 v0, 0x100, v0
	global_store_b8 v2, v1, s[16:17]
	s_wait_xcnt 0x0
	s_or_b32 exec_lo, exec_lo, s1
	s_delay_alu instid0(SALU_CYCLE_1)
	s_mov_b32 s1, exec_lo
	v_cmpx_gt_i32_e64 s24, v0
	s_cbranch_execz .LBB51_42
.LBB51_59:
	s_xor_b32 s2, s0, s9
	v_add_nc_u32_e32 v2, s20, v0
	v_cndmask_b32_e64 v1, 0, 1, s2
	v_add_nc_u32_e32 v0, 0x100, v0
	global_store_b8 v2, v1, s[16:17]
	s_wait_xcnt 0x0
	s_or_b32 exec_lo, exec_lo, s1
	s_delay_alu instid0(SALU_CYCLE_1)
	s_mov_b32 s1, exec_lo
	v_cmpx_gt_i32_e64 s24, v0
	s_cbranch_execz .LBB51_43
.LBB51_60:
	s_xor_b32 s2, s0, s6
	v_add_nc_u32_e32 v2, s20, v0
	v_cndmask_b32_e64 v1, 0, 1, s2
	v_add_nc_u32_e32 v0, 0x100, v0
	global_store_b8 v2, v1, s[16:17]
	s_wait_xcnt 0x0
	s_or_b32 exec_lo, exec_lo, s1
	s_delay_alu instid0(SALU_CYCLE_1)
	s_mov_b32 s1, exec_lo
	v_cmpx_gt_i32_e64 s24, v0
	s_cbranch_execz .LBB51_44
.LBB51_61:
	s_xor_b32 s2, s0, s11
	v_add_nc_u32_e32 v2, s20, v0
	v_cndmask_b32_e64 v1, 0, 1, s2
	v_add_nc_u32_e32 v0, 0x100, v0
	global_store_b8 v2, v1, s[16:17]
	s_wait_xcnt 0x0
	s_or_b32 exec_lo, exec_lo, s1
	s_delay_alu instid0(SALU_CYCLE_1)
	s_mov_b32 s1, exec_lo
	v_cmpx_gt_i32_e64 s24, v0
	s_cbranch_execz .LBB51_45
.LBB51_62:
	s_xor_b32 s2, s0, s8
	v_add_nc_u32_e32 v2, s20, v0
	v_cndmask_b32_e64 v1, 0, 1, s2
	v_add_nc_u32_e32 v0, 0x100, v0
	global_store_b8 v2, v1, s[16:17]
	s_wait_xcnt 0x0
	s_or_b32 exec_lo, exec_lo, s1
	s_delay_alu instid0(SALU_CYCLE_1)
	s_mov_b32 s1, exec_lo
	v_cmpx_gt_i32_e64 s24, v0
	s_cbranch_execz .LBB51_46
.LBB51_63:
	s_xor_b32 s2, s0, s13
	v_add_nc_u32_e32 v2, s20, v0
	v_cndmask_b32_e64 v1, 0, 1, s2
	v_add_nc_u32_e32 v0, 0x100, v0
	global_store_b8 v2, v1, s[16:17]
	s_wait_xcnt 0x0
	s_or_b32 exec_lo, exec_lo, s1
	s_delay_alu instid0(SALU_CYCLE_1)
	s_mov_b32 s1, exec_lo
	v_cmpx_gt_i32_e64 s24, v0
	s_cbranch_execz .LBB51_47
.LBB51_64:
	s_xor_b32 s2, s0, s10
	v_add_nc_u32_e32 v2, s20, v0
	v_cndmask_b32_e64 v1, 0, 1, s2
	v_add_nc_u32_e32 v0, 0x100, v0
	global_store_b8 v2, v1, s[16:17]
	s_wait_xcnt 0x0
	s_or_b32 exec_lo, exec_lo, s1
	s_delay_alu instid0(SALU_CYCLE_1)
	s_mov_b32 s1, exec_lo
	v_cmpx_gt_i32_e64 s24, v0
	s_cbranch_execz .LBB51_48
.LBB51_65:
	s_xor_b32 s2, s0, s21
	v_add_nc_u32_e32 v2, s20, v0
	v_cndmask_b32_e64 v1, 0, 1, s2
	v_add_nc_u32_e32 v0, 0x100, v0
	global_store_b8 v2, v1, s[16:17]
	s_wait_xcnt 0x0
	s_or_b32 exec_lo, exec_lo, s1
	s_delay_alu instid0(SALU_CYCLE_1)
	s_mov_b32 s1, exec_lo
	v_cmpx_gt_i32_e64 s24, v0
	s_cbranch_execz .LBB51_49
.LBB51_66:
	s_xor_b32 s2, s0, s12
	v_add_nc_u32_e32 v2, s20, v0
	v_cndmask_b32_e64 v1, 0, 1, s2
	v_add_nc_u32_e32 v0, 0x100, v0
	global_store_b8 v2, v1, s[16:17]
	s_wait_xcnt 0x0
	s_or_b32 exec_lo, exec_lo, s1
	s_delay_alu instid0(SALU_CYCLE_1)
	s_mov_b32 s1, exec_lo
	v_cmpx_gt_i32_e64 s24, v0
	s_cbranch_execz .LBB51_50
.LBB51_67:
	s_xor_b32 s2, s0, s25
	v_add_nc_u32_e32 v2, s20, v0
	v_cndmask_b32_e64 v1, 0, 1, s2
	v_add_nc_u32_e32 v0, 0x100, v0
	global_store_b8 v2, v1, s[16:17]
	s_wait_xcnt 0x0
	s_or_b32 exec_lo, exec_lo, s1
	s_delay_alu instid0(SALU_CYCLE_1)
	s_mov_b32 s1, exec_lo
	v_cmpx_gt_i32_e64 s24, v0
	s_cbranch_execnz .LBB51_51
	s_branch .LBB51_52
	.section	.rodata,"a",@progbits
	.p2align	6, 0x0
	.amdhsa_kernel _ZN2at6native29vectorized_elementwise_kernelILi2ENS0_13BinaryFunctorIllbNS0_12_GLOBAL__N_116CompareEqFunctorIlEEEESt5arrayIPcLm3EEEEviT0_T1_
		.amdhsa_group_segment_fixed_size 0
		.amdhsa_private_segment_fixed_size 0
		.amdhsa_kernarg_size 32
		.amdhsa_user_sgpr_count 2
		.amdhsa_user_sgpr_dispatch_ptr 0
		.amdhsa_user_sgpr_queue_ptr 0
		.amdhsa_user_sgpr_kernarg_segment_ptr 1
		.amdhsa_user_sgpr_dispatch_id 0
		.amdhsa_user_sgpr_kernarg_preload_length 0
		.amdhsa_user_sgpr_kernarg_preload_offset 0
		.amdhsa_user_sgpr_private_segment_size 0
		.amdhsa_wavefront_size32 1
		.amdhsa_uses_dynamic_stack 0
		.amdhsa_enable_private_segment 0
		.amdhsa_system_sgpr_workgroup_id_x 1
		.amdhsa_system_sgpr_workgroup_id_y 0
		.amdhsa_system_sgpr_workgroup_id_z 0
		.amdhsa_system_sgpr_workgroup_info 0
		.amdhsa_system_vgpr_workitem_id 0
		.amdhsa_next_free_vgpr 58
		.amdhsa_next_free_sgpr 29
		.amdhsa_named_barrier_count 0
		.amdhsa_reserve_vcc 1
		.amdhsa_float_round_mode_32 0
		.amdhsa_float_round_mode_16_64 0
		.amdhsa_float_denorm_mode_32 3
		.amdhsa_float_denorm_mode_16_64 3
		.amdhsa_fp16_overflow 0
		.amdhsa_memory_ordered 1
		.amdhsa_forward_progress 1
		.amdhsa_inst_pref_size 29
		.amdhsa_round_robin_scheduling 0
		.amdhsa_exception_fp_ieee_invalid_op 0
		.amdhsa_exception_fp_denorm_src 0
		.amdhsa_exception_fp_ieee_div_zero 0
		.amdhsa_exception_fp_ieee_overflow 0
		.amdhsa_exception_fp_ieee_underflow 0
		.amdhsa_exception_fp_ieee_inexact 0
		.amdhsa_exception_int_div_zero 0
	.end_amdhsa_kernel
	.section	.text._ZN2at6native29vectorized_elementwise_kernelILi2ENS0_13BinaryFunctorIllbNS0_12_GLOBAL__N_116CompareEqFunctorIlEEEESt5arrayIPcLm3EEEEviT0_T1_,"axG",@progbits,_ZN2at6native29vectorized_elementwise_kernelILi2ENS0_13BinaryFunctorIllbNS0_12_GLOBAL__N_116CompareEqFunctorIlEEEESt5arrayIPcLm3EEEEviT0_T1_,comdat
.Lfunc_end51:
	.size	_ZN2at6native29vectorized_elementwise_kernelILi2ENS0_13BinaryFunctorIllbNS0_12_GLOBAL__N_116CompareEqFunctorIlEEEESt5arrayIPcLm3EEEEviT0_T1_, .Lfunc_end51-_ZN2at6native29vectorized_elementwise_kernelILi2ENS0_13BinaryFunctorIllbNS0_12_GLOBAL__N_116CompareEqFunctorIlEEEESt5arrayIPcLm3EEEEviT0_T1_
                                        ; -- End function
	.set _ZN2at6native29vectorized_elementwise_kernelILi2ENS0_13BinaryFunctorIllbNS0_12_GLOBAL__N_116CompareEqFunctorIlEEEESt5arrayIPcLm3EEEEviT0_T1_.num_vgpr, 58
	.set _ZN2at6native29vectorized_elementwise_kernelILi2ENS0_13BinaryFunctorIllbNS0_12_GLOBAL__N_116CompareEqFunctorIlEEEESt5arrayIPcLm3EEEEviT0_T1_.num_agpr, 0
	.set _ZN2at6native29vectorized_elementwise_kernelILi2ENS0_13BinaryFunctorIllbNS0_12_GLOBAL__N_116CompareEqFunctorIlEEEESt5arrayIPcLm3EEEEviT0_T1_.numbered_sgpr, 29
	.set _ZN2at6native29vectorized_elementwise_kernelILi2ENS0_13BinaryFunctorIllbNS0_12_GLOBAL__N_116CompareEqFunctorIlEEEESt5arrayIPcLm3EEEEviT0_T1_.num_named_barrier, 0
	.set _ZN2at6native29vectorized_elementwise_kernelILi2ENS0_13BinaryFunctorIllbNS0_12_GLOBAL__N_116CompareEqFunctorIlEEEESt5arrayIPcLm3EEEEviT0_T1_.private_seg_size, 0
	.set _ZN2at6native29vectorized_elementwise_kernelILi2ENS0_13BinaryFunctorIllbNS0_12_GLOBAL__N_116CompareEqFunctorIlEEEESt5arrayIPcLm3EEEEviT0_T1_.uses_vcc, 1
	.set _ZN2at6native29vectorized_elementwise_kernelILi2ENS0_13BinaryFunctorIllbNS0_12_GLOBAL__N_116CompareEqFunctorIlEEEESt5arrayIPcLm3EEEEviT0_T1_.uses_flat_scratch, 0
	.set _ZN2at6native29vectorized_elementwise_kernelILi2ENS0_13BinaryFunctorIllbNS0_12_GLOBAL__N_116CompareEqFunctorIlEEEESt5arrayIPcLm3EEEEviT0_T1_.has_dyn_sized_stack, 0
	.set _ZN2at6native29vectorized_elementwise_kernelILi2ENS0_13BinaryFunctorIllbNS0_12_GLOBAL__N_116CompareEqFunctorIlEEEESt5arrayIPcLm3EEEEviT0_T1_.has_recursion, 0
	.set _ZN2at6native29vectorized_elementwise_kernelILi2ENS0_13BinaryFunctorIllbNS0_12_GLOBAL__N_116CompareEqFunctorIlEEEESt5arrayIPcLm3EEEEviT0_T1_.has_indirect_call, 0
	.section	.AMDGPU.csdata,"",@progbits
; Kernel info:
; codeLenInByte = 3632
; TotalNumSgprs: 31
; NumVgprs: 58
; ScratchSize: 0
; MemoryBound: 0
; FloatMode: 240
; IeeeMode: 1
; LDSByteSize: 0 bytes/workgroup (compile time only)
; SGPRBlocks: 0
; VGPRBlocks: 3
; NumSGPRsForWavesPerEU: 31
; NumVGPRsForWavesPerEU: 58
; NamedBarCnt: 0
; Occupancy: 16
; WaveLimiterHint : 1
; COMPUTE_PGM_RSRC2:SCRATCH_EN: 0
; COMPUTE_PGM_RSRC2:USER_SGPR: 2
; COMPUTE_PGM_RSRC2:TRAP_HANDLER: 0
; COMPUTE_PGM_RSRC2:TGID_X_EN: 1
; COMPUTE_PGM_RSRC2:TGID_Y_EN: 0
; COMPUTE_PGM_RSRC2:TGID_Z_EN: 0
; COMPUTE_PGM_RSRC2:TIDIG_COMP_CNT: 0
	.section	.text._ZN2at6native27unrolled_elementwise_kernelINS0_13BinaryFunctorIllbNS0_12_GLOBAL__N_116CompareEqFunctorIlEEEESt5arrayIPcLm3EELi4E23TrivialOffsetCalculatorILi2EjESA_ILi1EjENS0_6memory15LoadWithoutCastENSD_16StoreWithoutCastEEEviT_T0_T2_T3_T4_T5_,"axG",@progbits,_ZN2at6native27unrolled_elementwise_kernelINS0_13BinaryFunctorIllbNS0_12_GLOBAL__N_116CompareEqFunctorIlEEEESt5arrayIPcLm3EELi4E23TrivialOffsetCalculatorILi2EjESA_ILi1EjENS0_6memory15LoadWithoutCastENSD_16StoreWithoutCastEEEviT_T0_T2_T3_T4_T5_,comdat
	.globl	_ZN2at6native27unrolled_elementwise_kernelINS0_13BinaryFunctorIllbNS0_12_GLOBAL__N_116CompareEqFunctorIlEEEESt5arrayIPcLm3EELi4E23TrivialOffsetCalculatorILi2EjESA_ILi1EjENS0_6memory15LoadWithoutCastENSD_16StoreWithoutCastEEEviT_T0_T2_T3_T4_T5_ ; -- Begin function _ZN2at6native27unrolled_elementwise_kernelINS0_13BinaryFunctorIllbNS0_12_GLOBAL__N_116CompareEqFunctorIlEEEESt5arrayIPcLm3EELi4E23TrivialOffsetCalculatorILi2EjESA_ILi1EjENS0_6memory15LoadWithoutCastENSD_16StoreWithoutCastEEEviT_T0_T2_T3_T4_T5_
	.p2align	8
	.type	_ZN2at6native27unrolled_elementwise_kernelINS0_13BinaryFunctorIllbNS0_12_GLOBAL__N_116CompareEqFunctorIlEEEESt5arrayIPcLm3EELi4E23TrivialOffsetCalculatorILi2EjESA_ILi1EjENS0_6memory15LoadWithoutCastENSD_16StoreWithoutCastEEEviT_T0_T2_T3_T4_T5_,@function
_ZN2at6native27unrolled_elementwise_kernelINS0_13BinaryFunctorIllbNS0_12_GLOBAL__N_116CompareEqFunctorIlEEEESt5arrayIPcLm3EELi4E23TrivialOffsetCalculatorILi2EjESA_ILi1EjENS0_6memory15LoadWithoutCastENSD_16StoreWithoutCastEEEviT_T0_T2_T3_T4_T5_: ; @_ZN2at6native27unrolled_elementwise_kernelINS0_13BinaryFunctorIllbNS0_12_GLOBAL__N_116CompareEqFunctorIlEEEESt5arrayIPcLm3EELi4E23TrivialOffsetCalculatorILi2EjESA_ILi1EjENS0_6memory15LoadWithoutCastENSD_16StoreWithoutCastEEEviT_T0_T2_T3_T4_T5_
; %bb.0:
	s_load_b64 s[2:3], s[0:1], 0x0
	s_bfe_u32 s10, ttmp6, 0x4000c
	s_clause 0x1
	s_load_b128 s[4:7], s[0:1], 0x8
	s_load_b64 s[8:9], s[0:1], 0x18
	s_add_co_i32 s10, s10, 1
	s_wait_xcnt 0x0
	s_and_b32 s0, ttmp6, 15
	s_mul_i32 s1, ttmp9, s10
	s_getreg_b32 s10, hwreg(HW_REG_IB_STS2, 6, 4)
	s_add_co_i32 s0, s0, s1
	s_cmp_eq_u32 s10, 0
	v_or_b32_e32 v1, 0x100, v0
	s_cselect_b32 s0, ttmp9, s0
	s_mov_b32 s10, 0
	s_lshl_b32 s1, s0, 10
	s_delay_alu instid0(SALU_CYCLE_1) | instskip(SKIP_3) | instid1(SALU_CYCLE_1)
	v_dual_mov_b32 v3, v0 :: v_dual_bitop2_b32 v2, s1, v0 bitop3:0x54
	s_mov_b32 s12, 0
	s_wait_kmcnt 0x0
	s_sub_co_i32 s2, s2, s1
	v_cmp_gt_i32_e32 vcc_lo, s2, v0
	s_and_saveexec_b32 s11, vcc_lo
	s_cbranch_execz .LBB52_2
; %bb.1:
	s_clause 0x1
	global_load_b64 v[4:5], v2, s[6:7] scale_offset
	global_load_b64 v[6:7], v2, s[8:9] scale_offset
	v_or_b32_e32 v3, 0x100, v0
	s_wait_loadcnt 0x0
	v_cmp_ne_u64_e64 s0, v[4:5], v[6:7]
	s_and_b32 s12, s0, exec_lo
.LBB52_2:
	s_or_b32 exec_lo, exec_lo, s11
	s_delay_alu instid0(SALU_CYCLE_1)
	s_mov_b32 s11, exec_lo
	v_cmpx_gt_i32_e64 s2, v3
	s_cbranch_execz .LBB52_4
; %bb.3:
	v_add_nc_u32_e32 v8, s1, v3
	v_add_nc_u32_e32 v3, 0x100, v3
	s_clause 0x1
	global_load_b64 v[4:5], v8, s[6:7] scale_offset
	global_load_b64 v[6:7], v8, s[8:9] scale_offset
	s_wait_loadcnt 0x0
	v_cmp_ne_u64_e64 s0, v[4:5], v[6:7]
	s_and_b32 s10, s0, exec_lo
.LBB52_4:
	s_or_b32 exec_lo, exec_lo, s11
	s_mov_b32 s11, 0
	s_mov_b32 s13, 0
	s_mov_b32 s14, exec_lo
	v_cmpx_gt_i32_e64 s2, v3
	s_cbranch_execz .LBB52_6
; %bb.5:
	v_add_nc_u32_e32 v8, s1, v3
	v_add_nc_u32_e32 v3, 0x100, v3
	s_clause 0x1
	global_load_b64 v[4:5], v8, s[6:7] scale_offset
	global_load_b64 v[6:7], v8, s[8:9] scale_offset
	s_wait_loadcnt 0x0
	v_cmp_ne_u64_e64 s0, v[4:5], v[6:7]
	s_and_b32 s13, s0, exec_lo
.LBB52_6:
	s_or_b32 exec_lo, exec_lo, s14
	s_delay_alu instid0(SALU_CYCLE_1)
	s_mov_b32 s14, exec_lo
	v_cmpx_gt_i32_e64 s2, v3
	s_cbranch_execz .LBB52_8
; %bb.7:
	v_add_nc_u32_e32 v3, s1, v3
	s_clause 0x1
	global_load_b64 v[4:5], v3, s[6:7] scale_offset
	global_load_b64 v[6:7], v3, s[8:9] scale_offset
	s_wait_loadcnt 0x0
	v_cmp_ne_u64_e64 s0, v[4:5], v[6:7]
	s_and_b32 s11, s0, exec_lo
.LBB52_8:
	s_or_b32 exec_lo, exec_lo, s14
	s_cmp_eq_u32 s3, 0
	s_cselect_b32 s0, -1, 0
	s_and_saveexec_b32 s3, vcc_lo
	s_cbranch_execnz .LBB52_13
; %bb.9:
	s_or_b32 exec_lo, exec_lo, s3
	s_delay_alu instid0(SALU_CYCLE_1)
	s_mov_b32 s3, exec_lo
	v_cmpx_gt_i32_e64 s2, v0
	s_cbranch_execnz .LBB52_14
.LBB52_10:
	s_or_b32 exec_lo, exec_lo, s3
	s_delay_alu instid0(SALU_CYCLE_1)
	s_mov_b32 s3, exec_lo
	v_cmpx_gt_i32_e64 s2, v0
	s_cbranch_execnz .LBB52_15
.LBB52_11:
	s_or_b32 exec_lo, exec_lo, s3
	v_cmp_gt_i32_e32 vcc_lo, s2, v0
	s_and_saveexec_b32 s2, vcc_lo
	s_cbranch_execnz .LBB52_16
.LBB52_12:
	s_endpgm
.LBB52_13:
	s_xor_b32 s6, s0, s12
	v_mov_b32_e32 v0, v1
	v_cndmask_b32_e64 v3, 0, 1, s6
	global_store_b8 v2, v3, s[4:5]
	s_wait_xcnt 0x0
	s_or_b32 exec_lo, exec_lo, s3
	s_delay_alu instid0(SALU_CYCLE_1)
	s_mov_b32 s3, exec_lo
	v_cmpx_gt_i32_e64 s2, v0
	s_cbranch_execz .LBB52_10
.LBB52_14:
	v_add_nc_u32_e32 v1, 0x100, v0
	s_xor_b32 s6, s0, s10
	v_add_nc_u32_e32 v3, s1, v0
	v_cndmask_b32_e64 v2, 0, 1, s6
	s_delay_alu instid0(VALU_DEP_3) | instskip(SKIP_3) | instid1(SALU_CYCLE_1)
	v_mov_b32_e32 v0, v1
	global_store_b8 v3, v2, s[4:5]
	s_wait_xcnt 0x0
	s_or_b32 exec_lo, exec_lo, s3
	s_mov_b32 s3, exec_lo
	v_cmpx_gt_i32_e64 s2, v0
	s_cbranch_execz .LBB52_11
.LBB52_15:
	v_add_nc_u32_e32 v1, 0x100, v0
	s_xor_b32 s6, s0, s13
	v_add_nc_u32_e32 v3, s1, v0
	v_cndmask_b32_e64 v2, 0, 1, s6
	s_delay_alu instid0(VALU_DEP_3)
	v_mov_b32_e32 v0, v1
	global_store_b8 v3, v2, s[4:5]
	s_wait_xcnt 0x0
	s_or_b32 exec_lo, exec_lo, s3
	v_cmp_gt_i32_e32 vcc_lo, s2, v0
	s_and_saveexec_b32 s2, vcc_lo
	s_cbranch_execz .LBB52_12
.LBB52_16:
	s_xor_b32 s0, s0, s11
	v_add_nc_u32_e32 v0, s1, v0
	v_cndmask_b32_e64 v1, 0, 1, s0
	global_store_b8 v0, v1, s[4:5]
	s_endpgm
	.section	.rodata,"a",@progbits
	.p2align	6, 0x0
	.amdhsa_kernel _ZN2at6native27unrolled_elementwise_kernelINS0_13BinaryFunctorIllbNS0_12_GLOBAL__N_116CompareEqFunctorIlEEEESt5arrayIPcLm3EELi4E23TrivialOffsetCalculatorILi2EjESA_ILi1EjENS0_6memory15LoadWithoutCastENSD_16StoreWithoutCastEEEviT_T0_T2_T3_T4_T5_
		.amdhsa_group_segment_fixed_size 0
		.amdhsa_private_segment_fixed_size 0
		.amdhsa_kernarg_size 36
		.amdhsa_user_sgpr_count 2
		.amdhsa_user_sgpr_dispatch_ptr 0
		.amdhsa_user_sgpr_queue_ptr 0
		.amdhsa_user_sgpr_kernarg_segment_ptr 1
		.amdhsa_user_sgpr_dispatch_id 0
		.amdhsa_user_sgpr_kernarg_preload_length 0
		.amdhsa_user_sgpr_kernarg_preload_offset 0
		.amdhsa_user_sgpr_private_segment_size 0
		.amdhsa_wavefront_size32 1
		.amdhsa_uses_dynamic_stack 0
		.amdhsa_enable_private_segment 0
		.amdhsa_system_sgpr_workgroup_id_x 1
		.amdhsa_system_sgpr_workgroup_id_y 0
		.amdhsa_system_sgpr_workgroup_id_z 0
		.amdhsa_system_sgpr_workgroup_info 0
		.amdhsa_system_vgpr_workitem_id 0
		.amdhsa_next_free_vgpr 9
		.amdhsa_next_free_sgpr 15
		.amdhsa_named_barrier_count 0
		.amdhsa_reserve_vcc 1
		.amdhsa_float_round_mode_32 0
		.amdhsa_float_round_mode_16_64 0
		.amdhsa_float_denorm_mode_32 3
		.amdhsa_float_denorm_mode_16_64 3
		.amdhsa_fp16_overflow 0
		.amdhsa_memory_ordered 1
		.amdhsa_forward_progress 1
		.amdhsa_inst_pref_size 6
		.amdhsa_round_robin_scheduling 0
		.amdhsa_exception_fp_ieee_invalid_op 0
		.amdhsa_exception_fp_denorm_src 0
		.amdhsa_exception_fp_ieee_div_zero 0
		.amdhsa_exception_fp_ieee_overflow 0
		.amdhsa_exception_fp_ieee_underflow 0
		.amdhsa_exception_fp_ieee_inexact 0
		.amdhsa_exception_int_div_zero 0
	.end_amdhsa_kernel
	.section	.text._ZN2at6native27unrolled_elementwise_kernelINS0_13BinaryFunctorIllbNS0_12_GLOBAL__N_116CompareEqFunctorIlEEEESt5arrayIPcLm3EELi4E23TrivialOffsetCalculatorILi2EjESA_ILi1EjENS0_6memory15LoadWithoutCastENSD_16StoreWithoutCastEEEviT_T0_T2_T3_T4_T5_,"axG",@progbits,_ZN2at6native27unrolled_elementwise_kernelINS0_13BinaryFunctorIllbNS0_12_GLOBAL__N_116CompareEqFunctorIlEEEESt5arrayIPcLm3EELi4E23TrivialOffsetCalculatorILi2EjESA_ILi1EjENS0_6memory15LoadWithoutCastENSD_16StoreWithoutCastEEEviT_T0_T2_T3_T4_T5_,comdat
.Lfunc_end52:
	.size	_ZN2at6native27unrolled_elementwise_kernelINS0_13BinaryFunctorIllbNS0_12_GLOBAL__N_116CompareEqFunctorIlEEEESt5arrayIPcLm3EELi4E23TrivialOffsetCalculatorILi2EjESA_ILi1EjENS0_6memory15LoadWithoutCastENSD_16StoreWithoutCastEEEviT_T0_T2_T3_T4_T5_, .Lfunc_end52-_ZN2at6native27unrolled_elementwise_kernelINS0_13BinaryFunctorIllbNS0_12_GLOBAL__N_116CompareEqFunctorIlEEEESt5arrayIPcLm3EELi4E23TrivialOffsetCalculatorILi2EjESA_ILi1EjENS0_6memory15LoadWithoutCastENSD_16StoreWithoutCastEEEviT_T0_T2_T3_T4_T5_
                                        ; -- End function
	.set _ZN2at6native27unrolled_elementwise_kernelINS0_13BinaryFunctorIllbNS0_12_GLOBAL__N_116CompareEqFunctorIlEEEESt5arrayIPcLm3EELi4E23TrivialOffsetCalculatorILi2EjESA_ILi1EjENS0_6memory15LoadWithoutCastENSD_16StoreWithoutCastEEEviT_T0_T2_T3_T4_T5_.num_vgpr, 9
	.set _ZN2at6native27unrolled_elementwise_kernelINS0_13BinaryFunctorIllbNS0_12_GLOBAL__N_116CompareEqFunctorIlEEEESt5arrayIPcLm3EELi4E23TrivialOffsetCalculatorILi2EjESA_ILi1EjENS0_6memory15LoadWithoutCastENSD_16StoreWithoutCastEEEviT_T0_T2_T3_T4_T5_.num_agpr, 0
	.set _ZN2at6native27unrolled_elementwise_kernelINS0_13BinaryFunctorIllbNS0_12_GLOBAL__N_116CompareEqFunctorIlEEEESt5arrayIPcLm3EELi4E23TrivialOffsetCalculatorILi2EjESA_ILi1EjENS0_6memory15LoadWithoutCastENSD_16StoreWithoutCastEEEviT_T0_T2_T3_T4_T5_.numbered_sgpr, 15
	.set _ZN2at6native27unrolled_elementwise_kernelINS0_13BinaryFunctorIllbNS0_12_GLOBAL__N_116CompareEqFunctorIlEEEESt5arrayIPcLm3EELi4E23TrivialOffsetCalculatorILi2EjESA_ILi1EjENS0_6memory15LoadWithoutCastENSD_16StoreWithoutCastEEEviT_T0_T2_T3_T4_T5_.num_named_barrier, 0
	.set _ZN2at6native27unrolled_elementwise_kernelINS0_13BinaryFunctorIllbNS0_12_GLOBAL__N_116CompareEqFunctorIlEEEESt5arrayIPcLm3EELi4E23TrivialOffsetCalculatorILi2EjESA_ILi1EjENS0_6memory15LoadWithoutCastENSD_16StoreWithoutCastEEEviT_T0_T2_T3_T4_T5_.private_seg_size, 0
	.set _ZN2at6native27unrolled_elementwise_kernelINS0_13BinaryFunctorIllbNS0_12_GLOBAL__N_116CompareEqFunctorIlEEEESt5arrayIPcLm3EELi4E23TrivialOffsetCalculatorILi2EjESA_ILi1EjENS0_6memory15LoadWithoutCastENSD_16StoreWithoutCastEEEviT_T0_T2_T3_T4_T5_.uses_vcc, 1
	.set _ZN2at6native27unrolled_elementwise_kernelINS0_13BinaryFunctorIllbNS0_12_GLOBAL__N_116CompareEqFunctorIlEEEESt5arrayIPcLm3EELi4E23TrivialOffsetCalculatorILi2EjESA_ILi1EjENS0_6memory15LoadWithoutCastENSD_16StoreWithoutCastEEEviT_T0_T2_T3_T4_T5_.uses_flat_scratch, 0
	.set _ZN2at6native27unrolled_elementwise_kernelINS0_13BinaryFunctorIllbNS0_12_GLOBAL__N_116CompareEqFunctorIlEEEESt5arrayIPcLm3EELi4E23TrivialOffsetCalculatorILi2EjESA_ILi1EjENS0_6memory15LoadWithoutCastENSD_16StoreWithoutCastEEEviT_T0_T2_T3_T4_T5_.has_dyn_sized_stack, 0
	.set _ZN2at6native27unrolled_elementwise_kernelINS0_13BinaryFunctorIllbNS0_12_GLOBAL__N_116CompareEqFunctorIlEEEESt5arrayIPcLm3EELi4E23TrivialOffsetCalculatorILi2EjESA_ILi1EjENS0_6memory15LoadWithoutCastENSD_16StoreWithoutCastEEEviT_T0_T2_T3_T4_T5_.has_recursion, 0
	.set _ZN2at6native27unrolled_elementwise_kernelINS0_13BinaryFunctorIllbNS0_12_GLOBAL__N_116CompareEqFunctorIlEEEESt5arrayIPcLm3EELi4E23TrivialOffsetCalculatorILi2EjESA_ILi1EjENS0_6memory15LoadWithoutCastENSD_16StoreWithoutCastEEEviT_T0_T2_T3_T4_T5_.has_indirect_call, 0
	.section	.AMDGPU.csdata,"",@progbits
; Kernel info:
; codeLenInByte = 720
; TotalNumSgprs: 17
; NumVgprs: 9
; ScratchSize: 0
; MemoryBound: 0
; FloatMode: 240
; IeeeMode: 1
; LDSByteSize: 0 bytes/workgroup (compile time only)
; SGPRBlocks: 0
; VGPRBlocks: 0
; NumSGPRsForWavesPerEU: 17
; NumVGPRsForWavesPerEU: 9
; NamedBarCnt: 0
; Occupancy: 16
; WaveLimiterHint : 0
; COMPUTE_PGM_RSRC2:SCRATCH_EN: 0
; COMPUTE_PGM_RSRC2:USER_SGPR: 2
; COMPUTE_PGM_RSRC2:TRAP_HANDLER: 0
; COMPUTE_PGM_RSRC2:TGID_X_EN: 1
; COMPUTE_PGM_RSRC2:TGID_Y_EN: 0
; COMPUTE_PGM_RSRC2:TGID_Z_EN: 0
; COMPUTE_PGM_RSRC2:TIDIG_COMP_CNT: 0
	.section	.text._ZN2at6native32elementwise_kernel_manual_unrollILi128ELi8EZNS0_22gpu_kernel_impl_nocastINS0_13BinaryFunctorIllbNS0_12_GLOBAL__N_116CompareEqFunctorIlEEEEEEvRNS_18TensorIteratorBaseERKT_EUlibE_EEviT1_,"axG",@progbits,_ZN2at6native32elementwise_kernel_manual_unrollILi128ELi8EZNS0_22gpu_kernel_impl_nocastINS0_13BinaryFunctorIllbNS0_12_GLOBAL__N_116CompareEqFunctorIlEEEEEEvRNS_18TensorIteratorBaseERKT_EUlibE_EEviT1_,comdat
	.globl	_ZN2at6native32elementwise_kernel_manual_unrollILi128ELi8EZNS0_22gpu_kernel_impl_nocastINS0_13BinaryFunctorIllbNS0_12_GLOBAL__N_116CompareEqFunctorIlEEEEEEvRNS_18TensorIteratorBaseERKT_EUlibE_EEviT1_ ; -- Begin function _ZN2at6native32elementwise_kernel_manual_unrollILi128ELi8EZNS0_22gpu_kernel_impl_nocastINS0_13BinaryFunctorIllbNS0_12_GLOBAL__N_116CompareEqFunctorIlEEEEEEvRNS_18TensorIteratorBaseERKT_EUlibE_EEviT1_
	.p2align	8
	.type	_ZN2at6native32elementwise_kernel_manual_unrollILi128ELi8EZNS0_22gpu_kernel_impl_nocastINS0_13BinaryFunctorIllbNS0_12_GLOBAL__N_116CompareEqFunctorIlEEEEEEvRNS_18TensorIteratorBaseERKT_EUlibE_EEviT1_,@function
_ZN2at6native32elementwise_kernel_manual_unrollILi128ELi8EZNS0_22gpu_kernel_impl_nocastINS0_13BinaryFunctorIllbNS0_12_GLOBAL__N_116CompareEqFunctorIlEEEEEEvRNS_18TensorIteratorBaseERKT_EUlibE_EEviT1_: ; @_ZN2at6native32elementwise_kernel_manual_unrollILi128ELi8EZNS0_22gpu_kernel_impl_nocastINS0_13BinaryFunctorIllbNS0_12_GLOBAL__N_116CompareEqFunctorIlEEEEEEvRNS_18TensorIteratorBaseERKT_EUlibE_EEviT1_
; %bb.0:
	s_clause 0x1
	s_load_b32 s26, s[0:1], 0x8
	s_load_b32 s33, s[0:1], 0x0
	s_bfe_u32 s2, ttmp6, 0x4000c
	s_and_b32 s3, ttmp6, 15
	s_add_co_i32 s2, s2, 1
	s_getreg_b32 s4, hwreg(HW_REG_IB_STS2, 6, 4)
	s_mul_i32 s2, ttmp9, s2
	s_add_nc_u64 s[16:17], s[0:1], 8
	s_add_co_i32 s3, s3, s2
	s_cmp_eq_u32 s4, 0
	s_mov_b32 s21, 0
	s_cselect_b32 s2, ttmp9, s3
	s_wait_xcnt 0x0
	s_mov_b32 s0, exec_lo
	v_lshl_or_b32 v0, s2, 10, v0
	s_delay_alu instid0(VALU_DEP_1) | instskip(SKIP_2) | instid1(SALU_CYCLE_1)
	v_or_b32_e32 v4, 0x380, v0
	s_wait_kmcnt 0x0
	s_add_co_i32 s27, s26, -1
	s_cmp_gt_u32 s27, 1
	s_cselect_b32 s28, -1, 0
	v_cmpx_le_i32_e64 s33, v4
	s_xor_b32 s29, exec_lo, s0
	s_cbranch_execz .LBB53_106
; %bb.1:
	s_clause 0x5
	s_load_b128 s[4:7], s[16:17], 0x4
	s_load_b64 s[18:19], s[16:17], 0x14
	s_load_b96 s[12:14], s[16:17], 0x198
	s_load_b128 s[8:11], s[16:17], 0xc4
	s_load_b64 s[22:23], s[16:17], 0xd4
	s_load_b128 s[0:3], s[16:17], 0x188
	s_cmp_lg_u32 s26, 0
	s_mov_b32 s25, s21
	s_cselect_b32 s34, -1, 0
	s_min_u32 s31, s27, 15
	s_cmp_gt_u32 s26, 1
	s_cselect_b32 s30, -1, 0
	s_wait_kmcnt 0x0
	s_mov_b32 s20, s5
	s_mov_b32 s24, s18
	s_cmp_eq_u32 s14, 0
	s_mov_b32 s18, exec_lo
	s_cselect_b32 s5, -1, 0
	v_cmpx_gt_i32_e64 s33, v0
	s_cbranch_execnz .LBB53_9
; %bb.2:
	s_or_b32 exec_lo, exec_lo, s18
	s_delay_alu instid0(SALU_CYCLE_1)
	s_mov_b32 s18, exec_lo
	v_cmpx_gt_i32_e64 s33, v0
	s_cbranch_execnz .LBB53_21
.LBB53_3:
	s_or_b32 exec_lo, exec_lo, s18
	s_delay_alu instid0(SALU_CYCLE_1)
	s_mov_b32 s18, exec_lo
	v_cmpx_gt_i32_e64 s33, v0
	s_cbranch_execnz .LBB53_33
.LBB53_4:
	s_or_b32 exec_lo, exec_lo, s18
	s_delay_alu instid0(SALU_CYCLE_1)
	s_mov_b32 s18, exec_lo
	v_cmpx_gt_i32_e64 s33, v0
	s_cbranch_execnz .LBB53_45
.LBB53_5:
	s_or_b32 exec_lo, exec_lo, s18
	s_delay_alu instid0(SALU_CYCLE_1)
	s_mov_b32 s18, exec_lo
	v_cmpx_gt_i32_e64 s33, v0
	s_cbranch_execnz .LBB53_57
.LBB53_6:
	s_or_b32 exec_lo, exec_lo, s18
	s_delay_alu instid0(SALU_CYCLE_1)
	s_mov_b32 s18, exec_lo
	v_cmpx_gt_i32_e64 s33, v0
	s_cbranch_execnz .LBB53_69
.LBB53_7:
	s_or_b32 exec_lo, exec_lo, s18
	s_delay_alu instid0(SALU_CYCLE_1)
	s_mov_b32 s18, exec_lo
	v_cmpx_gt_i32_e64 s33, v0
	s_cbranch_execnz .LBB53_81
.LBB53_8:
	s_or_b32 exec_lo, exec_lo, s18
	s_delay_alu instid0(SALU_CYCLE_1)
	s_mov_b32 s18, exec_lo
	v_cmpx_gt_i32_e64 s33, v0
	s_cbranch_execnz .LBB53_93
	s_branch .LBB53_105
.LBB53_9:
	s_and_not1_b32 vcc_lo, exec_lo, s28
	s_cbranch_vccnz .LBB53_15
; %bb.10:
	s_and_not1_b32 vcc_lo, exec_lo, s34
	s_cbranch_vccnz .LBB53_16
; %bb.11:
	v_dual_mov_b32 v4, 0 :: v_dual_mov_b32 v1, v0
	v_dual_mov_b32 v6, 0 :: v_dual_mov_b32 v5, 0
	s_add_co_i32 s35, s31, 1
	s_mov_b64 s[14:15], 0xffffffffffffffe8
	s_and_b32 s35, s35, 30
	s_add_nc_u64 s[14:15], s[16:17], s[14:15]
.LBB53_12:                              ; =>This Inner Loop Header: Depth=1
	s_clause 0x1
	s_load_b128 s[36:39], s[14:15], 0x1c
	s_load_b64 s[44:45], s[14:15], 0x2c
	s_add_co_i32 s35, s35, -2
	s_delay_alu instid0(SALU_CYCLE_1) | instskip(SKIP_2) | instid1(VALU_DEP_1)
	s_cmp_lg_u32 s35, 0
	s_wait_kmcnt 0x0
	v_mul_hi_u32 v2, s37, v1
	v_add_nc_u32_e32 v2, v1, v2
	s_delay_alu instid0(VALU_DEP_1) | instskip(NEXT) | instid1(VALU_DEP_1)
	v_lshrrev_b32_e32 v2, s38, v2
	v_mul_hi_u32 v3, s44, v2
	v_mul_lo_u32 v7, v2, s36
	s_clause 0x1
	s_load_b128 s[40:43], s[14:15], 0xdc
	s_load_b64 s[36:37], s[14:15], 0xec
	s_wait_xcnt 0x0
	s_add_nc_u64 s[14:15], s[14:15], 24
	s_delay_alu instid0(VALU_DEP_2) | instskip(NEXT) | instid1(VALU_DEP_2)
	v_add_nc_u32_e32 v3, v2, v3
	v_sub_nc_u32_e32 v7, v1, v7
	s_delay_alu instid0(VALU_DEP_2) | instskip(SKIP_1) | instid1(VALU_DEP_2)
	v_lshrrev_b32_e32 v1, s45, v3
	s_wait_kmcnt 0x0
	v_mad_u32 v4, v7, s40, v4
	s_delay_alu instid0(VALU_DEP_2) | instskip(SKIP_2) | instid1(VALU_DEP_3)
	v_mul_lo_u32 v3, v1, s39
	v_mad_u32 v5, v7, s42, v5
	v_mad_u32 v6, v7, s41, v6
	v_sub_nc_u32_e32 v2, v2, v3
	s_delay_alu instid0(VALU_DEP_1) | instskip(NEXT) | instid1(VALU_DEP_4)
	v_mad_u32 v4, v2, s43, v4
	v_mad_u32 v5, v2, s37, v5
	s_delay_alu instid0(VALU_DEP_4)
	v_mad_u32 v6, v2, s36, v6
	s_cbranch_scc1 .LBB53_12
; %bb.13:
	s_bitcmp1_b32 s31, 0
	s_cselect_b32 s35, -1, 0
	s_delay_alu instid0(SALU_CYCLE_1)
	s_and_b32 vcc_lo, exec_lo, s35
	s_cbranch_vccnz .LBB53_17
; %bb.14:
	s_clause 0x1
	s_load_b96 s[36:38], s[14:15], 0x1c
	s_load_b96 s[40:42], s[14:15], 0xdc
	s_wait_xcnt 0x0
	s_wait_kmcnt 0x0
	v_mul_hi_u32 v2, s37, v1
	s_delay_alu instid0(VALU_DEP_1) | instskip(NEXT) | instid1(VALU_DEP_1)
	v_add_nc_u32_e32 v2, v1, v2
	v_lshrrev_b32_e32 v2, s38, v2
	s_delay_alu instid0(VALU_DEP_1) | instskip(NEXT) | instid1(VALU_DEP_1)
	v_mul_lo_u32 v2, v2, s36
	v_sub_nc_u32_e32 v1, v1, v2
	s_delay_alu instid0(VALU_DEP_1)
	v_mad_u32 v4, v1, s40, v4
	v_mad_u32 v6, v1, s41, v6
	;; [unrolled: 1-line block ×3, first 2 shown]
	s_cbranch_execz .LBB53_18
	s_branch .LBB53_20
.LBB53_15:
                                        ; implicit-def: $vgpr5
                                        ; implicit-def: $vgpr6
                                        ; implicit-def: $vgpr4
	s_branch .LBB53_18
.LBB53_16:
	v_dual_mov_b32 v5, 0 :: v_dual_mov_b32 v6, 0
	v_mov_b32_e32 v4, 0
.LBB53_17:
	s_cbranch_execnz .LBB53_20
.LBB53_18:
	v_mov_b32_e32 v1, 0
	s_and_not1_b32 vcc_lo, exec_lo, s30
	s_delay_alu instid0(VALU_DEP_1) | instskip(NEXT) | instid1(VALU_DEP_1)
	v_mul_u64_e32 v[2:3], s[20:21], v[0:1]
	v_add_nc_u32_e32 v2, v0, v3
	s_delay_alu instid0(VALU_DEP_1) | instskip(NEXT) | instid1(VALU_DEP_1)
	v_lshrrev_b32_e32 v2, s6, v2
	v_mul_lo_u32 v3, v2, s4
	s_delay_alu instid0(VALU_DEP_1) | instskip(NEXT) | instid1(VALU_DEP_1)
	v_sub_nc_u32_e32 v3, v0, v3
	v_mul_lo_u32 v4, v3, s8
	v_mul_lo_u32 v5, v3, s10
	;; [unrolled: 1-line block ×3, first 2 shown]
	s_cbranch_vccnz .LBB53_20
; %bb.19:
	v_mov_b32_e32 v3, v1
	s_delay_alu instid0(VALU_DEP_1) | instskip(NEXT) | instid1(VALU_DEP_1)
	v_mul_u64_e32 v[8:9], s[24:25], v[2:3]
	v_add_nc_u32_e32 v1, v2, v9
	s_delay_alu instid0(VALU_DEP_1) | instskip(NEXT) | instid1(VALU_DEP_1)
	v_lshrrev_b32_e32 v1, s19, v1
	v_mul_lo_u32 v1, v1, s7
	s_delay_alu instid0(VALU_DEP_1) | instskip(NEXT) | instid1(VALU_DEP_1)
	v_sub_nc_u32_e32 v1, v2, v1
	v_mad_u32 v4, v1, s11, v4
	v_mad_u32 v6, v1, s22, v6
	v_mad_u32 v5, v1, s23, v5
.LBB53_20:
	global_load_b64 v[2:3], v6, s[2:3]
	global_load_b64 v[8:9], v5, s[12:13]
	v_add_nc_u32_e32 v0, 0x80, v0
	s_wait_loadcnt 0x0
	v_cmp_ne_u64_e32 vcc_lo, v[2:3], v[8:9]
	s_xor_b32 s14, s5, vcc_lo
	s_delay_alu instid0(SALU_CYCLE_1) | instskip(SKIP_3) | instid1(SALU_CYCLE_1)
	v_cndmask_b32_e64 v1, 0, 1, s14
	global_store_b8 v4, v1, s[0:1]
	s_wait_xcnt 0x0
	s_or_b32 exec_lo, exec_lo, s18
	s_mov_b32 s18, exec_lo
	v_cmpx_gt_i32_e64 s33, v0
	s_cbranch_execz .LBB53_3
.LBB53_21:
	s_and_not1_b32 vcc_lo, exec_lo, s28
	s_cbranch_vccnz .LBB53_27
; %bb.22:
	s_and_not1_b32 vcc_lo, exec_lo, s34
	s_cbranch_vccnz .LBB53_28
; %bb.23:
	v_dual_mov_b32 v4, 0 :: v_dual_mov_b32 v1, v0
	v_dual_mov_b32 v6, 0 :: v_dual_mov_b32 v5, 0
	s_add_co_i32 s35, s31, 1
	s_mov_b64 s[14:15], 0xffffffffffffffe8
	s_and_b32 s35, s35, 30
	s_add_nc_u64 s[14:15], s[16:17], s[14:15]
.LBB53_24:                              ; =>This Inner Loop Header: Depth=1
	s_clause 0x1
	s_load_b128 s[36:39], s[14:15], 0x1c
	s_load_b64 s[44:45], s[14:15], 0x2c
	s_add_co_i32 s35, s35, -2
	s_delay_alu instid0(SALU_CYCLE_1) | instskip(SKIP_2) | instid1(VALU_DEP_1)
	s_cmp_eq_u32 s35, 0
	s_wait_kmcnt 0x0
	v_mul_hi_u32 v2, s37, v1
	v_add_nc_u32_e32 v2, v1, v2
	s_delay_alu instid0(VALU_DEP_1) | instskip(NEXT) | instid1(VALU_DEP_1)
	v_lshrrev_b32_e32 v2, s38, v2
	v_mul_hi_u32 v3, s44, v2
	v_mul_lo_u32 v7, v2, s36
	s_clause 0x1
	s_load_b128 s[40:43], s[14:15], 0xdc
	s_load_b64 s[36:37], s[14:15], 0xec
	s_wait_xcnt 0x0
	s_add_nc_u64 s[14:15], s[14:15], 24
	s_delay_alu instid0(VALU_DEP_2) | instskip(NEXT) | instid1(VALU_DEP_2)
	v_add_nc_u32_e32 v3, v2, v3
	v_sub_nc_u32_e32 v7, v1, v7
	s_delay_alu instid0(VALU_DEP_2) | instskip(SKIP_1) | instid1(VALU_DEP_2)
	v_lshrrev_b32_e32 v1, s45, v3
	s_wait_kmcnt 0x0
	v_mad_u32 v4, v7, s40, v4
	s_delay_alu instid0(VALU_DEP_2) | instskip(SKIP_2) | instid1(VALU_DEP_3)
	v_mul_lo_u32 v3, v1, s39
	v_mad_u32 v5, v7, s42, v5
	v_mad_u32 v6, v7, s41, v6
	v_sub_nc_u32_e32 v2, v2, v3
	s_delay_alu instid0(VALU_DEP_1) | instskip(NEXT) | instid1(VALU_DEP_4)
	v_mad_u32 v4, v2, s43, v4
	v_mad_u32 v5, v2, s37, v5
	s_delay_alu instid0(VALU_DEP_4)
	v_mad_u32 v6, v2, s36, v6
	s_cbranch_scc0 .LBB53_24
; %bb.25:
	s_bitcmp1_b32 s31, 0
	s_cselect_b32 s35, -1, 0
	s_delay_alu instid0(SALU_CYCLE_1)
	s_and_b32 vcc_lo, exec_lo, s35
	s_cbranch_vccnz .LBB53_29
; %bb.26:
	s_clause 0x1
	s_load_b96 s[36:38], s[14:15], 0x1c
	s_load_b96 s[40:42], s[14:15], 0xdc
	s_wait_kmcnt 0x0
	v_mul_hi_u32 v2, s37, v1
	s_delay_alu instid0(VALU_DEP_1) | instskip(NEXT) | instid1(VALU_DEP_1)
	v_add_nc_u32_e32 v2, v1, v2
	v_lshrrev_b32_e32 v2, s38, v2
	s_delay_alu instid0(VALU_DEP_1) | instskip(NEXT) | instid1(VALU_DEP_1)
	v_mul_lo_u32 v2, v2, s36
	v_sub_nc_u32_e32 v1, v1, v2
	s_delay_alu instid0(VALU_DEP_1)
	v_mad_u32 v4, v1, s40, v4
	v_mad_u32 v6, v1, s41, v6
	;; [unrolled: 1-line block ×3, first 2 shown]
	s_branch .LBB53_29
.LBB53_27:
                                        ; implicit-def: $vgpr5
                                        ; implicit-def: $vgpr6
                                        ; implicit-def: $vgpr4
	s_branch .LBB53_30
.LBB53_28:
	v_dual_mov_b32 v5, 0 :: v_dual_mov_b32 v6, 0
	v_mov_b32_e32 v4, 0
.LBB53_29:
	s_cbranch_execnz .LBB53_32
.LBB53_30:
	v_mov_b32_e32 v1, 0
	s_and_not1_b32 vcc_lo, exec_lo, s30
	s_delay_alu instid0(VALU_DEP_1) | instskip(NEXT) | instid1(VALU_DEP_1)
	v_mul_u64_e32 v[2:3], s[20:21], v[0:1]
	v_add_nc_u32_e32 v2, v0, v3
	s_delay_alu instid0(VALU_DEP_1) | instskip(NEXT) | instid1(VALU_DEP_1)
	v_lshrrev_b32_e32 v2, s6, v2
	v_mul_lo_u32 v3, v2, s4
	s_delay_alu instid0(VALU_DEP_1) | instskip(NEXT) | instid1(VALU_DEP_1)
	v_sub_nc_u32_e32 v3, v0, v3
	v_mul_lo_u32 v4, v3, s8
	v_mul_lo_u32 v5, v3, s10
	;; [unrolled: 1-line block ×3, first 2 shown]
	s_cbranch_vccnz .LBB53_32
; %bb.31:
	v_mov_b32_e32 v3, v1
	s_delay_alu instid0(VALU_DEP_1) | instskip(NEXT) | instid1(VALU_DEP_1)
	v_mul_u64_e32 v[8:9], s[24:25], v[2:3]
	v_add_nc_u32_e32 v1, v2, v9
	s_delay_alu instid0(VALU_DEP_1) | instskip(NEXT) | instid1(VALU_DEP_1)
	v_lshrrev_b32_e32 v1, s19, v1
	v_mul_lo_u32 v1, v1, s7
	s_delay_alu instid0(VALU_DEP_1) | instskip(NEXT) | instid1(VALU_DEP_1)
	v_sub_nc_u32_e32 v1, v2, v1
	v_mad_u32 v4, v1, s11, v4
	v_mad_u32 v6, v1, s22, v6
	;; [unrolled: 1-line block ×3, first 2 shown]
.LBB53_32:
	global_load_b64 v[2:3], v6, s[2:3]
	global_load_b64 v[8:9], v5, s[12:13]
	v_add_nc_u32_e32 v0, 0x80, v0
	s_wait_loadcnt 0x0
	v_cmp_ne_u64_e32 vcc_lo, v[2:3], v[8:9]
	s_xor_b32 s14, s5, vcc_lo
	s_delay_alu instid0(SALU_CYCLE_1) | instskip(SKIP_3) | instid1(SALU_CYCLE_1)
	v_cndmask_b32_e64 v1, 0, 1, s14
	global_store_b8 v4, v1, s[0:1]
	s_wait_xcnt 0x0
	s_or_b32 exec_lo, exec_lo, s18
	s_mov_b32 s18, exec_lo
	v_cmpx_gt_i32_e64 s33, v0
	s_cbranch_execz .LBB53_4
.LBB53_33:
	s_and_not1_b32 vcc_lo, exec_lo, s28
	s_cbranch_vccnz .LBB53_39
; %bb.34:
	s_and_not1_b32 vcc_lo, exec_lo, s34
	s_cbranch_vccnz .LBB53_40
; %bb.35:
	v_dual_mov_b32 v4, 0 :: v_dual_mov_b32 v1, v0
	v_dual_mov_b32 v6, 0 :: v_dual_mov_b32 v5, 0
	s_add_co_i32 s35, s31, 1
	s_mov_b64 s[14:15], 0xffffffffffffffe8
	s_and_b32 s35, s35, 30
	s_add_nc_u64 s[14:15], s[16:17], s[14:15]
.LBB53_36:                              ; =>This Inner Loop Header: Depth=1
	s_clause 0x1
	s_load_b128 s[36:39], s[14:15], 0x1c
	s_load_b64 s[44:45], s[14:15], 0x2c
	s_add_co_i32 s35, s35, -2
	s_delay_alu instid0(SALU_CYCLE_1) | instskip(SKIP_2) | instid1(VALU_DEP_1)
	s_cmp_eq_u32 s35, 0
	s_wait_kmcnt 0x0
	v_mul_hi_u32 v2, s37, v1
	v_add_nc_u32_e32 v2, v1, v2
	s_delay_alu instid0(VALU_DEP_1) | instskip(NEXT) | instid1(VALU_DEP_1)
	v_lshrrev_b32_e32 v2, s38, v2
	v_mul_hi_u32 v3, s44, v2
	v_mul_lo_u32 v7, v2, s36
	s_clause 0x1
	s_load_b128 s[40:43], s[14:15], 0xdc
	s_load_b64 s[36:37], s[14:15], 0xec
	s_wait_xcnt 0x0
	s_add_nc_u64 s[14:15], s[14:15], 24
	s_delay_alu instid0(VALU_DEP_2) | instskip(NEXT) | instid1(VALU_DEP_2)
	v_add_nc_u32_e32 v3, v2, v3
	v_sub_nc_u32_e32 v7, v1, v7
	s_delay_alu instid0(VALU_DEP_2) | instskip(SKIP_1) | instid1(VALU_DEP_2)
	v_lshrrev_b32_e32 v1, s45, v3
	s_wait_kmcnt 0x0
	v_mad_u32 v4, v7, s40, v4
	s_delay_alu instid0(VALU_DEP_2) | instskip(SKIP_2) | instid1(VALU_DEP_3)
	v_mul_lo_u32 v3, v1, s39
	v_mad_u32 v5, v7, s42, v5
	v_mad_u32 v6, v7, s41, v6
	v_sub_nc_u32_e32 v2, v2, v3
	s_delay_alu instid0(VALU_DEP_1) | instskip(NEXT) | instid1(VALU_DEP_4)
	v_mad_u32 v4, v2, s43, v4
	v_mad_u32 v5, v2, s37, v5
	s_delay_alu instid0(VALU_DEP_4)
	v_mad_u32 v6, v2, s36, v6
	s_cbranch_scc0 .LBB53_36
; %bb.37:
	s_bitcmp1_b32 s31, 0
	s_cselect_b32 s35, -1, 0
	s_delay_alu instid0(SALU_CYCLE_1)
	s_and_b32 vcc_lo, exec_lo, s35
	s_cbranch_vccnz .LBB53_41
; %bb.38:
	s_clause 0x1
	s_load_b96 s[36:38], s[14:15], 0x1c
	s_load_b96 s[40:42], s[14:15], 0xdc
	s_wait_kmcnt 0x0
	v_mul_hi_u32 v2, s37, v1
	s_delay_alu instid0(VALU_DEP_1) | instskip(NEXT) | instid1(VALU_DEP_1)
	v_add_nc_u32_e32 v2, v1, v2
	v_lshrrev_b32_e32 v2, s38, v2
	s_delay_alu instid0(VALU_DEP_1) | instskip(NEXT) | instid1(VALU_DEP_1)
	v_mul_lo_u32 v2, v2, s36
	v_sub_nc_u32_e32 v1, v1, v2
	s_delay_alu instid0(VALU_DEP_1)
	v_mad_u32 v4, v1, s40, v4
	v_mad_u32 v6, v1, s41, v6
	;; [unrolled: 1-line block ×3, first 2 shown]
	s_branch .LBB53_41
.LBB53_39:
                                        ; implicit-def: $vgpr5
                                        ; implicit-def: $vgpr6
                                        ; implicit-def: $vgpr4
	s_branch .LBB53_42
.LBB53_40:
	v_dual_mov_b32 v5, 0 :: v_dual_mov_b32 v6, 0
	v_mov_b32_e32 v4, 0
.LBB53_41:
	s_cbranch_execnz .LBB53_44
.LBB53_42:
	v_mov_b32_e32 v1, 0
	s_and_not1_b32 vcc_lo, exec_lo, s30
	s_delay_alu instid0(VALU_DEP_1) | instskip(NEXT) | instid1(VALU_DEP_1)
	v_mul_u64_e32 v[2:3], s[20:21], v[0:1]
	v_add_nc_u32_e32 v2, v0, v3
	s_delay_alu instid0(VALU_DEP_1) | instskip(NEXT) | instid1(VALU_DEP_1)
	v_lshrrev_b32_e32 v2, s6, v2
	v_mul_lo_u32 v3, v2, s4
	s_delay_alu instid0(VALU_DEP_1) | instskip(NEXT) | instid1(VALU_DEP_1)
	v_sub_nc_u32_e32 v3, v0, v3
	v_mul_lo_u32 v4, v3, s8
	v_mul_lo_u32 v5, v3, s10
	v_mul_lo_u32 v6, v3, s9
	s_cbranch_vccnz .LBB53_44
; %bb.43:
	v_mov_b32_e32 v3, v1
	s_delay_alu instid0(VALU_DEP_1) | instskip(NEXT) | instid1(VALU_DEP_1)
	v_mul_u64_e32 v[8:9], s[24:25], v[2:3]
	v_add_nc_u32_e32 v1, v2, v9
	s_delay_alu instid0(VALU_DEP_1) | instskip(NEXT) | instid1(VALU_DEP_1)
	v_lshrrev_b32_e32 v1, s19, v1
	v_mul_lo_u32 v1, v1, s7
	s_delay_alu instid0(VALU_DEP_1) | instskip(NEXT) | instid1(VALU_DEP_1)
	v_sub_nc_u32_e32 v1, v2, v1
	v_mad_u32 v4, v1, s11, v4
	v_mad_u32 v6, v1, s22, v6
	;; [unrolled: 1-line block ×3, first 2 shown]
.LBB53_44:
	global_load_b64 v[2:3], v6, s[2:3]
	global_load_b64 v[8:9], v5, s[12:13]
	v_add_nc_u32_e32 v0, 0x80, v0
	s_wait_loadcnt 0x0
	v_cmp_ne_u64_e32 vcc_lo, v[2:3], v[8:9]
	s_xor_b32 s14, s5, vcc_lo
	s_delay_alu instid0(SALU_CYCLE_1) | instskip(SKIP_3) | instid1(SALU_CYCLE_1)
	v_cndmask_b32_e64 v1, 0, 1, s14
	global_store_b8 v4, v1, s[0:1]
	s_wait_xcnt 0x0
	s_or_b32 exec_lo, exec_lo, s18
	s_mov_b32 s18, exec_lo
	v_cmpx_gt_i32_e64 s33, v0
	s_cbranch_execz .LBB53_5
.LBB53_45:
	s_and_not1_b32 vcc_lo, exec_lo, s28
	s_cbranch_vccnz .LBB53_51
; %bb.46:
	s_and_not1_b32 vcc_lo, exec_lo, s34
	s_cbranch_vccnz .LBB53_52
; %bb.47:
	v_dual_mov_b32 v4, 0 :: v_dual_mov_b32 v1, v0
	v_dual_mov_b32 v6, 0 :: v_dual_mov_b32 v5, 0
	s_add_co_i32 s35, s31, 1
	s_mov_b64 s[14:15], 0xffffffffffffffe8
	s_and_b32 s35, s35, 30
	s_add_nc_u64 s[14:15], s[16:17], s[14:15]
.LBB53_48:                              ; =>This Inner Loop Header: Depth=1
	s_clause 0x1
	s_load_b128 s[36:39], s[14:15], 0x1c
	s_load_b64 s[44:45], s[14:15], 0x2c
	s_add_co_i32 s35, s35, -2
	s_delay_alu instid0(SALU_CYCLE_1) | instskip(SKIP_2) | instid1(VALU_DEP_1)
	s_cmp_eq_u32 s35, 0
	s_wait_kmcnt 0x0
	v_mul_hi_u32 v2, s37, v1
	v_add_nc_u32_e32 v2, v1, v2
	s_delay_alu instid0(VALU_DEP_1) | instskip(NEXT) | instid1(VALU_DEP_1)
	v_lshrrev_b32_e32 v2, s38, v2
	v_mul_hi_u32 v3, s44, v2
	v_mul_lo_u32 v7, v2, s36
	s_clause 0x1
	s_load_b128 s[40:43], s[14:15], 0xdc
	s_load_b64 s[36:37], s[14:15], 0xec
	s_wait_xcnt 0x0
	s_add_nc_u64 s[14:15], s[14:15], 24
	s_delay_alu instid0(VALU_DEP_2) | instskip(NEXT) | instid1(VALU_DEP_2)
	v_add_nc_u32_e32 v3, v2, v3
	v_sub_nc_u32_e32 v7, v1, v7
	s_delay_alu instid0(VALU_DEP_2) | instskip(SKIP_1) | instid1(VALU_DEP_2)
	v_lshrrev_b32_e32 v1, s45, v3
	s_wait_kmcnt 0x0
	v_mad_u32 v4, v7, s40, v4
	s_delay_alu instid0(VALU_DEP_2) | instskip(SKIP_2) | instid1(VALU_DEP_3)
	v_mul_lo_u32 v3, v1, s39
	v_mad_u32 v5, v7, s42, v5
	v_mad_u32 v6, v7, s41, v6
	v_sub_nc_u32_e32 v2, v2, v3
	s_delay_alu instid0(VALU_DEP_1) | instskip(NEXT) | instid1(VALU_DEP_4)
	v_mad_u32 v4, v2, s43, v4
	v_mad_u32 v5, v2, s37, v5
	s_delay_alu instid0(VALU_DEP_4)
	v_mad_u32 v6, v2, s36, v6
	s_cbranch_scc0 .LBB53_48
; %bb.49:
	s_bitcmp1_b32 s31, 0
	s_cselect_b32 s35, -1, 0
	s_delay_alu instid0(SALU_CYCLE_1)
	s_and_b32 vcc_lo, exec_lo, s35
	s_cbranch_vccnz .LBB53_53
; %bb.50:
	s_clause 0x1
	s_load_b96 s[36:38], s[14:15], 0x1c
	s_load_b96 s[40:42], s[14:15], 0xdc
	s_wait_kmcnt 0x0
	v_mul_hi_u32 v2, s37, v1
	s_delay_alu instid0(VALU_DEP_1) | instskip(NEXT) | instid1(VALU_DEP_1)
	v_add_nc_u32_e32 v2, v1, v2
	v_lshrrev_b32_e32 v2, s38, v2
	s_delay_alu instid0(VALU_DEP_1) | instskip(NEXT) | instid1(VALU_DEP_1)
	v_mul_lo_u32 v2, v2, s36
	v_sub_nc_u32_e32 v1, v1, v2
	s_delay_alu instid0(VALU_DEP_1)
	v_mad_u32 v4, v1, s40, v4
	v_mad_u32 v6, v1, s41, v6
	;; [unrolled: 1-line block ×3, first 2 shown]
	s_branch .LBB53_53
.LBB53_51:
                                        ; implicit-def: $vgpr5
                                        ; implicit-def: $vgpr6
                                        ; implicit-def: $vgpr4
	s_branch .LBB53_54
.LBB53_52:
	v_dual_mov_b32 v5, 0 :: v_dual_mov_b32 v6, 0
	v_mov_b32_e32 v4, 0
.LBB53_53:
	s_cbranch_execnz .LBB53_56
.LBB53_54:
	v_mov_b32_e32 v1, 0
	s_and_not1_b32 vcc_lo, exec_lo, s30
	s_delay_alu instid0(VALU_DEP_1) | instskip(NEXT) | instid1(VALU_DEP_1)
	v_mul_u64_e32 v[2:3], s[20:21], v[0:1]
	v_add_nc_u32_e32 v2, v0, v3
	s_delay_alu instid0(VALU_DEP_1) | instskip(NEXT) | instid1(VALU_DEP_1)
	v_lshrrev_b32_e32 v2, s6, v2
	v_mul_lo_u32 v3, v2, s4
	s_delay_alu instid0(VALU_DEP_1) | instskip(NEXT) | instid1(VALU_DEP_1)
	v_sub_nc_u32_e32 v3, v0, v3
	v_mul_lo_u32 v4, v3, s8
	v_mul_lo_u32 v5, v3, s10
	;; [unrolled: 1-line block ×3, first 2 shown]
	s_cbranch_vccnz .LBB53_56
; %bb.55:
	v_mov_b32_e32 v3, v1
	s_delay_alu instid0(VALU_DEP_1) | instskip(NEXT) | instid1(VALU_DEP_1)
	v_mul_u64_e32 v[8:9], s[24:25], v[2:3]
	v_add_nc_u32_e32 v1, v2, v9
	s_delay_alu instid0(VALU_DEP_1) | instskip(NEXT) | instid1(VALU_DEP_1)
	v_lshrrev_b32_e32 v1, s19, v1
	v_mul_lo_u32 v1, v1, s7
	s_delay_alu instid0(VALU_DEP_1) | instskip(NEXT) | instid1(VALU_DEP_1)
	v_sub_nc_u32_e32 v1, v2, v1
	v_mad_u32 v4, v1, s11, v4
	v_mad_u32 v6, v1, s22, v6
	;; [unrolled: 1-line block ×3, first 2 shown]
.LBB53_56:
	global_load_b64 v[2:3], v6, s[2:3]
	global_load_b64 v[8:9], v5, s[12:13]
	v_add_nc_u32_e32 v0, 0x80, v0
	s_wait_loadcnt 0x0
	v_cmp_ne_u64_e32 vcc_lo, v[2:3], v[8:9]
	s_xor_b32 s14, s5, vcc_lo
	s_delay_alu instid0(SALU_CYCLE_1) | instskip(SKIP_3) | instid1(SALU_CYCLE_1)
	v_cndmask_b32_e64 v1, 0, 1, s14
	global_store_b8 v4, v1, s[0:1]
	s_wait_xcnt 0x0
	s_or_b32 exec_lo, exec_lo, s18
	s_mov_b32 s18, exec_lo
	v_cmpx_gt_i32_e64 s33, v0
	s_cbranch_execz .LBB53_6
.LBB53_57:
	s_and_not1_b32 vcc_lo, exec_lo, s28
	s_cbranch_vccnz .LBB53_63
; %bb.58:
	s_and_not1_b32 vcc_lo, exec_lo, s34
	s_cbranch_vccnz .LBB53_64
; %bb.59:
	v_dual_mov_b32 v4, 0 :: v_dual_mov_b32 v1, v0
	v_dual_mov_b32 v6, 0 :: v_dual_mov_b32 v5, 0
	s_add_co_i32 s35, s31, 1
	s_mov_b64 s[14:15], 0xffffffffffffffe8
	s_and_b32 s35, s35, 30
	s_add_nc_u64 s[14:15], s[16:17], s[14:15]
.LBB53_60:                              ; =>This Inner Loop Header: Depth=1
	s_clause 0x1
	s_load_b128 s[36:39], s[14:15], 0x1c
	s_load_b64 s[44:45], s[14:15], 0x2c
	s_add_co_i32 s35, s35, -2
	s_delay_alu instid0(SALU_CYCLE_1) | instskip(SKIP_2) | instid1(VALU_DEP_1)
	s_cmp_eq_u32 s35, 0
	s_wait_kmcnt 0x0
	v_mul_hi_u32 v2, s37, v1
	v_add_nc_u32_e32 v2, v1, v2
	s_delay_alu instid0(VALU_DEP_1) | instskip(NEXT) | instid1(VALU_DEP_1)
	v_lshrrev_b32_e32 v2, s38, v2
	v_mul_hi_u32 v3, s44, v2
	v_mul_lo_u32 v7, v2, s36
	s_clause 0x1
	s_load_b128 s[40:43], s[14:15], 0xdc
	s_load_b64 s[36:37], s[14:15], 0xec
	s_wait_xcnt 0x0
	s_add_nc_u64 s[14:15], s[14:15], 24
	s_delay_alu instid0(VALU_DEP_2) | instskip(NEXT) | instid1(VALU_DEP_2)
	v_add_nc_u32_e32 v3, v2, v3
	v_sub_nc_u32_e32 v7, v1, v7
	s_delay_alu instid0(VALU_DEP_2) | instskip(SKIP_1) | instid1(VALU_DEP_2)
	v_lshrrev_b32_e32 v1, s45, v3
	s_wait_kmcnt 0x0
	v_mad_u32 v4, v7, s40, v4
	s_delay_alu instid0(VALU_DEP_2) | instskip(SKIP_2) | instid1(VALU_DEP_3)
	v_mul_lo_u32 v3, v1, s39
	v_mad_u32 v5, v7, s42, v5
	v_mad_u32 v6, v7, s41, v6
	v_sub_nc_u32_e32 v2, v2, v3
	s_delay_alu instid0(VALU_DEP_1) | instskip(NEXT) | instid1(VALU_DEP_4)
	v_mad_u32 v4, v2, s43, v4
	v_mad_u32 v5, v2, s37, v5
	s_delay_alu instid0(VALU_DEP_4)
	v_mad_u32 v6, v2, s36, v6
	s_cbranch_scc0 .LBB53_60
; %bb.61:
	s_bitcmp1_b32 s31, 0
	s_cselect_b32 s35, -1, 0
	s_delay_alu instid0(SALU_CYCLE_1)
	s_and_b32 vcc_lo, exec_lo, s35
	s_cbranch_vccnz .LBB53_65
; %bb.62:
	s_clause 0x1
	s_load_b96 s[36:38], s[14:15], 0x1c
	s_load_b96 s[40:42], s[14:15], 0xdc
	s_wait_kmcnt 0x0
	v_mul_hi_u32 v2, s37, v1
	s_delay_alu instid0(VALU_DEP_1) | instskip(NEXT) | instid1(VALU_DEP_1)
	v_add_nc_u32_e32 v2, v1, v2
	v_lshrrev_b32_e32 v2, s38, v2
	s_delay_alu instid0(VALU_DEP_1) | instskip(NEXT) | instid1(VALU_DEP_1)
	v_mul_lo_u32 v2, v2, s36
	v_sub_nc_u32_e32 v1, v1, v2
	s_delay_alu instid0(VALU_DEP_1)
	v_mad_u32 v4, v1, s40, v4
	v_mad_u32 v6, v1, s41, v6
	;; [unrolled: 1-line block ×3, first 2 shown]
	s_branch .LBB53_65
.LBB53_63:
                                        ; implicit-def: $vgpr5
                                        ; implicit-def: $vgpr6
                                        ; implicit-def: $vgpr4
	s_branch .LBB53_66
.LBB53_64:
	v_dual_mov_b32 v5, 0 :: v_dual_mov_b32 v6, 0
	v_mov_b32_e32 v4, 0
.LBB53_65:
	s_cbranch_execnz .LBB53_68
.LBB53_66:
	v_mov_b32_e32 v1, 0
	s_and_not1_b32 vcc_lo, exec_lo, s30
	s_delay_alu instid0(VALU_DEP_1) | instskip(NEXT) | instid1(VALU_DEP_1)
	v_mul_u64_e32 v[2:3], s[20:21], v[0:1]
	v_add_nc_u32_e32 v2, v0, v3
	s_delay_alu instid0(VALU_DEP_1) | instskip(NEXT) | instid1(VALU_DEP_1)
	v_lshrrev_b32_e32 v2, s6, v2
	v_mul_lo_u32 v3, v2, s4
	s_delay_alu instid0(VALU_DEP_1) | instskip(NEXT) | instid1(VALU_DEP_1)
	v_sub_nc_u32_e32 v3, v0, v3
	v_mul_lo_u32 v4, v3, s8
	v_mul_lo_u32 v5, v3, s10
	;; [unrolled: 1-line block ×3, first 2 shown]
	s_cbranch_vccnz .LBB53_68
; %bb.67:
	v_mov_b32_e32 v3, v1
	s_delay_alu instid0(VALU_DEP_1) | instskip(NEXT) | instid1(VALU_DEP_1)
	v_mul_u64_e32 v[8:9], s[24:25], v[2:3]
	v_add_nc_u32_e32 v1, v2, v9
	s_delay_alu instid0(VALU_DEP_1) | instskip(NEXT) | instid1(VALU_DEP_1)
	v_lshrrev_b32_e32 v1, s19, v1
	v_mul_lo_u32 v1, v1, s7
	s_delay_alu instid0(VALU_DEP_1) | instskip(NEXT) | instid1(VALU_DEP_1)
	v_sub_nc_u32_e32 v1, v2, v1
	v_mad_u32 v4, v1, s11, v4
	v_mad_u32 v6, v1, s22, v6
	;; [unrolled: 1-line block ×3, first 2 shown]
.LBB53_68:
	global_load_b64 v[2:3], v6, s[2:3]
	global_load_b64 v[8:9], v5, s[12:13]
	v_add_nc_u32_e32 v0, 0x80, v0
	s_wait_loadcnt 0x0
	v_cmp_ne_u64_e32 vcc_lo, v[2:3], v[8:9]
	s_xor_b32 s14, s5, vcc_lo
	s_delay_alu instid0(SALU_CYCLE_1) | instskip(SKIP_3) | instid1(SALU_CYCLE_1)
	v_cndmask_b32_e64 v1, 0, 1, s14
	global_store_b8 v4, v1, s[0:1]
	s_wait_xcnt 0x0
	s_or_b32 exec_lo, exec_lo, s18
	s_mov_b32 s18, exec_lo
	v_cmpx_gt_i32_e64 s33, v0
	s_cbranch_execz .LBB53_7
.LBB53_69:
	s_and_not1_b32 vcc_lo, exec_lo, s28
	s_cbranch_vccnz .LBB53_75
; %bb.70:
	s_and_not1_b32 vcc_lo, exec_lo, s34
	s_cbranch_vccnz .LBB53_76
; %bb.71:
	v_dual_mov_b32 v4, 0 :: v_dual_mov_b32 v1, v0
	v_dual_mov_b32 v6, 0 :: v_dual_mov_b32 v5, 0
	s_add_co_i32 s35, s31, 1
	s_mov_b64 s[14:15], 0xffffffffffffffe8
	s_and_b32 s35, s35, 30
	s_add_nc_u64 s[14:15], s[16:17], s[14:15]
.LBB53_72:                              ; =>This Inner Loop Header: Depth=1
	s_clause 0x1
	s_load_b128 s[36:39], s[14:15], 0x1c
	s_load_b64 s[44:45], s[14:15], 0x2c
	s_add_co_i32 s35, s35, -2
	s_delay_alu instid0(SALU_CYCLE_1) | instskip(SKIP_2) | instid1(VALU_DEP_1)
	s_cmp_eq_u32 s35, 0
	s_wait_kmcnt 0x0
	v_mul_hi_u32 v2, s37, v1
	v_add_nc_u32_e32 v2, v1, v2
	s_delay_alu instid0(VALU_DEP_1) | instskip(NEXT) | instid1(VALU_DEP_1)
	v_lshrrev_b32_e32 v2, s38, v2
	v_mul_hi_u32 v3, s44, v2
	v_mul_lo_u32 v7, v2, s36
	s_clause 0x1
	s_load_b128 s[40:43], s[14:15], 0xdc
	s_load_b64 s[36:37], s[14:15], 0xec
	s_wait_xcnt 0x0
	s_add_nc_u64 s[14:15], s[14:15], 24
	s_delay_alu instid0(VALU_DEP_2) | instskip(NEXT) | instid1(VALU_DEP_2)
	v_add_nc_u32_e32 v3, v2, v3
	v_sub_nc_u32_e32 v7, v1, v7
	s_delay_alu instid0(VALU_DEP_2) | instskip(SKIP_1) | instid1(VALU_DEP_2)
	v_lshrrev_b32_e32 v1, s45, v3
	s_wait_kmcnt 0x0
	v_mad_u32 v4, v7, s40, v4
	s_delay_alu instid0(VALU_DEP_2) | instskip(SKIP_2) | instid1(VALU_DEP_3)
	v_mul_lo_u32 v3, v1, s39
	v_mad_u32 v5, v7, s42, v5
	v_mad_u32 v6, v7, s41, v6
	v_sub_nc_u32_e32 v2, v2, v3
	s_delay_alu instid0(VALU_DEP_1) | instskip(NEXT) | instid1(VALU_DEP_4)
	v_mad_u32 v4, v2, s43, v4
	v_mad_u32 v5, v2, s37, v5
	s_delay_alu instid0(VALU_DEP_4)
	v_mad_u32 v6, v2, s36, v6
	s_cbranch_scc0 .LBB53_72
; %bb.73:
	s_bitcmp1_b32 s31, 0
	s_cselect_b32 s35, -1, 0
	s_delay_alu instid0(SALU_CYCLE_1)
	s_and_b32 vcc_lo, exec_lo, s35
	s_cbranch_vccnz .LBB53_77
; %bb.74:
	s_clause 0x1
	s_load_b96 s[36:38], s[14:15], 0x1c
	s_load_b96 s[40:42], s[14:15], 0xdc
	s_wait_kmcnt 0x0
	v_mul_hi_u32 v2, s37, v1
	s_delay_alu instid0(VALU_DEP_1) | instskip(NEXT) | instid1(VALU_DEP_1)
	v_add_nc_u32_e32 v2, v1, v2
	v_lshrrev_b32_e32 v2, s38, v2
	s_delay_alu instid0(VALU_DEP_1) | instskip(NEXT) | instid1(VALU_DEP_1)
	v_mul_lo_u32 v2, v2, s36
	v_sub_nc_u32_e32 v1, v1, v2
	s_delay_alu instid0(VALU_DEP_1)
	v_mad_u32 v4, v1, s40, v4
	v_mad_u32 v6, v1, s41, v6
	;; [unrolled: 1-line block ×3, first 2 shown]
	s_branch .LBB53_77
.LBB53_75:
                                        ; implicit-def: $vgpr5
                                        ; implicit-def: $vgpr6
                                        ; implicit-def: $vgpr4
	s_branch .LBB53_78
.LBB53_76:
	v_dual_mov_b32 v5, 0 :: v_dual_mov_b32 v6, 0
	v_mov_b32_e32 v4, 0
.LBB53_77:
	s_cbranch_execnz .LBB53_80
.LBB53_78:
	v_mov_b32_e32 v1, 0
	s_and_not1_b32 vcc_lo, exec_lo, s30
	s_delay_alu instid0(VALU_DEP_1) | instskip(NEXT) | instid1(VALU_DEP_1)
	v_mul_u64_e32 v[2:3], s[20:21], v[0:1]
	v_add_nc_u32_e32 v2, v0, v3
	s_delay_alu instid0(VALU_DEP_1) | instskip(NEXT) | instid1(VALU_DEP_1)
	v_lshrrev_b32_e32 v2, s6, v2
	v_mul_lo_u32 v3, v2, s4
	s_delay_alu instid0(VALU_DEP_1) | instskip(NEXT) | instid1(VALU_DEP_1)
	v_sub_nc_u32_e32 v3, v0, v3
	v_mul_lo_u32 v4, v3, s8
	v_mul_lo_u32 v5, v3, s10
	;; [unrolled: 1-line block ×3, first 2 shown]
	s_cbranch_vccnz .LBB53_80
; %bb.79:
	v_mov_b32_e32 v3, v1
	s_delay_alu instid0(VALU_DEP_1) | instskip(NEXT) | instid1(VALU_DEP_1)
	v_mul_u64_e32 v[8:9], s[24:25], v[2:3]
	v_add_nc_u32_e32 v1, v2, v9
	s_delay_alu instid0(VALU_DEP_1) | instskip(NEXT) | instid1(VALU_DEP_1)
	v_lshrrev_b32_e32 v1, s19, v1
	v_mul_lo_u32 v1, v1, s7
	s_delay_alu instid0(VALU_DEP_1) | instskip(NEXT) | instid1(VALU_DEP_1)
	v_sub_nc_u32_e32 v1, v2, v1
	v_mad_u32 v4, v1, s11, v4
	v_mad_u32 v6, v1, s22, v6
	;; [unrolled: 1-line block ×3, first 2 shown]
.LBB53_80:
	global_load_b64 v[2:3], v6, s[2:3]
	global_load_b64 v[8:9], v5, s[12:13]
	v_add_nc_u32_e32 v0, 0x80, v0
	s_wait_loadcnt 0x0
	v_cmp_ne_u64_e32 vcc_lo, v[2:3], v[8:9]
	s_xor_b32 s14, s5, vcc_lo
	s_delay_alu instid0(SALU_CYCLE_1) | instskip(SKIP_3) | instid1(SALU_CYCLE_1)
	v_cndmask_b32_e64 v1, 0, 1, s14
	global_store_b8 v4, v1, s[0:1]
	s_wait_xcnt 0x0
	s_or_b32 exec_lo, exec_lo, s18
	s_mov_b32 s18, exec_lo
	v_cmpx_gt_i32_e64 s33, v0
	s_cbranch_execz .LBB53_8
.LBB53_81:
	s_and_not1_b32 vcc_lo, exec_lo, s28
	s_cbranch_vccnz .LBB53_87
; %bb.82:
	s_and_not1_b32 vcc_lo, exec_lo, s34
	s_cbranch_vccnz .LBB53_88
; %bb.83:
	v_dual_mov_b32 v4, 0 :: v_dual_mov_b32 v1, v0
	v_dual_mov_b32 v6, 0 :: v_dual_mov_b32 v5, 0
	s_add_co_i32 s35, s31, 1
	s_mov_b64 s[14:15], 0xffffffffffffffe8
	s_and_b32 s35, s35, 30
	s_add_nc_u64 s[14:15], s[16:17], s[14:15]
.LBB53_84:                              ; =>This Inner Loop Header: Depth=1
	s_clause 0x1
	s_load_b128 s[36:39], s[14:15], 0x1c
	s_load_b64 s[44:45], s[14:15], 0x2c
	s_add_co_i32 s35, s35, -2
	s_delay_alu instid0(SALU_CYCLE_1) | instskip(SKIP_2) | instid1(VALU_DEP_1)
	s_cmp_eq_u32 s35, 0
	s_wait_kmcnt 0x0
	v_mul_hi_u32 v2, s37, v1
	v_add_nc_u32_e32 v2, v1, v2
	s_delay_alu instid0(VALU_DEP_1) | instskip(NEXT) | instid1(VALU_DEP_1)
	v_lshrrev_b32_e32 v2, s38, v2
	v_mul_hi_u32 v3, s44, v2
	v_mul_lo_u32 v7, v2, s36
	s_clause 0x1
	s_load_b128 s[40:43], s[14:15], 0xdc
	s_load_b64 s[36:37], s[14:15], 0xec
	s_wait_xcnt 0x0
	s_add_nc_u64 s[14:15], s[14:15], 24
	s_delay_alu instid0(VALU_DEP_2) | instskip(NEXT) | instid1(VALU_DEP_2)
	v_add_nc_u32_e32 v3, v2, v3
	v_sub_nc_u32_e32 v7, v1, v7
	s_delay_alu instid0(VALU_DEP_2) | instskip(SKIP_1) | instid1(VALU_DEP_2)
	v_lshrrev_b32_e32 v1, s45, v3
	s_wait_kmcnt 0x0
	v_mad_u32 v4, v7, s40, v4
	s_delay_alu instid0(VALU_DEP_2) | instskip(SKIP_2) | instid1(VALU_DEP_3)
	v_mul_lo_u32 v3, v1, s39
	v_mad_u32 v5, v7, s42, v5
	v_mad_u32 v6, v7, s41, v6
	v_sub_nc_u32_e32 v2, v2, v3
	s_delay_alu instid0(VALU_DEP_1) | instskip(NEXT) | instid1(VALU_DEP_4)
	v_mad_u32 v4, v2, s43, v4
	v_mad_u32 v5, v2, s37, v5
	s_delay_alu instid0(VALU_DEP_4)
	v_mad_u32 v6, v2, s36, v6
	s_cbranch_scc0 .LBB53_84
; %bb.85:
	s_bitcmp1_b32 s31, 0
	s_cselect_b32 s35, -1, 0
	s_delay_alu instid0(SALU_CYCLE_1)
	s_and_b32 vcc_lo, exec_lo, s35
	s_cbranch_vccnz .LBB53_89
; %bb.86:
	s_clause 0x1
	s_load_b96 s[36:38], s[14:15], 0x1c
	s_load_b96 s[40:42], s[14:15], 0xdc
	s_wait_kmcnt 0x0
	v_mul_hi_u32 v2, s37, v1
	s_delay_alu instid0(VALU_DEP_1) | instskip(NEXT) | instid1(VALU_DEP_1)
	v_add_nc_u32_e32 v2, v1, v2
	v_lshrrev_b32_e32 v2, s38, v2
	s_delay_alu instid0(VALU_DEP_1) | instskip(NEXT) | instid1(VALU_DEP_1)
	v_mul_lo_u32 v2, v2, s36
	v_sub_nc_u32_e32 v1, v1, v2
	s_delay_alu instid0(VALU_DEP_1)
	v_mad_u32 v4, v1, s40, v4
	v_mad_u32 v6, v1, s41, v6
	;; [unrolled: 1-line block ×3, first 2 shown]
	s_branch .LBB53_89
.LBB53_87:
                                        ; implicit-def: $vgpr5
                                        ; implicit-def: $vgpr6
                                        ; implicit-def: $vgpr4
	s_branch .LBB53_90
.LBB53_88:
	v_dual_mov_b32 v5, 0 :: v_dual_mov_b32 v6, 0
	v_mov_b32_e32 v4, 0
.LBB53_89:
	s_cbranch_execnz .LBB53_92
.LBB53_90:
	v_mov_b32_e32 v1, 0
	s_and_not1_b32 vcc_lo, exec_lo, s30
	s_delay_alu instid0(VALU_DEP_1) | instskip(NEXT) | instid1(VALU_DEP_1)
	v_mul_u64_e32 v[2:3], s[20:21], v[0:1]
	v_add_nc_u32_e32 v2, v0, v3
	s_delay_alu instid0(VALU_DEP_1) | instskip(NEXT) | instid1(VALU_DEP_1)
	v_lshrrev_b32_e32 v2, s6, v2
	v_mul_lo_u32 v3, v2, s4
	s_delay_alu instid0(VALU_DEP_1) | instskip(NEXT) | instid1(VALU_DEP_1)
	v_sub_nc_u32_e32 v3, v0, v3
	v_mul_lo_u32 v4, v3, s8
	v_mul_lo_u32 v5, v3, s10
	;; [unrolled: 1-line block ×3, first 2 shown]
	s_cbranch_vccnz .LBB53_92
; %bb.91:
	v_mov_b32_e32 v3, v1
	s_delay_alu instid0(VALU_DEP_1) | instskip(NEXT) | instid1(VALU_DEP_1)
	v_mul_u64_e32 v[8:9], s[24:25], v[2:3]
	v_add_nc_u32_e32 v1, v2, v9
	s_delay_alu instid0(VALU_DEP_1) | instskip(NEXT) | instid1(VALU_DEP_1)
	v_lshrrev_b32_e32 v1, s19, v1
	v_mul_lo_u32 v1, v1, s7
	s_delay_alu instid0(VALU_DEP_1) | instskip(NEXT) | instid1(VALU_DEP_1)
	v_sub_nc_u32_e32 v1, v2, v1
	v_mad_u32 v4, v1, s11, v4
	v_mad_u32 v6, v1, s22, v6
	;; [unrolled: 1-line block ×3, first 2 shown]
.LBB53_92:
	global_load_b64 v[2:3], v6, s[2:3]
	global_load_b64 v[8:9], v5, s[12:13]
	v_add_nc_u32_e32 v0, 0x80, v0
	s_wait_loadcnt 0x0
	v_cmp_ne_u64_e32 vcc_lo, v[2:3], v[8:9]
	s_xor_b32 s14, s5, vcc_lo
	s_delay_alu instid0(SALU_CYCLE_1) | instskip(SKIP_3) | instid1(SALU_CYCLE_1)
	v_cndmask_b32_e64 v1, 0, 1, s14
	global_store_b8 v4, v1, s[0:1]
	s_wait_xcnt 0x0
	s_or_b32 exec_lo, exec_lo, s18
	s_mov_b32 s18, exec_lo
	v_cmpx_gt_i32_e64 s33, v0
	s_cbranch_execz .LBB53_105
.LBB53_93:
	s_and_not1_b32 vcc_lo, exec_lo, s28
	s_cbranch_vccnz .LBB53_99
; %bb.94:
	s_and_not1_b32 vcc_lo, exec_lo, s34
	s_cbranch_vccnz .LBB53_100
; %bb.95:
	v_dual_mov_b32 v4, 0 :: v_dual_mov_b32 v1, v0
	v_dual_mov_b32 v6, 0 :: v_dual_mov_b32 v5, 0
	s_add_co_i32 s33, s31, 1
	s_mov_b64 s[14:15], 0xffffffffffffffe8
	s_and_b32 s33, s33, 30
	s_add_nc_u64 s[14:15], s[16:17], s[14:15]
.LBB53_96:                              ; =>This Inner Loop Header: Depth=1
	s_clause 0x1
	s_load_b128 s[36:39], s[14:15], 0x1c
	s_load_b64 s[34:35], s[14:15], 0x2c
	s_add_co_i32 s33, s33, -2
	s_delay_alu instid0(SALU_CYCLE_1) | instskip(SKIP_2) | instid1(VALU_DEP_1)
	s_cmp_eq_u32 s33, 0
	s_wait_kmcnt 0x0
	v_mul_hi_u32 v2, s37, v1
	v_add_nc_u32_e32 v2, v1, v2
	s_delay_alu instid0(VALU_DEP_1) | instskip(NEXT) | instid1(VALU_DEP_1)
	v_lshrrev_b32_e32 v2, s38, v2
	v_mul_hi_u32 v3, s34, v2
	v_mul_lo_u32 v7, v2, s36
	s_clause 0x1
	s_load_b128 s[40:43], s[14:15], 0xdc
	s_load_b64 s[36:37], s[14:15], 0xec
	s_wait_xcnt 0x0
	s_add_nc_u64 s[14:15], s[14:15], 24
	s_delay_alu instid0(VALU_DEP_2) | instskip(NEXT) | instid1(VALU_DEP_2)
	v_add_nc_u32_e32 v3, v2, v3
	v_sub_nc_u32_e32 v7, v1, v7
	s_delay_alu instid0(VALU_DEP_2) | instskip(SKIP_1) | instid1(VALU_DEP_2)
	v_lshrrev_b32_e32 v1, s35, v3
	s_wait_kmcnt 0x0
	v_mad_u32 v4, v7, s40, v4
	s_delay_alu instid0(VALU_DEP_2) | instskip(SKIP_2) | instid1(VALU_DEP_3)
	v_mul_lo_u32 v3, v1, s39
	v_mad_u32 v5, v7, s42, v5
	v_mad_u32 v6, v7, s41, v6
	v_sub_nc_u32_e32 v2, v2, v3
	s_delay_alu instid0(VALU_DEP_1) | instskip(NEXT) | instid1(VALU_DEP_4)
	v_mad_u32 v4, v2, s43, v4
	v_mad_u32 v5, v2, s37, v5
	s_delay_alu instid0(VALU_DEP_4)
	v_mad_u32 v6, v2, s36, v6
	s_cbranch_scc0 .LBB53_96
; %bb.97:
	s_bitcmp1_b32 s31, 0
	s_cselect_b32 s31, -1, 0
	s_delay_alu instid0(SALU_CYCLE_1)
	s_and_b32 vcc_lo, exec_lo, s31
	s_cbranch_vccnz .LBB53_101
; %bb.98:
	s_clause 0x1
	s_load_b96 s[36:38], s[14:15], 0x1c
	s_load_b96 s[40:42], s[14:15], 0xdc
	s_wait_kmcnt 0x0
	v_mul_hi_u32 v2, s37, v1
	s_delay_alu instid0(VALU_DEP_1) | instskip(NEXT) | instid1(VALU_DEP_1)
	v_add_nc_u32_e32 v2, v1, v2
	v_lshrrev_b32_e32 v2, s38, v2
	s_delay_alu instid0(VALU_DEP_1) | instskip(NEXT) | instid1(VALU_DEP_1)
	v_mul_lo_u32 v2, v2, s36
	v_sub_nc_u32_e32 v1, v1, v2
	s_delay_alu instid0(VALU_DEP_1)
	v_mad_u32 v4, v1, s40, v4
	v_mad_u32 v6, v1, s41, v6
	;; [unrolled: 1-line block ×3, first 2 shown]
	s_branch .LBB53_101
.LBB53_99:
                                        ; implicit-def: $vgpr5
                                        ; implicit-def: $vgpr6
                                        ; implicit-def: $vgpr4
	s_branch .LBB53_102
.LBB53_100:
	v_dual_mov_b32 v5, 0 :: v_dual_mov_b32 v6, 0
	v_mov_b32_e32 v4, 0
.LBB53_101:
	s_cbranch_execnz .LBB53_104
.LBB53_102:
	v_mov_b32_e32 v1, 0
	s_and_not1_b32 vcc_lo, exec_lo, s30
	s_delay_alu instid0(VALU_DEP_1) | instskip(NEXT) | instid1(VALU_DEP_1)
	v_mul_u64_e32 v[2:3], s[20:21], v[0:1]
	v_add_nc_u32_e32 v2, v0, v3
	s_delay_alu instid0(VALU_DEP_1) | instskip(NEXT) | instid1(VALU_DEP_1)
	v_lshrrev_b32_e32 v2, s6, v2
	v_mul_lo_u32 v3, v2, s4
	s_delay_alu instid0(VALU_DEP_1) | instskip(NEXT) | instid1(VALU_DEP_1)
	v_sub_nc_u32_e32 v0, v0, v3
	v_mul_lo_u32 v4, v0, s8
	v_mul_lo_u32 v5, v0, s10
	;; [unrolled: 1-line block ×3, first 2 shown]
	s_cbranch_vccnz .LBB53_104
; %bb.103:
	v_mov_b32_e32 v3, v1
	s_delay_alu instid0(VALU_DEP_1) | instskip(NEXT) | instid1(VALU_DEP_1)
	v_mul_u64_e32 v[0:1], s[24:25], v[2:3]
	v_add_nc_u32_e32 v0, v2, v1
	s_delay_alu instid0(VALU_DEP_1) | instskip(NEXT) | instid1(VALU_DEP_1)
	v_lshrrev_b32_e32 v0, s19, v0
	v_mul_lo_u32 v0, v0, s7
	s_delay_alu instid0(VALU_DEP_1) | instskip(NEXT) | instid1(VALU_DEP_1)
	v_sub_nc_u32_e32 v0, v2, v0
	v_mad_u32 v4, v0, s11, v4
	v_mad_u32 v6, v0, s22, v6
	;; [unrolled: 1-line block ×3, first 2 shown]
.LBB53_104:
	global_load_b64 v[0:1], v6, s[2:3]
	global_load_b64 v[2:3], v5, s[12:13]
	s_wait_loadcnt 0x0
	v_cmp_ne_u64_e32 vcc_lo, v[0:1], v[2:3]
	s_wait_xcnt 0x1
	s_xor_b32 s2, s5, vcc_lo
	s_delay_alu instid0(SALU_CYCLE_1)
	v_cndmask_b32_e64 v0, 0, 1, s2
	global_store_b8 v4, v0, s[0:1]
.LBB53_105:
	s_wait_xcnt 0x0
	s_or_b32 exec_lo, exec_lo, s18
                                        ; implicit-def: $vgpr4
                                        ; implicit-def: $vgpr0
.LBB53_106:
	s_and_not1_saveexec_b32 s0, s29
	s_cbranch_execz .LBB53_113
; %bb.107:
	v_cndmask_b32_e64 v8, 0, 1, s28
	s_and_not1_b32 vcc_lo, exec_lo, s28
	s_cbranch_vccnz .LBB53_114
; %bb.108:
	s_cmp_lg_u32 s26, 0
	s_mov_b32 s2, 0
	s_cbranch_scc0 .LBB53_118
; %bb.109:
	s_min_u32 s3, s27, 15
	v_dual_mov_b32 v1, 0 :: v_dual_mov_b32 v5, v0
	v_dual_mov_b32 v3, 0 :: v_dual_mov_b32 v2, 0
	s_add_co_i32 s4, s3, 1
	s_mov_b64 s[0:1], 0xffffffffffffffe8
	s_and_b32 s4, s4, 30
	s_add_nc_u64 s[0:1], s[16:17], s[0:1]
.LBB53_110:                             ; =>This Inner Loop Header: Depth=1
	s_clause 0x1
	s_load_b128 s[8:11], s[0:1], 0x1c
	s_load_b64 s[6:7], s[0:1], 0x2c
	s_add_co_i32 s4, s4, -2
	s_delay_alu instid0(SALU_CYCLE_1) | instskip(SKIP_2) | instid1(VALU_DEP_1)
	s_cmp_lg_u32 s4, 0
	s_wait_kmcnt 0x0
	v_mul_hi_u32 v6, s9, v5
	v_add_nc_u32_e32 v6, v5, v6
	s_delay_alu instid0(VALU_DEP_1) | instskip(NEXT) | instid1(VALU_DEP_1)
	v_lshrrev_b32_e32 v6, s10, v6
	v_mul_hi_u32 v7, s6, v6
	v_mul_lo_u32 v9, v6, s8
	s_clause 0x1
	s_load_b128 s[12:15], s[0:1], 0xdc
	s_load_b64 s[8:9], s[0:1], 0xec
	s_wait_xcnt 0x0
	s_add_nc_u64 s[0:1], s[0:1], 24
	s_delay_alu instid0(VALU_DEP_1) | instskip(NEXT) | instid1(VALU_DEP_1)
	v_dual_add_nc_u32 v7, v6, v7 :: v_dual_sub_nc_u32 v9, v5, v9
	v_lshrrev_b32_e32 v5, s7, v7
	s_wait_kmcnt 0x0
	s_delay_alu instid0(VALU_DEP_2) | instskip(NEXT) | instid1(VALU_DEP_2)
	v_mad_u32 v1, v9, s12, v1
	v_mul_lo_u32 v7, v5, s11
	v_mad_u32 v2, v9, s14, v2
	v_mad_u32 v3, v9, s13, v3
	s_delay_alu instid0(VALU_DEP_3) | instskip(NEXT) | instid1(VALU_DEP_1)
	v_sub_nc_u32_e32 v6, v6, v7
	v_mad_u32 v1, v6, s15, v1
	s_delay_alu instid0(VALU_DEP_4) | instskip(NEXT) | instid1(VALU_DEP_4)
	v_mad_u32 v2, v6, s9, v2
	v_mad_u32 v3, v6, s8, v3
	s_cbranch_scc1 .LBB53_110
; %bb.111:
	s_bitcmp1_b32 s3, 0
	s_cselect_b32 s3, -1, 0
	s_delay_alu instid0(SALU_CYCLE_1)
	s_and_b32 vcc_lo, exec_lo, s3
	s_cbranch_vccnz .LBB53_115
; %bb.112:
	s_clause 0x1
	s_load_b96 s[4:6], s[0:1], 0x1c
	s_load_b96 s[8:10], s[0:1], 0xdc
	s_wait_kmcnt 0x0
	v_mul_hi_u32 v6, s5, v5
	s_delay_alu instid0(VALU_DEP_1) | instskip(NEXT) | instid1(VALU_DEP_1)
	v_add_nc_u32_e32 v6, v5, v6
	v_lshrrev_b32_e32 v6, s6, v6
	s_delay_alu instid0(VALU_DEP_1) | instskip(NEXT) | instid1(VALU_DEP_1)
	v_mul_lo_u32 v6, v6, s4
	v_sub_nc_u32_e32 v5, v5, v6
	s_delay_alu instid0(VALU_DEP_1)
	v_mad_u32 v1, v5, s8, v1
	v_mad_u32 v3, v5, s9, v3
	;; [unrolled: 1-line block ×3, first 2 shown]
	s_and_not1_b32 vcc_lo, exec_lo, s2
	s_cbranch_vccz .LBB53_116
	s_branch .LBB53_119
.LBB53_113:
	s_endpgm
.LBB53_114:
	s_mov_b32 s2, -1
                                        ; implicit-def: $vgpr2
                                        ; implicit-def: $vgpr3
                                        ; implicit-def: $vgpr1
.LBB53_115:
	s_delay_alu instid0(SALU_CYCLE_1)
	s_and_not1_b32 vcc_lo, exec_lo, s2
	s_cbranch_vccnz .LBB53_119
.LBB53_116:
	s_clause 0x1
	s_load_b96 s[0:2], s[16:17], 0x4
	s_load_b96 s[4:6], s[16:17], 0xc4
	s_cmp_lt_u32 s26, 2
	s_wait_kmcnt 0x0
	v_mul_hi_u32 v1, s1, v0
	s_delay_alu instid0(VALU_DEP_1) | instskip(NEXT) | instid1(VALU_DEP_1)
	v_add_nc_u32_e32 v1, v0, v1
	v_lshrrev_b32_e32 v5, s2, v1
	s_delay_alu instid0(VALU_DEP_1) | instskip(NEXT) | instid1(VALU_DEP_1)
	v_mul_lo_u32 v1, v5, s0
	v_sub_nc_u32_e32 v3, v0, v1
	s_delay_alu instid0(VALU_DEP_1)
	v_mul_lo_u32 v1, v3, s4
	v_mul_lo_u32 v2, v3, s6
	;; [unrolled: 1-line block ×3, first 2 shown]
	s_cbranch_scc1 .LBB53_119
; %bb.117:
	s_clause 0x1
	s_load_b96 s[0:2], s[16:17], 0x10
	s_load_b96 s[4:6], s[16:17], 0xd0
	s_wait_kmcnt 0x0
	v_mul_hi_u32 v6, s1, v5
	s_delay_alu instid0(VALU_DEP_1) | instskip(NEXT) | instid1(VALU_DEP_1)
	v_add_nc_u32_e32 v6, v5, v6
	v_lshrrev_b32_e32 v6, s2, v6
	s_delay_alu instid0(VALU_DEP_1) | instskip(NEXT) | instid1(VALU_DEP_1)
	v_mul_lo_u32 v6, v6, s0
	v_sub_nc_u32_e32 v5, v5, v6
	s_delay_alu instid0(VALU_DEP_1)
	v_mad_u32 v1, v5, s4, v1
	v_mad_u32 v3, v5, s5, v3
	;; [unrolled: 1-line block ×3, first 2 shown]
	s_branch .LBB53_119
.LBB53_118:
	v_dual_mov_b32 v2, 0 :: v_dual_mov_b32 v3, 0
	v_mov_b32_e32 v1, 0
	s_and_not1_b32 vcc_lo, exec_lo, s2
	s_cbranch_vccz .LBB53_116
.LBB53_119:
	v_cmp_ne_u32_e32 vcc_lo, 1, v8
	v_add_nc_u32_e32 v9, 0x80, v0
	s_cbranch_vccnz .LBB53_125
; %bb.120:
	s_cmp_lg_u32 s26, 0
	s_mov_b32 s2, 0
	s_cbranch_scc0 .LBB53_129
; %bb.121:
	s_min_u32 s3, s27, 15
	v_dual_mov_b32 v5, 0 :: v_dual_mov_b32 v10, v9
	v_dual_mov_b32 v6, 0 :: v_dual_mov_b32 v7, 0
	s_add_co_i32 s4, s3, 1
	s_mov_b64 s[0:1], 0xffffffffffffffe8
	s_and_b32 s4, s4, 30
	s_add_nc_u64 s[0:1], s[16:17], s[0:1]
.LBB53_122:                             ; =>This Inner Loop Header: Depth=1
	s_clause 0x1
	s_load_b128 s[8:11], s[0:1], 0x1c
	s_load_b64 s[6:7], s[0:1], 0x2c
	s_add_co_i32 s4, s4, -2
	s_delay_alu instid0(SALU_CYCLE_1) | instskip(SKIP_2) | instid1(VALU_DEP_1)
	s_cmp_lg_u32 s4, 0
	s_wait_kmcnt 0x0
	v_mul_hi_u32 v11, s9, v10
	v_add_nc_u32_e32 v11, v10, v11
	s_delay_alu instid0(VALU_DEP_1) | instskip(NEXT) | instid1(VALU_DEP_1)
	v_lshrrev_b32_e32 v11, s10, v11
	v_mul_hi_u32 v12, s6, v11
	v_mul_lo_u32 v13, v11, s8
	s_clause 0x1
	s_load_b128 s[12:15], s[0:1], 0xdc
	s_load_b64 s[8:9], s[0:1], 0xec
	s_wait_xcnt 0x0
	s_add_nc_u64 s[0:1], s[0:1], 24
	s_delay_alu instid0(VALU_DEP_1) | instskip(NEXT) | instid1(VALU_DEP_1)
	v_dual_add_nc_u32 v12, v11, v12 :: v_dual_sub_nc_u32 v13, v10, v13
	v_lshrrev_b32_e32 v10, s7, v12
	s_wait_kmcnt 0x0
	s_delay_alu instid0(VALU_DEP_2) | instskip(NEXT) | instid1(VALU_DEP_2)
	v_mad_u32 v5, v13, s12, v5
	v_mul_lo_u32 v12, v10, s11
	v_mad_u32 v7, v13, s14, v7
	v_mad_u32 v6, v13, s13, v6
	s_delay_alu instid0(VALU_DEP_3) | instskip(NEXT) | instid1(VALU_DEP_1)
	v_sub_nc_u32_e32 v11, v11, v12
	v_mad_u32 v5, v11, s15, v5
	s_delay_alu instid0(VALU_DEP_4) | instskip(NEXT) | instid1(VALU_DEP_4)
	v_mad_u32 v7, v11, s9, v7
	v_mad_u32 v6, v11, s8, v6
	s_cbranch_scc1 .LBB53_122
; %bb.123:
	s_bitcmp1_b32 s3, 0
	s_cselect_b32 s3, -1, 0
	s_delay_alu instid0(SALU_CYCLE_1)
	s_and_b32 vcc_lo, exec_lo, s3
	s_cbranch_vccnz .LBB53_126
; %bb.124:
	s_clause 0x1
	s_load_b96 s[4:6], s[0:1], 0x1c
	s_load_b96 s[8:10], s[0:1], 0xdc
	s_wait_kmcnt 0x0
	v_mul_hi_u32 v11, s5, v10
	s_delay_alu instid0(VALU_DEP_1) | instskip(NEXT) | instid1(VALU_DEP_1)
	v_add_nc_u32_e32 v11, v10, v11
	v_lshrrev_b32_e32 v11, s6, v11
	s_delay_alu instid0(VALU_DEP_1) | instskip(NEXT) | instid1(VALU_DEP_1)
	v_mul_lo_u32 v11, v11, s4
	v_sub_nc_u32_e32 v10, v10, v11
	s_delay_alu instid0(VALU_DEP_1)
	v_mad_u32 v5, v10, s8, v5
	v_mad_u32 v6, v10, s9, v6
	;; [unrolled: 1-line block ×3, first 2 shown]
	s_and_not1_b32 vcc_lo, exec_lo, s2
	s_cbranch_vccz .LBB53_127
	s_branch .LBB53_130
.LBB53_125:
	s_mov_b32 s2, -1
                                        ; implicit-def: $vgpr7
                                        ; implicit-def: $vgpr6
                                        ; implicit-def: $vgpr5
.LBB53_126:
	s_delay_alu instid0(SALU_CYCLE_1)
	s_and_not1_b32 vcc_lo, exec_lo, s2
	s_cbranch_vccnz .LBB53_130
.LBB53_127:
	s_clause 0x1
	s_load_b96 s[0:2], s[16:17], 0x4
	s_load_b96 s[4:6], s[16:17], 0xc4
	s_cmp_lt_u32 s26, 2
	s_wait_kmcnt 0x0
	v_mul_hi_u32 v5, s1, v9
	s_delay_alu instid0(VALU_DEP_1) | instskip(NEXT) | instid1(VALU_DEP_1)
	v_add_nc_u32_e32 v5, v9, v5
	v_lshrrev_b32_e32 v10, s2, v5
	s_delay_alu instid0(VALU_DEP_1) | instskip(NEXT) | instid1(VALU_DEP_1)
	v_mul_lo_u32 v5, v10, s0
	v_sub_nc_u32_e32 v6, v9, v5
	s_delay_alu instid0(VALU_DEP_1)
	v_mul_lo_u32 v5, v6, s4
	v_mul_lo_u32 v7, v6, s6
	;; [unrolled: 1-line block ×3, first 2 shown]
	s_cbranch_scc1 .LBB53_130
; %bb.128:
	s_clause 0x1
	s_load_b96 s[0:2], s[16:17], 0x10
	s_load_b96 s[4:6], s[16:17], 0xd0
	s_wait_kmcnt 0x0
	v_mul_hi_u32 v9, s1, v10
	s_delay_alu instid0(VALU_DEP_1) | instskip(NEXT) | instid1(VALU_DEP_1)
	v_add_nc_u32_e32 v9, v10, v9
	v_lshrrev_b32_e32 v9, s2, v9
	s_delay_alu instid0(VALU_DEP_1) | instskip(NEXT) | instid1(VALU_DEP_1)
	v_mul_lo_u32 v9, v9, s0
	v_sub_nc_u32_e32 v9, v10, v9
	s_delay_alu instid0(VALU_DEP_1)
	v_mad_u32 v5, v9, s4, v5
	v_mad_u32 v6, v9, s5, v6
	;; [unrolled: 1-line block ×3, first 2 shown]
	s_branch .LBB53_130
.LBB53_129:
	v_dual_mov_b32 v7, 0 :: v_dual_mov_b32 v6, 0
	v_mov_b32_e32 v5, 0
	s_and_not1_b32 vcc_lo, exec_lo, s2
	s_cbranch_vccz .LBB53_127
.LBB53_130:
	v_cmp_ne_u32_e32 vcc_lo, 1, v8
	v_add_nc_u32_e32 v12, 0x100, v0
	s_cbranch_vccnz .LBB53_136
; %bb.131:
	s_cmp_lg_u32 s26, 0
	s_mov_b32 s2, 0
	s_cbranch_scc0 .LBB53_140
; %bb.132:
	s_min_u32 s3, s27, 15
	v_dual_mov_b32 v9, 0 :: v_dual_mov_b32 v13, v12
	v_dual_mov_b32 v11, 0 :: v_dual_mov_b32 v10, 0
	s_add_co_i32 s4, s3, 1
	s_mov_b64 s[0:1], 0xffffffffffffffe8
	s_and_b32 s4, s4, 30
	s_add_nc_u64 s[0:1], s[16:17], s[0:1]
.LBB53_133:                             ; =>This Inner Loop Header: Depth=1
	s_clause 0x1
	s_load_b128 s[8:11], s[0:1], 0x1c
	s_load_b64 s[6:7], s[0:1], 0x2c
	s_add_co_i32 s4, s4, -2
	s_delay_alu instid0(SALU_CYCLE_1) | instskip(SKIP_2) | instid1(VALU_DEP_1)
	s_cmp_lg_u32 s4, 0
	s_wait_kmcnt 0x0
	v_mul_hi_u32 v14, s9, v13
	v_add_nc_u32_e32 v14, v13, v14
	s_delay_alu instid0(VALU_DEP_1) | instskip(NEXT) | instid1(VALU_DEP_1)
	v_lshrrev_b32_e32 v14, s10, v14
	v_mul_hi_u32 v15, s6, v14
	v_mul_lo_u32 v16, v14, s8
	s_clause 0x1
	s_load_b128 s[12:15], s[0:1], 0xdc
	s_load_b64 s[8:9], s[0:1], 0xec
	s_wait_xcnt 0x0
	s_add_nc_u64 s[0:1], s[0:1], 24
	s_delay_alu instid0(VALU_DEP_1) | instskip(NEXT) | instid1(VALU_DEP_1)
	v_dual_add_nc_u32 v15, v14, v15 :: v_dual_sub_nc_u32 v16, v13, v16
	v_lshrrev_b32_e32 v13, s7, v15
	s_wait_kmcnt 0x0
	s_delay_alu instid0(VALU_DEP_2) | instskip(NEXT) | instid1(VALU_DEP_2)
	v_mad_u32 v9, v16, s12, v9
	v_mul_lo_u32 v15, v13, s11
	v_mad_u32 v10, v16, s14, v10
	v_mad_u32 v11, v16, s13, v11
	s_delay_alu instid0(VALU_DEP_3) | instskip(NEXT) | instid1(VALU_DEP_1)
	v_sub_nc_u32_e32 v14, v14, v15
	v_mad_u32 v9, v14, s15, v9
	s_delay_alu instid0(VALU_DEP_4) | instskip(NEXT) | instid1(VALU_DEP_4)
	v_mad_u32 v10, v14, s9, v10
	v_mad_u32 v11, v14, s8, v11
	s_cbranch_scc1 .LBB53_133
; %bb.134:
	s_bitcmp1_b32 s3, 0
	s_cselect_b32 s3, -1, 0
	s_delay_alu instid0(SALU_CYCLE_1)
	s_and_b32 vcc_lo, exec_lo, s3
	s_cbranch_vccnz .LBB53_137
; %bb.135:
	s_clause 0x1
	s_load_b96 s[4:6], s[0:1], 0x1c
	s_load_b96 s[8:10], s[0:1], 0xdc
	s_wait_kmcnt 0x0
	v_mul_hi_u32 v14, s5, v13
	s_delay_alu instid0(VALU_DEP_1) | instskip(NEXT) | instid1(VALU_DEP_1)
	v_add_nc_u32_e32 v14, v13, v14
	v_lshrrev_b32_e32 v14, s6, v14
	s_delay_alu instid0(VALU_DEP_1) | instskip(NEXT) | instid1(VALU_DEP_1)
	v_mul_lo_u32 v14, v14, s4
	v_sub_nc_u32_e32 v13, v13, v14
	s_delay_alu instid0(VALU_DEP_1)
	v_mad_u32 v9, v13, s8, v9
	v_mad_u32 v11, v13, s9, v11
	;; [unrolled: 1-line block ×3, first 2 shown]
	s_and_not1_b32 vcc_lo, exec_lo, s2
	s_cbranch_vccz .LBB53_138
	s_branch .LBB53_141
.LBB53_136:
	s_mov_b32 s2, -1
                                        ; implicit-def: $vgpr10
                                        ; implicit-def: $vgpr11
                                        ; implicit-def: $vgpr9
.LBB53_137:
	s_delay_alu instid0(SALU_CYCLE_1)
	s_and_not1_b32 vcc_lo, exec_lo, s2
	s_cbranch_vccnz .LBB53_141
.LBB53_138:
	s_clause 0x1
	s_load_b96 s[0:2], s[16:17], 0x4
	s_load_b96 s[4:6], s[16:17], 0xc4
	s_cmp_lt_u32 s26, 2
	s_wait_kmcnt 0x0
	v_mul_hi_u32 v9, s1, v12
	s_delay_alu instid0(VALU_DEP_1) | instskip(NEXT) | instid1(VALU_DEP_1)
	v_add_nc_u32_e32 v9, v12, v9
	v_lshrrev_b32_e32 v13, s2, v9
	s_delay_alu instid0(VALU_DEP_1) | instskip(NEXT) | instid1(VALU_DEP_1)
	v_mul_lo_u32 v9, v13, s0
	v_sub_nc_u32_e32 v11, v12, v9
	s_delay_alu instid0(VALU_DEP_1)
	v_mul_lo_u32 v9, v11, s4
	v_mul_lo_u32 v10, v11, s6
	;; [unrolled: 1-line block ×3, first 2 shown]
	s_cbranch_scc1 .LBB53_141
; %bb.139:
	s_clause 0x1
	s_load_b96 s[0:2], s[16:17], 0x10
	s_load_b96 s[4:6], s[16:17], 0xd0
	s_wait_kmcnt 0x0
	v_mul_hi_u32 v12, s1, v13
	s_delay_alu instid0(VALU_DEP_1) | instskip(NEXT) | instid1(VALU_DEP_1)
	v_add_nc_u32_e32 v12, v13, v12
	v_lshrrev_b32_e32 v12, s2, v12
	s_delay_alu instid0(VALU_DEP_1) | instskip(NEXT) | instid1(VALU_DEP_1)
	v_mul_lo_u32 v12, v12, s0
	v_sub_nc_u32_e32 v12, v13, v12
	s_delay_alu instid0(VALU_DEP_1)
	v_mad_u32 v9, v12, s4, v9
	v_mad_u32 v11, v12, s5, v11
	;; [unrolled: 1-line block ×3, first 2 shown]
	s_branch .LBB53_141
.LBB53_140:
	v_dual_mov_b32 v10, 0 :: v_dual_mov_b32 v11, 0
	v_mov_b32_e32 v9, 0
	s_and_not1_b32 vcc_lo, exec_lo, s2
	s_cbranch_vccz .LBB53_138
.LBB53_141:
	v_cmp_ne_u32_e32 vcc_lo, 1, v8
	v_add_nc_u32_e32 v15, 0x180, v0
	s_cbranch_vccnz .LBB53_147
; %bb.142:
	s_cmp_lg_u32 s26, 0
	s_mov_b32 s2, 0
	s_cbranch_scc0 .LBB53_151
; %bb.143:
	s_min_u32 s3, s27, 15
	v_dual_mov_b32 v12, 0 :: v_dual_mov_b32 v16, v15
	v_dual_mov_b32 v14, 0 :: v_dual_mov_b32 v13, 0
	s_add_co_i32 s4, s3, 1
	s_mov_b64 s[0:1], 0xffffffffffffffe8
	s_and_b32 s4, s4, 30
	s_add_nc_u64 s[0:1], s[16:17], s[0:1]
.LBB53_144:                             ; =>This Inner Loop Header: Depth=1
	s_clause 0x1
	s_load_b128 s[8:11], s[0:1], 0x1c
	s_load_b64 s[6:7], s[0:1], 0x2c
	s_add_co_i32 s4, s4, -2
	s_delay_alu instid0(SALU_CYCLE_1) | instskip(SKIP_2) | instid1(VALU_DEP_1)
	s_cmp_lg_u32 s4, 0
	s_wait_kmcnt 0x0
	v_mul_hi_u32 v17, s9, v16
	v_add_nc_u32_e32 v17, v16, v17
	s_delay_alu instid0(VALU_DEP_1) | instskip(NEXT) | instid1(VALU_DEP_1)
	v_lshrrev_b32_e32 v17, s10, v17
	v_mul_hi_u32 v18, s6, v17
	v_mul_lo_u32 v19, v17, s8
	s_clause 0x1
	s_load_b128 s[12:15], s[0:1], 0xdc
	s_load_b64 s[8:9], s[0:1], 0xec
	s_wait_xcnt 0x0
	s_add_nc_u64 s[0:1], s[0:1], 24
	s_delay_alu instid0(VALU_DEP_1) | instskip(NEXT) | instid1(VALU_DEP_1)
	v_dual_add_nc_u32 v18, v17, v18 :: v_dual_sub_nc_u32 v19, v16, v19
	v_lshrrev_b32_e32 v16, s7, v18
	s_wait_kmcnt 0x0
	s_delay_alu instid0(VALU_DEP_2) | instskip(NEXT) | instid1(VALU_DEP_2)
	v_mad_u32 v12, v19, s12, v12
	v_mul_lo_u32 v18, v16, s11
	v_mad_u32 v13, v19, s14, v13
	v_mad_u32 v14, v19, s13, v14
	s_delay_alu instid0(VALU_DEP_3) | instskip(NEXT) | instid1(VALU_DEP_1)
	v_sub_nc_u32_e32 v17, v17, v18
	v_mad_u32 v12, v17, s15, v12
	s_delay_alu instid0(VALU_DEP_4) | instskip(NEXT) | instid1(VALU_DEP_4)
	v_mad_u32 v13, v17, s9, v13
	v_mad_u32 v14, v17, s8, v14
	s_cbranch_scc1 .LBB53_144
; %bb.145:
	s_bitcmp1_b32 s3, 0
	s_cselect_b32 s3, -1, 0
	s_delay_alu instid0(SALU_CYCLE_1)
	s_and_b32 vcc_lo, exec_lo, s3
	s_cbranch_vccnz .LBB53_148
; %bb.146:
	s_clause 0x1
	s_load_b96 s[4:6], s[0:1], 0x1c
	s_load_b96 s[8:10], s[0:1], 0xdc
	s_wait_kmcnt 0x0
	v_mul_hi_u32 v17, s5, v16
	s_delay_alu instid0(VALU_DEP_1) | instskip(NEXT) | instid1(VALU_DEP_1)
	v_add_nc_u32_e32 v17, v16, v17
	v_lshrrev_b32_e32 v17, s6, v17
	s_delay_alu instid0(VALU_DEP_1) | instskip(NEXT) | instid1(VALU_DEP_1)
	v_mul_lo_u32 v17, v17, s4
	v_sub_nc_u32_e32 v16, v16, v17
	s_delay_alu instid0(VALU_DEP_1)
	v_mad_u32 v12, v16, s8, v12
	v_mad_u32 v14, v16, s9, v14
	v_mad_u32 v13, v16, s10, v13
	s_and_not1_b32 vcc_lo, exec_lo, s2
	s_cbranch_vccz .LBB53_149
	s_branch .LBB53_152
.LBB53_147:
	s_mov_b32 s2, -1
                                        ; implicit-def: $vgpr13
                                        ; implicit-def: $vgpr14
                                        ; implicit-def: $vgpr12
.LBB53_148:
	s_delay_alu instid0(SALU_CYCLE_1)
	s_and_not1_b32 vcc_lo, exec_lo, s2
	s_cbranch_vccnz .LBB53_152
.LBB53_149:
	s_clause 0x1
	s_load_b96 s[0:2], s[16:17], 0x4
	s_load_b96 s[4:6], s[16:17], 0xc4
	s_cmp_lt_u32 s26, 2
	s_wait_kmcnt 0x0
	v_mul_hi_u32 v12, s1, v15
	s_delay_alu instid0(VALU_DEP_1) | instskip(NEXT) | instid1(VALU_DEP_1)
	v_add_nc_u32_e32 v12, v15, v12
	v_lshrrev_b32_e32 v16, s2, v12
	s_delay_alu instid0(VALU_DEP_1) | instskip(NEXT) | instid1(VALU_DEP_1)
	v_mul_lo_u32 v12, v16, s0
	v_sub_nc_u32_e32 v14, v15, v12
	s_delay_alu instid0(VALU_DEP_1)
	v_mul_lo_u32 v12, v14, s4
	v_mul_lo_u32 v13, v14, s6
	;; [unrolled: 1-line block ×3, first 2 shown]
	s_cbranch_scc1 .LBB53_152
; %bb.150:
	s_clause 0x1
	s_load_b96 s[0:2], s[16:17], 0x10
	s_load_b96 s[4:6], s[16:17], 0xd0
	s_wait_kmcnt 0x0
	v_mul_hi_u32 v15, s1, v16
	s_delay_alu instid0(VALU_DEP_1) | instskip(NEXT) | instid1(VALU_DEP_1)
	v_add_nc_u32_e32 v15, v16, v15
	v_lshrrev_b32_e32 v15, s2, v15
	s_delay_alu instid0(VALU_DEP_1) | instskip(NEXT) | instid1(VALU_DEP_1)
	v_mul_lo_u32 v15, v15, s0
	v_sub_nc_u32_e32 v15, v16, v15
	s_delay_alu instid0(VALU_DEP_1)
	v_mad_u32 v12, v15, s4, v12
	v_mad_u32 v14, v15, s5, v14
	;; [unrolled: 1-line block ×3, first 2 shown]
	s_branch .LBB53_152
.LBB53_151:
	v_dual_mov_b32 v13, 0 :: v_dual_mov_b32 v14, 0
	v_mov_b32_e32 v12, 0
	s_and_not1_b32 vcc_lo, exec_lo, s2
	s_cbranch_vccz .LBB53_149
.LBB53_152:
	v_cmp_ne_u32_e32 vcc_lo, 1, v8
	v_add_nc_u32_e32 v18, 0x200, v0
	s_cbranch_vccnz .LBB53_158
; %bb.153:
	s_cmp_lg_u32 s26, 0
	s_mov_b32 s2, 0
	s_cbranch_scc0 .LBB53_162
; %bb.154:
	s_min_u32 s3, s27, 15
	v_dual_mov_b32 v15, 0 :: v_dual_mov_b32 v19, v18
	v_dual_mov_b32 v16, 0 :: v_dual_mov_b32 v17, 0
	s_add_co_i32 s4, s3, 1
	s_mov_b64 s[0:1], 0xffffffffffffffe8
	s_and_b32 s4, s4, 30
	s_add_nc_u64 s[0:1], s[16:17], s[0:1]
.LBB53_155:                             ; =>This Inner Loop Header: Depth=1
	s_clause 0x1
	s_load_b128 s[8:11], s[0:1], 0x1c
	s_load_b64 s[6:7], s[0:1], 0x2c
	s_add_co_i32 s4, s4, -2
	s_delay_alu instid0(SALU_CYCLE_1) | instskip(SKIP_2) | instid1(VALU_DEP_1)
	s_cmp_lg_u32 s4, 0
	s_wait_kmcnt 0x0
	v_mul_hi_u32 v20, s9, v19
	v_add_nc_u32_e32 v20, v19, v20
	s_delay_alu instid0(VALU_DEP_1) | instskip(NEXT) | instid1(VALU_DEP_1)
	v_lshrrev_b32_e32 v20, s10, v20
	v_mul_hi_u32 v21, s6, v20
	v_mul_lo_u32 v22, v20, s8
	s_clause 0x1
	s_load_b128 s[12:15], s[0:1], 0xdc
	s_load_b64 s[8:9], s[0:1], 0xec
	s_wait_xcnt 0x0
	s_add_nc_u64 s[0:1], s[0:1], 24
	s_delay_alu instid0(VALU_DEP_1) | instskip(NEXT) | instid1(VALU_DEP_1)
	v_dual_add_nc_u32 v21, v20, v21 :: v_dual_sub_nc_u32 v22, v19, v22
	v_lshrrev_b32_e32 v19, s7, v21
	s_wait_kmcnt 0x0
	s_delay_alu instid0(VALU_DEP_2) | instskip(NEXT) | instid1(VALU_DEP_2)
	v_mad_u32 v15, v22, s12, v15
	v_mul_lo_u32 v21, v19, s11
	v_mad_u32 v17, v22, s14, v17
	v_mad_u32 v16, v22, s13, v16
	s_delay_alu instid0(VALU_DEP_3) | instskip(NEXT) | instid1(VALU_DEP_1)
	v_sub_nc_u32_e32 v20, v20, v21
	v_mad_u32 v15, v20, s15, v15
	s_delay_alu instid0(VALU_DEP_4) | instskip(NEXT) | instid1(VALU_DEP_4)
	v_mad_u32 v17, v20, s9, v17
	v_mad_u32 v16, v20, s8, v16
	s_cbranch_scc1 .LBB53_155
; %bb.156:
	s_bitcmp1_b32 s3, 0
	s_cselect_b32 s3, -1, 0
	s_delay_alu instid0(SALU_CYCLE_1)
	s_and_b32 vcc_lo, exec_lo, s3
	s_cbranch_vccnz .LBB53_159
; %bb.157:
	s_clause 0x1
	s_load_b96 s[4:6], s[0:1], 0x1c
	s_load_b96 s[8:10], s[0:1], 0xdc
	s_wait_kmcnt 0x0
	v_mul_hi_u32 v20, s5, v19
	s_delay_alu instid0(VALU_DEP_1) | instskip(NEXT) | instid1(VALU_DEP_1)
	v_add_nc_u32_e32 v20, v19, v20
	v_lshrrev_b32_e32 v20, s6, v20
	s_delay_alu instid0(VALU_DEP_1) | instskip(NEXT) | instid1(VALU_DEP_1)
	v_mul_lo_u32 v20, v20, s4
	v_sub_nc_u32_e32 v19, v19, v20
	s_delay_alu instid0(VALU_DEP_1)
	v_mad_u32 v15, v19, s8, v15
	v_mad_u32 v16, v19, s9, v16
	;; [unrolled: 1-line block ×3, first 2 shown]
	s_and_not1_b32 vcc_lo, exec_lo, s2
	s_cbranch_vccz .LBB53_160
	s_branch .LBB53_163
.LBB53_158:
	s_mov_b32 s2, -1
                                        ; implicit-def: $vgpr17
                                        ; implicit-def: $vgpr16
                                        ; implicit-def: $vgpr15
.LBB53_159:
	s_delay_alu instid0(SALU_CYCLE_1)
	s_and_not1_b32 vcc_lo, exec_lo, s2
	s_cbranch_vccnz .LBB53_163
.LBB53_160:
	s_clause 0x1
	s_load_b96 s[0:2], s[16:17], 0x4
	s_load_b96 s[4:6], s[16:17], 0xc4
	s_cmp_lt_u32 s26, 2
	s_wait_kmcnt 0x0
	v_mul_hi_u32 v15, s1, v18
	s_delay_alu instid0(VALU_DEP_1) | instskip(NEXT) | instid1(VALU_DEP_1)
	v_add_nc_u32_e32 v15, v18, v15
	v_lshrrev_b32_e32 v19, s2, v15
	s_delay_alu instid0(VALU_DEP_1) | instskip(NEXT) | instid1(VALU_DEP_1)
	v_mul_lo_u32 v15, v19, s0
	v_sub_nc_u32_e32 v16, v18, v15
	s_delay_alu instid0(VALU_DEP_1)
	v_mul_lo_u32 v15, v16, s4
	v_mul_lo_u32 v17, v16, s6
	;; [unrolled: 1-line block ×3, first 2 shown]
	s_cbranch_scc1 .LBB53_163
; %bb.161:
	s_clause 0x1
	s_load_b96 s[0:2], s[16:17], 0x10
	s_load_b96 s[4:6], s[16:17], 0xd0
	s_wait_kmcnt 0x0
	v_mul_hi_u32 v18, s1, v19
	s_delay_alu instid0(VALU_DEP_1) | instskip(NEXT) | instid1(VALU_DEP_1)
	v_add_nc_u32_e32 v18, v19, v18
	v_lshrrev_b32_e32 v18, s2, v18
	s_delay_alu instid0(VALU_DEP_1) | instskip(NEXT) | instid1(VALU_DEP_1)
	v_mul_lo_u32 v18, v18, s0
	v_sub_nc_u32_e32 v18, v19, v18
	s_delay_alu instid0(VALU_DEP_1)
	v_mad_u32 v15, v18, s4, v15
	v_mad_u32 v16, v18, s5, v16
	;; [unrolled: 1-line block ×3, first 2 shown]
	s_branch .LBB53_163
.LBB53_162:
	v_dual_mov_b32 v17, 0 :: v_dual_mov_b32 v16, 0
	v_mov_b32_e32 v15, 0
	s_and_not1_b32 vcc_lo, exec_lo, s2
	s_cbranch_vccz .LBB53_160
.LBB53_163:
	v_cmp_ne_u32_e32 vcc_lo, 1, v8
	v_add_nc_u32_e32 v21, 0x280, v0
	s_cbranch_vccnz .LBB53_169
; %bb.164:
	s_cmp_lg_u32 s26, 0
	s_mov_b32 s2, 0
	s_cbranch_scc0 .LBB53_173
; %bb.165:
	s_min_u32 s3, s27, 15
	v_dual_mov_b32 v18, 0 :: v_dual_mov_b32 v22, v21
	v_dual_mov_b32 v19, 0 :: v_dual_mov_b32 v20, 0
	s_add_co_i32 s4, s3, 1
	s_mov_b64 s[0:1], 0xffffffffffffffe8
	s_and_b32 s4, s4, 30
	s_add_nc_u64 s[0:1], s[16:17], s[0:1]
.LBB53_166:                             ; =>This Inner Loop Header: Depth=1
	s_clause 0x1
	s_load_b128 s[8:11], s[0:1], 0x1c
	s_load_b64 s[6:7], s[0:1], 0x2c
	s_add_co_i32 s4, s4, -2
	s_delay_alu instid0(SALU_CYCLE_1) | instskip(SKIP_2) | instid1(VALU_DEP_1)
	s_cmp_lg_u32 s4, 0
	s_wait_kmcnt 0x0
	v_mul_hi_u32 v23, s9, v22
	v_add_nc_u32_e32 v23, v22, v23
	s_delay_alu instid0(VALU_DEP_1) | instskip(NEXT) | instid1(VALU_DEP_1)
	v_lshrrev_b32_e32 v23, s10, v23
	v_mul_hi_u32 v24, s6, v23
	v_mul_lo_u32 v25, v23, s8
	s_clause 0x1
	s_load_b128 s[12:15], s[0:1], 0xdc
	s_load_b64 s[8:9], s[0:1], 0xec
	s_wait_xcnt 0x0
	s_add_nc_u64 s[0:1], s[0:1], 24
	s_delay_alu instid0(VALU_DEP_1) | instskip(NEXT) | instid1(VALU_DEP_1)
	v_dual_add_nc_u32 v24, v23, v24 :: v_dual_sub_nc_u32 v25, v22, v25
	v_lshrrev_b32_e32 v22, s7, v24
	s_wait_kmcnt 0x0
	s_delay_alu instid0(VALU_DEP_2) | instskip(NEXT) | instid1(VALU_DEP_2)
	v_mad_u32 v18, v25, s12, v18
	v_mul_lo_u32 v24, v22, s11
	v_mad_u32 v20, v25, s14, v20
	v_mad_u32 v19, v25, s13, v19
	s_delay_alu instid0(VALU_DEP_3) | instskip(NEXT) | instid1(VALU_DEP_1)
	v_sub_nc_u32_e32 v23, v23, v24
	v_mad_u32 v18, v23, s15, v18
	s_delay_alu instid0(VALU_DEP_4) | instskip(NEXT) | instid1(VALU_DEP_4)
	v_mad_u32 v20, v23, s9, v20
	v_mad_u32 v19, v23, s8, v19
	s_cbranch_scc1 .LBB53_166
; %bb.167:
	s_bitcmp1_b32 s3, 0
	s_cselect_b32 s3, -1, 0
	s_delay_alu instid0(SALU_CYCLE_1)
	s_and_b32 vcc_lo, exec_lo, s3
	s_cbranch_vccnz .LBB53_170
; %bb.168:
	s_clause 0x1
	s_load_b96 s[4:6], s[0:1], 0x1c
	s_load_b96 s[8:10], s[0:1], 0xdc
	s_wait_kmcnt 0x0
	v_mul_hi_u32 v23, s5, v22
	s_delay_alu instid0(VALU_DEP_1) | instskip(NEXT) | instid1(VALU_DEP_1)
	v_add_nc_u32_e32 v23, v22, v23
	v_lshrrev_b32_e32 v23, s6, v23
	s_delay_alu instid0(VALU_DEP_1) | instskip(NEXT) | instid1(VALU_DEP_1)
	v_mul_lo_u32 v23, v23, s4
	v_sub_nc_u32_e32 v22, v22, v23
	s_delay_alu instid0(VALU_DEP_1)
	v_mad_u32 v18, v22, s8, v18
	v_mad_u32 v19, v22, s9, v19
	;; [unrolled: 1-line block ×3, first 2 shown]
	s_and_not1_b32 vcc_lo, exec_lo, s2
	s_cbranch_vccz .LBB53_171
	s_branch .LBB53_174
.LBB53_169:
	s_mov_b32 s2, -1
                                        ; implicit-def: $vgpr20
                                        ; implicit-def: $vgpr19
                                        ; implicit-def: $vgpr18
.LBB53_170:
	s_delay_alu instid0(SALU_CYCLE_1)
	s_and_not1_b32 vcc_lo, exec_lo, s2
	s_cbranch_vccnz .LBB53_174
.LBB53_171:
	s_clause 0x1
	s_load_b96 s[0:2], s[16:17], 0x4
	s_load_b96 s[4:6], s[16:17], 0xc4
	s_cmp_lt_u32 s26, 2
	s_wait_kmcnt 0x0
	v_mul_hi_u32 v18, s1, v21
	s_delay_alu instid0(VALU_DEP_1) | instskip(NEXT) | instid1(VALU_DEP_1)
	v_add_nc_u32_e32 v18, v21, v18
	v_lshrrev_b32_e32 v22, s2, v18
	s_delay_alu instid0(VALU_DEP_1) | instskip(NEXT) | instid1(VALU_DEP_1)
	v_mul_lo_u32 v18, v22, s0
	v_sub_nc_u32_e32 v19, v21, v18
	s_delay_alu instid0(VALU_DEP_1)
	v_mul_lo_u32 v18, v19, s4
	v_mul_lo_u32 v20, v19, s6
	;; [unrolled: 1-line block ×3, first 2 shown]
	s_cbranch_scc1 .LBB53_174
; %bb.172:
	s_clause 0x1
	s_load_b96 s[0:2], s[16:17], 0x10
	s_load_b96 s[4:6], s[16:17], 0xd0
	s_wait_kmcnt 0x0
	v_mul_hi_u32 v21, s1, v22
	s_delay_alu instid0(VALU_DEP_1) | instskip(NEXT) | instid1(VALU_DEP_1)
	v_add_nc_u32_e32 v21, v22, v21
	v_lshrrev_b32_e32 v21, s2, v21
	s_delay_alu instid0(VALU_DEP_1) | instskip(NEXT) | instid1(VALU_DEP_1)
	v_mul_lo_u32 v21, v21, s0
	v_sub_nc_u32_e32 v21, v22, v21
	s_delay_alu instid0(VALU_DEP_1)
	v_mad_u32 v18, v21, s4, v18
	v_mad_u32 v19, v21, s5, v19
	;; [unrolled: 1-line block ×3, first 2 shown]
	s_branch .LBB53_174
.LBB53_173:
	v_dual_mov_b32 v20, 0 :: v_dual_mov_b32 v19, 0
	v_mov_b32_e32 v18, 0
	s_and_not1_b32 vcc_lo, exec_lo, s2
	s_cbranch_vccz .LBB53_171
.LBB53_174:
	v_cmp_ne_u32_e32 vcc_lo, 1, v8
	v_add_nc_u32_e32 v23, 0x300, v0
	s_cbranch_vccnz .LBB53_180
; %bb.175:
	s_cmp_lg_u32 s26, 0
	s_mov_b32 s2, 0
	s_cbranch_scc0 .LBB53_184
; %bb.176:
	s_min_u32 s3, s27, 15
	v_dual_mov_b32 v0, 0 :: v_dual_mov_b32 v24, v23
	v_dual_mov_b32 v22, 0 :: v_dual_mov_b32 v21, 0
	s_add_co_i32 s4, s3, 1
	s_mov_b64 s[0:1], 0xffffffffffffffe8
	s_and_b32 s4, s4, 30
	s_add_nc_u64 s[0:1], s[16:17], s[0:1]
.LBB53_177:                             ; =>This Inner Loop Header: Depth=1
	s_clause 0x1
	s_load_b128 s[8:11], s[0:1], 0x1c
	s_load_b64 s[6:7], s[0:1], 0x2c
	s_add_co_i32 s4, s4, -2
	s_delay_alu instid0(SALU_CYCLE_1) | instskip(SKIP_2) | instid1(VALU_DEP_1)
	s_cmp_lg_u32 s4, 0
	s_wait_kmcnt 0x0
	v_mul_hi_u32 v25, s9, v24
	v_add_nc_u32_e32 v25, v24, v25
	s_delay_alu instid0(VALU_DEP_1) | instskip(NEXT) | instid1(VALU_DEP_1)
	v_lshrrev_b32_e32 v25, s10, v25
	v_mul_hi_u32 v26, s6, v25
	v_mul_lo_u32 v27, v25, s8
	s_clause 0x1
	s_load_b128 s[12:15], s[0:1], 0xdc
	s_load_b64 s[8:9], s[0:1], 0xec
	s_wait_xcnt 0x0
	s_add_nc_u64 s[0:1], s[0:1], 24
	s_delay_alu instid0(VALU_DEP_1) | instskip(NEXT) | instid1(VALU_DEP_1)
	v_dual_add_nc_u32 v26, v25, v26 :: v_dual_sub_nc_u32 v27, v24, v27
	v_lshrrev_b32_e32 v24, s7, v26
	s_wait_kmcnt 0x0
	s_delay_alu instid0(VALU_DEP_2) | instskip(NEXT) | instid1(VALU_DEP_2)
	v_mad_u32 v0, v27, s12, v0
	v_mul_lo_u32 v26, v24, s11
	v_mad_u32 v21, v27, s14, v21
	v_mad_u32 v22, v27, s13, v22
	s_delay_alu instid0(VALU_DEP_3) | instskip(NEXT) | instid1(VALU_DEP_1)
	v_sub_nc_u32_e32 v25, v25, v26
	v_mad_u32 v0, v25, s15, v0
	s_delay_alu instid0(VALU_DEP_4) | instskip(NEXT) | instid1(VALU_DEP_4)
	v_mad_u32 v21, v25, s9, v21
	v_mad_u32 v22, v25, s8, v22
	s_cbranch_scc1 .LBB53_177
; %bb.178:
	s_bitcmp1_b32 s3, 0
	s_cselect_b32 s3, -1, 0
	s_delay_alu instid0(SALU_CYCLE_1)
	s_and_b32 vcc_lo, exec_lo, s3
	s_cbranch_vccnz .LBB53_181
; %bb.179:
	s_clause 0x1
	s_load_b96 s[4:6], s[0:1], 0x1c
	s_load_b96 s[8:10], s[0:1], 0xdc
	s_wait_kmcnt 0x0
	v_mul_hi_u32 v25, s5, v24
	s_delay_alu instid0(VALU_DEP_1) | instskip(NEXT) | instid1(VALU_DEP_1)
	v_add_nc_u32_e32 v25, v24, v25
	v_lshrrev_b32_e32 v25, s6, v25
	s_delay_alu instid0(VALU_DEP_1) | instskip(NEXT) | instid1(VALU_DEP_1)
	v_mul_lo_u32 v25, v25, s4
	v_sub_nc_u32_e32 v24, v24, v25
	s_delay_alu instid0(VALU_DEP_1)
	v_mad_u32 v0, v24, s8, v0
	v_mad_u32 v22, v24, s9, v22
	;; [unrolled: 1-line block ×3, first 2 shown]
	s_and_not1_b32 vcc_lo, exec_lo, s2
	s_cbranch_vccz .LBB53_182
	s_branch .LBB53_185
.LBB53_180:
	s_mov_b32 s2, -1
                                        ; implicit-def: $vgpr21
                                        ; implicit-def: $vgpr22
                                        ; implicit-def: $vgpr0
.LBB53_181:
	s_delay_alu instid0(SALU_CYCLE_1)
	s_and_not1_b32 vcc_lo, exec_lo, s2
	s_cbranch_vccnz .LBB53_185
.LBB53_182:
	s_clause 0x1
	s_load_b96 s[0:2], s[16:17], 0x4
	s_load_b96 s[4:6], s[16:17], 0xc4
	s_cmp_lt_u32 s26, 2
	s_wait_kmcnt 0x0
	v_mul_hi_u32 v0, s1, v23
	s_delay_alu instid0(VALU_DEP_1) | instskip(NEXT) | instid1(VALU_DEP_1)
	v_add_nc_u32_e32 v0, v23, v0
	v_lshrrev_b32_e32 v24, s2, v0
	s_delay_alu instid0(VALU_DEP_1) | instskip(NEXT) | instid1(VALU_DEP_1)
	v_mul_lo_u32 v0, v24, s0
	v_sub_nc_u32_e32 v22, v23, v0
	s_delay_alu instid0(VALU_DEP_1)
	v_mul_lo_u32 v0, v22, s4
	v_mul_lo_u32 v21, v22, s6
	;; [unrolled: 1-line block ×3, first 2 shown]
	s_cbranch_scc1 .LBB53_185
; %bb.183:
	s_clause 0x1
	s_load_b96 s[0:2], s[16:17], 0x10
	s_load_b96 s[4:6], s[16:17], 0xd0
	s_wait_kmcnt 0x0
	v_mul_hi_u32 v23, s1, v24
	s_delay_alu instid0(VALU_DEP_1) | instskip(NEXT) | instid1(VALU_DEP_1)
	v_add_nc_u32_e32 v23, v24, v23
	v_lshrrev_b32_e32 v23, s2, v23
	s_delay_alu instid0(VALU_DEP_1) | instskip(NEXT) | instid1(VALU_DEP_1)
	v_mul_lo_u32 v23, v23, s0
	v_sub_nc_u32_e32 v23, v24, v23
	s_delay_alu instid0(VALU_DEP_1)
	v_mad_u32 v0, v23, s4, v0
	v_mad_u32 v22, v23, s5, v22
	;; [unrolled: 1-line block ×3, first 2 shown]
	s_branch .LBB53_185
.LBB53_184:
	v_dual_mov_b32 v21, 0 :: v_dual_mov_b32 v22, 0
	v_mov_b32_e32 v0, 0
	s_and_not1_b32 vcc_lo, exec_lo, s2
	s_cbranch_vccz .LBB53_182
.LBB53_185:
	v_cmp_ne_u32_e32 vcc_lo, 1, v8
	s_cbranch_vccnz .LBB53_191
; %bb.186:
	s_cmp_lg_u32 s26, 0
	s_mov_b32 s2, 0
	s_cbranch_scc0 .LBB53_195
; %bb.187:
	s_min_u32 s3, s27, 15
	v_dual_mov_b32 v8, 0 :: v_dual_mov_b32 v25, v4
	v_dual_mov_b32 v24, 0 :: v_dual_mov_b32 v23, 0
	s_add_co_i32 s4, s3, 1
	s_mov_b64 s[0:1], 0xffffffffffffffe8
	s_and_b32 s4, s4, 30
	s_add_nc_u64 s[0:1], s[16:17], s[0:1]
.LBB53_188:                             ; =>This Inner Loop Header: Depth=1
	s_clause 0x1
	s_load_b128 s[8:11], s[0:1], 0x1c
	s_load_b64 s[6:7], s[0:1], 0x2c
	s_add_co_i32 s4, s4, -2
	s_delay_alu instid0(SALU_CYCLE_1) | instskip(SKIP_2) | instid1(VALU_DEP_1)
	s_cmp_lg_u32 s4, 0
	s_wait_kmcnt 0x0
	v_mul_hi_u32 v26, s9, v25
	v_add_nc_u32_e32 v26, v25, v26
	s_delay_alu instid0(VALU_DEP_1) | instskip(NEXT) | instid1(VALU_DEP_1)
	v_lshrrev_b32_e32 v26, s10, v26
	v_mul_hi_u32 v27, s6, v26
	v_mul_lo_u32 v28, v26, s8
	s_clause 0x1
	s_load_b128 s[12:15], s[0:1], 0xdc
	s_load_b64 s[8:9], s[0:1], 0xec
	s_wait_xcnt 0x0
	s_add_nc_u64 s[0:1], s[0:1], 24
	s_delay_alu instid0(VALU_DEP_1) | instskip(NEXT) | instid1(VALU_DEP_1)
	v_dual_add_nc_u32 v27, v26, v27 :: v_dual_sub_nc_u32 v28, v25, v28
	v_lshrrev_b32_e32 v25, s7, v27
	s_wait_kmcnt 0x0
	s_delay_alu instid0(VALU_DEP_2) | instskip(NEXT) | instid1(VALU_DEP_2)
	v_mad_u32 v8, v28, s12, v8
	v_mul_lo_u32 v27, v25, s11
	v_mad_u32 v23, v28, s14, v23
	v_mad_u32 v24, v28, s13, v24
	s_delay_alu instid0(VALU_DEP_3) | instskip(NEXT) | instid1(VALU_DEP_1)
	v_sub_nc_u32_e32 v26, v26, v27
	v_mad_u32 v8, v26, s15, v8
	s_delay_alu instid0(VALU_DEP_4) | instskip(NEXT) | instid1(VALU_DEP_4)
	v_mad_u32 v23, v26, s9, v23
	v_mad_u32 v24, v26, s8, v24
	s_cbranch_scc1 .LBB53_188
; %bb.189:
	s_bitcmp1_b32 s3, 0
	s_cselect_b32 s3, -1, 0
	s_delay_alu instid0(SALU_CYCLE_1)
	s_and_b32 vcc_lo, exec_lo, s3
	s_cbranch_vccnz .LBB53_192
; %bb.190:
	s_clause 0x1
	s_load_b96 s[4:6], s[0:1], 0x1c
	s_load_b96 s[8:10], s[0:1], 0xdc
	s_wait_kmcnt 0x0
	v_mul_hi_u32 v26, s5, v25
	s_delay_alu instid0(VALU_DEP_1) | instskip(NEXT) | instid1(VALU_DEP_1)
	v_add_nc_u32_e32 v26, v25, v26
	v_lshrrev_b32_e32 v26, s6, v26
	s_delay_alu instid0(VALU_DEP_1) | instskip(NEXT) | instid1(VALU_DEP_1)
	v_mul_lo_u32 v26, v26, s4
	v_sub_nc_u32_e32 v25, v25, v26
	s_delay_alu instid0(VALU_DEP_1)
	v_mad_u32 v8, v25, s8, v8
	v_mad_u32 v24, v25, s9, v24
	;; [unrolled: 1-line block ×3, first 2 shown]
	s_and_not1_b32 vcc_lo, exec_lo, s2
	s_cbranch_vccz .LBB53_193
	s_branch .LBB53_196
.LBB53_191:
	s_mov_b32 s2, -1
                                        ; implicit-def: $vgpr23
                                        ; implicit-def: $vgpr24
                                        ; implicit-def: $vgpr8
.LBB53_192:
	s_delay_alu instid0(SALU_CYCLE_1)
	s_and_not1_b32 vcc_lo, exec_lo, s2
	s_cbranch_vccnz .LBB53_196
.LBB53_193:
	s_clause 0x1
	s_load_b96 s[0:2], s[16:17], 0x4
	s_load_b96 s[4:6], s[16:17], 0xc4
	s_cmp_lt_u32 s26, 2
	s_wait_kmcnt 0x0
	v_mul_hi_u32 v8, s1, v4
	s_delay_alu instid0(VALU_DEP_1) | instskip(NEXT) | instid1(VALU_DEP_1)
	v_add_nc_u32_e32 v8, v4, v8
	v_lshrrev_b32_e32 v25, s2, v8
	s_delay_alu instid0(VALU_DEP_1) | instskip(NEXT) | instid1(VALU_DEP_1)
	v_mul_lo_u32 v8, v25, s0
	v_sub_nc_u32_e32 v4, v4, v8
	s_delay_alu instid0(VALU_DEP_1)
	v_mul_lo_u32 v8, v4, s4
	v_mul_lo_u32 v23, v4, s6
	;; [unrolled: 1-line block ×3, first 2 shown]
	s_cbranch_scc1 .LBB53_196
; %bb.194:
	s_clause 0x1
	s_load_b96 s[0:2], s[16:17], 0x10
	s_load_b96 s[4:6], s[16:17], 0xd0
	s_wait_kmcnt 0x0
	v_mul_hi_u32 v4, s1, v25
	s_delay_alu instid0(VALU_DEP_1) | instskip(NEXT) | instid1(VALU_DEP_1)
	v_add_nc_u32_e32 v4, v25, v4
	v_lshrrev_b32_e32 v4, s2, v4
	s_delay_alu instid0(VALU_DEP_1) | instskip(NEXT) | instid1(VALU_DEP_1)
	v_mul_lo_u32 v4, v4, s0
	v_sub_nc_u32_e32 v4, v25, v4
	s_delay_alu instid0(VALU_DEP_1)
	v_mad_u32 v8, v4, s4, v8
	v_mad_u32 v24, v4, s5, v24
	;; [unrolled: 1-line block ×3, first 2 shown]
	s_branch .LBB53_196
.LBB53_195:
	v_dual_mov_b32 v23, 0 :: v_dual_mov_b32 v24, 0
	v_mov_b32_e32 v8, 0
	s_and_not1_b32 vcc_lo, exec_lo, s2
	s_cbranch_vccz .LBB53_193
.LBB53_196:
	s_clause 0x1
	s_load_b128 s[8:11], s[16:17], 0x188
	s_load_b96 s[0:2], s[16:17], 0x198
	s_wait_kmcnt 0x0
	global_load_b64 v[26:27], v3, s[10:11]
	global_load_b64 v[28:29], v2, s[0:1]
	;; [unrolled: 1-line block ×15, first 2 shown]
                                        ; kill: killed $vgpr17
                                        ; kill: killed $vgpr11
                                        ; kill: killed $vgpr22
                                        ; kill: killed $vgpr7
                                        ; kill: killed $vgpr20
                                        ; kill: killed $vgpr14
                                        ; kill: killed $vgpr24
                                        ; kill: killed $vgpr10
                                        ; kill: killed $vgpr3
                                        ; kill: killed $vgpr21
                                        ; kill: killed $vgpr16
                                        ; kill: killed $vgpr13
                                        ; kill: killed $vgpr6
                                        ; kill: killed $sgpr10_sgpr11
                                        ; kill: killed $vgpr19
                                        ; kill: killed $vgpr2
	global_load_b64 v[2:3], v23, s[0:1]
	s_cmp_eq_u32 s2, 0
	s_cselect_b32 s7, -1, 0
	s_wait_loadcnt 0xe
	v_cmp_ne_u64_e32 vcc_lo, v[26:27], v[28:29]
	s_wait_loadcnt 0xc
	s_wait_xcnt 0x0
	v_cmp_ne_u64_e64 s0, v[30:31], v[32:33]
	s_wait_loadcnt 0xa
	v_cmp_ne_u64_e64 s1, v[34:35], v[36:37]
	s_wait_loadcnt 0x8
	v_cmp_ne_u64_e64 s2, v[38:39], v[40:41]
	s_xor_b32 s10, s7, vcc_lo
	s_wait_loadcnt 0x6
	v_cmp_ne_u64_e64 s3, v[42:43], v[44:45]
	s_xor_b32 s0, s7, s0
	s_wait_loadcnt 0x4
	v_cmp_ne_u64_e64 s4, v[46:47], v[48:49]
	s_wait_loadcnt 0x2
	v_cmp_ne_u64_e64 s5, v[50:51], v[52:53]
	;; [unrolled: 2-line block ×3, first 2 shown]
	v_cndmask_b32_e64 v3, 0, 1, s0
	s_xor_b32 s0, s7, s1
	v_cndmask_b32_e64 v2, 0, 1, s10
	v_cndmask_b32_e64 v4, 0, 1, s0
	s_xor_b32 s0, s7, s2
	s_delay_alu instid0(SALU_CYCLE_1) | instskip(SKIP_1) | instid1(SALU_CYCLE_1)
	v_cndmask_b32_e64 v6, 0, 1, s0
	s_xor_b32 s0, s7, s3
	v_cndmask_b32_e64 v7, 0, 1, s0
	s_xor_b32 s0, s7, s4
	s_delay_alu instid0(SALU_CYCLE_1) | instskip(SKIP_1) | instid1(SALU_CYCLE_1)
	v_cndmask_b32_e64 v10, 0, 1, s0
	s_xor_b32 s0, s7, s5
	v_cndmask_b32_e64 v11, 0, 1, s0
	s_xor_b32 s0, s7, s6
	s_delay_alu instid0(SALU_CYCLE_1)
	v_cndmask_b32_e64 v13, 0, 1, s0
	s_clause 0x7
	global_store_b8 v1, v2, s[8:9]
	global_store_b8 v5, v3, s[8:9]
	;; [unrolled: 1-line block ×8, first 2 shown]
	s_endpgm
	.section	.rodata,"a",@progbits
	.p2align	6, 0x0
	.amdhsa_kernel _ZN2at6native32elementwise_kernel_manual_unrollILi128ELi8EZNS0_22gpu_kernel_impl_nocastINS0_13BinaryFunctorIllbNS0_12_GLOBAL__N_116CompareEqFunctorIlEEEEEEvRNS_18TensorIteratorBaseERKT_EUlibE_EEviT1_
		.amdhsa_group_segment_fixed_size 0
		.amdhsa_private_segment_fixed_size 0
		.amdhsa_kernarg_size 432
		.amdhsa_user_sgpr_count 2
		.amdhsa_user_sgpr_dispatch_ptr 0
		.amdhsa_user_sgpr_queue_ptr 0
		.amdhsa_user_sgpr_kernarg_segment_ptr 1
		.amdhsa_user_sgpr_dispatch_id 0
		.amdhsa_user_sgpr_kernarg_preload_length 0
		.amdhsa_user_sgpr_kernarg_preload_offset 0
		.amdhsa_user_sgpr_private_segment_size 0
		.amdhsa_wavefront_size32 1
		.amdhsa_uses_dynamic_stack 0
		.amdhsa_enable_private_segment 0
		.amdhsa_system_sgpr_workgroup_id_x 1
		.amdhsa_system_sgpr_workgroup_id_y 0
		.amdhsa_system_sgpr_workgroup_id_z 0
		.amdhsa_system_sgpr_workgroup_info 0
		.amdhsa_system_vgpr_workitem_id 0
		.amdhsa_next_free_vgpr 56
		.amdhsa_next_free_sgpr 46
		.amdhsa_named_barrier_count 0
		.amdhsa_reserve_vcc 1
		.amdhsa_float_round_mode_32 0
		.amdhsa_float_round_mode_16_64 0
		.amdhsa_float_denorm_mode_32 3
		.amdhsa_float_denorm_mode_16_64 3
		.amdhsa_fp16_overflow 0
		.amdhsa_memory_ordered 1
		.amdhsa_forward_progress 1
		.amdhsa_inst_pref_size 84
		.amdhsa_round_robin_scheduling 0
		.amdhsa_exception_fp_ieee_invalid_op 0
		.amdhsa_exception_fp_denorm_src 0
		.amdhsa_exception_fp_ieee_div_zero 0
		.amdhsa_exception_fp_ieee_overflow 0
		.amdhsa_exception_fp_ieee_underflow 0
		.amdhsa_exception_fp_ieee_inexact 0
		.amdhsa_exception_int_div_zero 0
	.end_amdhsa_kernel
	.section	.text._ZN2at6native32elementwise_kernel_manual_unrollILi128ELi8EZNS0_22gpu_kernel_impl_nocastINS0_13BinaryFunctorIllbNS0_12_GLOBAL__N_116CompareEqFunctorIlEEEEEEvRNS_18TensorIteratorBaseERKT_EUlibE_EEviT1_,"axG",@progbits,_ZN2at6native32elementwise_kernel_manual_unrollILi128ELi8EZNS0_22gpu_kernel_impl_nocastINS0_13BinaryFunctorIllbNS0_12_GLOBAL__N_116CompareEqFunctorIlEEEEEEvRNS_18TensorIteratorBaseERKT_EUlibE_EEviT1_,comdat
.Lfunc_end53:
	.size	_ZN2at6native32elementwise_kernel_manual_unrollILi128ELi8EZNS0_22gpu_kernel_impl_nocastINS0_13BinaryFunctorIllbNS0_12_GLOBAL__N_116CompareEqFunctorIlEEEEEEvRNS_18TensorIteratorBaseERKT_EUlibE_EEviT1_, .Lfunc_end53-_ZN2at6native32elementwise_kernel_manual_unrollILi128ELi8EZNS0_22gpu_kernel_impl_nocastINS0_13BinaryFunctorIllbNS0_12_GLOBAL__N_116CompareEqFunctorIlEEEEEEvRNS_18TensorIteratorBaseERKT_EUlibE_EEviT1_
                                        ; -- End function
	.set _ZN2at6native32elementwise_kernel_manual_unrollILi128ELi8EZNS0_22gpu_kernel_impl_nocastINS0_13BinaryFunctorIllbNS0_12_GLOBAL__N_116CompareEqFunctorIlEEEEEEvRNS_18TensorIteratorBaseERKT_EUlibE_EEviT1_.num_vgpr, 56
	.set _ZN2at6native32elementwise_kernel_manual_unrollILi128ELi8EZNS0_22gpu_kernel_impl_nocastINS0_13BinaryFunctorIllbNS0_12_GLOBAL__N_116CompareEqFunctorIlEEEEEEvRNS_18TensorIteratorBaseERKT_EUlibE_EEviT1_.num_agpr, 0
	.set _ZN2at6native32elementwise_kernel_manual_unrollILi128ELi8EZNS0_22gpu_kernel_impl_nocastINS0_13BinaryFunctorIllbNS0_12_GLOBAL__N_116CompareEqFunctorIlEEEEEEvRNS_18TensorIteratorBaseERKT_EUlibE_EEviT1_.numbered_sgpr, 46
	.set _ZN2at6native32elementwise_kernel_manual_unrollILi128ELi8EZNS0_22gpu_kernel_impl_nocastINS0_13BinaryFunctorIllbNS0_12_GLOBAL__N_116CompareEqFunctorIlEEEEEEvRNS_18TensorIteratorBaseERKT_EUlibE_EEviT1_.num_named_barrier, 0
	.set _ZN2at6native32elementwise_kernel_manual_unrollILi128ELi8EZNS0_22gpu_kernel_impl_nocastINS0_13BinaryFunctorIllbNS0_12_GLOBAL__N_116CompareEqFunctorIlEEEEEEvRNS_18TensorIteratorBaseERKT_EUlibE_EEviT1_.private_seg_size, 0
	.set _ZN2at6native32elementwise_kernel_manual_unrollILi128ELi8EZNS0_22gpu_kernel_impl_nocastINS0_13BinaryFunctorIllbNS0_12_GLOBAL__N_116CompareEqFunctorIlEEEEEEvRNS_18TensorIteratorBaseERKT_EUlibE_EEviT1_.uses_vcc, 1
	.set _ZN2at6native32elementwise_kernel_manual_unrollILi128ELi8EZNS0_22gpu_kernel_impl_nocastINS0_13BinaryFunctorIllbNS0_12_GLOBAL__N_116CompareEqFunctorIlEEEEEEvRNS_18TensorIteratorBaseERKT_EUlibE_EEviT1_.uses_flat_scratch, 0
	.set _ZN2at6native32elementwise_kernel_manual_unrollILi128ELi8EZNS0_22gpu_kernel_impl_nocastINS0_13BinaryFunctorIllbNS0_12_GLOBAL__N_116CompareEqFunctorIlEEEEEEvRNS_18TensorIteratorBaseERKT_EUlibE_EEviT1_.has_dyn_sized_stack, 0
	.set _ZN2at6native32elementwise_kernel_manual_unrollILi128ELi8EZNS0_22gpu_kernel_impl_nocastINS0_13BinaryFunctorIllbNS0_12_GLOBAL__N_116CompareEqFunctorIlEEEEEEvRNS_18TensorIteratorBaseERKT_EUlibE_EEviT1_.has_recursion, 0
	.set _ZN2at6native32elementwise_kernel_manual_unrollILi128ELi8EZNS0_22gpu_kernel_impl_nocastINS0_13BinaryFunctorIllbNS0_12_GLOBAL__N_116CompareEqFunctorIlEEEEEEvRNS_18TensorIteratorBaseERKT_EUlibE_EEviT1_.has_indirect_call, 0
	.section	.AMDGPU.csdata,"",@progbits
; Kernel info:
; codeLenInByte = 10748
; TotalNumSgprs: 48
; NumVgprs: 56
; ScratchSize: 0
; MemoryBound: 0
; FloatMode: 240
; IeeeMode: 1
; LDSByteSize: 0 bytes/workgroup (compile time only)
; SGPRBlocks: 0
; VGPRBlocks: 3
; NumSGPRsForWavesPerEU: 48
; NumVGPRsForWavesPerEU: 56
; NamedBarCnt: 0
; Occupancy: 16
; WaveLimiterHint : 1
; COMPUTE_PGM_RSRC2:SCRATCH_EN: 0
; COMPUTE_PGM_RSRC2:USER_SGPR: 2
; COMPUTE_PGM_RSRC2:TRAP_HANDLER: 0
; COMPUTE_PGM_RSRC2:TGID_X_EN: 1
; COMPUTE_PGM_RSRC2:TGID_Y_EN: 0
; COMPUTE_PGM_RSRC2:TGID_Z_EN: 0
; COMPUTE_PGM_RSRC2:TIDIG_COMP_CNT: 0
	.section	.text._ZN2at6native32elementwise_kernel_manual_unrollILi128ELi4EZNS0_15gpu_kernel_implINS0_13BinaryFunctorIllbNS0_12_GLOBAL__N_116CompareEqFunctorIlEEEEEEvRNS_18TensorIteratorBaseERKT_EUlibE_EEviT1_,"axG",@progbits,_ZN2at6native32elementwise_kernel_manual_unrollILi128ELi4EZNS0_15gpu_kernel_implINS0_13BinaryFunctorIllbNS0_12_GLOBAL__N_116CompareEqFunctorIlEEEEEEvRNS_18TensorIteratorBaseERKT_EUlibE_EEviT1_,comdat
	.globl	_ZN2at6native32elementwise_kernel_manual_unrollILi128ELi4EZNS0_15gpu_kernel_implINS0_13BinaryFunctorIllbNS0_12_GLOBAL__N_116CompareEqFunctorIlEEEEEEvRNS_18TensorIteratorBaseERKT_EUlibE_EEviT1_ ; -- Begin function _ZN2at6native32elementwise_kernel_manual_unrollILi128ELi4EZNS0_15gpu_kernel_implINS0_13BinaryFunctorIllbNS0_12_GLOBAL__N_116CompareEqFunctorIlEEEEEEvRNS_18TensorIteratorBaseERKT_EUlibE_EEviT1_
	.p2align	8
	.type	_ZN2at6native32elementwise_kernel_manual_unrollILi128ELi4EZNS0_15gpu_kernel_implINS0_13BinaryFunctorIllbNS0_12_GLOBAL__N_116CompareEqFunctorIlEEEEEEvRNS_18TensorIteratorBaseERKT_EUlibE_EEviT1_,@function
_ZN2at6native32elementwise_kernel_manual_unrollILi128ELi4EZNS0_15gpu_kernel_implINS0_13BinaryFunctorIllbNS0_12_GLOBAL__N_116CompareEqFunctorIlEEEEEEvRNS_18TensorIteratorBaseERKT_EUlibE_EEviT1_: ; @_ZN2at6native32elementwise_kernel_manual_unrollILi128ELi4EZNS0_15gpu_kernel_implINS0_13BinaryFunctorIllbNS0_12_GLOBAL__N_116CompareEqFunctorIlEEEEEEvRNS_18TensorIteratorBaseERKT_EUlibE_EEviT1_
; %bb.0:
	s_load_b32 s12, s[0:1], 0x30
	s_bfe_u32 s2, ttmp6, 0x4000c
	s_clause 0x1
	s_load_b32 s17, s[0:1], 0x0
	s_load_b128 s[4:7], s[0:1], 0x8
	s_add_co_i32 s14, s2, 1
	s_clause 0x1
	s_load_b64 s[2:3], s[0:1], 0x18
	s_load_b128 s[8:11], s[0:1], 0x20
	s_and_b32 s13, ttmp6, 15
	s_wait_xcnt 0x0
	s_mul_i32 s0, ttmp9, s14
	s_getreg_b32 s15, hwreg(HW_REG_IB_STS2, 6, 4)
	s_add_co_i32 s13, s13, s0
	s_mov_b32 s16, 0
	s_wait_kmcnt 0x0
	s_lshr_b32 s14, s12, 8
	s_lshr_b32 s1, s12, 16
	s_cmp_eq_u32 s15, 0
	s_cselect_b32 s0, ttmp9, s13
	s_mov_b32 s13, 0
	v_lshl_or_b32 v18, s0, 9, v0
	s_mov_b32 s0, exec_lo
	s_delay_alu instid0(VALU_DEP_1) | instskip(NEXT) | instid1(VALU_DEP_1)
	v_or_b32_e32 v0, 0x180, v18
	v_cmpx_le_i32_e64 s17, v0
	s_xor_b32 s15, exec_lo, s0
	s_cbranch_execz .LBB54_1515
; %bb.1:
	s_cmp_eq_u32 s11, 0
	s_mov_b32 s22, 0
	s_cselect_b32 s16, -1, 0
	s_mov_b32 s25, -1
	s_mov_b32 s20, 0
	s_mov_b32 s19, 0
	;; [unrolled: 1-line block ×3, first 2 shown]
	s_mov_b32 s21, exec_lo
	v_cmpx_gt_i32_e64 s17, v18
	s_cbranch_execz .LBB54_374
; %bb.2:
	v_mul_lo_u32 v0, v18, s9
	s_and_b32 s0, s14, 0xff
	s_delay_alu instid0(SALU_CYCLE_1) | instskip(NEXT) | instid1(VALU_DEP_1)
	s_cmp_lt_i32 s0, 11
	v_ashrrev_i32_e32 v1, 31, v0
	s_delay_alu instid0(VALU_DEP_1)
	v_add_nc_u64_e32 v[2:3], s[6:7], v[0:1]
	s_cbranch_scc1 .LBB54_9
; %bb.3:
	s_and_b32 s18, 0xffff, s0
	s_delay_alu instid0(SALU_CYCLE_1)
	s_cmp_gt_i32 s18, 25
	s_cbranch_scc0 .LBB54_18
; %bb.4:
	s_cmp_gt_i32 s18, 28
	s_cbranch_scc0 .LBB54_28
; %bb.5:
	;; [unrolled: 3-line block ×4, first 2 shown]
	s_cmp_eq_u32 s18, 46
	s_mov_b32 s23, 0
	s_cbranch_scc0 .LBB54_37
; %bb.8:
	global_load_b32 v0, v[2:3], off
	s_mov_b32 s19, -1
	s_wait_loadcnt 0x0
	v_lshlrev_b32_e32 v0, 16, v0
	s_delay_alu instid0(VALU_DEP_1) | instskip(NEXT) | instid1(VALU_DEP_1)
	v_trunc_f32_e32 v0, v0
	v_mul_f32_e64 v1, 0x2f800000, |v0|
	s_delay_alu instid0(VALU_DEP_1) | instskip(NEXT) | instid1(VALU_DEP_1)
	v_floor_f32_e32 v1, v1
	v_fma_f32 v4, 0xcf800000, v1, |v0|
	v_ashrrev_i32_e32 v0, 31, v0
	v_cvt_u32_f32_e32 v5, v1
	s_delay_alu instid0(VALU_DEP_3) | instskip(NEXT) | instid1(VALU_DEP_2)
	v_cvt_u32_f32_e32 v4, v4
	v_dual_mov_b32 v1, v0 :: v_dual_bitop2_b32 v5, v5, v0 bitop3:0x14
	s_delay_alu instid0(VALU_DEP_2) | instskip(NEXT) | instid1(VALU_DEP_1)
	v_xor_b32_e32 v4, v4, v0
	v_sub_nc_u64_e32 v[0:1], v[4:5], v[0:1]
	s_branch .LBB54_39
.LBB54_9:
                                        ; implicit-def: $vgpr0_vgpr1
	s_cbranch_execnz .LBB54_101
.LBB54_10:
	s_and_not1_b32 vcc_lo, exec_lo, s19
	s_cbranch_vccnz .LBB54_148
.LBB54_11:
	s_wait_xcnt 0x0
	v_mul_lo_u32 v2, v18, s10
	s_and_b32 s0, s1, 0xff
	s_delay_alu instid0(SALU_CYCLE_1) | instskip(NEXT) | instid1(VALU_DEP_1)
	s_cmp_lt_i32 s0, 11
	v_ashrrev_i32_e32 v3, 31, v2
	s_delay_alu instid0(VALU_DEP_1)
	v_add_nc_u64_e32 v[2:3], s[2:3], v[2:3]
	s_cbranch_scc1 .LBB54_19
; %bb.12:
	s_and_b32 s18, 0xffff, s0
	s_delay_alu instid0(SALU_CYCLE_1)
	s_cmp_gt_i32 s18, 25
	s_cbranch_scc0 .LBB54_29
; %bb.13:
	s_cmp_gt_i32 s18, 28
	s_cbranch_scc0 .LBB54_32
; %bb.14:
	;; [unrolled: 3-line block ×4, first 2 shown]
	s_cmp_eq_u32 s18, 46
	s_mov_b32 s24, 0
	s_cbranch_scc0 .LBB54_149
; %bb.17:
	global_load_b32 v4, v[2:3], off
	s_mov_b32 s23, -1
	s_mov_b32 s19, 0
	s_wait_loadcnt 0x0
	v_lshlrev_b32_e32 v4, 16, v4
	s_delay_alu instid0(VALU_DEP_1) | instskip(NEXT) | instid1(VALU_DEP_1)
	v_trunc_f32_e32 v4, v4
	v_mul_f32_e64 v5, 0x2f800000, |v4|
	s_delay_alu instid0(VALU_DEP_1) | instskip(NEXT) | instid1(VALU_DEP_1)
	v_floor_f32_e32 v5, v5
	v_fma_f32 v6, 0xcf800000, v5, |v4|
	v_ashrrev_i32_e32 v4, 31, v4
	v_cvt_u32_f32_e32 v7, v5
	s_delay_alu instid0(VALU_DEP_3) | instskip(NEXT) | instid1(VALU_DEP_2)
	v_cvt_u32_f32_e32 v6, v6
	v_dual_mov_b32 v5, v4 :: v_dual_bitop2_b32 v7, v7, v4 bitop3:0x14
	s_delay_alu instid0(VALU_DEP_2) | instskip(NEXT) | instid1(VALU_DEP_1)
	v_xor_b32_e32 v6, v6, v4
	v_sub_nc_u64_e32 v[4:5], v[6:7], v[4:5]
	s_branch .LBB54_151
.LBB54_18:
                                        ; implicit-def: $vgpr0_vgpr1
	s_cbranch_execnz .LBB54_68
	s_branch .LBB54_100
.LBB54_19:
	s_mov_b32 s19, 0
	s_mov_b32 s23, 0
                                        ; implicit-def: $vgpr4_vgpr5
	s_cbranch_execnz .LBB54_323
.LBB54_20:
	s_and_not1_b32 vcc_lo, exec_lo, s23
	s_cbranch_vccnz .LBB54_371
.LBB54_21:
	s_wait_xcnt 0x0
	v_mul_lo_u32 v2, v18, s8
	s_wait_loadcnt 0x0
	s_delay_alu instid0(VALU_DEP_2) | instskip(SKIP_3) | instid1(VALU_DEP_2)
	v_cmp_ne_u64_e32 vcc_lo, v[0:1], v[4:5]
	s_and_b32 s23, s12, 0xff
	s_xor_b32 s18, s16, vcc_lo
	s_cmp_lt_i32 s23, 11
	v_ashrrev_i32_e32 v3, 31, v2
	s_delay_alu instid0(VALU_DEP_1)
	v_add_nc_u64_e32 v[0:1], s[4:5], v[2:3]
	s_cbranch_scc1 .LBB54_30
; %bb.22:
	s_and_b32 s24, 0xffff, s23
	s_delay_alu instid0(SALU_CYCLE_1)
	s_cmp_gt_i32 s24, 25
	s_cbranch_scc0 .LBB54_33
; %bb.23:
	s_cmp_gt_i32 s24, 28
	s_cbranch_scc0 .LBB54_36
; %bb.24:
	;; [unrolled: 3-line block ×4, first 2 shown]
	s_mov_b32 s26, 0
	s_mov_b32 s0, -1
	s_cmp_eq_u32 s24, 46
	s_mov_b32 s25, 0
	s_cbranch_scc0 .LBB54_155
; %bb.27:
	v_cndmask_b32_e64 v2, 0, 1.0, s18
	s_mov_b32 s25, -1
	s_mov_b32 s0, 0
	s_delay_alu instid0(VALU_DEP_1) | instskip(NEXT) | instid1(VALU_DEP_1)
	v_bfe_u32 v3, v2, 16, 1
	v_add3_u32 v2, v2, v3, 0x7fff
	s_delay_alu instid0(VALU_DEP_1)
	v_lshrrev_b32_e32 v2, 16, v2
	global_store_b32 v[0:1], v2, off
	s_branch .LBB54_155
.LBB54_28:
	s_mov_b32 s23, -1
                                        ; implicit-def: $vgpr0_vgpr1
	s_branch .LBB54_51
.LBB54_29:
	s_mov_b32 s24, -1
	s_mov_b32 s19, 0
	s_mov_b32 s23, 0
                                        ; implicit-def: $vgpr4_vgpr5
	s_branch .LBB54_289
.LBB54_30:
	s_mov_b32 s24, -1
	s_mov_b32 s0, 0
	s_mov_b32 s25, 0
	s_branch .LBB54_224
.LBB54_31:
	s_mov_b32 s23, -1
                                        ; implicit-def: $vgpr0_vgpr1
	s_branch .LBB54_46
.LBB54_32:
	s_mov_b32 s24, -1
	s_mov_b32 s19, 0
	s_mov_b32 s23, 0
                                        ; implicit-def: $vgpr4_vgpr5
	s_branch .LBB54_272
.LBB54_33:
	s_mov_b32 s26, -1
	s_mov_b32 s0, 0
	s_mov_b32 s25, 0
	s_branch .LBB54_182
.LBB54_34:
	s_mov_b32 s23, -1
	s_branch .LBB54_38
.LBB54_35:
	s_mov_b32 s24, -1
	s_mov_b32 s19, 0
	s_mov_b32 s23, 0
                                        ; implicit-def: $vgpr4_vgpr5
	s_branch .LBB54_267
.LBB54_36:
	s_mov_b32 s26, -1
	s_mov_b32 s0, 0
	s_mov_b32 s25, 0
	s_branch .LBB54_165
.LBB54_37:
	s_mov_b32 s20, -1
.LBB54_38:
                                        ; implicit-def: $vgpr0_vgpr1
.LBB54_39:
	s_and_b32 vcc_lo, exec_lo, s23
	s_cbranch_vccz .LBB54_45
; %bb.40:
	s_cmp_eq_u32 s18, 44
	s_cbranch_scc0 .LBB54_44
; %bb.41:
	global_load_u8 v6, v[2:3], off
	s_mov_b32 s20, 0
	s_mov_b32 s19, -1
	s_wait_loadcnt 0x0
	v_cmp_ne_u32_e32 vcc_lo, 0, v6
	v_lshlrev_b32_e32 v0, 23, v6
	s_delay_alu instid0(VALU_DEP_1) | instskip(NEXT) | instid1(VALU_DEP_1)
	v_trunc_f32_e32 v0, v0
	v_mul_f32_e64 v1, 0x2f800000, |v0|
	s_delay_alu instid0(VALU_DEP_1) | instskip(NEXT) | instid1(VALU_DEP_1)
	v_floor_f32_e32 v1, v1
	v_fma_f32 v4, 0xcf800000, v1, |v0|
	v_ashrrev_i32_e32 v0, 31, v0
	v_cvt_u32_f32_e32 v5, v1
	s_delay_alu instid0(VALU_DEP_3) | instskip(NEXT) | instid1(VALU_DEP_2)
	v_cvt_u32_f32_e32 v4, v4
	v_dual_mov_b32 v1, v0 :: v_dual_bitop2_b32 v5, v5, v0 bitop3:0x14
	s_delay_alu instid0(VALU_DEP_2) | instskip(NEXT) | instid1(VALU_DEP_1)
	v_xor_b32_e32 v4, v4, v0
	v_sub_nc_u64_e32 v[0:1], v[4:5], v[0:1]
	s_delay_alu instid0(VALU_DEP_1)
	v_dual_cndmask_b32 v1, 0, v1 :: v_dual_cndmask_b32 v0, 0, v0
	s_branch .LBB54_45
.LBB54_42:
	s_mov_b32 s24, -1
	s_mov_b32 s19, 0
	s_branch .LBB54_150
.LBB54_43:
	s_mov_b32 s26, -1
	s_mov_b32 s0, 0
	s_mov_b32 s25, 0
	s_branch .LBB54_161
.LBB54_44:
	s_mov_b32 s20, -1
                                        ; implicit-def: $vgpr0_vgpr1
.LBB54_45:
	s_mov_b32 s23, 0
.LBB54_46:
	s_delay_alu instid0(SALU_CYCLE_1)
	s_and_b32 vcc_lo, exec_lo, s23
	s_cbranch_vccz .LBB54_50
; %bb.47:
	s_cmp_eq_u32 s18, 29
	s_cbranch_scc0 .LBB54_49
; %bb.48:
	global_load_b64 v[0:1], v[2:3], off
	s_mov_b32 s19, -1
	s_mov_b32 s20, 0
	s_branch .LBB54_50
.LBB54_49:
	s_mov_b32 s20, -1
                                        ; implicit-def: $vgpr0_vgpr1
.LBB54_50:
	s_mov_b32 s23, 0
.LBB54_51:
	s_delay_alu instid0(SALU_CYCLE_1)
	s_and_b32 vcc_lo, exec_lo, s23
	s_cbranch_vccz .LBB54_67
; %bb.52:
	s_cmp_lt_i32 s18, 27
	s_cbranch_scc1 .LBB54_55
; %bb.53:
	s_cmp_gt_i32 s18, 27
	s_cbranch_scc0 .LBB54_56
; %bb.54:
	s_wait_loadcnt 0x0
	global_load_b32 v0, v[2:3], off
	v_mov_b32_e32 v1, 0
	s_mov_b32 s19, 0
	s_branch .LBB54_57
.LBB54_55:
	s_mov_b32 s19, -1
                                        ; implicit-def: $vgpr0_vgpr1
	s_branch .LBB54_60
.LBB54_56:
	s_mov_b32 s19, -1
                                        ; implicit-def: $vgpr0_vgpr1
.LBB54_57:
	s_delay_alu instid0(SALU_CYCLE_1)
	s_and_not1_b32 vcc_lo, exec_lo, s19
	s_cbranch_vccnz .LBB54_59
; %bb.58:
	s_wait_loadcnt 0x0
	global_load_u16 v0, v[2:3], off
	s_mov_b32 s19, 0
	s_delay_alu instid0(SALU_CYCLE_1)
	v_mov_b32_e32 v1, s19
	s_wait_loadcnt 0x0
	v_and_b32_e32 v0, 0xffff, v0
.LBB54_59:
	s_mov_b32 s19, 0
.LBB54_60:
	s_delay_alu instid0(SALU_CYCLE_1)
	s_and_not1_b32 vcc_lo, exec_lo, s19
	s_cbranch_vccnz .LBB54_66
; %bb.61:
	global_load_u8 v4, v[2:3], off
	s_mov_b32 s23, 0
	s_mov_b32 s19, exec_lo
	s_wait_loadcnt 0x0
	v_cmpx_lt_i16_e32 0x7f, v4
	s_xor_b32 s19, exec_lo, s19
	s_cbranch_execz .LBB54_77
; %bb.62:
	v_cmp_ne_u16_e32 vcc_lo, 0x80, v4
	s_and_b32 s23, vcc_lo, exec_lo
	s_and_not1_saveexec_b32 s19, s19
	s_cbranch_execnz .LBB54_78
.LBB54_63:
	s_or_b32 exec_lo, exec_lo, s19
	v_mov_b64_e32 v[0:1], 0
	s_and_saveexec_b32 s19, s23
	s_cbranch_execz .LBB54_65
.LBB54_64:
	v_and_b32_e32 v0, 0xffff, v4
	s_delay_alu instid0(VALU_DEP_1) | instskip(SKIP_1) | instid1(VALU_DEP_2)
	v_and_b32_e32 v1, 7, v0
	v_bfe_u32 v7, v0, 3, 4
	v_clz_i32_u32_e32 v5, v1
	s_delay_alu instid0(VALU_DEP_2) | instskip(NEXT) | instid1(VALU_DEP_2)
	v_cmp_eq_u32_e32 vcc_lo, 0, v7
	v_min_u32_e32 v5, 32, v5
	s_delay_alu instid0(VALU_DEP_1) | instskip(NEXT) | instid1(VALU_DEP_1)
	v_subrev_nc_u32_e32 v6, 28, v5
	v_dual_lshlrev_b32 v0, v6, v0 :: v_dual_sub_nc_u32 v5, 29, v5
	s_delay_alu instid0(VALU_DEP_1) | instskip(NEXT) | instid1(VALU_DEP_2)
	v_and_b32_e32 v0, 7, v0
	v_dual_cndmask_b32 v5, v7, v5 :: v_dual_lshlrev_b32 v4, 24, v4
	s_delay_alu instid0(VALU_DEP_2) | instskip(NEXT) | instid1(VALU_DEP_2)
	v_cndmask_b32_e32 v0, v1, v0, vcc_lo
	v_and_b32_e32 v1, 0x80000000, v4
	s_delay_alu instid0(VALU_DEP_3) | instskip(NEXT) | instid1(VALU_DEP_3)
	v_lshl_add_u32 v4, v5, 23, 0x3b800000
	v_lshlrev_b32_e32 v0, 20, v0
	s_delay_alu instid0(VALU_DEP_1) | instskip(NEXT) | instid1(VALU_DEP_1)
	v_or3_b32 v0, v1, v4, v0
	v_trunc_f32_e32 v0, v0
	s_delay_alu instid0(VALU_DEP_1) | instskip(NEXT) | instid1(VALU_DEP_1)
	v_mul_f32_e64 v1, 0x2f800000, |v0|
	v_floor_f32_e32 v1, v1
	s_delay_alu instid0(VALU_DEP_1) | instskip(SKIP_2) | instid1(VALU_DEP_3)
	v_fma_f32 v4, 0xcf800000, v1, |v0|
	v_ashrrev_i32_e32 v0, 31, v0
	v_cvt_u32_f32_e32 v5, v1
	v_cvt_u32_f32_e32 v4, v4
	s_delay_alu instid0(VALU_DEP_2) | instskip(NEXT) | instid1(VALU_DEP_2)
	v_dual_mov_b32 v1, v0 :: v_dual_bitop2_b32 v5, v5, v0 bitop3:0x14
	v_xor_b32_e32 v4, v4, v0
	s_delay_alu instid0(VALU_DEP_1)
	v_sub_nc_u64_e32 v[0:1], v[4:5], v[0:1]
.LBB54_65:
	s_or_b32 exec_lo, exec_lo, s19
.LBB54_66:
	s_mov_b32 s19, -1
.LBB54_67:
	s_branch .LBB54_100
.LBB54_68:
	s_cmp_gt_i32 s18, 22
	s_cbranch_scc0 .LBB54_76
; %bb.69:
	s_cmp_lt_i32 s18, 24
	s_cbranch_scc1 .LBB54_79
; %bb.70:
	s_cmp_gt_i32 s18, 24
	s_cbranch_scc0 .LBB54_80
; %bb.71:
	global_load_u8 v4, v[2:3], off
	s_mov_b32 s23, 0
	s_mov_b32 s19, exec_lo
	s_wait_loadcnt 0x0
	v_cmpx_lt_i16_e32 0x7f, v4
	s_xor_b32 s19, exec_lo, s19
	s_cbranch_execz .LBB54_92
; %bb.72:
	v_cmp_ne_u16_e32 vcc_lo, 0x80, v4
	s_and_b32 s23, vcc_lo, exec_lo
	s_and_not1_saveexec_b32 s19, s19
	s_cbranch_execnz .LBB54_93
.LBB54_73:
	s_or_b32 exec_lo, exec_lo, s19
	v_mov_b64_e32 v[0:1], 0
	s_and_saveexec_b32 s19, s23
	s_cbranch_execz .LBB54_75
.LBB54_74:
	v_and_b32_e32 v0, 0xffff, v4
	s_delay_alu instid0(VALU_DEP_1) | instskip(SKIP_1) | instid1(VALU_DEP_2)
	v_and_b32_e32 v1, 3, v0
	v_bfe_u32 v7, v0, 2, 5
	v_clz_i32_u32_e32 v5, v1
	s_delay_alu instid0(VALU_DEP_2) | instskip(NEXT) | instid1(VALU_DEP_2)
	v_cmp_eq_u32_e32 vcc_lo, 0, v7
	v_min_u32_e32 v5, 32, v5
	s_delay_alu instid0(VALU_DEP_1) | instskip(NEXT) | instid1(VALU_DEP_1)
	v_subrev_nc_u32_e32 v6, 29, v5
	v_dual_lshlrev_b32 v0, v6, v0 :: v_dual_sub_nc_u32 v5, 30, v5
	s_delay_alu instid0(VALU_DEP_1) | instskip(NEXT) | instid1(VALU_DEP_2)
	v_and_b32_e32 v0, 3, v0
	v_dual_cndmask_b32 v5, v7, v5 :: v_dual_lshlrev_b32 v4, 24, v4
	s_delay_alu instid0(VALU_DEP_2) | instskip(NEXT) | instid1(VALU_DEP_2)
	v_cndmask_b32_e32 v0, v1, v0, vcc_lo
	v_and_b32_e32 v1, 0x80000000, v4
	s_delay_alu instid0(VALU_DEP_3) | instskip(NEXT) | instid1(VALU_DEP_3)
	v_lshl_add_u32 v4, v5, 23, 0x37800000
	v_lshlrev_b32_e32 v0, 21, v0
	s_delay_alu instid0(VALU_DEP_1) | instskip(NEXT) | instid1(VALU_DEP_1)
	v_or3_b32 v0, v1, v4, v0
	v_trunc_f32_e32 v0, v0
	s_delay_alu instid0(VALU_DEP_1) | instskip(NEXT) | instid1(VALU_DEP_1)
	v_mul_f32_e64 v1, 0x2f800000, |v0|
	v_floor_f32_e32 v1, v1
	s_delay_alu instid0(VALU_DEP_1) | instskip(SKIP_2) | instid1(VALU_DEP_3)
	v_fma_f32 v4, 0xcf800000, v1, |v0|
	v_ashrrev_i32_e32 v0, 31, v0
	v_cvt_u32_f32_e32 v5, v1
	v_cvt_u32_f32_e32 v4, v4
	s_delay_alu instid0(VALU_DEP_2) | instskip(NEXT) | instid1(VALU_DEP_2)
	v_dual_mov_b32 v1, v0 :: v_dual_bitop2_b32 v5, v5, v0 bitop3:0x14
	v_xor_b32_e32 v4, v4, v0
	s_delay_alu instid0(VALU_DEP_1)
	v_sub_nc_u64_e32 v[0:1], v[4:5], v[0:1]
.LBB54_75:
	s_or_b32 exec_lo, exec_lo, s19
	s_mov_b32 s19, 0
	s_branch .LBB54_81
.LBB54_76:
	s_mov_b32 s23, -1
                                        ; implicit-def: $vgpr0_vgpr1
	s_branch .LBB54_87
.LBB54_77:
	s_and_not1_saveexec_b32 s19, s19
	s_cbranch_execz .LBB54_63
.LBB54_78:
	v_cmp_ne_u16_e32 vcc_lo, 0, v4
	s_and_not1_b32 s23, s23, exec_lo
	s_and_b32 s24, vcc_lo, exec_lo
	s_delay_alu instid0(SALU_CYCLE_1)
	s_or_b32 s23, s23, s24
	s_or_b32 exec_lo, exec_lo, s19
	v_mov_b64_e32 v[0:1], 0
	s_and_saveexec_b32 s19, s23
	s_cbranch_execnz .LBB54_64
	s_branch .LBB54_65
.LBB54_79:
	s_mov_b32 s19, -1
                                        ; implicit-def: $vgpr0_vgpr1
	s_branch .LBB54_84
.LBB54_80:
	s_mov_b32 s19, -1
                                        ; implicit-def: $vgpr0_vgpr1
.LBB54_81:
	s_delay_alu instid0(SALU_CYCLE_1)
	s_and_b32 vcc_lo, exec_lo, s19
	s_cbranch_vccz .LBB54_83
; %bb.82:
	s_wait_loadcnt 0x0
	global_load_u8 v0, v[2:3], off
	s_wait_loadcnt 0x0
	v_lshlrev_b32_e32 v0, 24, v0
	s_delay_alu instid0(VALU_DEP_1) | instskip(NEXT) | instid1(VALU_DEP_1)
	v_and_b32_e32 v1, 0x7f000000, v0
	v_clz_i32_u32_e32 v4, v1
	v_cmp_ne_u32_e32 vcc_lo, 0, v1
	v_add_nc_u32_e32 v6, 0x1000000, v1
	s_delay_alu instid0(VALU_DEP_3) | instskip(NEXT) | instid1(VALU_DEP_1)
	v_min_u32_e32 v4, 32, v4
	v_sub_nc_u32_e64 v4, v4, 4 clamp
	s_delay_alu instid0(VALU_DEP_1) | instskip(NEXT) | instid1(VALU_DEP_1)
	v_dual_lshlrev_b32 v5, v4, v1 :: v_dual_lshlrev_b32 v4, 23, v4
	v_lshrrev_b32_e32 v5, 4, v5
	s_delay_alu instid0(VALU_DEP_1) | instskip(NEXT) | instid1(VALU_DEP_1)
	v_dual_sub_nc_u32 v4, v5, v4 :: v_dual_ashrrev_i32 v5, 8, v6
	v_add_nc_u32_e32 v4, 0x3c000000, v4
	s_delay_alu instid0(VALU_DEP_1) | instskip(NEXT) | instid1(VALU_DEP_1)
	v_and_or_b32 v4, 0x7f800000, v5, v4
	v_cndmask_b32_e32 v1, 0, v4, vcc_lo
	s_delay_alu instid0(VALU_DEP_1) | instskip(NEXT) | instid1(VALU_DEP_1)
	v_and_or_b32 v0, 0x80000000, v0, v1
	v_trunc_f32_e32 v0, v0
	s_delay_alu instid0(VALU_DEP_1) | instskip(NEXT) | instid1(VALU_DEP_1)
	v_mul_f32_e64 v1, 0x2f800000, |v0|
	v_floor_f32_e32 v1, v1
	s_delay_alu instid0(VALU_DEP_1) | instskip(SKIP_2) | instid1(VALU_DEP_3)
	v_fma_f32 v4, 0xcf800000, v1, |v0|
	v_ashrrev_i32_e32 v0, 31, v0
	v_cvt_u32_f32_e32 v5, v1
	v_cvt_u32_f32_e32 v4, v4
	s_delay_alu instid0(VALU_DEP_2) | instskip(NEXT) | instid1(VALU_DEP_2)
	v_dual_mov_b32 v1, v0 :: v_dual_bitop2_b32 v5, v5, v0 bitop3:0x14
	v_xor_b32_e32 v4, v4, v0
	s_delay_alu instid0(VALU_DEP_1)
	v_sub_nc_u64_e32 v[0:1], v[4:5], v[0:1]
.LBB54_83:
	s_mov_b32 s19, 0
.LBB54_84:
	s_delay_alu instid0(SALU_CYCLE_1)
	s_and_not1_b32 vcc_lo, exec_lo, s19
	s_cbranch_vccnz .LBB54_86
; %bb.85:
	s_wait_loadcnt 0x0
	global_load_u8 v0, v[2:3], off
	s_wait_loadcnt 0x0
	v_lshlrev_b32_e32 v1, 25, v0
	v_lshlrev_b16 v0, 8, v0
	s_delay_alu instid0(VALU_DEP_1) | instskip(SKIP_1) | instid1(VALU_DEP_2)
	v_and_or_b32 v5, 0x7f00, v0, 0.5
	v_bfe_i32 v0, v0, 0, 16
	v_add_f32_e32 v5, -0.5, v5
	v_lshrrev_b32_e32 v4, 4, v1
	v_cmp_gt_u32_e32 vcc_lo, 0x8000000, v1
	s_delay_alu instid0(VALU_DEP_2) | instskip(NEXT) | instid1(VALU_DEP_1)
	v_or_b32_e32 v4, 0x70000000, v4
	v_mul_f32_e32 v4, 0x7800000, v4
	s_delay_alu instid0(VALU_DEP_1) | instskip(NEXT) | instid1(VALU_DEP_1)
	v_cndmask_b32_e32 v1, v4, v5, vcc_lo
	v_and_or_b32 v0, 0x80000000, v0, v1
	s_delay_alu instid0(VALU_DEP_1) | instskip(NEXT) | instid1(VALU_DEP_1)
	v_trunc_f32_e32 v0, v0
	v_mul_f32_e64 v1, 0x2f800000, |v0|
	s_delay_alu instid0(VALU_DEP_1) | instskip(NEXT) | instid1(VALU_DEP_1)
	v_floor_f32_e32 v1, v1
	v_fma_f32 v4, 0xcf800000, v1, |v0|
	v_ashrrev_i32_e32 v0, 31, v0
	v_cvt_u32_f32_e32 v5, v1
	s_delay_alu instid0(VALU_DEP_3) | instskip(NEXT) | instid1(VALU_DEP_2)
	v_cvt_u32_f32_e32 v4, v4
	v_dual_mov_b32 v1, v0 :: v_dual_bitop2_b32 v5, v5, v0 bitop3:0x14
	s_delay_alu instid0(VALU_DEP_2) | instskip(NEXT) | instid1(VALU_DEP_1)
	v_xor_b32_e32 v4, v4, v0
	v_sub_nc_u64_e32 v[0:1], v[4:5], v[0:1]
.LBB54_86:
	s_mov_b32 s23, 0
	s_mov_b32 s19, -1
.LBB54_87:
	s_and_not1_b32 vcc_lo, exec_lo, s23
	s_cbranch_vccnz .LBB54_100
; %bb.88:
	s_cmp_gt_i32 s18, 14
	s_cbranch_scc0 .LBB54_91
; %bb.89:
	s_cmp_eq_u32 s18, 15
	s_cbranch_scc0 .LBB54_94
; %bb.90:
	s_wait_loadcnt 0x0
	global_load_u16 v0, v[2:3], off
	s_mov_b32 s19, -1
	s_mov_b32 s20, 0
	s_wait_loadcnt 0x0
	v_lshlrev_b32_e32 v0, 16, v0
	s_delay_alu instid0(VALU_DEP_1) | instskip(NEXT) | instid1(VALU_DEP_1)
	v_trunc_f32_e32 v0, v0
	v_mul_f32_e64 v1, 0x2f800000, |v0|
	s_delay_alu instid0(VALU_DEP_1) | instskip(NEXT) | instid1(VALU_DEP_1)
	v_floor_f32_e32 v1, v1
	v_fma_f32 v4, 0xcf800000, v1, |v0|
	v_ashrrev_i32_e32 v0, 31, v0
	v_cvt_u32_f32_e32 v5, v1
	s_delay_alu instid0(VALU_DEP_3) | instskip(NEXT) | instid1(VALU_DEP_2)
	v_cvt_u32_f32_e32 v4, v4
	v_dual_mov_b32 v1, v0 :: v_dual_bitop2_b32 v5, v5, v0 bitop3:0x14
	s_delay_alu instid0(VALU_DEP_2) | instskip(NEXT) | instid1(VALU_DEP_1)
	v_xor_b32_e32 v4, v4, v0
	v_sub_nc_u64_e32 v[0:1], v[4:5], v[0:1]
	s_branch .LBB54_95
.LBB54_91:
	s_mov_b32 s23, -1
                                        ; implicit-def: $vgpr0_vgpr1
	s_branch .LBB54_96
.LBB54_92:
	s_and_not1_saveexec_b32 s19, s19
	s_cbranch_execz .LBB54_73
.LBB54_93:
	v_cmp_ne_u16_e32 vcc_lo, 0, v4
	s_and_not1_b32 s23, s23, exec_lo
	s_and_b32 s24, vcc_lo, exec_lo
	s_delay_alu instid0(SALU_CYCLE_1)
	s_or_b32 s23, s23, s24
	s_or_b32 exec_lo, exec_lo, s19
	v_mov_b64_e32 v[0:1], 0
	s_and_saveexec_b32 s19, s23
	s_cbranch_execnz .LBB54_74
	s_branch .LBB54_75
.LBB54_94:
	s_mov_b32 s20, -1
                                        ; implicit-def: $vgpr0_vgpr1
.LBB54_95:
	s_mov_b32 s23, 0
.LBB54_96:
	s_delay_alu instid0(SALU_CYCLE_1)
	s_and_b32 vcc_lo, exec_lo, s23
	s_cbranch_vccz .LBB54_100
; %bb.97:
	s_cmp_eq_u32 s18, 11
	s_cbranch_scc0 .LBB54_99
; %bb.98:
	s_wait_loadcnt 0x0
	global_load_u8 v0, v[2:3], off
	s_mov_b32 s20, 0
	s_mov_b32 s19, -1
	v_mov_b32_e32 v1, s20
	s_wait_loadcnt 0x0
	v_cmp_ne_u16_e32 vcc_lo, 0, v0
	v_cndmask_b32_e64 v0, 0, 1, vcc_lo
	s_branch .LBB54_100
.LBB54_99:
	s_mov_b32 s20, -1
                                        ; implicit-def: $vgpr0_vgpr1
.LBB54_100:
	s_branch .LBB54_10
.LBB54_101:
	s_and_b32 s0, 0xffff, s0
	s_delay_alu instid0(SALU_CYCLE_1)
	s_cmp_lt_i32 s0, 5
	s_cbranch_scc1 .LBB54_106
; %bb.102:
	s_cmp_lt_i32 s0, 8
	s_cbranch_scc1 .LBB54_107
; %bb.103:
	;; [unrolled: 3-line block ×3, first 2 shown]
	s_cmp_gt_i32 s0, 9
	s_cbranch_scc0 .LBB54_109
; %bb.105:
	s_wait_loadcnt 0x0
	global_load_b64 v[0:1], v[2:3], off
	s_mov_b32 s18, 0
	s_wait_loadcnt 0x0
	v_trunc_f64_e32 v[0:1], v[0:1]
	s_delay_alu instid0(VALU_DEP_1) | instskip(NEXT) | instid1(VALU_DEP_1)
	v_ldexp_f64 v[4:5], v[0:1], 0xffffffe0
	v_floor_f64_e32 v[4:5], v[4:5]
	s_delay_alu instid0(VALU_DEP_1) | instskip(SKIP_1) | instid1(VALU_DEP_2)
	v_fmamk_f64 v[6:7], v[4:5], 0xc1f00000, v[0:1]
	v_cvt_i32_f64_e32 v1, v[4:5]
	v_cvt_u32_f64_e32 v0, v[6:7]
	s_branch .LBB54_110
.LBB54_106:
                                        ; implicit-def: $vgpr0_vgpr1
	s_branch .LBB54_128
.LBB54_107:
	s_mov_b32 s18, -1
                                        ; implicit-def: $vgpr0_vgpr1
	s_branch .LBB54_116
.LBB54_108:
	s_mov_b32 s18, -1
                                        ; implicit-def: $vgpr0_vgpr1
	s_branch .LBB54_113
.LBB54_109:
	s_mov_b32 s18, -1
                                        ; implicit-def: $vgpr0_vgpr1
.LBB54_110:
	s_delay_alu instid0(SALU_CYCLE_1)
	s_and_not1_b32 vcc_lo, exec_lo, s18
	s_cbranch_vccnz .LBB54_112
; %bb.111:
	s_wait_loadcnt 0x0
	global_load_b32 v0, v[2:3], off
	s_wait_loadcnt 0x0
	v_trunc_f32_e32 v0, v0
	s_delay_alu instid0(VALU_DEP_1) | instskip(NEXT) | instid1(VALU_DEP_1)
	v_mul_f32_e64 v1, 0x2f800000, |v0|
	v_floor_f32_e32 v1, v1
	s_delay_alu instid0(VALU_DEP_1) | instskip(SKIP_2) | instid1(VALU_DEP_3)
	v_fma_f32 v4, 0xcf800000, v1, |v0|
	v_ashrrev_i32_e32 v0, 31, v0
	v_cvt_u32_f32_e32 v5, v1
	v_cvt_u32_f32_e32 v4, v4
	s_delay_alu instid0(VALU_DEP_2) | instskip(NEXT) | instid1(VALU_DEP_2)
	v_dual_mov_b32 v1, v0 :: v_dual_bitop2_b32 v5, v5, v0 bitop3:0x14
	v_xor_b32_e32 v4, v4, v0
	s_delay_alu instid0(VALU_DEP_1)
	v_sub_nc_u64_e32 v[0:1], v[4:5], v[0:1]
.LBB54_112:
	s_mov_b32 s18, 0
.LBB54_113:
	s_delay_alu instid0(SALU_CYCLE_1)
	s_and_not1_b32 vcc_lo, exec_lo, s18
	s_cbranch_vccnz .LBB54_115
; %bb.114:
	s_wait_loadcnt 0x0
	global_load_b32 v0, v[2:3], off
	s_wait_loadcnt 0x0
	v_cvt_f32_f16_e32 v0, v0
	s_delay_alu instid0(VALU_DEP_1) | instskip(NEXT) | instid1(VALU_DEP_1)
	v_cvt_i32_f32_e32 v0, v0
	v_ashrrev_i32_e32 v1, 31, v0
.LBB54_115:
	s_mov_b32 s18, 0
.LBB54_116:
	s_delay_alu instid0(SALU_CYCLE_1)
	s_and_not1_b32 vcc_lo, exec_lo, s18
	s_cbranch_vccnz .LBB54_127
; %bb.117:
	s_cmp_lt_i32 s0, 6
	s_cbranch_scc1 .LBB54_120
; %bb.118:
	s_cmp_gt_i32 s0, 6
	s_cbranch_scc0 .LBB54_121
; %bb.119:
	s_wait_loadcnt 0x0
	global_load_b64 v[0:1], v[2:3], off
	s_mov_b32 s18, 0
	s_wait_loadcnt 0x0
	v_trunc_f64_e32 v[0:1], v[0:1]
	s_delay_alu instid0(VALU_DEP_1) | instskip(NEXT) | instid1(VALU_DEP_1)
	v_ldexp_f64 v[4:5], v[0:1], 0xffffffe0
	v_floor_f64_e32 v[4:5], v[4:5]
	s_delay_alu instid0(VALU_DEP_1) | instskip(SKIP_1) | instid1(VALU_DEP_2)
	v_fmamk_f64 v[6:7], v[4:5], 0xc1f00000, v[0:1]
	v_cvt_i32_f64_e32 v1, v[4:5]
	v_cvt_u32_f64_e32 v0, v[6:7]
	s_branch .LBB54_122
.LBB54_120:
	s_mov_b32 s18, -1
                                        ; implicit-def: $vgpr0_vgpr1
	s_branch .LBB54_125
.LBB54_121:
	s_mov_b32 s18, -1
                                        ; implicit-def: $vgpr0_vgpr1
.LBB54_122:
	s_delay_alu instid0(SALU_CYCLE_1)
	s_and_not1_b32 vcc_lo, exec_lo, s18
	s_cbranch_vccnz .LBB54_124
; %bb.123:
	s_wait_loadcnt 0x0
	global_load_b32 v0, v[2:3], off
	s_wait_loadcnt 0x0
	v_trunc_f32_e32 v0, v0
	s_delay_alu instid0(VALU_DEP_1) | instskip(NEXT) | instid1(VALU_DEP_1)
	v_mul_f32_e64 v1, 0x2f800000, |v0|
	v_floor_f32_e32 v1, v1
	s_delay_alu instid0(VALU_DEP_1) | instskip(SKIP_2) | instid1(VALU_DEP_3)
	v_fma_f32 v4, 0xcf800000, v1, |v0|
	v_ashrrev_i32_e32 v0, 31, v0
	v_cvt_u32_f32_e32 v5, v1
	v_cvt_u32_f32_e32 v4, v4
	s_delay_alu instid0(VALU_DEP_2) | instskip(NEXT) | instid1(VALU_DEP_2)
	v_dual_mov_b32 v1, v0 :: v_dual_bitop2_b32 v5, v5, v0 bitop3:0x14
	v_xor_b32_e32 v4, v4, v0
	s_delay_alu instid0(VALU_DEP_1)
	v_sub_nc_u64_e32 v[0:1], v[4:5], v[0:1]
.LBB54_124:
	s_mov_b32 s18, 0
.LBB54_125:
	s_delay_alu instid0(SALU_CYCLE_1)
	s_and_not1_b32 vcc_lo, exec_lo, s18
	s_cbranch_vccnz .LBB54_127
; %bb.126:
	s_wait_loadcnt 0x0
	global_load_u16 v0, v[2:3], off
	s_wait_loadcnt 0x0
	v_cvt_f32_f16_e32 v0, v0
	s_delay_alu instid0(VALU_DEP_1) | instskip(NEXT) | instid1(VALU_DEP_1)
	v_cvt_i32_f32_e32 v0, v0
	v_ashrrev_i32_e32 v1, 31, v0
.LBB54_127:
	s_cbranch_execnz .LBB54_147
.LBB54_128:
	s_cmp_lt_i32 s0, 2
	s_cbranch_scc1 .LBB54_132
; %bb.129:
	s_cmp_lt_i32 s0, 3
	s_cbranch_scc1 .LBB54_133
; %bb.130:
	s_cmp_gt_i32 s0, 3
	s_cbranch_scc0 .LBB54_134
; %bb.131:
	s_wait_loadcnt 0x0
	global_load_b64 v[0:1], v[2:3], off
	s_mov_b32 s18, 0
	s_branch .LBB54_135
.LBB54_132:
	s_mov_b32 s18, -1
                                        ; implicit-def: $vgpr0_vgpr1
	s_branch .LBB54_141
.LBB54_133:
	s_mov_b32 s18, -1
                                        ; implicit-def: $vgpr0_vgpr1
	s_branch .LBB54_138
.LBB54_134:
	s_mov_b32 s18, -1
                                        ; implicit-def: $vgpr0_vgpr1
.LBB54_135:
	s_delay_alu instid0(SALU_CYCLE_1)
	s_and_not1_b32 vcc_lo, exec_lo, s18
	s_cbranch_vccnz .LBB54_137
; %bb.136:
	s_wait_loadcnt 0x0
	global_load_b32 v0, v[2:3], off
	s_wait_loadcnt 0x0
	v_ashrrev_i32_e32 v1, 31, v0
.LBB54_137:
	s_mov_b32 s18, 0
.LBB54_138:
	s_delay_alu instid0(SALU_CYCLE_1)
	s_and_not1_b32 vcc_lo, exec_lo, s18
	s_cbranch_vccnz .LBB54_140
; %bb.139:
	s_wait_loadcnt 0x0
	global_load_u16 v0, v[2:3], off
	s_wait_loadcnt 0x0
	v_bfe_i32 v0, v0, 0, 16
	s_delay_alu instid0(VALU_DEP_1)
	v_ashrrev_i32_e32 v1, 31, v0
.LBB54_140:
	s_mov_b32 s18, 0
.LBB54_141:
	s_delay_alu instid0(SALU_CYCLE_1)
	s_and_not1_b32 vcc_lo, exec_lo, s18
	s_cbranch_vccnz .LBB54_147
; %bb.142:
	s_cmp_gt_i32 s0, 0
	s_mov_b32 s0, 0
	s_cbranch_scc0 .LBB54_144
; %bb.143:
	s_wait_loadcnt 0x0
	global_load_i8 v0, v[2:3], off
	s_wait_loadcnt 0x0
	v_bfe_i32 v0, v0, 0, 16
	s_delay_alu instid0(VALU_DEP_1)
	v_ashrrev_i32_e32 v1, 31, v0
	s_branch .LBB54_145
.LBB54_144:
	s_mov_b32 s0, -1
                                        ; implicit-def: $vgpr0_vgpr1
.LBB54_145:
	s_delay_alu instid0(SALU_CYCLE_1)
	s_and_not1_b32 vcc_lo, exec_lo, s0
	s_cbranch_vccnz .LBB54_147
; %bb.146:
	s_wait_loadcnt 0x0
	global_load_u8 v0, v[2:3], off
	s_mov_b32 s0, 0
	s_delay_alu instid0(SALU_CYCLE_1)
	v_mov_b32_e32 v1, s0
	s_wait_loadcnt 0x0
	v_and_b32_e32 v0, 0xffff, v0
.LBB54_147:
	s_branch .LBB54_11
.LBB54_148:
	s_mov_b32 s0, 0
	s_mov_b32 s19, 0
	s_branch .LBB54_372
.LBB54_149:
	s_mov_b32 s19, -1
.LBB54_150:
	s_mov_b32 s23, 0
                                        ; implicit-def: $vgpr4_vgpr5
.LBB54_151:
	s_and_b32 vcc_lo, exec_lo, s24
	s_cbranch_vccz .LBB54_266
; %bb.152:
	s_cmp_eq_u32 s18, 44
	s_cbranch_scc0 .LBB54_265
; %bb.153:
	global_load_u8 v8, v[2:3], off
	s_mov_b32 s19, 0
	s_mov_b32 s23, -1
	s_wait_loadcnt 0x0
	v_cmp_ne_u32_e32 vcc_lo, 0, v8
	v_lshlrev_b32_e32 v4, 23, v8
	s_delay_alu instid0(VALU_DEP_1) | instskip(NEXT) | instid1(VALU_DEP_1)
	v_trunc_f32_e32 v4, v4
	v_mul_f32_e64 v5, 0x2f800000, |v4|
	s_delay_alu instid0(VALU_DEP_1) | instskip(NEXT) | instid1(VALU_DEP_1)
	v_floor_f32_e32 v5, v5
	v_fma_f32 v6, 0xcf800000, v5, |v4|
	v_ashrrev_i32_e32 v4, 31, v4
	v_cvt_u32_f32_e32 v7, v5
	s_delay_alu instid0(VALU_DEP_3) | instskip(NEXT) | instid1(VALU_DEP_2)
	v_cvt_u32_f32_e32 v6, v6
	v_dual_mov_b32 v5, v4 :: v_dual_bitop2_b32 v7, v7, v4 bitop3:0x14
	s_delay_alu instid0(VALU_DEP_2) | instskip(NEXT) | instid1(VALU_DEP_1)
	v_xor_b32_e32 v6, v6, v4
	v_sub_nc_u64_e32 v[4:5], v[6:7], v[4:5]
	s_delay_alu instid0(VALU_DEP_1)
	v_dual_cndmask_b32 v5, 0, v5 :: v_dual_cndmask_b32 v4, 0, v4
	s_branch .LBB54_266
.LBB54_154:
	s_mov_b32 s26, -1
	s_mov_b32 s0, 0
	s_mov_b32 s25, 0
.LBB54_155:
	s_and_b32 vcc_lo, exec_lo, s26
	s_cbranch_vccz .LBB54_160
; %bb.156:
	s_cmp_eq_u32 s24, 44
	s_mov_b32 s0, -1
	s_cbranch_scc0 .LBB54_160
; %bb.157:
	v_cndmask_b32_e64 v4, 0, 1.0, s18
	s_mov_b32 s25, exec_lo
	s_wait_xcnt 0x0
	s_delay_alu instid0(VALU_DEP_1) | instskip(NEXT) | instid1(VALU_DEP_1)
	v_dual_mov_b32 v3, 0xff :: v_dual_lshrrev_b32 v2, 23, v4
	v_cmpx_ne_u32_e32 0xff, v2
; %bb.158:
	v_and_b32_e32 v3, 0x400000, v4
	v_and_or_b32 v4, 0x3fffff, v4, v2
	s_delay_alu instid0(VALU_DEP_2) | instskip(NEXT) | instid1(VALU_DEP_2)
	v_cmp_ne_u32_e32 vcc_lo, 0, v3
	v_cmp_ne_u32_e64 s0, 0, v4
	s_and_b32 s0, vcc_lo, s0
	s_delay_alu instid0(SALU_CYCLE_1) | instskip(NEXT) | instid1(VALU_DEP_1)
	v_cndmask_b32_e64 v3, 0, 1, s0
	v_add_nc_u32_e32 v3, v2, v3
; %bb.159:
	s_or_b32 exec_lo, exec_lo, s25
	s_mov_b32 s25, -1
	s_mov_b32 s0, 0
	global_store_b8 v[0:1], v3, off
.LBB54_160:
	s_mov_b32 s26, 0
.LBB54_161:
	s_delay_alu instid0(SALU_CYCLE_1)
	s_and_b32 vcc_lo, exec_lo, s26
	s_cbranch_vccz .LBB54_164
; %bb.162:
	s_cmp_eq_u32 s24, 29
	s_mov_b32 s0, -1
	s_cbranch_scc0 .LBB54_164
; %bb.163:
	s_mov_b32 s0, 0
	s_wait_xcnt 0x0
	v_cndmask_b32_e64 v2, 0, 1, s18
	v_mov_b32_e32 v3, s0
	s_mov_b32 s25, -1
	s_mov_b32 s26, 0
	global_store_b64 v[0:1], v[2:3], off
	s_branch .LBB54_165
.LBB54_164:
	s_mov_b32 s26, 0
.LBB54_165:
	s_delay_alu instid0(SALU_CYCLE_1)
	s_and_b32 vcc_lo, exec_lo, s26
	s_cbranch_vccz .LBB54_181
; %bb.166:
	s_cmp_lt_i32 s24, 27
	s_mov_b32 s25, -1
	s_cbranch_scc1 .LBB54_172
; %bb.167:
	s_cmp_gt_i32 s24, 27
	s_cbranch_scc0 .LBB54_169
; %bb.168:
	s_wait_xcnt 0x0
	v_cndmask_b32_e64 v2, 0, 1, s18
	s_mov_b32 s25, 0
	global_store_b32 v[0:1], v2, off
.LBB54_169:
	s_and_not1_b32 vcc_lo, exec_lo, s25
	s_cbranch_vccnz .LBB54_171
; %bb.170:
	s_wait_xcnt 0x0
	v_cndmask_b32_e64 v2, 0, 1, s18
	global_store_b16 v[0:1], v2, off
.LBB54_171:
	s_mov_b32 s25, 0
.LBB54_172:
	s_delay_alu instid0(SALU_CYCLE_1)
	s_and_not1_b32 vcc_lo, exec_lo, s25
	s_cbranch_vccnz .LBB54_180
; %bb.173:
	s_wait_xcnt 0x0
	v_cndmask_b32_e64 v3, 0, 1.0, s18
	v_mov_b32_e32 v4, 0x80
	s_mov_b32 s25, exec_lo
	s_delay_alu instid0(VALU_DEP_2)
	v_cmpx_gt_u32_e32 0x43800000, v3
	s_cbranch_execz .LBB54_179
; %bb.174:
	s_mov_b32 s26, 0
	s_mov_b32 s27, exec_lo
                                        ; implicit-def: $vgpr2
	v_cmpx_lt_u32_e32 0x3bffffff, v3
	s_xor_b32 s27, exec_lo, s27
	s_cbranch_execz .LBB54_403
; %bb.175:
	v_bfe_u32 v2, v3, 20, 1
	s_mov_b32 s26, exec_lo
	s_delay_alu instid0(VALU_DEP_1) | instskip(NEXT) | instid1(VALU_DEP_1)
	v_add3_u32 v2, v3, v2, 0x487ffff
                                        ; implicit-def: $vgpr3
	v_lshrrev_b32_e32 v2, 20, v2
	s_and_not1_saveexec_b32 s27, s27
	s_cbranch_execnz .LBB54_404
.LBB54_176:
	s_or_b32 exec_lo, exec_lo, s27
	v_mov_b32_e32 v4, 0
	s_and_saveexec_b32 s27, s26
.LBB54_177:
	v_mov_b32_e32 v4, v2
.LBB54_178:
	s_or_b32 exec_lo, exec_lo, s27
.LBB54_179:
	s_delay_alu instid0(SALU_CYCLE_1)
	s_or_b32 exec_lo, exec_lo, s25
	global_store_b8 v[0:1], v4, off
.LBB54_180:
	s_mov_b32 s25, -1
.LBB54_181:
	s_mov_b32 s26, 0
.LBB54_182:
	s_delay_alu instid0(SALU_CYCLE_1)
	s_and_b32 vcc_lo, exec_lo, s26
	s_cbranch_vccz .LBB54_223
; %bb.183:
	s_cmp_gt_i32 s24, 22
	s_mov_b32 s26, -1
	s_cbranch_scc0 .LBB54_215
; %bb.184:
	s_cmp_lt_i32 s24, 24
	s_mov_b32 s25, -1
	s_cbranch_scc1 .LBB54_204
; %bb.185:
	s_cmp_gt_i32 s24, 24
	s_cbranch_scc0 .LBB54_193
; %bb.186:
	s_wait_xcnt 0x0
	v_cndmask_b32_e64 v3, 0, 1.0, s18
	v_mov_b32_e32 v4, 0x80
	s_mov_b32 s25, exec_lo
	s_delay_alu instid0(VALU_DEP_2)
	v_cmpx_gt_u32_e32 0x47800000, v3
	s_cbranch_execz .LBB54_192
; %bb.187:
	s_mov_b32 s26, 0
	s_mov_b32 s27, exec_lo
                                        ; implicit-def: $vgpr2
	v_cmpx_lt_u32_e32 0x37ffffff, v3
	s_xor_b32 s27, exec_lo, s27
	s_cbranch_execz .LBB54_518
; %bb.188:
	v_bfe_u32 v2, v3, 21, 1
	s_mov_b32 s26, exec_lo
	s_delay_alu instid0(VALU_DEP_1) | instskip(NEXT) | instid1(VALU_DEP_1)
	v_add3_u32 v2, v3, v2, 0x88fffff
                                        ; implicit-def: $vgpr3
	v_lshrrev_b32_e32 v2, 21, v2
	s_and_not1_saveexec_b32 s27, s27
	s_cbranch_execnz .LBB54_519
.LBB54_189:
	s_or_b32 exec_lo, exec_lo, s27
	v_mov_b32_e32 v4, 0
	s_and_saveexec_b32 s27, s26
.LBB54_190:
	v_mov_b32_e32 v4, v2
.LBB54_191:
	s_or_b32 exec_lo, exec_lo, s27
.LBB54_192:
	s_delay_alu instid0(SALU_CYCLE_1)
	s_or_b32 exec_lo, exec_lo, s25
	s_mov_b32 s25, 0
	global_store_b8 v[0:1], v4, off
.LBB54_193:
	s_and_b32 vcc_lo, exec_lo, s25
	s_cbranch_vccz .LBB54_203
; %bb.194:
	s_wait_xcnt 0x0
	v_cndmask_b32_e64 v3, 0, 1.0, s18
	s_mov_b32 s25, exec_lo
                                        ; implicit-def: $vgpr2
	s_delay_alu instid0(VALU_DEP_1)
	v_cmpx_gt_u32_e32 0x43f00000, v3
	s_xor_b32 s25, exec_lo, s25
	s_cbranch_execz .LBB54_200
; %bb.195:
	s_mov_b32 s26, exec_lo
                                        ; implicit-def: $vgpr2
	v_cmpx_lt_u32_e32 0x3c7fffff, v3
	s_xor_b32 s26, exec_lo, s26
; %bb.196:
	v_bfe_u32 v2, v3, 20, 1
	s_delay_alu instid0(VALU_DEP_1) | instskip(NEXT) | instid1(VALU_DEP_1)
	v_add3_u32 v2, v3, v2, 0x407ffff
	v_and_b32_e32 v3, 0xff00000, v2
	v_lshrrev_b32_e32 v2, 20, v2
	s_delay_alu instid0(VALU_DEP_2) | instskip(NEXT) | instid1(VALU_DEP_2)
	v_cmp_ne_u32_e32 vcc_lo, 0x7f00000, v3
                                        ; implicit-def: $vgpr3
	v_cndmask_b32_e32 v2, 0x7e, v2, vcc_lo
; %bb.197:
	s_and_not1_saveexec_b32 s26, s26
; %bb.198:
	v_add_f32_e32 v2, 0x46800000, v3
; %bb.199:
	s_or_b32 exec_lo, exec_lo, s26
                                        ; implicit-def: $vgpr3
.LBB54_200:
	s_and_not1_saveexec_b32 s25, s25
; %bb.201:
	v_mov_b32_e32 v2, 0x7f
	v_cmp_lt_u32_e32 vcc_lo, 0x7f800000, v3
	s_delay_alu instid0(VALU_DEP_2)
	v_cndmask_b32_e32 v2, 0x7e, v2, vcc_lo
; %bb.202:
	s_or_b32 exec_lo, exec_lo, s25
	global_store_b8 v[0:1], v2, off
.LBB54_203:
	s_mov_b32 s25, 0
.LBB54_204:
	s_delay_alu instid0(SALU_CYCLE_1)
	s_and_not1_b32 vcc_lo, exec_lo, s25
	s_cbranch_vccnz .LBB54_214
; %bb.205:
	s_wait_xcnt 0x0
	v_cndmask_b32_e64 v3, 0, 1.0, s18
	s_mov_b32 s25, exec_lo
                                        ; implicit-def: $vgpr2
	s_delay_alu instid0(VALU_DEP_1)
	v_cmpx_gt_u32_e32 0x47800000, v3
	s_xor_b32 s25, exec_lo, s25
	s_cbranch_execz .LBB54_211
; %bb.206:
	s_mov_b32 s26, exec_lo
                                        ; implicit-def: $vgpr2
	v_cmpx_lt_u32_e32 0x387fffff, v3
	s_xor_b32 s26, exec_lo, s26
; %bb.207:
	v_bfe_u32 v2, v3, 21, 1
	s_delay_alu instid0(VALU_DEP_1) | instskip(NEXT) | instid1(VALU_DEP_1)
	v_add3_u32 v2, v3, v2, 0x80fffff
                                        ; implicit-def: $vgpr3
	v_lshrrev_b32_e32 v2, 21, v2
; %bb.208:
	s_and_not1_saveexec_b32 s26, s26
; %bb.209:
	v_add_f32_e32 v2, 0x43000000, v3
; %bb.210:
	s_or_b32 exec_lo, exec_lo, s26
                                        ; implicit-def: $vgpr3
.LBB54_211:
	s_and_not1_saveexec_b32 s25, s25
; %bb.212:
	v_mov_b32_e32 v2, 0x7f
	v_cmp_lt_u32_e32 vcc_lo, 0x7f800000, v3
	s_delay_alu instid0(VALU_DEP_2)
	v_cndmask_b32_e32 v2, 0x7c, v2, vcc_lo
; %bb.213:
	s_or_b32 exec_lo, exec_lo, s25
	global_store_b8 v[0:1], v2, off
.LBB54_214:
	s_mov_b32 s26, 0
	s_mov_b32 s25, -1
.LBB54_215:
	s_and_not1_b32 vcc_lo, exec_lo, s26
	s_cbranch_vccnz .LBB54_223
; %bb.216:
	s_cmp_gt_i32 s24, 14
	s_mov_b32 s26, -1
	s_cbranch_scc0 .LBB54_220
; %bb.217:
	s_cmp_eq_u32 s24, 15
	s_mov_b32 s0, -1
	s_cbranch_scc0 .LBB54_219
; %bb.218:
	s_wait_xcnt 0x0
	v_cndmask_b32_e64 v2, 0, 1.0, s18
	s_mov_b32 s25, -1
	s_mov_b32 s0, 0
	s_delay_alu instid0(VALU_DEP_1) | instskip(NEXT) | instid1(VALU_DEP_1)
	v_bfe_u32 v3, v2, 16, 1
	v_add3_u32 v2, v2, v3, 0x7fff
	global_store_d16_hi_b16 v[0:1], v2, off
.LBB54_219:
	s_mov_b32 s26, 0
.LBB54_220:
	s_delay_alu instid0(SALU_CYCLE_1)
	s_and_b32 vcc_lo, exec_lo, s26
	s_cbranch_vccz .LBB54_223
; %bb.221:
	s_cmp_eq_u32 s24, 11
	s_mov_b32 s0, -1
	s_cbranch_scc0 .LBB54_223
; %bb.222:
	s_wait_xcnt 0x0
	v_cndmask_b32_e64 v2, 0, 1, s18
	s_mov_b32 s25, -1
	s_mov_b32 s0, 0
	global_store_b8 v[0:1], v2, off
.LBB54_223:
	s_mov_b32 s24, 0
.LBB54_224:
	s_delay_alu instid0(SALU_CYCLE_1)
	s_and_b32 vcc_lo, exec_lo, s24
	s_cbranch_vccz .LBB54_263
; %bb.225:
	s_and_b32 s23, 0xffff, s23
	s_mov_b32 s24, -1
	s_cmp_lt_i32 s23, 5
	s_cbranch_scc1 .LBB54_246
; %bb.226:
	s_cmp_lt_i32 s23, 8
	s_cbranch_scc1 .LBB54_236
; %bb.227:
	;; [unrolled: 3-line block ×3, first 2 shown]
	s_cmp_gt_i32 s23, 9
	s_cbranch_scc0 .LBB54_230
; %bb.229:
	s_wait_xcnt 0x0
	v_cndmask_b32_e64 v2, 0, 1, s18
	v_mov_b32_e32 v4, 0
	s_mov_b32 s24, 0
	s_delay_alu instid0(VALU_DEP_2) | instskip(NEXT) | instid1(VALU_DEP_2)
	v_cvt_f64_u32_e32 v[2:3], v2
	v_mov_b32_e32 v5, v4
	global_store_b128 v[0:1], v[2:5], off
.LBB54_230:
	s_and_not1_b32 vcc_lo, exec_lo, s24
	s_cbranch_vccnz .LBB54_232
; %bb.231:
	s_wait_xcnt 0x0
	v_cndmask_b32_e64 v2, 0, 1.0, s18
	v_mov_b32_e32 v3, 0
	global_store_b64 v[0:1], v[2:3], off
.LBB54_232:
	s_mov_b32 s24, 0
.LBB54_233:
	s_delay_alu instid0(SALU_CYCLE_1)
	s_and_not1_b32 vcc_lo, exec_lo, s24
	s_cbranch_vccnz .LBB54_235
; %bb.234:
	s_wait_xcnt 0x0
	v_cndmask_b32_e64 v2, 0, 1.0, s18
	s_delay_alu instid0(VALU_DEP_1) | instskip(NEXT) | instid1(VALU_DEP_1)
	v_cvt_f16_f32_e32 v2, v2
	v_and_b32_e32 v2, 0xffff, v2
	global_store_b32 v[0:1], v2, off
.LBB54_235:
	s_mov_b32 s24, 0
.LBB54_236:
	s_delay_alu instid0(SALU_CYCLE_1)
	s_and_not1_b32 vcc_lo, exec_lo, s24
	s_cbranch_vccnz .LBB54_245
; %bb.237:
	s_cmp_lt_i32 s23, 6
	s_mov_b32 s24, -1
	s_cbranch_scc1 .LBB54_243
; %bb.238:
	s_cmp_gt_i32 s23, 6
	s_cbranch_scc0 .LBB54_240
; %bb.239:
	s_wait_xcnt 0x0
	v_cndmask_b32_e64 v2, 0, 1, s18
	s_mov_b32 s24, 0
	s_delay_alu instid0(VALU_DEP_1)
	v_cvt_f64_u32_e32 v[2:3], v2
	global_store_b64 v[0:1], v[2:3], off
.LBB54_240:
	s_and_not1_b32 vcc_lo, exec_lo, s24
	s_cbranch_vccnz .LBB54_242
; %bb.241:
	s_wait_xcnt 0x0
	v_cndmask_b32_e64 v2, 0, 1.0, s18
	global_store_b32 v[0:1], v2, off
.LBB54_242:
	s_mov_b32 s24, 0
.LBB54_243:
	s_delay_alu instid0(SALU_CYCLE_1)
	s_and_not1_b32 vcc_lo, exec_lo, s24
	s_cbranch_vccnz .LBB54_245
; %bb.244:
	s_wait_xcnt 0x0
	v_cndmask_b32_e64 v2, 0, 1.0, s18
	s_delay_alu instid0(VALU_DEP_1)
	v_cvt_f16_f32_e32 v2, v2
	global_store_b16 v[0:1], v2, off
.LBB54_245:
	s_mov_b32 s24, 0
.LBB54_246:
	s_delay_alu instid0(SALU_CYCLE_1)
	s_and_not1_b32 vcc_lo, exec_lo, s24
	s_cbranch_vccnz .LBB54_262
; %bb.247:
	s_cmp_lt_i32 s23, 2
	s_mov_b32 s24, -1
	s_cbranch_scc1 .LBB54_257
; %bb.248:
	s_cmp_lt_i32 s23, 3
	s_cbranch_scc1 .LBB54_254
; %bb.249:
	s_cmp_gt_i32 s23, 3
	s_cbranch_scc0 .LBB54_251
; %bb.250:
	s_mov_b32 s24, 0
	s_wait_xcnt 0x0
	v_cndmask_b32_e64 v2, 0, 1, s18
	v_mov_b32_e32 v3, s24
	global_store_b64 v[0:1], v[2:3], off
.LBB54_251:
	s_and_not1_b32 vcc_lo, exec_lo, s24
	s_cbranch_vccnz .LBB54_253
; %bb.252:
	s_wait_xcnt 0x0
	v_cndmask_b32_e64 v2, 0, 1, s18
	global_store_b32 v[0:1], v2, off
.LBB54_253:
	s_mov_b32 s24, 0
.LBB54_254:
	s_delay_alu instid0(SALU_CYCLE_1)
	s_and_not1_b32 vcc_lo, exec_lo, s24
	s_cbranch_vccnz .LBB54_256
; %bb.255:
	s_wait_xcnt 0x0
	v_cndmask_b32_e64 v2, 0, 1, s18
	global_store_b16 v[0:1], v2, off
.LBB54_256:
	s_mov_b32 s24, 0
.LBB54_257:
	s_delay_alu instid0(SALU_CYCLE_1)
	s_and_not1_b32 vcc_lo, exec_lo, s24
	s_cbranch_vccnz .LBB54_262
; %bb.258:
	s_wait_xcnt 0x0
	v_cndmask_b32_e64 v2, 0, 1, s18
	s_cmp_gt_i32 s23, 0
	s_mov_b32 s18, -1
	s_cbranch_scc0 .LBB54_260
; %bb.259:
	s_mov_b32 s18, 0
	global_store_b8 v[0:1], v2, off
.LBB54_260:
	s_and_not1_b32 vcc_lo, exec_lo, s18
	s_cbranch_vccnz .LBB54_262
; %bb.261:
	global_store_b8 v[0:1], v2, off
.LBB54_262:
	s_mov_b32 s25, -1
.LBB54_263:
	s_delay_alu instid0(SALU_CYCLE_1)
	s_and_not1_b32 vcc_lo, exec_lo, s25
	s_cbranch_vccnz .LBB54_372
; %bb.264:
	v_add_nc_u32_e32 v18, 0x80, v18
	s_mov_b32 s23, -1
	s_branch .LBB54_373
.LBB54_265:
	s_mov_b32 s19, -1
                                        ; implicit-def: $vgpr4_vgpr5
.LBB54_266:
	s_mov_b32 s24, 0
.LBB54_267:
	s_delay_alu instid0(SALU_CYCLE_1)
	s_and_b32 vcc_lo, exec_lo, s24
	s_cbranch_vccz .LBB54_271
; %bb.268:
	s_cmp_eq_u32 s18, 29
	s_cbranch_scc0 .LBB54_270
; %bb.269:
	global_load_b64 v[4:5], v[2:3], off
	s_mov_b32 s23, -1
	s_mov_b32 s19, 0
	s_branch .LBB54_271
.LBB54_270:
	s_mov_b32 s19, -1
                                        ; implicit-def: $vgpr4_vgpr5
.LBB54_271:
	s_mov_b32 s24, 0
.LBB54_272:
	s_delay_alu instid0(SALU_CYCLE_1)
	s_and_b32 vcc_lo, exec_lo, s24
	s_cbranch_vccz .LBB54_288
; %bb.273:
	s_cmp_lt_i32 s18, 27
	s_cbranch_scc1 .LBB54_276
; %bb.274:
	s_cmp_gt_i32 s18, 27
	s_cbranch_scc0 .LBB54_277
; %bb.275:
	s_wait_loadcnt 0x0
	global_load_b32 v4, v[2:3], off
	v_mov_b32_e32 v5, 0
	s_mov_b32 s23, 0
	s_branch .LBB54_278
.LBB54_276:
	s_mov_b32 s23, -1
                                        ; implicit-def: $vgpr4_vgpr5
	s_branch .LBB54_281
.LBB54_277:
	s_mov_b32 s23, -1
                                        ; implicit-def: $vgpr4_vgpr5
.LBB54_278:
	s_delay_alu instid0(SALU_CYCLE_1)
	s_and_not1_b32 vcc_lo, exec_lo, s23
	s_cbranch_vccnz .LBB54_280
; %bb.279:
	s_wait_loadcnt 0x0
	global_load_u16 v4, v[2:3], off
	s_mov_b32 s23, 0
	s_delay_alu instid0(SALU_CYCLE_1)
	v_mov_b32_e32 v5, s23
	s_wait_loadcnt 0x0
	v_and_b32_e32 v4, 0xffff, v4
.LBB54_280:
	s_mov_b32 s23, 0
.LBB54_281:
	s_delay_alu instid0(SALU_CYCLE_1)
	s_and_not1_b32 vcc_lo, exec_lo, s23
	s_cbranch_vccnz .LBB54_287
; %bb.282:
	global_load_u8 v6, v[2:3], off
	s_mov_b32 s24, 0
	s_mov_b32 s23, exec_lo
	s_wait_loadcnt 0x0
	v_cmpx_lt_i16_e32 0x7f, v6
	s_xor_b32 s23, exec_lo, s23
	s_cbranch_execz .LBB54_299
; %bb.283:
	v_cmp_ne_u16_e32 vcc_lo, 0x80, v6
	s_and_b32 s24, vcc_lo, exec_lo
	s_and_not1_saveexec_b32 s23, s23
	s_cbranch_execnz .LBB54_300
.LBB54_284:
	s_or_b32 exec_lo, exec_lo, s23
	v_mov_b64_e32 v[4:5], 0
	s_and_saveexec_b32 s23, s24
	s_cbranch_execz .LBB54_286
.LBB54_285:
	v_and_b32_e32 v4, 0xffff, v6
	s_delay_alu instid0(VALU_DEP_1) | instskip(SKIP_1) | instid1(VALU_DEP_2)
	v_and_b32_e32 v5, 7, v4
	v_bfe_u32 v9, v4, 3, 4
	v_clz_i32_u32_e32 v7, v5
	s_delay_alu instid0(VALU_DEP_2) | instskip(NEXT) | instid1(VALU_DEP_2)
	v_cmp_eq_u32_e32 vcc_lo, 0, v9
	v_min_u32_e32 v7, 32, v7
	s_delay_alu instid0(VALU_DEP_1) | instskip(NEXT) | instid1(VALU_DEP_1)
	v_subrev_nc_u32_e32 v8, 28, v7
	v_dual_lshlrev_b32 v4, v8, v4 :: v_dual_sub_nc_u32 v7, 29, v7
	s_delay_alu instid0(VALU_DEP_1) | instskip(NEXT) | instid1(VALU_DEP_2)
	v_dual_lshlrev_b32 v6, 24, v6 :: v_dual_bitop2_b32 v4, 7, v4 bitop3:0x40
	v_cndmask_b32_e32 v7, v9, v7, vcc_lo
	s_delay_alu instid0(VALU_DEP_2) | instskip(NEXT) | instid1(VALU_DEP_3)
	v_cndmask_b32_e32 v4, v5, v4, vcc_lo
	v_and_b32_e32 v5, 0x80000000, v6
	s_delay_alu instid0(VALU_DEP_3) | instskip(NEXT) | instid1(VALU_DEP_3)
	v_lshl_add_u32 v6, v7, 23, 0x3b800000
	v_lshlrev_b32_e32 v4, 20, v4
	s_delay_alu instid0(VALU_DEP_1) | instskip(NEXT) | instid1(VALU_DEP_1)
	v_or3_b32 v4, v5, v6, v4
	v_trunc_f32_e32 v4, v4
	s_delay_alu instid0(VALU_DEP_1) | instskip(NEXT) | instid1(VALU_DEP_1)
	v_mul_f32_e64 v5, 0x2f800000, |v4|
	v_floor_f32_e32 v5, v5
	s_delay_alu instid0(VALU_DEP_1) | instskip(SKIP_2) | instid1(VALU_DEP_3)
	v_fma_f32 v6, 0xcf800000, v5, |v4|
	v_ashrrev_i32_e32 v4, 31, v4
	v_cvt_u32_f32_e32 v7, v5
	v_cvt_u32_f32_e32 v6, v6
	s_delay_alu instid0(VALU_DEP_2) | instskip(NEXT) | instid1(VALU_DEP_2)
	v_dual_mov_b32 v5, v4 :: v_dual_bitop2_b32 v7, v7, v4 bitop3:0x14
	v_xor_b32_e32 v6, v6, v4
	s_delay_alu instid0(VALU_DEP_1)
	v_sub_nc_u64_e32 v[4:5], v[6:7], v[4:5]
.LBB54_286:
	s_or_b32 exec_lo, exec_lo, s23
.LBB54_287:
	s_mov_b32 s23, -1
.LBB54_288:
	s_mov_b32 s24, 0
.LBB54_289:
	s_delay_alu instid0(SALU_CYCLE_1)
	s_and_b32 vcc_lo, exec_lo, s24
	s_cbranch_vccz .LBB54_322
; %bb.290:
	s_cmp_gt_i32 s18, 22
	s_cbranch_scc0 .LBB54_298
; %bb.291:
	s_cmp_lt_i32 s18, 24
	s_cbranch_scc1 .LBB54_301
; %bb.292:
	s_cmp_gt_i32 s18, 24
	s_cbranch_scc0 .LBB54_302
; %bb.293:
	global_load_u8 v6, v[2:3], off
	s_mov_b32 s24, 0
	s_mov_b32 s23, exec_lo
	s_wait_loadcnt 0x0
	v_cmpx_lt_i16_e32 0x7f, v6
	s_xor_b32 s23, exec_lo, s23
	s_cbranch_execz .LBB54_314
; %bb.294:
	v_cmp_ne_u16_e32 vcc_lo, 0x80, v6
	s_and_b32 s24, vcc_lo, exec_lo
	s_and_not1_saveexec_b32 s23, s23
	s_cbranch_execnz .LBB54_315
.LBB54_295:
	s_or_b32 exec_lo, exec_lo, s23
	v_mov_b64_e32 v[4:5], 0
	s_and_saveexec_b32 s23, s24
	s_cbranch_execz .LBB54_297
.LBB54_296:
	v_and_b32_e32 v4, 0xffff, v6
	s_delay_alu instid0(VALU_DEP_1) | instskip(SKIP_1) | instid1(VALU_DEP_2)
	v_and_b32_e32 v5, 3, v4
	v_bfe_u32 v9, v4, 2, 5
	v_clz_i32_u32_e32 v7, v5
	s_delay_alu instid0(VALU_DEP_2) | instskip(NEXT) | instid1(VALU_DEP_2)
	v_cmp_eq_u32_e32 vcc_lo, 0, v9
	v_min_u32_e32 v7, 32, v7
	s_delay_alu instid0(VALU_DEP_1) | instskip(NEXT) | instid1(VALU_DEP_1)
	v_subrev_nc_u32_e32 v8, 29, v7
	v_dual_lshlrev_b32 v4, v8, v4 :: v_dual_sub_nc_u32 v7, 30, v7
	s_delay_alu instid0(VALU_DEP_1) | instskip(NEXT) | instid1(VALU_DEP_2)
	v_dual_lshlrev_b32 v6, 24, v6 :: v_dual_bitop2_b32 v4, 3, v4 bitop3:0x40
	v_cndmask_b32_e32 v7, v9, v7, vcc_lo
	s_delay_alu instid0(VALU_DEP_2) | instskip(NEXT) | instid1(VALU_DEP_3)
	v_cndmask_b32_e32 v4, v5, v4, vcc_lo
	v_and_b32_e32 v5, 0x80000000, v6
	s_delay_alu instid0(VALU_DEP_3) | instskip(NEXT) | instid1(VALU_DEP_3)
	v_lshl_add_u32 v6, v7, 23, 0x37800000
	v_lshlrev_b32_e32 v4, 21, v4
	s_delay_alu instid0(VALU_DEP_1) | instskip(NEXT) | instid1(VALU_DEP_1)
	v_or3_b32 v4, v5, v6, v4
	v_trunc_f32_e32 v4, v4
	s_delay_alu instid0(VALU_DEP_1) | instskip(NEXT) | instid1(VALU_DEP_1)
	v_mul_f32_e64 v5, 0x2f800000, |v4|
	v_floor_f32_e32 v5, v5
	s_delay_alu instid0(VALU_DEP_1) | instskip(SKIP_2) | instid1(VALU_DEP_3)
	v_fma_f32 v6, 0xcf800000, v5, |v4|
	v_ashrrev_i32_e32 v4, 31, v4
	v_cvt_u32_f32_e32 v7, v5
	v_cvt_u32_f32_e32 v6, v6
	s_delay_alu instid0(VALU_DEP_2) | instskip(NEXT) | instid1(VALU_DEP_2)
	v_dual_mov_b32 v5, v4 :: v_dual_bitop2_b32 v7, v7, v4 bitop3:0x14
	v_xor_b32_e32 v6, v6, v4
	s_delay_alu instid0(VALU_DEP_1)
	v_sub_nc_u64_e32 v[4:5], v[6:7], v[4:5]
.LBB54_297:
	s_or_b32 exec_lo, exec_lo, s23
	s_mov_b32 s23, 0
	s_branch .LBB54_303
.LBB54_298:
	s_mov_b32 s24, -1
                                        ; implicit-def: $vgpr4_vgpr5
	s_branch .LBB54_309
.LBB54_299:
	s_and_not1_saveexec_b32 s23, s23
	s_cbranch_execz .LBB54_284
.LBB54_300:
	v_cmp_ne_u16_e32 vcc_lo, 0, v6
	s_and_not1_b32 s24, s24, exec_lo
	s_and_b32 s25, vcc_lo, exec_lo
	s_delay_alu instid0(SALU_CYCLE_1)
	s_or_b32 s24, s24, s25
	s_or_b32 exec_lo, exec_lo, s23
	v_mov_b64_e32 v[4:5], 0
	s_and_saveexec_b32 s23, s24
	s_cbranch_execnz .LBB54_285
	s_branch .LBB54_286
.LBB54_301:
	s_mov_b32 s23, -1
                                        ; implicit-def: $vgpr4_vgpr5
	s_branch .LBB54_306
.LBB54_302:
	s_mov_b32 s23, -1
                                        ; implicit-def: $vgpr4_vgpr5
.LBB54_303:
	s_delay_alu instid0(SALU_CYCLE_1)
	s_and_b32 vcc_lo, exec_lo, s23
	s_cbranch_vccz .LBB54_305
; %bb.304:
	s_wait_loadcnt 0x0
	global_load_u8 v4, v[2:3], off
	s_wait_loadcnt 0x0
	v_lshlrev_b32_e32 v4, 24, v4
	s_delay_alu instid0(VALU_DEP_1) | instskip(NEXT) | instid1(VALU_DEP_1)
	v_and_b32_e32 v5, 0x7f000000, v4
	v_clz_i32_u32_e32 v6, v5
	v_cmp_ne_u32_e32 vcc_lo, 0, v5
	v_add_nc_u32_e32 v8, 0x1000000, v5
	s_delay_alu instid0(VALU_DEP_3) | instskip(NEXT) | instid1(VALU_DEP_1)
	v_min_u32_e32 v6, 32, v6
	v_sub_nc_u32_e64 v6, v6, 4 clamp
	s_delay_alu instid0(VALU_DEP_1) | instskip(NEXT) | instid1(VALU_DEP_1)
	v_dual_lshlrev_b32 v7, v6, v5 :: v_dual_lshlrev_b32 v6, 23, v6
	v_lshrrev_b32_e32 v7, 4, v7
	s_delay_alu instid0(VALU_DEP_1) | instskip(NEXT) | instid1(VALU_DEP_1)
	v_dual_sub_nc_u32 v6, v7, v6 :: v_dual_ashrrev_i32 v7, 8, v8
	v_add_nc_u32_e32 v6, 0x3c000000, v6
	s_delay_alu instid0(VALU_DEP_1) | instskip(NEXT) | instid1(VALU_DEP_1)
	v_and_or_b32 v6, 0x7f800000, v7, v6
	v_cndmask_b32_e32 v5, 0, v6, vcc_lo
	s_delay_alu instid0(VALU_DEP_1) | instskip(NEXT) | instid1(VALU_DEP_1)
	v_and_or_b32 v4, 0x80000000, v4, v5
	v_trunc_f32_e32 v4, v4
	s_delay_alu instid0(VALU_DEP_1) | instskip(NEXT) | instid1(VALU_DEP_1)
	v_mul_f32_e64 v5, 0x2f800000, |v4|
	v_floor_f32_e32 v5, v5
	s_delay_alu instid0(VALU_DEP_1) | instskip(SKIP_2) | instid1(VALU_DEP_3)
	v_fma_f32 v6, 0xcf800000, v5, |v4|
	v_ashrrev_i32_e32 v4, 31, v4
	v_cvt_u32_f32_e32 v7, v5
	v_cvt_u32_f32_e32 v6, v6
	s_delay_alu instid0(VALU_DEP_2) | instskip(NEXT) | instid1(VALU_DEP_2)
	v_dual_mov_b32 v5, v4 :: v_dual_bitop2_b32 v7, v7, v4 bitop3:0x14
	v_xor_b32_e32 v6, v6, v4
	s_delay_alu instid0(VALU_DEP_1)
	v_sub_nc_u64_e32 v[4:5], v[6:7], v[4:5]
.LBB54_305:
	s_mov_b32 s23, 0
.LBB54_306:
	s_delay_alu instid0(SALU_CYCLE_1)
	s_and_not1_b32 vcc_lo, exec_lo, s23
	s_cbranch_vccnz .LBB54_308
; %bb.307:
	s_wait_loadcnt 0x0
	global_load_u8 v4, v[2:3], off
	s_wait_loadcnt 0x0
	v_lshlrev_b32_e32 v5, 25, v4
	v_lshlrev_b16 v4, 8, v4
	s_delay_alu instid0(VALU_DEP_1) | instskip(SKIP_1) | instid1(VALU_DEP_2)
	v_and_or_b32 v7, 0x7f00, v4, 0.5
	v_bfe_i32 v4, v4, 0, 16
	v_dual_add_f32 v7, -0.5, v7 :: v_dual_lshrrev_b32 v6, 4, v5
	v_cmp_gt_u32_e32 vcc_lo, 0x8000000, v5
	s_delay_alu instid0(VALU_DEP_2) | instskip(NEXT) | instid1(VALU_DEP_1)
	v_or_b32_e32 v6, 0x70000000, v6
	v_mul_f32_e32 v6, 0x7800000, v6
	s_delay_alu instid0(VALU_DEP_1) | instskip(NEXT) | instid1(VALU_DEP_1)
	v_cndmask_b32_e32 v5, v6, v7, vcc_lo
	v_and_or_b32 v4, 0x80000000, v4, v5
	s_delay_alu instid0(VALU_DEP_1) | instskip(NEXT) | instid1(VALU_DEP_1)
	v_trunc_f32_e32 v4, v4
	v_mul_f32_e64 v5, 0x2f800000, |v4|
	s_delay_alu instid0(VALU_DEP_1) | instskip(NEXT) | instid1(VALU_DEP_1)
	v_floor_f32_e32 v5, v5
	v_fma_f32 v6, 0xcf800000, v5, |v4|
	v_ashrrev_i32_e32 v4, 31, v4
	v_cvt_u32_f32_e32 v7, v5
	s_delay_alu instid0(VALU_DEP_3) | instskip(NEXT) | instid1(VALU_DEP_2)
	v_cvt_u32_f32_e32 v6, v6
	v_dual_mov_b32 v5, v4 :: v_dual_bitop2_b32 v7, v7, v4 bitop3:0x14
	s_delay_alu instid0(VALU_DEP_2) | instskip(NEXT) | instid1(VALU_DEP_1)
	v_xor_b32_e32 v6, v6, v4
	v_sub_nc_u64_e32 v[4:5], v[6:7], v[4:5]
.LBB54_308:
	s_mov_b32 s24, 0
	s_mov_b32 s23, -1
.LBB54_309:
	s_and_not1_b32 vcc_lo, exec_lo, s24
	s_cbranch_vccnz .LBB54_322
; %bb.310:
	s_cmp_gt_i32 s18, 14
	s_cbranch_scc0 .LBB54_313
; %bb.311:
	s_cmp_eq_u32 s18, 15
	s_cbranch_scc0 .LBB54_316
; %bb.312:
	s_wait_loadcnt 0x0
	global_load_u16 v4, v[2:3], off
	s_mov_b32 s23, -1
	s_mov_b32 s19, 0
	s_wait_loadcnt 0x0
	v_lshlrev_b32_e32 v4, 16, v4
	s_delay_alu instid0(VALU_DEP_1) | instskip(NEXT) | instid1(VALU_DEP_1)
	v_trunc_f32_e32 v4, v4
	v_mul_f32_e64 v5, 0x2f800000, |v4|
	s_delay_alu instid0(VALU_DEP_1) | instskip(NEXT) | instid1(VALU_DEP_1)
	v_floor_f32_e32 v5, v5
	v_fma_f32 v6, 0xcf800000, v5, |v4|
	v_ashrrev_i32_e32 v4, 31, v4
	v_cvt_u32_f32_e32 v7, v5
	s_delay_alu instid0(VALU_DEP_3) | instskip(NEXT) | instid1(VALU_DEP_2)
	v_cvt_u32_f32_e32 v6, v6
	v_dual_mov_b32 v5, v4 :: v_dual_bitop2_b32 v7, v7, v4 bitop3:0x14
	s_delay_alu instid0(VALU_DEP_2) | instskip(NEXT) | instid1(VALU_DEP_1)
	v_xor_b32_e32 v6, v6, v4
	v_sub_nc_u64_e32 v[4:5], v[6:7], v[4:5]
	s_branch .LBB54_317
.LBB54_313:
	s_mov_b32 s24, -1
                                        ; implicit-def: $vgpr4_vgpr5
	s_branch .LBB54_318
.LBB54_314:
	s_and_not1_saveexec_b32 s23, s23
	s_cbranch_execz .LBB54_295
.LBB54_315:
	v_cmp_ne_u16_e32 vcc_lo, 0, v6
	s_and_not1_b32 s24, s24, exec_lo
	s_and_b32 s25, vcc_lo, exec_lo
	s_delay_alu instid0(SALU_CYCLE_1)
	s_or_b32 s24, s24, s25
	s_or_b32 exec_lo, exec_lo, s23
	v_mov_b64_e32 v[4:5], 0
	s_and_saveexec_b32 s23, s24
	s_cbranch_execnz .LBB54_296
	s_branch .LBB54_297
.LBB54_316:
	s_mov_b32 s19, -1
                                        ; implicit-def: $vgpr4_vgpr5
.LBB54_317:
	s_mov_b32 s24, 0
.LBB54_318:
	s_delay_alu instid0(SALU_CYCLE_1)
	s_and_b32 vcc_lo, exec_lo, s24
	s_cbranch_vccz .LBB54_322
; %bb.319:
	s_cmp_eq_u32 s18, 11
	s_cbranch_scc0 .LBB54_321
; %bb.320:
	s_wait_loadcnt 0x0
	global_load_u8 v4, v[2:3], off
	s_mov_b32 s19, 0
	s_mov_b32 s23, -1
	v_mov_b32_e32 v5, s19
	s_wait_loadcnt 0x0
	v_cmp_ne_u16_e32 vcc_lo, 0, v4
	v_cndmask_b32_e64 v4, 0, 1, vcc_lo
	s_branch .LBB54_322
.LBB54_321:
	s_mov_b32 s19, -1
                                        ; implicit-def: $vgpr4_vgpr5
.LBB54_322:
	s_branch .LBB54_20
.LBB54_323:
	s_and_b32 s0, 0xffff, s0
	s_delay_alu instid0(SALU_CYCLE_1)
	s_cmp_lt_i32 s0, 5
	s_cbranch_scc1 .LBB54_328
; %bb.324:
	s_cmp_lt_i32 s0, 8
	s_cbranch_scc1 .LBB54_329
; %bb.325:
	s_cmp_lt_i32 s0, 9
	s_cbranch_scc1 .LBB54_330
; %bb.326:
	s_cmp_gt_i32 s0, 9
	s_cbranch_scc0 .LBB54_331
; %bb.327:
	s_wait_loadcnt 0x0
	global_load_b64 v[4:5], v[2:3], off
	s_mov_b32 s18, 0
	s_wait_loadcnt 0x0
	v_trunc_f64_e32 v[4:5], v[4:5]
	s_delay_alu instid0(VALU_DEP_1) | instskip(NEXT) | instid1(VALU_DEP_1)
	v_ldexp_f64 v[6:7], v[4:5], 0xffffffe0
	v_floor_f64_e32 v[6:7], v[6:7]
	s_delay_alu instid0(VALU_DEP_1) | instskip(SKIP_1) | instid1(VALU_DEP_2)
	v_fmamk_f64 v[8:9], v[6:7], 0xc1f00000, v[4:5]
	v_cvt_i32_f64_e32 v5, v[6:7]
	v_cvt_u32_f64_e32 v4, v[8:9]
	s_branch .LBB54_332
.LBB54_328:
	s_mov_b32 s18, -1
                                        ; implicit-def: $vgpr4_vgpr5
	s_branch .LBB54_350
.LBB54_329:
	s_mov_b32 s18, -1
                                        ; implicit-def: $vgpr4_vgpr5
	s_branch .LBB54_338
.LBB54_330:
	s_mov_b32 s18, -1
                                        ; implicit-def: $vgpr4_vgpr5
	s_branch .LBB54_335
.LBB54_331:
	s_mov_b32 s18, -1
                                        ; implicit-def: $vgpr4_vgpr5
.LBB54_332:
	s_delay_alu instid0(SALU_CYCLE_1)
	s_and_not1_b32 vcc_lo, exec_lo, s18
	s_cbranch_vccnz .LBB54_334
; %bb.333:
	s_wait_loadcnt 0x0
	global_load_b32 v4, v[2:3], off
	s_wait_loadcnt 0x0
	v_trunc_f32_e32 v4, v4
	s_delay_alu instid0(VALU_DEP_1) | instskip(NEXT) | instid1(VALU_DEP_1)
	v_mul_f32_e64 v5, 0x2f800000, |v4|
	v_floor_f32_e32 v5, v5
	s_delay_alu instid0(VALU_DEP_1) | instskip(SKIP_2) | instid1(VALU_DEP_3)
	v_fma_f32 v6, 0xcf800000, v5, |v4|
	v_ashrrev_i32_e32 v4, 31, v4
	v_cvt_u32_f32_e32 v7, v5
	v_cvt_u32_f32_e32 v6, v6
	s_delay_alu instid0(VALU_DEP_2) | instskip(NEXT) | instid1(VALU_DEP_2)
	v_dual_mov_b32 v5, v4 :: v_dual_bitop2_b32 v7, v7, v4 bitop3:0x14
	v_xor_b32_e32 v6, v6, v4
	s_delay_alu instid0(VALU_DEP_1)
	v_sub_nc_u64_e32 v[4:5], v[6:7], v[4:5]
.LBB54_334:
	s_mov_b32 s18, 0
.LBB54_335:
	s_delay_alu instid0(SALU_CYCLE_1)
	s_and_not1_b32 vcc_lo, exec_lo, s18
	s_cbranch_vccnz .LBB54_337
; %bb.336:
	s_wait_loadcnt 0x0
	global_load_b32 v4, v[2:3], off
	s_wait_loadcnt 0x0
	v_cvt_f32_f16_e32 v4, v4
	s_delay_alu instid0(VALU_DEP_1) | instskip(NEXT) | instid1(VALU_DEP_1)
	v_cvt_i32_f32_e32 v4, v4
	v_ashrrev_i32_e32 v5, 31, v4
.LBB54_337:
	s_mov_b32 s18, 0
.LBB54_338:
	s_delay_alu instid0(SALU_CYCLE_1)
	s_and_not1_b32 vcc_lo, exec_lo, s18
	s_cbranch_vccnz .LBB54_349
; %bb.339:
	s_cmp_lt_i32 s0, 6
	s_cbranch_scc1 .LBB54_342
; %bb.340:
	s_cmp_gt_i32 s0, 6
	s_cbranch_scc0 .LBB54_343
; %bb.341:
	s_wait_loadcnt 0x0
	global_load_b64 v[4:5], v[2:3], off
	s_mov_b32 s18, 0
	s_wait_loadcnt 0x0
	v_trunc_f64_e32 v[4:5], v[4:5]
	s_delay_alu instid0(VALU_DEP_1) | instskip(NEXT) | instid1(VALU_DEP_1)
	v_ldexp_f64 v[6:7], v[4:5], 0xffffffe0
	v_floor_f64_e32 v[6:7], v[6:7]
	s_delay_alu instid0(VALU_DEP_1) | instskip(SKIP_1) | instid1(VALU_DEP_2)
	v_fmamk_f64 v[8:9], v[6:7], 0xc1f00000, v[4:5]
	v_cvt_i32_f64_e32 v5, v[6:7]
	v_cvt_u32_f64_e32 v4, v[8:9]
	s_branch .LBB54_344
.LBB54_342:
	s_mov_b32 s18, -1
                                        ; implicit-def: $vgpr4_vgpr5
	s_branch .LBB54_347
.LBB54_343:
	s_mov_b32 s18, -1
                                        ; implicit-def: $vgpr4_vgpr5
.LBB54_344:
	s_delay_alu instid0(SALU_CYCLE_1)
	s_and_not1_b32 vcc_lo, exec_lo, s18
	s_cbranch_vccnz .LBB54_346
; %bb.345:
	s_wait_loadcnt 0x0
	global_load_b32 v4, v[2:3], off
	s_wait_loadcnt 0x0
	v_trunc_f32_e32 v4, v4
	s_delay_alu instid0(VALU_DEP_1) | instskip(NEXT) | instid1(VALU_DEP_1)
	v_mul_f32_e64 v5, 0x2f800000, |v4|
	v_floor_f32_e32 v5, v5
	s_delay_alu instid0(VALU_DEP_1) | instskip(SKIP_2) | instid1(VALU_DEP_3)
	v_fma_f32 v6, 0xcf800000, v5, |v4|
	v_ashrrev_i32_e32 v4, 31, v4
	v_cvt_u32_f32_e32 v7, v5
	v_cvt_u32_f32_e32 v6, v6
	s_delay_alu instid0(VALU_DEP_2) | instskip(NEXT) | instid1(VALU_DEP_2)
	v_dual_mov_b32 v5, v4 :: v_dual_bitop2_b32 v7, v7, v4 bitop3:0x14
	v_xor_b32_e32 v6, v6, v4
	s_delay_alu instid0(VALU_DEP_1)
	v_sub_nc_u64_e32 v[4:5], v[6:7], v[4:5]
.LBB54_346:
	s_mov_b32 s18, 0
.LBB54_347:
	s_delay_alu instid0(SALU_CYCLE_1)
	s_and_not1_b32 vcc_lo, exec_lo, s18
	s_cbranch_vccnz .LBB54_349
; %bb.348:
	s_wait_loadcnt 0x0
	global_load_u16 v4, v[2:3], off
	s_wait_loadcnt 0x0
	v_cvt_f32_f16_e32 v4, v4
	s_delay_alu instid0(VALU_DEP_1) | instskip(NEXT) | instid1(VALU_DEP_1)
	v_cvt_i32_f32_e32 v4, v4
	v_ashrrev_i32_e32 v5, 31, v4
.LBB54_349:
	s_mov_b32 s18, 0
.LBB54_350:
	s_delay_alu instid0(SALU_CYCLE_1)
	s_and_not1_b32 vcc_lo, exec_lo, s18
	s_cbranch_vccnz .LBB54_370
; %bb.351:
	s_cmp_lt_i32 s0, 2
	s_cbranch_scc1 .LBB54_355
; %bb.352:
	s_cmp_lt_i32 s0, 3
	s_cbranch_scc1 .LBB54_356
; %bb.353:
	s_cmp_gt_i32 s0, 3
	s_cbranch_scc0 .LBB54_357
; %bb.354:
	s_wait_loadcnt 0x0
	global_load_b64 v[4:5], v[2:3], off
	s_mov_b32 s18, 0
	s_branch .LBB54_358
.LBB54_355:
	s_mov_b32 s18, -1
                                        ; implicit-def: $vgpr4_vgpr5
	s_branch .LBB54_364
.LBB54_356:
	s_mov_b32 s18, -1
                                        ; implicit-def: $vgpr4_vgpr5
	s_branch .LBB54_361
.LBB54_357:
	s_mov_b32 s18, -1
                                        ; implicit-def: $vgpr4_vgpr5
.LBB54_358:
	s_delay_alu instid0(SALU_CYCLE_1)
	s_and_not1_b32 vcc_lo, exec_lo, s18
	s_cbranch_vccnz .LBB54_360
; %bb.359:
	s_wait_loadcnt 0x0
	global_load_b32 v4, v[2:3], off
	s_wait_loadcnt 0x0
	v_ashrrev_i32_e32 v5, 31, v4
.LBB54_360:
	s_mov_b32 s18, 0
.LBB54_361:
	s_delay_alu instid0(SALU_CYCLE_1)
	s_and_not1_b32 vcc_lo, exec_lo, s18
	s_cbranch_vccnz .LBB54_363
; %bb.362:
	s_wait_loadcnt 0x0
	global_load_u16 v4, v[2:3], off
	s_wait_loadcnt 0x0
	v_bfe_i32 v4, v4, 0, 16
	s_delay_alu instid0(VALU_DEP_1)
	v_ashrrev_i32_e32 v5, 31, v4
.LBB54_363:
	s_mov_b32 s18, 0
.LBB54_364:
	s_delay_alu instid0(SALU_CYCLE_1)
	s_and_not1_b32 vcc_lo, exec_lo, s18
	s_cbranch_vccnz .LBB54_370
; %bb.365:
	s_cmp_gt_i32 s0, 0
	s_mov_b32 s0, 0
	s_cbranch_scc0 .LBB54_367
; %bb.366:
	s_wait_loadcnt 0x0
	global_load_i8 v4, v[2:3], off
	s_wait_loadcnt 0x0
	v_bfe_i32 v4, v4, 0, 16
	s_delay_alu instid0(VALU_DEP_1)
	v_ashrrev_i32_e32 v5, 31, v4
	s_branch .LBB54_368
.LBB54_367:
	s_mov_b32 s0, -1
                                        ; implicit-def: $vgpr4_vgpr5
.LBB54_368:
	s_delay_alu instid0(SALU_CYCLE_1)
	s_and_not1_b32 vcc_lo, exec_lo, s0
	s_cbranch_vccnz .LBB54_370
; %bb.369:
	global_load_u8 v2, v[2:3], off
	s_mov_b32 s0, 0
	s_wait_loadcnt 0x1
	v_mov_b32_e32 v5, s0
	s_wait_loadcnt 0x0
	v_and_b32_e32 v4, 0xffff, v2
.LBB54_370:
	s_branch .LBB54_21
.LBB54_371:
	s_mov_b32 s0, 0
.LBB54_372:
	s_mov_b32 s23, 0
                                        ; implicit-def: $vgpr18
.LBB54_373:
	s_and_b32 s18, s0, exec_lo
	s_and_b32 s19, s19, exec_lo
	;; [unrolled: 1-line block ×3, first 2 shown]
	s_or_not1_b32 s25, s23, exec_lo
.LBB54_374:
	s_wait_xcnt 0x0
	s_or_b32 exec_lo, exec_lo, s21
	s_mov_b32 s24, 0
	s_mov_b32 s23, 0
                                        ; implicit-def: $sgpr0
                                        ; implicit-def: $vgpr2_vgpr3
                                        ; implicit-def: $vgpr0_vgpr1
	s_and_saveexec_b32 s21, s25
	s_cbranch_execz .LBB54_383
; %bb.375:
	s_mov_b32 s27, -1
	s_mov_b32 s22, s20
	s_mov_b32 s24, s19
	;; [unrolled: 1-line block ×3, first 2 shown]
	s_mov_b32 s25, exec_lo
	v_cmpx_gt_i32_e64 s17, v18
	s_cbranch_execz .LBB54_759
; %bb.376:
	s_wait_loadcnt 0x0
	v_mul_lo_u32 v0, v18, s9
	s_and_b32 s0, s14, 0xff
	s_delay_alu instid0(SALU_CYCLE_1) | instskip(NEXT) | instid1(VALU_DEP_1)
	s_cmp_lt_i32 s0, 11
	v_ashrrev_i32_e32 v1, 31, v0
	s_delay_alu instid0(VALU_DEP_1)
	v_add_nc_u64_e32 v[2:3], s[6:7], v[0:1]
	s_cbranch_scc1 .LBB54_386
; %bb.377:
	s_and_b32 s23, 0xffff, s0
	s_delay_alu instid0(SALU_CYCLE_1)
	s_cmp_gt_i32 s23, 25
	s_cbranch_scc0 .LBB54_395
; %bb.378:
	s_cmp_gt_i32 s23, 28
	s_cbranch_scc0 .LBB54_397
; %bb.379:
	;; [unrolled: 3-line block ×4, first 2 shown]
	s_cmp_eq_u32 s23, 46
	s_mov_b32 s26, 0
	s_cbranch_scc0 .LBB54_405
; %bb.382:
	global_load_b32 v0, v[2:3], off
	s_mov_b32 s24, -1
	s_mov_b32 s22, 0
	s_wait_loadcnt 0x0
	v_lshlrev_b32_e32 v0, 16, v0
	s_delay_alu instid0(VALU_DEP_1) | instskip(NEXT) | instid1(VALU_DEP_1)
	v_trunc_f32_e32 v0, v0
	v_mul_f32_e64 v1, 0x2f800000, |v0|
	s_delay_alu instid0(VALU_DEP_1) | instskip(NEXT) | instid1(VALU_DEP_1)
	v_floor_f32_e32 v1, v1
	v_fma_f32 v4, 0xcf800000, v1, |v0|
	v_ashrrev_i32_e32 v0, 31, v0
	v_cvt_u32_f32_e32 v5, v1
	s_delay_alu instid0(VALU_DEP_3) | instskip(NEXT) | instid1(VALU_DEP_2)
	v_cvt_u32_f32_e32 v4, v4
	v_dual_mov_b32 v1, v0 :: v_dual_bitop2_b32 v5, v5, v0 bitop3:0x14
	s_delay_alu instid0(VALU_DEP_2) | instskip(NEXT) | instid1(VALU_DEP_1)
	v_xor_b32_e32 v4, v4, v0
	v_sub_nc_u64_e32 v[0:1], v[4:5], v[0:1]
	s_branch .LBB54_407
.LBB54_383:
	s_or_b32 exec_lo, exec_lo, s21
	s_mov_b32 s17, 0
	s_and_saveexec_b32 s21, s20
	s_cbranch_execnz .LBB54_1223
.LBB54_384:
	s_or_b32 exec_lo, exec_lo, s21
	s_and_saveexec_b32 s20, s22
	s_delay_alu instid0(SALU_CYCLE_1)
	s_xor_b32 s20, exec_lo, s20
	s_cbranch_execz .LBB54_1224
.LBB54_385:
	s_wait_loadcnt 0x0
	global_load_u8 v0, v[2:3], off
	s_mov_b32 s21, 0
	s_or_b32 s23, s23, exec_lo
	v_mov_b32_e32 v1, s21
	s_wait_loadcnt 0x0
	v_cmp_ne_u16_e32 vcc_lo, 0, v0
	v_cndmask_b32_e64 v0, 0, 1, vcc_lo
	s_wait_xcnt 0x0
	s_or_b32 exec_lo, exec_lo, s20
	s_and_saveexec_b32 s20, s24
	s_cbranch_execz .LBB54_1270
	s_branch .LBB54_1225
.LBB54_386:
	s_mov_b32 s24, 0
	s_mov_b32 s22, s20
                                        ; implicit-def: $vgpr0_vgpr1
	s_cbranch_execnz .LBB54_469
.LBB54_387:
	s_and_not1_b32 vcc_lo, exec_lo, s24
	s_cbranch_vccnz .LBB54_517
.LBB54_388:
	s_wait_xcnt 0x0
	v_mul_lo_u32 v2, v18, s10
	s_and_b32 s0, s1, 0xff
	s_delay_alu instid0(SALU_CYCLE_1) | instskip(NEXT) | instid1(VALU_DEP_1)
	s_cmp_lt_i32 s0, 11
	v_ashrrev_i32_e32 v3, 31, v2
	s_delay_alu instid0(VALU_DEP_1)
	v_add_nc_u64_e32 v[2:3], s[2:3], v[2:3]
	s_cbranch_scc1 .LBB54_396
; %bb.389:
	s_and_b32 s23, 0xffff, s0
	s_delay_alu instid0(SALU_CYCLE_1)
	s_cmp_gt_i32 s23, 25
	s_cbranch_scc0 .LBB54_398
; %bb.390:
	s_cmp_gt_i32 s23, 28
	s_cbranch_scc0 .LBB54_400
; %bb.391:
	;; [unrolled: 3-line block ×4, first 2 shown]
	s_cmp_eq_u32 s23, 46
	s_mov_b32 s27, 0
	s_cbranch_scc0 .LBB54_520
; %bb.394:
	global_load_b32 v4, v[2:3], off
	s_mov_b32 s26, -1
	s_mov_b32 s24, 0
	s_wait_loadcnt 0x0
	v_lshlrev_b32_e32 v4, 16, v4
	s_delay_alu instid0(VALU_DEP_1) | instskip(NEXT) | instid1(VALU_DEP_1)
	v_trunc_f32_e32 v4, v4
	v_mul_f32_e64 v5, 0x2f800000, |v4|
	s_delay_alu instid0(VALU_DEP_1) | instskip(NEXT) | instid1(VALU_DEP_1)
	v_floor_f32_e32 v5, v5
	v_fma_f32 v6, 0xcf800000, v5, |v4|
	v_ashrrev_i32_e32 v4, 31, v4
	v_cvt_u32_f32_e32 v7, v5
	s_delay_alu instid0(VALU_DEP_3) | instskip(NEXT) | instid1(VALU_DEP_2)
	v_cvt_u32_f32_e32 v6, v6
	v_dual_mov_b32 v5, v4 :: v_dual_bitop2_b32 v7, v7, v4 bitop3:0x14
	s_delay_alu instid0(VALU_DEP_2) | instskip(NEXT) | instid1(VALU_DEP_1)
	v_xor_b32_e32 v6, v6, v4
	v_sub_nc_u64_e32 v[4:5], v[6:7], v[4:5]
	s_branch .LBB54_522
.LBB54_395:
	s_mov_b32 s26, -1
	s_mov_b32 s24, 0
	s_mov_b32 s22, s20
                                        ; implicit-def: $vgpr0_vgpr1
	s_branch .LBB54_435
.LBB54_396:
	s_mov_b32 s23, -1
	s_mov_b32 s26, 0
	s_mov_b32 s24, s19
                                        ; implicit-def: $vgpr4_vgpr5
	s_branch .LBB54_583
.LBB54_397:
	s_mov_b32 s26, -1
	s_mov_b32 s24, 0
	s_mov_b32 s22, s20
                                        ; implicit-def: $vgpr0_vgpr1
	s_branch .LBB54_418
.LBB54_398:
	s_mov_b32 s27, -1
	s_mov_b32 s26, 0
	s_mov_b32 s24, s19
                                        ; implicit-def: $vgpr4_vgpr5
	s_branch .LBB54_549
.LBB54_399:
	s_mov_b32 s26, -1
	s_mov_b32 s24, 0
	s_mov_b32 s22, s20
                                        ; implicit-def: $vgpr0_vgpr1
	s_branch .LBB54_413
.LBB54_400:
	s_mov_b32 s27, -1
	s_mov_b32 s26, 0
	s_mov_b32 s24, s19
                                        ; implicit-def: $vgpr4_vgpr5
	s_branch .LBB54_532
.LBB54_401:
	s_mov_b32 s26, -1
	s_mov_b32 s24, 0
	s_mov_b32 s22, s20
	s_branch .LBB54_406
.LBB54_402:
	s_mov_b32 s27, -1
	s_mov_b32 s26, 0
	s_mov_b32 s24, s19
                                        ; implicit-def: $vgpr4_vgpr5
	s_branch .LBB54_527
.LBB54_403:
	s_and_not1_saveexec_b32 s27, s27
	s_cbranch_execz .LBB54_176
.LBB54_404:
	v_add_f32_e32 v2, 0x46000000, v3
	s_and_not1_b32 s26, s26, exec_lo
	s_delay_alu instid0(VALU_DEP_1) | instskip(NEXT) | instid1(VALU_DEP_1)
	v_and_b32_e32 v2, 0xff, v2
	v_cmp_ne_u32_e32 vcc_lo, 0, v2
	s_and_b32 s28, vcc_lo, exec_lo
	s_delay_alu instid0(SALU_CYCLE_1)
	s_or_b32 s26, s26, s28
	s_or_b32 exec_lo, exec_lo, s27
	v_mov_b32_e32 v4, 0
	s_and_saveexec_b32 s27, s26
	s_cbranch_execnz .LBB54_177
	s_branch .LBB54_178
.LBB54_405:
	s_mov_b32 s22, -1
	s_mov_b32 s24, 0
.LBB54_406:
                                        ; implicit-def: $vgpr0_vgpr1
.LBB54_407:
	s_and_b32 vcc_lo, exec_lo, s26
	s_cbranch_vccz .LBB54_412
; %bb.408:
	s_cmp_eq_u32 s23, 44
	s_cbranch_scc0 .LBB54_411
; %bb.409:
	global_load_u8 v6, v[2:3], off
	s_mov_b32 s22, 0
	s_mov_b32 s24, -1
	s_wait_loadcnt 0x0
	v_cmp_ne_u32_e32 vcc_lo, 0, v6
	v_lshlrev_b32_e32 v0, 23, v6
	s_delay_alu instid0(VALU_DEP_1) | instskip(NEXT) | instid1(VALU_DEP_1)
	v_trunc_f32_e32 v0, v0
	v_mul_f32_e64 v1, 0x2f800000, |v0|
	s_delay_alu instid0(VALU_DEP_1) | instskip(NEXT) | instid1(VALU_DEP_1)
	v_floor_f32_e32 v1, v1
	v_fma_f32 v4, 0xcf800000, v1, |v0|
	v_ashrrev_i32_e32 v0, 31, v0
	v_cvt_u32_f32_e32 v5, v1
	s_delay_alu instid0(VALU_DEP_3) | instskip(NEXT) | instid1(VALU_DEP_2)
	v_cvt_u32_f32_e32 v4, v4
	v_dual_mov_b32 v1, v0 :: v_dual_bitop2_b32 v5, v5, v0 bitop3:0x14
	s_delay_alu instid0(VALU_DEP_2) | instskip(NEXT) | instid1(VALU_DEP_1)
	v_xor_b32_e32 v4, v4, v0
	v_sub_nc_u64_e32 v[0:1], v[4:5], v[0:1]
	s_delay_alu instid0(VALU_DEP_1)
	v_dual_cndmask_b32 v1, 0, v1 :: v_dual_cndmask_b32 v0, 0, v0
	s_branch .LBB54_412
.LBB54_410:
	s_mov_b32 s27, -1
	s_mov_b32 s26, 0
	s_mov_b32 s24, s19
	s_branch .LBB54_521
.LBB54_411:
	s_mov_b32 s22, -1
                                        ; implicit-def: $vgpr0_vgpr1
.LBB54_412:
	s_mov_b32 s26, 0
.LBB54_413:
	s_delay_alu instid0(SALU_CYCLE_1)
	s_and_b32 vcc_lo, exec_lo, s26
	s_cbranch_vccz .LBB54_417
; %bb.414:
	s_cmp_eq_u32 s23, 29
	s_cbranch_scc0 .LBB54_416
; %bb.415:
	global_load_b64 v[0:1], v[2:3], off
	s_mov_b32 s24, -1
	s_mov_b32 s22, 0
	s_branch .LBB54_417
.LBB54_416:
	s_mov_b32 s22, -1
                                        ; implicit-def: $vgpr0_vgpr1
.LBB54_417:
	s_mov_b32 s26, 0
.LBB54_418:
	s_delay_alu instid0(SALU_CYCLE_1)
	s_and_b32 vcc_lo, exec_lo, s26
	s_cbranch_vccz .LBB54_434
; %bb.419:
	s_cmp_lt_i32 s23, 27
	s_cbranch_scc1 .LBB54_422
; %bb.420:
	s_cmp_gt_i32 s23, 27
	s_cbranch_scc0 .LBB54_423
; %bb.421:
	s_wait_loadcnt 0x0
	global_load_b32 v0, v[2:3], off
	v_mov_b32_e32 v1, 0
	s_mov_b32 s24, 0
	s_branch .LBB54_424
.LBB54_422:
	s_mov_b32 s24, -1
                                        ; implicit-def: $vgpr0_vgpr1
	s_branch .LBB54_427
.LBB54_423:
	s_mov_b32 s24, -1
                                        ; implicit-def: $vgpr0_vgpr1
.LBB54_424:
	s_delay_alu instid0(SALU_CYCLE_1)
	s_and_not1_b32 vcc_lo, exec_lo, s24
	s_cbranch_vccnz .LBB54_426
; %bb.425:
	s_wait_loadcnt 0x0
	global_load_u16 v0, v[2:3], off
	s_mov_b32 s24, 0
	s_delay_alu instid0(SALU_CYCLE_1)
	v_mov_b32_e32 v1, s24
	s_wait_loadcnt 0x0
	v_and_b32_e32 v0, 0xffff, v0
.LBB54_426:
	s_mov_b32 s24, 0
.LBB54_427:
	s_delay_alu instid0(SALU_CYCLE_1)
	s_and_not1_b32 vcc_lo, exec_lo, s24
	s_cbranch_vccnz .LBB54_433
; %bb.428:
	global_load_u8 v4, v[2:3], off
	s_mov_b32 s26, 0
	s_mov_b32 s24, exec_lo
	s_wait_loadcnt 0x0
	v_cmpx_lt_i16_e32 0x7f, v4
	s_xor_b32 s24, exec_lo, s24
	s_cbranch_execz .LBB54_445
; %bb.429:
	v_cmp_ne_u16_e32 vcc_lo, 0x80, v4
	s_and_b32 s26, vcc_lo, exec_lo
	s_and_not1_saveexec_b32 s24, s24
	s_cbranch_execnz .LBB54_446
.LBB54_430:
	s_or_b32 exec_lo, exec_lo, s24
	v_mov_b64_e32 v[0:1], 0
	s_and_saveexec_b32 s24, s26
	s_cbranch_execz .LBB54_432
.LBB54_431:
	v_and_b32_e32 v0, 0xffff, v4
	s_delay_alu instid0(VALU_DEP_1) | instskip(SKIP_1) | instid1(VALU_DEP_2)
	v_and_b32_e32 v1, 7, v0
	v_bfe_u32 v7, v0, 3, 4
	v_clz_i32_u32_e32 v5, v1
	s_delay_alu instid0(VALU_DEP_2) | instskip(NEXT) | instid1(VALU_DEP_2)
	v_cmp_eq_u32_e32 vcc_lo, 0, v7
	v_min_u32_e32 v5, 32, v5
	s_delay_alu instid0(VALU_DEP_1) | instskip(NEXT) | instid1(VALU_DEP_1)
	v_subrev_nc_u32_e32 v6, 28, v5
	v_dual_lshlrev_b32 v0, v6, v0 :: v_dual_sub_nc_u32 v5, 29, v5
	s_delay_alu instid0(VALU_DEP_1) | instskip(NEXT) | instid1(VALU_DEP_2)
	v_and_b32_e32 v0, 7, v0
	v_dual_cndmask_b32 v5, v7, v5 :: v_dual_lshlrev_b32 v4, 24, v4
	s_delay_alu instid0(VALU_DEP_2) | instskip(NEXT) | instid1(VALU_DEP_2)
	v_cndmask_b32_e32 v0, v1, v0, vcc_lo
	v_and_b32_e32 v1, 0x80000000, v4
	s_delay_alu instid0(VALU_DEP_3) | instskip(NEXT) | instid1(VALU_DEP_3)
	v_lshl_add_u32 v4, v5, 23, 0x3b800000
	v_lshlrev_b32_e32 v0, 20, v0
	s_delay_alu instid0(VALU_DEP_1) | instskip(NEXT) | instid1(VALU_DEP_1)
	v_or3_b32 v0, v1, v4, v0
	v_trunc_f32_e32 v0, v0
	s_delay_alu instid0(VALU_DEP_1) | instskip(NEXT) | instid1(VALU_DEP_1)
	v_mul_f32_e64 v1, 0x2f800000, |v0|
	v_floor_f32_e32 v1, v1
	s_delay_alu instid0(VALU_DEP_1) | instskip(SKIP_2) | instid1(VALU_DEP_3)
	v_fma_f32 v4, 0xcf800000, v1, |v0|
	v_ashrrev_i32_e32 v0, 31, v0
	v_cvt_u32_f32_e32 v5, v1
	v_cvt_u32_f32_e32 v4, v4
	s_delay_alu instid0(VALU_DEP_2) | instskip(NEXT) | instid1(VALU_DEP_2)
	v_dual_mov_b32 v1, v0 :: v_dual_bitop2_b32 v5, v5, v0 bitop3:0x14
	v_xor_b32_e32 v4, v4, v0
	s_delay_alu instid0(VALU_DEP_1)
	v_sub_nc_u64_e32 v[0:1], v[4:5], v[0:1]
.LBB54_432:
	s_or_b32 exec_lo, exec_lo, s24
.LBB54_433:
	s_mov_b32 s24, -1
.LBB54_434:
	s_mov_b32 s26, 0
.LBB54_435:
	s_delay_alu instid0(SALU_CYCLE_1)
	s_and_b32 vcc_lo, exec_lo, s26
	s_cbranch_vccz .LBB54_468
; %bb.436:
	s_cmp_gt_i32 s23, 22
	s_cbranch_scc0 .LBB54_444
; %bb.437:
	s_cmp_lt_i32 s23, 24
	s_cbranch_scc1 .LBB54_447
; %bb.438:
	s_cmp_gt_i32 s23, 24
	s_cbranch_scc0 .LBB54_448
; %bb.439:
	global_load_u8 v4, v[2:3], off
	s_mov_b32 s26, 0
	s_mov_b32 s24, exec_lo
	s_wait_loadcnt 0x0
	v_cmpx_lt_i16_e32 0x7f, v4
	s_xor_b32 s24, exec_lo, s24
	s_cbranch_execz .LBB54_460
; %bb.440:
	v_cmp_ne_u16_e32 vcc_lo, 0x80, v4
	s_and_b32 s26, vcc_lo, exec_lo
	s_and_not1_saveexec_b32 s24, s24
	s_cbranch_execnz .LBB54_461
.LBB54_441:
	s_or_b32 exec_lo, exec_lo, s24
	v_mov_b64_e32 v[0:1], 0
	s_and_saveexec_b32 s24, s26
	s_cbranch_execz .LBB54_443
.LBB54_442:
	v_and_b32_e32 v0, 0xffff, v4
	s_delay_alu instid0(VALU_DEP_1) | instskip(SKIP_1) | instid1(VALU_DEP_2)
	v_and_b32_e32 v1, 3, v0
	v_bfe_u32 v7, v0, 2, 5
	v_clz_i32_u32_e32 v5, v1
	s_delay_alu instid0(VALU_DEP_2) | instskip(NEXT) | instid1(VALU_DEP_2)
	v_cmp_eq_u32_e32 vcc_lo, 0, v7
	v_min_u32_e32 v5, 32, v5
	s_delay_alu instid0(VALU_DEP_1) | instskip(NEXT) | instid1(VALU_DEP_1)
	v_subrev_nc_u32_e32 v6, 29, v5
	v_dual_lshlrev_b32 v0, v6, v0 :: v_dual_sub_nc_u32 v5, 30, v5
	s_delay_alu instid0(VALU_DEP_1) | instskip(NEXT) | instid1(VALU_DEP_2)
	v_and_b32_e32 v0, 3, v0
	v_dual_cndmask_b32 v5, v7, v5 :: v_dual_lshlrev_b32 v4, 24, v4
	s_delay_alu instid0(VALU_DEP_2) | instskip(NEXT) | instid1(VALU_DEP_2)
	v_cndmask_b32_e32 v0, v1, v0, vcc_lo
	v_and_b32_e32 v1, 0x80000000, v4
	s_delay_alu instid0(VALU_DEP_3) | instskip(NEXT) | instid1(VALU_DEP_3)
	v_lshl_add_u32 v4, v5, 23, 0x37800000
	v_lshlrev_b32_e32 v0, 21, v0
	s_delay_alu instid0(VALU_DEP_1) | instskip(NEXT) | instid1(VALU_DEP_1)
	v_or3_b32 v0, v1, v4, v0
	v_trunc_f32_e32 v0, v0
	s_delay_alu instid0(VALU_DEP_1) | instskip(NEXT) | instid1(VALU_DEP_1)
	v_mul_f32_e64 v1, 0x2f800000, |v0|
	v_floor_f32_e32 v1, v1
	s_delay_alu instid0(VALU_DEP_1) | instskip(SKIP_2) | instid1(VALU_DEP_3)
	v_fma_f32 v4, 0xcf800000, v1, |v0|
	v_ashrrev_i32_e32 v0, 31, v0
	v_cvt_u32_f32_e32 v5, v1
	v_cvt_u32_f32_e32 v4, v4
	s_delay_alu instid0(VALU_DEP_2) | instskip(NEXT) | instid1(VALU_DEP_2)
	v_dual_mov_b32 v1, v0 :: v_dual_bitop2_b32 v5, v5, v0 bitop3:0x14
	v_xor_b32_e32 v4, v4, v0
	s_delay_alu instid0(VALU_DEP_1)
	v_sub_nc_u64_e32 v[0:1], v[4:5], v[0:1]
.LBB54_443:
	s_or_b32 exec_lo, exec_lo, s24
	s_mov_b32 s24, 0
	s_branch .LBB54_449
.LBB54_444:
	s_mov_b32 s26, -1
                                        ; implicit-def: $vgpr0_vgpr1
	s_branch .LBB54_455
.LBB54_445:
	s_and_not1_saveexec_b32 s24, s24
	s_cbranch_execz .LBB54_430
.LBB54_446:
	v_cmp_ne_u16_e32 vcc_lo, 0, v4
	s_and_not1_b32 s26, s26, exec_lo
	s_and_b32 s27, vcc_lo, exec_lo
	s_delay_alu instid0(SALU_CYCLE_1)
	s_or_b32 s26, s26, s27
	s_or_b32 exec_lo, exec_lo, s24
	v_mov_b64_e32 v[0:1], 0
	s_and_saveexec_b32 s24, s26
	s_cbranch_execnz .LBB54_431
	s_branch .LBB54_432
.LBB54_447:
	s_mov_b32 s24, -1
                                        ; implicit-def: $vgpr0_vgpr1
	s_branch .LBB54_452
.LBB54_448:
	s_mov_b32 s24, -1
                                        ; implicit-def: $vgpr0_vgpr1
.LBB54_449:
	s_delay_alu instid0(SALU_CYCLE_1)
	s_and_b32 vcc_lo, exec_lo, s24
	s_cbranch_vccz .LBB54_451
; %bb.450:
	s_wait_loadcnt 0x0
	global_load_u8 v0, v[2:3], off
	s_wait_loadcnt 0x0
	v_lshlrev_b32_e32 v0, 24, v0
	s_delay_alu instid0(VALU_DEP_1) | instskip(NEXT) | instid1(VALU_DEP_1)
	v_and_b32_e32 v1, 0x7f000000, v0
	v_clz_i32_u32_e32 v4, v1
	v_cmp_ne_u32_e32 vcc_lo, 0, v1
	v_add_nc_u32_e32 v6, 0x1000000, v1
	s_delay_alu instid0(VALU_DEP_3) | instskip(NEXT) | instid1(VALU_DEP_1)
	v_min_u32_e32 v4, 32, v4
	v_sub_nc_u32_e64 v4, v4, 4 clamp
	s_delay_alu instid0(VALU_DEP_1) | instskip(NEXT) | instid1(VALU_DEP_1)
	v_dual_lshlrev_b32 v5, v4, v1 :: v_dual_lshlrev_b32 v4, 23, v4
	v_lshrrev_b32_e32 v5, 4, v5
	s_delay_alu instid0(VALU_DEP_1) | instskip(NEXT) | instid1(VALU_DEP_1)
	v_dual_sub_nc_u32 v4, v5, v4 :: v_dual_ashrrev_i32 v5, 8, v6
	v_add_nc_u32_e32 v4, 0x3c000000, v4
	s_delay_alu instid0(VALU_DEP_1) | instskip(NEXT) | instid1(VALU_DEP_1)
	v_and_or_b32 v4, 0x7f800000, v5, v4
	v_cndmask_b32_e32 v1, 0, v4, vcc_lo
	s_delay_alu instid0(VALU_DEP_1) | instskip(NEXT) | instid1(VALU_DEP_1)
	v_and_or_b32 v0, 0x80000000, v0, v1
	v_trunc_f32_e32 v0, v0
	s_delay_alu instid0(VALU_DEP_1) | instskip(NEXT) | instid1(VALU_DEP_1)
	v_mul_f32_e64 v1, 0x2f800000, |v0|
	v_floor_f32_e32 v1, v1
	s_delay_alu instid0(VALU_DEP_1) | instskip(SKIP_2) | instid1(VALU_DEP_3)
	v_fma_f32 v4, 0xcf800000, v1, |v0|
	v_ashrrev_i32_e32 v0, 31, v0
	v_cvt_u32_f32_e32 v5, v1
	v_cvt_u32_f32_e32 v4, v4
	s_delay_alu instid0(VALU_DEP_2) | instskip(NEXT) | instid1(VALU_DEP_2)
	v_dual_mov_b32 v1, v0 :: v_dual_bitop2_b32 v5, v5, v0 bitop3:0x14
	v_xor_b32_e32 v4, v4, v0
	s_delay_alu instid0(VALU_DEP_1)
	v_sub_nc_u64_e32 v[0:1], v[4:5], v[0:1]
.LBB54_451:
	s_mov_b32 s24, 0
.LBB54_452:
	s_delay_alu instid0(SALU_CYCLE_1)
	s_and_not1_b32 vcc_lo, exec_lo, s24
	s_cbranch_vccnz .LBB54_454
; %bb.453:
	s_wait_loadcnt 0x0
	global_load_u8 v0, v[2:3], off
	s_wait_loadcnt 0x0
	v_lshlrev_b32_e32 v1, 25, v0
	v_lshlrev_b16 v0, 8, v0
	s_delay_alu instid0(VALU_DEP_1) | instskip(SKIP_1) | instid1(VALU_DEP_2)
	v_and_or_b32 v5, 0x7f00, v0, 0.5
	v_bfe_i32 v0, v0, 0, 16
	v_add_f32_e32 v5, -0.5, v5
	v_lshrrev_b32_e32 v4, 4, v1
	v_cmp_gt_u32_e32 vcc_lo, 0x8000000, v1
	s_delay_alu instid0(VALU_DEP_2) | instskip(NEXT) | instid1(VALU_DEP_1)
	v_or_b32_e32 v4, 0x70000000, v4
	v_mul_f32_e32 v4, 0x7800000, v4
	s_delay_alu instid0(VALU_DEP_1) | instskip(NEXT) | instid1(VALU_DEP_1)
	v_cndmask_b32_e32 v1, v4, v5, vcc_lo
	v_and_or_b32 v0, 0x80000000, v0, v1
	s_delay_alu instid0(VALU_DEP_1) | instskip(NEXT) | instid1(VALU_DEP_1)
	v_trunc_f32_e32 v0, v0
	v_mul_f32_e64 v1, 0x2f800000, |v0|
	s_delay_alu instid0(VALU_DEP_1) | instskip(NEXT) | instid1(VALU_DEP_1)
	v_floor_f32_e32 v1, v1
	v_fma_f32 v4, 0xcf800000, v1, |v0|
	v_ashrrev_i32_e32 v0, 31, v0
	v_cvt_u32_f32_e32 v5, v1
	s_delay_alu instid0(VALU_DEP_3) | instskip(NEXT) | instid1(VALU_DEP_2)
	v_cvt_u32_f32_e32 v4, v4
	v_dual_mov_b32 v1, v0 :: v_dual_bitop2_b32 v5, v5, v0 bitop3:0x14
	s_delay_alu instid0(VALU_DEP_2) | instskip(NEXT) | instid1(VALU_DEP_1)
	v_xor_b32_e32 v4, v4, v0
	v_sub_nc_u64_e32 v[0:1], v[4:5], v[0:1]
.LBB54_454:
	s_mov_b32 s26, 0
	s_mov_b32 s24, -1
.LBB54_455:
	s_and_not1_b32 vcc_lo, exec_lo, s26
	s_cbranch_vccnz .LBB54_468
; %bb.456:
	s_cmp_gt_i32 s23, 14
	s_cbranch_scc0 .LBB54_459
; %bb.457:
	s_cmp_eq_u32 s23, 15
	s_cbranch_scc0 .LBB54_462
; %bb.458:
	s_wait_loadcnt 0x0
	global_load_u16 v0, v[2:3], off
	s_mov_b32 s24, -1
	s_mov_b32 s22, 0
	s_wait_loadcnt 0x0
	v_lshlrev_b32_e32 v0, 16, v0
	s_delay_alu instid0(VALU_DEP_1) | instskip(NEXT) | instid1(VALU_DEP_1)
	v_trunc_f32_e32 v0, v0
	v_mul_f32_e64 v1, 0x2f800000, |v0|
	s_delay_alu instid0(VALU_DEP_1) | instskip(NEXT) | instid1(VALU_DEP_1)
	v_floor_f32_e32 v1, v1
	v_fma_f32 v4, 0xcf800000, v1, |v0|
	v_ashrrev_i32_e32 v0, 31, v0
	v_cvt_u32_f32_e32 v5, v1
	s_delay_alu instid0(VALU_DEP_3) | instskip(NEXT) | instid1(VALU_DEP_2)
	v_cvt_u32_f32_e32 v4, v4
	v_dual_mov_b32 v1, v0 :: v_dual_bitop2_b32 v5, v5, v0 bitop3:0x14
	s_delay_alu instid0(VALU_DEP_2) | instskip(NEXT) | instid1(VALU_DEP_1)
	v_xor_b32_e32 v4, v4, v0
	v_sub_nc_u64_e32 v[0:1], v[4:5], v[0:1]
	s_branch .LBB54_463
.LBB54_459:
	s_mov_b32 s26, -1
                                        ; implicit-def: $vgpr0_vgpr1
	s_branch .LBB54_464
.LBB54_460:
	s_and_not1_saveexec_b32 s24, s24
	s_cbranch_execz .LBB54_441
.LBB54_461:
	v_cmp_ne_u16_e32 vcc_lo, 0, v4
	s_and_not1_b32 s26, s26, exec_lo
	s_and_b32 s27, vcc_lo, exec_lo
	s_delay_alu instid0(SALU_CYCLE_1)
	s_or_b32 s26, s26, s27
	s_or_b32 exec_lo, exec_lo, s24
	v_mov_b64_e32 v[0:1], 0
	s_and_saveexec_b32 s24, s26
	s_cbranch_execnz .LBB54_442
	s_branch .LBB54_443
.LBB54_462:
	s_mov_b32 s22, -1
                                        ; implicit-def: $vgpr0_vgpr1
.LBB54_463:
	s_mov_b32 s26, 0
.LBB54_464:
	s_delay_alu instid0(SALU_CYCLE_1)
	s_and_b32 vcc_lo, exec_lo, s26
	s_cbranch_vccz .LBB54_468
; %bb.465:
	s_cmp_eq_u32 s23, 11
	s_cbranch_scc0 .LBB54_467
; %bb.466:
	s_wait_loadcnt 0x0
	global_load_u8 v0, v[2:3], off
	s_mov_b32 s22, 0
	s_mov_b32 s24, -1
	v_mov_b32_e32 v1, s22
	s_wait_loadcnt 0x0
	v_cmp_ne_u16_e32 vcc_lo, 0, v0
	v_cndmask_b32_e64 v0, 0, 1, vcc_lo
	s_branch .LBB54_468
.LBB54_467:
	s_mov_b32 s22, -1
                                        ; implicit-def: $vgpr0_vgpr1
.LBB54_468:
	s_branch .LBB54_387
.LBB54_469:
	s_and_b32 s0, 0xffff, s0
	s_delay_alu instid0(SALU_CYCLE_1)
	s_cmp_lt_i32 s0, 5
	s_cbranch_scc1 .LBB54_474
; %bb.470:
	s_cmp_lt_i32 s0, 8
	s_cbranch_scc1 .LBB54_475
; %bb.471:
	;; [unrolled: 3-line block ×3, first 2 shown]
	s_cmp_gt_i32 s0, 9
	s_cbranch_scc0 .LBB54_477
; %bb.473:
	s_wait_loadcnt 0x0
	global_load_b64 v[0:1], v[2:3], off
	s_mov_b32 s23, 0
	s_wait_loadcnt 0x0
	v_trunc_f64_e32 v[0:1], v[0:1]
	s_delay_alu instid0(VALU_DEP_1) | instskip(NEXT) | instid1(VALU_DEP_1)
	v_ldexp_f64 v[4:5], v[0:1], 0xffffffe0
	v_floor_f64_e32 v[4:5], v[4:5]
	s_delay_alu instid0(VALU_DEP_1) | instskip(SKIP_1) | instid1(VALU_DEP_2)
	v_fmamk_f64 v[6:7], v[4:5], 0xc1f00000, v[0:1]
	v_cvt_i32_f64_e32 v1, v[4:5]
	v_cvt_u32_f64_e32 v0, v[6:7]
	s_branch .LBB54_478
.LBB54_474:
	s_mov_b32 s23, -1
                                        ; implicit-def: $vgpr0_vgpr1
	s_branch .LBB54_496
.LBB54_475:
	s_mov_b32 s23, -1
                                        ; implicit-def: $vgpr0_vgpr1
	s_branch .LBB54_484
.LBB54_476:
	s_mov_b32 s23, -1
                                        ; implicit-def: $vgpr0_vgpr1
	s_branch .LBB54_481
.LBB54_477:
	s_mov_b32 s23, -1
                                        ; implicit-def: $vgpr0_vgpr1
.LBB54_478:
	s_delay_alu instid0(SALU_CYCLE_1)
	s_and_not1_b32 vcc_lo, exec_lo, s23
	s_cbranch_vccnz .LBB54_480
; %bb.479:
	s_wait_loadcnt 0x0
	global_load_b32 v0, v[2:3], off
	s_wait_loadcnt 0x0
	v_trunc_f32_e32 v0, v0
	s_delay_alu instid0(VALU_DEP_1) | instskip(NEXT) | instid1(VALU_DEP_1)
	v_mul_f32_e64 v1, 0x2f800000, |v0|
	v_floor_f32_e32 v1, v1
	s_delay_alu instid0(VALU_DEP_1) | instskip(SKIP_2) | instid1(VALU_DEP_3)
	v_fma_f32 v4, 0xcf800000, v1, |v0|
	v_ashrrev_i32_e32 v0, 31, v0
	v_cvt_u32_f32_e32 v5, v1
	v_cvt_u32_f32_e32 v4, v4
	s_delay_alu instid0(VALU_DEP_2) | instskip(NEXT) | instid1(VALU_DEP_2)
	v_dual_mov_b32 v1, v0 :: v_dual_bitop2_b32 v5, v5, v0 bitop3:0x14
	v_xor_b32_e32 v4, v4, v0
	s_delay_alu instid0(VALU_DEP_1)
	v_sub_nc_u64_e32 v[0:1], v[4:5], v[0:1]
.LBB54_480:
	s_mov_b32 s23, 0
.LBB54_481:
	s_delay_alu instid0(SALU_CYCLE_1)
	s_and_not1_b32 vcc_lo, exec_lo, s23
	s_cbranch_vccnz .LBB54_483
; %bb.482:
	s_wait_loadcnt 0x0
	global_load_b32 v0, v[2:3], off
	s_wait_loadcnt 0x0
	v_cvt_f32_f16_e32 v0, v0
	s_delay_alu instid0(VALU_DEP_1) | instskip(NEXT) | instid1(VALU_DEP_1)
	v_cvt_i32_f32_e32 v0, v0
	v_ashrrev_i32_e32 v1, 31, v0
.LBB54_483:
	s_mov_b32 s23, 0
.LBB54_484:
	s_delay_alu instid0(SALU_CYCLE_1)
	s_and_not1_b32 vcc_lo, exec_lo, s23
	s_cbranch_vccnz .LBB54_495
; %bb.485:
	s_cmp_lt_i32 s0, 6
	s_cbranch_scc1 .LBB54_488
; %bb.486:
	s_cmp_gt_i32 s0, 6
	s_cbranch_scc0 .LBB54_489
; %bb.487:
	s_wait_loadcnt 0x0
	global_load_b64 v[0:1], v[2:3], off
	s_mov_b32 s23, 0
	s_wait_loadcnt 0x0
	v_trunc_f64_e32 v[0:1], v[0:1]
	s_delay_alu instid0(VALU_DEP_1) | instskip(NEXT) | instid1(VALU_DEP_1)
	v_ldexp_f64 v[4:5], v[0:1], 0xffffffe0
	v_floor_f64_e32 v[4:5], v[4:5]
	s_delay_alu instid0(VALU_DEP_1) | instskip(SKIP_1) | instid1(VALU_DEP_2)
	v_fmamk_f64 v[6:7], v[4:5], 0xc1f00000, v[0:1]
	v_cvt_i32_f64_e32 v1, v[4:5]
	v_cvt_u32_f64_e32 v0, v[6:7]
	s_branch .LBB54_490
.LBB54_488:
	s_mov_b32 s23, -1
                                        ; implicit-def: $vgpr0_vgpr1
	s_branch .LBB54_493
.LBB54_489:
	s_mov_b32 s23, -1
                                        ; implicit-def: $vgpr0_vgpr1
.LBB54_490:
	s_delay_alu instid0(SALU_CYCLE_1)
	s_and_not1_b32 vcc_lo, exec_lo, s23
	s_cbranch_vccnz .LBB54_492
; %bb.491:
	s_wait_loadcnt 0x0
	global_load_b32 v0, v[2:3], off
	s_wait_loadcnt 0x0
	v_trunc_f32_e32 v0, v0
	s_delay_alu instid0(VALU_DEP_1) | instskip(NEXT) | instid1(VALU_DEP_1)
	v_mul_f32_e64 v1, 0x2f800000, |v0|
	v_floor_f32_e32 v1, v1
	s_delay_alu instid0(VALU_DEP_1) | instskip(SKIP_2) | instid1(VALU_DEP_3)
	v_fma_f32 v4, 0xcf800000, v1, |v0|
	v_ashrrev_i32_e32 v0, 31, v0
	v_cvt_u32_f32_e32 v5, v1
	v_cvt_u32_f32_e32 v4, v4
	s_delay_alu instid0(VALU_DEP_2) | instskip(NEXT) | instid1(VALU_DEP_2)
	v_dual_mov_b32 v1, v0 :: v_dual_bitop2_b32 v5, v5, v0 bitop3:0x14
	v_xor_b32_e32 v4, v4, v0
	s_delay_alu instid0(VALU_DEP_1)
	v_sub_nc_u64_e32 v[0:1], v[4:5], v[0:1]
.LBB54_492:
	s_mov_b32 s23, 0
.LBB54_493:
	s_delay_alu instid0(SALU_CYCLE_1)
	s_and_not1_b32 vcc_lo, exec_lo, s23
	s_cbranch_vccnz .LBB54_495
; %bb.494:
	s_wait_loadcnt 0x0
	global_load_u16 v0, v[2:3], off
	s_wait_loadcnt 0x0
	v_cvt_f32_f16_e32 v0, v0
	s_delay_alu instid0(VALU_DEP_1) | instskip(NEXT) | instid1(VALU_DEP_1)
	v_cvt_i32_f32_e32 v0, v0
	v_ashrrev_i32_e32 v1, 31, v0
.LBB54_495:
	s_mov_b32 s23, 0
.LBB54_496:
	s_delay_alu instid0(SALU_CYCLE_1)
	s_and_not1_b32 vcc_lo, exec_lo, s23
	s_cbranch_vccnz .LBB54_516
; %bb.497:
	s_cmp_lt_i32 s0, 2
	s_cbranch_scc1 .LBB54_501
; %bb.498:
	s_cmp_lt_i32 s0, 3
	s_cbranch_scc1 .LBB54_502
; %bb.499:
	s_cmp_gt_i32 s0, 3
	s_cbranch_scc0 .LBB54_503
; %bb.500:
	s_wait_loadcnt 0x0
	global_load_b64 v[0:1], v[2:3], off
	s_mov_b32 s23, 0
	s_branch .LBB54_504
.LBB54_501:
	s_mov_b32 s23, -1
                                        ; implicit-def: $vgpr0_vgpr1
	s_branch .LBB54_510
.LBB54_502:
	s_mov_b32 s23, -1
                                        ; implicit-def: $vgpr0_vgpr1
	s_branch .LBB54_507
.LBB54_503:
	s_mov_b32 s23, -1
                                        ; implicit-def: $vgpr0_vgpr1
.LBB54_504:
	s_delay_alu instid0(SALU_CYCLE_1)
	s_and_not1_b32 vcc_lo, exec_lo, s23
	s_cbranch_vccnz .LBB54_506
; %bb.505:
	s_wait_loadcnt 0x0
	global_load_b32 v0, v[2:3], off
	s_wait_loadcnt 0x0
	v_ashrrev_i32_e32 v1, 31, v0
.LBB54_506:
	s_mov_b32 s23, 0
.LBB54_507:
	s_delay_alu instid0(SALU_CYCLE_1)
	s_and_not1_b32 vcc_lo, exec_lo, s23
	s_cbranch_vccnz .LBB54_509
; %bb.508:
	s_wait_loadcnt 0x0
	global_load_u16 v0, v[2:3], off
	s_wait_loadcnt 0x0
	v_bfe_i32 v0, v0, 0, 16
	s_delay_alu instid0(VALU_DEP_1)
	v_ashrrev_i32_e32 v1, 31, v0
.LBB54_509:
	s_mov_b32 s23, 0
.LBB54_510:
	s_delay_alu instid0(SALU_CYCLE_1)
	s_and_not1_b32 vcc_lo, exec_lo, s23
	s_cbranch_vccnz .LBB54_516
; %bb.511:
	s_cmp_gt_i32 s0, 0
	s_mov_b32 s0, 0
	s_cbranch_scc0 .LBB54_513
; %bb.512:
	s_wait_loadcnt 0x0
	global_load_i8 v0, v[2:3], off
	s_wait_loadcnt 0x0
	v_bfe_i32 v0, v0, 0, 16
	s_delay_alu instid0(VALU_DEP_1)
	v_ashrrev_i32_e32 v1, 31, v0
	s_branch .LBB54_514
.LBB54_513:
	s_mov_b32 s0, -1
                                        ; implicit-def: $vgpr0_vgpr1
.LBB54_514:
	s_delay_alu instid0(SALU_CYCLE_1)
	s_and_not1_b32 vcc_lo, exec_lo, s0
	s_cbranch_vccnz .LBB54_516
; %bb.515:
	s_wait_loadcnt 0x0
	global_load_u8 v0, v[2:3], off
	s_mov_b32 s0, 0
	s_delay_alu instid0(SALU_CYCLE_1)
	v_mov_b32_e32 v1, s0
	s_wait_loadcnt 0x0
	v_and_b32_e32 v0, 0xffff, v0
.LBB54_516:
	s_branch .LBB54_388
.LBB54_517:
	s_mov_b32 s26, 0
	s_mov_b32 s0, s18
	;; [unrolled: 1-line block ×3, first 2 shown]
	s_branch .LBB54_757
.LBB54_518:
	s_and_not1_saveexec_b32 s27, s27
	s_cbranch_execz .LBB54_189
.LBB54_519:
	v_add_f32_e32 v2, 0x42800000, v3
	s_and_not1_b32 s26, s26, exec_lo
	s_delay_alu instid0(VALU_DEP_1) | instskip(NEXT) | instid1(VALU_DEP_1)
	v_and_b32_e32 v2, 0xff, v2
	v_cmp_ne_u32_e32 vcc_lo, 0, v2
	s_and_b32 s28, vcc_lo, exec_lo
	s_delay_alu instid0(SALU_CYCLE_1)
	s_or_b32 s26, s26, s28
	s_or_b32 exec_lo, exec_lo, s27
	v_mov_b32_e32 v4, 0
	s_and_saveexec_b32 s27, s26
	s_cbranch_execnz .LBB54_190
	s_branch .LBB54_191
.LBB54_520:
	s_mov_b32 s24, -1
	s_mov_b32 s26, 0
.LBB54_521:
                                        ; implicit-def: $vgpr4_vgpr5
.LBB54_522:
	s_and_b32 vcc_lo, exec_lo, s27
	s_cbranch_vccz .LBB54_526
; %bb.523:
	s_cmp_eq_u32 s23, 44
	s_cbranch_scc0 .LBB54_525
; %bb.524:
	global_load_u8 v8, v[2:3], off
	s_mov_b32 s24, 0
	s_mov_b32 s26, -1
	s_wait_loadcnt 0x0
	v_cmp_ne_u32_e32 vcc_lo, 0, v8
	v_lshlrev_b32_e32 v4, 23, v8
	s_delay_alu instid0(VALU_DEP_1) | instskip(NEXT) | instid1(VALU_DEP_1)
	v_trunc_f32_e32 v4, v4
	v_mul_f32_e64 v5, 0x2f800000, |v4|
	s_delay_alu instid0(VALU_DEP_1) | instskip(NEXT) | instid1(VALU_DEP_1)
	v_floor_f32_e32 v5, v5
	v_fma_f32 v6, 0xcf800000, v5, |v4|
	v_ashrrev_i32_e32 v4, 31, v4
	v_cvt_u32_f32_e32 v7, v5
	s_delay_alu instid0(VALU_DEP_3) | instskip(NEXT) | instid1(VALU_DEP_2)
	v_cvt_u32_f32_e32 v6, v6
	v_dual_mov_b32 v5, v4 :: v_dual_bitop2_b32 v7, v7, v4 bitop3:0x14
	s_delay_alu instid0(VALU_DEP_2) | instskip(NEXT) | instid1(VALU_DEP_1)
	v_xor_b32_e32 v6, v6, v4
	v_sub_nc_u64_e32 v[4:5], v[6:7], v[4:5]
	s_delay_alu instid0(VALU_DEP_1)
	v_dual_cndmask_b32 v5, 0, v5 :: v_dual_cndmask_b32 v4, 0, v4
	s_branch .LBB54_526
.LBB54_525:
	s_mov_b32 s24, -1
                                        ; implicit-def: $vgpr4_vgpr5
.LBB54_526:
	s_mov_b32 s27, 0
.LBB54_527:
	s_delay_alu instid0(SALU_CYCLE_1)
	s_and_b32 vcc_lo, exec_lo, s27
	s_cbranch_vccz .LBB54_531
; %bb.528:
	s_cmp_eq_u32 s23, 29
	s_cbranch_scc0 .LBB54_530
; %bb.529:
	global_load_b64 v[4:5], v[2:3], off
	s_mov_b32 s26, -1
	s_mov_b32 s24, 0
	s_branch .LBB54_531
.LBB54_530:
	s_mov_b32 s24, -1
                                        ; implicit-def: $vgpr4_vgpr5
.LBB54_531:
	s_mov_b32 s27, 0
.LBB54_532:
	s_delay_alu instid0(SALU_CYCLE_1)
	s_and_b32 vcc_lo, exec_lo, s27
	s_cbranch_vccz .LBB54_548
; %bb.533:
	s_cmp_lt_i32 s23, 27
	s_cbranch_scc1 .LBB54_536
; %bb.534:
	s_cmp_gt_i32 s23, 27
	s_cbranch_scc0 .LBB54_537
; %bb.535:
	s_wait_loadcnt 0x0
	global_load_b32 v4, v[2:3], off
	v_mov_b32_e32 v5, 0
	s_mov_b32 s26, 0
	s_branch .LBB54_538
.LBB54_536:
	s_mov_b32 s26, -1
                                        ; implicit-def: $vgpr4_vgpr5
	s_branch .LBB54_541
.LBB54_537:
	s_mov_b32 s26, -1
                                        ; implicit-def: $vgpr4_vgpr5
.LBB54_538:
	s_delay_alu instid0(SALU_CYCLE_1)
	s_and_not1_b32 vcc_lo, exec_lo, s26
	s_cbranch_vccnz .LBB54_540
; %bb.539:
	s_wait_loadcnt 0x0
	global_load_u16 v4, v[2:3], off
	s_mov_b32 s26, 0
	s_delay_alu instid0(SALU_CYCLE_1)
	v_mov_b32_e32 v5, s26
	s_wait_loadcnt 0x0
	v_and_b32_e32 v4, 0xffff, v4
.LBB54_540:
	s_mov_b32 s26, 0
.LBB54_541:
	s_delay_alu instid0(SALU_CYCLE_1)
	s_and_not1_b32 vcc_lo, exec_lo, s26
	s_cbranch_vccnz .LBB54_547
; %bb.542:
	global_load_u8 v6, v[2:3], off
	s_mov_b32 s27, 0
	s_mov_b32 s26, exec_lo
	s_wait_loadcnt 0x0
	v_cmpx_lt_i16_e32 0x7f, v6
	s_xor_b32 s26, exec_lo, s26
	s_cbranch_execz .LBB54_559
; %bb.543:
	v_cmp_ne_u16_e32 vcc_lo, 0x80, v6
	s_and_b32 s27, vcc_lo, exec_lo
	s_and_not1_saveexec_b32 s26, s26
	s_cbranch_execnz .LBB54_560
.LBB54_544:
	s_or_b32 exec_lo, exec_lo, s26
	v_mov_b64_e32 v[4:5], 0
	s_and_saveexec_b32 s26, s27
	s_cbranch_execz .LBB54_546
.LBB54_545:
	v_and_b32_e32 v4, 0xffff, v6
	s_delay_alu instid0(VALU_DEP_1) | instskip(SKIP_1) | instid1(VALU_DEP_2)
	v_and_b32_e32 v5, 7, v4
	v_bfe_u32 v9, v4, 3, 4
	v_clz_i32_u32_e32 v7, v5
	s_delay_alu instid0(VALU_DEP_2) | instskip(NEXT) | instid1(VALU_DEP_2)
	v_cmp_eq_u32_e32 vcc_lo, 0, v9
	v_min_u32_e32 v7, 32, v7
	s_delay_alu instid0(VALU_DEP_1) | instskip(NEXT) | instid1(VALU_DEP_1)
	v_subrev_nc_u32_e32 v8, 28, v7
	v_dual_lshlrev_b32 v4, v8, v4 :: v_dual_sub_nc_u32 v7, 29, v7
	s_delay_alu instid0(VALU_DEP_1) | instskip(NEXT) | instid1(VALU_DEP_2)
	v_dual_lshlrev_b32 v6, 24, v6 :: v_dual_bitop2_b32 v4, 7, v4 bitop3:0x40
	v_cndmask_b32_e32 v7, v9, v7, vcc_lo
	s_delay_alu instid0(VALU_DEP_2) | instskip(NEXT) | instid1(VALU_DEP_3)
	v_cndmask_b32_e32 v4, v5, v4, vcc_lo
	v_and_b32_e32 v5, 0x80000000, v6
	s_delay_alu instid0(VALU_DEP_3) | instskip(NEXT) | instid1(VALU_DEP_3)
	v_lshl_add_u32 v6, v7, 23, 0x3b800000
	v_lshlrev_b32_e32 v4, 20, v4
	s_delay_alu instid0(VALU_DEP_1) | instskip(NEXT) | instid1(VALU_DEP_1)
	v_or3_b32 v4, v5, v6, v4
	v_trunc_f32_e32 v4, v4
	s_delay_alu instid0(VALU_DEP_1) | instskip(NEXT) | instid1(VALU_DEP_1)
	v_mul_f32_e64 v5, 0x2f800000, |v4|
	v_floor_f32_e32 v5, v5
	s_delay_alu instid0(VALU_DEP_1) | instskip(SKIP_2) | instid1(VALU_DEP_3)
	v_fma_f32 v6, 0xcf800000, v5, |v4|
	v_ashrrev_i32_e32 v4, 31, v4
	v_cvt_u32_f32_e32 v7, v5
	v_cvt_u32_f32_e32 v6, v6
	s_delay_alu instid0(VALU_DEP_2) | instskip(NEXT) | instid1(VALU_DEP_2)
	v_dual_mov_b32 v5, v4 :: v_dual_bitop2_b32 v7, v7, v4 bitop3:0x14
	v_xor_b32_e32 v6, v6, v4
	s_delay_alu instid0(VALU_DEP_1)
	v_sub_nc_u64_e32 v[4:5], v[6:7], v[4:5]
.LBB54_546:
	s_or_b32 exec_lo, exec_lo, s26
.LBB54_547:
	s_mov_b32 s26, -1
.LBB54_548:
	s_mov_b32 s27, 0
.LBB54_549:
	s_delay_alu instid0(SALU_CYCLE_1)
	s_and_b32 vcc_lo, exec_lo, s27
	s_cbranch_vccz .LBB54_582
; %bb.550:
	s_cmp_gt_i32 s23, 22
	s_cbranch_scc0 .LBB54_558
; %bb.551:
	s_cmp_lt_i32 s23, 24
	s_cbranch_scc1 .LBB54_561
; %bb.552:
	s_cmp_gt_i32 s23, 24
	s_cbranch_scc0 .LBB54_562
; %bb.553:
	global_load_u8 v6, v[2:3], off
	s_mov_b32 s27, 0
	s_mov_b32 s26, exec_lo
	s_wait_loadcnt 0x0
	v_cmpx_lt_i16_e32 0x7f, v6
	s_xor_b32 s26, exec_lo, s26
	s_cbranch_execz .LBB54_574
; %bb.554:
	v_cmp_ne_u16_e32 vcc_lo, 0x80, v6
	s_and_b32 s27, vcc_lo, exec_lo
	s_and_not1_saveexec_b32 s26, s26
	s_cbranch_execnz .LBB54_575
.LBB54_555:
	s_or_b32 exec_lo, exec_lo, s26
	v_mov_b64_e32 v[4:5], 0
	s_and_saveexec_b32 s26, s27
	s_cbranch_execz .LBB54_557
.LBB54_556:
	v_and_b32_e32 v4, 0xffff, v6
	s_delay_alu instid0(VALU_DEP_1) | instskip(SKIP_1) | instid1(VALU_DEP_2)
	v_and_b32_e32 v5, 3, v4
	v_bfe_u32 v9, v4, 2, 5
	v_clz_i32_u32_e32 v7, v5
	s_delay_alu instid0(VALU_DEP_2) | instskip(NEXT) | instid1(VALU_DEP_2)
	v_cmp_eq_u32_e32 vcc_lo, 0, v9
	v_min_u32_e32 v7, 32, v7
	s_delay_alu instid0(VALU_DEP_1) | instskip(NEXT) | instid1(VALU_DEP_1)
	v_subrev_nc_u32_e32 v8, 29, v7
	v_dual_lshlrev_b32 v4, v8, v4 :: v_dual_sub_nc_u32 v7, 30, v7
	s_delay_alu instid0(VALU_DEP_1) | instskip(NEXT) | instid1(VALU_DEP_2)
	v_dual_lshlrev_b32 v6, 24, v6 :: v_dual_bitop2_b32 v4, 3, v4 bitop3:0x40
	v_cndmask_b32_e32 v7, v9, v7, vcc_lo
	s_delay_alu instid0(VALU_DEP_2) | instskip(NEXT) | instid1(VALU_DEP_3)
	v_cndmask_b32_e32 v4, v5, v4, vcc_lo
	v_and_b32_e32 v5, 0x80000000, v6
	s_delay_alu instid0(VALU_DEP_3) | instskip(NEXT) | instid1(VALU_DEP_3)
	v_lshl_add_u32 v6, v7, 23, 0x37800000
	v_lshlrev_b32_e32 v4, 21, v4
	s_delay_alu instid0(VALU_DEP_1) | instskip(NEXT) | instid1(VALU_DEP_1)
	v_or3_b32 v4, v5, v6, v4
	v_trunc_f32_e32 v4, v4
	s_delay_alu instid0(VALU_DEP_1) | instskip(NEXT) | instid1(VALU_DEP_1)
	v_mul_f32_e64 v5, 0x2f800000, |v4|
	v_floor_f32_e32 v5, v5
	s_delay_alu instid0(VALU_DEP_1) | instskip(SKIP_2) | instid1(VALU_DEP_3)
	v_fma_f32 v6, 0xcf800000, v5, |v4|
	v_ashrrev_i32_e32 v4, 31, v4
	v_cvt_u32_f32_e32 v7, v5
	v_cvt_u32_f32_e32 v6, v6
	s_delay_alu instid0(VALU_DEP_2) | instskip(NEXT) | instid1(VALU_DEP_2)
	v_dual_mov_b32 v5, v4 :: v_dual_bitop2_b32 v7, v7, v4 bitop3:0x14
	v_xor_b32_e32 v6, v6, v4
	s_delay_alu instid0(VALU_DEP_1)
	v_sub_nc_u64_e32 v[4:5], v[6:7], v[4:5]
.LBB54_557:
	s_or_b32 exec_lo, exec_lo, s26
	s_mov_b32 s26, 0
	s_branch .LBB54_563
.LBB54_558:
	s_mov_b32 s27, -1
                                        ; implicit-def: $vgpr4_vgpr5
	s_branch .LBB54_569
.LBB54_559:
	s_and_not1_saveexec_b32 s26, s26
	s_cbranch_execz .LBB54_544
.LBB54_560:
	v_cmp_ne_u16_e32 vcc_lo, 0, v6
	s_and_not1_b32 s27, s27, exec_lo
	s_and_b32 s28, vcc_lo, exec_lo
	s_delay_alu instid0(SALU_CYCLE_1)
	s_or_b32 s27, s27, s28
	s_or_b32 exec_lo, exec_lo, s26
	v_mov_b64_e32 v[4:5], 0
	s_and_saveexec_b32 s26, s27
	s_cbranch_execnz .LBB54_545
	s_branch .LBB54_546
.LBB54_561:
	s_mov_b32 s26, -1
                                        ; implicit-def: $vgpr4_vgpr5
	s_branch .LBB54_566
.LBB54_562:
	s_mov_b32 s26, -1
                                        ; implicit-def: $vgpr4_vgpr5
.LBB54_563:
	s_delay_alu instid0(SALU_CYCLE_1)
	s_and_b32 vcc_lo, exec_lo, s26
	s_cbranch_vccz .LBB54_565
; %bb.564:
	s_wait_loadcnt 0x0
	global_load_u8 v4, v[2:3], off
	s_wait_loadcnt 0x0
	v_lshlrev_b32_e32 v4, 24, v4
	s_delay_alu instid0(VALU_DEP_1) | instskip(NEXT) | instid1(VALU_DEP_1)
	v_and_b32_e32 v5, 0x7f000000, v4
	v_clz_i32_u32_e32 v6, v5
	v_cmp_ne_u32_e32 vcc_lo, 0, v5
	v_add_nc_u32_e32 v8, 0x1000000, v5
	s_delay_alu instid0(VALU_DEP_3) | instskip(NEXT) | instid1(VALU_DEP_1)
	v_min_u32_e32 v6, 32, v6
	v_sub_nc_u32_e64 v6, v6, 4 clamp
	s_delay_alu instid0(VALU_DEP_1) | instskip(NEXT) | instid1(VALU_DEP_1)
	v_dual_lshlrev_b32 v7, v6, v5 :: v_dual_lshlrev_b32 v6, 23, v6
	v_lshrrev_b32_e32 v7, 4, v7
	s_delay_alu instid0(VALU_DEP_1) | instskip(NEXT) | instid1(VALU_DEP_1)
	v_dual_sub_nc_u32 v6, v7, v6 :: v_dual_ashrrev_i32 v7, 8, v8
	v_add_nc_u32_e32 v6, 0x3c000000, v6
	s_delay_alu instid0(VALU_DEP_1) | instskip(NEXT) | instid1(VALU_DEP_1)
	v_and_or_b32 v6, 0x7f800000, v7, v6
	v_cndmask_b32_e32 v5, 0, v6, vcc_lo
	s_delay_alu instid0(VALU_DEP_1) | instskip(NEXT) | instid1(VALU_DEP_1)
	v_and_or_b32 v4, 0x80000000, v4, v5
	v_trunc_f32_e32 v4, v4
	s_delay_alu instid0(VALU_DEP_1) | instskip(NEXT) | instid1(VALU_DEP_1)
	v_mul_f32_e64 v5, 0x2f800000, |v4|
	v_floor_f32_e32 v5, v5
	s_delay_alu instid0(VALU_DEP_1) | instskip(SKIP_2) | instid1(VALU_DEP_3)
	v_fma_f32 v6, 0xcf800000, v5, |v4|
	v_ashrrev_i32_e32 v4, 31, v4
	v_cvt_u32_f32_e32 v7, v5
	v_cvt_u32_f32_e32 v6, v6
	s_delay_alu instid0(VALU_DEP_2) | instskip(NEXT) | instid1(VALU_DEP_2)
	v_dual_mov_b32 v5, v4 :: v_dual_bitop2_b32 v7, v7, v4 bitop3:0x14
	v_xor_b32_e32 v6, v6, v4
	s_delay_alu instid0(VALU_DEP_1)
	v_sub_nc_u64_e32 v[4:5], v[6:7], v[4:5]
.LBB54_565:
	s_mov_b32 s26, 0
.LBB54_566:
	s_delay_alu instid0(SALU_CYCLE_1)
	s_and_not1_b32 vcc_lo, exec_lo, s26
	s_cbranch_vccnz .LBB54_568
; %bb.567:
	s_wait_loadcnt 0x0
	global_load_u8 v4, v[2:3], off
	s_wait_loadcnt 0x0
	v_lshlrev_b32_e32 v5, 25, v4
	v_lshlrev_b16 v4, 8, v4
	s_delay_alu instid0(VALU_DEP_1) | instskip(SKIP_1) | instid1(VALU_DEP_2)
	v_and_or_b32 v7, 0x7f00, v4, 0.5
	v_bfe_i32 v4, v4, 0, 16
	v_dual_add_f32 v7, -0.5, v7 :: v_dual_lshrrev_b32 v6, 4, v5
	v_cmp_gt_u32_e32 vcc_lo, 0x8000000, v5
	s_delay_alu instid0(VALU_DEP_2) | instskip(NEXT) | instid1(VALU_DEP_1)
	v_or_b32_e32 v6, 0x70000000, v6
	v_mul_f32_e32 v6, 0x7800000, v6
	s_delay_alu instid0(VALU_DEP_1) | instskip(NEXT) | instid1(VALU_DEP_1)
	v_cndmask_b32_e32 v5, v6, v7, vcc_lo
	v_and_or_b32 v4, 0x80000000, v4, v5
	s_delay_alu instid0(VALU_DEP_1) | instskip(NEXT) | instid1(VALU_DEP_1)
	v_trunc_f32_e32 v4, v4
	v_mul_f32_e64 v5, 0x2f800000, |v4|
	s_delay_alu instid0(VALU_DEP_1) | instskip(NEXT) | instid1(VALU_DEP_1)
	v_floor_f32_e32 v5, v5
	v_fma_f32 v6, 0xcf800000, v5, |v4|
	v_ashrrev_i32_e32 v4, 31, v4
	v_cvt_u32_f32_e32 v7, v5
	s_delay_alu instid0(VALU_DEP_3) | instskip(NEXT) | instid1(VALU_DEP_2)
	v_cvt_u32_f32_e32 v6, v6
	v_dual_mov_b32 v5, v4 :: v_dual_bitop2_b32 v7, v7, v4 bitop3:0x14
	s_delay_alu instid0(VALU_DEP_2) | instskip(NEXT) | instid1(VALU_DEP_1)
	v_xor_b32_e32 v6, v6, v4
	v_sub_nc_u64_e32 v[4:5], v[6:7], v[4:5]
.LBB54_568:
	s_mov_b32 s27, 0
	s_mov_b32 s26, -1
.LBB54_569:
	s_and_not1_b32 vcc_lo, exec_lo, s27
	s_cbranch_vccnz .LBB54_582
; %bb.570:
	s_cmp_gt_i32 s23, 14
	s_cbranch_scc0 .LBB54_573
; %bb.571:
	s_cmp_eq_u32 s23, 15
	s_cbranch_scc0 .LBB54_576
; %bb.572:
	s_wait_loadcnt 0x0
	global_load_u16 v4, v[2:3], off
	s_mov_b32 s26, -1
	s_mov_b32 s24, 0
	s_wait_loadcnt 0x0
	v_lshlrev_b32_e32 v4, 16, v4
	s_delay_alu instid0(VALU_DEP_1) | instskip(NEXT) | instid1(VALU_DEP_1)
	v_trunc_f32_e32 v4, v4
	v_mul_f32_e64 v5, 0x2f800000, |v4|
	s_delay_alu instid0(VALU_DEP_1) | instskip(NEXT) | instid1(VALU_DEP_1)
	v_floor_f32_e32 v5, v5
	v_fma_f32 v6, 0xcf800000, v5, |v4|
	v_ashrrev_i32_e32 v4, 31, v4
	v_cvt_u32_f32_e32 v7, v5
	s_delay_alu instid0(VALU_DEP_3) | instskip(NEXT) | instid1(VALU_DEP_2)
	v_cvt_u32_f32_e32 v6, v6
	v_dual_mov_b32 v5, v4 :: v_dual_bitop2_b32 v7, v7, v4 bitop3:0x14
	s_delay_alu instid0(VALU_DEP_2) | instskip(NEXT) | instid1(VALU_DEP_1)
	v_xor_b32_e32 v6, v6, v4
	v_sub_nc_u64_e32 v[4:5], v[6:7], v[4:5]
	s_branch .LBB54_577
.LBB54_573:
	s_mov_b32 s27, -1
                                        ; implicit-def: $vgpr4_vgpr5
	s_branch .LBB54_578
.LBB54_574:
	s_and_not1_saveexec_b32 s26, s26
	s_cbranch_execz .LBB54_555
.LBB54_575:
	v_cmp_ne_u16_e32 vcc_lo, 0, v6
	s_and_not1_b32 s27, s27, exec_lo
	s_and_b32 s28, vcc_lo, exec_lo
	s_delay_alu instid0(SALU_CYCLE_1)
	s_or_b32 s27, s27, s28
	s_or_b32 exec_lo, exec_lo, s26
	v_mov_b64_e32 v[4:5], 0
	s_and_saveexec_b32 s26, s27
	s_cbranch_execnz .LBB54_556
	s_branch .LBB54_557
.LBB54_576:
	s_mov_b32 s24, -1
                                        ; implicit-def: $vgpr4_vgpr5
.LBB54_577:
	s_mov_b32 s27, 0
.LBB54_578:
	s_delay_alu instid0(SALU_CYCLE_1)
	s_and_b32 vcc_lo, exec_lo, s27
	s_cbranch_vccz .LBB54_582
; %bb.579:
	s_cmp_eq_u32 s23, 11
	s_cbranch_scc0 .LBB54_581
; %bb.580:
	s_wait_loadcnt 0x0
	global_load_u8 v4, v[2:3], off
	s_mov_b32 s24, 0
	s_mov_b32 s26, -1
	v_mov_b32_e32 v5, s24
	s_wait_loadcnt 0x0
	v_cmp_ne_u16_e32 vcc_lo, 0, v4
	v_cndmask_b32_e64 v4, 0, 1, vcc_lo
	s_branch .LBB54_582
.LBB54_581:
	s_mov_b32 s24, -1
                                        ; implicit-def: $vgpr4_vgpr5
.LBB54_582:
	s_mov_b32 s23, 0
.LBB54_583:
	s_delay_alu instid0(SALU_CYCLE_1)
	s_and_b32 vcc_lo, exec_lo, s23
	s_cbranch_vccz .LBB54_632
; %bb.584:
	s_and_b32 s0, 0xffff, s0
	s_delay_alu instid0(SALU_CYCLE_1)
	s_cmp_lt_i32 s0, 5
	s_cbranch_scc1 .LBB54_589
; %bb.585:
	s_cmp_lt_i32 s0, 8
	s_cbranch_scc1 .LBB54_590
; %bb.586:
	;; [unrolled: 3-line block ×3, first 2 shown]
	s_cmp_gt_i32 s0, 9
	s_cbranch_scc0 .LBB54_592
; %bb.588:
	s_wait_loadcnt 0x0
	global_load_b64 v[4:5], v[2:3], off
	s_mov_b32 s23, 0
	s_wait_loadcnt 0x0
	v_trunc_f64_e32 v[4:5], v[4:5]
	s_delay_alu instid0(VALU_DEP_1) | instskip(NEXT) | instid1(VALU_DEP_1)
	v_ldexp_f64 v[6:7], v[4:5], 0xffffffe0
	v_floor_f64_e32 v[6:7], v[6:7]
	s_delay_alu instid0(VALU_DEP_1) | instskip(SKIP_1) | instid1(VALU_DEP_2)
	v_fmamk_f64 v[8:9], v[6:7], 0xc1f00000, v[4:5]
	v_cvt_i32_f64_e32 v5, v[6:7]
	v_cvt_u32_f64_e32 v4, v[8:9]
	s_branch .LBB54_593
.LBB54_589:
	s_mov_b32 s23, -1
                                        ; implicit-def: $vgpr4_vgpr5
	s_branch .LBB54_611
.LBB54_590:
	s_mov_b32 s23, -1
                                        ; implicit-def: $vgpr4_vgpr5
	s_branch .LBB54_599
.LBB54_591:
	s_mov_b32 s23, -1
                                        ; implicit-def: $vgpr4_vgpr5
	s_branch .LBB54_596
.LBB54_592:
	s_mov_b32 s23, -1
                                        ; implicit-def: $vgpr4_vgpr5
.LBB54_593:
	s_delay_alu instid0(SALU_CYCLE_1)
	s_and_not1_b32 vcc_lo, exec_lo, s23
	s_cbranch_vccnz .LBB54_595
; %bb.594:
	s_wait_loadcnt 0x0
	global_load_b32 v4, v[2:3], off
	s_wait_loadcnt 0x0
	v_trunc_f32_e32 v4, v4
	s_delay_alu instid0(VALU_DEP_1) | instskip(NEXT) | instid1(VALU_DEP_1)
	v_mul_f32_e64 v5, 0x2f800000, |v4|
	v_floor_f32_e32 v5, v5
	s_delay_alu instid0(VALU_DEP_1) | instskip(SKIP_2) | instid1(VALU_DEP_3)
	v_fma_f32 v6, 0xcf800000, v5, |v4|
	v_ashrrev_i32_e32 v4, 31, v4
	v_cvt_u32_f32_e32 v7, v5
	v_cvt_u32_f32_e32 v6, v6
	s_delay_alu instid0(VALU_DEP_2) | instskip(NEXT) | instid1(VALU_DEP_2)
	v_dual_mov_b32 v5, v4 :: v_dual_bitop2_b32 v7, v7, v4 bitop3:0x14
	v_xor_b32_e32 v6, v6, v4
	s_delay_alu instid0(VALU_DEP_1)
	v_sub_nc_u64_e32 v[4:5], v[6:7], v[4:5]
.LBB54_595:
	s_mov_b32 s23, 0
.LBB54_596:
	s_delay_alu instid0(SALU_CYCLE_1)
	s_and_not1_b32 vcc_lo, exec_lo, s23
	s_cbranch_vccnz .LBB54_598
; %bb.597:
	s_wait_loadcnt 0x0
	global_load_b32 v4, v[2:3], off
	s_wait_loadcnt 0x0
	v_cvt_f32_f16_e32 v4, v4
	s_delay_alu instid0(VALU_DEP_1) | instskip(NEXT) | instid1(VALU_DEP_1)
	v_cvt_i32_f32_e32 v4, v4
	v_ashrrev_i32_e32 v5, 31, v4
.LBB54_598:
	s_mov_b32 s23, 0
.LBB54_599:
	s_delay_alu instid0(SALU_CYCLE_1)
	s_and_not1_b32 vcc_lo, exec_lo, s23
	s_cbranch_vccnz .LBB54_610
; %bb.600:
	s_cmp_lt_i32 s0, 6
	s_cbranch_scc1 .LBB54_603
; %bb.601:
	s_cmp_gt_i32 s0, 6
	s_cbranch_scc0 .LBB54_604
; %bb.602:
	s_wait_loadcnt 0x0
	global_load_b64 v[4:5], v[2:3], off
	s_mov_b32 s23, 0
	s_wait_loadcnt 0x0
	v_trunc_f64_e32 v[4:5], v[4:5]
	s_delay_alu instid0(VALU_DEP_1) | instskip(NEXT) | instid1(VALU_DEP_1)
	v_ldexp_f64 v[6:7], v[4:5], 0xffffffe0
	v_floor_f64_e32 v[6:7], v[6:7]
	s_delay_alu instid0(VALU_DEP_1) | instskip(SKIP_1) | instid1(VALU_DEP_2)
	v_fmamk_f64 v[8:9], v[6:7], 0xc1f00000, v[4:5]
	v_cvt_i32_f64_e32 v5, v[6:7]
	v_cvt_u32_f64_e32 v4, v[8:9]
	s_branch .LBB54_605
.LBB54_603:
	s_mov_b32 s23, -1
                                        ; implicit-def: $vgpr4_vgpr5
	s_branch .LBB54_608
.LBB54_604:
	s_mov_b32 s23, -1
                                        ; implicit-def: $vgpr4_vgpr5
.LBB54_605:
	s_delay_alu instid0(SALU_CYCLE_1)
	s_and_not1_b32 vcc_lo, exec_lo, s23
	s_cbranch_vccnz .LBB54_607
; %bb.606:
	s_wait_loadcnt 0x0
	global_load_b32 v4, v[2:3], off
	s_wait_loadcnt 0x0
	v_trunc_f32_e32 v4, v4
	s_delay_alu instid0(VALU_DEP_1) | instskip(NEXT) | instid1(VALU_DEP_1)
	v_mul_f32_e64 v5, 0x2f800000, |v4|
	v_floor_f32_e32 v5, v5
	s_delay_alu instid0(VALU_DEP_1) | instskip(SKIP_2) | instid1(VALU_DEP_3)
	v_fma_f32 v6, 0xcf800000, v5, |v4|
	v_ashrrev_i32_e32 v4, 31, v4
	v_cvt_u32_f32_e32 v7, v5
	v_cvt_u32_f32_e32 v6, v6
	s_delay_alu instid0(VALU_DEP_2) | instskip(NEXT) | instid1(VALU_DEP_2)
	v_dual_mov_b32 v5, v4 :: v_dual_bitop2_b32 v7, v7, v4 bitop3:0x14
	v_xor_b32_e32 v6, v6, v4
	s_delay_alu instid0(VALU_DEP_1)
	v_sub_nc_u64_e32 v[4:5], v[6:7], v[4:5]
.LBB54_607:
	s_mov_b32 s23, 0
.LBB54_608:
	s_delay_alu instid0(SALU_CYCLE_1)
	s_and_not1_b32 vcc_lo, exec_lo, s23
	s_cbranch_vccnz .LBB54_610
; %bb.609:
	s_wait_loadcnt 0x0
	global_load_u16 v4, v[2:3], off
	s_wait_loadcnt 0x0
	v_cvt_f32_f16_e32 v4, v4
	s_delay_alu instid0(VALU_DEP_1) | instskip(NEXT) | instid1(VALU_DEP_1)
	v_cvt_i32_f32_e32 v4, v4
	v_ashrrev_i32_e32 v5, 31, v4
.LBB54_610:
	s_mov_b32 s23, 0
.LBB54_611:
	s_delay_alu instid0(SALU_CYCLE_1)
	s_and_not1_b32 vcc_lo, exec_lo, s23
	s_cbranch_vccnz .LBB54_631
; %bb.612:
	s_cmp_lt_i32 s0, 2
	s_cbranch_scc1 .LBB54_616
; %bb.613:
	s_cmp_lt_i32 s0, 3
	s_cbranch_scc1 .LBB54_617
; %bb.614:
	s_cmp_gt_i32 s0, 3
	s_cbranch_scc0 .LBB54_618
; %bb.615:
	s_wait_loadcnt 0x0
	global_load_b64 v[4:5], v[2:3], off
	s_mov_b32 s23, 0
	s_branch .LBB54_619
.LBB54_616:
	s_mov_b32 s23, -1
                                        ; implicit-def: $vgpr4_vgpr5
	s_branch .LBB54_625
.LBB54_617:
	s_mov_b32 s23, -1
                                        ; implicit-def: $vgpr4_vgpr5
	s_branch .LBB54_622
.LBB54_618:
	s_mov_b32 s23, -1
                                        ; implicit-def: $vgpr4_vgpr5
.LBB54_619:
	s_delay_alu instid0(SALU_CYCLE_1)
	s_and_not1_b32 vcc_lo, exec_lo, s23
	s_cbranch_vccnz .LBB54_621
; %bb.620:
	s_wait_loadcnt 0x0
	global_load_b32 v4, v[2:3], off
	s_wait_loadcnt 0x0
	v_ashrrev_i32_e32 v5, 31, v4
.LBB54_621:
	s_mov_b32 s23, 0
.LBB54_622:
	s_delay_alu instid0(SALU_CYCLE_1)
	s_and_not1_b32 vcc_lo, exec_lo, s23
	s_cbranch_vccnz .LBB54_624
; %bb.623:
	s_wait_loadcnt 0x0
	global_load_u16 v4, v[2:3], off
	s_wait_loadcnt 0x0
	v_bfe_i32 v4, v4, 0, 16
	s_delay_alu instid0(VALU_DEP_1)
	v_ashrrev_i32_e32 v5, 31, v4
.LBB54_624:
	s_mov_b32 s23, 0
.LBB54_625:
	s_delay_alu instid0(SALU_CYCLE_1)
	s_and_not1_b32 vcc_lo, exec_lo, s23
	s_cbranch_vccnz .LBB54_631
; %bb.626:
	s_cmp_gt_i32 s0, 0
	s_mov_b32 s0, 0
	s_cbranch_scc0 .LBB54_628
; %bb.627:
	s_wait_loadcnt 0x0
	global_load_i8 v4, v[2:3], off
	s_wait_loadcnt 0x0
	v_bfe_i32 v4, v4, 0, 16
	s_delay_alu instid0(VALU_DEP_1)
	v_ashrrev_i32_e32 v5, 31, v4
	s_branch .LBB54_629
.LBB54_628:
	s_mov_b32 s0, -1
                                        ; implicit-def: $vgpr4_vgpr5
.LBB54_629:
	s_delay_alu instid0(SALU_CYCLE_1)
	s_and_not1_b32 vcc_lo, exec_lo, s0
	s_cbranch_vccnz .LBB54_631
; %bb.630:
	global_load_u8 v2, v[2:3], off
	s_mov_b32 s0, 0
	s_wait_loadcnt 0x1
	v_mov_b32_e32 v5, s0
	s_wait_loadcnt 0x0
	v_and_b32_e32 v4, 0xffff, v2
.LBB54_631:
	s_mov_b32 s26, -1
.LBB54_632:
	s_delay_alu instid0(SALU_CYCLE_1)
	s_and_not1_b32 vcc_lo, exec_lo, s26
	s_cbranch_vccnz .LBB54_640
; %bb.633:
	s_wait_xcnt 0x0
	v_mul_lo_u32 v2, v18, s8
	s_wait_loadcnt 0x0
	s_delay_alu instid0(VALU_DEP_2) | instskip(SKIP_3) | instid1(VALU_DEP_2)
	v_cmp_ne_u64_e32 vcc_lo, v[0:1], v[4:5]
	s_and_b32 s26, s12, 0xff
	s_xor_b32 s23, s16, vcc_lo
	s_cmp_lt_i32 s26, 11
	v_ashrrev_i32_e32 v3, 31, v2
	s_delay_alu instid0(VALU_DEP_1)
	v_add_nc_u64_e32 v[0:1], s[4:5], v[2:3]
	s_cbranch_scc1 .LBB54_641
; %bb.634:
	s_and_b32 s27, 0xffff, s26
	s_delay_alu instid0(SALU_CYCLE_1)
	s_cmp_gt_i32 s27, 25
	s_cbranch_scc0 .LBB54_642
; %bb.635:
	s_cmp_gt_i32 s27, 28
	s_cbranch_scc0 .LBB54_643
; %bb.636:
	;; [unrolled: 3-line block ×4, first 2 shown]
	s_mov_b32 s29, 0
	s_mov_b32 s0, -1
	s_cmp_eq_u32 s27, 46
	s_mov_b32 s28, 0
	s_cbranch_scc0 .LBB54_646
; %bb.639:
	v_cndmask_b32_e64 v2, 0, 1.0, s23
	s_mov_b32 s28, -1
	s_mov_b32 s0, 0
	s_delay_alu instid0(VALU_DEP_1) | instskip(NEXT) | instid1(VALU_DEP_1)
	v_bfe_u32 v3, v2, 16, 1
	v_add3_u32 v2, v2, v3, 0x7fff
	s_delay_alu instid0(VALU_DEP_1)
	v_lshrrev_b32_e32 v2, 16, v2
	global_store_b32 v[0:1], v2, off
	s_branch .LBB54_646
.LBB54_640:
	s_mov_b32 s26, 0
	s_mov_b32 s0, s18
	s_branch .LBB54_757
.LBB54_641:
	s_mov_b32 s27, -1
	s_mov_b32 s28, 0
	s_mov_b32 s0, s18
	s_branch .LBB54_715
.LBB54_642:
	s_mov_b32 s29, -1
	s_mov_b32 s28, 0
	s_mov_b32 s0, s18
	s_branch .LBB54_673
.LBB54_643:
	s_mov_b32 s29, -1
	s_mov_b32 s28, 0
	s_mov_b32 s0, s18
	s_branch .LBB54_656
.LBB54_644:
	s_mov_b32 s29, -1
	s_mov_b32 s28, 0
	s_mov_b32 s0, s18
	s_branch .LBB54_652
.LBB54_645:
	s_mov_b32 s29, -1
	s_mov_b32 s28, 0
	s_mov_b32 s0, s18
.LBB54_646:
	s_and_b32 vcc_lo, exec_lo, s29
	s_cbranch_vccz .LBB54_651
; %bb.647:
	s_cmp_eq_u32 s27, 44
	s_mov_b32 s0, -1
	s_cbranch_scc0 .LBB54_651
; %bb.648:
	v_cndmask_b32_e64 v4, 0, 1.0, s23
	s_mov_b32 s28, exec_lo
	s_wait_xcnt 0x0
	s_delay_alu instid0(VALU_DEP_1) | instskip(NEXT) | instid1(VALU_DEP_1)
	v_dual_mov_b32 v3, 0xff :: v_dual_lshrrev_b32 v2, 23, v4
	v_cmpx_ne_u32_e32 0xff, v2
; %bb.649:
	v_and_b32_e32 v3, 0x400000, v4
	v_and_or_b32 v4, 0x3fffff, v4, v2
	s_delay_alu instid0(VALU_DEP_2) | instskip(NEXT) | instid1(VALU_DEP_2)
	v_cmp_ne_u32_e32 vcc_lo, 0, v3
	v_cmp_ne_u32_e64 s0, 0, v4
	s_and_b32 s0, vcc_lo, s0
	s_delay_alu instid0(SALU_CYCLE_1) | instskip(NEXT) | instid1(VALU_DEP_1)
	v_cndmask_b32_e64 v3, 0, 1, s0
	v_add_nc_u32_e32 v3, v2, v3
; %bb.650:
	s_or_b32 exec_lo, exec_lo, s28
	s_mov_b32 s28, -1
	s_mov_b32 s0, 0
	global_store_b8 v[0:1], v3, off
.LBB54_651:
	s_mov_b32 s29, 0
.LBB54_652:
	s_delay_alu instid0(SALU_CYCLE_1)
	s_and_b32 vcc_lo, exec_lo, s29
	s_cbranch_vccz .LBB54_655
; %bb.653:
	s_cmp_eq_u32 s27, 29
	s_mov_b32 s0, -1
	s_cbranch_scc0 .LBB54_655
; %bb.654:
	s_mov_b32 s0, 0
	s_wait_xcnt 0x0
	v_cndmask_b32_e64 v2, 0, 1, s23
	v_mov_b32_e32 v3, s0
	s_mov_b32 s28, -1
	s_mov_b32 s29, 0
	global_store_b64 v[0:1], v[2:3], off
	s_branch .LBB54_656
.LBB54_655:
	s_mov_b32 s29, 0
.LBB54_656:
	s_delay_alu instid0(SALU_CYCLE_1)
	s_and_b32 vcc_lo, exec_lo, s29
	s_cbranch_vccz .LBB54_672
; %bb.657:
	s_cmp_lt_i32 s27, 27
	s_mov_b32 s28, -1
	s_cbranch_scc1 .LBB54_663
; %bb.658:
	s_cmp_gt_i32 s27, 27
	s_cbranch_scc0 .LBB54_660
; %bb.659:
	s_wait_xcnt 0x0
	v_cndmask_b32_e64 v2, 0, 1, s23
	s_mov_b32 s28, 0
	global_store_b32 v[0:1], v2, off
.LBB54_660:
	s_and_not1_b32 vcc_lo, exec_lo, s28
	s_cbranch_vccnz .LBB54_662
; %bb.661:
	s_wait_xcnt 0x0
	v_cndmask_b32_e64 v2, 0, 1, s23
	global_store_b16 v[0:1], v2, off
.LBB54_662:
	s_mov_b32 s28, 0
.LBB54_663:
	s_delay_alu instid0(SALU_CYCLE_1)
	s_and_not1_b32 vcc_lo, exec_lo, s28
	s_cbranch_vccnz .LBB54_671
; %bb.664:
	s_wait_xcnt 0x0
	v_cndmask_b32_e64 v3, 0, 1.0, s23
	v_mov_b32_e32 v4, 0x80
	s_mov_b32 s28, exec_lo
	s_delay_alu instid0(VALU_DEP_2)
	v_cmpx_gt_u32_e32 0x43800000, v3
	s_cbranch_execz .LBB54_670
; %bb.665:
	s_mov_b32 s29, 0
	s_mov_b32 s30, exec_lo
                                        ; implicit-def: $vgpr2
	v_cmpx_lt_u32_e32 0x3bffffff, v3
	s_xor_b32 s30, exec_lo, s30
	s_cbranch_execz .LBB54_773
; %bb.666:
	v_bfe_u32 v2, v3, 20, 1
	s_mov_b32 s29, exec_lo
	s_delay_alu instid0(VALU_DEP_1) | instskip(NEXT) | instid1(VALU_DEP_1)
	v_add3_u32 v2, v3, v2, 0x487ffff
                                        ; implicit-def: $vgpr3
	v_lshrrev_b32_e32 v2, 20, v2
	s_and_not1_saveexec_b32 s30, s30
	s_cbranch_execnz .LBB54_774
.LBB54_667:
	s_or_b32 exec_lo, exec_lo, s30
	v_mov_b32_e32 v4, 0
	s_and_saveexec_b32 s30, s29
.LBB54_668:
	v_mov_b32_e32 v4, v2
.LBB54_669:
	s_or_b32 exec_lo, exec_lo, s30
.LBB54_670:
	s_delay_alu instid0(SALU_CYCLE_1)
	s_or_b32 exec_lo, exec_lo, s28
	global_store_b8 v[0:1], v4, off
.LBB54_671:
	s_mov_b32 s28, -1
.LBB54_672:
	s_mov_b32 s29, 0
.LBB54_673:
	s_delay_alu instid0(SALU_CYCLE_1)
	s_and_b32 vcc_lo, exec_lo, s29
	s_cbranch_vccz .LBB54_714
; %bb.674:
	s_cmp_gt_i32 s27, 22
	s_mov_b32 s29, -1
	s_cbranch_scc0 .LBB54_706
; %bb.675:
	s_cmp_lt_i32 s27, 24
	s_mov_b32 s28, -1
	s_cbranch_scc1 .LBB54_695
; %bb.676:
	s_cmp_gt_i32 s27, 24
	s_cbranch_scc0 .LBB54_684
; %bb.677:
	s_wait_xcnt 0x0
	v_cndmask_b32_e64 v3, 0, 1.0, s23
	v_mov_b32_e32 v4, 0x80
	s_mov_b32 s28, exec_lo
	s_delay_alu instid0(VALU_DEP_2)
	v_cmpx_gt_u32_e32 0x47800000, v3
	s_cbranch_execz .LBB54_683
; %bb.678:
	s_mov_b32 s29, 0
	s_mov_b32 s30, exec_lo
                                        ; implicit-def: $vgpr2
	v_cmpx_lt_u32_e32 0x37ffffff, v3
	s_xor_b32 s30, exec_lo, s30
	s_cbranch_execz .LBB54_901
; %bb.679:
	v_bfe_u32 v2, v3, 21, 1
	s_mov_b32 s29, exec_lo
	s_delay_alu instid0(VALU_DEP_1) | instskip(NEXT) | instid1(VALU_DEP_1)
	v_add3_u32 v2, v3, v2, 0x88fffff
                                        ; implicit-def: $vgpr3
	v_lshrrev_b32_e32 v2, 21, v2
	s_and_not1_saveexec_b32 s30, s30
	s_cbranch_execnz .LBB54_902
.LBB54_680:
	s_or_b32 exec_lo, exec_lo, s30
	v_mov_b32_e32 v4, 0
	s_and_saveexec_b32 s30, s29
.LBB54_681:
	v_mov_b32_e32 v4, v2
.LBB54_682:
	s_or_b32 exec_lo, exec_lo, s30
.LBB54_683:
	s_delay_alu instid0(SALU_CYCLE_1)
	s_or_b32 exec_lo, exec_lo, s28
	s_mov_b32 s28, 0
	global_store_b8 v[0:1], v4, off
.LBB54_684:
	s_and_b32 vcc_lo, exec_lo, s28
	s_cbranch_vccz .LBB54_694
; %bb.685:
	s_wait_xcnt 0x0
	v_cndmask_b32_e64 v3, 0, 1.0, s23
	s_mov_b32 s28, exec_lo
                                        ; implicit-def: $vgpr2
	s_delay_alu instid0(VALU_DEP_1)
	v_cmpx_gt_u32_e32 0x43f00000, v3
	s_xor_b32 s28, exec_lo, s28
	s_cbranch_execz .LBB54_691
; %bb.686:
	s_mov_b32 s29, exec_lo
                                        ; implicit-def: $vgpr2
	v_cmpx_lt_u32_e32 0x3c7fffff, v3
	s_xor_b32 s29, exec_lo, s29
; %bb.687:
	v_bfe_u32 v2, v3, 20, 1
	s_delay_alu instid0(VALU_DEP_1) | instskip(NEXT) | instid1(VALU_DEP_1)
	v_add3_u32 v2, v3, v2, 0x407ffff
	v_and_b32_e32 v3, 0xff00000, v2
	v_lshrrev_b32_e32 v2, 20, v2
	s_delay_alu instid0(VALU_DEP_2) | instskip(NEXT) | instid1(VALU_DEP_2)
	v_cmp_ne_u32_e32 vcc_lo, 0x7f00000, v3
                                        ; implicit-def: $vgpr3
	v_cndmask_b32_e32 v2, 0x7e, v2, vcc_lo
; %bb.688:
	s_and_not1_saveexec_b32 s29, s29
; %bb.689:
	v_add_f32_e32 v2, 0x46800000, v3
; %bb.690:
	s_or_b32 exec_lo, exec_lo, s29
                                        ; implicit-def: $vgpr3
.LBB54_691:
	s_and_not1_saveexec_b32 s28, s28
; %bb.692:
	v_mov_b32_e32 v2, 0x7f
	v_cmp_lt_u32_e32 vcc_lo, 0x7f800000, v3
	s_delay_alu instid0(VALU_DEP_2)
	v_cndmask_b32_e32 v2, 0x7e, v2, vcc_lo
; %bb.693:
	s_or_b32 exec_lo, exec_lo, s28
	global_store_b8 v[0:1], v2, off
.LBB54_694:
	s_mov_b32 s28, 0
.LBB54_695:
	s_delay_alu instid0(SALU_CYCLE_1)
	s_and_not1_b32 vcc_lo, exec_lo, s28
	s_cbranch_vccnz .LBB54_705
; %bb.696:
	s_wait_xcnt 0x0
	v_cndmask_b32_e64 v3, 0, 1.0, s23
	s_mov_b32 s28, exec_lo
                                        ; implicit-def: $vgpr2
	s_delay_alu instid0(VALU_DEP_1)
	v_cmpx_gt_u32_e32 0x47800000, v3
	s_xor_b32 s28, exec_lo, s28
	s_cbranch_execz .LBB54_702
; %bb.697:
	s_mov_b32 s29, exec_lo
                                        ; implicit-def: $vgpr2
	v_cmpx_lt_u32_e32 0x387fffff, v3
	s_xor_b32 s29, exec_lo, s29
; %bb.698:
	v_bfe_u32 v2, v3, 21, 1
	s_delay_alu instid0(VALU_DEP_1) | instskip(NEXT) | instid1(VALU_DEP_1)
	v_add3_u32 v2, v3, v2, 0x80fffff
                                        ; implicit-def: $vgpr3
	v_lshrrev_b32_e32 v2, 21, v2
; %bb.699:
	s_and_not1_saveexec_b32 s29, s29
; %bb.700:
	v_add_f32_e32 v2, 0x43000000, v3
; %bb.701:
	s_or_b32 exec_lo, exec_lo, s29
                                        ; implicit-def: $vgpr3
.LBB54_702:
	s_and_not1_saveexec_b32 s28, s28
; %bb.703:
	v_mov_b32_e32 v2, 0x7f
	v_cmp_lt_u32_e32 vcc_lo, 0x7f800000, v3
	s_delay_alu instid0(VALU_DEP_2)
	v_cndmask_b32_e32 v2, 0x7c, v2, vcc_lo
; %bb.704:
	s_or_b32 exec_lo, exec_lo, s28
	global_store_b8 v[0:1], v2, off
.LBB54_705:
	s_mov_b32 s29, 0
	s_mov_b32 s28, -1
.LBB54_706:
	s_and_not1_b32 vcc_lo, exec_lo, s29
	s_cbranch_vccnz .LBB54_714
; %bb.707:
	s_cmp_gt_i32 s27, 14
	s_mov_b32 s29, -1
	s_cbranch_scc0 .LBB54_711
; %bb.708:
	s_cmp_eq_u32 s27, 15
	s_mov_b32 s0, -1
	s_cbranch_scc0 .LBB54_710
; %bb.709:
	s_wait_xcnt 0x0
	v_cndmask_b32_e64 v2, 0, 1.0, s23
	s_mov_b32 s28, -1
	s_mov_b32 s0, 0
	s_delay_alu instid0(VALU_DEP_1) | instskip(NEXT) | instid1(VALU_DEP_1)
	v_bfe_u32 v3, v2, 16, 1
	v_add3_u32 v2, v2, v3, 0x7fff
	global_store_d16_hi_b16 v[0:1], v2, off
.LBB54_710:
	s_mov_b32 s29, 0
.LBB54_711:
	s_delay_alu instid0(SALU_CYCLE_1)
	s_and_b32 vcc_lo, exec_lo, s29
	s_cbranch_vccz .LBB54_714
; %bb.712:
	s_cmp_eq_u32 s27, 11
	s_mov_b32 s0, -1
	s_cbranch_scc0 .LBB54_714
; %bb.713:
	s_wait_xcnt 0x0
	v_cndmask_b32_e64 v2, 0, 1, s23
	s_mov_b32 s28, -1
	s_mov_b32 s0, 0
	global_store_b8 v[0:1], v2, off
.LBB54_714:
	s_mov_b32 s27, 0
.LBB54_715:
	s_delay_alu instid0(SALU_CYCLE_1)
	s_and_b32 vcc_lo, exec_lo, s27
	s_cbranch_vccz .LBB54_754
; %bb.716:
	s_and_b32 s26, 0xffff, s26
	s_mov_b32 s27, -1
	s_cmp_lt_i32 s26, 5
	s_cbranch_scc1 .LBB54_737
; %bb.717:
	s_cmp_lt_i32 s26, 8
	s_cbranch_scc1 .LBB54_727
; %bb.718:
	;; [unrolled: 3-line block ×3, first 2 shown]
	s_cmp_gt_i32 s26, 9
	s_cbranch_scc0 .LBB54_721
; %bb.720:
	s_wait_xcnt 0x0
	v_cndmask_b32_e64 v2, 0, 1, s23
	v_mov_b32_e32 v4, 0
	s_mov_b32 s27, 0
	s_delay_alu instid0(VALU_DEP_2) | instskip(NEXT) | instid1(VALU_DEP_2)
	v_cvt_f64_u32_e32 v[2:3], v2
	v_mov_b32_e32 v5, v4
	global_store_b128 v[0:1], v[2:5], off
.LBB54_721:
	s_and_not1_b32 vcc_lo, exec_lo, s27
	s_cbranch_vccnz .LBB54_723
; %bb.722:
	s_wait_xcnt 0x0
	v_cndmask_b32_e64 v2, 0, 1.0, s23
	v_mov_b32_e32 v3, 0
	global_store_b64 v[0:1], v[2:3], off
.LBB54_723:
	s_mov_b32 s27, 0
.LBB54_724:
	s_delay_alu instid0(SALU_CYCLE_1)
	s_and_not1_b32 vcc_lo, exec_lo, s27
	s_cbranch_vccnz .LBB54_726
; %bb.725:
	s_wait_xcnt 0x0
	v_cndmask_b32_e64 v2, 0, 1.0, s23
	s_delay_alu instid0(VALU_DEP_1) | instskip(NEXT) | instid1(VALU_DEP_1)
	v_cvt_f16_f32_e32 v2, v2
	v_and_b32_e32 v2, 0xffff, v2
	global_store_b32 v[0:1], v2, off
.LBB54_726:
	s_mov_b32 s27, 0
.LBB54_727:
	s_delay_alu instid0(SALU_CYCLE_1)
	s_and_not1_b32 vcc_lo, exec_lo, s27
	s_cbranch_vccnz .LBB54_736
; %bb.728:
	s_cmp_lt_i32 s26, 6
	s_mov_b32 s27, -1
	s_cbranch_scc1 .LBB54_734
; %bb.729:
	s_cmp_gt_i32 s26, 6
	s_cbranch_scc0 .LBB54_731
; %bb.730:
	s_wait_xcnt 0x0
	v_cndmask_b32_e64 v2, 0, 1, s23
	s_mov_b32 s27, 0
	s_delay_alu instid0(VALU_DEP_1)
	v_cvt_f64_u32_e32 v[2:3], v2
	global_store_b64 v[0:1], v[2:3], off
.LBB54_731:
	s_and_not1_b32 vcc_lo, exec_lo, s27
	s_cbranch_vccnz .LBB54_733
; %bb.732:
	s_wait_xcnt 0x0
	v_cndmask_b32_e64 v2, 0, 1.0, s23
	global_store_b32 v[0:1], v2, off
.LBB54_733:
	s_mov_b32 s27, 0
.LBB54_734:
	s_delay_alu instid0(SALU_CYCLE_1)
	s_and_not1_b32 vcc_lo, exec_lo, s27
	s_cbranch_vccnz .LBB54_736
; %bb.735:
	s_wait_xcnt 0x0
	v_cndmask_b32_e64 v2, 0, 1.0, s23
	s_delay_alu instid0(VALU_DEP_1)
	v_cvt_f16_f32_e32 v2, v2
	global_store_b16 v[0:1], v2, off
.LBB54_736:
	s_mov_b32 s27, 0
.LBB54_737:
	s_delay_alu instid0(SALU_CYCLE_1)
	s_and_not1_b32 vcc_lo, exec_lo, s27
	s_cbranch_vccnz .LBB54_753
; %bb.738:
	s_cmp_lt_i32 s26, 2
	s_mov_b32 s27, -1
	s_cbranch_scc1 .LBB54_748
; %bb.739:
	s_cmp_lt_i32 s26, 3
	s_cbranch_scc1 .LBB54_745
; %bb.740:
	s_cmp_gt_i32 s26, 3
	s_cbranch_scc0 .LBB54_742
; %bb.741:
	s_mov_b32 s27, 0
	s_wait_xcnt 0x0
	v_cndmask_b32_e64 v2, 0, 1, s23
	v_mov_b32_e32 v3, s27
	global_store_b64 v[0:1], v[2:3], off
.LBB54_742:
	s_and_not1_b32 vcc_lo, exec_lo, s27
	s_cbranch_vccnz .LBB54_744
; %bb.743:
	s_wait_xcnt 0x0
	v_cndmask_b32_e64 v2, 0, 1, s23
	global_store_b32 v[0:1], v2, off
.LBB54_744:
	s_mov_b32 s27, 0
.LBB54_745:
	s_delay_alu instid0(SALU_CYCLE_1)
	s_and_not1_b32 vcc_lo, exec_lo, s27
	s_cbranch_vccnz .LBB54_747
; %bb.746:
	s_wait_xcnt 0x0
	v_cndmask_b32_e64 v2, 0, 1, s23
	global_store_b16 v[0:1], v2, off
.LBB54_747:
	s_mov_b32 s27, 0
.LBB54_748:
	s_delay_alu instid0(SALU_CYCLE_1)
	s_and_not1_b32 vcc_lo, exec_lo, s27
	s_cbranch_vccnz .LBB54_753
; %bb.749:
	s_wait_xcnt 0x0
	v_cndmask_b32_e64 v2, 0, 1, s23
	s_cmp_gt_i32 s26, 0
	s_mov_b32 s23, -1
	s_cbranch_scc0 .LBB54_751
; %bb.750:
	s_mov_b32 s23, 0
	global_store_b8 v[0:1], v2, off
.LBB54_751:
	s_and_not1_b32 vcc_lo, exec_lo, s23
	s_cbranch_vccnz .LBB54_753
; %bb.752:
	global_store_b8 v[0:1], v2, off
.LBB54_753:
	s_mov_b32 s28, -1
.LBB54_754:
	s_delay_alu instid0(SALU_CYCLE_1)
	s_and_not1_b32 vcc_lo, exec_lo, s28
	s_cbranch_vccnz .LBB54_756
; %bb.755:
	v_add_nc_u32_e32 v18, 0x80, v18
	s_mov_b32 s26, -1
	s_branch .LBB54_758
.LBB54_756:
	s_mov_b32 s26, 0
.LBB54_757:
                                        ; implicit-def: $vgpr18
.LBB54_758:
	s_and_not1_b32 s23, s18, exec_lo
	s_and_b32 s0, s0, exec_lo
	s_and_b32 s24, s24, exec_lo
	s_or_b32 s23, s23, s0
	s_and_not1_b32 s0, s19, exec_lo
	s_and_not1_b32 s27, s20, exec_lo
	s_and_b32 s22, s22, exec_lo
	s_or_b32 s24, s0, s24
	s_or_b32 s22, s27, s22
	s_or_not1_b32 s27, s26, exec_lo
.LBB54_759:
	s_wait_xcnt 0x0
	s_or_b32 exec_lo, exec_lo, s25
	s_mov_b32 s26, 0
	s_mov_b32 s28, 0
	;; [unrolled: 1-line block ×3, first 2 shown]
                                        ; implicit-def: $sgpr0
                                        ; implicit-def: $vgpr2_vgpr3
                                        ; implicit-def: $vgpr0_vgpr1
	s_and_saveexec_b32 s25, s27
	s_cbranch_execz .LBB54_1222
; %bb.760:
	s_mov_b32 s34, -1
	s_mov_b32 s27, s22
	s_mov_b32 s28, s24
	;; [unrolled: 1-line block ×3, first 2 shown]
	s_mov_b32 s26, exec_lo
	v_cmpx_gt_i32_e64 s17, v18
	s_cbranch_execz .LBB54_1142
; %bb.761:
	s_wait_loadcnt 0x0
	v_mul_lo_u32 v0, v18, s9
	s_and_b32 s0, s14, 0xff
	s_delay_alu instid0(SALU_CYCLE_1) | instskip(NEXT) | instid1(VALU_DEP_1)
	s_cmp_lt_i32 s0, 11
	v_ashrrev_i32_e32 v1, 31, v0
	s_delay_alu instid0(VALU_DEP_1)
	v_add_nc_u64_e32 v[2:3], s[6:7], v[0:1]
	s_cbranch_scc1 .LBB54_768
; %bb.762:
	s_and_b32 s28, 0xffff, s0
	s_delay_alu instid0(SALU_CYCLE_1)
	s_cmp_gt_i32 s28, 25
	s_cbranch_scc0 .LBB54_769
; %bb.763:
	s_cmp_gt_i32 s28, 28
	s_cbranch_scc0 .LBB54_770
; %bb.764:
	;; [unrolled: 3-line block ×4, first 2 shown]
	s_cmp_eq_u32 s28, 46
	s_mov_b32 s30, 0
	s_cbranch_scc0 .LBB54_775
; %bb.767:
	global_load_b32 v0, v[2:3], off
	s_mov_b32 s29, -1
	s_mov_b32 s27, 0
	s_wait_loadcnt 0x0
	v_lshlrev_b32_e32 v0, 16, v0
	s_delay_alu instid0(VALU_DEP_1) | instskip(NEXT) | instid1(VALU_DEP_1)
	v_trunc_f32_e32 v0, v0
	v_mul_f32_e64 v1, 0x2f800000, |v0|
	s_delay_alu instid0(VALU_DEP_1) | instskip(NEXT) | instid1(VALU_DEP_1)
	v_floor_f32_e32 v1, v1
	v_fma_f32 v4, 0xcf800000, v1, |v0|
	v_ashrrev_i32_e32 v0, 31, v0
	v_cvt_u32_f32_e32 v5, v1
	s_delay_alu instid0(VALU_DEP_3) | instskip(NEXT) | instid1(VALU_DEP_2)
	v_cvt_u32_f32_e32 v4, v4
	v_dual_mov_b32 v1, v0 :: v_dual_bitop2_b32 v5, v5, v0 bitop3:0x14
	s_delay_alu instid0(VALU_DEP_2) | instskip(NEXT) | instid1(VALU_DEP_1)
	v_xor_b32_e32 v4, v4, v0
	v_sub_nc_u64_e32 v[0:1], v[4:5], v[0:1]
	s_branch .LBB54_777
.LBB54_768:
	s_mov_b32 s28, -1
	s_mov_b32 s29, 0
	s_mov_b32 s27, s22
                                        ; implicit-def: $vgpr0_vgpr1
	s_branch .LBB54_838
.LBB54_769:
	s_mov_b32 s30, -1
	s_mov_b32 s29, 0
	s_mov_b32 s27, s22
                                        ; implicit-def: $vgpr0_vgpr1
	s_branch .LBB54_804
.LBB54_770:
	s_mov_b32 s30, -1
	s_mov_b32 s29, 0
	s_mov_b32 s27, s22
                                        ; implicit-def: $vgpr0_vgpr1
	s_branch .LBB54_787
.LBB54_771:
	s_mov_b32 s30, -1
	s_mov_b32 s29, 0
	s_mov_b32 s27, s22
                                        ; implicit-def: $vgpr0_vgpr1
	s_branch .LBB54_782
.LBB54_772:
	s_mov_b32 s30, -1
	s_mov_b32 s29, 0
	s_mov_b32 s27, s22
	s_branch .LBB54_776
.LBB54_773:
	s_and_not1_saveexec_b32 s30, s30
	s_cbranch_execz .LBB54_667
.LBB54_774:
	v_add_f32_e32 v2, 0x46000000, v3
	s_and_not1_b32 s29, s29, exec_lo
	s_delay_alu instid0(VALU_DEP_1) | instskip(NEXT) | instid1(VALU_DEP_1)
	v_and_b32_e32 v2, 0xff, v2
	v_cmp_ne_u32_e32 vcc_lo, 0, v2
	s_and_b32 s31, vcc_lo, exec_lo
	s_delay_alu instid0(SALU_CYCLE_1)
	s_or_b32 s29, s29, s31
	s_or_b32 exec_lo, exec_lo, s30
	v_mov_b32_e32 v4, 0
	s_and_saveexec_b32 s30, s29
	s_cbranch_execnz .LBB54_668
	s_branch .LBB54_669
.LBB54_775:
	s_mov_b32 s27, -1
	s_mov_b32 s29, 0
.LBB54_776:
                                        ; implicit-def: $vgpr0_vgpr1
.LBB54_777:
	s_and_b32 vcc_lo, exec_lo, s30
	s_cbranch_vccz .LBB54_781
; %bb.778:
	s_cmp_eq_u32 s28, 44
	s_cbranch_scc0 .LBB54_780
; %bb.779:
	global_load_u8 v6, v[2:3], off
	s_mov_b32 s27, 0
	s_mov_b32 s29, -1
	s_wait_loadcnt 0x0
	v_cmp_ne_u32_e32 vcc_lo, 0, v6
	v_lshlrev_b32_e32 v0, 23, v6
	s_delay_alu instid0(VALU_DEP_1) | instskip(NEXT) | instid1(VALU_DEP_1)
	v_trunc_f32_e32 v0, v0
	v_mul_f32_e64 v1, 0x2f800000, |v0|
	s_delay_alu instid0(VALU_DEP_1) | instskip(NEXT) | instid1(VALU_DEP_1)
	v_floor_f32_e32 v1, v1
	v_fma_f32 v4, 0xcf800000, v1, |v0|
	v_ashrrev_i32_e32 v0, 31, v0
	v_cvt_u32_f32_e32 v5, v1
	s_delay_alu instid0(VALU_DEP_3) | instskip(NEXT) | instid1(VALU_DEP_2)
	v_cvt_u32_f32_e32 v4, v4
	v_dual_mov_b32 v1, v0 :: v_dual_bitop2_b32 v5, v5, v0 bitop3:0x14
	s_delay_alu instid0(VALU_DEP_2) | instskip(NEXT) | instid1(VALU_DEP_1)
	v_xor_b32_e32 v4, v4, v0
	v_sub_nc_u64_e32 v[0:1], v[4:5], v[0:1]
	s_delay_alu instid0(VALU_DEP_1)
	v_dual_cndmask_b32 v1, 0, v1 :: v_dual_cndmask_b32 v0, 0, v0
	s_branch .LBB54_781
.LBB54_780:
	s_mov_b32 s27, -1
                                        ; implicit-def: $vgpr0_vgpr1
.LBB54_781:
	s_mov_b32 s30, 0
.LBB54_782:
	s_delay_alu instid0(SALU_CYCLE_1)
	s_and_b32 vcc_lo, exec_lo, s30
	s_cbranch_vccz .LBB54_786
; %bb.783:
	s_cmp_eq_u32 s28, 29
	s_cbranch_scc0 .LBB54_785
; %bb.784:
	global_load_b64 v[0:1], v[2:3], off
	s_mov_b32 s29, -1
	s_mov_b32 s27, 0
	s_branch .LBB54_786
.LBB54_785:
	s_mov_b32 s27, -1
                                        ; implicit-def: $vgpr0_vgpr1
.LBB54_786:
	s_mov_b32 s30, 0
.LBB54_787:
	s_delay_alu instid0(SALU_CYCLE_1)
	s_and_b32 vcc_lo, exec_lo, s30
	s_cbranch_vccz .LBB54_803
; %bb.788:
	s_cmp_lt_i32 s28, 27
	s_cbranch_scc1 .LBB54_791
; %bb.789:
	s_cmp_gt_i32 s28, 27
	s_cbranch_scc0 .LBB54_792
; %bb.790:
	s_wait_loadcnt 0x0
	global_load_b32 v0, v[2:3], off
	v_mov_b32_e32 v1, 0
	s_mov_b32 s29, 0
	s_branch .LBB54_793
.LBB54_791:
	s_mov_b32 s29, -1
                                        ; implicit-def: $vgpr0_vgpr1
	s_branch .LBB54_796
.LBB54_792:
	s_mov_b32 s29, -1
                                        ; implicit-def: $vgpr0_vgpr1
.LBB54_793:
	s_delay_alu instid0(SALU_CYCLE_1)
	s_and_not1_b32 vcc_lo, exec_lo, s29
	s_cbranch_vccnz .LBB54_795
; %bb.794:
	s_wait_loadcnt 0x0
	global_load_u16 v0, v[2:3], off
	s_mov_b32 s29, 0
	s_delay_alu instid0(SALU_CYCLE_1)
	v_mov_b32_e32 v1, s29
	s_wait_loadcnt 0x0
	v_and_b32_e32 v0, 0xffff, v0
.LBB54_795:
	s_mov_b32 s29, 0
.LBB54_796:
	s_delay_alu instid0(SALU_CYCLE_1)
	s_and_not1_b32 vcc_lo, exec_lo, s29
	s_cbranch_vccnz .LBB54_802
; %bb.797:
	global_load_u8 v4, v[2:3], off
	s_mov_b32 s30, 0
	s_mov_b32 s29, exec_lo
	s_wait_loadcnt 0x0
	v_cmpx_lt_i16_e32 0x7f, v4
	s_xor_b32 s29, exec_lo, s29
	s_cbranch_execz .LBB54_814
; %bb.798:
	v_cmp_ne_u16_e32 vcc_lo, 0x80, v4
	s_and_b32 s30, vcc_lo, exec_lo
	s_and_not1_saveexec_b32 s29, s29
	s_cbranch_execnz .LBB54_815
.LBB54_799:
	s_or_b32 exec_lo, exec_lo, s29
	v_mov_b64_e32 v[0:1], 0
	s_and_saveexec_b32 s29, s30
	s_cbranch_execz .LBB54_801
.LBB54_800:
	v_and_b32_e32 v0, 0xffff, v4
	s_delay_alu instid0(VALU_DEP_1) | instskip(SKIP_1) | instid1(VALU_DEP_2)
	v_and_b32_e32 v1, 7, v0
	v_bfe_u32 v7, v0, 3, 4
	v_clz_i32_u32_e32 v5, v1
	s_delay_alu instid0(VALU_DEP_2) | instskip(NEXT) | instid1(VALU_DEP_2)
	v_cmp_eq_u32_e32 vcc_lo, 0, v7
	v_min_u32_e32 v5, 32, v5
	s_delay_alu instid0(VALU_DEP_1) | instskip(NEXT) | instid1(VALU_DEP_1)
	v_subrev_nc_u32_e32 v6, 28, v5
	v_dual_lshlrev_b32 v0, v6, v0 :: v_dual_sub_nc_u32 v5, 29, v5
	s_delay_alu instid0(VALU_DEP_1) | instskip(NEXT) | instid1(VALU_DEP_2)
	v_and_b32_e32 v0, 7, v0
	v_dual_cndmask_b32 v5, v7, v5 :: v_dual_lshlrev_b32 v4, 24, v4
	s_delay_alu instid0(VALU_DEP_2) | instskip(NEXT) | instid1(VALU_DEP_2)
	v_cndmask_b32_e32 v0, v1, v0, vcc_lo
	v_and_b32_e32 v1, 0x80000000, v4
	s_delay_alu instid0(VALU_DEP_3) | instskip(NEXT) | instid1(VALU_DEP_3)
	v_lshl_add_u32 v4, v5, 23, 0x3b800000
	v_lshlrev_b32_e32 v0, 20, v0
	s_delay_alu instid0(VALU_DEP_1) | instskip(NEXT) | instid1(VALU_DEP_1)
	v_or3_b32 v0, v1, v4, v0
	v_trunc_f32_e32 v0, v0
	s_delay_alu instid0(VALU_DEP_1) | instskip(NEXT) | instid1(VALU_DEP_1)
	v_mul_f32_e64 v1, 0x2f800000, |v0|
	v_floor_f32_e32 v1, v1
	s_delay_alu instid0(VALU_DEP_1) | instskip(SKIP_2) | instid1(VALU_DEP_3)
	v_fma_f32 v4, 0xcf800000, v1, |v0|
	v_ashrrev_i32_e32 v0, 31, v0
	v_cvt_u32_f32_e32 v5, v1
	v_cvt_u32_f32_e32 v4, v4
	s_delay_alu instid0(VALU_DEP_2) | instskip(NEXT) | instid1(VALU_DEP_2)
	v_dual_mov_b32 v1, v0 :: v_dual_bitop2_b32 v5, v5, v0 bitop3:0x14
	v_xor_b32_e32 v4, v4, v0
	s_delay_alu instid0(VALU_DEP_1)
	v_sub_nc_u64_e32 v[0:1], v[4:5], v[0:1]
.LBB54_801:
	s_or_b32 exec_lo, exec_lo, s29
.LBB54_802:
	s_mov_b32 s29, -1
.LBB54_803:
	s_mov_b32 s30, 0
.LBB54_804:
	s_delay_alu instid0(SALU_CYCLE_1)
	s_and_b32 vcc_lo, exec_lo, s30
	s_cbranch_vccz .LBB54_837
; %bb.805:
	s_cmp_gt_i32 s28, 22
	s_cbranch_scc0 .LBB54_813
; %bb.806:
	s_cmp_lt_i32 s28, 24
	s_cbranch_scc1 .LBB54_816
; %bb.807:
	s_cmp_gt_i32 s28, 24
	s_cbranch_scc0 .LBB54_817
; %bb.808:
	global_load_u8 v4, v[2:3], off
	s_mov_b32 s30, 0
	s_mov_b32 s29, exec_lo
	s_wait_loadcnt 0x0
	v_cmpx_lt_i16_e32 0x7f, v4
	s_xor_b32 s29, exec_lo, s29
	s_cbranch_execz .LBB54_829
; %bb.809:
	v_cmp_ne_u16_e32 vcc_lo, 0x80, v4
	s_and_b32 s30, vcc_lo, exec_lo
	s_and_not1_saveexec_b32 s29, s29
	s_cbranch_execnz .LBB54_830
.LBB54_810:
	s_or_b32 exec_lo, exec_lo, s29
	v_mov_b64_e32 v[0:1], 0
	s_and_saveexec_b32 s29, s30
	s_cbranch_execz .LBB54_812
.LBB54_811:
	v_and_b32_e32 v0, 0xffff, v4
	s_delay_alu instid0(VALU_DEP_1) | instskip(SKIP_1) | instid1(VALU_DEP_2)
	v_and_b32_e32 v1, 3, v0
	v_bfe_u32 v7, v0, 2, 5
	v_clz_i32_u32_e32 v5, v1
	s_delay_alu instid0(VALU_DEP_2) | instskip(NEXT) | instid1(VALU_DEP_2)
	v_cmp_eq_u32_e32 vcc_lo, 0, v7
	v_min_u32_e32 v5, 32, v5
	s_delay_alu instid0(VALU_DEP_1) | instskip(NEXT) | instid1(VALU_DEP_1)
	v_subrev_nc_u32_e32 v6, 29, v5
	v_dual_lshlrev_b32 v0, v6, v0 :: v_dual_sub_nc_u32 v5, 30, v5
	s_delay_alu instid0(VALU_DEP_1) | instskip(NEXT) | instid1(VALU_DEP_2)
	v_and_b32_e32 v0, 3, v0
	v_dual_cndmask_b32 v5, v7, v5 :: v_dual_lshlrev_b32 v4, 24, v4
	s_delay_alu instid0(VALU_DEP_2) | instskip(NEXT) | instid1(VALU_DEP_2)
	v_cndmask_b32_e32 v0, v1, v0, vcc_lo
	v_and_b32_e32 v1, 0x80000000, v4
	s_delay_alu instid0(VALU_DEP_3) | instskip(NEXT) | instid1(VALU_DEP_3)
	v_lshl_add_u32 v4, v5, 23, 0x37800000
	v_lshlrev_b32_e32 v0, 21, v0
	s_delay_alu instid0(VALU_DEP_1) | instskip(NEXT) | instid1(VALU_DEP_1)
	v_or3_b32 v0, v1, v4, v0
	v_trunc_f32_e32 v0, v0
	s_delay_alu instid0(VALU_DEP_1) | instskip(NEXT) | instid1(VALU_DEP_1)
	v_mul_f32_e64 v1, 0x2f800000, |v0|
	v_floor_f32_e32 v1, v1
	s_delay_alu instid0(VALU_DEP_1) | instskip(SKIP_2) | instid1(VALU_DEP_3)
	v_fma_f32 v4, 0xcf800000, v1, |v0|
	v_ashrrev_i32_e32 v0, 31, v0
	v_cvt_u32_f32_e32 v5, v1
	v_cvt_u32_f32_e32 v4, v4
	s_delay_alu instid0(VALU_DEP_2) | instskip(NEXT) | instid1(VALU_DEP_2)
	v_dual_mov_b32 v1, v0 :: v_dual_bitop2_b32 v5, v5, v0 bitop3:0x14
	v_xor_b32_e32 v4, v4, v0
	s_delay_alu instid0(VALU_DEP_1)
	v_sub_nc_u64_e32 v[0:1], v[4:5], v[0:1]
.LBB54_812:
	s_or_b32 exec_lo, exec_lo, s29
	s_mov_b32 s29, 0
	s_branch .LBB54_818
.LBB54_813:
	s_mov_b32 s30, -1
                                        ; implicit-def: $vgpr0_vgpr1
	s_branch .LBB54_824
.LBB54_814:
	s_and_not1_saveexec_b32 s29, s29
	s_cbranch_execz .LBB54_799
.LBB54_815:
	v_cmp_ne_u16_e32 vcc_lo, 0, v4
	s_and_not1_b32 s30, s30, exec_lo
	s_and_b32 s31, vcc_lo, exec_lo
	s_delay_alu instid0(SALU_CYCLE_1)
	s_or_b32 s30, s30, s31
	s_or_b32 exec_lo, exec_lo, s29
	v_mov_b64_e32 v[0:1], 0
	s_and_saveexec_b32 s29, s30
	s_cbranch_execnz .LBB54_800
	s_branch .LBB54_801
.LBB54_816:
	s_mov_b32 s29, -1
                                        ; implicit-def: $vgpr0_vgpr1
	s_branch .LBB54_821
.LBB54_817:
	s_mov_b32 s29, -1
                                        ; implicit-def: $vgpr0_vgpr1
.LBB54_818:
	s_delay_alu instid0(SALU_CYCLE_1)
	s_and_b32 vcc_lo, exec_lo, s29
	s_cbranch_vccz .LBB54_820
; %bb.819:
	s_wait_loadcnt 0x0
	global_load_u8 v0, v[2:3], off
	s_wait_loadcnt 0x0
	v_lshlrev_b32_e32 v0, 24, v0
	s_delay_alu instid0(VALU_DEP_1) | instskip(NEXT) | instid1(VALU_DEP_1)
	v_and_b32_e32 v1, 0x7f000000, v0
	v_clz_i32_u32_e32 v4, v1
	v_cmp_ne_u32_e32 vcc_lo, 0, v1
	v_add_nc_u32_e32 v6, 0x1000000, v1
	s_delay_alu instid0(VALU_DEP_3) | instskip(NEXT) | instid1(VALU_DEP_1)
	v_min_u32_e32 v4, 32, v4
	v_sub_nc_u32_e64 v4, v4, 4 clamp
	s_delay_alu instid0(VALU_DEP_1) | instskip(NEXT) | instid1(VALU_DEP_1)
	v_dual_lshlrev_b32 v5, v4, v1 :: v_dual_lshlrev_b32 v4, 23, v4
	v_lshrrev_b32_e32 v5, 4, v5
	s_delay_alu instid0(VALU_DEP_1) | instskip(NEXT) | instid1(VALU_DEP_1)
	v_dual_sub_nc_u32 v4, v5, v4 :: v_dual_ashrrev_i32 v5, 8, v6
	v_add_nc_u32_e32 v4, 0x3c000000, v4
	s_delay_alu instid0(VALU_DEP_1) | instskip(NEXT) | instid1(VALU_DEP_1)
	v_and_or_b32 v4, 0x7f800000, v5, v4
	v_cndmask_b32_e32 v1, 0, v4, vcc_lo
	s_delay_alu instid0(VALU_DEP_1) | instskip(NEXT) | instid1(VALU_DEP_1)
	v_and_or_b32 v0, 0x80000000, v0, v1
	v_trunc_f32_e32 v0, v0
	s_delay_alu instid0(VALU_DEP_1) | instskip(NEXT) | instid1(VALU_DEP_1)
	v_mul_f32_e64 v1, 0x2f800000, |v0|
	v_floor_f32_e32 v1, v1
	s_delay_alu instid0(VALU_DEP_1) | instskip(SKIP_2) | instid1(VALU_DEP_3)
	v_fma_f32 v4, 0xcf800000, v1, |v0|
	v_ashrrev_i32_e32 v0, 31, v0
	v_cvt_u32_f32_e32 v5, v1
	v_cvt_u32_f32_e32 v4, v4
	s_delay_alu instid0(VALU_DEP_2) | instskip(NEXT) | instid1(VALU_DEP_2)
	v_dual_mov_b32 v1, v0 :: v_dual_bitop2_b32 v5, v5, v0 bitop3:0x14
	v_xor_b32_e32 v4, v4, v0
	s_delay_alu instid0(VALU_DEP_1)
	v_sub_nc_u64_e32 v[0:1], v[4:5], v[0:1]
.LBB54_820:
	s_mov_b32 s29, 0
.LBB54_821:
	s_delay_alu instid0(SALU_CYCLE_1)
	s_and_not1_b32 vcc_lo, exec_lo, s29
	s_cbranch_vccnz .LBB54_823
; %bb.822:
	s_wait_loadcnt 0x0
	global_load_u8 v0, v[2:3], off
	s_wait_loadcnt 0x0
	v_lshlrev_b32_e32 v1, 25, v0
	v_lshlrev_b16 v0, 8, v0
	s_delay_alu instid0(VALU_DEP_1) | instskip(SKIP_1) | instid1(VALU_DEP_2)
	v_and_or_b32 v5, 0x7f00, v0, 0.5
	v_bfe_i32 v0, v0, 0, 16
	v_add_f32_e32 v5, -0.5, v5
	v_lshrrev_b32_e32 v4, 4, v1
	v_cmp_gt_u32_e32 vcc_lo, 0x8000000, v1
	s_delay_alu instid0(VALU_DEP_2) | instskip(NEXT) | instid1(VALU_DEP_1)
	v_or_b32_e32 v4, 0x70000000, v4
	v_mul_f32_e32 v4, 0x7800000, v4
	s_delay_alu instid0(VALU_DEP_1) | instskip(NEXT) | instid1(VALU_DEP_1)
	v_cndmask_b32_e32 v1, v4, v5, vcc_lo
	v_and_or_b32 v0, 0x80000000, v0, v1
	s_delay_alu instid0(VALU_DEP_1) | instskip(NEXT) | instid1(VALU_DEP_1)
	v_trunc_f32_e32 v0, v0
	v_mul_f32_e64 v1, 0x2f800000, |v0|
	s_delay_alu instid0(VALU_DEP_1) | instskip(NEXT) | instid1(VALU_DEP_1)
	v_floor_f32_e32 v1, v1
	v_fma_f32 v4, 0xcf800000, v1, |v0|
	v_ashrrev_i32_e32 v0, 31, v0
	v_cvt_u32_f32_e32 v5, v1
	s_delay_alu instid0(VALU_DEP_3) | instskip(NEXT) | instid1(VALU_DEP_2)
	v_cvt_u32_f32_e32 v4, v4
	v_dual_mov_b32 v1, v0 :: v_dual_bitop2_b32 v5, v5, v0 bitop3:0x14
	s_delay_alu instid0(VALU_DEP_2) | instskip(NEXT) | instid1(VALU_DEP_1)
	v_xor_b32_e32 v4, v4, v0
	v_sub_nc_u64_e32 v[0:1], v[4:5], v[0:1]
.LBB54_823:
	s_mov_b32 s30, 0
	s_mov_b32 s29, -1
.LBB54_824:
	s_and_not1_b32 vcc_lo, exec_lo, s30
	s_cbranch_vccnz .LBB54_837
; %bb.825:
	s_cmp_gt_i32 s28, 14
	s_cbranch_scc0 .LBB54_828
; %bb.826:
	s_cmp_eq_u32 s28, 15
	s_cbranch_scc0 .LBB54_831
; %bb.827:
	s_wait_loadcnt 0x0
	global_load_u16 v0, v[2:3], off
	s_mov_b32 s29, -1
	s_mov_b32 s27, 0
	s_wait_loadcnt 0x0
	v_lshlrev_b32_e32 v0, 16, v0
	s_delay_alu instid0(VALU_DEP_1) | instskip(NEXT) | instid1(VALU_DEP_1)
	v_trunc_f32_e32 v0, v0
	v_mul_f32_e64 v1, 0x2f800000, |v0|
	s_delay_alu instid0(VALU_DEP_1) | instskip(NEXT) | instid1(VALU_DEP_1)
	v_floor_f32_e32 v1, v1
	v_fma_f32 v4, 0xcf800000, v1, |v0|
	v_ashrrev_i32_e32 v0, 31, v0
	v_cvt_u32_f32_e32 v5, v1
	s_delay_alu instid0(VALU_DEP_3) | instskip(NEXT) | instid1(VALU_DEP_2)
	v_cvt_u32_f32_e32 v4, v4
	v_dual_mov_b32 v1, v0 :: v_dual_bitop2_b32 v5, v5, v0 bitop3:0x14
	s_delay_alu instid0(VALU_DEP_2) | instskip(NEXT) | instid1(VALU_DEP_1)
	v_xor_b32_e32 v4, v4, v0
	v_sub_nc_u64_e32 v[0:1], v[4:5], v[0:1]
	s_branch .LBB54_832
.LBB54_828:
	s_mov_b32 s30, -1
                                        ; implicit-def: $vgpr0_vgpr1
	s_branch .LBB54_833
.LBB54_829:
	s_and_not1_saveexec_b32 s29, s29
	s_cbranch_execz .LBB54_810
.LBB54_830:
	v_cmp_ne_u16_e32 vcc_lo, 0, v4
	s_and_not1_b32 s30, s30, exec_lo
	s_and_b32 s31, vcc_lo, exec_lo
	s_delay_alu instid0(SALU_CYCLE_1)
	s_or_b32 s30, s30, s31
	s_or_b32 exec_lo, exec_lo, s29
	v_mov_b64_e32 v[0:1], 0
	s_and_saveexec_b32 s29, s30
	s_cbranch_execnz .LBB54_811
	s_branch .LBB54_812
.LBB54_831:
	s_mov_b32 s27, -1
                                        ; implicit-def: $vgpr0_vgpr1
.LBB54_832:
	s_mov_b32 s30, 0
.LBB54_833:
	s_delay_alu instid0(SALU_CYCLE_1)
	s_and_b32 vcc_lo, exec_lo, s30
	s_cbranch_vccz .LBB54_837
; %bb.834:
	s_cmp_eq_u32 s28, 11
	s_cbranch_scc0 .LBB54_836
; %bb.835:
	s_wait_loadcnt 0x0
	global_load_u8 v0, v[2:3], off
	s_mov_b32 s27, 0
	s_mov_b32 s29, -1
	v_mov_b32_e32 v1, s27
	s_wait_loadcnt 0x0
	v_cmp_ne_u16_e32 vcc_lo, 0, v0
	v_cndmask_b32_e64 v0, 0, 1, vcc_lo
	s_branch .LBB54_837
.LBB54_836:
	s_mov_b32 s27, -1
                                        ; implicit-def: $vgpr0_vgpr1
.LBB54_837:
	s_mov_b32 s28, 0
.LBB54_838:
	s_delay_alu instid0(SALU_CYCLE_1)
	s_and_b32 vcc_lo, exec_lo, s28
	s_cbranch_vccz .LBB54_887
; %bb.839:
	s_and_b32 s0, 0xffff, s0
	s_delay_alu instid0(SALU_CYCLE_1)
	s_cmp_lt_i32 s0, 5
	s_cbranch_scc1 .LBB54_844
; %bb.840:
	s_cmp_lt_i32 s0, 8
	s_cbranch_scc1 .LBB54_845
; %bb.841:
	s_cmp_lt_i32 s0, 9
	s_cbranch_scc1 .LBB54_846
; %bb.842:
	s_cmp_gt_i32 s0, 9
	s_cbranch_scc0 .LBB54_847
; %bb.843:
	s_wait_loadcnt 0x0
	global_load_b64 v[0:1], v[2:3], off
	s_mov_b32 s28, 0
	s_wait_loadcnt 0x0
	v_trunc_f64_e32 v[0:1], v[0:1]
	s_delay_alu instid0(VALU_DEP_1) | instskip(NEXT) | instid1(VALU_DEP_1)
	v_ldexp_f64 v[4:5], v[0:1], 0xffffffe0
	v_floor_f64_e32 v[4:5], v[4:5]
	s_delay_alu instid0(VALU_DEP_1) | instskip(SKIP_1) | instid1(VALU_DEP_2)
	v_fmamk_f64 v[6:7], v[4:5], 0xc1f00000, v[0:1]
	v_cvt_i32_f64_e32 v1, v[4:5]
	v_cvt_u32_f64_e32 v0, v[6:7]
	s_branch .LBB54_848
.LBB54_844:
	s_mov_b32 s28, -1
                                        ; implicit-def: $vgpr0_vgpr1
	s_branch .LBB54_866
.LBB54_845:
	s_mov_b32 s28, -1
                                        ; implicit-def: $vgpr0_vgpr1
	s_branch .LBB54_854
.LBB54_846:
	s_mov_b32 s28, -1
                                        ; implicit-def: $vgpr0_vgpr1
	s_branch .LBB54_851
.LBB54_847:
	s_mov_b32 s28, -1
                                        ; implicit-def: $vgpr0_vgpr1
.LBB54_848:
	s_delay_alu instid0(SALU_CYCLE_1)
	s_and_not1_b32 vcc_lo, exec_lo, s28
	s_cbranch_vccnz .LBB54_850
; %bb.849:
	s_wait_loadcnt 0x0
	global_load_b32 v0, v[2:3], off
	s_wait_loadcnt 0x0
	v_trunc_f32_e32 v0, v0
	s_delay_alu instid0(VALU_DEP_1) | instskip(NEXT) | instid1(VALU_DEP_1)
	v_mul_f32_e64 v1, 0x2f800000, |v0|
	v_floor_f32_e32 v1, v1
	s_delay_alu instid0(VALU_DEP_1) | instskip(SKIP_2) | instid1(VALU_DEP_3)
	v_fma_f32 v4, 0xcf800000, v1, |v0|
	v_ashrrev_i32_e32 v0, 31, v0
	v_cvt_u32_f32_e32 v5, v1
	v_cvt_u32_f32_e32 v4, v4
	s_delay_alu instid0(VALU_DEP_2) | instskip(NEXT) | instid1(VALU_DEP_2)
	v_dual_mov_b32 v1, v0 :: v_dual_bitop2_b32 v5, v5, v0 bitop3:0x14
	v_xor_b32_e32 v4, v4, v0
	s_delay_alu instid0(VALU_DEP_1)
	v_sub_nc_u64_e32 v[0:1], v[4:5], v[0:1]
.LBB54_850:
	s_mov_b32 s28, 0
.LBB54_851:
	s_delay_alu instid0(SALU_CYCLE_1)
	s_and_not1_b32 vcc_lo, exec_lo, s28
	s_cbranch_vccnz .LBB54_853
; %bb.852:
	s_wait_loadcnt 0x0
	global_load_b32 v0, v[2:3], off
	s_wait_loadcnt 0x0
	v_cvt_f32_f16_e32 v0, v0
	s_delay_alu instid0(VALU_DEP_1) | instskip(NEXT) | instid1(VALU_DEP_1)
	v_cvt_i32_f32_e32 v0, v0
	v_ashrrev_i32_e32 v1, 31, v0
.LBB54_853:
	s_mov_b32 s28, 0
.LBB54_854:
	s_delay_alu instid0(SALU_CYCLE_1)
	s_and_not1_b32 vcc_lo, exec_lo, s28
	s_cbranch_vccnz .LBB54_865
; %bb.855:
	s_cmp_lt_i32 s0, 6
	s_cbranch_scc1 .LBB54_858
; %bb.856:
	s_cmp_gt_i32 s0, 6
	s_cbranch_scc0 .LBB54_859
; %bb.857:
	s_wait_loadcnt 0x0
	global_load_b64 v[0:1], v[2:3], off
	s_mov_b32 s28, 0
	s_wait_loadcnt 0x0
	v_trunc_f64_e32 v[0:1], v[0:1]
	s_delay_alu instid0(VALU_DEP_1) | instskip(NEXT) | instid1(VALU_DEP_1)
	v_ldexp_f64 v[4:5], v[0:1], 0xffffffe0
	v_floor_f64_e32 v[4:5], v[4:5]
	s_delay_alu instid0(VALU_DEP_1) | instskip(SKIP_1) | instid1(VALU_DEP_2)
	v_fmamk_f64 v[6:7], v[4:5], 0xc1f00000, v[0:1]
	v_cvt_i32_f64_e32 v1, v[4:5]
	v_cvt_u32_f64_e32 v0, v[6:7]
	s_branch .LBB54_860
.LBB54_858:
	s_mov_b32 s28, -1
                                        ; implicit-def: $vgpr0_vgpr1
	s_branch .LBB54_863
.LBB54_859:
	s_mov_b32 s28, -1
                                        ; implicit-def: $vgpr0_vgpr1
.LBB54_860:
	s_delay_alu instid0(SALU_CYCLE_1)
	s_and_not1_b32 vcc_lo, exec_lo, s28
	s_cbranch_vccnz .LBB54_862
; %bb.861:
	s_wait_loadcnt 0x0
	global_load_b32 v0, v[2:3], off
	s_wait_loadcnt 0x0
	v_trunc_f32_e32 v0, v0
	s_delay_alu instid0(VALU_DEP_1) | instskip(NEXT) | instid1(VALU_DEP_1)
	v_mul_f32_e64 v1, 0x2f800000, |v0|
	v_floor_f32_e32 v1, v1
	s_delay_alu instid0(VALU_DEP_1) | instskip(SKIP_2) | instid1(VALU_DEP_3)
	v_fma_f32 v4, 0xcf800000, v1, |v0|
	v_ashrrev_i32_e32 v0, 31, v0
	v_cvt_u32_f32_e32 v5, v1
	v_cvt_u32_f32_e32 v4, v4
	s_delay_alu instid0(VALU_DEP_2) | instskip(NEXT) | instid1(VALU_DEP_2)
	v_dual_mov_b32 v1, v0 :: v_dual_bitop2_b32 v5, v5, v0 bitop3:0x14
	v_xor_b32_e32 v4, v4, v0
	s_delay_alu instid0(VALU_DEP_1)
	v_sub_nc_u64_e32 v[0:1], v[4:5], v[0:1]
.LBB54_862:
	s_mov_b32 s28, 0
.LBB54_863:
	s_delay_alu instid0(SALU_CYCLE_1)
	s_and_not1_b32 vcc_lo, exec_lo, s28
	s_cbranch_vccnz .LBB54_865
; %bb.864:
	s_wait_loadcnt 0x0
	global_load_u16 v0, v[2:3], off
	s_wait_loadcnt 0x0
	v_cvt_f32_f16_e32 v0, v0
	s_delay_alu instid0(VALU_DEP_1) | instskip(NEXT) | instid1(VALU_DEP_1)
	v_cvt_i32_f32_e32 v0, v0
	v_ashrrev_i32_e32 v1, 31, v0
.LBB54_865:
	s_mov_b32 s28, 0
.LBB54_866:
	s_delay_alu instid0(SALU_CYCLE_1)
	s_and_not1_b32 vcc_lo, exec_lo, s28
	s_cbranch_vccnz .LBB54_886
; %bb.867:
	s_cmp_lt_i32 s0, 2
	s_cbranch_scc1 .LBB54_871
; %bb.868:
	s_cmp_lt_i32 s0, 3
	s_cbranch_scc1 .LBB54_872
; %bb.869:
	s_cmp_gt_i32 s0, 3
	s_cbranch_scc0 .LBB54_873
; %bb.870:
	s_wait_loadcnt 0x0
	global_load_b64 v[0:1], v[2:3], off
	s_mov_b32 s28, 0
	s_branch .LBB54_874
.LBB54_871:
	s_mov_b32 s28, -1
                                        ; implicit-def: $vgpr0_vgpr1
	s_branch .LBB54_880
.LBB54_872:
	s_mov_b32 s28, -1
                                        ; implicit-def: $vgpr0_vgpr1
	s_branch .LBB54_877
.LBB54_873:
	s_mov_b32 s28, -1
                                        ; implicit-def: $vgpr0_vgpr1
.LBB54_874:
	s_delay_alu instid0(SALU_CYCLE_1)
	s_and_not1_b32 vcc_lo, exec_lo, s28
	s_cbranch_vccnz .LBB54_876
; %bb.875:
	s_wait_loadcnt 0x0
	global_load_b32 v0, v[2:3], off
	s_wait_loadcnt 0x0
	v_ashrrev_i32_e32 v1, 31, v0
.LBB54_876:
	s_mov_b32 s28, 0
.LBB54_877:
	s_delay_alu instid0(SALU_CYCLE_1)
	s_and_not1_b32 vcc_lo, exec_lo, s28
	s_cbranch_vccnz .LBB54_879
; %bb.878:
	s_wait_loadcnt 0x0
	global_load_u16 v0, v[2:3], off
	s_wait_loadcnt 0x0
	v_bfe_i32 v0, v0, 0, 16
	s_delay_alu instid0(VALU_DEP_1)
	v_ashrrev_i32_e32 v1, 31, v0
.LBB54_879:
	s_mov_b32 s28, 0
.LBB54_880:
	s_delay_alu instid0(SALU_CYCLE_1)
	s_and_not1_b32 vcc_lo, exec_lo, s28
	s_cbranch_vccnz .LBB54_886
; %bb.881:
	s_cmp_gt_i32 s0, 0
	s_mov_b32 s0, 0
	s_cbranch_scc0 .LBB54_883
; %bb.882:
	s_wait_loadcnt 0x0
	global_load_i8 v0, v[2:3], off
	s_wait_loadcnt 0x0
	v_bfe_i32 v0, v0, 0, 16
	s_delay_alu instid0(VALU_DEP_1)
	v_ashrrev_i32_e32 v1, 31, v0
	s_branch .LBB54_884
.LBB54_883:
	s_mov_b32 s0, -1
                                        ; implicit-def: $vgpr0_vgpr1
.LBB54_884:
	s_delay_alu instid0(SALU_CYCLE_1)
	s_and_not1_b32 vcc_lo, exec_lo, s0
	s_cbranch_vccnz .LBB54_886
; %bb.885:
	s_wait_loadcnt 0x0
	global_load_u8 v0, v[2:3], off
	s_mov_b32 s0, 0
	s_delay_alu instid0(SALU_CYCLE_1)
	v_mov_b32_e32 v1, s0
	s_wait_loadcnt 0x0
	v_and_b32_e32 v0, 0xffff, v0
.LBB54_886:
	s_mov_b32 s29, -1
.LBB54_887:
	s_delay_alu instid0(SALU_CYCLE_1)
	s_and_not1_b32 vcc_lo, exec_lo, s29
	s_cbranch_vccnz .LBB54_895
; %bb.888:
	s_wait_xcnt 0x0
	v_mul_lo_u32 v2, v18, s10
	s_and_b32 s0, s1, 0xff
	s_delay_alu instid0(SALU_CYCLE_1) | instskip(NEXT) | instid1(VALU_DEP_1)
	s_cmp_lt_i32 s0, 11
	v_ashrrev_i32_e32 v3, 31, v2
	s_delay_alu instid0(VALU_DEP_1)
	v_add_nc_u64_e32 v[2:3], s[2:3], v[2:3]
	s_cbranch_scc1 .LBB54_896
; %bb.889:
	s_and_b32 s29, 0xffff, s0
	s_delay_alu instid0(SALU_CYCLE_1)
	s_cmp_gt_i32 s29, 25
	s_cbranch_scc0 .LBB54_897
; %bb.890:
	s_cmp_gt_i32 s29, 28
	s_cbranch_scc0 .LBB54_898
; %bb.891:
	s_cmp_gt_i32 s29, 43
	s_cbranch_scc0 .LBB54_899
; %bb.892:
	s_cmp_gt_i32 s29, 45
	s_cbranch_scc0 .LBB54_900
; %bb.893:
	s_cmp_eq_u32 s29, 46
	s_mov_b32 s31, 0
	s_cbranch_scc0 .LBB54_903
; %bb.894:
	global_load_b32 v4, v[2:3], off
	s_mov_b32 s30, -1
	s_mov_b32 s28, 0
	s_wait_loadcnt 0x0
	v_lshlrev_b32_e32 v4, 16, v4
	s_delay_alu instid0(VALU_DEP_1) | instskip(NEXT) | instid1(VALU_DEP_1)
	v_trunc_f32_e32 v4, v4
	v_mul_f32_e64 v5, 0x2f800000, |v4|
	s_delay_alu instid0(VALU_DEP_1) | instskip(NEXT) | instid1(VALU_DEP_1)
	v_floor_f32_e32 v5, v5
	v_fma_f32 v6, 0xcf800000, v5, |v4|
	v_ashrrev_i32_e32 v4, 31, v4
	v_cvt_u32_f32_e32 v7, v5
	s_delay_alu instid0(VALU_DEP_3) | instskip(NEXT) | instid1(VALU_DEP_2)
	v_cvt_u32_f32_e32 v6, v6
	v_dual_mov_b32 v5, v4 :: v_dual_bitop2_b32 v7, v7, v4 bitop3:0x14
	s_delay_alu instid0(VALU_DEP_2) | instskip(NEXT) | instid1(VALU_DEP_1)
	v_xor_b32_e32 v6, v6, v4
	v_sub_nc_u64_e32 v[4:5], v[6:7], v[4:5]
	s_branch .LBB54_905
.LBB54_895:
	s_mov_b32 s30, 0
	s_mov_b32 s0, s23
	;; [unrolled: 1-line block ×3, first 2 shown]
	s_branch .LBB54_1140
.LBB54_896:
	s_mov_b32 s29, -1
	s_mov_b32 s30, 0
	s_mov_b32 s28, s24
                                        ; implicit-def: $vgpr4_vgpr5
	s_branch .LBB54_966
.LBB54_897:
	s_mov_b32 s31, -1
	s_mov_b32 s30, 0
	s_mov_b32 s28, s24
                                        ; implicit-def: $vgpr4_vgpr5
	s_branch .LBB54_932
.LBB54_898:
	s_mov_b32 s31, -1
	s_mov_b32 s30, 0
	s_mov_b32 s28, s24
                                        ; implicit-def: $vgpr4_vgpr5
	s_branch .LBB54_915
.LBB54_899:
	s_mov_b32 s31, -1
	s_mov_b32 s30, 0
	s_mov_b32 s28, s24
                                        ; implicit-def: $vgpr4_vgpr5
	s_branch .LBB54_910
.LBB54_900:
	s_mov_b32 s31, -1
	s_mov_b32 s30, 0
	s_mov_b32 s28, s24
	s_branch .LBB54_904
.LBB54_901:
	s_and_not1_saveexec_b32 s30, s30
	s_cbranch_execz .LBB54_680
.LBB54_902:
	v_add_f32_e32 v2, 0x42800000, v3
	s_and_not1_b32 s29, s29, exec_lo
	s_delay_alu instid0(VALU_DEP_1) | instskip(NEXT) | instid1(VALU_DEP_1)
	v_and_b32_e32 v2, 0xff, v2
	v_cmp_ne_u32_e32 vcc_lo, 0, v2
	s_and_b32 s31, vcc_lo, exec_lo
	s_delay_alu instid0(SALU_CYCLE_1)
	s_or_b32 s29, s29, s31
	s_or_b32 exec_lo, exec_lo, s30
	v_mov_b32_e32 v4, 0
	s_and_saveexec_b32 s30, s29
	s_cbranch_execnz .LBB54_681
	s_branch .LBB54_682
.LBB54_903:
	s_mov_b32 s28, -1
	s_mov_b32 s30, 0
.LBB54_904:
                                        ; implicit-def: $vgpr4_vgpr5
.LBB54_905:
	s_and_b32 vcc_lo, exec_lo, s31
	s_cbranch_vccz .LBB54_909
; %bb.906:
	s_cmp_eq_u32 s29, 44
	s_cbranch_scc0 .LBB54_908
; %bb.907:
	global_load_u8 v8, v[2:3], off
	s_mov_b32 s28, 0
	s_mov_b32 s30, -1
	s_wait_loadcnt 0x0
	v_cmp_ne_u32_e32 vcc_lo, 0, v8
	v_lshlrev_b32_e32 v4, 23, v8
	s_delay_alu instid0(VALU_DEP_1) | instskip(NEXT) | instid1(VALU_DEP_1)
	v_trunc_f32_e32 v4, v4
	v_mul_f32_e64 v5, 0x2f800000, |v4|
	s_delay_alu instid0(VALU_DEP_1) | instskip(NEXT) | instid1(VALU_DEP_1)
	v_floor_f32_e32 v5, v5
	v_fma_f32 v6, 0xcf800000, v5, |v4|
	v_ashrrev_i32_e32 v4, 31, v4
	v_cvt_u32_f32_e32 v7, v5
	s_delay_alu instid0(VALU_DEP_3) | instskip(NEXT) | instid1(VALU_DEP_2)
	v_cvt_u32_f32_e32 v6, v6
	v_dual_mov_b32 v5, v4 :: v_dual_bitop2_b32 v7, v7, v4 bitop3:0x14
	s_delay_alu instid0(VALU_DEP_2) | instskip(NEXT) | instid1(VALU_DEP_1)
	v_xor_b32_e32 v6, v6, v4
	v_sub_nc_u64_e32 v[4:5], v[6:7], v[4:5]
	s_delay_alu instid0(VALU_DEP_1)
	v_dual_cndmask_b32 v5, 0, v5 :: v_dual_cndmask_b32 v4, 0, v4
	s_branch .LBB54_909
.LBB54_908:
	s_mov_b32 s28, -1
                                        ; implicit-def: $vgpr4_vgpr5
.LBB54_909:
	s_mov_b32 s31, 0
.LBB54_910:
	s_delay_alu instid0(SALU_CYCLE_1)
	s_and_b32 vcc_lo, exec_lo, s31
	s_cbranch_vccz .LBB54_914
; %bb.911:
	s_cmp_eq_u32 s29, 29
	s_cbranch_scc0 .LBB54_913
; %bb.912:
	global_load_b64 v[4:5], v[2:3], off
	s_mov_b32 s30, -1
	s_mov_b32 s28, 0
	s_branch .LBB54_914
.LBB54_913:
	s_mov_b32 s28, -1
                                        ; implicit-def: $vgpr4_vgpr5
.LBB54_914:
	s_mov_b32 s31, 0
.LBB54_915:
	s_delay_alu instid0(SALU_CYCLE_1)
	s_and_b32 vcc_lo, exec_lo, s31
	s_cbranch_vccz .LBB54_931
; %bb.916:
	s_cmp_lt_i32 s29, 27
	s_cbranch_scc1 .LBB54_919
; %bb.917:
	s_cmp_gt_i32 s29, 27
	s_cbranch_scc0 .LBB54_920
; %bb.918:
	s_wait_loadcnt 0x0
	global_load_b32 v4, v[2:3], off
	v_mov_b32_e32 v5, 0
	s_mov_b32 s30, 0
	s_branch .LBB54_921
.LBB54_919:
	s_mov_b32 s30, -1
                                        ; implicit-def: $vgpr4_vgpr5
	s_branch .LBB54_924
.LBB54_920:
	s_mov_b32 s30, -1
                                        ; implicit-def: $vgpr4_vgpr5
.LBB54_921:
	s_delay_alu instid0(SALU_CYCLE_1)
	s_and_not1_b32 vcc_lo, exec_lo, s30
	s_cbranch_vccnz .LBB54_923
; %bb.922:
	s_wait_loadcnt 0x0
	global_load_u16 v4, v[2:3], off
	s_mov_b32 s30, 0
	s_delay_alu instid0(SALU_CYCLE_1)
	v_mov_b32_e32 v5, s30
	s_wait_loadcnt 0x0
	v_and_b32_e32 v4, 0xffff, v4
.LBB54_923:
	s_mov_b32 s30, 0
.LBB54_924:
	s_delay_alu instid0(SALU_CYCLE_1)
	s_and_not1_b32 vcc_lo, exec_lo, s30
	s_cbranch_vccnz .LBB54_930
; %bb.925:
	global_load_u8 v6, v[2:3], off
	s_mov_b32 s31, 0
	s_mov_b32 s30, exec_lo
	s_wait_loadcnt 0x0
	v_cmpx_lt_i16_e32 0x7f, v6
	s_xor_b32 s30, exec_lo, s30
	s_cbranch_execz .LBB54_942
; %bb.926:
	v_cmp_ne_u16_e32 vcc_lo, 0x80, v6
	s_and_b32 s31, vcc_lo, exec_lo
	s_and_not1_saveexec_b32 s30, s30
	s_cbranch_execnz .LBB54_943
.LBB54_927:
	s_or_b32 exec_lo, exec_lo, s30
	v_mov_b64_e32 v[4:5], 0
	s_and_saveexec_b32 s30, s31
	s_cbranch_execz .LBB54_929
.LBB54_928:
	v_and_b32_e32 v4, 0xffff, v6
	s_delay_alu instid0(VALU_DEP_1) | instskip(SKIP_1) | instid1(VALU_DEP_2)
	v_and_b32_e32 v5, 7, v4
	v_bfe_u32 v9, v4, 3, 4
	v_clz_i32_u32_e32 v7, v5
	s_delay_alu instid0(VALU_DEP_2) | instskip(NEXT) | instid1(VALU_DEP_2)
	v_cmp_eq_u32_e32 vcc_lo, 0, v9
	v_min_u32_e32 v7, 32, v7
	s_delay_alu instid0(VALU_DEP_1) | instskip(NEXT) | instid1(VALU_DEP_1)
	v_subrev_nc_u32_e32 v8, 28, v7
	v_dual_lshlrev_b32 v4, v8, v4 :: v_dual_sub_nc_u32 v7, 29, v7
	s_delay_alu instid0(VALU_DEP_1) | instskip(NEXT) | instid1(VALU_DEP_2)
	v_dual_lshlrev_b32 v6, 24, v6 :: v_dual_bitop2_b32 v4, 7, v4 bitop3:0x40
	v_cndmask_b32_e32 v7, v9, v7, vcc_lo
	s_delay_alu instid0(VALU_DEP_2) | instskip(NEXT) | instid1(VALU_DEP_3)
	v_cndmask_b32_e32 v4, v5, v4, vcc_lo
	v_and_b32_e32 v5, 0x80000000, v6
	s_delay_alu instid0(VALU_DEP_3) | instskip(NEXT) | instid1(VALU_DEP_3)
	v_lshl_add_u32 v6, v7, 23, 0x3b800000
	v_lshlrev_b32_e32 v4, 20, v4
	s_delay_alu instid0(VALU_DEP_1) | instskip(NEXT) | instid1(VALU_DEP_1)
	v_or3_b32 v4, v5, v6, v4
	v_trunc_f32_e32 v4, v4
	s_delay_alu instid0(VALU_DEP_1) | instskip(NEXT) | instid1(VALU_DEP_1)
	v_mul_f32_e64 v5, 0x2f800000, |v4|
	v_floor_f32_e32 v5, v5
	s_delay_alu instid0(VALU_DEP_1) | instskip(SKIP_2) | instid1(VALU_DEP_3)
	v_fma_f32 v6, 0xcf800000, v5, |v4|
	v_ashrrev_i32_e32 v4, 31, v4
	v_cvt_u32_f32_e32 v7, v5
	v_cvt_u32_f32_e32 v6, v6
	s_delay_alu instid0(VALU_DEP_2) | instskip(NEXT) | instid1(VALU_DEP_2)
	v_dual_mov_b32 v5, v4 :: v_dual_bitop2_b32 v7, v7, v4 bitop3:0x14
	v_xor_b32_e32 v6, v6, v4
	s_delay_alu instid0(VALU_DEP_1)
	v_sub_nc_u64_e32 v[4:5], v[6:7], v[4:5]
.LBB54_929:
	s_or_b32 exec_lo, exec_lo, s30
.LBB54_930:
	s_mov_b32 s30, -1
.LBB54_931:
	s_mov_b32 s31, 0
.LBB54_932:
	s_delay_alu instid0(SALU_CYCLE_1)
	s_and_b32 vcc_lo, exec_lo, s31
	s_cbranch_vccz .LBB54_965
; %bb.933:
	s_cmp_gt_i32 s29, 22
	s_cbranch_scc0 .LBB54_941
; %bb.934:
	s_cmp_lt_i32 s29, 24
	s_cbranch_scc1 .LBB54_944
; %bb.935:
	s_cmp_gt_i32 s29, 24
	s_cbranch_scc0 .LBB54_945
; %bb.936:
	global_load_u8 v6, v[2:3], off
	s_mov_b32 s31, 0
	s_mov_b32 s30, exec_lo
	s_wait_loadcnt 0x0
	v_cmpx_lt_i16_e32 0x7f, v6
	s_xor_b32 s30, exec_lo, s30
	s_cbranch_execz .LBB54_957
; %bb.937:
	v_cmp_ne_u16_e32 vcc_lo, 0x80, v6
	s_and_b32 s31, vcc_lo, exec_lo
	s_and_not1_saveexec_b32 s30, s30
	s_cbranch_execnz .LBB54_958
.LBB54_938:
	s_or_b32 exec_lo, exec_lo, s30
	v_mov_b64_e32 v[4:5], 0
	s_and_saveexec_b32 s30, s31
	s_cbranch_execz .LBB54_940
.LBB54_939:
	v_and_b32_e32 v4, 0xffff, v6
	s_delay_alu instid0(VALU_DEP_1) | instskip(SKIP_1) | instid1(VALU_DEP_2)
	v_and_b32_e32 v5, 3, v4
	v_bfe_u32 v9, v4, 2, 5
	v_clz_i32_u32_e32 v7, v5
	s_delay_alu instid0(VALU_DEP_2) | instskip(NEXT) | instid1(VALU_DEP_2)
	v_cmp_eq_u32_e32 vcc_lo, 0, v9
	v_min_u32_e32 v7, 32, v7
	s_delay_alu instid0(VALU_DEP_1) | instskip(NEXT) | instid1(VALU_DEP_1)
	v_subrev_nc_u32_e32 v8, 29, v7
	v_dual_lshlrev_b32 v4, v8, v4 :: v_dual_sub_nc_u32 v7, 30, v7
	s_delay_alu instid0(VALU_DEP_1) | instskip(NEXT) | instid1(VALU_DEP_2)
	v_dual_lshlrev_b32 v6, 24, v6 :: v_dual_bitop2_b32 v4, 3, v4 bitop3:0x40
	v_cndmask_b32_e32 v7, v9, v7, vcc_lo
	s_delay_alu instid0(VALU_DEP_2) | instskip(NEXT) | instid1(VALU_DEP_3)
	v_cndmask_b32_e32 v4, v5, v4, vcc_lo
	v_and_b32_e32 v5, 0x80000000, v6
	s_delay_alu instid0(VALU_DEP_3) | instskip(NEXT) | instid1(VALU_DEP_3)
	v_lshl_add_u32 v6, v7, 23, 0x37800000
	v_lshlrev_b32_e32 v4, 21, v4
	s_delay_alu instid0(VALU_DEP_1) | instskip(NEXT) | instid1(VALU_DEP_1)
	v_or3_b32 v4, v5, v6, v4
	v_trunc_f32_e32 v4, v4
	s_delay_alu instid0(VALU_DEP_1) | instskip(NEXT) | instid1(VALU_DEP_1)
	v_mul_f32_e64 v5, 0x2f800000, |v4|
	v_floor_f32_e32 v5, v5
	s_delay_alu instid0(VALU_DEP_1) | instskip(SKIP_2) | instid1(VALU_DEP_3)
	v_fma_f32 v6, 0xcf800000, v5, |v4|
	v_ashrrev_i32_e32 v4, 31, v4
	v_cvt_u32_f32_e32 v7, v5
	v_cvt_u32_f32_e32 v6, v6
	s_delay_alu instid0(VALU_DEP_2) | instskip(NEXT) | instid1(VALU_DEP_2)
	v_dual_mov_b32 v5, v4 :: v_dual_bitop2_b32 v7, v7, v4 bitop3:0x14
	v_xor_b32_e32 v6, v6, v4
	s_delay_alu instid0(VALU_DEP_1)
	v_sub_nc_u64_e32 v[4:5], v[6:7], v[4:5]
.LBB54_940:
	s_or_b32 exec_lo, exec_lo, s30
	s_mov_b32 s30, 0
	s_branch .LBB54_946
.LBB54_941:
	s_mov_b32 s31, -1
                                        ; implicit-def: $vgpr4_vgpr5
	s_branch .LBB54_952
.LBB54_942:
	s_and_not1_saveexec_b32 s30, s30
	s_cbranch_execz .LBB54_927
.LBB54_943:
	v_cmp_ne_u16_e32 vcc_lo, 0, v6
	s_and_not1_b32 s31, s31, exec_lo
	s_and_b32 s33, vcc_lo, exec_lo
	s_delay_alu instid0(SALU_CYCLE_1)
	s_or_b32 s31, s31, s33
	s_or_b32 exec_lo, exec_lo, s30
	v_mov_b64_e32 v[4:5], 0
	s_and_saveexec_b32 s30, s31
	s_cbranch_execnz .LBB54_928
	s_branch .LBB54_929
.LBB54_944:
	s_mov_b32 s30, -1
                                        ; implicit-def: $vgpr4_vgpr5
	s_branch .LBB54_949
.LBB54_945:
	s_mov_b32 s30, -1
                                        ; implicit-def: $vgpr4_vgpr5
.LBB54_946:
	s_delay_alu instid0(SALU_CYCLE_1)
	s_and_b32 vcc_lo, exec_lo, s30
	s_cbranch_vccz .LBB54_948
; %bb.947:
	s_wait_loadcnt 0x0
	global_load_u8 v4, v[2:3], off
	s_wait_loadcnt 0x0
	v_lshlrev_b32_e32 v4, 24, v4
	s_delay_alu instid0(VALU_DEP_1) | instskip(NEXT) | instid1(VALU_DEP_1)
	v_and_b32_e32 v5, 0x7f000000, v4
	v_clz_i32_u32_e32 v6, v5
	v_cmp_ne_u32_e32 vcc_lo, 0, v5
	v_add_nc_u32_e32 v8, 0x1000000, v5
	s_delay_alu instid0(VALU_DEP_3) | instskip(NEXT) | instid1(VALU_DEP_1)
	v_min_u32_e32 v6, 32, v6
	v_sub_nc_u32_e64 v6, v6, 4 clamp
	s_delay_alu instid0(VALU_DEP_1) | instskip(NEXT) | instid1(VALU_DEP_1)
	v_dual_lshlrev_b32 v7, v6, v5 :: v_dual_lshlrev_b32 v6, 23, v6
	v_lshrrev_b32_e32 v7, 4, v7
	s_delay_alu instid0(VALU_DEP_1) | instskip(NEXT) | instid1(VALU_DEP_1)
	v_dual_sub_nc_u32 v6, v7, v6 :: v_dual_ashrrev_i32 v7, 8, v8
	v_add_nc_u32_e32 v6, 0x3c000000, v6
	s_delay_alu instid0(VALU_DEP_1) | instskip(NEXT) | instid1(VALU_DEP_1)
	v_and_or_b32 v6, 0x7f800000, v7, v6
	v_cndmask_b32_e32 v5, 0, v6, vcc_lo
	s_delay_alu instid0(VALU_DEP_1) | instskip(NEXT) | instid1(VALU_DEP_1)
	v_and_or_b32 v4, 0x80000000, v4, v5
	v_trunc_f32_e32 v4, v4
	s_delay_alu instid0(VALU_DEP_1) | instskip(NEXT) | instid1(VALU_DEP_1)
	v_mul_f32_e64 v5, 0x2f800000, |v4|
	v_floor_f32_e32 v5, v5
	s_delay_alu instid0(VALU_DEP_1) | instskip(SKIP_2) | instid1(VALU_DEP_3)
	v_fma_f32 v6, 0xcf800000, v5, |v4|
	v_ashrrev_i32_e32 v4, 31, v4
	v_cvt_u32_f32_e32 v7, v5
	v_cvt_u32_f32_e32 v6, v6
	s_delay_alu instid0(VALU_DEP_2) | instskip(NEXT) | instid1(VALU_DEP_2)
	v_dual_mov_b32 v5, v4 :: v_dual_bitop2_b32 v7, v7, v4 bitop3:0x14
	v_xor_b32_e32 v6, v6, v4
	s_delay_alu instid0(VALU_DEP_1)
	v_sub_nc_u64_e32 v[4:5], v[6:7], v[4:5]
.LBB54_948:
	s_mov_b32 s30, 0
.LBB54_949:
	s_delay_alu instid0(SALU_CYCLE_1)
	s_and_not1_b32 vcc_lo, exec_lo, s30
	s_cbranch_vccnz .LBB54_951
; %bb.950:
	s_wait_loadcnt 0x0
	global_load_u8 v4, v[2:3], off
	s_wait_loadcnt 0x0
	v_lshlrev_b32_e32 v5, 25, v4
	v_lshlrev_b16 v4, 8, v4
	s_delay_alu instid0(VALU_DEP_1) | instskip(SKIP_1) | instid1(VALU_DEP_2)
	v_and_or_b32 v7, 0x7f00, v4, 0.5
	v_bfe_i32 v4, v4, 0, 16
	v_dual_add_f32 v7, -0.5, v7 :: v_dual_lshrrev_b32 v6, 4, v5
	v_cmp_gt_u32_e32 vcc_lo, 0x8000000, v5
	s_delay_alu instid0(VALU_DEP_2) | instskip(NEXT) | instid1(VALU_DEP_1)
	v_or_b32_e32 v6, 0x70000000, v6
	v_mul_f32_e32 v6, 0x7800000, v6
	s_delay_alu instid0(VALU_DEP_1) | instskip(NEXT) | instid1(VALU_DEP_1)
	v_cndmask_b32_e32 v5, v6, v7, vcc_lo
	v_and_or_b32 v4, 0x80000000, v4, v5
	s_delay_alu instid0(VALU_DEP_1) | instskip(NEXT) | instid1(VALU_DEP_1)
	v_trunc_f32_e32 v4, v4
	v_mul_f32_e64 v5, 0x2f800000, |v4|
	s_delay_alu instid0(VALU_DEP_1) | instskip(NEXT) | instid1(VALU_DEP_1)
	v_floor_f32_e32 v5, v5
	v_fma_f32 v6, 0xcf800000, v5, |v4|
	v_ashrrev_i32_e32 v4, 31, v4
	v_cvt_u32_f32_e32 v7, v5
	s_delay_alu instid0(VALU_DEP_3) | instskip(NEXT) | instid1(VALU_DEP_2)
	v_cvt_u32_f32_e32 v6, v6
	v_dual_mov_b32 v5, v4 :: v_dual_bitop2_b32 v7, v7, v4 bitop3:0x14
	s_delay_alu instid0(VALU_DEP_2) | instskip(NEXT) | instid1(VALU_DEP_1)
	v_xor_b32_e32 v6, v6, v4
	v_sub_nc_u64_e32 v[4:5], v[6:7], v[4:5]
.LBB54_951:
	s_mov_b32 s31, 0
	s_mov_b32 s30, -1
.LBB54_952:
	s_and_not1_b32 vcc_lo, exec_lo, s31
	s_cbranch_vccnz .LBB54_965
; %bb.953:
	s_cmp_gt_i32 s29, 14
	s_cbranch_scc0 .LBB54_956
; %bb.954:
	s_cmp_eq_u32 s29, 15
	s_cbranch_scc0 .LBB54_959
; %bb.955:
	s_wait_loadcnt 0x0
	global_load_u16 v4, v[2:3], off
	s_mov_b32 s30, -1
	s_mov_b32 s28, 0
	s_wait_loadcnt 0x0
	v_lshlrev_b32_e32 v4, 16, v4
	s_delay_alu instid0(VALU_DEP_1) | instskip(NEXT) | instid1(VALU_DEP_1)
	v_trunc_f32_e32 v4, v4
	v_mul_f32_e64 v5, 0x2f800000, |v4|
	s_delay_alu instid0(VALU_DEP_1) | instskip(NEXT) | instid1(VALU_DEP_1)
	v_floor_f32_e32 v5, v5
	v_fma_f32 v6, 0xcf800000, v5, |v4|
	v_ashrrev_i32_e32 v4, 31, v4
	v_cvt_u32_f32_e32 v7, v5
	s_delay_alu instid0(VALU_DEP_3) | instskip(NEXT) | instid1(VALU_DEP_2)
	v_cvt_u32_f32_e32 v6, v6
	v_dual_mov_b32 v5, v4 :: v_dual_bitop2_b32 v7, v7, v4 bitop3:0x14
	s_delay_alu instid0(VALU_DEP_2) | instskip(NEXT) | instid1(VALU_DEP_1)
	v_xor_b32_e32 v6, v6, v4
	v_sub_nc_u64_e32 v[4:5], v[6:7], v[4:5]
	s_branch .LBB54_960
.LBB54_956:
	s_mov_b32 s31, -1
                                        ; implicit-def: $vgpr4_vgpr5
	s_branch .LBB54_961
.LBB54_957:
	s_and_not1_saveexec_b32 s30, s30
	s_cbranch_execz .LBB54_938
.LBB54_958:
	v_cmp_ne_u16_e32 vcc_lo, 0, v6
	s_and_not1_b32 s31, s31, exec_lo
	s_and_b32 s33, vcc_lo, exec_lo
	s_delay_alu instid0(SALU_CYCLE_1)
	s_or_b32 s31, s31, s33
	s_or_b32 exec_lo, exec_lo, s30
	v_mov_b64_e32 v[4:5], 0
	s_and_saveexec_b32 s30, s31
	s_cbranch_execnz .LBB54_939
	s_branch .LBB54_940
.LBB54_959:
	s_mov_b32 s28, -1
                                        ; implicit-def: $vgpr4_vgpr5
.LBB54_960:
	s_mov_b32 s31, 0
.LBB54_961:
	s_delay_alu instid0(SALU_CYCLE_1)
	s_and_b32 vcc_lo, exec_lo, s31
	s_cbranch_vccz .LBB54_965
; %bb.962:
	s_cmp_eq_u32 s29, 11
	s_cbranch_scc0 .LBB54_964
; %bb.963:
	s_wait_loadcnt 0x0
	global_load_u8 v4, v[2:3], off
	s_mov_b32 s28, 0
	s_mov_b32 s30, -1
	v_mov_b32_e32 v5, s28
	s_wait_loadcnt 0x0
	v_cmp_ne_u16_e32 vcc_lo, 0, v4
	v_cndmask_b32_e64 v4, 0, 1, vcc_lo
	s_branch .LBB54_965
.LBB54_964:
	s_mov_b32 s28, -1
                                        ; implicit-def: $vgpr4_vgpr5
.LBB54_965:
	s_mov_b32 s29, 0
.LBB54_966:
	s_delay_alu instid0(SALU_CYCLE_1)
	s_and_b32 vcc_lo, exec_lo, s29
	s_cbranch_vccz .LBB54_1015
; %bb.967:
	s_and_b32 s0, 0xffff, s0
	s_delay_alu instid0(SALU_CYCLE_1)
	s_cmp_lt_i32 s0, 5
	s_cbranch_scc1 .LBB54_972
; %bb.968:
	s_cmp_lt_i32 s0, 8
	s_cbranch_scc1 .LBB54_973
; %bb.969:
	;; [unrolled: 3-line block ×3, first 2 shown]
	s_cmp_gt_i32 s0, 9
	s_cbranch_scc0 .LBB54_975
; %bb.971:
	s_wait_loadcnt 0x0
	global_load_b64 v[4:5], v[2:3], off
	s_mov_b32 s29, 0
	s_wait_loadcnt 0x0
	v_trunc_f64_e32 v[4:5], v[4:5]
	s_delay_alu instid0(VALU_DEP_1) | instskip(NEXT) | instid1(VALU_DEP_1)
	v_ldexp_f64 v[6:7], v[4:5], 0xffffffe0
	v_floor_f64_e32 v[6:7], v[6:7]
	s_delay_alu instid0(VALU_DEP_1) | instskip(SKIP_1) | instid1(VALU_DEP_2)
	v_fmamk_f64 v[8:9], v[6:7], 0xc1f00000, v[4:5]
	v_cvt_i32_f64_e32 v5, v[6:7]
	v_cvt_u32_f64_e32 v4, v[8:9]
	s_branch .LBB54_976
.LBB54_972:
	s_mov_b32 s29, -1
                                        ; implicit-def: $vgpr4_vgpr5
	s_branch .LBB54_994
.LBB54_973:
	s_mov_b32 s29, -1
                                        ; implicit-def: $vgpr4_vgpr5
	s_branch .LBB54_982
.LBB54_974:
	s_mov_b32 s29, -1
                                        ; implicit-def: $vgpr4_vgpr5
	s_branch .LBB54_979
.LBB54_975:
	s_mov_b32 s29, -1
                                        ; implicit-def: $vgpr4_vgpr5
.LBB54_976:
	s_delay_alu instid0(SALU_CYCLE_1)
	s_and_not1_b32 vcc_lo, exec_lo, s29
	s_cbranch_vccnz .LBB54_978
; %bb.977:
	s_wait_loadcnt 0x0
	global_load_b32 v4, v[2:3], off
	s_wait_loadcnt 0x0
	v_trunc_f32_e32 v4, v4
	s_delay_alu instid0(VALU_DEP_1) | instskip(NEXT) | instid1(VALU_DEP_1)
	v_mul_f32_e64 v5, 0x2f800000, |v4|
	v_floor_f32_e32 v5, v5
	s_delay_alu instid0(VALU_DEP_1) | instskip(SKIP_2) | instid1(VALU_DEP_3)
	v_fma_f32 v6, 0xcf800000, v5, |v4|
	v_ashrrev_i32_e32 v4, 31, v4
	v_cvt_u32_f32_e32 v7, v5
	v_cvt_u32_f32_e32 v6, v6
	s_delay_alu instid0(VALU_DEP_2) | instskip(NEXT) | instid1(VALU_DEP_2)
	v_dual_mov_b32 v5, v4 :: v_dual_bitop2_b32 v7, v7, v4 bitop3:0x14
	v_xor_b32_e32 v6, v6, v4
	s_delay_alu instid0(VALU_DEP_1)
	v_sub_nc_u64_e32 v[4:5], v[6:7], v[4:5]
.LBB54_978:
	s_mov_b32 s29, 0
.LBB54_979:
	s_delay_alu instid0(SALU_CYCLE_1)
	s_and_not1_b32 vcc_lo, exec_lo, s29
	s_cbranch_vccnz .LBB54_981
; %bb.980:
	s_wait_loadcnt 0x0
	global_load_b32 v4, v[2:3], off
	s_wait_loadcnt 0x0
	v_cvt_f32_f16_e32 v4, v4
	s_delay_alu instid0(VALU_DEP_1) | instskip(NEXT) | instid1(VALU_DEP_1)
	v_cvt_i32_f32_e32 v4, v4
	v_ashrrev_i32_e32 v5, 31, v4
.LBB54_981:
	s_mov_b32 s29, 0
.LBB54_982:
	s_delay_alu instid0(SALU_CYCLE_1)
	s_and_not1_b32 vcc_lo, exec_lo, s29
	s_cbranch_vccnz .LBB54_993
; %bb.983:
	s_cmp_lt_i32 s0, 6
	s_cbranch_scc1 .LBB54_986
; %bb.984:
	s_cmp_gt_i32 s0, 6
	s_cbranch_scc0 .LBB54_987
; %bb.985:
	s_wait_loadcnt 0x0
	global_load_b64 v[4:5], v[2:3], off
	s_mov_b32 s29, 0
	s_wait_loadcnt 0x0
	v_trunc_f64_e32 v[4:5], v[4:5]
	s_delay_alu instid0(VALU_DEP_1) | instskip(NEXT) | instid1(VALU_DEP_1)
	v_ldexp_f64 v[6:7], v[4:5], 0xffffffe0
	v_floor_f64_e32 v[6:7], v[6:7]
	s_delay_alu instid0(VALU_DEP_1) | instskip(SKIP_1) | instid1(VALU_DEP_2)
	v_fmamk_f64 v[8:9], v[6:7], 0xc1f00000, v[4:5]
	v_cvt_i32_f64_e32 v5, v[6:7]
	v_cvt_u32_f64_e32 v4, v[8:9]
	s_branch .LBB54_988
.LBB54_986:
	s_mov_b32 s29, -1
                                        ; implicit-def: $vgpr4_vgpr5
	s_branch .LBB54_991
.LBB54_987:
	s_mov_b32 s29, -1
                                        ; implicit-def: $vgpr4_vgpr5
.LBB54_988:
	s_delay_alu instid0(SALU_CYCLE_1)
	s_and_not1_b32 vcc_lo, exec_lo, s29
	s_cbranch_vccnz .LBB54_990
; %bb.989:
	s_wait_loadcnt 0x0
	global_load_b32 v4, v[2:3], off
	s_wait_loadcnt 0x0
	v_trunc_f32_e32 v4, v4
	s_delay_alu instid0(VALU_DEP_1) | instskip(NEXT) | instid1(VALU_DEP_1)
	v_mul_f32_e64 v5, 0x2f800000, |v4|
	v_floor_f32_e32 v5, v5
	s_delay_alu instid0(VALU_DEP_1) | instskip(SKIP_2) | instid1(VALU_DEP_3)
	v_fma_f32 v6, 0xcf800000, v5, |v4|
	v_ashrrev_i32_e32 v4, 31, v4
	v_cvt_u32_f32_e32 v7, v5
	v_cvt_u32_f32_e32 v6, v6
	s_delay_alu instid0(VALU_DEP_2) | instskip(NEXT) | instid1(VALU_DEP_2)
	v_dual_mov_b32 v5, v4 :: v_dual_bitop2_b32 v7, v7, v4 bitop3:0x14
	v_xor_b32_e32 v6, v6, v4
	s_delay_alu instid0(VALU_DEP_1)
	v_sub_nc_u64_e32 v[4:5], v[6:7], v[4:5]
.LBB54_990:
	s_mov_b32 s29, 0
.LBB54_991:
	s_delay_alu instid0(SALU_CYCLE_1)
	s_and_not1_b32 vcc_lo, exec_lo, s29
	s_cbranch_vccnz .LBB54_993
; %bb.992:
	s_wait_loadcnt 0x0
	global_load_u16 v4, v[2:3], off
	s_wait_loadcnt 0x0
	v_cvt_f32_f16_e32 v4, v4
	s_delay_alu instid0(VALU_DEP_1) | instskip(NEXT) | instid1(VALU_DEP_1)
	v_cvt_i32_f32_e32 v4, v4
	v_ashrrev_i32_e32 v5, 31, v4
.LBB54_993:
	s_mov_b32 s29, 0
.LBB54_994:
	s_delay_alu instid0(SALU_CYCLE_1)
	s_and_not1_b32 vcc_lo, exec_lo, s29
	s_cbranch_vccnz .LBB54_1014
; %bb.995:
	s_cmp_lt_i32 s0, 2
	s_cbranch_scc1 .LBB54_999
; %bb.996:
	s_cmp_lt_i32 s0, 3
	s_cbranch_scc1 .LBB54_1000
; %bb.997:
	s_cmp_gt_i32 s0, 3
	s_cbranch_scc0 .LBB54_1001
; %bb.998:
	s_wait_loadcnt 0x0
	global_load_b64 v[4:5], v[2:3], off
	s_mov_b32 s29, 0
	s_branch .LBB54_1002
.LBB54_999:
	s_mov_b32 s29, -1
                                        ; implicit-def: $vgpr4_vgpr5
	s_branch .LBB54_1008
.LBB54_1000:
	s_mov_b32 s29, -1
                                        ; implicit-def: $vgpr4_vgpr5
	s_branch .LBB54_1005
.LBB54_1001:
	s_mov_b32 s29, -1
                                        ; implicit-def: $vgpr4_vgpr5
.LBB54_1002:
	s_delay_alu instid0(SALU_CYCLE_1)
	s_and_not1_b32 vcc_lo, exec_lo, s29
	s_cbranch_vccnz .LBB54_1004
; %bb.1003:
	s_wait_loadcnt 0x0
	global_load_b32 v4, v[2:3], off
	s_wait_loadcnt 0x0
	v_ashrrev_i32_e32 v5, 31, v4
.LBB54_1004:
	s_mov_b32 s29, 0
.LBB54_1005:
	s_delay_alu instid0(SALU_CYCLE_1)
	s_and_not1_b32 vcc_lo, exec_lo, s29
	s_cbranch_vccnz .LBB54_1007
; %bb.1006:
	s_wait_loadcnt 0x0
	global_load_u16 v4, v[2:3], off
	s_wait_loadcnt 0x0
	v_bfe_i32 v4, v4, 0, 16
	s_delay_alu instid0(VALU_DEP_1)
	v_ashrrev_i32_e32 v5, 31, v4
.LBB54_1007:
	s_mov_b32 s29, 0
.LBB54_1008:
	s_delay_alu instid0(SALU_CYCLE_1)
	s_and_not1_b32 vcc_lo, exec_lo, s29
	s_cbranch_vccnz .LBB54_1014
; %bb.1009:
	s_cmp_gt_i32 s0, 0
	s_mov_b32 s0, 0
	s_cbranch_scc0 .LBB54_1011
; %bb.1010:
	s_wait_loadcnt 0x0
	global_load_i8 v4, v[2:3], off
	s_wait_loadcnt 0x0
	v_bfe_i32 v4, v4, 0, 16
	s_delay_alu instid0(VALU_DEP_1)
	v_ashrrev_i32_e32 v5, 31, v4
	s_branch .LBB54_1012
.LBB54_1011:
	s_mov_b32 s0, -1
                                        ; implicit-def: $vgpr4_vgpr5
.LBB54_1012:
	s_delay_alu instid0(SALU_CYCLE_1)
	s_and_not1_b32 vcc_lo, exec_lo, s0
	s_cbranch_vccnz .LBB54_1014
; %bb.1013:
	global_load_u8 v2, v[2:3], off
	s_mov_b32 s0, 0
	s_wait_loadcnt 0x1
	v_mov_b32_e32 v5, s0
	s_wait_loadcnt 0x0
	v_and_b32_e32 v4, 0xffff, v2
.LBB54_1014:
	s_mov_b32 s30, -1
.LBB54_1015:
	s_delay_alu instid0(SALU_CYCLE_1)
	s_and_not1_b32 vcc_lo, exec_lo, s30
	s_cbranch_vccnz .LBB54_1023
; %bb.1016:
	s_wait_xcnt 0x0
	v_mul_lo_u32 v2, v18, s8
	s_wait_loadcnt 0x0
	s_delay_alu instid0(VALU_DEP_2) | instskip(SKIP_3) | instid1(VALU_DEP_2)
	v_cmp_ne_u64_e32 vcc_lo, v[0:1], v[4:5]
	s_and_b32 s30, s12, 0xff
	s_xor_b32 s29, s16, vcc_lo
	s_cmp_lt_i32 s30, 11
	v_ashrrev_i32_e32 v3, 31, v2
	s_delay_alu instid0(VALU_DEP_1)
	v_add_nc_u64_e32 v[0:1], s[4:5], v[2:3]
	s_cbranch_scc1 .LBB54_1024
; %bb.1017:
	s_and_b32 s31, 0xffff, s30
	s_delay_alu instid0(SALU_CYCLE_1)
	s_cmp_gt_i32 s31, 25
	s_cbranch_scc0 .LBB54_1025
; %bb.1018:
	s_cmp_gt_i32 s31, 28
	s_cbranch_scc0 .LBB54_1026
; %bb.1019:
	s_cmp_gt_i32 s31, 43
	s_cbranch_scc0 .LBB54_1027
; %bb.1020:
	s_cmp_gt_i32 s31, 45
	s_cbranch_scc0 .LBB54_1028
; %bb.1021:
	s_mov_b32 s34, 0
	s_mov_b32 s0, -1
	s_cmp_eq_u32 s31, 46
	s_mov_b32 s33, 0
	s_cbranch_scc0 .LBB54_1029
; %bb.1022:
	v_cndmask_b32_e64 v2, 0, 1.0, s29
	s_mov_b32 s33, -1
	s_mov_b32 s0, 0
	s_delay_alu instid0(VALU_DEP_1) | instskip(NEXT) | instid1(VALU_DEP_1)
	v_bfe_u32 v3, v2, 16, 1
	v_add3_u32 v2, v2, v3, 0x7fff
	s_delay_alu instid0(VALU_DEP_1)
	v_lshrrev_b32_e32 v2, 16, v2
	global_store_b32 v[0:1], v2, off
	s_branch .LBB54_1029
.LBB54_1023:
	s_mov_b32 s30, 0
	s_mov_b32 s0, s23
	s_branch .LBB54_1140
.LBB54_1024:
	s_mov_b32 s31, -1
	s_mov_b32 s33, 0
	s_mov_b32 s0, s23
	s_branch .LBB54_1098
.LBB54_1025:
	s_mov_b32 s33, 0
	s_mov_b32 s0, s23
	s_branch .LBB54_1056
.LBB54_1026:
	s_mov_b32 s33, 0
	s_mov_b32 s0, s23
	s_branch .LBB54_1039
.LBB54_1027:
	s_mov_b32 s33, 0
	s_mov_b32 s0, s23
	s_branch .LBB54_1035
.LBB54_1028:
	s_mov_b32 s33, 0
	s_mov_b32 s0, s23
.LBB54_1029:
	s_and_b32 vcc_lo, exec_lo, s34
	s_cbranch_vccz .LBB54_1034
; %bb.1030:
	s_cmp_eq_u32 s31, 44
	s_mov_b32 s0, -1
	s_cbranch_scc0 .LBB54_1034
; %bb.1031:
	v_cndmask_b32_e64 v4, 0, 1.0, s29
	s_mov_b32 s33, exec_lo
	s_wait_xcnt 0x0
	s_delay_alu instid0(VALU_DEP_1) | instskip(NEXT) | instid1(VALU_DEP_1)
	v_dual_mov_b32 v3, 0xff :: v_dual_lshrrev_b32 v2, 23, v4
	v_cmpx_ne_u32_e32 0xff, v2
; %bb.1032:
	v_and_b32_e32 v3, 0x400000, v4
	v_and_or_b32 v4, 0x3fffff, v4, v2
	s_delay_alu instid0(VALU_DEP_2) | instskip(NEXT) | instid1(VALU_DEP_2)
	v_cmp_ne_u32_e32 vcc_lo, 0, v3
	v_cmp_ne_u32_e64 s0, 0, v4
	s_and_b32 s0, vcc_lo, s0
	s_delay_alu instid0(SALU_CYCLE_1) | instskip(NEXT) | instid1(VALU_DEP_1)
	v_cndmask_b32_e64 v3, 0, 1, s0
	v_add_nc_u32_e32 v3, v2, v3
; %bb.1033:
	s_or_b32 exec_lo, exec_lo, s33
	s_mov_b32 s33, -1
	s_mov_b32 s0, 0
	global_store_b8 v[0:1], v3, off
.LBB54_1034:
	s_mov_b32 s34, 0
.LBB54_1035:
	s_delay_alu instid0(SALU_CYCLE_1)
	s_and_b32 vcc_lo, exec_lo, s34
	s_cbranch_vccz .LBB54_1038
; %bb.1036:
	s_cmp_eq_u32 s31, 29
	s_mov_b32 s0, -1
	s_cbranch_scc0 .LBB54_1038
; %bb.1037:
	s_mov_b32 s0, 0
	s_wait_xcnt 0x0
	v_cndmask_b32_e64 v2, 0, 1, s29
	v_mov_b32_e32 v3, s0
	s_mov_b32 s33, -1
	s_mov_b32 s34, 0
	global_store_b64 v[0:1], v[2:3], off
	s_branch .LBB54_1039
.LBB54_1038:
	s_mov_b32 s34, 0
.LBB54_1039:
	s_delay_alu instid0(SALU_CYCLE_1)
	s_and_b32 vcc_lo, exec_lo, s34
	s_cbranch_vccz .LBB54_1055
; %bb.1040:
	s_cmp_lt_i32 s31, 27
	s_mov_b32 s33, -1
	s_cbranch_scc1 .LBB54_1046
; %bb.1041:
	s_cmp_gt_i32 s31, 27
	s_cbranch_scc0 .LBB54_1043
; %bb.1042:
	s_wait_xcnt 0x0
	v_cndmask_b32_e64 v2, 0, 1, s29
	s_mov_b32 s33, 0
	global_store_b32 v[0:1], v2, off
.LBB54_1043:
	s_and_not1_b32 vcc_lo, exec_lo, s33
	s_cbranch_vccnz .LBB54_1045
; %bb.1044:
	s_wait_xcnt 0x0
	v_cndmask_b32_e64 v2, 0, 1, s29
	global_store_b16 v[0:1], v2, off
.LBB54_1045:
	s_mov_b32 s33, 0
.LBB54_1046:
	s_delay_alu instid0(SALU_CYCLE_1)
	s_and_not1_b32 vcc_lo, exec_lo, s33
	s_cbranch_vccnz .LBB54_1054
; %bb.1047:
	s_wait_xcnt 0x0
	v_cndmask_b32_e64 v3, 0, 1.0, s29
	v_mov_b32_e32 v4, 0x80
	s_mov_b32 s33, exec_lo
	s_delay_alu instid0(VALU_DEP_2)
	v_cmpx_gt_u32_e32 0x43800000, v3
	s_cbranch_execz .LBB54_1053
; %bb.1048:
	s_mov_b32 s34, 0
	s_mov_b32 s35, exec_lo
                                        ; implicit-def: $vgpr2
	v_cmpx_lt_u32_e32 0x3bffffff, v3
	s_xor_b32 s35, exec_lo, s35
	s_cbranch_execz .LBB54_1156
; %bb.1049:
	v_bfe_u32 v2, v3, 20, 1
	s_mov_b32 s34, exec_lo
	s_delay_alu instid0(VALU_DEP_1) | instskip(NEXT) | instid1(VALU_DEP_1)
	v_add3_u32 v2, v3, v2, 0x487ffff
                                        ; implicit-def: $vgpr3
	v_lshrrev_b32_e32 v2, 20, v2
	s_and_not1_saveexec_b32 s35, s35
	s_cbranch_execnz .LBB54_1157
.LBB54_1050:
	s_or_b32 exec_lo, exec_lo, s35
	v_mov_b32_e32 v4, 0
	s_and_saveexec_b32 s35, s34
.LBB54_1051:
	v_mov_b32_e32 v4, v2
.LBB54_1052:
	s_or_b32 exec_lo, exec_lo, s35
.LBB54_1053:
	s_delay_alu instid0(SALU_CYCLE_1)
	s_or_b32 exec_lo, exec_lo, s33
	global_store_b8 v[0:1], v4, off
.LBB54_1054:
	s_mov_b32 s33, -1
.LBB54_1055:
	s_mov_b32 s34, 0
.LBB54_1056:
	s_delay_alu instid0(SALU_CYCLE_1)
	s_and_b32 vcc_lo, exec_lo, s34
	s_cbranch_vccz .LBB54_1097
; %bb.1057:
	s_cmp_gt_i32 s31, 22
	s_mov_b32 s34, -1
	s_cbranch_scc0 .LBB54_1089
; %bb.1058:
	s_cmp_lt_i32 s31, 24
	s_mov_b32 s33, -1
	s_cbranch_scc1 .LBB54_1078
; %bb.1059:
	s_cmp_gt_i32 s31, 24
	s_cbranch_scc0 .LBB54_1067
; %bb.1060:
	s_wait_xcnt 0x0
	v_cndmask_b32_e64 v3, 0, 1.0, s29
	v_mov_b32_e32 v4, 0x80
	s_mov_b32 s33, exec_lo
	s_delay_alu instid0(VALU_DEP_2)
	v_cmpx_gt_u32_e32 0x47800000, v3
	s_cbranch_execz .LBB54_1066
; %bb.1061:
	s_mov_b32 s34, 0
	s_mov_b32 s35, exec_lo
                                        ; implicit-def: $vgpr2
	v_cmpx_lt_u32_e32 0x37ffffff, v3
	s_xor_b32 s35, exec_lo, s35
	s_cbranch_execz .LBB54_2155
; %bb.1062:
	v_bfe_u32 v2, v3, 21, 1
	s_mov_b32 s34, exec_lo
	s_delay_alu instid0(VALU_DEP_1) | instskip(NEXT) | instid1(VALU_DEP_1)
	v_add3_u32 v2, v3, v2, 0x88fffff
                                        ; implicit-def: $vgpr3
	v_lshrrev_b32_e32 v2, 21, v2
	s_and_not1_saveexec_b32 s35, s35
	s_cbranch_execnz .LBB54_2156
.LBB54_1063:
	s_or_b32 exec_lo, exec_lo, s35
	v_mov_b32_e32 v4, 0
	s_and_saveexec_b32 s35, s34
.LBB54_1064:
	v_mov_b32_e32 v4, v2
.LBB54_1065:
	s_or_b32 exec_lo, exec_lo, s35
.LBB54_1066:
	s_delay_alu instid0(SALU_CYCLE_1)
	s_or_b32 exec_lo, exec_lo, s33
	s_mov_b32 s33, 0
	global_store_b8 v[0:1], v4, off
.LBB54_1067:
	s_and_b32 vcc_lo, exec_lo, s33
	s_cbranch_vccz .LBB54_1077
; %bb.1068:
	s_wait_xcnt 0x0
	v_cndmask_b32_e64 v3, 0, 1.0, s29
	s_mov_b32 s33, exec_lo
                                        ; implicit-def: $vgpr2
	s_delay_alu instid0(VALU_DEP_1)
	v_cmpx_gt_u32_e32 0x43f00000, v3
	s_xor_b32 s33, exec_lo, s33
	s_cbranch_execz .LBB54_1074
; %bb.1069:
	s_mov_b32 s34, exec_lo
                                        ; implicit-def: $vgpr2
	v_cmpx_lt_u32_e32 0x3c7fffff, v3
	s_xor_b32 s34, exec_lo, s34
; %bb.1070:
	v_bfe_u32 v2, v3, 20, 1
	s_delay_alu instid0(VALU_DEP_1) | instskip(NEXT) | instid1(VALU_DEP_1)
	v_add3_u32 v2, v3, v2, 0x407ffff
	v_and_b32_e32 v3, 0xff00000, v2
	v_lshrrev_b32_e32 v2, 20, v2
	s_delay_alu instid0(VALU_DEP_2) | instskip(NEXT) | instid1(VALU_DEP_2)
	v_cmp_ne_u32_e32 vcc_lo, 0x7f00000, v3
                                        ; implicit-def: $vgpr3
	v_cndmask_b32_e32 v2, 0x7e, v2, vcc_lo
; %bb.1071:
	s_and_not1_saveexec_b32 s34, s34
; %bb.1072:
	v_add_f32_e32 v2, 0x46800000, v3
; %bb.1073:
	s_or_b32 exec_lo, exec_lo, s34
                                        ; implicit-def: $vgpr3
.LBB54_1074:
	s_and_not1_saveexec_b32 s33, s33
; %bb.1075:
	v_mov_b32_e32 v2, 0x7f
	v_cmp_lt_u32_e32 vcc_lo, 0x7f800000, v3
	s_delay_alu instid0(VALU_DEP_2)
	v_cndmask_b32_e32 v2, 0x7e, v2, vcc_lo
; %bb.1076:
	s_or_b32 exec_lo, exec_lo, s33
	global_store_b8 v[0:1], v2, off
.LBB54_1077:
	s_mov_b32 s33, 0
.LBB54_1078:
	s_delay_alu instid0(SALU_CYCLE_1)
	s_and_not1_b32 vcc_lo, exec_lo, s33
	s_cbranch_vccnz .LBB54_1088
; %bb.1079:
	s_wait_xcnt 0x0
	v_cndmask_b32_e64 v3, 0, 1.0, s29
	s_mov_b32 s33, exec_lo
                                        ; implicit-def: $vgpr2
	s_delay_alu instid0(VALU_DEP_1)
	v_cmpx_gt_u32_e32 0x47800000, v3
	s_xor_b32 s33, exec_lo, s33
	s_cbranch_execz .LBB54_1085
; %bb.1080:
	s_mov_b32 s34, exec_lo
                                        ; implicit-def: $vgpr2
	v_cmpx_lt_u32_e32 0x387fffff, v3
	s_xor_b32 s34, exec_lo, s34
; %bb.1081:
	v_bfe_u32 v2, v3, 21, 1
	s_delay_alu instid0(VALU_DEP_1) | instskip(NEXT) | instid1(VALU_DEP_1)
	v_add3_u32 v2, v3, v2, 0x80fffff
                                        ; implicit-def: $vgpr3
	v_lshrrev_b32_e32 v2, 21, v2
; %bb.1082:
	s_and_not1_saveexec_b32 s34, s34
; %bb.1083:
	v_add_f32_e32 v2, 0x43000000, v3
; %bb.1084:
	s_or_b32 exec_lo, exec_lo, s34
                                        ; implicit-def: $vgpr3
.LBB54_1085:
	s_and_not1_saveexec_b32 s33, s33
; %bb.1086:
	v_mov_b32_e32 v2, 0x7f
	v_cmp_lt_u32_e32 vcc_lo, 0x7f800000, v3
	s_delay_alu instid0(VALU_DEP_2)
	v_cndmask_b32_e32 v2, 0x7c, v2, vcc_lo
; %bb.1087:
	s_or_b32 exec_lo, exec_lo, s33
	global_store_b8 v[0:1], v2, off
.LBB54_1088:
	s_mov_b32 s34, 0
	s_mov_b32 s33, -1
.LBB54_1089:
	s_and_not1_b32 vcc_lo, exec_lo, s34
	s_cbranch_vccnz .LBB54_1097
; %bb.1090:
	s_cmp_gt_i32 s31, 14
	s_mov_b32 s34, -1
	s_cbranch_scc0 .LBB54_1094
; %bb.1091:
	s_cmp_eq_u32 s31, 15
	s_mov_b32 s0, -1
	s_cbranch_scc0 .LBB54_1093
; %bb.1092:
	s_wait_xcnt 0x0
	v_cndmask_b32_e64 v2, 0, 1.0, s29
	s_mov_b32 s33, -1
	s_mov_b32 s0, 0
	s_delay_alu instid0(VALU_DEP_1) | instskip(NEXT) | instid1(VALU_DEP_1)
	v_bfe_u32 v3, v2, 16, 1
	v_add3_u32 v2, v2, v3, 0x7fff
	global_store_d16_hi_b16 v[0:1], v2, off
.LBB54_1093:
	s_mov_b32 s34, 0
.LBB54_1094:
	s_delay_alu instid0(SALU_CYCLE_1)
	s_and_b32 vcc_lo, exec_lo, s34
	s_cbranch_vccz .LBB54_1097
; %bb.1095:
	s_cmp_eq_u32 s31, 11
	s_mov_b32 s0, -1
	s_cbranch_scc0 .LBB54_1097
; %bb.1096:
	s_wait_xcnt 0x0
	v_cndmask_b32_e64 v2, 0, 1, s29
	s_mov_b32 s33, -1
	s_mov_b32 s0, 0
	global_store_b8 v[0:1], v2, off
.LBB54_1097:
	s_mov_b32 s31, 0
.LBB54_1098:
	s_delay_alu instid0(SALU_CYCLE_1)
	s_and_b32 vcc_lo, exec_lo, s31
	s_cbranch_vccz .LBB54_1137
; %bb.1099:
	s_and_b32 s30, 0xffff, s30
	s_mov_b32 s31, -1
	s_cmp_lt_i32 s30, 5
	s_cbranch_scc1 .LBB54_1120
; %bb.1100:
	s_cmp_lt_i32 s30, 8
	s_cbranch_scc1 .LBB54_1110
; %bb.1101:
	;; [unrolled: 3-line block ×3, first 2 shown]
	s_cmp_gt_i32 s30, 9
	s_cbranch_scc0 .LBB54_1104
; %bb.1103:
	s_wait_xcnt 0x0
	v_cndmask_b32_e64 v2, 0, 1, s29
	v_mov_b32_e32 v4, 0
	s_mov_b32 s31, 0
	s_delay_alu instid0(VALU_DEP_2) | instskip(NEXT) | instid1(VALU_DEP_2)
	v_cvt_f64_u32_e32 v[2:3], v2
	v_mov_b32_e32 v5, v4
	global_store_b128 v[0:1], v[2:5], off
.LBB54_1104:
	s_and_not1_b32 vcc_lo, exec_lo, s31
	s_cbranch_vccnz .LBB54_1106
; %bb.1105:
	s_wait_xcnt 0x0
	v_cndmask_b32_e64 v2, 0, 1.0, s29
	v_mov_b32_e32 v3, 0
	global_store_b64 v[0:1], v[2:3], off
.LBB54_1106:
	s_mov_b32 s31, 0
.LBB54_1107:
	s_delay_alu instid0(SALU_CYCLE_1)
	s_and_not1_b32 vcc_lo, exec_lo, s31
	s_cbranch_vccnz .LBB54_1109
; %bb.1108:
	s_wait_xcnt 0x0
	v_cndmask_b32_e64 v2, 0, 1.0, s29
	s_delay_alu instid0(VALU_DEP_1) | instskip(NEXT) | instid1(VALU_DEP_1)
	v_cvt_f16_f32_e32 v2, v2
	v_and_b32_e32 v2, 0xffff, v2
	global_store_b32 v[0:1], v2, off
.LBB54_1109:
	s_mov_b32 s31, 0
.LBB54_1110:
	s_delay_alu instid0(SALU_CYCLE_1)
	s_and_not1_b32 vcc_lo, exec_lo, s31
	s_cbranch_vccnz .LBB54_1119
; %bb.1111:
	s_cmp_lt_i32 s30, 6
	s_mov_b32 s31, -1
	s_cbranch_scc1 .LBB54_1117
; %bb.1112:
	s_cmp_gt_i32 s30, 6
	s_cbranch_scc0 .LBB54_1114
; %bb.1113:
	s_wait_xcnt 0x0
	v_cndmask_b32_e64 v2, 0, 1, s29
	s_mov_b32 s31, 0
	s_delay_alu instid0(VALU_DEP_1)
	v_cvt_f64_u32_e32 v[2:3], v2
	global_store_b64 v[0:1], v[2:3], off
.LBB54_1114:
	s_and_not1_b32 vcc_lo, exec_lo, s31
	s_cbranch_vccnz .LBB54_1116
; %bb.1115:
	s_wait_xcnt 0x0
	v_cndmask_b32_e64 v2, 0, 1.0, s29
	global_store_b32 v[0:1], v2, off
.LBB54_1116:
	s_mov_b32 s31, 0
.LBB54_1117:
	s_delay_alu instid0(SALU_CYCLE_1)
	s_and_not1_b32 vcc_lo, exec_lo, s31
	s_cbranch_vccnz .LBB54_1119
; %bb.1118:
	s_wait_xcnt 0x0
	v_cndmask_b32_e64 v2, 0, 1.0, s29
	s_delay_alu instid0(VALU_DEP_1)
	v_cvt_f16_f32_e32 v2, v2
	global_store_b16 v[0:1], v2, off
.LBB54_1119:
	s_mov_b32 s31, 0
.LBB54_1120:
	s_delay_alu instid0(SALU_CYCLE_1)
	s_and_not1_b32 vcc_lo, exec_lo, s31
	s_cbranch_vccnz .LBB54_1136
; %bb.1121:
	s_cmp_lt_i32 s30, 2
	s_mov_b32 s31, -1
	s_cbranch_scc1 .LBB54_1131
; %bb.1122:
	s_cmp_lt_i32 s30, 3
	s_cbranch_scc1 .LBB54_1128
; %bb.1123:
	s_cmp_gt_i32 s30, 3
	s_cbranch_scc0 .LBB54_1125
; %bb.1124:
	s_mov_b32 s31, 0
	s_wait_xcnt 0x0
	v_cndmask_b32_e64 v2, 0, 1, s29
	v_mov_b32_e32 v3, s31
	global_store_b64 v[0:1], v[2:3], off
.LBB54_1125:
	s_and_not1_b32 vcc_lo, exec_lo, s31
	s_cbranch_vccnz .LBB54_1127
; %bb.1126:
	s_wait_xcnt 0x0
	v_cndmask_b32_e64 v2, 0, 1, s29
	global_store_b32 v[0:1], v2, off
.LBB54_1127:
	s_mov_b32 s31, 0
.LBB54_1128:
	s_delay_alu instid0(SALU_CYCLE_1)
	s_and_not1_b32 vcc_lo, exec_lo, s31
	s_cbranch_vccnz .LBB54_1130
; %bb.1129:
	s_wait_xcnt 0x0
	v_cndmask_b32_e64 v2, 0, 1, s29
	global_store_b16 v[0:1], v2, off
.LBB54_1130:
	s_mov_b32 s31, 0
.LBB54_1131:
	s_delay_alu instid0(SALU_CYCLE_1)
	s_and_not1_b32 vcc_lo, exec_lo, s31
	s_cbranch_vccnz .LBB54_1136
; %bb.1132:
	s_wait_xcnt 0x0
	v_cndmask_b32_e64 v2, 0, 1, s29
	s_cmp_gt_i32 s30, 0
	s_mov_b32 s29, -1
	s_cbranch_scc0 .LBB54_1134
; %bb.1133:
	s_mov_b32 s29, 0
	global_store_b8 v[0:1], v2, off
.LBB54_1134:
	s_and_not1_b32 vcc_lo, exec_lo, s29
	s_cbranch_vccnz .LBB54_1136
; %bb.1135:
	global_store_b8 v[0:1], v2, off
.LBB54_1136:
	s_mov_b32 s33, -1
.LBB54_1137:
	s_delay_alu instid0(SALU_CYCLE_1)
	s_and_not1_b32 vcc_lo, exec_lo, s33
	s_cbranch_vccnz .LBB54_1139
; %bb.1138:
	v_add_nc_u32_e32 v18, 0x80, v18
	s_mov_b32 s30, -1
	s_branch .LBB54_1141
.LBB54_1139:
	s_mov_b32 s30, 0
.LBB54_1140:
                                        ; implicit-def: $vgpr18
.LBB54_1141:
	s_and_not1_b32 s29, s23, exec_lo
	s_and_b32 s0, s0, exec_lo
	s_and_b32 s28, s28, exec_lo
	s_or_b32 s29, s29, s0
	s_and_not1_b32 s0, s24, exec_lo
	s_and_not1_b32 s31, s22, exec_lo
	s_and_b32 s27, s27, exec_lo
	s_or_b32 s28, s0, s28
	s_or_b32 s27, s31, s27
	s_or_not1_b32 s34, s30, exec_lo
.LBB54_1142:
	s_wait_xcnt 0x0
	s_or_b32 exec_lo, exec_lo, s26
	s_mov_b32 s30, 0
	s_mov_b32 s31, 0
	;; [unrolled: 1-line block ×3, first 2 shown]
                                        ; implicit-def: $sgpr0
                                        ; implicit-def: $vgpr2_vgpr3
                                        ; implicit-def: $vgpr0_vgpr1
	s_and_saveexec_b32 s26, s34
	s_cbranch_execz .LBB54_1221
; %bb.1143:
	v_cmp_gt_i32_e32 vcc_lo, s17, v18
	s_mov_b32 s35, s27
	s_mov_b32 s34, 0
	;; [unrolled: 1-line block ×3, first 2 shown]
                                        ; implicit-def: $sgpr0
                                        ; implicit-def: $vgpr2_vgpr3
                                        ; implicit-def: $vgpr0_vgpr1
	s_and_saveexec_b32 s17, vcc_lo
	s_cbranch_execz .LBB54_1220
; %bb.1144:
	s_wait_loadcnt 0x0
	v_mul_lo_u32 v0, v18, s9
	s_and_b32 s0, s14, 0xff
	s_delay_alu instid0(SALU_CYCLE_1) | instskip(NEXT) | instid1(VALU_DEP_1)
	s_cmp_lt_i32 s0, 11
	v_ashrrev_i32_e32 v1, 31, v0
	s_delay_alu instid0(VALU_DEP_1)
	v_add_nc_u64_e32 v[2:3], s[6:7], v[0:1]
	s_cbranch_scc1 .LBB54_1151
; %bb.1145:
	s_and_b32 s30, 0xffff, s0
	s_delay_alu instid0(SALU_CYCLE_1)
	s_cmp_gt_i32 s30, 25
	s_cbranch_scc0 .LBB54_1152
; %bb.1146:
	s_cmp_gt_i32 s30, 28
	s_cbranch_scc0 .LBB54_1153
; %bb.1147:
	;; [unrolled: 3-line block ×4, first 2 shown]
	s_cmp_eq_u32 s30, 46
	s_mov_b32 s35, 0
	s_cbranch_scc0 .LBB54_1158
; %bb.1150:
	global_load_b32 v0, v[2:3], off
	s_mov_b32 s34, -1
	s_wait_loadcnt 0x0
	v_lshlrev_b32_e32 v0, 16, v0
	s_delay_alu instid0(VALU_DEP_1) | instskip(NEXT) | instid1(VALU_DEP_1)
	v_trunc_f32_e32 v0, v0
	v_mul_f32_e64 v1, 0x2f800000, |v0|
	s_delay_alu instid0(VALU_DEP_1) | instskip(NEXT) | instid1(VALU_DEP_1)
	v_floor_f32_e32 v1, v1
	v_fma_f32 v4, 0xcf800000, v1, |v0|
	v_ashrrev_i32_e32 v0, 31, v0
	v_cvt_u32_f32_e32 v5, v1
	s_delay_alu instid0(VALU_DEP_3) | instskip(NEXT) | instid1(VALU_DEP_2)
	v_cvt_u32_f32_e32 v4, v4
	v_dual_mov_b32 v1, v0 :: v_dual_bitop2_b32 v5, v5, v0 bitop3:0x14
	s_delay_alu instid0(VALU_DEP_2) | instskip(NEXT) | instid1(VALU_DEP_1)
	v_xor_b32_e32 v4, v4, v0
	v_sub_nc_u64_e32 v[0:1], v[4:5], v[0:1]
	s_branch .LBB54_1160
.LBB54_1151:
	s_mov_b32 s30, -1
	s_mov_b32 s31, s27
                                        ; implicit-def: $vgpr0_vgpr1
	s_branch .LBB54_1219
.LBB54_1152:
	s_mov_b32 s35, -1
	s_mov_b32 s31, s27
                                        ; implicit-def: $vgpr0_vgpr1
	s_branch .LBB54_1187
.LBB54_1153:
	s_mov_b32 s35, -1
	s_mov_b32 s31, s27
                                        ; implicit-def: $vgpr0_vgpr1
	s_branch .LBB54_1170
.LBB54_1154:
	s_mov_b32 s35, -1
	s_mov_b32 s31, s27
                                        ; implicit-def: $vgpr0_vgpr1
	s_branch .LBB54_1165
.LBB54_1155:
	s_mov_b32 s35, -1
	s_mov_b32 s31, s27
	s_branch .LBB54_1159
.LBB54_1156:
	s_and_not1_saveexec_b32 s35, s35
	s_cbranch_execz .LBB54_1050
.LBB54_1157:
	v_add_f32_e32 v2, 0x46000000, v3
	s_and_not1_b32 s34, s34, exec_lo
	s_delay_alu instid0(VALU_DEP_1) | instskip(NEXT) | instid1(VALU_DEP_1)
	v_and_b32_e32 v2, 0xff, v2
	v_cmp_ne_u32_e32 vcc_lo, 0, v2
	s_and_b32 s36, vcc_lo, exec_lo
	s_delay_alu instid0(SALU_CYCLE_1)
	s_or_b32 s34, s34, s36
	s_or_b32 exec_lo, exec_lo, s35
	v_mov_b32_e32 v4, 0
	s_and_saveexec_b32 s35, s34
	s_cbranch_execnz .LBB54_1051
	s_branch .LBB54_1052
.LBB54_1158:
	s_mov_b32 s31, -1
.LBB54_1159:
                                        ; implicit-def: $vgpr0_vgpr1
.LBB54_1160:
	s_and_b32 vcc_lo, exec_lo, s35
	s_cbranch_vccz .LBB54_1164
; %bb.1161:
	s_cmp_eq_u32 s30, 44
	s_cbranch_scc0 .LBB54_1163
; %bb.1162:
	global_load_u8 v6, v[2:3], off
	s_mov_b32 s31, 0
	s_mov_b32 s34, -1
	s_wait_loadcnt 0x0
	v_cmp_ne_u32_e32 vcc_lo, 0, v6
	v_lshlrev_b32_e32 v0, 23, v6
	s_delay_alu instid0(VALU_DEP_1) | instskip(NEXT) | instid1(VALU_DEP_1)
	v_trunc_f32_e32 v0, v0
	v_mul_f32_e64 v1, 0x2f800000, |v0|
	s_delay_alu instid0(VALU_DEP_1) | instskip(NEXT) | instid1(VALU_DEP_1)
	v_floor_f32_e32 v1, v1
	v_fma_f32 v4, 0xcf800000, v1, |v0|
	v_ashrrev_i32_e32 v0, 31, v0
	v_cvt_u32_f32_e32 v5, v1
	s_delay_alu instid0(VALU_DEP_3) | instskip(NEXT) | instid1(VALU_DEP_2)
	v_cvt_u32_f32_e32 v4, v4
	v_dual_mov_b32 v1, v0 :: v_dual_bitop2_b32 v5, v5, v0 bitop3:0x14
	s_delay_alu instid0(VALU_DEP_2) | instskip(NEXT) | instid1(VALU_DEP_1)
	v_xor_b32_e32 v4, v4, v0
	v_sub_nc_u64_e32 v[0:1], v[4:5], v[0:1]
	s_delay_alu instid0(VALU_DEP_1)
	v_dual_cndmask_b32 v1, 0, v1 :: v_dual_cndmask_b32 v0, 0, v0
	s_branch .LBB54_1164
.LBB54_1163:
	s_mov_b32 s31, -1
                                        ; implicit-def: $vgpr0_vgpr1
.LBB54_1164:
	s_mov_b32 s35, 0
.LBB54_1165:
	s_delay_alu instid0(SALU_CYCLE_1)
	s_and_b32 vcc_lo, exec_lo, s35
	s_cbranch_vccz .LBB54_1169
; %bb.1166:
	s_cmp_eq_u32 s30, 29
	s_cbranch_scc0 .LBB54_1168
; %bb.1167:
	global_load_b64 v[0:1], v[2:3], off
	s_mov_b32 s31, 0
	s_mov_b32 s34, -1
	s_branch .LBB54_1169
.LBB54_1168:
	s_mov_b32 s31, -1
                                        ; implicit-def: $vgpr0_vgpr1
.LBB54_1169:
	s_mov_b32 s35, 0
.LBB54_1170:
	s_delay_alu instid0(SALU_CYCLE_1)
	s_and_b32 vcc_lo, exec_lo, s35
	s_cbranch_vccz .LBB54_1186
; %bb.1171:
	s_cmp_lt_i32 s30, 27
	s_cbranch_scc1 .LBB54_1174
; %bb.1172:
	s_cmp_gt_i32 s30, 27
	s_cbranch_scc0 .LBB54_1175
; %bb.1173:
	s_wait_loadcnt 0x0
	global_load_b32 v0, v[2:3], off
	v_mov_b32_e32 v1, 0
	s_mov_b32 s34, 0
	s_branch .LBB54_1176
.LBB54_1174:
	s_mov_b32 s34, -1
                                        ; implicit-def: $vgpr0_vgpr1
	s_branch .LBB54_1179
.LBB54_1175:
	s_mov_b32 s34, -1
                                        ; implicit-def: $vgpr0_vgpr1
.LBB54_1176:
	s_delay_alu instid0(SALU_CYCLE_1)
	s_and_not1_b32 vcc_lo, exec_lo, s34
	s_cbranch_vccnz .LBB54_1178
; %bb.1177:
	s_wait_loadcnt 0x0
	global_load_u16 v0, v[2:3], off
	s_mov_b32 s34, 0
	s_delay_alu instid0(SALU_CYCLE_1)
	v_mov_b32_e32 v1, s34
	s_wait_loadcnt 0x0
	v_and_b32_e32 v0, 0xffff, v0
.LBB54_1178:
	s_mov_b32 s34, 0
.LBB54_1179:
	s_delay_alu instid0(SALU_CYCLE_1)
	s_and_not1_b32 vcc_lo, exec_lo, s34
	s_cbranch_vccnz .LBB54_1185
; %bb.1180:
	global_load_u8 v4, v[2:3], off
	s_mov_b32 s35, 0
	s_mov_b32 s34, exec_lo
	s_wait_loadcnt 0x0
	v_cmpx_lt_i16_e32 0x7f, v4
	s_xor_b32 s34, exec_lo, s34
	s_cbranch_execz .LBB54_1197
; %bb.1181:
	v_cmp_ne_u16_e32 vcc_lo, 0x80, v4
	s_and_b32 s35, vcc_lo, exec_lo
	s_and_not1_saveexec_b32 s34, s34
	s_cbranch_execnz .LBB54_1198
.LBB54_1182:
	s_or_b32 exec_lo, exec_lo, s34
	v_mov_b64_e32 v[0:1], 0
	s_and_saveexec_b32 s34, s35
	s_cbranch_execz .LBB54_1184
.LBB54_1183:
	v_and_b32_e32 v0, 0xffff, v4
	s_delay_alu instid0(VALU_DEP_1) | instskip(SKIP_1) | instid1(VALU_DEP_2)
	v_and_b32_e32 v1, 7, v0
	v_bfe_u32 v7, v0, 3, 4
	v_clz_i32_u32_e32 v5, v1
	s_delay_alu instid0(VALU_DEP_2) | instskip(NEXT) | instid1(VALU_DEP_2)
	v_cmp_eq_u32_e32 vcc_lo, 0, v7
	v_min_u32_e32 v5, 32, v5
	s_delay_alu instid0(VALU_DEP_1) | instskip(NEXT) | instid1(VALU_DEP_1)
	v_subrev_nc_u32_e32 v6, 28, v5
	v_dual_lshlrev_b32 v0, v6, v0 :: v_dual_sub_nc_u32 v5, 29, v5
	s_delay_alu instid0(VALU_DEP_1) | instskip(NEXT) | instid1(VALU_DEP_2)
	v_and_b32_e32 v0, 7, v0
	v_dual_cndmask_b32 v5, v7, v5 :: v_dual_lshlrev_b32 v4, 24, v4
	s_delay_alu instid0(VALU_DEP_2) | instskip(NEXT) | instid1(VALU_DEP_2)
	v_cndmask_b32_e32 v0, v1, v0, vcc_lo
	v_and_b32_e32 v1, 0x80000000, v4
	s_delay_alu instid0(VALU_DEP_3) | instskip(NEXT) | instid1(VALU_DEP_3)
	v_lshl_add_u32 v4, v5, 23, 0x3b800000
	v_lshlrev_b32_e32 v0, 20, v0
	s_delay_alu instid0(VALU_DEP_1) | instskip(NEXT) | instid1(VALU_DEP_1)
	v_or3_b32 v0, v1, v4, v0
	v_trunc_f32_e32 v0, v0
	s_delay_alu instid0(VALU_DEP_1) | instskip(NEXT) | instid1(VALU_DEP_1)
	v_mul_f32_e64 v1, 0x2f800000, |v0|
	v_floor_f32_e32 v1, v1
	s_delay_alu instid0(VALU_DEP_1) | instskip(SKIP_2) | instid1(VALU_DEP_3)
	v_fma_f32 v4, 0xcf800000, v1, |v0|
	v_ashrrev_i32_e32 v0, 31, v0
	v_cvt_u32_f32_e32 v5, v1
	v_cvt_u32_f32_e32 v4, v4
	s_delay_alu instid0(VALU_DEP_2) | instskip(NEXT) | instid1(VALU_DEP_2)
	v_dual_mov_b32 v1, v0 :: v_dual_bitop2_b32 v5, v5, v0 bitop3:0x14
	v_xor_b32_e32 v4, v4, v0
	s_delay_alu instid0(VALU_DEP_1)
	v_sub_nc_u64_e32 v[0:1], v[4:5], v[0:1]
.LBB54_1184:
	s_or_b32 exec_lo, exec_lo, s34
.LBB54_1185:
	s_mov_b32 s34, -1
.LBB54_1186:
	s_mov_b32 s35, 0
.LBB54_1187:
	s_delay_alu instid0(SALU_CYCLE_1)
	s_and_b32 vcc_lo, exec_lo, s35
	s_cbranch_vccz .LBB54_1218
; %bb.1188:
	s_cmp_gt_i32 s30, 22
	s_cbranch_scc0 .LBB54_1196
; %bb.1189:
	s_cmp_lt_i32 s30, 24
	s_cbranch_scc1 .LBB54_1199
; %bb.1190:
	s_cmp_gt_i32 s30, 24
	s_cbranch_scc0 .LBB54_1200
; %bb.1191:
	global_load_u8 v4, v[2:3], off
	s_mov_b32 s34, 0
	s_mov_b32 s33, exec_lo
	s_wait_loadcnt 0x0
	v_cmpx_lt_i16_e32 0x7f, v4
	s_xor_b32 s33, exec_lo, s33
	s_cbranch_execz .LBB54_1212
; %bb.1192:
	v_cmp_ne_u16_e32 vcc_lo, 0x80, v4
	s_and_b32 s34, vcc_lo, exec_lo
	s_and_not1_saveexec_b32 s33, s33
	s_cbranch_execnz .LBB54_1213
.LBB54_1193:
	s_or_b32 exec_lo, exec_lo, s33
	v_mov_b64_e32 v[0:1], 0
	s_and_saveexec_b32 s33, s34
	s_cbranch_execz .LBB54_1195
.LBB54_1194:
	v_and_b32_e32 v0, 0xffff, v4
	s_delay_alu instid0(VALU_DEP_1) | instskip(SKIP_1) | instid1(VALU_DEP_2)
	v_and_b32_e32 v1, 3, v0
	v_bfe_u32 v7, v0, 2, 5
	v_clz_i32_u32_e32 v5, v1
	s_delay_alu instid0(VALU_DEP_2) | instskip(NEXT) | instid1(VALU_DEP_2)
	v_cmp_eq_u32_e32 vcc_lo, 0, v7
	v_min_u32_e32 v5, 32, v5
	s_delay_alu instid0(VALU_DEP_1) | instskip(NEXT) | instid1(VALU_DEP_1)
	v_subrev_nc_u32_e32 v6, 29, v5
	v_dual_lshlrev_b32 v0, v6, v0 :: v_dual_sub_nc_u32 v5, 30, v5
	s_delay_alu instid0(VALU_DEP_1) | instskip(NEXT) | instid1(VALU_DEP_2)
	v_and_b32_e32 v0, 3, v0
	v_dual_cndmask_b32 v5, v7, v5 :: v_dual_lshlrev_b32 v4, 24, v4
	s_delay_alu instid0(VALU_DEP_2) | instskip(NEXT) | instid1(VALU_DEP_2)
	v_cndmask_b32_e32 v0, v1, v0, vcc_lo
	v_and_b32_e32 v1, 0x80000000, v4
	s_delay_alu instid0(VALU_DEP_3) | instskip(NEXT) | instid1(VALU_DEP_3)
	v_lshl_add_u32 v4, v5, 23, 0x37800000
	v_lshlrev_b32_e32 v0, 21, v0
	s_delay_alu instid0(VALU_DEP_1) | instskip(NEXT) | instid1(VALU_DEP_1)
	v_or3_b32 v0, v1, v4, v0
	v_trunc_f32_e32 v0, v0
	s_delay_alu instid0(VALU_DEP_1) | instskip(NEXT) | instid1(VALU_DEP_1)
	v_mul_f32_e64 v1, 0x2f800000, |v0|
	v_floor_f32_e32 v1, v1
	s_delay_alu instid0(VALU_DEP_1) | instskip(SKIP_2) | instid1(VALU_DEP_3)
	v_fma_f32 v4, 0xcf800000, v1, |v0|
	v_ashrrev_i32_e32 v0, 31, v0
	v_cvt_u32_f32_e32 v5, v1
	v_cvt_u32_f32_e32 v4, v4
	s_delay_alu instid0(VALU_DEP_2) | instskip(NEXT) | instid1(VALU_DEP_2)
	v_dual_mov_b32 v1, v0 :: v_dual_bitop2_b32 v5, v5, v0 bitop3:0x14
	v_xor_b32_e32 v4, v4, v0
	s_delay_alu instid0(VALU_DEP_1)
	v_sub_nc_u64_e32 v[0:1], v[4:5], v[0:1]
.LBB54_1195:
	s_or_b32 exec_lo, exec_lo, s33
	s_mov_b32 s33, 0
	s_branch .LBB54_1201
.LBB54_1196:
	s_mov_b32 s33, -1
                                        ; implicit-def: $vgpr0_vgpr1
	s_branch .LBB54_1207
.LBB54_1197:
	s_and_not1_saveexec_b32 s34, s34
	s_cbranch_execz .LBB54_1182
.LBB54_1198:
	v_cmp_ne_u16_e32 vcc_lo, 0, v4
	s_and_not1_b32 s35, s35, exec_lo
	s_and_b32 s36, vcc_lo, exec_lo
	s_delay_alu instid0(SALU_CYCLE_1)
	s_or_b32 s35, s35, s36
	s_or_b32 exec_lo, exec_lo, s34
	v_mov_b64_e32 v[0:1], 0
	s_and_saveexec_b32 s34, s35
	s_cbranch_execnz .LBB54_1183
	s_branch .LBB54_1184
.LBB54_1199:
	s_mov_b32 s33, -1
                                        ; implicit-def: $vgpr0_vgpr1
	s_branch .LBB54_1204
.LBB54_1200:
	s_mov_b32 s33, -1
                                        ; implicit-def: $vgpr0_vgpr1
.LBB54_1201:
	s_delay_alu instid0(SALU_CYCLE_1)
	s_and_b32 vcc_lo, exec_lo, s33
	s_cbranch_vccz .LBB54_1203
; %bb.1202:
	s_wait_loadcnt 0x0
	global_load_u8 v0, v[2:3], off
	s_wait_loadcnt 0x0
	v_lshlrev_b32_e32 v0, 24, v0
	s_delay_alu instid0(VALU_DEP_1) | instskip(NEXT) | instid1(VALU_DEP_1)
	v_and_b32_e32 v1, 0x7f000000, v0
	v_clz_i32_u32_e32 v4, v1
	v_cmp_ne_u32_e32 vcc_lo, 0, v1
	v_add_nc_u32_e32 v6, 0x1000000, v1
	s_delay_alu instid0(VALU_DEP_3) | instskip(NEXT) | instid1(VALU_DEP_1)
	v_min_u32_e32 v4, 32, v4
	v_sub_nc_u32_e64 v4, v4, 4 clamp
	s_delay_alu instid0(VALU_DEP_1) | instskip(NEXT) | instid1(VALU_DEP_1)
	v_dual_lshlrev_b32 v5, v4, v1 :: v_dual_lshlrev_b32 v4, 23, v4
	v_lshrrev_b32_e32 v5, 4, v5
	s_delay_alu instid0(VALU_DEP_1) | instskip(NEXT) | instid1(VALU_DEP_1)
	v_dual_sub_nc_u32 v4, v5, v4 :: v_dual_ashrrev_i32 v5, 8, v6
	v_add_nc_u32_e32 v4, 0x3c000000, v4
	s_delay_alu instid0(VALU_DEP_1) | instskip(NEXT) | instid1(VALU_DEP_1)
	v_and_or_b32 v4, 0x7f800000, v5, v4
	v_cndmask_b32_e32 v1, 0, v4, vcc_lo
	s_delay_alu instid0(VALU_DEP_1) | instskip(NEXT) | instid1(VALU_DEP_1)
	v_and_or_b32 v0, 0x80000000, v0, v1
	v_trunc_f32_e32 v0, v0
	s_delay_alu instid0(VALU_DEP_1) | instskip(NEXT) | instid1(VALU_DEP_1)
	v_mul_f32_e64 v1, 0x2f800000, |v0|
	v_floor_f32_e32 v1, v1
	s_delay_alu instid0(VALU_DEP_1) | instskip(SKIP_2) | instid1(VALU_DEP_3)
	v_fma_f32 v4, 0xcf800000, v1, |v0|
	v_ashrrev_i32_e32 v0, 31, v0
	v_cvt_u32_f32_e32 v5, v1
	v_cvt_u32_f32_e32 v4, v4
	s_delay_alu instid0(VALU_DEP_2) | instskip(NEXT) | instid1(VALU_DEP_2)
	v_dual_mov_b32 v1, v0 :: v_dual_bitop2_b32 v5, v5, v0 bitop3:0x14
	v_xor_b32_e32 v4, v4, v0
	s_delay_alu instid0(VALU_DEP_1)
	v_sub_nc_u64_e32 v[0:1], v[4:5], v[0:1]
.LBB54_1203:
	s_mov_b32 s33, 0
.LBB54_1204:
	s_delay_alu instid0(SALU_CYCLE_1)
	s_and_not1_b32 vcc_lo, exec_lo, s33
	s_cbranch_vccnz .LBB54_1206
; %bb.1205:
	s_wait_loadcnt 0x0
	global_load_u8 v0, v[2:3], off
	s_wait_loadcnt 0x0
	v_lshlrev_b32_e32 v1, 25, v0
	v_lshlrev_b16 v0, 8, v0
	s_delay_alu instid0(VALU_DEP_1) | instskip(SKIP_1) | instid1(VALU_DEP_2)
	v_and_or_b32 v5, 0x7f00, v0, 0.5
	v_bfe_i32 v0, v0, 0, 16
	v_add_f32_e32 v5, -0.5, v5
	v_lshrrev_b32_e32 v4, 4, v1
	v_cmp_gt_u32_e32 vcc_lo, 0x8000000, v1
	s_delay_alu instid0(VALU_DEP_2) | instskip(NEXT) | instid1(VALU_DEP_1)
	v_or_b32_e32 v4, 0x70000000, v4
	v_mul_f32_e32 v4, 0x7800000, v4
	s_delay_alu instid0(VALU_DEP_1) | instskip(NEXT) | instid1(VALU_DEP_1)
	v_cndmask_b32_e32 v1, v4, v5, vcc_lo
	v_and_or_b32 v0, 0x80000000, v0, v1
	s_delay_alu instid0(VALU_DEP_1) | instskip(NEXT) | instid1(VALU_DEP_1)
	v_trunc_f32_e32 v0, v0
	v_mul_f32_e64 v1, 0x2f800000, |v0|
	s_delay_alu instid0(VALU_DEP_1) | instskip(NEXT) | instid1(VALU_DEP_1)
	v_floor_f32_e32 v1, v1
	v_fma_f32 v4, 0xcf800000, v1, |v0|
	v_ashrrev_i32_e32 v0, 31, v0
	v_cvt_u32_f32_e32 v5, v1
	s_delay_alu instid0(VALU_DEP_3) | instskip(NEXT) | instid1(VALU_DEP_2)
	v_cvt_u32_f32_e32 v4, v4
	v_dual_mov_b32 v1, v0 :: v_dual_bitop2_b32 v5, v5, v0 bitop3:0x14
	s_delay_alu instid0(VALU_DEP_2) | instskip(NEXT) | instid1(VALU_DEP_1)
	v_xor_b32_e32 v4, v4, v0
	v_sub_nc_u64_e32 v[0:1], v[4:5], v[0:1]
.LBB54_1206:
	s_mov_b32 s33, 0
	s_mov_b32 s34, -1
.LBB54_1207:
	s_and_not1_b32 vcc_lo, exec_lo, s33
	s_mov_b32 s33, 0
	s_cbranch_vccnz .LBB54_1218
; %bb.1208:
	s_cmp_gt_i32 s30, 14
	s_cbranch_scc0 .LBB54_1211
; %bb.1209:
	s_cmp_eq_u32 s30, 15
	s_cbranch_scc0 .LBB54_1214
; %bb.1210:
	s_wait_loadcnt 0x0
	global_load_u16 v0, v[2:3], off
	s_mov_b32 s31, 0
	s_mov_b32 s34, -1
	s_wait_loadcnt 0x0
	v_lshlrev_b32_e32 v0, 16, v0
	s_delay_alu instid0(VALU_DEP_1) | instskip(NEXT) | instid1(VALU_DEP_1)
	v_trunc_f32_e32 v0, v0
	v_mul_f32_e64 v1, 0x2f800000, |v0|
	s_delay_alu instid0(VALU_DEP_1) | instskip(NEXT) | instid1(VALU_DEP_1)
	v_floor_f32_e32 v1, v1
	v_fma_f32 v4, 0xcf800000, v1, |v0|
	v_ashrrev_i32_e32 v0, 31, v0
	v_cvt_u32_f32_e32 v5, v1
	s_delay_alu instid0(VALU_DEP_3) | instskip(NEXT) | instid1(VALU_DEP_2)
	v_cvt_u32_f32_e32 v4, v4
	v_dual_mov_b32 v1, v0 :: v_dual_bitop2_b32 v5, v5, v0 bitop3:0x14
	s_delay_alu instid0(VALU_DEP_2) | instskip(NEXT) | instid1(VALU_DEP_1)
	v_xor_b32_e32 v4, v4, v0
	v_sub_nc_u64_e32 v[0:1], v[4:5], v[0:1]
	s_branch .LBB54_1216
.LBB54_1211:
	s_mov_b32 s33, -1
	s_branch .LBB54_1215
.LBB54_1212:
	s_and_not1_saveexec_b32 s33, s33
	s_cbranch_execz .LBB54_1193
.LBB54_1213:
	v_cmp_ne_u16_e32 vcc_lo, 0, v4
	s_and_not1_b32 s34, s34, exec_lo
	s_and_b32 s35, vcc_lo, exec_lo
	s_delay_alu instid0(SALU_CYCLE_1)
	s_or_b32 s34, s34, s35
	s_or_b32 exec_lo, exec_lo, s33
	v_mov_b64_e32 v[0:1], 0
	s_and_saveexec_b32 s33, s34
	s_cbranch_execnz .LBB54_1194
	s_branch .LBB54_1195
.LBB54_1214:
	s_mov_b32 s31, -1
.LBB54_1215:
                                        ; implicit-def: $vgpr0_vgpr1
.LBB54_1216:
	s_and_b32 vcc_lo, exec_lo, s33
	s_mov_b32 s33, 0
	s_cbranch_vccz .LBB54_1218
; %bb.1217:
	s_cmp_lg_u32 s30, 11
	s_mov_b32 s33, -1
	s_cselect_b32 s30, -1, 0
	s_and_not1_b32 s31, s31, exec_lo
	s_and_b32 s30, s30, exec_lo
	s_delay_alu instid0(SALU_CYCLE_1)
	s_or_b32 s31, s31, s30
.LBB54_1218:
	s_mov_b32 s30, 0
.LBB54_1219:
	s_and_not1_b32 s35, s27, exec_lo
	s_and_b32 s31, s31, exec_lo
	s_and_b32 s36, s34, exec_lo
	;; [unrolled: 1-line block ×4, first 2 shown]
	s_or_b32 s35, s35, s31
.LBB54_1220:
	s_wait_xcnt 0x0
	s_or_b32 exec_lo, exec_lo, s17
	s_delay_alu instid0(SALU_CYCLE_1)
	s_and_not1_b32 s17, s27, exec_lo
	s_and_b32 s27, s35, exec_lo
	s_and_b32 s33, s36, exec_lo
	;; [unrolled: 1-line block ×4, first 2 shown]
	s_or_b32 s27, s17, s27
.LBB54_1221:
	s_or_b32 exec_lo, exec_lo, s26
	s_delay_alu instid0(SALU_CYCLE_1)
	s_and_not1_b32 s17, s23, exec_lo
	s_and_b32 s23, s29, exec_lo
	s_and_not1_b32 s24, s24, exec_lo
	s_and_b32 s26, s28, exec_lo
	s_or_b32 s23, s17, s23
	s_and_not1_b32 s17, s22, exec_lo
	s_and_b32 s22, s27, exec_lo
	s_or_b32 s24, s24, s26
	s_and_b32 s29, s33, exec_lo
	s_and_b32 s28, s31, exec_lo
	;; [unrolled: 1-line block ×3, first 2 shown]
	s_or_b32 s22, s17, s22
.LBB54_1222:
	s_or_b32 exec_lo, exec_lo, s25
	s_delay_alu instid0(SALU_CYCLE_1)
	s_and_not1_b32 s17, s18, exec_lo
	s_and_b32 s18, s23, exec_lo
	s_and_not1_b32 s19, s19, exec_lo
	s_and_b32 s23, s24, exec_lo
	s_or_b32 s18, s17, s18
	s_and_not1_b32 s17, s20, exec_lo
	s_and_b32 s20, s22, exec_lo
	s_or_b32 s19, s19, s23
	s_and_b32 s23, s29, exec_lo
	s_and_b32 s24, s28, exec_lo
	;; [unrolled: 1-line block ×3, first 2 shown]
	s_or_b32 s20, s17, s20
	s_or_b32 exec_lo, exec_lo, s21
	s_mov_b32 s17, 0
	s_and_saveexec_b32 s21, s20
	s_cbranch_execz .LBB54_384
.LBB54_1223:
	s_mov_b32 s17, exec_lo
	s_and_not1_b32 s22, s22, exec_lo
	s_trap 2
	s_or_b32 exec_lo, exec_lo, s21
	s_and_saveexec_b32 s20, s22
	s_delay_alu instid0(SALU_CYCLE_1)
	s_xor_b32 s20, exec_lo, s20
	s_cbranch_execnz .LBB54_385
.LBB54_1224:
	s_or_b32 exec_lo, exec_lo, s20
	s_and_saveexec_b32 s20, s24
	s_cbranch_execz .LBB54_1270
.LBB54_1225:
	s_sext_i32_i16 s21, s0
	s_delay_alu instid0(SALU_CYCLE_1)
	s_cmp_lt_i32 s21, 5
	s_cbranch_scc1 .LBB54_1230
; %bb.1226:
	s_cmp_lt_i32 s21, 8
	s_cbranch_scc1 .LBB54_1231
; %bb.1227:
	;; [unrolled: 3-line block ×3, first 2 shown]
	s_cmp_gt_i32 s21, 9
	s_cbranch_scc0 .LBB54_1233
; %bb.1229:
	s_wait_loadcnt 0x0
	global_load_b64 v[0:1], v[2:3], off
	s_mov_b32 s21, 0
	s_wait_loadcnt 0x0
	v_trunc_f64_e32 v[0:1], v[0:1]
	s_delay_alu instid0(VALU_DEP_1) | instskip(NEXT) | instid1(VALU_DEP_1)
	v_ldexp_f64 v[4:5], v[0:1], 0xffffffe0
	v_floor_f64_e32 v[4:5], v[4:5]
	s_delay_alu instid0(VALU_DEP_1) | instskip(SKIP_1) | instid1(VALU_DEP_2)
	v_fmamk_f64 v[6:7], v[4:5], 0xc1f00000, v[0:1]
	v_cvt_i32_f64_e32 v1, v[4:5]
	v_cvt_u32_f64_e32 v0, v[6:7]
	s_branch .LBB54_1234
.LBB54_1230:
                                        ; implicit-def: $vgpr0_vgpr1
	s_branch .LBB54_1251
.LBB54_1231:
                                        ; implicit-def: $vgpr0_vgpr1
	s_branch .LBB54_1240
.LBB54_1232:
	s_mov_b32 s21, -1
                                        ; implicit-def: $vgpr0_vgpr1
	s_branch .LBB54_1237
.LBB54_1233:
	s_mov_b32 s21, -1
                                        ; implicit-def: $vgpr0_vgpr1
.LBB54_1234:
	s_delay_alu instid0(SALU_CYCLE_1)
	s_and_not1_b32 vcc_lo, exec_lo, s21
	s_cbranch_vccnz .LBB54_1236
; %bb.1235:
	s_wait_loadcnt 0x0
	global_load_b32 v0, v[2:3], off
	s_wait_loadcnt 0x0
	v_trunc_f32_e32 v0, v0
	s_delay_alu instid0(VALU_DEP_1) | instskip(NEXT) | instid1(VALU_DEP_1)
	v_mul_f32_e64 v1, 0x2f800000, |v0|
	v_floor_f32_e32 v1, v1
	s_delay_alu instid0(VALU_DEP_1) | instskip(SKIP_2) | instid1(VALU_DEP_3)
	v_fma_f32 v4, 0xcf800000, v1, |v0|
	v_ashrrev_i32_e32 v0, 31, v0
	v_cvt_u32_f32_e32 v5, v1
	v_cvt_u32_f32_e32 v4, v4
	s_delay_alu instid0(VALU_DEP_2) | instskip(NEXT) | instid1(VALU_DEP_2)
	v_dual_mov_b32 v1, v0 :: v_dual_bitop2_b32 v5, v5, v0 bitop3:0x14
	v_xor_b32_e32 v4, v4, v0
	s_delay_alu instid0(VALU_DEP_1)
	v_sub_nc_u64_e32 v[0:1], v[4:5], v[0:1]
.LBB54_1236:
	s_mov_b32 s21, 0
.LBB54_1237:
	s_delay_alu instid0(SALU_CYCLE_1)
	s_and_not1_b32 vcc_lo, exec_lo, s21
	s_cbranch_vccnz .LBB54_1239
; %bb.1238:
	s_wait_loadcnt 0x0
	global_load_b32 v0, v[2:3], off
	s_wait_loadcnt 0x0
	v_cvt_f32_f16_e32 v0, v0
	s_delay_alu instid0(VALU_DEP_1) | instskip(NEXT) | instid1(VALU_DEP_1)
	v_cvt_i32_f32_e32 v0, v0
	v_ashrrev_i32_e32 v1, 31, v0
.LBB54_1239:
	s_cbranch_execnz .LBB54_1250
.LBB54_1240:
	s_sext_i32_i16 s21, s0
	s_delay_alu instid0(SALU_CYCLE_1)
	s_cmp_lt_i32 s21, 6
	s_cbranch_scc1 .LBB54_1243
; %bb.1241:
	s_cmp_gt_i32 s21, 6
	s_cbranch_scc0 .LBB54_1244
; %bb.1242:
	s_wait_loadcnt 0x0
	global_load_b64 v[0:1], v[2:3], off
	s_mov_b32 s21, 0
	s_wait_loadcnt 0x0
	v_trunc_f64_e32 v[0:1], v[0:1]
	s_delay_alu instid0(VALU_DEP_1) | instskip(NEXT) | instid1(VALU_DEP_1)
	v_ldexp_f64 v[4:5], v[0:1], 0xffffffe0
	v_floor_f64_e32 v[4:5], v[4:5]
	s_delay_alu instid0(VALU_DEP_1) | instskip(SKIP_1) | instid1(VALU_DEP_2)
	v_fmamk_f64 v[6:7], v[4:5], 0xc1f00000, v[0:1]
	v_cvt_i32_f64_e32 v1, v[4:5]
	v_cvt_u32_f64_e32 v0, v[6:7]
	s_branch .LBB54_1245
.LBB54_1243:
	s_mov_b32 s21, -1
                                        ; implicit-def: $vgpr0_vgpr1
	s_branch .LBB54_1248
.LBB54_1244:
	s_mov_b32 s21, -1
                                        ; implicit-def: $vgpr0_vgpr1
.LBB54_1245:
	s_delay_alu instid0(SALU_CYCLE_1)
	s_and_not1_b32 vcc_lo, exec_lo, s21
	s_cbranch_vccnz .LBB54_1247
; %bb.1246:
	s_wait_loadcnt 0x0
	global_load_b32 v0, v[2:3], off
	s_wait_loadcnt 0x0
	v_trunc_f32_e32 v0, v0
	s_delay_alu instid0(VALU_DEP_1) | instskip(NEXT) | instid1(VALU_DEP_1)
	v_mul_f32_e64 v1, 0x2f800000, |v0|
	v_floor_f32_e32 v1, v1
	s_delay_alu instid0(VALU_DEP_1) | instskip(SKIP_2) | instid1(VALU_DEP_3)
	v_fma_f32 v4, 0xcf800000, v1, |v0|
	v_ashrrev_i32_e32 v0, 31, v0
	v_cvt_u32_f32_e32 v5, v1
	v_cvt_u32_f32_e32 v4, v4
	s_delay_alu instid0(VALU_DEP_2) | instskip(NEXT) | instid1(VALU_DEP_2)
	v_dual_mov_b32 v1, v0 :: v_dual_bitop2_b32 v5, v5, v0 bitop3:0x14
	v_xor_b32_e32 v4, v4, v0
	s_delay_alu instid0(VALU_DEP_1)
	v_sub_nc_u64_e32 v[0:1], v[4:5], v[0:1]
.LBB54_1247:
	s_mov_b32 s21, 0
.LBB54_1248:
	s_delay_alu instid0(SALU_CYCLE_1)
	s_and_not1_b32 vcc_lo, exec_lo, s21
	s_cbranch_vccnz .LBB54_1250
; %bb.1249:
	s_wait_loadcnt 0x0
	global_load_u16 v0, v[2:3], off
	s_wait_loadcnt 0x0
	v_cvt_f32_f16_e32 v0, v0
	s_delay_alu instid0(VALU_DEP_1) | instskip(NEXT) | instid1(VALU_DEP_1)
	v_cvt_i32_f32_e32 v0, v0
	v_ashrrev_i32_e32 v1, 31, v0
.LBB54_1250:
	s_cbranch_execnz .LBB54_1269
.LBB54_1251:
	s_sext_i32_i16 s21, s0
	s_delay_alu instid0(SALU_CYCLE_1)
	s_cmp_lt_i32 s21, 2
	s_cbranch_scc1 .LBB54_1255
; %bb.1252:
	s_cmp_lt_i32 s21, 3
	s_cbranch_scc1 .LBB54_1256
; %bb.1253:
	s_cmp_gt_i32 s21, 3
	s_cbranch_scc0 .LBB54_1257
; %bb.1254:
	s_wait_loadcnt 0x0
	global_load_b64 v[0:1], v[2:3], off
	s_mov_b32 s21, 0
	s_branch .LBB54_1258
.LBB54_1255:
                                        ; implicit-def: $vgpr0_vgpr1
	s_branch .LBB54_1264
.LBB54_1256:
	s_mov_b32 s21, -1
                                        ; implicit-def: $vgpr0_vgpr1
	s_branch .LBB54_1261
.LBB54_1257:
	s_mov_b32 s21, -1
                                        ; implicit-def: $vgpr0_vgpr1
.LBB54_1258:
	s_delay_alu instid0(SALU_CYCLE_1)
	s_and_not1_b32 vcc_lo, exec_lo, s21
	s_cbranch_vccnz .LBB54_1260
; %bb.1259:
	s_wait_loadcnt 0x0
	global_load_b32 v0, v[2:3], off
	s_wait_loadcnt 0x0
	v_ashrrev_i32_e32 v1, 31, v0
.LBB54_1260:
	s_mov_b32 s21, 0
.LBB54_1261:
	s_delay_alu instid0(SALU_CYCLE_1)
	s_and_not1_b32 vcc_lo, exec_lo, s21
	s_cbranch_vccnz .LBB54_1263
; %bb.1262:
	s_wait_loadcnt 0x0
	global_load_u16 v0, v[2:3], off
	s_wait_loadcnt 0x0
	v_bfe_i32 v0, v0, 0, 16
	s_delay_alu instid0(VALU_DEP_1)
	v_ashrrev_i32_e32 v1, 31, v0
.LBB54_1263:
	s_cbranch_execnz .LBB54_1269
.LBB54_1264:
	s_sext_i32_i16 s0, s0
	s_delay_alu instid0(SALU_CYCLE_1)
	s_cmp_gt_i32 s0, 0
	s_mov_b32 s0, 0
	s_cbranch_scc0 .LBB54_1266
; %bb.1265:
	s_wait_loadcnt 0x0
	global_load_i8 v0, v[2:3], off
	s_wait_loadcnt 0x0
	v_bfe_i32 v0, v0, 0, 16
	s_delay_alu instid0(VALU_DEP_1)
	v_ashrrev_i32_e32 v1, 31, v0
	s_branch .LBB54_1267
.LBB54_1266:
	s_mov_b32 s0, -1
                                        ; implicit-def: $vgpr0_vgpr1
.LBB54_1267:
	s_delay_alu instid0(SALU_CYCLE_1)
	s_and_not1_b32 vcc_lo, exec_lo, s0
	s_cbranch_vccnz .LBB54_1269
; %bb.1268:
	s_wait_loadcnt 0x0
	global_load_u8 v0, v[2:3], off
	s_mov_b32 s0, 0
	s_delay_alu instid0(SALU_CYCLE_1)
	v_mov_b32_e32 v1, s0
	s_wait_loadcnt 0x0
	v_and_b32_e32 v0, 0xffff, v0
.LBB54_1269:
	s_or_b32 s23, s23, exec_lo
.LBB54_1270:
	s_wait_xcnt 0x0
	s_or_b32 exec_lo, exec_lo, s20
	s_mov_b32 s22, 0
	s_mov_b32 s21, 0
	s_mov_b32 s24, 0
                                        ; implicit-def: $sgpr0
                                        ; implicit-def: $vgpr2_vgpr3
                                        ; implicit-def: $vgpr4_vgpr5
	s_and_saveexec_b32 s20, s23
	s_cbranch_execz .LBB54_1278
; %bb.1271:
	v_mul_lo_u32 v2, v18, s10
	s_and_b32 s0, s1, 0xff
	s_delay_alu instid0(SALU_CYCLE_1) | instskip(NEXT) | instid1(VALU_DEP_1)
	s_cmp_lt_i32 s0, 11
	v_ashrrev_i32_e32 v3, 31, v2
	s_delay_alu instid0(VALU_DEP_1)
	v_add_nc_u64_e32 v[2:3], s[2:3], v[2:3]
	s_cbranch_scc1 .LBB54_1281
; %bb.1272:
	s_and_b32 s21, 0xffff, s0
	s_mov_b32 s23, 0
	s_cmp_gt_i32 s21, 25
	s_cbranch_scc0 .LBB54_1282
; %bb.1273:
	s_cmp_gt_i32 s21, 28
	s_cbranch_scc0 .LBB54_1283
; %bb.1274:
	;; [unrolled: 3-line block ×4, first 2 shown]
	s_cmp_eq_u32 s21, 46
	s_mov_b32 s25, 0
	s_cbranch_scc0 .LBB54_1286
; %bb.1277:
	s_wait_loadcnt 0x0
	global_load_b32 v4, v[2:3], off
	s_mov_b32 s24, -1
	s_wait_loadcnt 0x0
	v_lshlrev_b32_e32 v4, 16, v4
	s_delay_alu instid0(VALU_DEP_1) | instskip(NEXT) | instid1(VALU_DEP_1)
	v_trunc_f32_e32 v4, v4
	v_mul_f32_e64 v5, 0x2f800000, |v4|
	s_delay_alu instid0(VALU_DEP_1) | instskip(NEXT) | instid1(VALU_DEP_1)
	v_floor_f32_e32 v5, v5
	v_fma_f32 v6, 0xcf800000, v5, |v4|
	v_ashrrev_i32_e32 v4, 31, v4
	v_cvt_u32_f32_e32 v7, v5
	s_delay_alu instid0(VALU_DEP_3) | instskip(NEXT) | instid1(VALU_DEP_2)
	v_cvt_u32_f32_e32 v6, v6
	v_dual_mov_b32 v5, v4 :: v_dual_bitop2_b32 v7, v7, v4 bitop3:0x14
	s_delay_alu instid0(VALU_DEP_2) | instskip(NEXT) | instid1(VALU_DEP_1)
	v_xor_b32_e32 v6, v6, v4
	v_sub_nc_u64_e32 v[4:5], v[6:7], v[4:5]
	s_branch .LBB54_1288
.LBB54_1278:
	s_or_b32 exec_lo, exec_lo, s20
	s_and_saveexec_b32 s20, s19
	s_cbranch_execnz .LBB54_1347
.LBB54_1279:
	s_or_b32 exec_lo, exec_lo, s20
	s_and_saveexec_b32 s19, s22
	s_delay_alu instid0(SALU_CYCLE_1)
	s_xor_b32 s19, exec_lo, s19
	s_cbranch_execz .LBB54_1348
.LBB54_1280:
	s_wait_loadcnt 0x0
	global_load_u8 v4, v[2:3], off
	s_mov_b32 s20, 0
	s_or_b32 s24, s24, exec_lo
	v_mov_b32_e32 v5, s20
	s_wait_loadcnt 0x0
	v_cmp_ne_u16_e32 vcc_lo, 0, v4
	v_cndmask_b32_e64 v4, 0, 1, vcc_lo
	s_wait_xcnt 0x0
	s_or_b32 exec_lo, exec_lo, s19
	s_and_saveexec_b32 s19, s21
	s_cbranch_execz .LBB54_1394
	s_branch .LBB54_1349
.LBB54_1281:
	s_mov_b32 s21, -1
	s_mov_b32 s23, 0
	s_mov_b32 s22, s19
                                        ; implicit-def: $vgpr4_vgpr5
	s_branch .LBB54_1346
.LBB54_1282:
	s_mov_b32 s22, s19
                                        ; implicit-def: $vgpr4_vgpr5
	s_cbranch_execnz .LBB54_1315
	s_branch .LBB54_1345
.LBB54_1283:
	s_mov_b32 s25, -1
	s_mov_b32 s22, s19
                                        ; implicit-def: $vgpr4_vgpr5
	s_branch .LBB54_1298
.LBB54_1284:
	s_mov_b32 s25, -1
	s_mov_b32 s22, s19
                                        ; implicit-def: $vgpr4_vgpr5
	s_branch .LBB54_1293
.LBB54_1285:
	s_mov_b32 s25, -1
	s_mov_b32 s22, s19
	s_branch .LBB54_1287
.LBB54_1286:
	s_mov_b32 s22, -1
.LBB54_1287:
                                        ; implicit-def: $vgpr4_vgpr5
.LBB54_1288:
	s_and_b32 vcc_lo, exec_lo, s25
	s_cbranch_vccz .LBB54_1292
; %bb.1289:
	s_cmp_eq_u32 s21, 44
	s_cbranch_scc0 .LBB54_1291
; %bb.1290:
	global_load_u8 v8, v[2:3], off
	s_mov_b32 s22, 0
	s_mov_b32 s24, -1
	s_wait_loadcnt 0x0
	v_cmp_ne_u32_e32 vcc_lo, 0, v8
	v_lshlrev_b32_e32 v4, 23, v8
	s_delay_alu instid0(VALU_DEP_1) | instskip(NEXT) | instid1(VALU_DEP_1)
	v_trunc_f32_e32 v4, v4
	v_mul_f32_e64 v5, 0x2f800000, |v4|
	s_delay_alu instid0(VALU_DEP_1) | instskip(NEXT) | instid1(VALU_DEP_1)
	v_floor_f32_e32 v5, v5
	v_fma_f32 v6, 0xcf800000, v5, |v4|
	v_ashrrev_i32_e32 v4, 31, v4
	v_cvt_u32_f32_e32 v7, v5
	s_delay_alu instid0(VALU_DEP_3) | instskip(NEXT) | instid1(VALU_DEP_2)
	v_cvt_u32_f32_e32 v6, v6
	v_dual_mov_b32 v5, v4 :: v_dual_bitop2_b32 v7, v7, v4 bitop3:0x14
	s_delay_alu instid0(VALU_DEP_2) | instskip(NEXT) | instid1(VALU_DEP_1)
	v_xor_b32_e32 v6, v6, v4
	v_sub_nc_u64_e32 v[4:5], v[6:7], v[4:5]
	s_delay_alu instid0(VALU_DEP_1)
	v_dual_cndmask_b32 v5, 0, v5 :: v_dual_cndmask_b32 v4, 0, v4
	s_branch .LBB54_1292
.LBB54_1291:
	s_mov_b32 s22, -1
                                        ; implicit-def: $vgpr4_vgpr5
.LBB54_1292:
	s_mov_b32 s25, 0
.LBB54_1293:
	s_delay_alu instid0(SALU_CYCLE_1)
	s_and_b32 vcc_lo, exec_lo, s25
	s_cbranch_vccz .LBB54_1297
; %bb.1294:
	s_cmp_eq_u32 s21, 29
	s_cbranch_scc0 .LBB54_1296
; %bb.1295:
	s_wait_loadcnt 0x0
	global_load_b64 v[4:5], v[2:3], off
	s_mov_b32 s22, 0
	s_mov_b32 s24, -1
	s_branch .LBB54_1297
.LBB54_1296:
	s_mov_b32 s22, -1
                                        ; implicit-def: $vgpr4_vgpr5
.LBB54_1297:
	s_mov_b32 s25, 0
.LBB54_1298:
	s_delay_alu instid0(SALU_CYCLE_1)
	s_and_b32 vcc_lo, exec_lo, s25
	s_cbranch_vccz .LBB54_1314
; %bb.1299:
	s_cmp_lt_i32 s21, 27
	s_cbranch_scc1 .LBB54_1302
; %bb.1300:
	s_cmp_gt_i32 s21, 27
	s_cbranch_scc0 .LBB54_1303
; %bb.1301:
	s_wait_loadcnt 0x0
	global_load_b32 v4, v[2:3], off
	v_mov_b32_e32 v5, 0
	s_mov_b32 s24, 0
	s_branch .LBB54_1304
.LBB54_1302:
	s_mov_b32 s24, -1
                                        ; implicit-def: $vgpr4_vgpr5
	s_branch .LBB54_1307
.LBB54_1303:
	s_mov_b32 s24, -1
                                        ; implicit-def: $vgpr4_vgpr5
.LBB54_1304:
	s_delay_alu instid0(SALU_CYCLE_1)
	s_and_not1_b32 vcc_lo, exec_lo, s24
	s_cbranch_vccnz .LBB54_1306
; %bb.1305:
	s_wait_loadcnt 0x0
	global_load_u16 v4, v[2:3], off
	s_mov_b32 s24, 0
	s_delay_alu instid0(SALU_CYCLE_1)
	v_mov_b32_e32 v5, s24
	s_wait_loadcnt 0x0
	v_and_b32_e32 v4, 0xffff, v4
.LBB54_1306:
	s_mov_b32 s24, 0
.LBB54_1307:
	s_delay_alu instid0(SALU_CYCLE_1)
	s_and_not1_b32 vcc_lo, exec_lo, s24
	s_cbranch_vccnz .LBB54_1313
; %bb.1308:
	global_load_u8 v6, v[2:3], off
	s_mov_b32 s25, 0
	s_mov_b32 s24, exec_lo
	s_wait_loadcnt 0x0
	v_cmpx_lt_i16_e32 0x7f, v6
	s_xor_b32 s24, exec_lo, s24
	s_cbranch_execz .LBB54_1324
; %bb.1309:
	v_cmp_ne_u16_e32 vcc_lo, 0x80, v6
	s_and_b32 s25, vcc_lo, exec_lo
	s_and_not1_saveexec_b32 s24, s24
	s_cbranch_execnz .LBB54_1325
.LBB54_1310:
	s_or_b32 exec_lo, exec_lo, s24
	v_mov_b64_e32 v[4:5], 0
	s_and_saveexec_b32 s24, s25
	s_cbranch_execz .LBB54_1312
.LBB54_1311:
	v_and_b32_e32 v4, 0xffff, v6
	s_delay_alu instid0(VALU_DEP_1) | instskip(SKIP_1) | instid1(VALU_DEP_2)
	v_and_b32_e32 v5, 7, v4
	v_bfe_u32 v9, v4, 3, 4
	v_clz_i32_u32_e32 v7, v5
	s_delay_alu instid0(VALU_DEP_2) | instskip(NEXT) | instid1(VALU_DEP_2)
	v_cmp_eq_u32_e32 vcc_lo, 0, v9
	v_min_u32_e32 v7, 32, v7
	s_delay_alu instid0(VALU_DEP_1) | instskip(NEXT) | instid1(VALU_DEP_1)
	v_subrev_nc_u32_e32 v8, 28, v7
	v_dual_lshlrev_b32 v4, v8, v4 :: v_dual_sub_nc_u32 v7, 29, v7
	s_delay_alu instid0(VALU_DEP_1) | instskip(NEXT) | instid1(VALU_DEP_2)
	v_dual_lshlrev_b32 v6, 24, v6 :: v_dual_bitop2_b32 v4, 7, v4 bitop3:0x40
	v_cndmask_b32_e32 v7, v9, v7, vcc_lo
	s_delay_alu instid0(VALU_DEP_2) | instskip(NEXT) | instid1(VALU_DEP_3)
	v_cndmask_b32_e32 v4, v5, v4, vcc_lo
	v_and_b32_e32 v5, 0x80000000, v6
	s_delay_alu instid0(VALU_DEP_3) | instskip(NEXT) | instid1(VALU_DEP_3)
	v_lshl_add_u32 v6, v7, 23, 0x3b800000
	v_lshlrev_b32_e32 v4, 20, v4
	s_delay_alu instid0(VALU_DEP_1) | instskip(NEXT) | instid1(VALU_DEP_1)
	v_or3_b32 v4, v5, v6, v4
	v_trunc_f32_e32 v4, v4
	s_delay_alu instid0(VALU_DEP_1) | instskip(NEXT) | instid1(VALU_DEP_1)
	v_mul_f32_e64 v5, 0x2f800000, |v4|
	v_floor_f32_e32 v5, v5
	s_delay_alu instid0(VALU_DEP_1) | instskip(SKIP_2) | instid1(VALU_DEP_3)
	v_fma_f32 v6, 0xcf800000, v5, |v4|
	v_ashrrev_i32_e32 v4, 31, v4
	v_cvt_u32_f32_e32 v7, v5
	v_cvt_u32_f32_e32 v6, v6
	s_delay_alu instid0(VALU_DEP_2) | instskip(NEXT) | instid1(VALU_DEP_2)
	v_dual_mov_b32 v5, v4 :: v_dual_bitop2_b32 v7, v7, v4 bitop3:0x14
	v_xor_b32_e32 v6, v6, v4
	s_delay_alu instid0(VALU_DEP_1)
	v_sub_nc_u64_e32 v[4:5], v[6:7], v[4:5]
.LBB54_1312:
	s_or_b32 exec_lo, exec_lo, s24
.LBB54_1313:
	s_mov_b32 s24, -1
.LBB54_1314:
	s_branch .LBB54_1345
.LBB54_1315:
	s_cmp_gt_i32 s21, 22
	s_cbranch_scc0 .LBB54_1323
; %bb.1316:
	s_cmp_lt_i32 s21, 24
	s_cbranch_scc1 .LBB54_1326
; %bb.1317:
	s_cmp_gt_i32 s21, 24
	s_cbranch_scc0 .LBB54_1327
; %bb.1318:
	global_load_u8 v6, v[2:3], off
	s_mov_b32 s24, 0
	s_mov_b32 s23, exec_lo
	s_wait_loadcnt 0x0
	v_cmpx_lt_i16_e32 0x7f, v6
	s_xor_b32 s23, exec_lo, s23
	s_cbranch_execz .LBB54_1339
; %bb.1319:
	v_cmp_ne_u16_e32 vcc_lo, 0x80, v6
	s_and_b32 s24, vcc_lo, exec_lo
	s_and_not1_saveexec_b32 s23, s23
	s_cbranch_execnz .LBB54_1340
.LBB54_1320:
	s_or_b32 exec_lo, exec_lo, s23
	v_mov_b64_e32 v[4:5], 0
	s_and_saveexec_b32 s23, s24
	s_cbranch_execz .LBB54_1322
.LBB54_1321:
	v_and_b32_e32 v4, 0xffff, v6
	s_delay_alu instid0(VALU_DEP_1) | instskip(SKIP_1) | instid1(VALU_DEP_2)
	v_and_b32_e32 v5, 3, v4
	v_bfe_u32 v9, v4, 2, 5
	v_clz_i32_u32_e32 v7, v5
	s_delay_alu instid0(VALU_DEP_2) | instskip(NEXT) | instid1(VALU_DEP_2)
	v_cmp_eq_u32_e32 vcc_lo, 0, v9
	v_min_u32_e32 v7, 32, v7
	s_delay_alu instid0(VALU_DEP_1) | instskip(NEXT) | instid1(VALU_DEP_1)
	v_subrev_nc_u32_e32 v8, 29, v7
	v_dual_lshlrev_b32 v4, v8, v4 :: v_dual_sub_nc_u32 v7, 30, v7
	s_delay_alu instid0(VALU_DEP_1) | instskip(NEXT) | instid1(VALU_DEP_2)
	v_dual_lshlrev_b32 v6, 24, v6 :: v_dual_bitop2_b32 v4, 3, v4 bitop3:0x40
	v_cndmask_b32_e32 v7, v9, v7, vcc_lo
	s_delay_alu instid0(VALU_DEP_2) | instskip(NEXT) | instid1(VALU_DEP_3)
	v_cndmask_b32_e32 v4, v5, v4, vcc_lo
	v_and_b32_e32 v5, 0x80000000, v6
	s_delay_alu instid0(VALU_DEP_3) | instskip(NEXT) | instid1(VALU_DEP_3)
	v_lshl_add_u32 v6, v7, 23, 0x37800000
	v_lshlrev_b32_e32 v4, 21, v4
	s_delay_alu instid0(VALU_DEP_1) | instskip(NEXT) | instid1(VALU_DEP_1)
	v_or3_b32 v4, v5, v6, v4
	v_trunc_f32_e32 v4, v4
	s_delay_alu instid0(VALU_DEP_1) | instskip(NEXT) | instid1(VALU_DEP_1)
	v_mul_f32_e64 v5, 0x2f800000, |v4|
	v_floor_f32_e32 v5, v5
	s_delay_alu instid0(VALU_DEP_1) | instskip(SKIP_2) | instid1(VALU_DEP_3)
	v_fma_f32 v6, 0xcf800000, v5, |v4|
	v_ashrrev_i32_e32 v4, 31, v4
	v_cvt_u32_f32_e32 v7, v5
	v_cvt_u32_f32_e32 v6, v6
	s_delay_alu instid0(VALU_DEP_2) | instskip(NEXT) | instid1(VALU_DEP_2)
	v_dual_mov_b32 v5, v4 :: v_dual_bitop2_b32 v7, v7, v4 bitop3:0x14
	v_xor_b32_e32 v6, v6, v4
	s_delay_alu instid0(VALU_DEP_1)
	v_sub_nc_u64_e32 v[4:5], v[6:7], v[4:5]
.LBB54_1322:
	s_or_b32 exec_lo, exec_lo, s23
	s_mov_b32 s23, 0
	s_branch .LBB54_1328
.LBB54_1323:
	s_mov_b32 s23, -1
                                        ; implicit-def: $vgpr4_vgpr5
	s_branch .LBB54_1334
.LBB54_1324:
	s_and_not1_saveexec_b32 s24, s24
	s_cbranch_execz .LBB54_1310
.LBB54_1325:
	v_cmp_ne_u16_e32 vcc_lo, 0, v6
	s_and_not1_b32 s25, s25, exec_lo
	s_and_b32 s26, vcc_lo, exec_lo
	s_delay_alu instid0(SALU_CYCLE_1)
	s_or_b32 s25, s25, s26
	s_or_b32 exec_lo, exec_lo, s24
	v_mov_b64_e32 v[4:5], 0
	s_and_saveexec_b32 s24, s25
	s_cbranch_execnz .LBB54_1311
	s_branch .LBB54_1312
.LBB54_1326:
	s_mov_b32 s23, -1
                                        ; implicit-def: $vgpr4_vgpr5
	s_branch .LBB54_1331
.LBB54_1327:
	s_mov_b32 s23, -1
                                        ; implicit-def: $vgpr4_vgpr5
.LBB54_1328:
	s_delay_alu instid0(SALU_CYCLE_1)
	s_and_b32 vcc_lo, exec_lo, s23
	s_cbranch_vccz .LBB54_1330
; %bb.1329:
	s_wait_loadcnt 0x0
	global_load_u8 v4, v[2:3], off
	s_wait_loadcnt 0x0
	v_lshlrev_b32_e32 v4, 24, v4
	s_delay_alu instid0(VALU_DEP_1) | instskip(NEXT) | instid1(VALU_DEP_1)
	v_and_b32_e32 v5, 0x7f000000, v4
	v_clz_i32_u32_e32 v6, v5
	v_cmp_ne_u32_e32 vcc_lo, 0, v5
	v_add_nc_u32_e32 v8, 0x1000000, v5
	s_delay_alu instid0(VALU_DEP_3) | instskip(NEXT) | instid1(VALU_DEP_1)
	v_min_u32_e32 v6, 32, v6
	v_sub_nc_u32_e64 v6, v6, 4 clamp
	s_delay_alu instid0(VALU_DEP_1) | instskip(NEXT) | instid1(VALU_DEP_1)
	v_dual_lshlrev_b32 v7, v6, v5 :: v_dual_lshlrev_b32 v6, 23, v6
	v_lshrrev_b32_e32 v7, 4, v7
	s_delay_alu instid0(VALU_DEP_1) | instskip(NEXT) | instid1(VALU_DEP_1)
	v_dual_sub_nc_u32 v6, v7, v6 :: v_dual_ashrrev_i32 v7, 8, v8
	v_add_nc_u32_e32 v6, 0x3c000000, v6
	s_delay_alu instid0(VALU_DEP_1) | instskip(NEXT) | instid1(VALU_DEP_1)
	v_and_or_b32 v6, 0x7f800000, v7, v6
	v_cndmask_b32_e32 v5, 0, v6, vcc_lo
	s_delay_alu instid0(VALU_DEP_1) | instskip(NEXT) | instid1(VALU_DEP_1)
	v_and_or_b32 v4, 0x80000000, v4, v5
	v_trunc_f32_e32 v4, v4
	s_delay_alu instid0(VALU_DEP_1) | instskip(NEXT) | instid1(VALU_DEP_1)
	v_mul_f32_e64 v5, 0x2f800000, |v4|
	v_floor_f32_e32 v5, v5
	s_delay_alu instid0(VALU_DEP_1) | instskip(SKIP_2) | instid1(VALU_DEP_3)
	v_fma_f32 v6, 0xcf800000, v5, |v4|
	v_ashrrev_i32_e32 v4, 31, v4
	v_cvt_u32_f32_e32 v7, v5
	v_cvt_u32_f32_e32 v6, v6
	s_delay_alu instid0(VALU_DEP_2) | instskip(NEXT) | instid1(VALU_DEP_2)
	v_dual_mov_b32 v5, v4 :: v_dual_bitop2_b32 v7, v7, v4 bitop3:0x14
	v_xor_b32_e32 v6, v6, v4
	s_delay_alu instid0(VALU_DEP_1)
	v_sub_nc_u64_e32 v[4:5], v[6:7], v[4:5]
.LBB54_1330:
	s_mov_b32 s23, 0
.LBB54_1331:
	s_delay_alu instid0(SALU_CYCLE_1)
	s_and_not1_b32 vcc_lo, exec_lo, s23
	s_cbranch_vccnz .LBB54_1333
; %bb.1332:
	s_wait_loadcnt 0x0
	global_load_u8 v4, v[2:3], off
	s_wait_loadcnt 0x0
	v_lshlrev_b32_e32 v5, 25, v4
	v_lshlrev_b16 v4, 8, v4
	s_delay_alu instid0(VALU_DEP_1) | instskip(SKIP_1) | instid1(VALU_DEP_2)
	v_and_or_b32 v7, 0x7f00, v4, 0.5
	v_bfe_i32 v4, v4, 0, 16
	v_dual_add_f32 v7, -0.5, v7 :: v_dual_lshrrev_b32 v6, 4, v5
	v_cmp_gt_u32_e32 vcc_lo, 0x8000000, v5
	s_delay_alu instid0(VALU_DEP_2) | instskip(NEXT) | instid1(VALU_DEP_1)
	v_or_b32_e32 v6, 0x70000000, v6
	v_mul_f32_e32 v6, 0x7800000, v6
	s_delay_alu instid0(VALU_DEP_1) | instskip(NEXT) | instid1(VALU_DEP_1)
	v_cndmask_b32_e32 v5, v6, v7, vcc_lo
	v_and_or_b32 v4, 0x80000000, v4, v5
	s_delay_alu instid0(VALU_DEP_1) | instskip(NEXT) | instid1(VALU_DEP_1)
	v_trunc_f32_e32 v4, v4
	v_mul_f32_e64 v5, 0x2f800000, |v4|
	s_delay_alu instid0(VALU_DEP_1) | instskip(NEXT) | instid1(VALU_DEP_1)
	v_floor_f32_e32 v5, v5
	v_fma_f32 v6, 0xcf800000, v5, |v4|
	v_ashrrev_i32_e32 v4, 31, v4
	v_cvt_u32_f32_e32 v7, v5
	s_delay_alu instid0(VALU_DEP_3) | instskip(NEXT) | instid1(VALU_DEP_2)
	v_cvt_u32_f32_e32 v6, v6
	v_dual_mov_b32 v5, v4 :: v_dual_bitop2_b32 v7, v7, v4 bitop3:0x14
	s_delay_alu instid0(VALU_DEP_2) | instskip(NEXT) | instid1(VALU_DEP_1)
	v_xor_b32_e32 v6, v6, v4
	v_sub_nc_u64_e32 v[4:5], v[6:7], v[4:5]
.LBB54_1333:
	s_mov_b32 s23, 0
	s_mov_b32 s24, -1
.LBB54_1334:
	s_and_not1_b32 vcc_lo, exec_lo, s23
	s_mov_b32 s23, 0
	s_cbranch_vccnz .LBB54_1345
; %bb.1335:
	s_cmp_gt_i32 s21, 14
	s_cbranch_scc0 .LBB54_1338
; %bb.1336:
	s_cmp_eq_u32 s21, 15
	s_cbranch_scc0 .LBB54_1341
; %bb.1337:
	s_wait_loadcnt 0x0
	global_load_u16 v4, v[2:3], off
	s_mov_b32 s22, 0
	s_mov_b32 s24, -1
	s_wait_loadcnt 0x0
	v_lshlrev_b32_e32 v4, 16, v4
	s_delay_alu instid0(VALU_DEP_1) | instskip(NEXT) | instid1(VALU_DEP_1)
	v_trunc_f32_e32 v4, v4
	v_mul_f32_e64 v5, 0x2f800000, |v4|
	s_delay_alu instid0(VALU_DEP_1) | instskip(NEXT) | instid1(VALU_DEP_1)
	v_floor_f32_e32 v5, v5
	v_fma_f32 v6, 0xcf800000, v5, |v4|
	v_ashrrev_i32_e32 v4, 31, v4
	v_cvt_u32_f32_e32 v7, v5
	s_delay_alu instid0(VALU_DEP_3) | instskip(NEXT) | instid1(VALU_DEP_2)
	v_cvt_u32_f32_e32 v6, v6
	v_dual_mov_b32 v5, v4 :: v_dual_bitop2_b32 v7, v7, v4 bitop3:0x14
	s_delay_alu instid0(VALU_DEP_2) | instskip(NEXT) | instid1(VALU_DEP_1)
	v_xor_b32_e32 v6, v6, v4
	v_sub_nc_u64_e32 v[4:5], v[6:7], v[4:5]
	s_branch .LBB54_1343
.LBB54_1338:
	s_mov_b32 s23, -1
	s_branch .LBB54_1342
.LBB54_1339:
	s_and_not1_saveexec_b32 s23, s23
	s_cbranch_execz .LBB54_1320
.LBB54_1340:
	v_cmp_ne_u16_e32 vcc_lo, 0, v6
	s_and_not1_b32 s24, s24, exec_lo
	s_and_b32 s25, vcc_lo, exec_lo
	s_delay_alu instid0(SALU_CYCLE_1)
	s_or_b32 s24, s24, s25
	s_or_b32 exec_lo, exec_lo, s23
	v_mov_b64_e32 v[4:5], 0
	s_and_saveexec_b32 s23, s24
	s_cbranch_execnz .LBB54_1321
	s_branch .LBB54_1322
.LBB54_1341:
	s_mov_b32 s22, -1
.LBB54_1342:
                                        ; implicit-def: $vgpr4_vgpr5
.LBB54_1343:
	s_and_b32 vcc_lo, exec_lo, s23
	s_mov_b32 s23, 0
	s_cbranch_vccz .LBB54_1345
; %bb.1344:
	s_cmp_lg_u32 s21, 11
	s_mov_b32 s23, -1
	s_cselect_b32 s21, -1, 0
	s_and_not1_b32 s22, s22, exec_lo
	s_and_b32 s21, s21, exec_lo
	s_delay_alu instid0(SALU_CYCLE_1)
	s_or_b32 s22, s22, s21
.LBB54_1345:
	s_mov_b32 s21, 0
.LBB54_1346:
	s_and_not1_b32 s19, s19, exec_lo
	s_and_b32 s25, s22, exec_lo
	s_and_b32 s24, s24, exec_lo
	;; [unrolled: 1-line block ×4, first 2 shown]
	s_or_b32 s19, s19, s25
	s_wait_xcnt 0x0
	s_or_b32 exec_lo, exec_lo, s20
	s_and_saveexec_b32 s20, s19
	s_cbranch_execz .LBB54_1279
.LBB54_1347:
	s_or_b32 s17, s17, exec_lo
	s_and_not1_b32 s22, s22, exec_lo
	s_trap 2
	s_or_b32 exec_lo, exec_lo, s20
	s_and_saveexec_b32 s19, s22
	s_delay_alu instid0(SALU_CYCLE_1)
	s_xor_b32 s19, exec_lo, s19
	s_cbranch_execnz .LBB54_1280
.LBB54_1348:
	s_or_b32 exec_lo, exec_lo, s19
	s_and_saveexec_b32 s19, s21
	s_cbranch_execz .LBB54_1394
.LBB54_1349:
	s_sext_i32_i16 s20, s0
	s_delay_alu instid0(SALU_CYCLE_1)
	s_cmp_lt_i32 s20, 5
	s_cbranch_scc1 .LBB54_1354
; %bb.1350:
	s_cmp_lt_i32 s20, 8
	s_cbranch_scc1 .LBB54_1355
; %bb.1351:
	;; [unrolled: 3-line block ×3, first 2 shown]
	s_cmp_gt_i32 s20, 9
	s_cbranch_scc0 .LBB54_1357
; %bb.1353:
	s_wait_loadcnt 0x0
	global_load_b64 v[4:5], v[2:3], off
	s_mov_b32 s20, 0
	s_wait_loadcnt 0x0
	v_trunc_f64_e32 v[4:5], v[4:5]
	s_delay_alu instid0(VALU_DEP_1) | instskip(NEXT) | instid1(VALU_DEP_1)
	v_ldexp_f64 v[6:7], v[4:5], 0xffffffe0
	v_floor_f64_e32 v[6:7], v[6:7]
	s_delay_alu instid0(VALU_DEP_1) | instskip(SKIP_1) | instid1(VALU_DEP_2)
	v_fmamk_f64 v[8:9], v[6:7], 0xc1f00000, v[4:5]
	v_cvt_i32_f64_e32 v5, v[6:7]
	v_cvt_u32_f64_e32 v4, v[8:9]
	s_branch .LBB54_1358
.LBB54_1354:
                                        ; implicit-def: $vgpr4_vgpr5
	s_branch .LBB54_1375
.LBB54_1355:
                                        ; implicit-def: $vgpr4_vgpr5
	s_branch .LBB54_1364
.LBB54_1356:
	s_mov_b32 s20, -1
                                        ; implicit-def: $vgpr4_vgpr5
	s_branch .LBB54_1361
.LBB54_1357:
	s_mov_b32 s20, -1
                                        ; implicit-def: $vgpr4_vgpr5
.LBB54_1358:
	s_delay_alu instid0(SALU_CYCLE_1)
	s_and_not1_b32 vcc_lo, exec_lo, s20
	s_cbranch_vccnz .LBB54_1360
; %bb.1359:
	s_wait_loadcnt 0x0
	global_load_b32 v4, v[2:3], off
	s_wait_loadcnt 0x0
	v_trunc_f32_e32 v4, v4
	s_delay_alu instid0(VALU_DEP_1) | instskip(NEXT) | instid1(VALU_DEP_1)
	v_mul_f32_e64 v5, 0x2f800000, |v4|
	v_floor_f32_e32 v5, v5
	s_delay_alu instid0(VALU_DEP_1) | instskip(SKIP_2) | instid1(VALU_DEP_3)
	v_fma_f32 v6, 0xcf800000, v5, |v4|
	v_ashrrev_i32_e32 v4, 31, v4
	v_cvt_u32_f32_e32 v7, v5
	v_cvt_u32_f32_e32 v6, v6
	s_delay_alu instid0(VALU_DEP_2) | instskip(NEXT) | instid1(VALU_DEP_2)
	v_dual_mov_b32 v5, v4 :: v_dual_bitop2_b32 v7, v7, v4 bitop3:0x14
	v_xor_b32_e32 v6, v6, v4
	s_delay_alu instid0(VALU_DEP_1)
	v_sub_nc_u64_e32 v[4:5], v[6:7], v[4:5]
.LBB54_1360:
	s_mov_b32 s20, 0
.LBB54_1361:
	s_delay_alu instid0(SALU_CYCLE_1)
	s_and_not1_b32 vcc_lo, exec_lo, s20
	s_cbranch_vccnz .LBB54_1363
; %bb.1362:
	s_wait_loadcnt 0x0
	global_load_b32 v4, v[2:3], off
	s_wait_loadcnt 0x0
	v_cvt_f32_f16_e32 v4, v4
	s_delay_alu instid0(VALU_DEP_1) | instskip(NEXT) | instid1(VALU_DEP_1)
	v_cvt_i32_f32_e32 v4, v4
	v_ashrrev_i32_e32 v5, 31, v4
.LBB54_1363:
	s_cbranch_execnz .LBB54_1374
.LBB54_1364:
	s_sext_i32_i16 s20, s0
	s_delay_alu instid0(SALU_CYCLE_1)
	s_cmp_lt_i32 s20, 6
	s_cbranch_scc1 .LBB54_1367
; %bb.1365:
	s_cmp_gt_i32 s20, 6
	s_cbranch_scc0 .LBB54_1368
; %bb.1366:
	s_wait_loadcnt 0x0
	global_load_b64 v[4:5], v[2:3], off
	s_mov_b32 s20, 0
	s_wait_loadcnt 0x0
	v_trunc_f64_e32 v[4:5], v[4:5]
	s_delay_alu instid0(VALU_DEP_1) | instskip(NEXT) | instid1(VALU_DEP_1)
	v_ldexp_f64 v[6:7], v[4:5], 0xffffffe0
	v_floor_f64_e32 v[6:7], v[6:7]
	s_delay_alu instid0(VALU_DEP_1) | instskip(SKIP_1) | instid1(VALU_DEP_2)
	v_fmamk_f64 v[8:9], v[6:7], 0xc1f00000, v[4:5]
	v_cvt_i32_f64_e32 v5, v[6:7]
	v_cvt_u32_f64_e32 v4, v[8:9]
	s_branch .LBB54_1369
.LBB54_1367:
	s_mov_b32 s20, -1
                                        ; implicit-def: $vgpr4_vgpr5
	s_branch .LBB54_1372
.LBB54_1368:
	s_mov_b32 s20, -1
                                        ; implicit-def: $vgpr4_vgpr5
.LBB54_1369:
	s_delay_alu instid0(SALU_CYCLE_1)
	s_and_not1_b32 vcc_lo, exec_lo, s20
	s_cbranch_vccnz .LBB54_1371
; %bb.1370:
	s_wait_loadcnt 0x0
	global_load_b32 v4, v[2:3], off
	s_wait_loadcnt 0x0
	v_trunc_f32_e32 v4, v4
	s_delay_alu instid0(VALU_DEP_1) | instskip(NEXT) | instid1(VALU_DEP_1)
	v_mul_f32_e64 v5, 0x2f800000, |v4|
	v_floor_f32_e32 v5, v5
	s_delay_alu instid0(VALU_DEP_1) | instskip(SKIP_2) | instid1(VALU_DEP_3)
	v_fma_f32 v6, 0xcf800000, v5, |v4|
	v_ashrrev_i32_e32 v4, 31, v4
	v_cvt_u32_f32_e32 v7, v5
	v_cvt_u32_f32_e32 v6, v6
	s_delay_alu instid0(VALU_DEP_2) | instskip(NEXT) | instid1(VALU_DEP_2)
	v_dual_mov_b32 v5, v4 :: v_dual_bitop2_b32 v7, v7, v4 bitop3:0x14
	v_xor_b32_e32 v6, v6, v4
	s_delay_alu instid0(VALU_DEP_1)
	v_sub_nc_u64_e32 v[4:5], v[6:7], v[4:5]
.LBB54_1371:
	s_mov_b32 s20, 0
.LBB54_1372:
	s_delay_alu instid0(SALU_CYCLE_1)
	s_and_not1_b32 vcc_lo, exec_lo, s20
	s_cbranch_vccnz .LBB54_1374
; %bb.1373:
	s_wait_loadcnt 0x0
	global_load_u16 v4, v[2:3], off
	s_wait_loadcnt 0x0
	v_cvt_f32_f16_e32 v4, v4
	s_delay_alu instid0(VALU_DEP_1) | instskip(NEXT) | instid1(VALU_DEP_1)
	v_cvt_i32_f32_e32 v4, v4
	v_ashrrev_i32_e32 v5, 31, v4
.LBB54_1374:
	s_cbranch_execnz .LBB54_1393
.LBB54_1375:
	s_sext_i32_i16 s20, s0
	s_delay_alu instid0(SALU_CYCLE_1)
	s_cmp_lt_i32 s20, 2
	s_cbranch_scc1 .LBB54_1379
; %bb.1376:
	s_cmp_lt_i32 s20, 3
	s_cbranch_scc1 .LBB54_1380
; %bb.1377:
	s_cmp_gt_i32 s20, 3
	s_cbranch_scc0 .LBB54_1381
; %bb.1378:
	s_wait_loadcnt 0x0
	global_load_b64 v[4:5], v[2:3], off
	s_mov_b32 s20, 0
	s_branch .LBB54_1382
.LBB54_1379:
                                        ; implicit-def: $vgpr4_vgpr5
	s_branch .LBB54_1388
.LBB54_1380:
	s_mov_b32 s20, -1
                                        ; implicit-def: $vgpr4_vgpr5
	s_branch .LBB54_1385
.LBB54_1381:
	s_mov_b32 s20, -1
                                        ; implicit-def: $vgpr4_vgpr5
.LBB54_1382:
	s_delay_alu instid0(SALU_CYCLE_1)
	s_and_not1_b32 vcc_lo, exec_lo, s20
	s_cbranch_vccnz .LBB54_1384
; %bb.1383:
	s_wait_loadcnt 0x0
	global_load_b32 v4, v[2:3], off
	s_wait_loadcnt 0x0
	v_ashrrev_i32_e32 v5, 31, v4
.LBB54_1384:
	s_mov_b32 s20, 0
.LBB54_1385:
	s_delay_alu instid0(SALU_CYCLE_1)
	s_and_not1_b32 vcc_lo, exec_lo, s20
	s_cbranch_vccnz .LBB54_1387
; %bb.1386:
	s_wait_loadcnt 0x0
	global_load_u16 v4, v[2:3], off
	s_wait_loadcnt 0x0
	v_bfe_i32 v4, v4, 0, 16
	s_delay_alu instid0(VALU_DEP_1)
	v_ashrrev_i32_e32 v5, 31, v4
.LBB54_1387:
	s_cbranch_execnz .LBB54_1393
.LBB54_1388:
	s_sext_i32_i16 s0, s0
	s_delay_alu instid0(SALU_CYCLE_1)
	s_cmp_gt_i32 s0, 0
	s_mov_b32 s0, 0
	s_cbranch_scc0 .LBB54_1390
; %bb.1389:
	s_wait_loadcnt 0x0
	global_load_i8 v4, v[2:3], off
	s_wait_loadcnt 0x0
	v_bfe_i32 v4, v4, 0, 16
	s_delay_alu instid0(VALU_DEP_1)
	v_ashrrev_i32_e32 v5, 31, v4
	s_branch .LBB54_1391
.LBB54_1390:
	s_mov_b32 s0, -1
                                        ; implicit-def: $vgpr4_vgpr5
.LBB54_1391:
	s_delay_alu instid0(SALU_CYCLE_1)
	s_and_not1_b32 vcc_lo, exec_lo, s0
	s_cbranch_vccnz .LBB54_1393
; %bb.1392:
	global_load_u8 v2, v[2:3], off
	s_mov_b32 s0, 0
	s_wait_loadcnt 0x1
	v_mov_b32_e32 v5, s0
	s_wait_loadcnt 0x0
	v_and_b32_e32 v4, 0xffff, v2
.LBB54_1393:
	s_or_b32 s24, s24, exec_lo
.LBB54_1394:
	s_wait_xcnt 0x0
	s_or_b32 exec_lo, exec_lo, s19
	s_mov_b32 s0, 0
	s_mov_b32 s22, 0
                                        ; implicit-def: $sgpr19
                                        ; implicit-def: $sgpr20
                                        ; implicit-def: $vgpr2_vgpr3
	s_and_saveexec_b32 s21, s24
	s_cbranch_execz .LBB54_1402
; %bb.1395:
	v_mul_lo_u32 v2, v18, s8
	s_wait_loadcnt 0x0
	s_delay_alu instid0(VALU_DEP_2) | instskip(SKIP_3) | instid1(VALU_DEP_2)
	v_cmp_ne_u64_e32 vcc_lo, v[0:1], v[4:5]
	s_and_b32 s20, s12, 0xff
	s_xor_b32 s19, s16, vcc_lo
	s_cmp_lt_i32 s20, 11
	v_ashrrev_i32_e32 v3, 31, v2
	s_delay_alu instid0(VALU_DEP_1)
	v_add_nc_u64_e32 v[2:3], s[4:5], v[2:3]
	s_cbranch_scc1 .LBB54_1405
; %bb.1396:
	s_and_b32 s16, 0xffff, s20
	s_mov_b32 s22, -1
	s_cmp_gt_i32 s16, 25
	s_mov_b32 s0, s18
	s_cbranch_scc0 .LBB54_1433
; %bb.1397:
	s_cmp_gt_i32 s16, 28
	s_mov_b32 s0, s18
	s_cbranch_scc0 .LBB54_1417
; %bb.1398:
	;; [unrolled: 4-line block ×4, first 2 shown]
	s_cmp_eq_u32 s16, 46
	s_mov_b32 s0, -1
	s_cbranch_scc0 .LBB54_1406
; %bb.1401:
	v_cndmask_b32_e64 v0, 0, 1.0, s19
	s_mov_b32 s0, 0
	s_mov_b32 s22, 0
	s_delay_alu instid0(VALU_DEP_1) | instskip(NEXT) | instid1(VALU_DEP_1)
	v_bfe_u32 v1, v0, 16, 1
	v_add3_u32 v0, v0, v1, 0x7fff
	s_delay_alu instid0(VALU_DEP_1)
	v_lshrrev_b32_e32 v0, 16, v0
	global_store_b32 v[2:3], v0, off
	s_branch .LBB54_1407
.LBB54_1402:
	s_or_b32 exec_lo, exec_lo, s21
	s_and_saveexec_b32 s16, s18
	s_cbranch_execnz .LBB54_1475
.LBB54_1403:
	s_or_b32 exec_lo, exec_lo, s16
	s_and_saveexec_b32 s16, s0
	s_delay_alu instid0(SALU_CYCLE_1)
	s_xor_b32 s0, exec_lo, s16
	s_cbranch_execz .LBB54_1476
.LBB54_1404:
	s_wait_loadcnt 0x0
	v_cndmask_b32_e64 v0, 0, 1, s19
	global_store_b8 v[2:3], v0, off
	s_wait_xcnt 0x0
	s_or_b32 exec_lo, exec_lo, s0
	s_and_saveexec_b32 s0, s22
	s_delay_alu instid0(SALU_CYCLE_1)
	s_xor_b32 s0, exec_lo, s0
	s_cbranch_execz .LBB54_1514
	s_branch .LBB54_1477
.LBB54_1405:
	s_mov_b32 s23, 0
	s_mov_b32 s22, -1
	s_mov_b32 s0, s18
	s_branch .LBB54_1474
.LBB54_1406:
	s_mov_b32 s22, 0
.LBB54_1407:
	s_delay_alu instid0(SALU_CYCLE_1)
	s_and_b32 vcc_lo, exec_lo, s22
	s_cbranch_vccz .LBB54_1412
; %bb.1408:
	s_cmp_eq_u32 s16, 44
	s_mov_b32 s0, -1
	s_cbranch_scc0 .LBB54_1412
; %bb.1409:
	v_cndmask_b32_e64 v4, 0, 1.0, s19
	s_mov_b32 s22, exec_lo
	s_wait_xcnt 0x0
	s_delay_alu instid0(VALU_DEP_1) | instskip(NEXT) | instid1(VALU_DEP_1)
	v_dual_mov_b32 v1, 0xff :: v_dual_lshrrev_b32 v0, 23, v4
	v_cmpx_ne_u32_e32 0xff, v0
; %bb.1410:
	v_and_b32_e32 v1, 0x400000, v4
	v_and_or_b32 v4, 0x3fffff, v4, v0
	s_delay_alu instid0(VALU_DEP_2) | instskip(NEXT) | instid1(VALU_DEP_2)
	v_cmp_ne_u32_e32 vcc_lo, 0, v1
	v_cmp_ne_u32_e64 s0, 0, v4
	s_and_b32 s0, vcc_lo, s0
	s_delay_alu instid0(SALU_CYCLE_1) | instskip(NEXT) | instid1(VALU_DEP_1)
	v_cndmask_b32_e64 v1, 0, 1, s0
	v_add_nc_u32_e32 v1, v0, v1
; %bb.1411:
	s_or_b32 exec_lo, exec_lo, s22
	s_mov_b32 s0, 0
	global_store_b8 v[2:3], v1, off
.LBB54_1412:
	s_mov_b32 s22, 0
.LBB54_1413:
	s_delay_alu instid0(SALU_CYCLE_1)
	s_and_b32 vcc_lo, exec_lo, s22
	s_cbranch_vccz .LBB54_1416
; %bb.1414:
	s_cmp_eq_u32 s16, 29
	s_mov_b32 s0, -1
	s_cbranch_scc0 .LBB54_1416
; %bb.1415:
	s_mov_b32 s0, 0
	s_wait_xcnt 0x0
	v_cndmask_b32_e64 v0, 0, 1, s19
	v_mov_b32_e32 v1, s0
	s_mov_b32 s22, 0
	global_store_b64 v[2:3], v[0:1], off
	s_branch .LBB54_1417
.LBB54_1416:
	s_mov_b32 s22, 0
.LBB54_1417:
	s_delay_alu instid0(SALU_CYCLE_1)
	s_and_b32 vcc_lo, exec_lo, s22
	s_cbranch_vccz .LBB54_1432
; %bb.1418:
	s_cmp_lt_i32 s16, 27
	s_mov_b32 s22, -1
	s_cbranch_scc1 .LBB54_1424
; %bb.1419:
	s_wait_xcnt 0x0
	v_cndmask_b32_e64 v0, 0, 1, s19
	s_cmp_gt_i32 s16, 27
	s_cbranch_scc0 .LBB54_1421
; %bb.1420:
	s_mov_b32 s22, 0
	global_store_b32 v[2:3], v0, off
.LBB54_1421:
	s_and_not1_b32 vcc_lo, exec_lo, s22
	s_cbranch_vccnz .LBB54_1423
; %bb.1422:
	global_store_b16 v[2:3], v0, off
.LBB54_1423:
	s_mov_b32 s22, 0
.LBB54_1424:
	s_delay_alu instid0(SALU_CYCLE_1)
	s_and_not1_b32 vcc_lo, exec_lo, s22
	s_cbranch_vccnz .LBB54_1432
; %bb.1425:
	s_wait_xcnt 0x0
	v_cndmask_b32_e64 v1, 0, 1.0, s19
	v_mov_b32_e32 v4, 0x80
	s_mov_b32 s22, exec_lo
	s_delay_alu instid0(VALU_DEP_2)
	v_cmpx_gt_u32_e32 0x43800000, v1
	s_cbranch_execz .LBB54_1431
; %bb.1426:
	s_mov_b32 s23, 0
	s_mov_b32 s24, exec_lo
                                        ; implicit-def: $vgpr0
	v_cmpx_lt_u32_e32 0x3bffffff, v1
	s_xor_b32 s24, exec_lo, s24
	s_cbranch_execz .LBB54_1529
; %bb.1427:
	v_bfe_u32 v0, v1, 20, 1
	s_mov_b32 s23, exec_lo
	s_delay_alu instid0(VALU_DEP_1) | instskip(NEXT) | instid1(VALU_DEP_1)
	v_add3_u32 v0, v1, v0, 0x487ffff
                                        ; implicit-def: $vgpr1
	v_lshrrev_b32_e32 v0, 20, v0
	s_and_not1_saveexec_b32 s24, s24
	s_cbranch_execnz .LBB54_1530
.LBB54_1428:
	s_or_b32 exec_lo, exec_lo, s24
	v_mov_b32_e32 v4, 0
	s_and_saveexec_b32 s24, s23
.LBB54_1429:
	v_mov_b32_e32 v4, v0
.LBB54_1430:
	s_or_b32 exec_lo, exec_lo, s24
.LBB54_1431:
	s_delay_alu instid0(SALU_CYCLE_1)
	s_or_b32 exec_lo, exec_lo, s22
	global_store_b8 v[2:3], v4, off
.LBB54_1432:
	s_mov_b32 s22, 0
.LBB54_1433:
	s_delay_alu instid0(SALU_CYCLE_1)
	s_and_b32 vcc_lo, exec_lo, s22
	s_mov_b32 s22, 0
	s_cbranch_vccz .LBB54_1473
; %bb.1434:
	s_cmp_gt_i32 s16, 22
	s_mov_b32 s23, -1
	s_cbranch_scc0 .LBB54_1466
; %bb.1435:
	s_cmp_lt_i32 s16, 24
	s_cbranch_scc1 .LBB54_1455
; %bb.1436:
	s_cmp_gt_i32 s16, 24
	s_cbranch_scc0 .LBB54_1444
; %bb.1437:
	s_wait_xcnt 0x0
	v_cndmask_b32_e64 v1, 0, 1.0, s19
	v_mov_b32_e32 v4, 0x80
	s_mov_b32 s23, exec_lo
	s_delay_alu instid0(VALU_DEP_2)
	v_cmpx_gt_u32_e32 0x47800000, v1
	s_cbranch_execz .LBB54_1443
; %bb.1438:
	s_mov_b32 s24, 0
	s_mov_b32 s25, exec_lo
                                        ; implicit-def: $vgpr0
	v_cmpx_lt_u32_e32 0x37ffffff, v1
	s_xor_b32 s25, exec_lo, s25
	s_cbranch_execz .LBB54_1650
; %bb.1439:
	v_bfe_u32 v0, v1, 21, 1
	s_mov_b32 s24, exec_lo
	s_delay_alu instid0(VALU_DEP_1) | instskip(NEXT) | instid1(VALU_DEP_1)
	v_add3_u32 v0, v1, v0, 0x88fffff
                                        ; implicit-def: $vgpr1
	v_lshrrev_b32_e32 v0, 21, v0
	s_and_not1_saveexec_b32 s25, s25
	s_cbranch_execnz .LBB54_1651
.LBB54_1440:
	s_or_b32 exec_lo, exec_lo, s25
	v_mov_b32_e32 v4, 0
	s_and_saveexec_b32 s25, s24
.LBB54_1441:
	v_mov_b32_e32 v4, v0
.LBB54_1442:
	s_or_b32 exec_lo, exec_lo, s25
.LBB54_1443:
	s_delay_alu instid0(SALU_CYCLE_1)
	s_or_b32 exec_lo, exec_lo, s23
	s_mov_b32 s23, 0
	global_store_b8 v[2:3], v4, off
.LBB54_1444:
	s_and_b32 vcc_lo, exec_lo, s23
	s_cbranch_vccz .LBB54_1454
; %bb.1445:
	s_wait_xcnt 0x0
	v_cndmask_b32_e64 v1, 0, 1.0, s19
	s_mov_b32 s23, exec_lo
                                        ; implicit-def: $vgpr0
	s_delay_alu instid0(VALU_DEP_1)
	v_cmpx_gt_u32_e32 0x43f00000, v1
	s_xor_b32 s23, exec_lo, s23
	s_cbranch_execz .LBB54_1451
; %bb.1446:
	s_mov_b32 s24, exec_lo
                                        ; implicit-def: $vgpr0
	v_cmpx_lt_u32_e32 0x3c7fffff, v1
	s_xor_b32 s24, exec_lo, s24
; %bb.1447:
	v_bfe_u32 v0, v1, 20, 1
	s_delay_alu instid0(VALU_DEP_1) | instskip(NEXT) | instid1(VALU_DEP_1)
	v_add3_u32 v0, v1, v0, 0x407ffff
	v_and_b32_e32 v1, 0xff00000, v0
	v_lshrrev_b32_e32 v0, 20, v0
	s_delay_alu instid0(VALU_DEP_2) | instskip(NEXT) | instid1(VALU_DEP_2)
	v_cmp_ne_u32_e32 vcc_lo, 0x7f00000, v1
                                        ; implicit-def: $vgpr1
	v_cndmask_b32_e32 v0, 0x7e, v0, vcc_lo
; %bb.1448:
	s_and_not1_saveexec_b32 s24, s24
; %bb.1449:
	v_add_f32_e32 v0, 0x46800000, v1
; %bb.1450:
	s_or_b32 exec_lo, exec_lo, s24
                                        ; implicit-def: $vgpr1
.LBB54_1451:
	s_and_not1_saveexec_b32 s23, s23
; %bb.1452:
	v_mov_b32_e32 v0, 0x7f
	v_cmp_lt_u32_e32 vcc_lo, 0x7f800000, v1
	s_delay_alu instid0(VALU_DEP_2)
	v_cndmask_b32_e32 v0, 0x7e, v0, vcc_lo
; %bb.1453:
	s_or_b32 exec_lo, exec_lo, s23
	global_store_b8 v[2:3], v0, off
.LBB54_1454:
	s_mov_b32 s23, 0
.LBB54_1455:
	s_delay_alu instid0(SALU_CYCLE_1)
	s_and_not1_b32 vcc_lo, exec_lo, s23
	s_cbranch_vccnz .LBB54_1465
; %bb.1456:
	s_wait_xcnt 0x0
	v_cndmask_b32_e64 v1, 0, 1.0, s19
	s_mov_b32 s23, exec_lo
                                        ; implicit-def: $vgpr0
	s_delay_alu instid0(VALU_DEP_1)
	v_cmpx_gt_u32_e32 0x47800000, v1
	s_xor_b32 s23, exec_lo, s23
	s_cbranch_execz .LBB54_1462
; %bb.1457:
	s_mov_b32 s24, exec_lo
                                        ; implicit-def: $vgpr0
	v_cmpx_lt_u32_e32 0x387fffff, v1
	s_xor_b32 s24, exec_lo, s24
; %bb.1458:
	v_bfe_u32 v0, v1, 21, 1
	s_delay_alu instid0(VALU_DEP_1) | instskip(NEXT) | instid1(VALU_DEP_1)
	v_add3_u32 v0, v1, v0, 0x80fffff
                                        ; implicit-def: $vgpr1
	v_lshrrev_b32_e32 v0, 21, v0
; %bb.1459:
	s_and_not1_saveexec_b32 s24, s24
; %bb.1460:
	v_add_f32_e32 v0, 0x43000000, v1
; %bb.1461:
	s_or_b32 exec_lo, exec_lo, s24
                                        ; implicit-def: $vgpr1
.LBB54_1462:
	s_and_not1_saveexec_b32 s23, s23
; %bb.1463:
	v_mov_b32_e32 v0, 0x7f
	v_cmp_lt_u32_e32 vcc_lo, 0x7f800000, v1
	s_delay_alu instid0(VALU_DEP_2)
	v_cndmask_b32_e32 v0, 0x7c, v0, vcc_lo
; %bb.1464:
	s_or_b32 exec_lo, exec_lo, s23
	global_store_b8 v[2:3], v0, off
.LBB54_1465:
	s_mov_b32 s23, 0
.LBB54_1466:
	s_delay_alu instid0(SALU_CYCLE_1)
	s_and_not1_b32 vcc_lo, exec_lo, s23
	s_mov_b32 s23, 0
	s_cbranch_vccnz .LBB54_1474
; %bb.1467:
	s_cmp_gt_i32 s16, 14
	s_mov_b32 s23, -1
	s_cbranch_scc0 .LBB54_1471
; %bb.1468:
	s_cmp_eq_u32 s16, 15
	s_mov_b32 s0, -1
	s_cbranch_scc0 .LBB54_1470
; %bb.1469:
	s_wait_xcnt 0x0
	v_cndmask_b32_e64 v0, 0, 1.0, s19
	s_mov_b32 s0, 0
	s_delay_alu instid0(VALU_DEP_1) | instskip(NEXT) | instid1(VALU_DEP_1)
	v_bfe_u32 v1, v0, 16, 1
	v_add3_u32 v0, v0, v1, 0x7fff
	global_store_d16_hi_b16 v[2:3], v0, off
.LBB54_1470:
	s_mov_b32 s23, 0
.LBB54_1471:
	s_delay_alu instid0(SALU_CYCLE_1)
	s_and_b32 vcc_lo, exec_lo, s23
	s_mov_b32 s23, 0
	s_cbranch_vccz .LBB54_1474
; %bb.1472:
	s_cmp_lg_u32 s16, 11
	s_mov_b32 s23, -1
	s_cselect_b32 s16, -1, 0
	s_and_not1_b32 s0, s0, exec_lo
	s_and_b32 s16, s16, exec_lo
	s_delay_alu instid0(SALU_CYCLE_1)
	s_or_b32 s0, s0, s16
	s_branch .LBB54_1474
.LBB54_1473:
	s_mov_b32 s23, 0
.LBB54_1474:
	s_and_not1_b32 s16, s18, exec_lo
	s_and_b32 s18, s0, exec_lo
	s_and_b32 s22, s22, exec_lo
	;; [unrolled: 1-line block ×3, first 2 shown]
	s_or_b32 s18, s16, s18
	s_wait_xcnt 0x0
	s_or_b32 exec_lo, exec_lo, s21
	s_and_saveexec_b32 s16, s18
	s_cbranch_execz .LBB54_1403
.LBB54_1475:
	s_or_b32 s17, s17, exec_lo
	s_and_not1_b32 s0, s0, exec_lo
	s_trap 2
	s_or_b32 exec_lo, exec_lo, s16
	s_and_saveexec_b32 s16, s0
	s_delay_alu instid0(SALU_CYCLE_1)
	s_xor_b32 s0, exec_lo, s16
	s_cbranch_execnz .LBB54_1404
.LBB54_1476:
	s_or_b32 exec_lo, exec_lo, s0
	s_and_saveexec_b32 s0, s22
	s_delay_alu instid0(SALU_CYCLE_1)
	s_xor_b32 s0, exec_lo, s0
	s_cbranch_execz .LBB54_1514
.LBB54_1477:
	s_sext_i32_i16 s18, s20
	s_mov_b32 s16, -1
	s_cmp_lt_i32 s18, 5
	s_cbranch_scc1 .LBB54_1498
; %bb.1478:
	s_cmp_lt_i32 s18, 8
	s_cbranch_scc1 .LBB54_1488
; %bb.1479:
	;; [unrolled: 3-line block ×3, first 2 shown]
	s_cmp_gt_i32 s18, 9
	s_cbranch_scc0 .LBB54_1482
; %bb.1481:
	s_wait_loadcnt 0x0
	v_cndmask_b32_e64 v0, 0, 1, s19
	v_mov_b32_e32 v6, 0
	s_mov_b32 s16, 0
	s_delay_alu instid0(VALU_DEP_2) | instskip(NEXT) | instid1(VALU_DEP_2)
	v_cvt_f64_u32_e32 v[4:5], v0
	v_mov_b32_e32 v7, v6
	global_store_b128 v[2:3], v[4:7], off
.LBB54_1482:
	s_and_not1_b32 vcc_lo, exec_lo, s16
	s_cbranch_vccnz .LBB54_1484
; %bb.1483:
	s_wait_loadcnt 0x0
	v_cndmask_b32_e64 v0, 0, 1.0, s19
	v_mov_b32_e32 v1, 0
	global_store_b64 v[2:3], v[0:1], off
.LBB54_1484:
	s_mov_b32 s16, 0
.LBB54_1485:
	s_delay_alu instid0(SALU_CYCLE_1)
	s_and_not1_b32 vcc_lo, exec_lo, s16
	s_cbranch_vccnz .LBB54_1487
; %bb.1486:
	s_wait_loadcnt 0x0
	v_cndmask_b32_e64 v0, 0, 1.0, s19
	s_delay_alu instid0(VALU_DEP_1) | instskip(NEXT) | instid1(VALU_DEP_1)
	v_cvt_f16_f32_e32 v0, v0
	v_and_b32_e32 v0, 0xffff, v0
	global_store_b32 v[2:3], v0, off
.LBB54_1487:
	s_mov_b32 s16, 0
.LBB54_1488:
	s_delay_alu instid0(SALU_CYCLE_1)
	s_and_not1_b32 vcc_lo, exec_lo, s16
	s_cbranch_vccnz .LBB54_1497
; %bb.1489:
	s_sext_i32_i16 s18, s20
	s_mov_b32 s16, -1
	s_cmp_lt_i32 s18, 6
	s_cbranch_scc1 .LBB54_1495
; %bb.1490:
	s_cmp_gt_i32 s18, 6
	s_cbranch_scc0 .LBB54_1492
; %bb.1491:
	s_wait_loadcnt 0x0
	v_cndmask_b32_e64 v0, 0, 1, s19
	s_mov_b32 s16, 0
	s_delay_alu instid0(VALU_DEP_1)
	v_cvt_f64_u32_e32 v[0:1], v0
	global_store_b64 v[2:3], v[0:1], off
.LBB54_1492:
	s_and_not1_b32 vcc_lo, exec_lo, s16
	s_cbranch_vccnz .LBB54_1494
; %bb.1493:
	s_wait_loadcnt 0x0
	v_cndmask_b32_e64 v0, 0, 1.0, s19
	global_store_b32 v[2:3], v0, off
.LBB54_1494:
	s_mov_b32 s16, 0
.LBB54_1495:
	s_delay_alu instid0(SALU_CYCLE_1)
	s_and_not1_b32 vcc_lo, exec_lo, s16
	s_cbranch_vccnz .LBB54_1497
; %bb.1496:
	s_wait_loadcnt 0x0
	v_cndmask_b32_e64 v0, 0, 1.0, s19
	s_delay_alu instid0(VALU_DEP_1)
	v_cvt_f16_f32_e32 v0, v0
	global_store_b16 v[2:3], v0, off
.LBB54_1497:
	s_mov_b32 s16, 0
.LBB54_1498:
	s_delay_alu instid0(SALU_CYCLE_1)
	s_and_not1_b32 vcc_lo, exec_lo, s16
	s_cbranch_vccnz .LBB54_1514
; %bb.1499:
	s_sext_i32_i16 s18, s20
	s_mov_b32 s16, -1
	s_cmp_lt_i32 s18, 2
	s_cbranch_scc1 .LBB54_1509
; %bb.1500:
	s_cmp_lt_i32 s18, 3
	s_cbranch_scc1 .LBB54_1506
; %bb.1501:
	s_cmp_gt_i32 s18, 3
	s_cbranch_scc0 .LBB54_1503
; %bb.1502:
	s_mov_b32 s16, 0
	s_wait_loadcnt 0x0
	v_cndmask_b32_e64 v0, 0, 1, s19
	v_mov_b32_e32 v1, s16
	global_store_b64 v[2:3], v[0:1], off
.LBB54_1503:
	s_and_not1_b32 vcc_lo, exec_lo, s16
	s_cbranch_vccnz .LBB54_1505
; %bb.1504:
	s_wait_loadcnt 0x0
	v_cndmask_b32_e64 v0, 0, 1, s19
	global_store_b32 v[2:3], v0, off
.LBB54_1505:
	s_mov_b32 s16, 0
.LBB54_1506:
	s_delay_alu instid0(SALU_CYCLE_1)
	s_and_not1_b32 vcc_lo, exec_lo, s16
	s_cbranch_vccnz .LBB54_1508
; %bb.1507:
	s_wait_loadcnt 0x0
	v_cndmask_b32_e64 v0, 0, 1, s19
	global_store_b16 v[2:3], v0, off
.LBB54_1508:
	s_mov_b32 s16, 0
.LBB54_1509:
	s_delay_alu instid0(SALU_CYCLE_1)
	s_and_not1_b32 vcc_lo, exec_lo, s16
	s_cbranch_vccnz .LBB54_1514
; %bb.1510:
	s_wait_loadcnt 0x0
	v_cndmask_b32_e64 v0, 0, 1, s19
	s_sext_i32_i16 s16, s20
	s_delay_alu instid0(SALU_CYCLE_1)
	s_cmp_gt_i32 s16, 0
	s_mov_b32 s16, -1
	s_cbranch_scc0 .LBB54_1512
; %bb.1511:
	s_mov_b32 s16, 0
	global_store_b8 v[2:3], v0, off
.LBB54_1512:
	s_and_not1_b32 vcc_lo, exec_lo, s16
	s_cbranch_vccnz .LBB54_1514
; %bb.1513:
	global_store_b8 v[2:3], v0, off
.LBB54_1514:
	s_wait_xcnt 0x0
	s_or_b32 exec_lo, exec_lo, s0
	s_delay_alu instid0(SALU_CYCLE_1)
	s_and_b32 s16, s17, exec_lo
                                        ; implicit-def: $vgpr18
.LBB54_1515:
	s_or_saveexec_b32 s15, s15
	s_mov_b32 s0, 0
                                        ; implicit-def: $sgpr18
                                        ; implicit-def: $sgpr17
                                        ; implicit-def: $vgpr0_vgpr1
	s_xor_b32 exec_lo, exec_lo, s15
	s_cbranch_execz .LBB54_2959
; %bb.1516:
	s_wait_loadcnt 0x0
	v_mul_lo_u32 v4, s9, v18
	s_and_b32 s0, s14, 0xff
	s_delay_alu instid0(SALU_CYCLE_1) | instskip(NEXT) | instid1(VALU_DEP_1)
	s_cmp_lt_i32 s0, 11
	v_ashrrev_i32_e32 v5, 31, v4
	s_delay_alu instid0(VALU_DEP_1)
	v_add_nc_u64_e32 v[2:3], s[6:7], v[4:5]
	s_cbranch_scc1 .LBB54_1523
; %bb.1517:
	s_and_b32 s13, 0xffff, s0
	s_mov_b32 s17, 0
	s_cmp_gt_i32 s13, 25
	s_cbranch_scc0 .LBB54_1525
; %bb.1518:
	s_cmp_gt_i32 s13, 28
	s_cbranch_scc0 .LBB54_1526
; %bb.1519:
	;; [unrolled: 3-line block ×4, first 2 shown]
	s_cmp_eq_u32 s13, 46
	s_mov_b32 s19, 0
	s_cbranch_scc0 .LBB54_1531
; %bb.1522:
	global_load_b32 v0, v[2:3], off
	s_mov_b32 s14, 0
	s_mov_b32 s18, -1
	s_wait_loadcnt 0x0
	v_lshlrev_b32_e32 v0, 16, v0
	s_delay_alu instid0(VALU_DEP_1) | instskip(NEXT) | instid1(VALU_DEP_1)
	v_trunc_f32_e32 v0, v0
	v_mul_f32_e64 v1, 0x2f800000, |v0|
	s_delay_alu instid0(VALU_DEP_1) | instskip(NEXT) | instid1(VALU_DEP_1)
	v_floor_f32_e32 v1, v1
	v_fma_f32 v5, 0xcf800000, v1, |v0|
	v_ashrrev_i32_e32 v0, 31, v0
	v_cvt_u32_f32_e32 v6, v1
	s_delay_alu instid0(VALU_DEP_3) | instskip(NEXT) | instid1(VALU_DEP_2)
	v_cvt_u32_f32_e32 v5, v5
	v_dual_mov_b32 v1, v0 :: v_dual_bitop2_b32 v7, v6, v0 bitop3:0x14
	s_delay_alu instid0(VALU_DEP_2) | instskip(NEXT) | instid1(VALU_DEP_1)
	v_xor_b32_e32 v6, v5, v0
	v_sub_nc_u64_e32 v[0:1], v[6:7], v[0:1]
	s_branch .LBB54_1533
.LBB54_1523:
	s_mov_b32 s18, 0
	s_mov_b32 s13, s16
                                        ; implicit-def: $vgpr0_vgpr1
	s_cbranch_execnz .LBB54_1591
.LBB54_1524:
	s_and_not1_b32 vcc_lo, exec_lo, s18
	s_cbranch_vccz .LBB54_1636
	s_branch .LBB54_2957
.LBB54_1525:
	s_mov_b32 s18, 0
	s_mov_b32 s14, 0
                                        ; implicit-def: $vgpr0_vgpr1
	s_cbranch_execnz .LBB54_1558
	s_branch .LBB54_1587
.LBB54_1526:
	s_mov_b32 s18, 0
	s_mov_b32 s14, 0
                                        ; implicit-def: $vgpr0_vgpr1
	s_cbranch_execz .LBB54_1557
	s_branch .LBB54_1542
.LBB54_1527:
	s_mov_b32 s18, 0
	s_mov_b32 s14, 0
                                        ; implicit-def: $vgpr0_vgpr1
	s_cbranch_execnz .LBB54_1538
	s_branch .LBB54_1541
.LBB54_1528:
	s_mov_b32 s19, -1
	s_mov_b32 s18, 0
	s_mov_b32 s14, 0
	s_branch .LBB54_1532
.LBB54_1529:
	s_and_not1_saveexec_b32 s24, s24
	s_cbranch_execz .LBB54_1428
.LBB54_1530:
	v_add_f32_e32 v0, 0x46000000, v1
	s_and_not1_b32 s23, s23, exec_lo
	s_delay_alu instid0(VALU_DEP_1) | instskip(NEXT) | instid1(VALU_DEP_1)
	v_and_b32_e32 v0, 0xff, v0
	v_cmp_ne_u32_e32 vcc_lo, 0, v0
	s_and_b32 s25, vcc_lo, exec_lo
	s_delay_alu instid0(SALU_CYCLE_1)
	s_or_b32 s23, s23, s25
	s_or_b32 exec_lo, exec_lo, s24
	v_mov_b32_e32 v4, 0
	s_and_saveexec_b32 s24, s23
	s_cbranch_execnz .LBB54_1429
	s_branch .LBB54_1430
.LBB54_1531:
	s_mov_b32 s14, -1
	s_mov_b32 s18, 0
.LBB54_1532:
                                        ; implicit-def: $vgpr0_vgpr1
.LBB54_1533:
	s_and_b32 vcc_lo, exec_lo, s19
	s_cbranch_vccz .LBB54_1536
; %bb.1534:
	s_cmp_eq_u32 s13, 44
	s_cbranch_scc0 .LBB54_1537
; %bb.1535:
	global_load_u8 v5, v[2:3], off
	s_mov_b32 s14, 0
	s_mov_b32 s18, -1
	s_wait_loadcnt 0x0
	v_lshlrev_b32_e32 v0, 23, v5
	v_cmp_ne_u32_e32 vcc_lo, 0, v5
	s_delay_alu instid0(VALU_DEP_2) | instskip(NEXT) | instid1(VALU_DEP_1)
	v_trunc_f32_e32 v0, v0
	v_mul_f32_e64 v1, 0x2f800000, |v0|
	s_delay_alu instid0(VALU_DEP_1) | instskip(NEXT) | instid1(VALU_DEP_1)
	v_floor_f32_e32 v1, v1
	v_fma_f32 v6, 0xcf800000, v1, |v0|
	v_ashrrev_i32_e32 v0, 31, v0
	v_cvt_u32_f32_e32 v7, v1
	s_delay_alu instid0(VALU_DEP_3) | instskip(NEXT) | instid1(VALU_DEP_2)
	v_cvt_u32_f32_e32 v6, v6
	v_dual_mov_b32 v1, v0 :: v_dual_bitop2_b32 v7, v7, v0 bitop3:0x14
	s_delay_alu instid0(VALU_DEP_2) | instskip(NEXT) | instid1(VALU_DEP_1)
	v_xor_b32_e32 v6, v6, v0
	v_sub_nc_u64_e32 v[0:1], v[6:7], v[0:1]
	s_delay_alu instid0(VALU_DEP_1)
	v_dual_cndmask_b32 v1, 0, v1 :: v_dual_cndmask_b32 v0, 0, v0
.LBB54_1536:
	s_branch .LBB54_1541
.LBB54_1537:
	s_mov_b32 s14, -1
                                        ; implicit-def: $vgpr0_vgpr1
	s_branch .LBB54_1541
.LBB54_1538:
	s_cmp_eq_u32 s13, 29
	s_cbranch_scc0 .LBB54_1540
; %bb.1539:
	global_load_b64 v[0:1], v[2:3], off
	s_mov_b32 s14, 0
	s_mov_b32 s18, -1
	s_branch .LBB54_1541
.LBB54_1540:
	s_mov_b32 s14, -1
                                        ; implicit-def: $vgpr0_vgpr1
.LBB54_1541:
	s_branch .LBB54_1557
.LBB54_1542:
	s_cmp_lt_i32 s13, 27
	s_cbranch_scc1 .LBB54_1545
; %bb.1543:
	s_cmp_gt_i32 s13, 27
	s_cbranch_scc0 .LBB54_1546
; %bb.1544:
	s_wait_loadcnt 0x0
	global_load_b32 v0, v[2:3], off
	v_mov_b32_e32 v1, 0
	s_mov_b32 s18, 0
	s_branch .LBB54_1547
.LBB54_1545:
	s_mov_b32 s18, -1
                                        ; implicit-def: $vgpr0_vgpr1
	s_branch .LBB54_1550
.LBB54_1546:
	s_mov_b32 s18, -1
                                        ; implicit-def: $vgpr0_vgpr1
.LBB54_1547:
	s_delay_alu instid0(SALU_CYCLE_1)
	s_and_not1_b32 vcc_lo, exec_lo, s18
	s_cbranch_vccnz .LBB54_1549
; %bb.1548:
	s_wait_loadcnt 0x0
	global_load_u16 v0, v[2:3], off
	s_mov_b32 s18, 0
	s_delay_alu instid0(SALU_CYCLE_1)
	v_mov_b32_e32 v1, s18
	s_wait_loadcnt 0x0
	v_and_b32_e32 v0, 0xffff, v0
.LBB54_1549:
	s_mov_b32 s18, 0
.LBB54_1550:
	s_delay_alu instid0(SALU_CYCLE_1)
	s_and_not1_b32 vcc_lo, exec_lo, s18
	s_cbranch_vccnz .LBB54_1556
; %bb.1551:
	global_load_u8 v5, v[2:3], off
	s_mov_b32 s19, 0
	s_mov_b32 s18, exec_lo
	s_wait_loadcnt 0x0
	v_cmpx_lt_i16_e32 0x7f, v5
	s_xor_b32 s18, exec_lo, s18
	s_cbranch_execz .LBB54_1567
; %bb.1552:
	v_cmp_ne_u16_e32 vcc_lo, 0x80, v5
	s_and_b32 s19, vcc_lo, exec_lo
	s_and_not1_saveexec_b32 s18, s18
	s_cbranch_execnz .LBB54_1568
.LBB54_1553:
	s_or_b32 exec_lo, exec_lo, s18
	v_mov_b64_e32 v[0:1], 0
	s_and_saveexec_b32 s18, s19
	s_cbranch_execz .LBB54_1555
.LBB54_1554:
	v_and_b32_e32 v0, 0xffff, v5
	s_delay_alu instid0(VALU_DEP_1) | instskip(SKIP_1) | instid1(VALU_DEP_2)
	v_and_b32_e32 v1, 7, v0
	v_bfe_u32 v8, v0, 3, 4
	v_clz_i32_u32_e32 v6, v1
	s_delay_alu instid0(VALU_DEP_2) | instskip(NEXT) | instid1(VALU_DEP_2)
	v_cmp_eq_u32_e32 vcc_lo, 0, v8
	v_min_u32_e32 v6, 32, v6
	s_delay_alu instid0(VALU_DEP_1) | instskip(NEXT) | instid1(VALU_DEP_1)
	v_subrev_nc_u32_e32 v7, 28, v6
	v_dual_lshlrev_b32 v0, v7, v0 :: v_dual_sub_nc_u32 v6, 29, v6
	s_delay_alu instid0(VALU_DEP_1) | instskip(NEXT) | instid1(VALU_DEP_1)
	v_dual_lshlrev_b32 v5, 24, v5 :: v_dual_bitop2_b32 v0, 7, v0 bitop3:0x40
	v_dual_cndmask_b32 v6, v8, v6, vcc_lo :: v_dual_cndmask_b32 v0, v1, v0, vcc_lo
	s_delay_alu instid0(VALU_DEP_2) | instskip(NEXT) | instid1(VALU_DEP_2)
	v_and_b32_e32 v1, 0x80000000, v5
	v_lshl_add_u32 v5, v6, 23, 0x3b800000
	s_delay_alu instid0(VALU_DEP_3) | instskip(NEXT) | instid1(VALU_DEP_1)
	v_lshlrev_b32_e32 v0, 20, v0
	v_or3_b32 v0, v1, v5, v0
	s_delay_alu instid0(VALU_DEP_1) | instskip(NEXT) | instid1(VALU_DEP_1)
	v_trunc_f32_e32 v0, v0
	v_mul_f32_e64 v1, 0x2f800000, |v0|
	s_delay_alu instid0(VALU_DEP_1) | instskip(NEXT) | instid1(VALU_DEP_1)
	v_floor_f32_e32 v1, v1
	v_fma_f32 v5, 0xcf800000, v1, |v0|
	v_ashrrev_i32_e32 v0, 31, v0
	v_cvt_u32_f32_e32 v6, v1
	s_delay_alu instid0(VALU_DEP_3) | instskip(NEXT) | instid1(VALU_DEP_2)
	v_cvt_u32_f32_e32 v5, v5
	v_dual_mov_b32 v1, v0 :: v_dual_bitop2_b32 v7, v6, v0 bitop3:0x14
	s_delay_alu instid0(VALU_DEP_2) | instskip(NEXT) | instid1(VALU_DEP_1)
	v_xor_b32_e32 v6, v5, v0
	v_sub_nc_u64_e32 v[0:1], v[6:7], v[0:1]
.LBB54_1555:
	s_or_b32 exec_lo, exec_lo, s18
.LBB54_1556:
	s_mov_b32 s18, -1
.LBB54_1557:
	s_branch .LBB54_1587
.LBB54_1558:
	s_cmp_gt_i32 s13, 22
	s_cbranch_scc0 .LBB54_1566
; %bb.1559:
	s_cmp_lt_i32 s13, 24
	s_cbranch_scc1 .LBB54_1569
; %bb.1560:
	s_cmp_gt_i32 s13, 24
	s_cbranch_scc0 .LBB54_1570
; %bb.1561:
	global_load_u8 v5, v[2:3], off
	s_mov_b32 s18, 0
	s_mov_b32 s17, exec_lo
	s_wait_loadcnt 0x0
	v_cmpx_lt_i16_e32 0x7f, v5
	s_xor_b32 s17, exec_lo, s17
	s_cbranch_execz .LBB54_1581
; %bb.1562:
	v_cmp_ne_u16_e32 vcc_lo, 0x80, v5
	s_and_b32 s18, vcc_lo, exec_lo
	s_and_not1_saveexec_b32 s17, s17
	s_cbranch_execnz .LBB54_1582
.LBB54_1563:
	s_or_b32 exec_lo, exec_lo, s17
	v_mov_b64_e32 v[0:1], 0
	s_and_saveexec_b32 s17, s18
	s_cbranch_execz .LBB54_1565
.LBB54_1564:
	v_and_b32_e32 v0, 0xffff, v5
	s_delay_alu instid0(VALU_DEP_1) | instskip(SKIP_1) | instid1(VALU_DEP_2)
	v_and_b32_e32 v1, 3, v0
	v_bfe_u32 v8, v0, 2, 5
	v_clz_i32_u32_e32 v6, v1
	s_delay_alu instid0(VALU_DEP_2) | instskip(NEXT) | instid1(VALU_DEP_2)
	v_cmp_eq_u32_e32 vcc_lo, 0, v8
	v_min_u32_e32 v6, 32, v6
	s_delay_alu instid0(VALU_DEP_1) | instskip(NEXT) | instid1(VALU_DEP_1)
	v_subrev_nc_u32_e32 v7, 29, v6
	v_dual_lshlrev_b32 v0, v7, v0 :: v_dual_sub_nc_u32 v6, 30, v6
	s_delay_alu instid0(VALU_DEP_1) | instskip(NEXT) | instid1(VALU_DEP_1)
	v_dual_lshlrev_b32 v5, 24, v5 :: v_dual_bitop2_b32 v0, 3, v0 bitop3:0x40
	v_dual_cndmask_b32 v6, v8, v6, vcc_lo :: v_dual_cndmask_b32 v0, v1, v0, vcc_lo
	s_delay_alu instid0(VALU_DEP_2) | instskip(NEXT) | instid1(VALU_DEP_2)
	v_and_b32_e32 v1, 0x80000000, v5
	v_lshl_add_u32 v5, v6, 23, 0x37800000
	s_delay_alu instid0(VALU_DEP_3) | instskip(NEXT) | instid1(VALU_DEP_1)
	v_lshlrev_b32_e32 v0, 21, v0
	v_or3_b32 v0, v1, v5, v0
	s_delay_alu instid0(VALU_DEP_1) | instskip(NEXT) | instid1(VALU_DEP_1)
	v_trunc_f32_e32 v0, v0
	v_mul_f32_e64 v1, 0x2f800000, |v0|
	s_delay_alu instid0(VALU_DEP_1) | instskip(NEXT) | instid1(VALU_DEP_1)
	v_floor_f32_e32 v1, v1
	v_fma_f32 v5, 0xcf800000, v1, |v0|
	v_ashrrev_i32_e32 v0, 31, v0
	v_cvt_u32_f32_e32 v6, v1
	s_delay_alu instid0(VALU_DEP_3) | instskip(NEXT) | instid1(VALU_DEP_2)
	v_cvt_u32_f32_e32 v5, v5
	v_dual_mov_b32 v1, v0 :: v_dual_bitop2_b32 v7, v6, v0 bitop3:0x14
	s_delay_alu instid0(VALU_DEP_2) | instskip(NEXT) | instid1(VALU_DEP_1)
	v_xor_b32_e32 v6, v5, v0
	v_sub_nc_u64_e32 v[0:1], v[6:7], v[0:1]
.LBB54_1565:
	s_or_b32 exec_lo, exec_lo, s17
	s_mov_b32 s17, 0
	s_branch .LBB54_1571
.LBB54_1566:
                                        ; implicit-def: $vgpr0_vgpr1
	s_mov_b32 s17, 0
	s_branch .LBB54_1577
.LBB54_1567:
	s_and_not1_saveexec_b32 s18, s18
	s_cbranch_execz .LBB54_1553
.LBB54_1568:
	v_cmp_ne_u16_e32 vcc_lo, 0, v5
	s_and_not1_b32 s19, s19, exec_lo
	s_and_b32 s20, vcc_lo, exec_lo
	s_delay_alu instid0(SALU_CYCLE_1)
	s_or_b32 s19, s19, s20
	s_or_b32 exec_lo, exec_lo, s18
	v_mov_b64_e32 v[0:1], 0
	s_and_saveexec_b32 s18, s19
	s_cbranch_execnz .LBB54_1554
	s_branch .LBB54_1555
.LBB54_1569:
	s_mov_b32 s17, -1
                                        ; implicit-def: $vgpr0_vgpr1
	s_branch .LBB54_1574
.LBB54_1570:
	s_mov_b32 s17, -1
                                        ; implicit-def: $vgpr0_vgpr1
.LBB54_1571:
	s_delay_alu instid0(SALU_CYCLE_1)
	s_and_b32 vcc_lo, exec_lo, s17
	s_cbranch_vccz .LBB54_1573
; %bb.1572:
	s_wait_loadcnt 0x0
	global_load_u8 v0, v[2:3], off
	s_wait_loadcnt 0x0
	v_lshlrev_b32_e32 v0, 24, v0
	s_delay_alu instid0(VALU_DEP_1) | instskip(NEXT) | instid1(VALU_DEP_1)
	v_and_b32_e32 v1, 0x7f000000, v0
	v_clz_i32_u32_e32 v5, v1
	v_add_nc_u32_e32 v7, 0x1000000, v1
	v_cmp_ne_u32_e32 vcc_lo, 0, v1
	s_delay_alu instid0(VALU_DEP_3) | instskip(NEXT) | instid1(VALU_DEP_1)
	v_min_u32_e32 v5, 32, v5
	v_sub_nc_u32_e64 v5, v5, 4 clamp
	s_delay_alu instid0(VALU_DEP_1) | instskip(NEXT) | instid1(VALU_DEP_1)
	v_lshlrev_b32_e32 v6, v5, v1
	v_dual_lshlrev_b32 v5, 23, v5 :: v_dual_lshrrev_b32 v6, 4, v6
	s_delay_alu instid0(VALU_DEP_1) | instskip(NEXT) | instid1(VALU_DEP_1)
	v_dual_sub_nc_u32 v5, v6, v5 :: v_dual_ashrrev_i32 v6, 8, v7
	v_add_nc_u32_e32 v5, 0x3c000000, v5
	s_delay_alu instid0(VALU_DEP_1) | instskip(NEXT) | instid1(VALU_DEP_1)
	v_and_or_b32 v5, 0x7f800000, v6, v5
	v_cndmask_b32_e32 v1, 0, v5, vcc_lo
	s_delay_alu instid0(VALU_DEP_1) | instskip(NEXT) | instid1(VALU_DEP_1)
	v_and_or_b32 v0, 0x80000000, v0, v1
	v_trunc_f32_e32 v0, v0
	s_delay_alu instid0(VALU_DEP_1) | instskip(NEXT) | instid1(VALU_DEP_1)
	v_mul_f32_e64 v1, 0x2f800000, |v0|
	v_floor_f32_e32 v1, v1
	s_delay_alu instid0(VALU_DEP_1) | instskip(SKIP_2) | instid1(VALU_DEP_3)
	v_fma_f32 v5, 0xcf800000, v1, |v0|
	v_ashrrev_i32_e32 v0, 31, v0
	v_cvt_u32_f32_e32 v6, v1
	v_cvt_u32_f32_e32 v5, v5
	s_delay_alu instid0(VALU_DEP_2) | instskip(NEXT) | instid1(VALU_DEP_2)
	v_dual_mov_b32 v1, v0 :: v_dual_bitop2_b32 v7, v6, v0 bitop3:0x14
	v_xor_b32_e32 v6, v5, v0
	s_delay_alu instid0(VALU_DEP_1)
	v_sub_nc_u64_e32 v[0:1], v[6:7], v[0:1]
.LBB54_1573:
	s_mov_b32 s17, 0
.LBB54_1574:
	s_delay_alu instid0(SALU_CYCLE_1)
	s_and_not1_b32 vcc_lo, exec_lo, s17
	s_cbranch_vccnz .LBB54_1576
; %bb.1575:
	s_wait_loadcnt 0x0
	global_load_u8 v0, v[2:3], off
	s_wait_loadcnt 0x0
	v_lshlrev_b32_e32 v1, 25, v0
	v_lshlrev_b16 v0, 8, v0
	s_delay_alu instid0(VALU_DEP_1) | instskip(SKIP_1) | instid1(VALU_DEP_2)
	v_and_or_b32 v6, 0x7f00, v0, 0.5
	v_bfe_i32 v0, v0, 0, 16
	v_dual_add_f32 v6, -0.5, v6 :: v_dual_lshrrev_b32 v5, 4, v1
	v_cmp_gt_u32_e32 vcc_lo, 0x8000000, v1
	s_delay_alu instid0(VALU_DEP_2) | instskip(NEXT) | instid1(VALU_DEP_1)
	v_or_b32_e32 v5, 0x70000000, v5
	v_mul_f32_e32 v5, 0x7800000, v5
	s_delay_alu instid0(VALU_DEP_1) | instskip(NEXT) | instid1(VALU_DEP_1)
	v_cndmask_b32_e32 v1, v5, v6, vcc_lo
	v_and_or_b32 v0, 0x80000000, v0, v1
	s_delay_alu instid0(VALU_DEP_1) | instskip(NEXT) | instid1(VALU_DEP_1)
	v_trunc_f32_e32 v0, v0
	v_mul_f32_e64 v1, 0x2f800000, |v0|
	s_delay_alu instid0(VALU_DEP_1) | instskip(NEXT) | instid1(VALU_DEP_1)
	v_floor_f32_e32 v1, v1
	v_fma_f32 v5, 0xcf800000, v1, |v0|
	v_ashrrev_i32_e32 v0, 31, v0
	v_cvt_u32_f32_e32 v6, v1
	s_delay_alu instid0(VALU_DEP_3) | instskip(NEXT) | instid1(VALU_DEP_2)
	v_cvt_u32_f32_e32 v5, v5
	v_dual_mov_b32 v1, v0 :: v_dual_bitop2_b32 v7, v6, v0 bitop3:0x14
	s_delay_alu instid0(VALU_DEP_2) | instskip(NEXT) | instid1(VALU_DEP_1)
	v_xor_b32_e32 v6, v5, v0
	v_sub_nc_u64_e32 v[0:1], v[6:7], v[0:1]
.LBB54_1576:
	s_mov_b32 s18, -1
	s_mov_b32 s17, 0
	s_cbranch_execnz .LBB54_1587
.LBB54_1577:
	s_cmp_gt_i32 s13, 14
	s_cbranch_scc0 .LBB54_1580
; %bb.1578:
	s_cmp_eq_u32 s13, 15
	s_cbranch_scc0 .LBB54_1583
; %bb.1579:
	s_wait_loadcnt 0x0
	global_load_u16 v0, v[2:3], off
	s_mov_b32 s14, 0
	s_mov_b32 s18, -1
	s_wait_loadcnt 0x0
	v_lshlrev_b32_e32 v0, 16, v0
	s_delay_alu instid0(VALU_DEP_1) | instskip(NEXT) | instid1(VALU_DEP_1)
	v_trunc_f32_e32 v0, v0
	v_mul_f32_e64 v1, 0x2f800000, |v0|
	s_delay_alu instid0(VALU_DEP_1) | instskip(NEXT) | instid1(VALU_DEP_1)
	v_floor_f32_e32 v1, v1
	v_fma_f32 v5, 0xcf800000, v1, |v0|
	v_ashrrev_i32_e32 v0, 31, v0
	v_cvt_u32_f32_e32 v6, v1
	s_delay_alu instid0(VALU_DEP_3) | instskip(NEXT) | instid1(VALU_DEP_2)
	v_cvt_u32_f32_e32 v5, v5
	v_dual_mov_b32 v1, v0 :: v_dual_bitop2_b32 v7, v6, v0 bitop3:0x14
	s_delay_alu instid0(VALU_DEP_2) | instskip(NEXT) | instid1(VALU_DEP_1)
	v_xor_b32_e32 v6, v5, v0
	v_sub_nc_u64_e32 v[0:1], v[6:7], v[0:1]
	s_branch .LBB54_1585
.LBB54_1580:
	s_mov_b32 s17, -1
	s_branch .LBB54_1584
.LBB54_1581:
	s_and_not1_saveexec_b32 s17, s17
	s_cbranch_execz .LBB54_1563
.LBB54_1582:
	v_cmp_ne_u16_e32 vcc_lo, 0, v5
	s_and_not1_b32 s18, s18, exec_lo
	s_and_b32 s19, vcc_lo, exec_lo
	s_delay_alu instid0(SALU_CYCLE_1)
	s_or_b32 s18, s18, s19
	s_or_b32 exec_lo, exec_lo, s17
	v_mov_b64_e32 v[0:1], 0
	s_and_saveexec_b32 s17, s18
	s_cbranch_execnz .LBB54_1564
	s_branch .LBB54_1565
.LBB54_1583:
	s_mov_b32 s14, -1
.LBB54_1584:
                                        ; implicit-def: $vgpr0_vgpr1
.LBB54_1585:
	s_and_b32 vcc_lo, exec_lo, s17
	s_mov_b32 s17, 0
	s_cbranch_vccz .LBB54_1587
; %bb.1586:
	s_cmp_lg_u32 s13, 11
	s_mov_b32 s17, -1
	s_cselect_b32 s14, -1, 0
.LBB54_1587:
	s_delay_alu instid0(SALU_CYCLE_1)
	s_and_b32 vcc_lo, exec_lo, s14
	s_mov_b32 s13, s16
	s_cbranch_vccnz .LBB54_1648
; %bb.1588:
	s_and_not1_b32 vcc_lo, exec_lo, s17
	s_cbranch_vccnz .LBB54_1590
.LBB54_1589:
	s_wait_loadcnt 0x0
	global_load_u8 v0, v[2:3], off
	s_mov_b32 s14, 0
	s_mov_b32 s18, -1
	v_mov_b32_e32 v1, s14
	s_wait_loadcnt 0x0
	v_cmp_ne_u16_e32 vcc_lo, 0, v0
	v_cndmask_b32_e64 v0, 0, 1, vcc_lo
.LBB54_1590:
	s_branch .LBB54_1524
.LBB54_1591:
	s_and_b32 s14, 0xffff, s0
	s_delay_alu instid0(SALU_CYCLE_1)
	s_cmp_lt_i32 s14, 5
	s_cbranch_scc1 .LBB54_1596
; %bb.1592:
	s_cmp_lt_i32 s14, 8
	s_cbranch_scc1 .LBB54_1597
; %bb.1593:
	;; [unrolled: 3-line block ×3, first 2 shown]
	s_cmp_gt_i32 s14, 9
	s_cbranch_scc0 .LBB54_1599
; %bb.1595:
	s_wait_loadcnt 0x0
	global_load_b64 v[0:1], v[2:3], off
	s_mov_b32 s17, 0
	s_wait_loadcnt 0x0
	v_trunc_f64_e32 v[0:1], v[0:1]
	s_delay_alu instid0(VALU_DEP_1) | instskip(NEXT) | instid1(VALU_DEP_1)
	v_ldexp_f64 v[6:7], v[0:1], 0xffffffe0
	v_floor_f64_e32 v[6:7], v[6:7]
	s_delay_alu instid0(VALU_DEP_1) | instskip(SKIP_1) | instid1(VALU_DEP_2)
	v_fmamk_f64 v[8:9], v[6:7], 0xc1f00000, v[0:1]
	v_cvt_i32_f64_e32 v1, v[6:7]
	v_cvt_u32_f64_e32 v0, v[8:9]
	s_branch .LBB54_1600
.LBB54_1596:
                                        ; implicit-def: $vgpr0_vgpr1
	s_branch .LBB54_1617
.LBB54_1597:
                                        ; implicit-def: $vgpr0_vgpr1
	s_branch .LBB54_1606
.LBB54_1598:
	s_mov_b32 s17, -1
                                        ; implicit-def: $vgpr0_vgpr1
	s_branch .LBB54_1603
.LBB54_1599:
	s_mov_b32 s17, -1
                                        ; implicit-def: $vgpr0_vgpr1
.LBB54_1600:
	s_delay_alu instid0(SALU_CYCLE_1)
	s_and_not1_b32 vcc_lo, exec_lo, s17
	s_cbranch_vccnz .LBB54_1602
; %bb.1601:
	s_wait_loadcnt 0x0
	global_load_b32 v0, v[2:3], off
	s_wait_loadcnt 0x0
	v_trunc_f32_e32 v0, v0
	s_delay_alu instid0(VALU_DEP_1) | instskip(NEXT) | instid1(VALU_DEP_1)
	v_mul_f32_e64 v1, 0x2f800000, |v0|
	v_floor_f32_e32 v1, v1
	s_delay_alu instid0(VALU_DEP_1) | instskip(SKIP_2) | instid1(VALU_DEP_3)
	v_fma_f32 v5, 0xcf800000, v1, |v0|
	v_ashrrev_i32_e32 v0, 31, v0
	v_cvt_u32_f32_e32 v6, v1
	v_cvt_u32_f32_e32 v5, v5
	s_delay_alu instid0(VALU_DEP_2) | instskip(NEXT) | instid1(VALU_DEP_2)
	v_dual_mov_b32 v1, v0 :: v_dual_bitop2_b32 v7, v6, v0 bitop3:0x14
	v_xor_b32_e32 v6, v5, v0
	s_delay_alu instid0(VALU_DEP_1)
	v_sub_nc_u64_e32 v[0:1], v[6:7], v[0:1]
.LBB54_1602:
	s_mov_b32 s17, 0
.LBB54_1603:
	s_delay_alu instid0(SALU_CYCLE_1)
	s_and_not1_b32 vcc_lo, exec_lo, s17
	s_cbranch_vccnz .LBB54_1605
; %bb.1604:
	s_wait_loadcnt 0x0
	global_load_b32 v0, v[2:3], off
	s_wait_loadcnt 0x0
	v_cvt_f32_f16_e32 v0, v0
	s_delay_alu instid0(VALU_DEP_1) | instskip(NEXT) | instid1(VALU_DEP_1)
	v_cvt_i32_f32_e32 v0, v0
	v_ashrrev_i32_e32 v1, 31, v0
.LBB54_1605:
	s_cbranch_execnz .LBB54_1616
.LBB54_1606:
	s_cmp_lt_i32 s14, 6
	s_cbranch_scc1 .LBB54_1609
; %bb.1607:
	s_cmp_gt_i32 s14, 6
	s_cbranch_scc0 .LBB54_1610
; %bb.1608:
	s_wait_loadcnt 0x0
	global_load_b64 v[0:1], v[2:3], off
	s_mov_b32 s17, 0
	s_wait_loadcnt 0x0
	v_trunc_f64_e32 v[0:1], v[0:1]
	s_delay_alu instid0(VALU_DEP_1) | instskip(NEXT) | instid1(VALU_DEP_1)
	v_ldexp_f64 v[6:7], v[0:1], 0xffffffe0
	v_floor_f64_e32 v[6:7], v[6:7]
	s_delay_alu instid0(VALU_DEP_1) | instskip(SKIP_1) | instid1(VALU_DEP_2)
	v_fmamk_f64 v[8:9], v[6:7], 0xc1f00000, v[0:1]
	v_cvt_i32_f64_e32 v1, v[6:7]
	v_cvt_u32_f64_e32 v0, v[8:9]
	s_branch .LBB54_1611
.LBB54_1609:
	s_mov_b32 s17, -1
                                        ; implicit-def: $vgpr0_vgpr1
	s_branch .LBB54_1614
.LBB54_1610:
	s_mov_b32 s17, -1
                                        ; implicit-def: $vgpr0_vgpr1
.LBB54_1611:
	s_delay_alu instid0(SALU_CYCLE_1)
	s_and_not1_b32 vcc_lo, exec_lo, s17
	s_cbranch_vccnz .LBB54_1613
; %bb.1612:
	s_wait_loadcnt 0x0
	global_load_b32 v0, v[2:3], off
	s_wait_loadcnt 0x0
	v_trunc_f32_e32 v0, v0
	s_delay_alu instid0(VALU_DEP_1) | instskip(NEXT) | instid1(VALU_DEP_1)
	v_mul_f32_e64 v1, 0x2f800000, |v0|
	v_floor_f32_e32 v1, v1
	s_delay_alu instid0(VALU_DEP_1) | instskip(SKIP_2) | instid1(VALU_DEP_3)
	v_fma_f32 v5, 0xcf800000, v1, |v0|
	v_ashrrev_i32_e32 v0, 31, v0
	v_cvt_u32_f32_e32 v6, v1
	v_cvt_u32_f32_e32 v5, v5
	s_delay_alu instid0(VALU_DEP_2) | instskip(NEXT) | instid1(VALU_DEP_2)
	v_dual_mov_b32 v1, v0 :: v_dual_bitop2_b32 v7, v6, v0 bitop3:0x14
	v_xor_b32_e32 v6, v5, v0
	s_delay_alu instid0(VALU_DEP_1)
	v_sub_nc_u64_e32 v[0:1], v[6:7], v[0:1]
.LBB54_1613:
	s_mov_b32 s17, 0
.LBB54_1614:
	s_delay_alu instid0(SALU_CYCLE_1)
	s_and_not1_b32 vcc_lo, exec_lo, s17
	s_cbranch_vccnz .LBB54_1616
; %bb.1615:
	s_wait_loadcnt 0x0
	global_load_u16 v0, v[2:3], off
	s_wait_loadcnt 0x0
	v_cvt_f32_f16_e32 v0, v0
	s_delay_alu instid0(VALU_DEP_1) | instskip(NEXT) | instid1(VALU_DEP_1)
	v_cvt_i32_f32_e32 v0, v0
	v_ashrrev_i32_e32 v1, 31, v0
.LBB54_1616:
	s_cbranch_execnz .LBB54_1635
.LBB54_1617:
	s_cmp_lt_i32 s14, 2
	s_cbranch_scc1 .LBB54_1621
; %bb.1618:
	s_cmp_lt_i32 s14, 3
	s_cbranch_scc1 .LBB54_1622
; %bb.1619:
	s_cmp_gt_i32 s14, 3
	s_cbranch_scc0 .LBB54_1623
; %bb.1620:
	s_wait_loadcnt 0x0
	global_load_b64 v[0:1], v[2:3], off
	s_mov_b32 s17, 0
	s_branch .LBB54_1624
.LBB54_1621:
                                        ; implicit-def: $vgpr0_vgpr1
	s_branch .LBB54_1630
.LBB54_1622:
	s_mov_b32 s17, -1
                                        ; implicit-def: $vgpr0_vgpr1
	s_branch .LBB54_1627
.LBB54_1623:
	s_mov_b32 s17, -1
                                        ; implicit-def: $vgpr0_vgpr1
.LBB54_1624:
	s_delay_alu instid0(SALU_CYCLE_1)
	s_and_not1_b32 vcc_lo, exec_lo, s17
	s_cbranch_vccnz .LBB54_1626
; %bb.1625:
	s_wait_loadcnt 0x0
	global_load_b32 v0, v[2:3], off
	s_wait_loadcnt 0x0
	v_ashrrev_i32_e32 v1, 31, v0
.LBB54_1626:
	s_mov_b32 s17, 0
.LBB54_1627:
	s_delay_alu instid0(SALU_CYCLE_1)
	s_and_not1_b32 vcc_lo, exec_lo, s17
	s_cbranch_vccnz .LBB54_1629
; %bb.1628:
	s_wait_loadcnt 0x0
	global_load_u16 v0, v[2:3], off
	s_wait_loadcnt 0x0
	v_bfe_i32 v0, v0, 0, 16
	s_delay_alu instid0(VALU_DEP_1)
	v_ashrrev_i32_e32 v1, 31, v0
.LBB54_1629:
	s_cbranch_execnz .LBB54_1635
.LBB54_1630:
	s_cmp_gt_i32 s14, 0
	s_mov_b32 s14, 0
	s_cbranch_scc0 .LBB54_1632
; %bb.1631:
	s_wait_loadcnt 0x0
	global_load_i8 v0, v[2:3], off
	s_wait_loadcnt 0x0
	v_bfe_i32 v0, v0, 0, 16
	s_delay_alu instid0(VALU_DEP_1)
	v_ashrrev_i32_e32 v1, 31, v0
	s_branch .LBB54_1633
.LBB54_1632:
	s_mov_b32 s14, -1
                                        ; implicit-def: $vgpr0_vgpr1
.LBB54_1633:
	s_delay_alu instid0(SALU_CYCLE_1)
	s_and_not1_b32 vcc_lo, exec_lo, s14
	s_cbranch_vccnz .LBB54_1635
; %bb.1634:
	s_wait_loadcnt 0x0
	global_load_u8 v0, v[2:3], off
	s_mov_b32 s14, 0
	s_delay_alu instid0(SALU_CYCLE_1)
	v_mov_b32_e32 v1, s14
	s_wait_loadcnt 0x0
	v_and_b32_e32 v0, 0xffff, v0
.LBB54_1635:
.LBB54_1636:
	v_mul_lo_u32 v6, s10, v18
	s_and_b32 s1, s1, 0xff
	s_delay_alu instid0(SALU_CYCLE_1) | instskip(NEXT) | instid1(VALU_DEP_1)
	s_cmp_lt_i32 s1, 11
	v_ashrrev_i32_e32 v7, 31, v6
	s_delay_alu instid0(VALU_DEP_1)
	v_add_nc_u64_e32 v[8:9], s[2:3], v[6:7]
	s_cbranch_scc1 .LBB54_1643
; %bb.1637:
	s_and_b32 s14, 0xffff, s1
	s_mov_b32 s18, 0
	s_cmp_gt_i32 s14, 25
	s_cbranch_scc0 .LBB54_1645
; %bb.1638:
	s_cmp_gt_i32 s14, 28
	s_cbranch_scc0 .LBB54_1646
; %bb.1639:
	;; [unrolled: 3-line block ×4, first 2 shown]
	s_cmp_eq_u32 s14, 46
	s_mov_b32 s20, 0
	s_cbranch_scc0 .LBB54_1652
; %bb.1642:
	global_load_b32 v2, v[8:9], off
	s_mov_b32 s17, 0
	s_mov_b32 s19, -1
	s_wait_loadcnt 0x0
	v_lshlrev_b32_e32 v2, 16, v2
	s_delay_alu instid0(VALU_DEP_1) | instskip(NEXT) | instid1(VALU_DEP_1)
	v_trunc_f32_e32 v2, v2
	v_mul_f32_e64 v3, 0x2f800000, |v2|
	s_delay_alu instid0(VALU_DEP_1) | instskip(NEXT) | instid1(VALU_DEP_1)
	v_floor_f32_e32 v3, v3
	v_fma_f32 v5, 0xcf800000, v3, |v2|
	v_ashrrev_i32_e32 v2, 31, v2
	v_cvt_u32_f32_e32 v7, v3
	s_delay_alu instid0(VALU_DEP_3) | instskip(NEXT) | instid1(VALU_DEP_2)
	v_cvt_u32_f32_e32 v5, v5
	v_dual_mov_b32 v3, v2 :: v_dual_bitop2_b32 v11, v7, v2 bitop3:0x14
	s_delay_alu instid0(VALU_DEP_2) | instskip(NEXT) | instid1(VALU_DEP_1)
	v_xor_b32_e32 v10, v5, v2
	v_sub_nc_u64_e32 v[2:3], v[10:11], v[2:3]
	s_branch .LBB54_1654
.LBB54_1643:
	s_mov_b32 s19, 0
                                        ; implicit-def: $vgpr2_vgpr3
	s_cbranch_execnz .LBB54_1715
.LBB54_1644:
	s_and_not1_b32 vcc_lo, exec_lo, s19
	s_cbranch_vccnz .LBB54_2957
	s_branch .LBB54_1762
.LBB54_1645:
	s_mov_b32 s19, 0
	s_mov_b32 s17, 0
                                        ; implicit-def: $vgpr2_vgpr3
	s_cbranch_execnz .LBB54_1681
	s_branch .LBB54_1711
.LBB54_1646:
	s_mov_b32 s20, -1
	s_mov_b32 s19, 0
	s_mov_b32 s17, 0
                                        ; implicit-def: $vgpr2_vgpr3
	s_branch .LBB54_1664
.LBB54_1647:
	s_mov_b32 s20, -1
	s_mov_b32 s19, 0
	s_mov_b32 s17, 0
                                        ; implicit-def: $vgpr2_vgpr3
	s_branch .LBB54_1659
.LBB54_1648:
	s_or_b32 s13, s16, exec_lo
	s_trap 2
	s_cbranch_execz .LBB54_1589
	s_branch .LBB54_1590
.LBB54_1649:
	s_mov_b32 s20, -1
	s_mov_b32 s19, 0
	s_mov_b32 s17, 0
	s_branch .LBB54_1653
.LBB54_1650:
	s_and_not1_saveexec_b32 s25, s25
	s_cbranch_execz .LBB54_1440
.LBB54_1651:
	v_add_f32_e32 v0, 0x42800000, v1
	s_and_not1_b32 s24, s24, exec_lo
	s_delay_alu instid0(VALU_DEP_1) | instskip(NEXT) | instid1(VALU_DEP_1)
	v_and_b32_e32 v0, 0xff, v0
	v_cmp_ne_u32_e32 vcc_lo, 0, v0
	s_and_b32 s26, vcc_lo, exec_lo
	s_delay_alu instid0(SALU_CYCLE_1)
	s_or_b32 s24, s24, s26
	s_or_b32 exec_lo, exec_lo, s25
	v_mov_b32_e32 v4, 0
	s_and_saveexec_b32 s25, s24
	s_cbranch_execnz .LBB54_1441
	s_branch .LBB54_1442
.LBB54_1652:
	s_mov_b32 s17, -1
	s_mov_b32 s19, 0
.LBB54_1653:
                                        ; implicit-def: $vgpr2_vgpr3
.LBB54_1654:
	s_and_b32 vcc_lo, exec_lo, s20
	s_cbranch_vccz .LBB54_1658
; %bb.1655:
	s_cmp_eq_u32 s14, 44
	s_cbranch_scc0 .LBB54_1657
; %bb.1656:
	global_load_u8 v5, v[8:9], off
	s_mov_b32 s17, 0
	s_mov_b32 s19, -1
	s_wait_loadcnt 0x0
	v_cmp_ne_u32_e32 vcc_lo, 0, v5
	s_wait_xcnt 0x1
	v_lshlrev_b32_e32 v2, 23, v5
	s_delay_alu instid0(VALU_DEP_1) | instskip(NEXT) | instid1(VALU_DEP_1)
	v_trunc_f32_e32 v2, v2
	v_mul_f32_e64 v3, 0x2f800000, |v2|
	s_delay_alu instid0(VALU_DEP_1) | instskip(NEXT) | instid1(VALU_DEP_1)
	v_floor_f32_e32 v3, v3
	v_fma_f32 v7, 0xcf800000, v3, |v2|
	v_ashrrev_i32_e32 v2, 31, v2
	v_cvt_u32_f32_e32 v10, v3
	s_delay_alu instid0(VALU_DEP_3) | instskip(NEXT) | instid1(VALU_DEP_3)
	v_cvt_u32_f32_e32 v7, v7
	v_mov_b32_e32 v3, v2
	s_delay_alu instid0(VALU_DEP_3) | instskip(NEXT) | instid1(VALU_DEP_3)
	v_xor_b32_e32 v11, v10, v2
	v_xor_b32_e32 v10, v7, v2
	s_delay_alu instid0(VALU_DEP_1) | instskip(NEXT) | instid1(VALU_DEP_1)
	v_sub_nc_u64_e32 v[2:3], v[10:11], v[2:3]
	v_dual_cndmask_b32 v3, 0, v3 :: v_dual_cndmask_b32 v2, 0, v2
	s_branch .LBB54_1658
.LBB54_1657:
	s_mov_b32 s17, -1
                                        ; implicit-def: $vgpr2_vgpr3
.LBB54_1658:
	s_mov_b32 s20, 0
.LBB54_1659:
	s_delay_alu instid0(SALU_CYCLE_1)
	s_and_b32 vcc_lo, exec_lo, s20
	s_cbranch_vccz .LBB54_1663
; %bb.1660:
	s_cmp_eq_u32 s14, 29
	s_cbranch_scc0 .LBB54_1662
; %bb.1661:
	global_load_b64 v[2:3], v[8:9], off
	s_mov_b32 s17, 0
	s_mov_b32 s19, -1
	s_branch .LBB54_1663
.LBB54_1662:
	s_mov_b32 s17, -1
                                        ; implicit-def: $vgpr2_vgpr3
.LBB54_1663:
	s_mov_b32 s20, 0
.LBB54_1664:
	s_delay_alu instid0(SALU_CYCLE_1)
	s_and_b32 vcc_lo, exec_lo, s20
	s_cbranch_vccz .LBB54_1680
; %bb.1665:
	s_cmp_lt_i32 s14, 27
	s_cbranch_scc1 .LBB54_1668
; %bb.1666:
	s_cmp_gt_i32 s14, 27
	s_cbranch_scc0 .LBB54_1669
; %bb.1667:
	s_wait_loadcnt 0x0
	global_load_b32 v2, v[8:9], off
	v_mov_b32_e32 v3, 0
	s_mov_b32 s19, 0
	s_branch .LBB54_1670
.LBB54_1668:
	s_mov_b32 s19, -1
                                        ; implicit-def: $vgpr2_vgpr3
	s_branch .LBB54_1673
.LBB54_1669:
	s_mov_b32 s19, -1
                                        ; implicit-def: $vgpr2_vgpr3
.LBB54_1670:
	s_delay_alu instid0(SALU_CYCLE_1)
	s_and_not1_b32 vcc_lo, exec_lo, s19
	s_cbranch_vccnz .LBB54_1672
; %bb.1671:
	s_wait_loadcnt 0x0
	global_load_u16 v2, v[8:9], off
	s_mov_b32 s19, 0
	s_delay_alu instid0(SALU_CYCLE_1)
	v_mov_b32_e32 v3, s19
	s_wait_loadcnt 0x0
	v_and_b32_e32 v2, 0xffff, v2
.LBB54_1672:
	s_mov_b32 s19, 0
.LBB54_1673:
	s_delay_alu instid0(SALU_CYCLE_1)
	s_and_not1_b32 vcc_lo, exec_lo, s19
	s_cbranch_vccnz .LBB54_1679
; %bb.1674:
	global_load_u8 v5, v[8:9], off
	s_mov_b32 s20, 0
	s_mov_b32 s19, exec_lo
	s_wait_loadcnt 0x0
	v_cmpx_lt_i16_e32 0x7f, v5
	s_xor_b32 s19, exec_lo, s19
	s_cbranch_execz .LBB54_1690
; %bb.1675:
	v_cmp_ne_u16_e32 vcc_lo, 0x80, v5
	s_and_b32 s20, vcc_lo, exec_lo
	s_and_not1_saveexec_b32 s19, s19
	s_cbranch_execnz .LBB54_1691
.LBB54_1676:
	s_or_b32 exec_lo, exec_lo, s19
	v_mov_b64_e32 v[2:3], 0
	s_and_saveexec_b32 s19, s20
	s_cbranch_execz .LBB54_1678
.LBB54_1677:
	v_and_b32_e32 v2, 0xffff, v5
	s_delay_alu instid0(VALU_DEP_1) | instskip(SKIP_1) | instid1(VALU_DEP_2)
	v_and_b32_e32 v3, 7, v2
	v_bfe_u32 v11, v2, 3, 4
	v_clz_i32_u32_e32 v7, v3
	s_delay_alu instid0(VALU_DEP_2) | instskip(NEXT) | instid1(VALU_DEP_2)
	v_cmp_eq_u32_e32 vcc_lo, 0, v11
	v_min_u32_e32 v7, 32, v7
	s_delay_alu instid0(VALU_DEP_1) | instskip(NEXT) | instid1(VALU_DEP_1)
	v_subrev_nc_u32_e32 v10, 28, v7
	v_dual_lshlrev_b32 v2, v10, v2 :: v_dual_sub_nc_u32 v7, 29, v7
	s_delay_alu instid0(VALU_DEP_1) | instskip(NEXT) | instid1(VALU_DEP_2)
	v_dual_lshlrev_b32 v5, 24, v5 :: v_dual_bitop2_b32 v2, 7, v2 bitop3:0x40
	v_cndmask_b32_e32 v7, v11, v7, vcc_lo
	s_delay_alu instid0(VALU_DEP_2) | instskip(NEXT) | instid1(VALU_DEP_3)
	v_cndmask_b32_e32 v2, v3, v2, vcc_lo
	v_and_b32_e32 v3, 0x80000000, v5
	s_delay_alu instid0(VALU_DEP_3) | instskip(NEXT) | instid1(VALU_DEP_3)
	v_lshl_add_u32 v5, v7, 23, 0x3b800000
	v_lshlrev_b32_e32 v2, 20, v2
	s_delay_alu instid0(VALU_DEP_1) | instskip(NEXT) | instid1(VALU_DEP_1)
	v_or3_b32 v2, v3, v5, v2
	v_trunc_f32_e32 v2, v2
	s_delay_alu instid0(VALU_DEP_1) | instskip(NEXT) | instid1(VALU_DEP_1)
	v_mul_f32_e64 v3, 0x2f800000, |v2|
	v_floor_f32_e32 v3, v3
	s_delay_alu instid0(VALU_DEP_1) | instskip(SKIP_2) | instid1(VALU_DEP_3)
	v_fma_f32 v5, 0xcf800000, v3, |v2|
	v_ashrrev_i32_e32 v2, 31, v2
	v_cvt_u32_f32_e32 v7, v3
	v_cvt_u32_f32_e32 v5, v5
	s_delay_alu instid0(VALU_DEP_2) | instskip(NEXT) | instid1(VALU_DEP_2)
	v_dual_mov_b32 v3, v2 :: v_dual_bitop2_b32 v11, v7, v2 bitop3:0x14
	v_xor_b32_e32 v10, v5, v2
	s_delay_alu instid0(VALU_DEP_1)
	v_sub_nc_u64_e32 v[2:3], v[10:11], v[2:3]
.LBB54_1678:
	s_or_b32 exec_lo, exec_lo, s19
.LBB54_1679:
	s_mov_b32 s19, -1
.LBB54_1680:
	s_branch .LBB54_1711
.LBB54_1681:
	s_cmp_gt_i32 s14, 22
	s_cbranch_scc0 .LBB54_1689
; %bb.1682:
	s_cmp_lt_i32 s14, 24
	s_cbranch_scc1 .LBB54_1692
; %bb.1683:
	s_cmp_gt_i32 s14, 24
	s_cbranch_scc0 .LBB54_1693
; %bb.1684:
	global_load_u8 v5, v[8:9], off
	s_mov_b32 s19, 0
	s_mov_b32 s18, exec_lo
	s_wait_loadcnt 0x0
	v_cmpx_lt_i16_e32 0x7f, v5
	s_xor_b32 s18, exec_lo, s18
	s_cbranch_execz .LBB54_1705
; %bb.1685:
	v_cmp_ne_u16_e32 vcc_lo, 0x80, v5
	s_and_b32 s19, vcc_lo, exec_lo
	s_and_not1_saveexec_b32 s18, s18
	s_cbranch_execnz .LBB54_1706
.LBB54_1686:
	s_or_b32 exec_lo, exec_lo, s18
	v_mov_b64_e32 v[2:3], 0
	s_and_saveexec_b32 s18, s19
	s_cbranch_execz .LBB54_1688
.LBB54_1687:
	v_and_b32_e32 v2, 0xffff, v5
	s_delay_alu instid0(VALU_DEP_1) | instskip(SKIP_1) | instid1(VALU_DEP_2)
	v_and_b32_e32 v3, 3, v2
	v_bfe_u32 v11, v2, 2, 5
	v_clz_i32_u32_e32 v7, v3
	s_delay_alu instid0(VALU_DEP_2) | instskip(NEXT) | instid1(VALU_DEP_2)
	v_cmp_eq_u32_e32 vcc_lo, 0, v11
	v_min_u32_e32 v7, 32, v7
	s_delay_alu instid0(VALU_DEP_1) | instskip(NEXT) | instid1(VALU_DEP_1)
	v_subrev_nc_u32_e32 v10, 29, v7
	v_dual_lshlrev_b32 v2, v10, v2 :: v_dual_sub_nc_u32 v7, 30, v7
	s_delay_alu instid0(VALU_DEP_1) | instskip(NEXT) | instid1(VALU_DEP_2)
	v_dual_lshlrev_b32 v5, 24, v5 :: v_dual_bitop2_b32 v2, 3, v2 bitop3:0x40
	v_cndmask_b32_e32 v7, v11, v7, vcc_lo
	s_delay_alu instid0(VALU_DEP_2) | instskip(NEXT) | instid1(VALU_DEP_3)
	v_cndmask_b32_e32 v2, v3, v2, vcc_lo
	v_and_b32_e32 v3, 0x80000000, v5
	s_delay_alu instid0(VALU_DEP_3) | instskip(NEXT) | instid1(VALU_DEP_3)
	v_lshl_add_u32 v5, v7, 23, 0x37800000
	v_lshlrev_b32_e32 v2, 21, v2
	s_delay_alu instid0(VALU_DEP_1) | instskip(NEXT) | instid1(VALU_DEP_1)
	v_or3_b32 v2, v3, v5, v2
	v_trunc_f32_e32 v2, v2
	s_delay_alu instid0(VALU_DEP_1) | instskip(NEXT) | instid1(VALU_DEP_1)
	v_mul_f32_e64 v3, 0x2f800000, |v2|
	v_floor_f32_e32 v3, v3
	s_delay_alu instid0(VALU_DEP_1) | instskip(SKIP_2) | instid1(VALU_DEP_3)
	v_fma_f32 v5, 0xcf800000, v3, |v2|
	v_ashrrev_i32_e32 v2, 31, v2
	v_cvt_u32_f32_e32 v7, v3
	v_cvt_u32_f32_e32 v5, v5
	s_delay_alu instid0(VALU_DEP_2) | instskip(NEXT) | instid1(VALU_DEP_2)
	v_dual_mov_b32 v3, v2 :: v_dual_bitop2_b32 v11, v7, v2 bitop3:0x14
	v_xor_b32_e32 v10, v5, v2
	s_delay_alu instid0(VALU_DEP_1)
	v_sub_nc_u64_e32 v[2:3], v[10:11], v[2:3]
.LBB54_1688:
	s_or_b32 exec_lo, exec_lo, s18
	s_mov_b32 s18, 0
	s_branch .LBB54_1694
.LBB54_1689:
	s_mov_b32 s18, -1
                                        ; implicit-def: $vgpr2_vgpr3
	s_branch .LBB54_1700
.LBB54_1690:
	s_and_not1_saveexec_b32 s19, s19
	s_cbranch_execz .LBB54_1676
.LBB54_1691:
	v_cmp_ne_u16_e32 vcc_lo, 0, v5
	s_and_not1_b32 s20, s20, exec_lo
	s_and_b32 s21, vcc_lo, exec_lo
	s_delay_alu instid0(SALU_CYCLE_1)
	s_or_b32 s20, s20, s21
	s_or_b32 exec_lo, exec_lo, s19
	v_mov_b64_e32 v[2:3], 0
	s_and_saveexec_b32 s19, s20
	s_cbranch_execnz .LBB54_1677
	s_branch .LBB54_1678
.LBB54_1692:
	s_mov_b32 s18, -1
                                        ; implicit-def: $vgpr2_vgpr3
	s_branch .LBB54_1697
.LBB54_1693:
	s_mov_b32 s18, -1
                                        ; implicit-def: $vgpr2_vgpr3
.LBB54_1694:
	s_delay_alu instid0(SALU_CYCLE_1)
	s_and_b32 vcc_lo, exec_lo, s18
	s_cbranch_vccz .LBB54_1696
; %bb.1695:
	s_wait_loadcnt 0x0
	global_load_u8 v2, v[8:9], off
	s_wait_loadcnt 0x0
	v_lshlrev_b32_e32 v2, 24, v2
	s_delay_alu instid0(VALU_DEP_1) | instskip(NEXT) | instid1(VALU_DEP_1)
	v_and_b32_e32 v3, 0x7f000000, v2
	v_clz_i32_u32_e32 v5, v3
	v_cmp_ne_u32_e32 vcc_lo, 0, v3
	v_add_nc_u32_e32 v10, 0x1000000, v3
	s_delay_alu instid0(VALU_DEP_3) | instskip(NEXT) | instid1(VALU_DEP_1)
	v_min_u32_e32 v5, 32, v5
	v_sub_nc_u32_e64 v5, v5, 4 clamp
	s_delay_alu instid0(VALU_DEP_1) | instskip(NEXT) | instid1(VALU_DEP_1)
	v_dual_lshlrev_b32 v7, v5, v3 :: v_dual_lshlrev_b32 v5, 23, v5
	v_lshrrev_b32_e32 v7, 4, v7
	s_delay_alu instid0(VALU_DEP_1) | instskip(NEXT) | instid1(VALU_DEP_1)
	v_dual_sub_nc_u32 v5, v7, v5 :: v_dual_ashrrev_i32 v7, 8, v10
	v_add_nc_u32_e32 v5, 0x3c000000, v5
	s_delay_alu instid0(VALU_DEP_1) | instskip(NEXT) | instid1(VALU_DEP_1)
	v_and_or_b32 v5, 0x7f800000, v7, v5
	v_cndmask_b32_e32 v3, 0, v5, vcc_lo
	s_delay_alu instid0(VALU_DEP_1) | instskip(NEXT) | instid1(VALU_DEP_1)
	v_and_or_b32 v2, 0x80000000, v2, v3
	v_trunc_f32_e32 v2, v2
	s_delay_alu instid0(VALU_DEP_1) | instskip(NEXT) | instid1(VALU_DEP_1)
	v_mul_f32_e64 v3, 0x2f800000, |v2|
	v_floor_f32_e32 v3, v3
	s_delay_alu instid0(VALU_DEP_1) | instskip(SKIP_2) | instid1(VALU_DEP_3)
	v_fma_f32 v5, 0xcf800000, v3, |v2|
	v_ashrrev_i32_e32 v2, 31, v2
	v_cvt_u32_f32_e32 v7, v3
	v_cvt_u32_f32_e32 v5, v5
	s_delay_alu instid0(VALU_DEP_2) | instskip(NEXT) | instid1(VALU_DEP_2)
	v_dual_mov_b32 v3, v2 :: v_dual_bitop2_b32 v11, v7, v2 bitop3:0x14
	v_xor_b32_e32 v10, v5, v2
	s_delay_alu instid0(VALU_DEP_1)
	v_sub_nc_u64_e32 v[2:3], v[10:11], v[2:3]
.LBB54_1696:
	s_mov_b32 s18, 0
.LBB54_1697:
	s_delay_alu instid0(SALU_CYCLE_1)
	s_and_not1_b32 vcc_lo, exec_lo, s18
	s_cbranch_vccnz .LBB54_1699
; %bb.1698:
	s_wait_loadcnt 0x0
	global_load_u8 v2, v[8:9], off
	s_wait_loadcnt 0x0
	v_lshlrev_b32_e32 v3, 25, v2
	v_lshlrev_b16 v2, 8, v2
	s_delay_alu instid0(VALU_DEP_1) | instskip(SKIP_1) | instid1(VALU_DEP_2)
	v_and_or_b32 v7, 0x7f00, v2, 0.5
	v_bfe_i32 v2, v2, 0, 16
	v_add_f32_e32 v7, -0.5, v7
	v_lshrrev_b32_e32 v5, 4, v3
	v_cmp_gt_u32_e32 vcc_lo, 0x8000000, v3
	s_delay_alu instid0(VALU_DEP_2) | instskip(NEXT) | instid1(VALU_DEP_1)
	v_or_b32_e32 v5, 0x70000000, v5
	v_mul_f32_e32 v5, 0x7800000, v5
	s_delay_alu instid0(VALU_DEP_1) | instskip(NEXT) | instid1(VALU_DEP_1)
	v_cndmask_b32_e32 v3, v5, v7, vcc_lo
	v_and_or_b32 v2, 0x80000000, v2, v3
	s_delay_alu instid0(VALU_DEP_1) | instskip(NEXT) | instid1(VALU_DEP_1)
	v_trunc_f32_e32 v2, v2
	v_mul_f32_e64 v3, 0x2f800000, |v2|
	s_delay_alu instid0(VALU_DEP_1) | instskip(NEXT) | instid1(VALU_DEP_1)
	v_floor_f32_e32 v3, v3
	v_fma_f32 v5, 0xcf800000, v3, |v2|
	v_ashrrev_i32_e32 v2, 31, v2
	v_cvt_u32_f32_e32 v7, v3
	s_delay_alu instid0(VALU_DEP_3) | instskip(NEXT) | instid1(VALU_DEP_2)
	v_cvt_u32_f32_e32 v5, v5
	v_dual_mov_b32 v3, v2 :: v_dual_bitop2_b32 v11, v7, v2 bitop3:0x14
	s_delay_alu instid0(VALU_DEP_2) | instskip(NEXT) | instid1(VALU_DEP_1)
	v_xor_b32_e32 v10, v5, v2
	v_sub_nc_u64_e32 v[2:3], v[10:11], v[2:3]
.LBB54_1699:
	s_mov_b32 s18, 0
	s_mov_b32 s19, -1
.LBB54_1700:
	s_and_not1_b32 vcc_lo, exec_lo, s18
	s_mov_b32 s18, 0
	s_cbranch_vccnz .LBB54_1711
; %bb.1701:
	s_cmp_gt_i32 s14, 14
	s_cbranch_scc0 .LBB54_1704
; %bb.1702:
	s_cmp_eq_u32 s14, 15
	s_cbranch_scc0 .LBB54_1707
; %bb.1703:
	s_wait_loadcnt 0x0
	global_load_u16 v2, v[8:9], off
	s_mov_b32 s17, 0
	s_mov_b32 s19, -1
	s_wait_loadcnt 0x0
	v_lshlrev_b32_e32 v2, 16, v2
	s_delay_alu instid0(VALU_DEP_1) | instskip(NEXT) | instid1(VALU_DEP_1)
	v_trunc_f32_e32 v2, v2
	v_mul_f32_e64 v3, 0x2f800000, |v2|
	s_delay_alu instid0(VALU_DEP_1) | instskip(NEXT) | instid1(VALU_DEP_1)
	v_floor_f32_e32 v3, v3
	v_fma_f32 v5, 0xcf800000, v3, |v2|
	v_ashrrev_i32_e32 v2, 31, v2
	v_cvt_u32_f32_e32 v7, v3
	s_delay_alu instid0(VALU_DEP_3) | instskip(NEXT) | instid1(VALU_DEP_2)
	v_cvt_u32_f32_e32 v5, v5
	v_dual_mov_b32 v3, v2 :: v_dual_bitop2_b32 v11, v7, v2 bitop3:0x14
	s_delay_alu instid0(VALU_DEP_2) | instskip(NEXT) | instid1(VALU_DEP_1)
	v_xor_b32_e32 v10, v5, v2
	v_sub_nc_u64_e32 v[2:3], v[10:11], v[2:3]
	s_branch .LBB54_1709
.LBB54_1704:
	s_mov_b32 s18, -1
	s_branch .LBB54_1708
.LBB54_1705:
	s_and_not1_saveexec_b32 s18, s18
	s_cbranch_execz .LBB54_1686
.LBB54_1706:
	v_cmp_ne_u16_e32 vcc_lo, 0, v5
	s_and_not1_b32 s19, s19, exec_lo
	s_and_b32 s20, vcc_lo, exec_lo
	s_delay_alu instid0(SALU_CYCLE_1)
	s_or_b32 s19, s19, s20
	s_or_b32 exec_lo, exec_lo, s18
	v_mov_b64_e32 v[2:3], 0
	s_and_saveexec_b32 s18, s19
	s_cbranch_execnz .LBB54_1687
	s_branch .LBB54_1688
.LBB54_1707:
	s_mov_b32 s17, -1
.LBB54_1708:
                                        ; implicit-def: $vgpr2_vgpr3
.LBB54_1709:
	s_and_b32 vcc_lo, exec_lo, s18
	s_mov_b32 s18, 0
	s_cbranch_vccz .LBB54_1711
; %bb.1710:
	s_cmp_lg_u32 s14, 11
	s_mov_b32 s18, -1
	s_cselect_b32 s17, -1, 0
.LBB54_1711:
	s_delay_alu instid0(SALU_CYCLE_1)
	s_and_b32 vcc_lo, exec_lo, s17
	s_cbranch_vccnz .LBB54_1774
; %bb.1712:
	s_and_not1_b32 vcc_lo, exec_lo, s18
	s_cbranch_vccnz .LBB54_1714
.LBB54_1713:
	s_wait_loadcnt 0x0
	global_load_u8 v2, v[8:9], off
	s_mov_b32 s14, 0
	s_mov_b32 s19, -1
	v_mov_b32_e32 v3, s14
	s_wait_loadcnt 0x0
	v_cmp_ne_u16_e32 vcc_lo, 0, v2
	v_cndmask_b32_e64 v2, 0, 1, vcc_lo
.LBB54_1714:
	s_branch .LBB54_1644
.LBB54_1715:
	s_and_b32 s14, 0xffff, s1
	s_delay_alu instid0(SALU_CYCLE_1)
	s_cmp_lt_i32 s14, 5
	s_cbranch_scc1 .LBB54_1720
; %bb.1716:
	s_cmp_lt_i32 s14, 8
	s_cbranch_scc1 .LBB54_1721
; %bb.1717:
	;; [unrolled: 3-line block ×3, first 2 shown]
	s_cmp_gt_i32 s14, 9
	s_cbranch_scc0 .LBB54_1723
; %bb.1719:
	s_wait_loadcnt 0x0
	global_load_b64 v[2:3], v[8:9], off
	s_mov_b32 s17, 0
	s_wait_loadcnt 0x0
	v_trunc_f64_e32 v[2:3], v[2:3]
	s_delay_alu instid0(VALU_DEP_1) | instskip(NEXT) | instid1(VALU_DEP_1)
	v_ldexp_f64 v[10:11], v[2:3], 0xffffffe0
	v_floor_f64_e32 v[10:11], v[10:11]
	s_delay_alu instid0(VALU_DEP_1) | instskip(SKIP_1) | instid1(VALU_DEP_2)
	v_fmamk_f64 v[12:13], v[10:11], 0xc1f00000, v[2:3]
	v_cvt_i32_f64_e32 v3, v[10:11]
	v_cvt_u32_f64_e32 v2, v[12:13]
	s_branch .LBB54_1724
.LBB54_1720:
                                        ; implicit-def: $vgpr2_vgpr3
	s_branch .LBB54_1742
.LBB54_1721:
	s_mov_b32 s17, -1
                                        ; implicit-def: $vgpr2_vgpr3
	s_branch .LBB54_1730
.LBB54_1722:
	s_mov_b32 s17, -1
                                        ; implicit-def: $vgpr2_vgpr3
	s_branch .LBB54_1727
.LBB54_1723:
	s_mov_b32 s17, -1
                                        ; implicit-def: $vgpr2_vgpr3
.LBB54_1724:
	s_delay_alu instid0(SALU_CYCLE_1)
	s_and_not1_b32 vcc_lo, exec_lo, s17
	s_cbranch_vccnz .LBB54_1726
; %bb.1725:
	s_wait_loadcnt 0x0
	global_load_b32 v2, v[8:9], off
	s_wait_loadcnt 0x0
	v_trunc_f32_e32 v2, v2
	s_delay_alu instid0(VALU_DEP_1) | instskip(NEXT) | instid1(VALU_DEP_1)
	v_mul_f32_e64 v3, 0x2f800000, |v2|
	v_floor_f32_e32 v3, v3
	s_delay_alu instid0(VALU_DEP_1) | instskip(SKIP_2) | instid1(VALU_DEP_3)
	v_fma_f32 v5, 0xcf800000, v3, |v2|
	v_ashrrev_i32_e32 v2, 31, v2
	v_cvt_u32_f32_e32 v7, v3
	v_cvt_u32_f32_e32 v5, v5
	s_delay_alu instid0(VALU_DEP_2) | instskip(NEXT) | instid1(VALU_DEP_2)
	v_dual_mov_b32 v3, v2 :: v_dual_bitop2_b32 v11, v7, v2 bitop3:0x14
	v_xor_b32_e32 v10, v5, v2
	s_delay_alu instid0(VALU_DEP_1)
	v_sub_nc_u64_e32 v[2:3], v[10:11], v[2:3]
.LBB54_1726:
	s_mov_b32 s17, 0
.LBB54_1727:
	s_delay_alu instid0(SALU_CYCLE_1)
	s_and_not1_b32 vcc_lo, exec_lo, s17
	s_cbranch_vccnz .LBB54_1729
; %bb.1728:
	s_wait_loadcnt 0x0
	global_load_b32 v2, v[8:9], off
	s_wait_loadcnt 0x0
	v_cvt_f32_f16_e32 v2, v2
	s_delay_alu instid0(VALU_DEP_1) | instskip(NEXT) | instid1(VALU_DEP_1)
	v_cvt_i32_f32_e32 v2, v2
	v_ashrrev_i32_e32 v3, 31, v2
.LBB54_1729:
	s_mov_b32 s17, 0
.LBB54_1730:
	s_delay_alu instid0(SALU_CYCLE_1)
	s_and_not1_b32 vcc_lo, exec_lo, s17
	s_cbranch_vccnz .LBB54_1741
; %bb.1731:
	s_cmp_lt_i32 s14, 6
	s_cbranch_scc1 .LBB54_1734
; %bb.1732:
	s_cmp_gt_i32 s14, 6
	s_cbranch_scc0 .LBB54_1735
; %bb.1733:
	s_wait_loadcnt 0x0
	global_load_b64 v[2:3], v[8:9], off
	s_mov_b32 s17, 0
	s_wait_loadcnt 0x0
	v_trunc_f64_e32 v[2:3], v[2:3]
	s_delay_alu instid0(VALU_DEP_1) | instskip(NEXT) | instid1(VALU_DEP_1)
	v_ldexp_f64 v[10:11], v[2:3], 0xffffffe0
	v_floor_f64_e32 v[10:11], v[10:11]
	s_delay_alu instid0(VALU_DEP_1) | instskip(SKIP_1) | instid1(VALU_DEP_2)
	v_fmamk_f64 v[12:13], v[10:11], 0xc1f00000, v[2:3]
	v_cvt_i32_f64_e32 v3, v[10:11]
	v_cvt_u32_f64_e32 v2, v[12:13]
	s_branch .LBB54_1736
.LBB54_1734:
	s_mov_b32 s17, -1
                                        ; implicit-def: $vgpr2_vgpr3
	s_branch .LBB54_1739
.LBB54_1735:
	s_mov_b32 s17, -1
                                        ; implicit-def: $vgpr2_vgpr3
.LBB54_1736:
	s_delay_alu instid0(SALU_CYCLE_1)
	s_and_not1_b32 vcc_lo, exec_lo, s17
	s_cbranch_vccnz .LBB54_1738
; %bb.1737:
	s_wait_loadcnt 0x0
	global_load_b32 v2, v[8:9], off
	s_wait_loadcnt 0x0
	v_trunc_f32_e32 v2, v2
	s_delay_alu instid0(VALU_DEP_1) | instskip(NEXT) | instid1(VALU_DEP_1)
	v_mul_f32_e64 v3, 0x2f800000, |v2|
	v_floor_f32_e32 v3, v3
	s_delay_alu instid0(VALU_DEP_1) | instskip(SKIP_2) | instid1(VALU_DEP_3)
	v_fma_f32 v5, 0xcf800000, v3, |v2|
	v_ashrrev_i32_e32 v2, 31, v2
	v_cvt_u32_f32_e32 v7, v3
	v_cvt_u32_f32_e32 v5, v5
	s_delay_alu instid0(VALU_DEP_2) | instskip(NEXT) | instid1(VALU_DEP_2)
	v_dual_mov_b32 v3, v2 :: v_dual_bitop2_b32 v11, v7, v2 bitop3:0x14
	v_xor_b32_e32 v10, v5, v2
	s_delay_alu instid0(VALU_DEP_1)
	v_sub_nc_u64_e32 v[2:3], v[10:11], v[2:3]
.LBB54_1738:
	s_mov_b32 s17, 0
.LBB54_1739:
	s_delay_alu instid0(SALU_CYCLE_1)
	s_and_not1_b32 vcc_lo, exec_lo, s17
	s_cbranch_vccnz .LBB54_1741
; %bb.1740:
	s_wait_loadcnt 0x0
	global_load_u16 v2, v[8:9], off
	s_wait_loadcnt 0x0
	v_cvt_f32_f16_e32 v2, v2
	s_delay_alu instid0(VALU_DEP_1) | instskip(NEXT) | instid1(VALU_DEP_1)
	v_cvt_i32_f32_e32 v2, v2
	v_ashrrev_i32_e32 v3, 31, v2
.LBB54_1741:
	s_cbranch_execnz .LBB54_1761
.LBB54_1742:
	s_cmp_lt_i32 s14, 2
	s_cbranch_scc1 .LBB54_1746
; %bb.1743:
	s_cmp_lt_i32 s14, 3
	s_cbranch_scc1 .LBB54_1747
; %bb.1744:
	s_cmp_gt_i32 s14, 3
	s_cbranch_scc0 .LBB54_1748
; %bb.1745:
	s_wait_loadcnt 0x0
	global_load_b64 v[2:3], v[8:9], off
	s_mov_b32 s17, 0
	s_branch .LBB54_1749
.LBB54_1746:
	s_mov_b32 s17, -1
                                        ; implicit-def: $vgpr2_vgpr3
	s_branch .LBB54_1755
.LBB54_1747:
	s_mov_b32 s17, -1
                                        ; implicit-def: $vgpr2_vgpr3
	s_branch .LBB54_1752
.LBB54_1748:
	s_mov_b32 s17, -1
                                        ; implicit-def: $vgpr2_vgpr3
.LBB54_1749:
	s_delay_alu instid0(SALU_CYCLE_1)
	s_and_not1_b32 vcc_lo, exec_lo, s17
	s_cbranch_vccnz .LBB54_1751
; %bb.1750:
	s_wait_loadcnt 0x0
	global_load_b32 v2, v[8:9], off
	s_wait_loadcnt 0x0
	v_ashrrev_i32_e32 v3, 31, v2
.LBB54_1751:
	s_mov_b32 s17, 0
.LBB54_1752:
	s_delay_alu instid0(SALU_CYCLE_1)
	s_and_not1_b32 vcc_lo, exec_lo, s17
	s_cbranch_vccnz .LBB54_1754
; %bb.1753:
	s_wait_loadcnt 0x0
	global_load_u16 v2, v[8:9], off
	s_wait_loadcnt 0x0
	v_bfe_i32 v2, v2, 0, 16
	s_delay_alu instid0(VALU_DEP_1)
	v_ashrrev_i32_e32 v3, 31, v2
.LBB54_1754:
	s_mov_b32 s17, 0
.LBB54_1755:
	s_delay_alu instid0(SALU_CYCLE_1)
	s_and_not1_b32 vcc_lo, exec_lo, s17
	s_cbranch_vccnz .LBB54_1761
; %bb.1756:
	s_cmp_gt_i32 s14, 0
	s_mov_b32 s14, 0
	s_cbranch_scc0 .LBB54_1758
; %bb.1757:
	s_wait_loadcnt 0x0
	global_load_i8 v2, v[8:9], off
	s_wait_loadcnt 0x0
	v_bfe_i32 v2, v2, 0, 16
	s_delay_alu instid0(VALU_DEP_1)
	v_ashrrev_i32_e32 v3, 31, v2
	s_branch .LBB54_1759
.LBB54_1758:
	s_mov_b32 s14, -1
                                        ; implicit-def: $vgpr2_vgpr3
.LBB54_1759:
	s_delay_alu instid0(SALU_CYCLE_1)
	s_and_not1_b32 vcc_lo, exec_lo, s14
	s_cbranch_vccnz .LBB54_1761
; %bb.1760:
	s_wait_loadcnt 0x0
	global_load_u8 v2, v[8:9], off
	s_mov_b32 s14, 0
	s_delay_alu instid0(SALU_CYCLE_1)
	v_mov_b32_e32 v3, s14
	s_wait_loadcnt 0x0
	v_and_b32_e32 v2, 0xffff, v2
.LBB54_1761:
.LBB54_1762:
	s_lshl_b32 s9, s9, 7
	s_cmp_lt_i32 s0, 11
	s_wait_xcnt 0x0
	v_add_nc_u32_e32 v8, s9, v4
	s_delay_alu instid0(VALU_DEP_1) | instskip(NEXT) | instid1(VALU_DEP_1)
	v_ashrrev_i32_e32 v9, 31, v8
	v_add_nc_u64_e32 v[10:11], s[6:7], v[8:9]
	s_cbranch_scc1 .LBB54_1769
; %bb.1763:
	s_and_b32 s14, 0xffff, s0
	s_mov_b32 s18, 0
	s_cmp_gt_i32 s14, 25
	s_cbranch_scc0 .LBB54_1771
; %bb.1764:
	s_cmp_gt_i32 s14, 28
	s_cbranch_scc0 .LBB54_1772
; %bb.1765:
	;; [unrolled: 3-line block ×4, first 2 shown]
	s_cmp_eq_u32 s14, 46
	s_mov_b32 s20, 0
	s_cbranch_scc0 .LBB54_1776
; %bb.1768:
	global_load_b32 v4, v[10:11], off
	s_mov_b32 s17, 0
	s_mov_b32 s19, -1
	s_wait_loadcnt 0x0
	v_lshlrev_b32_e32 v4, 16, v4
	s_delay_alu instid0(VALU_DEP_1) | instskip(NEXT) | instid1(VALU_DEP_1)
	v_trunc_f32_e32 v4, v4
	v_mul_f32_e64 v5, 0x2f800000, |v4|
	s_delay_alu instid0(VALU_DEP_1) | instskip(NEXT) | instid1(VALU_DEP_1)
	v_floor_f32_e32 v5, v5
	v_fma_f32 v7, 0xcf800000, v5, |v4|
	v_ashrrev_i32_e32 v4, 31, v4
	v_cvt_u32_f32_e32 v9, v5
	s_delay_alu instid0(VALU_DEP_3) | instskip(NEXT) | instid1(VALU_DEP_2)
	v_cvt_u32_f32_e32 v7, v7
	v_dual_mov_b32 v5, v4 :: v_dual_bitop2_b32 v13, v9, v4 bitop3:0x14
	s_delay_alu instid0(VALU_DEP_2) | instskip(NEXT) | instid1(VALU_DEP_1)
	v_xor_b32_e32 v12, v7, v4
	v_sub_nc_u64_e32 v[4:5], v[12:13], v[4:5]
	s_branch .LBB54_1778
.LBB54_1769:
	s_mov_b32 s19, 0
                                        ; implicit-def: $vgpr4_vgpr5
	s_cbranch_execnz .LBB54_1840
.LBB54_1770:
	s_and_not1_b32 vcc_lo, exec_lo, s19
	s_cbranch_vccnz .LBB54_2957
	s_branch .LBB54_1888
.LBB54_1771:
	s_mov_b32 s20, -1
	s_mov_b32 s19, 0
	s_mov_b32 s17, 0
                                        ; implicit-def: $vgpr4_vgpr5
	s_branch .LBB54_1805
.LBB54_1772:
	s_mov_b32 s20, -1
	s_mov_b32 s19, 0
	s_mov_b32 s17, 0
                                        ; implicit-def: $vgpr4_vgpr5
	s_branch .LBB54_1788
.LBB54_1773:
	s_mov_b32 s20, -1
	s_mov_b32 s19, 0
	s_mov_b32 s17, 0
                                        ; implicit-def: $vgpr4_vgpr5
	s_branch .LBB54_1783
.LBB54_1774:
	s_or_b32 s13, s13, exec_lo
	s_trap 2
	s_cbranch_execz .LBB54_1713
	s_branch .LBB54_1714
.LBB54_1775:
	s_mov_b32 s20, -1
	s_mov_b32 s19, 0
	s_mov_b32 s17, 0
	s_branch .LBB54_1777
.LBB54_1776:
	s_mov_b32 s17, -1
	s_mov_b32 s19, 0
.LBB54_1777:
                                        ; implicit-def: $vgpr4_vgpr5
.LBB54_1778:
	s_and_b32 vcc_lo, exec_lo, s20
	s_cbranch_vccz .LBB54_1782
; %bb.1779:
	s_cmp_eq_u32 s14, 44
	s_cbranch_scc0 .LBB54_1781
; %bb.1780:
	global_load_u8 v7, v[10:11], off
	s_mov_b32 s17, 0
	s_mov_b32 s19, -1
	s_wait_loadcnt 0x0
	v_cmp_ne_u32_e32 vcc_lo, 0, v7
	v_lshlrev_b32_e32 v4, 23, v7
	s_delay_alu instid0(VALU_DEP_1) | instskip(NEXT) | instid1(VALU_DEP_1)
	v_trunc_f32_e32 v4, v4
	v_mul_f32_e64 v5, 0x2f800000, |v4|
	s_delay_alu instid0(VALU_DEP_1) | instskip(NEXT) | instid1(VALU_DEP_1)
	v_floor_f32_e32 v5, v5
	v_fma_f32 v9, 0xcf800000, v5, |v4|
	v_ashrrev_i32_e32 v4, 31, v4
	v_cvt_u32_f32_e32 v12, v5
	s_delay_alu instid0(VALU_DEP_3) | instskip(NEXT) | instid1(VALU_DEP_3)
	v_cvt_u32_f32_e32 v9, v9
	v_mov_b32_e32 v5, v4
	s_delay_alu instid0(VALU_DEP_3) | instskip(NEXT) | instid1(VALU_DEP_3)
	v_xor_b32_e32 v13, v12, v4
	v_xor_b32_e32 v12, v9, v4
	s_delay_alu instid0(VALU_DEP_1) | instskip(NEXT) | instid1(VALU_DEP_1)
	v_sub_nc_u64_e32 v[4:5], v[12:13], v[4:5]
	v_dual_cndmask_b32 v5, 0, v5 :: v_dual_cndmask_b32 v4, 0, v4
	s_branch .LBB54_1782
.LBB54_1781:
	s_mov_b32 s17, -1
                                        ; implicit-def: $vgpr4_vgpr5
.LBB54_1782:
	s_mov_b32 s20, 0
.LBB54_1783:
	s_delay_alu instid0(SALU_CYCLE_1)
	s_and_b32 vcc_lo, exec_lo, s20
	s_cbranch_vccz .LBB54_1787
; %bb.1784:
	s_cmp_eq_u32 s14, 29
	s_cbranch_scc0 .LBB54_1786
; %bb.1785:
	global_load_b64 v[4:5], v[10:11], off
	s_mov_b32 s17, 0
	s_mov_b32 s19, -1
	s_branch .LBB54_1787
.LBB54_1786:
	s_mov_b32 s17, -1
                                        ; implicit-def: $vgpr4_vgpr5
.LBB54_1787:
	s_mov_b32 s20, 0
.LBB54_1788:
	s_delay_alu instid0(SALU_CYCLE_1)
	s_and_b32 vcc_lo, exec_lo, s20
	s_cbranch_vccz .LBB54_1804
; %bb.1789:
	s_cmp_lt_i32 s14, 27
	s_cbranch_scc1 .LBB54_1792
; %bb.1790:
	s_cmp_gt_i32 s14, 27
	s_cbranch_scc0 .LBB54_1793
; %bb.1791:
	s_wait_loadcnt 0x0
	global_load_b32 v4, v[10:11], off
	v_mov_b32_e32 v5, 0
	s_mov_b32 s19, 0
	s_branch .LBB54_1794
.LBB54_1792:
	s_mov_b32 s19, -1
                                        ; implicit-def: $vgpr4_vgpr5
	s_branch .LBB54_1797
.LBB54_1793:
	s_mov_b32 s19, -1
                                        ; implicit-def: $vgpr4_vgpr5
.LBB54_1794:
	s_delay_alu instid0(SALU_CYCLE_1)
	s_and_not1_b32 vcc_lo, exec_lo, s19
	s_cbranch_vccnz .LBB54_1796
; %bb.1795:
	s_wait_loadcnt 0x0
	global_load_u16 v4, v[10:11], off
	s_mov_b32 s19, 0
	s_delay_alu instid0(SALU_CYCLE_1)
	v_mov_b32_e32 v5, s19
	s_wait_loadcnt 0x0
	v_and_b32_e32 v4, 0xffff, v4
.LBB54_1796:
	s_mov_b32 s19, 0
.LBB54_1797:
	s_delay_alu instid0(SALU_CYCLE_1)
	s_and_not1_b32 vcc_lo, exec_lo, s19
	s_cbranch_vccnz .LBB54_1803
; %bb.1798:
	global_load_u8 v7, v[10:11], off
	s_mov_b32 s20, 0
	s_mov_b32 s19, exec_lo
	s_wait_loadcnt 0x0
	v_cmpx_lt_i16_e32 0x7f, v7
	s_xor_b32 s19, exec_lo, s19
	s_cbranch_execz .LBB54_1815
; %bb.1799:
	v_cmp_ne_u16_e32 vcc_lo, 0x80, v7
	s_and_b32 s20, vcc_lo, exec_lo
	s_and_not1_saveexec_b32 s19, s19
	s_cbranch_execnz .LBB54_1816
.LBB54_1800:
	s_or_b32 exec_lo, exec_lo, s19
	v_mov_b64_e32 v[4:5], 0
	s_and_saveexec_b32 s19, s20
	s_cbranch_execz .LBB54_1802
.LBB54_1801:
	v_and_b32_e32 v4, 0xffff, v7
	s_delay_alu instid0(VALU_DEP_1) | instskip(SKIP_1) | instid1(VALU_DEP_2)
	v_and_b32_e32 v5, 7, v4
	v_bfe_u32 v13, v4, 3, 4
	v_clz_i32_u32_e32 v9, v5
	s_delay_alu instid0(VALU_DEP_2) | instskip(NEXT) | instid1(VALU_DEP_2)
	v_cmp_eq_u32_e32 vcc_lo, 0, v13
	v_min_u32_e32 v9, 32, v9
	s_delay_alu instid0(VALU_DEP_1) | instskip(NEXT) | instid1(VALU_DEP_1)
	v_subrev_nc_u32_e32 v12, 28, v9
	v_dual_lshlrev_b32 v4, v12, v4 :: v_dual_sub_nc_u32 v9, 29, v9
	s_delay_alu instid0(VALU_DEP_1) | instskip(NEXT) | instid1(VALU_DEP_2)
	v_dual_lshlrev_b32 v7, 24, v7 :: v_dual_bitop2_b32 v4, 7, v4 bitop3:0x40
	v_cndmask_b32_e32 v9, v13, v9, vcc_lo
	s_delay_alu instid0(VALU_DEP_2) | instskip(NEXT) | instid1(VALU_DEP_3)
	v_cndmask_b32_e32 v4, v5, v4, vcc_lo
	v_and_b32_e32 v5, 0x80000000, v7
	s_delay_alu instid0(VALU_DEP_3) | instskip(NEXT) | instid1(VALU_DEP_3)
	v_lshl_add_u32 v7, v9, 23, 0x3b800000
	v_lshlrev_b32_e32 v4, 20, v4
	s_delay_alu instid0(VALU_DEP_1) | instskip(NEXT) | instid1(VALU_DEP_1)
	v_or3_b32 v4, v5, v7, v4
	v_trunc_f32_e32 v4, v4
	s_delay_alu instid0(VALU_DEP_1) | instskip(NEXT) | instid1(VALU_DEP_1)
	v_mul_f32_e64 v5, 0x2f800000, |v4|
	v_floor_f32_e32 v5, v5
	s_delay_alu instid0(VALU_DEP_1) | instskip(SKIP_2) | instid1(VALU_DEP_3)
	v_fma_f32 v7, 0xcf800000, v5, |v4|
	v_ashrrev_i32_e32 v4, 31, v4
	v_cvt_u32_f32_e32 v9, v5
	v_cvt_u32_f32_e32 v7, v7
	s_delay_alu instid0(VALU_DEP_2) | instskip(NEXT) | instid1(VALU_DEP_2)
	v_dual_mov_b32 v5, v4 :: v_dual_bitop2_b32 v13, v9, v4 bitop3:0x14
	v_xor_b32_e32 v12, v7, v4
	s_delay_alu instid0(VALU_DEP_1)
	v_sub_nc_u64_e32 v[4:5], v[12:13], v[4:5]
.LBB54_1802:
	s_or_b32 exec_lo, exec_lo, s19
.LBB54_1803:
	s_mov_b32 s19, -1
.LBB54_1804:
	s_mov_b32 s20, 0
.LBB54_1805:
	s_delay_alu instid0(SALU_CYCLE_1)
	s_and_b32 vcc_lo, exec_lo, s20
	s_cbranch_vccz .LBB54_1836
; %bb.1806:
	s_cmp_gt_i32 s14, 22
	s_cbranch_scc0 .LBB54_1814
; %bb.1807:
	s_cmp_lt_i32 s14, 24
	s_cbranch_scc1 .LBB54_1817
; %bb.1808:
	s_cmp_gt_i32 s14, 24
	s_cbranch_scc0 .LBB54_1818
; %bb.1809:
	global_load_u8 v7, v[10:11], off
	s_mov_b32 s19, 0
	s_mov_b32 s18, exec_lo
	s_wait_loadcnt 0x0
	v_cmpx_lt_i16_e32 0x7f, v7
	s_xor_b32 s18, exec_lo, s18
	s_cbranch_execz .LBB54_1830
; %bb.1810:
	v_cmp_ne_u16_e32 vcc_lo, 0x80, v7
	s_and_b32 s19, vcc_lo, exec_lo
	s_and_not1_saveexec_b32 s18, s18
	s_cbranch_execnz .LBB54_1831
.LBB54_1811:
	s_or_b32 exec_lo, exec_lo, s18
	v_mov_b64_e32 v[4:5], 0
	s_and_saveexec_b32 s18, s19
	s_cbranch_execz .LBB54_1813
.LBB54_1812:
	v_and_b32_e32 v4, 0xffff, v7
	s_delay_alu instid0(VALU_DEP_1) | instskip(SKIP_1) | instid1(VALU_DEP_2)
	v_and_b32_e32 v5, 3, v4
	v_bfe_u32 v13, v4, 2, 5
	v_clz_i32_u32_e32 v9, v5
	s_delay_alu instid0(VALU_DEP_2) | instskip(NEXT) | instid1(VALU_DEP_2)
	v_cmp_eq_u32_e32 vcc_lo, 0, v13
	v_min_u32_e32 v9, 32, v9
	s_delay_alu instid0(VALU_DEP_1) | instskip(NEXT) | instid1(VALU_DEP_1)
	v_subrev_nc_u32_e32 v12, 29, v9
	v_dual_lshlrev_b32 v4, v12, v4 :: v_dual_sub_nc_u32 v9, 30, v9
	s_delay_alu instid0(VALU_DEP_1) | instskip(NEXT) | instid1(VALU_DEP_2)
	v_dual_lshlrev_b32 v7, 24, v7 :: v_dual_bitop2_b32 v4, 3, v4 bitop3:0x40
	v_cndmask_b32_e32 v9, v13, v9, vcc_lo
	s_delay_alu instid0(VALU_DEP_2) | instskip(NEXT) | instid1(VALU_DEP_3)
	v_cndmask_b32_e32 v4, v5, v4, vcc_lo
	v_and_b32_e32 v5, 0x80000000, v7
	s_delay_alu instid0(VALU_DEP_3) | instskip(NEXT) | instid1(VALU_DEP_3)
	v_lshl_add_u32 v7, v9, 23, 0x37800000
	v_lshlrev_b32_e32 v4, 21, v4
	s_delay_alu instid0(VALU_DEP_1) | instskip(NEXT) | instid1(VALU_DEP_1)
	v_or3_b32 v4, v5, v7, v4
	v_trunc_f32_e32 v4, v4
	s_delay_alu instid0(VALU_DEP_1) | instskip(NEXT) | instid1(VALU_DEP_1)
	v_mul_f32_e64 v5, 0x2f800000, |v4|
	v_floor_f32_e32 v5, v5
	s_delay_alu instid0(VALU_DEP_1) | instskip(SKIP_2) | instid1(VALU_DEP_3)
	v_fma_f32 v7, 0xcf800000, v5, |v4|
	v_ashrrev_i32_e32 v4, 31, v4
	v_cvt_u32_f32_e32 v9, v5
	v_cvt_u32_f32_e32 v7, v7
	s_delay_alu instid0(VALU_DEP_2) | instskip(NEXT) | instid1(VALU_DEP_2)
	v_dual_mov_b32 v5, v4 :: v_dual_bitop2_b32 v13, v9, v4 bitop3:0x14
	v_xor_b32_e32 v12, v7, v4
	s_delay_alu instid0(VALU_DEP_1)
	v_sub_nc_u64_e32 v[4:5], v[12:13], v[4:5]
.LBB54_1813:
	s_or_b32 exec_lo, exec_lo, s18
	s_mov_b32 s18, 0
	s_branch .LBB54_1819
.LBB54_1814:
	s_mov_b32 s18, -1
                                        ; implicit-def: $vgpr4_vgpr5
	s_branch .LBB54_1825
.LBB54_1815:
	s_and_not1_saveexec_b32 s19, s19
	s_cbranch_execz .LBB54_1800
.LBB54_1816:
	v_cmp_ne_u16_e32 vcc_lo, 0, v7
	s_and_not1_b32 s20, s20, exec_lo
	s_and_b32 s21, vcc_lo, exec_lo
	s_delay_alu instid0(SALU_CYCLE_1)
	s_or_b32 s20, s20, s21
	s_or_b32 exec_lo, exec_lo, s19
	v_mov_b64_e32 v[4:5], 0
	s_and_saveexec_b32 s19, s20
	s_cbranch_execnz .LBB54_1801
	s_branch .LBB54_1802
.LBB54_1817:
	s_mov_b32 s18, -1
                                        ; implicit-def: $vgpr4_vgpr5
	s_branch .LBB54_1822
.LBB54_1818:
	s_mov_b32 s18, -1
                                        ; implicit-def: $vgpr4_vgpr5
.LBB54_1819:
	s_delay_alu instid0(SALU_CYCLE_1)
	s_and_b32 vcc_lo, exec_lo, s18
	s_cbranch_vccz .LBB54_1821
; %bb.1820:
	s_wait_loadcnt 0x0
	global_load_u8 v4, v[10:11], off
	s_wait_loadcnt 0x0
	v_lshlrev_b32_e32 v4, 24, v4
	s_delay_alu instid0(VALU_DEP_1) | instskip(NEXT) | instid1(VALU_DEP_1)
	v_and_b32_e32 v5, 0x7f000000, v4
	v_clz_i32_u32_e32 v7, v5
	v_cmp_ne_u32_e32 vcc_lo, 0, v5
	v_add_nc_u32_e32 v12, 0x1000000, v5
	s_delay_alu instid0(VALU_DEP_3) | instskip(NEXT) | instid1(VALU_DEP_1)
	v_min_u32_e32 v7, 32, v7
	v_sub_nc_u32_e64 v7, v7, 4 clamp
	s_delay_alu instid0(VALU_DEP_1) | instskip(NEXT) | instid1(VALU_DEP_1)
	v_dual_lshlrev_b32 v9, v7, v5 :: v_dual_lshlrev_b32 v7, 23, v7
	v_lshrrev_b32_e32 v9, 4, v9
	s_delay_alu instid0(VALU_DEP_1) | instskip(NEXT) | instid1(VALU_DEP_1)
	v_dual_sub_nc_u32 v7, v9, v7 :: v_dual_ashrrev_i32 v9, 8, v12
	v_add_nc_u32_e32 v7, 0x3c000000, v7
	s_delay_alu instid0(VALU_DEP_1) | instskip(NEXT) | instid1(VALU_DEP_1)
	v_and_or_b32 v7, 0x7f800000, v9, v7
	v_cndmask_b32_e32 v5, 0, v7, vcc_lo
	s_delay_alu instid0(VALU_DEP_1) | instskip(NEXT) | instid1(VALU_DEP_1)
	v_and_or_b32 v4, 0x80000000, v4, v5
	v_trunc_f32_e32 v4, v4
	s_delay_alu instid0(VALU_DEP_1) | instskip(NEXT) | instid1(VALU_DEP_1)
	v_mul_f32_e64 v5, 0x2f800000, |v4|
	v_floor_f32_e32 v5, v5
	s_delay_alu instid0(VALU_DEP_1) | instskip(SKIP_2) | instid1(VALU_DEP_3)
	v_fma_f32 v7, 0xcf800000, v5, |v4|
	v_ashrrev_i32_e32 v4, 31, v4
	v_cvt_u32_f32_e32 v9, v5
	v_cvt_u32_f32_e32 v7, v7
	s_delay_alu instid0(VALU_DEP_2) | instskip(NEXT) | instid1(VALU_DEP_2)
	v_dual_mov_b32 v5, v4 :: v_dual_bitop2_b32 v13, v9, v4 bitop3:0x14
	v_xor_b32_e32 v12, v7, v4
	s_delay_alu instid0(VALU_DEP_1)
	v_sub_nc_u64_e32 v[4:5], v[12:13], v[4:5]
.LBB54_1821:
	s_mov_b32 s18, 0
.LBB54_1822:
	s_delay_alu instid0(SALU_CYCLE_1)
	s_and_not1_b32 vcc_lo, exec_lo, s18
	s_cbranch_vccnz .LBB54_1824
; %bb.1823:
	s_wait_loadcnt 0x0
	global_load_u8 v4, v[10:11], off
	s_wait_loadcnt 0x0
	v_lshlrev_b32_e32 v5, 25, v4
	v_lshlrev_b16 v4, 8, v4
	s_delay_alu instid0(VALU_DEP_1) | instskip(SKIP_1) | instid1(VALU_DEP_2)
	v_and_or_b32 v9, 0x7f00, v4, 0.5
	v_bfe_i32 v4, v4, 0, 16
	v_add_f32_e32 v9, -0.5, v9
	v_lshrrev_b32_e32 v7, 4, v5
	v_cmp_gt_u32_e32 vcc_lo, 0x8000000, v5
	s_delay_alu instid0(VALU_DEP_2) | instskip(NEXT) | instid1(VALU_DEP_1)
	v_or_b32_e32 v7, 0x70000000, v7
	v_mul_f32_e32 v7, 0x7800000, v7
	s_delay_alu instid0(VALU_DEP_1) | instskip(NEXT) | instid1(VALU_DEP_1)
	v_cndmask_b32_e32 v5, v7, v9, vcc_lo
	v_and_or_b32 v4, 0x80000000, v4, v5
	s_delay_alu instid0(VALU_DEP_1) | instskip(NEXT) | instid1(VALU_DEP_1)
	v_trunc_f32_e32 v4, v4
	v_mul_f32_e64 v5, 0x2f800000, |v4|
	s_delay_alu instid0(VALU_DEP_1) | instskip(NEXT) | instid1(VALU_DEP_1)
	v_floor_f32_e32 v5, v5
	v_fma_f32 v7, 0xcf800000, v5, |v4|
	v_ashrrev_i32_e32 v4, 31, v4
	v_cvt_u32_f32_e32 v9, v5
	s_delay_alu instid0(VALU_DEP_3) | instskip(NEXT) | instid1(VALU_DEP_2)
	v_cvt_u32_f32_e32 v7, v7
	v_dual_mov_b32 v5, v4 :: v_dual_bitop2_b32 v13, v9, v4 bitop3:0x14
	s_delay_alu instid0(VALU_DEP_2) | instskip(NEXT) | instid1(VALU_DEP_1)
	v_xor_b32_e32 v12, v7, v4
	v_sub_nc_u64_e32 v[4:5], v[12:13], v[4:5]
.LBB54_1824:
	s_mov_b32 s18, 0
	s_mov_b32 s19, -1
.LBB54_1825:
	s_and_not1_b32 vcc_lo, exec_lo, s18
	s_mov_b32 s18, 0
	s_cbranch_vccnz .LBB54_1836
; %bb.1826:
	s_cmp_gt_i32 s14, 14
	s_cbranch_scc0 .LBB54_1829
; %bb.1827:
	s_cmp_eq_u32 s14, 15
	s_cbranch_scc0 .LBB54_1832
; %bb.1828:
	s_wait_loadcnt 0x0
	global_load_u16 v4, v[10:11], off
	s_mov_b32 s17, 0
	s_mov_b32 s19, -1
	s_wait_loadcnt 0x0
	v_lshlrev_b32_e32 v4, 16, v4
	s_delay_alu instid0(VALU_DEP_1) | instskip(NEXT) | instid1(VALU_DEP_1)
	v_trunc_f32_e32 v4, v4
	v_mul_f32_e64 v5, 0x2f800000, |v4|
	s_delay_alu instid0(VALU_DEP_1) | instskip(NEXT) | instid1(VALU_DEP_1)
	v_floor_f32_e32 v5, v5
	v_fma_f32 v7, 0xcf800000, v5, |v4|
	v_ashrrev_i32_e32 v4, 31, v4
	v_cvt_u32_f32_e32 v9, v5
	s_delay_alu instid0(VALU_DEP_3) | instskip(NEXT) | instid1(VALU_DEP_2)
	v_cvt_u32_f32_e32 v7, v7
	v_dual_mov_b32 v5, v4 :: v_dual_bitop2_b32 v13, v9, v4 bitop3:0x14
	s_delay_alu instid0(VALU_DEP_2) | instskip(NEXT) | instid1(VALU_DEP_1)
	v_xor_b32_e32 v12, v7, v4
	v_sub_nc_u64_e32 v[4:5], v[12:13], v[4:5]
	s_branch .LBB54_1834
.LBB54_1829:
	s_mov_b32 s18, -1
	s_branch .LBB54_1833
.LBB54_1830:
	s_and_not1_saveexec_b32 s18, s18
	s_cbranch_execz .LBB54_1811
.LBB54_1831:
	v_cmp_ne_u16_e32 vcc_lo, 0, v7
	s_and_not1_b32 s19, s19, exec_lo
	s_and_b32 s20, vcc_lo, exec_lo
	s_delay_alu instid0(SALU_CYCLE_1)
	s_or_b32 s19, s19, s20
	s_or_b32 exec_lo, exec_lo, s18
	v_mov_b64_e32 v[4:5], 0
	s_and_saveexec_b32 s18, s19
	s_cbranch_execnz .LBB54_1812
	s_branch .LBB54_1813
.LBB54_1832:
	s_mov_b32 s17, -1
.LBB54_1833:
                                        ; implicit-def: $vgpr4_vgpr5
.LBB54_1834:
	s_and_b32 vcc_lo, exec_lo, s18
	s_mov_b32 s18, 0
	s_cbranch_vccz .LBB54_1836
; %bb.1835:
	s_cmp_lg_u32 s14, 11
	s_mov_b32 s18, -1
	s_cselect_b32 s17, -1, 0
.LBB54_1836:
	s_delay_alu instid0(SALU_CYCLE_1)
	s_and_b32 vcc_lo, exec_lo, s17
	s_cbranch_vccnz .LBB54_1899
; %bb.1837:
	s_and_not1_b32 vcc_lo, exec_lo, s18
	s_cbranch_vccnz .LBB54_1839
.LBB54_1838:
	s_wait_loadcnt 0x0
	global_load_u8 v4, v[10:11], off
	s_mov_b32 s14, 0
	s_mov_b32 s19, -1
	v_mov_b32_e32 v5, s14
	s_wait_loadcnt 0x0
	v_cmp_ne_u16_e32 vcc_lo, 0, v4
	v_cndmask_b32_e64 v4, 0, 1, vcc_lo
.LBB54_1839:
	s_branch .LBB54_1770
.LBB54_1840:
	s_and_b32 s14, 0xffff, s0
	s_delay_alu instid0(SALU_CYCLE_1)
	s_cmp_lt_i32 s14, 5
	s_cbranch_scc1 .LBB54_1845
; %bb.1841:
	s_cmp_lt_i32 s14, 8
	s_cbranch_scc1 .LBB54_1846
; %bb.1842:
	;; [unrolled: 3-line block ×3, first 2 shown]
	s_cmp_gt_i32 s14, 9
	s_cbranch_scc0 .LBB54_1848
; %bb.1844:
	s_wait_loadcnt 0x0
	global_load_b64 v[4:5], v[10:11], off
	s_mov_b32 s17, 0
	s_wait_loadcnt 0x0
	v_trunc_f64_e32 v[4:5], v[4:5]
	s_delay_alu instid0(VALU_DEP_1) | instskip(NEXT) | instid1(VALU_DEP_1)
	v_ldexp_f64 v[12:13], v[4:5], 0xffffffe0
	v_floor_f64_e32 v[12:13], v[12:13]
	s_delay_alu instid0(VALU_DEP_1) | instskip(SKIP_1) | instid1(VALU_DEP_2)
	v_fmamk_f64 v[14:15], v[12:13], 0xc1f00000, v[4:5]
	v_cvt_i32_f64_e32 v5, v[12:13]
	v_cvt_u32_f64_e32 v4, v[14:15]
	s_branch .LBB54_1849
.LBB54_1845:
	s_mov_b32 s17, -1
                                        ; implicit-def: $vgpr4_vgpr5
	s_branch .LBB54_1867
.LBB54_1846:
	s_mov_b32 s17, -1
                                        ; implicit-def: $vgpr4_vgpr5
	s_branch .LBB54_1855
.LBB54_1847:
	s_mov_b32 s17, -1
                                        ; implicit-def: $vgpr4_vgpr5
	s_branch .LBB54_1852
.LBB54_1848:
	s_mov_b32 s17, -1
                                        ; implicit-def: $vgpr4_vgpr5
.LBB54_1849:
	s_delay_alu instid0(SALU_CYCLE_1)
	s_and_not1_b32 vcc_lo, exec_lo, s17
	s_cbranch_vccnz .LBB54_1851
; %bb.1850:
	s_wait_loadcnt 0x0
	global_load_b32 v4, v[10:11], off
	s_wait_loadcnt 0x0
	v_trunc_f32_e32 v4, v4
	s_delay_alu instid0(VALU_DEP_1) | instskip(NEXT) | instid1(VALU_DEP_1)
	v_mul_f32_e64 v5, 0x2f800000, |v4|
	v_floor_f32_e32 v5, v5
	s_delay_alu instid0(VALU_DEP_1) | instskip(SKIP_2) | instid1(VALU_DEP_3)
	v_fma_f32 v7, 0xcf800000, v5, |v4|
	v_ashrrev_i32_e32 v4, 31, v4
	v_cvt_u32_f32_e32 v9, v5
	v_cvt_u32_f32_e32 v7, v7
	s_delay_alu instid0(VALU_DEP_2) | instskip(NEXT) | instid1(VALU_DEP_2)
	v_dual_mov_b32 v5, v4 :: v_dual_bitop2_b32 v13, v9, v4 bitop3:0x14
	v_xor_b32_e32 v12, v7, v4
	s_delay_alu instid0(VALU_DEP_1)
	v_sub_nc_u64_e32 v[4:5], v[12:13], v[4:5]
.LBB54_1851:
	s_mov_b32 s17, 0
.LBB54_1852:
	s_delay_alu instid0(SALU_CYCLE_1)
	s_and_not1_b32 vcc_lo, exec_lo, s17
	s_cbranch_vccnz .LBB54_1854
; %bb.1853:
	s_wait_loadcnt 0x0
	global_load_b32 v4, v[10:11], off
	s_wait_loadcnt 0x0
	v_cvt_f32_f16_e32 v4, v4
	s_delay_alu instid0(VALU_DEP_1) | instskip(NEXT) | instid1(VALU_DEP_1)
	v_cvt_i32_f32_e32 v4, v4
	v_ashrrev_i32_e32 v5, 31, v4
.LBB54_1854:
	s_mov_b32 s17, 0
.LBB54_1855:
	s_delay_alu instid0(SALU_CYCLE_1)
	s_and_not1_b32 vcc_lo, exec_lo, s17
	s_cbranch_vccnz .LBB54_1866
; %bb.1856:
	s_cmp_lt_i32 s14, 6
	s_cbranch_scc1 .LBB54_1859
; %bb.1857:
	s_cmp_gt_i32 s14, 6
	s_cbranch_scc0 .LBB54_1860
; %bb.1858:
	s_wait_loadcnt 0x0
	global_load_b64 v[4:5], v[10:11], off
	s_mov_b32 s17, 0
	s_wait_loadcnt 0x0
	v_trunc_f64_e32 v[4:5], v[4:5]
	s_delay_alu instid0(VALU_DEP_1) | instskip(NEXT) | instid1(VALU_DEP_1)
	v_ldexp_f64 v[12:13], v[4:5], 0xffffffe0
	v_floor_f64_e32 v[12:13], v[12:13]
	s_delay_alu instid0(VALU_DEP_1) | instskip(SKIP_1) | instid1(VALU_DEP_2)
	v_fmamk_f64 v[14:15], v[12:13], 0xc1f00000, v[4:5]
	v_cvt_i32_f64_e32 v5, v[12:13]
	v_cvt_u32_f64_e32 v4, v[14:15]
	s_branch .LBB54_1861
.LBB54_1859:
	s_mov_b32 s17, -1
                                        ; implicit-def: $vgpr4_vgpr5
	s_branch .LBB54_1864
.LBB54_1860:
	s_mov_b32 s17, -1
                                        ; implicit-def: $vgpr4_vgpr5
.LBB54_1861:
	s_delay_alu instid0(SALU_CYCLE_1)
	s_and_not1_b32 vcc_lo, exec_lo, s17
	s_cbranch_vccnz .LBB54_1863
; %bb.1862:
	s_wait_loadcnt 0x0
	global_load_b32 v4, v[10:11], off
	s_wait_loadcnt 0x0
	v_trunc_f32_e32 v4, v4
	s_delay_alu instid0(VALU_DEP_1) | instskip(NEXT) | instid1(VALU_DEP_1)
	v_mul_f32_e64 v5, 0x2f800000, |v4|
	v_floor_f32_e32 v5, v5
	s_delay_alu instid0(VALU_DEP_1) | instskip(SKIP_2) | instid1(VALU_DEP_3)
	v_fma_f32 v7, 0xcf800000, v5, |v4|
	v_ashrrev_i32_e32 v4, 31, v4
	v_cvt_u32_f32_e32 v9, v5
	v_cvt_u32_f32_e32 v7, v7
	s_delay_alu instid0(VALU_DEP_2) | instskip(NEXT) | instid1(VALU_DEP_2)
	v_dual_mov_b32 v5, v4 :: v_dual_bitop2_b32 v13, v9, v4 bitop3:0x14
	v_xor_b32_e32 v12, v7, v4
	s_delay_alu instid0(VALU_DEP_1)
	v_sub_nc_u64_e32 v[4:5], v[12:13], v[4:5]
.LBB54_1863:
	s_mov_b32 s17, 0
.LBB54_1864:
	s_delay_alu instid0(SALU_CYCLE_1)
	s_and_not1_b32 vcc_lo, exec_lo, s17
	s_cbranch_vccnz .LBB54_1866
; %bb.1865:
	s_wait_loadcnt 0x0
	global_load_u16 v4, v[10:11], off
	s_wait_loadcnt 0x0
	v_cvt_f32_f16_e32 v4, v4
	s_delay_alu instid0(VALU_DEP_1) | instskip(NEXT) | instid1(VALU_DEP_1)
	v_cvt_i32_f32_e32 v4, v4
	v_ashrrev_i32_e32 v5, 31, v4
.LBB54_1866:
	s_mov_b32 s17, 0
.LBB54_1867:
	s_delay_alu instid0(SALU_CYCLE_1)
	s_and_not1_b32 vcc_lo, exec_lo, s17
	s_cbranch_vccnz .LBB54_1887
; %bb.1868:
	s_cmp_lt_i32 s14, 2
	s_cbranch_scc1 .LBB54_1872
; %bb.1869:
	s_cmp_lt_i32 s14, 3
	s_cbranch_scc1 .LBB54_1873
; %bb.1870:
	s_cmp_gt_i32 s14, 3
	s_cbranch_scc0 .LBB54_1874
; %bb.1871:
	s_wait_loadcnt 0x0
	global_load_b64 v[4:5], v[10:11], off
	s_mov_b32 s17, 0
	s_branch .LBB54_1875
.LBB54_1872:
	s_mov_b32 s17, -1
                                        ; implicit-def: $vgpr4_vgpr5
	s_branch .LBB54_1881
.LBB54_1873:
	s_mov_b32 s17, -1
                                        ; implicit-def: $vgpr4_vgpr5
	s_branch .LBB54_1878
.LBB54_1874:
	s_mov_b32 s17, -1
                                        ; implicit-def: $vgpr4_vgpr5
.LBB54_1875:
	s_delay_alu instid0(SALU_CYCLE_1)
	s_and_not1_b32 vcc_lo, exec_lo, s17
	s_cbranch_vccnz .LBB54_1877
; %bb.1876:
	s_wait_loadcnt 0x0
	global_load_b32 v4, v[10:11], off
	s_wait_loadcnt 0x0
	v_ashrrev_i32_e32 v5, 31, v4
.LBB54_1877:
	s_mov_b32 s17, 0
.LBB54_1878:
	s_delay_alu instid0(SALU_CYCLE_1)
	s_and_not1_b32 vcc_lo, exec_lo, s17
	s_cbranch_vccnz .LBB54_1880
; %bb.1879:
	s_wait_loadcnt 0x0
	global_load_u16 v4, v[10:11], off
	s_wait_loadcnt 0x0
	v_bfe_i32 v4, v4, 0, 16
	s_delay_alu instid0(VALU_DEP_1)
	v_ashrrev_i32_e32 v5, 31, v4
.LBB54_1880:
	s_mov_b32 s17, 0
.LBB54_1881:
	s_delay_alu instid0(SALU_CYCLE_1)
	s_and_not1_b32 vcc_lo, exec_lo, s17
	s_cbranch_vccnz .LBB54_1887
; %bb.1882:
	s_cmp_gt_i32 s14, 0
	s_mov_b32 s14, 0
	s_cbranch_scc0 .LBB54_1884
; %bb.1883:
	s_wait_loadcnt 0x0
	global_load_i8 v4, v[10:11], off
	s_wait_loadcnt 0x0
	v_bfe_i32 v4, v4, 0, 16
	s_delay_alu instid0(VALU_DEP_1)
	v_ashrrev_i32_e32 v5, 31, v4
	s_branch .LBB54_1885
.LBB54_1884:
	s_mov_b32 s14, -1
                                        ; implicit-def: $vgpr4_vgpr5
.LBB54_1885:
	s_delay_alu instid0(SALU_CYCLE_1)
	s_and_not1_b32 vcc_lo, exec_lo, s14
	s_cbranch_vccnz .LBB54_1887
; %bb.1886:
	s_wait_loadcnt 0x0
	global_load_u8 v4, v[10:11], off
	s_mov_b32 s14, 0
	s_delay_alu instid0(SALU_CYCLE_1)
	v_mov_b32_e32 v5, s14
	s_wait_loadcnt 0x0
	v_and_b32_e32 v4, 0xffff, v4
.LBB54_1887:
.LBB54_1888:
	s_lshl_b32 s10, s10, 7
	s_cmp_lt_i32 s1, 11
	s_wait_xcnt 0x0
	v_add_nc_u32_e32 v10, s10, v6
	s_delay_alu instid0(VALU_DEP_1) | instskip(NEXT) | instid1(VALU_DEP_1)
	v_ashrrev_i32_e32 v11, 31, v10
	v_add_nc_u64_e32 v[12:13], s[2:3], v[10:11]
	s_cbranch_scc1 .LBB54_1895
; %bb.1889:
	s_and_b32 s14, 0xffff, s1
	s_mov_b32 s18, 0
	s_cmp_gt_i32 s14, 25
	s_cbranch_scc0 .LBB54_1896
; %bb.1890:
	s_cmp_gt_i32 s14, 28
	s_cbranch_scc0 .LBB54_1897
; %bb.1891:
	;; [unrolled: 3-line block ×4, first 2 shown]
	s_cmp_eq_u32 s14, 46
	s_mov_b32 s20, 0
	s_cbranch_scc0 .LBB54_1901
; %bb.1894:
	global_load_b32 v6, v[12:13], off
	s_mov_b32 s17, 0
	s_mov_b32 s19, -1
	s_wait_loadcnt 0x0
	v_lshlrev_b32_e32 v6, 16, v6
	s_delay_alu instid0(VALU_DEP_1) | instskip(NEXT) | instid1(VALU_DEP_1)
	v_trunc_f32_e32 v6, v6
	v_mul_f32_e64 v7, 0x2f800000, |v6|
	s_delay_alu instid0(VALU_DEP_1) | instskip(NEXT) | instid1(VALU_DEP_1)
	v_floor_f32_e32 v7, v7
	v_fma_f32 v9, 0xcf800000, v7, |v6|
	v_ashrrev_i32_e32 v6, 31, v6
	v_cvt_u32_f32_e32 v11, v7
	s_delay_alu instid0(VALU_DEP_3) | instskip(NEXT) | instid1(VALU_DEP_2)
	v_cvt_u32_f32_e32 v9, v9
	v_dual_mov_b32 v7, v6 :: v_dual_bitop2_b32 v15, v11, v6 bitop3:0x14
	s_delay_alu instid0(VALU_DEP_2) | instskip(NEXT) | instid1(VALU_DEP_1)
	v_xor_b32_e32 v14, v9, v6
	v_sub_nc_u64_e32 v[6:7], v[14:15], v[6:7]
	s_branch .LBB54_1903
.LBB54_1895:
	s_mov_b32 s14, -1
	s_mov_b32 s19, 0
                                        ; implicit-def: $vgpr6_vgpr7
	s_branch .LBB54_1965
.LBB54_1896:
	s_mov_b32 s20, -1
	s_mov_b32 s19, 0
	s_mov_b32 s17, 0
                                        ; implicit-def: $vgpr6_vgpr7
	s_branch .LBB54_1930
.LBB54_1897:
	s_mov_b32 s20, -1
	s_mov_b32 s19, 0
	s_mov_b32 s17, 0
                                        ; implicit-def: $vgpr6_vgpr7
	s_branch .LBB54_1913
.LBB54_1898:
	s_mov_b32 s20, -1
	s_mov_b32 s19, 0
	s_mov_b32 s17, 0
                                        ; implicit-def: $vgpr6_vgpr7
	s_branch .LBB54_1908
.LBB54_1899:
	s_or_b32 s13, s13, exec_lo
	s_trap 2
	s_cbranch_execz .LBB54_1838
	s_branch .LBB54_1839
.LBB54_1900:
	s_mov_b32 s20, -1
	s_mov_b32 s19, 0
	s_mov_b32 s17, 0
	s_branch .LBB54_1902
.LBB54_1901:
	s_mov_b32 s17, -1
	s_mov_b32 s19, 0
.LBB54_1902:
                                        ; implicit-def: $vgpr6_vgpr7
.LBB54_1903:
	s_and_b32 vcc_lo, exec_lo, s20
	s_cbranch_vccz .LBB54_1907
; %bb.1904:
	s_cmp_eq_u32 s14, 44
	s_cbranch_scc0 .LBB54_1906
; %bb.1905:
	global_load_u8 v9, v[12:13], off
	s_mov_b32 s17, 0
	s_mov_b32 s19, -1
	s_wait_loadcnt 0x0
	v_cmp_ne_u32_e32 vcc_lo, 0, v9
	v_lshlrev_b32_e32 v6, 23, v9
	s_delay_alu instid0(VALU_DEP_1) | instskip(NEXT) | instid1(VALU_DEP_1)
	v_trunc_f32_e32 v6, v6
	v_mul_f32_e64 v7, 0x2f800000, |v6|
	s_delay_alu instid0(VALU_DEP_1) | instskip(NEXT) | instid1(VALU_DEP_1)
	v_floor_f32_e32 v7, v7
	v_fma_f32 v11, 0xcf800000, v7, |v6|
	v_ashrrev_i32_e32 v6, 31, v6
	v_cvt_u32_f32_e32 v14, v7
	s_delay_alu instid0(VALU_DEP_3) | instskip(NEXT) | instid1(VALU_DEP_3)
	v_cvt_u32_f32_e32 v11, v11
	v_mov_b32_e32 v7, v6
	s_delay_alu instid0(VALU_DEP_3) | instskip(NEXT) | instid1(VALU_DEP_3)
	v_xor_b32_e32 v15, v14, v6
	v_xor_b32_e32 v14, v11, v6
	s_delay_alu instid0(VALU_DEP_1) | instskip(NEXT) | instid1(VALU_DEP_1)
	v_sub_nc_u64_e32 v[6:7], v[14:15], v[6:7]
	v_dual_cndmask_b32 v7, 0, v7 :: v_dual_cndmask_b32 v6, 0, v6
	s_branch .LBB54_1907
.LBB54_1906:
	s_mov_b32 s17, -1
                                        ; implicit-def: $vgpr6_vgpr7
.LBB54_1907:
	s_mov_b32 s20, 0
.LBB54_1908:
	s_delay_alu instid0(SALU_CYCLE_1)
	s_and_b32 vcc_lo, exec_lo, s20
	s_cbranch_vccz .LBB54_1912
; %bb.1909:
	s_cmp_eq_u32 s14, 29
	s_cbranch_scc0 .LBB54_1911
; %bb.1910:
	global_load_b64 v[6:7], v[12:13], off
	s_mov_b32 s17, 0
	s_mov_b32 s19, -1
	s_branch .LBB54_1912
.LBB54_1911:
	s_mov_b32 s17, -1
                                        ; implicit-def: $vgpr6_vgpr7
.LBB54_1912:
	s_mov_b32 s20, 0
.LBB54_1913:
	s_delay_alu instid0(SALU_CYCLE_1)
	s_and_b32 vcc_lo, exec_lo, s20
	s_cbranch_vccz .LBB54_1929
; %bb.1914:
	s_cmp_lt_i32 s14, 27
	s_cbranch_scc1 .LBB54_1917
; %bb.1915:
	s_cmp_gt_i32 s14, 27
	s_cbranch_scc0 .LBB54_1918
; %bb.1916:
	s_wait_loadcnt 0x0
	global_load_b32 v6, v[12:13], off
	v_mov_b32_e32 v7, 0
	s_mov_b32 s19, 0
	s_branch .LBB54_1919
.LBB54_1917:
	s_mov_b32 s19, -1
                                        ; implicit-def: $vgpr6_vgpr7
	s_branch .LBB54_1922
.LBB54_1918:
	s_mov_b32 s19, -1
                                        ; implicit-def: $vgpr6_vgpr7
.LBB54_1919:
	s_delay_alu instid0(SALU_CYCLE_1)
	s_and_not1_b32 vcc_lo, exec_lo, s19
	s_cbranch_vccnz .LBB54_1921
; %bb.1920:
	s_wait_loadcnt 0x0
	global_load_u16 v6, v[12:13], off
	s_mov_b32 s19, 0
	s_delay_alu instid0(SALU_CYCLE_1)
	v_mov_b32_e32 v7, s19
	s_wait_loadcnt 0x0
	v_and_b32_e32 v6, 0xffff, v6
.LBB54_1921:
	s_mov_b32 s19, 0
.LBB54_1922:
	s_delay_alu instid0(SALU_CYCLE_1)
	s_and_not1_b32 vcc_lo, exec_lo, s19
	s_cbranch_vccnz .LBB54_1928
; %bb.1923:
	global_load_u8 v9, v[12:13], off
	s_mov_b32 s20, 0
	s_mov_b32 s19, exec_lo
	s_wait_loadcnt 0x0
	v_cmpx_lt_i16_e32 0x7f, v9
	s_xor_b32 s19, exec_lo, s19
	s_cbranch_execz .LBB54_1940
; %bb.1924:
	v_cmp_ne_u16_e32 vcc_lo, 0x80, v9
	s_and_b32 s20, vcc_lo, exec_lo
	s_and_not1_saveexec_b32 s19, s19
	s_cbranch_execnz .LBB54_1941
.LBB54_1925:
	s_or_b32 exec_lo, exec_lo, s19
	v_mov_b64_e32 v[6:7], 0
	s_and_saveexec_b32 s19, s20
	s_cbranch_execz .LBB54_1927
.LBB54_1926:
	v_and_b32_e32 v6, 0xffff, v9
	s_delay_alu instid0(VALU_DEP_1) | instskip(SKIP_1) | instid1(VALU_DEP_2)
	v_and_b32_e32 v7, 7, v6
	v_bfe_u32 v15, v6, 3, 4
	v_clz_i32_u32_e32 v11, v7
	s_delay_alu instid0(VALU_DEP_2) | instskip(NEXT) | instid1(VALU_DEP_2)
	v_cmp_eq_u32_e32 vcc_lo, 0, v15
	v_min_u32_e32 v11, 32, v11
	s_delay_alu instid0(VALU_DEP_1) | instskip(NEXT) | instid1(VALU_DEP_1)
	v_subrev_nc_u32_e32 v14, 28, v11
	v_dual_lshlrev_b32 v6, v14, v6 :: v_dual_sub_nc_u32 v11, 29, v11
	s_delay_alu instid0(VALU_DEP_1) | instskip(NEXT) | instid1(VALU_DEP_2)
	v_dual_lshlrev_b32 v9, 24, v9 :: v_dual_bitop2_b32 v6, 7, v6 bitop3:0x40
	v_cndmask_b32_e32 v11, v15, v11, vcc_lo
	s_delay_alu instid0(VALU_DEP_2) | instskip(NEXT) | instid1(VALU_DEP_3)
	v_cndmask_b32_e32 v6, v7, v6, vcc_lo
	v_and_b32_e32 v7, 0x80000000, v9
	s_delay_alu instid0(VALU_DEP_3) | instskip(NEXT) | instid1(VALU_DEP_3)
	v_lshl_add_u32 v9, v11, 23, 0x3b800000
	v_lshlrev_b32_e32 v6, 20, v6
	s_delay_alu instid0(VALU_DEP_1) | instskip(NEXT) | instid1(VALU_DEP_1)
	v_or3_b32 v6, v7, v9, v6
	v_trunc_f32_e32 v6, v6
	s_delay_alu instid0(VALU_DEP_1) | instskip(NEXT) | instid1(VALU_DEP_1)
	v_mul_f32_e64 v7, 0x2f800000, |v6|
	v_floor_f32_e32 v7, v7
	s_delay_alu instid0(VALU_DEP_1) | instskip(SKIP_2) | instid1(VALU_DEP_3)
	v_fma_f32 v9, 0xcf800000, v7, |v6|
	v_ashrrev_i32_e32 v6, 31, v6
	v_cvt_u32_f32_e32 v11, v7
	v_cvt_u32_f32_e32 v9, v9
	s_delay_alu instid0(VALU_DEP_2) | instskip(NEXT) | instid1(VALU_DEP_2)
	v_dual_mov_b32 v7, v6 :: v_dual_bitop2_b32 v15, v11, v6 bitop3:0x14
	v_xor_b32_e32 v14, v9, v6
	s_delay_alu instid0(VALU_DEP_1)
	v_sub_nc_u64_e32 v[6:7], v[14:15], v[6:7]
.LBB54_1927:
	s_or_b32 exec_lo, exec_lo, s19
.LBB54_1928:
	s_mov_b32 s19, -1
.LBB54_1929:
	s_mov_b32 s20, 0
.LBB54_1930:
	s_delay_alu instid0(SALU_CYCLE_1)
	s_and_b32 vcc_lo, exec_lo, s20
	s_cbranch_vccz .LBB54_1961
; %bb.1931:
	s_cmp_gt_i32 s14, 22
	s_cbranch_scc0 .LBB54_1939
; %bb.1932:
	s_cmp_lt_i32 s14, 24
	s_cbranch_scc1 .LBB54_1942
; %bb.1933:
	s_cmp_gt_i32 s14, 24
	s_cbranch_scc0 .LBB54_1943
; %bb.1934:
	global_load_u8 v9, v[12:13], off
	s_mov_b32 s19, 0
	s_mov_b32 s18, exec_lo
	s_wait_loadcnt 0x0
	v_cmpx_lt_i16_e32 0x7f, v9
	s_xor_b32 s18, exec_lo, s18
	s_cbranch_execz .LBB54_1955
; %bb.1935:
	v_cmp_ne_u16_e32 vcc_lo, 0x80, v9
	s_and_b32 s19, vcc_lo, exec_lo
	s_and_not1_saveexec_b32 s18, s18
	s_cbranch_execnz .LBB54_1956
.LBB54_1936:
	s_or_b32 exec_lo, exec_lo, s18
	v_mov_b64_e32 v[6:7], 0
	s_and_saveexec_b32 s18, s19
	s_cbranch_execz .LBB54_1938
.LBB54_1937:
	v_and_b32_e32 v6, 0xffff, v9
	s_delay_alu instid0(VALU_DEP_1) | instskip(SKIP_1) | instid1(VALU_DEP_2)
	v_and_b32_e32 v7, 3, v6
	v_bfe_u32 v15, v6, 2, 5
	v_clz_i32_u32_e32 v11, v7
	s_delay_alu instid0(VALU_DEP_2) | instskip(NEXT) | instid1(VALU_DEP_2)
	v_cmp_eq_u32_e32 vcc_lo, 0, v15
	v_min_u32_e32 v11, 32, v11
	s_delay_alu instid0(VALU_DEP_1) | instskip(NEXT) | instid1(VALU_DEP_1)
	v_subrev_nc_u32_e32 v14, 29, v11
	v_dual_lshlrev_b32 v6, v14, v6 :: v_dual_sub_nc_u32 v11, 30, v11
	s_delay_alu instid0(VALU_DEP_1) | instskip(NEXT) | instid1(VALU_DEP_2)
	v_dual_lshlrev_b32 v9, 24, v9 :: v_dual_bitop2_b32 v6, 3, v6 bitop3:0x40
	v_cndmask_b32_e32 v11, v15, v11, vcc_lo
	s_delay_alu instid0(VALU_DEP_2) | instskip(NEXT) | instid1(VALU_DEP_3)
	v_cndmask_b32_e32 v6, v7, v6, vcc_lo
	v_and_b32_e32 v7, 0x80000000, v9
	s_delay_alu instid0(VALU_DEP_3) | instskip(NEXT) | instid1(VALU_DEP_3)
	v_lshl_add_u32 v9, v11, 23, 0x37800000
	v_lshlrev_b32_e32 v6, 21, v6
	s_delay_alu instid0(VALU_DEP_1) | instskip(NEXT) | instid1(VALU_DEP_1)
	v_or3_b32 v6, v7, v9, v6
	v_trunc_f32_e32 v6, v6
	s_delay_alu instid0(VALU_DEP_1) | instskip(NEXT) | instid1(VALU_DEP_1)
	v_mul_f32_e64 v7, 0x2f800000, |v6|
	v_floor_f32_e32 v7, v7
	s_delay_alu instid0(VALU_DEP_1) | instskip(SKIP_2) | instid1(VALU_DEP_3)
	v_fma_f32 v9, 0xcf800000, v7, |v6|
	v_ashrrev_i32_e32 v6, 31, v6
	v_cvt_u32_f32_e32 v11, v7
	v_cvt_u32_f32_e32 v9, v9
	s_delay_alu instid0(VALU_DEP_2) | instskip(NEXT) | instid1(VALU_DEP_2)
	v_dual_mov_b32 v7, v6 :: v_dual_bitop2_b32 v15, v11, v6 bitop3:0x14
	v_xor_b32_e32 v14, v9, v6
	s_delay_alu instid0(VALU_DEP_1)
	v_sub_nc_u64_e32 v[6:7], v[14:15], v[6:7]
.LBB54_1938:
	s_or_b32 exec_lo, exec_lo, s18
	s_mov_b32 s18, 0
	s_branch .LBB54_1944
.LBB54_1939:
	s_mov_b32 s18, -1
                                        ; implicit-def: $vgpr6_vgpr7
	s_branch .LBB54_1950
.LBB54_1940:
	s_and_not1_saveexec_b32 s19, s19
	s_cbranch_execz .LBB54_1925
.LBB54_1941:
	v_cmp_ne_u16_e32 vcc_lo, 0, v9
	s_and_not1_b32 s20, s20, exec_lo
	s_and_b32 s21, vcc_lo, exec_lo
	s_delay_alu instid0(SALU_CYCLE_1)
	s_or_b32 s20, s20, s21
	s_or_b32 exec_lo, exec_lo, s19
	v_mov_b64_e32 v[6:7], 0
	s_and_saveexec_b32 s19, s20
	s_cbranch_execnz .LBB54_1926
	s_branch .LBB54_1927
.LBB54_1942:
	s_mov_b32 s18, -1
                                        ; implicit-def: $vgpr6_vgpr7
	s_branch .LBB54_1947
.LBB54_1943:
	s_mov_b32 s18, -1
                                        ; implicit-def: $vgpr6_vgpr7
.LBB54_1944:
	s_delay_alu instid0(SALU_CYCLE_1)
	s_and_b32 vcc_lo, exec_lo, s18
	s_cbranch_vccz .LBB54_1946
; %bb.1945:
	s_wait_loadcnt 0x0
	global_load_u8 v6, v[12:13], off
	s_wait_loadcnt 0x0
	v_lshlrev_b32_e32 v6, 24, v6
	s_delay_alu instid0(VALU_DEP_1) | instskip(NEXT) | instid1(VALU_DEP_1)
	v_and_b32_e32 v7, 0x7f000000, v6
	v_clz_i32_u32_e32 v9, v7
	v_cmp_ne_u32_e32 vcc_lo, 0, v7
	v_add_nc_u32_e32 v14, 0x1000000, v7
	s_delay_alu instid0(VALU_DEP_3) | instskip(NEXT) | instid1(VALU_DEP_1)
	v_min_u32_e32 v9, 32, v9
	v_sub_nc_u32_e64 v9, v9, 4 clamp
	s_delay_alu instid0(VALU_DEP_1) | instskip(NEXT) | instid1(VALU_DEP_1)
	v_dual_lshlrev_b32 v11, v9, v7 :: v_dual_lshlrev_b32 v9, 23, v9
	v_lshrrev_b32_e32 v11, 4, v11
	s_delay_alu instid0(VALU_DEP_1) | instskip(NEXT) | instid1(VALU_DEP_1)
	v_dual_sub_nc_u32 v9, v11, v9 :: v_dual_ashrrev_i32 v11, 8, v14
	v_add_nc_u32_e32 v9, 0x3c000000, v9
	s_delay_alu instid0(VALU_DEP_1) | instskip(NEXT) | instid1(VALU_DEP_1)
	v_and_or_b32 v9, 0x7f800000, v11, v9
	v_cndmask_b32_e32 v7, 0, v9, vcc_lo
	s_delay_alu instid0(VALU_DEP_1) | instskip(NEXT) | instid1(VALU_DEP_1)
	v_and_or_b32 v6, 0x80000000, v6, v7
	v_trunc_f32_e32 v6, v6
	s_delay_alu instid0(VALU_DEP_1) | instskip(NEXT) | instid1(VALU_DEP_1)
	v_mul_f32_e64 v7, 0x2f800000, |v6|
	v_floor_f32_e32 v7, v7
	s_delay_alu instid0(VALU_DEP_1) | instskip(SKIP_2) | instid1(VALU_DEP_3)
	v_fma_f32 v9, 0xcf800000, v7, |v6|
	v_ashrrev_i32_e32 v6, 31, v6
	v_cvt_u32_f32_e32 v11, v7
	v_cvt_u32_f32_e32 v9, v9
	s_delay_alu instid0(VALU_DEP_2) | instskip(NEXT) | instid1(VALU_DEP_2)
	v_dual_mov_b32 v7, v6 :: v_dual_bitop2_b32 v15, v11, v6 bitop3:0x14
	v_xor_b32_e32 v14, v9, v6
	s_delay_alu instid0(VALU_DEP_1)
	v_sub_nc_u64_e32 v[6:7], v[14:15], v[6:7]
.LBB54_1946:
	s_mov_b32 s18, 0
.LBB54_1947:
	s_delay_alu instid0(SALU_CYCLE_1)
	s_and_not1_b32 vcc_lo, exec_lo, s18
	s_cbranch_vccnz .LBB54_1949
; %bb.1948:
	s_wait_loadcnt 0x0
	global_load_u8 v6, v[12:13], off
	s_wait_loadcnt 0x0
	v_lshlrev_b32_e32 v7, 25, v6
	v_lshlrev_b16 v6, 8, v6
	s_delay_alu instid0(VALU_DEP_1) | instskip(SKIP_1) | instid1(VALU_DEP_2)
	v_and_or_b32 v11, 0x7f00, v6, 0.5
	v_bfe_i32 v6, v6, 0, 16
	v_add_f32_e32 v11, -0.5, v11
	v_lshrrev_b32_e32 v9, 4, v7
	v_cmp_gt_u32_e32 vcc_lo, 0x8000000, v7
	s_delay_alu instid0(VALU_DEP_2) | instskip(NEXT) | instid1(VALU_DEP_1)
	v_or_b32_e32 v9, 0x70000000, v9
	v_mul_f32_e32 v9, 0x7800000, v9
	s_delay_alu instid0(VALU_DEP_1) | instskip(NEXT) | instid1(VALU_DEP_1)
	v_cndmask_b32_e32 v7, v9, v11, vcc_lo
	v_and_or_b32 v6, 0x80000000, v6, v7
	s_delay_alu instid0(VALU_DEP_1) | instskip(NEXT) | instid1(VALU_DEP_1)
	v_trunc_f32_e32 v6, v6
	v_mul_f32_e64 v7, 0x2f800000, |v6|
	s_delay_alu instid0(VALU_DEP_1) | instskip(NEXT) | instid1(VALU_DEP_1)
	v_floor_f32_e32 v7, v7
	v_fma_f32 v9, 0xcf800000, v7, |v6|
	v_ashrrev_i32_e32 v6, 31, v6
	v_cvt_u32_f32_e32 v11, v7
	s_delay_alu instid0(VALU_DEP_3) | instskip(NEXT) | instid1(VALU_DEP_2)
	v_cvt_u32_f32_e32 v9, v9
	v_dual_mov_b32 v7, v6 :: v_dual_bitop2_b32 v15, v11, v6 bitop3:0x14
	s_delay_alu instid0(VALU_DEP_2) | instskip(NEXT) | instid1(VALU_DEP_1)
	v_xor_b32_e32 v14, v9, v6
	v_sub_nc_u64_e32 v[6:7], v[14:15], v[6:7]
.LBB54_1949:
	s_mov_b32 s18, 0
	s_mov_b32 s19, -1
.LBB54_1950:
	s_and_not1_b32 vcc_lo, exec_lo, s18
	s_mov_b32 s18, 0
	s_cbranch_vccnz .LBB54_1961
; %bb.1951:
	s_cmp_gt_i32 s14, 14
	s_cbranch_scc0 .LBB54_1954
; %bb.1952:
	s_cmp_eq_u32 s14, 15
	s_cbranch_scc0 .LBB54_1957
; %bb.1953:
	s_wait_loadcnt 0x0
	global_load_u16 v6, v[12:13], off
	s_mov_b32 s17, 0
	s_mov_b32 s19, -1
	s_wait_loadcnt 0x0
	v_lshlrev_b32_e32 v6, 16, v6
	s_delay_alu instid0(VALU_DEP_1) | instskip(NEXT) | instid1(VALU_DEP_1)
	v_trunc_f32_e32 v6, v6
	v_mul_f32_e64 v7, 0x2f800000, |v6|
	s_delay_alu instid0(VALU_DEP_1) | instskip(NEXT) | instid1(VALU_DEP_1)
	v_floor_f32_e32 v7, v7
	v_fma_f32 v9, 0xcf800000, v7, |v6|
	v_ashrrev_i32_e32 v6, 31, v6
	v_cvt_u32_f32_e32 v11, v7
	s_delay_alu instid0(VALU_DEP_3) | instskip(NEXT) | instid1(VALU_DEP_2)
	v_cvt_u32_f32_e32 v9, v9
	v_dual_mov_b32 v7, v6 :: v_dual_bitop2_b32 v15, v11, v6 bitop3:0x14
	s_delay_alu instid0(VALU_DEP_2) | instskip(NEXT) | instid1(VALU_DEP_1)
	v_xor_b32_e32 v14, v9, v6
	v_sub_nc_u64_e32 v[6:7], v[14:15], v[6:7]
	s_branch .LBB54_1959
.LBB54_1954:
	s_mov_b32 s18, -1
	s_branch .LBB54_1958
.LBB54_1955:
	s_and_not1_saveexec_b32 s18, s18
	s_cbranch_execz .LBB54_1936
.LBB54_1956:
	v_cmp_ne_u16_e32 vcc_lo, 0, v9
	s_and_not1_b32 s19, s19, exec_lo
	s_and_b32 s20, vcc_lo, exec_lo
	s_delay_alu instid0(SALU_CYCLE_1)
	s_or_b32 s19, s19, s20
	s_or_b32 exec_lo, exec_lo, s18
	v_mov_b64_e32 v[6:7], 0
	s_and_saveexec_b32 s18, s19
	s_cbranch_execnz .LBB54_1937
	s_branch .LBB54_1938
.LBB54_1957:
	s_mov_b32 s17, -1
.LBB54_1958:
                                        ; implicit-def: $vgpr6_vgpr7
.LBB54_1959:
	s_and_b32 vcc_lo, exec_lo, s18
	s_mov_b32 s18, 0
	s_cbranch_vccz .LBB54_1961
; %bb.1960:
	s_cmp_lg_u32 s14, 11
	s_mov_b32 s18, -1
	s_cselect_b32 s17, -1, 0
.LBB54_1961:
	s_delay_alu instid0(SALU_CYCLE_1)
	s_and_b32 vcc_lo, exec_lo, s17
	s_cbranch_vccnz .LBB54_2026
; %bb.1962:
	s_and_not1_b32 vcc_lo, exec_lo, s18
	s_cbranch_vccnz .LBB54_1964
.LBB54_1963:
	s_wait_loadcnt 0x0
	global_load_u8 v6, v[12:13], off
	s_mov_b32 s14, 0
	s_mov_b32 s19, -1
	v_mov_b32_e32 v7, s14
	s_wait_loadcnt 0x0
	v_cmp_ne_u16_e32 vcc_lo, 0, v6
	v_cndmask_b32_e64 v6, 0, 1, vcc_lo
.LBB54_1964:
	s_mov_b32 s14, 0
.LBB54_1965:
	s_delay_alu instid0(SALU_CYCLE_1)
	s_and_b32 vcc_lo, exec_lo, s14
	s_cbranch_vccz .LBB54_2014
; %bb.1966:
	s_and_b32 s14, 0xffff, s1
	s_delay_alu instid0(SALU_CYCLE_1)
	s_cmp_lt_i32 s14, 5
	s_cbranch_scc1 .LBB54_1971
; %bb.1967:
	s_cmp_lt_i32 s14, 8
	s_cbranch_scc1 .LBB54_1972
; %bb.1968:
	s_cmp_lt_i32 s14, 9
	s_cbranch_scc1 .LBB54_1973
; %bb.1969:
	s_cmp_gt_i32 s14, 9
	s_cbranch_scc0 .LBB54_1974
; %bb.1970:
	s_wait_loadcnt 0x0
	global_load_b64 v[6:7], v[12:13], off
	s_mov_b32 s17, 0
	s_wait_loadcnt 0x0
	v_trunc_f64_e32 v[6:7], v[6:7]
	s_delay_alu instid0(VALU_DEP_1) | instskip(NEXT) | instid1(VALU_DEP_1)
	v_ldexp_f64 v[14:15], v[6:7], 0xffffffe0
	v_floor_f64_e32 v[14:15], v[14:15]
	s_delay_alu instid0(VALU_DEP_1) | instskip(SKIP_1) | instid1(VALU_DEP_2)
	v_fmamk_f64 v[16:17], v[14:15], 0xc1f00000, v[6:7]
	v_cvt_i32_f64_e32 v7, v[14:15]
	v_cvt_u32_f64_e32 v6, v[16:17]
	s_branch .LBB54_1975
.LBB54_1971:
	s_mov_b32 s17, -1
                                        ; implicit-def: $vgpr6_vgpr7
	s_branch .LBB54_1993
.LBB54_1972:
	s_mov_b32 s17, -1
                                        ; implicit-def: $vgpr6_vgpr7
	s_branch .LBB54_1981
.LBB54_1973:
	s_mov_b32 s17, -1
                                        ; implicit-def: $vgpr6_vgpr7
	s_branch .LBB54_1978
.LBB54_1974:
	s_mov_b32 s17, -1
                                        ; implicit-def: $vgpr6_vgpr7
.LBB54_1975:
	s_delay_alu instid0(SALU_CYCLE_1)
	s_and_not1_b32 vcc_lo, exec_lo, s17
	s_cbranch_vccnz .LBB54_1977
; %bb.1976:
	s_wait_loadcnt 0x0
	global_load_b32 v6, v[12:13], off
	s_wait_loadcnt 0x0
	v_trunc_f32_e32 v6, v6
	s_delay_alu instid0(VALU_DEP_1) | instskip(NEXT) | instid1(VALU_DEP_1)
	v_mul_f32_e64 v7, 0x2f800000, |v6|
	v_floor_f32_e32 v7, v7
	s_delay_alu instid0(VALU_DEP_1) | instskip(SKIP_2) | instid1(VALU_DEP_3)
	v_fma_f32 v9, 0xcf800000, v7, |v6|
	v_ashrrev_i32_e32 v6, 31, v6
	v_cvt_u32_f32_e32 v11, v7
	v_cvt_u32_f32_e32 v9, v9
	s_delay_alu instid0(VALU_DEP_2) | instskip(NEXT) | instid1(VALU_DEP_2)
	v_dual_mov_b32 v7, v6 :: v_dual_bitop2_b32 v15, v11, v6 bitop3:0x14
	v_xor_b32_e32 v14, v9, v6
	s_delay_alu instid0(VALU_DEP_1)
	v_sub_nc_u64_e32 v[6:7], v[14:15], v[6:7]
.LBB54_1977:
	s_mov_b32 s17, 0
.LBB54_1978:
	s_delay_alu instid0(SALU_CYCLE_1)
	s_and_not1_b32 vcc_lo, exec_lo, s17
	s_cbranch_vccnz .LBB54_1980
; %bb.1979:
	s_wait_loadcnt 0x0
	global_load_b32 v6, v[12:13], off
	s_wait_loadcnt 0x0
	v_cvt_f32_f16_e32 v6, v6
	s_delay_alu instid0(VALU_DEP_1) | instskip(NEXT) | instid1(VALU_DEP_1)
	v_cvt_i32_f32_e32 v6, v6
	v_ashrrev_i32_e32 v7, 31, v6
.LBB54_1980:
	s_mov_b32 s17, 0
.LBB54_1981:
	s_delay_alu instid0(SALU_CYCLE_1)
	s_and_not1_b32 vcc_lo, exec_lo, s17
	s_cbranch_vccnz .LBB54_1992
; %bb.1982:
	s_cmp_lt_i32 s14, 6
	s_cbranch_scc1 .LBB54_1985
; %bb.1983:
	s_cmp_gt_i32 s14, 6
	s_cbranch_scc0 .LBB54_1986
; %bb.1984:
	s_wait_loadcnt 0x0
	global_load_b64 v[6:7], v[12:13], off
	s_mov_b32 s17, 0
	s_wait_loadcnt 0x0
	v_trunc_f64_e32 v[6:7], v[6:7]
	s_delay_alu instid0(VALU_DEP_1) | instskip(NEXT) | instid1(VALU_DEP_1)
	v_ldexp_f64 v[14:15], v[6:7], 0xffffffe0
	v_floor_f64_e32 v[14:15], v[14:15]
	s_delay_alu instid0(VALU_DEP_1) | instskip(SKIP_1) | instid1(VALU_DEP_2)
	v_fmamk_f64 v[16:17], v[14:15], 0xc1f00000, v[6:7]
	v_cvt_i32_f64_e32 v7, v[14:15]
	v_cvt_u32_f64_e32 v6, v[16:17]
	s_branch .LBB54_1987
.LBB54_1985:
	s_mov_b32 s17, -1
                                        ; implicit-def: $vgpr6_vgpr7
	s_branch .LBB54_1990
.LBB54_1986:
	s_mov_b32 s17, -1
                                        ; implicit-def: $vgpr6_vgpr7
.LBB54_1987:
	s_delay_alu instid0(SALU_CYCLE_1)
	s_and_not1_b32 vcc_lo, exec_lo, s17
	s_cbranch_vccnz .LBB54_1989
; %bb.1988:
	s_wait_loadcnt 0x0
	global_load_b32 v6, v[12:13], off
	s_wait_loadcnt 0x0
	v_trunc_f32_e32 v6, v6
	s_delay_alu instid0(VALU_DEP_1) | instskip(NEXT) | instid1(VALU_DEP_1)
	v_mul_f32_e64 v7, 0x2f800000, |v6|
	v_floor_f32_e32 v7, v7
	s_delay_alu instid0(VALU_DEP_1) | instskip(SKIP_2) | instid1(VALU_DEP_3)
	v_fma_f32 v9, 0xcf800000, v7, |v6|
	v_ashrrev_i32_e32 v6, 31, v6
	v_cvt_u32_f32_e32 v11, v7
	v_cvt_u32_f32_e32 v9, v9
	s_delay_alu instid0(VALU_DEP_2) | instskip(NEXT) | instid1(VALU_DEP_2)
	v_dual_mov_b32 v7, v6 :: v_dual_bitop2_b32 v15, v11, v6 bitop3:0x14
	v_xor_b32_e32 v14, v9, v6
	s_delay_alu instid0(VALU_DEP_1)
	v_sub_nc_u64_e32 v[6:7], v[14:15], v[6:7]
.LBB54_1989:
	s_mov_b32 s17, 0
.LBB54_1990:
	s_delay_alu instid0(SALU_CYCLE_1)
	s_and_not1_b32 vcc_lo, exec_lo, s17
	s_cbranch_vccnz .LBB54_1992
; %bb.1991:
	s_wait_loadcnt 0x0
	global_load_u16 v6, v[12:13], off
	s_wait_loadcnt 0x0
	v_cvt_f32_f16_e32 v6, v6
	s_delay_alu instid0(VALU_DEP_1) | instskip(NEXT) | instid1(VALU_DEP_1)
	v_cvt_i32_f32_e32 v6, v6
	v_ashrrev_i32_e32 v7, 31, v6
.LBB54_1992:
	s_mov_b32 s17, 0
.LBB54_1993:
	s_delay_alu instid0(SALU_CYCLE_1)
	s_and_not1_b32 vcc_lo, exec_lo, s17
	s_cbranch_vccnz .LBB54_2013
; %bb.1994:
	s_cmp_lt_i32 s14, 2
	s_cbranch_scc1 .LBB54_1998
; %bb.1995:
	s_cmp_lt_i32 s14, 3
	s_cbranch_scc1 .LBB54_1999
; %bb.1996:
	s_cmp_gt_i32 s14, 3
	s_cbranch_scc0 .LBB54_2000
; %bb.1997:
	s_wait_loadcnt 0x0
	global_load_b64 v[6:7], v[12:13], off
	s_mov_b32 s17, 0
	s_branch .LBB54_2001
.LBB54_1998:
	s_mov_b32 s17, -1
                                        ; implicit-def: $vgpr6_vgpr7
	s_branch .LBB54_2007
.LBB54_1999:
	s_mov_b32 s17, -1
                                        ; implicit-def: $vgpr6_vgpr7
	s_branch .LBB54_2004
.LBB54_2000:
	s_mov_b32 s17, -1
                                        ; implicit-def: $vgpr6_vgpr7
.LBB54_2001:
	s_delay_alu instid0(SALU_CYCLE_1)
	s_and_not1_b32 vcc_lo, exec_lo, s17
	s_cbranch_vccnz .LBB54_2003
; %bb.2002:
	s_wait_loadcnt 0x0
	global_load_b32 v6, v[12:13], off
	s_wait_loadcnt 0x0
	v_ashrrev_i32_e32 v7, 31, v6
.LBB54_2003:
	s_mov_b32 s17, 0
.LBB54_2004:
	s_delay_alu instid0(SALU_CYCLE_1)
	s_and_not1_b32 vcc_lo, exec_lo, s17
	s_cbranch_vccnz .LBB54_2006
; %bb.2005:
	s_wait_loadcnt 0x0
	global_load_u16 v6, v[12:13], off
	s_wait_loadcnt 0x0
	v_bfe_i32 v6, v6, 0, 16
	s_delay_alu instid0(VALU_DEP_1)
	v_ashrrev_i32_e32 v7, 31, v6
.LBB54_2006:
	s_mov_b32 s17, 0
.LBB54_2007:
	s_delay_alu instid0(SALU_CYCLE_1)
	s_and_not1_b32 vcc_lo, exec_lo, s17
	s_cbranch_vccnz .LBB54_2013
; %bb.2008:
	s_cmp_gt_i32 s14, 0
	s_mov_b32 s14, 0
	s_cbranch_scc0 .LBB54_2010
; %bb.2009:
	s_wait_loadcnt 0x0
	global_load_i8 v6, v[12:13], off
	s_wait_loadcnt 0x0
	v_bfe_i32 v6, v6, 0, 16
	s_delay_alu instid0(VALU_DEP_1)
	v_ashrrev_i32_e32 v7, 31, v6
	s_branch .LBB54_2011
.LBB54_2010:
	s_mov_b32 s14, -1
                                        ; implicit-def: $vgpr6_vgpr7
.LBB54_2011:
	s_delay_alu instid0(SALU_CYCLE_1)
	s_and_not1_b32 vcc_lo, exec_lo, s14
	s_cbranch_vccnz .LBB54_2013
; %bb.2012:
	s_wait_loadcnt 0x0
	global_load_u8 v6, v[12:13], off
	s_mov_b32 s14, 0
	s_delay_alu instid0(SALU_CYCLE_1)
	v_mov_b32_e32 v7, s14
	s_wait_loadcnt 0x0
	v_and_b32_e32 v6, 0xffff, v6
.LBB54_2013:
	s_mov_b32 s19, -1
.LBB54_2014:
	s_delay_alu instid0(SALU_CYCLE_1)
	s_and_not1_b32 vcc_lo, exec_lo, s19
	s_cbranch_vccnz .LBB54_2957
; %bb.2015:
	s_wait_xcnt 0x0
	v_add_nc_u32_e32 v12, s9, v8
	s_cmp_lt_i32 s0, 11
	s_delay_alu instid0(VALU_DEP_1) | instskip(NEXT) | instid1(VALU_DEP_1)
	v_ashrrev_i32_e32 v13, 31, v12
	v_add_nc_u64_e32 v[14:15], s[6:7], v[12:13]
	s_cbranch_scc1 .LBB54_2022
; %bb.2016:
	s_and_b32 s14, 0xffff, s0
	s_mov_b32 s18, 0
	s_cmp_gt_i32 s14, 25
	s_cbranch_scc0 .LBB54_2023
; %bb.2017:
	s_cmp_gt_i32 s14, 28
	s_cbranch_scc0 .LBB54_2024
; %bb.2018:
	;; [unrolled: 3-line block ×4, first 2 shown]
	s_cmp_eq_u32 s14, 46
	s_mov_b32 s20, 0
	s_cbranch_scc0 .LBB54_2028
; %bb.2021:
	global_load_b32 v8, v[14:15], off
	s_mov_b32 s17, 0
	s_mov_b32 s19, -1
	s_wait_loadcnt 0x0
	v_lshlrev_b32_e32 v8, 16, v8
	s_delay_alu instid0(VALU_DEP_1) | instskip(NEXT) | instid1(VALU_DEP_1)
	v_trunc_f32_e32 v8, v8
	v_mul_f32_e64 v9, 0x2f800000, |v8|
	s_delay_alu instid0(VALU_DEP_1) | instskip(NEXT) | instid1(VALU_DEP_1)
	v_floor_f32_e32 v9, v9
	v_fma_f32 v11, 0xcf800000, v9, |v8|
	v_ashrrev_i32_e32 v8, 31, v8
	v_cvt_u32_f32_e32 v13, v9
	s_delay_alu instid0(VALU_DEP_3) | instskip(NEXT) | instid1(VALU_DEP_2)
	v_cvt_u32_f32_e32 v11, v11
	v_dual_mov_b32 v9, v8 :: v_dual_bitop2_b32 v17, v13, v8 bitop3:0x14
	s_delay_alu instid0(VALU_DEP_2) | instskip(NEXT) | instid1(VALU_DEP_1)
	v_xor_b32_e32 v16, v11, v8
	v_sub_nc_u64_e32 v[8:9], v[16:17], v[8:9]
	s_branch .LBB54_2030
.LBB54_2022:
	s_mov_b32 s14, -1
	s_mov_b32 s19, 0
                                        ; implicit-def: $vgpr8_vgpr9
	s_branch .LBB54_2092
.LBB54_2023:
	s_mov_b32 s20, -1
	s_mov_b32 s19, 0
	s_mov_b32 s17, 0
                                        ; implicit-def: $vgpr8_vgpr9
	s_branch .LBB54_2057
.LBB54_2024:
	s_mov_b32 s20, -1
	s_mov_b32 s19, 0
	s_mov_b32 s17, 0
                                        ; implicit-def: $vgpr8_vgpr9
	s_branch .LBB54_2040
.LBB54_2025:
	s_mov_b32 s20, -1
	s_mov_b32 s19, 0
	s_mov_b32 s17, 0
                                        ; implicit-def: $vgpr8_vgpr9
	s_branch .LBB54_2035
.LBB54_2026:
	s_or_b32 s13, s13, exec_lo
	s_trap 2
	s_cbranch_execz .LBB54_1963
	s_branch .LBB54_1964
.LBB54_2027:
	s_mov_b32 s20, -1
	s_mov_b32 s19, 0
	s_mov_b32 s17, 0
	s_branch .LBB54_2029
.LBB54_2028:
	s_mov_b32 s17, -1
	s_mov_b32 s19, 0
.LBB54_2029:
                                        ; implicit-def: $vgpr8_vgpr9
.LBB54_2030:
	s_and_b32 vcc_lo, exec_lo, s20
	s_cbranch_vccz .LBB54_2034
; %bb.2031:
	s_cmp_eq_u32 s14, 44
	s_cbranch_scc0 .LBB54_2033
; %bb.2032:
	global_load_u8 v11, v[14:15], off
	s_mov_b32 s17, 0
	s_mov_b32 s19, -1
	s_wait_loadcnt 0x0
	v_cmp_ne_u32_e32 vcc_lo, 0, v11
	v_lshlrev_b32_e32 v8, 23, v11
	s_delay_alu instid0(VALU_DEP_1) | instskip(NEXT) | instid1(VALU_DEP_1)
	v_trunc_f32_e32 v8, v8
	v_mul_f32_e64 v9, 0x2f800000, |v8|
	s_delay_alu instid0(VALU_DEP_1) | instskip(NEXT) | instid1(VALU_DEP_1)
	v_floor_f32_e32 v9, v9
	v_fma_f32 v13, 0xcf800000, v9, |v8|
	v_ashrrev_i32_e32 v8, 31, v8
	v_cvt_u32_f32_e32 v16, v9
	s_delay_alu instid0(VALU_DEP_3) | instskip(NEXT) | instid1(VALU_DEP_3)
	v_cvt_u32_f32_e32 v13, v13
	v_mov_b32_e32 v9, v8
	s_delay_alu instid0(VALU_DEP_3) | instskip(NEXT) | instid1(VALU_DEP_3)
	v_xor_b32_e32 v17, v16, v8
	v_xor_b32_e32 v16, v13, v8
	s_delay_alu instid0(VALU_DEP_1) | instskip(NEXT) | instid1(VALU_DEP_1)
	v_sub_nc_u64_e32 v[8:9], v[16:17], v[8:9]
	v_dual_cndmask_b32 v9, 0, v9 :: v_dual_cndmask_b32 v8, 0, v8
	s_branch .LBB54_2034
.LBB54_2033:
	s_mov_b32 s17, -1
                                        ; implicit-def: $vgpr8_vgpr9
.LBB54_2034:
	s_mov_b32 s20, 0
.LBB54_2035:
	s_delay_alu instid0(SALU_CYCLE_1)
	s_and_b32 vcc_lo, exec_lo, s20
	s_cbranch_vccz .LBB54_2039
; %bb.2036:
	s_cmp_eq_u32 s14, 29
	s_cbranch_scc0 .LBB54_2038
; %bb.2037:
	global_load_b64 v[8:9], v[14:15], off
	s_mov_b32 s17, 0
	s_mov_b32 s19, -1
	s_branch .LBB54_2039
.LBB54_2038:
	s_mov_b32 s17, -1
                                        ; implicit-def: $vgpr8_vgpr9
.LBB54_2039:
	s_mov_b32 s20, 0
.LBB54_2040:
	s_delay_alu instid0(SALU_CYCLE_1)
	s_and_b32 vcc_lo, exec_lo, s20
	s_cbranch_vccz .LBB54_2056
; %bb.2041:
	s_cmp_lt_i32 s14, 27
	s_cbranch_scc1 .LBB54_2044
; %bb.2042:
	s_cmp_gt_i32 s14, 27
	s_cbranch_scc0 .LBB54_2045
; %bb.2043:
	s_wait_loadcnt 0x0
	global_load_b32 v8, v[14:15], off
	v_mov_b32_e32 v9, 0
	s_mov_b32 s19, 0
	s_branch .LBB54_2046
.LBB54_2044:
	s_mov_b32 s19, -1
                                        ; implicit-def: $vgpr8_vgpr9
	s_branch .LBB54_2049
.LBB54_2045:
	s_mov_b32 s19, -1
                                        ; implicit-def: $vgpr8_vgpr9
.LBB54_2046:
	s_delay_alu instid0(SALU_CYCLE_1)
	s_and_not1_b32 vcc_lo, exec_lo, s19
	s_cbranch_vccnz .LBB54_2048
; %bb.2047:
	s_wait_loadcnt 0x0
	global_load_u16 v8, v[14:15], off
	s_mov_b32 s19, 0
	s_delay_alu instid0(SALU_CYCLE_1)
	v_mov_b32_e32 v9, s19
	s_wait_loadcnt 0x0
	v_and_b32_e32 v8, 0xffff, v8
.LBB54_2048:
	s_mov_b32 s19, 0
.LBB54_2049:
	s_delay_alu instid0(SALU_CYCLE_1)
	s_and_not1_b32 vcc_lo, exec_lo, s19
	s_cbranch_vccnz .LBB54_2055
; %bb.2050:
	global_load_u8 v11, v[14:15], off
	s_mov_b32 s20, 0
	s_mov_b32 s19, exec_lo
	s_wait_loadcnt 0x0
	v_cmpx_lt_i16_e32 0x7f, v11
	s_xor_b32 s19, exec_lo, s19
	s_cbranch_execz .LBB54_2067
; %bb.2051:
	v_cmp_ne_u16_e32 vcc_lo, 0x80, v11
	s_and_b32 s20, vcc_lo, exec_lo
	s_and_not1_saveexec_b32 s19, s19
	s_cbranch_execnz .LBB54_2068
.LBB54_2052:
	s_or_b32 exec_lo, exec_lo, s19
	v_mov_b64_e32 v[8:9], 0
	s_and_saveexec_b32 s19, s20
	s_cbranch_execz .LBB54_2054
.LBB54_2053:
	v_and_b32_e32 v8, 0xffff, v11
	s_delay_alu instid0(VALU_DEP_1) | instskip(SKIP_1) | instid1(VALU_DEP_2)
	v_and_b32_e32 v9, 7, v8
	v_bfe_u32 v17, v8, 3, 4
	v_clz_i32_u32_e32 v13, v9
	s_delay_alu instid0(VALU_DEP_2) | instskip(NEXT) | instid1(VALU_DEP_2)
	v_cmp_eq_u32_e32 vcc_lo, 0, v17
	v_min_u32_e32 v13, 32, v13
	s_delay_alu instid0(VALU_DEP_1) | instskip(NEXT) | instid1(VALU_DEP_1)
	v_subrev_nc_u32_e32 v16, 28, v13
	v_dual_lshlrev_b32 v8, v16, v8 :: v_dual_sub_nc_u32 v13, 29, v13
	s_delay_alu instid0(VALU_DEP_1) | instskip(NEXT) | instid1(VALU_DEP_2)
	v_dual_lshlrev_b32 v11, 24, v11 :: v_dual_bitop2_b32 v8, 7, v8 bitop3:0x40
	v_cndmask_b32_e32 v13, v17, v13, vcc_lo
	s_delay_alu instid0(VALU_DEP_2) | instskip(NEXT) | instid1(VALU_DEP_3)
	v_cndmask_b32_e32 v8, v9, v8, vcc_lo
	v_and_b32_e32 v9, 0x80000000, v11
	s_delay_alu instid0(VALU_DEP_3) | instskip(NEXT) | instid1(VALU_DEP_3)
	v_lshl_add_u32 v11, v13, 23, 0x3b800000
	v_lshlrev_b32_e32 v8, 20, v8
	s_delay_alu instid0(VALU_DEP_1) | instskip(NEXT) | instid1(VALU_DEP_1)
	v_or3_b32 v8, v9, v11, v8
	v_trunc_f32_e32 v8, v8
	s_delay_alu instid0(VALU_DEP_1) | instskip(NEXT) | instid1(VALU_DEP_1)
	v_mul_f32_e64 v9, 0x2f800000, |v8|
	v_floor_f32_e32 v9, v9
	s_delay_alu instid0(VALU_DEP_1) | instskip(SKIP_2) | instid1(VALU_DEP_3)
	v_fma_f32 v11, 0xcf800000, v9, |v8|
	v_ashrrev_i32_e32 v8, 31, v8
	v_cvt_u32_f32_e32 v13, v9
	v_cvt_u32_f32_e32 v11, v11
	s_delay_alu instid0(VALU_DEP_2) | instskip(NEXT) | instid1(VALU_DEP_2)
	v_dual_mov_b32 v9, v8 :: v_dual_bitop2_b32 v17, v13, v8 bitop3:0x14
	v_xor_b32_e32 v16, v11, v8
	s_delay_alu instid0(VALU_DEP_1)
	v_sub_nc_u64_e32 v[8:9], v[16:17], v[8:9]
.LBB54_2054:
	s_or_b32 exec_lo, exec_lo, s19
.LBB54_2055:
	s_mov_b32 s19, -1
.LBB54_2056:
	s_mov_b32 s20, 0
.LBB54_2057:
	s_delay_alu instid0(SALU_CYCLE_1)
	s_and_b32 vcc_lo, exec_lo, s20
	s_cbranch_vccz .LBB54_2088
; %bb.2058:
	s_cmp_gt_i32 s14, 22
	s_cbranch_scc0 .LBB54_2066
; %bb.2059:
	s_cmp_lt_i32 s14, 24
	s_cbranch_scc1 .LBB54_2069
; %bb.2060:
	s_cmp_gt_i32 s14, 24
	s_cbranch_scc0 .LBB54_2070
; %bb.2061:
	global_load_u8 v11, v[14:15], off
	s_mov_b32 s19, 0
	s_mov_b32 s18, exec_lo
	s_wait_loadcnt 0x0
	v_cmpx_lt_i16_e32 0x7f, v11
	s_xor_b32 s18, exec_lo, s18
	s_cbranch_execz .LBB54_2082
; %bb.2062:
	v_cmp_ne_u16_e32 vcc_lo, 0x80, v11
	s_and_b32 s19, vcc_lo, exec_lo
	s_and_not1_saveexec_b32 s18, s18
	s_cbranch_execnz .LBB54_2083
.LBB54_2063:
	s_or_b32 exec_lo, exec_lo, s18
	v_mov_b64_e32 v[8:9], 0
	s_and_saveexec_b32 s18, s19
	s_cbranch_execz .LBB54_2065
.LBB54_2064:
	v_and_b32_e32 v8, 0xffff, v11
	s_delay_alu instid0(VALU_DEP_1) | instskip(SKIP_1) | instid1(VALU_DEP_2)
	v_and_b32_e32 v9, 3, v8
	v_bfe_u32 v17, v8, 2, 5
	v_clz_i32_u32_e32 v13, v9
	s_delay_alu instid0(VALU_DEP_2) | instskip(NEXT) | instid1(VALU_DEP_2)
	v_cmp_eq_u32_e32 vcc_lo, 0, v17
	v_min_u32_e32 v13, 32, v13
	s_delay_alu instid0(VALU_DEP_1) | instskip(NEXT) | instid1(VALU_DEP_1)
	v_subrev_nc_u32_e32 v16, 29, v13
	v_dual_lshlrev_b32 v8, v16, v8 :: v_dual_sub_nc_u32 v13, 30, v13
	s_delay_alu instid0(VALU_DEP_1) | instskip(NEXT) | instid1(VALU_DEP_2)
	v_dual_lshlrev_b32 v11, 24, v11 :: v_dual_bitop2_b32 v8, 3, v8 bitop3:0x40
	v_cndmask_b32_e32 v13, v17, v13, vcc_lo
	s_delay_alu instid0(VALU_DEP_2) | instskip(NEXT) | instid1(VALU_DEP_3)
	v_cndmask_b32_e32 v8, v9, v8, vcc_lo
	v_and_b32_e32 v9, 0x80000000, v11
	s_delay_alu instid0(VALU_DEP_3) | instskip(NEXT) | instid1(VALU_DEP_3)
	v_lshl_add_u32 v11, v13, 23, 0x37800000
	v_lshlrev_b32_e32 v8, 21, v8
	s_delay_alu instid0(VALU_DEP_1) | instskip(NEXT) | instid1(VALU_DEP_1)
	v_or3_b32 v8, v9, v11, v8
	v_trunc_f32_e32 v8, v8
	s_delay_alu instid0(VALU_DEP_1) | instskip(NEXT) | instid1(VALU_DEP_1)
	v_mul_f32_e64 v9, 0x2f800000, |v8|
	v_floor_f32_e32 v9, v9
	s_delay_alu instid0(VALU_DEP_1) | instskip(SKIP_2) | instid1(VALU_DEP_3)
	v_fma_f32 v11, 0xcf800000, v9, |v8|
	v_ashrrev_i32_e32 v8, 31, v8
	v_cvt_u32_f32_e32 v13, v9
	v_cvt_u32_f32_e32 v11, v11
	s_delay_alu instid0(VALU_DEP_2) | instskip(NEXT) | instid1(VALU_DEP_2)
	v_dual_mov_b32 v9, v8 :: v_dual_bitop2_b32 v17, v13, v8 bitop3:0x14
	v_xor_b32_e32 v16, v11, v8
	s_delay_alu instid0(VALU_DEP_1)
	v_sub_nc_u64_e32 v[8:9], v[16:17], v[8:9]
.LBB54_2065:
	s_or_b32 exec_lo, exec_lo, s18
	s_mov_b32 s18, 0
	s_branch .LBB54_2071
.LBB54_2066:
	s_mov_b32 s18, -1
                                        ; implicit-def: $vgpr8_vgpr9
	s_branch .LBB54_2077
.LBB54_2067:
	s_and_not1_saveexec_b32 s19, s19
	s_cbranch_execz .LBB54_2052
.LBB54_2068:
	v_cmp_ne_u16_e32 vcc_lo, 0, v11
	s_and_not1_b32 s20, s20, exec_lo
	s_and_b32 s21, vcc_lo, exec_lo
	s_delay_alu instid0(SALU_CYCLE_1)
	s_or_b32 s20, s20, s21
	s_or_b32 exec_lo, exec_lo, s19
	v_mov_b64_e32 v[8:9], 0
	s_and_saveexec_b32 s19, s20
	s_cbranch_execnz .LBB54_2053
	s_branch .LBB54_2054
.LBB54_2069:
	s_mov_b32 s18, -1
                                        ; implicit-def: $vgpr8_vgpr9
	s_branch .LBB54_2074
.LBB54_2070:
	s_mov_b32 s18, -1
                                        ; implicit-def: $vgpr8_vgpr9
.LBB54_2071:
	s_delay_alu instid0(SALU_CYCLE_1)
	s_and_b32 vcc_lo, exec_lo, s18
	s_cbranch_vccz .LBB54_2073
; %bb.2072:
	s_wait_loadcnt 0x0
	global_load_u8 v8, v[14:15], off
	s_wait_loadcnt 0x0
	v_lshlrev_b32_e32 v8, 24, v8
	s_delay_alu instid0(VALU_DEP_1) | instskip(NEXT) | instid1(VALU_DEP_1)
	v_and_b32_e32 v9, 0x7f000000, v8
	v_clz_i32_u32_e32 v11, v9
	v_cmp_ne_u32_e32 vcc_lo, 0, v9
	v_add_nc_u32_e32 v16, 0x1000000, v9
	s_delay_alu instid0(VALU_DEP_3) | instskip(NEXT) | instid1(VALU_DEP_1)
	v_min_u32_e32 v11, 32, v11
	v_sub_nc_u32_e64 v11, v11, 4 clamp
	s_delay_alu instid0(VALU_DEP_1) | instskip(NEXT) | instid1(VALU_DEP_1)
	v_dual_lshlrev_b32 v13, v11, v9 :: v_dual_lshlrev_b32 v11, 23, v11
	v_lshrrev_b32_e32 v13, 4, v13
	s_delay_alu instid0(VALU_DEP_1) | instskip(NEXT) | instid1(VALU_DEP_1)
	v_dual_sub_nc_u32 v11, v13, v11 :: v_dual_ashrrev_i32 v13, 8, v16
	v_add_nc_u32_e32 v11, 0x3c000000, v11
	s_delay_alu instid0(VALU_DEP_1) | instskip(NEXT) | instid1(VALU_DEP_1)
	v_and_or_b32 v11, 0x7f800000, v13, v11
	v_cndmask_b32_e32 v9, 0, v11, vcc_lo
	s_delay_alu instid0(VALU_DEP_1) | instskip(NEXT) | instid1(VALU_DEP_1)
	v_and_or_b32 v8, 0x80000000, v8, v9
	v_trunc_f32_e32 v8, v8
	s_delay_alu instid0(VALU_DEP_1) | instskip(NEXT) | instid1(VALU_DEP_1)
	v_mul_f32_e64 v9, 0x2f800000, |v8|
	v_floor_f32_e32 v9, v9
	s_delay_alu instid0(VALU_DEP_1) | instskip(SKIP_2) | instid1(VALU_DEP_3)
	v_fma_f32 v11, 0xcf800000, v9, |v8|
	v_ashrrev_i32_e32 v8, 31, v8
	v_cvt_u32_f32_e32 v13, v9
	v_cvt_u32_f32_e32 v11, v11
	s_delay_alu instid0(VALU_DEP_2) | instskip(NEXT) | instid1(VALU_DEP_2)
	v_dual_mov_b32 v9, v8 :: v_dual_bitop2_b32 v17, v13, v8 bitop3:0x14
	v_xor_b32_e32 v16, v11, v8
	s_delay_alu instid0(VALU_DEP_1)
	v_sub_nc_u64_e32 v[8:9], v[16:17], v[8:9]
.LBB54_2073:
	s_mov_b32 s18, 0
.LBB54_2074:
	s_delay_alu instid0(SALU_CYCLE_1)
	s_and_not1_b32 vcc_lo, exec_lo, s18
	s_cbranch_vccnz .LBB54_2076
; %bb.2075:
	s_wait_loadcnt 0x0
	global_load_u8 v8, v[14:15], off
	s_wait_loadcnt 0x0
	v_lshlrev_b32_e32 v9, 25, v8
	v_lshlrev_b16 v8, 8, v8
	s_delay_alu instid0(VALU_DEP_1) | instskip(SKIP_1) | instid1(VALU_DEP_2)
	v_and_or_b32 v13, 0x7f00, v8, 0.5
	v_bfe_i32 v8, v8, 0, 16
	v_add_f32_e32 v13, -0.5, v13
	v_lshrrev_b32_e32 v11, 4, v9
	v_cmp_gt_u32_e32 vcc_lo, 0x8000000, v9
	s_delay_alu instid0(VALU_DEP_2) | instskip(NEXT) | instid1(VALU_DEP_1)
	v_or_b32_e32 v11, 0x70000000, v11
	v_mul_f32_e32 v11, 0x7800000, v11
	s_delay_alu instid0(VALU_DEP_1) | instskip(NEXT) | instid1(VALU_DEP_1)
	v_cndmask_b32_e32 v9, v11, v13, vcc_lo
	v_and_or_b32 v8, 0x80000000, v8, v9
	s_delay_alu instid0(VALU_DEP_1) | instskip(NEXT) | instid1(VALU_DEP_1)
	v_trunc_f32_e32 v8, v8
	v_mul_f32_e64 v9, 0x2f800000, |v8|
	s_delay_alu instid0(VALU_DEP_1) | instskip(NEXT) | instid1(VALU_DEP_1)
	v_floor_f32_e32 v9, v9
	v_fma_f32 v11, 0xcf800000, v9, |v8|
	v_ashrrev_i32_e32 v8, 31, v8
	v_cvt_u32_f32_e32 v13, v9
	s_delay_alu instid0(VALU_DEP_3) | instskip(NEXT) | instid1(VALU_DEP_2)
	v_cvt_u32_f32_e32 v11, v11
	v_dual_mov_b32 v9, v8 :: v_dual_bitop2_b32 v17, v13, v8 bitop3:0x14
	s_delay_alu instid0(VALU_DEP_2) | instskip(NEXT) | instid1(VALU_DEP_1)
	v_xor_b32_e32 v16, v11, v8
	v_sub_nc_u64_e32 v[8:9], v[16:17], v[8:9]
.LBB54_2076:
	s_mov_b32 s18, 0
	s_mov_b32 s19, -1
.LBB54_2077:
	s_and_not1_b32 vcc_lo, exec_lo, s18
	s_mov_b32 s18, 0
	s_cbranch_vccnz .LBB54_2088
; %bb.2078:
	s_cmp_gt_i32 s14, 14
	s_cbranch_scc0 .LBB54_2081
; %bb.2079:
	s_cmp_eq_u32 s14, 15
	s_cbranch_scc0 .LBB54_2084
; %bb.2080:
	s_wait_loadcnt 0x0
	global_load_u16 v8, v[14:15], off
	s_mov_b32 s17, 0
	s_mov_b32 s19, -1
	s_wait_loadcnt 0x0
	v_lshlrev_b32_e32 v8, 16, v8
	s_delay_alu instid0(VALU_DEP_1) | instskip(NEXT) | instid1(VALU_DEP_1)
	v_trunc_f32_e32 v8, v8
	v_mul_f32_e64 v9, 0x2f800000, |v8|
	s_delay_alu instid0(VALU_DEP_1) | instskip(NEXT) | instid1(VALU_DEP_1)
	v_floor_f32_e32 v9, v9
	v_fma_f32 v11, 0xcf800000, v9, |v8|
	v_ashrrev_i32_e32 v8, 31, v8
	v_cvt_u32_f32_e32 v13, v9
	s_delay_alu instid0(VALU_DEP_3) | instskip(NEXT) | instid1(VALU_DEP_2)
	v_cvt_u32_f32_e32 v11, v11
	v_dual_mov_b32 v9, v8 :: v_dual_bitop2_b32 v17, v13, v8 bitop3:0x14
	s_delay_alu instid0(VALU_DEP_2) | instskip(NEXT) | instid1(VALU_DEP_1)
	v_xor_b32_e32 v16, v11, v8
	v_sub_nc_u64_e32 v[8:9], v[16:17], v[8:9]
	s_branch .LBB54_2086
.LBB54_2081:
	s_mov_b32 s18, -1
	s_branch .LBB54_2085
.LBB54_2082:
	s_and_not1_saveexec_b32 s18, s18
	s_cbranch_execz .LBB54_2063
.LBB54_2083:
	v_cmp_ne_u16_e32 vcc_lo, 0, v11
	s_and_not1_b32 s19, s19, exec_lo
	s_and_b32 s20, vcc_lo, exec_lo
	s_delay_alu instid0(SALU_CYCLE_1)
	s_or_b32 s19, s19, s20
	s_or_b32 exec_lo, exec_lo, s18
	v_mov_b64_e32 v[8:9], 0
	s_and_saveexec_b32 s18, s19
	s_cbranch_execnz .LBB54_2064
	s_branch .LBB54_2065
.LBB54_2084:
	s_mov_b32 s17, -1
.LBB54_2085:
                                        ; implicit-def: $vgpr8_vgpr9
.LBB54_2086:
	s_and_b32 vcc_lo, exec_lo, s18
	s_mov_b32 s18, 0
	s_cbranch_vccz .LBB54_2088
; %bb.2087:
	s_cmp_lg_u32 s14, 11
	s_mov_b32 s18, -1
	s_cselect_b32 s17, -1, 0
.LBB54_2088:
	s_delay_alu instid0(SALU_CYCLE_1)
	s_and_b32 vcc_lo, exec_lo, s17
	s_cbranch_vccnz .LBB54_2153
; %bb.2089:
	s_and_not1_b32 vcc_lo, exec_lo, s18
	s_cbranch_vccnz .LBB54_2091
.LBB54_2090:
	s_wait_loadcnt 0x0
	global_load_u8 v8, v[14:15], off
	s_mov_b32 s14, 0
	s_mov_b32 s19, -1
	v_mov_b32_e32 v9, s14
	s_wait_loadcnt 0x0
	v_cmp_ne_u16_e32 vcc_lo, 0, v8
	v_cndmask_b32_e64 v8, 0, 1, vcc_lo
.LBB54_2091:
	s_mov_b32 s14, 0
.LBB54_2092:
	s_delay_alu instid0(SALU_CYCLE_1)
	s_and_b32 vcc_lo, exec_lo, s14
	s_cbranch_vccz .LBB54_2141
; %bb.2093:
	s_and_b32 s14, 0xffff, s0
	s_delay_alu instid0(SALU_CYCLE_1)
	s_cmp_lt_i32 s14, 5
	s_cbranch_scc1 .LBB54_2098
; %bb.2094:
	s_cmp_lt_i32 s14, 8
	s_cbranch_scc1 .LBB54_2099
; %bb.2095:
	;; [unrolled: 3-line block ×3, first 2 shown]
	s_cmp_gt_i32 s14, 9
	s_cbranch_scc0 .LBB54_2101
; %bb.2097:
	s_wait_loadcnt 0x0
	global_load_b64 v[8:9], v[14:15], off
	s_mov_b32 s17, 0
	s_wait_loadcnt 0x0
	v_trunc_f64_e32 v[8:9], v[8:9]
	s_delay_alu instid0(VALU_DEP_1) | instskip(NEXT) | instid1(VALU_DEP_1)
	v_ldexp_f64 v[16:17], v[8:9], 0xffffffe0
	v_floor_f64_e32 v[16:17], v[16:17]
	s_delay_alu instid0(VALU_DEP_1) | instskip(SKIP_1) | instid1(VALU_DEP_2)
	v_fmamk_f64 v[20:21], v[16:17], 0xc1f00000, v[8:9]
	v_cvt_i32_f64_e32 v9, v[16:17]
	v_cvt_u32_f64_e32 v8, v[20:21]
	s_branch .LBB54_2102
.LBB54_2098:
	s_mov_b32 s17, -1
                                        ; implicit-def: $vgpr8_vgpr9
	s_branch .LBB54_2120
.LBB54_2099:
	s_mov_b32 s17, -1
                                        ; implicit-def: $vgpr8_vgpr9
	s_branch .LBB54_2108
.LBB54_2100:
	s_mov_b32 s17, -1
                                        ; implicit-def: $vgpr8_vgpr9
	s_branch .LBB54_2105
.LBB54_2101:
	s_mov_b32 s17, -1
                                        ; implicit-def: $vgpr8_vgpr9
.LBB54_2102:
	s_delay_alu instid0(SALU_CYCLE_1)
	s_and_not1_b32 vcc_lo, exec_lo, s17
	s_cbranch_vccnz .LBB54_2104
; %bb.2103:
	s_wait_loadcnt 0x0
	global_load_b32 v8, v[14:15], off
	s_wait_loadcnt 0x0
	v_trunc_f32_e32 v8, v8
	s_delay_alu instid0(VALU_DEP_1) | instskip(NEXT) | instid1(VALU_DEP_1)
	v_mul_f32_e64 v9, 0x2f800000, |v8|
	v_floor_f32_e32 v9, v9
	s_delay_alu instid0(VALU_DEP_1) | instskip(SKIP_2) | instid1(VALU_DEP_3)
	v_fma_f32 v11, 0xcf800000, v9, |v8|
	v_ashrrev_i32_e32 v8, 31, v8
	v_cvt_u32_f32_e32 v13, v9
	v_cvt_u32_f32_e32 v11, v11
	s_delay_alu instid0(VALU_DEP_2) | instskip(NEXT) | instid1(VALU_DEP_2)
	v_dual_mov_b32 v9, v8 :: v_dual_bitop2_b32 v17, v13, v8 bitop3:0x14
	v_xor_b32_e32 v16, v11, v8
	s_delay_alu instid0(VALU_DEP_1)
	v_sub_nc_u64_e32 v[8:9], v[16:17], v[8:9]
.LBB54_2104:
	s_mov_b32 s17, 0
.LBB54_2105:
	s_delay_alu instid0(SALU_CYCLE_1)
	s_and_not1_b32 vcc_lo, exec_lo, s17
	s_cbranch_vccnz .LBB54_2107
; %bb.2106:
	s_wait_loadcnt 0x0
	global_load_b32 v8, v[14:15], off
	s_wait_loadcnt 0x0
	v_cvt_f32_f16_e32 v8, v8
	s_delay_alu instid0(VALU_DEP_1) | instskip(NEXT) | instid1(VALU_DEP_1)
	v_cvt_i32_f32_e32 v8, v8
	v_ashrrev_i32_e32 v9, 31, v8
.LBB54_2107:
	s_mov_b32 s17, 0
.LBB54_2108:
	s_delay_alu instid0(SALU_CYCLE_1)
	s_and_not1_b32 vcc_lo, exec_lo, s17
	s_cbranch_vccnz .LBB54_2119
; %bb.2109:
	s_cmp_lt_i32 s14, 6
	s_cbranch_scc1 .LBB54_2112
; %bb.2110:
	s_cmp_gt_i32 s14, 6
	s_cbranch_scc0 .LBB54_2113
; %bb.2111:
	s_wait_loadcnt 0x0
	global_load_b64 v[8:9], v[14:15], off
	s_mov_b32 s17, 0
	s_wait_loadcnt 0x0
	v_trunc_f64_e32 v[8:9], v[8:9]
	s_delay_alu instid0(VALU_DEP_1) | instskip(NEXT) | instid1(VALU_DEP_1)
	v_ldexp_f64 v[16:17], v[8:9], 0xffffffe0
	v_floor_f64_e32 v[16:17], v[16:17]
	s_delay_alu instid0(VALU_DEP_1) | instskip(SKIP_1) | instid1(VALU_DEP_2)
	v_fmamk_f64 v[20:21], v[16:17], 0xc1f00000, v[8:9]
	v_cvt_i32_f64_e32 v9, v[16:17]
	v_cvt_u32_f64_e32 v8, v[20:21]
	s_branch .LBB54_2114
.LBB54_2112:
	s_mov_b32 s17, -1
                                        ; implicit-def: $vgpr8_vgpr9
	s_branch .LBB54_2117
.LBB54_2113:
	s_mov_b32 s17, -1
                                        ; implicit-def: $vgpr8_vgpr9
.LBB54_2114:
	s_delay_alu instid0(SALU_CYCLE_1)
	s_and_not1_b32 vcc_lo, exec_lo, s17
	s_cbranch_vccnz .LBB54_2116
; %bb.2115:
	s_wait_loadcnt 0x0
	global_load_b32 v8, v[14:15], off
	s_wait_loadcnt 0x0
	v_trunc_f32_e32 v8, v8
	s_delay_alu instid0(VALU_DEP_1) | instskip(NEXT) | instid1(VALU_DEP_1)
	v_mul_f32_e64 v9, 0x2f800000, |v8|
	v_floor_f32_e32 v9, v9
	s_delay_alu instid0(VALU_DEP_1) | instskip(SKIP_2) | instid1(VALU_DEP_3)
	v_fma_f32 v11, 0xcf800000, v9, |v8|
	v_ashrrev_i32_e32 v8, 31, v8
	v_cvt_u32_f32_e32 v13, v9
	v_cvt_u32_f32_e32 v11, v11
	s_delay_alu instid0(VALU_DEP_2) | instskip(NEXT) | instid1(VALU_DEP_2)
	v_dual_mov_b32 v9, v8 :: v_dual_bitop2_b32 v17, v13, v8 bitop3:0x14
	v_xor_b32_e32 v16, v11, v8
	s_delay_alu instid0(VALU_DEP_1)
	v_sub_nc_u64_e32 v[8:9], v[16:17], v[8:9]
.LBB54_2116:
	s_mov_b32 s17, 0
.LBB54_2117:
	s_delay_alu instid0(SALU_CYCLE_1)
	s_and_not1_b32 vcc_lo, exec_lo, s17
	s_cbranch_vccnz .LBB54_2119
; %bb.2118:
	s_wait_loadcnt 0x0
	global_load_u16 v8, v[14:15], off
	s_wait_loadcnt 0x0
	v_cvt_f32_f16_e32 v8, v8
	s_delay_alu instid0(VALU_DEP_1) | instskip(NEXT) | instid1(VALU_DEP_1)
	v_cvt_i32_f32_e32 v8, v8
	v_ashrrev_i32_e32 v9, 31, v8
.LBB54_2119:
	s_mov_b32 s17, 0
.LBB54_2120:
	s_delay_alu instid0(SALU_CYCLE_1)
	s_and_not1_b32 vcc_lo, exec_lo, s17
	s_cbranch_vccnz .LBB54_2140
; %bb.2121:
	s_cmp_lt_i32 s14, 2
	s_cbranch_scc1 .LBB54_2125
; %bb.2122:
	s_cmp_lt_i32 s14, 3
	s_cbranch_scc1 .LBB54_2126
; %bb.2123:
	s_cmp_gt_i32 s14, 3
	s_cbranch_scc0 .LBB54_2127
; %bb.2124:
	s_wait_loadcnt 0x0
	global_load_b64 v[8:9], v[14:15], off
	s_mov_b32 s17, 0
	s_branch .LBB54_2128
.LBB54_2125:
	s_mov_b32 s17, -1
                                        ; implicit-def: $vgpr8_vgpr9
	s_branch .LBB54_2134
.LBB54_2126:
	s_mov_b32 s17, -1
                                        ; implicit-def: $vgpr8_vgpr9
	s_branch .LBB54_2131
.LBB54_2127:
	s_mov_b32 s17, -1
                                        ; implicit-def: $vgpr8_vgpr9
.LBB54_2128:
	s_delay_alu instid0(SALU_CYCLE_1)
	s_and_not1_b32 vcc_lo, exec_lo, s17
	s_cbranch_vccnz .LBB54_2130
; %bb.2129:
	s_wait_loadcnt 0x0
	global_load_b32 v8, v[14:15], off
	s_wait_loadcnt 0x0
	v_ashrrev_i32_e32 v9, 31, v8
.LBB54_2130:
	s_mov_b32 s17, 0
.LBB54_2131:
	s_delay_alu instid0(SALU_CYCLE_1)
	s_and_not1_b32 vcc_lo, exec_lo, s17
	s_cbranch_vccnz .LBB54_2133
; %bb.2132:
	s_wait_loadcnt 0x0
	global_load_u16 v8, v[14:15], off
	s_wait_loadcnt 0x0
	v_bfe_i32 v8, v8, 0, 16
	s_delay_alu instid0(VALU_DEP_1)
	v_ashrrev_i32_e32 v9, 31, v8
.LBB54_2133:
	s_mov_b32 s17, 0
.LBB54_2134:
	s_delay_alu instid0(SALU_CYCLE_1)
	s_and_not1_b32 vcc_lo, exec_lo, s17
	s_cbranch_vccnz .LBB54_2140
; %bb.2135:
	s_cmp_gt_i32 s14, 0
	s_mov_b32 s14, 0
	s_cbranch_scc0 .LBB54_2137
; %bb.2136:
	s_wait_loadcnt 0x0
	global_load_i8 v8, v[14:15], off
	s_wait_loadcnt 0x0
	v_bfe_i32 v8, v8, 0, 16
	s_delay_alu instid0(VALU_DEP_1)
	v_ashrrev_i32_e32 v9, 31, v8
	s_branch .LBB54_2138
.LBB54_2137:
	s_mov_b32 s14, -1
                                        ; implicit-def: $vgpr8_vgpr9
.LBB54_2138:
	s_delay_alu instid0(SALU_CYCLE_1)
	s_and_not1_b32 vcc_lo, exec_lo, s14
	s_cbranch_vccnz .LBB54_2140
; %bb.2139:
	s_wait_loadcnt 0x0
	global_load_u8 v8, v[14:15], off
	s_mov_b32 s14, 0
	s_delay_alu instid0(SALU_CYCLE_1)
	v_mov_b32_e32 v9, s14
	s_wait_loadcnt 0x0
	v_and_b32_e32 v8, 0xffff, v8
.LBB54_2140:
	s_mov_b32 s19, -1
.LBB54_2141:
	s_delay_alu instid0(SALU_CYCLE_1)
	s_and_not1_b32 vcc_lo, exec_lo, s19
	s_cbranch_vccnz .LBB54_2957
; %bb.2142:
	s_wait_xcnt 0x0
	v_add_nc_u32_e32 v14, s10, v10
	s_cmp_lt_i32 s1, 11
	s_delay_alu instid0(VALU_DEP_1) | instskip(NEXT) | instid1(VALU_DEP_1)
	v_ashrrev_i32_e32 v15, 31, v14
	v_add_nc_u64_e32 v[16:17], s[2:3], v[14:15]
	s_cbranch_scc1 .LBB54_2149
; %bb.2143:
	s_and_b32 s14, 0xffff, s1
	s_mov_b32 s18, 0
	s_cmp_gt_i32 s14, 25
	s_cbranch_scc0 .LBB54_2150
; %bb.2144:
	s_cmp_gt_i32 s14, 28
	s_cbranch_scc0 .LBB54_2151
; %bb.2145:
	;; [unrolled: 3-line block ×4, first 2 shown]
	s_cmp_eq_u32 s14, 46
	s_mov_b32 s20, 0
	s_cbranch_scc0 .LBB54_2157
; %bb.2148:
	global_load_b32 v10, v[16:17], off
	s_mov_b32 s17, 0
	s_mov_b32 s19, -1
	s_wait_loadcnt 0x0
	v_lshlrev_b32_e32 v10, 16, v10
	s_delay_alu instid0(VALU_DEP_1) | instskip(NEXT) | instid1(VALU_DEP_1)
	v_trunc_f32_e32 v10, v10
	v_mul_f32_e64 v11, 0x2f800000, |v10|
	s_delay_alu instid0(VALU_DEP_1) | instskip(NEXT) | instid1(VALU_DEP_1)
	v_floor_f32_e32 v11, v11
	v_fma_f32 v13, 0xcf800000, v11, |v10|
	v_ashrrev_i32_e32 v10, 31, v10
	v_cvt_u32_f32_e32 v15, v11
	s_delay_alu instid0(VALU_DEP_3) | instskip(NEXT) | instid1(VALU_DEP_2)
	v_cvt_u32_f32_e32 v13, v13
	v_dual_mov_b32 v11, v10 :: v_dual_bitop2_b32 v21, v15, v10 bitop3:0x14
	s_delay_alu instid0(VALU_DEP_2) | instskip(NEXT) | instid1(VALU_DEP_1)
	v_xor_b32_e32 v20, v13, v10
	v_sub_nc_u64_e32 v[10:11], v[20:21], v[10:11]
	s_branch .LBB54_2159
.LBB54_2149:
	s_mov_b32 s14, -1
	s_mov_b32 s19, 0
                                        ; implicit-def: $vgpr10_vgpr11
	s_branch .LBB54_2221
.LBB54_2150:
	s_mov_b32 s20, -1
	s_mov_b32 s19, 0
	s_mov_b32 s17, 0
                                        ; implicit-def: $vgpr10_vgpr11
	s_branch .LBB54_2186
.LBB54_2151:
	s_mov_b32 s20, -1
	s_mov_b32 s19, 0
	s_mov_b32 s17, 0
                                        ; implicit-def: $vgpr10_vgpr11
	s_branch .LBB54_2169
.LBB54_2152:
	s_mov_b32 s20, -1
	s_mov_b32 s19, 0
	s_mov_b32 s17, 0
                                        ; implicit-def: $vgpr10_vgpr11
	s_branch .LBB54_2164
.LBB54_2153:
	s_or_b32 s13, s13, exec_lo
	s_trap 2
	s_cbranch_execz .LBB54_2090
	s_branch .LBB54_2091
.LBB54_2154:
	s_mov_b32 s20, -1
	s_mov_b32 s19, 0
	s_mov_b32 s17, 0
	s_branch .LBB54_2158
.LBB54_2155:
	s_and_not1_saveexec_b32 s35, s35
	s_cbranch_execz .LBB54_1063
.LBB54_2156:
	v_add_f32_e32 v2, 0x42800000, v3
	s_and_not1_b32 s34, s34, exec_lo
	s_delay_alu instid0(VALU_DEP_1) | instskip(NEXT) | instid1(VALU_DEP_1)
	v_and_b32_e32 v2, 0xff, v2
	v_cmp_ne_u32_e32 vcc_lo, 0, v2
	s_and_b32 s36, vcc_lo, exec_lo
	s_delay_alu instid0(SALU_CYCLE_1)
	s_or_b32 s34, s34, s36
	s_or_b32 exec_lo, exec_lo, s35
	v_mov_b32_e32 v4, 0
	s_and_saveexec_b32 s35, s34
	s_cbranch_execnz .LBB54_1064
	s_branch .LBB54_1065
.LBB54_2157:
	s_mov_b32 s17, -1
	s_mov_b32 s19, 0
.LBB54_2158:
                                        ; implicit-def: $vgpr10_vgpr11
.LBB54_2159:
	s_and_b32 vcc_lo, exec_lo, s20
	s_cbranch_vccz .LBB54_2163
; %bb.2160:
	s_cmp_eq_u32 s14, 44
	s_cbranch_scc0 .LBB54_2162
; %bb.2161:
	global_load_u8 v13, v[16:17], off
	s_mov_b32 s17, 0
	s_mov_b32 s19, -1
	s_wait_loadcnt 0x0
	v_cmp_ne_u32_e32 vcc_lo, 0, v13
	v_lshlrev_b32_e32 v10, 23, v13
	s_delay_alu instid0(VALU_DEP_1) | instskip(NEXT) | instid1(VALU_DEP_1)
	v_trunc_f32_e32 v10, v10
	v_mul_f32_e64 v11, 0x2f800000, |v10|
	s_delay_alu instid0(VALU_DEP_1) | instskip(NEXT) | instid1(VALU_DEP_1)
	v_floor_f32_e32 v11, v11
	v_fma_f32 v15, 0xcf800000, v11, |v10|
	v_ashrrev_i32_e32 v10, 31, v10
	v_cvt_u32_f32_e32 v19, v11
	s_delay_alu instid0(VALU_DEP_3) | instskip(NEXT) | instid1(VALU_DEP_2)
	v_cvt_u32_f32_e32 v15, v15
	v_dual_mov_b32 v11, v10 :: v_dual_bitop2_b32 v21, v19, v10 bitop3:0x14
	s_delay_alu instid0(VALU_DEP_2) | instskip(NEXT) | instid1(VALU_DEP_1)
	v_xor_b32_e32 v20, v15, v10
	v_sub_nc_u64_e32 v[10:11], v[20:21], v[10:11]
	s_delay_alu instid0(VALU_DEP_1)
	v_dual_cndmask_b32 v11, 0, v11 :: v_dual_cndmask_b32 v10, 0, v10
	s_branch .LBB54_2163
.LBB54_2162:
	s_mov_b32 s17, -1
                                        ; implicit-def: $vgpr10_vgpr11
.LBB54_2163:
	s_mov_b32 s20, 0
.LBB54_2164:
	s_delay_alu instid0(SALU_CYCLE_1)
	s_and_b32 vcc_lo, exec_lo, s20
	s_cbranch_vccz .LBB54_2168
; %bb.2165:
	s_cmp_eq_u32 s14, 29
	s_cbranch_scc0 .LBB54_2167
; %bb.2166:
	global_load_b64 v[10:11], v[16:17], off
	s_mov_b32 s17, 0
	s_mov_b32 s19, -1
	s_branch .LBB54_2168
.LBB54_2167:
	s_mov_b32 s17, -1
                                        ; implicit-def: $vgpr10_vgpr11
.LBB54_2168:
	s_mov_b32 s20, 0
.LBB54_2169:
	s_delay_alu instid0(SALU_CYCLE_1)
	s_and_b32 vcc_lo, exec_lo, s20
	s_cbranch_vccz .LBB54_2185
; %bb.2170:
	s_cmp_lt_i32 s14, 27
	s_cbranch_scc1 .LBB54_2173
; %bb.2171:
	s_cmp_gt_i32 s14, 27
	s_cbranch_scc0 .LBB54_2174
; %bb.2172:
	s_wait_loadcnt 0x0
	global_load_b32 v10, v[16:17], off
	v_mov_b32_e32 v11, 0
	s_mov_b32 s19, 0
	s_branch .LBB54_2175
.LBB54_2173:
	s_mov_b32 s19, -1
                                        ; implicit-def: $vgpr10_vgpr11
	s_branch .LBB54_2178
.LBB54_2174:
	s_mov_b32 s19, -1
                                        ; implicit-def: $vgpr10_vgpr11
.LBB54_2175:
	s_delay_alu instid0(SALU_CYCLE_1)
	s_and_not1_b32 vcc_lo, exec_lo, s19
	s_cbranch_vccnz .LBB54_2177
; %bb.2176:
	s_wait_loadcnt 0x0
	global_load_u16 v10, v[16:17], off
	s_mov_b32 s19, 0
	s_delay_alu instid0(SALU_CYCLE_1)
	v_mov_b32_e32 v11, s19
	s_wait_loadcnt 0x0
	v_and_b32_e32 v10, 0xffff, v10
.LBB54_2177:
	s_mov_b32 s19, 0
.LBB54_2178:
	s_delay_alu instid0(SALU_CYCLE_1)
	s_and_not1_b32 vcc_lo, exec_lo, s19
	s_cbranch_vccnz .LBB54_2184
; %bb.2179:
	global_load_u8 v13, v[16:17], off
	s_mov_b32 s20, 0
	s_mov_b32 s19, exec_lo
	s_wait_loadcnt 0x0
	v_cmpx_lt_i16_e32 0x7f, v13
	s_xor_b32 s19, exec_lo, s19
	s_cbranch_execz .LBB54_2196
; %bb.2180:
	v_cmp_ne_u16_e32 vcc_lo, 0x80, v13
	s_and_b32 s20, vcc_lo, exec_lo
	s_and_not1_saveexec_b32 s19, s19
	s_cbranch_execnz .LBB54_2197
.LBB54_2181:
	s_or_b32 exec_lo, exec_lo, s19
	v_mov_b64_e32 v[10:11], 0
	s_and_saveexec_b32 s19, s20
	s_cbranch_execz .LBB54_2183
.LBB54_2182:
	v_and_b32_e32 v10, 0xffff, v13
	s_delay_alu instid0(VALU_DEP_1) | instskip(SKIP_1) | instid1(VALU_DEP_2)
	v_and_b32_e32 v11, 7, v10
	v_bfe_u32 v20, v10, 3, 4
	v_clz_i32_u32_e32 v15, v11
	s_delay_alu instid0(VALU_DEP_2) | instskip(NEXT) | instid1(VALU_DEP_2)
	v_cmp_eq_u32_e32 vcc_lo, 0, v20
	v_min_u32_e32 v15, 32, v15
	s_delay_alu instid0(VALU_DEP_1) | instskip(NEXT) | instid1(VALU_DEP_1)
	v_subrev_nc_u32_e32 v19, 28, v15
	v_dual_lshlrev_b32 v10, v19, v10 :: v_dual_sub_nc_u32 v15, 29, v15
	s_delay_alu instid0(VALU_DEP_1) | instskip(NEXT) | instid1(VALU_DEP_1)
	v_dual_lshlrev_b32 v13, 24, v13 :: v_dual_bitop2_b32 v10, 7, v10 bitop3:0x40
	v_dual_cndmask_b32 v15, v20, v15 :: v_dual_cndmask_b32 v10, v11, v10
	s_delay_alu instid0(VALU_DEP_2) | instskip(NEXT) | instid1(VALU_DEP_2)
	v_and_b32_e32 v11, 0x80000000, v13
	v_lshl_add_u32 v13, v15, 23, 0x3b800000
	s_delay_alu instid0(VALU_DEP_3) | instskip(NEXT) | instid1(VALU_DEP_1)
	v_lshlrev_b32_e32 v10, 20, v10
	v_or3_b32 v10, v11, v13, v10
	s_delay_alu instid0(VALU_DEP_1) | instskip(NEXT) | instid1(VALU_DEP_1)
	v_trunc_f32_e32 v10, v10
	v_mul_f32_e64 v11, 0x2f800000, |v10|
	s_delay_alu instid0(VALU_DEP_1) | instskip(NEXT) | instid1(VALU_DEP_1)
	v_floor_f32_e32 v11, v11
	v_fma_f32 v13, 0xcf800000, v11, |v10|
	v_ashrrev_i32_e32 v10, 31, v10
	v_cvt_u32_f32_e32 v15, v11
	s_delay_alu instid0(VALU_DEP_3) | instskip(NEXT) | instid1(VALU_DEP_2)
	v_cvt_u32_f32_e32 v13, v13
	v_dual_mov_b32 v11, v10 :: v_dual_bitop2_b32 v21, v15, v10 bitop3:0x14
	s_delay_alu instid0(VALU_DEP_2) | instskip(NEXT) | instid1(VALU_DEP_1)
	v_xor_b32_e32 v20, v13, v10
	v_sub_nc_u64_e32 v[10:11], v[20:21], v[10:11]
.LBB54_2183:
	s_or_b32 exec_lo, exec_lo, s19
.LBB54_2184:
	s_mov_b32 s19, -1
.LBB54_2185:
	s_mov_b32 s20, 0
.LBB54_2186:
	s_delay_alu instid0(SALU_CYCLE_1)
	s_and_b32 vcc_lo, exec_lo, s20
	s_cbranch_vccz .LBB54_2217
; %bb.2187:
	s_cmp_gt_i32 s14, 22
	s_cbranch_scc0 .LBB54_2195
; %bb.2188:
	s_cmp_lt_i32 s14, 24
	s_cbranch_scc1 .LBB54_2198
; %bb.2189:
	s_cmp_gt_i32 s14, 24
	s_cbranch_scc0 .LBB54_2199
; %bb.2190:
	global_load_u8 v13, v[16:17], off
	s_mov_b32 s19, 0
	s_mov_b32 s18, exec_lo
	s_wait_loadcnt 0x0
	v_cmpx_lt_i16_e32 0x7f, v13
	s_xor_b32 s18, exec_lo, s18
	s_cbranch_execz .LBB54_2211
; %bb.2191:
	v_cmp_ne_u16_e32 vcc_lo, 0x80, v13
	s_and_b32 s19, vcc_lo, exec_lo
	s_and_not1_saveexec_b32 s18, s18
	s_cbranch_execnz .LBB54_2212
.LBB54_2192:
	s_or_b32 exec_lo, exec_lo, s18
	v_mov_b64_e32 v[10:11], 0
	s_and_saveexec_b32 s18, s19
	s_cbranch_execz .LBB54_2194
.LBB54_2193:
	v_and_b32_e32 v10, 0xffff, v13
	s_delay_alu instid0(VALU_DEP_1) | instskip(SKIP_1) | instid1(VALU_DEP_2)
	v_and_b32_e32 v11, 3, v10
	v_bfe_u32 v20, v10, 2, 5
	v_clz_i32_u32_e32 v15, v11
	s_delay_alu instid0(VALU_DEP_2) | instskip(NEXT) | instid1(VALU_DEP_2)
	v_cmp_eq_u32_e32 vcc_lo, 0, v20
	v_min_u32_e32 v15, 32, v15
	s_delay_alu instid0(VALU_DEP_1) | instskip(NEXT) | instid1(VALU_DEP_1)
	v_subrev_nc_u32_e32 v19, 29, v15
	v_dual_lshlrev_b32 v10, v19, v10 :: v_dual_sub_nc_u32 v15, 30, v15
	s_delay_alu instid0(VALU_DEP_1) | instskip(NEXT) | instid1(VALU_DEP_1)
	v_dual_lshlrev_b32 v13, 24, v13 :: v_dual_bitop2_b32 v10, 3, v10 bitop3:0x40
	v_dual_cndmask_b32 v15, v20, v15 :: v_dual_cndmask_b32 v10, v11, v10
	s_delay_alu instid0(VALU_DEP_2) | instskip(NEXT) | instid1(VALU_DEP_2)
	v_and_b32_e32 v11, 0x80000000, v13
	v_lshl_add_u32 v13, v15, 23, 0x37800000
	s_delay_alu instid0(VALU_DEP_3) | instskip(NEXT) | instid1(VALU_DEP_1)
	v_lshlrev_b32_e32 v10, 21, v10
	v_or3_b32 v10, v11, v13, v10
	s_delay_alu instid0(VALU_DEP_1) | instskip(NEXT) | instid1(VALU_DEP_1)
	v_trunc_f32_e32 v10, v10
	v_mul_f32_e64 v11, 0x2f800000, |v10|
	s_delay_alu instid0(VALU_DEP_1) | instskip(NEXT) | instid1(VALU_DEP_1)
	v_floor_f32_e32 v11, v11
	v_fma_f32 v13, 0xcf800000, v11, |v10|
	v_ashrrev_i32_e32 v10, 31, v10
	v_cvt_u32_f32_e32 v15, v11
	s_delay_alu instid0(VALU_DEP_3) | instskip(NEXT) | instid1(VALU_DEP_2)
	v_cvt_u32_f32_e32 v13, v13
	v_dual_mov_b32 v11, v10 :: v_dual_bitop2_b32 v21, v15, v10 bitop3:0x14
	s_delay_alu instid0(VALU_DEP_2) | instskip(NEXT) | instid1(VALU_DEP_1)
	v_xor_b32_e32 v20, v13, v10
	v_sub_nc_u64_e32 v[10:11], v[20:21], v[10:11]
.LBB54_2194:
	s_or_b32 exec_lo, exec_lo, s18
	s_mov_b32 s18, 0
	s_branch .LBB54_2200
.LBB54_2195:
	s_mov_b32 s18, -1
                                        ; implicit-def: $vgpr10_vgpr11
	s_branch .LBB54_2206
.LBB54_2196:
	s_and_not1_saveexec_b32 s19, s19
	s_cbranch_execz .LBB54_2181
.LBB54_2197:
	v_cmp_ne_u16_e32 vcc_lo, 0, v13
	s_and_not1_b32 s20, s20, exec_lo
	s_and_b32 s21, vcc_lo, exec_lo
	s_delay_alu instid0(SALU_CYCLE_1)
	s_or_b32 s20, s20, s21
	s_or_b32 exec_lo, exec_lo, s19
	v_mov_b64_e32 v[10:11], 0
	s_and_saveexec_b32 s19, s20
	s_cbranch_execnz .LBB54_2182
	s_branch .LBB54_2183
.LBB54_2198:
	s_mov_b32 s18, -1
                                        ; implicit-def: $vgpr10_vgpr11
	s_branch .LBB54_2203
.LBB54_2199:
	s_mov_b32 s18, -1
                                        ; implicit-def: $vgpr10_vgpr11
.LBB54_2200:
	s_delay_alu instid0(SALU_CYCLE_1)
	s_and_b32 vcc_lo, exec_lo, s18
	s_cbranch_vccz .LBB54_2202
; %bb.2201:
	s_wait_loadcnt 0x0
	global_load_u8 v10, v[16:17], off
	s_wait_loadcnt 0x0
	v_lshlrev_b32_e32 v10, 24, v10
	s_delay_alu instid0(VALU_DEP_1) | instskip(NEXT) | instid1(VALU_DEP_1)
	v_and_b32_e32 v11, 0x7f000000, v10
	v_clz_i32_u32_e32 v13, v11
	v_add_nc_u32_e32 v19, 0x1000000, v11
	v_cmp_ne_u32_e32 vcc_lo, 0, v11
	s_delay_alu instid0(VALU_DEP_3) | instskip(NEXT) | instid1(VALU_DEP_1)
	v_min_u32_e32 v13, 32, v13
	v_sub_nc_u32_e64 v13, v13, 4 clamp
	s_delay_alu instid0(VALU_DEP_1) | instskip(NEXT) | instid1(VALU_DEP_1)
	v_dual_lshlrev_b32 v15, v13, v11 :: v_dual_lshlrev_b32 v13, 23, v13
	v_lshrrev_b32_e32 v15, 4, v15
	s_delay_alu instid0(VALU_DEP_1) | instskip(NEXT) | instid1(VALU_DEP_1)
	v_dual_sub_nc_u32 v13, v15, v13 :: v_dual_ashrrev_i32 v15, 8, v19
	v_add_nc_u32_e32 v13, 0x3c000000, v13
	s_delay_alu instid0(VALU_DEP_1) | instskip(NEXT) | instid1(VALU_DEP_1)
	v_and_or_b32 v13, 0x7f800000, v15, v13
	v_cndmask_b32_e32 v11, 0, v13, vcc_lo
	s_delay_alu instid0(VALU_DEP_1) | instskip(NEXT) | instid1(VALU_DEP_1)
	v_and_or_b32 v10, 0x80000000, v10, v11
	v_trunc_f32_e32 v10, v10
	s_delay_alu instid0(VALU_DEP_1) | instskip(NEXT) | instid1(VALU_DEP_1)
	v_mul_f32_e64 v11, 0x2f800000, |v10|
	v_floor_f32_e32 v11, v11
	s_delay_alu instid0(VALU_DEP_1) | instskip(SKIP_2) | instid1(VALU_DEP_3)
	v_fma_f32 v13, 0xcf800000, v11, |v10|
	v_ashrrev_i32_e32 v10, 31, v10
	v_cvt_u32_f32_e32 v15, v11
	v_cvt_u32_f32_e32 v13, v13
	s_delay_alu instid0(VALU_DEP_2) | instskip(NEXT) | instid1(VALU_DEP_2)
	v_dual_mov_b32 v11, v10 :: v_dual_bitop2_b32 v21, v15, v10 bitop3:0x14
	v_xor_b32_e32 v20, v13, v10
	s_delay_alu instid0(VALU_DEP_1)
	v_sub_nc_u64_e32 v[10:11], v[20:21], v[10:11]
.LBB54_2202:
	s_mov_b32 s18, 0
.LBB54_2203:
	s_delay_alu instid0(SALU_CYCLE_1)
	s_and_not1_b32 vcc_lo, exec_lo, s18
	s_cbranch_vccnz .LBB54_2205
; %bb.2204:
	s_wait_loadcnt 0x0
	global_load_u8 v10, v[16:17], off
	s_wait_loadcnt 0x0
	v_lshlrev_b32_e32 v11, 25, v10
	v_lshlrev_b16 v10, 8, v10
	s_delay_alu instid0(VALU_DEP_1) | instskip(SKIP_1) | instid1(VALU_DEP_2)
	v_and_or_b32 v15, 0x7f00, v10, 0.5
	v_bfe_i32 v10, v10, 0, 16
	v_add_f32_e32 v15, -0.5, v15
	v_lshrrev_b32_e32 v13, 4, v11
	v_cmp_gt_u32_e32 vcc_lo, 0x8000000, v11
	s_delay_alu instid0(VALU_DEP_2) | instskip(NEXT) | instid1(VALU_DEP_1)
	v_or_b32_e32 v13, 0x70000000, v13
	v_mul_f32_e32 v13, 0x7800000, v13
	s_delay_alu instid0(VALU_DEP_1) | instskip(NEXT) | instid1(VALU_DEP_1)
	v_cndmask_b32_e32 v11, v13, v15, vcc_lo
	v_and_or_b32 v10, 0x80000000, v10, v11
	s_delay_alu instid0(VALU_DEP_1) | instskip(NEXT) | instid1(VALU_DEP_1)
	v_trunc_f32_e32 v10, v10
	v_mul_f32_e64 v11, 0x2f800000, |v10|
	s_delay_alu instid0(VALU_DEP_1) | instskip(NEXT) | instid1(VALU_DEP_1)
	v_floor_f32_e32 v11, v11
	v_fma_f32 v13, 0xcf800000, v11, |v10|
	v_ashrrev_i32_e32 v10, 31, v10
	v_cvt_u32_f32_e32 v15, v11
	s_delay_alu instid0(VALU_DEP_3) | instskip(NEXT) | instid1(VALU_DEP_2)
	v_cvt_u32_f32_e32 v13, v13
	v_dual_mov_b32 v11, v10 :: v_dual_bitop2_b32 v21, v15, v10 bitop3:0x14
	s_delay_alu instid0(VALU_DEP_2) | instskip(NEXT) | instid1(VALU_DEP_1)
	v_xor_b32_e32 v20, v13, v10
	v_sub_nc_u64_e32 v[10:11], v[20:21], v[10:11]
.LBB54_2205:
	s_mov_b32 s18, 0
	s_mov_b32 s19, -1
.LBB54_2206:
	s_and_not1_b32 vcc_lo, exec_lo, s18
	s_mov_b32 s18, 0
	s_cbranch_vccnz .LBB54_2217
; %bb.2207:
	s_cmp_gt_i32 s14, 14
	s_cbranch_scc0 .LBB54_2210
; %bb.2208:
	s_cmp_eq_u32 s14, 15
	s_cbranch_scc0 .LBB54_2213
; %bb.2209:
	s_wait_loadcnt 0x0
	global_load_u16 v10, v[16:17], off
	s_mov_b32 s17, 0
	s_mov_b32 s19, -1
	s_wait_loadcnt 0x0
	v_lshlrev_b32_e32 v10, 16, v10
	s_delay_alu instid0(VALU_DEP_1) | instskip(NEXT) | instid1(VALU_DEP_1)
	v_trunc_f32_e32 v10, v10
	v_mul_f32_e64 v11, 0x2f800000, |v10|
	s_delay_alu instid0(VALU_DEP_1) | instskip(NEXT) | instid1(VALU_DEP_1)
	v_floor_f32_e32 v11, v11
	v_fma_f32 v13, 0xcf800000, v11, |v10|
	v_ashrrev_i32_e32 v10, 31, v10
	v_cvt_u32_f32_e32 v15, v11
	s_delay_alu instid0(VALU_DEP_3) | instskip(NEXT) | instid1(VALU_DEP_2)
	v_cvt_u32_f32_e32 v13, v13
	v_dual_mov_b32 v11, v10 :: v_dual_bitop2_b32 v21, v15, v10 bitop3:0x14
	s_delay_alu instid0(VALU_DEP_2) | instskip(NEXT) | instid1(VALU_DEP_1)
	v_xor_b32_e32 v20, v13, v10
	v_sub_nc_u64_e32 v[10:11], v[20:21], v[10:11]
	s_branch .LBB54_2215
.LBB54_2210:
	s_mov_b32 s18, -1
	s_branch .LBB54_2214
.LBB54_2211:
	s_and_not1_saveexec_b32 s18, s18
	s_cbranch_execz .LBB54_2192
.LBB54_2212:
	v_cmp_ne_u16_e32 vcc_lo, 0, v13
	s_and_not1_b32 s19, s19, exec_lo
	s_and_b32 s20, vcc_lo, exec_lo
	s_delay_alu instid0(SALU_CYCLE_1)
	s_or_b32 s19, s19, s20
	s_or_b32 exec_lo, exec_lo, s18
	v_mov_b64_e32 v[10:11], 0
	s_and_saveexec_b32 s18, s19
	s_cbranch_execnz .LBB54_2193
	s_branch .LBB54_2194
.LBB54_2213:
	s_mov_b32 s17, -1
.LBB54_2214:
                                        ; implicit-def: $vgpr10_vgpr11
.LBB54_2215:
	s_and_b32 vcc_lo, exec_lo, s18
	s_mov_b32 s18, 0
	s_cbranch_vccz .LBB54_2217
; %bb.2216:
	s_cmp_lg_u32 s14, 11
	s_mov_b32 s18, -1
	s_cselect_b32 s17, -1, 0
.LBB54_2217:
	s_delay_alu instid0(SALU_CYCLE_1)
	s_and_b32 vcc_lo, exec_lo, s17
	s_cbranch_vccnz .LBB54_2282
; %bb.2218:
	s_and_not1_b32 vcc_lo, exec_lo, s18
	s_cbranch_vccnz .LBB54_2220
.LBB54_2219:
	s_wait_loadcnt 0x0
	global_load_u8 v10, v[16:17], off
	s_mov_b32 s14, 0
	s_mov_b32 s19, -1
	v_mov_b32_e32 v11, s14
	s_wait_loadcnt 0x0
	v_cmp_ne_u16_e32 vcc_lo, 0, v10
	v_cndmask_b32_e64 v10, 0, 1, vcc_lo
.LBB54_2220:
	s_mov_b32 s14, 0
.LBB54_2221:
	s_delay_alu instid0(SALU_CYCLE_1)
	s_and_b32 vcc_lo, exec_lo, s14
	s_cbranch_vccz .LBB54_2270
; %bb.2222:
	s_and_b32 s14, 0xffff, s1
	s_delay_alu instid0(SALU_CYCLE_1)
	s_cmp_lt_i32 s14, 5
	s_cbranch_scc1 .LBB54_2227
; %bb.2223:
	s_cmp_lt_i32 s14, 8
	s_cbranch_scc1 .LBB54_2228
; %bb.2224:
	;; [unrolled: 3-line block ×3, first 2 shown]
	s_cmp_gt_i32 s14, 9
	s_cbranch_scc0 .LBB54_2230
; %bb.2226:
	s_wait_loadcnt 0x0
	global_load_b64 v[10:11], v[16:17], off
	s_mov_b32 s17, 0
	s_wait_loadcnt 0x0
	v_trunc_f64_e32 v[10:11], v[10:11]
	s_delay_alu instid0(VALU_DEP_1) | instskip(NEXT) | instid1(VALU_DEP_1)
	v_ldexp_f64 v[20:21], v[10:11], 0xffffffe0
	v_floor_f64_e32 v[20:21], v[20:21]
	s_delay_alu instid0(VALU_DEP_1) | instskip(SKIP_1) | instid1(VALU_DEP_2)
	v_fmamk_f64 v[22:23], v[20:21], 0xc1f00000, v[10:11]
	v_cvt_i32_f64_e32 v11, v[20:21]
	v_cvt_u32_f64_e32 v10, v[22:23]
	s_branch .LBB54_2231
.LBB54_2227:
	s_mov_b32 s17, -1
                                        ; implicit-def: $vgpr10_vgpr11
	s_branch .LBB54_2249
.LBB54_2228:
	s_mov_b32 s17, -1
                                        ; implicit-def: $vgpr10_vgpr11
	s_branch .LBB54_2237
.LBB54_2229:
	s_mov_b32 s17, -1
                                        ; implicit-def: $vgpr10_vgpr11
	s_branch .LBB54_2234
.LBB54_2230:
	s_mov_b32 s17, -1
                                        ; implicit-def: $vgpr10_vgpr11
.LBB54_2231:
	s_delay_alu instid0(SALU_CYCLE_1)
	s_and_not1_b32 vcc_lo, exec_lo, s17
	s_cbranch_vccnz .LBB54_2233
; %bb.2232:
	s_wait_loadcnt 0x0
	global_load_b32 v10, v[16:17], off
	s_wait_loadcnt 0x0
	v_trunc_f32_e32 v10, v10
	s_delay_alu instid0(VALU_DEP_1) | instskip(NEXT) | instid1(VALU_DEP_1)
	v_mul_f32_e64 v11, 0x2f800000, |v10|
	v_floor_f32_e32 v11, v11
	s_delay_alu instid0(VALU_DEP_1) | instskip(SKIP_2) | instid1(VALU_DEP_3)
	v_fma_f32 v13, 0xcf800000, v11, |v10|
	v_ashrrev_i32_e32 v10, 31, v10
	v_cvt_u32_f32_e32 v15, v11
	v_cvt_u32_f32_e32 v13, v13
	s_delay_alu instid0(VALU_DEP_2) | instskip(NEXT) | instid1(VALU_DEP_2)
	v_dual_mov_b32 v11, v10 :: v_dual_bitop2_b32 v21, v15, v10 bitop3:0x14
	v_xor_b32_e32 v20, v13, v10
	s_delay_alu instid0(VALU_DEP_1)
	v_sub_nc_u64_e32 v[10:11], v[20:21], v[10:11]
.LBB54_2233:
	s_mov_b32 s17, 0
.LBB54_2234:
	s_delay_alu instid0(SALU_CYCLE_1)
	s_and_not1_b32 vcc_lo, exec_lo, s17
	s_cbranch_vccnz .LBB54_2236
; %bb.2235:
	s_wait_loadcnt 0x0
	global_load_b32 v10, v[16:17], off
	s_wait_loadcnt 0x0
	v_cvt_f32_f16_e32 v10, v10
	s_delay_alu instid0(VALU_DEP_1) | instskip(NEXT) | instid1(VALU_DEP_1)
	v_cvt_i32_f32_e32 v10, v10
	v_ashrrev_i32_e32 v11, 31, v10
.LBB54_2236:
	s_mov_b32 s17, 0
.LBB54_2237:
	s_delay_alu instid0(SALU_CYCLE_1)
	s_and_not1_b32 vcc_lo, exec_lo, s17
	s_cbranch_vccnz .LBB54_2248
; %bb.2238:
	s_cmp_lt_i32 s14, 6
	s_cbranch_scc1 .LBB54_2241
; %bb.2239:
	s_cmp_gt_i32 s14, 6
	s_cbranch_scc0 .LBB54_2242
; %bb.2240:
	s_wait_loadcnt 0x0
	global_load_b64 v[10:11], v[16:17], off
	s_mov_b32 s17, 0
	s_wait_loadcnt 0x0
	v_trunc_f64_e32 v[10:11], v[10:11]
	s_delay_alu instid0(VALU_DEP_1) | instskip(NEXT) | instid1(VALU_DEP_1)
	v_ldexp_f64 v[20:21], v[10:11], 0xffffffe0
	v_floor_f64_e32 v[20:21], v[20:21]
	s_delay_alu instid0(VALU_DEP_1) | instskip(SKIP_1) | instid1(VALU_DEP_2)
	v_fmamk_f64 v[22:23], v[20:21], 0xc1f00000, v[10:11]
	v_cvt_i32_f64_e32 v11, v[20:21]
	v_cvt_u32_f64_e32 v10, v[22:23]
	s_branch .LBB54_2243
.LBB54_2241:
	s_mov_b32 s17, -1
                                        ; implicit-def: $vgpr10_vgpr11
	s_branch .LBB54_2246
.LBB54_2242:
	s_mov_b32 s17, -1
                                        ; implicit-def: $vgpr10_vgpr11
.LBB54_2243:
	s_delay_alu instid0(SALU_CYCLE_1)
	s_and_not1_b32 vcc_lo, exec_lo, s17
	s_cbranch_vccnz .LBB54_2245
; %bb.2244:
	s_wait_loadcnt 0x0
	global_load_b32 v10, v[16:17], off
	s_wait_loadcnt 0x0
	v_trunc_f32_e32 v10, v10
	s_delay_alu instid0(VALU_DEP_1) | instskip(NEXT) | instid1(VALU_DEP_1)
	v_mul_f32_e64 v11, 0x2f800000, |v10|
	v_floor_f32_e32 v11, v11
	s_delay_alu instid0(VALU_DEP_1) | instskip(SKIP_2) | instid1(VALU_DEP_3)
	v_fma_f32 v13, 0xcf800000, v11, |v10|
	v_ashrrev_i32_e32 v10, 31, v10
	v_cvt_u32_f32_e32 v15, v11
	v_cvt_u32_f32_e32 v13, v13
	s_delay_alu instid0(VALU_DEP_2) | instskip(NEXT) | instid1(VALU_DEP_2)
	v_dual_mov_b32 v11, v10 :: v_dual_bitop2_b32 v21, v15, v10 bitop3:0x14
	v_xor_b32_e32 v20, v13, v10
	s_delay_alu instid0(VALU_DEP_1)
	v_sub_nc_u64_e32 v[10:11], v[20:21], v[10:11]
.LBB54_2245:
	s_mov_b32 s17, 0
.LBB54_2246:
	s_delay_alu instid0(SALU_CYCLE_1)
	s_and_not1_b32 vcc_lo, exec_lo, s17
	s_cbranch_vccnz .LBB54_2248
; %bb.2247:
	s_wait_loadcnt 0x0
	global_load_u16 v10, v[16:17], off
	s_wait_loadcnt 0x0
	v_cvt_f32_f16_e32 v10, v10
	s_delay_alu instid0(VALU_DEP_1) | instskip(NEXT) | instid1(VALU_DEP_1)
	v_cvt_i32_f32_e32 v10, v10
	v_ashrrev_i32_e32 v11, 31, v10
.LBB54_2248:
	s_mov_b32 s17, 0
.LBB54_2249:
	s_delay_alu instid0(SALU_CYCLE_1)
	s_and_not1_b32 vcc_lo, exec_lo, s17
	s_cbranch_vccnz .LBB54_2269
; %bb.2250:
	s_cmp_lt_i32 s14, 2
	s_cbranch_scc1 .LBB54_2254
; %bb.2251:
	s_cmp_lt_i32 s14, 3
	s_cbranch_scc1 .LBB54_2255
; %bb.2252:
	s_cmp_gt_i32 s14, 3
	s_cbranch_scc0 .LBB54_2256
; %bb.2253:
	s_wait_loadcnt 0x0
	global_load_b64 v[10:11], v[16:17], off
	s_mov_b32 s17, 0
	s_branch .LBB54_2257
.LBB54_2254:
	s_mov_b32 s17, -1
                                        ; implicit-def: $vgpr10_vgpr11
	s_branch .LBB54_2263
.LBB54_2255:
	s_mov_b32 s17, -1
                                        ; implicit-def: $vgpr10_vgpr11
	s_branch .LBB54_2260
.LBB54_2256:
	s_mov_b32 s17, -1
                                        ; implicit-def: $vgpr10_vgpr11
.LBB54_2257:
	s_delay_alu instid0(SALU_CYCLE_1)
	s_and_not1_b32 vcc_lo, exec_lo, s17
	s_cbranch_vccnz .LBB54_2259
; %bb.2258:
	s_wait_loadcnt 0x0
	global_load_b32 v10, v[16:17], off
	s_wait_loadcnt 0x0
	v_ashrrev_i32_e32 v11, 31, v10
.LBB54_2259:
	s_mov_b32 s17, 0
.LBB54_2260:
	s_delay_alu instid0(SALU_CYCLE_1)
	s_and_not1_b32 vcc_lo, exec_lo, s17
	s_cbranch_vccnz .LBB54_2262
; %bb.2261:
	s_wait_loadcnt 0x0
	global_load_u16 v10, v[16:17], off
	s_wait_loadcnt 0x0
	v_bfe_i32 v10, v10, 0, 16
	s_delay_alu instid0(VALU_DEP_1)
	v_ashrrev_i32_e32 v11, 31, v10
.LBB54_2262:
	s_mov_b32 s17, 0
.LBB54_2263:
	s_delay_alu instid0(SALU_CYCLE_1)
	s_and_not1_b32 vcc_lo, exec_lo, s17
	s_cbranch_vccnz .LBB54_2269
; %bb.2264:
	s_cmp_gt_i32 s14, 0
	s_mov_b32 s14, 0
	s_cbranch_scc0 .LBB54_2266
; %bb.2265:
	s_wait_loadcnt 0x0
	global_load_i8 v10, v[16:17], off
	s_wait_loadcnt 0x0
	v_bfe_i32 v10, v10, 0, 16
	s_delay_alu instid0(VALU_DEP_1)
	v_ashrrev_i32_e32 v11, 31, v10
	s_branch .LBB54_2267
.LBB54_2266:
	s_mov_b32 s14, -1
                                        ; implicit-def: $vgpr10_vgpr11
.LBB54_2267:
	s_delay_alu instid0(SALU_CYCLE_1)
	s_and_not1_b32 vcc_lo, exec_lo, s14
	s_cbranch_vccnz .LBB54_2269
; %bb.2268:
	s_wait_loadcnt 0x0
	global_load_u8 v10, v[16:17], off
	s_mov_b32 s14, 0
	s_delay_alu instid0(SALU_CYCLE_1)
	v_mov_b32_e32 v11, s14
	s_wait_loadcnt 0x0
	v_and_b32_e32 v10, 0xffff, v10
.LBB54_2269:
	s_mov_b32 s19, -1
.LBB54_2270:
	s_delay_alu instid0(SALU_CYCLE_1)
	s_and_not1_b32 vcc_lo, exec_lo, s19
	s_cbranch_vccnz .LBB54_2957
; %bb.2271:
	v_add_nc_u32_e32 v12, s9, v12
	s_cmp_lt_i32 s0, 11
	s_delay_alu instid0(VALU_DEP_1) | instskip(SKIP_1) | instid1(VALU_DEP_1)
	v_ashrrev_i32_e32 v13, 31, v12
	s_wait_xcnt 0x0
	v_add_nc_u64_e32 v[16:17], s[6:7], v[12:13]
	s_cbranch_scc1 .LBB54_2278
; %bb.2272:
	s_and_b32 s6, 0xffff, s0
	s_mov_b32 s9, 0
	s_cmp_gt_i32 s6, 25
	s_cbranch_scc0 .LBB54_2279
; %bb.2273:
	s_cmp_gt_i32 s6, 28
	s_cbranch_scc0 .LBB54_2280
; %bb.2274:
	;; [unrolled: 3-line block ×4, first 2 shown]
	s_cmp_eq_u32 s6, 46
	s_mov_b32 s17, 0
	s_cbranch_scc0 .LBB54_2284
; %bb.2277:
	global_load_b32 v12, v[16:17], off
	s_mov_b32 s7, 0
	s_mov_b32 s14, -1
	s_wait_loadcnt 0x0
	v_lshlrev_b32_e32 v12, 16, v12
	s_delay_alu instid0(VALU_DEP_1) | instskip(NEXT) | instid1(VALU_DEP_1)
	v_trunc_f32_e32 v12, v12
	v_mul_f32_e64 v13, 0x2f800000, |v12|
	s_delay_alu instid0(VALU_DEP_1) | instskip(NEXT) | instid1(VALU_DEP_1)
	v_floor_f32_e32 v13, v13
	v_fma_f32 v15, 0xcf800000, v13, |v12|
	v_ashrrev_i32_e32 v12, 31, v12
	v_cvt_u32_f32_e32 v19, v13
	s_delay_alu instid0(VALU_DEP_3) | instskip(NEXT) | instid1(VALU_DEP_2)
	v_cvt_u32_f32_e32 v15, v15
	v_dual_mov_b32 v13, v12 :: v_dual_bitop2_b32 v21, v19, v12 bitop3:0x14
	s_delay_alu instid0(VALU_DEP_2) | instskip(NEXT) | instid1(VALU_DEP_1)
	v_xor_b32_e32 v20, v15, v12
	v_sub_nc_u64_e32 v[12:13], v[20:21], v[12:13]
	s_branch .LBB54_2286
.LBB54_2278:
	s_mov_b32 s6, -1
	s_mov_b32 s14, 0
                                        ; implicit-def: $vgpr12_vgpr13
	s_branch .LBB54_2348
.LBB54_2279:
	s_mov_b32 s17, -1
	s_mov_b32 s14, 0
	s_mov_b32 s7, 0
                                        ; implicit-def: $vgpr12_vgpr13
	s_branch .LBB54_2313
.LBB54_2280:
	s_mov_b32 s17, -1
	s_mov_b32 s14, 0
	s_mov_b32 s7, 0
                                        ; implicit-def: $vgpr12_vgpr13
	s_branch .LBB54_2296
.LBB54_2281:
	s_mov_b32 s17, -1
	s_mov_b32 s14, 0
	s_mov_b32 s7, 0
                                        ; implicit-def: $vgpr12_vgpr13
	s_branch .LBB54_2291
.LBB54_2282:
	s_or_b32 s13, s13, exec_lo
	s_trap 2
	s_cbranch_execz .LBB54_2219
	s_branch .LBB54_2220
.LBB54_2283:
	s_mov_b32 s17, -1
	s_mov_b32 s14, 0
	s_mov_b32 s7, 0
	s_branch .LBB54_2285
.LBB54_2284:
	s_mov_b32 s7, -1
	s_mov_b32 s14, 0
.LBB54_2285:
                                        ; implicit-def: $vgpr12_vgpr13
.LBB54_2286:
	s_and_b32 vcc_lo, exec_lo, s17
	s_cbranch_vccz .LBB54_2290
; %bb.2287:
	s_cmp_eq_u32 s6, 44
	s_cbranch_scc0 .LBB54_2289
; %bb.2288:
	global_load_u8 v15, v[16:17], off
	s_mov_b32 s7, 0
	s_mov_b32 s14, -1
	s_wait_loadcnt 0x0
	v_cmp_ne_u32_e32 vcc_lo, 0, v15
	v_lshlrev_b32_e32 v12, 23, v15
	s_delay_alu instid0(VALU_DEP_1) | instskip(NEXT) | instid1(VALU_DEP_1)
	v_trunc_f32_e32 v12, v12
	v_mul_f32_e64 v13, 0x2f800000, |v12|
	s_delay_alu instid0(VALU_DEP_1) | instskip(NEXT) | instid1(VALU_DEP_1)
	v_floor_f32_e32 v13, v13
	v_fma_f32 v19, 0xcf800000, v13, |v12|
	v_ashrrev_i32_e32 v12, 31, v12
	v_cvt_u32_f32_e32 v20, v13
	s_delay_alu instid0(VALU_DEP_3) | instskip(NEXT) | instid1(VALU_DEP_3)
	v_cvt_u32_f32_e32 v19, v19
	v_mov_b32_e32 v13, v12
	s_delay_alu instid0(VALU_DEP_3) | instskip(NEXT) | instid1(VALU_DEP_3)
	v_xor_b32_e32 v21, v20, v12
	v_xor_b32_e32 v20, v19, v12
	s_delay_alu instid0(VALU_DEP_1) | instskip(NEXT) | instid1(VALU_DEP_1)
	v_sub_nc_u64_e32 v[12:13], v[20:21], v[12:13]
	v_dual_cndmask_b32 v13, 0, v13 :: v_dual_cndmask_b32 v12, 0, v12
	s_branch .LBB54_2290
.LBB54_2289:
	s_mov_b32 s7, -1
                                        ; implicit-def: $vgpr12_vgpr13
.LBB54_2290:
	s_mov_b32 s17, 0
.LBB54_2291:
	s_delay_alu instid0(SALU_CYCLE_1)
	s_and_b32 vcc_lo, exec_lo, s17
	s_cbranch_vccz .LBB54_2295
; %bb.2292:
	s_cmp_eq_u32 s6, 29
	s_cbranch_scc0 .LBB54_2294
; %bb.2293:
	global_load_b64 v[12:13], v[16:17], off
	s_mov_b32 s7, 0
	s_mov_b32 s14, -1
	s_branch .LBB54_2295
.LBB54_2294:
	s_mov_b32 s7, -1
                                        ; implicit-def: $vgpr12_vgpr13
.LBB54_2295:
	s_mov_b32 s17, 0
.LBB54_2296:
	s_delay_alu instid0(SALU_CYCLE_1)
	s_and_b32 vcc_lo, exec_lo, s17
	s_cbranch_vccz .LBB54_2312
; %bb.2297:
	s_cmp_lt_i32 s6, 27
	s_cbranch_scc1 .LBB54_2300
; %bb.2298:
	s_cmp_gt_i32 s6, 27
	s_cbranch_scc0 .LBB54_2301
; %bb.2299:
	s_wait_loadcnt 0x0
	global_load_b32 v12, v[16:17], off
	v_mov_b32_e32 v13, 0
	s_mov_b32 s14, 0
	s_branch .LBB54_2302
.LBB54_2300:
	s_mov_b32 s14, -1
                                        ; implicit-def: $vgpr12_vgpr13
	s_branch .LBB54_2305
.LBB54_2301:
	s_mov_b32 s14, -1
                                        ; implicit-def: $vgpr12_vgpr13
.LBB54_2302:
	s_delay_alu instid0(SALU_CYCLE_1)
	s_and_not1_b32 vcc_lo, exec_lo, s14
	s_cbranch_vccnz .LBB54_2304
; %bb.2303:
	s_wait_loadcnt 0x0
	global_load_u16 v12, v[16:17], off
	s_mov_b32 s14, 0
	s_delay_alu instid0(SALU_CYCLE_1)
	v_mov_b32_e32 v13, s14
	s_wait_loadcnt 0x0
	v_and_b32_e32 v12, 0xffff, v12
.LBB54_2304:
	s_mov_b32 s14, 0
.LBB54_2305:
	s_delay_alu instid0(SALU_CYCLE_1)
	s_and_not1_b32 vcc_lo, exec_lo, s14
	s_cbranch_vccnz .LBB54_2311
; %bb.2306:
	global_load_u8 v15, v[16:17], off
	s_mov_b32 s17, 0
	s_mov_b32 s14, exec_lo
	s_wait_loadcnt 0x0
	v_cmpx_lt_i16_e32 0x7f, v15
	s_xor_b32 s14, exec_lo, s14
	s_cbranch_execz .LBB54_2323
; %bb.2307:
	v_cmp_ne_u16_e32 vcc_lo, 0x80, v15
	s_and_b32 s17, vcc_lo, exec_lo
	s_and_not1_saveexec_b32 s14, s14
	s_cbranch_execnz .LBB54_2324
.LBB54_2308:
	s_or_b32 exec_lo, exec_lo, s14
	v_mov_b64_e32 v[12:13], 0
	s_and_saveexec_b32 s14, s17
	s_cbranch_execz .LBB54_2310
.LBB54_2309:
	v_and_b32_e32 v12, 0xffff, v15
	s_delay_alu instid0(VALU_DEP_1) | instskip(SKIP_1) | instid1(VALU_DEP_2)
	v_and_b32_e32 v13, 7, v12
	v_bfe_u32 v21, v12, 3, 4
	v_clz_i32_u32_e32 v19, v13
	s_delay_alu instid0(VALU_DEP_2) | instskip(NEXT) | instid1(VALU_DEP_2)
	v_cmp_eq_u32_e32 vcc_lo, 0, v21
	v_min_u32_e32 v19, 32, v19
	s_delay_alu instid0(VALU_DEP_1) | instskip(NEXT) | instid1(VALU_DEP_1)
	v_subrev_nc_u32_e32 v20, 28, v19
	v_dual_lshlrev_b32 v12, v20, v12 :: v_dual_sub_nc_u32 v19, 29, v19
	s_delay_alu instid0(VALU_DEP_1) | instskip(NEXT) | instid1(VALU_DEP_1)
	v_dual_lshlrev_b32 v15, 24, v15 :: v_dual_bitop2_b32 v12, 7, v12 bitop3:0x40
	v_cndmask_b32_e32 v12, v13, v12, vcc_lo
	s_delay_alu instid0(VALU_DEP_3) | instskip(NEXT) | instid1(VALU_DEP_3)
	v_cndmask_b32_e32 v19, v21, v19, vcc_lo
	v_and_b32_e32 v13, 0x80000000, v15
	s_delay_alu instid0(VALU_DEP_3) | instskip(NEXT) | instid1(VALU_DEP_3)
	v_lshlrev_b32_e32 v12, 20, v12
	v_lshl_add_u32 v15, v19, 23, 0x3b800000
	s_delay_alu instid0(VALU_DEP_1) | instskip(NEXT) | instid1(VALU_DEP_1)
	v_or3_b32 v12, v13, v15, v12
	v_trunc_f32_e32 v12, v12
	s_delay_alu instid0(VALU_DEP_1) | instskip(NEXT) | instid1(VALU_DEP_1)
	v_mul_f32_e64 v13, 0x2f800000, |v12|
	v_floor_f32_e32 v13, v13
	s_delay_alu instid0(VALU_DEP_1) | instskip(SKIP_2) | instid1(VALU_DEP_3)
	v_fma_f32 v15, 0xcf800000, v13, |v12|
	v_ashrrev_i32_e32 v12, 31, v12
	v_cvt_u32_f32_e32 v19, v13
	v_cvt_u32_f32_e32 v15, v15
	s_delay_alu instid0(VALU_DEP_2) | instskip(NEXT) | instid1(VALU_DEP_2)
	v_dual_mov_b32 v13, v12 :: v_dual_bitop2_b32 v21, v19, v12 bitop3:0x14
	v_xor_b32_e32 v20, v15, v12
	s_delay_alu instid0(VALU_DEP_1)
	v_sub_nc_u64_e32 v[12:13], v[20:21], v[12:13]
.LBB54_2310:
	s_or_b32 exec_lo, exec_lo, s14
.LBB54_2311:
	s_mov_b32 s14, -1
.LBB54_2312:
	s_mov_b32 s17, 0
.LBB54_2313:
	s_delay_alu instid0(SALU_CYCLE_1)
	s_and_b32 vcc_lo, exec_lo, s17
	s_cbranch_vccz .LBB54_2344
; %bb.2314:
	s_cmp_gt_i32 s6, 22
	s_cbranch_scc0 .LBB54_2322
; %bb.2315:
	s_cmp_lt_i32 s6, 24
	s_cbranch_scc1 .LBB54_2325
; %bb.2316:
	s_cmp_gt_i32 s6, 24
	s_cbranch_scc0 .LBB54_2326
; %bb.2317:
	global_load_u8 v15, v[16:17], off
	s_mov_b32 s14, 0
	s_mov_b32 s9, exec_lo
	s_wait_loadcnt 0x0
	v_cmpx_lt_i16_e32 0x7f, v15
	s_xor_b32 s9, exec_lo, s9
	s_cbranch_execz .LBB54_2338
; %bb.2318:
	v_cmp_ne_u16_e32 vcc_lo, 0x80, v15
	s_and_b32 s14, vcc_lo, exec_lo
	s_and_not1_saveexec_b32 s9, s9
	s_cbranch_execnz .LBB54_2339
.LBB54_2319:
	s_or_b32 exec_lo, exec_lo, s9
	v_mov_b64_e32 v[12:13], 0
	s_and_saveexec_b32 s9, s14
	s_cbranch_execz .LBB54_2321
.LBB54_2320:
	v_and_b32_e32 v12, 0xffff, v15
	s_delay_alu instid0(VALU_DEP_1) | instskip(SKIP_1) | instid1(VALU_DEP_2)
	v_and_b32_e32 v13, 3, v12
	v_bfe_u32 v21, v12, 2, 5
	v_clz_i32_u32_e32 v19, v13
	s_delay_alu instid0(VALU_DEP_2) | instskip(NEXT) | instid1(VALU_DEP_2)
	v_cmp_eq_u32_e32 vcc_lo, 0, v21
	v_min_u32_e32 v19, 32, v19
	s_delay_alu instid0(VALU_DEP_1) | instskip(NEXT) | instid1(VALU_DEP_1)
	v_subrev_nc_u32_e32 v20, 29, v19
	v_dual_lshlrev_b32 v12, v20, v12 :: v_dual_sub_nc_u32 v19, 30, v19
	s_delay_alu instid0(VALU_DEP_1) | instskip(NEXT) | instid1(VALU_DEP_1)
	v_dual_lshlrev_b32 v15, 24, v15 :: v_dual_bitop2_b32 v12, 3, v12 bitop3:0x40
	v_cndmask_b32_e32 v12, v13, v12, vcc_lo
	s_delay_alu instid0(VALU_DEP_3) | instskip(NEXT) | instid1(VALU_DEP_3)
	v_cndmask_b32_e32 v19, v21, v19, vcc_lo
	v_and_b32_e32 v13, 0x80000000, v15
	s_delay_alu instid0(VALU_DEP_3) | instskip(NEXT) | instid1(VALU_DEP_3)
	v_lshlrev_b32_e32 v12, 21, v12
	v_lshl_add_u32 v15, v19, 23, 0x37800000
	s_delay_alu instid0(VALU_DEP_1) | instskip(NEXT) | instid1(VALU_DEP_1)
	v_or3_b32 v12, v13, v15, v12
	v_trunc_f32_e32 v12, v12
	s_delay_alu instid0(VALU_DEP_1) | instskip(NEXT) | instid1(VALU_DEP_1)
	v_mul_f32_e64 v13, 0x2f800000, |v12|
	v_floor_f32_e32 v13, v13
	s_delay_alu instid0(VALU_DEP_1) | instskip(SKIP_2) | instid1(VALU_DEP_3)
	v_fma_f32 v15, 0xcf800000, v13, |v12|
	v_ashrrev_i32_e32 v12, 31, v12
	v_cvt_u32_f32_e32 v19, v13
	v_cvt_u32_f32_e32 v15, v15
	s_delay_alu instid0(VALU_DEP_2) | instskip(NEXT) | instid1(VALU_DEP_2)
	v_dual_mov_b32 v13, v12 :: v_dual_bitop2_b32 v21, v19, v12 bitop3:0x14
	v_xor_b32_e32 v20, v15, v12
	s_delay_alu instid0(VALU_DEP_1)
	v_sub_nc_u64_e32 v[12:13], v[20:21], v[12:13]
.LBB54_2321:
	s_or_b32 exec_lo, exec_lo, s9
	s_mov_b32 s9, 0
	s_branch .LBB54_2327
.LBB54_2322:
	s_mov_b32 s9, -1
                                        ; implicit-def: $vgpr12_vgpr13
	s_branch .LBB54_2333
.LBB54_2323:
	s_and_not1_saveexec_b32 s14, s14
	s_cbranch_execz .LBB54_2308
.LBB54_2324:
	v_cmp_ne_u16_e32 vcc_lo, 0, v15
	s_and_not1_b32 s17, s17, exec_lo
	s_and_b32 s18, vcc_lo, exec_lo
	s_delay_alu instid0(SALU_CYCLE_1)
	s_or_b32 s17, s17, s18
	s_or_b32 exec_lo, exec_lo, s14
	v_mov_b64_e32 v[12:13], 0
	s_and_saveexec_b32 s14, s17
	s_cbranch_execnz .LBB54_2309
	s_branch .LBB54_2310
.LBB54_2325:
	s_mov_b32 s9, -1
                                        ; implicit-def: $vgpr12_vgpr13
	s_branch .LBB54_2330
.LBB54_2326:
	s_mov_b32 s9, -1
                                        ; implicit-def: $vgpr12_vgpr13
.LBB54_2327:
	s_delay_alu instid0(SALU_CYCLE_1)
	s_and_b32 vcc_lo, exec_lo, s9
	s_cbranch_vccz .LBB54_2329
; %bb.2328:
	s_wait_loadcnt 0x0
	global_load_u8 v12, v[16:17], off
	s_wait_loadcnt 0x0
	v_lshlrev_b32_e32 v12, 24, v12
	s_delay_alu instid0(VALU_DEP_1) | instskip(NEXT) | instid1(VALU_DEP_1)
	v_and_b32_e32 v13, 0x7f000000, v12
	v_clz_i32_u32_e32 v15, v13
	v_cmp_ne_u32_e32 vcc_lo, 0, v13
	v_add_nc_u32_e32 v20, 0x1000000, v13
	s_delay_alu instid0(VALU_DEP_3) | instskip(NEXT) | instid1(VALU_DEP_1)
	v_min_u32_e32 v15, 32, v15
	v_sub_nc_u32_e64 v15, v15, 4 clamp
	s_delay_alu instid0(VALU_DEP_1) | instskip(NEXT) | instid1(VALU_DEP_1)
	v_dual_lshlrev_b32 v19, v15, v13 :: v_dual_lshlrev_b32 v15, 23, v15
	v_lshrrev_b32_e32 v19, 4, v19
	s_delay_alu instid0(VALU_DEP_1) | instskip(NEXT) | instid1(VALU_DEP_1)
	v_dual_sub_nc_u32 v15, v19, v15 :: v_dual_ashrrev_i32 v19, 8, v20
	v_add_nc_u32_e32 v15, 0x3c000000, v15
	s_delay_alu instid0(VALU_DEP_1) | instskip(NEXT) | instid1(VALU_DEP_1)
	v_and_or_b32 v15, 0x7f800000, v19, v15
	v_cndmask_b32_e32 v13, 0, v15, vcc_lo
	s_delay_alu instid0(VALU_DEP_1) | instskip(NEXT) | instid1(VALU_DEP_1)
	v_and_or_b32 v12, 0x80000000, v12, v13
	v_trunc_f32_e32 v12, v12
	s_delay_alu instid0(VALU_DEP_1) | instskip(NEXT) | instid1(VALU_DEP_1)
	v_mul_f32_e64 v13, 0x2f800000, |v12|
	v_floor_f32_e32 v13, v13
	s_delay_alu instid0(VALU_DEP_1) | instskip(SKIP_2) | instid1(VALU_DEP_3)
	v_fma_f32 v15, 0xcf800000, v13, |v12|
	v_ashrrev_i32_e32 v12, 31, v12
	v_cvt_u32_f32_e32 v19, v13
	v_cvt_u32_f32_e32 v15, v15
	s_delay_alu instid0(VALU_DEP_2) | instskip(NEXT) | instid1(VALU_DEP_2)
	v_dual_mov_b32 v13, v12 :: v_dual_bitop2_b32 v21, v19, v12 bitop3:0x14
	v_xor_b32_e32 v20, v15, v12
	s_delay_alu instid0(VALU_DEP_1)
	v_sub_nc_u64_e32 v[12:13], v[20:21], v[12:13]
.LBB54_2329:
	s_mov_b32 s9, 0
.LBB54_2330:
	s_delay_alu instid0(SALU_CYCLE_1)
	s_and_not1_b32 vcc_lo, exec_lo, s9
	s_cbranch_vccnz .LBB54_2332
; %bb.2331:
	s_wait_loadcnt 0x0
	global_load_u8 v12, v[16:17], off
	s_wait_loadcnt 0x0
	v_lshlrev_b32_e32 v13, 25, v12
	v_lshlrev_b16 v12, 8, v12
	s_delay_alu instid0(VALU_DEP_1) | instskip(SKIP_1) | instid1(VALU_DEP_2)
	v_and_or_b32 v19, 0x7f00, v12, 0.5
	v_bfe_i32 v12, v12, 0, 16
	v_dual_add_f32 v19, -0.5, v19 :: v_dual_lshrrev_b32 v15, 4, v13
	v_cmp_gt_u32_e32 vcc_lo, 0x8000000, v13
	s_delay_alu instid0(VALU_DEP_2) | instskip(NEXT) | instid1(VALU_DEP_1)
	v_or_b32_e32 v15, 0x70000000, v15
	v_mul_f32_e32 v15, 0x7800000, v15
	s_delay_alu instid0(VALU_DEP_1) | instskip(NEXT) | instid1(VALU_DEP_1)
	v_cndmask_b32_e32 v13, v15, v19, vcc_lo
	v_and_or_b32 v12, 0x80000000, v12, v13
	s_delay_alu instid0(VALU_DEP_1) | instskip(NEXT) | instid1(VALU_DEP_1)
	v_trunc_f32_e32 v12, v12
	v_mul_f32_e64 v13, 0x2f800000, |v12|
	s_delay_alu instid0(VALU_DEP_1) | instskip(NEXT) | instid1(VALU_DEP_1)
	v_floor_f32_e32 v13, v13
	v_fma_f32 v15, 0xcf800000, v13, |v12|
	v_ashrrev_i32_e32 v12, 31, v12
	v_cvt_u32_f32_e32 v19, v13
	s_delay_alu instid0(VALU_DEP_3) | instskip(NEXT) | instid1(VALU_DEP_2)
	v_cvt_u32_f32_e32 v15, v15
	v_dual_mov_b32 v13, v12 :: v_dual_bitop2_b32 v21, v19, v12 bitop3:0x14
	s_delay_alu instid0(VALU_DEP_2) | instskip(NEXT) | instid1(VALU_DEP_1)
	v_xor_b32_e32 v20, v15, v12
	v_sub_nc_u64_e32 v[12:13], v[20:21], v[12:13]
.LBB54_2332:
	s_mov_b32 s9, 0
	s_mov_b32 s14, -1
.LBB54_2333:
	s_and_not1_b32 vcc_lo, exec_lo, s9
	s_mov_b32 s9, 0
	s_cbranch_vccnz .LBB54_2344
; %bb.2334:
	s_cmp_gt_i32 s6, 14
	s_cbranch_scc0 .LBB54_2337
; %bb.2335:
	s_cmp_eq_u32 s6, 15
	s_cbranch_scc0 .LBB54_2340
; %bb.2336:
	s_wait_loadcnt 0x0
	global_load_u16 v12, v[16:17], off
	s_mov_b32 s7, 0
	s_mov_b32 s14, -1
	s_wait_loadcnt 0x0
	v_lshlrev_b32_e32 v12, 16, v12
	s_delay_alu instid0(VALU_DEP_1) | instskip(NEXT) | instid1(VALU_DEP_1)
	v_trunc_f32_e32 v12, v12
	v_mul_f32_e64 v13, 0x2f800000, |v12|
	s_delay_alu instid0(VALU_DEP_1) | instskip(NEXT) | instid1(VALU_DEP_1)
	v_floor_f32_e32 v13, v13
	v_fma_f32 v15, 0xcf800000, v13, |v12|
	v_ashrrev_i32_e32 v12, 31, v12
	v_cvt_u32_f32_e32 v19, v13
	s_delay_alu instid0(VALU_DEP_3) | instskip(NEXT) | instid1(VALU_DEP_2)
	v_cvt_u32_f32_e32 v15, v15
	v_dual_mov_b32 v13, v12 :: v_dual_bitop2_b32 v21, v19, v12 bitop3:0x14
	s_delay_alu instid0(VALU_DEP_2) | instskip(NEXT) | instid1(VALU_DEP_1)
	v_xor_b32_e32 v20, v15, v12
	v_sub_nc_u64_e32 v[12:13], v[20:21], v[12:13]
	s_branch .LBB54_2342
.LBB54_2337:
	s_mov_b32 s9, -1
	s_branch .LBB54_2341
.LBB54_2338:
	s_and_not1_saveexec_b32 s9, s9
	s_cbranch_execz .LBB54_2319
.LBB54_2339:
	v_cmp_ne_u16_e32 vcc_lo, 0, v15
	s_and_not1_b32 s14, s14, exec_lo
	s_and_b32 s17, vcc_lo, exec_lo
	s_delay_alu instid0(SALU_CYCLE_1)
	s_or_b32 s14, s14, s17
	s_or_b32 exec_lo, exec_lo, s9
	v_mov_b64_e32 v[12:13], 0
	s_and_saveexec_b32 s9, s14
	s_cbranch_execnz .LBB54_2320
	s_branch .LBB54_2321
.LBB54_2340:
	s_mov_b32 s7, -1
.LBB54_2341:
                                        ; implicit-def: $vgpr12_vgpr13
.LBB54_2342:
	s_and_b32 vcc_lo, exec_lo, s9
	s_mov_b32 s9, 0
	s_cbranch_vccz .LBB54_2344
; %bb.2343:
	s_cmp_lg_u32 s6, 11
	s_mov_b32 s9, -1
	s_cselect_b32 s7, -1, 0
.LBB54_2344:
	s_delay_alu instid0(SALU_CYCLE_1)
	s_and_b32 vcc_lo, exec_lo, s7
	s_cbranch_vccnz .LBB54_2409
; %bb.2345:
	s_and_not1_b32 vcc_lo, exec_lo, s9
	s_cbranch_vccnz .LBB54_2347
.LBB54_2346:
	s_wait_loadcnt 0x0
	global_load_u8 v12, v[16:17], off
	s_mov_b32 s6, 0
	s_mov_b32 s14, -1
	v_mov_b32_e32 v13, s6
	s_wait_loadcnt 0x0
	v_cmp_ne_u16_e32 vcc_lo, 0, v12
	v_cndmask_b32_e64 v12, 0, 1, vcc_lo
.LBB54_2347:
	s_mov_b32 s6, 0
.LBB54_2348:
	s_delay_alu instid0(SALU_CYCLE_1)
	s_and_b32 vcc_lo, exec_lo, s6
	s_cbranch_vccz .LBB54_2397
; %bb.2349:
	s_and_b32 s0, 0xffff, s0
	s_delay_alu instid0(SALU_CYCLE_1)
	s_cmp_lt_i32 s0, 5
	s_cbranch_scc1 .LBB54_2354
; %bb.2350:
	s_cmp_lt_i32 s0, 8
	s_cbranch_scc1 .LBB54_2355
; %bb.2351:
	s_cmp_lt_i32 s0, 9
	s_cbranch_scc1 .LBB54_2356
; %bb.2352:
	s_cmp_gt_i32 s0, 9
	s_cbranch_scc0 .LBB54_2357
; %bb.2353:
	s_wait_loadcnt 0x0
	global_load_b64 v[12:13], v[16:17], off
	s_mov_b32 s6, 0
	s_wait_loadcnt 0x0
	v_trunc_f64_e32 v[12:13], v[12:13]
	s_delay_alu instid0(VALU_DEP_1) | instskip(NEXT) | instid1(VALU_DEP_1)
	v_ldexp_f64 v[20:21], v[12:13], 0xffffffe0
	v_floor_f64_e32 v[20:21], v[20:21]
	s_delay_alu instid0(VALU_DEP_1) | instskip(SKIP_1) | instid1(VALU_DEP_2)
	v_fmamk_f64 v[22:23], v[20:21], 0xc1f00000, v[12:13]
	v_cvt_i32_f64_e32 v13, v[20:21]
	v_cvt_u32_f64_e32 v12, v[22:23]
	s_branch .LBB54_2358
.LBB54_2354:
	s_mov_b32 s6, -1
                                        ; implicit-def: $vgpr12_vgpr13
	s_branch .LBB54_2376
.LBB54_2355:
	s_mov_b32 s6, -1
                                        ; implicit-def: $vgpr12_vgpr13
	s_branch .LBB54_2364
.LBB54_2356:
	s_mov_b32 s6, -1
                                        ; implicit-def: $vgpr12_vgpr13
	s_branch .LBB54_2361
.LBB54_2357:
	s_mov_b32 s6, -1
                                        ; implicit-def: $vgpr12_vgpr13
.LBB54_2358:
	s_delay_alu instid0(SALU_CYCLE_1)
	s_and_not1_b32 vcc_lo, exec_lo, s6
	s_cbranch_vccnz .LBB54_2360
; %bb.2359:
	s_wait_loadcnt 0x0
	global_load_b32 v12, v[16:17], off
	s_wait_loadcnt 0x0
	v_trunc_f32_e32 v12, v12
	s_delay_alu instid0(VALU_DEP_1) | instskip(NEXT) | instid1(VALU_DEP_1)
	v_mul_f32_e64 v13, 0x2f800000, |v12|
	v_floor_f32_e32 v13, v13
	s_delay_alu instid0(VALU_DEP_1) | instskip(SKIP_2) | instid1(VALU_DEP_3)
	v_fma_f32 v15, 0xcf800000, v13, |v12|
	v_ashrrev_i32_e32 v12, 31, v12
	v_cvt_u32_f32_e32 v19, v13
	v_cvt_u32_f32_e32 v15, v15
	s_delay_alu instid0(VALU_DEP_2) | instskip(NEXT) | instid1(VALU_DEP_2)
	v_dual_mov_b32 v13, v12 :: v_dual_bitop2_b32 v21, v19, v12 bitop3:0x14
	v_xor_b32_e32 v20, v15, v12
	s_delay_alu instid0(VALU_DEP_1)
	v_sub_nc_u64_e32 v[12:13], v[20:21], v[12:13]
.LBB54_2360:
	s_mov_b32 s6, 0
.LBB54_2361:
	s_delay_alu instid0(SALU_CYCLE_1)
	s_and_not1_b32 vcc_lo, exec_lo, s6
	s_cbranch_vccnz .LBB54_2363
; %bb.2362:
	s_wait_loadcnt 0x0
	global_load_b32 v12, v[16:17], off
	s_wait_loadcnt 0x0
	v_cvt_f32_f16_e32 v12, v12
	s_delay_alu instid0(VALU_DEP_1) | instskip(NEXT) | instid1(VALU_DEP_1)
	v_cvt_i32_f32_e32 v12, v12
	v_ashrrev_i32_e32 v13, 31, v12
.LBB54_2363:
	s_mov_b32 s6, 0
.LBB54_2364:
	s_delay_alu instid0(SALU_CYCLE_1)
	s_and_not1_b32 vcc_lo, exec_lo, s6
	s_cbranch_vccnz .LBB54_2375
; %bb.2365:
	s_cmp_lt_i32 s0, 6
	s_cbranch_scc1 .LBB54_2368
; %bb.2366:
	s_cmp_gt_i32 s0, 6
	s_cbranch_scc0 .LBB54_2369
; %bb.2367:
	s_wait_loadcnt 0x0
	global_load_b64 v[12:13], v[16:17], off
	s_mov_b32 s6, 0
	s_wait_loadcnt 0x0
	v_trunc_f64_e32 v[12:13], v[12:13]
	s_delay_alu instid0(VALU_DEP_1) | instskip(NEXT) | instid1(VALU_DEP_1)
	v_ldexp_f64 v[20:21], v[12:13], 0xffffffe0
	v_floor_f64_e32 v[20:21], v[20:21]
	s_delay_alu instid0(VALU_DEP_1) | instskip(SKIP_1) | instid1(VALU_DEP_2)
	v_fmamk_f64 v[22:23], v[20:21], 0xc1f00000, v[12:13]
	v_cvt_i32_f64_e32 v13, v[20:21]
	v_cvt_u32_f64_e32 v12, v[22:23]
	s_branch .LBB54_2370
.LBB54_2368:
	s_mov_b32 s6, -1
                                        ; implicit-def: $vgpr12_vgpr13
	s_branch .LBB54_2373
.LBB54_2369:
	s_mov_b32 s6, -1
                                        ; implicit-def: $vgpr12_vgpr13
.LBB54_2370:
	s_delay_alu instid0(SALU_CYCLE_1)
	s_and_not1_b32 vcc_lo, exec_lo, s6
	s_cbranch_vccnz .LBB54_2372
; %bb.2371:
	s_wait_loadcnt 0x0
	global_load_b32 v12, v[16:17], off
	s_wait_loadcnt 0x0
	v_trunc_f32_e32 v12, v12
	s_delay_alu instid0(VALU_DEP_1) | instskip(NEXT) | instid1(VALU_DEP_1)
	v_mul_f32_e64 v13, 0x2f800000, |v12|
	v_floor_f32_e32 v13, v13
	s_delay_alu instid0(VALU_DEP_1) | instskip(SKIP_2) | instid1(VALU_DEP_3)
	v_fma_f32 v15, 0xcf800000, v13, |v12|
	v_ashrrev_i32_e32 v12, 31, v12
	v_cvt_u32_f32_e32 v19, v13
	v_cvt_u32_f32_e32 v15, v15
	s_delay_alu instid0(VALU_DEP_2) | instskip(NEXT) | instid1(VALU_DEP_2)
	v_dual_mov_b32 v13, v12 :: v_dual_bitop2_b32 v21, v19, v12 bitop3:0x14
	v_xor_b32_e32 v20, v15, v12
	s_delay_alu instid0(VALU_DEP_1)
	v_sub_nc_u64_e32 v[12:13], v[20:21], v[12:13]
.LBB54_2372:
	s_mov_b32 s6, 0
.LBB54_2373:
	s_delay_alu instid0(SALU_CYCLE_1)
	s_and_not1_b32 vcc_lo, exec_lo, s6
	s_cbranch_vccnz .LBB54_2375
; %bb.2374:
	s_wait_loadcnt 0x0
	global_load_u16 v12, v[16:17], off
	s_wait_loadcnt 0x0
	v_cvt_f32_f16_e32 v12, v12
	s_delay_alu instid0(VALU_DEP_1) | instskip(NEXT) | instid1(VALU_DEP_1)
	v_cvt_i32_f32_e32 v12, v12
	v_ashrrev_i32_e32 v13, 31, v12
.LBB54_2375:
	s_mov_b32 s6, 0
.LBB54_2376:
	s_delay_alu instid0(SALU_CYCLE_1)
	s_and_not1_b32 vcc_lo, exec_lo, s6
	s_cbranch_vccnz .LBB54_2396
; %bb.2377:
	s_cmp_lt_i32 s0, 2
	s_cbranch_scc1 .LBB54_2381
; %bb.2378:
	s_cmp_lt_i32 s0, 3
	s_cbranch_scc1 .LBB54_2382
; %bb.2379:
	s_cmp_gt_i32 s0, 3
	s_cbranch_scc0 .LBB54_2383
; %bb.2380:
	s_wait_loadcnt 0x0
	global_load_b64 v[12:13], v[16:17], off
	s_mov_b32 s6, 0
	s_branch .LBB54_2384
.LBB54_2381:
	s_mov_b32 s6, -1
                                        ; implicit-def: $vgpr12_vgpr13
	s_branch .LBB54_2390
.LBB54_2382:
	s_mov_b32 s6, -1
                                        ; implicit-def: $vgpr12_vgpr13
	s_branch .LBB54_2387
.LBB54_2383:
	s_mov_b32 s6, -1
                                        ; implicit-def: $vgpr12_vgpr13
.LBB54_2384:
	s_delay_alu instid0(SALU_CYCLE_1)
	s_and_not1_b32 vcc_lo, exec_lo, s6
	s_cbranch_vccnz .LBB54_2386
; %bb.2385:
	s_wait_loadcnt 0x0
	global_load_b32 v12, v[16:17], off
	s_wait_loadcnt 0x0
	v_ashrrev_i32_e32 v13, 31, v12
.LBB54_2386:
	s_mov_b32 s6, 0
.LBB54_2387:
	s_delay_alu instid0(SALU_CYCLE_1)
	s_and_not1_b32 vcc_lo, exec_lo, s6
	s_cbranch_vccnz .LBB54_2389
; %bb.2388:
	s_wait_loadcnt 0x0
	global_load_u16 v12, v[16:17], off
	s_wait_loadcnt 0x0
	v_bfe_i32 v12, v12, 0, 16
	s_delay_alu instid0(VALU_DEP_1)
	v_ashrrev_i32_e32 v13, 31, v12
.LBB54_2389:
	s_mov_b32 s6, 0
.LBB54_2390:
	s_delay_alu instid0(SALU_CYCLE_1)
	s_and_not1_b32 vcc_lo, exec_lo, s6
	s_cbranch_vccnz .LBB54_2396
; %bb.2391:
	s_cmp_gt_i32 s0, 0
	s_mov_b32 s0, 0
	s_cbranch_scc0 .LBB54_2393
; %bb.2392:
	s_wait_loadcnt 0x0
	global_load_i8 v12, v[16:17], off
	s_wait_loadcnt 0x0
	v_bfe_i32 v12, v12, 0, 16
	s_delay_alu instid0(VALU_DEP_1)
	v_ashrrev_i32_e32 v13, 31, v12
	s_branch .LBB54_2394
.LBB54_2393:
	s_mov_b32 s0, -1
                                        ; implicit-def: $vgpr12_vgpr13
.LBB54_2394:
	s_delay_alu instid0(SALU_CYCLE_1)
	s_and_not1_b32 vcc_lo, exec_lo, s0
	s_cbranch_vccnz .LBB54_2396
; %bb.2395:
	s_wait_loadcnt 0x0
	global_load_u8 v12, v[16:17], off
	s_mov_b32 s0, 0
	s_delay_alu instid0(SALU_CYCLE_1)
	v_mov_b32_e32 v13, s0
	s_wait_loadcnt 0x0
	v_and_b32_e32 v12, 0xffff, v12
.LBB54_2396:
	s_mov_b32 s14, -1
.LBB54_2397:
	s_delay_alu instid0(SALU_CYCLE_1)
	s_and_not1_b32 vcc_lo, exec_lo, s14
	s_cbranch_vccnz .LBB54_2957
; %bb.2398:
	v_add_nc_u32_e32 v14, s10, v14
	s_cmp_lt_i32 s1, 11
	s_delay_alu instid0(VALU_DEP_1) | instskip(SKIP_1) | instid1(VALU_DEP_1)
	v_ashrrev_i32_e32 v15, 31, v14
	s_wait_xcnt 0x0
	v_add_nc_u64_e32 v[16:17], s[2:3], v[14:15]
	s_cbranch_scc1 .LBB54_2405
; %bb.2399:
	s_and_b32 s0, 0xffff, s1
	s_mov_b32 s3, 0
	s_cmp_gt_i32 s0, 25
	s_cbranch_scc0 .LBB54_2406
; %bb.2400:
	s_cmp_gt_i32 s0, 28
	s_cbranch_scc0 .LBB54_2407
; %bb.2401:
	;; [unrolled: 3-line block ×4, first 2 shown]
	s_cmp_eq_u32 s0, 46
	s_mov_b32 s7, 0
	s_cbranch_scc0 .LBB54_2411
; %bb.2404:
	global_load_b32 v14, v[16:17], off
	s_mov_b32 s2, 0
	s_mov_b32 s6, -1
	s_wait_loadcnt 0x0
	v_lshlrev_b32_e32 v14, 16, v14
	s_delay_alu instid0(VALU_DEP_1) | instskip(NEXT) | instid1(VALU_DEP_1)
	v_trunc_f32_e32 v14, v14
	v_mul_f32_e64 v15, 0x2f800000, |v14|
	s_delay_alu instid0(VALU_DEP_1) | instskip(NEXT) | instid1(VALU_DEP_1)
	v_floor_f32_e32 v15, v15
	v_fma_f32 v19, 0xcf800000, v15, |v14|
	v_ashrrev_i32_e32 v14, 31, v14
	v_cvt_u32_f32_e32 v20, v15
	s_delay_alu instid0(VALU_DEP_3) | instskip(NEXT) | instid1(VALU_DEP_2)
	v_cvt_u32_f32_e32 v19, v19
	v_dual_mov_b32 v15, v14 :: v_dual_bitop2_b32 v21, v20, v14 bitop3:0x14
	s_delay_alu instid0(VALU_DEP_2) | instskip(NEXT) | instid1(VALU_DEP_1)
	v_xor_b32_e32 v20, v19, v14
	v_sub_nc_u64_e32 v[14:15], v[20:21], v[14:15]
	s_branch .LBB54_2413
.LBB54_2405:
	s_mov_b32 s0, -1
	s_mov_b32 s6, 0
                                        ; implicit-def: $vgpr14_vgpr15
	s_branch .LBB54_2475
.LBB54_2406:
	s_mov_b32 s7, -1
	s_mov_b32 s6, 0
	s_mov_b32 s2, 0
                                        ; implicit-def: $vgpr14_vgpr15
	s_branch .LBB54_2440
.LBB54_2407:
	s_mov_b32 s7, -1
	s_mov_b32 s6, 0
	s_mov_b32 s2, 0
                                        ; implicit-def: $vgpr14_vgpr15
	s_branch .LBB54_2423
.LBB54_2408:
	s_mov_b32 s7, -1
	s_mov_b32 s6, 0
	s_mov_b32 s2, 0
                                        ; implicit-def: $vgpr14_vgpr15
	s_branch .LBB54_2418
.LBB54_2409:
	s_or_b32 s13, s13, exec_lo
	s_trap 2
	s_cbranch_execz .LBB54_2346
	s_branch .LBB54_2347
.LBB54_2410:
	s_mov_b32 s7, -1
	s_mov_b32 s6, 0
	s_mov_b32 s2, 0
	s_branch .LBB54_2412
.LBB54_2411:
	s_mov_b32 s2, -1
	s_mov_b32 s6, 0
.LBB54_2412:
                                        ; implicit-def: $vgpr14_vgpr15
.LBB54_2413:
	s_and_b32 vcc_lo, exec_lo, s7
	s_cbranch_vccz .LBB54_2417
; %bb.2414:
	s_cmp_eq_u32 s0, 44
	s_cbranch_scc0 .LBB54_2416
; %bb.2415:
	global_load_u8 v19, v[16:17], off
	s_mov_b32 s2, 0
	s_mov_b32 s6, -1
	s_wait_loadcnt 0x0
	v_lshlrev_b32_e32 v14, 23, v19
	v_cmp_ne_u32_e32 vcc_lo, 0, v19
	s_delay_alu instid0(VALU_DEP_2) | instskip(NEXT) | instid1(VALU_DEP_1)
	v_trunc_f32_e32 v14, v14
	v_mul_f32_e64 v15, 0x2f800000, |v14|
	s_delay_alu instid0(VALU_DEP_1) | instskip(NEXT) | instid1(VALU_DEP_1)
	v_floor_f32_e32 v15, v15
	v_fma_f32 v20, 0xcf800000, v15, |v14|
	v_ashrrev_i32_e32 v14, 31, v14
	v_cvt_u32_f32_e32 v21, v15
	s_delay_alu instid0(VALU_DEP_3) | instskip(NEXT) | instid1(VALU_DEP_2)
	v_cvt_u32_f32_e32 v20, v20
	v_dual_mov_b32 v15, v14 :: v_dual_bitop2_b32 v21, v21, v14 bitop3:0x14
	s_delay_alu instid0(VALU_DEP_2) | instskip(NEXT) | instid1(VALU_DEP_1)
	v_xor_b32_e32 v20, v20, v14
	v_sub_nc_u64_e32 v[14:15], v[20:21], v[14:15]
	s_delay_alu instid0(VALU_DEP_1)
	v_dual_cndmask_b32 v15, 0, v15 :: v_dual_cndmask_b32 v14, 0, v14
	s_branch .LBB54_2417
.LBB54_2416:
	s_mov_b32 s2, -1
                                        ; implicit-def: $vgpr14_vgpr15
.LBB54_2417:
	s_mov_b32 s7, 0
.LBB54_2418:
	s_delay_alu instid0(SALU_CYCLE_1)
	s_and_b32 vcc_lo, exec_lo, s7
	s_cbranch_vccz .LBB54_2422
; %bb.2419:
	s_cmp_eq_u32 s0, 29
	s_cbranch_scc0 .LBB54_2421
; %bb.2420:
	global_load_b64 v[14:15], v[16:17], off
	s_mov_b32 s2, 0
	s_mov_b32 s6, -1
	s_branch .LBB54_2422
.LBB54_2421:
	s_mov_b32 s2, -1
                                        ; implicit-def: $vgpr14_vgpr15
.LBB54_2422:
	s_mov_b32 s7, 0
.LBB54_2423:
	s_delay_alu instid0(SALU_CYCLE_1)
	s_and_b32 vcc_lo, exec_lo, s7
	s_cbranch_vccz .LBB54_2439
; %bb.2424:
	s_cmp_lt_i32 s0, 27
	s_cbranch_scc1 .LBB54_2427
; %bb.2425:
	s_cmp_gt_i32 s0, 27
	s_cbranch_scc0 .LBB54_2428
; %bb.2426:
	s_wait_loadcnt 0x0
	global_load_b32 v14, v[16:17], off
	v_mov_b32_e32 v15, 0
	s_mov_b32 s6, 0
	s_branch .LBB54_2429
.LBB54_2427:
	s_mov_b32 s6, -1
                                        ; implicit-def: $vgpr14_vgpr15
	s_branch .LBB54_2432
.LBB54_2428:
	s_mov_b32 s6, -1
                                        ; implicit-def: $vgpr14_vgpr15
.LBB54_2429:
	s_delay_alu instid0(SALU_CYCLE_1)
	s_and_not1_b32 vcc_lo, exec_lo, s6
	s_cbranch_vccnz .LBB54_2431
; %bb.2430:
	s_wait_loadcnt 0x0
	global_load_u16 v14, v[16:17], off
	s_mov_b32 s6, 0
	s_delay_alu instid0(SALU_CYCLE_1)
	v_mov_b32_e32 v15, s6
	s_wait_loadcnt 0x0
	v_and_b32_e32 v14, 0xffff, v14
.LBB54_2431:
	s_mov_b32 s6, 0
.LBB54_2432:
	s_delay_alu instid0(SALU_CYCLE_1)
	s_and_not1_b32 vcc_lo, exec_lo, s6
	s_cbranch_vccnz .LBB54_2438
; %bb.2433:
	global_load_u8 v19, v[16:17], off
	s_mov_b32 s7, 0
	s_mov_b32 s6, exec_lo
	s_wait_loadcnt 0x0
	v_cmpx_lt_i16_e32 0x7f, v19
	s_xor_b32 s6, exec_lo, s6
	s_cbranch_execz .LBB54_2450
; %bb.2434:
	v_cmp_ne_u16_e32 vcc_lo, 0x80, v19
	s_and_b32 s7, vcc_lo, exec_lo
	s_and_not1_saveexec_b32 s6, s6
	s_cbranch_execnz .LBB54_2451
.LBB54_2435:
	s_or_b32 exec_lo, exec_lo, s6
	v_mov_b64_e32 v[14:15], 0
	s_and_saveexec_b32 s6, s7
	s_cbranch_execz .LBB54_2437
.LBB54_2436:
	v_and_b32_e32 v14, 0xffff, v19
	s_delay_alu instid0(VALU_DEP_1) | instskip(SKIP_1) | instid1(VALU_DEP_2)
	v_and_b32_e32 v15, 7, v14
	v_bfe_u32 v22, v14, 3, 4
	v_clz_i32_u32_e32 v20, v15
	s_delay_alu instid0(VALU_DEP_2) | instskip(NEXT) | instid1(VALU_DEP_2)
	v_cmp_eq_u32_e32 vcc_lo, 0, v22
	v_min_u32_e32 v20, 32, v20
	s_delay_alu instid0(VALU_DEP_1) | instskip(NEXT) | instid1(VALU_DEP_1)
	v_subrev_nc_u32_e32 v21, 28, v20
	v_dual_lshlrev_b32 v14, v21, v14 :: v_dual_sub_nc_u32 v20, 29, v20
	s_delay_alu instid0(VALU_DEP_1) | instskip(NEXT) | instid1(VALU_DEP_1)
	v_dual_lshlrev_b32 v19, 24, v19 :: v_dual_bitop2_b32 v14, 7, v14 bitop3:0x40
	v_dual_cndmask_b32 v20, v22, v20, vcc_lo :: v_dual_cndmask_b32 v14, v15, v14, vcc_lo
	s_delay_alu instid0(VALU_DEP_2) | instskip(NEXT) | instid1(VALU_DEP_2)
	v_and_b32_e32 v15, 0x80000000, v19
	v_lshl_add_u32 v19, v20, 23, 0x3b800000
	s_delay_alu instid0(VALU_DEP_3) | instskip(NEXT) | instid1(VALU_DEP_1)
	v_lshlrev_b32_e32 v14, 20, v14
	v_or3_b32 v14, v15, v19, v14
	s_delay_alu instid0(VALU_DEP_1) | instskip(NEXT) | instid1(VALU_DEP_1)
	v_trunc_f32_e32 v14, v14
	v_mul_f32_e64 v15, 0x2f800000, |v14|
	s_delay_alu instid0(VALU_DEP_1) | instskip(NEXT) | instid1(VALU_DEP_1)
	v_floor_f32_e32 v15, v15
	v_fma_f32 v19, 0xcf800000, v15, |v14|
	v_ashrrev_i32_e32 v14, 31, v14
	v_cvt_u32_f32_e32 v20, v15
	s_delay_alu instid0(VALU_DEP_3) | instskip(NEXT) | instid1(VALU_DEP_2)
	v_cvt_u32_f32_e32 v19, v19
	v_dual_mov_b32 v15, v14 :: v_dual_bitop2_b32 v21, v20, v14 bitop3:0x14
	s_delay_alu instid0(VALU_DEP_2) | instskip(NEXT) | instid1(VALU_DEP_1)
	v_xor_b32_e32 v20, v19, v14
	v_sub_nc_u64_e32 v[14:15], v[20:21], v[14:15]
.LBB54_2437:
	s_or_b32 exec_lo, exec_lo, s6
.LBB54_2438:
	s_mov_b32 s6, -1
.LBB54_2439:
	s_mov_b32 s7, 0
.LBB54_2440:
	s_delay_alu instid0(SALU_CYCLE_1)
	s_and_b32 vcc_lo, exec_lo, s7
	s_cbranch_vccz .LBB54_2471
; %bb.2441:
	s_cmp_gt_i32 s0, 22
	s_cbranch_scc0 .LBB54_2449
; %bb.2442:
	s_cmp_lt_i32 s0, 24
	s_cbranch_scc1 .LBB54_2452
; %bb.2443:
	s_cmp_gt_i32 s0, 24
	s_cbranch_scc0 .LBB54_2453
; %bb.2444:
	global_load_u8 v19, v[16:17], off
	s_mov_b32 s6, 0
	s_mov_b32 s3, exec_lo
	s_wait_loadcnt 0x0
	v_cmpx_lt_i16_e32 0x7f, v19
	s_xor_b32 s3, exec_lo, s3
	s_cbranch_execz .LBB54_2465
; %bb.2445:
	v_cmp_ne_u16_e32 vcc_lo, 0x80, v19
	s_and_b32 s6, vcc_lo, exec_lo
	s_and_not1_saveexec_b32 s3, s3
	s_cbranch_execnz .LBB54_2466
.LBB54_2446:
	s_or_b32 exec_lo, exec_lo, s3
	v_mov_b64_e32 v[14:15], 0
	s_and_saveexec_b32 s3, s6
	s_cbranch_execz .LBB54_2448
.LBB54_2447:
	v_and_b32_e32 v14, 0xffff, v19
	s_delay_alu instid0(VALU_DEP_1) | instskip(SKIP_1) | instid1(VALU_DEP_2)
	v_and_b32_e32 v15, 3, v14
	v_bfe_u32 v22, v14, 2, 5
	v_clz_i32_u32_e32 v20, v15
	s_delay_alu instid0(VALU_DEP_2) | instskip(NEXT) | instid1(VALU_DEP_2)
	v_cmp_eq_u32_e32 vcc_lo, 0, v22
	v_min_u32_e32 v20, 32, v20
	s_delay_alu instid0(VALU_DEP_1) | instskip(NEXT) | instid1(VALU_DEP_1)
	v_subrev_nc_u32_e32 v21, 29, v20
	v_dual_lshlrev_b32 v14, v21, v14 :: v_dual_sub_nc_u32 v20, 30, v20
	s_delay_alu instid0(VALU_DEP_1) | instskip(NEXT) | instid1(VALU_DEP_1)
	v_dual_lshlrev_b32 v19, 24, v19 :: v_dual_bitop2_b32 v14, 3, v14 bitop3:0x40
	v_dual_cndmask_b32 v20, v22, v20, vcc_lo :: v_dual_cndmask_b32 v14, v15, v14, vcc_lo
	s_delay_alu instid0(VALU_DEP_2) | instskip(NEXT) | instid1(VALU_DEP_2)
	v_and_b32_e32 v15, 0x80000000, v19
	v_lshl_add_u32 v19, v20, 23, 0x37800000
	s_delay_alu instid0(VALU_DEP_3) | instskip(NEXT) | instid1(VALU_DEP_1)
	v_lshlrev_b32_e32 v14, 21, v14
	v_or3_b32 v14, v15, v19, v14
	s_delay_alu instid0(VALU_DEP_1) | instskip(NEXT) | instid1(VALU_DEP_1)
	v_trunc_f32_e32 v14, v14
	v_mul_f32_e64 v15, 0x2f800000, |v14|
	s_delay_alu instid0(VALU_DEP_1) | instskip(NEXT) | instid1(VALU_DEP_1)
	v_floor_f32_e32 v15, v15
	v_fma_f32 v19, 0xcf800000, v15, |v14|
	v_ashrrev_i32_e32 v14, 31, v14
	v_cvt_u32_f32_e32 v20, v15
	s_delay_alu instid0(VALU_DEP_3) | instskip(NEXT) | instid1(VALU_DEP_2)
	v_cvt_u32_f32_e32 v19, v19
	v_dual_mov_b32 v15, v14 :: v_dual_bitop2_b32 v21, v20, v14 bitop3:0x14
	s_delay_alu instid0(VALU_DEP_2) | instskip(NEXT) | instid1(VALU_DEP_1)
	v_xor_b32_e32 v20, v19, v14
	v_sub_nc_u64_e32 v[14:15], v[20:21], v[14:15]
.LBB54_2448:
	s_or_b32 exec_lo, exec_lo, s3
	s_mov_b32 s3, 0
	s_branch .LBB54_2454
.LBB54_2449:
	s_mov_b32 s3, -1
                                        ; implicit-def: $vgpr14_vgpr15
	s_branch .LBB54_2460
.LBB54_2450:
	s_and_not1_saveexec_b32 s6, s6
	s_cbranch_execz .LBB54_2435
.LBB54_2451:
	v_cmp_ne_u16_e32 vcc_lo, 0, v19
	s_and_not1_b32 s7, s7, exec_lo
	s_and_b32 s9, vcc_lo, exec_lo
	s_delay_alu instid0(SALU_CYCLE_1)
	s_or_b32 s7, s7, s9
	s_or_b32 exec_lo, exec_lo, s6
	v_mov_b64_e32 v[14:15], 0
	s_and_saveexec_b32 s6, s7
	s_cbranch_execnz .LBB54_2436
	s_branch .LBB54_2437
.LBB54_2452:
	s_mov_b32 s3, -1
                                        ; implicit-def: $vgpr14_vgpr15
	s_branch .LBB54_2457
.LBB54_2453:
	s_mov_b32 s3, -1
                                        ; implicit-def: $vgpr14_vgpr15
.LBB54_2454:
	s_delay_alu instid0(SALU_CYCLE_1)
	s_and_b32 vcc_lo, exec_lo, s3
	s_cbranch_vccz .LBB54_2456
; %bb.2455:
	s_wait_loadcnt 0x0
	global_load_u8 v14, v[16:17], off
	s_wait_loadcnt 0x0
	v_lshlrev_b32_e32 v14, 24, v14
	s_delay_alu instid0(VALU_DEP_1) | instskip(NEXT) | instid1(VALU_DEP_1)
	v_and_b32_e32 v15, 0x7f000000, v14
	v_clz_i32_u32_e32 v19, v15
	v_add_nc_u32_e32 v21, 0x1000000, v15
	v_cmp_ne_u32_e32 vcc_lo, 0, v15
	s_delay_alu instid0(VALU_DEP_3) | instskip(NEXT) | instid1(VALU_DEP_1)
	v_min_u32_e32 v19, 32, v19
	v_sub_nc_u32_e64 v19, v19, 4 clamp
	s_delay_alu instid0(VALU_DEP_1) | instskip(NEXT) | instid1(VALU_DEP_1)
	v_lshlrev_b32_e32 v20, v19, v15
	v_dual_lshlrev_b32 v19, 23, v19 :: v_dual_lshrrev_b32 v20, 4, v20
	s_delay_alu instid0(VALU_DEP_1) | instskip(NEXT) | instid1(VALU_DEP_1)
	v_dual_sub_nc_u32 v19, v20, v19 :: v_dual_ashrrev_i32 v20, 8, v21
	v_add_nc_u32_e32 v19, 0x3c000000, v19
	s_delay_alu instid0(VALU_DEP_1) | instskip(NEXT) | instid1(VALU_DEP_1)
	v_and_or_b32 v19, 0x7f800000, v20, v19
	v_cndmask_b32_e32 v15, 0, v19, vcc_lo
	s_delay_alu instid0(VALU_DEP_1) | instskip(NEXT) | instid1(VALU_DEP_1)
	v_and_or_b32 v14, 0x80000000, v14, v15
	v_trunc_f32_e32 v14, v14
	s_delay_alu instid0(VALU_DEP_1) | instskip(NEXT) | instid1(VALU_DEP_1)
	v_mul_f32_e64 v15, 0x2f800000, |v14|
	v_floor_f32_e32 v15, v15
	s_delay_alu instid0(VALU_DEP_1) | instskip(SKIP_2) | instid1(VALU_DEP_3)
	v_fma_f32 v19, 0xcf800000, v15, |v14|
	v_ashrrev_i32_e32 v14, 31, v14
	v_cvt_u32_f32_e32 v20, v15
	v_cvt_u32_f32_e32 v19, v19
	s_delay_alu instid0(VALU_DEP_2) | instskip(NEXT) | instid1(VALU_DEP_2)
	v_dual_mov_b32 v15, v14 :: v_dual_bitop2_b32 v21, v20, v14 bitop3:0x14
	v_xor_b32_e32 v20, v19, v14
	s_delay_alu instid0(VALU_DEP_1)
	v_sub_nc_u64_e32 v[14:15], v[20:21], v[14:15]
.LBB54_2456:
	s_mov_b32 s3, 0
.LBB54_2457:
	s_delay_alu instid0(SALU_CYCLE_1)
	s_and_not1_b32 vcc_lo, exec_lo, s3
	s_cbranch_vccnz .LBB54_2459
; %bb.2458:
	s_wait_loadcnt 0x0
	global_load_u8 v14, v[16:17], off
	s_wait_loadcnt 0x0
	v_lshlrev_b32_e32 v15, 25, v14
	v_lshlrev_b16 v14, 8, v14
	s_delay_alu instid0(VALU_DEP_1) | instskip(SKIP_1) | instid1(VALU_DEP_2)
	v_and_or_b32 v20, 0x7f00, v14, 0.5
	v_bfe_i32 v14, v14, 0, 16
	v_dual_add_f32 v20, -0.5, v20 :: v_dual_lshrrev_b32 v19, 4, v15
	v_cmp_gt_u32_e32 vcc_lo, 0x8000000, v15
	s_delay_alu instid0(VALU_DEP_2) | instskip(NEXT) | instid1(VALU_DEP_1)
	v_or_b32_e32 v19, 0x70000000, v19
	v_mul_f32_e32 v19, 0x7800000, v19
	s_delay_alu instid0(VALU_DEP_1) | instskip(NEXT) | instid1(VALU_DEP_1)
	v_cndmask_b32_e32 v15, v19, v20, vcc_lo
	v_and_or_b32 v14, 0x80000000, v14, v15
	s_delay_alu instid0(VALU_DEP_1) | instskip(NEXT) | instid1(VALU_DEP_1)
	v_trunc_f32_e32 v14, v14
	v_mul_f32_e64 v15, 0x2f800000, |v14|
	s_delay_alu instid0(VALU_DEP_1) | instskip(NEXT) | instid1(VALU_DEP_1)
	v_floor_f32_e32 v15, v15
	v_fma_f32 v19, 0xcf800000, v15, |v14|
	v_ashrrev_i32_e32 v14, 31, v14
	v_cvt_u32_f32_e32 v20, v15
	s_delay_alu instid0(VALU_DEP_3) | instskip(NEXT) | instid1(VALU_DEP_2)
	v_cvt_u32_f32_e32 v19, v19
	v_dual_mov_b32 v15, v14 :: v_dual_bitop2_b32 v21, v20, v14 bitop3:0x14
	s_delay_alu instid0(VALU_DEP_2) | instskip(NEXT) | instid1(VALU_DEP_1)
	v_xor_b32_e32 v20, v19, v14
	v_sub_nc_u64_e32 v[14:15], v[20:21], v[14:15]
.LBB54_2459:
	s_mov_b32 s3, 0
	s_mov_b32 s6, -1
.LBB54_2460:
	s_and_not1_b32 vcc_lo, exec_lo, s3
	s_mov_b32 s3, 0
	s_cbranch_vccnz .LBB54_2471
; %bb.2461:
	s_cmp_gt_i32 s0, 14
	s_cbranch_scc0 .LBB54_2464
; %bb.2462:
	s_cmp_eq_u32 s0, 15
	s_cbranch_scc0 .LBB54_2467
; %bb.2463:
	s_wait_loadcnt 0x0
	global_load_u16 v14, v[16:17], off
	s_mov_b32 s2, 0
	s_mov_b32 s6, -1
	s_wait_loadcnt 0x0
	v_lshlrev_b32_e32 v14, 16, v14
	s_delay_alu instid0(VALU_DEP_1) | instskip(NEXT) | instid1(VALU_DEP_1)
	v_trunc_f32_e32 v14, v14
	v_mul_f32_e64 v15, 0x2f800000, |v14|
	s_delay_alu instid0(VALU_DEP_1) | instskip(NEXT) | instid1(VALU_DEP_1)
	v_floor_f32_e32 v15, v15
	v_fma_f32 v19, 0xcf800000, v15, |v14|
	v_ashrrev_i32_e32 v14, 31, v14
	v_cvt_u32_f32_e32 v20, v15
	s_delay_alu instid0(VALU_DEP_3) | instskip(NEXT) | instid1(VALU_DEP_2)
	v_cvt_u32_f32_e32 v19, v19
	v_dual_mov_b32 v15, v14 :: v_dual_bitop2_b32 v21, v20, v14 bitop3:0x14
	s_delay_alu instid0(VALU_DEP_2) | instskip(NEXT) | instid1(VALU_DEP_1)
	v_xor_b32_e32 v20, v19, v14
	v_sub_nc_u64_e32 v[14:15], v[20:21], v[14:15]
	s_branch .LBB54_2469
.LBB54_2464:
	s_mov_b32 s3, -1
	s_branch .LBB54_2468
.LBB54_2465:
	s_and_not1_saveexec_b32 s3, s3
	s_cbranch_execz .LBB54_2446
.LBB54_2466:
	v_cmp_ne_u16_e32 vcc_lo, 0, v19
	s_and_not1_b32 s6, s6, exec_lo
	s_and_b32 s7, vcc_lo, exec_lo
	s_delay_alu instid0(SALU_CYCLE_1)
	s_or_b32 s6, s6, s7
	s_or_b32 exec_lo, exec_lo, s3
	v_mov_b64_e32 v[14:15], 0
	s_and_saveexec_b32 s3, s6
	s_cbranch_execnz .LBB54_2447
	s_branch .LBB54_2448
.LBB54_2467:
	s_mov_b32 s2, -1
.LBB54_2468:
                                        ; implicit-def: $vgpr14_vgpr15
.LBB54_2469:
	s_and_b32 vcc_lo, exec_lo, s3
	s_mov_b32 s3, 0
	s_cbranch_vccz .LBB54_2471
; %bb.2470:
	s_cmp_lg_u32 s0, 11
	s_mov_b32 s3, -1
	s_cselect_b32 s2, -1, 0
.LBB54_2471:
	s_delay_alu instid0(SALU_CYCLE_1)
	s_and_b32 vcc_lo, exec_lo, s2
	s_cbranch_vccnz .LBB54_3003
; %bb.2472:
	s_and_not1_b32 vcc_lo, exec_lo, s3
	s_cbranch_vccnz .LBB54_2474
.LBB54_2473:
	s_wait_loadcnt 0x0
	global_load_u8 v14, v[16:17], off
	s_mov_b32 s0, 0
	s_mov_b32 s6, -1
	v_mov_b32_e32 v15, s0
	s_wait_loadcnt 0x0
	v_cmp_ne_u16_e32 vcc_lo, 0, v14
	v_cndmask_b32_e64 v14, 0, 1, vcc_lo
.LBB54_2474:
	s_mov_b32 s0, 0
.LBB54_2475:
	s_delay_alu instid0(SALU_CYCLE_1)
	s_and_b32 vcc_lo, exec_lo, s0
	s_cbranch_vccz .LBB54_2524
; %bb.2476:
	s_and_b32 s0, 0xffff, s1
	s_delay_alu instid0(SALU_CYCLE_1)
	s_cmp_lt_i32 s0, 5
	s_cbranch_scc1 .LBB54_2481
; %bb.2477:
	s_cmp_lt_i32 s0, 8
	s_cbranch_scc1 .LBB54_2482
; %bb.2478:
	;; [unrolled: 3-line block ×3, first 2 shown]
	s_cmp_gt_i32 s0, 9
	s_cbranch_scc0 .LBB54_2484
; %bb.2480:
	s_wait_loadcnt 0x0
	global_load_b64 v[14:15], v[16:17], off
	s_mov_b32 s1, 0
	s_wait_loadcnt 0x0
	v_trunc_f64_e32 v[14:15], v[14:15]
	s_delay_alu instid0(VALU_DEP_1) | instskip(NEXT) | instid1(VALU_DEP_1)
	v_ldexp_f64 v[20:21], v[14:15], 0xffffffe0
	v_floor_f64_e32 v[20:21], v[20:21]
	s_delay_alu instid0(VALU_DEP_1) | instskip(SKIP_1) | instid1(VALU_DEP_2)
	v_fmamk_f64 v[22:23], v[20:21], 0xc1f00000, v[14:15]
	v_cvt_i32_f64_e32 v15, v[20:21]
	v_cvt_u32_f64_e32 v14, v[22:23]
	s_branch .LBB54_2485
.LBB54_2481:
	s_mov_b32 s1, -1
                                        ; implicit-def: $vgpr14_vgpr15
	s_branch .LBB54_2503
.LBB54_2482:
	s_mov_b32 s1, -1
                                        ; implicit-def: $vgpr14_vgpr15
	s_branch .LBB54_2491
.LBB54_2483:
	s_mov_b32 s1, -1
                                        ; implicit-def: $vgpr14_vgpr15
	s_branch .LBB54_2488
.LBB54_2484:
	s_mov_b32 s1, -1
                                        ; implicit-def: $vgpr14_vgpr15
.LBB54_2485:
	s_delay_alu instid0(SALU_CYCLE_1)
	s_and_not1_b32 vcc_lo, exec_lo, s1
	s_cbranch_vccnz .LBB54_2487
; %bb.2486:
	s_wait_loadcnt 0x0
	global_load_b32 v14, v[16:17], off
	s_wait_loadcnt 0x0
	v_trunc_f32_e32 v14, v14
	s_delay_alu instid0(VALU_DEP_1) | instskip(NEXT) | instid1(VALU_DEP_1)
	v_mul_f32_e64 v15, 0x2f800000, |v14|
	v_floor_f32_e32 v15, v15
	s_delay_alu instid0(VALU_DEP_1) | instskip(SKIP_2) | instid1(VALU_DEP_3)
	v_fma_f32 v19, 0xcf800000, v15, |v14|
	v_ashrrev_i32_e32 v14, 31, v14
	v_cvt_u32_f32_e32 v20, v15
	v_cvt_u32_f32_e32 v19, v19
	s_delay_alu instid0(VALU_DEP_2) | instskip(NEXT) | instid1(VALU_DEP_2)
	v_dual_mov_b32 v15, v14 :: v_dual_bitop2_b32 v21, v20, v14 bitop3:0x14
	v_xor_b32_e32 v20, v19, v14
	s_delay_alu instid0(VALU_DEP_1)
	v_sub_nc_u64_e32 v[14:15], v[20:21], v[14:15]
.LBB54_2487:
	s_mov_b32 s1, 0
.LBB54_2488:
	s_delay_alu instid0(SALU_CYCLE_1)
	s_and_not1_b32 vcc_lo, exec_lo, s1
	s_cbranch_vccnz .LBB54_2490
; %bb.2489:
	s_wait_loadcnt 0x0
	global_load_b32 v14, v[16:17], off
	s_wait_loadcnt 0x0
	v_cvt_f32_f16_e32 v14, v14
	s_delay_alu instid0(VALU_DEP_1) | instskip(NEXT) | instid1(VALU_DEP_1)
	v_cvt_i32_f32_e32 v14, v14
	v_ashrrev_i32_e32 v15, 31, v14
.LBB54_2490:
	s_mov_b32 s1, 0
.LBB54_2491:
	s_delay_alu instid0(SALU_CYCLE_1)
	s_and_not1_b32 vcc_lo, exec_lo, s1
	s_cbranch_vccnz .LBB54_2502
; %bb.2492:
	s_cmp_lt_i32 s0, 6
	s_cbranch_scc1 .LBB54_2495
; %bb.2493:
	s_cmp_gt_i32 s0, 6
	s_cbranch_scc0 .LBB54_2496
; %bb.2494:
	s_wait_loadcnt 0x0
	global_load_b64 v[14:15], v[16:17], off
	s_mov_b32 s1, 0
	s_wait_loadcnt 0x0
	v_trunc_f64_e32 v[14:15], v[14:15]
	s_delay_alu instid0(VALU_DEP_1) | instskip(NEXT) | instid1(VALU_DEP_1)
	v_ldexp_f64 v[20:21], v[14:15], 0xffffffe0
	v_floor_f64_e32 v[20:21], v[20:21]
	s_delay_alu instid0(VALU_DEP_1) | instskip(SKIP_1) | instid1(VALU_DEP_2)
	v_fmamk_f64 v[22:23], v[20:21], 0xc1f00000, v[14:15]
	v_cvt_i32_f64_e32 v15, v[20:21]
	v_cvt_u32_f64_e32 v14, v[22:23]
	s_branch .LBB54_2497
.LBB54_2495:
	s_mov_b32 s1, -1
                                        ; implicit-def: $vgpr14_vgpr15
	s_branch .LBB54_2500
.LBB54_2496:
	s_mov_b32 s1, -1
                                        ; implicit-def: $vgpr14_vgpr15
.LBB54_2497:
	s_delay_alu instid0(SALU_CYCLE_1)
	s_and_not1_b32 vcc_lo, exec_lo, s1
	s_cbranch_vccnz .LBB54_2499
; %bb.2498:
	s_wait_loadcnt 0x0
	global_load_b32 v14, v[16:17], off
	s_wait_loadcnt 0x0
	v_trunc_f32_e32 v14, v14
	s_delay_alu instid0(VALU_DEP_1) | instskip(NEXT) | instid1(VALU_DEP_1)
	v_mul_f32_e64 v15, 0x2f800000, |v14|
	v_floor_f32_e32 v15, v15
	s_delay_alu instid0(VALU_DEP_1) | instskip(SKIP_2) | instid1(VALU_DEP_3)
	v_fma_f32 v19, 0xcf800000, v15, |v14|
	v_ashrrev_i32_e32 v14, 31, v14
	v_cvt_u32_f32_e32 v20, v15
	v_cvt_u32_f32_e32 v19, v19
	s_delay_alu instid0(VALU_DEP_2) | instskip(NEXT) | instid1(VALU_DEP_2)
	v_dual_mov_b32 v15, v14 :: v_dual_bitop2_b32 v21, v20, v14 bitop3:0x14
	v_xor_b32_e32 v20, v19, v14
	s_delay_alu instid0(VALU_DEP_1)
	v_sub_nc_u64_e32 v[14:15], v[20:21], v[14:15]
.LBB54_2499:
	s_mov_b32 s1, 0
.LBB54_2500:
	s_delay_alu instid0(SALU_CYCLE_1)
	s_and_not1_b32 vcc_lo, exec_lo, s1
	s_cbranch_vccnz .LBB54_2502
; %bb.2501:
	s_wait_loadcnt 0x0
	global_load_u16 v14, v[16:17], off
	s_wait_loadcnt 0x0
	v_cvt_f32_f16_e32 v14, v14
	s_delay_alu instid0(VALU_DEP_1) | instskip(NEXT) | instid1(VALU_DEP_1)
	v_cvt_i32_f32_e32 v14, v14
	v_ashrrev_i32_e32 v15, 31, v14
.LBB54_2502:
	s_mov_b32 s1, 0
.LBB54_2503:
	s_delay_alu instid0(SALU_CYCLE_1)
	s_and_not1_b32 vcc_lo, exec_lo, s1
	s_cbranch_vccnz .LBB54_2523
; %bb.2504:
	s_cmp_lt_i32 s0, 2
	s_cbranch_scc1 .LBB54_2508
; %bb.2505:
	s_cmp_lt_i32 s0, 3
	s_cbranch_scc1 .LBB54_2509
; %bb.2506:
	s_cmp_gt_i32 s0, 3
	s_cbranch_scc0 .LBB54_2510
; %bb.2507:
	s_wait_loadcnt 0x0
	global_load_b64 v[14:15], v[16:17], off
	s_mov_b32 s1, 0
	s_branch .LBB54_2511
.LBB54_2508:
	s_mov_b32 s1, -1
                                        ; implicit-def: $vgpr14_vgpr15
	s_branch .LBB54_2517
.LBB54_2509:
	s_mov_b32 s1, -1
                                        ; implicit-def: $vgpr14_vgpr15
	s_branch .LBB54_2514
.LBB54_2510:
	s_mov_b32 s1, -1
                                        ; implicit-def: $vgpr14_vgpr15
.LBB54_2511:
	s_delay_alu instid0(SALU_CYCLE_1)
	s_and_not1_b32 vcc_lo, exec_lo, s1
	s_cbranch_vccnz .LBB54_2513
; %bb.2512:
	s_wait_loadcnt 0x0
	global_load_b32 v14, v[16:17], off
	s_wait_loadcnt 0x0
	v_ashrrev_i32_e32 v15, 31, v14
.LBB54_2513:
	s_mov_b32 s1, 0
.LBB54_2514:
	s_delay_alu instid0(SALU_CYCLE_1)
	s_and_not1_b32 vcc_lo, exec_lo, s1
	s_cbranch_vccnz .LBB54_2516
; %bb.2515:
	s_wait_loadcnt 0x0
	global_load_u16 v14, v[16:17], off
	s_wait_loadcnt 0x0
	v_bfe_i32 v14, v14, 0, 16
	s_delay_alu instid0(VALU_DEP_1)
	v_ashrrev_i32_e32 v15, 31, v14
.LBB54_2516:
	s_mov_b32 s1, 0
.LBB54_2517:
	s_delay_alu instid0(SALU_CYCLE_1)
	s_and_not1_b32 vcc_lo, exec_lo, s1
	s_cbranch_vccnz .LBB54_2523
; %bb.2518:
	s_cmp_gt_i32 s0, 0
	s_mov_b32 s0, 0
	s_cbranch_scc0 .LBB54_2520
; %bb.2519:
	s_wait_loadcnt 0x0
	global_load_i8 v14, v[16:17], off
	s_wait_loadcnt 0x0
	v_bfe_i32 v14, v14, 0, 16
	s_delay_alu instid0(VALU_DEP_1)
	v_ashrrev_i32_e32 v15, 31, v14
	s_branch .LBB54_2521
.LBB54_2520:
	s_mov_b32 s0, -1
                                        ; implicit-def: $vgpr14_vgpr15
.LBB54_2521:
	s_delay_alu instid0(SALU_CYCLE_1)
	s_and_not1_b32 vcc_lo, exec_lo, s0
	s_cbranch_vccnz .LBB54_2523
; %bb.2522:
	s_wait_loadcnt 0x0
	global_load_u8 v14, v[16:17], off
	s_mov_b32 s0, 0
	s_delay_alu instid0(SALU_CYCLE_1)
	v_mov_b32_e32 v15, s0
	s_wait_loadcnt 0x0
	v_and_b32_e32 v14, 0xffff, v14
.LBB54_2523:
	s_mov_b32 s6, -1
.LBB54_2524:
	s_delay_alu instid0(SALU_CYCLE_1)
	s_and_not1_b32 vcc_lo, exec_lo, s6
	s_cbranch_vccnz .LBB54_2957
; %bb.2525:
	s_wait_xcnt 0x0
	v_mul_lo_u32 v16, s8, v18
	s_wait_loadcnt 0x0
	v_cmp_ne_u64_e32 vcc_lo, v[0:1], v[2:3]
	s_cmp_eq_u32 s11, 0
	s_mov_b32 s7, 0
	s_cselect_b32 s1, -1, 0
	s_and_b32 s17, s12, 0xff
	s_mov_b32 s0, -1
	s_xor_b32 s2, s1, vcc_lo
	s_cmp_lt_i32 s17, 11
	s_delay_alu instid0(VALU_DEP_2) | instskip(NEXT) | instid1(VALU_DEP_1)
	v_ashrrev_i32_e32 v17, 31, v16
	v_add_nc_u64_e32 v[0:1], s[4:5], v[16:17]
	s_cbranch_scc1 .LBB54_2604
; %bb.2526:
	s_and_b32 s3, 0xffff, s17
	s_mov_b32 s9, -1
	s_mov_b32 s6, 0
	s_cmp_gt_i32 s3, 25
	s_mov_b32 s0, 0
	s_cbranch_scc0 .LBB54_2559
; %bb.2527:
	s_cmp_gt_i32 s3, 28
	s_cbranch_scc0 .LBB54_2542
; %bb.2528:
	s_cmp_gt_i32 s3, 43
	;; [unrolled: 3-line block ×3, first 2 shown]
	s_cbranch_scc0 .LBB54_2532
; %bb.2530:
	s_mov_b32 s0, -1
	s_mov_b32 s9, 0
	s_cmp_eq_u32 s3, 46
	s_cbranch_scc0 .LBB54_2532
; %bb.2531:
	v_cndmask_b32_e64 v2, 0, 1.0, s2
	s_mov_b32 s0, 0
	s_mov_b32 s7, -1
	s_delay_alu instid0(VALU_DEP_1) | instskip(NEXT) | instid1(VALU_DEP_1)
	v_bfe_u32 v3, v2, 16, 1
	v_add3_u32 v2, v2, v3, 0x7fff
	s_delay_alu instid0(VALU_DEP_1)
	v_lshrrev_b32_e32 v2, 16, v2
	global_store_b32 v[0:1], v2, off
.LBB54_2532:
	s_and_b32 vcc_lo, exec_lo, s9
	s_cbranch_vccz .LBB54_2537
; %bb.2533:
	s_cmp_eq_u32 s3, 44
	s_mov_b32 s0, -1
	s_cbranch_scc0 .LBB54_2537
; %bb.2534:
	v_cndmask_b32_e64 v17, 0, 1.0, s2
	s_mov_b32 s7, exec_lo
	s_wait_xcnt 0x0
	s_delay_alu instid0(VALU_DEP_1) | instskip(NEXT) | instid1(VALU_DEP_1)
	v_dual_mov_b32 v3, 0xff :: v_dual_lshrrev_b32 v2, 23, v17
	v_cmpx_ne_u32_e32 0xff, v2
; %bb.2535:
	v_and_b32_e32 v3, 0x400000, v17
	v_and_or_b32 v17, 0x3fffff, v17, v2
	s_delay_alu instid0(VALU_DEP_2) | instskip(NEXT) | instid1(VALU_DEP_2)
	v_cmp_ne_u32_e32 vcc_lo, 0, v3
	v_cmp_ne_u32_e64 s0, 0, v17
	s_and_b32 s0, vcc_lo, s0
	s_delay_alu instid0(SALU_CYCLE_1) | instskip(NEXT) | instid1(VALU_DEP_1)
	v_cndmask_b32_e64 v3, 0, 1, s0
	v_add_nc_u32_e32 v3, v2, v3
; %bb.2536:
	s_or_b32 exec_lo, exec_lo, s7
	s_mov_b32 s0, 0
	s_mov_b32 s7, -1
	global_store_b8 v[0:1], v3, off
.LBB54_2537:
	s_mov_b32 s9, 0
.LBB54_2538:
	s_delay_alu instid0(SALU_CYCLE_1)
	s_and_b32 vcc_lo, exec_lo, s9
	s_cbranch_vccz .LBB54_2541
; %bb.2539:
	s_cmp_eq_u32 s3, 29
	s_mov_b32 s0, -1
	s_cbranch_scc0 .LBB54_2541
; %bb.2540:
	s_mov_b32 s0, 0
	s_wait_xcnt 0x0
	v_cndmask_b32_e64 v2, 0, 1, s2
	v_mov_b32_e32 v3, s0
	s_mov_b32 s7, -1
	global_store_b64 v[0:1], v[2:3], off
.LBB54_2541:
	s_mov_b32 s9, 0
.LBB54_2542:
	s_delay_alu instid0(SALU_CYCLE_1)
	s_and_b32 vcc_lo, exec_lo, s9
	s_cbranch_vccz .LBB54_2558
; %bb.2543:
	s_cmp_lt_i32 s3, 27
	s_mov_b32 s7, -1
	s_cbranch_scc1 .LBB54_2549
; %bb.2544:
	s_cmp_gt_i32 s3, 27
	s_cbranch_scc0 .LBB54_2546
; %bb.2545:
	s_wait_xcnt 0x0
	v_cndmask_b32_e64 v2, 0, 1, s2
	s_mov_b32 s7, 0
	global_store_b32 v[0:1], v2, off
.LBB54_2546:
	s_and_not1_b32 vcc_lo, exec_lo, s7
	s_cbranch_vccnz .LBB54_2548
; %bb.2547:
	s_wait_xcnt 0x0
	v_cndmask_b32_e64 v2, 0, 1, s2
	global_store_b16 v[0:1], v2, off
.LBB54_2548:
	s_mov_b32 s7, 0
.LBB54_2549:
	s_delay_alu instid0(SALU_CYCLE_1)
	s_and_not1_b32 vcc_lo, exec_lo, s7
	s_cbranch_vccnz .LBB54_2557
; %bb.2550:
	s_wait_xcnt 0x0
	v_cndmask_b32_e64 v3, 0, 1.0, s2
	v_mov_b32_e32 v17, 0x80
	s_mov_b32 s7, exec_lo
	s_delay_alu instid0(VALU_DEP_2)
	v_cmpx_gt_u32_e32 0x43800000, v3
	s_cbranch_execz .LBB54_2556
; %bb.2551:
	s_mov_b32 s9, 0
	s_mov_b32 s10, exec_lo
                                        ; implicit-def: $vgpr2
	v_cmpx_lt_u32_e32 0x3bffffff, v3
	s_xor_b32 s10, exec_lo, s10
	s_cbranch_execz .LBB54_3004
; %bb.2552:
	v_bfe_u32 v2, v3, 20, 1
	s_mov_b32 s9, exec_lo
	s_delay_alu instid0(VALU_DEP_1) | instskip(NEXT) | instid1(VALU_DEP_1)
	v_add3_u32 v2, v3, v2, 0x487ffff
                                        ; implicit-def: $vgpr3
	v_lshrrev_b32_e32 v2, 20, v2
	s_and_not1_saveexec_b32 s10, s10
	s_cbranch_execnz .LBB54_3005
.LBB54_2553:
	s_or_b32 exec_lo, exec_lo, s10
	v_mov_b32_e32 v17, 0
	s_and_saveexec_b32 s10, s9
.LBB54_2554:
	v_mov_b32_e32 v17, v2
.LBB54_2555:
	s_or_b32 exec_lo, exec_lo, s10
.LBB54_2556:
	s_delay_alu instid0(SALU_CYCLE_1)
	s_or_b32 exec_lo, exec_lo, s7
	global_store_b8 v[0:1], v17, off
.LBB54_2557:
	s_mov_b32 s7, -1
.LBB54_2558:
	s_mov_b32 s9, 0
.LBB54_2559:
	s_delay_alu instid0(SALU_CYCLE_1)
	s_and_b32 vcc_lo, exec_lo, s9
	s_cbranch_vccz .LBB54_2599
; %bb.2560:
	s_cmp_gt_i32 s3, 22
	s_mov_b32 s6, -1
	s_cbranch_scc0 .LBB54_2592
; %bb.2561:
	s_cmp_lt_i32 s3, 24
	s_cbranch_scc1 .LBB54_2581
; %bb.2562:
	s_cmp_gt_i32 s3, 24
	s_cbranch_scc0 .LBB54_2570
; %bb.2563:
	s_wait_xcnt 0x0
	v_cndmask_b32_e64 v3, 0, 1.0, s2
	v_mov_b32_e32 v17, 0x80
	s_mov_b32 s6, exec_lo
	s_delay_alu instid0(VALU_DEP_2)
	v_cmpx_gt_u32_e32 0x47800000, v3
	s_cbranch_execz .LBB54_2569
; %bb.2564:
	s_mov_b32 s7, 0
	s_mov_b32 s9, exec_lo
                                        ; implicit-def: $vgpr2
	v_cmpx_lt_u32_e32 0x37ffffff, v3
	s_xor_b32 s9, exec_lo, s9
	s_cbranch_execz .LBB54_3007
; %bb.2565:
	v_bfe_u32 v2, v3, 21, 1
	s_mov_b32 s7, exec_lo
	s_delay_alu instid0(VALU_DEP_1) | instskip(NEXT) | instid1(VALU_DEP_1)
	v_add3_u32 v2, v3, v2, 0x88fffff
                                        ; implicit-def: $vgpr3
	v_lshrrev_b32_e32 v2, 21, v2
	s_and_not1_saveexec_b32 s9, s9
	s_cbranch_execnz .LBB54_3008
.LBB54_2566:
	s_or_b32 exec_lo, exec_lo, s9
	v_mov_b32_e32 v17, 0
	s_and_saveexec_b32 s9, s7
.LBB54_2567:
	v_mov_b32_e32 v17, v2
.LBB54_2568:
	s_or_b32 exec_lo, exec_lo, s9
.LBB54_2569:
	s_delay_alu instid0(SALU_CYCLE_1)
	s_or_b32 exec_lo, exec_lo, s6
	s_mov_b32 s6, 0
	global_store_b8 v[0:1], v17, off
.LBB54_2570:
	s_and_b32 vcc_lo, exec_lo, s6
	s_cbranch_vccz .LBB54_2580
; %bb.2571:
	s_wait_xcnt 0x0
	v_cndmask_b32_e64 v3, 0, 1.0, s2
	s_mov_b32 s6, exec_lo
                                        ; implicit-def: $vgpr2
	s_delay_alu instid0(VALU_DEP_1)
	v_cmpx_gt_u32_e32 0x43f00000, v3
	s_xor_b32 s6, exec_lo, s6
	s_cbranch_execz .LBB54_2577
; %bb.2572:
	s_mov_b32 s7, exec_lo
                                        ; implicit-def: $vgpr2
	v_cmpx_lt_u32_e32 0x3c7fffff, v3
	s_xor_b32 s7, exec_lo, s7
; %bb.2573:
	v_bfe_u32 v2, v3, 20, 1
	s_delay_alu instid0(VALU_DEP_1) | instskip(NEXT) | instid1(VALU_DEP_1)
	v_add3_u32 v2, v3, v2, 0x407ffff
	v_and_b32_e32 v3, 0xff00000, v2
	v_lshrrev_b32_e32 v2, 20, v2
	s_delay_alu instid0(VALU_DEP_2) | instskip(NEXT) | instid1(VALU_DEP_2)
	v_cmp_ne_u32_e32 vcc_lo, 0x7f00000, v3
                                        ; implicit-def: $vgpr3
	v_cndmask_b32_e32 v2, 0x7e, v2, vcc_lo
; %bb.2574:
	s_and_not1_saveexec_b32 s7, s7
; %bb.2575:
	v_add_f32_e32 v2, 0x46800000, v3
; %bb.2576:
	s_or_b32 exec_lo, exec_lo, s7
                                        ; implicit-def: $vgpr3
.LBB54_2577:
	s_and_not1_saveexec_b32 s6, s6
; %bb.2578:
	v_mov_b32_e32 v2, 0x7f
	v_cmp_lt_u32_e32 vcc_lo, 0x7f800000, v3
	s_delay_alu instid0(VALU_DEP_2)
	v_cndmask_b32_e32 v2, 0x7e, v2, vcc_lo
; %bb.2579:
	s_or_b32 exec_lo, exec_lo, s6
	global_store_b8 v[0:1], v2, off
.LBB54_2580:
	s_mov_b32 s6, 0
.LBB54_2581:
	s_delay_alu instid0(SALU_CYCLE_1)
	s_and_not1_b32 vcc_lo, exec_lo, s6
	s_cbranch_vccnz .LBB54_2591
; %bb.2582:
	s_wait_xcnt 0x0
	v_cndmask_b32_e64 v3, 0, 1.0, s2
	s_mov_b32 s6, exec_lo
                                        ; implicit-def: $vgpr2
	s_delay_alu instid0(VALU_DEP_1)
	v_cmpx_gt_u32_e32 0x47800000, v3
	s_xor_b32 s6, exec_lo, s6
	s_cbranch_execz .LBB54_2588
; %bb.2583:
	s_mov_b32 s7, exec_lo
                                        ; implicit-def: $vgpr2
	v_cmpx_lt_u32_e32 0x387fffff, v3
	s_xor_b32 s7, exec_lo, s7
; %bb.2584:
	v_bfe_u32 v2, v3, 21, 1
	s_delay_alu instid0(VALU_DEP_1) | instskip(NEXT) | instid1(VALU_DEP_1)
	v_add3_u32 v2, v3, v2, 0x80fffff
                                        ; implicit-def: $vgpr3
	v_lshrrev_b32_e32 v2, 21, v2
; %bb.2585:
	s_and_not1_saveexec_b32 s7, s7
; %bb.2586:
	v_add_f32_e32 v2, 0x43000000, v3
; %bb.2587:
	s_or_b32 exec_lo, exec_lo, s7
                                        ; implicit-def: $vgpr3
.LBB54_2588:
	s_and_not1_saveexec_b32 s6, s6
; %bb.2589:
	v_mov_b32_e32 v2, 0x7f
	v_cmp_lt_u32_e32 vcc_lo, 0x7f800000, v3
	s_delay_alu instid0(VALU_DEP_2)
	v_cndmask_b32_e32 v2, 0x7c, v2, vcc_lo
; %bb.2590:
	s_or_b32 exec_lo, exec_lo, s6
	global_store_b8 v[0:1], v2, off
.LBB54_2591:
	s_mov_b32 s6, 0
	s_mov_b32 s7, -1
.LBB54_2592:
	s_and_not1_b32 vcc_lo, exec_lo, s6
	s_mov_b32 s6, 0
	s_cbranch_vccnz .LBB54_2599
; %bb.2593:
	s_cmp_gt_i32 s3, 14
	s_mov_b32 s6, -1
	s_cbranch_scc0 .LBB54_2597
; %bb.2594:
	s_cmp_eq_u32 s3, 15
	s_mov_b32 s0, -1
	s_cbranch_scc0 .LBB54_2596
; %bb.2595:
	s_wait_xcnt 0x0
	v_cndmask_b32_e64 v2, 0, 1.0, s2
	s_mov_b32 s0, 0
	s_mov_b32 s7, -1
	s_delay_alu instid0(VALU_DEP_1) | instskip(NEXT) | instid1(VALU_DEP_1)
	v_bfe_u32 v3, v2, 16, 1
	v_add3_u32 v2, v2, v3, 0x7fff
	global_store_d16_hi_b16 v[0:1], v2, off
.LBB54_2596:
	s_mov_b32 s6, 0
.LBB54_2597:
	s_delay_alu instid0(SALU_CYCLE_1)
	s_and_b32 vcc_lo, exec_lo, s6
	s_mov_b32 s6, 0
	s_cbranch_vccz .LBB54_2599
; %bb.2598:
	s_cmp_lg_u32 s3, 11
	s_mov_b32 s6, -1
	s_cselect_b32 s0, -1, 0
.LBB54_2599:
	s_delay_alu instid0(SALU_CYCLE_1)
	s_and_b32 vcc_lo, exec_lo, s0
	s_cbranch_vccnz .LBB54_3006
; %bb.2600:
	s_and_not1_b32 vcc_lo, exec_lo, s6
	s_cbranch_vccnz .LBB54_2602
.LBB54_2601:
	s_wait_xcnt 0x0
	v_cndmask_b32_e64 v2, 0, 1, s2
	s_mov_b32 s7, -1
	global_store_b8 v[0:1], v2, off
.LBB54_2602:
.LBB54_2603:
	s_and_not1_b32 vcc_lo, exec_lo, s7
	s_cbranch_vccnz .LBB54_2957
	s_branch .LBB54_2643
.LBB54_2604:
	s_and_b32 vcc_lo, exec_lo, s0
	s_cbranch_vccz .LBB54_2603
; %bb.2605:
	s_and_b32 s0, 0xffff, s17
	s_mov_b32 s3, -1
	s_cmp_lt_i32 s0, 5
	s_cbranch_scc1 .LBB54_2626
; %bb.2606:
	s_cmp_lt_i32 s0, 8
	s_cbranch_scc1 .LBB54_2616
; %bb.2607:
	;; [unrolled: 3-line block ×3, first 2 shown]
	s_cmp_gt_i32 s0, 9
	s_cbranch_scc0 .LBB54_2610
; %bb.2609:
	s_wait_xcnt 0x0
	v_cndmask_b32_e64 v2, 0, 1, s2
	v_mov_b32_e32 v20, 0
	s_mov_b32 s3, 0
	s_delay_alu instid0(VALU_DEP_2) | instskip(NEXT) | instid1(VALU_DEP_2)
	v_cvt_f64_u32_e32 v[18:19], v2
	v_mov_b32_e32 v21, v20
	global_store_b128 v[0:1], v[18:21], off
.LBB54_2610:
	s_and_not1_b32 vcc_lo, exec_lo, s3
	s_cbranch_vccnz .LBB54_2612
; %bb.2611:
	s_wait_xcnt 0x0
	v_cndmask_b32_e64 v2, 0, 1.0, s2
	v_mov_b32_e32 v3, 0
	global_store_b64 v[0:1], v[2:3], off
.LBB54_2612:
	s_mov_b32 s3, 0
.LBB54_2613:
	s_delay_alu instid0(SALU_CYCLE_1)
	s_and_not1_b32 vcc_lo, exec_lo, s3
	s_cbranch_vccnz .LBB54_2615
; %bb.2614:
	s_wait_xcnt 0x0
	v_cndmask_b32_e64 v2, 0, 1.0, s2
	s_delay_alu instid0(VALU_DEP_1) | instskip(NEXT) | instid1(VALU_DEP_1)
	v_cvt_f16_f32_e32 v2, v2
	v_and_b32_e32 v2, 0xffff, v2
	global_store_b32 v[0:1], v2, off
.LBB54_2615:
	s_mov_b32 s3, 0
.LBB54_2616:
	s_delay_alu instid0(SALU_CYCLE_1)
	s_and_not1_b32 vcc_lo, exec_lo, s3
	s_cbranch_vccnz .LBB54_2625
; %bb.2617:
	s_cmp_lt_i32 s0, 6
	s_mov_b32 s3, -1
	s_cbranch_scc1 .LBB54_2623
; %bb.2618:
	s_cmp_gt_i32 s0, 6
	s_cbranch_scc0 .LBB54_2620
; %bb.2619:
	s_wait_xcnt 0x0
	v_cndmask_b32_e64 v2, 0, 1, s2
	s_mov_b32 s3, 0
	s_delay_alu instid0(VALU_DEP_1)
	v_cvt_f64_u32_e32 v[2:3], v2
	global_store_b64 v[0:1], v[2:3], off
.LBB54_2620:
	s_and_not1_b32 vcc_lo, exec_lo, s3
	s_cbranch_vccnz .LBB54_2622
; %bb.2621:
	s_wait_xcnt 0x0
	v_cndmask_b32_e64 v2, 0, 1.0, s2
	global_store_b32 v[0:1], v2, off
.LBB54_2622:
	s_mov_b32 s3, 0
.LBB54_2623:
	s_delay_alu instid0(SALU_CYCLE_1)
	s_and_not1_b32 vcc_lo, exec_lo, s3
	s_cbranch_vccnz .LBB54_2625
; %bb.2624:
	s_wait_xcnt 0x0
	v_cndmask_b32_e64 v2, 0, 1.0, s2
	s_delay_alu instid0(VALU_DEP_1)
	v_cvt_f16_f32_e32 v2, v2
	global_store_b16 v[0:1], v2, off
.LBB54_2625:
	s_mov_b32 s3, 0
.LBB54_2626:
	s_delay_alu instid0(SALU_CYCLE_1)
	s_and_not1_b32 vcc_lo, exec_lo, s3
	s_cbranch_vccnz .LBB54_2642
; %bb.2627:
	s_cmp_lt_i32 s0, 2
	s_mov_b32 s3, -1
	s_cbranch_scc1 .LBB54_2637
; %bb.2628:
	s_cmp_lt_i32 s0, 3
	s_cbranch_scc1 .LBB54_2634
; %bb.2629:
	s_cmp_gt_i32 s0, 3
	s_cbranch_scc0 .LBB54_2631
; %bb.2630:
	s_mov_b32 s3, 0
	s_wait_xcnt 0x0
	v_cndmask_b32_e64 v2, 0, 1, s2
	v_mov_b32_e32 v3, s3
	global_store_b64 v[0:1], v[2:3], off
.LBB54_2631:
	s_and_not1_b32 vcc_lo, exec_lo, s3
	s_cbranch_vccnz .LBB54_2633
; %bb.2632:
	s_wait_xcnt 0x0
	v_cndmask_b32_e64 v2, 0, 1, s2
	global_store_b32 v[0:1], v2, off
.LBB54_2633:
	s_mov_b32 s3, 0
.LBB54_2634:
	s_delay_alu instid0(SALU_CYCLE_1)
	s_and_not1_b32 vcc_lo, exec_lo, s3
	s_cbranch_vccnz .LBB54_2636
; %bb.2635:
	s_wait_xcnt 0x0
	v_cndmask_b32_e64 v2, 0, 1, s2
	global_store_b16 v[0:1], v2, off
.LBB54_2636:
	s_mov_b32 s3, 0
.LBB54_2637:
	s_delay_alu instid0(SALU_CYCLE_1)
	s_and_not1_b32 vcc_lo, exec_lo, s3
	s_cbranch_vccnz .LBB54_2642
; %bb.2638:
	s_wait_xcnt 0x0
	v_cndmask_b32_e64 v2, 0, 1, s2
	s_cmp_gt_i32 s0, 0
	s_mov_b32 s0, -1
	s_cbranch_scc0 .LBB54_2640
; %bb.2639:
	s_mov_b32 s0, 0
	global_store_b8 v[0:1], v2, off
.LBB54_2640:
	s_and_not1_b32 vcc_lo, exec_lo, s0
	s_cbranch_vccnz .LBB54_2642
; %bb.2641:
	global_store_b8 v[0:1], v2, off
.LBB54_2642:
.LBB54_2643:
	s_lshl_b32 s2, s8, 7
	v_cmp_ne_u64_e32 vcc_lo, v[4:5], v[6:7]
	s_wait_xcnt 0x0
	v_add_nc_u32_e32 v0, s2, v16
	s_delay_alu instid0(VALU_DEP_1) | instskip(SKIP_2) | instid1(VALU_DEP_1)
	v_ashrrev_i32_e32 v1, 31, v0
	s_xor_b32 s3, s1, vcc_lo
	s_cmp_lt_i32 s17, 11
	v_add_nc_u64_e32 v[2:3], s[4:5], v[0:1]
	s_cbranch_scc1 .LBB54_2721
; %bb.2644:
	s_and_b32 s6, 0xffff, s17
	s_mov_b32 s9, -1
	s_mov_b32 s7, 0
	s_cmp_gt_i32 s6, 25
	s_mov_b32 s8, 0
	s_mov_b32 s0, 0
	s_cbranch_scc0 .LBB54_2677
; %bb.2645:
	s_cmp_gt_i32 s6, 28
	s_cbranch_scc0 .LBB54_2660
; %bb.2646:
	s_cmp_gt_i32 s6, 43
	;; [unrolled: 3-line block ×3, first 2 shown]
	s_cbranch_scc0 .LBB54_2650
; %bb.2648:
	s_mov_b32 s0, -1
	s_mov_b32 s9, 0
	s_cmp_eq_u32 s6, 46
	s_cbranch_scc0 .LBB54_2650
; %bb.2649:
	v_cndmask_b32_e64 v1, 0, 1.0, s3
	s_mov_b32 s0, 0
	s_mov_b32 s8, -1
	s_delay_alu instid0(VALU_DEP_1) | instskip(NEXT) | instid1(VALU_DEP_1)
	v_bfe_u32 v4, v1, 16, 1
	v_add3_u32 v1, v1, v4, 0x7fff
	s_delay_alu instid0(VALU_DEP_1)
	v_lshrrev_b32_e32 v1, 16, v1
	global_store_b32 v[2:3], v1, off
.LBB54_2650:
	s_and_b32 vcc_lo, exec_lo, s9
	s_cbranch_vccz .LBB54_2655
; %bb.2651:
	s_cmp_eq_u32 s6, 44
	s_mov_b32 s0, -1
	s_cbranch_scc0 .LBB54_2655
; %bb.2652:
	v_cndmask_b32_e64 v5, 0, 1.0, s3
	s_mov_b32 s8, exec_lo
	s_wait_xcnt 0x0
	s_delay_alu instid0(VALU_DEP_1) | instskip(NEXT) | instid1(VALU_DEP_1)
	v_dual_mov_b32 v4, 0xff :: v_dual_lshrrev_b32 v1, 23, v5
	v_cmpx_ne_u32_e32 0xff, v1
; %bb.2653:
	v_and_b32_e32 v4, 0x400000, v5
	v_and_or_b32 v5, 0x3fffff, v5, v1
	s_delay_alu instid0(VALU_DEP_2) | instskip(NEXT) | instid1(VALU_DEP_2)
	v_cmp_ne_u32_e32 vcc_lo, 0, v4
	v_cmp_ne_u32_e64 s0, 0, v5
	s_and_b32 s0, vcc_lo, s0
	s_delay_alu instid0(SALU_CYCLE_1) | instskip(NEXT) | instid1(VALU_DEP_1)
	v_cndmask_b32_e64 v4, 0, 1, s0
	v_add_nc_u32_e32 v4, v1, v4
; %bb.2654:
	s_or_b32 exec_lo, exec_lo, s8
	s_mov_b32 s0, 0
	s_mov_b32 s8, -1
	global_store_b8 v[2:3], v4, off
.LBB54_2655:
	s_mov_b32 s9, 0
.LBB54_2656:
	s_delay_alu instid0(SALU_CYCLE_1)
	s_and_b32 vcc_lo, exec_lo, s9
	s_cbranch_vccz .LBB54_2659
; %bb.2657:
	s_cmp_eq_u32 s6, 29
	s_mov_b32 s0, -1
	s_cbranch_scc0 .LBB54_2659
; %bb.2658:
	s_mov_b32 s0, 0
	s_wait_xcnt 0x0
	v_cndmask_b32_e64 v4, 0, 1, s3
	v_mov_b32_e32 v5, s0
	s_mov_b32 s8, -1
	global_store_b64 v[2:3], v[4:5], off
.LBB54_2659:
	s_mov_b32 s9, 0
.LBB54_2660:
	s_delay_alu instid0(SALU_CYCLE_1)
	s_and_b32 vcc_lo, exec_lo, s9
	s_cbranch_vccz .LBB54_2676
; %bb.2661:
	s_cmp_lt_i32 s6, 27
	s_mov_b32 s8, -1
	s_cbranch_scc1 .LBB54_2667
; %bb.2662:
	s_cmp_gt_i32 s6, 27
	s_cbranch_scc0 .LBB54_2664
; %bb.2663:
	s_wait_xcnt 0x0
	v_cndmask_b32_e64 v1, 0, 1, s3
	s_mov_b32 s8, 0
	global_store_b32 v[2:3], v1, off
.LBB54_2664:
	s_and_not1_b32 vcc_lo, exec_lo, s8
	s_cbranch_vccnz .LBB54_2666
; %bb.2665:
	s_wait_xcnt 0x0
	v_cndmask_b32_e64 v1, 0, 1, s3
	global_store_b16 v[2:3], v1, off
.LBB54_2666:
	s_mov_b32 s8, 0
.LBB54_2667:
	s_delay_alu instid0(SALU_CYCLE_1)
	s_and_not1_b32 vcc_lo, exec_lo, s8
	s_cbranch_vccnz .LBB54_2675
; %bb.2668:
	s_wait_xcnt 0x0
	v_cndmask_b32_e64 v4, 0, 1.0, s3
	v_mov_b32_e32 v5, 0x80
	s_mov_b32 s8, exec_lo
	s_delay_alu instid0(VALU_DEP_2)
	v_cmpx_gt_u32_e32 0x43800000, v4
	s_cbranch_execz .LBB54_2674
; %bb.2669:
	s_mov_b32 s9, 0
	s_mov_b32 s10, exec_lo
                                        ; implicit-def: $vgpr1
	v_cmpx_lt_u32_e32 0x3bffffff, v4
	s_xor_b32 s10, exec_lo, s10
	s_cbranch_execz .LBB54_3009
; %bb.2670:
	v_bfe_u32 v1, v4, 20, 1
	s_mov_b32 s9, exec_lo
	s_delay_alu instid0(VALU_DEP_1) | instskip(NEXT) | instid1(VALU_DEP_1)
	v_add3_u32 v1, v4, v1, 0x487ffff
                                        ; implicit-def: $vgpr4
	v_lshrrev_b32_e32 v1, 20, v1
	s_and_not1_saveexec_b32 s10, s10
	s_cbranch_execnz .LBB54_3010
.LBB54_2671:
	s_or_b32 exec_lo, exec_lo, s10
	v_mov_b32_e32 v5, 0
	s_and_saveexec_b32 s10, s9
.LBB54_2672:
	v_mov_b32_e32 v5, v1
.LBB54_2673:
	s_or_b32 exec_lo, exec_lo, s10
.LBB54_2674:
	s_delay_alu instid0(SALU_CYCLE_1)
	s_or_b32 exec_lo, exec_lo, s8
	global_store_b8 v[2:3], v5, off
.LBB54_2675:
	s_mov_b32 s8, -1
.LBB54_2676:
	s_mov_b32 s9, 0
.LBB54_2677:
	s_delay_alu instid0(SALU_CYCLE_1)
	s_and_b32 vcc_lo, exec_lo, s9
	s_cbranch_vccz .LBB54_2717
; %bb.2678:
	s_cmp_gt_i32 s6, 22
	s_mov_b32 s7, -1
	s_cbranch_scc0 .LBB54_2710
; %bb.2679:
	s_cmp_lt_i32 s6, 24
	s_cbranch_scc1 .LBB54_2699
; %bb.2680:
	s_cmp_gt_i32 s6, 24
	s_cbranch_scc0 .LBB54_2688
; %bb.2681:
	s_wait_xcnt 0x0
	v_cndmask_b32_e64 v4, 0, 1.0, s3
	v_mov_b32_e32 v5, 0x80
	s_mov_b32 s7, exec_lo
	s_delay_alu instid0(VALU_DEP_2)
	v_cmpx_gt_u32_e32 0x47800000, v4
	s_cbranch_execz .LBB54_2687
; %bb.2682:
	s_mov_b32 s8, 0
	s_mov_b32 s9, exec_lo
                                        ; implicit-def: $vgpr1
	v_cmpx_lt_u32_e32 0x37ffffff, v4
	s_xor_b32 s9, exec_lo, s9
	s_cbranch_execz .LBB54_3012
; %bb.2683:
	v_bfe_u32 v1, v4, 21, 1
	s_mov_b32 s8, exec_lo
	s_delay_alu instid0(VALU_DEP_1) | instskip(NEXT) | instid1(VALU_DEP_1)
	v_add3_u32 v1, v4, v1, 0x88fffff
                                        ; implicit-def: $vgpr4
	v_lshrrev_b32_e32 v1, 21, v1
	s_and_not1_saveexec_b32 s9, s9
	s_cbranch_execnz .LBB54_3013
.LBB54_2684:
	s_or_b32 exec_lo, exec_lo, s9
	v_mov_b32_e32 v5, 0
	s_and_saveexec_b32 s9, s8
.LBB54_2685:
	v_mov_b32_e32 v5, v1
.LBB54_2686:
	s_or_b32 exec_lo, exec_lo, s9
.LBB54_2687:
	s_delay_alu instid0(SALU_CYCLE_1)
	s_or_b32 exec_lo, exec_lo, s7
	s_mov_b32 s7, 0
	global_store_b8 v[2:3], v5, off
.LBB54_2688:
	s_and_b32 vcc_lo, exec_lo, s7
	s_cbranch_vccz .LBB54_2698
; %bb.2689:
	s_wait_xcnt 0x0
	v_cndmask_b32_e64 v4, 0, 1.0, s3
	s_mov_b32 s7, exec_lo
                                        ; implicit-def: $vgpr1
	s_delay_alu instid0(VALU_DEP_1)
	v_cmpx_gt_u32_e32 0x43f00000, v4
	s_xor_b32 s7, exec_lo, s7
	s_cbranch_execz .LBB54_2695
; %bb.2690:
	s_mov_b32 s8, exec_lo
                                        ; implicit-def: $vgpr1
	v_cmpx_lt_u32_e32 0x3c7fffff, v4
	s_xor_b32 s8, exec_lo, s8
; %bb.2691:
	v_bfe_u32 v1, v4, 20, 1
	s_delay_alu instid0(VALU_DEP_1) | instskip(NEXT) | instid1(VALU_DEP_1)
	v_add3_u32 v1, v4, v1, 0x407ffff
	v_and_b32_e32 v4, 0xff00000, v1
	v_lshrrev_b32_e32 v1, 20, v1
	s_delay_alu instid0(VALU_DEP_2) | instskip(NEXT) | instid1(VALU_DEP_2)
	v_cmp_ne_u32_e32 vcc_lo, 0x7f00000, v4
                                        ; implicit-def: $vgpr4
	v_cndmask_b32_e32 v1, 0x7e, v1, vcc_lo
; %bb.2692:
	s_and_not1_saveexec_b32 s8, s8
; %bb.2693:
	v_add_f32_e32 v1, 0x46800000, v4
; %bb.2694:
	s_or_b32 exec_lo, exec_lo, s8
                                        ; implicit-def: $vgpr4
.LBB54_2695:
	s_and_not1_saveexec_b32 s7, s7
; %bb.2696:
	v_mov_b32_e32 v1, 0x7f
	v_cmp_lt_u32_e32 vcc_lo, 0x7f800000, v4
	s_delay_alu instid0(VALU_DEP_2)
	v_cndmask_b32_e32 v1, 0x7e, v1, vcc_lo
; %bb.2697:
	s_or_b32 exec_lo, exec_lo, s7
	global_store_b8 v[2:3], v1, off
.LBB54_2698:
	s_mov_b32 s7, 0
.LBB54_2699:
	s_delay_alu instid0(SALU_CYCLE_1)
	s_and_not1_b32 vcc_lo, exec_lo, s7
	s_cbranch_vccnz .LBB54_2709
; %bb.2700:
	s_wait_xcnt 0x0
	v_cndmask_b32_e64 v4, 0, 1.0, s3
	s_mov_b32 s7, exec_lo
                                        ; implicit-def: $vgpr1
	s_delay_alu instid0(VALU_DEP_1)
	v_cmpx_gt_u32_e32 0x47800000, v4
	s_xor_b32 s7, exec_lo, s7
	s_cbranch_execz .LBB54_2706
; %bb.2701:
	s_mov_b32 s8, exec_lo
                                        ; implicit-def: $vgpr1
	v_cmpx_lt_u32_e32 0x387fffff, v4
	s_xor_b32 s8, exec_lo, s8
; %bb.2702:
	v_bfe_u32 v1, v4, 21, 1
	s_delay_alu instid0(VALU_DEP_1) | instskip(NEXT) | instid1(VALU_DEP_1)
	v_add3_u32 v1, v4, v1, 0x80fffff
                                        ; implicit-def: $vgpr4
	v_lshrrev_b32_e32 v1, 21, v1
; %bb.2703:
	s_and_not1_saveexec_b32 s8, s8
; %bb.2704:
	v_add_f32_e32 v1, 0x43000000, v4
; %bb.2705:
	s_or_b32 exec_lo, exec_lo, s8
                                        ; implicit-def: $vgpr4
.LBB54_2706:
	s_and_not1_saveexec_b32 s7, s7
; %bb.2707:
	v_mov_b32_e32 v1, 0x7f
	v_cmp_lt_u32_e32 vcc_lo, 0x7f800000, v4
	s_delay_alu instid0(VALU_DEP_2)
	v_cndmask_b32_e32 v1, 0x7c, v1, vcc_lo
; %bb.2708:
	s_or_b32 exec_lo, exec_lo, s7
	global_store_b8 v[2:3], v1, off
.LBB54_2709:
	s_mov_b32 s7, 0
	s_mov_b32 s8, -1
.LBB54_2710:
	s_and_not1_b32 vcc_lo, exec_lo, s7
	s_mov_b32 s7, 0
	s_cbranch_vccnz .LBB54_2717
; %bb.2711:
	s_cmp_gt_i32 s6, 14
	s_mov_b32 s7, -1
	s_cbranch_scc0 .LBB54_2715
; %bb.2712:
	s_cmp_eq_u32 s6, 15
	s_mov_b32 s0, -1
	s_cbranch_scc0 .LBB54_2714
; %bb.2713:
	s_wait_xcnt 0x0
	v_cndmask_b32_e64 v1, 0, 1.0, s3
	s_mov_b32 s0, 0
	s_mov_b32 s8, -1
	s_delay_alu instid0(VALU_DEP_1) | instskip(NEXT) | instid1(VALU_DEP_1)
	v_bfe_u32 v4, v1, 16, 1
	v_add3_u32 v1, v1, v4, 0x7fff
	global_store_d16_hi_b16 v[2:3], v1, off
.LBB54_2714:
	s_mov_b32 s7, 0
.LBB54_2715:
	s_delay_alu instid0(SALU_CYCLE_1)
	s_and_b32 vcc_lo, exec_lo, s7
	s_mov_b32 s7, 0
	s_cbranch_vccz .LBB54_2717
; %bb.2716:
	s_cmp_lg_u32 s6, 11
	s_mov_b32 s7, -1
	s_cselect_b32 s0, -1, 0
.LBB54_2717:
	s_delay_alu instid0(SALU_CYCLE_1)
	s_and_b32 vcc_lo, exec_lo, s0
	s_cbranch_vccnz .LBB54_3011
; %bb.2718:
	s_and_not1_b32 vcc_lo, exec_lo, s7
	s_cbranch_vccnz .LBB54_2720
.LBB54_2719:
	s_wait_xcnt 0x0
	v_cndmask_b32_e64 v1, 0, 1, s3
	s_mov_b32 s8, -1
	global_store_b8 v[2:3], v1, off
.LBB54_2720:
	s_mov_b32 s0, 0
	s_branch .LBB54_2722
.LBB54_2721:
	s_mov_b32 s0, -1
	s_mov_b32 s8, 0
.LBB54_2722:
	s_and_b32 vcc_lo, exec_lo, s0
	s_cbranch_vccz .LBB54_2761
; %bb.2723:
	s_and_b32 s0, 0xffff, s17
	s_mov_b32 s6, -1
	s_cmp_lt_i32 s0, 5
	s_cbranch_scc1 .LBB54_2744
; %bb.2724:
	s_cmp_lt_i32 s0, 8
	s_cbranch_scc1 .LBB54_2734
; %bb.2725:
	;; [unrolled: 3-line block ×3, first 2 shown]
	s_cmp_gt_i32 s0, 9
	s_cbranch_scc0 .LBB54_2728
; %bb.2727:
	s_wait_xcnt 0x0
	v_cndmask_b32_e64 v1, 0, 1, s3
	v_mov_b32_e32 v6, 0
	s_mov_b32 s6, 0
	s_delay_alu instid0(VALU_DEP_2) | instskip(NEXT) | instid1(VALU_DEP_2)
	v_cvt_f64_u32_e32 v[4:5], v1
	v_mov_b32_e32 v7, v6
	global_store_b128 v[2:3], v[4:7], off
.LBB54_2728:
	s_and_not1_b32 vcc_lo, exec_lo, s6
	s_cbranch_vccnz .LBB54_2730
; %bb.2729:
	s_wait_xcnt 0x0
	v_cndmask_b32_e64 v4, 0, 1.0, s3
	v_mov_b32_e32 v5, 0
	global_store_b64 v[2:3], v[4:5], off
.LBB54_2730:
	s_mov_b32 s6, 0
.LBB54_2731:
	s_delay_alu instid0(SALU_CYCLE_1)
	s_and_not1_b32 vcc_lo, exec_lo, s6
	s_cbranch_vccnz .LBB54_2733
; %bb.2732:
	s_wait_xcnt 0x0
	v_cndmask_b32_e64 v1, 0, 1.0, s3
	s_delay_alu instid0(VALU_DEP_1) | instskip(NEXT) | instid1(VALU_DEP_1)
	v_cvt_f16_f32_e32 v1, v1
	v_and_b32_e32 v1, 0xffff, v1
	global_store_b32 v[2:3], v1, off
.LBB54_2733:
	s_mov_b32 s6, 0
.LBB54_2734:
	s_delay_alu instid0(SALU_CYCLE_1)
	s_and_not1_b32 vcc_lo, exec_lo, s6
	s_cbranch_vccnz .LBB54_2743
; %bb.2735:
	s_cmp_lt_i32 s0, 6
	s_mov_b32 s6, -1
	s_cbranch_scc1 .LBB54_2741
; %bb.2736:
	s_cmp_gt_i32 s0, 6
	s_cbranch_scc0 .LBB54_2738
; %bb.2737:
	s_wait_xcnt 0x0
	v_cndmask_b32_e64 v1, 0, 1, s3
	s_mov_b32 s6, 0
	s_delay_alu instid0(VALU_DEP_1)
	v_cvt_f64_u32_e32 v[4:5], v1
	global_store_b64 v[2:3], v[4:5], off
.LBB54_2738:
	s_and_not1_b32 vcc_lo, exec_lo, s6
	s_cbranch_vccnz .LBB54_2740
; %bb.2739:
	s_wait_xcnt 0x0
	v_cndmask_b32_e64 v1, 0, 1.0, s3
	global_store_b32 v[2:3], v1, off
.LBB54_2740:
	s_mov_b32 s6, 0
.LBB54_2741:
	s_delay_alu instid0(SALU_CYCLE_1)
	s_and_not1_b32 vcc_lo, exec_lo, s6
	s_cbranch_vccnz .LBB54_2743
; %bb.2742:
	s_wait_xcnt 0x0
	v_cndmask_b32_e64 v1, 0, 1.0, s3
	s_delay_alu instid0(VALU_DEP_1)
	v_cvt_f16_f32_e32 v1, v1
	global_store_b16 v[2:3], v1, off
.LBB54_2743:
	s_mov_b32 s6, 0
.LBB54_2744:
	s_delay_alu instid0(SALU_CYCLE_1)
	s_and_not1_b32 vcc_lo, exec_lo, s6
	s_cbranch_vccnz .LBB54_2760
; %bb.2745:
	s_cmp_lt_i32 s0, 2
	s_mov_b32 s6, -1
	s_cbranch_scc1 .LBB54_2755
; %bb.2746:
	s_cmp_lt_i32 s0, 3
	s_cbranch_scc1 .LBB54_2752
; %bb.2747:
	s_cmp_gt_i32 s0, 3
	s_cbranch_scc0 .LBB54_2749
; %bb.2748:
	s_mov_b32 s6, 0
	s_wait_xcnt 0x0
	v_cndmask_b32_e64 v4, 0, 1, s3
	v_mov_b32_e32 v5, s6
	global_store_b64 v[2:3], v[4:5], off
.LBB54_2749:
	s_and_not1_b32 vcc_lo, exec_lo, s6
	s_cbranch_vccnz .LBB54_2751
; %bb.2750:
	s_wait_xcnt 0x0
	v_cndmask_b32_e64 v1, 0, 1, s3
	global_store_b32 v[2:3], v1, off
.LBB54_2751:
	s_mov_b32 s6, 0
.LBB54_2752:
	s_delay_alu instid0(SALU_CYCLE_1)
	s_and_not1_b32 vcc_lo, exec_lo, s6
	s_cbranch_vccnz .LBB54_2754
; %bb.2753:
	s_wait_xcnt 0x0
	v_cndmask_b32_e64 v1, 0, 1, s3
	global_store_b16 v[2:3], v1, off
.LBB54_2754:
	s_mov_b32 s6, 0
.LBB54_2755:
	s_delay_alu instid0(SALU_CYCLE_1)
	s_and_not1_b32 vcc_lo, exec_lo, s6
	s_cbranch_vccnz .LBB54_2760
; %bb.2756:
	s_wait_xcnt 0x0
	v_cndmask_b32_e64 v1, 0, 1, s3
	s_cmp_gt_i32 s0, 0
	s_mov_b32 s0, -1
	s_cbranch_scc0 .LBB54_2758
; %bb.2757:
	s_mov_b32 s0, 0
	global_store_b8 v[2:3], v1, off
.LBB54_2758:
	s_and_not1_b32 vcc_lo, exec_lo, s0
	s_cbranch_vccnz .LBB54_2760
; %bb.2759:
	global_store_b8 v[2:3], v1, off
.LBB54_2760:
	s_mov_b32 s8, -1
.LBB54_2761:
	s_delay_alu instid0(SALU_CYCLE_1)
	s_and_not1_b32 vcc_lo, exec_lo, s8
	s_cbranch_vccnz .LBB54_2957
; %bb.2762:
	v_add_nc_u32_e32 v0, s2, v0
	v_cmp_ne_u64_e32 vcc_lo, v[8:9], v[10:11]
	s_wait_xcnt 0x0
	s_delay_alu instid0(VALU_DEP_2) | instskip(SKIP_2) | instid1(VALU_DEP_1)
	v_ashrrev_i32_e32 v1, 31, v0
	s_xor_b32 s3, s1, vcc_lo
	s_cmp_lt_i32 s17, 11
	v_add_nc_u64_e32 v[2:3], s[4:5], v[0:1]
	s_cbranch_scc1 .LBB54_2840
; %bb.2763:
	s_and_b32 s6, 0xffff, s17
	s_mov_b32 s9, -1
	s_mov_b32 s7, 0
	s_cmp_gt_i32 s6, 25
	s_mov_b32 s8, 0
	s_mov_b32 s0, 0
	s_cbranch_scc0 .LBB54_2796
; %bb.2764:
	s_cmp_gt_i32 s6, 28
	s_cbranch_scc0 .LBB54_2779
; %bb.2765:
	s_cmp_gt_i32 s6, 43
	;; [unrolled: 3-line block ×3, first 2 shown]
	s_cbranch_scc0 .LBB54_2769
; %bb.2767:
	s_mov_b32 s0, -1
	s_mov_b32 s9, 0
	s_cmp_eq_u32 s6, 46
	s_cbranch_scc0 .LBB54_2769
; %bb.2768:
	v_cndmask_b32_e64 v1, 0, 1.0, s3
	s_mov_b32 s0, 0
	s_mov_b32 s8, -1
	s_delay_alu instid0(VALU_DEP_1) | instskip(NEXT) | instid1(VALU_DEP_1)
	v_bfe_u32 v4, v1, 16, 1
	v_add3_u32 v1, v1, v4, 0x7fff
	s_delay_alu instid0(VALU_DEP_1)
	v_lshrrev_b32_e32 v1, 16, v1
	global_store_b32 v[2:3], v1, off
.LBB54_2769:
	s_and_b32 vcc_lo, exec_lo, s9
	s_cbranch_vccz .LBB54_2774
; %bb.2770:
	s_cmp_eq_u32 s6, 44
	s_mov_b32 s0, -1
	s_cbranch_scc0 .LBB54_2774
; %bb.2771:
	v_cndmask_b32_e64 v5, 0, 1.0, s3
	s_mov_b32 s8, exec_lo
	s_wait_xcnt 0x0
	s_delay_alu instid0(VALU_DEP_1) | instskip(NEXT) | instid1(VALU_DEP_1)
	v_dual_mov_b32 v4, 0xff :: v_dual_lshrrev_b32 v1, 23, v5
	v_cmpx_ne_u32_e32 0xff, v1
; %bb.2772:
	v_and_b32_e32 v4, 0x400000, v5
	v_and_or_b32 v5, 0x3fffff, v5, v1
	s_delay_alu instid0(VALU_DEP_2) | instskip(NEXT) | instid1(VALU_DEP_2)
	v_cmp_ne_u32_e32 vcc_lo, 0, v4
	v_cmp_ne_u32_e64 s0, 0, v5
	s_and_b32 s0, vcc_lo, s0
	s_delay_alu instid0(SALU_CYCLE_1) | instskip(NEXT) | instid1(VALU_DEP_1)
	v_cndmask_b32_e64 v4, 0, 1, s0
	v_add_nc_u32_e32 v4, v1, v4
; %bb.2773:
	s_or_b32 exec_lo, exec_lo, s8
	s_mov_b32 s0, 0
	s_mov_b32 s8, -1
	global_store_b8 v[2:3], v4, off
.LBB54_2774:
	s_mov_b32 s9, 0
.LBB54_2775:
	s_delay_alu instid0(SALU_CYCLE_1)
	s_and_b32 vcc_lo, exec_lo, s9
	s_cbranch_vccz .LBB54_2778
; %bb.2776:
	s_cmp_eq_u32 s6, 29
	s_mov_b32 s0, -1
	s_cbranch_scc0 .LBB54_2778
; %bb.2777:
	s_mov_b32 s0, 0
	s_wait_xcnt 0x0
	v_cndmask_b32_e64 v4, 0, 1, s3
	v_mov_b32_e32 v5, s0
	s_mov_b32 s8, -1
	global_store_b64 v[2:3], v[4:5], off
.LBB54_2778:
	s_mov_b32 s9, 0
.LBB54_2779:
	s_delay_alu instid0(SALU_CYCLE_1)
	s_and_b32 vcc_lo, exec_lo, s9
	s_cbranch_vccz .LBB54_2795
; %bb.2780:
	s_cmp_lt_i32 s6, 27
	s_mov_b32 s8, -1
	s_cbranch_scc1 .LBB54_2786
; %bb.2781:
	s_cmp_gt_i32 s6, 27
	s_cbranch_scc0 .LBB54_2783
; %bb.2782:
	s_wait_xcnt 0x0
	v_cndmask_b32_e64 v1, 0, 1, s3
	s_mov_b32 s8, 0
	global_store_b32 v[2:3], v1, off
.LBB54_2783:
	s_and_not1_b32 vcc_lo, exec_lo, s8
	s_cbranch_vccnz .LBB54_2785
; %bb.2784:
	s_wait_xcnt 0x0
	v_cndmask_b32_e64 v1, 0, 1, s3
	global_store_b16 v[2:3], v1, off
.LBB54_2785:
	s_mov_b32 s8, 0
.LBB54_2786:
	s_delay_alu instid0(SALU_CYCLE_1)
	s_and_not1_b32 vcc_lo, exec_lo, s8
	s_cbranch_vccnz .LBB54_2794
; %bb.2787:
	s_wait_xcnt 0x0
	v_cndmask_b32_e64 v4, 0, 1.0, s3
	v_mov_b32_e32 v5, 0x80
	s_mov_b32 s8, exec_lo
	s_delay_alu instid0(VALU_DEP_2)
	v_cmpx_gt_u32_e32 0x43800000, v4
	s_cbranch_execz .LBB54_2793
; %bb.2788:
	s_mov_b32 s9, 0
	s_mov_b32 s10, exec_lo
                                        ; implicit-def: $vgpr1
	v_cmpx_lt_u32_e32 0x3bffffff, v4
	s_xor_b32 s10, exec_lo, s10
	s_cbranch_execz .LBB54_3014
; %bb.2789:
	v_bfe_u32 v1, v4, 20, 1
	s_mov_b32 s9, exec_lo
	s_delay_alu instid0(VALU_DEP_1) | instskip(NEXT) | instid1(VALU_DEP_1)
	v_add3_u32 v1, v4, v1, 0x487ffff
                                        ; implicit-def: $vgpr4
	v_lshrrev_b32_e32 v1, 20, v1
	s_and_not1_saveexec_b32 s10, s10
	s_cbranch_execnz .LBB54_3015
.LBB54_2790:
	s_or_b32 exec_lo, exec_lo, s10
	v_mov_b32_e32 v5, 0
	s_and_saveexec_b32 s10, s9
.LBB54_2791:
	v_mov_b32_e32 v5, v1
.LBB54_2792:
	s_or_b32 exec_lo, exec_lo, s10
.LBB54_2793:
	s_delay_alu instid0(SALU_CYCLE_1)
	s_or_b32 exec_lo, exec_lo, s8
	global_store_b8 v[2:3], v5, off
.LBB54_2794:
	s_mov_b32 s8, -1
.LBB54_2795:
	s_mov_b32 s9, 0
.LBB54_2796:
	s_delay_alu instid0(SALU_CYCLE_1)
	s_and_b32 vcc_lo, exec_lo, s9
	s_cbranch_vccz .LBB54_2836
; %bb.2797:
	s_cmp_gt_i32 s6, 22
	s_mov_b32 s7, -1
	s_cbranch_scc0 .LBB54_2829
; %bb.2798:
	s_cmp_lt_i32 s6, 24
	s_cbranch_scc1 .LBB54_2818
; %bb.2799:
	s_cmp_gt_i32 s6, 24
	s_cbranch_scc0 .LBB54_2807
; %bb.2800:
	s_wait_xcnt 0x0
	v_cndmask_b32_e64 v4, 0, 1.0, s3
	v_mov_b32_e32 v5, 0x80
	s_mov_b32 s7, exec_lo
	s_delay_alu instid0(VALU_DEP_2)
	v_cmpx_gt_u32_e32 0x47800000, v4
	s_cbranch_execz .LBB54_2806
; %bb.2801:
	s_mov_b32 s8, 0
	s_mov_b32 s9, exec_lo
                                        ; implicit-def: $vgpr1
	v_cmpx_lt_u32_e32 0x37ffffff, v4
	s_xor_b32 s9, exec_lo, s9
	s_cbranch_execz .LBB54_3017
; %bb.2802:
	v_bfe_u32 v1, v4, 21, 1
	s_mov_b32 s8, exec_lo
	s_delay_alu instid0(VALU_DEP_1) | instskip(NEXT) | instid1(VALU_DEP_1)
	v_add3_u32 v1, v4, v1, 0x88fffff
                                        ; implicit-def: $vgpr4
	v_lshrrev_b32_e32 v1, 21, v1
	s_and_not1_saveexec_b32 s9, s9
	s_cbranch_execnz .LBB54_3018
.LBB54_2803:
	s_or_b32 exec_lo, exec_lo, s9
	v_mov_b32_e32 v5, 0
	s_and_saveexec_b32 s9, s8
.LBB54_2804:
	v_mov_b32_e32 v5, v1
.LBB54_2805:
	s_or_b32 exec_lo, exec_lo, s9
.LBB54_2806:
	s_delay_alu instid0(SALU_CYCLE_1)
	s_or_b32 exec_lo, exec_lo, s7
	s_mov_b32 s7, 0
	global_store_b8 v[2:3], v5, off
.LBB54_2807:
	s_and_b32 vcc_lo, exec_lo, s7
	s_cbranch_vccz .LBB54_2817
; %bb.2808:
	s_wait_xcnt 0x0
	v_cndmask_b32_e64 v4, 0, 1.0, s3
	s_mov_b32 s7, exec_lo
                                        ; implicit-def: $vgpr1
	s_delay_alu instid0(VALU_DEP_1)
	v_cmpx_gt_u32_e32 0x43f00000, v4
	s_xor_b32 s7, exec_lo, s7
	s_cbranch_execz .LBB54_2814
; %bb.2809:
	s_mov_b32 s8, exec_lo
                                        ; implicit-def: $vgpr1
	v_cmpx_lt_u32_e32 0x3c7fffff, v4
	s_xor_b32 s8, exec_lo, s8
; %bb.2810:
	v_bfe_u32 v1, v4, 20, 1
	s_delay_alu instid0(VALU_DEP_1) | instskip(NEXT) | instid1(VALU_DEP_1)
	v_add3_u32 v1, v4, v1, 0x407ffff
	v_and_b32_e32 v4, 0xff00000, v1
	v_lshrrev_b32_e32 v1, 20, v1
	s_delay_alu instid0(VALU_DEP_2) | instskip(NEXT) | instid1(VALU_DEP_2)
	v_cmp_ne_u32_e32 vcc_lo, 0x7f00000, v4
                                        ; implicit-def: $vgpr4
	v_cndmask_b32_e32 v1, 0x7e, v1, vcc_lo
; %bb.2811:
	s_and_not1_saveexec_b32 s8, s8
; %bb.2812:
	v_add_f32_e32 v1, 0x46800000, v4
; %bb.2813:
	s_or_b32 exec_lo, exec_lo, s8
                                        ; implicit-def: $vgpr4
.LBB54_2814:
	s_and_not1_saveexec_b32 s7, s7
; %bb.2815:
	v_mov_b32_e32 v1, 0x7f
	v_cmp_lt_u32_e32 vcc_lo, 0x7f800000, v4
	s_delay_alu instid0(VALU_DEP_2)
	v_cndmask_b32_e32 v1, 0x7e, v1, vcc_lo
; %bb.2816:
	s_or_b32 exec_lo, exec_lo, s7
	global_store_b8 v[2:3], v1, off
.LBB54_2817:
	s_mov_b32 s7, 0
.LBB54_2818:
	s_delay_alu instid0(SALU_CYCLE_1)
	s_and_not1_b32 vcc_lo, exec_lo, s7
	s_cbranch_vccnz .LBB54_2828
; %bb.2819:
	s_wait_xcnt 0x0
	v_cndmask_b32_e64 v4, 0, 1.0, s3
	s_mov_b32 s7, exec_lo
                                        ; implicit-def: $vgpr1
	s_delay_alu instid0(VALU_DEP_1)
	v_cmpx_gt_u32_e32 0x47800000, v4
	s_xor_b32 s7, exec_lo, s7
	s_cbranch_execz .LBB54_2825
; %bb.2820:
	s_mov_b32 s8, exec_lo
                                        ; implicit-def: $vgpr1
	v_cmpx_lt_u32_e32 0x387fffff, v4
	s_xor_b32 s8, exec_lo, s8
; %bb.2821:
	v_bfe_u32 v1, v4, 21, 1
	s_delay_alu instid0(VALU_DEP_1) | instskip(NEXT) | instid1(VALU_DEP_1)
	v_add3_u32 v1, v4, v1, 0x80fffff
                                        ; implicit-def: $vgpr4
	v_lshrrev_b32_e32 v1, 21, v1
; %bb.2822:
	s_and_not1_saveexec_b32 s8, s8
; %bb.2823:
	v_add_f32_e32 v1, 0x43000000, v4
; %bb.2824:
	s_or_b32 exec_lo, exec_lo, s8
                                        ; implicit-def: $vgpr4
.LBB54_2825:
	s_and_not1_saveexec_b32 s7, s7
; %bb.2826:
	v_mov_b32_e32 v1, 0x7f
	v_cmp_lt_u32_e32 vcc_lo, 0x7f800000, v4
	s_delay_alu instid0(VALU_DEP_2)
	v_cndmask_b32_e32 v1, 0x7c, v1, vcc_lo
; %bb.2827:
	s_or_b32 exec_lo, exec_lo, s7
	global_store_b8 v[2:3], v1, off
.LBB54_2828:
	s_mov_b32 s7, 0
	s_mov_b32 s8, -1
.LBB54_2829:
	s_and_not1_b32 vcc_lo, exec_lo, s7
	s_mov_b32 s7, 0
	s_cbranch_vccnz .LBB54_2836
; %bb.2830:
	s_cmp_gt_i32 s6, 14
	s_mov_b32 s7, -1
	s_cbranch_scc0 .LBB54_2834
; %bb.2831:
	s_cmp_eq_u32 s6, 15
	s_mov_b32 s0, -1
	s_cbranch_scc0 .LBB54_2833
; %bb.2832:
	s_wait_xcnt 0x0
	v_cndmask_b32_e64 v1, 0, 1.0, s3
	s_mov_b32 s0, 0
	s_mov_b32 s8, -1
	s_delay_alu instid0(VALU_DEP_1) | instskip(NEXT) | instid1(VALU_DEP_1)
	v_bfe_u32 v4, v1, 16, 1
	v_add3_u32 v1, v1, v4, 0x7fff
	global_store_d16_hi_b16 v[2:3], v1, off
.LBB54_2833:
	s_mov_b32 s7, 0
.LBB54_2834:
	s_delay_alu instid0(SALU_CYCLE_1)
	s_and_b32 vcc_lo, exec_lo, s7
	s_mov_b32 s7, 0
	s_cbranch_vccz .LBB54_2836
; %bb.2835:
	s_cmp_lg_u32 s6, 11
	s_mov_b32 s7, -1
	s_cselect_b32 s0, -1, 0
.LBB54_2836:
	s_delay_alu instid0(SALU_CYCLE_1)
	s_and_b32 vcc_lo, exec_lo, s0
	s_cbranch_vccnz .LBB54_3016
; %bb.2837:
	s_and_not1_b32 vcc_lo, exec_lo, s7
	s_cbranch_vccnz .LBB54_2839
.LBB54_2838:
	s_wait_xcnt 0x0
	v_cndmask_b32_e64 v1, 0, 1, s3
	s_mov_b32 s8, -1
	global_store_b8 v[2:3], v1, off
.LBB54_2839:
	s_mov_b32 s0, 0
	s_branch .LBB54_2841
.LBB54_2840:
	s_mov_b32 s0, -1
	s_mov_b32 s8, 0
.LBB54_2841:
	s_and_b32 vcc_lo, exec_lo, s0
	s_cbranch_vccz .LBB54_2880
; %bb.2842:
	s_and_b32 s0, 0xffff, s17
	s_mov_b32 s6, -1
	s_cmp_lt_i32 s0, 5
	s_cbranch_scc1 .LBB54_2863
; %bb.2843:
	s_cmp_lt_i32 s0, 8
	s_cbranch_scc1 .LBB54_2853
; %bb.2844:
	s_cmp_lt_i32 s0, 9
	s_cbranch_scc1 .LBB54_2850
; %bb.2845:
	s_cmp_gt_i32 s0, 9
	s_cbranch_scc0 .LBB54_2847
; %bb.2846:
	s_wait_xcnt 0x0
	v_cndmask_b32_e64 v1, 0, 1, s3
	v_mov_b32_e32 v6, 0
	s_mov_b32 s6, 0
	s_delay_alu instid0(VALU_DEP_2) | instskip(NEXT) | instid1(VALU_DEP_2)
	v_cvt_f64_u32_e32 v[4:5], v1
	v_mov_b32_e32 v7, v6
	global_store_b128 v[2:3], v[4:7], off
.LBB54_2847:
	s_and_not1_b32 vcc_lo, exec_lo, s6
	s_cbranch_vccnz .LBB54_2849
; %bb.2848:
	s_wait_xcnt 0x0
	v_cndmask_b32_e64 v4, 0, 1.0, s3
	v_mov_b32_e32 v5, 0
	global_store_b64 v[2:3], v[4:5], off
.LBB54_2849:
	s_mov_b32 s6, 0
.LBB54_2850:
	s_delay_alu instid0(SALU_CYCLE_1)
	s_and_not1_b32 vcc_lo, exec_lo, s6
	s_cbranch_vccnz .LBB54_2852
; %bb.2851:
	s_wait_xcnt 0x0
	v_cndmask_b32_e64 v1, 0, 1.0, s3
	s_delay_alu instid0(VALU_DEP_1) | instskip(NEXT) | instid1(VALU_DEP_1)
	v_cvt_f16_f32_e32 v1, v1
	v_and_b32_e32 v1, 0xffff, v1
	global_store_b32 v[2:3], v1, off
.LBB54_2852:
	s_mov_b32 s6, 0
.LBB54_2853:
	s_delay_alu instid0(SALU_CYCLE_1)
	s_and_not1_b32 vcc_lo, exec_lo, s6
	s_cbranch_vccnz .LBB54_2862
; %bb.2854:
	s_cmp_lt_i32 s0, 6
	s_mov_b32 s6, -1
	s_cbranch_scc1 .LBB54_2860
; %bb.2855:
	s_cmp_gt_i32 s0, 6
	s_cbranch_scc0 .LBB54_2857
; %bb.2856:
	s_wait_xcnt 0x0
	v_cndmask_b32_e64 v1, 0, 1, s3
	s_mov_b32 s6, 0
	s_delay_alu instid0(VALU_DEP_1)
	v_cvt_f64_u32_e32 v[4:5], v1
	global_store_b64 v[2:3], v[4:5], off
.LBB54_2857:
	s_and_not1_b32 vcc_lo, exec_lo, s6
	s_cbranch_vccnz .LBB54_2859
; %bb.2858:
	s_wait_xcnt 0x0
	v_cndmask_b32_e64 v1, 0, 1.0, s3
	global_store_b32 v[2:3], v1, off
.LBB54_2859:
	s_mov_b32 s6, 0
.LBB54_2860:
	s_delay_alu instid0(SALU_CYCLE_1)
	s_and_not1_b32 vcc_lo, exec_lo, s6
	s_cbranch_vccnz .LBB54_2862
; %bb.2861:
	s_wait_xcnt 0x0
	v_cndmask_b32_e64 v1, 0, 1.0, s3
	s_delay_alu instid0(VALU_DEP_1)
	v_cvt_f16_f32_e32 v1, v1
	global_store_b16 v[2:3], v1, off
.LBB54_2862:
	s_mov_b32 s6, 0
.LBB54_2863:
	s_delay_alu instid0(SALU_CYCLE_1)
	s_and_not1_b32 vcc_lo, exec_lo, s6
	s_cbranch_vccnz .LBB54_2879
; %bb.2864:
	s_cmp_lt_i32 s0, 2
	s_mov_b32 s6, -1
	s_cbranch_scc1 .LBB54_2874
; %bb.2865:
	s_cmp_lt_i32 s0, 3
	s_cbranch_scc1 .LBB54_2871
; %bb.2866:
	s_cmp_gt_i32 s0, 3
	s_cbranch_scc0 .LBB54_2868
; %bb.2867:
	s_mov_b32 s6, 0
	s_wait_xcnt 0x0
	v_cndmask_b32_e64 v4, 0, 1, s3
	v_mov_b32_e32 v5, s6
	global_store_b64 v[2:3], v[4:5], off
.LBB54_2868:
	s_and_not1_b32 vcc_lo, exec_lo, s6
	s_cbranch_vccnz .LBB54_2870
; %bb.2869:
	s_wait_xcnt 0x0
	v_cndmask_b32_e64 v1, 0, 1, s3
	global_store_b32 v[2:3], v1, off
.LBB54_2870:
	s_mov_b32 s6, 0
.LBB54_2871:
	s_delay_alu instid0(SALU_CYCLE_1)
	s_and_not1_b32 vcc_lo, exec_lo, s6
	s_cbranch_vccnz .LBB54_2873
; %bb.2872:
	s_wait_xcnt 0x0
	v_cndmask_b32_e64 v1, 0, 1, s3
	global_store_b16 v[2:3], v1, off
.LBB54_2873:
	s_mov_b32 s6, 0
.LBB54_2874:
	s_delay_alu instid0(SALU_CYCLE_1)
	s_and_not1_b32 vcc_lo, exec_lo, s6
	s_cbranch_vccnz .LBB54_2879
; %bb.2875:
	s_wait_xcnt 0x0
	v_cndmask_b32_e64 v1, 0, 1, s3
	s_cmp_gt_i32 s0, 0
	s_mov_b32 s0, -1
	s_cbranch_scc0 .LBB54_2877
; %bb.2876:
	s_mov_b32 s0, 0
	global_store_b8 v[2:3], v1, off
.LBB54_2877:
	s_and_not1_b32 vcc_lo, exec_lo, s0
	s_cbranch_vccnz .LBB54_2879
; %bb.2878:
	global_store_b8 v[2:3], v1, off
.LBB54_2879:
	s_mov_b32 s8, -1
.LBB54_2880:
	s_delay_alu instid0(SALU_CYCLE_1)
	s_and_not1_b32 vcc_lo, exec_lo, s8
	s_cbranch_vccnz .LBB54_2957
; %bb.2881:
	v_add_nc_u32_e32 v0, s2, v0
	v_cmp_ne_u64_e32 vcc_lo, v[12:13], v[14:15]
	s_wait_xcnt 0x0
	s_delay_alu instid0(VALU_DEP_2) | instskip(SKIP_2) | instid1(VALU_DEP_1)
	v_ashrrev_i32_e32 v1, 31, v0
	s_xor_b32 s18, s1, vcc_lo
	s_cmp_lt_i32 s17, 11
	v_add_nc_u64_e32 v[0:1], s[4:5], v[0:1]
	s_cbranch_scc1 .LBB54_3002
; %bb.2882:
	s_and_b32 s1, 0xffff, s17
	s_mov_b32 s3, -1
	s_mov_b32 s2, 0
	s_cmp_gt_i32 s1, 25
	s_mov_b32 s0, 0
	s_cbranch_scc0 .LBB54_2915
; %bb.2883:
	s_cmp_gt_i32 s1, 28
	s_cbranch_scc0 .LBB54_2899
; %bb.2884:
	s_cmp_gt_i32 s1, 43
	;; [unrolled: 3-line block ×3, first 2 shown]
	s_cbranch_scc0 .LBB54_2889
; %bb.2886:
	s_cmp_eq_u32 s1, 46
	s_mov_b32 s0, -1
	s_cbranch_scc0 .LBB54_2888
; %bb.2887:
	v_cndmask_b32_e64 v2, 0, 1.0, s18
	s_mov_b32 s0, 0
	s_delay_alu instid0(VALU_DEP_1) | instskip(NEXT) | instid1(VALU_DEP_1)
	v_bfe_u32 v3, v2, 16, 1
	v_add3_u32 v2, v2, v3, 0x7fff
	s_delay_alu instid0(VALU_DEP_1)
	v_lshrrev_b32_e32 v2, 16, v2
	global_store_b32 v[0:1], v2, off
.LBB54_2888:
	s_mov_b32 s3, 0
.LBB54_2889:
	s_delay_alu instid0(SALU_CYCLE_1)
	s_and_b32 vcc_lo, exec_lo, s3
	s_cbranch_vccz .LBB54_2894
; %bb.2890:
	s_cmp_eq_u32 s1, 44
	s_mov_b32 s0, -1
	s_cbranch_scc0 .LBB54_2894
; %bb.2891:
	v_cndmask_b32_e64 v4, 0, 1.0, s18
	s_mov_b32 s3, exec_lo
	s_wait_xcnt 0x0
	s_delay_alu instid0(VALU_DEP_1) | instskip(NEXT) | instid1(VALU_DEP_1)
	v_dual_mov_b32 v3, 0xff :: v_dual_lshrrev_b32 v2, 23, v4
	v_cmpx_ne_u32_e32 0xff, v2
; %bb.2892:
	v_and_b32_e32 v3, 0x400000, v4
	v_and_or_b32 v4, 0x3fffff, v4, v2
	s_delay_alu instid0(VALU_DEP_2) | instskip(NEXT) | instid1(VALU_DEP_2)
	v_cmp_ne_u32_e32 vcc_lo, 0, v3
	v_cmp_ne_u32_e64 s0, 0, v4
	s_and_b32 s0, vcc_lo, s0
	s_delay_alu instid0(SALU_CYCLE_1) | instskip(NEXT) | instid1(VALU_DEP_1)
	v_cndmask_b32_e64 v3, 0, 1, s0
	v_add_nc_u32_e32 v3, v2, v3
; %bb.2893:
	s_or_b32 exec_lo, exec_lo, s3
	s_mov_b32 s0, 0
	global_store_b8 v[0:1], v3, off
.LBB54_2894:
	s_mov_b32 s3, 0
.LBB54_2895:
	s_delay_alu instid0(SALU_CYCLE_1)
	s_and_b32 vcc_lo, exec_lo, s3
	s_cbranch_vccz .LBB54_2898
; %bb.2896:
	s_cmp_eq_u32 s1, 29
	s_mov_b32 s0, -1
	s_cbranch_scc0 .LBB54_2898
; %bb.2897:
	s_mov_b32 s0, 0
	s_wait_xcnt 0x0
	v_cndmask_b32_e64 v2, 0, 1, s18
	v_mov_b32_e32 v3, s0
	global_store_b64 v[0:1], v[2:3], off
.LBB54_2898:
	s_mov_b32 s3, 0
.LBB54_2899:
	s_delay_alu instid0(SALU_CYCLE_1)
	s_and_b32 vcc_lo, exec_lo, s3
	s_cbranch_vccz .LBB54_2914
; %bb.2900:
	s_cmp_lt_i32 s1, 27
	s_mov_b32 s3, -1
	s_cbranch_scc1 .LBB54_2906
; %bb.2901:
	s_wait_xcnt 0x0
	v_cndmask_b32_e64 v2, 0, 1, s18
	s_cmp_gt_i32 s1, 27
	s_cbranch_scc0 .LBB54_2903
; %bb.2902:
	s_mov_b32 s3, 0
	global_store_b32 v[0:1], v2, off
.LBB54_2903:
	s_and_not1_b32 vcc_lo, exec_lo, s3
	s_cbranch_vccnz .LBB54_2905
; %bb.2904:
	global_store_b16 v[0:1], v2, off
.LBB54_2905:
	s_mov_b32 s3, 0
.LBB54_2906:
	s_delay_alu instid0(SALU_CYCLE_1)
	s_and_not1_b32 vcc_lo, exec_lo, s3
	s_cbranch_vccnz .LBB54_2914
; %bb.2907:
	s_wait_xcnt 0x0
	v_cndmask_b32_e64 v3, 0, 1.0, s18
	v_mov_b32_e32 v4, 0x80
	s_mov_b32 s3, exec_lo
	s_delay_alu instid0(VALU_DEP_2)
	v_cmpx_gt_u32_e32 0x43800000, v3
	s_cbranch_execz .LBB54_2913
; %bb.2908:
	s_mov_b32 s4, 0
	s_mov_b32 s5, exec_lo
                                        ; implicit-def: $vgpr2
	v_cmpx_lt_u32_e32 0x3bffffff, v3
	s_xor_b32 s5, exec_lo, s5
	s_cbranch_execz .LBB54_3019
; %bb.2909:
	v_bfe_u32 v2, v3, 20, 1
	s_mov_b32 s4, exec_lo
	s_delay_alu instid0(VALU_DEP_1) | instskip(NEXT) | instid1(VALU_DEP_1)
	v_add3_u32 v2, v3, v2, 0x487ffff
                                        ; implicit-def: $vgpr3
	v_lshrrev_b32_e32 v2, 20, v2
	s_and_not1_saveexec_b32 s5, s5
	s_cbranch_execnz .LBB54_3020
.LBB54_2910:
	s_or_b32 exec_lo, exec_lo, s5
	v_mov_b32_e32 v4, 0
	s_and_saveexec_b32 s5, s4
.LBB54_2911:
	v_mov_b32_e32 v4, v2
.LBB54_2912:
	s_or_b32 exec_lo, exec_lo, s5
.LBB54_2913:
	s_delay_alu instid0(SALU_CYCLE_1)
	s_or_b32 exec_lo, exec_lo, s3
	global_store_b8 v[0:1], v4, off
.LBB54_2914:
	s_mov_b32 s3, 0
.LBB54_2915:
	s_delay_alu instid0(SALU_CYCLE_1)
	s_and_b32 vcc_lo, exec_lo, s3
	s_cbranch_vccz .LBB54_2955
; %bb.2916:
	s_cmp_gt_i32 s1, 22
	s_mov_b32 s2, -1
	s_cbranch_scc0 .LBB54_2948
; %bb.2917:
	s_cmp_lt_i32 s1, 24
	s_cbranch_scc1 .LBB54_2937
; %bb.2918:
	s_cmp_gt_i32 s1, 24
	s_cbranch_scc0 .LBB54_2926
; %bb.2919:
	s_wait_xcnt 0x0
	v_cndmask_b32_e64 v3, 0, 1.0, s18
	v_mov_b32_e32 v4, 0x80
	s_mov_b32 s2, exec_lo
	s_delay_alu instid0(VALU_DEP_2)
	v_cmpx_gt_u32_e32 0x47800000, v3
	s_cbranch_execz .LBB54_2925
; %bb.2920:
	s_mov_b32 s3, 0
	s_mov_b32 s4, exec_lo
                                        ; implicit-def: $vgpr2
	v_cmpx_lt_u32_e32 0x37ffffff, v3
	s_xor_b32 s4, exec_lo, s4
	s_cbranch_execz .LBB54_3022
; %bb.2921:
	v_bfe_u32 v2, v3, 21, 1
	s_mov_b32 s3, exec_lo
	s_delay_alu instid0(VALU_DEP_1) | instskip(NEXT) | instid1(VALU_DEP_1)
	v_add3_u32 v2, v3, v2, 0x88fffff
                                        ; implicit-def: $vgpr3
	v_lshrrev_b32_e32 v2, 21, v2
	s_and_not1_saveexec_b32 s4, s4
	s_cbranch_execnz .LBB54_3023
.LBB54_2922:
	s_or_b32 exec_lo, exec_lo, s4
	v_mov_b32_e32 v4, 0
	s_and_saveexec_b32 s4, s3
.LBB54_2923:
	v_mov_b32_e32 v4, v2
.LBB54_2924:
	s_or_b32 exec_lo, exec_lo, s4
.LBB54_2925:
	s_delay_alu instid0(SALU_CYCLE_1)
	s_or_b32 exec_lo, exec_lo, s2
	s_mov_b32 s2, 0
	global_store_b8 v[0:1], v4, off
.LBB54_2926:
	s_and_b32 vcc_lo, exec_lo, s2
	s_cbranch_vccz .LBB54_2936
; %bb.2927:
	s_wait_xcnt 0x0
	v_cndmask_b32_e64 v3, 0, 1.0, s18
	s_mov_b32 s2, exec_lo
                                        ; implicit-def: $vgpr2
	s_delay_alu instid0(VALU_DEP_1)
	v_cmpx_gt_u32_e32 0x43f00000, v3
	s_xor_b32 s2, exec_lo, s2
	s_cbranch_execz .LBB54_2933
; %bb.2928:
	s_mov_b32 s3, exec_lo
                                        ; implicit-def: $vgpr2
	v_cmpx_lt_u32_e32 0x3c7fffff, v3
	s_xor_b32 s3, exec_lo, s3
; %bb.2929:
	v_bfe_u32 v2, v3, 20, 1
	s_delay_alu instid0(VALU_DEP_1) | instskip(NEXT) | instid1(VALU_DEP_1)
	v_add3_u32 v2, v3, v2, 0x407ffff
	v_and_b32_e32 v3, 0xff00000, v2
	v_lshrrev_b32_e32 v2, 20, v2
	s_delay_alu instid0(VALU_DEP_2) | instskip(NEXT) | instid1(VALU_DEP_2)
	v_cmp_ne_u32_e32 vcc_lo, 0x7f00000, v3
                                        ; implicit-def: $vgpr3
	v_cndmask_b32_e32 v2, 0x7e, v2, vcc_lo
; %bb.2930:
	s_and_not1_saveexec_b32 s3, s3
; %bb.2931:
	v_add_f32_e32 v2, 0x46800000, v3
; %bb.2932:
	s_or_b32 exec_lo, exec_lo, s3
                                        ; implicit-def: $vgpr3
.LBB54_2933:
	s_and_not1_saveexec_b32 s2, s2
; %bb.2934:
	v_mov_b32_e32 v2, 0x7f
	v_cmp_lt_u32_e32 vcc_lo, 0x7f800000, v3
	s_delay_alu instid0(VALU_DEP_2)
	v_cndmask_b32_e32 v2, 0x7e, v2, vcc_lo
; %bb.2935:
	s_or_b32 exec_lo, exec_lo, s2
	global_store_b8 v[0:1], v2, off
.LBB54_2936:
	s_mov_b32 s2, 0
.LBB54_2937:
	s_delay_alu instid0(SALU_CYCLE_1)
	s_and_not1_b32 vcc_lo, exec_lo, s2
	s_cbranch_vccnz .LBB54_2947
; %bb.2938:
	s_wait_xcnt 0x0
	v_cndmask_b32_e64 v3, 0, 1.0, s18
	s_mov_b32 s2, exec_lo
                                        ; implicit-def: $vgpr2
	s_delay_alu instid0(VALU_DEP_1)
	v_cmpx_gt_u32_e32 0x47800000, v3
	s_xor_b32 s2, exec_lo, s2
	s_cbranch_execz .LBB54_2944
; %bb.2939:
	s_mov_b32 s3, exec_lo
                                        ; implicit-def: $vgpr2
	v_cmpx_lt_u32_e32 0x387fffff, v3
	s_xor_b32 s3, exec_lo, s3
; %bb.2940:
	v_bfe_u32 v2, v3, 21, 1
	s_delay_alu instid0(VALU_DEP_1) | instskip(NEXT) | instid1(VALU_DEP_1)
	v_add3_u32 v2, v3, v2, 0x80fffff
                                        ; implicit-def: $vgpr3
	v_lshrrev_b32_e32 v2, 21, v2
; %bb.2941:
	s_and_not1_saveexec_b32 s3, s3
; %bb.2942:
	v_add_f32_e32 v2, 0x43000000, v3
; %bb.2943:
	s_or_b32 exec_lo, exec_lo, s3
                                        ; implicit-def: $vgpr3
.LBB54_2944:
	s_and_not1_saveexec_b32 s2, s2
; %bb.2945:
	v_mov_b32_e32 v2, 0x7f
	v_cmp_lt_u32_e32 vcc_lo, 0x7f800000, v3
	s_delay_alu instid0(VALU_DEP_2)
	v_cndmask_b32_e32 v2, 0x7c, v2, vcc_lo
; %bb.2946:
	s_or_b32 exec_lo, exec_lo, s2
	global_store_b8 v[0:1], v2, off
.LBB54_2947:
	s_mov_b32 s2, 0
.LBB54_2948:
	s_delay_alu instid0(SALU_CYCLE_1)
	s_and_not1_b32 vcc_lo, exec_lo, s2
	s_mov_b32 s2, 0
	s_cbranch_vccnz .LBB54_2955
; %bb.2949:
	s_cmp_gt_i32 s1, 14
	s_mov_b32 s2, -1
	s_cbranch_scc0 .LBB54_2953
; %bb.2950:
	s_cmp_eq_u32 s1, 15
	s_mov_b32 s0, -1
	s_cbranch_scc0 .LBB54_2952
; %bb.2951:
	s_wait_xcnt 0x0
	v_cndmask_b32_e64 v2, 0, 1.0, s18
	s_mov_b32 s0, 0
	s_delay_alu instid0(VALU_DEP_1) | instskip(NEXT) | instid1(VALU_DEP_1)
	v_bfe_u32 v3, v2, 16, 1
	v_add3_u32 v2, v2, v3, 0x7fff
	global_store_d16_hi_b16 v[0:1], v2, off
.LBB54_2952:
	s_mov_b32 s2, 0
.LBB54_2953:
	s_delay_alu instid0(SALU_CYCLE_1)
	s_and_b32 vcc_lo, exec_lo, s2
	s_mov_b32 s2, 0
	s_cbranch_vccz .LBB54_2955
; %bb.2954:
	s_cmp_lg_u32 s1, 11
	s_mov_b32 s2, -1
	s_cselect_b32 s0, -1, 0
.LBB54_2955:
	s_delay_alu instid0(SALU_CYCLE_1)
	s_and_b32 vcc_lo, exec_lo, s0
	s_cbranch_vccnz .LBB54_3021
.LBB54_2956:
	s_mov_b32 s0, 0
	s_branch .LBB54_2958
.LBB54_2957:
	s_mov_b32 s0, 0
	s_mov_b32 s2, 0
                                        ; implicit-def: $sgpr18
                                        ; implicit-def: $sgpr17
                                        ; implicit-def: $vgpr0_vgpr1
.LBB54_2958:
	s_and_not1_b32 s1, s16, exec_lo
	s_and_b32 s3, s13, exec_lo
	s_and_b32 s0, s0, exec_lo
	;; [unrolled: 1-line block ×3, first 2 shown]
	s_or_b32 s16, s1, s3
.LBB54_2959:
	s_wait_xcnt 0x0
	s_or_b32 exec_lo, exec_lo, s15
	s_and_saveexec_b32 s1, s16
	s_cbranch_execz .LBB54_2962
; %bb.2960:
	; divergent unreachable
	s_or_b32 exec_lo, exec_lo, s1
	s_and_saveexec_b32 s1, s13
	s_delay_alu instid0(SALU_CYCLE_1)
	s_xor_b32 s1, exec_lo, s1
	s_cbranch_execnz .LBB54_2963
.LBB54_2961:
	s_or_b32 exec_lo, exec_lo, s1
	s_and_saveexec_b32 s1, s0
	s_cbranch_execnz .LBB54_2964
	s_branch .LBB54_3001
.LBB54_2962:
	s_or_b32 exec_lo, exec_lo, s1
	s_and_saveexec_b32 s1, s13
	s_delay_alu instid0(SALU_CYCLE_1)
	s_xor_b32 s1, exec_lo, s1
	s_cbranch_execz .LBB54_2961
.LBB54_2963:
	s_wait_loadcnt 0x0
	v_cndmask_b32_e64 v2, 0, 1, s18
	global_store_b8 v[0:1], v2, off
	s_wait_xcnt 0x0
	s_or_b32 exec_lo, exec_lo, s1
	s_and_saveexec_b32 s1, s0
	s_cbranch_execz .LBB54_3001
.LBB54_2964:
	s_sext_i32_i16 s1, s17
	s_mov_b32 s0, -1
	s_cmp_lt_i32 s1, 5
	s_cbranch_scc1 .LBB54_2985
; %bb.2965:
	s_cmp_lt_i32 s1, 8
	s_cbranch_scc1 .LBB54_2975
; %bb.2966:
	s_cmp_lt_i32 s1, 9
	s_cbranch_scc1 .LBB54_2972
; %bb.2967:
	s_cmp_gt_i32 s1, 9
	s_cbranch_scc0 .LBB54_2969
; %bb.2968:
	s_wait_loadcnt 0x0
	v_cndmask_b32_e64 v2, 0, 1, s18
	v_mov_b32_e32 v4, 0
	s_mov_b32 s0, 0
	s_delay_alu instid0(VALU_DEP_2) | instskip(NEXT) | instid1(VALU_DEP_2)
	v_cvt_f64_u32_e32 v[2:3], v2
	v_mov_b32_e32 v5, v4
	global_store_b128 v[0:1], v[2:5], off
.LBB54_2969:
	s_and_not1_b32 vcc_lo, exec_lo, s0
	s_cbranch_vccnz .LBB54_2971
; %bb.2970:
	s_wait_loadcnt 0x0
	v_cndmask_b32_e64 v2, 0, 1.0, s18
	v_mov_b32_e32 v3, 0
	global_store_b64 v[0:1], v[2:3], off
.LBB54_2971:
	s_mov_b32 s0, 0
.LBB54_2972:
	s_delay_alu instid0(SALU_CYCLE_1)
	s_and_not1_b32 vcc_lo, exec_lo, s0
	s_cbranch_vccnz .LBB54_2974
; %bb.2973:
	s_wait_loadcnt 0x0
	v_cndmask_b32_e64 v2, 0, 1.0, s18
	s_delay_alu instid0(VALU_DEP_1) | instskip(NEXT) | instid1(VALU_DEP_1)
	v_cvt_f16_f32_e32 v2, v2
	v_and_b32_e32 v2, 0xffff, v2
	global_store_b32 v[0:1], v2, off
.LBB54_2974:
	s_mov_b32 s0, 0
.LBB54_2975:
	s_delay_alu instid0(SALU_CYCLE_1)
	s_and_not1_b32 vcc_lo, exec_lo, s0
	s_cbranch_vccnz .LBB54_2984
; %bb.2976:
	s_sext_i32_i16 s1, s17
	s_mov_b32 s0, -1
	s_cmp_lt_i32 s1, 6
	s_cbranch_scc1 .LBB54_2982
; %bb.2977:
	s_cmp_gt_i32 s1, 6
	s_cbranch_scc0 .LBB54_2979
; %bb.2978:
	s_wait_loadcnt 0x0
	v_cndmask_b32_e64 v2, 0, 1, s18
	s_mov_b32 s0, 0
	s_delay_alu instid0(VALU_DEP_1)
	v_cvt_f64_u32_e32 v[2:3], v2
	global_store_b64 v[0:1], v[2:3], off
.LBB54_2979:
	s_and_not1_b32 vcc_lo, exec_lo, s0
	s_cbranch_vccnz .LBB54_2981
; %bb.2980:
	s_wait_loadcnt 0x0
	v_cndmask_b32_e64 v2, 0, 1.0, s18
	global_store_b32 v[0:1], v2, off
.LBB54_2981:
	s_mov_b32 s0, 0
.LBB54_2982:
	s_delay_alu instid0(SALU_CYCLE_1)
	s_and_not1_b32 vcc_lo, exec_lo, s0
	s_cbranch_vccnz .LBB54_2984
; %bb.2983:
	s_wait_loadcnt 0x0
	v_cndmask_b32_e64 v2, 0, 1.0, s18
	s_delay_alu instid0(VALU_DEP_1)
	v_cvt_f16_f32_e32 v2, v2
	global_store_b16 v[0:1], v2, off
.LBB54_2984:
	s_mov_b32 s0, 0
.LBB54_2985:
	s_delay_alu instid0(SALU_CYCLE_1)
	s_and_not1_b32 vcc_lo, exec_lo, s0
	s_cbranch_vccnz .LBB54_3001
; %bb.2986:
	s_sext_i32_i16 s1, s17
	s_mov_b32 s0, -1
	s_cmp_lt_i32 s1, 2
	s_cbranch_scc1 .LBB54_2996
; %bb.2987:
	s_cmp_lt_i32 s1, 3
	s_cbranch_scc1 .LBB54_2993
; %bb.2988:
	s_cmp_gt_i32 s1, 3
	s_cbranch_scc0 .LBB54_2990
; %bb.2989:
	s_mov_b32 s0, 0
	s_wait_loadcnt 0x0
	v_cndmask_b32_e64 v2, 0, 1, s18
	v_mov_b32_e32 v3, s0
	global_store_b64 v[0:1], v[2:3], off
.LBB54_2990:
	s_and_not1_b32 vcc_lo, exec_lo, s0
	s_cbranch_vccnz .LBB54_2992
; %bb.2991:
	s_wait_loadcnt 0x0
	v_cndmask_b32_e64 v2, 0, 1, s18
	global_store_b32 v[0:1], v2, off
.LBB54_2992:
	s_mov_b32 s0, 0
.LBB54_2993:
	s_delay_alu instid0(SALU_CYCLE_1)
	s_and_not1_b32 vcc_lo, exec_lo, s0
	s_cbranch_vccnz .LBB54_2995
; %bb.2994:
	s_wait_loadcnt 0x0
	v_cndmask_b32_e64 v2, 0, 1, s18
	global_store_b16 v[0:1], v2, off
.LBB54_2995:
	s_mov_b32 s0, 0
.LBB54_2996:
	s_delay_alu instid0(SALU_CYCLE_1)
	s_and_not1_b32 vcc_lo, exec_lo, s0
	s_cbranch_vccnz .LBB54_3001
; %bb.2997:
	s_wait_loadcnt 0x0
	v_cndmask_b32_e64 v2, 0, 1, s18
	s_sext_i32_i16 s0, s17
	s_delay_alu instid0(SALU_CYCLE_1)
	s_cmp_gt_i32 s0, 0
	s_mov_b32 s0, -1
	s_cbranch_scc0 .LBB54_2999
; %bb.2998:
	s_mov_b32 s0, 0
	global_store_b8 v[0:1], v2, off
.LBB54_2999:
	s_and_not1_b32 vcc_lo, exec_lo, s0
	s_cbranch_vccnz .LBB54_3001
; %bb.3000:
	global_store_b8 v[0:1], v2, off
	s_endpgm
.LBB54_3001:
	s_endpgm
.LBB54_3002:
	s_mov_b32 s2, 0
	s_mov_b32 s0, -1
	s_branch .LBB54_2958
.LBB54_3003:
	s_or_b32 s13, s13, exec_lo
	s_trap 2
	s_cbranch_execz .LBB54_2473
	s_branch .LBB54_2474
.LBB54_3004:
	s_and_not1_saveexec_b32 s10, s10
	s_cbranch_execz .LBB54_2553
.LBB54_3005:
	v_add_f32_e32 v2, 0x46000000, v3
	s_and_not1_b32 s9, s9, exec_lo
	s_delay_alu instid0(VALU_DEP_1) | instskip(NEXT) | instid1(VALU_DEP_1)
	v_and_b32_e32 v2, 0xff, v2
	v_cmp_ne_u32_e32 vcc_lo, 0, v2
	s_and_b32 s11, vcc_lo, exec_lo
	s_delay_alu instid0(SALU_CYCLE_1)
	s_or_b32 s9, s9, s11
	s_or_b32 exec_lo, exec_lo, s10
	v_mov_b32_e32 v17, 0
	s_and_saveexec_b32 s10, s9
	s_cbranch_execnz .LBB54_2554
	s_branch .LBB54_2555
.LBB54_3006:
	s_or_b32 s13, s13, exec_lo
	s_trap 2
	s_cbranch_execz .LBB54_2601
	s_branch .LBB54_2602
.LBB54_3007:
	s_and_not1_saveexec_b32 s9, s9
	s_cbranch_execz .LBB54_2566
.LBB54_3008:
	v_add_f32_e32 v2, 0x42800000, v3
	s_and_not1_b32 s7, s7, exec_lo
	s_delay_alu instid0(VALU_DEP_1) | instskip(NEXT) | instid1(VALU_DEP_1)
	v_and_b32_e32 v2, 0xff, v2
	v_cmp_ne_u32_e32 vcc_lo, 0, v2
	s_and_b32 s10, vcc_lo, exec_lo
	s_delay_alu instid0(SALU_CYCLE_1)
	s_or_b32 s7, s7, s10
	s_or_b32 exec_lo, exec_lo, s9
	v_mov_b32_e32 v17, 0
	s_and_saveexec_b32 s9, s7
	s_cbranch_execnz .LBB54_2567
	s_branch .LBB54_2568
.LBB54_3009:
	s_and_not1_saveexec_b32 s10, s10
	s_cbranch_execz .LBB54_2671
.LBB54_3010:
	v_add_f32_e32 v1, 0x46000000, v4
	s_and_not1_b32 s9, s9, exec_lo
	s_delay_alu instid0(VALU_DEP_1) | instskip(NEXT) | instid1(VALU_DEP_1)
	v_and_b32_e32 v1, 0xff, v1
	v_cmp_ne_u32_e32 vcc_lo, 0, v1
	s_and_b32 s11, vcc_lo, exec_lo
	s_delay_alu instid0(SALU_CYCLE_1)
	s_or_b32 s9, s9, s11
	s_or_b32 exec_lo, exec_lo, s10
	v_mov_b32_e32 v5, 0
	s_and_saveexec_b32 s10, s9
	s_cbranch_execnz .LBB54_2672
	s_branch .LBB54_2673
.LBB54_3011:
	s_or_b32 s13, s13, exec_lo
	s_trap 2
	s_cbranch_execz .LBB54_2719
	s_branch .LBB54_2720
.LBB54_3012:
	s_and_not1_saveexec_b32 s9, s9
	s_cbranch_execz .LBB54_2684
.LBB54_3013:
	v_add_f32_e32 v1, 0x42800000, v4
	s_and_not1_b32 s8, s8, exec_lo
	s_delay_alu instid0(VALU_DEP_1) | instskip(NEXT) | instid1(VALU_DEP_1)
	v_and_b32_e32 v1, 0xff, v1
	v_cmp_ne_u32_e32 vcc_lo, 0, v1
	s_and_b32 s10, vcc_lo, exec_lo
	s_delay_alu instid0(SALU_CYCLE_1)
	s_or_b32 s8, s8, s10
	s_or_b32 exec_lo, exec_lo, s9
	v_mov_b32_e32 v5, 0
	s_and_saveexec_b32 s9, s8
	s_cbranch_execnz .LBB54_2685
	s_branch .LBB54_2686
.LBB54_3014:
	s_and_not1_saveexec_b32 s10, s10
	s_cbranch_execz .LBB54_2790
.LBB54_3015:
	v_add_f32_e32 v1, 0x46000000, v4
	s_and_not1_b32 s9, s9, exec_lo
	s_delay_alu instid0(VALU_DEP_1) | instskip(NEXT) | instid1(VALU_DEP_1)
	v_and_b32_e32 v1, 0xff, v1
	v_cmp_ne_u32_e32 vcc_lo, 0, v1
	s_and_b32 s11, vcc_lo, exec_lo
	s_delay_alu instid0(SALU_CYCLE_1)
	s_or_b32 s9, s9, s11
	s_or_b32 exec_lo, exec_lo, s10
	v_mov_b32_e32 v5, 0
	s_and_saveexec_b32 s10, s9
	s_cbranch_execnz .LBB54_2791
	s_branch .LBB54_2792
.LBB54_3016:
	s_or_b32 s13, s13, exec_lo
	s_trap 2
	s_cbranch_execz .LBB54_2838
	s_branch .LBB54_2839
.LBB54_3017:
	s_and_not1_saveexec_b32 s9, s9
	s_cbranch_execz .LBB54_2803
.LBB54_3018:
	v_add_f32_e32 v1, 0x42800000, v4
	s_and_not1_b32 s8, s8, exec_lo
	s_delay_alu instid0(VALU_DEP_1) | instskip(NEXT) | instid1(VALU_DEP_1)
	v_and_b32_e32 v1, 0xff, v1
	v_cmp_ne_u32_e32 vcc_lo, 0, v1
	s_and_b32 s10, vcc_lo, exec_lo
	s_delay_alu instid0(SALU_CYCLE_1)
	s_or_b32 s8, s8, s10
	s_or_b32 exec_lo, exec_lo, s9
	v_mov_b32_e32 v5, 0
	s_and_saveexec_b32 s9, s8
	s_cbranch_execnz .LBB54_2804
	s_branch .LBB54_2805
.LBB54_3019:
	s_and_not1_saveexec_b32 s5, s5
	s_cbranch_execz .LBB54_2910
.LBB54_3020:
	v_add_f32_e32 v2, 0x46000000, v3
	s_and_not1_b32 s4, s4, exec_lo
	s_delay_alu instid0(VALU_DEP_1) | instskip(NEXT) | instid1(VALU_DEP_1)
	v_and_b32_e32 v2, 0xff, v2
	v_cmp_ne_u32_e32 vcc_lo, 0, v2
	s_and_b32 s6, vcc_lo, exec_lo
	s_delay_alu instid0(SALU_CYCLE_1)
	s_or_b32 s4, s4, s6
	s_or_b32 exec_lo, exec_lo, s5
	v_mov_b32_e32 v4, 0
	s_and_saveexec_b32 s5, s4
	s_cbranch_execnz .LBB54_2911
	s_branch .LBB54_2912
.LBB54_3021:
	s_mov_b32 s2, 0
	s_or_b32 s13, s13, exec_lo
	s_trap 2
	s_branch .LBB54_2956
.LBB54_3022:
	s_and_not1_saveexec_b32 s4, s4
	s_cbranch_execz .LBB54_2922
.LBB54_3023:
	v_add_f32_e32 v2, 0x42800000, v3
	s_and_not1_b32 s3, s3, exec_lo
	s_delay_alu instid0(VALU_DEP_1) | instskip(NEXT) | instid1(VALU_DEP_1)
	v_and_b32_e32 v2, 0xff, v2
	v_cmp_ne_u32_e32 vcc_lo, 0, v2
	s_and_b32 s5, vcc_lo, exec_lo
	s_delay_alu instid0(SALU_CYCLE_1)
	s_or_b32 s3, s3, s5
	s_or_b32 exec_lo, exec_lo, s4
	v_mov_b32_e32 v4, 0
	s_and_saveexec_b32 s4, s3
	s_cbranch_execnz .LBB54_2923
	s_branch .LBB54_2924
	.section	.rodata,"a",@progbits
	.p2align	6, 0x0
	.amdhsa_kernel _ZN2at6native32elementwise_kernel_manual_unrollILi128ELi4EZNS0_15gpu_kernel_implINS0_13BinaryFunctorIllbNS0_12_GLOBAL__N_116CompareEqFunctorIlEEEEEEvRNS_18TensorIteratorBaseERKT_EUlibE_EEviT1_
		.amdhsa_group_segment_fixed_size 0
		.amdhsa_private_segment_fixed_size 0
		.amdhsa_kernarg_size 56
		.amdhsa_user_sgpr_count 2
		.amdhsa_user_sgpr_dispatch_ptr 0
		.amdhsa_user_sgpr_queue_ptr 0
		.amdhsa_user_sgpr_kernarg_segment_ptr 1
		.amdhsa_user_sgpr_dispatch_id 0
		.amdhsa_user_sgpr_kernarg_preload_length 0
		.amdhsa_user_sgpr_kernarg_preload_offset 0
		.amdhsa_user_sgpr_private_segment_size 0
		.amdhsa_wavefront_size32 1
		.amdhsa_uses_dynamic_stack 0
		.amdhsa_enable_private_segment 0
		.amdhsa_system_sgpr_workgroup_id_x 1
		.amdhsa_system_sgpr_workgroup_id_y 0
		.amdhsa_system_sgpr_workgroup_id_z 0
		.amdhsa_system_sgpr_workgroup_info 0
		.amdhsa_system_vgpr_workitem_id 0
		.amdhsa_next_free_vgpr 24
		.amdhsa_next_free_sgpr 37
		.amdhsa_named_barrier_count 0
		.amdhsa_reserve_vcc 1
		.amdhsa_float_round_mode_32 0
		.amdhsa_float_round_mode_16_64 0
		.amdhsa_float_denorm_mode_32 3
		.amdhsa_float_denorm_mode_16_64 3
		.amdhsa_fp16_overflow 0
		.amdhsa_memory_ordered 1
		.amdhsa_forward_progress 1
		.amdhsa_inst_pref_size 255
		.amdhsa_round_robin_scheduling 0
		.amdhsa_exception_fp_ieee_invalid_op 0
		.amdhsa_exception_fp_denorm_src 0
		.amdhsa_exception_fp_ieee_div_zero 0
		.amdhsa_exception_fp_ieee_overflow 0
		.amdhsa_exception_fp_ieee_underflow 0
		.amdhsa_exception_fp_ieee_inexact 0
		.amdhsa_exception_int_div_zero 0
	.end_amdhsa_kernel
	.section	.text._ZN2at6native32elementwise_kernel_manual_unrollILi128ELi4EZNS0_15gpu_kernel_implINS0_13BinaryFunctorIllbNS0_12_GLOBAL__N_116CompareEqFunctorIlEEEEEEvRNS_18TensorIteratorBaseERKT_EUlibE_EEviT1_,"axG",@progbits,_ZN2at6native32elementwise_kernel_manual_unrollILi128ELi4EZNS0_15gpu_kernel_implINS0_13BinaryFunctorIllbNS0_12_GLOBAL__N_116CompareEqFunctorIlEEEEEEvRNS_18TensorIteratorBaseERKT_EUlibE_EEviT1_,comdat
.Lfunc_end54:
	.size	_ZN2at6native32elementwise_kernel_manual_unrollILi128ELi4EZNS0_15gpu_kernel_implINS0_13BinaryFunctorIllbNS0_12_GLOBAL__N_116CompareEqFunctorIlEEEEEEvRNS_18TensorIteratorBaseERKT_EUlibE_EEviT1_, .Lfunc_end54-_ZN2at6native32elementwise_kernel_manual_unrollILi128ELi4EZNS0_15gpu_kernel_implINS0_13BinaryFunctorIllbNS0_12_GLOBAL__N_116CompareEqFunctorIlEEEEEEvRNS_18TensorIteratorBaseERKT_EUlibE_EEviT1_
                                        ; -- End function
	.set _ZN2at6native32elementwise_kernel_manual_unrollILi128ELi4EZNS0_15gpu_kernel_implINS0_13BinaryFunctorIllbNS0_12_GLOBAL__N_116CompareEqFunctorIlEEEEEEvRNS_18TensorIteratorBaseERKT_EUlibE_EEviT1_.num_vgpr, 24
	.set _ZN2at6native32elementwise_kernel_manual_unrollILi128ELi4EZNS0_15gpu_kernel_implINS0_13BinaryFunctorIllbNS0_12_GLOBAL__N_116CompareEqFunctorIlEEEEEEvRNS_18TensorIteratorBaseERKT_EUlibE_EEviT1_.num_agpr, 0
	.set _ZN2at6native32elementwise_kernel_manual_unrollILi128ELi4EZNS0_15gpu_kernel_implINS0_13BinaryFunctorIllbNS0_12_GLOBAL__N_116CompareEqFunctorIlEEEEEEvRNS_18TensorIteratorBaseERKT_EUlibE_EEviT1_.numbered_sgpr, 37
	.set _ZN2at6native32elementwise_kernel_manual_unrollILi128ELi4EZNS0_15gpu_kernel_implINS0_13BinaryFunctorIllbNS0_12_GLOBAL__N_116CompareEqFunctorIlEEEEEEvRNS_18TensorIteratorBaseERKT_EUlibE_EEviT1_.num_named_barrier, 0
	.set _ZN2at6native32elementwise_kernel_manual_unrollILi128ELi4EZNS0_15gpu_kernel_implINS0_13BinaryFunctorIllbNS0_12_GLOBAL__N_116CompareEqFunctorIlEEEEEEvRNS_18TensorIteratorBaseERKT_EUlibE_EEviT1_.private_seg_size, 0
	.set _ZN2at6native32elementwise_kernel_manual_unrollILi128ELi4EZNS0_15gpu_kernel_implINS0_13BinaryFunctorIllbNS0_12_GLOBAL__N_116CompareEqFunctorIlEEEEEEvRNS_18TensorIteratorBaseERKT_EUlibE_EEviT1_.uses_vcc, 1
	.set _ZN2at6native32elementwise_kernel_manual_unrollILi128ELi4EZNS0_15gpu_kernel_implINS0_13BinaryFunctorIllbNS0_12_GLOBAL__N_116CompareEqFunctorIlEEEEEEvRNS_18TensorIteratorBaseERKT_EUlibE_EEviT1_.uses_flat_scratch, 0
	.set _ZN2at6native32elementwise_kernel_manual_unrollILi128ELi4EZNS0_15gpu_kernel_implINS0_13BinaryFunctorIllbNS0_12_GLOBAL__N_116CompareEqFunctorIlEEEEEEvRNS_18TensorIteratorBaseERKT_EUlibE_EEviT1_.has_dyn_sized_stack, 0
	.set _ZN2at6native32elementwise_kernel_manual_unrollILi128ELi4EZNS0_15gpu_kernel_implINS0_13BinaryFunctorIllbNS0_12_GLOBAL__N_116CompareEqFunctorIlEEEEEEvRNS_18TensorIteratorBaseERKT_EUlibE_EEviT1_.has_recursion, 0
	.set _ZN2at6native32elementwise_kernel_manual_unrollILi128ELi4EZNS0_15gpu_kernel_implINS0_13BinaryFunctorIllbNS0_12_GLOBAL__N_116CompareEqFunctorIlEEEEEEvRNS_18TensorIteratorBaseERKT_EUlibE_EEviT1_.has_indirect_call, 0
	.section	.AMDGPU.csdata,"",@progbits
; Kernel info:
; codeLenInByte = 65680
; TotalNumSgprs: 39
; NumVgprs: 24
; ScratchSize: 0
; MemoryBound: 1
; FloatMode: 240
; IeeeMode: 1
; LDSByteSize: 0 bytes/workgroup (compile time only)
; SGPRBlocks: 0
; VGPRBlocks: 1
; NumSGPRsForWavesPerEU: 39
; NumVGPRsForWavesPerEU: 24
; NamedBarCnt: 0
; Occupancy: 16
; WaveLimiterHint : 0
; COMPUTE_PGM_RSRC2:SCRATCH_EN: 0
; COMPUTE_PGM_RSRC2:USER_SGPR: 2
; COMPUTE_PGM_RSRC2:TRAP_HANDLER: 0
; COMPUTE_PGM_RSRC2:TGID_X_EN: 1
; COMPUTE_PGM_RSRC2:TGID_Y_EN: 0
; COMPUTE_PGM_RSRC2:TGID_Z_EN: 0
; COMPUTE_PGM_RSRC2:TIDIG_COMP_CNT: 0
	.section	.text._ZN2at6native32elementwise_kernel_manual_unrollILi128ELi4EZNS0_15gpu_kernel_implINS0_13BinaryFunctorIllbNS0_12_GLOBAL__N_116CompareEqFunctorIlEEEEEEvRNS_18TensorIteratorBaseERKT_EUlibE0_EEviT1_,"axG",@progbits,_ZN2at6native32elementwise_kernel_manual_unrollILi128ELi4EZNS0_15gpu_kernel_implINS0_13BinaryFunctorIllbNS0_12_GLOBAL__N_116CompareEqFunctorIlEEEEEEvRNS_18TensorIteratorBaseERKT_EUlibE0_EEviT1_,comdat
	.globl	_ZN2at6native32elementwise_kernel_manual_unrollILi128ELi4EZNS0_15gpu_kernel_implINS0_13BinaryFunctorIllbNS0_12_GLOBAL__N_116CompareEqFunctorIlEEEEEEvRNS_18TensorIteratorBaseERKT_EUlibE0_EEviT1_ ; -- Begin function _ZN2at6native32elementwise_kernel_manual_unrollILi128ELi4EZNS0_15gpu_kernel_implINS0_13BinaryFunctorIllbNS0_12_GLOBAL__N_116CompareEqFunctorIlEEEEEEvRNS_18TensorIteratorBaseERKT_EUlibE0_EEviT1_
	.p2align	8
	.type	_ZN2at6native32elementwise_kernel_manual_unrollILi128ELi4EZNS0_15gpu_kernel_implINS0_13BinaryFunctorIllbNS0_12_GLOBAL__N_116CompareEqFunctorIlEEEEEEvRNS_18TensorIteratorBaseERKT_EUlibE0_EEviT1_,@function
_ZN2at6native32elementwise_kernel_manual_unrollILi128ELi4EZNS0_15gpu_kernel_implINS0_13BinaryFunctorIllbNS0_12_GLOBAL__N_116CompareEqFunctorIlEEEEEEvRNS_18TensorIteratorBaseERKT_EUlibE0_EEviT1_: ; @_ZN2at6native32elementwise_kernel_manual_unrollILi128ELi4EZNS0_15gpu_kernel_implINS0_13BinaryFunctorIllbNS0_12_GLOBAL__N_116CompareEqFunctorIlEEEEEEvRNS_18TensorIteratorBaseERKT_EUlibE0_EEviT1_
; %bb.0:
	s_clause 0x1
	s_load_b32 s28, s[0:1], 0x8
	s_load_b32 s37, s[0:1], 0x0
	s_bfe_u32 s2, ttmp6, 0x4000c
	s_and_b32 s3, ttmp6, 15
	s_add_co_i32 s2, s2, 1
	s_getreg_b32 s4, hwreg(HW_REG_IB_STS2, 6, 4)
	s_mul_i32 s2, ttmp9, s2
	s_mov_b32 s30, 0
	s_add_co_i32 s3, s3, s2
	s_cmp_eq_u32 s4, 0
	s_mov_b32 s27, -1
	s_cselect_b32 s2, ttmp9, s3
	s_mov_b32 s8, 0
	v_lshl_or_b32 v0, s2, 9, v0
	s_add_nc_u64 s[2:3], s[0:1], 8
	s_wait_xcnt 0x0
	s_mov_b32 s0, exec_lo
	s_delay_alu instid0(VALU_DEP_1) | instskip(SKIP_2) | instid1(SALU_CYCLE_1)
	v_or_b32_e32 v1, 0x180, v0
	s_wait_kmcnt 0x0
	s_add_co_i32 s29, s28, -1
	s_cmp_gt_u32 s29, 1
	s_cselect_b32 s31, -1, 0
	v_cmpx_le_i32_e64 s37, v1
	s_xor_b32 s33, exec_lo, s0
	s_cbranch_execz .LBB55_1561
; %bb.1:
	s_clause 0x4
	s_load_b128 s[12:15], s[2:3], 0x4
	s_load_b256 s[4:11], s[2:3], 0x188
	s_load_b64 s[0:1], s[2:3], 0x14
	s_load_b128 s[16:19], s[2:3], 0xc4
	s_load_b64 s[22:23], s[2:3], 0xd4
	s_cmp_lg_u32 s28, 0
	s_mov_b32 s21, 0
	s_cselect_b32 s38, -1, 0
	s_min_u32 s36, s29, 15
	s_cmp_gt_u32 s28, 1
	s_mov_b32 s25, s21
	s_cselect_b32 s35, -1, 0
	s_mov_b32 s41, s21
	s_mov_b32 s40, s21
	;; [unrolled: 1-line block ×3, first 2 shown]
	s_mov_b32 s42, exec_lo
	s_wait_kmcnt 0x0
	s_mov_b32 s20, s13
	s_lshr_b32 s34, s11, 8
	s_lshr_b32 s13, s11, 16
	s_cmp_eq_u32 s10, 0
	s_mov_b32 s24, s0
	s_cselect_b32 s10, -1, 0
	v_cmpx_gt_i32_e64 s37, v0
	s_cbranch_execz .LBB55_385
; %bb.2:
	s_and_not1_b32 vcc_lo, exec_lo, s31
	s_cbranch_vccnz .LBB55_8
; %bb.3:
	s_and_not1_b32 vcc_lo, exec_lo, s38
	s_cbranch_vccnz .LBB55_9
; %bb.4:
	v_dual_mov_b32 v2, 0 :: v_dual_mov_b32 v1, v0
	v_dual_mov_b32 v4, 0 :: v_dual_mov_b32 v6, 0
	s_add_co_i32 s0, s36, 1
	s_mov_b64 s[26:27], 0xffffffffffffffe8
	s_and_b32 s0, s0, 30
	s_add_nc_u64 s[26:27], s[2:3], s[26:27]
.LBB55_5:                               ; =>This Inner Loop Header: Depth=1
	s_clause 0x1
	s_load_b128 s[44:47], s[26:27], 0x1c
	s_load_b64 s[40:41], s[26:27], 0x2c
	s_add_co_i32 s0, s0, -2
	s_delay_alu instid0(SALU_CYCLE_1) | instskip(SKIP_2) | instid1(VALU_DEP_1)
	s_cmp_lg_u32 s0, 0
	s_wait_kmcnt 0x0
	v_mul_hi_u32 v3, s45, v1
	v_add_nc_u32_e32 v3, v1, v3
	s_delay_alu instid0(VALU_DEP_1) | instskip(NEXT) | instid1(VALU_DEP_1)
	v_lshrrev_b32_e32 v3, s46, v3
	v_mul_hi_u32 v5, s40, v3
	v_mul_lo_u32 v7, v3, s44
	s_clause 0x1
	s_load_b128 s[48:51], s[26:27], 0xdc
	s_load_b64 s[44:45], s[26:27], 0xec
	s_wait_xcnt 0x0
	s_add_nc_u64 s[26:27], s[26:27], 24
	s_delay_alu instid0(VALU_DEP_1) | instskip(NEXT) | instid1(VALU_DEP_1)
	v_dual_add_nc_u32 v5, v3, v5 :: v_dual_sub_nc_u32 v7, v1, v7
	v_lshrrev_b32_e32 v1, s41, v5
	s_wait_kmcnt 0x0
	s_delay_alu instid0(VALU_DEP_2) | instskip(NEXT) | instid1(VALU_DEP_2)
	v_mad_u32 v2, v7, s48, v2
	v_mul_lo_u32 v5, v1, s47
	v_mad_u32 v6, v7, s50, v6
	v_mad_u32 v4, v7, s49, v4
	s_delay_alu instid0(VALU_DEP_3) | instskip(NEXT) | instid1(VALU_DEP_1)
	v_sub_nc_u32_e32 v3, v3, v5
	v_mad_u32 v2, v3, s51, v2
	s_delay_alu instid0(VALU_DEP_4) | instskip(NEXT) | instid1(VALU_DEP_4)
	v_mad_u32 v6, v3, s45, v6
	v_mad_u32 v4, v3, s44, v4
	s_cbranch_scc1 .LBB55_5
; %bb.6:
	s_bitcmp1_b32 s36, 0
	s_cselect_b32 s0, -1, 0
	s_delay_alu instid0(SALU_CYCLE_1)
	s_and_b32 vcc_lo, exec_lo, s0
	s_cbranch_vccnz .LBB55_10
; %bb.7:
	s_clause 0x1
	s_load_b96 s[44:46], s[26:27], 0x1c
	s_load_b96 s[48:50], s[26:27], 0xdc
	s_wait_kmcnt 0x0
	v_mul_hi_u32 v3, s45, v1
	s_delay_alu instid0(VALU_DEP_1) | instskip(NEXT) | instid1(VALU_DEP_1)
	v_add_nc_u32_e32 v3, v1, v3
	v_lshrrev_b32_e32 v3, s46, v3
	s_delay_alu instid0(VALU_DEP_1) | instskip(NEXT) | instid1(VALU_DEP_1)
	v_mul_lo_u32 v3, v3, s44
	v_sub_nc_u32_e32 v1, v1, v3
	s_delay_alu instid0(VALU_DEP_1)
	v_mad_u32 v2, v1, s48, v2
	v_mad_u32 v4, v1, s49, v4
	;; [unrolled: 1-line block ×3, first 2 shown]
	s_cbranch_execz .LBB55_11
	s_branch .LBB55_13
.LBB55_8:
                                        ; implicit-def: $vgpr6
                                        ; implicit-def: $vgpr4
                                        ; implicit-def: $vgpr2
	s_branch .LBB55_11
.LBB55_9:
	v_dual_mov_b32 v6, 0 :: v_dual_mov_b32 v4, 0
	v_mov_b32_e32 v2, 0
.LBB55_10:
	s_cbranch_execnz .LBB55_13
.LBB55_11:
	v_mov_b32_e32 v1, 0
	s_and_not1_b32 vcc_lo, exec_lo, s35
	s_delay_alu instid0(VALU_DEP_1) | instskip(NEXT) | instid1(VALU_DEP_1)
	v_mul_u64_e32 v[2:3], s[20:21], v[0:1]
	v_add_nc_u32_e32 v2, v0, v3
	s_delay_alu instid0(VALU_DEP_1) | instskip(NEXT) | instid1(VALU_DEP_1)
	v_lshrrev_b32_e32 v8, s14, v2
	v_mul_lo_u32 v2, v8, s12
	s_delay_alu instid0(VALU_DEP_1) | instskip(NEXT) | instid1(VALU_DEP_1)
	v_sub_nc_u32_e32 v3, v0, v2
	v_mul_lo_u32 v2, v3, s16
	v_mul_lo_u32 v6, v3, s18
	;; [unrolled: 1-line block ×3, first 2 shown]
	s_cbranch_vccnz .LBB55_13
; %bb.12:
	v_mov_b32_e32 v9, v1
	s_delay_alu instid0(VALU_DEP_1) | instskip(NEXT) | instid1(VALU_DEP_1)
	v_mul_u64_e32 v[10:11], s[24:25], v[8:9]
	v_add_nc_u32_e32 v1, v8, v11
	s_delay_alu instid0(VALU_DEP_1) | instskip(NEXT) | instid1(VALU_DEP_1)
	v_lshrrev_b32_e32 v1, s1, v1
	v_mul_lo_u32 v1, v1, s15
	s_delay_alu instid0(VALU_DEP_1) | instskip(NEXT) | instid1(VALU_DEP_1)
	v_sub_nc_u32_e32 v1, v8, v1
	v_mad_u32 v2, v1, s19, v2
	v_mad_u32 v4, v1, s22, v4
	;; [unrolled: 1-line block ×3, first 2 shown]
.LBB55_13:
	v_mov_b32_e32 v5, 0
	s_and_b32 s0, s34, 0xff
	s_delay_alu instid0(SALU_CYCLE_1) | instskip(NEXT) | instid1(VALU_DEP_1)
	s_cmp_lt_i32 s0, 11
	v_add_nc_u64_e32 v[8:9], s[6:7], v[4:5]
	s_cbranch_scc1 .LBB55_20
; %bb.14:
	s_and_b32 s27, 0xffff, s0
	s_delay_alu instid0(SALU_CYCLE_1)
	s_cmp_gt_i32 s27, 25
	s_cbranch_scc0 .LBB55_29
; %bb.15:
	s_cmp_gt_i32 s27, 28
	s_cbranch_scc0 .LBB55_39
; %bb.16:
	;; [unrolled: 3-line block ×4, first 2 shown]
	s_cmp_eq_u32 s27, 46
	s_mov_b32 s40, 0
	s_cbranch_scc0 .LBB55_48
; %bb.19:
	global_load_b32 v1, v[8:9], off
	s_mov_b32 s39, -1
	s_mov_b32 s26, 0
	s_wait_loadcnt 0x0
	v_lshlrev_b32_e32 v1, 16, v1
	s_delay_alu instid0(VALU_DEP_1) | instskip(NEXT) | instid1(VALU_DEP_1)
	v_trunc_f32_e32 v1, v1
	v_mul_f32_e64 v3, 0x2f800000, |v1|
	v_ashrrev_i32_e32 v4, 31, v1
	s_delay_alu instid0(VALU_DEP_2) | instskip(NEXT) | instid1(VALU_DEP_1)
	v_floor_f32_e32 v3, v3
	v_fma_f32 v5, 0xcf800000, v3, |v1|
	v_cvt_u32_f32_e32 v1, v3
	s_delay_alu instid0(VALU_DEP_2) | instskip(NEXT) | instid1(VALU_DEP_2)
	v_cvt_u32_f32_e32 v3, v5
	v_dual_mov_b32 v5, v4 :: v_dual_bitop2_b32 v11, v1, v4 bitop3:0x14
	s_delay_alu instid0(VALU_DEP_2) | instskip(NEXT) | instid1(VALU_DEP_1)
	v_xor_b32_e32 v10, v3, v4
	v_sub_nc_u64_e32 v[4:5], v[10:11], v[4:5]
	s_branch .LBB55_50
.LBB55_20:
	s_mov_b32 s26, 0
	s_mov_b32 s39, 0
                                        ; implicit-def: $vgpr4_vgpr5
	s_cbranch_execnz .LBB55_112
.LBB55_21:
	s_and_not1_b32 vcc_lo, exec_lo, s39
	s_cbranch_vccnz .LBB55_159
.LBB55_22:
	v_mov_b32_e32 v7, 0
	s_and_b32 s0, s13, 0xff
	s_delay_alu instid0(SALU_CYCLE_1) | instskip(NEXT) | instid1(VALU_DEP_1)
	s_cmp_lt_i32 s0, 11
	v_add_nc_u64_e32 v[6:7], s[8:9], v[6:7]
	s_cbranch_scc1 .LBB55_30
; %bb.23:
	s_and_b32 s39, 0xffff, s0
	s_delay_alu instid0(SALU_CYCLE_1)
	s_cmp_gt_i32 s39, 25
	s_cbranch_scc0 .LBB55_40
; %bb.24:
	s_cmp_gt_i32 s39, 28
	s_cbranch_scc0 .LBB55_43
; %bb.25:
	;; [unrolled: 3-line block ×4, first 2 shown]
	s_cmp_eq_u32 s39, 46
	s_mov_b32 s41, 0
	s_cbranch_scc0 .LBB55_160
; %bb.28:
	global_load_b32 v1, v[6:7], off
	s_mov_b32 s40, -1
	s_mov_b32 s27, 0
	s_wait_loadcnt 0x0
	v_lshlrev_b32_e32 v1, 16, v1
	s_delay_alu instid0(VALU_DEP_1) | instskip(NEXT) | instid1(VALU_DEP_1)
	v_trunc_f32_e32 v1, v1
	v_mul_f32_e64 v3, 0x2f800000, |v1|
	v_ashrrev_i32_e32 v8, 31, v1
	s_delay_alu instid0(VALU_DEP_2) | instskip(NEXT) | instid1(VALU_DEP_1)
	v_floor_f32_e32 v3, v3
	v_fma_f32 v9, 0xcf800000, v3, |v1|
	v_cvt_u32_f32_e32 v1, v3
	s_delay_alu instid0(VALU_DEP_2) | instskip(NEXT) | instid1(VALU_DEP_2)
	v_cvt_u32_f32_e32 v3, v9
	v_dual_mov_b32 v9, v8 :: v_dual_bitop2_b32 v11, v1, v8 bitop3:0x14
	s_delay_alu instid0(VALU_DEP_2) | instskip(NEXT) | instid1(VALU_DEP_1)
	v_xor_b32_e32 v10, v3, v8
	v_sub_nc_u64_e32 v[8:9], v[10:11], v[8:9]
	s_branch .LBB55_162
.LBB55_29:
	s_mov_b32 s26, 0
	s_mov_b32 s39, 0
                                        ; implicit-def: $vgpr4_vgpr5
	s_cbranch_execnz .LBB55_79
	s_branch .LBB55_111
.LBB55_30:
	s_mov_b32 s27, 0
	s_mov_b32 s40, 0
                                        ; implicit-def: $vgpr8_vgpr9
	s_cbranch_execnz .LBB55_334
.LBB55_31:
	s_and_not1_b32 vcc_lo, exec_lo, s40
	s_cbranch_vccnz .LBB55_382
.LBB55_32:
	v_mov_b32_e32 v3, 0
	s_wait_loadcnt 0x0
	s_delay_alu instid0(VALU_DEP_2) | instskip(SKIP_1) | instid1(VALU_DEP_2)
	v_cmp_ne_u64_e32 vcc_lo, v[4:5], v[8:9]
	s_and_b32 s40, s11, 0xff
	v_add_nc_u64_e32 v[2:3], s[4:5], v[2:3]
	s_xor_b32 s39, s10, vcc_lo
	s_cmp_lt_i32 s40, 11
	s_cbranch_scc1 .LBB55_41
; %bb.33:
	s_and_b32 s41, 0xffff, s40
	s_delay_alu instid0(SALU_CYCLE_1)
	s_cmp_gt_i32 s41, 25
	s_cbranch_scc0 .LBB55_44
; %bb.34:
	s_cmp_gt_i32 s41, 28
	s_cbranch_scc0 .LBB55_47
; %bb.35:
	;; [unrolled: 3-line block ×4, first 2 shown]
	s_mov_b32 s44, 0
	s_mov_b32 s0, -1
	s_cmp_eq_u32 s41, 46
	s_mov_b32 s43, 0
	s_cbranch_scc0 .LBB55_166
; %bb.38:
	v_cndmask_b32_e64 v1, 0, 1.0, s39
	s_mov_b32 s43, -1
	s_mov_b32 s0, 0
	s_delay_alu instid0(VALU_DEP_1) | instskip(NEXT) | instid1(VALU_DEP_1)
	v_bfe_u32 v4, v1, 16, 1
	v_add3_u32 v1, v1, v4, 0x7fff
	s_delay_alu instid0(VALU_DEP_1)
	v_lshrrev_b32_e32 v1, 16, v1
	global_store_b32 v[2:3], v1, off
	s_branch .LBB55_166
.LBB55_39:
	s_mov_b32 s40, -1
	s_mov_b32 s26, 0
	s_mov_b32 s39, 0
                                        ; implicit-def: $vgpr4_vgpr5
	s_branch .LBB55_62
.LBB55_40:
	s_mov_b32 s41, -1
	s_mov_b32 s27, 0
	s_mov_b32 s40, 0
                                        ; implicit-def: $vgpr8_vgpr9
	s_branch .LBB55_300
.LBB55_41:
	s_mov_b32 s41, -1
	s_mov_b32 s0, 0
	s_mov_b32 s43, 0
	s_branch .LBB55_235
.LBB55_42:
	s_mov_b32 s40, -1
	s_mov_b32 s26, 0
	s_mov_b32 s39, 0
                                        ; implicit-def: $vgpr4_vgpr5
	s_branch .LBB55_57
.LBB55_43:
	s_mov_b32 s41, -1
	s_mov_b32 s27, 0
	s_mov_b32 s40, 0
                                        ; implicit-def: $vgpr8_vgpr9
	s_branch .LBB55_283
.LBB55_44:
	s_mov_b32 s44, -1
	s_mov_b32 s0, 0
	s_mov_b32 s43, 0
	s_branch .LBB55_193
.LBB55_45:
	s_mov_b32 s40, -1
	s_mov_b32 s26, 0
	s_branch .LBB55_49
.LBB55_46:
	s_mov_b32 s41, -1
	s_mov_b32 s27, 0
	s_mov_b32 s40, 0
                                        ; implicit-def: $vgpr8_vgpr9
	s_branch .LBB55_278
.LBB55_47:
	s_mov_b32 s44, -1
	s_mov_b32 s0, 0
	s_mov_b32 s43, 0
	s_branch .LBB55_176
.LBB55_48:
	s_mov_b32 s26, -1
.LBB55_49:
	s_mov_b32 s39, 0
                                        ; implicit-def: $vgpr4_vgpr5
.LBB55_50:
	s_and_b32 vcc_lo, exec_lo, s40
	s_cbranch_vccz .LBB55_56
; %bb.51:
	s_cmp_eq_u32 s27, 44
	s_cbranch_scc0 .LBB55_55
; %bb.52:
	global_load_u8 v1, v[8:9], off
	s_mov_b32 s26, 0
	s_mov_b32 s39, -1
	s_wait_loadcnt 0x0
	v_lshlrev_b32_e32 v3, 23, v1
	v_cmp_ne_u32_e32 vcc_lo, 0, v1
	s_delay_alu instid0(VALU_DEP_2) | instskip(NEXT) | instid1(VALU_DEP_1)
	v_trunc_f32_e32 v3, v3
	v_mul_f32_e64 v4, 0x2f800000, |v3|
	s_delay_alu instid0(VALU_DEP_1) | instskip(SKIP_1) | instid1(VALU_DEP_2)
	v_floor_f32_e32 v5, v4
	v_ashrrev_i32_e32 v4, 31, v3
	v_fma_f32 v7, 0xcf800000, v5, |v3|
	v_cvt_u32_f32_e32 v3, v5
	s_delay_alu instid0(VALU_DEP_3) | instskip(NEXT) | instid1(VALU_DEP_3)
	v_mov_b32_e32 v5, v4
	v_cvt_u32_f32_e32 v7, v7
	s_delay_alu instid0(VALU_DEP_3) | instskip(NEXT) | instid1(VALU_DEP_2)
	v_xor_b32_e32 v11, v3, v4
	v_xor_b32_e32 v10, v7, v4
	s_delay_alu instid0(VALU_DEP_1) | instskip(NEXT) | instid1(VALU_DEP_1)
	v_sub_nc_u64_e32 v[4:5], v[10:11], v[4:5]
	v_dual_cndmask_b32 v5, 0, v5 :: v_dual_cndmask_b32 v4, 0, v4
	s_branch .LBB55_56
.LBB55_53:
	s_mov_b32 s41, -1
	s_mov_b32 s27, 0
	s_branch .LBB55_161
.LBB55_54:
	s_mov_b32 s44, -1
	s_mov_b32 s0, 0
	s_mov_b32 s43, 0
	s_branch .LBB55_172
.LBB55_55:
	s_mov_b32 s26, -1
                                        ; implicit-def: $vgpr4_vgpr5
.LBB55_56:
	s_mov_b32 s40, 0
.LBB55_57:
	s_delay_alu instid0(SALU_CYCLE_1)
	s_and_b32 vcc_lo, exec_lo, s40
	s_cbranch_vccz .LBB55_61
; %bb.58:
	s_cmp_eq_u32 s27, 29
	s_cbranch_scc0 .LBB55_60
; %bb.59:
	global_load_b64 v[4:5], v[8:9], off
	s_mov_b32 s39, -1
	s_mov_b32 s26, 0
	s_branch .LBB55_61
.LBB55_60:
	s_mov_b32 s26, -1
                                        ; implicit-def: $vgpr4_vgpr5
.LBB55_61:
	s_mov_b32 s40, 0
.LBB55_62:
	s_delay_alu instid0(SALU_CYCLE_1)
	s_and_b32 vcc_lo, exec_lo, s40
	s_cbranch_vccz .LBB55_78
; %bb.63:
	s_cmp_lt_i32 s27, 27
	s_cbranch_scc1 .LBB55_66
; %bb.64:
	s_cmp_gt_i32 s27, 27
	s_cbranch_scc0 .LBB55_67
; %bb.65:
	s_wait_loadcnt 0x0
	global_load_b32 v4, v[8:9], off
	v_mov_b32_e32 v5, 0
	s_mov_b32 s39, 0
	s_branch .LBB55_68
.LBB55_66:
	s_mov_b32 s39, -1
                                        ; implicit-def: $vgpr4_vgpr5
	s_branch .LBB55_71
.LBB55_67:
	s_mov_b32 s39, -1
                                        ; implicit-def: $vgpr4_vgpr5
.LBB55_68:
	s_delay_alu instid0(SALU_CYCLE_1)
	s_and_not1_b32 vcc_lo, exec_lo, s39
	s_cbranch_vccnz .LBB55_70
; %bb.69:
	global_load_u16 v1, v[8:9], off
	s_mov_b32 s39, 0
	s_wait_loadcnt 0x1
	v_mov_b32_e32 v5, s39
	s_wait_loadcnt 0x0
	v_and_b32_e32 v4, 0xffff, v1
.LBB55_70:
	s_mov_b32 s39, 0
.LBB55_71:
	s_delay_alu instid0(SALU_CYCLE_1)
	s_and_not1_b32 vcc_lo, exec_lo, s39
	s_cbranch_vccnz .LBB55_77
; %bb.72:
	global_load_u8 v1, v[8:9], off
	s_mov_b32 s40, 0
	s_mov_b32 s39, exec_lo
	s_wait_loadcnt 0x0
	v_cmpx_lt_i16_e32 0x7f, v1
	s_xor_b32 s39, exec_lo, s39
	s_cbranch_execz .LBB55_88
; %bb.73:
	v_cmp_ne_u16_e32 vcc_lo, 0x80, v1
	s_and_b32 s40, vcc_lo, exec_lo
	s_and_not1_saveexec_b32 s39, s39
	s_cbranch_execnz .LBB55_89
.LBB55_74:
	s_or_b32 exec_lo, exec_lo, s39
	v_mov_b64_e32 v[4:5], 0
	s_and_saveexec_b32 s39, s40
	s_cbranch_execz .LBB55_76
.LBB55_75:
	v_and_b32_e32 v3, 0xffff, v1
	s_delay_alu instid0(VALU_DEP_1) | instskip(SKIP_1) | instid1(VALU_DEP_2)
	v_and_b32_e32 v4, 7, v3
	v_bfe_u32 v10, v3, 3, 4
	v_clz_i32_u32_e32 v5, v4
	s_delay_alu instid0(VALU_DEP_2) | instskip(NEXT) | instid1(VALU_DEP_2)
	v_cmp_eq_u32_e32 vcc_lo, 0, v10
	v_min_u32_e32 v5, 32, v5
	s_delay_alu instid0(VALU_DEP_1) | instskip(NEXT) | instid1(VALU_DEP_1)
	v_subrev_nc_u32_e32 v7, 28, v5
	v_dual_lshlrev_b32 v3, v7, v3 :: v_dual_sub_nc_u32 v5, 29, v5
	s_delay_alu instid0(VALU_DEP_1) | instskip(NEXT) | instid1(VALU_DEP_1)
	v_dual_lshlrev_b32 v1, 24, v1 :: v_dual_bitop2_b32 v3, 7, v3 bitop3:0x40
	v_dual_cndmask_b32 v3, v4, v3, vcc_lo :: v_dual_cndmask_b32 v5, v10, v5, vcc_lo
	s_delay_alu instid0(VALU_DEP_2) | instskip(NEXT) | instid1(VALU_DEP_2)
	v_and_b32_e32 v1, 0x80000000, v1
	v_lshlrev_b32_e32 v3, 20, v3
	s_delay_alu instid0(VALU_DEP_3) | instskip(NEXT) | instid1(VALU_DEP_1)
	v_lshl_add_u32 v4, v5, 23, 0x3b800000
	v_or3_b32 v1, v1, v4, v3
	s_delay_alu instid0(VALU_DEP_1) | instskip(NEXT) | instid1(VALU_DEP_1)
	v_trunc_f32_e32 v1, v1
	v_mul_f32_e64 v3, 0x2f800000, |v1|
	v_ashrrev_i32_e32 v4, 31, v1
	s_delay_alu instid0(VALU_DEP_2) | instskip(NEXT) | instid1(VALU_DEP_1)
	v_floor_f32_e32 v3, v3
	v_fma_f32 v5, 0xcf800000, v3, |v1|
	v_cvt_u32_f32_e32 v1, v3
	s_delay_alu instid0(VALU_DEP_2) | instskip(NEXT) | instid1(VALU_DEP_2)
	v_cvt_u32_f32_e32 v3, v5
	v_dual_mov_b32 v5, v4 :: v_dual_bitop2_b32 v11, v1, v4 bitop3:0x14
	s_delay_alu instid0(VALU_DEP_2) | instskip(NEXT) | instid1(VALU_DEP_1)
	v_xor_b32_e32 v10, v3, v4
	v_sub_nc_u64_e32 v[4:5], v[10:11], v[4:5]
.LBB55_76:
	s_or_b32 exec_lo, exec_lo, s39
.LBB55_77:
	s_mov_b32 s39, -1
.LBB55_78:
	s_branch .LBB55_111
.LBB55_79:
	s_cmp_gt_i32 s27, 22
	s_cbranch_scc0 .LBB55_87
; %bb.80:
	s_cmp_lt_i32 s27, 24
	s_cbranch_scc1 .LBB55_90
; %bb.81:
	s_cmp_gt_i32 s27, 24
	s_cbranch_scc0 .LBB55_91
; %bb.82:
	global_load_u8 v1, v[8:9], off
	s_mov_b32 s40, 0
	s_mov_b32 s39, exec_lo
	s_wait_loadcnt 0x0
	v_cmpx_lt_i16_e32 0x7f, v1
	s_xor_b32 s39, exec_lo, s39
	s_cbranch_execz .LBB55_103
; %bb.83:
	v_cmp_ne_u16_e32 vcc_lo, 0x80, v1
	s_and_b32 s40, vcc_lo, exec_lo
	s_and_not1_saveexec_b32 s39, s39
	s_cbranch_execnz .LBB55_104
.LBB55_84:
	s_or_b32 exec_lo, exec_lo, s39
	v_mov_b64_e32 v[4:5], 0
	s_and_saveexec_b32 s39, s40
	s_cbranch_execz .LBB55_86
.LBB55_85:
	v_and_b32_e32 v3, 0xffff, v1
	s_delay_alu instid0(VALU_DEP_1) | instskip(SKIP_1) | instid1(VALU_DEP_2)
	v_and_b32_e32 v4, 3, v3
	v_bfe_u32 v10, v3, 2, 5
	v_clz_i32_u32_e32 v5, v4
	s_delay_alu instid0(VALU_DEP_2) | instskip(NEXT) | instid1(VALU_DEP_2)
	v_cmp_eq_u32_e32 vcc_lo, 0, v10
	v_min_u32_e32 v5, 32, v5
	s_delay_alu instid0(VALU_DEP_1) | instskip(NEXT) | instid1(VALU_DEP_1)
	v_subrev_nc_u32_e32 v7, 29, v5
	v_dual_lshlrev_b32 v3, v7, v3 :: v_dual_sub_nc_u32 v5, 30, v5
	s_delay_alu instid0(VALU_DEP_1) | instskip(NEXT) | instid1(VALU_DEP_1)
	v_dual_lshlrev_b32 v1, 24, v1 :: v_dual_bitop2_b32 v3, 3, v3 bitop3:0x40
	v_dual_cndmask_b32 v3, v4, v3, vcc_lo :: v_dual_cndmask_b32 v5, v10, v5, vcc_lo
	s_delay_alu instid0(VALU_DEP_2) | instskip(NEXT) | instid1(VALU_DEP_2)
	v_and_b32_e32 v1, 0x80000000, v1
	v_lshlrev_b32_e32 v3, 21, v3
	s_delay_alu instid0(VALU_DEP_3) | instskip(NEXT) | instid1(VALU_DEP_1)
	v_lshl_add_u32 v4, v5, 23, 0x37800000
	v_or3_b32 v1, v1, v4, v3
	s_delay_alu instid0(VALU_DEP_1) | instskip(NEXT) | instid1(VALU_DEP_1)
	v_trunc_f32_e32 v1, v1
	v_mul_f32_e64 v3, 0x2f800000, |v1|
	v_ashrrev_i32_e32 v4, 31, v1
	s_delay_alu instid0(VALU_DEP_2) | instskip(NEXT) | instid1(VALU_DEP_1)
	v_floor_f32_e32 v3, v3
	v_fma_f32 v5, 0xcf800000, v3, |v1|
	v_cvt_u32_f32_e32 v1, v3
	s_delay_alu instid0(VALU_DEP_2) | instskip(NEXT) | instid1(VALU_DEP_2)
	v_cvt_u32_f32_e32 v3, v5
	v_dual_mov_b32 v5, v4 :: v_dual_bitop2_b32 v11, v1, v4 bitop3:0x14
	s_delay_alu instid0(VALU_DEP_2) | instskip(NEXT) | instid1(VALU_DEP_1)
	v_xor_b32_e32 v10, v3, v4
	v_sub_nc_u64_e32 v[4:5], v[10:11], v[4:5]
.LBB55_86:
	s_or_b32 exec_lo, exec_lo, s39
	s_mov_b32 s39, 0
	s_branch .LBB55_92
.LBB55_87:
	s_mov_b32 s40, -1
                                        ; implicit-def: $vgpr4_vgpr5
	s_branch .LBB55_98
.LBB55_88:
	s_and_not1_saveexec_b32 s39, s39
	s_cbranch_execz .LBB55_74
.LBB55_89:
	v_cmp_ne_u16_e32 vcc_lo, 0, v1
	s_and_not1_b32 s40, s40, exec_lo
	s_and_b32 s41, vcc_lo, exec_lo
	s_delay_alu instid0(SALU_CYCLE_1)
	s_or_b32 s40, s40, s41
	s_or_b32 exec_lo, exec_lo, s39
	v_mov_b64_e32 v[4:5], 0
	s_and_saveexec_b32 s39, s40
	s_cbranch_execnz .LBB55_75
	s_branch .LBB55_76
.LBB55_90:
	s_mov_b32 s39, -1
                                        ; implicit-def: $vgpr4_vgpr5
	s_branch .LBB55_95
.LBB55_91:
	s_mov_b32 s39, -1
                                        ; implicit-def: $vgpr4_vgpr5
.LBB55_92:
	s_delay_alu instid0(SALU_CYCLE_1)
	s_and_b32 vcc_lo, exec_lo, s39
	s_cbranch_vccz .LBB55_94
; %bb.93:
	global_load_u8 v1, v[8:9], off
	s_wait_loadcnt 0x0
	v_lshlrev_b32_e32 v1, 24, v1
	s_delay_alu instid0(VALU_DEP_1) | instskip(NEXT) | instid1(VALU_DEP_1)
	v_and_b32_e32 v3, 0x7f000000, v1
	v_clz_i32_u32_e32 v4, v3
	v_add_nc_u32_e32 v7, 0x1000000, v3
	v_cmp_ne_u32_e32 vcc_lo, 0, v3
	s_delay_alu instid0(VALU_DEP_3) | instskip(NEXT) | instid1(VALU_DEP_1)
	v_min_u32_e32 v4, 32, v4
	v_sub_nc_u32_e64 v4, v4, 4 clamp
	s_delay_alu instid0(VALU_DEP_1) | instskip(NEXT) | instid1(VALU_DEP_1)
	v_dual_lshlrev_b32 v5, v4, v3 :: v_dual_lshlrev_b32 v4, 23, v4
	v_lshrrev_b32_e32 v5, 4, v5
	s_delay_alu instid0(VALU_DEP_1) | instskip(NEXT) | instid1(VALU_DEP_1)
	v_dual_sub_nc_u32 v4, v5, v4 :: v_dual_ashrrev_i32 v5, 8, v7
	v_add_nc_u32_e32 v4, 0x3c000000, v4
	s_delay_alu instid0(VALU_DEP_1) | instskip(NEXT) | instid1(VALU_DEP_1)
	v_and_or_b32 v4, 0x7f800000, v5, v4
	v_cndmask_b32_e32 v3, 0, v4, vcc_lo
	s_delay_alu instid0(VALU_DEP_1) | instskip(NEXT) | instid1(VALU_DEP_1)
	v_and_or_b32 v1, 0x80000000, v1, v3
	v_trunc_f32_e32 v1, v1
	s_delay_alu instid0(VALU_DEP_1) | instskip(SKIP_1) | instid1(VALU_DEP_2)
	v_mul_f32_e64 v3, 0x2f800000, |v1|
	v_ashrrev_i32_e32 v4, 31, v1
	v_floor_f32_e32 v3, v3
	s_delay_alu instid0(VALU_DEP_1) | instskip(SKIP_1) | instid1(VALU_DEP_2)
	v_fma_f32 v5, 0xcf800000, v3, |v1|
	v_cvt_u32_f32_e32 v1, v3
	v_cvt_u32_f32_e32 v3, v5
	s_delay_alu instid0(VALU_DEP_2) | instskip(NEXT) | instid1(VALU_DEP_2)
	v_dual_mov_b32 v5, v4 :: v_dual_bitop2_b32 v11, v1, v4 bitop3:0x14
	v_xor_b32_e32 v10, v3, v4
	s_delay_alu instid0(VALU_DEP_1)
	v_sub_nc_u64_e32 v[4:5], v[10:11], v[4:5]
.LBB55_94:
	s_mov_b32 s39, 0
.LBB55_95:
	s_delay_alu instid0(SALU_CYCLE_1)
	s_and_not1_b32 vcc_lo, exec_lo, s39
	s_cbranch_vccnz .LBB55_97
; %bb.96:
	global_load_u8 v1, v[8:9], off
	s_wait_loadcnt 0x0
	v_lshlrev_b32_e32 v3, 25, v1
	v_lshlrev_b16 v1, 8, v1
	s_delay_alu instid0(VALU_DEP_1) | instskip(NEXT) | instid1(VALU_DEP_3)
	v_and_or_b32 v5, 0x7f00, v1, 0.5
	v_lshrrev_b32_e32 v4, 4, v3
	v_bfe_i32 v1, v1, 0, 16
	s_delay_alu instid0(VALU_DEP_3) | instskip(NEXT) | instid1(VALU_DEP_3)
	v_add_f32_e32 v5, -0.5, v5
	v_or_b32_e32 v4, 0x70000000, v4
	s_delay_alu instid0(VALU_DEP_1) | instskip(SKIP_1) | instid1(VALU_DEP_2)
	v_mul_f32_e32 v4, 0x7800000, v4
	v_cmp_gt_u32_e32 vcc_lo, 0x8000000, v3
	v_cndmask_b32_e32 v3, v4, v5, vcc_lo
	s_delay_alu instid0(VALU_DEP_1) | instskip(NEXT) | instid1(VALU_DEP_1)
	v_and_or_b32 v1, 0x80000000, v1, v3
	v_trunc_f32_e32 v1, v1
	s_delay_alu instid0(VALU_DEP_1) | instskip(SKIP_1) | instid1(VALU_DEP_2)
	v_mul_f32_e64 v3, 0x2f800000, |v1|
	v_ashrrev_i32_e32 v4, 31, v1
	v_floor_f32_e32 v3, v3
	s_delay_alu instid0(VALU_DEP_1) | instskip(SKIP_1) | instid1(VALU_DEP_2)
	v_fma_f32 v5, 0xcf800000, v3, |v1|
	v_cvt_u32_f32_e32 v1, v3
	v_cvt_u32_f32_e32 v3, v5
	s_delay_alu instid0(VALU_DEP_2) | instskip(NEXT) | instid1(VALU_DEP_2)
	v_dual_mov_b32 v5, v4 :: v_dual_bitop2_b32 v11, v1, v4 bitop3:0x14
	v_xor_b32_e32 v10, v3, v4
	s_delay_alu instid0(VALU_DEP_1)
	v_sub_nc_u64_e32 v[4:5], v[10:11], v[4:5]
.LBB55_97:
	s_mov_b32 s40, 0
	s_mov_b32 s39, -1
.LBB55_98:
	s_and_not1_b32 vcc_lo, exec_lo, s40
	s_cbranch_vccnz .LBB55_111
; %bb.99:
	s_cmp_gt_i32 s27, 14
	s_cbranch_scc0 .LBB55_102
; %bb.100:
	s_cmp_eq_u32 s27, 15
	s_cbranch_scc0 .LBB55_105
; %bb.101:
	global_load_u16 v1, v[8:9], off
	s_mov_b32 s39, -1
	s_mov_b32 s26, 0
	s_wait_loadcnt 0x0
	v_lshlrev_b32_e32 v1, 16, v1
	s_delay_alu instid0(VALU_DEP_1) | instskip(NEXT) | instid1(VALU_DEP_1)
	v_trunc_f32_e32 v1, v1
	v_mul_f32_e64 v3, 0x2f800000, |v1|
	v_ashrrev_i32_e32 v4, 31, v1
	s_delay_alu instid0(VALU_DEP_2) | instskip(NEXT) | instid1(VALU_DEP_1)
	v_floor_f32_e32 v3, v3
	v_fma_f32 v5, 0xcf800000, v3, |v1|
	v_cvt_u32_f32_e32 v1, v3
	s_delay_alu instid0(VALU_DEP_2) | instskip(NEXT) | instid1(VALU_DEP_2)
	v_cvt_u32_f32_e32 v3, v5
	v_dual_mov_b32 v5, v4 :: v_dual_bitop2_b32 v11, v1, v4 bitop3:0x14
	s_delay_alu instid0(VALU_DEP_2) | instskip(NEXT) | instid1(VALU_DEP_1)
	v_xor_b32_e32 v10, v3, v4
	v_sub_nc_u64_e32 v[4:5], v[10:11], v[4:5]
	s_branch .LBB55_106
.LBB55_102:
	s_mov_b32 s40, -1
                                        ; implicit-def: $vgpr4_vgpr5
	s_branch .LBB55_107
.LBB55_103:
	s_and_not1_saveexec_b32 s39, s39
	s_cbranch_execz .LBB55_84
.LBB55_104:
	v_cmp_ne_u16_e32 vcc_lo, 0, v1
	s_and_not1_b32 s40, s40, exec_lo
	s_and_b32 s41, vcc_lo, exec_lo
	s_delay_alu instid0(SALU_CYCLE_1)
	s_or_b32 s40, s40, s41
	s_or_b32 exec_lo, exec_lo, s39
	v_mov_b64_e32 v[4:5], 0
	s_and_saveexec_b32 s39, s40
	s_cbranch_execnz .LBB55_85
	s_branch .LBB55_86
.LBB55_105:
	s_mov_b32 s26, -1
                                        ; implicit-def: $vgpr4_vgpr5
.LBB55_106:
	s_mov_b32 s40, 0
.LBB55_107:
	s_delay_alu instid0(SALU_CYCLE_1)
	s_and_b32 vcc_lo, exec_lo, s40
	s_cbranch_vccz .LBB55_111
; %bb.108:
	s_cmp_eq_u32 s27, 11
	s_cbranch_scc0 .LBB55_110
; %bb.109:
	global_load_u8 v1, v[8:9], off
	s_mov_b32 s26, 0
	s_mov_b32 s39, -1
	s_wait_loadcnt 0x1
	v_mov_b32_e32 v5, s26
	s_wait_loadcnt 0x0
	v_cmp_ne_u16_e32 vcc_lo, 0, v1
	v_cndmask_b32_e64 v4, 0, 1, vcc_lo
	s_branch .LBB55_111
.LBB55_110:
	s_mov_b32 s26, -1
                                        ; implicit-def: $vgpr4_vgpr5
.LBB55_111:
	s_branch .LBB55_21
.LBB55_112:
	s_and_b32 s0, 0xffff, s0
	s_delay_alu instid0(SALU_CYCLE_1)
	s_cmp_lt_i32 s0, 5
	s_cbranch_scc1 .LBB55_117
; %bb.113:
	s_cmp_lt_i32 s0, 8
	s_cbranch_scc1 .LBB55_118
; %bb.114:
	;; [unrolled: 3-line block ×3, first 2 shown]
	s_cmp_gt_i32 s0, 9
	s_cbranch_scc0 .LBB55_120
; %bb.116:
	s_wait_loadcnt 0x0
	global_load_b64 v[4:5], v[8:9], off
	s_mov_b32 s27, 0
	s_wait_loadcnt 0x0
	v_trunc_f64_e32 v[4:5], v[4:5]
	s_delay_alu instid0(VALU_DEP_1) | instskip(NEXT) | instid1(VALU_DEP_1)
	v_ldexp_f64 v[10:11], v[4:5], 0xffffffe0
	v_floor_f64_e32 v[10:11], v[10:11]
	s_delay_alu instid0(VALU_DEP_1) | instskip(SKIP_1) | instid1(VALU_DEP_2)
	v_fmamk_f64 v[12:13], v[10:11], 0xc1f00000, v[4:5]
	v_cvt_i32_f64_e32 v5, v[10:11]
	v_cvt_u32_f64_e32 v4, v[12:13]
	s_branch .LBB55_121
.LBB55_117:
                                        ; implicit-def: $vgpr4_vgpr5
	s_branch .LBB55_139
.LBB55_118:
	s_mov_b32 s27, -1
                                        ; implicit-def: $vgpr4_vgpr5
	s_branch .LBB55_127
.LBB55_119:
	s_mov_b32 s27, -1
                                        ; implicit-def: $vgpr4_vgpr5
	s_branch .LBB55_124
.LBB55_120:
	s_mov_b32 s27, -1
                                        ; implicit-def: $vgpr4_vgpr5
.LBB55_121:
	s_delay_alu instid0(SALU_CYCLE_1)
	s_and_not1_b32 vcc_lo, exec_lo, s27
	s_cbranch_vccnz .LBB55_123
; %bb.122:
	global_load_b32 v1, v[8:9], off
	s_wait_loadcnt 0x0
	v_trunc_f32_e32 v1, v1
	s_delay_alu instid0(VALU_DEP_1) | instskip(SKIP_1) | instid1(VALU_DEP_2)
	v_mul_f32_e64 v3, 0x2f800000, |v1|
	v_ashrrev_i32_e32 v4, 31, v1
	v_floor_f32_e32 v3, v3
	s_delay_alu instid0(VALU_DEP_1) | instskip(SKIP_1) | instid1(VALU_DEP_2)
	v_fma_f32 v5, 0xcf800000, v3, |v1|
	v_cvt_u32_f32_e32 v1, v3
	v_cvt_u32_f32_e32 v3, v5
	s_delay_alu instid0(VALU_DEP_2) | instskip(NEXT) | instid1(VALU_DEP_2)
	v_dual_mov_b32 v5, v4 :: v_dual_bitop2_b32 v11, v1, v4 bitop3:0x14
	v_xor_b32_e32 v10, v3, v4
	s_delay_alu instid0(VALU_DEP_1)
	v_sub_nc_u64_e32 v[4:5], v[10:11], v[4:5]
.LBB55_123:
	s_mov_b32 s27, 0
.LBB55_124:
	s_delay_alu instid0(SALU_CYCLE_1)
	s_and_not1_b32 vcc_lo, exec_lo, s27
	s_cbranch_vccnz .LBB55_126
; %bb.125:
	global_load_b32 v1, v[8:9], off
	s_wait_loadcnt 0x0
	v_cvt_f32_f16_e32 v1, v1
	s_delay_alu instid0(VALU_DEP_1) | instskip(NEXT) | instid1(VALU_DEP_1)
	v_cvt_i32_f32_e32 v4, v1
	v_ashrrev_i32_e32 v5, 31, v4
.LBB55_126:
	s_mov_b32 s27, 0
.LBB55_127:
	s_delay_alu instid0(SALU_CYCLE_1)
	s_and_not1_b32 vcc_lo, exec_lo, s27
	s_cbranch_vccnz .LBB55_138
; %bb.128:
	s_cmp_lt_i32 s0, 6
	s_cbranch_scc1 .LBB55_131
; %bb.129:
	s_cmp_gt_i32 s0, 6
	s_cbranch_scc0 .LBB55_132
; %bb.130:
	s_wait_loadcnt 0x0
	global_load_b64 v[4:5], v[8:9], off
	s_mov_b32 s27, 0
	s_wait_loadcnt 0x0
	v_trunc_f64_e32 v[4:5], v[4:5]
	s_delay_alu instid0(VALU_DEP_1) | instskip(NEXT) | instid1(VALU_DEP_1)
	v_ldexp_f64 v[10:11], v[4:5], 0xffffffe0
	v_floor_f64_e32 v[10:11], v[10:11]
	s_delay_alu instid0(VALU_DEP_1) | instskip(SKIP_1) | instid1(VALU_DEP_2)
	v_fmamk_f64 v[12:13], v[10:11], 0xc1f00000, v[4:5]
	v_cvt_i32_f64_e32 v5, v[10:11]
	v_cvt_u32_f64_e32 v4, v[12:13]
	s_branch .LBB55_133
.LBB55_131:
	s_mov_b32 s27, -1
                                        ; implicit-def: $vgpr4_vgpr5
	s_branch .LBB55_136
.LBB55_132:
	s_mov_b32 s27, -1
                                        ; implicit-def: $vgpr4_vgpr5
.LBB55_133:
	s_delay_alu instid0(SALU_CYCLE_1)
	s_and_not1_b32 vcc_lo, exec_lo, s27
	s_cbranch_vccnz .LBB55_135
; %bb.134:
	global_load_b32 v1, v[8:9], off
	s_wait_loadcnt 0x0
	v_trunc_f32_e32 v1, v1
	s_delay_alu instid0(VALU_DEP_1) | instskip(SKIP_1) | instid1(VALU_DEP_2)
	v_mul_f32_e64 v3, 0x2f800000, |v1|
	v_ashrrev_i32_e32 v4, 31, v1
	v_floor_f32_e32 v3, v3
	s_delay_alu instid0(VALU_DEP_1) | instskip(SKIP_1) | instid1(VALU_DEP_2)
	v_fma_f32 v5, 0xcf800000, v3, |v1|
	v_cvt_u32_f32_e32 v1, v3
	v_cvt_u32_f32_e32 v3, v5
	s_delay_alu instid0(VALU_DEP_2) | instskip(NEXT) | instid1(VALU_DEP_2)
	v_dual_mov_b32 v5, v4 :: v_dual_bitop2_b32 v11, v1, v4 bitop3:0x14
	v_xor_b32_e32 v10, v3, v4
	s_delay_alu instid0(VALU_DEP_1)
	v_sub_nc_u64_e32 v[4:5], v[10:11], v[4:5]
.LBB55_135:
	s_mov_b32 s27, 0
.LBB55_136:
	s_delay_alu instid0(SALU_CYCLE_1)
	s_and_not1_b32 vcc_lo, exec_lo, s27
	s_cbranch_vccnz .LBB55_138
; %bb.137:
	global_load_u16 v1, v[8:9], off
	s_wait_loadcnt 0x0
	v_cvt_f32_f16_e32 v1, v1
	s_delay_alu instid0(VALU_DEP_1) | instskip(NEXT) | instid1(VALU_DEP_1)
	v_cvt_i32_f32_e32 v4, v1
	v_ashrrev_i32_e32 v5, 31, v4
.LBB55_138:
	s_cbranch_execnz .LBB55_158
.LBB55_139:
	s_cmp_lt_i32 s0, 2
	s_cbranch_scc1 .LBB55_143
; %bb.140:
	s_cmp_lt_i32 s0, 3
	s_cbranch_scc1 .LBB55_144
; %bb.141:
	s_cmp_gt_i32 s0, 3
	s_cbranch_scc0 .LBB55_145
; %bb.142:
	s_wait_loadcnt 0x0
	global_load_b64 v[4:5], v[8:9], off
	s_mov_b32 s27, 0
	s_branch .LBB55_146
.LBB55_143:
	s_mov_b32 s27, -1
                                        ; implicit-def: $vgpr4_vgpr5
	s_branch .LBB55_152
.LBB55_144:
	s_mov_b32 s27, -1
                                        ; implicit-def: $vgpr4_vgpr5
	s_branch .LBB55_149
.LBB55_145:
	s_mov_b32 s27, -1
                                        ; implicit-def: $vgpr4_vgpr5
.LBB55_146:
	s_delay_alu instid0(SALU_CYCLE_1)
	s_and_not1_b32 vcc_lo, exec_lo, s27
	s_cbranch_vccnz .LBB55_148
; %bb.147:
	s_wait_loadcnt 0x0
	global_load_b32 v4, v[8:9], off
	s_wait_loadcnt 0x0
	v_ashrrev_i32_e32 v5, 31, v4
.LBB55_148:
	s_mov_b32 s27, 0
.LBB55_149:
	s_delay_alu instid0(SALU_CYCLE_1)
	s_and_not1_b32 vcc_lo, exec_lo, s27
	s_cbranch_vccnz .LBB55_151
; %bb.150:
	global_load_u16 v1, v[8:9], off
	s_wait_loadcnt 0x0
	v_bfe_i32 v4, v1, 0, 16
	s_delay_alu instid0(VALU_DEP_1)
	v_ashrrev_i32_e32 v5, 31, v4
.LBB55_151:
	s_mov_b32 s27, 0
.LBB55_152:
	s_delay_alu instid0(SALU_CYCLE_1)
	s_and_not1_b32 vcc_lo, exec_lo, s27
	s_cbranch_vccnz .LBB55_158
; %bb.153:
	s_cmp_gt_i32 s0, 0
	s_mov_b32 s0, 0
	s_cbranch_scc0 .LBB55_155
; %bb.154:
	global_load_i8 v1, v[8:9], off
	s_wait_loadcnt 0x0
	v_bfe_i32 v4, v1, 0, 16
	s_delay_alu instid0(VALU_DEP_1)
	v_ashrrev_i32_e32 v5, 31, v4
	s_branch .LBB55_156
.LBB55_155:
	s_mov_b32 s0, -1
                                        ; implicit-def: $vgpr4_vgpr5
.LBB55_156:
	s_delay_alu instid0(SALU_CYCLE_1)
	s_and_not1_b32 vcc_lo, exec_lo, s0
	s_cbranch_vccnz .LBB55_158
; %bb.157:
	global_load_u8 v1, v[8:9], off
	s_mov_b32 s0, 0
	s_wait_loadcnt 0x1
	v_mov_b32_e32 v5, s0
	s_wait_loadcnt 0x0
	v_and_b32_e32 v4, 0xffff, v1
.LBB55_158:
	s_branch .LBB55_22
.LBB55_159:
	s_mov_b32 s0, 0
	s_mov_b32 s27, 0
	s_branch .LBB55_383
.LBB55_160:
	s_mov_b32 s27, -1
.LBB55_161:
	s_mov_b32 s40, 0
                                        ; implicit-def: $vgpr8_vgpr9
.LBB55_162:
	s_and_b32 vcc_lo, exec_lo, s41
	s_cbranch_vccz .LBB55_277
; %bb.163:
	s_cmp_eq_u32 s39, 44
	s_cbranch_scc0 .LBB55_276
; %bb.164:
	global_load_u8 v1, v[6:7], off
	s_mov_b32 s27, 0
	s_mov_b32 s40, -1
	s_wait_loadcnt 0x0
	v_lshlrev_b32_e32 v3, 23, v1
	v_cmp_ne_u32_e32 vcc_lo, 0, v1
	s_delay_alu instid0(VALU_DEP_2) | instskip(NEXT) | instid1(VALU_DEP_1)
	v_trunc_f32_e32 v3, v3
	v_mul_f32_e64 v8, 0x2f800000, |v3|
	s_delay_alu instid0(VALU_DEP_1) | instskip(SKIP_1) | instid1(VALU_DEP_2)
	v_floor_f32_e32 v9, v8
	v_ashrrev_i32_e32 v8, 31, v3
	v_fma_f32 v10, 0xcf800000, v9, |v3|
	v_cvt_u32_f32_e32 v3, v9
	s_delay_alu instid0(VALU_DEP_3) | instskip(NEXT) | instid1(VALU_DEP_3)
	v_mov_b32_e32 v9, v8
	v_cvt_u32_f32_e32 v10, v10
	s_delay_alu instid0(VALU_DEP_3) | instskip(NEXT) | instid1(VALU_DEP_2)
	v_xor_b32_e32 v11, v3, v8
	v_xor_b32_e32 v10, v10, v8
	s_delay_alu instid0(VALU_DEP_1) | instskip(NEXT) | instid1(VALU_DEP_1)
	v_sub_nc_u64_e32 v[8:9], v[10:11], v[8:9]
	v_dual_cndmask_b32 v9, 0, v9 :: v_dual_cndmask_b32 v8, 0, v8
	s_branch .LBB55_277
.LBB55_165:
	s_mov_b32 s44, -1
	s_mov_b32 s0, 0
	s_mov_b32 s43, 0
.LBB55_166:
	s_and_b32 vcc_lo, exec_lo, s44
	s_cbranch_vccz .LBB55_171
; %bb.167:
	s_cmp_eq_u32 s41, 44
	s_mov_b32 s0, -1
	s_cbranch_scc0 .LBB55_171
; %bb.168:
	v_cndmask_b32_e64 v5, 0, 1.0, s39
	s_mov_b32 s43, exec_lo
	s_wait_xcnt 0x0
	s_delay_alu instid0(VALU_DEP_1) | instskip(NEXT) | instid1(VALU_DEP_1)
	v_dual_mov_b32 v4, 0xff :: v_dual_lshrrev_b32 v1, 23, v5
	v_cmpx_ne_u32_e32 0xff, v1
; %bb.169:
	v_and_b32_e32 v4, 0x400000, v5
	v_and_or_b32 v5, 0x3fffff, v5, v1
	s_delay_alu instid0(VALU_DEP_2) | instskip(NEXT) | instid1(VALU_DEP_2)
	v_cmp_ne_u32_e32 vcc_lo, 0, v4
	v_cmp_ne_u32_e64 s0, 0, v5
	s_and_b32 s0, vcc_lo, s0
	s_delay_alu instid0(SALU_CYCLE_1) | instskip(NEXT) | instid1(VALU_DEP_1)
	v_cndmask_b32_e64 v4, 0, 1, s0
	v_add_nc_u32_e32 v4, v1, v4
; %bb.170:
	s_or_b32 exec_lo, exec_lo, s43
	s_mov_b32 s43, -1
	s_mov_b32 s0, 0
	global_store_b8 v[2:3], v4, off
.LBB55_171:
	s_mov_b32 s44, 0
.LBB55_172:
	s_delay_alu instid0(SALU_CYCLE_1)
	s_and_b32 vcc_lo, exec_lo, s44
	s_cbranch_vccz .LBB55_175
; %bb.173:
	s_cmp_eq_u32 s41, 29
	s_mov_b32 s0, -1
	s_cbranch_scc0 .LBB55_175
; %bb.174:
	s_mov_b32 s0, 0
	s_wait_xcnt 0x0
	v_cndmask_b32_e64 v4, 0, 1, s39
	v_mov_b32_e32 v5, s0
	s_mov_b32 s43, -1
	s_mov_b32 s44, 0
	global_store_b64 v[2:3], v[4:5], off
	s_branch .LBB55_176
.LBB55_175:
	s_mov_b32 s44, 0
.LBB55_176:
	s_delay_alu instid0(SALU_CYCLE_1)
	s_and_b32 vcc_lo, exec_lo, s44
	s_cbranch_vccz .LBB55_192
; %bb.177:
	s_cmp_lt_i32 s41, 27
	s_mov_b32 s43, -1
	s_cbranch_scc1 .LBB55_183
; %bb.178:
	s_cmp_gt_i32 s41, 27
	s_cbranch_scc0 .LBB55_180
; %bb.179:
	s_wait_xcnt 0x0
	v_cndmask_b32_e64 v1, 0, 1, s39
	s_mov_b32 s43, 0
	global_store_b32 v[2:3], v1, off
.LBB55_180:
	s_and_not1_b32 vcc_lo, exec_lo, s43
	s_cbranch_vccnz .LBB55_182
; %bb.181:
	s_wait_xcnt 0x0
	v_cndmask_b32_e64 v1, 0, 1, s39
	global_store_b16 v[2:3], v1, off
.LBB55_182:
	s_mov_b32 s43, 0
.LBB55_183:
	s_delay_alu instid0(SALU_CYCLE_1)
	s_and_not1_b32 vcc_lo, exec_lo, s43
	s_cbranch_vccnz .LBB55_191
; %bb.184:
	s_wait_xcnt 0x0
	v_cndmask_b32_e64 v4, 0, 1.0, s39
	v_mov_b32_e32 v5, 0x80
	s_mov_b32 s43, exec_lo
	s_delay_alu instid0(VALU_DEP_2)
	v_cmpx_gt_u32_e32 0x43800000, v4
	s_cbranch_execz .LBB55_190
; %bb.185:
	s_mov_b32 s44, 0
	s_mov_b32 s45, exec_lo
                                        ; implicit-def: $vgpr1
	v_cmpx_lt_u32_e32 0x3bffffff, v4
	s_xor_b32 s45, exec_lo, s45
	s_cbranch_execz .LBB55_425
; %bb.186:
	v_bfe_u32 v1, v4, 20, 1
	s_mov_b32 s44, exec_lo
	s_delay_alu instid0(VALU_DEP_1) | instskip(NEXT) | instid1(VALU_DEP_1)
	v_add3_u32 v1, v4, v1, 0x487ffff
                                        ; implicit-def: $vgpr4
	v_lshrrev_b32_e32 v1, 20, v1
	s_and_not1_saveexec_b32 s45, s45
	s_cbranch_execnz .LBB55_426
.LBB55_187:
	s_or_b32 exec_lo, exec_lo, s45
	v_mov_b32_e32 v5, 0
	s_and_saveexec_b32 s45, s44
.LBB55_188:
	v_mov_b32_e32 v5, v1
.LBB55_189:
	s_or_b32 exec_lo, exec_lo, s45
.LBB55_190:
	s_delay_alu instid0(SALU_CYCLE_1)
	s_or_b32 exec_lo, exec_lo, s43
	global_store_b8 v[2:3], v5, off
.LBB55_191:
	s_mov_b32 s43, -1
.LBB55_192:
	s_mov_b32 s44, 0
.LBB55_193:
	s_delay_alu instid0(SALU_CYCLE_1)
	s_and_b32 vcc_lo, exec_lo, s44
	s_cbranch_vccz .LBB55_234
; %bb.194:
	s_cmp_gt_i32 s41, 22
	s_mov_b32 s44, -1
	s_cbranch_scc0 .LBB55_226
; %bb.195:
	s_cmp_lt_i32 s41, 24
	s_mov_b32 s43, -1
	s_cbranch_scc1 .LBB55_215
; %bb.196:
	s_cmp_gt_i32 s41, 24
	s_cbranch_scc0 .LBB55_204
; %bb.197:
	s_wait_xcnt 0x0
	v_cndmask_b32_e64 v4, 0, 1.0, s39
	v_mov_b32_e32 v5, 0x80
	s_mov_b32 s43, exec_lo
	s_delay_alu instid0(VALU_DEP_2)
	v_cmpx_gt_u32_e32 0x47800000, v4
	s_cbranch_execz .LBB55_203
; %bb.198:
	s_mov_b32 s44, 0
	s_mov_b32 s45, exec_lo
                                        ; implicit-def: $vgpr1
	v_cmpx_lt_u32_e32 0x37ffffff, v4
	s_xor_b32 s45, exec_lo, s45
	s_cbranch_execz .LBB55_540
; %bb.199:
	v_bfe_u32 v1, v4, 21, 1
	s_mov_b32 s44, exec_lo
	s_delay_alu instid0(VALU_DEP_1) | instskip(NEXT) | instid1(VALU_DEP_1)
	v_add3_u32 v1, v4, v1, 0x88fffff
                                        ; implicit-def: $vgpr4
	v_lshrrev_b32_e32 v1, 21, v1
	s_and_not1_saveexec_b32 s45, s45
	s_cbranch_execnz .LBB55_541
.LBB55_200:
	s_or_b32 exec_lo, exec_lo, s45
	v_mov_b32_e32 v5, 0
	s_and_saveexec_b32 s45, s44
.LBB55_201:
	v_mov_b32_e32 v5, v1
.LBB55_202:
	s_or_b32 exec_lo, exec_lo, s45
.LBB55_203:
	s_delay_alu instid0(SALU_CYCLE_1)
	s_or_b32 exec_lo, exec_lo, s43
	s_mov_b32 s43, 0
	global_store_b8 v[2:3], v5, off
.LBB55_204:
	s_and_b32 vcc_lo, exec_lo, s43
	s_cbranch_vccz .LBB55_214
; %bb.205:
	s_wait_xcnt 0x0
	v_cndmask_b32_e64 v4, 0, 1.0, s39
	s_mov_b32 s43, exec_lo
                                        ; implicit-def: $vgpr1
	s_delay_alu instid0(VALU_DEP_1)
	v_cmpx_gt_u32_e32 0x43f00000, v4
	s_xor_b32 s43, exec_lo, s43
	s_cbranch_execz .LBB55_211
; %bb.206:
	s_mov_b32 s44, exec_lo
                                        ; implicit-def: $vgpr1
	v_cmpx_lt_u32_e32 0x3c7fffff, v4
	s_xor_b32 s44, exec_lo, s44
; %bb.207:
	v_bfe_u32 v1, v4, 20, 1
	s_delay_alu instid0(VALU_DEP_1) | instskip(NEXT) | instid1(VALU_DEP_1)
	v_add3_u32 v1, v4, v1, 0x407ffff
	v_and_b32_e32 v4, 0xff00000, v1
	v_lshrrev_b32_e32 v1, 20, v1
	s_delay_alu instid0(VALU_DEP_2) | instskip(NEXT) | instid1(VALU_DEP_2)
	v_cmp_ne_u32_e32 vcc_lo, 0x7f00000, v4
                                        ; implicit-def: $vgpr4
	v_cndmask_b32_e32 v1, 0x7e, v1, vcc_lo
; %bb.208:
	s_and_not1_saveexec_b32 s44, s44
; %bb.209:
	v_add_f32_e32 v1, 0x46800000, v4
; %bb.210:
	s_or_b32 exec_lo, exec_lo, s44
                                        ; implicit-def: $vgpr4
.LBB55_211:
	s_and_not1_saveexec_b32 s43, s43
; %bb.212:
	v_mov_b32_e32 v1, 0x7f
	v_cmp_lt_u32_e32 vcc_lo, 0x7f800000, v4
	s_delay_alu instid0(VALU_DEP_2)
	v_cndmask_b32_e32 v1, 0x7e, v1, vcc_lo
; %bb.213:
	s_or_b32 exec_lo, exec_lo, s43
	global_store_b8 v[2:3], v1, off
.LBB55_214:
	s_mov_b32 s43, 0
.LBB55_215:
	s_delay_alu instid0(SALU_CYCLE_1)
	s_and_not1_b32 vcc_lo, exec_lo, s43
	s_cbranch_vccnz .LBB55_225
; %bb.216:
	s_wait_xcnt 0x0
	v_cndmask_b32_e64 v4, 0, 1.0, s39
	s_mov_b32 s43, exec_lo
                                        ; implicit-def: $vgpr1
	s_delay_alu instid0(VALU_DEP_1)
	v_cmpx_gt_u32_e32 0x47800000, v4
	s_xor_b32 s43, exec_lo, s43
	s_cbranch_execz .LBB55_222
; %bb.217:
	s_mov_b32 s44, exec_lo
                                        ; implicit-def: $vgpr1
	v_cmpx_lt_u32_e32 0x387fffff, v4
	s_xor_b32 s44, exec_lo, s44
; %bb.218:
	v_bfe_u32 v1, v4, 21, 1
	s_delay_alu instid0(VALU_DEP_1) | instskip(NEXT) | instid1(VALU_DEP_1)
	v_add3_u32 v1, v4, v1, 0x80fffff
                                        ; implicit-def: $vgpr4
	v_lshrrev_b32_e32 v1, 21, v1
; %bb.219:
	s_and_not1_saveexec_b32 s44, s44
; %bb.220:
	v_add_f32_e32 v1, 0x43000000, v4
; %bb.221:
	s_or_b32 exec_lo, exec_lo, s44
                                        ; implicit-def: $vgpr4
.LBB55_222:
	s_and_not1_saveexec_b32 s43, s43
; %bb.223:
	v_mov_b32_e32 v1, 0x7f
	v_cmp_lt_u32_e32 vcc_lo, 0x7f800000, v4
	s_delay_alu instid0(VALU_DEP_2)
	v_cndmask_b32_e32 v1, 0x7c, v1, vcc_lo
; %bb.224:
	s_or_b32 exec_lo, exec_lo, s43
	global_store_b8 v[2:3], v1, off
.LBB55_225:
	s_mov_b32 s44, 0
	s_mov_b32 s43, -1
.LBB55_226:
	s_and_not1_b32 vcc_lo, exec_lo, s44
	s_cbranch_vccnz .LBB55_234
; %bb.227:
	s_cmp_gt_i32 s41, 14
	s_mov_b32 s44, -1
	s_cbranch_scc0 .LBB55_231
; %bb.228:
	s_cmp_eq_u32 s41, 15
	s_mov_b32 s0, -1
	s_cbranch_scc0 .LBB55_230
; %bb.229:
	s_wait_xcnt 0x0
	v_cndmask_b32_e64 v1, 0, 1.0, s39
	s_mov_b32 s43, -1
	s_mov_b32 s0, 0
	s_delay_alu instid0(VALU_DEP_1) | instskip(NEXT) | instid1(VALU_DEP_1)
	v_bfe_u32 v4, v1, 16, 1
	v_add3_u32 v1, v1, v4, 0x7fff
	global_store_d16_hi_b16 v[2:3], v1, off
.LBB55_230:
	s_mov_b32 s44, 0
.LBB55_231:
	s_delay_alu instid0(SALU_CYCLE_1)
	s_and_b32 vcc_lo, exec_lo, s44
	s_cbranch_vccz .LBB55_234
; %bb.232:
	s_cmp_eq_u32 s41, 11
	s_mov_b32 s0, -1
	s_cbranch_scc0 .LBB55_234
; %bb.233:
	s_wait_xcnt 0x0
	v_cndmask_b32_e64 v1, 0, 1, s39
	s_mov_b32 s43, -1
	s_mov_b32 s0, 0
	global_store_b8 v[2:3], v1, off
.LBB55_234:
	s_mov_b32 s41, 0
.LBB55_235:
	s_delay_alu instid0(SALU_CYCLE_1)
	s_and_b32 vcc_lo, exec_lo, s41
	s_cbranch_vccz .LBB55_274
; %bb.236:
	s_and_b32 s40, 0xffff, s40
	s_mov_b32 s41, -1
	s_cmp_lt_i32 s40, 5
	s_cbranch_scc1 .LBB55_257
; %bb.237:
	s_cmp_lt_i32 s40, 8
	s_cbranch_scc1 .LBB55_247
; %bb.238:
	;; [unrolled: 3-line block ×3, first 2 shown]
	s_cmp_gt_i32 s40, 9
	s_cbranch_scc0 .LBB55_241
; %bb.240:
	s_wait_xcnt 0x0
	v_cndmask_b32_e64 v1, 0, 1, s39
	v_mov_b32_e32 v6, 0
	s_mov_b32 s41, 0
	s_delay_alu instid0(VALU_DEP_2) | instskip(NEXT) | instid1(VALU_DEP_2)
	v_cvt_f64_u32_e32 v[4:5], v1
	v_mov_b32_e32 v7, v6
	global_store_b128 v[2:3], v[4:7], off
.LBB55_241:
	s_and_not1_b32 vcc_lo, exec_lo, s41
	s_cbranch_vccnz .LBB55_243
; %bb.242:
	s_wait_xcnt 0x0
	v_cndmask_b32_e64 v4, 0, 1.0, s39
	v_mov_b32_e32 v5, 0
	global_store_b64 v[2:3], v[4:5], off
.LBB55_243:
	s_mov_b32 s41, 0
.LBB55_244:
	s_delay_alu instid0(SALU_CYCLE_1)
	s_and_not1_b32 vcc_lo, exec_lo, s41
	s_cbranch_vccnz .LBB55_246
; %bb.245:
	s_wait_xcnt 0x0
	v_cndmask_b32_e64 v1, 0, 1.0, s39
	s_delay_alu instid0(VALU_DEP_1) | instskip(NEXT) | instid1(VALU_DEP_1)
	v_cvt_f16_f32_e32 v1, v1
	v_and_b32_e32 v1, 0xffff, v1
	global_store_b32 v[2:3], v1, off
.LBB55_246:
	s_mov_b32 s41, 0
.LBB55_247:
	s_delay_alu instid0(SALU_CYCLE_1)
	s_and_not1_b32 vcc_lo, exec_lo, s41
	s_cbranch_vccnz .LBB55_256
; %bb.248:
	s_cmp_lt_i32 s40, 6
	s_mov_b32 s41, -1
	s_cbranch_scc1 .LBB55_254
; %bb.249:
	s_cmp_gt_i32 s40, 6
	s_cbranch_scc0 .LBB55_251
; %bb.250:
	s_wait_xcnt 0x0
	v_cndmask_b32_e64 v1, 0, 1, s39
	s_mov_b32 s41, 0
	s_delay_alu instid0(VALU_DEP_1)
	v_cvt_f64_u32_e32 v[4:5], v1
	global_store_b64 v[2:3], v[4:5], off
.LBB55_251:
	s_and_not1_b32 vcc_lo, exec_lo, s41
	s_cbranch_vccnz .LBB55_253
; %bb.252:
	s_wait_xcnt 0x0
	v_cndmask_b32_e64 v1, 0, 1.0, s39
	global_store_b32 v[2:3], v1, off
.LBB55_253:
	s_mov_b32 s41, 0
.LBB55_254:
	s_delay_alu instid0(SALU_CYCLE_1)
	s_and_not1_b32 vcc_lo, exec_lo, s41
	s_cbranch_vccnz .LBB55_256
; %bb.255:
	s_wait_xcnt 0x0
	v_cndmask_b32_e64 v1, 0, 1.0, s39
	s_delay_alu instid0(VALU_DEP_1)
	v_cvt_f16_f32_e32 v1, v1
	global_store_b16 v[2:3], v1, off
.LBB55_256:
	s_mov_b32 s41, 0
.LBB55_257:
	s_delay_alu instid0(SALU_CYCLE_1)
	s_and_not1_b32 vcc_lo, exec_lo, s41
	s_cbranch_vccnz .LBB55_273
; %bb.258:
	s_cmp_lt_i32 s40, 2
	s_mov_b32 s41, -1
	s_cbranch_scc1 .LBB55_268
; %bb.259:
	s_cmp_lt_i32 s40, 3
	s_cbranch_scc1 .LBB55_265
; %bb.260:
	s_cmp_gt_i32 s40, 3
	s_cbranch_scc0 .LBB55_262
; %bb.261:
	s_mov_b32 s41, 0
	s_wait_xcnt 0x0
	v_cndmask_b32_e64 v4, 0, 1, s39
	v_mov_b32_e32 v5, s41
	global_store_b64 v[2:3], v[4:5], off
.LBB55_262:
	s_and_not1_b32 vcc_lo, exec_lo, s41
	s_cbranch_vccnz .LBB55_264
; %bb.263:
	s_wait_xcnt 0x0
	v_cndmask_b32_e64 v1, 0, 1, s39
	global_store_b32 v[2:3], v1, off
.LBB55_264:
	s_mov_b32 s41, 0
.LBB55_265:
	s_delay_alu instid0(SALU_CYCLE_1)
	s_and_not1_b32 vcc_lo, exec_lo, s41
	s_cbranch_vccnz .LBB55_267
; %bb.266:
	s_wait_xcnt 0x0
	v_cndmask_b32_e64 v1, 0, 1, s39
	global_store_b16 v[2:3], v1, off
.LBB55_267:
	s_mov_b32 s41, 0
.LBB55_268:
	s_delay_alu instid0(SALU_CYCLE_1)
	s_and_not1_b32 vcc_lo, exec_lo, s41
	s_cbranch_vccnz .LBB55_273
; %bb.269:
	s_cmp_gt_i32 s40, 0
	s_mov_b32 s40, -1
	s_cbranch_scc0 .LBB55_271
; %bb.270:
	s_wait_xcnt 0x0
	v_cndmask_b32_e64 v1, 0, 1, s39
	s_mov_b32 s40, 0
	global_store_b8 v[2:3], v1, off
.LBB55_271:
	s_and_not1_b32 vcc_lo, exec_lo, s40
	s_cbranch_vccnz .LBB55_273
; %bb.272:
	s_wait_xcnt 0x0
	v_cndmask_b32_e64 v1, 0, 1, s39
	global_store_b8 v[2:3], v1, off
.LBB55_273:
	s_mov_b32 s43, -1
.LBB55_274:
	s_delay_alu instid0(SALU_CYCLE_1)
	s_and_not1_b32 vcc_lo, exec_lo, s43
	s_cbranch_vccnz .LBB55_383
; %bb.275:
	v_add_nc_u32_e32 v0, 0x80, v0
	s_mov_b32 s43, -1
	s_branch .LBB55_384
.LBB55_276:
	s_mov_b32 s27, -1
                                        ; implicit-def: $vgpr8_vgpr9
.LBB55_277:
	s_mov_b32 s41, 0
.LBB55_278:
	s_delay_alu instid0(SALU_CYCLE_1)
	s_and_b32 vcc_lo, exec_lo, s41
	s_cbranch_vccz .LBB55_282
; %bb.279:
	s_cmp_eq_u32 s39, 29
	s_cbranch_scc0 .LBB55_281
; %bb.280:
	global_load_b64 v[8:9], v[6:7], off
	s_mov_b32 s40, -1
	s_mov_b32 s27, 0
	s_branch .LBB55_282
.LBB55_281:
	s_mov_b32 s27, -1
                                        ; implicit-def: $vgpr8_vgpr9
.LBB55_282:
	s_mov_b32 s41, 0
.LBB55_283:
	s_delay_alu instid0(SALU_CYCLE_1)
	s_and_b32 vcc_lo, exec_lo, s41
	s_cbranch_vccz .LBB55_299
; %bb.284:
	s_cmp_lt_i32 s39, 27
	s_cbranch_scc1 .LBB55_287
; %bb.285:
	s_cmp_gt_i32 s39, 27
	s_cbranch_scc0 .LBB55_288
; %bb.286:
	s_wait_loadcnt 0x0
	global_load_b32 v8, v[6:7], off
	v_mov_b32_e32 v9, 0
	s_mov_b32 s40, 0
	s_branch .LBB55_289
.LBB55_287:
	s_mov_b32 s40, -1
                                        ; implicit-def: $vgpr8_vgpr9
	s_branch .LBB55_292
.LBB55_288:
	s_mov_b32 s40, -1
                                        ; implicit-def: $vgpr8_vgpr9
.LBB55_289:
	s_delay_alu instid0(SALU_CYCLE_1)
	s_and_not1_b32 vcc_lo, exec_lo, s40
	s_cbranch_vccnz .LBB55_291
; %bb.290:
	global_load_u16 v1, v[6:7], off
	s_mov_b32 s40, 0
	s_wait_loadcnt 0x1
	s_wait_xcnt 0x1
	v_mov_b32_e32 v9, s40
	s_wait_loadcnt 0x0
	v_and_b32_e32 v8, 0xffff, v1
.LBB55_291:
	s_mov_b32 s40, 0
.LBB55_292:
	s_delay_alu instid0(SALU_CYCLE_1)
	s_and_not1_b32 vcc_lo, exec_lo, s40
	s_cbranch_vccnz .LBB55_298
; %bb.293:
	global_load_u8 v1, v[6:7], off
	s_mov_b32 s41, 0
	s_mov_b32 s40, exec_lo
	s_wait_loadcnt 0x0
	v_cmpx_lt_i16_e32 0x7f, v1
	s_xor_b32 s40, exec_lo, s40
	s_cbranch_execz .LBB55_310
; %bb.294:
	v_cmp_ne_u16_e32 vcc_lo, 0x80, v1
	s_and_b32 s41, vcc_lo, exec_lo
	s_and_not1_saveexec_b32 s40, s40
	s_cbranch_execnz .LBB55_311
.LBB55_295:
	s_or_b32 exec_lo, exec_lo, s40
	v_mov_b64_e32 v[8:9], 0
	s_and_saveexec_b32 s40, s41
	s_cbranch_execz .LBB55_297
.LBB55_296:
	v_and_b32_e32 v3, 0xffff, v1
	s_delay_alu instid0(VALU_DEP_1) | instskip(SKIP_1) | instid1(VALU_DEP_2)
	v_and_b32_e32 v8, 7, v3
	v_bfe_u32 v11, v3, 3, 4
	v_clz_i32_u32_e32 v9, v8
	s_delay_alu instid0(VALU_DEP_2) | instskip(NEXT) | instid1(VALU_DEP_2)
	v_cmp_eq_u32_e32 vcc_lo, 0, v11
	v_min_u32_e32 v9, 32, v9
	s_delay_alu instid0(VALU_DEP_1) | instskip(NEXT) | instid1(VALU_DEP_1)
	v_subrev_nc_u32_e32 v10, 28, v9
	v_dual_lshlrev_b32 v3, v10, v3 :: v_dual_sub_nc_u32 v9, 29, v9
	s_delay_alu instid0(VALU_DEP_1) | instskip(NEXT) | instid1(VALU_DEP_1)
	v_dual_lshlrev_b32 v1, 24, v1 :: v_dual_bitop2_b32 v3, 7, v3 bitop3:0x40
	v_dual_cndmask_b32 v3, v8, v3, vcc_lo :: v_dual_cndmask_b32 v9, v11, v9, vcc_lo
	s_delay_alu instid0(VALU_DEP_2) | instskip(NEXT) | instid1(VALU_DEP_2)
	v_and_b32_e32 v1, 0x80000000, v1
	v_lshlrev_b32_e32 v3, 20, v3
	s_delay_alu instid0(VALU_DEP_3) | instskip(NEXT) | instid1(VALU_DEP_1)
	v_lshl_add_u32 v8, v9, 23, 0x3b800000
	v_or3_b32 v1, v1, v8, v3
	s_delay_alu instid0(VALU_DEP_1) | instskip(NEXT) | instid1(VALU_DEP_1)
	v_trunc_f32_e32 v1, v1
	v_mul_f32_e64 v3, 0x2f800000, |v1|
	v_ashrrev_i32_e32 v8, 31, v1
	s_delay_alu instid0(VALU_DEP_2) | instskip(NEXT) | instid1(VALU_DEP_1)
	v_floor_f32_e32 v3, v3
	v_fma_f32 v9, 0xcf800000, v3, |v1|
	v_cvt_u32_f32_e32 v1, v3
	s_delay_alu instid0(VALU_DEP_2) | instskip(NEXT) | instid1(VALU_DEP_2)
	v_cvt_u32_f32_e32 v3, v9
	v_dual_mov_b32 v9, v8 :: v_dual_bitop2_b32 v11, v1, v8 bitop3:0x14
	s_delay_alu instid0(VALU_DEP_2) | instskip(NEXT) | instid1(VALU_DEP_1)
	v_xor_b32_e32 v10, v3, v8
	v_sub_nc_u64_e32 v[8:9], v[10:11], v[8:9]
.LBB55_297:
	s_or_b32 exec_lo, exec_lo, s40
.LBB55_298:
	s_mov_b32 s40, -1
.LBB55_299:
	s_mov_b32 s41, 0
.LBB55_300:
	s_delay_alu instid0(SALU_CYCLE_1)
	s_and_b32 vcc_lo, exec_lo, s41
	s_cbranch_vccz .LBB55_333
; %bb.301:
	s_cmp_gt_i32 s39, 22
	s_cbranch_scc0 .LBB55_309
; %bb.302:
	s_cmp_lt_i32 s39, 24
	s_cbranch_scc1 .LBB55_312
; %bb.303:
	s_cmp_gt_i32 s39, 24
	s_cbranch_scc0 .LBB55_313
; %bb.304:
	global_load_u8 v1, v[6:7], off
	s_mov_b32 s41, 0
	s_mov_b32 s40, exec_lo
	s_wait_loadcnt 0x0
	v_cmpx_lt_i16_e32 0x7f, v1
	s_xor_b32 s40, exec_lo, s40
	s_cbranch_execz .LBB55_325
; %bb.305:
	v_cmp_ne_u16_e32 vcc_lo, 0x80, v1
	s_and_b32 s41, vcc_lo, exec_lo
	s_and_not1_saveexec_b32 s40, s40
	s_cbranch_execnz .LBB55_326
.LBB55_306:
	s_or_b32 exec_lo, exec_lo, s40
	v_mov_b64_e32 v[8:9], 0
	s_and_saveexec_b32 s40, s41
	s_cbranch_execz .LBB55_308
.LBB55_307:
	v_and_b32_e32 v3, 0xffff, v1
	s_delay_alu instid0(VALU_DEP_1) | instskip(SKIP_1) | instid1(VALU_DEP_2)
	v_and_b32_e32 v8, 3, v3
	v_bfe_u32 v11, v3, 2, 5
	v_clz_i32_u32_e32 v9, v8
	s_delay_alu instid0(VALU_DEP_2) | instskip(NEXT) | instid1(VALU_DEP_2)
	v_cmp_eq_u32_e32 vcc_lo, 0, v11
	v_min_u32_e32 v9, 32, v9
	s_delay_alu instid0(VALU_DEP_1) | instskip(NEXT) | instid1(VALU_DEP_1)
	v_subrev_nc_u32_e32 v10, 29, v9
	v_dual_lshlrev_b32 v3, v10, v3 :: v_dual_sub_nc_u32 v9, 30, v9
	s_delay_alu instid0(VALU_DEP_1) | instskip(NEXT) | instid1(VALU_DEP_1)
	v_dual_lshlrev_b32 v1, 24, v1 :: v_dual_bitop2_b32 v3, 3, v3 bitop3:0x40
	v_dual_cndmask_b32 v3, v8, v3, vcc_lo :: v_dual_cndmask_b32 v9, v11, v9, vcc_lo
	s_delay_alu instid0(VALU_DEP_2) | instskip(NEXT) | instid1(VALU_DEP_2)
	v_and_b32_e32 v1, 0x80000000, v1
	v_lshlrev_b32_e32 v3, 21, v3
	s_delay_alu instid0(VALU_DEP_3) | instskip(NEXT) | instid1(VALU_DEP_1)
	v_lshl_add_u32 v8, v9, 23, 0x37800000
	v_or3_b32 v1, v1, v8, v3
	s_delay_alu instid0(VALU_DEP_1) | instskip(NEXT) | instid1(VALU_DEP_1)
	v_trunc_f32_e32 v1, v1
	v_mul_f32_e64 v3, 0x2f800000, |v1|
	v_ashrrev_i32_e32 v8, 31, v1
	s_delay_alu instid0(VALU_DEP_2) | instskip(NEXT) | instid1(VALU_DEP_1)
	v_floor_f32_e32 v3, v3
	v_fma_f32 v9, 0xcf800000, v3, |v1|
	v_cvt_u32_f32_e32 v1, v3
	s_delay_alu instid0(VALU_DEP_2) | instskip(NEXT) | instid1(VALU_DEP_2)
	v_cvt_u32_f32_e32 v3, v9
	v_dual_mov_b32 v9, v8 :: v_dual_bitop2_b32 v11, v1, v8 bitop3:0x14
	s_delay_alu instid0(VALU_DEP_2) | instskip(NEXT) | instid1(VALU_DEP_1)
	v_xor_b32_e32 v10, v3, v8
	v_sub_nc_u64_e32 v[8:9], v[10:11], v[8:9]
.LBB55_308:
	s_or_b32 exec_lo, exec_lo, s40
	s_mov_b32 s40, 0
	s_branch .LBB55_314
.LBB55_309:
	s_mov_b32 s41, -1
                                        ; implicit-def: $vgpr8_vgpr9
	s_branch .LBB55_320
.LBB55_310:
	s_and_not1_saveexec_b32 s40, s40
	s_cbranch_execz .LBB55_295
.LBB55_311:
	v_cmp_ne_u16_e32 vcc_lo, 0, v1
	s_and_not1_b32 s41, s41, exec_lo
	s_and_b32 s43, vcc_lo, exec_lo
	s_delay_alu instid0(SALU_CYCLE_1)
	s_or_b32 s41, s41, s43
	s_or_b32 exec_lo, exec_lo, s40
	v_mov_b64_e32 v[8:9], 0
	s_and_saveexec_b32 s40, s41
	s_cbranch_execnz .LBB55_296
	s_branch .LBB55_297
.LBB55_312:
	s_mov_b32 s40, -1
                                        ; implicit-def: $vgpr8_vgpr9
	s_branch .LBB55_317
.LBB55_313:
	s_mov_b32 s40, -1
                                        ; implicit-def: $vgpr8_vgpr9
.LBB55_314:
	s_delay_alu instid0(SALU_CYCLE_1)
	s_and_b32 vcc_lo, exec_lo, s40
	s_cbranch_vccz .LBB55_316
; %bb.315:
	global_load_u8 v1, v[6:7], off
	s_wait_loadcnt 0x0
	v_lshlrev_b32_e32 v1, 24, v1
	s_delay_alu instid0(VALU_DEP_1) | instskip(NEXT) | instid1(VALU_DEP_1)
	v_and_b32_e32 v3, 0x7f000000, v1
	v_clz_i32_u32_e32 v8, v3
	v_cmp_ne_u32_e32 vcc_lo, 0, v3
	v_add_nc_u32_e32 v10, 0x1000000, v3
	s_delay_alu instid0(VALU_DEP_3) | instskip(NEXT) | instid1(VALU_DEP_1)
	v_min_u32_e32 v8, 32, v8
	v_sub_nc_u32_e64 v8, v8, 4 clamp
	s_delay_alu instid0(VALU_DEP_1) | instskip(NEXT) | instid1(VALU_DEP_1)
	v_dual_lshlrev_b32 v9, v8, v3 :: v_dual_lshlrev_b32 v8, 23, v8
	v_lshrrev_b32_e32 v9, 4, v9
	s_delay_alu instid0(VALU_DEP_1) | instskip(NEXT) | instid1(VALU_DEP_1)
	v_dual_sub_nc_u32 v8, v9, v8 :: v_dual_ashrrev_i32 v9, 8, v10
	v_add_nc_u32_e32 v8, 0x3c000000, v8
	s_delay_alu instid0(VALU_DEP_1) | instskip(NEXT) | instid1(VALU_DEP_1)
	v_and_or_b32 v8, 0x7f800000, v9, v8
	v_cndmask_b32_e32 v3, 0, v8, vcc_lo
	s_delay_alu instid0(VALU_DEP_1) | instskip(NEXT) | instid1(VALU_DEP_1)
	v_and_or_b32 v1, 0x80000000, v1, v3
	v_trunc_f32_e32 v1, v1
	s_delay_alu instid0(VALU_DEP_1) | instskip(SKIP_1) | instid1(VALU_DEP_2)
	v_mul_f32_e64 v3, 0x2f800000, |v1|
	v_ashrrev_i32_e32 v8, 31, v1
	v_floor_f32_e32 v3, v3
	s_delay_alu instid0(VALU_DEP_1) | instskip(SKIP_1) | instid1(VALU_DEP_2)
	v_fma_f32 v9, 0xcf800000, v3, |v1|
	v_cvt_u32_f32_e32 v1, v3
	v_cvt_u32_f32_e32 v3, v9
	s_delay_alu instid0(VALU_DEP_2) | instskip(NEXT) | instid1(VALU_DEP_2)
	v_dual_mov_b32 v9, v8 :: v_dual_bitop2_b32 v11, v1, v8 bitop3:0x14
	v_xor_b32_e32 v10, v3, v8
	s_delay_alu instid0(VALU_DEP_1)
	v_sub_nc_u64_e32 v[8:9], v[10:11], v[8:9]
.LBB55_316:
	s_mov_b32 s40, 0
.LBB55_317:
	s_delay_alu instid0(SALU_CYCLE_1)
	s_and_not1_b32 vcc_lo, exec_lo, s40
	s_cbranch_vccnz .LBB55_319
; %bb.318:
	global_load_u8 v1, v[6:7], off
	s_wait_loadcnt 0x0
	v_lshlrev_b32_e32 v3, 25, v1
	v_lshlrev_b16 v1, 8, v1
	s_delay_alu instid0(VALU_DEP_1) | instskip(NEXT) | instid1(VALU_DEP_3)
	v_and_or_b32 v9, 0x7f00, v1, 0.5
	v_lshrrev_b32_e32 v8, 4, v3
	v_bfe_i32 v1, v1, 0, 16
	s_delay_alu instid0(VALU_DEP_3) | instskip(NEXT) | instid1(VALU_DEP_3)
	v_add_f32_e32 v9, -0.5, v9
	v_or_b32_e32 v8, 0x70000000, v8
	s_delay_alu instid0(VALU_DEP_1) | instskip(SKIP_1) | instid1(VALU_DEP_2)
	v_mul_f32_e32 v8, 0x7800000, v8
	v_cmp_gt_u32_e32 vcc_lo, 0x8000000, v3
	v_cndmask_b32_e32 v3, v8, v9, vcc_lo
	s_delay_alu instid0(VALU_DEP_1) | instskip(NEXT) | instid1(VALU_DEP_1)
	v_and_or_b32 v1, 0x80000000, v1, v3
	v_trunc_f32_e32 v1, v1
	s_delay_alu instid0(VALU_DEP_1) | instskip(SKIP_1) | instid1(VALU_DEP_2)
	v_mul_f32_e64 v3, 0x2f800000, |v1|
	v_ashrrev_i32_e32 v8, 31, v1
	v_floor_f32_e32 v3, v3
	s_delay_alu instid0(VALU_DEP_1) | instskip(SKIP_1) | instid1(VALU_DEP_2)
	v_fma_f32 v9, 0xcf800000, v3, |v1|
	v_cvt_u32_f32_e32 v1, v3
	v_cvt_u32_f32_e32 v3, v9
	s_delay_alu instid0(VALU_DEP_2) | instskip(NEXT) | instid1(VALU_DEP_2)
	v_dual_mov_b32 v9, v8 :: v_dual_bitop2_b32 v11, v1, v8 bitop3:0x14
	v_xor_b32_e32 v10, v3, v8
	s_delay_alu instid0(VALU_DEP_1)
	v_sub_nc_u64_e32 v[8:9], v[10:11], v[8:9]
.LBB55_319:
	s_mov_b32 s41, 0
	s_mov_b32 s40, -1
.LBB55_320:
	s_and_not1_b32 vcc_lo, exec_lo, s41
	s_cbranch_vccnz .LBB55_333
; %bb.321:
	s_cmp_gt_i32 s39, 14
	s_cbranch_scc0 .LBB55_324
; %bb.322:
	s_cmp_eq_u32 s39, 15
	s_cbranch_scc0 .LBB55_327
; %bb.323:
	global_load_u16 v1, v[6:7], off
	s_mov_b32 s40, -1
	s_mov_b32 s27, 0
	s_wait_loadcnt 0x0
	v_lshlrev_b32_e32 v1, 16, v1
	s_delay_alu instid0(VALU_DEP_1) | instskip(NEXT) | instid1(VALU_DEP_1)
	v_trunc_f32_e32 v1, v1
	v_mul_f32_e64 v3, 0x2f800000, |v1|
	v_ashrrev_i32_e32 v8, 31, v1
	s_delay_alu instid0(VALU_DEP_2) | instskip(NEXT) | instid1(VALU_DEP_1)
	v_floor_f32_e32 v3, v3
	v_fma_f32 v9, 0xcf800000, v3, |v1|
	v_cvt_u32_f32_e32 v1, v3
	s_delay_alu instid0(VALU_DEP_2) | instskip(NEXT) | instid1(VALU_DEP_2)
	v_cvt_u32_f32_e32 v3, v9
	v_dual_mov_b32 v9, v8 :: v_dual_bitop2_b32 v11, v1, v8 bitop3:0x14
	s_delay_alu instid0(VALU_DEP_2) | instskip(NEXT) | instid1(VALU_DEP_1)
	v_xor_b32_e32 v10, v3, v8
	v_sub_nc_u64_e32 v[8:9], v[10:11], v[8:9]
	s_branch .LBB55_328
.LBB55_324:
	s_mov_b32 s41, -1
                                        ; implicit-def: $vgpr8_vgpr9
	s_branch .LBB55_329
.LBB55_325:
	s_and_not1_saveexec_b32 s40, s40
	s_cbranch_execz .LBB55_306
.LBB55_326:
	v_cmp_ne_u16_e32 vcc_lo, 0, v1
	s_and_not1_b32 s41, s41, exec_lo
	s_and_b32 s43, vcc_lo, exec_lo
	s_delay_alu instid0(SALU_CYCLE_1)
	s_or_b32 s41, s41, s43
	s_or_b32 exec_lo, exec_lo, s40
	v_mov_b64_e32 v[8:9], 0
	s_and_saveexec_b32 s40, s41
	s_cbranch_execnz .LBB55_307
	s_branch .LBB55_308
.LBB55_327:
	s_mov_b32 s27, -1
                                        ; implicit-def: $vgpr8_vgpr9
.LBB55_328:
	s_mov_b32 s41, 0
.LBB55_329:
	s_delay_alu instid0(SALU_CYCLE_1)
	s_and_b32 vcc_lo, exec_lo, s41
	s_cbranch_vccz .LBB55_333
; %bb.330:
	s_cmp_eq_u32 s39, 11
	s_cbranch_scc0 .LBB55_332
; %bb.331:
	global_load_u8 v1, v[6:7], off
	s_mov_b32 s27, 0
	s_mov_b32 s40, -1
	s_wait_loadcnt 0x1
	s_wait_xcnt 0x1
	v_mov_b32_e32 v9, s27
	s_wait_loadcnt 0x0
	v_cmp_ne_u16_e32 vcc_lo, 0, v1
	v_cndmask_b32_e64 v8, 0, 1, vcc_lo
	s_branch .LBB55_333
.LBB55_332:
	s_mov_b32 s27, -1
                                        ; implicit-def: $vgpr8_vgpr9
.LBB55_333:
	s_branch .LBB55_31
.LBB55_334:
	s_and_b32 s0, 0xffff, s0
	s_delay_alu instid0(SALU_CYCLE_1)
	s_cmp_lt_i32 s0, 5
	s_cbranch_scc1 .LBB55_339
; %bb.335:
	s_cmp_lt_i32 s0, 8
	s_cbranch_scc1 .LBB55_340
; %bb.336:
	;; [unrolled: 3-line block ×3, first 2 shown]
	s_cmp_gt_i32 s0, 9
	s_cbranch_scc0 .LBB55_342
; %bb.338:
	s_wait_loadcnt 0x0
	global_load_b64 v[8:9], v[6:7], off
	s_mov_b32 s39, 0
	s_wait_loadcnt 0x0
	v_trunc_f64_e32 v[8:9], v[8:9]
	s_delay_alu instid0(VALU_DEP_1) | instskip(NEXT) | instid1(VALU_DEP_1)
	v_ldexp_f64 v[10:11], v[8:9], 0xffffffe0
	v_floor_f64_e32 v[10:11], v[10:11]
	s_delay_alu instid0(VALU_DEP_1) | instskip(SKIP_1) | instid1(VALU_DEP_2)
	v_fmamk_f64 v[12:13], v[10:11], 0xc1f00000, v[8:9]
	v_cvt_i32_f64_e32 v9, v[10:11]
	v_cvt_u32_f64_e32 v8, v[12:13]
	s_branch .LBB55_343
.LBB55_339:
	s_mov_b32 s39, -1
                                        ; implicit-def: $vgpr8_vgpr9
	s_branch .LBB55_361
.LBB55_340:
	s_mov_b32 s39, -1
                                        ; implicit-def: $vgpr8_vgpr9
	s_branch .LBB55_349
.LBB55_341:
	s_mov_b32 s39, -1
                                        ; implicit-def: $vgpr8_vgpr9
	s_branch .LBB55_346
.LBB55_342:
	s_mov_b32 s39, -1
                                        ; implicit-def: $vgpr8_vgpr9
.LBB55_343:
	s_delay_alu instid0(SALU_CYCLE_1)
	s_and_not1_b32 vcc_lo, exec_lo, s39
	s_cbranch_vccnz .LBB55_345
; %bb.344:
	global_load_b32 v1, v[6:7], off
	s_wait_loadcnt 0x0
	v_trunc_f32_e32 v1, v1
	s_delay_alu instid0(VALU_DEP_1) | instskip(SKIP_1) | instid1(VALU_DEP_2)
	v_mul_f32_e64 v3, 0x2f800000, |v1|
	v_ashrrev_i32_e32 v8, 31, v1
	v_floor_f32_e32 v3, v3
	s_delay_alu instid0(VALU_DEP_1) | instskip(SKIP_1) | instid1(VALU_DEP_2)
	v_fma_f32 v9, 0xcf800000, v3, |v1|
	v_cvt_u32_f32_e32 v1, v3
	v_cvt_u32_f32_e32 v3, v9
	s_delay_alu instid0(VALU_DEP_2) | instskip(NEXT) | instid1(VALU_DEP_2)
	v_dual_mov_b32 v9, v8 :: v_dual_bitop2_b32 v11, v1, v8 bitop3:0x14
	v_xor_b32_e32 v10, v3, v8
	s_delay_alu instid0(VALU_DEP_1)
	v_sub_nc_u64_e32 v[8:9], v[10:11], v[8:9]
.LBB55_345:
	s_mov_b32 s39, 0
.LBB55_346:
	s_delay_alu instid0(SALU_CYCLE_1)
	s_and_not1_b32 vcc_lo, exec_lo, s39
	s_cbranch_vccnz .LBB55_348
; %bb.347:
	global_load_b32 v1, v[6:7], off
	s_wait_loadcnt 0x0
	v_cvt_f32_f16_e32 v1, v1
	s_delay_alu instid0(VALU_DEP_1) | instskip(NEXT) | instid1(VALU_DEP_1)
	v_cvt_i32_f32_e32 v8, v1
	v_ashrrev_i32_e32 v9, 31, v8
.LBB55_348:
	s_mov_b32 s39, 0
.LBB55_349:
	s_delay_alu instid0(SALU_CYCLE_1)
	s_and_not1_b32 vcc_lo, exec_lo, s39
	s_cbranch_vccnz .LBB55_360
; %bb.350:
	s_cmp_lt_i32 s0, 6
	s_cbranch_scc1 .LBB55_353
; %bb.351:
	s_cmp_gt_i32 s0, 6
	s_cbranch_scc0 .LBB55_354
; %bb.352:
	s_wait_loadcnt 0x0
	global_load_b64 v[8:9], v[6:7], off
	s_mov_b32 s39, 0
	s_wait_loadcnt 0x0
	v_trunc_f64_e32 v[8:9], v[8:9]
	s_delay_alu instid0(VALU_DEP_1) | instskip(NEXT) | instid1(VALU_DEP_1)
	v_ldexp_f64 v[10:11], v[8:9], 0xffffffe0
	v_floor_f64_e32 v[10:11], v[10:11]
	s_delay_alu instid0(VALU_DEP_1) | instskip(SKIP_1) | instid1(VALU_DEP_2)
	v_fmamk_f64 v[12:13], v[10:11], 0xc1f00000, v[8:9]
	v_cvt_i32_f64_e32 v9, v[10:11]
	v_cvt_u32_f64_e32 v8, v[12:13]
	s_branch .LBB55_355
.LBB55_353:
	s_mov_b32 s39, -1
                                        ; implicit-def: $vgpr8_vgpr9
	s_branch .LBB55_358
.LBB55_354:
	s_mov_b32 s39, -1
                                        ; implicit-def: $vgpr8_vgpr9
.LBB55_355:
	s_delay_alu instid0(SALU_CYCLE_1)
	s_and_not1_b32 vcc_lo, exec_lo, s39
	s_cbranch_vccnz .LBB55_357
; %bb.356:
	global_load_b32 v1, v[6:7], off
	s_wait_loadcnt 0x0
	v_trunc_f32_e32 v1, v1
	s_delay_alu instid0(VALU_DEP_1) | instskip(SKIP_1) | instid1(VALU_DEP_2)
	v_mul_f32_e64 v3, 0x2f800000, |v1|
	v_ashrrev_i32_e32 v8, 31, v1
	v_floor_f32_e32 v3, v3
	s_delay_alu instid0(VALU_DEP_1) | instskip(SKIP_1) | instid1(VALU_DEP_2)
	v_fma_f32 v9, 0xcf800000, v3, |v1|
	v_cvt_u32_f32_e32 v1, v3
	v_cvt_u32_f32_e32 v3, v9
	s_delay_alu instid0(VALU_DEP_2) | instskip(NEXT) | instid1(VALU_DEP_2)
	v_dual_mov_b32 v9, v8 :: v_dual_bitop2_b32 v11, v1, v8 bitop3:0x14
	v_xor_b32_e32 v10, v3, v8
	s_delay_alu instid0(VALU_DEP_1)
	v_sub_nc_u64_e32 v[8:9], v[10:11], v[8:9]
.LBB55_357:
	s_mov_b32 s39, 0
.LBB55_358:
	s_delay_alu instid0(SALU_CYCLE_1)
	s_and_not1_b32 vcc_lo, exec_lo, s39
	s_cbranch_vccnz .LBB55_360
; %bb.359:
	global_load_u16 v1, v[6:7], off
	s_wait_loadcnt 0x0
	v_cvt_f32_f16_e32 v1, v1
	s_delay_alu instid0(VALU_DEP_1) | instskip(NEXT) | instid1(VALU_DEP_1)
	v_cvt_i32_f32_e32 v8, v1
	v_ashrrev_i32_e32 v9, 31, v8
.LBB55_360:
	s_mov_b32 s39, 0
.LBB55_361:
	s_delay_alu instid0(SALU_CYCLE_1)
	s_and_not1_b32 vcc_lo, exec_lo, s39
	s_cbranch_vccnz .LBB55_381
; %bb.362:
	s_cmp_lt_i32 s0, 2
	s_cbranch_scc1 .LBB55_366
; %bb.363:
	s_cmp_lt_i32 s0, 3
	s_cbranch_scc1 .LBB55_367
; %bb.364:
	s_cmp_gt_i32 s0, 3
	s_cbranch_scc0 .LBB55_368
; %bb.365:
	s_wait_loadcnt 0x0
	global_load_b64 v[8:9], v[6:7], off
	s_mov_b32 s39, 0
	s_branch .LBB55_369
.LBB55_366:
	s_mov_b32 s39, -1
                                        ; implicit-def: $vgpr8_vgpr9
	s_branch .LBB55_375
.LBB55_367:
	s_mov_b32 s39, -1
                                        ; implicit-def: $vgpr8_vgpr9
	s_branch .LBB55_372
.LBB55_368:
	s_mov_b32 s39, -1
                                        ; implicit-def: $vgpr8_vgpr9
.LBB55_369:
	s_delay_alu instid0(SALU_CYCLE_1)
	s_and_not1_b32 vcc_lo, exec_lo, s39
	s_cbranch_vccnz .LBB55_371
; %bb.370:
	s_wait_loadcnt 0x0
	global_load_b32 v8, v[6:7], off
	s_wait_loadcnt 0x0
	v_ashrrev_i32_e32 v9, 31, v8
.LBB55_371:
	s_mov_b32 s39, 0
.LBB55_372:
	s_delay_alu instid0(SALU_CYCLE_1)
	s_and_not1_b32 vcc_lo, exec_lo, s39
	s_cbranch_vccnz .LBB55_374
; %bb.373:
	global_load_u16 v1, v[6:7], off
	s_wait_loadcnt 0x0
	v_bfe_i32 v8, v1, 0, 16
	s_delay_alu instid0(VALU_DEP_1)
	v_ashrrev_i32_e32 v9, 31, v8
.LBB55_374:
	s_mov_b32 s39, 0
.LBB55_375:
	s_delay_alu instid0(SALU_CYCLE_1)
	s_and_not1_b32 vcc_lo, exec_lo, s39
	s_cbranch_vccnz .LBB55_381
; %bb.376:
	s_cmp_gt_i32 s0, 0
	s_mov_b32 s0, 0
	s_cbranch_scc0 .LBB55_378
; %bb.377:
	global_load_i8 v1, v[6:7], off
	s_wait_loadcnt 0x0
	v_bfe_i32 v8, v1, 0, 16
	s_delay_alu instid0(VALU_DEP_1)
	v_ashrrev_i32_e32 v9, 31, v8
	s_branch .LBB55_379
.LBB55_378:
	s_mov_b32 s0, -1
                                        ; implicit-def: $vgpr8_vgpr9
.LBB55_379:
	s_delay_alu instid0(SALU_CYCLE_1)
	s_and_not1_b32 vcc_lo, exec_lo, s0
	s_cbranch_vccnz .LBB55_381
; %bb.380:
	global_load_u8 v1, v[6:7], off
	s_mov_b32 s0, 0
	s_wait_loadcnt 0x1
	s_wait_xcnt 0x1
	v_mov_b32_e32 v9, s0
	s_wait_loadcnt 0x0
	v_and_b32_e32 v8, 0xffff, v1
.LBB55_381:
	s_branch .LBB55_32
.LBB55_382:
	s_mov_b32 s0, 0
.LBB55_383:
	s_mov_b32 s43, 0
                                        ; implicit-def: $vgpr0
.LBB55_384:
	s_and_b32 s39, s0, exec_lo
	s_and_b32 s40, s27, exec_lo
	;; [unrolled: 1-line block ×3, first 2 shown]
	s_or_not1_b32 s27, s43, exec_lo
.LBB55_385:
	s_wait_xcnt 0x0
	s_or_b32 exec_lo, exec_lo, s42
	s_mov_b32 s44, 0
	s_mov_b32 s26, 0
                                        ; implicit-def: $sgpr0
                                        ; implicit-def: $vgpr8_vgpr9
                                        ; implicit-def: $vgpr6
                                        ; implicit-def: $vgpr2
                                        ; implicit-def: $vgpr4_vgpr5
	s_and_saveexec_b32 s42, s27
	s_cbranch_execz .LBB55_393
; %bb.386:
	s_mov_b32 s48, -1
	s_mov_b32 s43, s41
	s_mov_b32 s45, s40
	;; [unrolled: 1-line block ×3, first 2 shown]
	s_mov_b32 s46, exec_lo
	v_cmpx_gt_i32_e64 s37, v0
	s_cbranch_execz .LBB55_781
; %bb.387:
	s_and_not1_b32 vcc_lo, exec_lo, s31
	s_cbranch_vccnz .LBB55_396
; %bb.388:
	s_and_not1_b32 vcc_lo, exec_lo, s38
	s_cbranch_vccnz .LBB55_397
; %bb.389:
	v_dual_mov_b32 v2, 0 :: v_dual_mov_b32 v1, v0
	s_wait_loadcnt 0x0
	v_dual_mov_b32 v4, 0 :: v_dual_mov_b32 v6, 0
	s_add_co_i32 s0, s36, 1
	s_mov_b64 s[26:27], 0xffffffffffffffe8
	s_and_b32 s0, s0, 30
	s_add_nc_u64 s[26:27], s[2:3], s[26:27]
.LBB55_390:                             ; =>This Inner Loop Header: Depth=1
	s_clause 0x1
	s_load_b128 s[48:51], s[26:27], 0x1c
	s_load_b64 s[44:45], s[26:27], 0x2c
	s_add_co_i32 s0, s0, -2
	s_delay_alu instid0(SALU_CYCLE_1) | instskip(SKIP_2) | instid1(VALU_DEP_1)
	s_cmp_eq_u32 s0, 0
	s_wait_kmcnt 0x0
	v_mul_hi_u32 v3, s49, v1
	v_add_nc_u32_e32 v3, v1, v3
	s_delay_alu instid0(VALU_DEP_1) | instskip(NEXT) | instid1(VALU_DEP_1)
	v_lshrrev_b32_e32 v3, s50, v3
	v_mul_hi_u32 v5, s44, v3
	v_mul_lo_u32 v7, v3, s48
	s_clause 0x1
	s_load_b128 s[52:55], s[26:27], 0xdc
	s_load_b64 s[48:49], s[26:27], 0xec
	s_wait_xcnt 0x0
	s_add_nc_u64 s[26:27], s[26:27], 24
	s_delay_alu instid0(VALU_DEP_1) | instskip(NEXT) | instid1(VALU_DEP_1)
	v_dual_add_nc_u32 v5, v3, v5 :: v_dual_sub_nc_u32 v7, v1, v7
	v_lshrrev_b32_e32 v1, s45, v5
	s_wait_kmcnt 0x0
	s_delay_alu instid0(VALU_DEP_2) | instskip(NEXT) | instid1(VALU_DEP_2)
	v_mad_u32 v2, v7, s52, v2
	v_mul_lo_u32 v5, v1, s51
	v_mad_u32 v6, v7, s54, v6
	v_mad_u32 v4, v7, s53, v4
	s_delay_alu instid0(VALU_DEP_3) | instskip(NEXT) | instid1(VALU_DEP_1)
	v_sub_nc_u32_e32 v3, v3, v5
	v_mad_u32 v2, v3, s55, v2
	s_delay_alu instid0(VALU_DEP_4) | instskip(NEXT) | instid1(VALU_DEP_4)
	v_mad_u32 v6, v3, s49, v6
	v_mad_u32 v4, v3, s48, v4
	s_cbranch_scc0 .LBB55_390
; %bb.391:
	s_bitcmp1_b32 s36, 0
	s_cselect_b32 s0, -1, 0
	s_delay_alu instid0(SALU_CYCLE_1)
	s_and_b32 vcc_lo, exec_lo, s0
	s_cbranch_vccnz .LBB55_398
; %bb.392:
	s_clause 0x1
	s_load_b96 s[48:50], s[26:27], 0x1c
	s_load_b96 s[52:54], s[26:27], 0xdc
	s_wait_kmcnt 0x0
	v_mul_hi_u32 v3, s49, v1
	s_delay_alu instid0(VALU_DEP_1) | instskip(NEXT) | instid1(VALU_DEP_1)
	v_add_nc_u32_e32 v3, v1, v3
	v_lshrrev_b32_e32 v3, s50, v3
	s_delay_alu instid0(VALU_DEP_1) | instskip(NEXT) | instid1(VALU_DEP_1)
	v_mul_lo_u32 v3, v3, s48
	v_sub_nc_u32_e32 v1, v1, v3
	s_delay_alu instid0(VALU_DEP_1)
	v_mad_u32 v2, v1, s52, v2
	v_mad_u32 v4, v1, s53, v4
	;; [unrolled: 1-line block ×3, first 2 shown]
	s_branch .LBB55_398
.LBB55_393:
	s_or_b32 exec_lo, exec_lo, s42
	s_mov_b32 s1, 0
	s_and_saveexec_b32 s6, s41
	s_cbranch_execnz .LBB55_1269
.LBB55_394:
	s_or_b32 exec_lo, exec_lo, s6
	s_and_saveexec_b32 s6, s21
	s_delay_alu instid0(SALU_CYCLE_1)
	s_xor_b32 s6, exec_lo, s6
	s_cbranch_execz .LBB55_1270
.LBB55_395:
	s_wait_loadcnt 0x0
	global_load_u8 v0, v[8:9], off
	s_mov_b32 s7, 0
	s_or_b32 s26, s26, exec_lo
	v_mov_b32_e32 v5, s7
	s_wait_loadcnt 0x0
	v_cmp_ne_u16_e32 vcc_lo, 0, v0
	v_cndmask_b32_e64 v4, 0, 1, vcc_lo
	s_wait_xcnt 0x0
	s_or_b32 exec_lo, exec_lo, s6
	s_and_saveexec_b32 s6, s44
	s_cbranch_execz .LBB55_1316
	s_branch .LBB55_1271
.LBB55_396:
                                        ; implicit-def: $vgpr6
                                        ; implicit-def: $vgpr4
                                        ; implicit-def: $vgpr2
	s_branch .LBB55_399
.LBB55_397:
	s_wait_loadcnt 0x0
	v_dual_mov_b32 v6, 0 :: v_dual_mov_b32 v4, 0
	v_mov_b32_e32 v2, 0
.LBB55_398:
	s_cbranch_execnz .LBB55_401
.LBB55_399:
	v_mov_b32_e32 v1, 0
	s_and_not1_b32 vcc_lo, exec_lo, s35
	s_delay_alu instid0(VALU_DEP_1) | instskip(NEXT) | instid1(VALU_DEP_1)
	v_mul_u64_e32 v[2:3], s[20:21], v[0:1]
	v_add_nc_u32_e32 v2, v0, v3
	s_wait_loadcnt 0x0
	s_delay_alu instid0(VALU_DEP_1) | instskip(NEXT) | instid1(VALU_DEP_1)
	v_lshrrev_b32_e32 v8, s14, v2
	v_mul_lo_u32 v2, v8, s12
	s_delay_alu instid0(VALU_DEP_1) | instskip(NEXT) | instid1(VALU_DEP_1)
	v_sub_nc_u32_e32 v3, v0, v2
	v_mul_lo_u32 v2, v3, s16
	v_mul_lo_u32 v6, v3, s18
	;; [unrolled: 1-line block ×3, first 2 shown]
	s_cbranch_vccnz .LBB55_401
; %bb.400:
	v_mov_b32_e32 v9, v1
	s_delay_alu instid0(VALU_DEP_1) | instskip(NEXT) | instid1(VALU_DEP_1)
	v_mul_u64_e32 v[10:11], s[24:25], v[8:9]
	v_add_nc_u32_e32 v1, v8, v11
	s_delay_alu instid0(VALU_DEP_1) | instskip(NEXT) | instid1(VALU_DEP_1)
	v_lshrrev_b32_e32 v1, s1, v1
	v_mul_lo_u32 v1, v1, s15
	s_delay_alu instid0(VALU_DEP_1) | instskip(NEXT) | instid1(VALU_DEP_1)
	v_sub_nc_u32_e32 v1, v8, v1
	v_mad_u32 v2, v1, s19, v2
	v_mad_u32 v4, v1, s22, v4
	;; [unrolled: 1-line block ×3, first 2 shown]
.LBB55_401:
	s_wait_loadcnt 0x0
	v_mov_b32_e32 v5, 0
	s_and_b32 s0, s34, 0xff
	s_delay_alu instid0(SALU_CYCLE_1) | instskip(NEXT) | instid1(VALU_DEP_1)
	s_cmp_lt_i32 s0, 11
	v_add_nc_u64_e32 v[8:9], s[6:7], v[4:5]
	s_cbranch_scc1 .LBB55_408
; %bb.402:
	s_and_b32 s27, 0xffff, s0
	s_delay_alu instid0(SALU_CYCLE_1)
	s_cmp_gt_i32 s27, 25
	s_cbranch_scc0 .LBB55_417
; %bb.403:
	s_cmp_gt_i32 s27, 28
	s_cbranch_scc0 .LBB55_419
; %bb.404:
	;; [unrolled: 3-line block ×4, first 2 shown]
	s_cmp_eq_u32 s27, 46
	s_mov_b32 s44, 0
	s_cbranch_scc0 .LBB55_427
; %bb.407:
	global_load_b32 v1, v[8:9], off
	s_mov_b32 s43, -1
	s_mov_b32 s26, 0
	s_wait_loadcnt 0x0
	v_lshlrev_b32_e32 v1, 16, v1
	s_delay_alu instid0(VALU_DEP_1) | instskip(NEXT) | instid1(VALU_DEP_1)
	v_trunc_f32_e32 v1, v1
	v_mul_f32_e64 v3, 0x2f800000, |v1|
	v_ashrrev_i32_e32 v4, 31, v1
	s_delay_alu instid0(VALU_DEP_2) | instskip(NEXT) | instid1(VALU_DEP_1)
	v_floor_f32_e32 v3, v3
	v_fma_f32 v5, 0xcf800000, v3, |v1|
	v_cvt_u32_f32_e32 v1, v3
	s_delay_alu instid0(VALU_DEP_2) | instskip(NEXT) | instid1(VALU_DEP_2)
	v_cvt_u32_f32_e32 v3, v5
	v_dual_mov_b32 v5, v4 :: v_dual_bitop2_b32 v11, v1, v4 bitop3:0x14
	s_delay_alu instid0(VALU_DEP_2) | instskip(NEXT) | instid1(VALU_DEP_1)
	v_xor_b32_e32 v10, v3, v4
	v_sub_nc_u64_e32 v[4:5], v[10:11], v[4:5]
	s_branch .LBB55_429
.LBB55_408:
	s_mov_b32 s43, 0
	s_mov_b32 s26, s41
                                        ; implicit-def: $vgpr4_vgpr5
	s_cbranch_execnz .LBB55_491
.LBB55_409:
	s_and_not1_b32 vcc_lo, exec_lo, s43
	s_cbranch_vccnz .LBB55_539
.LBB55_410:
	v_mov_b32_e32 v7, 0
	s_and_b32 s0, s13, 0xff
	s_delay_alu instid0(SALU_CYCLE_1) | instskip(NEXT) | instid1(VALU_DEP_1)
	s_cmp_lt_i32 s0, 11
	v_add_nc_u64_e32 v[6:7], s[8:9], v[6:7]
	s_cbranch_scc1 .LBB55_418
; %bb.411:
	s_and_b32 s43, 0xffff, s0
	s_delay_alu instid0(SALU_CYCLE_1)
	s_cmp_gt_i32 s43, 25
	s_cbranch_scc0 .LBB55_420
; %bb.412:
	s_cmp_gt_i32 s43, 28
	s_cbranch_scc0 .LBB55_422
; %bb.413:
	;; [unrolled: 3-line block ×4, first 2 shown]
	s_cmp_eq_u32 s43, 46
	s_mov_b32 s45, 0
	s_cbranch_scc0 .LBB55_542
; %bb.416:
	global_load_b32 v1, v[6:7], off
	s_mov_b32 s44, -1
	s_mov_b32 s27, 0
	s_wait_loadcnt 0x0
	v_lshlrev_b32_e32 v1, 16, v1
	s_delay_alu instid0(VALU_DEP_1) | instskip(NEXT) | instid1(VALU_DEP_1)
	v_trunc_f32_e32 v1, v1
	v_mul_f32_e64 v3, 0x2f800000, |v1|
	s_wait_xcnt 0x1
	v_ashrrev_i32_e32 v8, 31, v1
	s_delay_alu instid0(VALU_DEP_2) | instskip(NEXT) | instid1(VALU_DEP_1)
	v_floor_f32_e32 v3, v3
	v_fma_f32 v9, 0xcf800000, v3, |v1|
	v_cvt_u32_f32_e32 v1, v3
	s_delay_alu instid0(VALU_DEP_2) | instskip(NEXT) | instid1(VALU_DEP_2)
	v_cvt_u32_f32_e32 v3, v9
	v_dual_mov_b32 v9, v8 :: v_dual_bitop2_b32 v11, v1, v8 bitop3:0x14
	s_delay_alu instid0(VALU_DEP_2) | instskip(NEXT) | instid1(VALU_DEP_1)
	v_xor_b32_e32 v10, v3, v8
	v_sub_nc_u64_e32 v[8:9], v[10:11], v[8:9]
	s_branch .LBB55_544
.LBB55_417:
	s_mov_b32 s44, -1
	s_mov_b32 s43, 0
	s_mov_b32 s26, s41
                                        ; implicit-def: $vgpr4_vgpr5
	s_branch .LBB55_457
.LBB55_418:
	s_mov_b32 s43, -1
	s_mov_b32 s44, 0
	s_mov_b32 s27, s40
                                        ; implicit-def: $vgpr8_vgpr9
	s_branch .LBB55_605
.LBB55_419:
	s_mov_b32 s44, -1
	s_mov_b32 s43, 0
	s_mov_b32 s26, s41
                                        ; implicit-def: $vgpr4_vgpr5
	s_branch .LBB55_440
.LBB55_420:
	s_mov_b32 s45, -1
	s_mov_b32 s44, 0
	s_mov_b32 s27, s40
                                        ; implicit-def: $vgpr8_vgpr9
	s_branch .LBB55_571
.LBB55_421:
	s_mov_b32 s44, -1
	s_mov_b32 s43, 0
	s_mov_b32 s26, s41
                                        ; implicit-def: $vgpr4_vgpr5
	s_branch .LBB55_435
.LBB55_422:
	s_mov_b32 s45, -1
	s_mov_b32 s44, 0
	s_mov_b32 s27, s40
                                        ; implicit-def: $vgpr8_vgpr9
	s_branch .LBB55_554
.LBB55_423:
	s_mov_b32 s44, -1
	s_mov_b32 s43, 0
	s_mov_b32 s26, s41
	s_branch .LBB55_428
.LBB55_424:
	s_mov_b32 s45, -1
	s_mov_b32 s44, 0
	s_mov_b32 s27, s40
                                        ; implicit-def: $vgpr8_vgpr9
	s_branch .LBB55_549
.LBB55_425:
	s_and_not1_saveexec_b32 s45, s45
	s_cbranch_execz .LBB55_187
.LBB55_426:
	v_add_f32_e32 v1, 0x46000000, v4
	s_and_not1_b32 s44, s44, exec_lo
	s_delay_alu instid0(VALU_DEP_1) | instskip(NEXT) | instid1(VALU_DEP_1)
	v_and_b32_e32 v1, 0xff, v1
	v_cmp_ne_u32_e32 vcc_lo, 0, v1
	s_and_b32 s46, vcc_lo, exec_lo
	s_delay_alu instid0(SALU_CYCLE_1)
	s_or_b32 s44, s44, s46
	s_or_b32 exec_lo, exec_lo, s45
	v_mov_b32_e32 v5, 0
	s_and_saveexec_b32 s45, s44
	s_cbranch_execnz .LBB55_188
	s_branch .LBB55_189
.LBB55_427:
	s_mov_b32 s26, -1
	s_mov_b32 s43, 0
.LBB55_428:
                                        ; implicit-def: $vgpr4_vgpr5
.LBB55_429:
	s_and_b32 vcc_lo, exec_lo, s44
	s_cbranch_vccz .LBB55_434
; %bb.430:
	s_cmp_eq_u32 s27, 44
	s_cbranch_scc0 .LBB55_433
; %bb.431:
	global_load_u8 v1, v[8:9], off
	s_mov_b32 s26, 0
	s_mov_b32 s43, -1
	s_wait_loadcnt 0x0
	v_lshlrev_b32_e32 v3, 23, v1
	v_cmp_ne_u32_e32 vcc_lo, 0, v1
	s_delay_alu instid0(VALU_DEP_2) | instskip(NEXT) | instid1(VALU_DEP_1)
	v_trunc_f32_e32 v3, v3
	v_mul_f32_e64 v4, 0x2f800000, |v3|
	s_delay_alu instid0(VALU_DEP_1) | instskip(SKIP_1) | instid1(VALU_DEP_2)
	v_floor_f32_e32 v5, v4
	v_ashrrev_i32_e32 v4, 31, v3
	v_fma_f32 v7, 0xcf800000, v5, |v3|
	v_cvt_u32_f32_e32 v3, v5
	s_delay_alu instid0(VALU_DEP_3) | instskip(NEXT) | instid1(VALU_DEP_3)
	v_mov_b32_e32 v5, v4
	v_cvt_u32_f32_e32 v7, v7
	s_delay_alu instid0(VALU_DEP_3) | instskip(NEXT) | instid1(VALU_DEP_2)
	v_xor_b32_e32 v11, v3, v4
	v_xor_b32_e32 v10, v7, v4
	s_delay_alu instid0(VALU_DEP_1) | instskip(NEXT) | instid1(VALU_DEP_1)
	v_sub_nc_u64_e32 v[4:5], v[10:11], v[4:5]
	v_dual_cndmask_b32 v5, 0, v5 :: v_dual_cndmask_b32 v4, 0, v4
	s_branch .LBB55_434
.LBB55_432:
	s_mov_b32 s45, -1
	s_mov_b32 s44, 0
	s_mov_b32 s27, s40
	s_branch .LBB55_543
.LBB55_433:
	s_mov_b32 s26, -1
                                        ; implicit-def: $vgpr4_vgpr5
.LBB55_434:
	s_mov_b32 s44, 0
.LBB55_435:
	s_delay_alu instid0(SALU_CYCLE_1)
	s_and_b32 vcc_lo, exec_lo, s44
	s_cbranch_vccz .LBB55_439
; %bb.436:
	s_cmp_eq_u32 s27, 29
	s_cbranch_scc0 .LBB55_438
; %bb.437:
	global_load_b64 v[4:5], v[8:9], off
	s_mov_b32 s43, -1
	s_mov_b32 s26, 0
	s_branch .LBB55_439
.LBB55_438:
	s_mov_b32 s26, -1
                                        ; implicit-def: $vgpr4_vgpr5
.LBB55_439:
	s_mov_b32 s44, 0
.LBB55_440:
	s_delay_alu instid0(SALU_CYCLE_1)
	s_and_b32 vcc_lo, exec_lo, s44
	s_cbranch_vccz .LBB55_456
; %bb.441:
	s_cmp_lt_i32 s27, 27
	s_cbranch_scc1 .LBB55_444
; %bb.442:
	s_cmp_gt_i32 s27, 27
	s_cbranch_scc0 .LBB55_445
; %bb.443:
	s_wait_loadcnt 0x0
	global_load_b32 v4, v[8:9], off
	v_mov_b32_e32 v5, 0
	s_mov_b32 s43, 0
	s_branch .LBB55_446
.LBB55_444:
	s_mov_b32 s43, -1
                                        ; implicit-def: $vgpr4_vgpr5
	s_branch .LBB55_449
.LBB55_445:
	s_mov_b32 s43, -1
                                        ; implicit-def: $vgpr4_vgpr5
.LBB55_446:
	s_delay_alu instid0(SALU_CYCLE_1)
	s_and_not1_b32 vcc_lo, exec_lo, s43
	s_cbranch_vccnz .LBB55_448
; %bb.447:
	global_load_u16 v1, v[8:9], off
	s_mov_b32 s43, 0
	s_wait_loadcnt 0x1
	v_mov_b32_e32 v5, s43
	s_wait_loadcnt 0x0
	v_and_b32_e32 v4, 0xffff, v1
.LBB55_448:
	s_mov_b32 s43, 0
.LBB55_449:
	s_delay_alu instid0(SALU_CYCLE_1)
	s_and_not1_b32 vcc_lo, exec_lo, s43
	s_cbranch_vccnz .LBB55_455
; %bb.450:
	global_load_u8 v1, v[8:9], off
	s_mov_b32 s44, 0
	s_mov_b32 s43, exec_lo
	s_wait_loadcnt 0x0
	v_cmpx_lt_i16_e32 0x7f, v1
	s_xor_b32 s43, exec_lo, s43
	s_cbranch_execz .LBB55_467
; %bb.451:
	v_cmp_ne_u16_e32 vcc_lo, 0x80, v1
	s_and_b32 s44, vcc_lo, exec_lo
	s_and_not1_saveexec_b32 s43, s43
	s_cbranch_execnz .LBB55_468
.LBB55_452:
	s_or_b32 exec_lo, exec_lo, s43
	v_mov_b64_e32 v[4:5], 0
	s_and_saveexec_b32 s43, s44
	s_cbranch_execz .LBB55_454
.LBB55_453:
	v_and_b32_e32 v3, 0xffff, v1
	s_delay_alu instid0(VALU_DEP_1) | instskip(SKIP_1) | instid1(VALU_DEP_2)
	v_and_b32_e32 v4, 7, v3
	v_bfe_u32 v10, v3, 3, 4
	v_clz_i32_u32_e32 v5, v4
	s_delay_alu instid0(VALU_DEP_2) | instskip(NEXT) | instid1(VALU_DEP_2)
	v_cmp_eq_u32_e32 vcc_lo, 0, v10
	v_min_u32_e32 v5, 32, v5
	s_delay_alu instid0(VALU_DEP_1) | instskip(NEXT) | instid1(VALU_DEP_1)
	v_subrev_nc_u32_e32 v7, 28, v5
	v_dual_lshlrev_b32 v3, v7, v3 :: v_dual_sub_nc_u32 v5, 29, v5
	s_delay_alu instid0(VALU_DEP_1) | instskip(NEXT) | instid1(VALU_DEP_1)
	v_dual_lshlrev_b32 v1, 24, v1 :: v_dual_bitop2_b32 v3, 7, v3 bitop3:0x40
	v_dual_cndmask_b32 v3, v4, v3, vcc_lo :: v_dual_cndmask_b32 v5, v10, v5, vcc_lo
	s_delay_alu instid0(VALU_DEP_2) | instskip(NEXT) | instid1(VALU_DEP_2)
	v_and_b32_e32 v1, 0x80000000, v1
	v_lshlrev_b32_e32 v3, 20, v3
	s_delay_alu instid0(VALU_DEP_3) | instskip(NEXT) | instid1(VALU_DEP_1)
	v_lshl_add_u32 v4, v5, 23, 0x3b800000
	v_or3_b32 v1, v1, v4, v3
	s_delay_alu instid0(VALU_DEP_1) | instskip(NEXT) | instid1(VALU_DEP_1)
	v_trunc_f32_e32 v1, v1
	v_mul_f32_e64 v3, 0x2f800000, |v1|
	v_ashrrev_i32_e32 v4, 31, v1
	s_delay_alu instid0(VALU_DEP_2) | instskip(NEXT) | instid1(VALU_DEP_1)
	v_floor_f32_e32 v3, v3
	v_fma_f32 v5, 0xcf800000, v3, |v1|
	v_cvt_u32_f32_e32 v1, v3
	s_delay_alu instid0(VALU_DEP_2) | instskip(NEXT) | instid1(VALU_DEP_2)
	v_cvt_u32_f32_e32 v3, v5
	v_dual_mov_b32 v5, v4 :: v_dual_bitop2_b32 v11, v1, v4 bitop3:0x14
	s_delay_alu instid0(VALU_DEP_2) | instskip(NEXT) | instid1(VALU_DEP_1)
	v_xor_b32_e32 v10, v3, v4
	v_sub_nc_u64_e32 v[4:5], v[10:11], v[4:5]
.LBB55_454:
	s_or_b32 exec_lo, exec_lo, s43
.LBB55_455:
	s_mov_b32 s43, -1
.LBB55_456:
	s_mov_b32 s44, 0
.LBB55_457:
	s_delay_alu instid0(SALU_CYCLE_1)
	s_and_b32 vcc_lo, exec_lo, s44
	s_cbranch_vccz .LBB55_490
; %bb.458:
	s_cmp_gt_i32 s27, 22
	s_cbranch_scc0 .LBB55_466
; %bb.459:
	s_cmp_lt_i32 s27, 24
	s_cbranch_scc1 .LBB55_469
; %bb.460:
	s_cmp_gt_i32 s27, 24
	s_cbranch_scc0 .LBB55_470
; %bb.461:
	global_load_u8 v1, v[8:9], off
	s_mov_b32 s44, 0
	s_mov_b32 s43, exec_lo
	s_wait_loadcnt 0x0
	v_cmpx_lt_i16_e32 0x7f, v1
	s_xor_b32 s43, exec_lo, s43
	s_cbranch_execz .LBB55_482
; %bb.462:
	v_cmp_ne_u16_e32 vcc_lo, 0x80, v1
	s_and_b32 s44, vcc_lo, exec_lo
	s_and_not1_saveexec_b32 s43, s43
	s_cbranch_execnz .LBB55_483
.LBB55_463:
	s_or_b32 exec_lo, exec_lo, s43
	v_mov_b64_e32 v[4:5], 0
	s_and_saveexec_b32 s43, s44
	s_cbranch_execz .LBB55_465
.LBB55_464:
	v_and_b32_e32 v3, 0xffff, v1
	s_delay_alu instid0(VALU_DEP_1) | instskip(SKIP_1) | instid1(VALU_DEP_2)
	v_and_b32_e32 v4, 3, v3
	v_bfe_u32 v10, v3, 2, 5
	v_clz_i32_u32_e32 v5, v4
	s_delay_alu instid0(VALU_DEP_2) | instskip(NEXT) | instid1(VALU_DEP_2)
	v_cmp_eq_u32_e32 vcc_lo, 0, v10
	v_min_u32_e32 v5, 32, v5
	s_delay_alu instid0(VALU_DEP_1) | instskip(NEXT) | instid1(VALU_DEP_1)
	v_subrev_nc_u32_e32 v7, 29, v5
	v_dual_lshlrev_b32 v3, v7, v3 :: v_dual_sub_nc_u32 v5, 30, v5
	s_delay_alu instid0(VALU_DEP_1) | instskip(NEXT) | instid1(VALU_DEP_1)
	v_dual_lshlrev_b32 v1, 24, v1 :: v_dual_bitop2_b32 v3, 3, v3 bitop3:0x40
	v_dual_cndmask_b32 v3, v4, v3, vcc_lo :: v_dual_cndmask_b32 v5, v10, v5, vcc_lo
	s_delay_alu instid0(VALU_DEP_2) | instskip(NEXT) | instid1(VALU_DEP_2)
	v_and_b32_e32 v1, 0x80000000, v1
	v_lshlrev_b32_e32 v3, 21, v3
	s_delay_alu instid0(VALU_DEP_3) | instskip(NEXT) | instid1(VALU_DEP_1)
	v_lshl_add_u32 v4, v5, 23, 0x37800000
	v_or3_b32 v1, v1, v4, v3
	s_delay_alu instid0(VALU_DEP_1) | instskip(NEXT) | instid1(VALU_DEP_1)
	v_trunc_f32_e32 v1, v1
	v_mul_f32_e64 v3, 0x2f800000, |v1|
	v_ashrrev_i32_e32 v4, 31, v1
	s_delay_alu instid0(VALU_DEP_2) | instskip(NEXT) | instid1(VALU_DEP_1)
	v_floor_f32_e32 v3, v3
	v_fma_f32 v5, 0xcf800000, v3, |v1|
	v_cvt_u32_f32_e32 v1, v3
	s_delay_alu instid0(VALU_DEP_2) | instskip(NEXT) | instid1(VALU_DEP_2)
	v_cvt_u32_f32_e32 v3, v5
	v_dual_mov_b32 v5, v4 :: v_dual_bitop2_b32 v11, v1, v4 bitop3:0x14
	s_delay_alu instid0(VALU_DEP_2) | instskip(NEXT) | instid1(VALU_DEP_1)
	v_xor_b32_e32 v10, v3, v4
	v_sub_nc_u64_e32 v[4:5], v[10:11], v[4:5]
.LBB55_465:
	s_or_b32 exec_lo, exec_lo, s43
	s_mov_b32 s43, 0
	s_branch .LBB55_471
.LBB55_466:
	s_mov_b32 s44, -1
                                        ; implicit-def: $vgpr4_vgpr5
	s_branch .LBB55_477
.LBB55_467:
	s_and_not1_saveexec_b32 s43, s43
	s_cbranch_execz .LBB55_452
.LBB55_468:
	v_cmp_ne_u16_e32 vcc_lo, 0, v1
	s_and_not1_b32 s44, s44, exec_lo
	s_and_b32 s45, vcc_lo, exec_lo
	s_delay_alu instid0(SALU_CYCLE_1)
	s_or_b32 s44, s44, s45
	s_or_b32 exec_lo, exec_lo, s43
	v_mov_b64_e32 v[4:5], 0
	s_and_saveexec_b32 s43, s44
	s_cbranch_execnz .LBB55_453
	s_branch .LBB55_454
.LBB55_469:
	s_mov_b32 s43, -1
                                        ; implicit-def: $vgpr4_vgpr5
	s_branch .LBB55_474
.LBB55_470:
	s_mov_b32 s43, -1
                                        ; implicit-def: $vgpr4_vgpr5
.LBB55_471:
	s_delay_alu instid0(SALU_CYCLE_1)
	s_and_b32 vcc_lo, exec_lo, s43
	s_cbranch_vccz .LBB55_473
; %bb.472:
	global_load_u8 v1, v[8:9], off
	s_wait_loadcnt 0x0
	v_lshlrev_b32_e32 v1, 24, v1
	s_delay_alu instid0(VALU_DEP_1) | instskip(NEXT) | instid1(VALU_DEP_1)
	v_and_b32_e32 v3, 0x7f000000, v1
	v_clz_i32_u32_e32 v4, v3
	v_add_nc_u32_e32 v7, 0x1000000, v3
	v_cmp_ne_u32_e32 vcc_lo, 0, v3
	s_delay_alu instid0(VALU_DEP_3) | instskip(NEXT) | instid1(VALU_DEP_1)
	v_min_u32_e32 v4, 32, v4
	v_sub_nc_u32_e64 v4, v4, 4 clamp
	s_delay_alu instid0(VALU_DEP_1) | instskip(NEXT) | instid1(VALU_DEP_1)
	v_dual_lshlrev_b32 v5, v4, v3 :: v_dual_lshlrev_b32 v4, 23, v4
	v_lshrrev_b32_e32 v5, 4, v5
	s_delay_alu instid0(VALU_DEP_1) | instskip(NEXT) | instid1(VALU_DEP_1)
	v_dual_sub_nc_u32 v4, v5, v4 :: v_dual_ashrrev_i32 v5, 8, v7
	v_add_nc_u32_e32 v4, 0x3c000000, v4
	s_delay_alu instid0(VALU_DEP_1) | instskip(NEXT) | instid1(VALU_DEP_1)
	v_and_or_b32 v4, 0x7f800000, v5, v4
	v_cndmask_b32_e32 v3, 0, v4, vcc_lo
	s_delay_alu instid0(VALU_DEP_1) | instskip(NEXT) | instid1(VALU_DEP_1)
	v_and_or_b32 v1, 0x80000000, v1, v3
	v_trunc_f32_e32 v1, v1
	s_delay_alu instid0(VALU_DEP_1) | instskip(SKIP_1) | instid1(VALU_DEP_2)
	v_mul_f32_e64 v3, 0x2f800000, |v1|
	v_ashrrev_i32_e32 v4, 31, v1
	v_floor_f32_e32 v3, v3
	s_delay_alu instid0(VALU_DEP_1) | instskip(SKIP_1) | instid1(VALU_DEP_2)
	v_fma_f32 v5, 0xcf800000, v3, |v1|
	v_cvt_u32_f32_e32 v1, v3
	v_cvt_u32_f32_e32 v3, v5
	s_delay_alu instid0(VALU_DEP_2) | instskip(NEXT) | instid1(VALU_DEP_2)
	v_dual_mov_b32 v5, v4 :: v_dual_bitop2_b32 v11, v1, v4 bitop3:0x14
	v_xor_b32_e32 v10, v3, v4
	s_delay_alu instid0(VALU_DEP_1)
	v_sub_nc_u64_e32 v[4:5], v[10:11], v[4:5]
.LBB55_473:
	s_mov_b32 s43, 0
.LBB55_474:
	s_delay_alu instid0(SALU_CYCLE_1)
	s_and_not1_b32 vcc_lo, exec_lo, s43
	s_cbranch_vccnz .LBB55_476
; %bb.475:
	global_load_u8 v1, v[8:9], off
	s_wait_loadcnt 0x0
	v_lshlrev_b32_e32 v3, 25, v1
	v_lshlrev_b16 v1, 8, v1
	s_delay_alu instid0(VALU_DEP_1) | instskip(NEXT) | instid1(VALU_DEP_3)
	v_and_or_b32 v5, 0x7f00, v1, 0.5
	v_lshrrev_b32_e32 v4, 4, v3
	v_bfe_i32 v1, v1, 0, 16
	s_delay_alu instid0(VALU_DEP_3) | instskip(NEXT) | instid1(VALU_DEP_3)
	v_add_f32_e32 v5, -0.5, v5
	v_or_b32_e32 v4, 0x70000000, v4
	s_delay_alu instid0(VALU_DEP_1) | instskip(SKIP_1) | instid1(VALU_DEP_2)
	v_mul_f32_e32 v4, 0x7800000, v4
	v_cmp_gt_u32_e32 vcc_lo, 0x8000000, v3
	v_cndmask_b32_e32 v3, v4, v5, vcc_lo
	s_delay_alu instid0(VALU_DEP_1) | instskip(NEXT) | instid1(VALU_DEP_1)
	v_and_or_b32 v1, 0x80000000, v1, v3
	v_trunc_f32_e32 v1, v1
	s_delay_alu instid0(VALU_DEP_1) | instskip(SKIP_1) | instid1(VALU_DEP_2)
	v_mul_f32_e64 v3, 0x2f800000, |v1|
	v_ashrrev_i32_e32 v4, 31, v1
	v_floor_f32_e32 v3, v3
	s_delay_alu instid0(VALU_DEP_1) | instskip(SKIP_1) | instid1(VALU_DEP_2)
	v_fma_f32 v5, 0xcf800000, v3, |v1|
	v_cvt_u32_f32_e32 v1, v3
	v_cvt_u32_f32_e32 v3, v5
	s_delay_alu instid0(VALU_DEP_2) | instskip(NEXT) | instid1(VALU_DEP_2)
	v_dual_mov_b32 v5, v4 :: v_dual_bitop2_b32 v11, v1, v4 bitop3:0x14
	v_xor_b32_e32 v10, v3, v4
	s_delay_alu instid0(VALU_DEP_1)
	v_sub_nc_u64_e32 v[4:5], v[10:11], v[4:5]
.LBB55_476:
	s_mov_b32 s44, 0
	s_mov_b32 s43, -1
.LBB55_477:
	s_and_not1_b32 vcc_lo, exec_lo, s44
	s_cbranch_vccnz .LBB55_490
; %bb.478:
	s_cmp_gt_i32 s27, 14
	s_cbranch_scc0 .LBB55_481
; %bb.479:
	s_cmp_eq_u32 s27, 15
	s_cbranch_scc0 .LBB55_484
; %bb.480:
	global_load_u16 v1, v[8:9], off
	s_mov_b32 s43, -1
	s_mov_b32 s26, 0
	s_wait_loadcnt 0x0
	v_lshlrev_b32_e32 v1, 16, v1
	s_delay_alu instid0(VALU_DEP_1) | instskip(NEXT) | instid1(VALU_DEP_1)
	v_trunc_f32_e32 v1, v1
	v_mul_f32_e64 v3, 0x2f800000, |v1|
	v_ashrrev_i32_e32 v4, 31, v1
	s_delay_alu instid0(VALU_DEP_2) | instskip(NEXT) | instid1(VALU_DEP_1)
	v_floor_f32_e32 v3, v3
	v_fma_f32 v5, 0xcf800000, v3, |v1|
	v_cvt_u32_f32_e32 v1, v3
	s_delay_alu instid0(VALU_DEP_2) | instskip(NEXT) | instid1(VALU_DEP_2)
	v_cvt_u32_f32_e32 v3, v5
	v_dual_mov_b32 v5, v4 :: v_dual_bitop2_b32 v11, v1, v4 bitop3:0x14
	s_delay_alu instid0(VALU_DEP_2) | instskip(NEXT) | instid1(VALU_DEP_1)
	v_xor_b32_e32 v10, v3, v4
	v_sub_nc_u64_e32 v[4:5], v[10:11], v[4:5]
	s_branch .LBB55_485
.LBB55_481:
	s_mov_b32 s44, -1
                                        ; implicit-def: $vgpr4_vgpr5
	s_branch .LBB55_486
.LBB55_482:
	s_and_not1_saveexec_b32 s43, s43
	s_cbranch_execz .LBB55_463
.LBB55_483:
	v_cmp_ne_u16_e32 vcc_lo, 0, v1
	s_and_not1_b32 s44, s44, exec_lo
	s_and_b32 s45, vcc_lo, exec_lo
	s_delay_alu instid0(SALU_CYCLE_1)
	s_or_b32 s44, s44, s45
	s_or_b32 exec_lo, exec_lo, s43
	v_mov_b64_e32 v[4:5], 0
	s_and_saveexec_b32 s43, s44
	s_cbranch_execnz .LBB55_464
	s_branch .LBB55_465
.LBB55_484:
	s_mov_b32 s26, -1
                                        ; implicit-def: $vgpr4_vgpr5
.LBB55_485:
	s_mov_b32 s44, 0
.LBB55_486:
	s_delay_alu instid0(SALU_CYCLE_1)
	s_and_b32 vcc_lo, exec_lo, s44
	s_cbranch_vccz .LBB55_490
; %bb.487:
	s_cmp_eq_u32 s27, 11
	s_cbranch_scc0 .LBB55_489
; %bb.488:
	global_load_u8 v1, v[8:9], off
	s_mov_b32 s26, 0
	s_mov_b32 s43, -1
	s_wait_loadcnt 0x1
	v_mov_b32_e32 v5, s26
	s_wait_loadcnt 0x0
	v_cmp_ne_u16_e32 vcc_lo, 0, v1
	v_cndmask_b32_e64 v4, 0, 1, vcc_lo
	s_branch .LBB55_490
.LBB55_489:
	s_mov_b32 s26, -1
                                        ; implicit-def: $vgpr4_vgpr5
.LBB55_490:
	s_branch .LBB55_409
.LBB55_491:
	s_and_b32 s0, 0xffff, s0
	s_delay_alu instid0(SALU_CYCLE_1)
	s_cmp_lt_i32 s0, 5
	s_cbranch_scc1 .LBB55_496
; %bb.492:
	s_cmp_lt_i32 s0, 8
	s_cbranch_scc1 .LBB55_497
; %bb.493:
	s_cmp_lt_i32 s0, 9
	s_cbranch_scc1 .LBB55_498
; %bb.494:
	s_cmp_gt_i32 s0, 9
	s_cbranch_scc0 .LBB55_499
; %bb.495:
	s_wait_loadcnt 0x0
	global_load_b64 v[4:5], v[8:9], off
	s_mov_b32 s27, 0
	s_wait_loadcnt 0x0
	v_trunc_f64_e32 v[4:5], v[4:5]
	s_delay_alu instid0(VALU_DEP_1) | instskip(NEXT) | instid1(VALU_DEP_1)
	v_ldexp_f64 v[10:11], v[4:5], 0xffffffe0
	v_floor_f64_e32 v[10:11], v[10:11]
	s_delay_alu instid0(VALU_DEP_1) | instskip(SKIP_1) | instid1(VALU_DEP_2)
	v_fmamk_f64 v[12:13], v[10:11], 0xc1f00000, v[4:5]
	v_cvt_i32_f64_e32 v5, v[10:11]
	v_cvt_u32_f64_e32 v4, v[12:13]
	s_branch .LBB55_500
.LBB55_496:
	s_mov_b32 s27, -1
                                        ; implicit-def: $vgpr4_vgpr5
	s_branch .LBB55_518
.LBB55_497:
	s_mov_b32 s27, -1
                                        ; implicit-def: $vgpr4_vgpr5
	s_branch .LBB55_506
.LBB55_498:
	s_mov_b32 s27, -1
                                        ; implicit-def: $vgpr4_vgpr5
	s_branch .LBB55_503
.LBB55_499:
	s_mov_b32 s27, -1
                                        ; implicit-def: $vgpr4_vgpr5
.LBB55_500:
	s_delay_alu instid0(SALU_CYCLE_1)
	s_and_not1_b32 vcc_lo, exec_lo, s27
	s_cbranch_vccnz .LBB55_502
; %bb.501:
	global_load_b32 v1, v[8:9], off
	s_wait_loadcnt 0x0
	v_trunc_f32_e32 v1, v1
	s_delay_alu instid0(VALU_DEP_1) | instskip(SKIP_1) | instid1(VALU_DEP_2)
	v_mul_f32_e64 v3, 0x2f800000, |v1|
	v_ashrrev_i32_e32 v4, 31, v1
	v_floor_f32_e32 v3, v3
	s_delay_alu instid0(VALU_DEP_1) | instskip(SKIP_1) | instid1(VALU_DEP_2)
	v_fma_f32 v5, 0xcf800000, v3, |v1|
	v_cvt_u32_f32_e32 v1, v3
	v_cvt_u32_f32_e32 v3, v5
	s_delay_alu instid0(VALU_DEP_2) | instskip(NEXT) | instid1(VALU_DEP_2)
	v_dual_mov_b32 v5, v4 :: v_dual_bitop2_b32 v11, v1, v4 bitop3:0x14
	v_xor_b32_e32 v10, v3, v4
	s_delay_alu instid0(VALU_DEP_1)
	v_sub_nc_u64_e32 v[4:5], v[10:11], v[4:5]
.LBB55_502:
	s_mov_b32 s27, 0
.LBB55_503:
	s_delay_alu instid0(SALU_CYCLE_1)
	s_and_not1_b32 vcc_lo, exec_lo, s27
	s_cbranch_vccnz .LBB55_505
; %bb.504:
	global_load_b32 v1, v[8:9], off
	s_wait_loadcnt 0x0
	v_cvt_f32_f16_e32 v1, v1
	s_delay_alu instid0(VALU_DEP_1) | instskip(NEXT) | instid1(VALU_DEP_1)
	v_cvt_i32_f32_e32 v4, v1
	v_ashrrev_i32_e32 v5, 31, v4
.LBB55_505:
	s_mov_b32 s27, 0
.LBB55_506:
	s_delay_alu instid0(SALU_CYCLE_1)
	s_and_not1_b32 vcc_lo, exec_lo, s27
	s_cbranch_vccnz .LBB55_517
; %bb.507:
	s_cmp_lt_i32 s0, 6
	s_cbranch_scc1 .LBB55_510
; %bb.508:
	s_cmp_gt_i32 s0, 6
	s_cbranch_scc0 .LBB55_511
; %bb.509:
	s_wait_loadcnt 0x0
	global_load_b64 v[4:5], v[8:9], off
	s_mov_b32 s27, 0
	s_wait_loadcnt 0x0
	v_trunc_f64_e32 v[4:5], v[4:5]
	s_delay_alu instid0(VALU_DEP_1) | instskip(NEXT) | instid1(VALU_DEP_1)
	v_ldexp_f64 v[10:11], v[4:5], 0xffffffe0
	v_floor_f64_e32 v[10:11], v[10:11]
	s_delay_alu instid0(VALU_DEP_1) | instskip(SKIP_1) | instid1(VALU_DEP_2)
	v_fmamk_f64 v[12:13], v[10:11], 0xc1f00000, v[4:5]
	v_cvt_i32_f64_e32 v5, v[10:11]
	v_cvt_u32_f64_e32 v4, v[12:13]
	s_branch .LBB55_512
.LBB55_510:
	s_mov_b32 s27, -1
                                        ; implicit-def: $vgpr4_vgpr5
	s_branch .LBB55_515
.LBB55_511:
	s_mov_b32 s27, -1
                                        ; implicit-def: $vgpr4_vgpr5
.LBB55_512:
	s_delay_alu instid0(SALU_CYCLE_1)
	s_and_not1_b32 vcc_lo, exec_lo, s27
	s_cbranch_vccnz .LBB55_514
; %bb.513:
	global_load_b32 v1, v[8:9], off
	s_wait_loadcnt 0x0
	v_trunc_f32_e32 v1, v1
	s_delay_alu instid0(VALU_DEP_1) | instskip(SKIP_1) | instid1(VALU_DEP_2)
	v_mul_f32_e64 v3, 0x2f800000, |v1|
	v_ashrrev_i32_e32 v4, 31, v1
	v_floor_f32_e32 v3, v3
	s_delay_alu instid0(VALU_DEP_1) | instskip(SKIP_1) | instid1(VALU_DEP_2)
	v_fma_f32 v5, 0xcf800000, v3, |v1|
	v_cvt_u32_f32_e32 v1, v3
	v_cvt_u32_f32_e32 v3, v5
	s_delay_alu instid0(VALU_DEP_2) | instskip(NEXT) | instid1(VALU_DEP_2)
	v_dual_mov_b32 v5, v4 :: v_dual_bitop2_b32 v11, v1, v4 bitop3:0x14
	v_xor_b32_e32 v10, v3, v4
	s_delay_alu instid0(VALU_DEP_1)
	v_sub_nc_u64_e32 v[4:5], v[10:11], v[4:5]
.LBB55_514:
	s_mov_b32 s27, 0
.LBB55_515:
	s_delay_alu instid0(SALU_CYCLE_1)
	s_and_not1_b32 vcc_lo, exec_lo, s27
	s_cbranch_vccnz .LBB55_517
; %bb.516:
	global_load_u16 v1, v[8:9], off
	s_wait_loadcnt 0x0
	v_cvt_f32_f16_e32 v1, v1
	s_delay_alu instid0(VALU_DEP_1) | instskip(NEXT) | instid1(VALU_DEP_1)
	v_cvt_i32_f32_e32 v4, v1
	v_ashrrev_i32_e32 v5, 31, v4
.LBB55_517:
	s_mov_b32 s27, 0
.LBB55_518:
	s_delay_alu instid0(SALU_CYCLE_1)
	s_and_not1_b32 vcc_lo, exec_lo, s27
	s_cbranch_vccnz .LBB55_538
; %bb.519:
	s_cmp_lt_i32 s0, 2
	s_cbranch_scc1 .LBB55_523
; %bb.520:
	s_cmp_lt_i32 s0, 3
	s_cbranch_scc1 .LBB55_524
; %bb.521:
	s_cmp_gt_i32 s0, 3
	s_cbranch_scc0 .LBB55_525
; %bb.522:
	s_wait_loadcnt 0x0
	global_load_b64 v[4:5], v[8:9], off
	s_mov_b32 s27, 0
	s_branch .LBB55_526
.LBB55_523:
	s_mov_b32 s27, -1
                                        ; implicit-def: $vgpr4_vgpr5
	s_branch .LBB55_532
.LBB55_524:
	s_mov_b32 s27, -1
                                        ; implicit-def: $vgpr4_vgpr5
	s_branch .LBB55_529
.LBB55_525:
	s_mov_b32 s27, -1
                                        ; implicit-def: $vgpr4_vgpr5
.LBB55_526:
	s_delay_alu instid0(SALU_CYCLE_1)
	s_and_not1_b32 vcc_lo, exec_lo, s27
	s_cbranch_vccnz .LBB55_528
; %bb.527:
	s_wait_loadcnt 0x0
	global_load_b32 v4, v[8:9], off
	s_wait_loadcnt 0x0
	v_ashrrev_i32_e32 v5, 31, v4
.LBB55_528:
	s_mov_b32 s27, 0
.LBB55_529:
	s_delay_alu instid0(SALU_CYCLE_1)
	s_and_not1_b32 vcc_lo, exec_lo, s27
	s_cbranch_vccnz .LBB55_531
; %bb.530:
	global_load_u16 v1, v[8:9], off
	s_wait_loadcnt 0x0
	v_bfe_i32 v4, v1, 0, 16
	s_delay_alu instid0(VALU_DEP_1)
	v_ashrrev_i32_e32 v5, 31, v4
.LBB55_531:
	s_mov_b32 s27, 0
.LBB55_532:
	s_delay_alu instid0(SALU_CYCLE_1)
	s_and_not1_b32 vcc_lo, exec_lo, s27
	s_cbranch_vccnz .LBB55_538
; %bb.533:
	s_cmp_gt_i32 s0, 0
	s_mov_b32 s0, 0
	s_cbranch_scc0 .LBB55_535
; %bb.534:
	global_load_i8 v1, v[8:9], off
	s_wait_loadcnt 0x0
	v_bfe_i32 v4, v1, 0, 16
	s_delay_alu instid0(VALU_DEP_1)
	v_ashrrev_i32_e32 v5, 31, v4
	s_branch .LBB55_536
.LBB55_535:
	s_mov_b32 s0, -1
                                        ; implicit-def: $vgpr4_vgpr5
.LBB55_536:
	s_delay_alu instid0(SALU_CYCLE_1)
	s_and_not1_b32 vcc_lo, exec_lo, s0
	s_cbranch_vccnz .LBB55_538
; %bb.537:
	global_load_u8 v1, v[8:9], off
	s_mov_b32 s0, 0
	s_wait_loadcnt 0x1
	v_mov_b32_e32 v5, s0
	s_wait_loadcnt 0x0
	v_and_b32_e32 v4, 0xffff, v1
.LBB55_538:
	s_branch .LBB55_410
.LBB55_539:
	s_mov_b32 s47, 0
	s_mov_b32 s0, s39
	;; [unrolled: 1-line block ×3, first 2 shown]
	s_branch .LBB55_779
.LBB55_540:
	s_and_not1_saveexec_b32 s45, s45
	s_cbranch_execz .LBB55_200
.LBB55_541:
	v_add_f32_e32 v1, 0x42800000, v4
	s_and_not1_b32 s44, s44, exec_lo
	s_delay_alu instid0(VALU_DEP_1) | instskip(NEXT) | instid1(VALU_DEP_1)
	v_and_b32_e32 v1, 0xff, v1
	v_cmp_ne_u32_e32 vcc_lo, 0, v1
	s_and_b32 s46, vcc_lo, exec_lo
	s_delay_alu instid0(SALU_CYCLE_1)
	s_or_b32 s44, s44, s46
	s_or_b32 exec_lo, exec_lo, s45
	v_mov_b32_e32 v5, 0
	s_and_saveexec_b32 s45, s44
	s_cbranch_execnz .LBB55_201
	s_branch .LBB55_202
.LBB55_542:
	s_mov_b32 s27, -1
	s_mov_b32 s44, 0
.LBB55_543:
                                        ; implicit-def: $vgpr8_vgpr9
.LBB55_544:
	s_and_b32 vcc_lo, exec_lo, s45
	s_cbranch_vccz .LBB55_548
; %bb.545:
	s_cmp_eq_u32 s43, 44
	s_cbranch_scc0 .LBB55_547
; %bb.546:
	global_load_u8 v1, v[6:7], off
	s_mov_b32 s27, 0
	s_mov_b32 s44, -1
	s_wait_loadcnt 0x0
	v_lshlrev_b32_e32 v3, 23, v1
	v_cmp_ne_u32_e32 vcc_lo, 0, v1
	s_delay_alu instid0(VALU_DEP_2) | instskip(SKIP_1) | instid1(VALU_DEP_1)
	v_trunc_f32_e32 v3, v3
	s_wait_xcnt 0x1
	v_mul_f32_e64 v8, 0x2f800000, |v3|
	s_delay_alu instid0(VALU_DEP_1) | instskip(SKIP_1) | instid1(VALU_DEP_2)
	v_floor_f32_e32 v9, v8
	v_ashrrev_i32_e32 v8, 31, v3
	v_fma_f32 v10, 0xcf800000, v9, |v3|
	v_cvt_u32_f32_e32 v3, v9
	s_delay_alu instid0(VALU_DEP_3) | instskip(NEXT) | instid1(VALU_DEP_3)
	v_mov_b32_e32 v9, v8
	v_cvt_u32_f32_e32 v10, v10
	s_delay_alu instid0(VALU_DEP_3) | instskip(NEXT) | instid1(VALU_DEP_2)
	v_xor_b32_e32 v11, v3, v8
	v_xor_b32_e32 v10, v10, v8
	s_delay_alu instid0(VALU_DEP_1) | instskip(NEXT) | instid1(VALU_DEP_1)
	v_sub_nc_u64_e32 v[8:9], v[10:11], v[8:9]
	v_dual_cndmask_b32 v9, 0, v9 :: v_dual_cndmask_b32 v8, 0, v8
	s_branch .LBB55_548
.LBB55_547:
	s_mov_b32 s27, -1
                                        ; implicit-def: $vgpr8_vgpr9
.LBB55_548:
	s_mov_b32 s45, 0
.LBB55_549:
	s_delay_alu instid0(SALU_CYCLE_1)
	s_and_b32 vcc_lo, exec_lo, s45
	s_cbranch_vccz .LBB55_553
; %bb.550:
	s_cmp_eq_u32 s43, 29
	s_cbranch_scc0 .LBB55_552
; %bb.551:
	global_load_b64 v[8:9], v[6:7], off
	s_mov_b32 s44, -1
	s_mov_b32 s27, 0
	s_branch .LBB55_553
.LBB55_552:
	s_mov_b32 s27, -1
                                        ; implicit-def: $vgpr8_vgpr9
.LBB55_553:
	s_mov_b32 s45, 0
.LBB55_554:
	s_delay_alu instid0(SALU_CYCLE_1)
	s_and_b32 vcc_lo, exec_lo, s45
	s_cbranch_vccz .LBB55_570
; %bb.555:
	s_cmp_lt_i32 s43, 27
	s_cbranch_scc1 .LBB55_558
; %bb.556:
	s_cmp_gt_i32 s43, 27
	s_cbranch_scc0 .LBB55_559
; %bb.557:
	s_wait_loadcnt 0x0
	global_load_b32 v8, v[6:7], off
	v_mov_b32_e32 v9, 0
	s_mov_b32 s44, 0
	s_branch .LBB55_560
.LBB55_558:
	s_mov_b32 s44, -1
                                        ; implicit-def: $vgpr8_vgpr9
	s_branch .LBB55_563
.LBB55_559:
	s_mov_b32 s44, -1
                                        ; implicit-def: $vgpr8_vgpr9
.LBB55_560:
	s_delay_alu instid0(SALU_CYCLE_1)
	s_and_not1_b32 vcc_lo, exec_lo, s44
	s_cbranch_vccnz .LBB55_562
; %bb.561:
	global_load_u16 v1, v[6:7], off
	s_mov_b32 s44, 0
	s_wait_loadcnt 0x1
	s_wait_xcnt 0x1
	v_mov_b32_e32 v9, s44
	s_wait_loadcnt 0x0
	v_and_b32_e32 v8, 0xffff, v1
.LBB55_562:
	s_mov_b32 s44, 0
.LBB55_563:
	s_delay_alu instid0(SALU_CYCLE_1)
	s_and_not1_b32 vcc_lo, exec_lo, s44
	s_cbranch_vccnz .LBB55_569
; %bb.564:
	global_load_u8 v1, v[6:7], off
	s_mov_b32 s45, 0
	s_mov_b32 s44, exec_lo
	s_wait_loadcnt 0x0
	v_cmpx_lt_i16_e32 0x7f, v1
	s_xor_b32 s44, exec_lo, s44
	s_cbranch_execz .LBB55_581
; %bb.565:
	v_cmp_ne_u16_e32 vcc_lo, 0x80, v1
	s_and_b32 s45, vcc_lo, exec_lo
	s_and_not1_saveexec_b32 s44, s44
	s_cbranch_execnz .LBB55_582
.LBB55_566:
	s_or_b32 exec_lo, exec_lo, s44
	v_mov_b64_e32 v[8:9], 0
	s_and_saveexec_b32 s44, s45
	s_cbranch_execz .LBB55_568
.LBB55_567:
	v_and_b32_e32 v3, 0xffff, v1
	s_delay_alu instid0(VALU_DEP_1) | instskip(SKIP_1) | instid1(VALU_DEP_2)
	v_and_b32_e32 v8, 7, v3
	v_bfe_u32 v11, v3, 3, 4
	v_clz_i32_u32_e32 v9, v8
	s_delay_alu instid0(VALU_DEP_2) | instskip(NEXT) | instid1(VALU_DEP_2)
	v_cmp_eq_u32_e32 vcc_lo, 0, v11
	v_min_u32_e32 v9, 32, v9
	s_delay_alu instid0(VALU_DEP_1) | instskip(NEXT) | instid1(VALU_DEP_1)
	v_subrev_nc_u32_e32 v10, 28, v9
	v_dual_lshlrev_b32 v3, v10, v3 :: v_dual_sub_nc_u32 v9, 29, v9
	s_delay_alu instid0(VALU_DEP_1) | instskip(NEXT) | instid1(VALU_DEP_1)
	v_dual_lshlrev_b32 v1, 24, v1 :: v_dual_bitop2_b32 v3, 7, v3 bitop3:0x40
	v_dual_cndmask_b32 v3, v8, v3, vcc_lo :: v_dual_cndmask_b32 v9, v11, v9, vcc_lo
	s_delay_alu instid0(VALU_DEP_2) | instskip(NEXT) | instid1(VALU_DEP_2)
	v_and_b32_e32 v1, 0x80000000, v1
	v_lshlrev_b32_e32 v3, 20, v3
	s_delay_alu instid0(VALU_DEP_3) | instskip(NEXT) | instid1(VALU_DEP_1)
	v_lshl_add_u32 v8, v9, 23, 0x3b800000
	v_or3_b32 v1, v1, v8, v3
	s_delay_alu instid0(VALU_DEP_1) | instskip(NEXT) | instid1(VALU_DEP_1)
	v_trunc_f32_e32 v1, v1
	v_mul_f32_e64 v3, 0x2f800000, |v1|
	v_ashrrev_i32_e32 v8, 31, v1
	s_delay_alu instid0(VALU_DEP_2) | instskip(NEXT) | instid1(VALU_DEP_1)
	v_floor_f32_e32 v3, v3
	v_fma_f32 v9, 0xcf800000, v3, |v1|
	v_cvt_u32_f32_e32 v1, v3
	s_delay_alu instid0(VALU_DEP_2) | instskip(NEXT) | instid1(VALU_DEP_2)
	v_cvt_u32_f32_e32 v3, v9
	v_dual_mov_b32 v9, v8 :: v_dual_bitop2_b32 v11, v1, v8 bitop3:0x14
	s_delay_alu instid0(VALU_DEP_2) | instskip(NEXT) | instid1(VALU_DEP_1)
	v_xor_b32_e32 v10, v3, v8
	v_sub_nc_u64_e32 v[8:9], v[10:11], v[8:9]
.LBB55_568:
	s_or_b32 exec_lo, exec_lo, s44
.LBB55_569:
	s_mov_b32 s44, -1
.LBB55_570:
	s_mov_b32 s45, 0
.LBB55_571:
	s_delay_alu instid0(SALU_CYCLE_1)
	s_and_b32 vcc_lo, exec_lo, s45
	s_cbranch_vccz .LBB55_604
; %bb.572:
	s_cmp_gt_i32 s43, 22
	s_cbranch_scc0 .LBB55_580
; %bb.573:
	s_cmp_lt_i32 s43, 24
	s_cbranch_scc1 .LBB55_583
; %bb.574:
	s_cmp_gt_i32 s43, 24
	s_cbranch_scc0 .LBB55_584
; %bb.575:
	global_load_u8 v1, v[6:7], off
	s_mov_b32 s45, 0
	s_mov_b32 s44, exec_lo
	s_wait_loadcnt 0x0
	v_cmpx_lt_i16_e32 0x7f, v1
	s_xor_b32 s44, exec_lo, s44
	s_cbranch_execz .LBB55_596
; %bb.576:
	v_cmp_ne_u16_e32 vcc_lo, 0x80, v1
	s_and_b32 s45, vcc_lo, exec_lo
	s_and_not1_saveexec_b32 s44, s44
	s_cbranch_execnz .LBB55_597
.LBB55_577:
	s_or_b32 exec_lo, exec_lo, s44
	v_mov_b64_e32 v[8:9], 0
	s_and_saveexec_b32 s44, s45
	s_cbranch_execz .LBB55_579
.LBB55_578:
	v_and_b32_e32 v3, 0xffff, v1
	s_delay_alu instid0(VALU_DEP_1) | instskip(SKIP_1) | instid1(VALU_DEP_2)
	v_and_b32_e32 v8, 3, v3
	v_bfe_u32 v11, v3, 2, 5
	v_clz_i32_u32_e32 v9, v8
	s_delay_alu instid0(VALU_DEP_2) | instskip(NEXT) | instid1(VALU_DEP_2)
	v_cmp_eq_u32_e32 vcc_lo, 0, v11
	v_min_u32_e32 v9, 32, v9
	s_delay_alu instid0(VALU_DEP_1) | instskip(NEXT) | instid1(VALU_DEP_1)
	v_subrev_nc_u32_e32 v10, 29, v9
	v_dual_lshlrev_b32 v3, v10, v3 :: v_dual_sub_nc_u32 v9, 30, v9
	s_delay_alu instid0(VALU_DEP_1) | instskip(NEXT) | instid1(VALU_DEP_1)
	v_dual_lshlrev_b32 v1, 24, v1 :: v_dual_bitop2_b32 v3, 3, v3 bitop3:0x40
	v_dual_cndmask_b32 v3, v8, v3, vcc_lo :: v_dual_cndmask_b32 v9, v11, v9, vcc_lo
	s_delay_alu instid0(VALU_DEP_2) | instskip(NEXT) | instid1(VALU_DEP_2)
	v_and_b32_e32 v1, 0x80000000, v1
	v_lshlrev_b32_e32 v3, 21, v3
	s_delay_alu instid0(VALU_DEP_3) | instskip(NEXT) | instid1(VALU_DEP_1)
	v_lshl_add_u32 v8, v9, 23, 0x37800000
	v_or3_b32 v1, v1, v8, v3
	s_delay_alu instid0(VALU_DEP_1) | instskip(NEXT) | instid1(VALU_DEP_1)
	v_trunc_f32_e32 v1, v1
	v_mul_f32_e64 v3, 0x2f800000, |v1|
	v_ashrrev_i32_e32 v8, 31, v1
	s_delay_alu instid0(VALU_DEP_2) | instskip(NEXT) | instid1(VALU_DEP_1)
	v_floor_f32_e32 v3, v3
	v_fma_f32 v9, 0xcf800000, v3, |v1|
	v_cvt_u32_f32_e32 v1, v3
	s_delay_alu instid0(VALU_DEP_2) | instskip(NEXT) | instid1(VALU_DEP_2)
	v_cvt_u32_f32_e32 v3, v9
	v_dual_mov_b32 v9, v8 :: v_dual_bitop2_b32 v11, v1, v8 bitop3:0x14
	s_delay_alu instid0(VALU_DEP_2) | instskip(NEXT) | instid1(VALU_DEP_1)
	v_xor_b32_e32 v10, v3, v8
	v_sub_nc_u64_e32 v[8:9], v[10:11], v[8:9]
.LBB55_579:
	s_or_b32 exec_lo, exec_lo, s44
	s_mov_b32 s44, 0
	s_branch .LBB55_585
.LBB55_580:
	s_mov_b32 s45, -1
                                        ; implicit-def: $vgpr8_vgpr9
	s_branch .LBB55_591
.LBB55_581:
	s_and_not1_saveexec_b32 s44, s44
	s_cbranch_execz .LBB55_566
.LBB55_582:
	v_cmp_ne_u16_e32 vcc_lo, 0, v1
	s_and_not1_b32 s45, s45, exec_lo
	s_and_b32 s47, vcc_lo, exec_lo
	s_delay_alu instid0(SALU_CYCLE_1)
	s_or_b32 s45, s45, s47
	s_or_b32 exec_lo, exec_lo, s44
	v_mov_b64_e32 v[8:9], 0
	s_and_saveexec_b32 s44, s45
	s_cbranch_execnz .LBB55_567
	s_branch .LBB55_568
.LBB55_583:
	s_mov_b32 s44, -1
                                        ; implicit-def: $vgpr8_vgpr9
	s_branch .LBB55_588
.LBB55_584:
	s_mov_b32 s44, -1
                                        ; implicit-def: $vgpr8_vgpr9
.LBB55_585:
	s_delay_alu instid0(SALU_CYCLE_1)
	s_and_b32 vcc_lo, exec_lo, s44
	s_cbranch_vccz .LBB55_587
; %bb.586:
	global_load_u8 v1, v[6:7], off
	s_wait_loadcnt 0x0
	v_lshlrev_b32_e32 v1, 24, v1
	s_delay_alu instid0(VALU_DEP_1) | instskip(SKIP_1) | instid1(VALU_DEP_1)
	v_and_b32_e32 v3, 0x7f000000, v1
	s_wait_xcnt 0x1
	v_clz_i32_u32_e32 v8, v3
	v_cmp_ne_u32_e32 vcc_lo, 0, v3
	v_add_nc_u32_e32 v10, 0x1000000, v3
	s_delay_alu instid0(VALU_DEP_3) | instskip(NEXT) | instid1(VALU_DEP_1)
	v_min_u32_e32 v8, 32, v8
	v_sub_nc_u32_e64 v8, v8, 4 clamp
	s_delay_alu instid0(VALU_DEP_1) | instskip(NEXT) | instid1(VALU_DEP_1)
	v_dual_lshlrev_b32 v9, v8, v3 :: v_dual_lshlrev_b32 v8, 23, v8
	v_lshrrev_b32_e32 v9, 4, v9
	s_delay_alu instid0(VALU_DEP_1) | instskip(NEXT) | instid1(VALU_DEP_1)
	v_dual_sub_nc_u32 v8, v9, v8 :: v_dual_ashrrev_i32 v9, 8, v10
	v_add_nc_u32_e32 v8, 0x3c000000, v8
	s_delay_alu instid0(VALU_DEP_1) | instskip(NEXT) | instid1(VALU_DEP_1)
	v_and_or_b32 v8, 0x7f800000, v9, v8
	v_cndmask_b32_e32 v3, 0, v8, vcc_lo
	s_delay_alu instid0(VALU_DEP_1) | instskip(NEXT) | instid1(VALU_DEP_1)
	v_and_or_b32 v1, 0x80000000, v1, v3
	v_trunc_f32_e32 v1, v1
	s_delay_alu instid0(VALU_DEP_1) | instskip(SKIP_1) | instid1(VALU_DEP_2)
	v_mul_f32_e64 v3, 0x2f800000, |v1|
	v_ashrrev_i32_e32 v8, 31, v1
	v_floor_f32_e32 v3, v3
	s_delay_alu instid0(VALU_DEP_1) | instskip(SKIP_1) | instid1(VALU_DEP_2)
	v_fma_f32 v9, 0xcf800000, v3, |v1|
	v_cvt_u32_f32_e32 v1, v3
	v_cvt_u32_f32_e32 v3, v9
	s_delay_alu instid0(VALU_DEP_2) | instskip(NEXT) | instid1(VALU_DEP_2)
	v_dual_mov_b32 v9, v8 :: v_dual_bitop2_b32 v11, v1, v8 bitop3:0x14
	v_xor_b32_e32 v10, v3, v8
	s_delay_alu instid0(VALU_DEP_1)
	v_sub_nc_u64_e32 v[8:9], v[10:11], v[8:9]
.LBB55_587:
	s_mov_b32 s44, 0
.LBB55_588:
	s_delay_alu instid0(SALU_CYCLE_1)
	s_and_not1_b32 vcc_lo, exec_lo, s44
	s_cbranch_vccnz .LBB55_590
; %bb.589:
	global_load_u8 v1, v[6:7], off
	s_wait_loadcnt 0x0
	v_lshlrev_b32_e32 v3, 25, v1
	v_lshlrev_b16 v1, 8, v1
	s_wait_xcnt 0x1
	s_delay_alu instid0(VALU_DEP_1) | instskip(NEXT) | instid1(VALU_DEP_3)
	v_and_or_b32 v9, 0x7f00, v1, 0.5
	v_lshrrev_b32_e32 v8, 4, v3
	v_bfe_i32 v1, v1, 0, 16
	s_delay_alu instid0(VALU_DEP_3) | instskip(NEXT) | instid1(VALU_DEP_3)
	v_add_f32_e32 v9, -0.5, v9
	v_or_b32_e32 v8, 0x70000000, v8
	s_delay_alu instid0(VALU_DEP_1) | instskip(SKIP_1) | instid1(VALU_DEP_2)
	v_mul_f32_e32 v8, 0x7800000, v8
	v_cmp_gt_u32_e32 vcc_lo, 0x8000000, v3
	v_cndmask_b32_e32 v3, v8, v9, vcc_lo
	s_delay_alu instid0(VALU_DEP_1) | instskip(NEXT) | instid1(VALU_DEP_1)
	v_and_or_b32 v1, 0x80000000, v1, v3
	v_trunc_f32_e32 v1, v1
	s_delay_alu instid0(VALU_DEP_1) | instskip(SKIP_1) | instid1(VALU_DEP_2)
	v_mul_f32_e64 v3, 0x2f800000, |v1|
	v_ashrrev_i32_e32 v8, 31, v1
	v_floor_f32_e32 v3, v3
	s_delay_alu instid0(VALU_DEP_1) | instskip(SKIP_1) | instid1(VALU_DEP_2)
	v_fma_f32 v9, 0xcf800000, v3, |v1|
	v_cvt_u32_f32_e32 v1, v3
	v_cvt_u32_f32_e32 v3, v9
	s_delay_alu instid0(VALU_DEP_2) | instskip(NEXT) | instid1(VALU_DEP_2)
	v_dual_mov_b32 v9, v8 :: v_dual_bitop2_b32 v11, v1, v8 bitop3:0x14
	v_xor_b32_e32 v10, v3, v8
	s_delay_alu instid0(VALU_DEP_1)
	v_sub_nc_u64_e32 v[8:9], v[10:11], v[8:9]
.LBB55_590:
	s_mov_b32 s45, 0
	s_mov_b32 s44, -1
.LBB55_591:
	s_and_not1_b32 vcc_lo, exec_lo, s45
	s_cbranch_vccnz .LBB55_604
; %bb.592:
	s_cmp_gt_i32 s43, 14
	s_cbranch_scc0 .LBB55_595
; %bb.593:
	s_cmp_eq_u32 s43, 15
	s_cbranch_scc0 .LBB55_598
; %bb.594:
	global_load_u16 v1, v[6:7], off
	s_mov_b32 s44, -1
	s_mov_b32 s27, 0
	s_wait_loadcnt 0x0
	v_lshlrev_b32_e32 v1, 16, v1
	s_delay_alu instid0(VALU_DEP_1) | instskip(NEXT) | instid1(VALU_DEP_1)
	v_trunc_f32_e32 v1, v1
	v_mul_f32_e64 v3, 0x2f800000, |v1|
	s_wait_xcnt 0x1
	v_ashrrev_i32_e32 v8, 31, v1
	s_delay_alu instid0(VALU_DEP_2) | instskip(NEXT) | instid1(VALU_DEP_1)
	v_floor_f32_e32 v3, v3
	v_fma_f32 v9, 0xcf800000, v3, |v1|
	v_cvt_u32_f32_e32 v1, v3
	s_delay_alu instid0(VALU_DEP_2) | instskip(NEXT) | instid1(VALU_DEP_2)
	v_cvt_u32_f32_e32 v3, v9
	v_dual_mov_b32 v9, v8 :: v_dual_bitop2_b32 v11, v1, v8 bitop3:0x14
	s_delay_alu instid0(VALU_DEP_2) | instskip(NEXT) | instid1(VALU_DEP_1)
	v_xor_b32_e32 v10, v3, v8
	v_sub_nc_u64_e32 v[8:9], v[10:11], v[8:9]
	s_branch .LBB55_599
.LBB55_595:
	s_mov_b32 s45, -1
                                        ; implicit-def: $vgpr8_vgpr9
	s_branch .LBB55_600
.LBB55_596:
	s_and_not1_saveexec_b32 s44, s44
	s_cbranch_execz .LBB55_577
.LBB55_597:
	v_cmp_ne_u16_e32 vcc_lo, 0, v1
	s_and_not1_b32 s45, s45, exec_lo
	s_and_b32 s47, vcc_lo, exec_lo
	s_delay_alu instid0(SALU_CYCLE_1)
	s_or_b32 s45, s45, s47
	s_or_b32 exec_lo, exec_lo, s44
	v_mov_b64_e32 v[8:9], 0
	s_and_saveexec_b32 s44, s45
	s_cbranch_execnz .LBB55_578
	s_branch .LBB55_579
.LBB55_598:
	s_mov_b32 s27, -1
                                        ; implicit-def: $vgpr8_vgpr9
.LBB55_599:
	s_mov_b32 s45, 0
.LBB55_600:
	s_delay_alu instid0(SALU_CYCLE_1)
	s_and_b32 vcc_lo, exec_lo, s45
	s_cbranch_vccz .LBB55_604
; %bb.601:
	s_cmp_eq_u32 s43, 11
	s_cbranch_scc0 .LBB55_603
; %bb.602:
	global_load_u8 v1, v[6:7], off
	s_mov_b32 s27, 0
	s_mov_b32 s44, -1
	s_wait_loadcnt 0x1
	s_wait_xcnt 0x1
	v_mov_b32_e32 v9, s27
	s_wait_loadcnt 0x0
	v_cmp_ne_u16_e32 vcc_lo, 0, v1
	v_cndmask_b32_e64 v8, 0, 1, vcc_lo
	s_branch .LBB55_604
.LBB55_603:
	s_mov_b32 s27, -1
                                        ; implicit-def: $vgpr8_vgpr9
.LBB55_604:
	s_mov_b32 s43, 0
.LBB55_605:
	s_delay_alu instid0(SALU_CYCLE_1)
	s_and_b32 vcc_lo, exec_lo, s43
	s_cbranch_vccz .LBB55_654
; %bb.606:
	s_and_b32 s0, 0xffff, s0
	s_delay_alu instid0(SALU_CYCLE_1)
	s_cmp_lt_i32 s0, 5
	s_cbranch_scc1 .LBB55_611
; %bb.607:
	s_cmp_lt_i32 s0, 8
	s_cbranch_scc1 .LBB55_612
; %bb.608:
	;; [unrolled: 3-line block ×3, first 2 shown]
	s_cmp_gt_i32 s0, 9
	s_cbranch_scc0 .LBB55_614
; %bb.610:
	s_wait_loadcnt 0x0
	global_load_b64 v[8:9], v[6:7], off
	s_mov_b32 s43, 0
	s_wait_loadcnt 0x0
	v_trunc_f64_e32 v[8:9], v[8:9]
	s_delay_alu instid0(VALU_DEP_1) | instskip(NEXT) | instid1(VALU_DEP_1)
	v_ldexp_f64 v[10:11], v[8:9], 0xffffffe0
	v_floor_f64_e32 v[10:11], v[10:11]
	s_delay_alu instid0(VALU_DEP_1) | instskip(SKIP_1) | instid1(VALU_DEP_2)
	v_fmamk_f64 v[12:13], v[10:11], 0xc1f00000, v[8:9]
	v_cvt_i32_f64_e32 v9, v[10:11]
	v_cvt_u32_f64_e32 v8, v[12:13]
	s_branch .LBB55_615
.LBB55_611:
	s_mov_b32 s43, -1
                                        ; implicit-def: $vgpr8_vgpr9
	s_branch .LBB55_633
.LBB55_612:
	s_mov_b32 s43, -1
                                        ; implicit-def: $vgpr8_vgpr9
	s_branch .LBB55_621
.LBB55_613:
	s_mov_b32 s43, -1
                                        ; implicit-def: $vgpr8_vgpr9
	s_branch .LBB55_618
.LBB55_614:
	s_mov_b32 s43, -1
                                        ; implicit-def: $vgpr8_vgpr9
.LBB55_615:
	s_delay_alu instid0(SALU_CYCLE_1)
	s_and_not1_b32 vcc_lo, exec_lo, s43
	s_cbranch_vccnz .LBB55_617
; %bb.616:
	global_load_b32 v1, v[6:7], off
	s_wait_loadcnt 0x0
	v_trunc_f32_e32 v1, v1
	s_delay_alu instid0(VALU_DEP_1) | instskip(SKIP_2) | instid1(VALU_DEP_2)
	v_mul_f32_e64 v3, 0x2f800000, |v1|
	s_wait_xcnt 0x1
	v_ashrrev_i32_e32 v8, 31, v1
	v_floor_f32_e32 v3, v3
	s_delay_alu instid0(VALU_DEP_1) | instskip(SKIP_1) | instid1(VALU_DEP_2)
	v_fma_f32 v9, 0xcf800000, v3, |v1|
	v_cvt_u32_f32_e32 v1, v3
	v_cvt_u32_f32_e32 v3, v9
	s_delay_alu instid0(VALU_DEP_2) | instskip(NEXT) | instid1(VALU_DEP_2)
	v_dual_mov_b32 v9, v8 :: v_dual_bitop2_b32 v11, v1, v8 bitop3:0x14
	v_xor_b32_e32 v10, v3, v8
	s_delay_alu instid0(VALU_DEP_1)
	v_sub_nc_u64_e32 v[8:9], v[10:11], v[8:9]
.LBB55_617:
	s_mov_b32 s43, 0
.LBB55_618:
	s_delay_alu instid0(SALU_CYCLE_1)
	s_and_not1_b32 vcc_lo, exec_lo, s43
	s_cbranch_vccnz .LBB55_620
; %bb.619:
	global_load_b32 v1, v[6:7], off
	s_wait_loadcnt 0x0
	v_cvt_f32_f16_e32 v1, v1
	s_wait_xcnt 0x1
	s_delay_alu instid0(VALU_DEP_1) | instskip(NEXT) | instid1(VALU_DEP_1)
	v_cvt_i32_f32_e32 v8, v1
	v_ashrrev_i32_e32 v9, 31, v8
.LBB55_620:
	s_mov_b32 s43, 0
.LBB55_621:
	s_delay_alu instid0(SALU_CYCLE_1)
	s_and_not1_b32 vcc_lo, exec_lo, s43
	s_cbranch_vccnz .LBB55_632
; %bb.622:
	s_cmp_lt_i32 s0, 6
	s_cbranch_scc1 .LBB55_625
; %bb.623:
	s_cmp_gt_i32 s0, 6
	s_cbranch_scc0 .LBB55_626
; %bb.624:
	s_wait_loadcnt 0x0
	global_load_b64 v[8:9], v[6:7], off
	s_mov_b32 s43, 0
	s_wait_loadcnt 0x0
	v_trunc_f64_e32 v[8:9], v[8:9]
	s_delay_alu instid0(VALU_DEP_1) | instskip(NEXT) | instid1(VALU_DEP_1)
	v_ldexp_f64 v[10:11], v[8:9], 0xffffffe0
	v_floor_f64_e32 v[10:11], v[10:11]
	s_delay_alu instid0(VALU_DEP_1) | instskip(SKIP_1) | instid1(VALU_DEP_2)
	v_fmamk_f64 v[12:13], v[10:11], 0xc1f00000, v[8:9]
	v_cvt_i32_f64_e32 v9, v[10:11]
	v_cvt_u32_f64_e32 v8, v[12:13]
	s_branch .LBB55_627
.LBB55_625:
	s_mov_b32 s43, -1
                                        ; implicit-def: $vgpr8_vgpr9
	s_branch .LBB55_630
.LBB55_626:
	s_mov_b32 s43, -1
                                        ; implicit-def: $vgpr8_vgpr9
.LBB55_627:
	s_delay_alu instid0(SALU_CYCLE_1)
	s_and_not1_b32 vcc_lo, exec_lo, s43
	s_cbranch_vccnz .LBB55_629
; %bb.628:
	global_load_b32 v1, v[6:7], off
	s_wait_loadcnt 0x0
	v_trunc_f32_e32 v1, v1
	s_delay_alu instid0(VALU_DEP_1) | instskip(SKIP_2) | instid1(VALU_DEP_2)
	v_mul_f32_e64 v3, 0x2f800000, |v1|
	s_wait_xcnt 0x1
	v_ashrrev_i32_e32 v8, 31, v1
	v_floor_f32_e32 v3, v3
	s_delay_alu instid0(VALU_DEP_1) | instskip(SKIP_1) | instid1(VALU_DEP_2)
	v_fma_f32 v9, 0xcf800000, v3, |v1|
	v_cvt_u32_f32_e32 v1, v3
	v_cvt_u32_f32_e32 v3, v9
	s_delay_alu instid0(VALU_DEP_2) | instskip(NEXT) | instid1(VALU_DEP_2)
	v_dual_mov_b32 v9, v8 :: v_dual_bitop2_b32 v11, v1, v8 bitop3:0x14
	v_xor_b32_e32 v10, v3, v8
	s_delay_alu instid0(VALU_DEP_1)
	v_sub_nc_u64_e32 v[8:9], v[10:11], v[8:9]
.LBB55_629:
	s_mov_b32 s43, 0
.LBB55_630:
	s_delay_alu instid0(SALU_CYCLE_1)
	s_and_not1_b32 vcc_lo, exec_lo, s43
	s_cbranch_vccnz .LBB55_632
; %bb.631:
	global_load_u16 v1, v[6:7], off
	s_wait_loadcnt 0x0
	v_cvt_f32_f16_e32 v1, v1
	s_wait_xcnt 0x1
	s_delay_alu instid0(VALU_DEP_1) | instskip(NEXT) | instid1(VALU_DEP_1)
	v_cvt_i32_f32_e32 v8, v1
	v_ashrrev_i32_e32 v9, 31, v8
.LBB55_632:
	s_mov_b32 s43, 0
.LBB55_633:
	s_delay_alu instid0(SALU_CYCLE_1)
	s_and_not1_b32 vcc_lo, exec_lo, s43
	s_cbranch_vccnz .LBB55_653
; %bb.634:
	s_cmp_lt_i32 s0, 2
	s_cbranch_scc1 .LBB55_638
; %bb.635:
	s_cmp_lt_i32 s0, 3
	s_cbranch_scc1 .LBB55_639
; %bb.636:
	s_cmp_gt_i32 s0, 3
	s_cbranch_scc0 .LBB55_640
; %bb.637:
	s_wait_loadcnt 0x0
	global_load_b64 v[8:9], v[6:7], off
	s_mov_b32 s43, 0
	s_branch .LBB55_641
.LBB55_638:
	s_mov_b32 s43, -1
                                        ; implicit-def: $vgpr8_vgpr9
	s_branch .LBB55_647
.LBB55_639:
	s_mov_b32 s43, -1
                                        ; implicit-def: $vgpr8_vgpr9
	s_branch .LBB55_644
.LBB55_640:
	s_mov_b32 s43, -1
                                        ; implicit-def: $vgpr8_vgpr9
.LBB55_641:
	s_delay_alu instid0(SALU_CYCLE_1)
	s_and_not1_b32 vcc_lo, exec_lo, s43
	s_cbranch_vccnz .LBB55_643
; %bb.642:
	s_wait_loadcnt 0x0
	global_load_b32 v8, v[6:7], off
	s_wait_loadcnt 0x0
	v_ashrrev_i32_e32 v9, 31, v8
.LBB55_643:
	s_mov_b32 s43, 0
.LBB55_644:
	s_delay_alu instid0(SALU_CYCLE_1)
	s_and_not1_b32 vcc_lo, exec_lo, s43
	s_cbranch_vccnz .LBB55_646
; %bb.645:
	global_load_u16 v1, v[6:7], off
	s_wait_loadcnt 0x0
	s_wait_xcnt 0x1
	v_bfe_i32 v8, v1, 0, 16
	s_delay_alu instid0(VALU_DEP_1)
	v_ashrrev_i32_e32 v9, 31, v8
.LBB55_646:
	s_mov_b32 s43, 0
.LBB55_647:
	s_delay_alu instid0(SALU_CYCLE_1)
	s_and_not1_b32 vcc_lo, exec_lo, s43
	s_cbranch_vccnz .LBB55_653
; %bb.648:
	s_cmp_gt_i32 s0, 0
	s_mov_b32 s0, 0
	s_cbranch_scc0 .LBB55_650
; %bb.649:
	global_load_i8 v1, v[6:7], off
	s_wait_loadcnt 0x0
	s_wait_xcnt 0x1
	v_bfe_i32 v8, v1, 0, 16
	s_delay_alu instid0(VALU_DEP_1)
	v_ashrrev_i32_e32 v9, 31, v8
	s_branch .LBB55_651
.LBB55_650:
	s_mov_b32 s0, -1
                                        ; implicit-def: $vgpr8_vgpr9
.LBB55_651:
	s_delay_alu instid0(SALU_CYCLE_1)
	s_and_not1_b32 vcc_lo, exec_lo, s0
	s_cbranch_vccnz .LBB55_653
; %bb.652:
	global_load_u8 v1, v[6:7], off
	s_mov_b32 s0, 0
	s_wait_loadcnt 0x1
	s_wait_xcnt 0x1
	v_mov_b32_e32 v9, s0
	s_wait_loadcnt 0x0
	v_and_b32_e32 v8, 0xffff, v1
.LBB55_653:
	s_mov_b32 s44, -1
.LBB55_654:
	s_delay_alu instid0(SALU_CYCLE_1)
	s_and_not1_b32 vcc_lo, exec_lo, s44
	s_cbranch_vccnz .LBB55_662
; %bb.655:
	v_mov_b32_e32 v3, 0
	s_wait_loadcnt 0x0
	s_delay_alu instid0(VALU_DEP_2) | instskip(SKIP_1) | instid1(VALU_DEP_2)
	v_cmp_ne_u64_e32 vcc_lo, v[4:5], v[8:9]
	s_and_b32 s44, s11, 0xff
	v_add_nc_u64_e32 v[2:3], s[4:5], v[2:3]
	s_xor_b32 s43, s10, vcc_lo
	s_cmp_lt_i32 s44, 11
	s_cbranch_scc1 .LBB55_663
; %bb.656:
	s_and_b32 s45, 0xffff, s44
	s_delay_alu instid0(SALU_CYCLE_1)
	s_cmp_gt_i32 s45, 25
	s_cbranch_scc0 .LBB55_664
; %bb.657:
	s_cmp_gt_i32 s45, 28
	s_cbranch_scc0 .LBB55_665
; %bb.658:
	;; [unrolled: 3-line block ×4, first 2 shown]
	s_mov_b32 s48, 0
	s_mov_b32 s0, -1
	s_cmp_eq_u32 s45, 46
	s_mov_b32 s47, 0
	s_cbranch_scc0 .LBB55_668
; %bb.661:
	v_cndmask_b32_e64 v1, 0, 1.0, s43
	s_mov_b32 s47, -1
	s_mov_b32 s0, 0
	s_delay_alu instid0(VALU_DEP_1) | instskip(NEXT) | instid1(VALU_DEP_1)
	v_bfe_u32 v4, v1, 16, 1
	v_add3_u32 v1, v1, v4, 0x7fff
	s_delay_alu instid0(VALU_DEP_1)
	v_lshrrev_b32_e32 v1, 16, v1
	global_store_b32 v[2:3], v1, off
	s_branch .LBB55_668
.LBB55_662:
	s_mov_b32 s47, 0
	s_mov_b32 s0, s39
	s_branch .LBB55_779
.LBB55_663:
	s_mov_b32 s45, -1
	s_mov_b32 s47, 0
	s_mov_b32 s0, s39
	s_branch .LBB55_737
.LBB55_664:
	s_mov_b32 s48, -1
	s_mov_b32 s47, 0
	s_mov_b32 s0, s39
	s_branch .LBB55_695
.LBB55_665:
	s_mov_b32 s48, -1
	s_mov_b32 s47, 0
	s_mov_b32 s0, s39
	s_branch .LBB55_678
.LBB55_666:
	s_mov_b32 s48, -1
	s_mov_b32 s47, 0
	s_mov_b32 s0, s39
	s_branch .LBB55_674
.LBB55_667:
	s_mov_b32 s48, -1
	s_mov_b32 s47, 0
	s_mov_b32 s0, s39
.LBB55_668:
	s_and_b32 vcc_lo, exec_lo, s48
	s_cbranch_vccz .LBB55_673
; %bb.669:
	s_cmp_eq_u32 s45, 44
	s_mov_b32 s0, -1
	s_cbranch_scc0 .LBB55_673
; %bb.670:
	v_cndmask_b32_e64 v5, 0, 1.0, s43
	s_mov_b32 s47, exec_lo
	s_wait_xcnt 0x0
	s_delay_alu instid0(VALU_DEP_1) | instskip(NEXT) | instid1(VALU_DEP_1)
	v_dual_mov_b32 v4, 0xff :: v_dual_lshrrev_b32 v1, 23, v5
	v_cmpx_ne_u32_e32 0xff, v1
; %bb.671:
	v_and_b32_e32 v4, 0x400000, v5
	v_and_or_b32 v5, 0x3fffff, v5, v1
	s_delay_alu instid0(VALU_DEP_2) | instskip(NEXT) | instid1(VALU_DEP_2)
	v_cmp_ne_u32_e32 vcc_lo, 0, v4
	v_cmp_ne_u32_e64 s0, 0, v5
	s_and_b32 s0, vcc_lo, s0
	s_delay_alu instid0(SALU_CYCLE_1) | instskip(NEXT) | instid1(VALU_DEP_1)
	v_cndmask_b32_e64 v4, 0, 1, s0
	v_add_nc_u32_e32 v4, v1, v4
; %bb.672:
	s_or_b32 exec_lo, exec_lo, s47
	s_mov_b32 s47, -1
	s_mov_b32 s0, 0
	global_store_b8 v[2:3], v4, off
.LBB55_673:
	s_mov_b32 s48, 0
.LBB55_674:
	s_delay_alu instid0(SALU_CYCLE_1)
	s_and_b32 vcc_lo, exec_lo, s48
	s_cbranch_vccz .LBB55_677
; %bb.675:
	s_cmp_eq_u32 s45, 29
	s_mov_b32 s0, -1
	s_cbranch_scc0 .LBB55_677
; %bb.676:
	s_mov_b32 s0, 0
	s_wait_xcnt 0x0
	v_cndmask_b32_e64 v4, 0, 1, s43
	v_mov_b32_e32 v5, s0
	s_mov_b32 s47, -1
	s_mov_b32 s48, 0
	global_store_b64 v[2:3], v[4:5], off
	s_branch .LBB55_678
.LBB55_677:
	s_mov_b32 s48, 0
.LBB55_678:
	s_delay_alu instid0(SALU_CYCLE_1)
	s_and_b32 vcc_lo, exec_lo, s48
	s_cbranch_vccz .LBB55_694
; %bb.679:
	s_cmp_lt_i32 s45, 27
	s_mov_b32 s47, -1
	s_cbranch_scc1 .LBB55_685
; %bb.680:
	s_cmp_gt_i32 s45, 27
	s_cbranch_scc0 .LBB55_682
; %bb.681:
	s_wait_xcnt 0x0
	v_cndmask_b32_e64 v1, 0, 1, s43
	s_mov_b32 s47, 0
	global_store_b32 v[2:3], v1, off
.LBB55_682:
	s_and_not1_b32 vcc_lo, exec_lo, s47
	s_cbranch_vccnz .LBB55_684
; %bb.683:
	s_wait_xcnt 0x0
	v_cndmask_b32_e64 v1, 0, 1, s43
	global_store_b16 v[2:3], v1, off
.LBB55_684:
	s_mov_b32 s47, 0
.LBB55_685:
	s_delay_alu instid0(SALU_CYCLE_1)
	s_and_not1_b32 vcc_lo, exec_lo, s47
	s_cbranch_vccnz .LBB55_693
; %bb.686:
	s_wait_xcnt 0x0
	v_cndmask_b32_e64 v4, 0, 1.0, s43
	v_mov_b32_e32 v5, 0x80
	s_mov_b32 s47, exec_lo
	s_delay_alu instid0(VALU_DEP_2)
	v_cmpx_gt_u32_e32 0x43800000, v4
	s_cbranch_execz .LBB55_692
; %bb.687:
	s_mov_b32 s48, 0
	s_mov_b32 s49, exec_lo
                                        ; implicit-def: $vgpr1
	v_cmpx_lt_u32_e32 0x3bffffff, v4
	s_xor_b32 s49, exec_lo, s49
	s_cbranch_execz .LBB55_807
; %bb.688:
	v_bfe_u32 v1, v4, 20, 1
	s_mov_b32 s48, exec_lo
	s_delay_alu instid0(VALU_DEP_1) | instskip(NEXT) | instid1(VALU_DEP_1)
	v_add3_u32 v1, v4, v1, 0x487ffff
                                        ; implicit-def: $vgpr4
	v_lshrrev_b32_e32 v1, 20, v1
	s_and_not1_saveexec_b32 s49, s49
	s_cbranch_execnz .LBB55_808
.LBB55_689:
	s_or_b32 exec_lo, exec_lo, s49
	v_mov_b32_e32 v5, 0
	s_and_saveexec_b32 s49, s48
.LBB55_690:
	v_mov_b32_e32 v5, v1
.LBB55_691:
	s_or_b32 exec_lo, exec_lo, s49
.LBB55_692:
	s_delay_alu instid0(SALU_CYCLE_1)
	s_or_b32 exec_lo, exec_lo, s47
	global_store_b8 v[2:3], v5, off
.LBB55_693:
	s_mov_b32 s47, -1
.LBB55_694:
	s_mov_b32 s48, 0
.LBB55_695:
	s_delay_alu instid0(SALU_CYCLE_1)
	s_and_b32 vcc_lo, exec_lo, s48
	s_cbranch_vccz .LBB55_736
; %bb.696:
	s_cmp_gt_i32 s45, 22
	s_mov_b32 s48, -1
	s_cbranch_scc0 .LBB55_728
; %bb.697:
	s_cmp_lt_i32 s45, 24
	s_mov_b32 s47, -1
	s_cbranch_scc1 .LBB55_717
; %bb.698:
	s_cmp_gt_i32 s45, 24
	s_cbranch_scc0 .LBB55_706
; %bb.699:
	s_wait_xcnt 0x0
	v_cndmask_b32_e64 v4, 0, 1.0, s43
	v_mov_b32_e32 v5, 0x80
	s_mov_b32 s47, exec_lo
	s_delay_alu instid0(VALU_DEP_2)
	v_cmpx_gt_u32_e32 0x47800000, v4
	s_cbranch_execz .LBB55_705
; %bb.700:
	s_mov_b32 s48, 0
	s_mov_b32 s49, exec_lo
                                        ; implicit-def: $vgpr1
	v_cmpx_lt_u32_e32 0x37ffffff, v4
	s_xor_b32 s49, exec_lo, s49
	s_cbranch_execz .LBB55_935
; %bb.701:
	v_bfe_u32 v1, v4, 21, 1
	s_mov_b32 s48, exec_lo
	s_delay_alu instid0(VALU_DEP_1) | instskip(NEXT) | instid1(VALU_DEP_1)
	v_add3_u32 v1, v4, v1, 0x88fffff
                                        ; implicit-def: $vgpr4
	v_lshrrev_b32_e32 v1, 21, v1
	s_and_not1_saveexec_b32 s49, s49
	s_cbranch_execnz .LBB55_936
.LBB55_702:
	s_or_b32 exec_lo, exec_lo, s49
	v_mov_b32_e32 v5, 0
	s_and_saveexec_b32 s49, s48
.LBB55_703:
	v_mov_b32_e32 v5, v1
.LBB55_704:
	s_or_b32 exec_lo, exec_lo, s49
.LBB55_705:
	s_delay_alu instid0(SALU_CYCLE_1)
	s_or_b32 exec_lo, exec_lo, s47
	s_mov_b32 s47, 0
	global_store_b8 v[2:3], v5, off
.LBB55_706:
	s_and_b32 vcc_lo, exec_lo, s47
	s_cbranch_vccz .LBB55_716
; %bb.707:
	s_wait_xcnt 0x0
	v_cndmask_b32_e64 v4, 0, 1.0, s43
	s_mov_b32 s47, exec_lo
                                        ; implicit-def: $vgpr1
	s_delay_alu instid0(VALU_DEP_1)
	v_cmpx_gt_u32_e32 0x43f00000, v4
	s_xor_b32 s47, exec_lo, s47
	s_cbranch_execz .LBB55_713
; %bb.708:
	s_mov_b32 s48, exec_lo
                                        ; implicit-def: $vgpr1
	v_cmpx_lt_u32_e32 0x3c7fffff, v4
	s_xor_b32 s48, exec_lo, s48
; %bb.709:
	v_bfe_u32 v1, v4, 20, 1
	s_delay_alu instid0(VALU_DEP_1) | instskip(NEXT) | instid1(VALU_DEP_1)
	v_add3_u32 v1, v4, v1, 0x407ffff
	v_and_b32_e32 v4, 0xff00000, v1
	v_lshrrev_b32_e32 v1, 20, v1
	s_delay_alu instid0(VALU_DEP_2) | instskip(NEXT) | instid1(VALU_DEP_2)
	v_cmp_ne_u32_e32 vcc_lo, 0x7f00000, v4
                                        ; implicit-def: $vgpr4
	v_cndmask_b32_e32 v1, 0x7e, v1, vcc_lo
; %bb.710:
	s_and_not1_saveexec_b32 s48, s48
; %bb.711:
	v_add_f32_e32 v1, 0x46800000, v4
; %bb.712:
	s_or_b32 exec_lo, exec_lo, s48
                                        ; implicit-def: $vgpr4
.LBB55_713:
	s_and_not1_saveexec_b32 s47, s47
; %bb.714:
	v_mov_b32_e32 v1, 0x7f
	v_cmp_lt_u32_e32 vcc_lo, 0x7f800000, v4
	s_delay_alu instid0(VALU_DEP_2)
	v_cndmask_b32_e32 v1, 0x7e, v1, vcc_lo
; %bb.715:
	s_or_b32 exec_lo, exec_lo, s47
	global_store_b8 v[2:3], v1, off
.LBB55_716:
	s_mov_b32 s47, 0
.LBB55_717:
	s_delay_alu instid0(SALU_CYCLE_1)
	s_and_not1_b32 vcc_lo, exec_lo, s47
	s_cbranch_vccnz .LBB55_727
; %bb.718:
	s_wait_xcnt 0x0
	v_cndmask_b32_e64 v4, 0, 1.0, s43
	s_mov_b32 s47, exec_lo
                                        ; implicit-def: $vgpr1
	s_delay_alu instid0(VALU_DEP_1)
	v_cmpx_gt_u32_e32 0x47800000, v4
	s_xor_b32 s47, exec_lo, s47
	s_cbranch_execz .LBB55_724
; %bb.719:
	s_mov_b32 s48, exec_lo
                                        ; implicit-def: $vgpr1
	v_cmpx_lt_u32_e32 0x387fffff, v4
	s_xor_b32 s48, exec_lo, s48
; %bb.720:
	v_bfe_u32 v1, v4, 21, 1
	s_delay_alu instid0(VALU_DEP_1) | instskip(NEXT) | instid1(VALU_DEP_1)
	v_add3_u32 v1, v4, v1, 0x80fffff
                                        ; implicit-def: $vgpr4
	v_lshrrev_b32_e32 v1, 21, v1
; %bb.721:
	s_and_not1_saveexec_b32 s48, s48
; %bb.722:
	v_add_f32_e32 v1, 0x43000000, v4
; %bb.723:
	s_or_b32 exec_lo, exec_lo, s48
                                        ; implicit-def: $vgpr4
.LBB55_724:
	s_and_not1_saveexec_b32 s47, s47
; %bb.725:
	v_mov_b32_e32 v1, 0x7f
	v_cmp_lt_u32_e32 vcc_lo, 0x7f800000, v4
	s_delay_alu instid0(VALU_DEP_2)
	v_cndmask_b32_e32 v1, 0x7c, v1, vcc_lo
; %bb.726:
	s_or_b32 exec_lo, exec_lo, s47
	global_store_b8 v[2:3], v1, off
.LBB55_727:
	s_mov_b32 s48, 0
	s_mov_b32 s47, -1
.LBB55_728:
	s_and_not1_b32 vcc_lo, exec_lo, s48
	s_cbranch_vccnz .LBB55_736
; %bb.729:
	s_cmp_gt_i32 s45, 14
	s_mov_b32 s48, -1
	s_cbranch_scc0 .LBB55_733
; %bb.730:
	s_cmp_eq_u32 s45, 15
	s_mov_b32 s0, -1
	s_cbranch_scc0 .LBB55_732
; %bb.731:
	s_wait_xcnt 0x0
	v_cndmask_b32_e64 v1, 0, 1.0, s43
	s_mov_b32 s47, -1
	s_mov_b32 s0, 0
	s_delay_alu instid0(VALU_DEP_1) | instskip(NEXT) | instid1(VALU_DEP_1)
	v_bfe_u32 v4, v1, 16, 1
	v_add3_u32 v1, v1, v4, 0x7fff
	global_store_d16_hi_b16 v[2:3], v1, off
.LBB55_732:
	s_mov_b32 s48, 0
.LBB55_733:
	s_delay_alu instid0(SALU_CYCLE_1)
	s_and_b32 vcc_lo, exec_lo, s48
	s_cbranch_vccz .LBB55_736
; %bb.734:
	s_cmp_eq_u32 s45, 11
	s_mov_b32 s0, -1
	s_cbranch_scc0 .LBB55_736
; %bb.735:
	s_wait_xcnt 0x0
	v_cndmask_b32_e64 v1, 0, 1, s43
	s_mov_b32 s47, -1
	s_mov_b32 s0, 0
	global_store_b8 v[2:3], v1, off
.LBB55_736:
	s_mov_b32 s45, 0
.LBB55_737:
	s_delay_alu instid0(SALU_CYCLE_1)
	s_and_b32 vcc_lo, exec_lo, s45
	s_cbranch_vccz .LBB55_776
; %bb.738:
	s_and_b32 s44, 0xffff, s44
	s_mov_b32 s45, -1
	s_cmp_lt_i32 s44, 5
	s_cbranch_scc1 .LBB55_759
; %bb.739:
	s_cmp_lt_i32 s44, 8
	s_cbranch_scc1 .LBB55_749
; %bb.740:
	;; [unrolled: 3-line block ×3, first 2 shown]
	s_cmp_gt_i32 s44, 9
	s_cbranch_scc0 .LBB55_743
; %bb.742:
	s_wait_xcnt 0x0
	v_cndmask_b32_e64 v1, 0, 1, s43
	v_mov_b32_e32 v6, 0
	s_mov_b32 s45, 0
	s_delay_alu instid0(VALU_DEP_2) | instskip(NEXT) | instid1(VALU_DEP_2)
	v_cvt_f64_u32_e32 v[4:5], v1
	v_mov_b32_e32 v7, v6
	global_store_b128 v[2:3], v[4:7], off
.LBB55_743:
	s_and_not1_b32 vcc_lo, exec_lo, s45
	s_cbranch_vccnz .LBB55_745
; %bb.744:
	s_wait_xcnt 0x0
	v_cndmask_b32_e64 v4, 0, 1.0, s43
	v_mov_b32_e32 v5, 0
	global_store_b64 v[2:3], v[4:5], off
.LBB55_745:
	s_mov_b32 s45, 0
.LBB55_746:
	s_delay_alu instid0(SALU_CYCLE_1)
	s_and_not1_b32 vcc_lo, exec_lo, s45
	s_cbranch_vccnz .LBB55_748
; %bb.747:
	s_wait_xcnt 0x0
	v_cndmask_b32_e64 v1, 0, 1.0, s43
	s_delay_alu instid0(VALU_DEP_1) | instskip(NEXT) | instid1(VALU_DEP_1)
	v_cvt_f16_f32_e32 v1, v1
	v_and_b32_e32 v1, 0xffff, v1
	global_store_b32 v[2:3], v1, off
.LBB55_748:
	s_mov_b32 s45, 0
.LBB55_749:
	s_delay_alu instid0(SALU_CYCLE_1)
	s_and_not1_b32 vcc_lo, exec_lo, s45
	s_cbranch_vccnz .LBB55_758
; %bb.750:
	s_cmp_lt_i32 s44, 6
	s_mov_b32 s45, -1
	s_cbranch_scc1 .LBB55_756
; %bb.751:
	s_cmp_gt_i32 s44, 6
	s_cbranch_scc0 .LBB55_753
; %bb.752:
	s_wait_xcnt 0x0
	v_cndmask_b32_e64 v1, 0, 1, s43
	s_mov_b32 s45, 0
	s_delay_alu instid0(VALU_DEP_1)
	v_cvt_f64_u32_e32 v[4:5], v1
	global_store_b64 v[2:3], v[4:5], off
.LBB55_753:
	s_and_not1_b32 vcc_lo, exec_lo, s45
	s_cbranch_vccnz .LBB55_755
; %bb.754:
	s_wait_xcnt 0x0
	v_cndmask_b32_e64 v1, 0, 1.0, s43
	global_store_b32 v[2:3], v1, off
.LBB55_755:
	s_mov_b32 s45, 0
.LBB55_756:
	s_delay_alu instid0(SALU_CYCLE_1)
	s_and_not1_b32 vcc_lo, exec_lo, s45
	s_cbranch_vccnz .LBB55_758
; %bb.757:
	s_wait_xcnt 0x0
	v_cndmask_b32_e64 v1, 0, 1.0, s43
	s_delay_alu instid0(VALU_DEP_1)
	v_cvt_f16_f32_e32 v1, v1
	global_store_b16 v[2:3], v1, off
.LBB55_758:
	s_mov_b32 s45, 0
.LBB55_759:
	s_delay_alu instid0(SALU_CYCLE_1)
	s_and_not1_b32 vcc_lo, exec_lo, s45
	s_cbranch_vccnz .LBB55_775
; %bb.760:
	s_cmp_lt_i32 s44, 2
	s_mov_b32 s45, -1
	s_cbranch_scc1 .LBB55_770
; %bb.761:
	s_cmp_lt_i32 s44, 3
	s_cbranch_scc1 .LBB55_767
; %bb.762:
	s_cmp_gt_i32 s44, 3
	s_cbranch_scc0 .LBB55_764
; %bb.763:
	s_mov_b32 s45, 0
	s_wait_xcnt 0x0
	v_cndmask_b32_e64 v4, 0, 1, s43
	v_mov_b32_e32 v5, s45
	global_store_b64 v[2:3], v[4:5], off
.LBB55_764:
	s_and_not1_b32 vcc_lo, exec_lo, s45
	s_cbranch_vccnz .LBB55_766
; %bb.765:
	s_wait_xcnt 0x0
	v_cndmask_b32_e64 v1, 0, 1, s43
	global_store_b32 v[2:3], v1, off
.LBB55_766:
	s_mov_b32 s45, 0
.LBB55_767:
	s_delay_alu instid0(SALU_CYCLE_1)
	s_and_not1_b32 vcc_lo, exec_lo, s45
	s_cbranch_vccnz .LBB55_769
; %bb.768:
	s_wait_xcnt 0x0
	v_cndmask_b32_e64 v1, 0, 1, s43
	global_store_b16 v[2:3], v1, off
.LBB55_769:
	s_mov_b32 s45, 0
.LBB55_770:
	s_delay_alu instid0(SALU_CYCLE_1)
	s_and_not1_b32 vcc_lo, exec_lo, s45
	s_cbranch_vccnz .LBB55_775
; %bb.771:
	s_wait_xcnt 0x0
	v_cndmask_b32_e64 v1, 0, 1, s43
	s_cmp_gt_i32 s44, 0
	s_mov_b32 s43, -1
	s_cbranch_scc0 .LBB55_773
; %bb.772:
	s_mov_b32 s43, 0
	global_store_b8 v[2:3], v1, off
.LBB55_773:
	s_and_not1_b32 vcc_lo, exec_lo, s43
	s_cbranch_vccnz .LBB55_775
; %bb.774:
	global_store_b8 v[2:3], v1, off
.LBB55_775:
	s_mov_b32 s47, -1
.LBB55_776:
	s_delay_alu instid0(SALU_CYCLE_1)
	s_and_not1_b32 vcc_lo, exec_lo, s47
	s_cbranch_vccnz .LBB55_778
; %bb.777:
	v_add_nc_u32_e32 v0, 0x80, v0
	s_mov_b32 s47, -1
	s_branch .LBB55_780
.LBB55_778:
	s_mov_b32 s47, 0
.LBB55_779:
                                        ; implicit-def: $vgpr0
.LBB55_780:
	s_and_not1_b32 s43, s39, exec_lo
	s_and_b32 s0, s0, exec_lo
	s_and_b32 s27, s27, exec_lo
	s_or_b32 s44, s43, s0
	s_and_not1_b32 s0, s40, exec_lo
	s_and_not1_b32 s43, s41, exec_lo
	s_and_b32 s26, s26, exec_lo
	s_or_b32 s45, s0, s27
	s_or_b32 s43, s43, s26
	s_or_not1_b32 s48, s47, exec_lo
.LBB55_781:
	s_wait_xcnt 0x0
	s_or_b32 exec_lo, exec_lo, s46
	s_mov_b32 s27, 0
	s_mov_b32 s47, 0
	;; [unrolled: 1-line block ×3, first 2 shown]
                                        ; implicit-def: $sgpr0
                                        ; implicit-def: $vgpr8_vgpr9
                                        ; implicit-def: $vgpr6
                                        ; implicit-def: $vgpr2
                                        ; implicit-def: $vgpr4_vgpr5
	s_and_saveexec_b32 s46, s48
	s_cbranch_execz .LBB55_1268
; %bb.782:
	s_mov_b32 s52, -1
	s_mov_b32 s48, s43
	s_mov_b32 s50, s45
	;; [unrolled: 1-line block ×3, first 2 shown]
	s_mov_b32 s47, exec_lo
	v_cmpx_gt_i32_e64 s37, v0
	s_cbranch_execz .LBB55_1176
; %bb.783:
	s_and_not1_b32 vcc_lo, exec_lo, s31
	s_cbranch_vccnz .LBB55_789
; %bb.784:
	s_and_not1_b32 vcc_lo, exec_lo, s38
	s_cbranch_vccnz .LBB55_790
; %bb.785:
	v_dual_mov_b32 v2, 0 :: v_dual_mov_b32 v1, v0
	s_wait_loadcnt 0x0
	v_dual_mov_b32 v4, 0 :: v_dual_mov_b32 v6, 0
	s_add_co_i32 s0, s36, 1
	s_mov_b64 s[26:27], 0xffffffffffffffe8
	s_and_b32 s0, s0, 30
	s_add_nc_u64 s[26:27], s[2:3], s[26:27]
.LBB55_786:                             ; =>This Inner Loop Header: Depth=1
	s_clause 0x1
	s_load_b128 s[48:51], s[26:27], 0x1c
	s_load_b64 s[56:57], s[26:27], 0x2c
	s_add_co_i32 s0, s0, -2
	s_delay_alu instid0(SALU_CYCLE_1) | instskip(SKIP_2) | instid1(VALU_DEP_1)
	s_cmp_eq_u32 s0, 0
	s_wait_kmcnt 0x0
	v_mul_hi_u32 v3, s49, v1
	v_add_nc_u32_e32 v3, v1, v3
	s_delay_alu instid0(VALU_DEP_1) | instskip(NEXT) | instid1(VALU_DEP_1)
	v_lshrrev_b32_e32 v3, s50, v3
	v_mul_hi_u32 v5, s56, v3
	v_mul_lo_u32 v7, v3, s48
	s_clause 0x1
	s_load_b128 s[52:55], s[26:27], 0xdc
	s_load_b64 s[48:49], s[26:27], 0xec
	s_wait_xcnt 0x0
	s_add_nc_u64 s[26:27], s[26:27], 24
	s_delay_alu instid0(VALU_DEP_1) | instskip(NEXT) | instid1(VALU_DEP_1)
	v_dual_add_nc_u32 v5, v3, v5 :: v_dual_sub_nc_u32 v7, v1, v7
	v_lshrrev_b32_e32 v1, s57, v5
	s_wait_kmcnt 0x0
	s_delay_alu instid0(VALU_DEP_2) | instskip(NEXT) | instid1(VALU_DEP_2)
	v_mad_u32 v2, v7, s52, v2
	v_mul_lo_u32 v5, v1, s51
	v_mad_u32 v6, v7, s54, v6
	v_mad_u32 v4, v7, s53, v4
	s_delay_alu instid0(VALU_DEP_3) | instskip(NEXT) | instid1(VALU_DEP_1)
	v_sub_nc_u32_e32 v3, v3, v5
	v_mad_u32 v2, v3, s55, v2
	s_delay_alu instid0(VALU_DEP_4) | instskip(NEXT) | instid1(VALU_DEP_4)
	v_mad_u32 v6, v3, s49, v6
	v_mad_u32 v4, v3, s48, v4
	s_cbranch_scc0 .LBB55_786
; %bb.787:
	s_bitcmp1_b32 s36, 0
	s_cselect_b32 s0, -1, 0
	s_delay_alu instid0(SALU_CYCLE_1)
	s_and_b32 vcc_lo, exec_lo, s0
	s_cbranch_vccnz .LBB55_791
; %bb.788:
	s_clause 0x1
	s_load_b96 s[48:50], s[26:27], 0x1c
	s_load_b96 s[52:54], s[26:27], 0xdc
	s_wait_kmcnt 0x0
	v_mul_hi_u32 v3, s49, v1
	s_delay_alu instid0(VALU_DEP_1) | instskip(NEXT) | instid1(VALU_DEP_1)
	v_add_nc_u32_e32 v3, v1, v3
	v_lshrrev_b32_e32 v3, s50, v3
	s_delay_alu instid0(VALU_DEP_1) | instskip(NEXT) | instid1(VALU_DEP_1)
	v_mul_lo_u32 v3, v3, s48
	v_sub_nc_u32_e32 v1, v1, v3
	s_delay_alu instid0(VALU_DEP_1)
	v_mad_u32 v2, v1, s52, v2
	v_mad_u32 v4, v1, s53, v4
	;; [unrolled: 1-line block ×3, first 2 shown]
	s_branch .LBB55_791
.LBB55_789:
	s_mov_b32 s0, -1
                                        ; implicit-def: $vgpr6
                                        ; implicit-def: $vgpr4
                                        ; implicit-def: $vgpr2
	s_branch .LBB55_792
.LBB55_790:
	s_wait_loadcnt 0x0
	v_dual_mov_b32 v6, 0 :: v_dual_mov_b32 v4, 0
	v_mov_b32_e32 v2, 0
.LBB55_791:
	s_mov_b32 s0, 0
.LBB55_792:
	s_delay_alu instid0(SALU_CYCLE_1)
	s_and_not1_b32 vcc_lo, exec_lo, s0
	s_cbranch_vccnz .LBB55_795
; %bb.793:
	v_mov_b32_e32 v1, 0
	s_and_not1_b32 vcc_lo, exec_lo, s35
	s_delay_alu instid0(VALU_DEP_1) | instskip(NEXT) | instid1(VALU_DEP_1)
	v_mul_u64_e32 v[2:3], s[20:21], v[0:1]
	v_add_nc_u32_e32 v2, v0, v3
	s_wait_loadcnt 0x0
	s_delay_alu instid0(VALU_DEP_1) | instskip(NEXT) | instid1(VALU_DEP_1)
	v_lshrrev_b32_e32 v8, s14, v2
	v_mul_lo_u32 v2, v8, s12
	s_delay_alu instid0(VALU_DEP_1) | instskip(NEXT) | instid1(VALU_DEP_1)
	v_sub_nc_u32_e32 v3, v0, v2
	v_mul_lo_u32 v2, v3, s16
	v_mul_lo_u32 v6, v3, s18
	;; [unrolled: 1-line block ×3, first 2 shown]
	s_cbranch_vccnz .LBB55_795
; %bb.794:
	v_mov_b32_e32 v9, v1
	s_delay_alu instid0(VALU_DEP_1) | instskip(NEXT) | instid1(VALU_DEP_1)
	v_mul_u64_e32 v[10:11], s[24:25], v[8:9]
	v_add_nc_u32_e32 v1, v8, v11
	s_delay_alu instid0(VALU_DEP_1) | instskip(NEXT) | instid1(VALU_DEP_1)
	v_lshrrev_b32_e32 v1, s1, v1
	v_mul_lo_u32 v1, v1, s15
	s_delay_alu instid0(VALU_DEP_1) | instskip(NEXT) | instid1(VALU_DEP_1)
	v_sub_nc_u32_e32 v1, v8, v1
	v_mad_u32 v2, v1, s19, v2
	v_mad_u32 v4, v1, s22, v4
	;; [unrolled: 1-line block ×3, first 2 shown]
.LBB55_795:
	s_wait_loadcnt 0x0
	v_mov_b32_e32 v5, 0
	s_and_b32 s0, s34, 0xff
	s_delay_alu instid0(SALU_CYCLE_1) | instskip(NEXT) | instid1(VALU_DEP_1)
	s_cmp_lt_i32 s0, 11
	v_add_nc_u64_e32 v[8:9], s[6:7], v[4:5]
	s_cbranch_scc1 .LBB55_802
; %bb.796:
	s_and_b32 s27, 0xffff, s0
	s_delay_alu instid0(SALU_CYCLE_1)
	s_cmp_gt_i32 s27, 25
	s_cbranch_scc0 .LBB55_803
; %bb.797:
	s_cmp_gt_i32 s27, 28
	s_cbranch_scc0 .LBB55_804
; %bb.798:
	;; [unrolled: 3-line block ×4, first 2 shown]
	s_cmp_eq_u32 s27, 46
	s_mov_b32 s49, 0
	s_cbranch_scc0 .LBB55_809
; %bb.801:
	global_load_b32 v1, v[8:9], off
	s_mov_b32 s48, -1
	s_mov_b32 s26, 0
	s_wait_loadcnt 0x0
	v_lshlrev_b32_e32 v1, 16, v1
	s_delay_alu instid0(VALU_DEP_1) | instskip(NEXT) | instid1(VALU_DEP_1)
	v_trunc_f32_e32 v1, v1
	v_mul_f32_e64 v3, 0x2f800000, |v1|
	v_ashrrev_i32_e32 v4, 31, v1
	s_delay_alu instid0(VALU_DEP_2) | instskip(NEXT) | instid1(VALU_DEP_1)
	v_floor_f32_e32 v3, v3
	v_fma_f32 v5, 0xcf800000, v3, |v1|
	v_cvt_u32_f32_e32 v1, v3
	s_delay_alu instid0(VALU_DEP_2) | instskip(NEXT) | instid1(VALU_DEP_2)
	v_cvt_u32_f32_e32 v3, v5
	v_dual_mov_b32 v5, v4 :: v_dual_bitop2_b32 v11, v1, v4 bitop3:0x14
	s_delay_alu instid0(VALU_DEP_2) | instskip(NEXT) | instid1(VALU_DEP_1)
	v_xor_b32_e32 v10, v3, v4
	v_sub_nc_u64_e32 v[4:5], v[10:11], v[4:5]
	s_branch .LBB55_811
.LBB55_802:
	s_mov_b32 s27, -1
	s_mov_b32 s48, 0
	s_mov_b32 s26, s43
                                        ; implicit-def: $vgpr4_vgpr5
	s_branch .LBB55_872
.LBB55_803:
	s_mov_b32 s49, -1
	s_mov_b32 s48, 0
	s_mov_b32 s26, s43
                                        ; implicit-def: $vgpr4_vgpr5
	s_branch .LBB55_838
.LBB55_804:
	s_mov_b32 s49, -1
	s_mov_b32 s48, 0
	s_mov_b32 s26, s43
                                        ; implicit-def: $vgpr4_vgpr5
	s_branch .LBB55_821
.LBB55_805:
	s_mov_b32 s49, -1
	s_mov_b32 s48, 0
	s_mov_b32 s26, s43
                                        ; implicit-def: $vgpr4_vgpr5
	s_branch .LBB55_816
.LBB55_806:
	s_mov_b32 s49, -1
	s_mov_b32 s48, 0
	s_mov_b32 s26, s43
	s_branch .LBB55_810
.LBB55_807:
	s_and_not1_saveexec_b32 s49, s49
	s_cbranch_execz .LBB55_689
.LBB55_808:
	v_add_f32_e32 v1, 0x46000000, v4
	s_and_not1_b32 s48, s48, exec_lo
	s_delay_alu instid0(VALU_DEP_1) | instskip(NEXT) | instid1(VALU_DEP_1)
	v_and_b32_e32 v1, 0xff, v1
	v_cmp_ne_u32_e32 vcc_lo, 0, v1
	s_and_b32 s50, vcc_lo, exec_lo
	s_delay_alu instid0(SALU_CYCLE_1)
	s_or_b32 s48, s48, s50
	s_or_b32 exec_lo, exec_lo, s49
	v_mov_b32_e32 v5, 0
	s_and_saveexec_b32 s49, s48
	s_cbranch_execnz .LBB55_690
	s_branch .LBB55_691
.LBB55_809:
	s_mov_b32 s26, -1
	s_mov_b32 s48, 0
.LBB55_810:
                                        ; implicit-def: $vgpr4_vgpr5
.LBB55_811:
	s_and_b32 vcc_lo, exec_lo, s49
	s_cbranch_vccz .LBB55_815
; %bb.812:
	s_cmp_eq_u32 s27, 44
	s_cbranch_scc0 .LBB55_814
; %bb.813:
	global_load_u8 v1, v[8:9], off
	s_mov_b32 s26, 0
	s_mov_b32 s48, -1
	s_wait_loadcnt 0x0
	v_lshlrev_b32_e32 v3, 23, v1
	v_cmp_ne_u32_e32 vcc_lo, 0, v1
	s_delay_alu instid0(VALU_DEP_2) | instskip(NEXT) | instid1(VALU_DEP_1)
	v_trunc_f32_e32 v3, v3
	v_mul_f32_e64 v4, 0x2f800000, |v3|
	s_delay_alu instid0(VALU_DEP_1) | instskip(SKIP_1) | instid1(VALU_DEP_2)
	v_floor_f32_e32 v5, v4
	v_ashrrev_i32_e32 v4, 31, v3
	v_fma_f32 v7, 0xcf800000, v5, |v3|
	v_cvt_u32_f32_e32 v3, v5
	s_delay_alu instid0(VALU_DEP_3) | instskip(NEXT) | instid1(VALU_DEP_3)
	v_mov_b32_e32 v5, v4
	v_cvt_u32_f32_e32 v7, v7
	s_delay_alu instid0(VALU_DEP_3) | instskip(NEXT) | instid1(VALU_DEP_2)
	v_xor_b32_e32 v11, v3, v4
	v_xor_b32_e32 v10, v7, v4
	s_delay_alu instid0(VALU_DEP_1) | instskip(NEXT) | instid1(VALU_DEP_1)
	v_sub_nc_u64_e32 v[4:5], v[10:11], v[4:5]
	v_dual_cndmask_b32 v5, 0, v5 :: v_dual_cndmask_b32 v4, 0, v4
	s_branch .LBB55_815
.LBB55_814:
	s_mov_b32 s26, -1
                                        ; implicit-def: $vgpr4_vgpr5
.LBB55_815:
	s_mov_b32 s49, 0
.LBB55_816:
	s_delay_alu instid0(SALU_CYCLE_1)
	s_and_b32 vcc_lo, exec_lo, s49
	s_cbranch_vccz .LBB55_820
; %bb.817:
	s_cmp_eq_u32 s27, 29
	s_cbranch_scc0 .LBB55_819
; %bb.818:
	global_load_b64 v[4:5], v[8:9], off
	s_mov_b32 s48, -1
	s_mov_b32 s26, 0
	s_branch .LBB55_820
.LBB55_819:
	s_mov_b32 s26, -1
                                        ; implicit-def: $vgpr4_vgpr5
.LBB55_820:
	s_mov_b32 s49, 0
.LBB55_821:
	s_delay_alu instid0(SALU_CYCLE_1)
	s_and_b32 vcc_lo, exec_lo, s49
	s_cbranch_vccz .LBB55_837
; %bb.822:
	s_cmp_lt_i32 s27, 27
	s_cbranch_scc1 .LBB55_825
; %bb.823:
	s_cmp_gt_i32 s27, 27
	s_cbranch_scc0 .LBB55_826
; %bb.824:
	s_wait_loadcnt 0x0
	global_load_b32 v4, v[8:9], off
	v_mov_b32_e32 v5, 0
	s_mov_b32 s48, 0
	s_branch .LBB55_827
.LBB55_825:
	s_mov_b32 s48, -1
                                        ; implicit-def: $vgpr4_vgpr5
	s_branch .LBB55_830
.LBB55_826:
	s_mov_b32 s48, -1
                                        ; implicit-def: $vgpr4_vgpr5
.LBB55_827:
	s_delay_alu instid0(SALU_CYCLE_1)
	s_and_not1_b32 vcc_lo, exec_lo, s48
	s_cbranch_vccnz .LBB55_829
; %bb.828:
	global_load_u16 v1, v[8:9], off
	s_mov_b32 s48, 0
	s_wait_loadcnt 0x1
	v_mov_b32_e32 v5, s48
	s_wait_loadcnt 0x0
	v_and_b32_e32 v4, 0xffff, v1
.LBB55_829:
	s_mov_b32 s48, 0
.LBB55_830:
	s_delay_alu instid0(SALU_CYCLE_1)
	s_and_not1_b32 vcc_lo, exec_lo, s48
	s_cbranch_vccnz .LBB55_836
; %bb.831:
	global_load_u8 v1, v[8:9], off
	s_mov_b32 s49, 0
	s_mov_b32 s48, exec_lo
	s_wait_loadcnt 0x0
	v_cmpx_lt_i16_e32 0x7f, v1
	s_xor_b32 s48, exec_lo, s48
	s_cbranch_execz .LBB55_848
; %bb.832:
	v_cmp_ne_u16_e32 vcc_lo, 0x80, v1
	s_and_b32 s49, vcc_lo, exec_lo
	s_and_not1_saveexec_b32 s48, s48
	s_cbranch_execnz .LBB55_849
.LBB55_833:
	s_or_b32 exec_lo, exec_lo, s48
	v_mov_b64_e32 v[4:5], 0
	s_and_saveexec_b32 s48, s49
	s_cbranch_execz .LBB55_835
.LBB55_834:
	v_and_b32_e32 v3, 0xffff, v1
	s_delay_alu instid0(VALU_DEP_1) | instskip(SKIP_1) | instid1(VALU_DEP_2)
	v_and_b32_e32 v4, 7, v3
	v_bfe_u32 v10, v3, 3, 4
	v_clz_i32_u32_e32 v5, v4
	s_delay_alu instid0(VALU_DEP_2) | instskip(NEXT) | instid1(VALU_DEP_2)
	v_cmp_eq_u32_e32 vcc_lo, 0, v10
	v_min_u32_e32 v5, 32, v5
	s_delay_alu instid0(VALU_DEP_1) | instskip(NEXT) | instid1(VALU_DEP_1)
	v_subrev_nc_u32_e32 v7, 28, v5
	v_dual_lshlrev_b32 v3, v7, v3 :: v_dual_sub_nc_u32 v5, 29, v5
	s_delay_alu instid0(VALU_DEP_1) | instskip(NEXT) | instid1(VALU_DEP_1)
	v_dual_lshlrev_b32 v1, 24, v1 :: v_dual_bitop2_b32 v3, 7, v3 bitop3:0x40
	v_dual_cndmask_b32 v3, v4, v3, vcc_lo :: v_dual_cndmask_b32 v5, v10, v5, vcc_lo
	s_delay_alu instid0(VALU_DEP_2) | instskip(NEXT) | instid1(VALU_DEP_2)
	v_and_b32_e32 v1, 0x80000000, v1
	v_lshlrev_b32_e32 v3, 20, v3
	s_delay_alu instid0(VALU_DEP_3) | instskip(NEXT) | instid1(VALU_DEP_1)
	v_lshl_add_u32 v4, v5, 23, 0x3b800000
	v_or3_b32 v1, v1, v4, v3
	s_delay_alu instid0(VALU_DEP_1) | instskip(NEXT) | instid1(VALU_DEP_1)
	v_trunc_f32_e32 v1, v1
	v_mul_f32_e64 v3, 0x2f800000, |v1|
	v_ashrrev_i32_e32 v4, 31, v1
	s_delay_alu instid0(VALU_DEP_2) | instskip(NEXT) | instid1(VALU_DEP_1)
	v_floor_f32_e32 v3, v3
	v_fma_f32 v5, 0xcf800000, v3, |v1|
	v_cvt_u32_f32_e32 v1, v3
	s_delay_alu instid0(VALU_DEP_2) | instskip(NEXT) | instid1(VALU_DEP_2)
	v_cvt_u32_f32_e32 v3, v5
	v_dual_mov_b32 v5, v4 :: v_dual_bitop2_b32 v11, v1, v4 bitop3:0x14
	s_delay_alu instid0(VALU_DEP_2) | instskip(NEXT) | instid1(VALU_DEP_1)
	v_xor_b32_e32 v10, v3, v4
	v_sub_nc_u64_e32 v[4:5], v[10:11], v[4:5]
.LBB55_835:
	s_or_b32 exec_lo, exec_lo, s48
.LBB55_836:
	s_mov_b32 s48, -1
.LBB55_837:
	s_mov_b32 s49, 0
.LBB55_838:
	s_delay_alu instid0(SALU_CYCLE_1)
	s_and_b32 vcc_lo, exec_lo, s49
	s_cbranch_vccz .LBB55_871
; %bb.839:
	s_cmp_gt_i32 s27, 22
	s_cbranch_scc0 .LBB55_847
; %bb.840:
	s_cmp_lt_i32 s27, 24
	s_cbranch_scc1 .LBB55_850
; %bb.841:
	s_cmp_gt_i32 s27, 24
	s_cbranch_scc0 .LBB55_851
; %bb.842:
	global_load_u8 v1, v[8:9], off
	s_mov_b32 s49, 0
	s_mov_b32 s48, exec_lo
	s_wait_loadcnt 0x0
	v_cmpx_lt_i16_e32 0x7f, v1
	s_xor_b32 s48, exec_lo, s48
	s_cbranch_execz .LBB55_863
; %bb.843:
	v_cmp_ne_u16_e32 vcc_lo, 0x80, v1
	s_and_b32 s49, vcc_lo, exec_lo
	s_and_not1_saveexec_b32 s48, s48
	s_cbranch_execnz .LBB55_864
.LBB55_844:
	s_or_b32 exec_lo, exec_lo, s48
	v_mov_b64_e32 v[4:5], 0
	s_and_saveexec_b32 s48, s49
	s_cbranch_execz .LBB55_846
.LBB55_845:
	v_and_b32_e32 v3, 0xffff, v1
	s_delay_alu instid0(VALU_DEP_1) | instskip(SKIP_1) | instid1(VALU_DEP_2)
	v_and_b32_e32 v4, 3, v3
	v_bfe_u32 v10, v3, 2, 5
	v_clz_i32_u32_e32 v5, v4
	s_delay_alu instid0(VALU_DEP_2) | instskip(NEXT) | instid1(VALU_DEP_2)
	v_cmp_eq_u32_e32 vcc_lo, 0, v10
	v_min_u32_e32 v5, 32, v5
	s_delay_alu instid0(VALU_DEP_1) | instskip(NEXT) | instid1(VALU_DEP_1)
	v_subrev_nc_u32_e32 v7, 29, v5
	v_dual_lshlrev_b32 v3, v7, v3 :: v_dual_sub_nc_u32 v5, 30, v5
	s_delay_alu instid0(VALU_DEP_1) | instskip(NEXT) | instid1(VALU_DEP_1)
	v_dual_lshlrev_b32 v1, 24, v1 :: v_dual_bitop2_b32 v3, 3, v3 bitop3:0x40
	v_dual_cndmask_b32 v3, v4, v3, vcc_lo :: v_dual_cndmask_b32 v5, v10, v5, vcc_lo
	s_delay_alu instid0(VALU_DEP_2) | instskip(NEXT) | instid1(VALU_DEP_2)
	v_and_b32_e32 v1, 0x80000000, v1
	v_lshlrev_b32_e32 v3, 21, v3
	s_delay_alu instid0(VALU_DEP_3) | instskip(NEXT) | instid1(VALU_DEP_1)
	v_lshl_add_u32 v4, v5, 23, 0x37800000
	v_or3_b32 v1, v1, v4, v3
	s_delay_alu instid0(VALU_DEP_1) | instskip(NEXT) | instid1(VALU_DEP_1)
	v_trunc_f32_e32 v1, v1
	v_mul_f32_e64 v3, 0x2f800000, |v1|
	v_ashrrev_i32_e32 v4, 31, v1
	s_delay_alu instid0(VALU_DEP_2) | instskip(NEXT) | instid1(VALU_DEP_1)
	v_floor_f32_e32 v3, v3
	v_fma_f32 v5, 0xcf800000, v3, |v1|
	v_cvt_u32_f32_e32 v1, v3
	s_delay_alu instid0(VALU_DEP_2) | instskip(NEXT) | instid1(VALU_DEP_2)
	v_cvt_u32_f32_e32 v3, v5
	v_dual_mov_b32 v5, v4 :: v_dual_bitop2_b32 v11, v1, v4 bitop3:0x14
	s_delay_alu instid0(VALU_DEP_2) | instskip(NEXT) | instid1(VALU_DEP_1)
	v_xor_b32_e32 v10, v3, v4
	v_sub_nc_u64_e32 v[4:5], v[10:11], v[4:5]
.LBB55_846:
	s_or_b32 exec_lo, exec_lo, s48
	s_mov_b32 s48, 0
	s_branch .LBB55_852
.LBB55_847:
	s_mov_b32 s49, -1
                                        ; implicit-def: $vgpr4_vgpr5
	s_branch .LBB55_858
.LBB55_848:
	s_and_not1_saveexec_b32 s48, s48
	s_cbranch_execz .LBB55_833
.LBB55_849:
	v_cmp_ne_u16_e32 vcc_lo, 0, v1
	s_and_not1_b32 s49, s49, exec_lo
	s_and_b32 s50, vcc_lo, exec_lo
	s_delay_alu instid0(SALU_CYCLE_1)
	s_or_b32 s49, s49, s50
	s_or_b32 exec_lo, exec_lo, s48
	v_mov_b64_e32 v[4:5], 0
	s_and_saveexec_b32 s48, s49
	s_cbranch_execnz .LBB55_834
	s_branch .LBB55_835
.LBB55_850:
	s_mov_b32 s48, -1
                                        ; implicit-def: $vgpr4_vgpr5
	s_branch .LBB55_855
.LBB55_851:
	s_mov_b32 s48, -1
                                        ; implicit-def: $vgpr4_vgpr5
.LBB55_852:
	s_delay_alu instid0(SALU_CYCLE_1)
	s_and_b32 vcc_lo, exec_lo, s48
	s_cbranch_vccz .LBB55_854
; %bb.853:
	global_load_u8 v1, v[8:9], off
	s_wait_loadcnt 0x0
	v_lshlrev_b32_e32 v1, 24, v1
	s_delay_alu instid0(VALU_DEP_1) | instskip(NEXT) | instid1(VALU_DEP_1)
	v_and_b32_e32 v3, 0x7f000000, v1
	v_clz_i32_u32_e32 v4, v3
	v_add_nc_u32_e32 v7, 0x1000000, v3
	v_cmp_ne_u32_e32 vcc_lo, 0, v3
	s_delay_alu instid0(VALU_DEP_3) | instskip(NEXT) | instid1(VALU_DEP_1)
	v_min_u32_e32 v4, 32, v4
	v_sub_nc_u32_e64 v4, v4, 4 clamp
	s_delay_alu instid0(VALU_DEP_1) | instskip(NEXT) | instid1(VALU_DEP_1)
	v_dual_lshlrev_b32 v5, v4, v3 :: v_dual_lshlrev_b32 v4, 23, v4
	v_lshrrev_b32_e32 v5, 4, v5
	s_delay_alu instid0(VALU_DEP_1) | instskip(NEXT) | instid1(VALU_DEP_1)
	v_dual_sub_nc_u32 v4, v5, v4 :: v_dual_ashrrev_i32 v5, 8, v7
	v_add_nc_u32_e32 v4, 0x3c000000, v4
	s_delay_alu instid0(VALU_DEP_1) | instskip(NEXT) | instid1(VALU_DEP_1)
	v_and_or_b32 v4, 0x7f800000, v5, v4
	v_cndmask_b32_e32 v3, 0, v4, vcc_lo
	s_delay_alu instid0(VALU_DEP_1) | instskip(NEXT) | instid1(VALU_DEP_1)
	v_and_or_b32 v1, 0x80000000, v1, v3
	v_trunc_f32_e32 v1, v1
	s_delay_alu instid0(VALU_DEP_1) | instskip(SKIP_1) | instid1(VALU_DEP_2)
	v_mul_f32_e64 v3, 0x2f800000, |v1|
	v_ashrrev_i32_e32 v4, 31, v1
	v_floor_f32_e32 v3, v3
	s_delay_alu instid0(VALU_DEP_1) | instskip(SKIP_1) | instid1(VALU_DEP_2)
	v_fma_f32 v5, 0xcf800000, v3, |v1|
	v_cvt_u32_f32_e32 v1, v3
	v_cvt_u32_f32_e32 v3, v5
	s_delay_alu instid0(VALU_DEP_2) | instskip(NEXT) | instid1(VALU_DEP_2)
	v_dual_mov_b32 v5, v4 :: v_dual_bitop2_b32 v11, v1, v4 bitop3:0x14
	v_xor_b32_e32 v10, v3, v4
	s_delay_alu instid0(VALU_DEP_1)
	v_sub_nc_u64_e32 v[4:5], v[10:11], v[4:5]
.LBB55_854:
	s_mov_b32 s48, 0
.LBB55_855:
	s_delay_alu instid0(SALU_CYCLE_1)
	s_and_not1_b32 vcc_lo, exec_lo, s48
	s_cbranch_vccnz .LBB55_857
; %bb.856:
	global_load_u8 v1, v[8:9], off
	s_wait_loadcnt 0x0
	v_lshlrev_b32_e32 v3, 25, v1
	v_lshlrev_b16 v1, 8, v1
	s_delay_alu instid0(VALU_DEP_1) | instskip(NEXT) | instid1(VALU_DEP_3)
	v_and_or_b32 v5, 0x7f00, v1, 0.5
	v_lshrrev_b32_e32 v4, 4, v3
	v_bfe_i32 v1, v1, 0, 16
	s_delay_alu instid0(VALU_DEP_3) | instskip(NEXT) | instid1(VALU_DEP_3)
	v_add_f32_e32 v5, -0.5, v5
	v_or_b32_e32 v4, 0x70000000, v4
	s_delay_alu instid0(VALU_DEP_1) | instskip(SKIP_1) | instid1(VALU_DEP_2)
	v_mul_f32_e32 v4, 0x7800000, v4
	v_cmp_gt_u32_e32 vcc_lo, 0x8000000, v3
	v_cndmask_b32_e32 v3, v4, v5, vcc_lo
	s_delay_alu instid0(VALU_DEP_1) | instskip(NEXT) | instid1(VALU_DEP_1)
	v_and_or_b32 v1, 0x80000000, v1, v3
	v_trunc_f32_e32 v1, v1
	s_delay_alu instid0(VALU_DEP_1) | instskip(SKIP_1) | instid1(VALU_DEP_2)
	v_mul_f32_e64 v3, 0x2f800000, |v1|
	v_ashrrev_i32_e32 v4, 31, v1
	v_floor_f32_e32 v3, v3
	s_delay_alu instid0(VALU_DEP_1) | instskip(SKIP_1) | instid1(VALU_DEP_2)
	v_fma_f32 v5, 0xcf800000, v3, |v1|
	v_cvt_u32_f32_e32 v1, v3
	v_cvt_u32_f32_e32 v3, v5
	s_delay_alu instid0(VALU_DEP_2) | instskip(NEXT) | instid1(VALU_DEP_2)
	v_dual_mov_b32 v5, v4 :: v_dual_bitop2_b32 v11, v1, v4 bitop3:0x14
	v_xor_b32_e32 v10, v3, v4
	s_delay_alu instid0(VALU_DEP_1)
	v_sub_nc_u64_e32 v[4:5], v[10:11], v[4:5]
.LBB55_857:
	s_mov_b32 s49, 0
	s_mov_b32 s48, -1
.LBB55_858:
	s_and_not1_b32 vcc_lo, exec_lo, s49
	s_cbranch_vccnz .LBB55_871
; %bb.859:
	s_cmp_gt_i32 s27, 14
	s_cbranch_scc0 .LBB55_862
; %bb.860:
	s_cmp_eq_u32 s27, 15
	s_cbranch_scc0 .LBB55_865
; %bb.861:
	global_load_u16 v1, v[8:9], off
	s_mov_b32 s48, -1
	s_mov_b32 s26, 0
	s_wait_loadcnt 0x0
	v_lshlrev_b32_e32 v1, 16, v1
	s_delay_alu instid0(VALU_DEP_1) | instskip(NEXT) | instid1(VALU_DEP_1)
	v_trunc_f32_e32 v1, v1
	v_mul_f32_e64 v3, 0x2f800000, |v1|
	v_ashrrev_i32_e32 v4, 31, v1
	s_delay_alu instid0(VALU_DEP_2) | instskip(NEXT) | instid1(VALU_DEP_1)
	v_floor_f32_e32 v3, v3
	v_fma_f32 v5, 0xcf800000, v3, |v1|
	v_cvt_u32_f32_e32 v1, v3
	s_delay_alu instid0(VALU_DEP_2) | instskip(NEXT) | instid1(VALU_DEP_2)
	v_cvt_u32_f32_e32 v3, v5
	v_dual_mov_b32 v5, v4 :: v_dual_bitop2_b32 v11, v1, v4 bitop3:0x14
	s_delay_alu instid0(VALU_DEP_2) | instskip(NEXT) | instid1(VALU_DEP_1)
	v_xor_b32_e32 v10, v3, v4
	v_sub_nc_u64_e32 v[4:5], v[10:11], v[4:5]
	s_branch .LBB55_866
.LBB55_862:
	s_mov_b32 s49, -1
                                        ; implicit-def: $vgpr4_vgpr5
	s_branch .LBB55_867
.LBB55_863:
	s_and_not1_saveexec_b32 s48, s48
	s_cbranch_execz .LBB55_844
.LBB55_864:
	v_cmp_ne_u16_e32 vcc_lo, 0, v1
	s_and_not1_b32 s49, s49, exec_lo
	s_and_b32 s50, vcc_lo, exec_lo
	s_delay_alu instid0(SALU_CYCLE_1)
	s_or_b32 s49, s49, s50
	s_or_b32 exec_lo, exec_lo, s48
	v_mov_b64_e32 v[4:5], 0
	s_and_saveexec_b32 s48, s49
	s_cbranch_execnz .LBB55_845
	s_branch .LBB55_846
.LBB55_865:
	s_mov_b32 s26, -1
                                        ; implicit-def: $vgpr4_vgpr5
.LBB55_866:
	s_mov_b32 s49, 0
.LBB55_867:
	s_delay_alu instid0(SALU_CYCLE_1)
	s_and_b32 vcc_lo, exec_lo, s49
	s_cbranch_vccz .LBB55_871
; %bb.868:
	s_cmp_eq_u32 s27, 11
	s_cbranch_scc0 .LBB55_870
; %bb.869:
	global_load_u8 v1, v[8:9], off
	s_mov_b32 s26, 0
	s_mov_b32 s48, -1
	s_wait_loadcnt 0x1
	v_mov_b32_e32 v5, s26
	s_wait_loadcnt 0x0
	v_cmp_ne_u16_e32 vcc_lo, 0, v1
	v_cndmask_b32_e64 v4, 0, 1, vcc_lo
	s_branch .LBB55_871
.LBB55_870:
	s_mov_b32 s26, -1
                                        ; implicit-def: $vgpr4_vgpr5
.LBB55_871:
	s_mov_b32 s27, 0
.LBB55_872:
	s_delay_alu instid0(SALU_CYCLE_1)
	s_and_b32 vcc_lo, exec_lo, s27
	s_cbranch_vccz .LBB55_921
; %bb.873:
	s_and_b32 s0, 0xffff, s0
	s_delay_alu instid0(SALU_CYCLE_1)
	s_cmp_lt_i32 s0, 5
	s_cbranch_scc1 .LBB55_878
; %bb.874:
	s_cmp_lt_i32 s0, 8
	s_cbranch_scc1 .LBB55_879
; %bb.875:
	s_cmp_lt_i32 s0, 9
	s_cbranch_scc1 .LBB55_880
; %bb.876:
	s_cmp_gt_i32 s0, 9
	s_cbranch_scc0 .LBB55_881
; %bb.877:
	s_wait_loadcnt 0x0
	global_load_b64 v[4:5], v[8:9], off
	s_mov_b32 s27, 0
	s_wait_loadcnt 0x0
	v_trunc_f64_e32 v[4:5], v[4:5]
	s_delay_alu instid0(VALU_DEP_1) | instskip(NEXT) | instid1(VALU_DEP_1)
	v_ldexp_f64 v[10:11], v[4:5], 0xffffffe0
	v_floor_f64_e32 v[10:11], v[10:11]
	s_delay_alu instid0(VALU_DEP_1) | instskip(SKIP_1) | instid1(VALU_DEP_2)
	v_fmamk_f64 v[12:13], v[10:11], 0xc1f00000, v[4:5]
	v_cvt_i32_f64_e32 v5, v[10:11]
	v_cvt_u32_f64_e32 v4, v[12:13]
	s_branch .LBB55_882
.LBB55_878:
	s_mov_b32 s27, -1
                                        ; implicit-def: $vgpr4_vgpr5
	s_branch .LBB55_900
.LBB55_879:
	s_mov_b32 s27, -1
                                        ; implicit-def: $vgpr4_vgpr5
	s_branch .LBB55_888
.LBB55_880:
	s_mov_b32 s27, -1
                                        ; implicit-def: $vgpr4_vgpr5
	s_branch .LBB55_885
.LBB55_881:
	s_mov_b32 s27, -1
                                        ; implicit-def: $vgpr4_vgpr5
.LBB55_882:
	s_delay_alu instid0(SALU_CYCLE_1)
	s_and_not1_b32 vcc_lo, exec_lo, s27
	s_cbranch_vccnz .LBB55_884
; %bb.883:
	global_load_b32 v1, v[8:9], off
	s_wait_loadcnt 0x0
	v_trunc_f32_e32 v1, v1
	s_delay_alu instid0(VALU_DEP_1) | instskip(SKIP_1) | instid1(VALU_DEP_2)
	v_mul_f32_e64 v3, 0x2f800000, |v1|
	v_ashrrev_i32_e32 v4, 31, v1
	v_floor_f32_e32 v3, v3
	s_delay_alu instid0(VALU_DEP_1) | instskip(SKIP_1) | instid1(VALU_DEP_2)
	v_fma_f32 v5, 0xcf800000, v3, |v1|
	v_cvt_u32_f32_e32 v1, v3
	v_cvt_u32_f32_e32 v3, v5
	s_delay_alu instid0(VALU_DEP_2) | instskip(NEXT) | instid1(VALU_DEP_2)
	v_dual_mov_b32 v5, v4 :: v_dual_bitop2_b32 v11, v1, v4 bitop3:0x14
	v_xor_b32_e32 v10, v3, v4
	s_delay_alu instid0(VALU_DEP_1)
	v_sub_nc_u64_e32 v[4:5], v[10:11], v[4:5]
.LBB55_884:
	s_mov_b32 s27, 0
.LBB55_885:
	s_delay_alu instid0(SALU_CYCLE_1)
	s_and_not1_b32 vcc_lo, exec_lo, s27
	s_cbranch_vccnz .LBB55_887
; %bb.886:
	global_load_b32 v1, v[8:9], off
	s_wait_loadcnt 0x0
	v_cvt_f32_f16_e32 v1, v1
	s_delay_alu instid0(VALU_DEP_1) | instskip(NEXT) | instid1(VALU_DEP_1)
	v_cvt_i32_f32_e32 v4, v1
	v_ashrrev_i32_e32 v5, 31, v4
.LBB55_887:
	s_mov_b32 s27, 0
.LBB55_888:
	s_delay_alu instid0(SALU_CYCLE_1)
	s_and_not1_b32 vcc_lo, exec_lo, s27
	s_cbranch_vccnz .LBB55_899
; %bb.889:
	s_cmp_lt_i32 s0, 6
	s_cbranch_scc1 .LBB55_892
; %bb.890:
	s_cmp_gt_i32 s0, 6
	s_cbranch_scc0 .LBB55_893
; %bb.891:
	s_wait_loadcnt 0x0
	global_load_b64 v[4:5], v[8:9], off
	s_mov_b32 s27, 0
	s_wait_loadcnt 0x0
	v_trunc_f64_e32 v[4:5], v[4:5]
	s_delay_alu instid0(VALU_DEP_1) | instskip(NEXT) | instid1(VALU_DEP_1)
	v_ldexp_f64 v[10:11], v[4:5], 0xffffffe0
	v_floor_f64_e32 v[10:11], v[10:11]
	s_delay_alu instid0(VALU_DEP_1) | instskip(SKIP_1) | instid1(VALU_DEP_2)
	v_fmamk_f64 v[12:13], v[10:11], 0xc1f00000, v[4:5]
	v_cvt_i32_f64_e32 v5, v[10:11]
	v_cvt_u32_f64_e32 v4, v[12:13]
	s_branch .LBB55_894
.LBB55_892:
	s_mov_b32 s27, -1
                                        ; implicit-def: $vgpr4_vgpr5
	s_branch .LBB55_897
.LBB55_893:
	s_mov_b32 s27, -1
                                        ; implicit-def: $vgpr4_vgpr5
.LBB55_894:
	s_delay_alu instid0(SALU_CYCLE_1)
	s_and_not1_b32 vcc_lo, exec_lo, s27
	s_cbranch_vccnz .LBB55_896
; %bb.895:
	global_load_b32 v1, v[8:9], off
	s_wait_loadcnt 0x0
	v_trunc_f32_e32 v1, v1
	s_delay_alu instid0(VALU_DEP_1) | instskip(SKIP_1) | instid1(VALU_DEP_2)
	v_mul_f32_e64 v3, 0x2f800000, |v1|
	v_ashrrev_i32_e32 v4, 31, v1
	v_floor_f32_e32 v3, v3
	s_delay_alu instid0(VALU_DEP_1) | instskip(SKIP_1) | instid1(VALU_DEP_2)
	v_fma_f32 v5, 0xcf800000, v3, |v1|
	v_cvt_u32_f32_e32 v1, v3
	v_cvt_u32_f32_e32 v3, v5
	s_delay_alu instid0(VALU_DEP_2) | instskip(NEXT) | instid1(VALU_DEP_2)
	v_dual_mov_b32 v5, v4 :: v_dual_bitop2_b32 v11, v1, v4 bitop3:0x14
	v_xor_b32_e32 v10, v3, v4
	s_delay_alu instid0(VALU_DEP_1)
	v_sub_nc_u64_e32 v[4:5], v[10:11], v[4:5]
.LBB55_896:
	s_mov_b32 s27, 0
.LBB55_897:
	s_delay_alu instid0(SALU_CYCLE_1)
	s_and_not1_b32 vcc_lo, exec_lo, s27
	s_cbranch_vccnz .LBB55_899
; %bb.898:
	global_load_u16 v1, v[8:9], off
	s_wait_loadcnt 0x0
	v_cvt_f32_f16_e32 v1, v1
	s_delay_alu instid0(VALU_DEP_1) | instskip(NEXT) | instid1(VALU_DEP_1)
	v_cvt_i32_f32_e32 v4, v1
	v_ashrrev_i32_e32 v5, 31, v4
.LBB55_899:
	s_mov_b32 s27, 0
.LBB55_900:
	s_delay_alu instid0(SALU_CYCLE_1)
	s_and_not1_b32 vcc_lo, exec_lo, s27
	s_cbranch_vccnz .LBB55_920
; %bb.901:
	s_cmp_lt_i32 s0, 2
	s_cbranch_scc1 .LBB55_905
; %bb.902:
	s_cmp_lt_i32 s0, 3
	s_cbranch_scc1 .LBB55_906
; %bb.903:
	s_cmp_gt_i32 s0, 3
	s_cbranch_scc0 .LBB55_907
; %bb.904:
	s_wait_loadcnt 0x0
	global_load_b64 v[4:5], v[8:9], off
	s_mov_b32 s27, 0
	s_branch .LBB55_908
.LBB55_905:
	s_mov_b32 s27, -1
                                        ; implicit-def: $vgpr4_vgpr5
	s_branch .LBB55_914
.LBB55_906:
	s_mov_b32 s27, -1
                                        ; implicit-def: $vgpr4_vgpr5
	s_branch .LBB55_911
.LBB55_907:
	s_mov_b32 s27, -1
                                        ; implicit-def: $vgpr4_vgpr5
.LBB55_908:
	s_delay_alu instid0(SALU_CYCLE_1)
	s_and_not1_b32 vcc_lo, exec_lo, s27
	s_cbranch_vccnz .LBB55_910
; %bb.909:
	s_wait_loadcnt 0x0
	global_load_b32 v4, v[8:9], off
	s_wait_loadcnt 0x0
	v_ashrrev_i32_e32 v5, 31, v4
.LBB55_910:
	s_mov_b32 s27, 0
.LBB55_911:
	s_delay_alu instid0(SALU_CYCLE_1)
	s_and_not1_b32 vcc_lo, exec_lo, s27
	s_cbranch_vccnz .LBB55_913
; %bb.912:
	global_load_u16 v1, v[8:9], off
	s_wait_loadcnt 0x0
	v_bfe_i32 v4, v1, 0, 16
	s_delay_alu instid0(VALU_DEP_1)
	v_ashrrev_i32_e32 v5, 31, v4
.LBB55_913:
	s_mov_b32 s27, 0
.LBB55_914:
	s_delay_alu instid0(SALU_CYCLE_1)
	s_and_not1_b32 vcc_lo, exec_lo, s27
	s_cbranch_vccnz .LBB55_920
; %bb.915:
	s_cmp_gt_i32 s0, 0
	s_mov_b32 s0, 0
	s_cbranch_scc0 .LBB55_917
; %bb.916:
	global_load_i8 v1, v[8:9], off
	s_wait_loadcnt 0x0
	v_bfe_i32 v4, v1, 0, 16
	s_delay_alu instid0(VALU_DEP_1)
	v_ashrrev_i32_e32 v5, 31, v4
	s_branch .LBB55_918
.LBB55_917:
	s_mov_b32 s0, -1
                                        ; implicit-def: $vgpr4_vgpr5
.LBB55_918:
	s_delay_alu instid0(SALU_CYCLE_1)
	s_and_not1_b32 vcc_lo, exec_lo, s0
	s_cbranch_vccnz .LBB55_920
; %bb.919:
	global_load_u8 v1, v[8:9], off
	s_mov_b32 s0, 0
	s_wait_loadcnt 0x1
	v_mov_b32_e32 v5, s0
	s_wait_loadcnt 0x0
	v_and_b32_e32 v4, 0xffff, v1
.LBB55_920:
	s_mov_b32 s48, -1
.LBB55_921:
	s_delay_alu instid0(SALU_CYCLE_1)
	s_and_not1_b32 vcc_lo, exec_lo, s48
	s_cbranch_vccnz .LBB55_929
; %bb.922:
	v_mov_b32_e32 v7, 0
	s_and_b32 s0, s13, 0xff
	s_delay_alu instid0(SALU_CYCLE_1) | instskip(NEXT) | instid1(VALU_DEP_1)
	s_cmp_lt_i32 s0, 11
	v_add_nc_u64_e32 v[6:7], s[8:9], v[6:7]
	s_cbranch_scc1 .LBB55_930
; %bb.923:
	s_and_b32 s48, 0xffff, s0
	s_delay_alu instid0(SALU_CYCLE_1)
	s_cmp_gt_i32 s48, 25
	s_cbranch_scc0 .LBB55_931
; %bb.924:
	s_cmp_gt_i32 s48, 28
	s_cbranch_scc0 .LBB55_932
; %bb.925:
	;; [unrolled: 3-line block ×4, first 2 shown]
	s_cmp_eq_u32 s48, 46
	s_mov_b32 s50, 0
	s_cbranch_scc0 .LBB55_937
; %bb.928:
	global_load_b32 v1, v[6:7], off
	s_mov_b32 s49, -1
	s_mov_b32 s27, 0
	s_wait_loadcnt 0x0
	v_lshlrev_b32_e32 v1, 16, v1
	s_delay_alu instid0(VALU_DEP_1) | instskip(NEXT) | instid1(VALU_DEP_1)
	v_trunc_f32_e32 v1, v1
	v_mul_f32_e64 v3, 0x2f800000, |v1|
	s_wait_xcnt 0x1
	v_ashrrev_i32_e32 v8, 31, v1
	s_delay_alu instid0(VALU_DEP_2) | instskip(NEXT) | instid1(VALU_DEP_1)
	v_floor_f32_e32 v3, v3
	v_fma_f32 v9, 0xcf800000, v3, |v1|
	v_cvt_u32_f32_e32 v1, v3
	s_delay_alu instid0(VALU_DEP_2) | instskip(NEXT) | instid1(VALU_DEP_2)
	v_cvt_u32_f32_e32 v3, v9
	v_dual_mov_b32 v9, v8 :: v_dual_bitop2_b32 v11, v1, v8 bitop3:0x14
	s_delay_alu instid0(VALU_DEP_2) | instskip(NEXT) | instid1(VALU_DEP_1)
	v_xor_b32_e32 v10, v3, v8
	v_sub_nc_u64_e32 v[8:9], v[10:11], v[8:9]
	s_branch .LBB55_939
.LBB55_929:
	s_mov_b32 s51, 0
	s_mov_b32 s0, s44
	;; [unrolled: 1-line block ×3, first 2 shown]
	s_branch .LBB55_1174
.LBB55_930:
	s_mov_b32 s48, -1
	s_mov_b32 s49, 0
	s_mov_b32 s27, s45
                                        ; implicit-def: $vgpr8_vgpr9
	s_branch .LBB55_1000
.LBB55_931:
	s_mov_b32 s50, -1
	s_mov_b32 s49, 0
	s_mov_b32 s27, s45
                                        ; implicit-def: $vgpr8_vgpr9
	s_branch .LBB55_966
.LBB55_932:
	s_mov_b32 s50, -1
	s_mov_b32 s49, 0
	s_mov_b32 s27, s45
                                        ; implicit-def: $vgpr8_vgpr9
	s_branch .LBB55_949
.LBB55_933:
	s_mov_b32 s50, -1
	s_mov_b32 s49, 0
	s_mov_b32 s27, s45
                                        ; implicit-def: $vgpr8_vgpr9
	s_branch .LBB55_944
.LBB55_934:
	s_mov_b32 s50, -1
	s_mov_b32 s49, 0
	s_mov_b32 s27, s45
	s_branch .LBB55_938
.LBB55_935:
	s_and_not1_saveexec_b32 s49, s49
	s_cbranch_execz .LBB55_702
.LBB55_936:
	v_add_f32_e32 v1, 0x42800000, v4
	s_and_not1_b32 s48, s48, exec_lo
	s_delay_alu instid0(VALU_DEP_1) | instskip(NEXT) | instid1(VALU_DEP_1)
	v_and_b32_e32 v1, 0xff, v1
	v_cmp_ne_u32_e32 vcc_lo, 0, v1
	s_and_b32 s50, vcc_lo, exec_lo
	s_delay_alu instid0(SALU_CYCLE_1)
	s_or_b32 s48, s48, s50
	s_or_b32 exec_lo, exec_lo, s49
	v_mov_b32_e32 v5, 0
	s_and_saveexec_b32 s49, s48
	s_cbranch_execnz .LBB55_703
	s_branch .LBB55_704
.LBB55_937:
	s_mov_b32 s27, -1
	s_mov_b32 s49, 0
.LBB55_938:
                                        ; implicit-def: $vgpr8_vgpr9
.LBB55_939:
	s_and_b32 vcc_lo, exec_lo, s50
	s_cbranch_vccz .LBB55_943
; %bb.940:
	s_cmp_eq_u32 s48, 44
	s_cbranch_scc0 .LBB55_942
; %bb.941:
	global_load_u8 v1, v[6:7], off
	s_mov_b32 s27, 0
	s_mov_b32 s49, -1
	s_wait_loadcnt 0x0
	v_lshlrev_b32_e32 v3, 23, v1
	v_cmp_ne_u32_e32 vcc_lo, 0, v1
	s_delay_alu instid0(VALU_DEP_2) | instskip(SKIP_1) | instid1(VALU_DEP_1)
	v_trunc_f32_e32 v3, v3
	s_wait_xcnt 0x1
	v_mul_f32_e64 v8, 0x2f800000, |v3|
	s_delay_alu instid0(VALU_DEP_1) | instskip(SKIP_1) | instid1(VALU_DEP_2)
	v_floor_f32_e32 v9, v8
	v_ashrrev_i32_e32 v8, 31, v3
	v_fma_f32 v10, 0xcf800000, v9, |v3|
	v_cvt_u32_f32_e32 v3, v9
	s_delay_alu instid0(VALU_DEP_3) | instskip(NEXT) | instid1(VALU_DEP_3)
	v_mov_b32_e32 v9, v8
	v_cvt_u32_f32_e32 v10, v10
	s_delay_alu instid0(VALU_DEP_3) | instskip(NEXT) | instid1(VALU_DEP_2)
	v_xor_b32_e32 v11, v3, v8
	v_xor_b32_e32 v10, v10, v8
	s_delay_alu instid0(VALU_DEP_1) | instskip(NEXT) | instid1(VALU_DEP_1)
	v_sub_nc_u64_e32 v[8:9], v[10:11], v[8:9]
	v_dual_cndmask_b32 v9, 0, v9 :: v_dual_cndmask_b32 v8, 0, v8
	s_branch .LBB55_943
.LBB55_942:
	s_mov_b32 s27, -1
                                        ; implicit-def: $vgpr8_vgpr9
.LBB55_943:
	s_mov_b32 s50, 0
.LBB55_944:
	s_delay_alu instid0(SALU_CYCLE_1)
	s_and_b32 vcc_lo, exec_lo, s50
	s_cbranch_vccz .LBB55_948
; %bb.945:
	s_cmp_eq_u32 s48, 29
	s_cbranch_scc0 .LBB55_947
; %bb.946:
	global_load_b64 v[8:9], v[6:7], off
	s_mov_b32 s49, -1
	s_mov_b32 s27, 0
	s_branch .LBB55_948
.LBB55_947:
	s_mov_b32 s27, -1
                                        ; implicit-def: $vgpr8_vgpr9
.LBB55_948:
	s_mov_b32 s50, 0
.LBB55_949:
	s_delay_alu instid0(SALU_CYCLE_1)
	s_and_b32 vcc_lo, exec_lo, s50
	s_cbranch_vccz .LBB55_965
; %bb.950:
	s_cmp_lt_i32 s48, 27
	s_cbranch_scc1 .LBB55_953
; %bb.951:
	s_cmp_gt_i32 s48, 27
	s_cbranch_scc0 .LBB55_954
; %bb.952:
	s_wait_loadcnt 0x0
	global_load_b32 v8, v[6:7], off
	v_mov_b32_e32 v9, 0
	s_mov_b32 s49, 0
	s_branch .LBB55_955
.LBB55_953:
	s_mov_b32 s49, -1
                                        ; implicit-def: $vgpr8_vgpr9
	s_branch .LBB55_958
.LBB55_954:
	s_mov_b32 s49, -1
                                        ; implicit-def: $vgpr8_vgpr9
.LBB55_955:
	s_delay_alu instid0(SALU_CYCLE_1)
	s_and_not1_b32 vcc_lo, exec_lo, s49
	s_cbranch_vccnz .LBB55_957
; %bb.956:
	global_load_u16 v1, v[6:7], off
	s_mov_b32 s49, 0
	s_wait_loadcnt 0x1
	s_wait_xcnt 0x1
	v_mov_b32_e32 v9, s49
	s_wait_loadcnt 0x0
	v_and_b32_e32 v8, 0xffff, v1
.LBB55_957:
	s_mov_b32 s49, 0
.LBB55_958:
	s_delay_alu instid0(SALU_CYCLE_1)
	s_and_not1_b32 vcc_lo, exec_lo, s49
	s_cbranch_vccnz .LBB55_964
; %bb.959:
	global_load_u8 v1, v[6:7], off
	s_mov_b32 s50, 0
	s_mov_b32 s49, exec_lo
	s_wait_loadcnt 0x0
	v_cmpx_lt_i16_e32 0x7f, v1
	s_xor_b32 s49, exec_lo, s49
	s_cbranch_execz .LBB55_976
; %bb.960:
	v_cmp_ne_u16_e32 vcc_lo, 0x80, v1
	s_and_b32 s50, vcc_lo, exec_lo
	s_and_not1_saveexec_b32 s49, s49
	s_cbranch_execnz .LBB55_977
.LBB55_961:
	s_or_b32 exec_lo, exec_lo, s49
	v_mov_b64_e32 v[8:9], 0
	s_and_saveexec_b32 s49, s50
	s_cbranch_execz .LBB55_963
.LBB55_962:
	v_and_b32_e32 v3, 0xffff, v1
	s_delay_alu instid0(VALU_DEP_1) | instskip(SKIP_1) | instid1(VALU_DEP_2)
	v_and_b32_e32 v8, 7, v3
	v_bfe_u32 v11, v3, 3, 4
	v_clz_i32_u32_e32 v9, v8
	s_delay_alu instid0(VALU_DEP_2) | instskip(NEXT) | instid1(VALU_DEP_2)
	v_cmp_eq_u32_e32 vcc_lo, 0, v11
	v_min_u32_e32 v9, 32, v9
	s_delay_alu instid0(VALU_DEP_1) | instskip(NEXT) | instid1(VALU_DEP_1)
	v_subrev_nc_u32_e32 v10, 28, v9
	v_dual_lshlrev_b32 v3, v10, v3 :: v_dual_sub_nc_u32 v9, 29, v9
	s_delay_alu instid0(VALU_DEP_1) | instskip(NEXT) | instid1(VALU_DEP_1)
	v_dual_lshlrev_b32 v1, 24, v1 :: v_dual_bitop2_b32 v3, 7, v3 bitop3:0x40
	v_dual_cndmask_b32 v3, v8, v3, vcc_lo :: v_dual_cndmask_b32 v9, v11, v9, vcc_lo
	s_delay_alu instid0(VALU_DEP_2) | instskip(NEXT) | instid1(VALU_DEP_2)
	v_and_b32_e32 v1, 0x80000000, v1
	v_lshlrev_b32_e32 v3, 20, v3
	s_delay_alu instid0(VALU_DEP_3) | instskip(NEXT) | instid1(VALU_DEP_1)
	v_lshl_add_u32 v8, v9, 23, 0x3b800000
	v_or3_b32 v1, v1, v8, v3
	s_delay_alu instid0(VALU_DEP_1) | instskip(NEXT) | instid1(VALU_DEP_1)
	v_trunc_f32_e32 v1, v1
	v_mul_f32_e64 v3, 0x2f800000, |v1|
	v_ashrrev_i32_e32 v8, 31, v1
	s_delay_alu instid0(VALU_DEP_2) | instskip(NEXT) | instid1(VALU_DEP_1)
	v_floor_f32_e32 v3, v3
	v_fma_f32 v9, 0xcf800000, v3, |v1|
	v_cvt_u32_f32_e32 v1, v3
	s_delay_alu instid0(VALU_DEP_2) | instskip(NEXT) | instid1(VALU_DEP_2)
	v_cvt_u32_f32_e32 v3, v9
	v_dual_mov_b32 v9, v8 :: v_dual_bitop2_b32 v11, v1, v8 bitop3:0x14
	s_delay_alu instid0(VALU_DEP_2) | instskip(NEXT) | instid1(VALU_DEP_1)
	v_xor_b32_e32 v10, v3, v8
	v_sub_nc_u64_e32 v[8:9], v[10:11], v[8:9]
.LBB55_963:
	s_or_b32 exec_lo, exec_lo, s49
.LBB55_964:
	s_mov_b32 s49, -1
.LBB55_965:
	s_mov_b32 s50, 0
.LBB55_966:
	s_delay_alu instid0(SALU_CYCLE_1)
	s_and_b32 vcc_lo, exec_lo, s50
	s_cbranch_vccz .LBB55_999
; %bb.967:
	s_cmp_gt_i32 s48, 22
	s_cbranch_scc0 .LBB55_975
; %bb.968:
	s_cmp_lt_i32 s48, 24
	s_cbranch_scc1 .LBB55_978
; %bb.969:
	s_cmp_gt_i32 s48, 24
	s_cbranch_scc0 .LBB55_979
; %bb.970:
	global_load_u8 v1, v[6:7], off
	s_mov_b32 s50, 0
	s_mov_b32 s49, exec_lo
	s_wait_loadcnt 0x0
	v_cmpx_lt_i16_e32 0x7f, v1
	s_xor_b32 s49, exec_lo, s49
	s_cbranch_execz .LBB55_991
; %bb.971:
	v_cmp_ne_u16_e32 vcc_lo, 0x80, v1
	s_and_b32 s50, vcc_lo, exec_lo
	s_and_not1_saveexec_b32 s49, s49
	s_cbranch_execnz .LBB55_992
.LBB55_972:
	s_or_b32 exec_lo, exec_lo, s49
	v_mov_b64_e32 v[8:9], 0
	s_and_saveexec_b32 s49, s50
	s_cbranch_execz .LBB55_974
.LBB55_973:
	v_and_b32_e32 v3, 0xffff, v1
	s_delay_alu instid0(VALU_DEP_1) | instskip(SKIP_1) | instid1(VALU_DEP_2)
	v_and_b32_e32 v8, 3, v3
	v_bfe_u32 v11, v3, 2, 5
	v_clz_i32_u32_e32 v9, v8
	s_delay_alu instid0(VALU_DEP_2) | instskip(NEXT) | instid1(VALU_DEP_2)
	v_cmp_eq_u32_e32 vcc_lo, 0, v11
	v_min_u32_e32 v9, 32, v9
	s_delay_alu instid0(VALU_DEP_1) | instskip(NEXT) | instid1(VALU_DEP_1)
	v_subrev_nc_u32_e32 v10, 29, v9
	v_dual_lshlrev_b32 v3, v10, v3 :: v_dual_sub_nc_u32 v9, 30, v9
	s_delay_alu instid0(VALU_DEP_1) | instskip(NEXT) | instid1(VALU_DEP_1)
	v_dual_lshlrev_b32 v1, 24, v1 :: v_dual_bitop2_b32 v3, 3, v3 bitop3:0x40
	v_dual_cndmask_b32 v3, v8, v3, vcc_lo :: v_dual_cndmask_b32 v9, v11, v9, vcc_lo
	s_delay_alu instid0(VALU_DEP_2) | instskip(NEXT) | instid1(VALU_DEP_2)
	v_and_b32_e32 v1, 0x80000000, v1
	v_lshlrev_b32_e32 v3, 21, v3
	s_delay_alu instid0(VALU_DEP_3) | instskip(NEXT) | instid1(VALU_DEP_1)
	v_lshl_add_u32 v8, v9, 23, 0x37800000
	v_or3_b32 v1, v1, v8, v3
	s_delay_alu instid0(VALU_DEP_1) | instskip(NEXT) | instid1(VALU_DEP_1)
	v_trunc_f32_e32 v1, v1
	v_mul_f32_e64 v3, 0x2f800000, |v1|
	v_ashrrev_i32_e32 v8, 31, v1
	s_delay_alu instid0(VALU_DEP_2) | instskip(NEXT) | instid1(VALU_DEP_1)
	v_floor_f32_e32 v3, v3
	v_fma_f32 v9, 0xcf800000, v3, |v1|
	v_cvt_u32_f32_e32 v1, v3
	s_delay_alu instid0(VALU_DEP_2) | instskip(NEXT) | instid1(VALU_DEP_2)
	v_cvt_u32_f32_e32 v3, v9
	v_dual_mov_b32 v9, v8 :: v_dual_bitop2_b32 v11, v1, v8 bitop3:0x14
	s_delay_alu instid0(VALU_DEP_2) | instskip(NEXT) | instid1(VALU_DEP_1)
	v_xor_b32_e32 v10, v3, v8
	v_sub_nc_u64_e32 v[8:9], v[10:11], v[8:9]
.LBB55_974:
	s_or_b32 exec_lo, exec_lo, s49
	s_mov_b32 s49, 0
	s_branch .LBB55_980
.LBB55_975:
	s_mov_b32 s50, -1
                                        ; implicit-def: $vgpr8_vgpr9
	s_branch .LBB55_986
.LBB55_976:
	s_and_not1_saveexec_b32 s49, s49
	s_cbranch_execz .LBB55_961
.LBB55_977:
	v_cmp_ne_u16_e32 vcc_lo, 0, v1
	s_and_not1_b32 s50, s50, exec_lo
	s_and_b32 s51, vcc_lo, exec_lo
	s_delay_alu instid0(SALU_CYCLE_1)
	s_or_b32 s50, s50, s51
	s_or_b32 exec_lo, exec_lo, s49
	v_mov_b64_e32 v[8:9], 0
	s_and_saveexec_b32 s49, s50
	s_cbranch_execnz .LBB55_962
	s_branch .LBB55_963
.LBB55_978:
	s_mov_b32 s49, -1
                                        ; implicit-def: $vgpr8_vgpr9
	s_branch .LBB55_983
.LBB55_979:
	s_mov_b32 s49, -1
                                        ; implicit-def: $vgpr8_vgpr9
.LBB55_980:
	s_delay_alu instid0(SALU_CYCLE_1)
	s_and_b32 vcc_lo, exec_lo, s49
	s_cbranch_vccz .LBB55_982
; %bb.981:
	global_load_u8 v1, v[6:7], off
	s_wait_loadcnt 0x0
	v_lshlrev_b32_e32 v1, 24, v1
	s_delay_alu instid0(VALU_DEP_1) | instskip(SKIP_1) | instid1(VALU_DEP_1)
	v_and_b32_e32 v3, 0x7f000000, v1
	s_wait_xcnt 0x1
	v_clz_i32_u32_e32 v8, v3
	v_cmp_ne_u32_e32 vcc_lo, 0, v3
	v_add_nc_u32_e32 v10, 0x1000000, v3
	s_delay_alu instid0(VALU_DEP_3) | instskip(NEXT) | instid1(VALU_DEP_1)
	v_min_u32_e32 v8, 32, v8
	v_sub_nc_u32_e64 v8, v8, 4 clamp
	s_delay_alu instid0(VALU_DEP_1) | instskip(NEXT) | instid1(VALU_DEP_1)
	v_dual_lshlrev_b32 v9, v8, v3 :: v_dual_lshlrev_b32 v8, 23, v8
	v_lshrrev_b32_e32 v9, 4, v9
	s_delay_alu instid0(VALU_DEP_1) | instskip(NEXT) | instid1(VALU_DEP_1)
	v_dual_sub_nc_u32 v8, v9, v8 :: v_dual_ashrrev_i32 v9, 8, v10
	v_add_nc_u32_e32 v8, 0x3c000000, v8
	s_delay_alu instid0(VALU_DEP_1) | instskip(NEXT) | instid1(VALU_DEP_1)
	v_and_or_b32 v8, 0x7f800000, v9, v8
	v_cndmask_b32_e32 v3, 0, v8, vcc_lo
	s_delay_alu instid0(VALU_DEP_1) | instskip(NEXT) | instid1(VALU_DEP_1)
	v_and_or_b32 v1, 0x80000000, v1, v3
	v_trunc_f32_e32 v1, v1
	s_delay_alu instid0(VALU_DEP_1) | instskip(SKIP_1) | instid1(VALU_DEP_2)
	v_mul_f32_e64 v3, 0x2f800000, |v1|
	v_ashrrev_i32_e32 v8, 31, v1
	v_floor_f32_e32 v3, v3
	s_delay_alu instid0(VALU_DEP_1) | instskip(SKIP_1) | instid1(VALU_DEP_2)
	v_fma_f32 v9, 0xcf800000, v3, |v1|
	v_cvt_u32_f32_e32 v1, v3
	v_cvt_u32_f32_e32 v3, v9
	s_delay_alu instid0(VALU_DEP_2) | instskip(NEXT) | instid1(VALU_DEP_2)
	v_dual_mov_b32 v9, v8 :: v_dual_bitop2_b32 v11, v1, v8 bitop3:0x14
	v_xor_b32_e32 v10, v3, v8
	s_delay_alu instid0(VALU_DEP_1)
	v_sub_nc_u64_e32 v[8:9], v[10:11], v[8:9]
.LBB55_982:
	s_mov_b32 s49, 0
.LBB55_983:
	s_delay_alu instid0(SALU_CYCLE_1)
	s_and_not1_b32 vcc_lo, exec_lo, s49
	s_cbranch_vccnz .LBB55_985
; %bb.984:
	global_load_u8 v1, v[6:7], off
	s_wait_loadcnt 0x0
	v_lshlrev_b32_e32 v3, 25, v1
	v_lshlrev_b16 v1, 8, v1
	s_wait_xcnt 0x1
	s_delay_alu instid0(VALU_DEP_1) | instskip(NEXT) | instid1(VALU_DEP_3)
	v_and_or_b32 v9, 0x7f00, v1, 0.5
	v_lshrrev_b32_e32 v8, 4, v3
	v_bfe_i32 v1, v1, 0, 16
	s_delay_alu instid0(VALU_DEP_3) | instskip(NEXT) | instid1(VALU_DEP_3)
	v_add_f32_e32 v9, -0.5, v9
	v_or_b32_e32 v8, 0x70000000, v8
	s_delay_alu instid0(VALU_DEP_1) | instskip(SKIP_1) | instid1(VALU_DEP_2)
	v_mul_f32_e32 v8, 0x7800000, v8
	v_cmp_gt_u32_e32 vcc_lo, 0x8000000, v3
	v_cndmask_b32_e32 v3, v8, v9, vcc_lo
	s_delay_alu instid0(VALU_DEP_1) | instskip(NEXT) | instid1(VALU_DEP_1)
	v_and_or_b32 v1, 0x80000000, v1, v3
	v_trunc_f32_e32 v1, v1
	s_delay_alu instid0(VALU_DEP_1) | instskip(SKIP_1) | instid1(VALU_DEP_2)
	v_mul_f32_e64 v3, 0x2f800000, |v1|
	v_ashrrev_i32_e32 v8, 31, v1
	v_floor_f32_e32 v3, v3
	s_delay_alu instid0(VALU_DEP_1) | instskip(SKIP_1) | instid1(VALU_DEP_2)
	v_fma_f32 v9, 0xcf800000, v3, |v1|
	v_cvt_u32_f32_e32 v1, v3
	v_cvt_u32_f32_e32 v3, v9
	s_delay_alu instid0(VALU_DEP_2) | instskip(NEXT) | instid1(VALU_DEP_2)
	v_dual_mov_b32 v9, v8 :: v_dual_bitop2_b32 v11, v1, v8 bitop3:0x14
	v_xor_b32_e32 v10, v3, v8
	s_delay_alu instid0(VALU_DEP_1)
	v_sub_nc_u64_e32 v[8:9], v[10:11], v[8:9]
.LBB55_985:
	s_mov_b32 s50, 0
	s_mov_b32 s49, -1
.LBB55_986:
	s_and_not1_b32 vcc_lo, exec_lo, s50
	s_cbranch_vccnz .LBB55_999
; %bb.987:
	s_cmp_gt_i32 s48, 14
	s_cbranch_scc0 .LBB55_990
; %bb.988:
	s_cmp_eq_u32 s48, 15
	s_cbranch_scc0 .LBB55_993
; %bb.989:
	global_load_u16 v1, v[6:7], off
	s_mov_b32 s49, -1
	s_mov_b32 s27, 0
	s_wait_loadcnt 0x0
	v_lshlrev_b32_e32 v1, 16, v1
	s_delay_alu instid0(VALU_DEP_1) | instskip(NEXT) | instid1(VALU_DEP_1)
	v_trunc_f32_e32 v1, v1
	v_mul_f32_e64 v3, 0x2f800000, |v1|
	s_wait_xcnt 0x1
	v_ashrrev_i32_e32 v8, 31, v1
	s_delay_alu instid0(VALU_DEP_2) | instskip(NEXT) | instid1(VALU_DEP_1)
	v_floor_f32_e32 v3, v3
	v_fma_f32 v9, 0xcf800000, v3, |v1|
	v_cvt_u32_f32_e32 v1, v3
	s_delay_alu instid0(VALU_DEP_2) | instskip(NEXT) | instid1(VALU_DEP_2)
	v_cvt_u32_f32_e32 v3, v9
	v_dual_mov_b32 v9, v8 :: v_dual_bitop2_b32 v11, v1, v8 bitop3:0x14
	s_delay_alu instid0(VALU_DEP_2) | instskip(NEXT) | instid1(VALU_DEP_1)
	v_xor_b32_e32 v10, v3, v8
	v_sub_nc_u64_e32 v[8:9], v[10:11], v[8:9]
	s_branch .LBB55_994
.LBB55_990:
	s_mov_b32 s50, -1
                                        ; implicit-def: $vgpr8_vgpr9
	s_branch .LBB55_995
.LBB55_991:
	s_and_not1_saveexec_b32 s49, s49
	s_cbranch_execz .LBB55_972
.LBB55_992:
	v_cmp_ne_u16_e32 vcc_lo, 0, v1
	s_and_not1_b32 s50, s50, exec_lo
	s_and_b32 s51, vcc_lo, exec_lo
	s_delay_alu instid0(SALU_CYCLE_1)
	s_or_b32 s50, s50, s51
	s_or_b32 exec_lo, exec_lo, s49
	v_mov_b64_e32 v[8:9], 0
	s_and_saveexec_b32 s49, s50
	s_cbranch_execnz .LBB55_973
	s_branch .LBB55_974
.LBB55_993:
	s_mov_b32 s27, -1
                                        ; implicit-def: $vgpr8_vgpr9
.LBB55_994:
	s_mov_b32 s50, 0
.LBB55_995:
	s_delay_alu instid0(SALU_CYCLE_1)
	s_and_b32 vcc_lo, exec_lo, s50
	s_cbranch_vccz .LBB55_999
; %bb.996:
	s_cmp_eq_u32 s48, 11
	s_cbranch_scc0 .LBB55_998
; %bb.997:
	global_load_u8 v1, v[6:7], off
	s_mov_b32 s27, 0
	s_mov_b32 s49, -1
	s_wait_loadcnt 0x1
	s_wait_xcnt 0x1
	v_mov_b32_e32 v9, s27
	s_wait_loadcnt 0x0
	v_cmp_ne_u16_e32 vcc_lo, 0, v1
	v_cndmask_b32_e64 v8, 0, 1, vcc_lo
	s_branch .LBB55_999
.LBB55_998:
	s_mov_b32 s27, -1
                                        ; implicit-def: $vgpr8_vgpr9
.LBB55_999:
	s_mov_b32 s48, 0
.LBB55_1000:
	s_delay_alu instid0(SALU_CYCLE_1)
	s_and_b32 vcc_lo, exec_lo, s48
	s_cbranch_vccz .LBB55_1049
; %bb.1001:
	s_and_b32 s0, 0xffff, s0
	s_delay_alu instid0(SALU_CYCLE_1)
	s_cmp_lt_i32 s0, 5
	s_cbranch_scc1 .LBB55_1006
; %bb.1002:
	s_cmp_lt_i32 s0, 8
	s_cbranch_scc1 .LBB55_1007
; %bb.1003:
	;; [unrolled: 3-line block ×3, first 2 shown]
	s_cmp_gt_i32 s0, 9
	s_cbranch_scc0 .LBB55_1009
; %bb.1005:
	s_wait_loadcnt 0x0
	global_load_b64 v[8:9], v[6:7], off
	s_mov_b32 s48, 0
	s_wait_loadcnt 0x0
	v_trunc_f64_e32 v[8:9], v[8:9]
	s_delay_alu instid0(VALU_DEP_1) | instskip(NEXT) | instid1(VALU_DEP_1)
	v_ldexp_f64 v[10:11], v[8:9], 0xffffffe0
	v_floor_f64_e32 v[10:11], v[10:11]
	s_delay_alu instid0(VALU_DEP_1) | instskip(SKIP_1) | instid1(VALU_DEP_2)
	v_fmamk_f64 v[12:13], v[10:11], 0xc1f00000, v[8:9]
	v_cvt_i32_f64_e32 v9, v[10:11]
	v_cvt_u32_f64_e32 v8, v[12:13]
	s_branch .LBB55_1010
.LBB55_1006:
	s_mov_b32 s48, -1
                                        ; implicit-def: $vgpr8_vgpr9
	s_branch .LBB55_1028
.LBB55_1007:
	s_mov_b32 s48, -1
                                        ; implicit-def: $vgpr8_vgpr9
	s_branch .LBB55_1016
.LBB55_1008:
	s_mov_b32 s48, -1
                                        ; implicit-def: $vgpr8_vgpr9
	s_branch .LBB55_1013
.LBB55_1009:
	s_mov_b32 s48, -1
                                        ; implicit-def: $vgpr8_vgpr9
.LBB55_1010:
	s_delay_alu instid0(SALU_CYCLE_1)
	s_and_not1_b32 vcc_lo, exec_lo, s48
	s_cbranch_vccnz .LBB55_1012
; %bb.1011:
	global_load_b32 v1, v[6:7], off
	s_wait_loadcnt 0x0
	v_trunc_f32_e32 v1, v1
	s_delay_alu instid0(VALU_DEP_1) | instskip(SKIP_2) | instid1(VALU_DEP_2)
	v_mul_f32_e64 v3, 0x2f800000, |v1|
	s_wait_xcnt 0x1
	v_ashrrev_i32_e32 v8, 31, v1
	v_floor_f32_e32 v3, v3
	s_delay_alu instid0(VALU_DEP_1) | instskip(SKIP_1) | instid1(VALU_DEP_2)
	v_fma_f32 v9, 0xcf800000, v3, |v1|
	v_cvt_u32_f32_e32 v1, v3
	v_cvt_u32_f32_e32 v3, v9
	s_delay_alu instid0(VALU_DEP_2) | instskip(NEXT) | instid1(VALU_DEP_2)
	v_dual_mov_b32 v9, v8 :: v_dual_bitop2_b32 v11, v1, v8 bitop3:0x14
	v_xor_b32_e32 v10, v3, v8
	s_delay_alu instid0(VALU_DEP_1)
	v_sub_nc_u64_e32 v[8:9], v[10:11], v[8:9]
.LBB55_1012:
	s_mov_b32 s48, 0
.LBB55_1013:
	s_delay_alu instid0(SALU_CYCLE_1)
	s_and_not1_b32 vcc_lo, exec_lo, s48
	s_cbranch_vccnz .LBB55_1015
; %bb.1014:
	global_load_b32 v1, v[6:7], off
	s_wait_loadcnt 0x0
	v_cvt_f32_f16_e32 v1, v1
	s_wait_xcnt 0x1
	s_delay_alu instid0(VALU_DEP_1) | instskip(NEXT) | instid1(VALU_DEP_1)
	v_cvt_i32_f32_e32 v8, v1
	v_ashrrev_i32_e32 v9, 31, v8
.LBB55_1015:
	s_mov_b32 s48, 0
.LBB55_1016:
	s_delay_alu instid0(SALU_CYCLE_1)
	s_and_not1_b32 vcc_lo, exec_lo, s48
	s_cbranch_vccnz .LBB55_1027
; %bb.1017:
	s_cmp_lt_i32 s0, 6
	s_cbranch_scc1 .LBB55_1020
; %bb.1018:
	s_cmp_gt_i32 s0, 6
	s_cbranch_scc0 .LBB55_1021
; %bb.1019:
	s_wait_loadcnt 0x0
	global_load_b64 v[8:9], v[6:7], off
	s_mov_b32 s48, 0
	s_wait_loadcnt 0x0
	v_trunc_f64_e32 v[8:9], v[8:9]
	s_delay_alu instid0(VALU_DEP_1) | instskip(NEXT) | instid1(VALU_DEP_1)
	v_ldexp_f64 v[10:11], v[8:9], 0xffffffe0
	v_floor_f64_e32 v[10:11], v[10:11]
	s_delay_alu instid0(VALU_DEP_1) | instskip(SKIP_1) | instid1(VALU_DEP_2)
	v_fmamk_f64 v[12:13], v[10:11], 0xc1f00000, v[8:9]
	v_cvt_i32_f64_e32 v9, v[10:11]
	v_cvt_u32_f64_e32 v8, v[12:13]
	s_branch .LBB55_1022
.LBB55_1020:
	s_mov_b32 s48, -1
                                        ; implicit-def: $vgpr8_vgpr9
	s_branch .LBB55_1025
.LBB55_1021:
	s_mov_b32 s48, -1
                                        ; implicit-def: $vgpr8_vgpr9
.LBB55_1022:
	s_delay_alu instid0(SALU_CYCLE_1)
	s_and_not1_b32 vcc_lo, exec_lo, s48
	s_cbranch_vccnz .LBB55_1024
; %bb.1023:
	global_load_b32 v1, v[6:7], off
	s_wait_loadcnt 0x0
	v_trunc_f32_e32 v1, v1
	s_delay_alu instid0(VALU_DEP_1) | instskip(SKIP_2) | instid1(VALU_DEP_2)
	v_mul_f32_e64 v3, 0x2f800000, |v1|
	s_wait_xcnt 0x1
	v_ashrrev_i32_e32 v8, 31, v1
	v_floor_f32_e32 v3, v3
	s_delay_alu instid0(VALU_DEP_1) | instskip(SKIP_1) | instid1(VALU_DEP_2)
	v_fma_f32 v9, 0xcf800000, v3, |v1|
	v_cvt_u32_f32_e32 v1, v3
	v_cvt_u32_f32_e32 v3, v9
	s_delay_alu instid0(VALU_DEP_2) | instskip(NEXT) | instid1(VALU_DEP_2)
	v_dual_mov_b32 v9, v8 :: v_dual_bitop2_b32 v11, v1, v8 bitop3:0x14
	v_xor_b32_e32 v10, v3, v8
	s_delay_alu instid0(VALU_DEP_1)
	v_sub_nc_u64_e32 v[8:9], v[10:11], v[8:9]
.LBB55_1024:
	s_mov_b32 s48, 0
.LBB55_1025:
	s_delay_alu instid0(SALU_CYCLE_1)
	s_and_not1_b32 vcc_lo, exec_lo, s48
	s_cbranch_vccnz .LBB55_1027
; %bb.1026:
	global_load_u16 v1, v[6:7], off
	s_wait_loadcnt 0x0
	v_cvt_f32_f16_e32 v1, v1
	s_wait_xcnt 0x1
	s_delay_alu instid0(VALU_DEP_1) | instskip(NEXT) | instid1(VALU_DEP_1)
	v_cvt_i32_f32_e32 v8, v1
	v_ashrrev_i32_e32 v9, 31, v8
.LBB55_1027:
	s_mov_b32 s48, 0
.LBB55_1028:
	s_delay_alu instid0(SALU_CYCLE_1)
	s_and_not1_b32 vcc_lo, exec_lo, s48
	s_cbranch_vccnz .LBB55_1048
; %bb.1029:
	s_cmp_lt_i32 s0, 2
	s_cbranch_scc1 .LBB55_1033
; %bb.1030:
	s_cmp_lt_i32 s0, 3
	s_cbranch_scc1 .LBB55_1034
; %bb.1031:
	s_cmp_gt_i32 s0, 3
	s_cbranch_scc0 .LBB55_1035
; %bb.1032:
	s_wait_loadcnt 0x0
	global_load_b64 v[8:9], v[6:7], off
	s_mov_b32 s48, 0
	s_branch .LBB55_1036
.LBB55_1033:
	s_mov_b32 s48, -1
                                        ; implicit-def: $vgpr8_vgpr9
	s_branch .LBB55_1042
.LBB55_1034:
	s_mov_b32 s48, -1
                                        ; implicit-def: $vgpr8_vgpr9
	s_branch .LBB55_1039
.LBB55_1035:
	s_mov_b32 s48, -1
                                        ; implicit-def: $vgpr8_vgpr9
.LBB55_1036:
	s_delay_alu instid0(SALU_CYCLE_1)
	s_and_not1_b32 vcc_lo, exec_lo, s48
	s_cbranch_vccnz .LBB55_1038
; %bb.1037:
	s_wait_loadcnt 0x0
	global_load_b32 v8, v[6:7], off
	s_wait_loadcnt 0x0
	v_ashrrev_i32_e32 v9, 31, v8
.LBB55_1038:
	s_mov_b32 s48, 0
.LBB55_1039:
	s_delay_alu instid0(SALU_CYCLE_1)
	s_and_not1_b32 vcc_lo, exec_lo, s48
	s_cbranch_vccnz .LBB55_1041
; %bb.1040:
	global_load_u16 v1, v[6:7], off
	s_wait_loadcnt 0x0
	s_wait_xcnt 0x1
	v_bfe_i32 v8, v1, 0, 16
	s_delay_alu instid0(VALU_DEP_1)
	v_ashrrev_i32_e32 v9, 31, v8
.LBB55_1041:
	s_mov_b32 s48, 0
.LBB55_1042:
	s_delay_alu instid0(SALU_CYCLE_1)
	s_and_not1_b32 vcc_lo, exec_lo, s48
	s_cbranch_vccnz .LBB55_1048
; %bb.1043:
	s_cmp_gt_i32 s0, 0
	s_mov_b32 s0, 0
	s_cbranch_scc0 .LBB55_1045
; %bb.1044:
	global_load_i8 v1, v[6:7], off
	s_wait_loadcnt 0x0
	s_wait_xcnt 0x1
	v_bfe_i32 v8, v1, 0, 16
	s_delay_alu instid0(VALU_DEP_1)
	v_ashrrev_i32_e32 v9, 31, v8
	s_branch .LBB55_1046
.LBB55_1045:
	s_mov_b32 s0, -1
                                        ; implicit-def: $vgpr8_vgpr9
.LBB55_1046:
	s_delay_alu instid0(SALU_CYCLE_1)
	s_and_not1_b32 vcc_lo, exec_lo, s0
	s_cbranch_vccnz .LBB55_1048
; %bb.1047:
	global_load_u8 v1, v[6:7], off
	s_mov_b32 s0, 0
	s_wait_loadcnt 0x1
	s_wait_xcnt 0x1
	v_mov_b32_e32 v9, s0
	s_wait_loadcnt 0x0
	v_and_b32_e32 v8, 0xffff, v1
.LBB55_1048:
	s_mov_b32 s49, -1
.LBB55_1049:
	s_delay_alu instid0(SALU_CYCLE_1)
	s_and_not1_b32 vcc_lo, exec_lo, s49
	s_cbranch_vccnz .LBB55_1057
; %bb.1050:
	v_mov_b32_e32 v3, 0
	s_wait_loadcnt 0x0
	s_delay_alu instid0(VALU_DEP_2) | instskip(SKIP_1) | instid1(VALU_DEP_2)
	v_cmp_ne_u64_e32 vcc_lo, v[4:5], v[8:9]
	s_and_b32 s49, s11, 0xff
	v_add_nc_u64_e32 v[2:3], s[4:5], v[2:3]
	s_xor_b32 s48, s10, vcc_lo
	s_cmp_lt_i32 s49, 11
	s_cbranch_scc1 .LBB55_1058
; %bb.1051:
	s_and_b32 s50, 0xffff, s49
	s_delay_alu instid0(SALU_CYCLE_1)
	s_cmp_gt_i32 s50, 25
	s_cbranch_scc0 .LBB55_1059
; %bb.1052:
	s_cmp_gt_i32 s50, 28
	s_cbranch_scc0 .LBB55_1060
; %bb.1053:
	;; [unrolled: 3-line block ×4, first 2 shown]
	s_mov_b32 s52, 0
	s_mov_b32 s0, -1
	s_cmp_eq_u32 s50, 46
	s_mov_b32 s51, 0
	s_cbranch_scc0 .LBB55_1063
; %bb.1056:
	v_cndmask_b32_e64 v1, 0, 1.0, s48
	s_mov_b32 s51, -1
	s_mov_b32 s0, 0
	s_delay_alu instid0(VALU_DEP_1) | instskip(NEXT) | instid1(VALU_DEP_1)
	v_bfe_u32 v4, v1, 16, 1
	v_add3_u32 v1, v1, v4, 0x7fff
	s_delay_alu instid0(VALU_DEP_1)
	v_lshrrev_b32_e32 v1, 16, v1
	global_store_b32 v[2:3], v1, off
	s_branch .LBB55_1063
.LBB55_1057:
	s_mov_b32 s51, 0
	s_mov_b32 s0, s44
	s_branch .LBB55_1174
.LBB55_1058:
	s_mov_b32 s50, -1
	s_mov_b32 s51, 0
	s_mov_b32 s0, s44
	s_branch .LBB55_1132
.LBB55_1059:
	s_mov_b32 s52, -1
	s_mov_b32 s51, 0
	s_mov_b32 s0, s44
	s_branch .LBB55_1090
.LBB55_1060:
	s_mov_b32 s52, -1
	s_mov_b32 s51, 0
	s_mov_b32 s0, s44
	s_branch .LBB55_1073
.LBB55_1061:
	s_mov_b32 s52, -1
	s_mov_b32 s51, 0
	s_mov_b32 s0, s44
	s_branch .LBB55_1069
.LBB55_1062:
	s_mov_b32 s52, -1
	s_mov_b32 s51, 0
	s_mov_b32 s0, s44
.LBB55_1063:
	s_and_b32 vcc_lo, exec_lo, s52
	s_cbranch_vccz .LBB55_1068
; %bb.1064:
	s_cmp_eq_u32 s50, 44
	s_mov_b32 s0, -1
	s_cbranch_scc0 .LBB55_1068
; %bb.1065:
	v_cndmask_b32_e64 v5, 0, 1.0, s48
	s_mov_b32 s51, exec_lo
	s_wait_xcnt 0x0
	s_delay_alu instid0(VALU_DEP_1) | instskip(NEXT) | instid1(VALU_DEP_1)
	v_dual_mov_b32 v4, 0xff :: v_dual_lshrrev_b32 v1, 23, v5
	v_cmpx_ne_u32_e32 0xff, v1
; %bb.1066:
	v_and_b32_e32 v4, 0x400000, v5
	v_and_or_b32 v5, 0x3fffff, v5, v1
	s_delay_alu instid0(VALU_DEP_2) | instskip(NEXT) | instid1(VALU_DEP_2)
	v_cmp_ne_u32_e32 vcc_lo, 0, v4
	v_cmp_ne_u32_e64 s0, 0, v5
	s_and_b32 s0, vcc_lo, s0
	s_delay_alu instid0(SALU_CYCLE_1) | instskip(NEXT) | instid1(VALU_DEP_1)
	v_cndmask_b32_e64 v4, 0, 1, s0
	v_add_nc_u32_e32 v4, v1, v4
; %bb.1067:
	s_or_b32 exec_lo, exec_lo, s51
	s_mov_b32 s51, -1
	s_mov_b32 s0, 0
	global_store_b8 v[2:3], v4, off
.LBB55_1068:
	s_mov_b32 s52, 0
.LBB55_1069:
	s_delay_alu instid0(SALU_CYCLE_1)
	s_and_b32 vcc_lo, exec_lo, s52
	s_cbranch_vccz .LBB55_1072
; %bb.1070:
	s_cmp_eq_u32 s50, 29
	s_mov_b32 s0, -1
	s_cbranch_scc0 .LBB55_1072
; %bb.1071:
	s_mov_b32 s0, 0
	s_wait_xcnt 0x0
	v_cndmask_b32_e64 v4, 0, 1, s48
	v_mov_b32_e32 v5, s0
	s_mov_b32 s51, -1
	s_mov_b32 s52, 0
	global_store_b64 v[2:3], v[4:5], off
	s_branch .LBB55_1073
.LBB55_1072:
	s_mov_b32 s52, 0
.LBB55_1073:
	s_delay_alu instid0(SALU_CYCLE_1)
	s_and_b32 vcc_lo, exec_lo, s52
	s_cbranch_vccz .LBB55_1089
; %bb.1074:
	s_cmp_lt_i32 s50, 27
	s_mov_b32 s51, -1
	s_cbranch_scc1 .LBB55_1080
; %bb.1075:
	s_cmp_gt_i32 s50, 27
	s_cbranch_scc0 .LBB55_1077
; %bb.1076:
	s_wait_xcnt 0x0
	v_cndmask_b32_e64 v1, 0, 1, s48
	s_mov_b32 s51, 0
	global_store_b32 v[2:3], v1, off
.LBB55_1077:
	s_and_not1_b32 vcc_lo, exec_lo, s51
	s_cbranch_vccnz .LBB55_1079
; %bb.1078:
	s_wait_xcnt 0x0
	v_cndmask_b32_e64 v1, 0, 1, s48
	global_store_b16 v[2:3], v1, off
.LBB55_1079:
	s_mov_b32 s51, 0
.LBB55_1080:
	s_delay_alu instid0(SALU_CYCLE_1)
	s_and_not1_b32 vcc_lo, exec_lo, s51
	s_cbranch_vccnz .LBB55_1088
; %bb.1081:
	s_wait_xcnt 0x0
	v_cndmask_b32_e64 v4, 0, 1.0, s48
	v_mov_b32_e32 v5, 0x80
	s_mov_b32 s51, exec_lo
	s_delay_alu instid0(VALU_DEP_2)
	v_cmpx_gt_u32_e32 0x43800000, v4
	s_cbranch_execz .LBB55_1087
; %bb.1082:
	s_mov_b32 s52, 0
	s_mov_b32 s53, exec_lo
                                        ; implicit-def: $vgpr1
	v_cmpx_lt_u32_e32 0x3bffffff, v4
	s_xor_b32 s53, exec_lo, s53
	s_cbranch_execz .LBB55_1202
; %bb.1083:
	v_bfe_u32 v1, v4, 20, 1
	s_mov_b32 s52, exec_lo
	s_delay_alu instid0(VALU_DEP_1) | instskip(NEXT) | instid1(VALU_DEP_1)
	v_add3_u32 v1, v4, v1, 0x487ffff
                                        ; implicit-def: $vgpr4
	v_lshrrev_b32_e32 v1, 20, v1
	s_and_not1_saveexec_b32 s53, s53
	s_cbranch_execnz .LBB55_1203
.LBB55_1084:
	s_or_b32 exec_lo, exec_lo, s53
	v_mov_b32_e32 v5, 0
	s_and_saveexec_b32 s53, s52
.LBB55_1085:
	v_mov_b32_e32 v5, v1
.LBB55_1086:
	s_or_b32 exec_lo, exec_lo, s53
.LBB55_1087:
	s_delay_alu instid0(SALU_CYCLE_1)
	s_or_b32 exec_lo, exec_lo, s51
	global_store_b8 v[2:3], v5, off
.LBB55_1088:
	s_mov_b32 s51, -1
.LBB55_1089:
	s_mov_b32 s52, 0
.LBB55_1090:
	s_delay_alu instid0(SALU_CYCLE_1)
	s_and_b32 vcc_lo, exec_lo, s52
	s_cbranch_vccz .LBB55_1131
; %bb.1091:
	s_cmp_gt_i32 s50, 22
	s_mov_b32 s52, -1
	s_cbranch_scc0 .LBB55_1123
; %bb.1092:
	s_cmp_lt_i32 s50, 24
	s_mov_b32 s51, -1
	s_cbranch_scc1 .LBB55_1112
; %bb.1093:
	s_cmp_gt_i32 s50, 24
	s_cbranch_scc0 .LBB55_1101
; %bb.1094:
	s_wait_xcnt 0x0
	v_cndmask_b32_e64 v4, 0, 1.0, s48
	v_mov_b32_e32 v5, 0x80
	s_mov_b32 s51, exec_lo
	s_delay_alu instid0(VALU_DEP_2)
	v_cmpx_gt_u32_e32 0x47800000, v4
	s_cbranch_execz .LBB55_1100
; %bb.1095:
	s_mov_b32 s52, 0
	s_mov_b32 s53, exec_lo
                                        ; implicit-def: $vgpr1
	v_cmpx_lt_u32_e32 0x37ffffff, v4
	s_xor_b32 s53, exec_lo, s53
	s_cbranch_execz .LBB55_2245
; %bb.1096:
	v_bfe_u32 v1, v4, 21, 1
	s_mov_b32 s52, exec_lo
	s_delay_alu instid0(VALU_DEP_1) | instskip(NEXT) | instid1(VALU_DEP_1)
	v_add3_u32 v1, v4, v1, 0x88fffff
                                        ; implicit-def: $vgpr4
	v_lshrrev_b32_e32 v1, 21, v1
	s_and_not1_saveexec_b32 s53, s53
	s_cbranch_execnz .LBB55_2246
.LBB55_1097:
	s_or_b32 exec_lo, exec_lo, s53
	v_mov_b32_e32 v5, 0
	s_and_saveexec_b32 s53, s52
.LBB55_1098:
	v_mov_b32_e32 v5, v1
.LBB55_1099:
	s_or_b32 exec_lo, exec_lo, s53
.LBB55_1100:
	s_delay_alu instid0(SALU_CYCLE_1)
	s_or_b32 exec_lo, exec_lo, s51
	s_mov_b32 s51, 0
	global_store_b8 v[2:3], v5, off
.LBB55_1101:
	s_and_b32 vcc_lo, exec_lo, s51
	s_cbranch_vccz .LBB55_1111
; %bb.1102:
	s_wait_xcnt 0x0
	v_cndmask_b32_e64 v4, 0, 1.0, s48
	s_mov_b32 s51, exec_lo
                                        ; implicit-def: $vgpr1
	s_delay_alu instid0(VALU_DEP_1)
	v_cmpx_gt_u32_e32 0x43f00000, v4
	s_xor_b32 s51, exec_lo, s51
	s_cbranch_execz .LBB55_1108
; %bb.1103:
	s_mov_b32 s52, exec_lo
                                        ; implicit-def: $vgpr1
	v_cmpx_lt_u32_e32 0x3c7fffff, v4
	s_xor_b32 s52, exec_lo, s52
; %bb.1104:
	v_bfe_u32 v1, v4, 20, 1
	s_delay_alu instid0(VALU_DEP_1) | instskip(NEXT) | instid1(VALU_DEP_1)
	v_add3_u32 v1, v4, v1, 0x407ffff
	v_and_b32_e32 v4, 0xff00000, v1
	v_lshrrev_b32_e32 v1, 20, v1
	s_delay_alu instid0(VALU_DEP_2) | instskip(NEXT) | instid1(VALU_DEP_2)
	v_cmp_ne_u32_e32 vcc_lo, 0x7f00000, v4
                                        ; implicit-def: $vgpr4
	v_cndmask_b32_e32 v1, 0x7e, v1, vcc_lo
; %bb.1105:
	s_and_not1_saveexec_b32 s52, s52
; %bb.1106:
	v_add_f32_e32 v1, 0x46800000, v4
; %bb.1107:
	s_or_b32 exec_lo, exec_lo, s52
                                        ; implicit-def: $vgpr4
.LBB55_1108:
	s_and_not1_saveexec_b32 s51, s51
; %bb.1109:
	v_mov_b32_e32 v1, 0x7f
	v_cmp_lt_u32_e32 vcc_lo, 0x7f800000, v4
	s_delay_alu instid0(VALU_DEP_2)
	v_cndmask_b32_e32 v1, 0x7e, v1, vcc_lo
; %bb.1110:
	s_or_b32 exec_lo, exec_lo, s51
	global_store_b8 v[2:3], v1, off
.LBB55_1111:
	s_mov_b32 s51, 0
.LBB55_1112:
	s_delay_alu instid0(SALU_CYCLE_1)
	s_and_not1_b32 vcc_lo, exec_lo, s51
	s_cbranch_vccnz .LBB55_1122
; %bb.1113:
	s_wait_xcnt 0x0
	v_cndmask_b32_e64 v4, 0, 1.0, s48
	s_mov_b32 s51, exec_lo
                                        ; implicit-def: $vgpr1
	s_delay_alu instid0(VALU_DEP_1)
	v_cmpx_gt_u32_e32 0x47800000, v4
	s_xor_b32 s51, exec_lo, s51
	s_cbranch_execz .LBB55_1119
; %bb.1114:
	s_mov_b32 s52, exec_lo
                                        ; implicit-def: $vgpr1
	v_cmpx_lt_u32_e32 0x387fffff, v4
	s_xor_b32 s52, exec_lo, s52
; %bb.1115:
	v_bfe_u32 v1, v4, 21, 1
	s_delay_alu instid0(VALU_DEP_1) | instskip(NEXT) | instid1(VALU_DEP_1)
	v_add3_u32 v1, v4, v1, 0x80fffff
                                        ; implicit-def: $vgpr4
	v_lshrrev_b32_e32 v1, 21, v1
; %bb.1116:
	s_and_not1_saveexec_b32 s52, s52
; %bb.1117:
	v_add_f32_e32 v1, 0x43000000, v4
; %bb.1118:
	s_or_b32 exec_lo, exec_lo, s52
                                        ; implicit-def: $vgpr4
.LBB55_1119:
	s_and_not1_saveexec_b32 s51, s51
; %bb.1120:
	v_mov_b32_e32 v1, 0x7f
	v_cmp_lt_u32_e32 vcc_lo, 0x7f800000, v4
	s_delay_alu instid0(VALU_DEP_2)
	v_cndmask_b32_e32 v1, 0x7c, v1, vcc_lo
; %bb.1121:
	s_or_b32 exec_lo, exec_lo, s51
	global_store_b8 v[2:3], v1, off
.LBB55_1122:
	s_mov_b32 s52, 0
	s_mov_b32 s51, -1
.LBB55_1123:
	s_and_not1_b32 vcc_lo, exec_lo, s52
	s_cbranch_vccnz .LBB55_1131
; %bb.1124:
	s_cmp_gt_i32 s50, 14
	s_mov_b32 s52, -1
	s_cbranch_scc0 .LBB55_1128
; %bb.1125:
	s_cmp_eq_u32 s50, 15
	s_mov_b32 s0, -1
	s_cbranch_scc0 .LBB55_1127
; %bb.1126:
	s_wait_xcnt 0x0
	v_cndmask_b32_e64 v1, 0, 1.0, s48
	s_mov_b32 s51, -1
	s_mov_b32 s0, 0
	s_delay_alu instid0(VALU_DEP_1) | instskip(NEXT) | instid1(VALU_DEP_1)
	v_bfe_u32 v4, v1, 16, 1
	v_add3_u32 v1, v1, v4, 0x7fff
	global_store_d16_hi_b16 v[2:3], v1, off
.LBB55_1127:
	s_mov_b32 s52, 0
.LBB55_1128:
	s_delay_alu instid0(SALU_CYCLE_1)
	s_and_b32 vcc_lo, exec_lo, s52
	s_cbranch_vccz .LBB55_1131
; %bb.1129:
	s_cmp_eq_u32 s50, 11
	s_mov_b32 s0, -1
	s_cbranch_scc0 .LBB55_1131
; %bb.1130:
	s_wait_xcnt 0x0
	v_cndmask_b32_e64 v1, 0, 1, s48
	s_mov_b32 s51, -1
	s_mov_b32 s0, 0
	global_store_b8 v[2:3], v1, off
.LBB55_1131:
	s_mov_b32 s50, 0
.LBB55_1132:
	s_delay_alu instid0(SALU_CYCLE_1)
	s_and_b32 vcc_lo, exec_lo, s50
	s_cbranch_vccz .LBB55_1171
; %bb.1133:
	s_and_b32 s49, 0xffff, s49
	s_mov_b32 s50, -1
	s_cmp_lt_i32 s49, 5
	s_cbranch_scc1 .LBB55_1154
; %bb.1134:
	s_cmp_lt_i32 s49, 8
	s_cbranch_scc1 .LBB55_1144
; %bb.1135:
	;; [unrolled: 3-line block ×3, first 2 shown]
	s_cmp_gt_i32 s49, 9
	s_cbranch_scc0 .LBB55_1138
; %bb.1137:
	s_wait_xcnt 0x0
	v_cndmask_b32_e64 v1, 0, 1, s48
	v_mov_b32_e32 v6, 0
	s_mov_b32 s50, 0
	s_delay_alu instid0(VALU_DEP_2) | instskip(NEXT) | instid1(VALU_DEP_2)
	v_cvt_f64_u32_e32 v[4:5], v1
	v_mov_b32_e32 v7, v6
	global_store_b128 v[2:3], v[4:7], off
.LBB55_1138:
	s_and_not1_b32 vcc_lo, exec_lo, s50
	s_cbranch_vccnz .LBB55_1140
; %bb.1139:
	s_wait_xcnt 0x0
	v_cndmask_b32_e64 v4, 0, 1.0, s48
	v_mov_b32_e32 v5, 0
	global_store_b64 v[2:3], v[4:5], off
.LBB55_1140:
	s_mov_b32 s50, 0
.LBB55_1141:
	s_delay_alu instid0(SALU_CYCLE_1)
	s_and_not1_b32 vcc_lo, exec_lo, s50
	s_cbranch_vccnz .LBB55_1143
; %bb.1142:
	s_wait_xcnt 0x0
	v_cndmask_b32_e64 v1, 0, 1.0, s48
	s_delay_alu instid0(VALU_DEP_1) | instskip(NEXT) | instid1(VALU_DEP_1)
	v_cvt_f16_f32_e32 v1, v1
	v_and_b32_e32 v1, 0xffff, v1
	global_store_b32 v[2:3], v1, off
.LBB55_1143:
	s_mov_b32 s50, 0
.LBB55_1144:
	s_delay_alu instid0(SALU_CYCLE_1)
	s_and_not1_b32 vcc_lo, exec_lo, s50
	s_cbranch_vccnz .LBB55_1153
; %bb.1145:
	s_cmp_lt_i32 s49, 6
	s_mov_b32 s50, -1
	s_cbranch_scc1 .LBB55_1151
; %bb.1146:
	s_cmp_gt_i32 s49, 6
	s_cbranch_scc0 .LBB55_1148
; %bb.1147:
	s_wait_xcnt 0x0
	v_cndmask_b32_e64 v1, 0, 1, s48
	s_mov_b32 s50, 0
	s_delay_alu instid0(VALU_DEP_1)
	v_cvt_f64_u32_e32 v[4:5], v1
	global_store_b64 v[2:3], v[4:5], off
.LBB55_1148:
	s_and_not1_b32 vcc_lo, exec_lo, s50
	s_cbranch_vccnz .LBB55_1150
; %bb.1149:
	s_wait_xcnt 0x0
	v_cndmask_b32_e64 v1, 0, 1.0, s48
	global_store_b32 v[2:3], v1, off
.LBB55_1150:
	s_mov_b32 s50, 0
.LBB55_1151:
	s_delay_alu instid0(SALU_CYCLE_1)
	s_and_not1_b32 vcc_lo, exec_lo, s50
	s_cbranch_vccnz .LBB55_1153
; %bb.1152:
	s_wait_xcnt 0x0
	v_cndmask_b32_e64 v1, 0, 1.0, s48
	s_delay_alu instid0(VALU_DEP_1)
	v_cvt_f16_f32_e32 v1, v1
	global_store_b16 v[2:3], v1, off
.LBB55_1153:
	s_mov_b32 s50, 0
.LBB55_1154:
	s_delay_alu instid0(SALU_CYCLE_1)
	s_and_not1_b32 vcc_lo, exec_lo, s50
	s_cbranch_vccnz .LBB55_1170
; %bb.1155:
	s_cmp_lt_i32 s49, 2
	s_mov_b32 s50, -1
	s_cbranch_scc1 .LBB55_1165
; %bb.1156:
	s_cmp_lt_i32 s49, 3
	s_cbranch_scc1 .LBB55_1162
; %bb.1157:
	s_cmp_gt_i32 s49, 3
	s_cbranch_scc0 .LBB55_1159
; %bb.1158:
	s_mov_b32 s50, 0
	s_wait_xcnt 0x0
	v_cndmask_b32_e64 v4, 0, 1, s48
	v_mov_b32_e32 v5, s50
	global_store_b64 v[2:3], v[4:5], off
.LBB55_1159:
	s_and_not1_b32 vcc_lo, exec_lo, s50
	s_cbranch_vccnz .LBB55_1161
; %bb.1160:
	s_wait_xcnt 0x0
	v_cndmask_b32_e64 v1, 0, 1, s48
	global_store_b32 v[2:3], v1, off
.LBB55_1161:
	s_mov_b32 s50, 0
.LBB55_1162:
	s_delay_alu instid0(SALU_CYCLE_1)
	s_and_not1_b32 vcc_lo, exec_lo, s50
	s_cbranch_vccnz .LBB55_1164
; %bb.1163:
	s_wait_xcnt 0x0
	v_cndmask_b32_e64 v1, 0, 1, s48
	global_store_b16 v[2:3], v1, off
.LBB55_1164:
	s_mov_b32 s50, 0
.LBB55_1165:
	s_delay_alu instid0(SALU_CYCLE_1)
	s_and_not1_b32 vcc_lo, exec_lo, s50
	s_cbranch_vccnz .LBB55_1170
; %bb.1166:
	s_wait_xcnt 0x0
	v_cndmask_b32_e64 v1, 0, 1, s48
	s_cmp_gt_i32 s49, 0
	s_mov_b32 s48, -1
	s_cbranch_scc0 .LBB55_1168
; %bb.1167:
	s_mov_b32 s48, 0
	global_store_b8 v[2:3], v1, off
.LBB55_1168:
	s_and_not1_b32 vcc_lo, exec_lo, s48
	s_cbranch_vccnz .LBB55_1170
; %bb.1169:
	global_store_b8 v[2:3], v1, off
.LBB55_1170:
	s_mov_b32 s51, -1
.LBB55_1171:
	s_delay_alu instid0(SALU_CYCLE_1)
	s_and_not1_b32 vcc_lo, exec_lo, s51
	s_cbranch_vccnz .LBB55_1173
; %bb.1172:
	v_add_nc_u32_e32 v0, 0x80, v0
	s_mov_b32 s51, -1
	s_branch .LBB55_1175
.LBB55_1173:
	s_mov_b32 s51, 0
.LBB55_1174:
                                        ; implicit-def: $vgpr0
.LBB55_1175:
	s_and_not1_b32 s48, s44, exec_lo
	s_and_b32 s0, s0, exec_lo
	s_and_b32 s27, s27, exec_lo
	s_or_b32 s49, s48, s0
	s_and_not1_b32 s0, s45, exec_lo
	s_and_not1_b32 s48, s43, exec_lo
	s_and_b32 s26, s26, exec_lo
	s_or_b32 s50, s0, s27
	s_or_b32 s48, s48, s26
	s_or_not1_b32 s52, s51, exec_lo
.LBB55_1176:
	s_wait_xcnt 0x0
	s_or_b32 exec_lo, exec_lo, s47
	s_mov_b32 s27, 0
	s_mov_b32 s51, 0
	;; [unrolled: 1-line block ×3, first 2 shown]
                                        ; implicit-def: $sgpr0
                                        ; implicit-def: $vgpr8_vgpr9
                                        ; implicit-def: $vgpr6
                                        ; implicit-def: $vgpr2
                                        ; implicit-def: $vgpr4_vgpr5
	s_and_saveexec_b32 s47, s52
	s_cbranch_execz .LBB55_1267
; %bb.1177:
	v_cmp_gt_i32_e32 vcc_lo, s37, v0
	s_mov_b32 s52, s48
                                        ; implicit-def: $sgpr0
                                        ; implicit-def: $vgpr8_vgpr9
                                        ; implicit-def: $vgpr6
                                        ; implicit-def: $vgpr2
                                        ; implicit-def: $vgpr4_vgpr5
	s_and_saveexec_b32 s37, vcc_lo
	s_cbranch_execz .LBB55_1266
; %bb.1178:
	s_and_not1_b32 vcc_lo, exec_lo, s31
	s_cbranch_vccnz .LBB55_1184
; %bb.1179:
	s_and_not1_b32 vcc_lo, exec_lo, s38
	s_cbranch_vccnz .LBB55_1185
; %bb.1180:
	v_dual_mov_b32 v2, 0 :: v_dual_mov_b32 v1, v0
	s_wait_loadcnt 0x0
	v_dual_mov_b32 v4, 0 :: v_dual_mov_b32 v6, 0
	s_add_co_i32 s0, s36, 1
	s_mov_b64 s[26:27], 0xffffffffffffffe8
	s_and_b32 s0, s0, 30
	s_add_nc_u64 s[26:27], s[2:3], s[26:27]
.LBB55_1181:                            ; =>This Inner Loop Header: Depth=1
	s_clause 0x1
	s_load_b128 s[52:55], s[26:27], 0x1c
	s_load_b64 s[60:61], s[26:27], 0x2c
	s_add_co_i32 s0, s0, -2
	s_delay_alu instid0(SALU_CYCLE_1) | instskip(SKIP_2) | instid1(VALU_DEP_1)
	s_cmp_eq_u32 s0, 0
	s_wait_kmcnt 0x0
	v_mul_hi_u32 v3, s53, v1
	v_add_nc_u32_e32 v3, v1, v3
	s_delay_alu instid0(VALU_DEP_1) | instskip(NEXT) | instid1(VALU_DEP_1)
	v_lshrrev_b32_e32 v3, s54, v3
	v_mul_hi_u32 v5, s60, v3
	v_mul_lo_u32 v7, v3, s52
	s_clause 0x1
	s_load_b128 s[56:59], s[26:27], 0xdc
	s_load_b64 s[52:53], s[26:27], 0xec
	s_wait_xcnt 0x0
	s_add_nc_u64 s[26:27], s[26:27], 24
	s_delay_alu instid0(VALU_DEP_1) | instskip(NEXT) | instid1(VALU_DEP_1)
	v_dual_add_nc_u32 v5, v3, v5 :: v_dual_sub_nc_u32 v7, v1, v7
	v_lshrrev_b32_e32 v1, s61, v5
	s_wait_kmcnt 0x0
	s_delay_alu instid0(VALU_DEP_2) | instskip(NEXT) | instid1(VALU_DEP_2)
	v_mad_u32 v2, v7, s56, v2
	v_mul_lo_u32 v5, v1, s55
	v_mad_u32 v6, v7, s58, v6
	v_mad_u32 v4, v7, s57, v4
	s_delay_alu instid0(VALU_DEP_3) | instskip(NEXT) | instid1(VALU_DEP_1)
	v_sub_nc_u32_e32 v3, v3, v5
	v_mad_u32 v2, v3, s59, v2
	s_delay_alu instid0(VALU_DEP_4) | instskip(NEXT) | instid1(VALU_DEP_4)
	v_mad_u32 v6, v3, s53, v6
	v_mad_u32 v4, v3, s52, v4
	s_cbranch_scc0 .LBB55_1181
; %bb.1182:
	s_bitcmp1_b32 s36, 0
	s_cselect_b32 s0, -1, 0
	s_delay_alu instid0(SALU_CYCLE_1)
	s_and_b32 vcc_lo, exec_lo, s0
	s_cbranch_vccnz .LBB55_1186
; %bb.1183:
	s_clause 0x1
	s_load_b96 s[52:54], s[26:27], 0x1c
	s_load_b96 s[56:58], s[26:27], 0xdc
	s_wait_kmcnt 0x0
	v_mul_hi_u32 v3, s53, v1
	s_delay_alu instid0(VALU_DEP_1) | instskip(NEXT) | instid1(VALU_DEP_1)
	v_add_nc_u32_e32 v3, v1, v3
	v_lshrrev_b32_e32 v3, s54, v3
	s_delay_alu instid0(VALU_DEP_1) | instskip(NEXT) | instid1(VALU_DEP_1)
	v_mul_lo_u32 v3, v3, s52
	v_sub_nc_u32_e32 v1, v1, v3
	s_delay_alu instid0(VALU_DEP_1)
	v_mad_u32 v2, v1, s56, v2
	v_mad_u32 v4, v1, s57, v4
	v_mad_u32 v6, v1, s58, v6
	s_branch .LBB55_1186
.LBB55_1184:
	s_mov_b32 s0, -1
                                        ; implicit-def: $vgpr6
                                        ; implicit-def: $vgpr4
                                        ; implicit-def: $vgpr2
	s_branch .LBB55_1187
.LBB55_1185:
	s_wait_loadcnt 0x0
	v_dual_mov_b32 v6, 0 :: v_dual_mov_b32 v4, 0
	v_mov_b32_e32 v2, 0
.LBB55_1186:
	s_mov_b32 s0, 0
.LBB55_1187:
	s_delay_alu instid0(SALU_CYCLE_1)
	s_and_not1_b32 vcc_lo, exec_lo, s0
	s_cbranch_vccnz .LBB55_1190
; %bb.1188:
	v_mov_b32_e32 v1, 0
	s_and_not1_b32 vcc_lo, exec_lo, s35
	s_delay_alu instid0(VALU_DEP_1) | instskip(NEXT) | instid1(VALU_DEP_1)
	v_mul_u64_e32 v[2:3], s[20:21], v[0:1]
	v_add_nc_u32_e32 v2, v0, v3
	s_wait_loadcnt 0x0
	s_delay_alu instid0(VALU_DEP_1) | instskip(NEXT) | instid1(VALU_DEP_1)
	v_lshrrev_b32_e32 v8, s14, v2
	v_mul_lo_u32 v2, v8, s12
	s_delay_alu instid0(VALU_DEP_1) | instskip(NEXT) | instid1(VALU_DEP_1)
	v_sub_nc_u32_e32 v0, v0, v2
	v_mul_lo_u32 v2, v0, s16
	v_mul_lo_u32 v6, v0, s18
	;; [unrolled: 1-line block ×3, first 2 shown]
	s_cbranch_vccnz .LBB55_1190
; %bb.1189:
	v_mov_b32_e32 v9, v1
	s_delay_alu instid0(VALU_DEP_1) | instskip(NEXT) | instid1(VALU_DEP_1)
	v_mul_u64_e32 v[0:1], s[24:25], v[8:9]
	v_add_nc_u32_e32 v0, v8, v1
	s_delay_alu instid0(VALU_DEP_1) | instskip(NEXT) | instid1(VALU_DEP_1)
	v_lshrrev_b32_e32 v0, s1, v0
	v_mul_lo_u32 v0, v0, s15
	s_delay_alu instid0(VALU_DEP_1) | instskip(NEXT) | instid1(VALU_DEP_1)
	v_sub_nc_u32_e32 v0, v8, v0
	v_mad_u32 v2, v0, s19, v2
	v_mad_u32 v4, v0, s22, v4
	;; [unrolled: 1-line block ×3, first 2 shown]
.LBB55_1190:
	s_wait_loadcnt 0x0
	v_mov_b32_e32 v5, 0
	s_and_b32 s0, s34, 0xff
	s_delay_alu instid0(SALU_CYCLE_1) | instskip(NEXT) | instid1(VALU_DEP_1)
	s_cmp_lt_i32 s0, 11
	v_add_nc_u64_e32 v[8:9], s[6:7], v[4:5]
	s_cbranch_scc1 .LBB55_1197
; %bb.1191:
	s_and_b32 s1, 0xffff, s0
	s_mov_b32 s7, 0
	s_cmp_gt_i32 s1, 25
	s_cbranch_scc0 .LBB55_1198
; %bb.1192:
	s_cmp_gt_i32 s1, 28
	s_cbranch_scc0 .LBB55_1199
; %bb.1193:
	s_cmp_gt_i32 s1, 43
	s_cbranch_scc0 .LBB55_1200
; %bb.1194:
	s_cmp_gt_i32 s1, 45
	s_cbranch_scc0 .LBB55_1201
; %bb.1195:
	s_cmp_eq_u32 s1, 46
	s_mov_b32 s14, 0
	s_cbranch_scc0 .LBB55_1204
; %bb.1196:
	global_load_b32 v0, v[8:9], off
	s_mov_b32 s6, 0
	s_mov_b32 s12, -1
	s_wait_loadcnt 0x0
	v_lshlrev_b32_e32 v0, 16, v0
	s_delay_alu instid0(VALU_DEP_1) | instskip(NEXT) | instid1(VALU_DEP_1)
	v_trunc_f32_e32 v0, v0
	v_mul_f32_e64 v1, 0x2f800000, |v0|
	s_delay_alu instid0(VALU_DEP_1) | instskip(NEXT) | instid1(VALU_DEP_1)
	v_floor_f32_e32 v1, v1
	v_fma_f32 v3, 0xcf800000, v1, |v0|
	v_ashrrev_i32_e32 v0, 31, v0
	v_cvt_u32_f32_e32 v4, v1
	s_delay_alu instid0(VALU_DEP_3) | instskip(NEXT) | instid1(VALU_DEP_3)
	v_cvt_u32_f32_e32 v3, v3
	v_mov_b32_e32 v1, v0
	s_delay_alu instid0(VALU_DEP_3) | instskip(NEXT) | instid1(VALU_DEP_3)
	v_xor_b32_e32 v5, v4, v0
	v_xor_b32_e32 v4, v3, v0
	s_delay_alu instid0(VALU_DEP_1)
	v_sub_nc_u64_e32 v[4:5], v[4:5], v[0:1]
	s_branch .LBB55_1206
.LBB55_1197:
	s_mov_b32 s1, -1
	s_mov_b32 s12, 0
	s_mov_b32 s7, 0
	;; [unrolled: 1-line block ×3, first 2 shown]
                                        ; implicit-def: $vgpr4_vgpr5
	s_branch .LBB55_1265
.LBB55_1198:
	s_mov_b32 s14, -1
	s_mov_b32 s12, 0
	s_mov_b32 s6, s48
                                        ; implicit-def: $vgpr4_vgpr5
	s_branch .LBB55_1233
.LBB55_1199:
	s_mov_b32 s14, -1
	s_mov_b32 s12, 0
	s_mov_b32 s6, s48
                                        ; implicit-def: $vgpr4_vgpr5
	s_branch .LBB55_1216
.LBB55_1200:
	s_mov_b32 s14, -1
	s_mov_b32 s12, 0
	s_mov_b32 s6, s48
                                        ; implicit-def: $vgpr4_vgpr5
	s_branch .LBB55_1211
.LBB55_1201:
	s_mov_b32 s14, -1
	s_mov_b32 s12, 0
	s_mov_b32 s6, s48
	s_branch .LBB55_1205
.LBB55_1202:
	s_and_not1_saveexec_b32 s53, s53
	s_cbranch_execz .LBB55_1084
.LBB55_1203:
	v_add_f32_e32 v1, 0x46000000, v4
	s_and_not1_b32 s52, s52, exec_lo
	s_delay_alu instid0(VALU_DEP_1) | instskip(NEXT) | instid1(VALU_DEP_1)
	v_and_b32_e32 v1, 0xff, v1
	v_cmp_ne_u32_e32 vcc_lo, 0, v1
	s_and_b32 s54, vcc_lo, exec_lo
	s_delay_alu instid0(SALU_CYCLE_1)
	s_or_b32 s52, s52, s54
	s_or_b32 exec_lo, exec_lo, s53
	v_mov_b32_e32 v5, 0
	s_and_saveexec_b32 s53, s52
	s_cbranch_execnz .LBB55_1085
	s_branch .LBB55_1086
.LBB55_1204:
	s_mov_b32 s6, -1
	s_mov_b32 s12, 0
.LBB55_1205:
                                        ; implicit-def: $vgpr4_vgpr5
.LBB55_1206:
	s_and_b32 vcc_lo, exec_lo, s14
	s_cbranch_vccz .LBB55_1210
; %bb.1207:
	s_cmp_eq_u32 s1, 44
	s_cbranch_scc0 .LBB55_1209
; %bb.1208:
	global_load_u8 v3, v[8:9], off
	s_mov_b32 s6, 0
	s_mov_b32 s12, -1
	s_wait_loadcnt 0x0
	v_cmp_ne_u32_e32 vcc_lo, 0, v3
	v_lshlrev_b32_e32 v0, 23, v3
	s_delay_alu instid0(VALU_DEP_1) | instskip(NEXT) | instid1(VALU_DEP_1)
	v_trunc_f32_e32 v0, v0
	v_mul_f32_e64 v1, 0x2f800000, |v0|
	s_delay_alu instid0(VALU_DEP_1) | instskip(NEXT) | instid1(VALU_DEP_1)
	v_floor_f32_e32 v1, v1
	v_fma_f32 v4, 0xcf800000, v1, |v0|
	v_ashrrev_i32_e32 v0, 31, v0
	v_cvt_u32_f32_e32 v5, v1
	s_delay_alu instid0(VALU_DEP_3) | instskip(NEXT) | instid1(VALU_DEP_2)
	v_cvt_u32_f32_e32 v4, v4
	v_dual_mov_b32 v1, v0 :: v_dual_bitop2_b32 v5, v5, v0 bitop3:0x14
	s_delay_alu instid0(VALU_DEP_2) | instskip(NEXT) | instid1(VALU_DEP_1)
	v_xor_b32_e32 v4, v4, v0
	v_sub_nc_u64_e32 v[0:1], v[4:5], v[0:1]
	s_delay_alu instid0(VALU_DEP_1)
	v_dual_cndmask_b32 v5, 0, v1 :: v_dual_cndmask_b32 v4, 0, v0
	s_branch .LBB55_1210
.LBB55_1209:
	s_mov_b32 s6, -1
                                        ; implicit-def: $vgpr4_vgpr5
.LBB55_1210:
	s_mov_b32 s14, 0
.LBB55_1211:
	s_delay_alu instid0(SALU_CYCLE_1)
	s_and_b32 vcc_lo, exec_lo, s14
	s_cbranch_vccz .LBB55_1215
; %bb.1212:
	s_cmp_eq_u32 s1, 29
	s_cbranch_scc0 .LBB55_1214
; %bb.1213:
	global_load_b64 v[4:5], v[8:9], off
	s_mov_b32 s6, 0
	s_mov_b32 s12, -1
	s_branch .LBB55_1215
.LBB55_1214:
	s_mov_b32 s6, -1
                                        ; implicit-def: $vgpr4_vgpr5
.LBB55_1215:
	s_mov_b32 s14, 0
.LBB55_1216:
	s_delay_alu instid0(SALU_CYCLE_1)
	s_and_b32 vcc_lo, exec_lo, s14
	s_cbranch_vccz .LBB55_1232
; %bb.1217:
	s_cmp_lt_i32 s1, 27
	s_cbranch_scc1 .LBB55_1220
; %bb.1218:
	s_cmp_gt_i32 s1, 27
	s_cbranch_scc0 .LBB55_1221
; %bb.1219:
	s_wait_loadcnt 0x0
	global_load_b32 v4, v[8:9], off
	v_mov_b32_e32 v5, 0
	s_mov_b32 s12, 0
	s_branch .LBB55_1222
.LBB55_1220:
	s_mov_b32 s12, -1
                                        ; implicit-def: $vgpr4_vgpr5
	s_branch .LBB55_1225
.LBB55_1221:
	s_mov_b32 s12, -1
                                        ; implicit-def: $vgpr4_vgpr5
.LBB55_1222:
	s_delay_alu instid0(SALU_CYCLE_1)
	s_and_not1_b32 vcc_lo, exec_lo, s12
	s_cbranch_vccnz .LBB55_1224
; %bb.1223:
	global_load_u16 v0, v[8:9], off
	s_mov_b32 s12, 0
	s_wait_loadcnt 0x1
	v_mov_b32_e32 v5, s12
	s_wait_loadcnt 0x0
	v_and_b32_e32 v4, 0xffff, v0
.LBB55_1224:
	s_mov_b32 s12, 0
.LBB55_1225:
	s_delay_alu instid0(SALU_CYCLE_1)
	s_and_not1_b32 vcc_lo, exec_lo, s12
	s_cbranch_vccnz .LBB55_1231
; %bb.1226:
	global_load_u8 v0, v[8:9], off
	s_mov_b32 s14, 0
	s_mov_b32 s12, exec_lo
	s_wait_loadcnt 0x0
	v_cmpx_lt_i16_e32 0x7f, v0
	s_xor_b32 s12, exec_lo, s12
	s_cbranch_execz .LBB55_1243
; %bb.1227:
	v_cmp_ne_u16_e32 vcc_lo, 0x80, v0
	s_and_b32 s14, vcc_lo, exec_lo
	s_and_not1_saveexec_b32 s12, s12
	s_cbranch_execnz .LBB55_1244
.LBB55_1228:
	s_or_b32 exec_lo, exec_lo, s12
	v_mov_b64_e32 v[4:5], 0
	s_and_saveexec_b32 s12, s14
	s_cbranch_execz .LBB55_1230
.LBB55_1229:
	v_and_b32_e32 v1, 0xffff, v0
	s_delay_alu instid0(VALU_DEP_1) | instskip(SKIP_1) | instid1(VALU_DEP_2)
	v_and_b32_e32 v3, 7, v1
	v_bfe_u32 v7, v1, 3, 4
	v_clz_i32_u32_e32 v4, v3
	s_delay_alu instid0(VALU_DEP_2) | instskip(NEXT) | instid1(VALU_DEP_2)
	v_cmp_eq_u32_e32 vcc_lo, 0, v7
	v_min_u32_e32 v4, 32, v4
	s_delay_alu instid0(VALU_DEP_1) | instskip(NEXT) | instid1(VALU_DEP_1)
	v_subrev_nc_u32_e32 v5, 28, v4
	v_dual_lshlrev_b32 v1, v5, v1 :: v_dual_sub_nc_u32 v4, 29, v4
	s_delay_alu instid0(VALU_DEP_1) | instskip(NEXT) | instid1(VALU_DEP_1)
	v_dual_lshlrev_b32 v0, 24, v0 :: v_dual_bitop2_b32 v1, 7, v1 bitop3:0x40
	v_cndmask_b32_e32 v1, v3, v1, vcc_lo
	s_delay_alu instid0(VALU_DEP_3) | instskip(NEXT) | instid1(VALU_DEP_3)
	v_cndmask_b32_e32 v4, v7, v4, vcc_lo
	v_and_b32_e32 v0, 0x80000000, v0
	s_delay_alu instid0(VALU_DEP_3) | instskip(NEXT) | instid1(VALU_DEP_3)
	v_lshlrev_b32_e32 v1, 20, v1
	v_lshl_add_u32 v3, v4, 23, 0x3b800000
	s_delay_alu instid0(VALU_DEP_1) | instskip(NEXT) | instid1(VALU_DEP_1)
	v_or3_b32 v0, v0, v3, v1
	v_trunc_f32_e32 v0, v0
	s_delay_alu instid0(VALU_DEP_1) | instskip(NEXT) | instid1(VALU_DEP_1)
	v_mul_f32_e64 v1, 0x2f800000, |v0|
	v_floor_f32_e32 v1, v1
	s_delay_alu instid0(VALU_DEP_1) | instskip(SKIP_2) | instid1(VALU_DEP_3)
	v_fma_f32 v3, 0xcf800000, v1, |v0|
	v_ashrrev_i32_e32 v0, 31, v0
	v_cvt_u32_f32_e32 v4, v1
	v_cvt_u32_f32_e32 v3, v3
	s_delay_alu instid0(VALU_DEP_3) | instskip(NEXT) | instid1(VALU_DEP_3)
	v_mov_b32_e32 v1, v0
	v_xor_b32_e32 v5, v4, v0
	s_delay_alu instid0(VALU_DEP_3) | instskip(NEXT) | instid1(VALU_DEP_1)
	v_xor_b32_e32 v4, v3, v0
	v_sub_nc_u64_e32 v[4:5], v[4:5], v[0:1]
.LBB55_1230:
	s_or_b32 exec_lo, exec_lo, s12
.LBB55_1231:
	s_mov_b32 s12, -1
.LBB55_1232:
	s_mov_b32 s14, 0
.LBB55_1233:
	s_delay_alu instid0(SALU_CYCLE_1)
	s_and_b32 vcc_lo, exec_lo, s14
	s_cbranch_vccz .LBB55_1264
; %bb.1234:
	s_cmp_gt_i32 s1, 22
	s_cbranch_scc0 .LBB55_1242
; %bb.1235:
	s_cmp_lt_i32 s1, 24
	s_cbranch_scc1 .LBB55_1245
; %bb.1236:
	s_cmp_gt_i32 s1, 24
	s_cbranch_scc0 .LBB55_1246
; %bb.1237:
	global_load_u8 v0, v[8:9], off
	s_mov_b32 s12, 0
	s_mov_b32 s7, exec_lo
	s_wait_loadcnt 0x0
	v_cmpx_lt_i16_e32 0x7f, v0
	s_xor_b32 s7, exec_lo, s7
	s_cbranch_execz .LBB55_1258
; %bb.1238:
	v_cmp_ne_u16_e32 vcc_lo, 0x80, v0
	s_and_b32 s12, vcc_lo, exec_lo
	s_and_not1_saveexec_b32 s7, s7
	s_cbranch_execnz .LBB55_1259
.LBB55_1239:
	s_or_b32 exec_lo, exec_lo, s7
	v_mov_b64_e32 v[4:5], 0
	s_and_saveexec_b32 s7, s12
	s_cbranch_execz .LBB55_1241
.LBB55_1240:
	v_and_b32_e32 v1, 0xffff, v0
	s_delay_alu instid0(VALU_DEP_1) | instskip(SKIP_1) | instid1(VALU_DEP_2)
	v_and_b32_e32 v3, 3, v1
	v_bfe_u32 v7, v1, 2, 5
	v_clz_i32_u32_e32 v4, v3
	s_delay_alu instid0(VALU_DEP_2) | instskip(NEXT) | instid1(VALU_DEP_2)
	v_cmp_eq_u32_e32 vcc_lo, 0, v7
	v_min_u32_e32 v4, 32, v4
	s_delay_alu instid0(VALU_DEP_1) | instskip(NEXT) | instid1(VALU_DEP_1)
	v_subrev_nc_u32_e32 v5, 29, v4
	v_dual_lshlrev_b32 v1, v5, v1 :: v_dual_sub_nc_u32 v4, 30, v4
	s_delay_alu instid0(VALU_DEP_1) | instskip(NEXT) | instid1(VALU_DEP_1)
	v_dual_lshlrev_b32 v0, 24, v0 :: v_dual_bitop2_b32 v1, 3, v1 bitop3:0x40
	v_cndmask_b32_e32 v1, v3, v1, vcc_lo
	s_delay_alu instid0(VALU_DEP_3) | instskip(NEXT) | instid1(VALU_DEP_3)
	v_cndmask_b32_e32 v4, v7, v4, vcc_lo
	v_and_b32_e32 v0, 0x80000000, v0
	s_delay_alu instid0(VALU_DEP_3) | instskip(NEXT) | instid1(VALU_DEP_3)
	v_lshlrev_b32_e32 v1, 21, v1
	v_lshl_add_u32 v3, v4, 23, 0x37800000
	s_delay_alu instid0(VALU_DEP_1) | instskip(NEXT) | instid1(VALU_DEP_1)
	v_or3_b32 v0, v0, v3, v1
	v_trunc_f32_e32 v0, v0
	s_delay_alu instid0(VALU_DEP_1) | instskip(NEXT) | instid1(VALU_DEP_1)
	v_mul_f32_e64 v1, 0x2f800000, |v0|
	v_floor_f32_e32 v1, v1
	s_delay_alu instid0(VALU_DEP_1) | instskip(SKIP_2) | instid1(VALU_DEP_3)
	v_fma_f32 v3, 0xcf800000, v1, |v0|
	v_ashrrev_i32_e32 v0, 31, v0
	v_cvt_u32_f32_e32 v4, v1
	v_cvt_u32_f32_e32 v3, v3
	s_delay_alu instid0(VALU_DEP_3) | instskip(NEXT) | instid1(VALU_DEP_3)
	v_mov_b32_e32 v1, v0
	v_xor_b32_e32 v5, v4, v0
	s_delay_alu instid0(VALU_DEP_3) | instskip(NEXT) | instid1(VALU_DEP_1)
	v_xor_b32_e32 v4, v3, v0
	v_sub_nc_u64_e32 v[4:5], v[4:5], v[0:1]
.LBB55_1241:
	s_or_b32 exec_lo, exec_lo, s7
	s_mov_b32 s7, 0
	s_branch .LBB55_1247
.LBB55_1242:
	s_mov_b32 s7, -1
                                        ; implicit-def: $vgpr4_vgpr5
	s_branch .LBB55_1253
.LBB55_1243:
	s_and_not1_saveexec_b32 s12, s12
	s_cbranch_execz .LBB55_1228
.LBB55_1244:
	v_cmp_ne_u16_e32 vcc_lo, 0, v0
	s_and_not1_b32 s14, s14, exec_lo
	s_and_b32 s15, vcc_lo, exec_lo
	s_delay_alu instid0(SALU_CYCLE_1)
	s_or_b32 s14, s14, s15
	s_or_b32 exec_lo, exec_lo, s12
	v_mov_b64_e32 v[4:5], 0
	s_and_saveexec_b32 s12, s14
	s_cbranch_execnz .LBB55_1229
	s_branch .LBB55_1230
.LBB55_1245:
	s_mov_b32 s7, -1
                                        ; implicit-def: $vgpr4_vgpr5
	s_branch .LBB55_1250
.LBB55_1246:
	s_mov_b32 s7, -1
                                        ; implicit-def: $vgpr4_vgpr5
.LBB55_1247:
	s_delay_alu instid0(SALU_CYCLE_1)
	s_and_b32 vcc_lo, exec_lo, s7
	s_cbranch_vccz .LBB55_1249
; %bb.1248:
	global_load_u8 v0, v[8:9], off
	s_wait_loadcnt 0x0
	v_lshlrev_b32_e32 v0, 24, v0
	s_delay_alu instid0(VALU_DEP_1) | instskip(NEXT) | instid1(VALU_DEP_1)
	v_and_b32_e32 v1, 0x7f000000, v0
	v_clz_i32_u32_e32 v3, v1
	v_add_nc_u32_e32 v5, 0x1000000, v1
	v_cmp_ne_u32_e32 vcc_lo, 0, v1
	s_delay_alu instid0(VALU_DEP_3) | instskip(NEXT) | instid1(VALU_DEP_1)
	v_min_u32_e32 v3, 32, v3
	v_sub_nc_u32_e64 v3, v3, 4 clamp
	s_delay_alu instid0(VALU_DEP_1) | instskip(NEXT) | instid1(VALU_DEP_1)
	v_dual_lshlrev_b32 v4, v3, v1 :: v_dual_lshlrev_b32 v3, 23, v3
	v_lshrrev_b32_e32 v4, 4, v4
	s_delay_alu instid0(VALU_DEP_1) | instskip(NEXT) | instid1(VALU_DEP_1)
	v_dual_sub_nc_u32 v3, v4, v3 :: v_dual_ashrrev_i32 v4, 8, v5
	v_add_nc_u32_e32 v3, 0x3c000000, v3
	s_delay_alu instid0(VALU_DEP_1) | instskip(NEXT) | instid1(VALU_DEP_1)
	v_and_or_b32 v3, 0x7f800000, v4, v3
	v_cndmask_b32_e32 v1, 0, v3, vcc_lo
	s_delay_alu instid0(VALU_DEP_1) | instskip(NEXT) | instid1(VALU_DEP_1)
	v_and_or_b32 v0, 0x80000000, v0, v1
	v_trunc_f32_e32 v0, v0
	s_delay_alu instid0(VALU_DEP_1) | instskip(NEXT) | instid1(VALU_DEP_1)
	v_mul_f32_e64 v1, 0x2f800000, |v0|
	v_floor_f32_e32 v1, v1
	s_delay_alu instid0(VALU_DEP_1) | instskip(SKIP_2) | instid1(VALU_DEP_3)
	v_fma_f32 v3, 0xcf800000, v1, |v0|
	v_ashrrev_i32_e32 v0, 31, v0
	v_cvt_u32_f32_e32 v4, v1
	v_cvt_u32_f32_e32 v3, v3
	s_delay_alu instid0(VALU_DEP_3) | instskip(NEXT) | instid1(VALU_DEP_3)
	v_mov_b32_e32 v1, v0
	v_xor_b32_e32 v5, v4, v0
	s_delay_alu instid0(VALU_DEP_3) | instskip(NEXT) | instid1(VALU_DEP_1)
	v_xor_b32_e32 v4, v3, v0
	v_sub_nc_u64_e32 v[4:5], v[4:5], v[0:1]
.LBB55_1249:
	s_mov_b32 s7, 0
.LBB55_1250:
	s_delay_alu instid0(SALU_CYCLE_1)
	s_and_not1_b32 vcc_lo, exec_lo, s7
	s_cbranch_vccnz .LBB55_1252
; %bb.1251:
	global_load_u8 v0, v[8:9], off
	s_wait_loadcnt 0x0
	v_lshlrev_b32_e32 v1, 25, v0
	v_lshlrev_b16 v0, 8, v0
	s_delay_alu instid0(VALU_DEP_2) | instskip(NEXT) | instid1(VALU_DEP_2)
	v_cmp_gt_u32_e32 vcc_lo, 0x8000000, v1
	v_and_or_b32 v4, 0x7f00, v0, 0.5
	v_lshrrev_b32_e32 v3, 4, v1
	v_bfe_i32 v0, v0, 0, 16
	s_delay_alu instid0(VALU_DEP_3) | instskip(NEXT) | instid1(VALU_DEP_3)
	v_add_f32_e32 v4, -0.5, v4
	v_or_b32_e32 v3, 0x70000000, v3
	s_delay_alu instid0(VALU_DEP_1) | instskip(NEXT) | instid1(VALU_DEP_1)
	v_mul_f32_e32 v3, 0x7800000, v3
	v_cndmask_b32_e32 v1, v3, v4, vcc_lo
	s_delay_alu instid0(VALU_DEP_1) | instskip(NEXT) | instid1(VALU_DEP_1)
	v_and_or_b32 v0, 0x80000000, v0, v1
	v_trunc_f32_e32 v0, v0
	s_delay_alu instid0(VALU_DEP_1) | instskip(NEXT) | instid1(VALU_DEP_1)
	v_mul_f32_e64 v1, 0x2f800000, |v0|
	v_floor_f32_e32 v1, v1
	s_delay_alu instid0(VALU_DEP_1) | instskip(SKIP_2) | instid1(VALU_DEP_3)
	v_fma_f32 v3, 0xcf800000, v1, |v0|
	v_ashrrev_i32_e32 v0, 31, v0
	v_cvt_u32_f32_e32 v4, v1
	v_cvt_u32_f32_e32 v3, v3
	s_delay_alu instid0(VALU_DEP_3) | instskip(NEXT) | instid1(VALU_DEP_3)
	v_mov_b32_e32 v1, v0
	v_xor_b32_e32 v5, v4, v0
	s_delay_alu instid0(VALU_DEP_3) | instskip(NEXT) | instid1(VALU_DEP_1)
	v_xor_b32_e32 v4, v3, v0
	v_sub_nc_u64_e32 v[4:5], v[4:5], v[0:1]
.LBB55_1252:
	s_mov_b32 s7, 0
	s_mov_b32 s12, -1
.LBB55_1253:
	s_and_not1_b32 vcc_lo, exec_lo, s7
	s_mov_b32 s7, 0
	s_cbranch_vccnz .LBB55_1264
; %bb.1254:
	s_cmp_gt_i32 s1, 14
	s_cbranch_scc0 .LBB55_1257
; %bb.1255:
	s_cmp_eq_u32 s1, 15
	s_cbranch_scc0 .LBB55_1260
; %bb.1256:
	global_load_u16 v0, v[8:9], off
	s_mov_b32 s6, 0
	s_mov_b32 s12, -1
	s_wait_loadcnt 0x0
	v_lshlrev_b32_e32 v0, 16, v0
	s_delay_alu instid0(VALU_DEP_1) | instskip(NEXT) | instid1(VALU_DEP_1)
	v_trunc_f32_e32 v0, v0
	v_mul_f32_e64 v1, 0x2f800000, |v0|
	s_delay_alu instid0(VALU_DEP_1) | instskip(NEXT) | instid1(VALU_DEP_1)
	v_floor_f32_e32 v1, v1
	v_fma_f32 v3, 0xcf800000, v1, |v0|
	v_ashrrev_i32_e32 v0, 31, v0
	v_cvt_u32_f32_e32 v4, v1
	s_delay_alu instid0(VALU_DEP_3) | instskip(NEXT) | instid1(VALU_DEP_3)
	v_cvt_u32_f32_e32 v3, v3
	v_mov_b32_e32 v1, v0
	s_delay_alu instid0(VALU_DEP_3) | instskip(NEXT) | instid1(VALU_DEP_3)
	v_xor_b32_e32 v5, v4, v0
	v_xor_b32_e32 v4, v3, v0
	s_delay_alu instid0(VALU_DEP_1)
	v_sub_nc_u64_e32 v[4:5], v[4:5], v[0:1]
	s_branch .LBB55_1262
.LBB55_1257:
	s_mov_b32 s7, -1
	s_branch .LBB55_1261
.LBB55_1258:
	s_and_not1_saveexec_b32 s7, s7
	s_cbranch_execz .LBB55_1239
.LBB55_1259:
	v_cmp_ne_u16_e32 vcc_lo, 0, v0
	s_and_not1_b32 s12, s12, exec_lo
	s_and_b32 s14, vcc_lo, exec_lo
	s_delay_alu instid0(SALU_CYCLE_1)
	s_or_b32 s12, s12, s14
	s_or_b32 exec_lo, exec_lo, s7
	v_mov_b64_e32 v[4:5], 0
	s_and_saveexec_b32 s7, s12
	s_cbranch_execnz .LBB55_1240
	s_branch .LBB55_1241
.LBB55_1260:
	s_mov_b32 s6, -1
.LBB55_1261:
                                        ; implicit-def: $vgpr4_vgpr5
.LBB55_1262:
	s_and_b32 vcc_lo, exec_lo, s7
	s_mov_b32 s7, 0
	s_cbranch_vccz .LBB55_1264
; %bb.1263:
	s_cmp_lg_u32 s1, 11
	s_mov_b32 s7, -1
	s_cselect_b32 s1, -1, 0
	s_and_not1_b32 s6, s6, exec_lo
	s_and_b32 s1, s1, exec_lo
	s_delay_alu instid0(SALU_CYCLE_1)
	s_or_b32 s6, s6, s1
.LBB55_1264:
	s_mov_b32 s1, 0
.LBB55_1265:
	s_delay_alu instid0(SALU_CYCLE_1)
	s_and_b32 s51, s1, exec_lo
	s_and_not1_b32 s1, s48, exec_lo
	s_and_b32 s6, s6, exec_lo
	s_and_b32 s26, s12, exec_lo
	;; [unrolled: 1-line block ×3, first 2 shown]
	s_or_b32 s52, s1, s6
.LBB55_1266:
	s_wait_xcnt 0x0
	s_or_b32 exec_lo, exec_lo, s37
	s_delay_alu instid0(SALU_CYCLE_1)
	s_and_not1_b32 s1, s48, exec_lo
	s_and_b32 s6, s52, exec_lo
	s_and_b32 s26, s26, exec_lo
	;; [unrolled: 1-line block ×4, first 2 shown]
	s_or_b32 s48, s1, s6
.LBB55_1267:
	s_or_b32 exec_lo, exec_lo, s47
	s_delay_alu instid0(SALU_CYCLE_1)
	s_and_not1_b32 s1, s44, exec_lo
	s_and_b32 s6, s49, exec_lo
	s_and_not1_b32 s7, s45, exec_lo
	s_and_b32 s12, s50, exec_lo
	s_or_b32 s44, s1, s6
	s_and_not1_b32 s1, s43, exec_lo
	s_and_b32 s6, s48, exec_lo
	s_or_b32 s45, s7, s12
	s_and_b32 s26, s26, exec_lo
	s_and_b32 s47, s51, exec_lo
	;; [unrolled: 1-line block ×3, first 2 shown]
	s_or_b32 s43, s1, s6
.LBB55_1268:
	s_or_b32 exec_lo, exec_lo, s46
	s_delay_alu instid0(SALU_CYCLE_1)
	s_and_not1_b32 s1, s39, exec_lo
	s_and_b32 s6, s44, exec_lo
	s_and_not1_b32 s7, s40, exec_lo
	s_and_b32 s12, s45, exec_lo
	s_or_b32 s39, s1, s6
	s_and_not1_b32 s1, s41, exec_lo
	s_and_b32 s6, s43, exec_lo
	s_or_b32 s40, s7, s12
	s_and_b32 s26, s26, exec_lo
	s_and_b32 s44, s47, exec_lo
	s_and_b32 s21, s27, exec_lo
	s_or_b32 s41, s1, s6
	s_or_b32 exec_lo, exec_lo, s42
	s_mov_b32 s1, 0
	s_and_saveexec_b32 s6, s41
	s_cbranch_execz .LBB55_394
.LBB55_1269:
	s_mov_b32 s1, exec_lo
	s_and_not1_b32 s21, s21, exec_lo
	s_trap 2
	s_or_b32 exec_lo, exec_lo, s6
	s_and_saveexec_b32 s6, s21
	s_delay_alu instid0(SALU_CYCLE_1)
	s_xor_b32 s6, exec_lo, s6
	s_cbranch_execnz .LBB55_395
.LBB55_1270:
	s_or_b32 exec_lo, exec_lo, s6
	s_and_saveexec_b32 s6, s44
	s_cbranch_execz .LBB55_1316
.LBB55_1271:
	s_sext_i32_i16 s7, s0
	s_delay_alu instid0(SALU_CYCLE_1)
	s_cmp_lt_i32 s7, 5
	s_cbranch_scc1 .LBB55_1276
; %bb.1272:
	s_cmp_lt_i32 s7, 8
	s_cbranch_scc1 .LBB55_1277
; %bb.1273:
	;; [unrolled: 3-line block ×3, first 2 shown]
	s_cmp_gt_i32 s7, 9
	s_cbranch_scc0 .LBB55_1279
; %bb.1275:
	s_wait_loadcnt 0x0
	global_load_b64 v[0:1], v[8:9], off
	s_mov_b32 s7, 0
	s_wait_loadcnt 0x0
	v_trunc_f64_e32 v[0:1], v[0:1]
	s_delay_alu instid0(VALU_DEP_1) | instskip(NEXT) | instid1(VALU_DEP_1)
	v_ldexp_f64 v[4:5], v[0:1], 0xffffffe0
	v_floor_f64_e32 v[4:5], v[4:5]
	s_delay_alu instid0(VALU_DEP_1) | instskip(SKIP_1) | instid1(VALU_DEP_2)
	v_fmamk_f64 v[0:1], v[4:5], 0xc1f00000, v[0:1]
	v_cvt_i32_f64_e32 v5, v[4:5]
	v_cvt_u32_f64_e32 v4, v[0:1]
	s_branch .LBB55_1280
.LBB55_1276:
                                        ; implicit-def: $vgpr4_vgpr5
	s_branch .LBB55_1297
.LBB55_1277:
                                        ; implicit-def: $vgpr4_vgpr5
	s_branch .LBB55_1286
.LBB55_1278:
	s_mov_b32 s7, -1
                                        ; implicit-def: $vgpr4_vgpr5
	s_branch .LBB55_1283
.LBB55_1279:
	s_mov_b32 s7, -1
                                        ; implicit-def: $vgpr4_vgpr5
.LBB55_1280:
	s_delay_alu instid0(SALU_CYCLE_1)
	s_and_not1_b32 vcc_lo, exec_lo, s7
	s_cbranch_vccnz .LBB55_1282
; %bb.1281:
	s_wait_loadcnt 0x0
	global_load_b32 v0, v[8:9], off
	s_wait_loadcnt 0x0
	v_trunc_f32_e32 v0, v0
	s_delay_alu instid0(VALU_DEP_1) | instskip(NEXT) | instid1(VALU_DEP_1)
	v_mul_f32_e64 v1, 0x2f800000, |v0|
	v_floor_f32_e32 v1, v1
	s_delay_alu instid0(VALU_DEP_1) | instskip(SKIP_2) | instid1(VALU_DEP_3)
	v_fma_f32 v3, 0xcf800000, v1, |v0|
	v_ashrrev_i32_e32 v0, 31, v0
	v_cvt_u32_f32_e32 v4, v1
	v_cvt_u32_f32_e32 v3, v3
	s_delay_alu instid0(VALU_DEP_3) | instskip(NEXT) | instid1(VALU_DEP_3)
	v_mov_b32_e32 v1, v0
	v_xor_b32_e32 v5, v4, v0
	s_delay_alu instid0(VALU_DEP_3) | instskip(NEXT) | instid1(VALU_DEP_1)
	v_xor_b32_e32 v4, v3, v0
	v_sub_nc_u64_e32 v[4:5], v[4:5], v[0:1]
.LBB55_1282:
	s_mov_b32 s7, 0
.LBB55_1283:
	s_delay_alu instid0(SALU_CYCLE_1)
	s_and_not1_b32 vcc_lo, exec_lo, s7
	s_cbranch_vccnz .LBB55_1285
; %bb.1284:
	s_wait_loadcnt 0x0
	global_load_b32 v0, v[8:9], off
	s_wait_loadcnt 0x0
	v_cvt_f32_f16_e32 v0, v0
	s_delay_alu instid0(VALU_DEP_1) | instskip(NEXT) | instid1(VALU_DEP_1)
	v_cvt_i32_f32_e32 v4, v0
	v_ashrrev_i32_e32 v5, 31, v4
.LBB55_1285:
	s_cbranch_execnz .LBB55_1296
.LBB55_1286:
	s_sext_i32_i16 s7, s0
	s_delay_alu instid0(SALU_CYCLE_1)
	s_cmp_lt_i32 s7, 6
	s_cbranch_scc1 .LBB55_1289
; %bb.1287:
	s_cmp_gt_i32 s7, 6
	s_cbranch_scc0 .LBB55_1290
; %bb.1288:
	s_wait_loadcnt 0x0
	global_load_b64 v[0:1], v[8:9], off
	s_mov_b32 s7, 0
	s_wait_loadcnt 0x0
	v_trunc_f64_e32 v[0:1], v[0:1]
	s_delay_alu instid0(VALU_DEP_1) | instskip(NEXT) | instid1(VALU_DEP_1)
	v_ldexp_f64 v[4:5], v[0:1], 0xffffffe0
	v_floor_f64_e32 v[4:5], v[4:5]
	s_delay_alu instid0(VALU_DEP_1) | instskip(SKIP_1) | instid1(VALU_DEP_2)
	v_fmamk_f64 v[0:1], v[4:5], 0xc1f00000, v[0:1]
	v_cvt_i32_f64_e32 v5, v[4:5]
	v_cvt_u32_f64_e32 v4, v[0:1]
	s_branch .LBB55_1291
.LBB55_1289:
	s_mov_b32 s7, -1
                                        ; implicit-def: $vgpr4_vgpr5
	s_branch .LBB55_1294
.LBB55_1290:
	s_mov_b32 s7, -1
                                        ; implicit-def: $vgpr4_vgpr5
.LBB55_1291:
	s_delay_alu instid0(SALU_CYCLE_1)
	s_and_not1_b32 vcc_lo, exec_lo, s7
	s_cbranch_vccnz .LBB55_1293
; %bb.1292:
	s_wait_loadcnt 0x0
	global_load_b32 v0, v[8:9], off
	s_wait_loadcnt 0x0
	v_trunc_f32_e32 v0, v0
	s_delay_alu instid0(VALU_DEP_1) | instskip(NEXT) | instid1(VALU_DEP_1)
	v_mul_f32_e64 v1, 0x2f800000, |v0|
	v_floor_f32_e32 v1, v1
	s_delay_alu instid0(VALU_DEP_1) | instskip(SKIP_2) | instid1(VALU_DEP_3)
	v_fma_f32 v3, 0xcf800000, v1, |v0|
	v_ashrrev_i32_e32 v0, 31, v0
	v_cvt_u32_f32_e32 v4, v1
	v_cvt_u32_f32_e32 v3, v3
	s_delay_alu instid0(VALU_DEP_3) | instskip(NEXT) | instid1(VALU_DEP_3)
	v_mov_b32_e32 v1, v0
	v_xor_b32_e32 v5, v4, v0
	s_delay_alu instid0(VALU_DEP_3) | instskip(NEXT) | instid1(VALU_DEP_1)
	v_xor_b32_e32 v4, v3, v0
	v_sub_nc_u64_e32 v[4:5], v[4:5], v[0:1]
.LBB55_1293:
	s_mov_b32 s7, 0
.LBB55_1294:
	s_delay_alu instid0(SALU_CYCLE_1)
	s_and_not1_b32 vcc_lo, exec_lo, s7
	s_cbranch_vccnz .LBB55_1296
; %bb.1295:
	s_wait_loadcnt 0x0
	global_load_u16 v0, v[8:9], off
	s_wait_loadcnt 0x0
	v_cvt_f32_f16_e32 v0, v0
	s_delay_alu instid0(VALU_DEP_1) | instskip(NEXT) | instid1(VALU_DEP_1)
	v_cvt_i32_f32_e32 v4, v0
	v_ashrrev_i32_e32 v5, 31, v4
.LBB55_1296:
	s_cbranch_execnz .LBB55_1315
.LBB55_1297:
	s_sext_i32_i16 s7, s0
	s_delay_alu instid0(SALU_CYCLE_1)
	s_cmp_lt_i32 s7, 2
	s_cbranch_scc1 .LBB55_1301
; %bb.1298:
	s_cmp_lt_i32 s7, 3
	s_cbranch_scc1 .LBB55_1302
; %bb.1299:
	s_cmp_gt_i32 s7, 3
	s_cbranch_scc0 .LBB55_1303
; %bb.1300:
	s_wait_loadcnt 0x0
	global_load_b64 v[4:5], v[8:9], off
	s_mov_b32 s7, 0
	s_branch .LBB55_1304
.LBB55_1301:
                                        ; implicit-def: $vgpr4_vgpr5
	s_branch .LBB55_1310
.LBB55_1302:
	s_mov_b32 s7, -1
                                        ; implicit-def: $vgpr4_vgpr5
	s_branch .LBB55_1307
.LBB55_1303:
	s_mov_b32 s7, -1
                                        ; implicit-def: $vgpr4_vgpr5
.LBB55_1304:
	s_delay_alu instid0(SALU_CYCLE_1)
	s_and_not1_b32 vcc_lo, exec_lo, s7
	s_cbranch_vccnz .LBB55_1306
; %bb.1305:
	s_wait_loadcnt 0x0
	global_load_b32 v4, v[8:9], off
	s_wait_loadcnt 0x0
	v_ashrrev_i32_e32 v5, 31, v4
.LBB55_1306:
	s_mov_b32 s7, 0
.LBB55_1307:
	s_delay_alu instid0(SALU_CYCLE_1)
	s_and_not1_b32 vcc_lo, exec_lo, s7
	s_cbranch_vccnz .LBB55_1309
; %bb.1308:
	s_wait_loadcnt 0x0
	global_load_u16 v0, v[8:9], off
	s_wait_loadcnt 0x0
	v_bfe_i32 v4, v0, 0, 16
	s_delay_alu instid0(VALU_DEP_1)
	v_ashrrev_i32_e32 v5, 31, v4
.LBB55_1309:
	s_cbranch_execnz .LBB55_1315
.LBB55_1310:
	s_sext_i32_i16 s0, s0
	s_delay_alu instid0(SALU_CYCLE_1)
	s_cmp_gt_i32 s0, 0
	s_mov_b32 s0, 0
	s_cbranch_scc0 .LBB55_1312
; %bb.1311:
	s_wait_loadcnt 0x0
	global_load_i8 v0, v[8:9], off
	s_wait_loadcnt 0x0
	v_bfe_i32 v4, v0, 0, 16
	s_delay_alu instid0(VALU_DEP_1)
	v_ashrrev_i32_e32 v5, 31, v4
	s_branch .LBB55_1313
.LBB55_1312:
	s_mov_b32 s0, -1
                                        ; implicit-def: $vgpr4_vgpr5
.LBB55_1313:
	s_delay_alu instid0(SALU_CYCLE_1)
	s_and_not1_b32 vcc_lo, exec_lo, s0
	s_cbranch_vccnz .LBB55_1315
; %bb.1314:
	s_wait_loadcnt 0x0
	global_load_u8 v0, v[8:9], off
	s_mov_b32 s0, 0
	s_delay_alu instid0(SALU_CYCLE_1)
	v_mov_b32_e32 v5, s0
	s_wait_loadcnt 0x0
	v_and_b32_e32 v4, 0xffff, v0
.LBB55_1315:
	s_or_b32 s26, s26, exec_lo
.LBB55_1316:
	s_wait_xcnt 0x0
	s_or_b32 exec_lo, exec_lo, s6
	s_mov_b32 s14, 0
	s_mov_b32 s7, 0
	;; [unrolled: 1-line block ×3, first 2 shown]
                                        ; implicit-def: $sgpr0
                                        ; implicit-def: $vgpr0_vgpr1
                                        ; implicit-def: $vgpr8_vgpr9
	s_and_saveexec_b32 s6, s26
	s_cbranch_execz .LBB55_1324
; %bb.1317:
	v_mov_b32_e32 v7, 0
	s_and_b32 s0, s13, 0xff
	s_delay_alu instid0(SALU_CYCLE_1) | instskip(NEXT) | instid1(VALU_DEP_1)
	s_cmp_lt_i32 s0, 11
	v_add_nc_u64_e32 v[0:1], s[8:9], v[6:7]
	s_cbranch_scc1 .LBB55_1327
; %bb.1318:
	s_and_b32 s7, 0xffff, s0
	s_mov_b32 s9, 0
	s_cmp_gt_i32 s7, 25
	s_cbranch_scc0 .LBB55_1328
; %bb.1319:
	s_cmp_gt_i32 s7, 28
	s_cbranch_scc0 .LBB55_1329
; %bb.1320:
	;; [unrolled: 3-line block ×4, first 2 shown]
	s_cmp_eq_u32 s7, 46
	s_mov_b32 s13, 0
	s_cbranch_scc0 .LBB55_1332
; %bb.1323:
	global_load_b32 v3, v[0:1], off
	s_mov_b32 s8, 0
	s_mov_b32 s12, -1
	s_wait_loadcnt 0x0
	v_lshlrev_b32_e32 v3, 16, v3
	s_delay_alu instid0(VALU_DEP_1) | instskip(NEXT) | instid1(VALU_DEP_1)
	v_trunc_f32_e32 v3, v3
	v_mul_f32_e64 v6, 0x2f800000, |v3|
	s_delay_alu instid0(VALU_DEP_1) | instskip(SKIP_1) | instid1(VALU_DEP_2)
	v_floor_f32_e32 v7, v6
	v_ashrrev_i32_e32 v6, 31, v3
	v_fma_f32 v8, 0xcf800000, v7, |v3|
	v_cvt_u32_f32_e32 v3, v7
	s_delay_alu instid0(VALU_DEP_3) | instskip(NEXT) | instid1(VALU_DEP_3)
	v_mov_b32_e32 v7, v6
	v_cvt_u32_f32_e32 v8, v8
	s_delay_alu instid0(VALU_DEP_3) | instskip(NEXT) | instid1(VALU_DEP_2)
	v_xor_b32_e32 v9, v3, v6
	v_xor_b32_e32 v8, v8, v6
	s_delay_alu instid0(VALU_DEP_1)
	v_sub_nc_u64_e32 v[8:9], v[8:9], v[6:7]
	s_branch .LBB55_1334
.LBB55_1324:
	s_or_b32 exec_lo, exec_lo, s6
	s_and_saveexec_b32 s6, s40
	s_cbranch_execnz .LBB55_1393
.LBB55_1325:
	s_or_b32 exec_lo, exec_lo, s6
	s_and_saveexec_b32 s6, s14
	s_delay_alu instid0(SALU_CYCLE_1)
	s_xor_b32 s6, exec_lo, s6
	s_cbranch_execz .LBB55_1394
.LBB55_1326:
	global_load_u8 v3, v[0:1], off
	s_mov_b32 s8, 0
	s_or_b32 s12, s12, exec_lo
	s_wait_loadcnt 0x1
	v_mov_b32_e32 v9, s8
	s_wait_loadcnt 0x0
	v_cmp_ne_u16_e32 vcc_lo, 0, v3
	v_cndmask_b32_e64 v8, 0, 1, vcc_lo
	s_wait_xcnt 0x0
	s_or_b32 exec_lo, exec_lo, s6
	s_and_saveexec_b32 s6, s7
	s_cbranch_execz .LBB55_1440
	s_branch .LBB55_1395
.LBB55_1327:
	s_mov_b32 s7, -1
	s_mov_b32 s9, 0
	s_mov_b32 s8, s40
                                        ; implicit-def: $vgpr8_vgpr9
	s_branch .LBB55_1392
.LBB55_1328:
	s_mov_b32 s8, s40
                                        ; implicit-def: $vgpr8_vgpr9
	s_cbranch_execnz .LBB55_1361
	s_branch .LBB55_1391
.LBB55_1329:
	s_mov_b32 s13, -1
	s_mov_b32 s8, s40
                                        ; implicit-def: $vgpr8_vgpr9
	s_branch .LBB55_1344
.LBB55_1330:
	s_mov_b32 s13, -1
	s_mov_b32 s8, s40
                                        ; implicit-def: $vgpr8_vgpr9
	s_branch .LBB55_1339
.LBB55_1331:
	s_mov_b32 s13, -1
	s_mov_b32 s8, s40
	s_branch .LBB55_1333
.LBB55_1332:
	s_mov_b32 s8, -1
.LBB55_1333:
                                        ; implicit-def: $vgpr8_vgpr9
.LBB55_1334:
	s_and_b32 vcc_lo, exec_lo, s13
	s_cbranch_vccz .LBB55_1338
; %bb.1335:
	s_cmp_eq_u32 s7, 44
	s_cbranch_scc0 .LBB55_1337
; %bb.1336:
	global_load_u8 v3, v[0:1], off
	s_mov_b32 s8, 0
	s_mov_b32 s12, -1
	s_wait_loadcnt 0x0
	v_lshlrev_b32_e32 v6, 23, v3
	v_cmp_ne_u32_e32 vcc_lo, 0, v3
	s_delay_alu instid0(VALU_DEP_2) | instskip(NEXT) | instid1(VALU_DEP_1)
	v_trunc_f32_e32 v6, v6
	v_mul_f32_e64 v7, 0x2f800000, |v6|
	s_delay_alu instid0(VALU_DEP_1) | instskip(NEXT) | instid1(VALU_DEP_1)
	v_floor_f32_e32 v7, v7
	v_fma_f32 v8, 0xcf800000, v7, |v6|
	v_ashrrev_i32_e32 v6, 31, v6
	v_cvt_u32_f32_e32 v9, v7
	s_delay_alu instid0(VALU_DEP_3) | instskip(NEXT) | instid1(VALU_DEP_2)
	v_cvt_u32_f32_e32 v8, v8
	v_dual_mov_b32 v7, v6 :: v_dual_bitop2_b32 v9, v9, v6 bitop3:0x14
	s_delay_alu instid0(VALU_DEP_2) | instskip(NEXT) | instid1(VALU_DEP_1)
	v_xor_b32_e32 v8, v8, v6
	v_sub_nc_u64_e32 v[6:7], v[8:9], v[6:7]
	s_delay_alu instid0(VALU_DEP_1)
	v_dual_cndmask_b32 v9, 0, v7 :: v_dual_cndmask_b32 v8, 0, v6
	s_branch .LBB55_1338
.LBB55_1337:
	s_mov_b32 s8, -1
                                        ; implicit-def: $vgpr8_vgpr9
.LBB55_1338:
	s_mov_b32 s13, 0
.LBB55_1339:
	s_delay_alu instid0(SALU_CYCLE_1)
	s_and_b32 vcc_lo, exec_lo, s13
	s_cbranch_vccz .LBB55_1343
; %bb.1340:
	s_cmp_eq_u32 s7, 29
	s_cbranch_scc0 .LBB55_1342
; %bb.1341:
	s_wait_loadcnt 0x0
	global_load_b64 v[8:9], v[0:1], off
	s_mov_b32 s8, 0
	s_mov_b32 s12, -1
	s_branch .LBB55_1343
.LBB55_1342:
	s_mov_b32 s8, -1
                                        ; implicit-def: $vgpr8_vgpr9
.LBB55_1343:
	s_mov_b32 s13, 0
.LBB55_1344:
	s_delay_alu instid0(SALU_CYCLE_1)
	s_and_b32 vcc_lo, exec_lo, s13
	s_cbranch_vccz .LBB55_1360
; %bb.1345:
	s_cmp_lt_i32 s7, 27
	s_cbranch_scc1 .LBB55_1348
; %bb.1346:
	s_cmp_gt_i32 s7, 27
	s_cbranch_scc0 .LBB55_1349
; %bb.1347:
	s_wait_loadcnt 0x0
	global_load_b32 v8, v[0:1], off
	v_mov_b32_e32 v9, 0
	s_mov_b32 s12, 0
	s_branch .LBB55_1350
.LBB55_1348:
	s_mov_b32 s12, -1
                                        ; implicit-def: $vgpr8_vgpr9
	s_branch .LBB55_1353
.LBB55_1349:
	s_mov_b32 s12, -1
                                        ; implicit-def: $vgpr8_vgpr9
.LBB55_1350:
	s_delay_alu instid0(SALU_CYCLE_1)
	s_and_not1_b32 vcc_lo, exec_lo, s12
	s_cbranch_vccnz .LBB55_1352
; %bb.1351:
	global_load_u16 v3, v[0:1], off
	s_mov_b32 s12, 0
	s_wait_loadcnt 0x1
	v_mov_b32_e32 v9, s12
	s_wait_loadcnt 0x0
	v_and_b32_e32 v8, 0xffff, v3
.LBB55_1352:
	s_mov_b32 s12, 0
.LBB55_1353:
	s_delay_alu instid0(SALU_CYCLE_1)
	s_and_not1_b32 vcc_lo, exec_lo, s12
	s_cbranch_vccnz .LBB55_1359
; %bb.1354:
	global_load_u8 v3, v[0:1], off
	s_mov_b32 s13, 0
	s_mov_b32 s12, exec_lo
	s_wait_loadcnt 0x0
	v_cmpx_lt_i16_e32 0x7f, v3
	s_xor_b32 s12, exec_lo, s12
	s_cbranch_execz .LBB55_1370
; %bb.1355:
	v_cmp_ne_u16_e32 vcc_lo, 0x80, v3
	s_and_b32 s13, vcc_lo, exec_lo
	s_and_not1_saveexec_b32 s12, s12
	s_cbranch_execnz .LBB55_1371
.LBB55_1356:
	s_or_b32 exec_lo, exec_lo, s12
	v_mov_b64_e32 v[8:9], 0
	s_and_saveexec_b32 s12, s13
	s_cbranch_execz .LBB55_1358
.LBB55_1357:
	v_and_b32_e32 v6, 0xffff, v3
	s_delay_alu instid0(VALU_DEP_1) | instskip(SKIP_1) | instid1(VALU_DEP_2)
	v_and_b32_e32 v7, 7, v6
	v_bfe_u32 v10, v6, 3, 4
	v_clz_i32_u32_e32 v8, v7
	s_delay_alu instid0(VALU_DEP_2) | instskip(NEXT) | instid1(VALU_DEP_2)
	v_cmp_eq_u32_e32 vcc_lo, 0, v10
	v_min_u32_e32 v8, 32, v8
	s_delay_alu instid0(VALU_DEP_1) | instskip(NEXT) | instid1(VALU_DEP_1)
	v_subrev_nc_u32_e32 v9, 28, v8
	v_dual_lshlrev_b32 v6, v9, v6 :: v_dual_sub_nc_u32 v8, 29, v8
	s_delay_alu instid0(VALU_DEP_1) | instskip(NEXT) | instid1(VALU_DEP_1)
	v_dual_lshlrev_b32 v3, 24, v3 :: v_dual_bitop2_b32 v6, 7, v6 bitop3:0x40
	v_dual_cndmask_b32 v8, v10, v8, vcc_lo :: v_dual_cndmask_b32 v6, v7, v6, vcc_lo
	s_delay_alu instid0(VALU_DEP_2) | instskip(NEXT) | instid1(VALU_DEP_2)
	v_and_b32_e32 v3, 0x80000000, v3
	v_lshl_add_u32 v7, v8, 23, 0x3b800000
	s_delay_alu instid0(VALU_DEP_3) | instskip(NEXT) | instid1(VALU_DEP_1)
	v_lshlrev_b32_e32 v6, 20, v6
	v_or3_b32 v3, v3, v7, v6
	s_delay_alu instid0(VALU_DEP_1) | instskip(NEXT) | instid1(VALU_DEP_1)
	v_trunc_f32_e32 v3, v3
	v_mul_f32_e64 v6, 0x2f800000, |v3|
	s_delay_alu instid0(VALU_DEP_1) | instskip(SKIP_1) | instid1(VALU_DEP_2)
	v_floor_f32_e32 v7, v6
	v_ashrrev_i32_e32 v6, 31, v3
	v_fma_f32 v8, 0xcf800000, v7, |v3|
	v_cvt_u32_f32_e32 v3, v7
	s_delay_alu instid0(VALU_DEP_3) | instskip(NEXT) | instid1(VALU_DEP_3)
	v_mov_b32_e32 v7, v6
	v_cvt_u32_f32_e32 v8, v8
	s_delay_alu instid0(VALU_DEP_3) | instskip(NEXT) | instid1(VALU_DEP_2)
	v_xor_b32_e32 v9, v3, v6
	v_xor_b32_e32 v8, v8, v6
	s_delay_alu instid0(VALU_DEP_1)
	v_sub_nc_u64_e32 v[8:9], v[8:9], v[6:7]
.LBB55_1358:
	s_or_b32 exec_lo, exec_lo, s12
.LBB55_1359:
	s_mov_b32 s12, -1
.LBB55_1360:
	s_branch .LBB55_1391
.LBB55_1361:
	s_cmp_gt_i32 s7, 22
	s_cbranch_scc0 .LBB55_1369
; %bb.1362:
	s_cmp_lt_i32 s7, 24
	s_cbranch_scc1 .LBB55_1372
; %bb.1363:
	s_cmp_gt_i32 s7, 24
	s_cbranch_scc0 .LBB55_1373
; %bb.1364:
	global_load_u8 v3, v[0:1], off
	s_mov_b32 s12, 0
	s_mov_b32 s9, exec_lo
	s_wait_loadcnt 0x0
	v_cmpx_lt_i16_e32 0x7f, v3
	s_xor_b32 s9, exec_lo, s9
	s_cbranch_execz .LBB55_1385
; %bb.1365:
	v_cmp_ne_u16_e32 vcc_lo, 0x80, v3
	s_and_b32 s12, vcc_lo, exec_lo
	s_and_not1_saveexec_b32 s9, s9
	s_cbranch_execnz .LBB55_1386
.LBB55_1366:
	s_or_b32 exec_lo, exec_lo, s9
	v_mov_b64_e32 v[8:9], 0
	s_and_saveexec_b32 s9, s12
	s_cbranch_execz .LBB55_1368
.LBB55_1367:
	v_and_b32_e32 v6, 0xffff, v3
	s_delay_alu instid0(VALU_DEP_1) | instskip(SKIP_1) | instid1(VALU_DEP_2)
	v_and_b32_e32 v7, 3, v6
	v_bfe_u32 v10, v6, 2, 5
	v_clz_i32_u32_e32 v8, v7
	s_delay_alu instid0(VALU_DEP_2) | instskip(NEXT) | instid1(VALU_DEP_2)
	v_cmp_eq_u32_e32 vcc_lo, 0, v10
	v_min_u32_e32 v8, 32, v8
	s_delay_alu instid0(VALU_DEP_1) | instskip(NEXT) | instid1(VALU_DEP_1)
	v_subrev_nc_u32_e32 v9, 29, v8
	v_dual_lshlrev_b32 v6, v9, v6 :: v_dual_sub_nc_u32 v8, 30, v8
	s_delay_alu instid0(VALU_DEP_1) | instskip(NEXT) | instid1(VALU_DEP_1)
	v_dual_lshlrev_b32 v3, 24, v3 :: v_dual_bitop2_b32 v6, 3, v6 bitop3:0x40
	v_dual_cndmask_b32 v8, v10, v8, vcc_lo :: v_dual_cndmask_b32 v6, v7, v6, vcc_lo
	s_delay_alu instid0(VALU_DEP_2) | instskip(NEXT) | instid1(VALU_DEP_2)
	v_and_b32_e32 v3, 0x80000000, v3
	v_lshl_add_u32 v7, v8, 23, 0x37800000
	s_delay_alu instid0(VALU_DEP_3) | instskip(NEXT) | instid1(VALU_DEP_1)
	v_lshlrev_b32_e32 v6, 21, v6
	v_or3_b32 v3, v3, v7, v6
	s_delay_alu instid0(VALU_DEP_1) | instskip(NEXT) | instid1(VALU_DEP_1)
	v_trunc_f32_e32 v3, v3
	v_mul_f32_e64 v6, 0x2f800000, |v3|
	s_delay_alu instid0(VALU_DEP_1) | instskip(SKIP_1) | instid1(VALU_DEP_2)
	v_floor_f32_e32 v7, v6
	v_ashrrev_i32_e32 v6, 31, v3
	v_fma_f32 v8, 0xcf800000, v7, |v3|
	v_cvt_u32_f32_e32 v3, v7
	s_delay_alu instid0(VALU_DEP_3) | instskip(NEXT) | instid1(VALU_DEP_3)
	v_mov_b32_e32 v7, v6
	v_cvt_u32_f32_e32 v8, v8
	s_delay_alu instid0(VALU_DEP_3) | instskip(NEXT) | instid1(VALU_DEP_2)
	v_xor_b32_e32 v9, v3, v6
	v_xor_b32_e32 v8, v8, v6
	s_delay_alu instid0(VALU_DEP_1)
	v_sub_nc_u64_e32 v[8:9], v[8:9], v[6:7]
.LBB55_1368:
	s_or_b32 exec_lo, exec_lo, s9
	s_mov_b32 s9, 0
	s_branch .LBB55_1374
.LBB55_1369:
	s_mov_b32 s9, -1
                                        ; implicit-def: $vgpr8_vgpr9
	s_branch .LBB55_1380
.LBB55_1370:
	s_and_not1_saveexec_b32 s12, s12
	s_cbranch_execz .LBB55_1356
.LBB55_1371:
	v_cmp_ne_u16_e32 vcc_lo, 0, v3
	s_and_not1_b32 s13, s13, exec_lo
	s_and_b32 s14, vcc_lo, exec_lo
	s_delay_alu instid0(SALU_CYCLE_1)
	s_or_b32 s13, s13, s14
	s_or_b32 exec_lo, exec_lo, s12
	v_mov_b64_e32 v[8:9], 0
	s_and_saveexec_b32 s12, s13
	s_cbranch_execnz .LBB55_1357
	s_branch .LBB55_1358
.LBB55_1372:
	s_mov_b32 s9, -1
                                        ; implicit-def: $vgpr8_vgpr9
	s_branch .LBB55_1377
.LBB55_1373:
	s_mov_b32 s9, -1
                                        ; implicit-def: $vgpr8_vgpr9
.LBB55_1374:
	s_delay_alu instid0(SALU_CYCLE_1)
	s_and_b32 vcc_lo, exec_lo, s9
	s_cbranch_vccz .LBB55_1376
; %bb.1375:
	global_load_u8 v3, v[0:1], off
	s_wait_loadcnt 0x0
	v_lshlrev_b32_e32 v3, 24, v3
	s_delay_alu instid0(VALU_DEP_1) | instskip(NEXT) | instid1(VALU_DEP_1)
	v_and_b32_e32 v6, 0x7f000000, v3
	v_clz_i32_u32_e32 v7, v6
	v_cmp_ne_u32_e32 vcc_lo, 0, v6
	v_add_nc_u32_e32 v9, 0x1000000, v6
	s_delay_alu instid0(VALU_DEP_3) | instskip(NEXT) | instid1(VALU_DEP_1)
	v_min_u32_e32 v7, 32, v7
	v_sub_nc_u32_e64 v7, v7, 4 clamp
	s_delay_alu instid0(VALU_DEP_1) | instskip(NEXT) | instid1(VALU_DEP_1)
	v_dual_lshlrev_b32 v8, v7, v6 :: v_dual_lshlrev_b32 v7, 23, v7
	v_lshrrev_b32_e32 v8, 4, v8
	s_delay_alu instid0(VALU_DEP_1) | instskip(NEXT) | instid1(VALU_DEP_1)
	v_dual_sub_nc_u32 v7, v8, v7 :: v_dual_ashrrev_i32 v8, 8, v9
	v_add_nc_u32_e32 v7, 0x3c000000, v7
	s_delay_alu instid0(VALU_DEP_1) | instskip(NEXT) | instid1(VALU_DEP_1)
	v_and_or_b32 v7, 0x7f800000, v8, v7
	v_cndmask_b32_e32 v6, 0, v7, vcc_lo
	s_delay_alu instid0(VALU_DEP_1) | instskip(NEXT) | instid1(VALU_DEP_1)
	v_and_or_b32 v3, 0x80000000, v3, v6
	v_trunc_f32_e32 v3, v3
	s_delay_alu instid0(VALU_DEP_1) | instskip(NEXT) | instid1(VALU_DEP_1)
	v_mul_f32_e64 v6, 0x2f800000, |v3|
	v_floor_f32_e32 v7, v6
	v_ashrrev_i32_e32 v6, 31, v3
	s_delay_alu instid0(VALU_DEP_2) | instskip(SKIP_1) | instid1(VALU_DEP_3)
	v_fma_f32 v8, 0xcf800000, v7, |v3|
	v_cvt_u32_f32_e32 v3, v7
	v_mov_b32_e32 v7, v6
	s_delay_alu instid0(VALU_DEP_3) | instskip(NEXT) | instid1(VALU_DEP_3)
	v_cvt_u32_f32_e32 v8, v8
	v_xor_b32_e32 v9, v3, v6
	s_delay_alu instid0(VALU_DEP_2) | instskip(NEXT) | instid1(VALU_DEP_1)
	v_xor_b32_e32 v8, v8, v6
	v_sub_nc_u64_e32 v[8:9], v[8:9], v[6:7]
.LBB55_1376:
	s_mov_b32 s9, 0
.LBB55_1377:
	s_delay_alu instid0(SALU_CYCLE_1)
	s_and_not1_b32 vcc_lo, exec_lo, s9
	s_cbranch_vccnz .LBB55_1379
; %bb.1378:
	global_load_u8 v3, v[0:1], off
	s_wait_loadcnt 0x0
	v_lshlrev_b32_e32 v6, 25, v3
	v_lshlrev_b16 v3, 8, v3
	s_delay_alu instid0(VALU_DEP_1) | instskip(SKIP_1) | instid1(VALU_DEP_2)
	v_and_or_b32 v8, 0x7f00, v3, 0.5
	v_bfe_i32 v3, v3, 0, 16
	v_dual_add_f32 v8, -0.5, v8 :: v_dual_lshrrev_b32 v7, 4, v6
	v_cmp_gt_u32_e32 vcc_lo, 0x8000000, v6
	s_delay_alu instid0(VALU_DEP_2) | instskip(NEXT) | instid1(VALU_DEP_1)
	v_or_b32_e32 v7, 0x70000000, v7
	v_mul_f32_e32 v7, 0x7800000, v7
	s_delay_alu instid0(VALU_DEP_1) | instskip(NEXT) | instid1(VALU_DEP_1)
	v_cndmask_b32_e32 v6, v7, v8, vcc_lo
	v_and_or_b32 v3, 0x80000000, v3, v6
	s_delay_alu instid0(VALU_DEP_1) | instskip(NEXT) | instid1(VALU_DEP_1)
	v_trunc_f32_e32 v3, v3
	v_mul_f32_e64 v6, 0x2f800000, |v3|
	s_delay_alu instid0(VALU_DEP_1) | instskip(SKIP_1) | instid1(VALU_DEP_2)
	v_floor_f32_e32 v7, v6
	v_ashrrev_i32_e32 v6, 31, v3
	v_fma_f32 v8, 0xcf800000, v7, |v3|
	v_cvt_u32_f32_e32 v3, v7
	s_delay_alu instid0(VALU_DEP_3) | instskip(NEXT) | instid1(VALU_DEP_3)
	v_mov_b32_e32 v7, v6
	v_cvt_u32_f32_e32 v8, v8
	s_delay_alu instid0(VALU_DEP_3) | instskip(NEXT) | instid1(VALU_DEP_2)
	v_xor_b32_e32 v9, v3, v6
	v_xor_b32_e32 v8, v8, v6
	s_delay_alu instid0(VALU_DEP_1)
	v_sub_nc_u64_e32 v[8:9], v[8:9], v[6:7]
.LBB55_1379:
	s_mov_b32 s9, 0
	s_mov_b32 s12, -1
.LBB55_1380:
	s_and_not1_b32 vcc_lo, exec_lo, s9
	s_mov_b32 s9, 0
	s_cbranch_vccnz .LBB55_1391
; %bb.1381:
	s_cmp_gt_i32 s7, 14
	s_cbranch_scc0 .LBB55_1384
; %bb.1382:
	s_cmp_eq_u32 s7, 15
	s_cbranch_scc0 .LBB55_1387
; %bb.1383:
	global_load_u16 v3, v[0:1], off
	s_mov_b32 s8, 0
	s_mov_b32 s12, -1
	s_wait_loadcnt 0x0
	v_lshlrev_b32_e32 v3, 16, v3
	s_delay_alu instid0(VALU_DEP_1) | instskip(NEXT) | instid1(VALU_DEP_1)
	v_trunc_f32_e32 v3, v3
	v_mul_f32_e64 v6, 0x2f800000, |v3|
	s_delay_alu instid0(VALU_DEP_1) | instskip(SKIP_1) | instid1(VALU_DEP_2)
	v_floor_f32_e32 v7, v6
	v_ashrrev_i32_e32 v6, 31, v3
	v_fma_f32 v8, 0xcf800000, v7, |v3|
	v_cvt_u32_f32_e32 v3, v7
	s_delay_alu instid0(VALU_DEP_3) | instskip(NEXT) | instid1(VALU_DEP_3)
	v_mov_b32_e32 v7, v6
	v_cvt_u32_f32_e32 v8, v8
	s_delay_alu instid0(VALU_DEP_3) | instskip(NEXT) | instid1(VALU_DEP_2)
	v_xor_b32_e32 v9, v3, v6
	v_xor_b32_e32 v8, v8, v6
	s_delay_alu instid0(VALU_DEP_1)
	v_sub_nc_u64_e32 v[8:9], v[8:9], v[6:7]
	s_branch .LBB55_1389
.LBB55_1384:
	s_mov_b32 s9, -1
	s_branch .LBB55_1388
.LBB55_1385:
	s_and_not1_saveexec_b32 s9, s9
	s_cbranch_execz .LBB55_1366
.LBB55_1386:
	v_cmp_ne_u16_e32 vcc_lo, 0, v3
	s_and_not1_b32 s12, s12, exec_lo
	s_and_b32 s13, vcc_lo, exec_lo
	s_delay_alu instid0(SALU_CYCLE_1)
	s_or_b32 s12, s12, s13
	s_or_b32 exec_lo, exec_lo, s9
	v_mov_b64_e32 v[8:9], 0
	s_and_saveexec_b32 s9, s12
	s_cbranch_execnz .LBB55_1367
	s_branch .LBB55_1368
.LBB55_1387:
	s_mov_b32 s8, -1
.LBB55_1388:
                                        ; implicit-def: $vgpr8_vgpr9
.LBB55_1389:
	s_and_b32 vcc_lo, exec_lo, s9
	s_mov_b32 s9, 0
	s_cbranch_vccz .LBB55_1391
; %bb.1390:
	s_cmp_lg_u32 s7, 11
	s_mov_b32 s9, -1
	s_cselect_b32 s7, -1, 0
	s_and_not1_b32 s8, s8, exec_lo
	s_and_b32 s7, s7, exec_lo
	s_delay_alu instid0(SALU_CYCLE_1)
	s_or_b32 s8, s8, s7
.LBB55_1391:
	s_mov_b32 s7, 0
.LBB55_1392:
	s_and_not1_b32 s13, s40, exec_lo
	s_and_b32 s8, s8, exec_lo
	s_and_b32 s12, s12, exec_lo
	;; [unrolled: 1-line block ×4, first 2 shown]
	s_or_b32 s40, s13, s8
	s_wait_xcnt 0x0
	s_or_b32 exec_lo, exec_lo, s6
	s_and_saveexec_b32 s6, s40
	s_cbranch_execz .LBB55_1325
.LBB55_1393:
	s_or_b32 s1, s1, exec_lo
	s_and_not1_b32 s14, s14, exec_lo
	s_trap 2
	s_or_b32 exec_lo, exec_lo, s6
	s_and_saveexec_b32 s6, s14
	s_delay_alu instid0(SALU_CYCLE_1)
	s_xor_b32 s6, exec_lo, s6
	s_cbranch_execnz .LBB55_1326
.LBB55_1394:
	s_or_b32 exec_lo, exec_lo, s6
	s_and_saveexec_b32 s6, s7
	s_cbranch_execz .LBB55_1440
.LBB55_1395:
	s_sext_i32_i16 s7, s0
	s_delay_alu instid0(SALU_CYCLE_1)
	s_cmp_lt_i32 s7, 5
	s_cbranch_scc1 .LBB55_1400
; %bb.1396:
	s_cmp_lt_i32 s7, 8
	s_cbranch_scc1 .LBB55_1401
; %bb.1397:
	;; [unrolled: 3-line block ×3, first 2 shown]
	s_cmp_gt_i32 s7, 9
	s_cbranch_scc0 .LBB55_1403
; %bb.1399:
	global_load_b64 v[6:7], v[0:1], off
	s_mov_b32 s7, 0
	s_wait_loadcnt 0x0
	v_trunc_f64_e32 v[6:7], v[6:7]
	s_delay_alu instid0(VALU_DEP_1) | instskip(NEXT) | instid1(VALU_DEP_1)
	v_ldexp_f64 v[8:9], v[6:7], 0xffffffe0
	v_floor_f64_e32 v[8:9], v[8:9]
	s_delay_alu instid0(VALU_DEP_1) | instskip(SKIP_1) | instid1(VALU_DEP_2)
	v_fmamk_f64 v[6:7], v[8:9], 0xc1f00000, v[6:7]
	v_cvt_i32_f64_e32 v9, v[8:9]
	v_cvt_u32_f64_e32 v8, v[6:7]
	s_branch .LBB55_1404
.LBB55_1400:
                                        ; implicit-def: $vgpr8_vgpr9
	s_branch .LBB55_1421
.LBB55_1401:
                                        ; implicit-def: $vgpr8_vgpr9
	s_branch .LBB55_1410
.LBB55_1402:
	s_mov_b32 s7, -1
                                        ; implicit-def: $vgpr8_vgpr9
	s_branch .LBB55_1407
.LBB55_1403:
	s_mov_b32 s7, -1
                                        ; implicit-def: $vgpr8_vgpr9
.LBB55_1404:
	s_delay_alu instid0(SALU_CYCLE_1)
	s_and_not1_b32 vcc_lo, exec_lo, s7
	s_cbranch_vccnz .LBB55_1406
; %bb.1405:
	global_load_b32 v3, v[0:1], off
	s_wait_loadcnt 0x0
	v_trunc_f32_e32 v3, v3
	s_delay_alu instid0(VALU_DEP_1) | instskip(NEXT) | instid1(VALU_DEP_1)
	v_mul_f32_e64 v6, 0x2f800000, |v3|
	v_floor_f32_e32 v7, v6
	v_ashrrev_i32_e32 v6, 31, v3
	s_delay_alu instid0(VALU_DEP_2) | instskip(SKIP_1) | instid1(VALU_DEP_3)
	v_fma_f32 v8, 0xcf800000, v7, |v3|
	v_cvt_u32_f32_e32 v3, v7
	v_mov_b32_e32 v7, v6
	s_delay_alu instid0(VALU_DEP_3) | instskip(NEXT) | instid1(VALU_DEP_3)
	v_cvt_u32_f32_e32 v8, v8
	v_xor_b32_e32 v9, v3, v6
	s_delay_alu instid0(VALU_DEP_2) | instskip(NEXT) | instid1(VALU_DEP_1)
	v_xor_b32_e32 v8, v8, v6
	v_sub_nc_u64_e32 v[8:9], v[8:9], v[6:7]
.LBB55_1406:
	s_mov_b32 s7, 0
.LBB55_1407:
	s_delay_alu instid0(SALU_CYCLE_1)
	s_and_not1_b32 vcc_lo, exec_lo, s7
	s_cbranch_vccnz .LBB55_1409
; %bb.1408:
	global_load_b32 v3, v[0:1], off
	s_wait_loadcnt 0x0
	v_cvt_f32_f16_e32 v3, v3
	s_delay_alu instid0(VALU_DEP_1) | instskip(NEXT) | instid1(VALU_DEP_1)
	v_cvt_i32_f32_e32 v8, v3
	v_ashrrev_i32_e32 v9, 31, v8
.LBB55_1409:
	s_cbranch_execnz .LBB55_1420
.LBB55_1410:
	s_sext_i32_i16 s7, s0
	s_delay_alu instid0(SALU_CYCLE_1)
	s_cmp_lt_i32 s7, 6
	s_cbranch_scc1 .LBB55_1413
; %bb.1411:
	s_cmp_gt_i32 s7, 6
	s_cbranch_scc0 .LBB55_1414
; %bb.1412:
	global_load_b64 v[6:7], v[0:1], off
	s_mov_b32 s7, 0
	s_wait_loadcnt 0x0
	v_trunc_f64_e32 v[6:7], v[6:7]
	s_delay_alu instid0(VALU_DEP_1) | instskip(NEXT) | instid1(VALU_DEP_1)
	v_ldexp_f64 v[8:9], v[6:7], 0xffffffe0
	v_floor_f64_e32 v[8:9], v[8:9]
	s_delay_alu instid0(VALU_DEP_1) | instskip(SKIP_1) | instid1(VALU_DEP_2)
	v_fmamk_f64 v[6:7], v[8:9], 0xc1f00000, v[6:7]
	v_cvt_i32_f64_e32 v9, v[8:9]
	v_cvt_u32_f64_e32 v8, v[6:7]
	s_branch .LBB55_1415
.LBB55_1413:
	s_mov_b32 s7, -1
                                        ; implicit-def: $vgpr8_vgpr9
	s_branch .LBB55_1418
.LBB55_1414:
	s_mov_b32 s7, -1
                                        ; implicit-def: $vgpr8_vgpr9
.LBB55_1415:
	s_delay_alu instid0(SALU_CYCLE_1)
	s_and_not1_b32 vcc_lo, exec_lo, s7
	s_cbranch_vccnz .LBB55_1417
; %bb.1416:
	global_load_b32 v3, v[0:1], off
	s_wait_loadcnt 0x0
	v_trunc_f32_e32 v3, v3
	s_delay_alu instid0(VALU_DEP_1) | instskip(NEXT) | instid1(VALU_DEP_1)
	v_mul_f32_e64 v6, 0x2f800000, |v3|
	v_floor_f32_e32 v7, v6
	v_ashrrev_i32_e32 v6, 31, v3
	s_delay_alu instid0(VALU_DEP_2) | instskip(SKIP_1) | instid1(VALU_DEP_3)
	v_fma_f32 v8, 0xcf800000, v7, |v3|
	v_cvt_u32_f32_e32 v3, v7
	v_mov_b32_e32 v7, v6
	s_delay_alu instid0(VALU_DEP_3) | instskip(NEXT) | instid1(VALU_DEP_3)
	v_cvt_u32_f32_e32 v8, v8
	v_xor_b32_e32 v9, v3, v6
	s_delay_alu instid0(VALU_DEP_2) | instskip(NEXT) | instid1(VALU_DEP_1)
	v_xor_b32_e32 v8, v8, v6
	v_sub_nc_u64_e32 v[8:9], v[8:9], v[6:7]
.LBB55_1417:
	s_mov_b32 s7, 0
.LBB55_1418:
	s_delay_alu instid0(SALU_CYCLE_1)
	s_and_not1_b32 vcc_lo, exec_lo, s7
	s_cbranch_vccnz .LBB55_1420
; %bb.1419:
	global_load_u16 v3, v[0:1], off
	s_wait_loadcnt 0x0
	v_cvt_f32_f16_e32 v3, v3
	s_delay_alu instid0(VALU_DEP_1) | instskip(NEXT) | instid1(VALU_DEP_1)
	v_cvt_i32_f32_e32 v8, v3
	v_ashrrev_i32_e32 v9, 31, v8
.LBB55_1420:
	s_cbranch_execnz .LBB55_1439
.LBB55_1421:
	s_sext_i32_i16 s7, s0
	s_delay_alu instid0(SALU_CYCLE_1)
	s_cmp_lt_i32 s7, 2
	s_cbranch_scc1 .LBB55_1425
; %bb.1422:
	s_cmp_lt_i32 s7, 3
	s_cbranch_scc1 .LBB55_1426
; %bb.1423:
	s_cmp_gt_i32 s7, 3
	s_cbranch_scc0 .LBB55_1427
; %bb.1424:
	s_wait_loadcnt 0x0
	global_load_b64 v[8:9], v[0:1], off
	s_mov_b32 s7, 0
	s_branch .LBB55_1428
.LBB55_1425:
                                        ; implicit-def: $vgpr8_vgpr9
	s_branch .LBB55_1434
.LBB55_1426:
	s_mov_b32 s7, -1
                                        ; implicit-def: $vgpr8_vgpr9
	s_branch .LBB55_1431
.LBB55_1427:
	s_mov_b32 s7, -1
                                        ; implicit-def: $vgpr8_vgpr9
.LBB55_1428:
	s_delay_alu instid0(SALU_CYCLE_1)
	s_and_not1_b32 vcc_lo, exec_lo, s7
	s_cbranch_vccnz .LBB55_1430
; %bb.1429:
	s_wait_loadcnt 0x0
	global_load_b32 v8, v[0:1], off
	s_wait_loadcnt 0x0
	v_ashrrev_i32_e32 v9, 31, v8
.LBB55_1430:
	s_mov_b32 s7, 0
.LBB55_1431:
	s_delay_alu instid0(SALU_CYCLE_1)
	s_and_not1_b32 vcc_lo, exec_lo, s7
	s_cbranch_vccnz .LBB55_1433
; %bb.1432:
	global_load_u16 v3, v[0:1], off
	s_wait_loadcnt 0x0
	v_bfe_i32 v8, v3, 0, 16
	s_delay_alu instid0(VALU_DEP_1)
	v_ashrrev_i32_e32 v9, 31, v8
.LBB55_1433:
	s_cbranch_execnz .LBB55_1439
.LBB55_1434:
	s_sext_i32_i16 s0, s0
	s_delay_alu instid0(SALU_CYCLE_1)
	s_cmp_gt_i32 s0, 0
	s_mov_b32 s0, 0
	s_cbranch_scc0 .LBB55_1436
; %bb.1435:
	global_load_i8 v3, v[0:1], off
	s_wait_loadcnt 0x0
	v_bfe_i32 v8, v3, 0, 16
	s_delay_alu instid0(VALU_DEP_1)
	v_ashrrev_i32_e32 v9, 31, v8
	s_branch .LBB55_1437
.LBB55_1436:
	s_mov_b32 s0, -1
                                        ; implicit-def: $vgpr8_vgpr9
.LBB55_1437:
	s_delay_alu instid0(SALU_CYCLE_1)
	s_and_not1_b32 vcc_lo, exec_lo, s0
	s_cbranch_vccnz .LBB55_1439
; %bb.1438:
	global_load_u8 v0, v[0:1], off
	s_mov_b32 s0, 0
	s_wait_loadcnt 0x1
	v_mov_b32_e32 v9, s0
	s_wait_loadcnt 0x0
	v_and_b32_e32 v8, 0xffff, v0
.LBB55_1439:
	s_or_b32 s12, s12, exec_lo
.LBB55_1440:
	s_wait_xcnt 0x0
	s_or_b32 exec_lo, exec_lo, s6
	s_mov_b32 s0, 0
	s_mov_b32 s9, 0
                                        ; implicit-def: $sgpr6
                                        ; implicit-def: $sgpr7
                                        ; implicit-def: $vgpr0_vgpr1
	s_and_saveexec_b32 s8, s12
	s_cbranch_execz .LBB55_1448
; %bb.1441:
	v_mov_b32_e32 v3, 0
	s_wait_loadcnt 0x0
	s_delay_alu instid0(VALU_DEP_2) | instskip(SKIP_1) | instid1(VALU_DEP_2)
	v_cmp_ne_u64_e32 vcc_lo, v[4:5], v[8:9]
	s_and_b32 s7, s11, 0xff
	v_add_nc_u64_e32 v[0:1], s[4:5], v[2:3]
	s_xor_b32 s6, s10, vcc_lo
	s_cmp_lt_i32 s7, 11
	s_cbranch_scc1 .LBB55_1451
; %bb.1442:
	s_and_b32 s4, 0xffff, s7
	s_mov_b32 s5, -1
	s_cmp_gt_i32 s4, 25
	s_mov_b32 s0, s39
	s_cbranch_scc0 .LBB55_1479
; %bb.1443:
	s_cmp_gt_i32 s4, 28
	s_mov_b32 s0, s39
	s_cbranch_scc0 .LBB55_1463
; %bb.1444:
	;; [unrolled: 4-line block ×4, first 2 shown]
	s_cmp_eq_u32 s4, 46
	s_mov_b32 s0, -1
	s_cbranch_scc0 .LBB55_1452
; %bb.1447:
	v_cndmask_b32_e64 v2, 0, 1.0, s6
	s_mov_b32 s0, 0
	s_mov_b32 s5, 0
	s_delay_alu instid0(VALU_DEP_1) | instskip(NEXT) | instid1(VALU_DEP_1)
	v_bfe_u32 v3, v2, 16, 1
	v_add3_u32 v2, v2, v3, 0x7fff
	s_delay_alu instid0(VALU_DEP_1)
	v_lshrrev_b32_e32 v2, 16, v2
	global_store_b32 v[0:1], v2, off
	s_branch .LBB55_1453
.LBB55_1448:
	s_or_b32 exec_lo, exec_lo, s8
	s_and_saveexec_b32 s4, s39
	s_cbranch_execnz .LBB55_1521
.LBB55_1449:
	s_or_b32 exec_lo, exec_lo, s4
	s_and_saveexec_b32 s4, s0
	s_delay_alu instid0(SALU_CYCLE_1)
	s_xor_b32 s0, exec_lo, s4
	s_cbranch_execz .LBB55_1522
.LBB55_1450:
	v_cndmask_b32_e64 v2, 0, 1, s6
	global_store_b8 v[0:1], v2, off
	s_wait_xcnt 0x0
	s_or_b32 exec_lo, exec_lo, s0
	s_and_saveexec_b32 s0, s9
	s_delay_alu instid0(SALU_CYCLE_1)
	s_xor_b32 s0, exec_lo, s0
	s_cbranch_execz .LBB55_1560
	s_branch .LBB55_1523
.LBB55_1451:
	s_mov_b32 s10, 0
	s_mov_b32 s5, -1
	s_mov_b32 s0, s39
	s_branch .LBB55_1520
.LBB55_1452:
	s_mov_b32 s5, 0
.LBB55_1453:
	s_delay_alu instid0(SALU_CYCLE_1)
	s_and_b32 vcc_lo, exec_lo, s5
	s_cbranch_vccz .LBB55_1458
; %bb.1454:
	s_cmp_eq_u32 s4, 44
	s_mov_b32 s0, -1
	s_cbranch_scc0 .LBB55_1458
; %bb.1455:
	v_cndmask_b32_e64 v4, 0, 1.0, s6
	s_mov_b32 s5, exec_lo
	s_wait_xcnt 0x0
	s_delay_alu instid0(VALU_DEP_1) | instskip(NEXT) | instid1(VALU_DEP_1)
	v_dual_mov_b32 v3, 0xff :: v_dual_lshrrev_b32 v2, 23, v4
	v_cmpx_ne_u32_e32 0xff, v2
; %bb.1456:
	v_and_b32_e32 v3, 0x400000, v4
	v_and_or_b32 v4, 0x3fffff, v4, v2
	s_delay_alu instid0(VALU_DEP_2) | instskip(NEXT) | instid1(VALU_DEP_2)
	v_cmp_ne_u32_e32 vcc_lo, 0, v3
	v_cmp_ne_u32_e64 s0, 0, v4
	s_and_b32 s0, vcc_lo, s0
	s_delay_alu instid0(SALU_CYCLE_1) | instskip(NEXT) | instid1(VALU_DEP_1)
	v_cndmask_b32_e64 v3, 0, 1, s0
	v_add_nc_u32_e32 v3, v2, v3
; %bb.1457:
	s_or_b32 exec_lo, exec_lo, s5
	s_mov_b32 s0, 0
	global_store_b8 v[0:1], v3, off
.LBB55_1458:
	s_mov_b32 s5, 0
.LBB55_1459:
	s_delay_alu instid0(SALU_CYCLE_1)
	s_and_b32 vcc_lo, exec_lo, s5
	s_cbranch_vccz .LBB55_1462
; %bb.1460:
	s_cmp_eq_u32 s4, 29
	s_mov_b32 s0, -1
	s_cbranch_scc0 .LBB55_1462
; %bb.1461:
	s_mov_b32 s0, 0
	s_wait_xcnt 0x0
	v_cndmask_b32_e64 v2, 0, 1, s6
	v_mov_b32_e32 v3, s0
	s_mov_b32 s5, 0
	global_store_b64 v[0:1], v[2:3], off
	s_branch .LBB55_1463
.LBB55_1462:
	s_mov_b32 s5, 0
.LBB55_1463:
	s_delay_alu instid0(SALU_CYCLE_1)
	s_and_b32 vcc_lo, exec_lo, s5
	s_cbranch_vccz .LBB55_1478
; %bb.1464:
	s_cmp_lt_i32 s4, 27
	s_mov_b32 s5, -1
	s_cbranch_scc1 .LBB55_1470
; %bb.1465:
	s_cmp_gt_i32 s4, 27
	s_cbranch_scc0 .LBB55_1467
; %bb.1466:
	s_wait_xcnt 0x0
	v_cndmask_b32_e64 v2, 0, 1, s6
	s_mov_b32 s5, 0
	global_store_b32 v[0:1], v2, off
.LBB55_1467:
	s_and_not1_b32 vcc_lo, exec_lo, s5
	s_cbranch_vccnz .LBB55_1469
; %bb.1468:
	s_wait_xcnt 0x0
	v_cndmask_b32_e64 v2, 0, 1, s6
	global_store_b16 v[0:1], v2, off
.LBB55_1469:
	s_mov_b32 s5, 0
.LBB55_1470:
	s_delay_alu instid0(SALU_CYCLE_1)
	s_and_not1_b32 vcc_lo, exec_lo, s5
	s_cbranch_vccnz .LBB55_1478
; %bb.1471:
	s_wait_xcnt 0x0
	v_cndmask_b32_e64 v3, 0, 1.0, s6
	v_mov_b32_e32 v4, 0x80
	s_mov_b32 s5, exec_lo
	s_delay_alu instid0(VALU_DEP_2)
	v_cmpx_gt_u32_e32 0x43800000, v3
	s_cbranch_execz .LBB55_1477
; %bb.1472:
	s_mov_b32 s10, exec_lo
                                        ; implicit-def: $vgpr2
	v_cmpx_lt_u32_e32 0x3bffffff, v3
	s_xor_b32 s10, exec_lo, s10
	s_cbranch_execz .LBB55_1619
; %bb.1473:
	v_bfe_u32 v2, v3, 20, 1
	s_mov_b32 s9, exec_lo
	s_delay_alu instid0(VALU_DEP_1) | instskip(NEXT) | instid1(VALU_DEP_1)
	v_add3_u32 v2, v3, v2, 0x487ffff
                                        ; implicit-def: $vgpr3
	v_lshrrev_b32_e32 v2, 20, v2
	s_and_not1_saveexec_b32 s10, s10
	s_cbranch_execnz .LBB55_1620
.LBB55_1474:
	s_or_b32 exec_lo, exec_lo, s10
	v_mov_b32_e32 v4, 0
	s_and_saveexec_b32 s10, s9
.LBB55_1475:
	v_mov_b32_e32 v4, v2
.LBB55_1476:
	s_or_b32 exec_lo, exec_lo, s10
.LBB55_1477:
	s_delay_alu instid0(SALU_CYCLE_1)
	s_or_b32 exec_lo, exec_lo, s5
	global_store_b8 v[0:1], v4, off
.LBB55_1478:
	s_mov_b32 s5, 0
.LBB55_1479:
	s_delay_alu instid0(SALU_CYCLE_1)
	s_and_b32 vcc_lo, exec_lo, s5
	s_mov_b32 s5, 0
	s_cbranch_vccz .LBB55_1519
; %bb.1480:
	s_cmp_gt_i32 s4, 22
	s_mov_b32 s9, -1
	s_cbranch_scc0 .LBB55_1512
; %bb.1481:
	s_cmp_lt_i32 s4, 24
	s_cbranch_scc1 .LBB55_1501
; %bb.1482:
	s_cmp_gt_i32 s4, 24
	s_cbranch_scc0 .LBB55_1490
; %bb.1483:
	s_wait_xcnt 0x0
	v_cndmask_b32_e64 v3, 0, 1.0, s6
	v_mov_b32_e32 v4, 0x80
	s_mov_b32 s9, exec_lo
	s_delay_alu instid0(VALU_DEP_2)
	v_cmpx_gt_u32_e32 0x47800000, v3
	s_cbranch_execz .LBB55_1489
; %bb.1484:
	s_mov_b32 s10, 0
	s_mov_b32 s11, exec_lo
                                        ; implicit-def: $vgpr2
	v_cmpx_lt_u32_e32 0x37ffffff, v3
	s_xor_b32 s11, exec_lo, s11
	s_cbranch_execz .LBB55_1740
; %bb.1485:
	v_bfe_u32 v2, v3, 21, 1
	s_mov_b32 s10, exec_lo
	s_delay_alu instid0(VALU_DEP_1) | instskip(NEXT) | instid1(VALU_DEP_1)
	v_add3_u32 v2, v3, v2, 0x88fffff
                                        ; implicit-def: $vgpr3
	v_lshrrev_b32_e32 v2, 21, v2
	s_and_not1_saveexec_b32 s11, s11
	s_cbranch_execnz .LBB55_1741
.LBB55_1486:
	s_or_b32 exec_lo, exec_lo, s11
	v_mov_b32_e32 v4, 0
	s_and_saveexec_b32 s11, s10
.LBB55_1487:
	v_mov_b32_e32 v4, v2
.LBB55_1488:
	s_or_b32 exec_lo, exec_lo, s11
.LBB55_1489:
	s_delay_alu instid0(SALU_CYCLE_1)
	s_or_b32 exec_lo, exec_lo, s9
	s_mov_b32 s9, 0
	global_store_b8 v[0:1], v4, off
.LBB55_1490:
	s_and_b32 vcc_lo, exec_lo, s9
	s_cbranch_vccz .LBB55_1500
; %bb.1491:
	s_wait_xcnt 0x0
	v_cndmask_b32_e64 v3, 0, 1.0, s6
	s_mov_b32 s9, exec_lo
                                        ; implicit-def: $vgpr2
	s_delay_alu instid0(VALU_DEP_1)
	v_cmpx_gt_u32_e32 0x43f00000, v3
	s_xor_b32 s9, exec_lo, s9
	s_cbranch_execz .LBB55_1497
; %bb.1492:
	s_mov_b32 s10, exec_lo
                                        ; implicit-def: $vgpr2
	v_cmpx_lt_u32_e32 0x3c7fffff, v3
	s_xor_b32 s10, exec_lo, s10
; %bb.1493:
	v_bfe_u32 v2, v3, 20, 1
	s_delay_alu instid0(VALU_DEP_1) | instskip(NEXT) | instid1(VALU_DEP_1)
	v_add3_u32 v2, v3, v2, 0x407ffff
	v_and_b32_e32 v3, 0xff00000, v2
	v_lshrrev_b32_e32 v2, 20, v2
	s_delay_alu instid0(VALU_DEP_2) | instskip(NEXT) | instid1(VALU_DEP_2)
	v_cmp_ne_u32_e32 vcc_lo, 0x7f00000, v3
                                        ; implicit-def: $vgpr3
	v_cndmask_b32_e32 v2, 0x7e, v2, vcc_lo
; %bb.1494:
	s_and_not1_saveexec_b32 s10, s10
; %bb.1495:
	v_add_f32_e32 v2, 0x46800000, v3
; %bb.1496:
	s_or_b32 exec_lo, exec_lo, s10
                                        ; implicit-def: $vgpr3
.LBB55_1497:
	s_and_not1_saveexec_b32 s9, s9
; %bb.1498:
	v_mov_b32_e32 v2, 0x7f
	v_cmp_lt_u32_e32 vcc_lo, 0x7f800000, v3
	s_delay_alu instid0(VALU_DEP_2)
	v_cndmask_b32_e32 v2, 0x7e, v2, vcc_lo
; %bb.1499:
	s_or_b32 exec_lo, exec_lo, s9
	global_store_b8 v[0:1], v2, off
.LBB55_1500:
	s_mov_b32 s9, 0
.LBB55_1501:
	s_delay_alu instid0(SALU_CYCLE_1)
	s_and_not1_b32 vcc_lo, exec_lo, s9
	s_cbranch_vccnz .LBB55_1511
; %bb.1502:
	s_wait_xcnt 0x0
	v_cndmask_b32_e64 v3, 0, 1.0, s6
	s_mov_b32 s9, exec_lo
                                        ; implicit-def: $vgpr2
	s_delay_alu instid0(VALU_DEP_1)
	v_cmpx_gt_u32_e32 0x47800000, v3
	s_xor_b32 s9, exec_lo, s9
	s_cbranch_execz .LBB55_1508
; %bb.1503:
	s_mov_b32 s10, exec_lo
                                        ; implicit-def: $vgpr2
	v_cmpx_lt_u32_e32 0x387fffff, v3
	s_xor_b32 s10, exec_lo, s10
; %bb.1504:
	v_bfe_u32 v2, v3, 21, 1
	s_delay_alu instid0(VALU_DEP_1) | instskip(NEXT) | instid1(VALU_DEP_1)
	v_add3_u32 v2, v3, v2, 0x80fffff
                                        ; implicit-def: $vgpr3
	v_lshrrev_b32_e32 v2, 21, v2
; %bb.1505:
	s_and_not1_saveexec_b32 s10, s10
; %bb.1506:
	v_add_f32_e32 v2, 0x43000000, v3
; %bb.1507:
	s_or_b32 exec_lo, exec_lo, s10
                                        ; implicit-def: $vgpr3
.LBB55_1508:
	s_and_not1_saveexec_b32 s9, s9
; %bb.1509:
	v_mov_b32_e32 v2, 0x7f
	v_cmp_lt_u32_e32 vcc_lo, 0x7f800000, v3
	s_delay_alu instid0(VALU_DEP_2)
	v_cndmask_b32_e32 v2, 0x7c, v2, vcc_lo
; %bb.1510:
	s_or_b32 exec_lo, exec_lo, s9
	global_store_b8 v[0:1], v2, off
.LBB55_1511:
	s_mov_b32 s9, 0
.LBB55_1512:
	s_delay_alu instid0(SALU_CYCLE_1)
	s_and_not1_b32 vcc_lo, exec_lo, s9
	s_mov_b32 s10, 0
	s_cbranch_vccnz .LBB55_1520
; %bb.1513:
	s_cmp_gt_i32 s4, 14
	s_mov_b32 s9, -1
	s_cbranch_scc0 .LBB55_1517
; %bb.1514:
	s_cmp_eq_u32 s4, 15
	s_mov_b32 s0, -1
	s_cbranch_scc0 .LBB55_1516
; %bb.1515:
	s_wait_xcnt 0x0
	v_cndmask_b32_e64 v2, 0, 1.0, s6
	s_mov_b32 s0, 0
	s_delay_alu instid0(VALU_DEP_1) | instskip(NEXT) | instid1(VALU_DEP_1)
	v_bfe_u32 v3, v2, 16, 1
	v_add3_u32 v2, v2, v3, 0x7fff
	global_store_d16_hi_b16 v[0:1], v2, off
.LBB55_1516:
	s_mov_b32 s9, 0
.LBB55_1517:
	s_delay_alu instid0(SALU_CYCLE_1)
	s_and_b32 vcc_lo, exec_lo, s9
	s_cbranch_vccz .LBB55_1520
; %bb.1518:
	s_cmp_lg_u32 s4, 11
	s_mov_b32 s10, -1
	s_cselect_b32 s4, -1, 0
	s_and_not1_b32 s0, s0, exec_lo
	s_and_b32 s4, s4, exec_lo
	s_delay_alu instid0(SALU_CYCLE_1)
	s_or_b32 s0, s0, s4
	s_branch .LBB55_1520
.LBB55_1519:
	s_mov_b32 s10, 0
.LBB55_1520:
	s_and_b32 s9, s5, exec_lo
	s_and_not1_b32 s4, s39, exec_lo
	s_and_b32 s5, s0, exec_lo
	s_and_b32 s0, s10, exec_lo
	s_or_b32 s39, s4, s5
	s_wait_xcnt 0x0
	s_or_b32 exec_lo, exec_lo, s8
	s_and_saveexec_b32 s4, s39
	s_cbranch_execz .LBB55_1449
.LBB55_1521:
	s_or_b32 s1, s1, exec_lo
	s_and_not1_b32 s0, s0, exec_lo
	s_trap 2
	s_or_b32 exec_lo, exec_lo, s4
	s_and_saveexec_b32 s4, s0
	s_delay_alu instid0(SALU_CYCLE_1)
	s_xor_b32 s0, exec_lo, s4
	s_cbranch_execnz .LBB55_1450
.LBB55_1522:
	s_or_b32 exec_lo, exec_lo, s0
	s_and_saveexec_b32 s0, s9
	s_delay_alu instid0(SALU_CYCLE_1)
	s_xor_b32 s0, exec_lo, s0
	s_cbranch_execz .LBB55_1560
.LBB55_1523:
	s_sext_i32_i16 s5, s7
	s_mov_b32 s4, -1
	s_cmp_lt_i32 s5, 5
	s_cbranch_scc1 .LBB55_1544
; %bb.1524:
	s_cmp_lt_i32 s5, 8
	s_cbranch_scc1 .LBB55_1534
; %bb.1525:
	;; [unrolled: 3-line block ×3, first 2 shown]
	s_cmp_gt_i32 s5, 9
	s_cbranch_scc0 .LBB55_1528
; %bb.1527:
	v_cndmask_b32_e64 v2, 0, 1, s6
	s_wait_loadcnt 0x0
	v_mov_b32_e32 v4, 0
	s_mov_b32 s4, 0
	s_delay_alu instid0(VALU_DEP_2) | instskip(NEXT) | instid1(VALU_DEP_2)
	v_cvt_f64_u32_e32 v[2:3], v2
	v_mov_b32_e32 v5, v4
	global_store_b128 v[0:1], v[2:5], off
.LBB55_1528:
	s_and_not1_b32 vcc_lo, exec_lo, s4
	s_cbranch_vccnz .LBB55_1530
; %bb.1529:
	s_wait_xcnt 0x0
	v_cndmask_b32_e64 v2, 0, 1.0, s6
	v_mov_b32_e32 v3, 0
	global_store_b64 v[0:1], v[2:3], off
.LBB55_1530:
	s_mov_b32 s4, 0
.LBB55_1531:
	s_delay_alu instid0(SALU_CYCLE_1)
	s_and_not1_b32 vcc_lo, exec_lo, s4
	s_cbranch_vccnz .LBB55_1533
; %bb.1532:
	s_wait_xcnt 0x0
	v_cndmask_b32_e64 v2, 0, 1.0, s6
	s_delay_alu instid0(VALU_DEP_1) | instskip(NEXT) | instid1(VALU_DEP_1)
	v_cvt_f16_f32_e32 v2, v2
	v_and_b32_e32 v2, 0xffff, v2
	global_store_b32 v[0:1], v2, off
.LBB55_1533:
	s_mov_b32 s4, 0
.LBB55_1534:
	s_delay_alu instid0(SALU_CYCLE_1)
	s_and_not1_b32 vcc_lo, exec_lo, s4
	s_cbranch_vccnz .LBB55_1543
; %bb.1535:
	s_sext_i32_i16 s5, s7
	s_mov_b32 s4, -1
	s_cmp_lt_i32 s5, 6
	s_cbranch_scc1 .LBB55_1541
; %bb.1536:
	s_cmp_gt_i32 s5, 6
	s_cbranch_scc0 .LBB55_1538
; %bb.1537:
	s_wait_xcnt 0x0
	v_cndmask_b32_e64 v2, 0, 1, s6
	s_mov_b32 s4, 0
	s_delay_alu instid0(VALU_DEP_1)
	v_cvt_f64_u32_e32 v[2:3], v2
	global_store_b64 v[0:1], v[2:3], off
.LBB55_1538:
	s_and_not1_b32 vcc_lo, exec_lo, s4
	s_cbranch_vccnz .LBB55_1540
; %bb.1539:
	s_wait_xcnt 0x0
	v_cndmask_b32_e64 v2, 0, 1.0, s6
	global_store_b32 v[0:1], v2, off
.LBB55_1540:
	s_mov_b32 s4, 0
.LBB55_1541:
	s_delay_alu instid0(SALU_CYCLE_1)
	s_and_not1_b32 vcc_lo, exec_lo, s4
	s_cbranch_vccnz .LBB55_1543
; %bb.1542:
	s_wait_xcnt 0x0
	v_cndmask_b32_e64 v2, 0, 1.0, s6
	s_delay_alu instid0(VALU_DEP_1)
	v_cvt_f16_f32_e32 v2, v2
	global_store_b16 v[0:1], v2, off
.LBB55_1543:
	s_mov_b32 s4, 0
.LBB55_1544:
	s_delay_alu instid0(SALU_CYCLE_1)
	s_and_not1_b32 vcc_lo, exec_lo, s4
	s_cbranch_vccnz .LBB55_1560
; %bb.1545:
	s_sext_i32_i16 s5, s7
	s_mov_b32 s4, -1
	s_cmp_lt_i32 s5, 2
	s_cbranch_scc1 .LBB55_1555
; %bb.1546:
	s_cmp_lt_i32 s5, 3
	s_cbranch_scc1 .LBB55_1552
; %bb.1547:
	s_cmp_gt_i32 s5, 3
	s_cbranch_scc0 .LBB55_1549
; %bb.1548:
	s_mov_b32 s4, 0
	s_wait_xcnt 0x0
	v_cndmask_b32_e64 v2, 0, 1, s6
	v_mov_b32_e32 v3, s4
	global_store_b64 v[0:1], v[2:3], off
.LBB55_1549:
	s_and_not1_b32 vcc_lo, exec_lo, s4
	s_cbranch_vccnz .LBB55_1551
; %bb.1550:
	s_wait_xcnt 0x0
	v_cndmask_b32_e64 v2, 0, 1, s6
	global_store_b32 v[0:1], v2, off
.LBB55_1551:
	s_mov_b32 s4, 0
.LBB55_1552:
	s_delay_alu instid0(SALU_CYCLE_1)
	s_and_not1_b32 vcc_lo, exec_lo, s4
	s_cbranch_vccnz .LBB55_1554
; %bb.1553:
	s_wait_xcnt 0x0
	v_cndmask_b32_e64 v2, 0, 1, s6
	global_store_b16 v[0:1], v2, off
.LBB55_1554:
	s_mov_b32 s4, 0
.LBB55_1555:
	s_delay_alu instid0(SALU_CYCLE_1)
	s_and_not1_b32 vcc_lo, exec_lo, s4
	s_cbranch_vccnz .LBB55_1560
; %bb.1556:
	s_wait_xcnt 0x0
	v_cndmask_b32_e64 v2, 0, 1, s6
	s_sext_i32_i16 s4, s7
	s_delay_alu instid0(SALU_CYCLE_1)
	s_cmp_gt_i32 s4, 0
	s_mov_b32 s4, -1
	s_cbranch_scc0 .LBB55_1558
; %bb.1557:
	s_mov_b32 s4, 0
	global_store_b8 v[0:1], v2, off
.LBB55_1558:
	s_and_not1_b32 vcc_lo, exec_lo, s4
	s_cbranch_vccnz .LBB55_1560
; %bb.1559:
	global_store_b8 v[0:1], v2, off
.LBB55_1560:
	s_wait_xcnt 0x0
	s_or_b32 exec_lo, exec_lo, s0
	s_delay_alu instid0(SALU_CYCLE_1)
	s_and_b32 s8, s1, exec_lo
                                        ; implicit-def: $vgpr1
                                        ; implicit-def: $vgpr0
.LBB55_1561:
	s_or_saveexec_b32 s9, s33
	s_mov_b32 s0, 0
                                        ; implicit-def: $sgpr4
                                        ; implicit-def: $vgpr2_vgpr3
                                        ; implicit-def: $sgpr1
	s_xor_b32 exec_lo, exec_lo, s9
	s_cbranch_execz .LBB55_3049
; %bb.1562:
	v_cndmask_b32_e64 v3, 0, 1, s31
	s_and_not1_b32 vcc_lo, exec_lo, s31
	s_cbranch_vccnz .LBB55_1568
; %bb.1563:
	s_cmp_lg_u32 s28, 0
	s_mov_b32 s4, 0
	s_cbranch_scc0 .LBB55_1572
; %bb.1564:
	s_min_u32 s5, s29, 15
	v_dual_mov_b32 v6, 0 :: v_dual_mov_b32 v2, v0
	s_wait_loadcnt 0x0
	v_dual_mov_b32 v8, 0 :: v_dual_mov_b32 v12, 0
	s_add_co_i32 s6, s5, 1
	s_mov_b64 s[0:1], 0xffffffffffffffe8
	s_and_b32 s6, s6, 30
	s_add_nc_u64 s[0:1], s[2:3], s[0:1]
.LBB55_1565:                            ; =>This Inner Loop Header: Depth=1
	s_clause 0x1
	s_load_b128 s[12:15], s[0:1], 0x1c
	s_load_b64 s[10:11], s[0:1], 0x2c
	s_add_co_i32 s6, s6, -2
	s_delay_alu instid0(SALU_CYCLE_1) | instskip(SKIP_2) | instid1(VALU_DEP_1)
	s_cmp_lg_u32 s6, 0
	s_wait_kmcnt 0x0
	v_mul_hi_u32 v4, s13, v2
	v_add_nc_u32_e32 v4, v2, v4
	s_delay_alu instid0(VALU_DEP_1) | instskip(NEXT) | instid1(VALU_DEP_1)
	v_lshrrev_b32_e32 v4, s14, v4
	v_mul_hi_u32 v5, s10, v4
	v_mul_lo_u32 v7, v4, s12
	s_clause 0x1
	s_load_b128 s[16:19], s[0:1], 0xdc
	s_load_b64 s[12:13], s[0:1], 0xec
	s_wait_xcnt 0x0
	s_add_nc_u64 s[0:1], s[0:1], 24
	s_delay_alu instid0(VALU_DEP_1) | instskip(NEXT) | instid1(VALU_DEP_1)
	v_dual_add_nc_u32 v5, v4, v5 :: v_dual_sub_nc_u32 v7, v2, v7
	v_lshrrev_b32_e32 v2, s11, v5
	s_wait_kmcnt 0x0
	s_delay_alu instid0(VALU_DEP_2) | instskip(NEXT) | instid1(VALU_DEP_2)
	v_mad_u32 v6, v7, s16, v6
	v_mul_lo_u32 v5, v2, s15
	v_mad_u32 v9, v7, s18, v12
	v_mad_u32 v7, v7, s17, v8
	s_delay_alu instid0(VALU_DEP_3) | instskip(NEXT) | instid1(VALU_DEP_1)
	v_sub_nc_u32_e32 v4, v4, v5
	v_mad_u32 v6, v4, s19, v6
	s_delay_alu instid0(VALU_DEP_4) | instskip(NEXT) | instid1(VALU_DEP_4)
	v_mad_u32 v12, v4, s13, v9
	v_mad_u32 v8, v4, s12, v7
	s_cbranch_scc1 .LBB55_1565
; %bb.1566:
	s_bitcmp1_b32 s5, 0
	s_cselect_b32 s5, -1, 0
	s_delay_alu instid0(SALU_CYCLE_1)
	s_and_b32 vcc_lo, exec_lo, s5
	s_cbranch_vccnz .LBB55_1569
; %bb.1567:
	s_clause 0x1
	s_load_b96 s[12:14], s[0:1], 0x1c
	s_load_b96 s[16:18], s[0:1], 0xdc
	s_wait_kmcnt 0x0
	v_mul_hi_u32 v4, s13, v2
	s_delay_alu instid0(VALU_DEP_1) | instskip(NEXT) | instid1(VALU_DEP_1)
	v_add_nc_u32_e32 v4, v2, v4
	v_lshrrev_b32_e32 v4, s14, v4
	s_delay_alu instid0(VALU_DEP_1) | instskip(NEXT) | instid1(VALU_DEP_1)
	v_mul_lo_u32 v4, v4, s12
	v_sub_nc_u32_e32 v2, v2, v4
	s_delay_alu instid0(VALU_DEP_1)
	v_mad_u32 v6, v2, s16, v6
	v_mad_u32 v8, v2, s17, v8
	;; [unrolled: 1-line block ×3, first 2 shown]
	s_and_not1_b32 vcc_lo, exec_lo, s4
	s_cbranch_vccz .LBB55_1570
	s_branch .LBB55_1573
.LBB55_1568:
	s_mov_b32 s4, -1
                                        ; implicit-def: $vgpr12
                                        ; implicit-def: $vgpr8
                                        ; implicit-def: $vgpr6
.LBB55_1569:
	s_delay_alu instid0(SALU_CYCLE_1)
	s_and_not1_b32 vcc_lo, exec_lo, s4
	s_cbranch_vccnz .LBB55_1573
.LBB55_1570:
	s_clause 0x1
	s_load_b96 s[4:6], s[2:3], 0x4
	s_load_b96 s[12:14], s[2:3], 0xc4
	s_cmp_lt_u32 s28, 2
	s_wait_kmcnt 0x0
	v_mul_hi_u32 v2, s5, v0
	s_delay_alu instid0(VALU_DEP_1) | instskip(NEXT) | instid1(VALU_DEP_1)
	v_add_nc_u32_e32 v2, v0, v2
	v_lshrrev_b32_e32 v2, s6, v2
	s_wait_loadcnt 0x0
	s_delay_alu instid0(VALU_DEP_1) | instskip(NEXT) | instid1(VALU_DEP_1)
	v_mul_lo_u32 v4, v2, s4
	v_sub_nc_u32_e32 v4, v0, v4
	s_delay_alu instid0(VALU_DEP_1)
	v_mul_lo_u32 v6, v4, s12
	v_mul_lo_u32 v12, v4, s14
	;; [unrolled: 1-line block ×3, first 2 shown]
	s_cbranch_scc1 .LBB55_1573
; %bb.1571:
	s_clause 0x1
	s_load_b96 s[4:6], s[2:3], 0x10
	s_load_b96 s[12:14], s[2:3], 0xd0
	s_wait_kmcnt 0x0
	v_mul_hi_u32 v4, s5, v2
	s_delay_alu instid0(VALU_DEP_1) | instskip(NEXT) | instid1(VALU_DEP_1)
	v_add_nc_u32_e32 v4, v2, v4
	v_lshrrev_b32_e32 v4, s6, v4
	s_delay_alu instid0(VALU_DEP_1) | instskip(NEXT) | instid1(VALU_DEP_1)
	v_mul_lo_u32 v4, v4, s4
	v_sub_nc_u32_e32 v2, v2, v4
	s_delay_alu instid0(VALU_DEP_1)
	v_mad_u32 v6, v2, s12, v6
	v_mad_u32 v8, v2, s13, v8
	;; [unrolled: 1-line block ×3, first 2 shown]
	s_branch .LBB55_1573
.LBB55_1572:
	s_wait_loadcnt 0x0
	v_dual_mov_b32 v12, 0 :: v_dual_mov_b32 v8, 0
	v_mov_b32_e32 v6, 0
	s_and_not1_b32 vcc_lo, exec_lo, s4
	s_cbranch_vccz .LBB55_1570
.LBB55_1573:
	v_cmp_ne_u32_e32 vcc_lo, 1, v3
	v_add_nc_u32_e32 v2, 0x80, v0
	s_cbranch_vccnz .LBB55_1579
; %bb.1574:
	s_cmp_lg_u32 s28, 0
	s_mov_b32 s4, 0
	s_cbranch_scc0 .LBB55_1583
; %bb.1575:
	s_min_u32 s5, s29, 15
	s_wait_loadcnt 0x0
	v_dual_mov_b32 v4, 0 :: v_dual_mov_b32 v5, v2
	v_dual_mov_b32 v14, 0 :: v_dual_mov_b32 v18, 0
	s_add_co_i32 s6, s5, 1
	s_mov_b64 s[0:1], 0xffffffffffffffe8
	s_and_b32 s6, s6, 30
	s_add_nc_u64 s[0:1], s[2:3], s[0:1]
.LBB55_1576:                            ; =>This Inner Loop Header: Depth=1
	s_clause 0x1
	s_load_b128 s[12:15], s[0:1], 0x1c
	s_load_b64 s[10:11], s[0:1], 0x2c
	s_add_co_i32 s6, s6, -2
	s_delay_alu instid0(SALU_CYCLE_1) | instskip(SKIP_2) | instid1(VALU_DEP_1)
	s_cmp_lg_u32 s6, 0
	s_wait_kmcnt 0x0
	v_mul_hi_u32 v7, s13, v5
	v_add_nc_u32_e32 v7, v5, v7
	s_delay_alu instid0(VALU_DEP_1) | instskip(NEXT) | instid1(VALU_DEP_1)
	v_lshrrev_b32_e32 v7, s14, v7
	v_mul_hi_u32 v9, s10, v7
	v_mul_lo_u32 v10, v7, s12
	s_clause 0x1
	s_load_b128 s[16:19], s[0:1], 0xdc
	s_load_b64 s[12:13], s[0:1], 0xec
	s_wait_xcnt 0x0
	s_add_nc_u64 s[0:1], s[0:1], 24
	s_delay_alu instid0(VALU_DEP_1) | instskip(NEXT) | instid1(VALU_DEP_1)
	v_dual_add_nc_u32 v9, v7, v9 :: v_dual_sub_nc_u32 v10, v5, v10
	v_lshrrev_b32_e32 v5, s11, v9
	s_wait_kmcnt 0x0
	s_delay_alu instid0(VALU_DEP_2) | instskip(NEXT) | instid1(VALU_DEP_2)
	v_mad_u32 v4, v10, s16, v4
	v_mul_lo_u32 v9, v5, s15
	v_mad_u32 v11, v10, s18, v18
	v_mad_u32 v10, v10, s17, v14
	s_delay_alu instid0(VALU_DEP_3) | instskip(NEXT) | instid1(VALU_DEP_1)
	v_sub_nc_u32_e32 v7, v7, v9
	v_mad_u32 v4, v7, s19, v4
	s_delay_alu instid0(VALU_DEP_4) | instskip(NEXT) | instid1(VALU_DEP_4)
	v_mad_u32 v18, v7, s13, v11
	v_mad_u32 v14, v7, s12, v10
	s_cbranch_scc1 .LBB55_1576
; %bb.1577:
	s_bitcmp1_b32 s5, 0
	s_cselect_b32 s5, -1, 0
	s_delay_alu instid0(SALU_CYCLE_1)
	s_and_b32 vcc_lo, exec_lo, s5
	s_cbranch_vccnz .LBB55_1580
; %bb.1578:
	s_clause 0x1
	s_load_b96 s[12:14], s[0:1], 0x1c
	s_load_b96 s[16:18], s[0:1], 0xdc
	s_wait_kmcnt 0x0
	v_mul_hi_u32 v7, s13, v5
	s_delay_alu instid0(VALU_DEP_1) | instskip(NEXT) | instid1(VALU_DEP_1)
	v_add_nc_u32_e32 v7, v5, v7
	v_lshrrev_b32_e32 v7, s14, v7
	s_delay_alu instid0(VALU_DEP_1) | instskip(NEXT) | instid1(VALU_DEP_1)
	v_mul_lo_u32 v7, v7, s12
	v_sub_nc_u32_e32 v5, v5, v7
	s_delay_alu instid0(VALU_DEP_1)
	v_mad_u32 v4, v5, s16, v4
	v_mad_u32 v14, v5, s17, v14
	v_mad_u32 v18, v5, s18, v18
	s_and_not1_b32 vcc_lo, exec_lo, s4
	s_cbranch_vccz .LBB55_1581
	s_branch .LBB55_1584
.LBB55_1579:
	s_mov_b32 s4, -1
                                        ; implicit-def: $vgpr18
                                        ; implicit-def: $vgpr14
                                        ; implicit-def: $vgpr4
.LBB55_1580:
	s_delay_alu instid0(SALU_CYCLE_1)
	s_and_not1_b32 vcc_lo, exec_lo, s4
	s_cbranch_vccnz .LBB55_1584
.LBB55_1581:
	s_clause 0x1
	s_load_b96 s[4:6], s[2:3], 0x4
	s_load_b96 s[12:14], s[2:3], 0xc4
	s_cmp_lt_u32 s28, 2
	s_wait_loadcnt 0x0
	s_wait_kmcnt 0x0
	v_mul_hi_u32 v4, s5, v2
	s_delay_alu instid0(VALU_DEP_1) | instskip(NEXT) | instid1(VALU_DEP_1)
	v_add_nc_u32_e32 v4, v2, v4
	v_lshrrev_b32_e32 v5, s6, v4
	s_delay_alu instid0(VALU_DEP_1) | instskip(NEXT) | instid1(VALU_DEP_1)
	v_mul_lo_u32 v4, v5, s4
	v_sub_nc_u32_e32 v2, v2, v4
	s_delay_alu instid0(VALU_DEP_1)
	v_mul_lo_u32 v4, v2, s12
	v_mul_lo_u32 v18, v2, s14
	;; [unrolled: 1-line block ×3, first 2 shown]
	s_cbranch_scc1 .LBB55_1584
; %bb.1582:
	s_clause 0x1
	s_load_b96 s[4:6], s[2:3], 0x10
	s_load_b96 s[12:14], s[2:3], 0xd0
	s_wait_kmcnt 0x0
	v_mul_hi_u32 v2, s5, v5
	s_delay_alu instid0(VALU_DEP_1) | instskip(NEXT) | instid1(VALU_DEP_1)
	v_add_nc_u32_e32 v2, v5, v2
	v_lshrrev_b32_e32 v2, s6, v2
	s_delay_alu instid0(VALU_DEP_1) | instskip(NEXT) | instid1(VALU_DEP_1)
	v_mul_lo_u32 v2, v2, s4
	v_sub_nc_u32_e32 v2, v5, v2
	s_delay_alu instid0(VALU_DEP_1)
	v_mad_u32 v4, v2, s12, v4
	v_mad_u32 v14, v2, s13, v14
	;; [unrolled: 1-line block ×3, first 2 shown]
	s_branch .LBB55_1584
.LBB55_1583:
	v_dual_mov_b32 v18, 0 :: v_dual_mov_b32 v14, 0
	s_wait_loadcnt 0x0
	v_mov_b32_e32 v4, 0
	s_and_not1_b32 vcc_lo, exec_lo, s4
	s_cbranch_vccz .LBB55_1581
.LBB55_1584:
	v_cmp_ne_u32_e32 vcc_lo, 1, v3
	v_add_nc_u32_e32 v0, 0x100, v0
	s_cbranch_vccnz .LBB55_1590
; %bb.1585:
	s_cmp_lg_u32 s28, 0
	s_mov_b32 s4, 0
	s_cbranch_scc0 .LBB55_1594
; %bb.1586:
	s_min_u32 s5, s29, 15
	s_wait_loadcnt 0x0
	v_dual_mov_b32 v2, 0 :: v_dual_mov_b32 v5, v0
	v_dual_mov_b32 v22, 0 :: v_dual_mov_b32 v20, 0
	s_add_co_i32 s6, s5, 1
	s_mov_b64 s[0:1], 0xffffffffffffffe8
	s_and_b32 s6, s6, 30
	s_add_nc_u64 s[0:1], s[2:3], s[0:1]
.LBB55_1587:                            ; =>This Inner Loop Header: Depth=1
	s_clause 0x1
	s_load_b128 s[12:15], s[0:1], 0x1c
	s_load_b64 s[10:11], s[0:1], 0x2c
	s_add_co_i32 s6, s6, -2
	s_delay_alu instid0(SALU_CYCLE_1) | instskip(SKIP_2) | instid1(VALU_DEP_1)
	s_cmp_lg_u32 s6, 0
	s_wait_kmcnt 0x0
	v_mul_hi_u32 v7, s13, v5
	v_add_nc_u32_e32 v7, v5, v7
	s_delay_alu instid0(VALU_DEP_1) | instskip(NEXT) | instid1(VALU_DEP_1)
	v_lshrrev_b32_e32 v7, s14, v7
	v_mul_hi_u32 v9, s10, v7
	v_mul_lo_u32 v10, v7, s12
	s_clause 0x1
	s_load_b128 s[16:19], s[0:1], 0xdc
	s_load_b64 s[12:13], s[0:1], 0xec
	s_wait_xcnt 0x0
	s_add_nc_u64 s[0:1], s[0:1], 24
	s_delay_alu instid0(VALU_DEP_1) | instskip(NEXT) | instid1(VALU_DEP_1)
	v_dual_add_nc_u32 v9, v7, v9 :: v_dual_sub_nc_u32 v10, v5, v10
	v_lshrrev_b32_e32 v5, s11, v9
	s_wait_kmcnt 0x0
	s_delay_alu instid0(VALU_DEP_2) | instskip(NEXT) | instid1(VALU_DEP_2)
	v_mad_u32 v2, v10, s16, v2
	v_mul_lo_u32 v9, v5, s15
	v_mad_u32 v11, v10, s18, v20
	v_mad_u32 v10, v10, s17, v22
	s_delay_alu instid0(VALU_DEP_3) | instskip(NEXT) | instid1(VALU_DEP_1)
	v_sub_nc_u32_e32 v7, v7, v9
	v_mad_u32 v2, v7, s19, v2
	s_delay_alu instid0(VALU_DEP_4) | instskip(NEXT) | instid1(VALU_DEP_4)
	v_mad_u32 v20, v7, s13, v11
	v_mad_u32 v22, v7, s12, v10
	s_cbranch_scc1 .LBB55_1587
; %bb.1588:
	s_bitcmp1_b32 s5, 0
	s_cselect_b32 s5, -1, 0
	s_delay_alu instid0(SALU_CYCLE_1)
	s_and_b32 vcc_lo, exec_lo, s5
	s_cbranch_vccnz .LBB55_1591
; %bb.1589:
	s_clause 0x1
	s_load_b96 s[12:14], s[0:1], 0x1c
	s_load_b96 s[16:18], s[0:1], 0xdc
	s_wait_kmcnt 0x0
	v_mul_hi_u32 v7, s13, v5
	s_delay_alu instid0(VALU_DEP_1) | instskip(NEXT) | instid1(VALU_DEP_1)
	v_add_nc_u32_e32 v7, v5, v7
	v_lshrrev_b32_e32 v7, s14, v7
	s_delay_alu instid0(VALU_DEP_1) | instskip(NEXT) | instid1(VALU_DEP_1)
	v_mul_lo_u32 v7, v7, s12
	v_sub_nc_u32_e32 v5, v5, v7
	s_delay_alu instid0(VALU_DEP_1)
	v_mad_u32 v2, v5, s16, v2
	v_mad_u32 v22, v5, s17, v22
	;; [unrolled: 1-line block ×3, first 2 shown]
	s_and_not1_b32 vcc_lo, exec_lo, s4
	s_cbranch_vccz .LBB55_1592
	s_branch .LBB55_1595
.LBB55_1590:
	s_mov_b32 s4, -1
                                        ; implicit-def: $vgpr20
                                        ; implicit-def: $vgpr22
                                        ; implicit-def: $vgpr2
.LBB55_1591:
	s_delay_alu instid0(SALU_CYCLE_1)
	s_and_not1_b32 vcc_lo, exec_lo, s4
	s_cbranch_vccnz .LBB55_1595
.LBB55_1592:
	s_clause 0x1
	s_load_b96 s[4:6], s[2:3], 0x4
	s_load_b96 s[12:14], s[2:3], 0xc4
	s_cmp_lt_u32 s28, 2
	s_wait_kmcnt 0x0
	v_mul_hi_u32 v2, s5, v0
	s_delay_alu instid0(VALU_DEP_1) | instskip(SKIP_1) | instid1(VALU_DEP_1)
	v_add_nc_u32_e32 v2, v0, v2
	s_wait_loadcnt 0x0
	v_lshrrev_b32_e32 v5, s6, v2
	s_delay_alu instid0(VALU_DEP_1) | instskip(NEXT) | instid1(VALU_DEP_1)
	v_mul_lo_u32 v2, v5, s4
	v_sub_nc_u32_e32 v0, v0, v2
	s_delay_alu instid0(VALU_DEP_1)
	v_mul_lo_u32 v2, v0, s12
	v_mul_lo_u32 v20, v0, s14
	;; [unrolled: 1-line block ×3, first 2 shown]
	s_cbranch_scc1 .LBB55_1595
; %bb.1593:
	s_clause 0x1
	s_load_b96 s[4:6], s[2:3], 0x10
	s_load_b96 s[12:14], s[2:3], 0xd0
	s_wait_kmcnt 0x0
	v_mul_hi_u32 v0, s5, v5
	s_delay_alu instid0(VALU_DEP_1) | instskip(NEXT) | instid1(VALU_DEP_1)
	v_add_nc_u32_e32 v0, v5, v0
	v_lshrrev_b32_e32 v0, s6, v0
	s_delay_alu instid0(VALU_DEP_1) | instskip(NEXT) | instid1(VALU_DEP_1)
	v_mul_lo_u32 v0, v0, s4
	v_sub_nc_u32_e32 v0, v5, v0
	s_delay_alu instid0(VALU_DEP_1)
	v_mad_u32 v2, v0, s12, v2
	v_mad_u32 v22, v0, s13, v22
	;; [unrolled: 1-line block ×3, first 2 shown]
	s_branch .LBB55_1595
.LBB55_1594:
	v_dual_mov_b32 v20, 0 :: v_dual_mov_b32 v22, 0
	v_mov_b32_e32 v2, 0
	s_and_not1_b32 vcc_lo, exec_lo, s4
	s_cbranch_vccz .LBB55_1592
.LBB55_1595:
	v_cmp_ne_u32_e32 vcc_lo, 1, v3
	s_cbranch_vccnz .LBB55_1601
; %bb.1596:
	s_cmp_lg_u32 s28, 0
	s_mov_b32 s4, 0
	s_cbranch_scc0 .LBB55_1605
; %bb.1597:
	s_min_u32 s5, s29, 15
	v_dual_mov_b32 v0, 0 :: v_dual_mov_b32 v3, v1
	v_dual_mov_b32 v16, 0 :: v_dual_mov_b32 v10, 0
	s_add_co_i32 s6, s5, 1
	s_mov_b64 s[0:1], 0xffffffffffffffe8
	s_and_b32 s6, s6, 30
	s_add_nc_u64 s[0:1], s[2:3], s[0:1]
.LBB55_1598:                            ; =>This Inner Loop Header: Depth=1
	s_clause 0x1
	s_load_b128 s[12:15], s[0:1], 0x1c
	s_load_b64 s[10:11], s[0:1], 0x2c
	s_add_co_i32 s6, s6, -2
	s_delay_alu instid0(SALU_CYCLE_1) | instskip(SKIP_3) | instid1(VALU_DEP_1)
	s_cmp_lg_u32 s6, 0
	s_wait_loadcnt 0x0
	s_wait_kmcnt 0x0
	v_mul_hi_u32 v5, s13, v3
	v_add_nc_u32_e32 v5, v3, v5
	s_delay_alu instid0(VALU_DEP_1) | instskip(NEXT) | instid1(VALU_DEP_1)
	v_lshrrev_b32_e32 v5, s14, v5
	v_mul_hi_u32 v7, s10, v5
	v_mul_lo_u32 v9, v5, s12
	s_clause 0x1
	s_load_b128 s[16:19], s[0:1], 0xdc
	s_load_b64 s[12:13], s[0:1], 0xec
	s_wait_xcnt 0x0
	s_add_nc_u64 s[0:1], s[0:1], 24
	s_delay_alu instid0(VALU_DEP_1) | instskip(NEXT) | instid1(VALU_DEP_1)
	v_dual_add_nc_u32 v7, v5, v7 :: v_dual_sub_nc_u32 v9, v3, v9
	v_lshrrev_b32_e32 v3, s11, v7
	s_wait_kmcnt 0x0
	s_delay_alu instid0(VALU_DEP_2) | instskip(NEXT) | instid1(VALU_DEP_2)
	v_mad_u32 v0, v9, s16, v0
	v_mul_lo_u32 v7, v3, s15
	v_mad_u32 v10, v9, s18, v10
	v_mad_u32 v9, v9, s17, v16
	s_delay_alu instid0(VALU_DEP_3) | instskip(NEXT) | instid1(VALU_DEP_1)
	v_sub_nc_u32_e32 v5, v5, v7
	v_mad_u32 v0, v5, s19, v0
	s_delay_alu instid0(VALU_DEP_4) | instskip(NEXT) | instid1(VALU_DEP_4)
	v_mad_u32 v10, v5, s13, v10
	v_mad_u32 v16, v5, s12, v9
	s_cbranch_scc1 .LBB55_1598
; %bb.1599:
	s_bitcmp1_b32 s5, 0
	s_cselect_b32 s5, -1, 0
	s_delay_alu instid0(SALU_CYCLE_1)
	s_and_b32 vcc_lo, exec_lo, s5
	s_cbranch_vccnz .LBB55_1602
; %bb.1600:
	s_clause 0x1
	s_load_b96 s[12:14], s[0:1], 0x1c
	s_load_b96 s[16:18], s[0:1], 0xdc
	s_wait_kmcnt 0x0
	v_mul_hi_u32 v5, s13, v3
	s_delay_alu instid0(VALU_DEP_1) | instskip(NEXT) | instid1(VALU_DEP_1)
	v_add_nc_u32_e32 v5, v3, v5
	v_lshrrev_b32_e32 v5, s14, v5
	s_delay_alu instid0(VALU_DEP_1) | instskip(NEXT) | instid1(VALU_DEP_1)
	v_mul_lo_u32 v5, v5, s12
	v_sub_nc_u32_e32 v3, v3, v5
	s_delay_alu instid0(VALU_DEP_1)
	v_mad_u32 v0, v3, s16, v0
	v_mad_u32 v16, v3, s17, v16
	;; [unrolled: 1-line block ×3, first 2 shown]
	s_and_not1_b32 vcc_lo, exec_lo, s4
	s_cbranch_vccz .LBB55_1603
	s_branch .LBB55_1606
.LBB55_1601:
	s_mov_b32 s4, -1
                                        ; implicit-def: $vgpr10
                                        ; implicit-def: $vgpr16
                                        ; implicit-def: $vgpr0
.LBB55_1602:
	s_delay_alu instid0(SALU_CYCLE_1)
	s_and_not1_b32 vcc_lo, exec_lo, s4
	s_cbranch_vccnz .LBB55_1606
.LBB55_1603:
	s_clause 0x1
	s_load_b96 s[4:6], s[2:3], 0x4
	s_load_b96 s[12:14], s[2:3], 0xc4
	s_cmp_lt_u32 s28, 2
	s_wait_kmcnt 0x0
	v_mul_hi_u32 v0, s5, v1
	s_delay_alu instid0(VALU_DEP_1) | instskip(NEXT) | instid1(VALU_DEP_1)
	v_add_nc_u32_e32 v0, v1, v0
	v_lshrrev_b32_e32 v3, s6, v0
	s_delay_alu instid0(VALU_DEP_1) | instskip(NEXT) | instid1(VALU_DEP_1)
	v_mul_lo_u32 v0, v3, s4
	v_sub_nc_u32_e32 v1, v1, v0
	s_delay_alu instid0(VALU_DEP_1)
	v_mul_lo_u32 v0, v1, s12
	v_mul_lo_u32 v10, v1, s14
	;; [unrolled: 1-line block ×3, first 2 shown]
	s_cbranch_scc1 .LBB55_1606
; %bb.1604:
	s_clause 0x1
	s_load_b96 s[4:6], s[2:3], 0x10
	s_load_b96 s[12:14], s[2:3], 0xd0
	s_wait_kmcnt 0x0
	v_mul_hi_u32 v1, s5, v3
	s_delay_alu instid0(VALU_DEP_1) | instskip(NEXT) | instid1(VALU_DEP_1)
	v_add_nc_u32_e32 v1, v3, v1
	v_lshrrev_b32_e32 v1, s6, v1
	s_delay_alu instid0(VALU_DEP_1) | instskip(NEXT) | instid1(VALU_DEP_1)
	v_mul_lo_u32 v1, v1, s4
	v_sub_nc_u32_e32 v1, v3, v1
	s_delay_alu instid0(VALU_DEP_1)
	v_mad_u32 v0, v1, s12, v0
	v_mad_u32 v16, v1, s13, v16
	;; [unrolled: 1-line block ×3, first 2 shown]
	s_branch .LBB55_1606
.LBB55_1605:
	v_dual_mov_b32 v10, 0 :: v_dual_mov_b32 v16, 0
	v_mov_b32_e32 v0, 0
	s_and_not1_b32 vcc_lo, exec_lo, s4
	s_cbranch_vccz .LBB55_1603
.LBB55_1606:
	s_wait_loadcnt 0x0
	v_mov_b32_e32 v9, 0
	s_load_b128 s[4:7], s[2:3], 0x188
	global_load_u8 v1, v9, s[2:3] offset:421
	s_wait_kmcnt 0x0
	v_add_nc_u64_e32 v[24:25], s[6:7], v[8:9]
	s_wait_loadcnt 0x0
	v_and_b32_e32 v3, 0xffff, v1
	v_readfirstlane_b32 s11, v1
	s_delay_alu instid0(VALU_DEP_2)
	v_cmp_gt_i32_e32 vcc_lo, 11, v3
	s_cbranch_vccnz .LBB55_1613
; %bb.1607:
	s_and_b32 s0, 0xffff, s11
	s_mov_b32 s12, 0
	s_cmp_gt_i32 s0, 25
	s_cbranch_scc0 .LBB55_1615
; %bb.1608:
	s_cmp_gt_i32 s0, 28
	s_cbranch_scc0 .LBB55_1616
; %bb.1609:
	;; [unrolled: 3-line block ×4, first 2 shown]
	s_cmp_eq_u32 s0, 46
	s_mov_b32 s10, 0
	s_cbranch_scc0 .LBB55_1621
; %bb.1612:
	global_load_b32 v1, v[24:25], off
	s_mov_b32 s1, 0
	s_mov_b32 s13, -1
	s_wait_loadcnt 0x0
	v_lshlrev_b32_e32 v1, 16, v1
	s_delay_alu instid0(VALU_DEP_1) | instskip(NEXT) | instid1(VALU_DEP_1)
	v_trunc_f32_e32 v1, v1
	v_mul_f32_e64 v3, 0x2f800000, |v1|
	v_ashrrev_i32_e32 v8, 31, v1
	s_delay_alu instid0(VALU_DEP_2) | instskip(SKIP_1) | instid1(VALU_DEP_2)
	v_floor_f32_e32 v3, v3
	s_wait_xcnt 0x1
	v_mov_b32_e32 v9, v8
	s_delay_alu instid0(VALU_DEP_2) | instskip(SKIP_1) | instid1(VALU_DEP_2)
	v_fma_f32 v5, 0xcf800000, v3, |v1|
	v_cvt_u32_f32_e32 v1, v3
	v_cvt_u32_f32_e32 v3, v5
	s_delay_alu instid0(VALU_DEP_2) | instskip(NEXT) | instid1(VALU_DEP_2)
	v_xor_b32_e32 v27, v1, v8
	v_xor_b32_e32 v26, v3, v8
	s_delay_alu instid0(VALU_DEP_1)
	v_sub_nc_u64_e32 v[8:9], v[26:27], v[8:9]
	s_branch .LBB55_1623
.LBB55_1613:
	s_mov_b32 s13, 0
	s_mov_b32 s10, s8
                                        ; implicit-def: $vgpr8_vgpr9
	s_cbranch_execnz .LBB55_1681
.LBB55_1614:
	s_and_not1_b32 vcc_lo, exec_lo, s13
	s_cbranch_vccz .LBB55_1726
	s_branch .LBB55_3047
.LBB55_1615:
	s_mov_b32 s13, 0
	s_mov_b32 s1, 0
                                        ; implicit-def: $vgpr8_vgpr9
	s_cbranch_execnz .LBB55_1648
	s_branch .LBB55_1677
.LBB55_1616:
	s_mov_b32 s13, 0
	s_mov_b32 s1, 0
                                        ; implicit-def: $vgpr8_vgpr9
	s_cbranch_execz .LBB55_1647
	s_branch .LBB55_1632
.LBB55_1617:
	s_mov_b32 s13, 0
	s_mov_b32 s1, 0
                                        ; implicit-def: $vgpr8_vgpr9
	s_cbranch_execnz .LBB55_1628
	s_branch .LBB55_1631
.LBB55_1618:
	s_mov_b32 s10, -1
	s_mov_b32 s13, 0
	s_mov_b32 s1, 0
	s_branch .LBB55_1622
.LBB55_1619:
	s_and_not1_saveexec_b32 s10, s10
	s_cbranch_execz .LBB55_1474
.LBB55_1620:
	v_add_f32_e32 v2, 0x46000000, v3
	s_and_not1_b32 s9, s9, exec_lo
	s_delay_alu instid0(VALU_DEP_1) | instskip(NEXT) | instid1(VALU_DEP_1)
	v_and_b32_e32 v2, 0xff, v2
	v_cmp_ne_u32_e32 vcc_lo, 0, v2
	s_and_b32 s11, vcc_lo, exec_lo
	s_delay_alu instid0(SALU_CYCLE_1)
	s_or_b32 s9, s9, s11
	s_or_b32 exec_lo, exec_lo, s10
	v_mov_b32_e32 v4, 0
	s_and_saveexec_b32 s10, s9
	s_cbranch_execnz .LBB55_1475
	s_branch .LBB55_1476
.LBB55_1621:
	s_mov_b32 s1, -1
	s_mov_b32 s13, 0
.LBB55_1622:
                                        ; implicit-def: $vgpr8_vgpr9
.LBB55_1623:
	s_and_b32 vcc_lo, exec_lo, s10
	s_cbranch_vccz .LBB55_1626
; %bb.1624:
	s_cmp_eq_u32 s0, 44
	s_cbranch_scc0 .LBB55_1627
; %bb.1625:
	global_load_u8 v1, v[24:25], off
	s_mov_b32 s1, 0
	s_mov_b32 s13, -1
	s_wait_loadcnt 0x0
	v_lshlrev_b32_e32 v3, 23, v1
	v_cmp_ne_u32_e32 vcc_lo, 0, v1
	s_delay_alu instid0(VALU_DEP_2) | instskip(NEXT) | instid1(VALU_DEP_1)
	v_trunc_f32_e32 v3, v3
	v_mul_f32_e64 v5, 0x2f800000, |v3|
	v_ashrrev_i32_e32 v8, 31, v3
	s_delay_alu instid0(VALU_DEP_2) | instskip(SKIP_1) | instid1(VALU_DEP_2)
	v_floor_f32_e32 v5, v5
	s_wait_xcnt 0x1
	v_mov_b32_e32 v9, v8
	s_delay_alu instid0(VALU_DEP_2) | instskip(SKIP_1) | instid1(VALU_DEP_2)
	v_fma_f32 v7, 0xcf800000, v5, |v3|
	v_cvt_u32_f32_e32 v3, v5
	v_cvt_u32_f32_e32 v5, v7
	s_delay_alu instid0(VALU_DEP_2) | instskip(NEXT) | instid1(VALU_DEP_2)
	v_xor_b32_e32 v27, v3, v8
	v_xor_b32_e32 v26, v5, v8
	s_delay_alu instid0(VALU_DEP_1) | instskip(NEXT) | instid1(VALU_DEP_1)
	v_sub_nc_u64_e32 v[8:9], v[26:27], v[8:9]
	v_dual_cndmask_b32 v9, 0, v9 :: v_dual_cndmask_b32 v8, 0, v8
.LBB55_1626:
	s_branch .LBB55_1631
.LBB55_1627:
	s_mov_b32 s1, -1
                                        ; implicit-def: $vgpr8_vgpr9
	s_branch .LBB55_1631
.LBB55_1628:
	s_cmp_eq_u32 s0, 29
	s_cbranch_scc0 .LBB55_1630
; %bb.1629:
	global_load_b64 v[8:9], v[24:25], off
	s_mov_b32 s1, 0
	s_mov_b32 s13, -1
	s_branch .LBB55_1631
.LBB55_1630:
	s_mov_b32 s1, -1
                                        ; implicit-def: $vgpr8_vgpr9
.LBB55_1631:
	s_branch .LBB55_1647
.LBB55_1632:
	s_cmp_lt_i32 s0, 27
	s_cbranch_scc1 .LBB55_1635
; %bb.1633:
	s_cmp_gt_i32 s0, 27
	s_cbranch_scc0 .LBB55_1636
; %bb.1634:
	s_wait_loadcnt 0x0
	global_load_b32 v8, v[24:25], off
	s_wait_xcnt 0x1
	v_mov_b32_e32 v9, 0
	s_mov_b32 s10, 0
	s_branch .LBB55_1637
.LBB55_1635:
	s_mov_b32 s10, -1
                                        ; implicit-def: $vgpr8_vgpr9
	s_branch .LBB55_1640
.LBB55_1636:
	s_mov_b32 s10, -1
                                        ; implicit-def: $vgpr8_vgpr9
.LBB55_1637:
	s_delay_alu instid0(SALU_CYCLE_1)
	s_and_not1_b32 vcc_lo, exec_lo, s10
	s_cbranch_vccnz .LBB55_1639
; %bb.1638:
	global_load_u16 v1, v[24:25], off
	s_mov_b32 s10, 0
	s_wait_loadcnt 0x1
	s_wait_xcnt 0x1
	v_mov_b32_e32 v9, s10
	s_wait_loadcnt 0x0
	v_and_b32_e32 v8, 0xffff, v1
.LBB55_1639:
	s_mov_b32 s10, 0
.LBB55_1640:
	s_delay_alu instid0(SALU_CYCLE_1)
	s_and_not1_b32 vcc_lo, exec_lo, s10
	s_cbranch_vccnz .LBB55_1646
; %bb.1641:
	global_load_u8 v1, v[24:25], off
	s_mov_b32 s13, 0
	s_mov_b32 s10, exec_lo
	s_wait_loadcnt 0x0
	v_cmpx_lt_i16_e32 0x7f, v1
	s_xor_b32 s10, exec_lo, s10
	s_cbranch_execz .LBB55_1657
; %bb.1642:
	v_cmp_ne_u16_e32 vcc_lo, 0x80, v1
	s_and_b32 s13, vcc_lo, exec_lo
	s_and_not1_saveexec_b32 s10, s10
	s_cbranch_execnz .LBB55_1658
.LBB55_1643:
	s_or_b32 exec_lo, exec_lo, s10
	v_mov_b64_e32 v[8:9], 0
	s_and_saveexec_b32 s10, s13
	s_cbranch_execz .LBB55_1645
.LBB55_1644:
	v_and_b32_e32 v3, 0xffff, v1
	s_delay_alu instid0(VALU_DEP_1) | instskip(SKIP_1) | instid1(VALU_DEP_2)
	v_dual_lshlrev_b32 v1, 24, v1 :: v_dual_bitop2_b32 v5, 7, v3 bitop3:0x40
	v_bfe_u32 v9, v3, 3, 4
	v_and_b32_e32 v1, 0x80000000, v1
	s_delay_alu instid0(VALU_DEP_3) | instskip(NEXT) | instid1(VALU_DEP_3)
	v_clz_i32_u32_e32 v7, v5
	v_cmp_eq_u32_e32 vcc_lo, 0, v9
	s_delay_alu instid0(VALU_DEP_2) | instskip(NEXT) | instid1(VALU_DEP_1)
	v_min_u32_e32 v7, 32, v7
	v_subrev_nc_u32_e32 v8, 28, v7
	v_sub_nc_u32_e32 v7, 29, v7
	s_delay_alu instid0(VALU_DEP_2) | instskip(NEXT) | instid1(VALU_DEP_2)
	v_lshlrev_b32_e32 v3, v8, v3
	v_cndmask_b32_e32 v7, v9, v7, vcc_lo
	s_delay_alu instid0(VALU_DEP_2) | instskip(NEXT) | instid1(VALU_DEP_1)
	v_and_b32_e32 v3, 7, v3
	v_cndmask_b32_e32 v3, v5, v3, vcc_lo
	s_delay_alu instid0(VALU_DEP_3) | instskip(NEXT) | instid1(VALU_DEP_2)
	v_lshl_add_u32 v5, v7, 23, 0x3b800000
	v_lshlrev_b32_e32 v3, 20, v3
	s_delay_alu instid0(VALU_DEP_1) | instskip(NEXT) | instid1(VALU_DEP_1)
	v_or3_b32 v1, v1, v5, v3
	v_trunc_f32_e32 v1, v1
	s_delay_alu instid0(VALU_DEP_1) | instskip(SKIP_1) | instid1(VALU_DEP_2)
	v_mul_f32_e64 v3, 0x2f800000, |v1|
	v_ashrrev_i32_e32 v8, 31, v1
	v_floor_f32_e32 v3, v3
	s_delay_alu instid0(VALU_DEP_2) | instskip(NEXT) | instid1(VALU_DEP_2)
	v_mov_b32_e32 v9, v8
	v_fma_f32 v5, 0xcf800000, v3, |v1|
	v_cvt_u32_f32_e32 v1, v3
	s_delay_alu instid0(VALU_DEP_2) | instskip(NEXT) | instid1(VALU_DEP_2)
	v_cvt_u32_f32_e32 v3, v5
	v_xor_b32_e32 v27, v1, v8
	s_delay_alu instid0(VALU_DEP_2) | instskip(NEXT) | instid1(VALU_DEP_1)
	v_xor_b32_e32 v26, v3, v8
	v_sub_nc_u64_e32 v[8:9], v[26:27], v[8:9]
.LBB55_1645:
	s_or_b32 exec_lo, exec_lo, s10
.LBB55_1646:
	s_mov_b32 s13, -1
.LBB55_1647:
	s_branch .LBB55_1677
.LBB55_1648:
	s_cmp_gt_i32 s0, 22
	s_cbranch_scc0 .LBB55_1656
; %bb.1649:
	s_cmp_lt_i32 s0, 24
	s_cbranch_scc1 .LBB55_1659
; %bb.1650:
	s_cmp_gt_i32 s0, 24
	s_cbranch_scc0 .LBB55_1660
; %bb.1651:
	global_load_u8 v1, v[24:25], off
	s_mov_b32 s10, exec_lo
	s_wait_loadcnt 0x0
	v_cmpx_lt_i16_e32 0x7f, v1
	s_xor_b32 s10, exec_lo, s10
	s_cbranch_execz .LBB55_1671
; %bb.1652:
	v_cmp_ne_u16_e32 vcc_lo, 0x80, v1
	s_and_b32 s12, vcc_lo, exec_lo
	s_and_not1_saveexec_b32 s10, s10
	s_cbranch_execnz .LBB55_1672
.LBB55_1653:
	s_or_b32 exec_lo, exec_lo, s10
	v_mov_b64_e32 v[8:9], 0
	s_and_saveexec_b32 s10, s12
	s_cbranch_execz .LBB55_1655
.LBB55_1654:
	v_and_b32_e32 v3, 0xffff, v1
	s_delay_alu instid0(VALU_DEP_1) | instskip(SKIP_1) | instid1(VALU_DEP_2)
	v_dual_lshlrev_b32 v1, 24, v1 :: v_dual_bitop2_b32 v5, 3, v3 bitop3:0x40
	v_bfe_u32 v9, v3, 2, 5
	v_and_b32_e32 v1, 0x80000000, v1
	s_delay_alu instid0(VALU_DEP_3) | instskip(NEXT) | instid1(VALU_DEP_3)
	v_clz_i32_u32_e32 v7, v5
	v_cmp_eq_u32_e32 vcc_lo, 0, v9
	s_delay_alu instid0(VALU_DEP_2) | instskip(NEXT) | instid1(VALU_DEP_1)
	v_min_u32_e32 v7, 32, v7
	v_subrev_nc_u32_e32 v8, 29, v7
	v_sub_nc_u32_e32 v7, 30, v7
	s_delay_alu instid0(VALU_DEP_2) | instskip(NEXT) | instid1(VALU_DEP_2)
	v_lshlrev_b32_e32 v3, v8, v3
	v_cndmask_b32_e32 v7, v9, v7, vcc_lo
	s_delay_alu instid0(VALU_DEP_2) | instskip(NEXT) | instid1(VALU_DEP_1)
	v_and_b32_e32 v3, 3, v3
	v_cndmask_b32_e32 v3, v5, v3, vcc_lo
	s_delay_alu instid0(VALU_DEP_3) | instskip(NEXT) | instid1(VALU_DEP_2)
	v_lshl_add_u32 v5, v7, 23, 0x37800000
	v_lshlrev_b32_e32 v3, 21, v3
	s_delay_alu instid0(VALU_DEP_1) | instskip(NEXT) | instid1(VALU_DEP_1)
	v_or3_b32 v1, v1, v5, v3
	v_trunc_f32_e32 v1, v1
	s_delay_alu instid0(VALU_DEP_1) | instskip(SKIP_1) | instid1(VALU_DEP_2)
	v_mul_f32_e64 v3, 0x2f800000, |v1|
	v_ashrrev_i32_e32 v8, 31, v1
	v_floor_f32_e32 v3, v3
	s_delay_alu instid0(VALU_DEP_2) | instskip(NEXT) | instid1(VALU_DEP_2)
	v_mov_b32_e32 v9, v8
	v_fma_f32 v5, 0xcf800000, v3, |v1|
	v_cvt_u32_f32_e32 v1, v3
	s_delay_alu instid0(VALU_DEP_2) | instskip(NEXT) | instid1(VALU_DEP_2)
	v_cvt_u32_f32_e32 v3, v5
	v_xor_b32_e32 v27, v1, v8
	s_delay_alu instid0(VALU_DEP_2) | instskip(NEXT) | instid1(VALU_DEP_1)
	v_xor_b32_e32 v26, v3, v8
	v_sub_nc_u64_e32 v[8:9], v[26:27], v[8:9]
.LBB55_1655:
	s_or_b32 exec_lo, exec_lo, s10
	s_mov_b32 s10, 0
	s_branch .LBB55_1661
.LBB55_1656:
                                        ; implicit-def: $vgpr8_vgpr9
	s_mov_b32 s12, 0
	s_branch .LBB55_1667
.LBB55_1657:
	s_and_not1_saveexec_b32 s10, s10
	s_cbranch_execz .LBB55_1643
.LBB55_1658:
	v_cmp_ne_u16_e32 vcc_lo, 0, v1
	s_and_not1_b32 s13, s13, exec_lo
	s_and_b32 s14, vcc_lo, exec_lo
	s_delay_alu instid0(SALU_CYCLE_1)
	s_or_b32 s13, s13, s14
	s_or_b32 exec_lo, exec_lo, s10
	v_mov_b64_e32 v[8:9], 0
	s_and_saveexec_b32 s10, s13
	s_cbranch_execnz .LBB55_1644
	s_branch .LBB55_1645
.LBB55_1659:
	s_mov_b32 s10, -1
                                        ; implicit-def: $vgpr8_vgpr9
	s_branch .LBB55_1664
.LBB55_1660:
	s_mov_b32 s10, -1
                                        ; implicit-def: $vgpr8_vgpr9
.LBB55_1661:
	s_delay_alu instid0(SALU_CYCLE_1)
	s_and_b32 vcc_lo, exec_lo, s10
	s_cbranch_vccz .LBB55_1663
; %bb.1662:
	global_load_u8 v1, v[24:25], off
	s_wait_loadcnt 0x0
	v_lshlrev_b32_e32 v1, 24, v1
	s_delay_alu instid0(VALU_DEP_1) | instskip(NEXT) | instid1(VALU_DEP_1)
	v_and_b32_e32 v3, 0x7f000000, v1
	v_clz_i32_u32_e32 v5, v3
	v_cmp_ne_u32_e32 vcc_lo, 0, v3
	v_add_nc_u32_e32 v8, 0x1000000, v3
	s_delay_alu instid0(VALU_DEP_3) | instskip(NEXT) | instid1(VALU_DEP_1)
	v_min_u32_e32 v5, 32, v5
	v_sub_nc_u32_e64 v5, v5, 4 clamp
	s_delay_alu instid0(VALU_DEP_1) | instskip(NEXT) | instid1(VALU_DEP_1)
	v_dual_lshlrev_b32 v7, v5, v3 :: v_dual_lshlrev_b32 v5, 23, v5
	v_lshrrev_b32_e32 v7, 4, v7
	s_delay_alu instid0(VALU_DEP_1) | instskip(NEXT) | instid1(VALU_DEP_1)
	v_dual_sub_nc_u32 v5, v7, v5 :: v_dual_ashrrev_i32 v7, 8, v8
	v_add_nc_u32_e32 v5, 0x3c000000, v5
	s_delay_alu instid0(VALU_DEP_1) | instskip(NEXT) | instid1(VALU_DEP_1)
	v_and_or_b32 v5, 0x7f800000, v7, v5
	v_cndmask_b32_e32 v3, 0, v5, vcc_lo
	s_delay_alu instid0(VALU_DEP_1) | instskip(NEXT) | instid1(VALU_DEP_1)
	v_and_or_b32 v1, 0x80000000, v1, v3
	v_trunc_f32_e32 v1, v1
	s_delay_alu instid0(VALU_DEP_1) | instskip(SKIP_1) | instid1(VALU_DEP_2)
	v_mul_f32_e64 v3, 0x2f800000, |v1|
	v_ashrrev_i32_e32 v8, 31, v1
	v_floor_f32_e32 v3, v3
	s_delay_alu instid0(VALU_DEP_1) | instskip(SKIP_3) | instid1(VALU_DEP_3)
	v_fma_f32 v5, 0xcf800000, v3, |v1|
	v_cvt_u32_f32_e32 v1, v3
	s_wait_xcnt 0x1
	v_mov_b32_e32 v9, v8
	v_cvt_u32_f32_e32 v3, v5
	s_delay_alu instid0(VALU_DEP_3) | instskip(NEXT) | instid1(VALU_DEP_2)
	v_xor_b32_e32 v27, v1, v8
	v_xor_b32_e32 v26, v3, v8
	s_delay_alu instid0(VALU_DEP_1)
	v_sub_nc_u64_e32 v[8:9], v[26:27], v[8:9]
.LBB55_1663:
	s_mov_b32 s10, 0
.LBB55_1664:
	s_delay_alu instid0(SALU_CYCLE_1)
	s_and_not1_b32 vcc_lo, exec_lo, s10
	s_cbranch_vccnz .LBB55_1666
; %bb.1665:
	global_load_u8 v1, v[24:25], off
	s_wait_loadcnt 0x0
	v_lshlrev_b32_e32 v3, 25, v1
	v_lshlrev_b16 v1, 8, v1
	s_delay_alu instid0(VALU_DEP_1) | instskip(SKIP_1) | instid1(VALU_DEP_2)
	v_and_or_b32 v7, 0x7f00, v1, 0.5
	v_bfe_i32 v1, v1, 0, 16
	v_add_f32_e32 v7, -0.5, v7
	v_lshrrev_b32_e32 v5, 4, v3
	v_cmp_gt_u32_e32 vcc_lo, 0x8000000, v3
	s_delay_alu instid0(VALU_DEP_2) | instskip(NEXT) | instid1(VALU_DEP_1)
	v_or_b32_e32 v5, 0x70000000, v5
	v_mul_f32_e32 v5, 0x7800000, v5
	s_delay_alu instid0(VALU_DEP_1) | instskip(NEXT) | instid1(VALU_DEP_1)
	v_cndmask_b32_e32 v3, v5, v7, vcc_lo
	v_and_or_b32 v1, 0x80000000, v1, v3
	s_delay_alu instid0(VALU_DEP_1) | instskip(NEXT) | instid1(VALU_DEP_1)
	v_trunc_f32_e32 v1, v1
	v_mul_f32_e64 v3, 0x2f800000, |v1|
	v_ashrrev_i32_e32 v8, 31, v1
	s_delay_alu instid0(VALU_DEP_2) | instskip(SKIP_1) | instid1(VALU_DEP_2)
	v_floor_f32_e32 v3, v3
	s_wait_xcnt 0x1
	v_mov_b32_e32 v9, v8
	s_delay_alu instid0(VALU_DEP_2) | instskip(SKIP_1) | instid1(VALU_DEP_2)
	v_fma_f32 v5, 0xcf800000, v3, |v1|
	v_cvt_u32_f32_e32 v1, v3
	v_cvt_u32_f32_e32 v3, v5
	s_delay_alu instid0(VALU_DEP_2) | instskip(NEXT) | instid1(VALU_DEP_2)
	v_xor_b32_e32 v27, v1, v8
	v_xor_b32_e32 v26, v3, v8
	s_delay_alu instid0(VALU_DEP_1)
	v_sub_nc_u64_e32 v[8:9], v[26:27], v[8:9]
.LBB55_1666:
	s_mov_b32 s13, -1
	s_mov_b32 s12, 0
	s_cbranch_execnz .LBB55_1677
.LBB55_1667:
	s_cmp_gt_i32 s0, 14
	s_cbranch_scc0 .LBB55_1670
; %bb.1668:
	s_cmp_eq_u32 s0, 15
	s_cbranch_scc0 .LBB55_1673
; %bb.1669:
	global_load_u16 v1, v[24:25], off
	s_mov_b32 s1, 0
	s_mov_b32 s13, -1
	s_wait_loadcnt 0x0
	v_lshlrev_b32_e32 v1, 16, v1
	s_delay_alu instid0(VALU_DEP_1) | instskip(NEXT) | instid1(VALU_DEP_1)
	v_trunc_f32_e32 v1, v1
	v_mul_f32_e64 v3, 0x2f800000, |v1|
	v_ashrrev_i32_e32 v8, 31, v1
	s_delay_alu instid0(VALU_DEP_2) | instskip(SKIP_1) | instid1(VALU_DEP_2)
	v_floor_f32_e32 v3, v3
	s_wait_xcnt 0x1
	v_mov_b32_e32 v9, v8
	s_delay_alu instid0(VALU_DEP_2) | instskip(SKIP_1) | instid1(VALU_DEP_2)
	v_fma_f32 v5, 0xcf800000, v3, |v1|
	v_cvt_u32_f32_e32 v1, v3
	v_cvt_u32_f32_e32 v3, v5
	s_delay_alu instid0(VALU_DEP_2) | instskip(NEXT) | instid1(VALU_DEP_2)
	v_xor_b32_e32 v27, v1, v8
	v_xor_b32_e32 v26, v3, v8
	s_delay_alu instid0(VALU_DEP_1)
	v_sub_nc_u64_e32 v[8:9], v[26:27], v[8:9]
	s_branch .LBB55_1674
.LBB55_1670:
	s_mov_b32 s10, -1
                                        ; implicit-def: $vgpr8_vgpr9
	s_branch .LBB55_1675
.LBB55_1671:
	s_and_not1_saveexec_b32 s10, s10
	s_cbranch_execz .LBB55_1653
.LBB55_1672:
	v_cmp_ne_u16_e32 vcc_lo, 0, v1
	s_and_not1_b32 s12, s12, exec_lo
	s_and_b32 s13, vcc_lo, exec_lo
	s_delay_alu instid0(SALU_CYCLE_1)
	s_or_b32 s12, s12, s13
	s_or_b32 exec_lo, exec_lo, s10
	v_mov_b64_e32 v[8:9], 0
	s_and_saveexec_b32 s10, s12
	s_cbranch_execnz .LBB55_1654
	s_branch .LBB55_1655
.LBB55_1673:
	s_mov_b32 s1, -1
                                        ; implicit-def: $vgpr8_vgpr9
.LBB55_1674:
	s_mov_b32 s10, 0
.LBB55_1675:
	s_delay_alu instid0(SALU_CYCLE_1)
	s_and_b32 vcc_lo, exec_lo, s10
	s_cbranch_vccz .LBB55_1677
; %bb.1676:
	s_cmp_lg_u32 s0, 11
	s_mov_b32 s12, -1
	s_cselect_b32 s1, -1, 0
.LBB55_1677:
	s_delay_alu instid0(SALU_CYCLE_1)
	s_and_b32 vcc_lo, exec_lo, s1
	s_mov_b32 s10, s8
	s_cbranch_vccnz .LBB55_1738
; %bb.1678:
	s_and_not1_b32 vcc_lo, exec_lo, s12
	s_cbranch_vccnz .LBB55_1680
.LBB55_1679:
	global_load_u8 v1, v[24:25], off
	s_mov_b32 s0, 0
	s_mov_b32 s13, -1
	s_wait_loadcnt 0x1
	s_wait_xcnt 0x1
	v_mov_b32_e32 v9, s0
	s_wait_loadcnt 0x0
	v_cmp_ne_u16_e32 vcc_lo, 0, v1
	v_cndmask_b32_e64 v8, 0, 1, vcc_lo
.LBB55_1680:
	s_branch .LBB55_1614
.LBB55_1681:
	s_and_b32 s0, 0xffff, s11
	s_delay_alu instid0(SALU_CYCLE_1)
	s_cmp_lt_i32 s0, 5
	s_cbranch_scc1 .LBB55_1686
; %bb.1682:
	s_cmp_lt_i32 s0, 8
	s_cbranch_scc1 .LBB55_1687
; %bb.1683:
	;; [unrolled: 3-line block ×3, first 2 shown]
	s_cmp_gt_i32 s0, 9
	s_cbranch_scc0 .LBB55_1689
; %bb.1685:
	s_wait_loadcnt 0x0
	global_load_b64 v[8:9], v[24:25], off
	s_mov_b32 s1, 0
	s_wait_loadcnt 0x0
	v_trunc_f64_e32 v[8:9], v[8:9]
	s_delay_alu instid0(VALU_DEP_1) | instskip(NEXT) | instid1(VALU_DEP_1)
	v_ldexp_f64 v[26:27], v[8:9], 0xffffffe0
	v_floor_f64_e32 v[26:27], v[26:27]
	s_delay_alu instid0(VALU_DEP_1) | instskip(SKIP_1) | instid1(VALU_DEP_2)
	v_fmamk_f64 v[28:29], v[26:27], 0xc1f00000, v[8:9]
	v_cvt_i32_f64_e32 v9, v[26:27]
	v_cvt_u32_f64_e32 v8, v[28:29]
	s_branch .LBB55_1690
.LBB55_1686:
                                        ; implicit-def: $vgpr8_vgpr9
	s_branch .LBB55_1707
.LBB55_1687:
                                        ; implicit-def: $vgpr8_vgpr9
	s_branch .LBB55_1696
.LBB55_1688:
	s_mov_b32 s1, -1
                                        ; implicit-def: $vgpr8_vgpr9
	s_branch .LBB55_1693
.LBB55_1689:
	s_mov_b32 s1, -1
                                        ; implicit-def: $vgpr8_vgpr9
.LBB55_1690:
	s_delay_alu instid0(SALU_CYCLE_1)
	s_and_not1_b32 vcc_lo, exec_lo, s1
	s_cbranch_vccnz .LBB55_1692
; %bb.1691:
	global_load_b32 v1, v[24:25], off
	s_wait_loadcnt 0x0
	v_trunc_f32_e32 v1, v1
	s_delay_alu instid0(VALU_DEP_1) | instskip(SKIP_1) | instid1(VALU_DEP_2)
	v_mul_f32_e64 v3, 0x2f800000, |v1|
	v_ashrrev_i32_e32 v8, 31, v1
	v_floor_f32_e32 v3, v3
	s_delay_alu instid0(VALU_DEP_1) | instskip(SKIP_3) | instid1(VALU_DEP_3)
	v_fma_f32 v5, 0xcf800000, v3, |v1|
	v_cvt_u32_f32_e32 v1, v3
	s_wait_xcnt 0x1
	v_mov_b32_e32 v9, v8
	v_cvt_u32_f32_e32 v3, v5
	s_delay_alu instid0(VALU_DEP_3) | instskip(NEXT) | instid1(VALU_DEP_2)
	v_xor_b32_e32 v27, v1, v8
	v_xor_b32_e32 v26, v3, v8
	s_delay_alu instid0(VALU_DEP_1)
	v_sub_nc_u64_e32 v[8:9], v[26:27], v[8:9]
.LBB55_1692:
	s_mov_b32 s1, 0
.LBB55_1693:
	s_delay_alu instid0(SALU_CYCLE_1)
	s_and_not1_b32 vcc_lo, exec_lo, s1
	s_cbranch_vccnz .LBB55_1695
; %bb.1694:
	global_load_b32 v1, v[24:25], off
	s_wait_loadcnt 0x0
	v_cvt_f32_f16_e32 v1, v1
	s_delay_alu instid0(VALU_DEP_1) | instskip(SKIP_1) | instid1(VALU_DEP_1)
	v_cvt_i32_f32_e32 v8, v1
	s_wait_xcnt 0x1
	v_ashrrev_i32_e32 v9, 31, v8
.LBB55_1695:
	s_cbranch_execnz .LBB55_1706
.LBB55_1696:
	s_cmp_lt_i32 s0, 6
	s_cbranch_scc1 .LBB55_1699
; %bb.1697:
	s_cmp_gt_i32 s0, 6
	s_cbranch_scc0 .LBB55_1700
; %bb.1698:
	s_wait_loadcnt 0x0
	global_load_b64 v[8:9], v[24:25], off
	s_mov_b32 s1, 0
	s_wait_loadcnt 0x0
	v_trunc_f64_e32 v[8:9], v[8:9]
	s_delay_alu instid0(VALU_DEP_1) | instskip(NEXT) | instid1(VALU_DEP_1)
	v_ldexp_f64 v[26:27], v[8:9], 0xffffffe0
	v_floor_f64_e32 v[26:27], v[26:27]
	s_delay_alu instid0(VALU_DEP_1) | instskip(SKIP_1) | instid1(VALU_DEP_2)
	v_fmamk_f64 v[28:29], v[26:27], 0xc1f00000, v[8:9]
	v_cvt_i32_f64_e32 v9, v[26:27]
	v_cvt_u32_f64_e32 v8, v[28:29]
	s_branch .LBB55_1701
.LBB55_1699:
	s_mov_b32 s1, -1
                                        ; implicit-def: $vgpr8_vgpr9
	s_branch .LBB55_1704
.LBB55_1700:
	s_mov_b32 s1, -1
                                        ; implicit-def: $vgpr8_vgpr9
.LBB55_1701:
	s_delay_alu instid0(SALU_CYCLE_1)
	s_and_not1_b32 vcc_lo, exec_lo, s1
	s_cbranch_vccnz .LBB55_1703
; %bb.1702:
	global_load_b32 v1, v[24:25], off
	s_wait_loadcnt 0x0
	v_trunc_f32_e32 v1, v1
	s_delay_alu instid0(VALU_DEP_1) | instskip(SKIP_1) | instid1(VALU_DEP_2)
	v_mul_f32_e64 v3, 0x2f800000, |v1|
	v_ashrrev_i32_e32 v8, 31, v1
	v_floor_f32_e32 v3, v3
	s_delay_alu instid0(VALU_DEP_1) | instskip(SKIP_3) | instid1(VALU_DEP_3)
	v_fma_f32 v5, 0xcf800000, v3, |v1|
	v_cvt_u32_f32_e32 v1, v3
	s_wait_xcnt 0x1
	v_mov_b32_e32 v9, v8
	v_cvt_u32_f32_e32 v3, v5
	s_delay_alu instid0(VALU_DEP_3) | instskip(NEXT) | instid1(VALU_DEP_2)
	v_xor_b32_e32 v27, v1, v8
	v_xor_b32_e32 v26, v3, v8
	s_delay_alu instid0(VALU_DEP_1)
	v_sub_nc_u64_e32 v[8:9], v[26:27], v[8:9]
.LBB55_1703:
	s_mov_b32 s1, 0
.LBB55_1704:
	s_delay_alu instid0(SALU_CYCLE_1)
	s_and_not1_b32 vcc_lo, exec_lo, s1
	s_cbranch_vccnz .LBB55_1706
; %bb.1705:
	global_load_u16 v1, v[24:25], off
	s_wait_loadcnt 0x0
	v_cvt_f32_f16_e32 v1, v1
	s_delay_alu instid0(VALU_DEP_1) | instskip(SKIP_1) | instid1(VALU_DEP_1)
	v_cvt_i32_f32_e32 v8, v1
	s_wait_xcnt 0x1
	v_ashrrev_i32_e32 v9, 31, v8
.LBB55_1706:
	s_cbranch_execnz .LBB55_1725
.LBB55_1707:
	s_cmp_lt_i32 s0, 2
	s_cbranch_scc1 .LBB55_1711
; %bb.1708:
	s_cmp_lt_i32 s0, 3
	s_cbranch_scc1 .LBB55_1712
; %bb.1709:
	s_cmp_gt_i32 s0, 3
	s_cbranch_scc0 .LBB55_1713
; %bb.1710:
	s_wait_loadcnt 0x0
	global_load_b64 v[8:9], v[24:25], off
	s_mov_b32 s1, 0
	s_branch .LBB55_1714
.LBB55_1711:
                                        ; implicit-def: $vgpr8_vgpr9
	s_branch .LBB55_1720
.LBB55_1712:
	s_mov_b32 s1, -1
                                        ; implicit-def: $vgpr8_vgpr9
	s_branch .LBB55_1717
.LBB55_1713:
	s_mov_b32 s1, -1
                                        ; implicit-def: $vgpr8_vgpr9
.LBB55_1714:
	s_delay_alu instid0(SALU_CYCLE_1)
	s_and_not1_b32 vcc_lo, exec_lo, s1
	s_cbranch_vccnz .LBB55_1716
; %bb.1715:
	s_wait_loadcnt 0x0
	global_load_b32 v8, v[24:25], off
	s_wait_loadcnt 0x0
	s_wait_xcnt 0x1
	v_ashrrev_i32_e32 v9, 31, v8
.LBB55_1716:
	s_mov_b32 s1, 0
.LBB55_1717:
	s_delay_alu instid0(SALU_CYCLE_1)
	s_and_not1_b32 vcc_lo, exec_lo, s1
	s_cbranch_vccnz .LBB55_1719
; %bb.1718:
	global_load_u16 v1, v[24:25], off
	s_wait_loadcnt 0x0
	v_bfe_i32 v8, v1, 0, 16
	s_wait_xcnt 0x1
	s_delay_alu instid0(VALU_DEP_1)
	v_ashrrev_i32_e32 v9, 31, v8
.LBB55_1719:
	s_cbranch_execnz .LBB55_1725
.LBB55_1720:
	s_cmp_gt_i32 s0, 0
	s_mov_b32 s0, 0
	s_cbranch_scc0 .LBB55_1722
; %bb.1721:
	global_load_i8 v1, v[24:25], off
	s_wait_loadcnt 0x0
	v_bfe_i32 v8, v1, 0, 16
	s_wait_xcnt 0x1
	s_delay_alu instid0(VALU_DEP_1)
	v_ashrrev_i32_e32 v9, 31, v8
	s_branch .LBB55_1723
.LBB55_1722:
	s_mov_b32 s0, -1
                                        ; implicit-def: $vgpr8_vgpr9
.LBB55_1723:
	s_delay_alu instid0(SALU_CYCLE_1)
	s_and_not1_b32 vcc_lo, exec_lo, s0
	s_cbranch_vccnz .LBB55_1725
; %bb.1724:
	global_load_u8 v1, v[24:25], off
	s_mov_b32 s0, 0
	s_wait_loadcnt 0x1
	s_wait_xcnt 0x1
	v_mov_b32_e32 v9, s0
	s_wait_loadcnt 0x0
	v_and_b32_e32 v8, 0xffff, v1
.LBB55_1725:
.LBB55_1726:
	v_mov_b32_e32 v13, 0
	s_load_b64 s[0:1], s[2:3], 0x198
	global_load_u8 v1, v13, s[2:3] offset:422
	s_wait_kmcnt 0x0
	v_add_nc_u64_e32 v[24:25], s[0:1], v[12:13]
	s_wait_loadcnt 0x0
	v_and_b32_e32 v3, 0xffff, v1
	v_readfirstlane_b32 s12, v1
	s_delay_alu instid0(VALU_DEP_2)
	v_cmp_gt_i32_e32 vcc_lo, 11, v3
	s_cbranch_vccnz .LBB55_1733
; %bb.1727:
	s_and_b32 s13, 0xffff, s12
	s_mov_b32 s15, 0
	s_cmp_gt_i32 s13, 25
	s_cbranch_scc0 .LBB55_1735
; %bb.1728:
	s_cmp_gt_i32 s13, 28
	s_cbranch_scc0 .LBB55_1736
; %bb.1729:
	;; [unrolled: 3-line block ×4, first 2 shown]
	s_cmp_eq_u32 s13, 46
	s_mov_b32 s17, 0
	s_cbranch_scc0 .LBB55_1742
; %bb.1732:
	global_load_b32 v1, v[24:25], off
	s_mov_b32 s14, 0
	s_mov_b32 s16, -1
	s_wait_loadcnt 0x0
	v_lshlrev_b32_e32 v1, 16, v1
	s_delay_alu instid0(VALU_DEP_1) | instskip(NEXT) | instid1(VALU_DEP_1)
	v_trunc_f32_e32 v1, v1
	v_mul_f32_e64 v3, 0x2f800000, |v1|
	v_ashrrev_i32_e32 v12, 31, v1
	s_delay_alu instid0(VALU_DEP_2) | instskip(SKIP_1) | instid1(VALU_DEP_2)
	v_floor_f32_e32 v3, v3
	s_wait_xcnt 0x1
	v_mov_b32_e32 v13, v12
	s_delay_alu instid0(VALU_DEP_2) | instskip(SKIP_1) | instid1(VALU_DEP_2)
	v_fma_f32 v5, 0xcf800000, v3, |v1|
	v_cvt_u32_f32_e32 v1, v3
	v_cvt_u32_f32_e32 v3, v5
	s_delay_alu instid0(VALU_DEP_2) | instskip(NEXT) | instid1(VALU_DEP_2)
	v_xor_b32_e32 v27, v1, v12
	v_xor_b32_e32 v26, v3, v12
	s_delay_alu instid0(VALU_DEP_1)
	v_sub_nc_u64_e32 v[12:13], v[26:27], v[12:13]
	s_branch .LBB55_1744
.LBB55_1733:
	s_mov_b32 s16, 0
                                        ; implicit-def: $vgpr12_vgpr13
	s_cbranch_execnz .LBB55_1805
.LBB55_1734:
	s_and_not1_b32 vcc_lo, exec_lo, s16
	s_cbranch_vccnz .LBB55_3047
	s_branch .LBB55_1852
.LBB55_1735:
	s_mov_b32 s16, 0
	s_mov_b32 s14, 0
                                        ; implicit-def: $vgpr12_vgpr13
	s_cbranch_execnz .LBB55_1771
	s_branch .LBB55_1801
.LBB55_1736:
	s_mov_b32 s17, -1
	s_mov_b32 s16, 0
	s_mov_b32 s14, 0
                                        ; implicit-def: $vgpr12_vgpr13
	s_branch .LBB55_1754
.LBB55_1737:
	s_mov_b32 s17, -1
	s_mov_b32 s16, 0
	s_mov_b32 s14, 0
                                        ; implicit-def: $vgpr12_vgpr13
	s_branch .LBB55_1749
.LBB55_1738:
	s_or_b32 s10, s8, exec_lo
	s_trap 2
	s_cbranch_execz .LBB55_1679
	s_branch .LBB55_1680
.LBB55_1739:
	s_mov_b32 s17, -1
	s_mov_b32 s16, 0
	s_mov_b32 s14, 0
	s_branch .LBB55_1743
.LBB55_1740:
	s_and_not1_saveexec_b32 s11, s11
	s_cbranch_execz .LBB55_1486
.LBB55_1741:
	v_add_f32_e32 v2, 0x42800000, v3
	s_and_not1_b32 s10, s10, exec_lo
	s_delay_alu instid0(VALU_DEP_1) | instskip(NEXT) | instid1(VALU_DEP_1)
	v_and_b32_e32 v2, 0xff, v2
	v_cmp_ne_u32_e32 vcc_lo, 0, v2
	s_and_b32 s12, vcc_lo, exec_lo
	s_delay_alu instid0(SALU_CYCLE_1)
	s_or_b32 s10, s10, s12
	s_or_b32 exec_lo, exec_lo, s11
	v_mov_b32_e32 v4, 0
	s_and_saveexec_b32 s11, s10
	s_cbranch_execnz .LBB55_1487
	s_branch .LBB55_1488
.LBB55_1742:
	s_mov_b32 s14, -1
	s_mov_b32 s16, 0
.LBB55_1743:
                                        ; implicit-def: $vgpr12_vgpr13
.LBB55_1744:
	s_and_b32 vcc_lo, exec_lo, s17
	s_cbranch_vccz .LBB55_1748
; %bb.1745:
	s_cmp_eq_u32 s13, 44
	s_cbranch_scc0 .LBB55_1747
; %bb.1746:
	global_load_u8 v1, v[24:25], off
	s_mov_b32 s14, 0
	s_mov_b32 s16, -1
	s_wait_loadcnt 0x0
	v_lshlrev_b32_e32 v3, 23, v1
	v_cmp_ne_u32_e32 vcc_lo, 0, v1
	s_delay_alu instid0(VALU_DEP_2) | instskip(NEXT) | instid1(VALU_DEP_1)
	v_trunc_f32_e32 v3, v3
	v_mul_f32_e64 v5, 0x2f800000, |v3|
	v_ashrrev_i32_e32 v12, 31, v3
	s_delay_alu instid0(VALU_DEP_2) | instskip(SKIP_1) | instid1(VALU_DEP_2)
	v_floor_f32_e32 v5, v5
	s_wait_xcnt 0x1
	v_mov_b32_e32 v13, v12
	s_delay_alu instid0(VALU_DEP_2) | instskip(SKIP_1) | instid1(VALU_DEP_2)
	v_fma_f32 v7, 0xcf800000, v5, |v3|
	v_cvt_u32_f32_e32 v3, v5
	v_cvt_u32_f32_e32 v5, v7
	s_delay_alu instid0(VALU_DEP_2) | instskip(NEXT) | instid1(VALU_DEP_2)
	v_xor_b32_e32 v27, v3, v12
	v_xor_b32_e32 v26, v5, v12
	s_delay_alu instid0(VALU_DEP_1) | instskip(NEXT) | instid1(VALU_DEP_1)
	v_sub_nc_u64_e32 v[12:13], v[26:27], v[12:13]
	v_dual_cndmask_b32 v13, 0, v13 :: v_dual_cndmask_b32 v12, 0, v12
	s_branch .LBB55_1748
.LBB55_1747:
	s_mov_b32 s14, -1
                                        ; implicit-def: $vgpr12_vgpr13
.LBB55_1748:
	s_mov_b32 s17, 0
.LBB55_1749:
	s_delay_alu instid0(SALU_CYCLE_1)
	s_and_b32 vcc_lo, exec_lo, s17
	s_cbranch_vccz .LBB55_1753
; %bb.1750:
	s_cmp_eq_u32 s13, 29
	s_cbranch_scc0 .LBB55_1752
; %bb.1751:
	global_load_b64 v[12:13], v[24:25], off
	s_mov_b32 s14, 0
	s_mov_b32 s16, -1
	s_branch .LBB55_1753
.LBB55_1752:
	s_mov_b32 s14, -1
                                        ; implicit-def: $vgpr12_vgpr13
.LBB55_1753:
	s_mov_b32 s17, 0
.LBB55_1754:
	s_delay_alu instid0(SALU_CYCLE_1)
	s_and_b32 vcc_lo, exec_lo, s17
	s_cbranch_vccz .LBB55_1770
; %bb.1755:
	s_cmp_lt_i32 s13, 27
	s_cbranch_scc1 .LBB55_1758
; %bb.1756:
	s_cmp_gt_i32 s13, 27
	s_cbranch_scc0 .LBB55_1759
; %bb.1757:
	s_wait_loadcnt 0x0
	global_load_b32 v12, v[24:25], off
	s_wait_xcnt 0x1
	v_mov_b32_e32 v13, 0
	s_mov_b32 s16, 0
	s_branch .LBB55_1760
.LBB55_1758:
	s_mov_b32 s16, -1
                                        ; implicit-def: $vgpr12_vgpr13
	s_branch .LBB55_1763
.LBB55_1759:
	s_mov_b32 s16, -1
                                        ; implicit-def: $vgpr12_vgpr13
.LBB55_1760:
	s_delay_alu instid0(SALU_CYCLE_1)
	s_and_not1_b32 vcc_lo, exec_lo, s16
	s_cbranch_vccnz .LBB55_1762
; %bb.1761:
	global_load_u16 v1, v[24:25], off
	s_mov_b32 s16, 0
	s_wait_loadcnt 0x1
	s_wait_xcnt 0x1
	v_mov_b32_e32 v13, s16
	s_wait_loadcnt 0x0
	v_and_b32_e32 v12, 0xffff, v1
.LBB55_1762:
	s_mov_b32 s16, 0
.LBB55_1763:
	s_delay_alu instid0(SALU_CYCLE_1)
	s_and_not1_b32 vcc_lo, exec_lo, s16
	s_cbranch_vccnz .LBB55_1769
; %bb.1764:
	global_load_u8 v1, v[24:25], off
	s_mov_b32 s17, 0
	s_mov_b32 s16, exec_lo
	s_wait_loadcnt 0x0
	v_cmpx_lt_i16_e32 0x7f, v1
	s_xor_b32 s16, exec_lo, s16
	s_cbranch_execz .LBB55_1780
; %bb.1765:
	v_cmp_ne_u16_e32 vcc_lo, 0x80, v1
	s_and_b32 s17, vcc_lo, exec_lo
	s_and_not1_saveexec_b32 s16, s16
	s_cbranch_execnz .LBB55_1781
.LBB55_1766:
	s_or_b32 exec_lo, exec_lo, s16
	v_mov_b64_e32 v[12:13], 0
	s_and_saveexec_b32 s16, s17
	s_cbranch_execz .LBB55_1768
.LBB55_1767:
	v_and_b32_e32 v3, 0xffff, v1
	s_delay_alu instid0(VALU_DEP_1) | instskip(SKIP_1) | instid1(VALU_DEP_2)
	v_dual_lshlrev_b32 v1, 24, v1 :: v_dual_bitop2_b32 v5, 7, v3 bitop3:0x40
	v_bfe_u32 v12, v3, 3, 4
	v_and_b32_e32 v1, 0x80000000, v1
	s_delay_alu instid0(VALU_DEP_3) | instskip(NEXT) | instid1(VALU_DEP_3)
	v_clz_i32_u32_e32 v7, v5
	v_cmp_eq_u32_e32 vcc_lo, 0, v12
	s_delay_alu instid0(VALU_DEP_2) | instskip(NEXT) | instid1(VALU_DEP_1)
	v_min_u32_e32 v7, 32, v7
	v_subrev_nc_u32_e32 v11, 28, v7
	v_sub_nc_u32_e32 v7, 29, v7
	s_delay_alu instid0(VALU_DEP_2) | instskip(NEXT) | instid1(VALU_DEP_2)
	v_lshlrev_b32_e32 v3, v11, v3
	v_cndmask_b32_e32 v7, v12, v7, vcc_lo
	s_delay_alu instid0(VALU_DEP_2) | instskip(NEXT) | instid1(VALU_DEP_1)
	v_and_b32_e32 v3, 7, v3
	v_cndmask_b32_e32 v3, v5, v3, vcc_lo
	s_delay_alu instid0(VALU_DEP_3) | instskip(NEXT) | instid1(VALU_DEP_2)
	v_lshl_add_u32 v5, v7, 23, 0x3b800000
	v_lshlrev_b32_e32 v3, 20, v3
	s_delay_alu instid0(VALU_DEP_1) | instskip(NEXT) | instid1(VALU_DEP_1)
	v_or3_b32 v1, v1, v5, v3
	v_trunc_f32_e32 v1, v1
	s_delay_alu instid0(VALU_DEP_1) | instskip(SKIP_1) | instid1(VALU_DEP_2)
	v_mul_f32_e64 v3, 0x2f800000, |v1|
	v_ashrrev_i32_e32 v12, 31, v1
	v_floor_f32_e32 v3, v3
	s_delay_alu instid0(VALU_DEP_2) | instskip(NEXT) | instid1(VALU_DEP_2)
	v_mov_b32_e32 v13, v12
	v_fma_f32 v5, 0xcf800000, v3, |v1|
	v_cvt_u32_f32_e32 v1, v3
	s_delay_alu instid0(VALU_DEP_2) | instskip(NEXT) | instid1(VALU_DEP_2)
	v_cvt_u32_f32_e32 v3, v5
	v_xor_b32_e32 v27, v1, v12
	s_delay_alu instid0(VALU_DEP_2) | instskip(NEXT) | instid1(VALU_DEP_1)
	v_xor_b32_e32 v26, v3, v12
	v_sub_nc_u64_e32 v[12:13], v[26:27], v[12:13]
.LBB55_1768:
	s_or_b32 exec_lo, exec_lo, s16
.LBB55_1769:
	s_mov_b32 s16, -1
.LBB55_1770:
	s_branch .LBB55_1801
.LBB55_1771:
	s_cmp_gt_i32 s13, 22
	s_cbranch_scc0 .LBB55_1779
; %bb.1772:
	s_cmp_lt_i32 s13, 24
	s_cbranch_scc1 .LBB55_1782
; %bb.1773:
	s_cmp_gt_i32 s13, 24
	s_cbranch_scc0 .LBB55_1783
; %bb.1774:
	global_load_u8 v1, v[24:25], off
	s_mov_b32 s16, 0
	s_mov_b32 s15, exec_lo
	s_wait_loadcnt 0x0
	v_cmpx_lt_i16_e32 0x7f, v1
	s_xor_b32 s15, exec_lo, s15
	s_cbranch_execz .LBB55_1795
; %bb.1775:
	v_cmp_ne_u16_e32 vcc_lo, 0x80, v1
	s_and_b32 s16, vcc_lo, exec_lo
	s_and_not1_saveexec_b32 s15, s15
	s_cbranch_execnz .LBB55_1796
.LBB55_1776:
	s_or_b32 exec_lo, exec_lo, s15
	v_mov_b64_e32 v[12:13], 0
	s_and_saveexec_b32 s15, s16
	s_cbranch_execz .LBB55_1778
.LBB55_1777:
	v_and_b32_e32 v3, 0xffff, v1
	s_delay_alu instid0(VALU_DEP_1) | instskip(SKIP_1) | instid1(VALU_DEP_2)
	v_dual_lshlrev_b32 v1, 24, v1 :: v_dual_bitop2_b32 v5, 3, v3 bitop3:0x40
	v_bfe_u32 v12, v3, 2, 5
	v_and_b32_e32 v1, 0x80000000, v1
	s_delay_alu instid0(VALU_DEP_3) | instskip(NEXT) | instid1(VALU_DEP_3)
	v_clz_i32_u32_e32 v7, v5
	v_cmp_eq_u32_e32 vcc_lo, 0, v12
	s_delay_alu instid0(VALU_DEP_2) | instskip(NEXT) | instid1(VALU_DEP_1)
	v_min_u32_e32 v7, 32, v7
	v_subrev_nc_u32_e32 v11, 29, v7
	v_sub_nc_u32_e32 v7, 30, v7
	s_delay_alu instid0(VALU_DEP_2) | instskip(NEXT) | instid1(VALU_DEP_2)
	v_lshlrev_b32_e32 v3, v11, v3
	v_cndmask_b32_e32 v7, v12, v7, vcc_lo
	s_delay_alu instid0(VALU_DEP_2) | instskip(NEXT) | instid1(VALU_DEP_1)
	v_and_b32_e32 v3, 3, v3
	v_cndmask_b32_e32 v3, v5, v3, vcc_lo
	s_delay_alu instid0(VALU_DEP_3) | instskip(NEXT) | instid1(VALU_DEP_2)
	v_lshl_add_u32 v5, v7, 23, 0x37800000
	v_lshlrev_b32_e32 v3, 21, v3
	s_delay_alu instid0(VALU_DEP_1) | instskip(NEXT) | instid1(VALU_DEP_1)
	v_or3_b32 v1, v1, v5, v3
	v_trunc_f32_e32 v1, v1
	s_delay_alu instid0(VALU_DEP_1) | instskip(SKIP_1) | instid1(VALU_DEP_2)
	v_mul_f32_e64 v3, 0x2f800000, |v1|
	v_ashrrev_i32_e32 v12, 31, v1
	v_floor_f32_e32 v3, v3
	s_delay_alu instid0(VALU_DEP_2) | instskip(NEXT) | instid1(VALU_DEP_2)
	v_mov_b32_e32 v13, v12
	v_fma_f32 v5, 0xcf800000, v3, |v1|
	v_cvt_u32_f32_e32 v1, v3
	s_delay_alu instid0(VALU_DEP_2) | instskip(NEXT) | instid1(VALU_DEP_2)
	v_cvt_u32_f32_e32 v3, v5
	v_xor_b32_e32 v27, v1, v12
	s_delay_alu instid0(VALU_DEP_2) | instskip(NEXT) | instid1(VALU_DEP_1)
	v_xor_b32_e32 v26, v3, v12
	v_sub_nc_u64_e32 v[12:13], v[26:27], v[12:13]
.LBB55_1778:
	s_or_b32 exec_lo, exec_lo, s15
	s_mov_b32 s15, 0
	s_branch .LBB55_1784
.LBB55_1779:
	s_mov_b32 s15, -1
                                        ; implicit-def: $vgpr12_vgpr13
	s_branch .LBB55_1790
.LBB55_1780:
	s_and_not1_saveexec_b32 s16, s16
	s_cbranch_execz .LBB55_1766
.LBB55_1781:
	v_cmp_ne_u16_e32 vcc_lo, 0, v1
	s_and_not1_b32 s17, s17, exec_lo
	s_and_b32 s18, vcc_lo, exec_lo
	s_delay_alu instid0(SALU_CYCLE_1)
	s_or_b32 s17, s17, s18
	s_or_b32 exec_lo, exec_lo, s16
	v_mov_b64_e32 v[12:13], 0
	s_and_saveexec_b32 s16, s17
	s_cbranch_execnz .LBB55_1767
	s_branch .LBB55_1768
.LBB55_1782:
	s_mov_b32 s15, -1
                                        ; implicit-def: $vgpr12_vgpr13
	s_branch .LBB55_1787
.LBB55_1783:
	s_mov_b32 s15, -1
                                        ; implicit-def: $vgpr12_vgpr13
.LBB55_1784:
	s_delay_alu instid0(SALU_CYCLE_1)
	s_and_b32 vcc_lo, exec_lo, s15
	s_cbranch_vccz .LBB55_1786
; %bb.1785:
	global_load_u8 v1, v[24:25], off
	s_wait_loadcnt 0x0
	v_lshlrev_b32_e32 v1, 24, v1
	s_delay_alu instid0(VALU_DEP_1) | instskip(NEXT) | instid1(VALU_DEP_1)
	v_and_b32_e32 v3, 0x7f000000, v1
	v_clz_i32_u32_e32 v5, v3
	v_add_nc_u32_e32 v11, 0x1000000, v3
	v_cmp_ne_u32_e32 vcc_lo, 0, v3
	s_delay_alu instid0(VALU_DEP_3) | instskip(NEXT) | instid1(VALU_DEP_1)
	v_min_u32_e32 v5, 32, v5
	v_sub_nc_u32_e64 v5, v5, 4 clamp
	s_delay_alu instid0(VALU_DEP_1) | instskip(NEXT) | instid1(VALU_DEP_1)
	v_dual_lshlrev_b32 v7, v5, v3 :: v_dual_lshlrev_b32 v5, 23, v5
	v_lshrrev_b32_e32 v7, 4, v7
	s_delay_alu instid0(VALU_DEP_1) | instskip(NEXT) | instid1(VALU_DEP_1)
	v_dual_sub_nc_u32 v5, v7, v5 :: v_dual_ashrrev_i32 v7, 8, v11
	v_add_nc_u32_e32 v5, 0x3c000000, v5
	s_delay_alu instid0(VALU_DEP_1) | instskip(NEXT) | instid1(VALU_DEP_1)
	v_and_or_b32 v5, 0x7f800000, v7, v5
	v_cndmask_b32_e32 v3, 0, v5, vcc_lo
	s_delay_alu instid0(VALU_DEP_1) | instskip(NEXT) | instid1(VALU_DEP_1)
	v_and_or_b32 v1, 0x80000000, v1, v3
	v_trunc_f32_e32 v1, v1
	s_delay_alu instid0(VALU_DEP_1) | instskip(SKIP_1) | instid1(VALU_DEP_2)
	v_mul_f32_e64 v3, 0x2f800000, |v1|
	v_ashrrev_i32_e32 v12, 31, v1
	v_floor_f32_e32 v3, v3
	s_wait_xcnt 0x1
	s_delay_alu instid0(VALU_DEP_2) | instskip(NEXT) | instid1(VALU_DEP_2)
	v_mov_b32_e32 v13, v12
	v_fma_f32 v5, 0xcf800000, v3, |v1|
	v_cvt_u32_f32_e32 v1, v3
	s_delay_alu instid0(VALU_DEP_2) | instskip(NEXT) | instid1(VALU_DEP_2)
	v_cvt_u32_f32_e32 v3, v5
	v_xor_b32_e32 v27, v1, v12
	s_delay_alu instid0(VALU_DEP_2) | instskip(NEXT) | instid1(VALU_DEP_1)
	v_xor_b32_e32 v26, v3, v12
	v_sub_nc_u64_e32 v[12:13], v[26:27], v[12:13]
.LBB55_1786:
	s_mov_b32 s15, 0
.LBB55_1787:
	s_delay_alu instid0(SALU_CYCLE_1)
	s_and_not1_b32 vcc_lo, exec_lo, s15
	s_cbranch_vccnz .LBB55_1789
; %bb.1788:
	global_load_u8 v1, v[24:25], off
	s_wait_loadcnt 0x0
	v_lshlrev_b32_e32 v3, 25, v1
	v_lshlrev_b16 v1, 8, v1
	s_delay_alu instid0(VALU_DEP_1) | instskip(SKIP_1) | instid1(VALU_DEP_2)
	v_and_or_b32 v7, 0x7f00, v1, 0.5
	v_bfe_i32 v1, v1, 0, 16
	v_add_f32_e32 v7, -0.5, v7
	v_lshrrev_b32_e32 v5, 4, v3
	v_cmp_gt_u32_e32 vcc_lo, 0x8000000, v3
	s_delay_alu instid0(VALU_DEP_2) | instskip(NEXT) | instid1(VALU_DEP_1)
	v_or_b32_e32 v5, 0x70000000, v5
	v_mul_f32_e32 v5, 0x7800000, v5
	s_delay_alu instid0(VALU_DEP_1) | instskip(NEXT) | instid1(VALU_DEP_1)
	v_cndmask_b32_e32 v3, v5, v7, vcc_lo
	v_and_or_b32 v1, 0x80000000, v1, v3
	s_delay_alu instid0(VALU_DEP_1) | instskip(NEXT) | instid1(VALU_DEP_1)
	v_trunc_f32_e32 v1, v1
	v_mul_f32_e64 v3, 0x2f800000, |v1|
	v_ashrrev_i32_e32 v12, 31, v1
	s_delay_alu instid0(VALU_DEP_2) | instskip(SKIP_1) | instid1(VALU_DEP_2)
	v_floor_f32_e32 v3, v3
	s_wait_xcnt 0x1
	v_mov_b32_e32 v13, v12
	s_delay_alu instid0(VALU_DEP_2) | instskip(SKIP_1) | instid1(VALU_DEP_2)
	v_fma_f32 v5, 0xcf800000, v3, |v1|
	v_cvt_u32_f32_e32 v1, v3
	v_cvt_u32_f32_e32 v3, v5
	s_delay_alu instid0(VALU_DEP_2) | instskip(NEXT) | instid1(VALU_DEP_2)
	v_xor_b32_e32 v27, v1, v12
	v_xor_b32_e32 v26, v3, v12
	s_delay_alu instid0(VALU_DEP_1)
	v_sub_nc_u64_e32 v[12:13], v[26:27], v[12:13]
.LBB55_1789:
	s_mov_b32 s15, 0
	s_mov_b32 s16, -1
.LBB55_1790:
	s_and_not1_b32 vcc_lo, exec_lo, s15
	s_mov_b32 s15, 0
	s_cbranch_vccnz .LBB55_1801
; %bb.1791:
	s_cmp_gt_i32 s13, 14
	s_cbranch_scc0 .LBB55_1794
; %bb.1792:
	s_cmp_eq_u32 s13, 15
	s_cbranch_scc0 .LBB55_1797
; %bb.1793:
	global_load_u16 v1, v[24:25], off
	s_mov_b32 s14, 0
	s_mov_b32 s16, -1
	s_wait_loadcnt 0x0
	v_lshlrev_b32_e32 v1, 16, v1
	s_delay_alu instid0(VALU_DEP_1) | instskip(NEXT) | instid1(VALU_DEP_1)
	v_trunc_f32_e32 v1, v1
	v_mul_f32_e64 v3, 0x2f800000, |v1|
	v_ashrrev_i32_e32 v12, 31, v1
	s_delay_alu instid0(VALU_DEP_2) | instskip(SKIP_1) | instid1(VALU_DEP_2)
	v_floor_f32_e32 v3, v3
	s_wait_xcnt 0x1
	v_mov_b32_e32 v13, v12
	s_delay_alu instid0(VALU_DEP_2) | instskip(SKIP_1) | instid1(VALU_DEP_2)
	v_fma_f32 v5, 0xcf800000, v3, |v1|
	v_cvt_u32_f32_e32 v1, v3
	v_cvt_u32_f32_e32 v3, v5
	s_delay_alu instid0(VALU_DEP_2) | instskip(NEXT) | instid1(VALU_DEP_2)
	v_xor_b32_e32 v27, v1, v12
	v_xor_b32_e32 v26, v3, v12
	s_delay_alu instid0(VALU_DEP_1)
	v_sub_nc_u64_e32 v[12:13], v[26:27], v[12:13]
	s_branch .LBB55_1799
.LBB55_1794:
	s_mov_b32 s15, -1
	s_branch .LBB55_1798
.LBB55_1795:
	s_and_not1_saveexec_b32 s15, s15
	s_cbranch_execz .LBB55_1776
.LBB55_1796:
	v_cmp_ne_u16_e32 vcc_lo, 0, v1
	s_and_not1_b32 s16, s16, exec_lo
	s_and_b32 s17, vcc_lo, exec_lo
	s_delay_alu instid0(SALU_CYCLE_1)
	s_or_b32 s16, s16, s17
	s_or_b32 exec_lo, exec_lo, s15
	v_mov_b64_e32 v[12:13], 0
	s_and_saveexec_b32 s15, s16
	s_cbranch_execnz .LBB55_1777
	s_branch .LBB55_1778
.LBB55_1797:
	s_mov_b32 s14, -1
.LBB55_1798:
                                        ; implicit-def: $vgpr12_vgpr13
.LBB55_1799:
	s_and_b32 vcc_lo, exec_lo, s15
	s_mov_b32 s15, 0
	s_cbranch_vccz .LBB55_1801
; %bb.1800:
	s_cmp_lg_u32 s13, 11
	s_mov_b32 s15, -1
	s_cselect_b32 s14, -1, 0
.LBB55_1801:
	s_delay_alu instid0(SALU_CYCLE_1)
	s_and_b32 vcc_lo, exec_lo, s14
	s_cbranch_vccnz .LBB55_1864
; %bb.1802:
	s_and_not1_b32 vcc_lo, exec_lo, s15
	s_cbranch_vccnz .LBB55_1804
.LBB55_1803:
	global_load_u8 v1, v[24:25], off
	s_mov_b32 s13, 0
	s_mov_b32 s16, -1
	s_wait_loadcnt 0x1
	s_wait_xcnt 0x1
	v_mov_b32_e32 v13, s13
	s_wait_loadcnt 0x0
	v_cmp_ne_u16_e32 vcc_lo, 0, v1
	v_cndmask_b32_e64 v12, 0, 1, vcc_lo
.LBB55_1804:
	s_branch .LBB55_1734
.LBB55_1805:
	s_and_b32 s13, 0xffff, s12
	s_delay_alu instid0(SALU_CYCLE_1)
	s_cmp_lt_i32 s13, 5
	s_cbranch_scc1 .LBB55_1810
; %bb.1806:
	s_cmp_lt_i32 s13, 8
	s_cbranch_scc1 .LBB55_1811
; %bb.1807:
	;; [unrolled: 3-line block ×3, first 2 shown]
	s_cmp_gt_i32 s13, 9
	s_cbranch_scc0 .LBB55_1813
; %bb.1809:
	s_wait_loadcnt 0x0
	global_load_b64 v[12:13], v[24:25], off
	s_mov_b32 s14, 0
	s_wait_loadcnt 0x0
	v_trunc_f64_e32 v[12:13], v[12:13]
	s_delay_alu instid0(VALU_DEP_1) | instskip(NEXT) | instid1(VALU_DEP_1)
	v_ldexp_f64 v[26:27], v[12:13], 0xffffffe0
	v_floor_f64_e32 v[26:27], v[26:27]
	s_delay_alu instid0(VALU_DEP_1) | instskip(SKIP_1) | instid1(VALU_DEP_2)
	v_fmamk_f64 v[28:29], v[26:27], 0xc1f00000, v[12:13]
	v_cvt_i32_f64_e32 v13, v[26:27]
	v_cvt_u32_f64_e32 v12, v[28:29]
	s_branch .LBB55_1814
.LBB55_1810:
                                        ; implicit-def: $vgpr12_vgpr13
	s_branch .LBB55_1832
.LBB55_1811:
	s_mov_b32 s14, -1
                                        ; implicit-def: $vgpr12_vgpr13
	s_branch .LBB55_1820
.LBB55_1812:
	s_mov_b32 s14, -1
                                        ; implicit-def: $vgpr12_vgpr13
	s_branch .LBB55_1817
.LBB55_1813:
	s_mov_b32 s14, -1
                                        ; implicit-def: $vgpr12_vgpr13
.LBB55_1814:
	s_delay_alu instid0(SALU_CYCLE_1)
	s_and_not1_b32 vcc_lo, exec_lo, s14
	s_cbranch_vccnz .LBB55_1816
; %bb.1815:
	global_load_b32 v1, v[24:25], off
	s_wait_loadcnt 0x0
	v_trunc_f32_e32 v1, v1
	s_delay_alu instid0(VALU_DEP_1) | instskip(SKIP_1) | instid1(VALU_DEP_2)
	v_mul_f32_e64 v3, 0x2f800000, |v1|
	v_ashrrev_i32_e32 v12, 31, v1
	v_floor_f32_e32 v3, v3
	s_delay_alu instid0(VALU_DEP_1) | instskip(SKIP_3) | instid1(VALU_DEP_3)
	v_fma_f32 v5, 0xcf800000, v3, |v1|
	v_cvt_u32_f32_e32 v1, v3
	s_wait_xcnt 0x1
	v_mov_b32_e32 v13, v12
	v_cvt_u32_f32_e32 v3, v5
	s_delay_alu instid0(VALU_DEP_3) | instskip(NEXT) | instid1(VALU_DEP_2)
	v_xor_b32_e32 v27, v1, v12
	v_xor_b32_e32 v26, v3, v12
	s_delay_alu instid0(VALU_DEP_1)
	v_sub_nc_u64_e32 v[12:13], v[26:27], v[12:13]
.LBB55_1816:
	s_mov_b32 s14, 0
.LBB55_1817:
	s_delay_alu instid0(SALU_CYCLE_1)
	s_and_not1_b32 vcc_lo, exec_lo, s14
	s_cbranch_vccnz .LBB55_1819
; %bb.1818:
	global_load_b32 v1, v[24:25], off
	s_wait_loadcnt 0x0
	v_cvt_f32_f16_e32 v1, v1
	s_delay_alu instid0(VALU_DEP_1) | instskip(SKIP_1) | instid1(VALU_DEP_1)
	v_cvt_i32_f32_e32 v12, v1
	s_wait_xcnt 0x1
	v_ashrrev_i32_e32 v13, 31, v12
.LBB55_1819:
	s_mov_b32 s14, 0
.LBB55_1820:
	s_delay_alu instid0(SALU_CYCLE_1)
	s_and_not1_b32 vcc_lo, exec_lo, s14
	s_cbranch_vccnz .LBB55_1831
; %bb.1821:
	s_cmp_lt_i32 s13, 6
	s_cbranch_scc1 .LBB55_1824
; %bb.1822:
	s_cmp_gt_i32 s13, 6
	s_cbranch_scc0 .LBB55_1825
; %bb.1823:
	s_wait_loadcnt 0x0
	global_load_b64 v[12:13], v[24:25], off
	s_mov_b32 s14, 0
	s_wait_loadcnt 0x0
	v_trunc_f64_e32 v[12:13], v[12:13]
	s_delay_alu instid0(VALU_DEP_1) | instskip(NEXT) | instid1(VALU_DEP_1)
	v_ldexp_f64 v[26:27], v[12:13], 0xffffffe0
	v_floor_f64_e32 v[26:27], v[26:27]
	s_delay_alu instid0(VALU_DEP_1) | instskip(SKIP_1) | instid1(VALU_DEP_2)
	v_fmamk_f64 v[28:29], v[26:27], 0xc1f00000, v[12:13]
	v_cvt_i32_f64_e32 v13, v[26:27]
	v_cvt_u32_f64_e32 v12, v[28:29]
	s_branch .LBB55_1826
.LBB55_1824:
	s_mov_b32 s14, -1
                                        ; implicit-def: $vgpr12_vgpr13
	s_branch .LBB55_1829
.LBB55_1825:
	s_mov_b32 s14, -1
                                        ; implicit-def: $vgpr12_vgpr13
.LBB55_1826:
	s_delay_alu instid0(SALU_CYCLE_1)
	s_and_not1_b32 vcc_lo, exec_lo, s14
	s_cbranch_vccnz .LBB55_1828
; %bb.1827:
	global_load_b32 v1, v[24:25], off
	s_wait_loadcnt 0x0
	v_trunc_f32_e32 v1, v1
	s_delay_alu instid0(VALU_DEP_1) | instskip(SKIP_1) | instid1(VALU_DEP_2)
	v_mul_f32_e64 v3, 0x2f800000, |v1|
	v_ashrrev_i32_e32 v12, 31, v1
	v_floor_f32_e32 v3, v3
	s_delay_alu instid0(VALU_DEP_1) | instskip(SKIP_3) | instid1(VALU_DEP_3)
	v_fma_f32 v5, 0xcf800000, v3, |v1|
	v_cvt_u32_f32_e32 v1, v3
	s_wait_xcnt 0x1
	v_mov_b32_e32 v13, v12
	v_cvt_u32_f32_e32 v3, v5
	s_delay_alu instid0(VALU_DEP_3) | instskip(NEXT) | instid1(VALU_DEP_2)
	v_xor_b32_e32 v27, v1, v12
	v_xor_b32_e32 v26, v3, v12
	s_delay_alu instid0(VALU_DEP_1)
	v_sub_nc_u64_e32 v[12:13], v[26:27], v[12:13]
.LBB55_1828:
	s_mov_b32 s14, 0
.LBB55_1829:
	s_delay_alu instid0(SALU_CYCLE_1)
	s_and_not1_b32 vcc_lo, exec_lo, s14
	s_cbranch_vccnz .LBB55_1831
; %bb.1830:
	global_load_u16 v1, v[24:25], off
	s_wait_loadcnt 0x0
	v_cvt_f32_f16_e32 v1, v1
	s_delay_alu instid0(VALU_DEP_1) | instskip(SKIP_1) | instid1(VALU_DEP_1)
	v_cvt_i32_f32_e32 v12, v1
	s_wait_xcnt 0x1
	v_ashrrev_i32_e32 v13, 31, v12
.LBB55_1831:
	s_cbranch_execnz .LBB55_1851
.LBB55_1832:
	s_cmp_lt_i32 s13, 2
	s_cbranch_scc1 .LBB55_1836
; %bb.1833:
	s_cmp_lt_i32 s13, 3
	s_cbranch_scc1 .LBB55_1837
; %bb.1834:
	s_cmp_gt_i32 s13, 3
	s_cbranch_scc0 .LBB55_1838
; %bb.1835:
	s_wait_loadcnt 0x0
	global_load_b64 v[12:13], v[24:25], off
	s_mov_b32 s14, 0
	s_branch .LBB55_1839
.LBB55_1836:
	s_mov_b32 s14, -1
                                        ; implicit-def: $vgpr12_vgpr13
	s_branch .LBB55_1845
.LBB55_1837:
	s_mov_b32 s14, -1
                                        ; implicit-def: $vgpr12_vgpr13
	s_branch .LBB55_1842
.LBB55_1838:
	s_mov_b32 s14, -1
                                        ; implicit-def: $vgpr12_vgpr13
.LBB55_1839:
	s_delay_alu instid0(SALU_CYCLE_1)
	s_and_not1_b32 vcc_lo, exec_lo, s14
	s_cbranch_vccnz .LBB55_1841
; %bb.1840:
	s_wait_loadcnt 0x0
	global_load_b32 v12, v[24:25], off
	s_wait_loadcnt 0x0
	s_wait_xcnt 0x1
	v_ashrrev_i32_e32 v13, 31, v12
.LBB55_1841:
	s_mov_b32 s14, 0
.LBB55_1842:
	s_delay_alu instid0(SALU_CYCLE_1)
	s_and_not1_b32 vcc_lo, exec_lo, s14
	s_cbranch_vccnz .LBB55_1844
; %bb.1843:
	global_load_u16 v1, v[24:25], off
	s_wait_loadcnt 0x0
	v_bfe_i32 v12, v1, 0, 16
	s_wait_xcnt 0x1
	s_delay_alu instid0(VALU_DEP_1)
	v_ashrrev_i32_e32 v13, 31, v12
.LBB55_1844:
	s_mov_b32 s14, 0
.LBB55_1845:
	s_delay_alu instid0(SALU_CYCLE_1)
	s_and_not1_b32 vcc_lo, exec_lo, s14
	s_cbranch_vccnz .LBB55_1851
; %bb.1846:
	s_cmp_gt_i32 s13, 0
	s_mov_b32 s13, 0
	s_cbranch_scc0 .LBB55_1848
; %bb.1847:
	global_load_i8 v1, v[24:25], off
	s_wait_loadcnt 0x0
	v_bfe_i32 v12, v1, 0, 16
	s_wait_xcnt 0x1
	s_delay_alu instid0(VALU_DEP_1)
	v_ashrrev_i32_e32 v13, 31, v12
	s_branch .LBB55_1849
.LBB55_1848:
	s_mov_b32 s13, -1
                                        ; implicit-def: $vgpr12_vgpr13
.LBB55_1849:
	s_delay_alu instid0(SALU_CYCLE_1)
	s_and_not1_b32 vcc_lo, exec_lo, s13
	s_cbranch_vccnz .LBB55_1851
; %bb.1850:
	global_load_u8 v1, v[24:25], off
	s_mov_b32 s13, 0
	s_wait_loadcnt 0x1
	s_wait_xcnt 0x1
	v_mov_b32_e32 v13, s13
	s_wait_loadcnt 0x0
	v_and_b32_e32 v12, 0xffff, v1
.LBB55_1851:
.LBB55_1852:
	v_mov_b32_e32 v15, 0
	s_and_b32 s11, 0xffff, s11
	s_delay_alu instid0(SALU_CYCLE_1) | instskip(SKIP_1) | instid1(VALU_DEP_1)
	s_cmp_lt_i32 s11, 11
	s_wait_xcnt 0x0
	v_add_nc_u64_e32 v[24:25], s[6:7], v[14:15]
	s_cbranch_scc1 .LBB55_1859
; %bb.1853:
	s_cmp_gt_i32 s11, 25
	s_mov_b32 s14, 0
	s_cbranch_scc0 .LBB55_1861
; %bb.1854:
	s_cmp_gt_i32 s11, 28
	s_cbranch_scc0 .LBB55_1862
; %bb.1855:
	s_cmp_gt_i32 s11, 43
	;; [unrolled: 3-line block ×3, first 2 shown]
	s_cbranch_scc0 .LBB55_1865
; %bb.1857:
	s_cmp_eq_u32 s11, 46
	s_mov_b32 s16, 0
	s_cbranch_scc0 .LBB55_1866
; %bb.1858:
	global_load_b32 v1, v[24:25], off
	s_mov_b32 s13, 0
	s_mov_b32 s15, -1
	s_wait_loadcnt 0x0
	v_lshlrev_b32_e32 v1, 16, v1
	s_delay_alu instid0(VALU_DEP_1) | instskip(NEXT) | instid1(VALU_DEP_1)
	v_trunc_f32_e32 v1, v1
	v_mul_f32_e64 v3, 0x2f800000, |v1|
	v_ashrrev_i32_e32 v14, 31, v1
	s_delay_alu instid0(VALU_DEP_2) | instskip(NEXT) | instid1(VALU_DEP_2)
	v_floor_f32_e32 v3, v3
	v_mov_b32_e32 v15, v14
	s_delay_alu instid0(VALU_DEP_2) | instskip(SKIP_1) | instid1(VALU_DEP_2)
	v_fma_f32 v5, 0xcf800000, v3, |v1|
	v_cvt_u32_f32_e32 v1, v3
	v_cvt_u32_f32_e32 v3, v5
	s_delay_alu instid0(VALU_DEP_2) | instskip(NEXT) | instid1(VALU_DEP_2)
	v_xor_b32_e32 v27, v1, v14
	v_xor_b32_e32 v26, v3, v14
	s_delay_alu instid0(VALU_DEP_1)
	v_sub_nc_u64_e32 v[14:15], v[26:27], v[14:15]
	s_branch .LBB55_1868
.LBB55_1859:
	s_mov_b32 s15, 0
                                        ; implicit-def: $vgpr14_vgpr15
	s_cbranch_execnz .LBB55_1930
.LBB55_1860:
	s_and_not1_b32 vcc_lo, exec_lo, s15
	s_cbranch_vccnz .LBB55_3047
	s_branch .LBB55_1978
.LBB55_1861:
	s_mov_b32 s16, -1
	s_mov_b32 s15, 0
	s_mov_b32 s13, 0
                                        ; implicit-def: $vgpr14_vgpr15
	s_branch .LBB55_1895
.LBB55_1862:
	s_mov_b32 s16, -1
	s_mov_b32 s15, 0
	s_mov_b32 s13, 0
                                        ; implicit-def: $vgpr14_vgpr15
	s_branch .LBB55_1878
.LBB55_1863:
	s_mov_b32 s16, -1
	s_mov_b32 s15, 0
	s_mov_b32 s13, 0
                                        ; implicit-def: $vgpr14_vgpr15
	s_branch .LBB55_1873
.LBB55_1864:
	s_or_b32 s10, s10, exec_lo
	s_trap 2
	s_cbranch_execz .LBB55_1803
	s_branch .LBB55_1804
.LBB55_1865:
	s_mov_b32 s16, -1
	s_mov_b32 s15, 0
	s_mov_b32 s13, 0
	s_branch .LBB55_1867
.LBB55_1866:
	s_mov_b32 s13, -1
	s_mov_b32 s15, 0
.LBB55_1867:
                                        ; implicit-def: $vgpr14_vgpr15
.LBB55_1868:
	s_and_b32 vcc_lo, exec_lo, s16
	s_cbranch_vccz .LBB55_1872
; %bb.1869:
	s_cmp_eq_u32 s11, 44
	s_cbranch_scc0 .LBB55_1871
; %bb.1870:
	global_load_u8 v1, v[24:25], off
	s_mov_b32 s13, 0
	s_mov_b32 s15, -1
	s_wait_loadcnt 0x0
	v_lshlrev_b32_e32 v3, 23, v1
	v_cmp_ne_u32_e32 vcc_lo, 0, v1
	s_delay_alu instid0(VALU_DEP_2) | instskip(NEXT) | instid1(VALU_DEP_1)
	v_trunc_f32_e32 v3, v3
	v_mul_f32_e64 v5, 0x2f800000, |v3|
	v_ashrrev_i32_e32 v14, 31, v3
	s_delay_alu instid0(VALU_DEP_2) | instskip(NEXT) | instid1(VALU_DEP_2)
	v_floor_f32_e32 v5, v5
	v_mov_b32_e32 v15, v14
	s_delay_alu instid0(VALU_DEP_2) | instskip(SKIP_1) | instid1(VALU_DEP_2)
	v_fma_f32 v7, 0xcf800000, v5, |v3|
	v_cvt_u32_f32_e32 v3, v5
	v_cvt_u32_f32_e32 v5, v7
	s_delay_alu instid0(VALU_DEP_2) | instskip(NEXT) | instid1(VALU_DEP_2)
	v_xor_b32_e32 v27, v3, v14
	v_xor_b32_e32 v26, v5, v14
	s_delay_alu instid0(VALU_DEP_1) | instskip(NEXT) | instid1(VALU_DEP_1)
	v_sub_nc_u64_e32 v[14:15], v[26:27], v[14:15]
	v_dual_cndmask_b32 v15, 0, v15 :: v_dual_cndmask_b32 v14, 0, v14
	s_branch .LBB55_1872
.LBB55_1871:
	s_mov_b32 s13, -1
                                        ; implicit-def: $vgpr14_vgpr15
.LBB55_1872:
	s_mov_b32 s16, 0
.LBB55_1873:
	s_delay_alu instid0(SALU_CYCLE_1)
	s_and_b32 vcc_lo, exec_lo, s16
	s_cbranch_vccz .LBB55_1877
; %bb.1874:
	s_cmp_eq_u32 s11, 29
	s_cbranch_scc0 .LBB55_1876
; %bb.1875:
	global_load_b64 v[14:15], v[24:25], off
	s_mov_b32 s13, 0
	s_mov_b32 s15, -1
	s_branch .LBB55_1877
.LBB55_1876:
	s_mov_b32 s13, -1
                                        ; implicit-def: $vgpr14_vgpr15
.LBB55_1877:
	s_mov_b32 s16, 0
.LBB55_1878:
	s_delay_alu instid0(SALU_CYCLE_1)
	s_and_b32 vcc_lo, exec_lo, s16
	s_cbranch_vccz .LBB55_1894
; %bb.1879:
	s_cmp_lt_i32 s11, 27
	s_cbranch_scc1 .LBB55_1882
; %bb.1880:
	s_cmp_gt_i32 s11, 27
	s_cbranch_scc0 .LBB55_1883
; %bb.1881:
	s_wait_loadcnt 0x0
	global_load_b32 v14, v[24:25], off
	v_mov_b32_e32 v15, 0
	s_mov_b32 s15, 0
	s_branch .LBB55_1884
.LBB55_1882:
	s_mov_b32 s15, -1
                                        ; implicit-def: $vgpr14_vgpr15
	s_branch .LBB55_1887
.LBB55_1883:
	s_mov_b32 s15, -1
                                        ; implicit-def: $vgpr14_vgpr15
.LBB55_1884:
	s_delay_alu instid0(SALU_CYCLE_1)
	s_and_not1_b32 vcc_lo, exec_lo, s15
	s_cbranch_vccnz .LBB55_1886
; %bb.1885:
	global_load_u16 v1, v[24:25], off
	s_mov_b32 s15, 0
	s_wait_loadcnt 0x1
	v_mov_b32_e32 v15, s15
	s_wait_loadcnt 0x0
	v_and_b32_e32 v14, 0xffff, v1
.LBB55_1886:
	s_mov_b32 s15, 0
.LBB55_1887:
	s_delay_alu instid0(SALU_CYCLE_1)
	s_and_not1_b32 vcc_lo, exec_lo, s15
	s_cbranch_vccnz .LBB55_1893
; %bb.1888:
	global_load_u8 v1, v[24:25], off
	s_mov_b32 s16, 0
	s_mov_b32 s15, exec_lo
	s_wait_loadcnt 0x0
	v_cmpx_lt_i16_e32 0x7f, v1
	s_xor_b32 s15, exec_lo, s15
	s_cbranch_execz .LBB55_1905
; %bb.1889:
	v_cmp_ne_u16_e32 vcc_lo, 0x80, v1
	s_and_b32 s16, vcc_lo, exec_lo
	s_and_not1_saveexec_b32 s15, s15
	s_cbranch_execnz .LBB55_1906
.LBB55_1890:
	s_or_b32 exec_lo, exec_lo, s15
	v_mov_b64_e32 v[14:15], 0
	s_and_saveexec_b32 s15, s16
	s_cbranch_execz .LBB55_1892
.LBB55_1891:
	v_and_b32_e32 v3, 0xffff, v1
	s_delay_alu instid0(VALU_DEP_1) | instskip(SKIP_1) | instid1(VALU_DEP_2)
	v_dual_lshlrev_b32 v1, 24, v1 :: v_dual_bitop2_b32 v5, 7, v3 bitop3:0x40
	v_bfe_u32 v14, v3, 3, 4
	v_and_b32_e32 v1, 0x80000000, v1
	s_delay_alu instid0(VALU_DEP_3) | instskip(NEXT) | instid1(VALU_DEP_3)
	v_clz_i32_u32_e32 v7, v5
	v_cmp_eq_u32_e32 vcc_lo, 0, v14
	s_delay_alu instid0(VALU_DEP_2) | instskip(NEXT) | instid1(VALU_DEP_1)
	v_min_u32_e32 v7, 32, v7
	v_subrev_nc_u32_e32 v11, 28, v7
	v_sub_nc_u32_e32 v7, 29, v7
	s_delay_alu instid0(VALU_DEP_2) | instskip(NEXT) | instid1(VALU_DEP_2)
	v_lshlrev_b32_e32 v3, v11, v3
	v_cndmask_b32_e32 v7, v14, v7, vcc_lo
	s_delay_alu instid0(VALU_DEP_2) | instskip(NEXT) | instid1(VALU_DEP_1)
	v_and_b32_e32 v3, 7, v3
	v_cndmask_b32_e32 v3, v5, v3, vcc_lo
	s_delay_alu instid0(VALU_DEP_3) | instskip(NEXT) | instid1(VALU_DEP_2)
	v_lshl_add_u32 v5, v7, 23, 0x3b800000
	v_lshlrev_b32_e32 v3, 20, v3
	s_delay_alu instid0(VALU_DEP_1) | instskip(NEXT) | instid1(VALU_DEP_1)
	v_or3_b32 v1, v1, v5, v3
	v_trunc_f32_e32 v1, v1
	s_delay_alu instid0(VALU_DEP_1) | instskip(SKIP_1) | instid1(VALU_DEP_2)
	v_mul_f32_e64 v3, 0x2f800000, |v1|
	v_ashrrev_i32_e32 v14, 31, v1
	v_floor_f32_e32 v3, v3
	s_delay_alu instid0(VALU_DEP_2) | instskip(NEXT) | instid1(VALU_DEP_2)
	v_mov_b32_e32 v15, v14
	v_fma_f32 v5, 0xcf800000, v3, |v1|
	v_cvt_u32_f32_e32 v1, v3
	s_delay_alu instid0(VALU_DEP_2) | instskip(NEXT) | instid1(VALU_DEP_2)
	v_cvt_u32_f32_e32 v3, v5
	v_xor_b32_e32 v27, v1, v14
	s_delay_alu instid0(VALU_DEP_2) | instskip(NEXT) | instid1(VALU_DEP_1)
	v_xor_b32_e32 v26, v3, v14
	v_sub_nc_u64_e32 v[14:15], v[26:27], v[14:15]
.LBB55_1892:
	s_or_b32 exec_lo, exec_lo, s15
.LBB55_1893:
	s_mov_b32 s15, -1
.LBB55_1894:
	s_mov_b32 s16, 0
.LBB55_1895:
	s_delay_alu instid0(SALU_CYCLE_1)
	s_and_b32 vcc_lo, exec_lo, s16
	s_cbranch_vccz .LBB55_1926
; %bb.1896:
	s_cmp_gt_i32 s11, 22
	s_cbranch_scc0 .LBB55_1904
; %bb.1897:
	s_cmp_lt_i32 s11, 24
	s_cbranch_scc1 .LBB55_1907
; %bb.1898:
	s_cmp_gt_i32 s11, 24
	s_cbranch_scc0 .LBB55_1908
; %bb.1899:
	global_load_u8 v1, v[24:25], off
	s_mov_b32 s15, 0
	s_mov_b32 s14, exec_lo
	s_wait_loadcnt 0x0
	v_cmpx_lt_i16_e32 0x7f, v1
	s_xor_b32 s14, exec_lo, s14
	s_cbranch_execz .LBB55_1920
; %bb.1900:
	v_cmp_ne_u16_e32 vcc_lo, 0x80, v1
	s_and_b32 s15, vcc_lo, exec_lo
	s_and_not1_saveexec_b32 s14, s14
	s_cbranch_execnz .LBB55_1921
.LBB55_1901:
	s_or_b32 exec_lo, exec_lo, s14
	v_mov_b64_e32 v[14:15], 0
	s_and_saveexec_b32 s14, s15
	s_cbranch_execz .LBB55_1903
.LBB55_1902:
	v_and_b32_e32 v3, 0xffff, v1
	s_delay_alu instid0(VALU_DEP_1) | instskip(SKIP_1) | instid1(VALU_DEP_2)
	v_dual_lshlrev_b32 v1, 24, v1 :: v_dual_bitop2_b32 v5, 3, v3 bitop3:0x40
	v_bfe_u32 v14, v3, 2, 5
	v_and_b32_e32 v1, 0x80000000, v1
	s_delay_alu instid0(VALU_DEP_3) | instskip(NEXT) | instid1(VALU_DEP_3)
	v_clz_i32_u32_e32 v7, v5
	v_cmp_eq_u32_e32 vcc_lo, 0, v14
	s_delay_alu instid0(VALU_DEP_2) | instskip(NEXT) | instid1(VALU_DEP_1)
	v_min_u32_e32 v7, 32, v7
	v_subrev_nc_u32_e32 v11, 29, v7
	v_sub_nc_u32_e32 v7, 30, v7
	s_delay_alu instid0(VALU_DEP_2) | instskip(NEXT) | instid1(VALU_DEP_2)
	v_lshlrev_b32_e32 v3, v11, v3
	v_cndmask_b32_e32 v7, v14, v7, vcc_lo
	s_delay_alu instid0(VALU_DEP_2) | instskip(NEXT) | instid1(VALU_DEP_1)
	v_and_b32_e32 v3, 3, v3
	v_cndmask_b32_e32 v3, v5, v3, vcc_lo
	s_delay_alu instid0(VALU_DEP_3) | instskip(NEXT) | instid1(VALU_DEP_2)
	v_lshl_add_u32 v5, v7, 23, 0x37800000
	v_lshlrev_b32_e32 v3, 21, v3
	s_delay_alu instid0(VALU_DEP_1) | instskip(NEXT) | instid1(VALU_DEP_1)
	v_or3_b32 v1, v1, v5, v3
	v_trunc_f32_e32 v1, v1
	s_delay_alu instid0(VALU_DEP_1) | instskip(SKIP_1) | instid1(VALU_DEP_2)
	v_mul_f32_e64 v3, 0x2f800000, |v1|
	v_ashrrev_i32_e32 v14, 31, v1
	v_floor_f32_e32 v3, v3
	s_delay_alu instid0(VALU_DEP_2) | instskip(NEXT) | instid1(VALU_DEP_2)
	v_mov_b32_e32 v15, v14
	v_fma_f32 v5, 0xcf800000, v3, |v1|
	v_cvt_u32_f32_e32 v1, v3
	s_delay_alu instid0(VALU_DEP_2) | instskip(NEXT) | instid1(VALU_DEP_2)
	v_cvt_u32_f32_e32 v3, v5
	v_xor_b32_e32 v27, v1, v14
	s_delay_alu instid0(VALU_DEP_2) | instskip(NEXT) | instid1(VALU_DEP_1)
	v_xor_b32_e32 v26, v3, v14
	v_sub_nc_u64_e32 v[14:15], v[26:27], v[14:15]
.LBB55_1903:
	s_or_b32 exec_lo, exec_lo, s14
	s_mov_b32 s14, 0
	s_branch .LBB55_1909
.LBB55_1904:
	s_mov_b32 s14, -1
                                        ; implicit-def: $vgpr14_vgpr15
	s_branch .LBB55_1915
.LBB55_1905:
	s_and_not1_saveexec_b32 s15, s15
	s_cbranch_execz .LBB55_1890
.LBB55_1906:
	v_cmp_ne_u16_e32 vcc_lo, 0, v1
	s_and_not1_b32 s16, s16, exec_lo
	s_and_b32 s17, vcc_lo, exec_lo
	s_delay_alu instid0(SALU_CYCLE_1)
	s_or_b32 s16, s16, s17
	s_or_b32 exec_lo, exec_lo, s15
	v_mov_b64_e32 v[14:15], 0
	s_and_saveexec_b32 s15, s16
	s_cbranch_execnz .LBB55_1891
	s_branch .LBB55_1892
.LBB55_1907:
	s_mov_b32 s14, -1
                                        ; implicit-def: $vgpr14_vgpr15
	s_branch .LBB55_1912
.LBB55_1908:
	s_mov_b32 s14, -1
                                        ; implicit-def: $vgpr14_vgpr15
.LBB55_1909:
	s_delay_alu instid0(SALU_CYCLE_1)
	s_and_b32 vcc_lo, exec_lo, s14
	s_cbranch_vccz .LBB55_1911
; %bb.1910:
	global_load_u8 v1, v[24:25], off
	s_wait_loadcnt 0x0
	v_lshlrev_b32_e32 v1, 24, v1
	s_delay_alu instid0(VALU_DEP_1) | instskip(NEXT) | instid1(VALU_DEP_1)
	v_and_b32_e32 v3, 0x7f000000, v1
	v_clz_i32_u32_e32 v5, v3
	v_add_nc_u32_e32 v11, 0x1000000, v3
	v_cmp_ne_u32_e32 vcc_lo, 0, v3
	s_delay_alu instid0(VALU_DEP_3) | instskip(NEXT) | instid1(VALU_DEP_1)
	v_min_u32_e32 v5, 32, v5
	v_sub_nc_u32_e64 v5, v5, 4 clamp
	s_delay_alu instid0(VALU_DEP_1) | instskip(NEXT) | instid1(VALU_DEP_1)
	v_dual_lshlrev_b32 v7, v5, v3 :: v_dual_lshlrev_b32 v5, 23, v5
	v_lshrrev_b32_e32 v7, 4, v7
	s_delay_alu instid0(VALU_DEP_1) | instskip(NEXT) | instid1(VALU_DEP_1)
	v_dual_sub_nc_u32 v5, v7, v5 :: v_dual_ashrrev_i32 v7, 8, v11
	v_add_nc_u32_e32 v5, 0x3c000000, v5
	s_delay_alu instid0(VALU_DEP_1) | instskip(NEXT) | instid1(VALU_DEP_1)
	v_and_or_b32 v5, 0x7f800000, v7, v5
	v_cndmask_b32_e32 v3, 0, v5, vcc_lo
	s_delay_alu instid0(VALU_DEP_1) | instskip(NEXT) | instid1(VALU_DEP_1)
	v_and_or_b32 v1, 0x80000000, v1, v3
	v_trunc_f32_e32 v1, v1
	s_delay_alu instid0(VALU_DEP_1) | instskip(SKIP_1) | instid1(VALU_DEP_2)
	v_mul_f32_e64 v3, 0x2f800000, |v1|
	v_ashrrev_i32_e32 v14, 31, v1
	v_floor_f32_e32 v3, v3
	s_delay_alu instid0(VALU_DEP_2) | instskip(NEXT) | instid1(VALU_DEP_2)
	v_mov_b32_e32 v15, v14
	v_fma_f32 v5, 0xcf800000, v3, |v1|
	v_cvt_u32_f32_e32 v1, v3
	s_delay_alu instid0(VALU_DEP_2) | instskip(NEXT) | instid1(VALU_DEP_2)
	v_cvt_u32_f32_e32 v3, v5
	v_xor_b32_e32 v27, v1, v14
	s_delay_alu instid0(VALU_DEP_2) | instskip(NEXT) | instid1(VALU_DEP_1)
	v_xor_b32_e32 v26, v3, v14
	v_sub_nc_u64_e32 v[14:15], v[26:27], v[14:15]
.LBB55_1911:
	s_mov_b32 s14, 0
.LBB55_1912:
	s_delay_alu instid0(SALU_CYCLE_1)
	s_and_not1_b32 vcc_lo, exec_lo, s14
	s_cbranch_vccnz .LBB55_1914
; %bb.1913:
	global_load_u8 v1, v[24:25], off
	s_wait_loadcnt 0x0
	v_lshlrev_b32_e32 v3, 25, v1
	v_lshlrev_b16 v1, 8, v1
	s_delay_alu instid0(VALU_DEP_1) | instskip(SKIP_1) | instid1(VALU_DEP_2)
	v_and_or_b32 v7, 0x7f00, v1, 0.5
	v_bfe_i32 v1, v1, 0, 16
	v_add_f32_e32 v7, -0.5, v7
	v_lshrrev_b32_e32 v5, 4, v3
	v_cmp_gt_u32_e32 vcc_lo, 0x8000000, v3
	s_delay_alu instid0(VALU_DEP_2) | instskip(NEXT) | instid1(VALU_DEP_1)
	v_or_b32_e32 v5, 0x70000000, v5
	v_mul_f32_e32 v5, 0x7800000, v5
	s_delay_alu instid0(VALU_DEP_1) | instskip(NEXT) | instid1(VALU_DEP_1)
	v_cndmask_b32_e32 v3, v5, v7, vcc_lo
	v_and_or_b32 v1, 0x80000000, v1, v3
	s_delay_alu instid0(VALU_DEP_1) | instskip(NEXT) | instid1(VALU_DEP_1)
	v_trunc_f32_e32 v1, v1
	v_mul_f32_e64 v3, 0x2f800000, |v1|
	v_ashrrev_i32_e32 v14, 31, v1
	s_delay_alu instid0(VALU_DEP_2) | instskip(NEXT) | instid1(VALU_DEP_2)
	v_floor_f32_e32 v3, v3
	v_mov_b32_e32 v15, v14
	s_delay_alu instid0(VALU_DEP_2) | instskip(SKIP_1) | instid1(VALU_DEP_2)
	v_fma_f32 v5, 0xcf800000, v3, |v1|
	v_cvt_u32_f32_e32 v1, v3
	v_cvt_u32_f32_e32 v3, v5
	s_delay_alu instid0(VALU_DEP_2) | instskip(NEXT) | instid1(VALU_DEP_2)
	v_xor_b32_e32 v27, v1, v14
	v_xor_b32_e32 v26, v3, v14
	s_delay_alu instid0(VALU_DEP_1)
	v_sub_nc_u64_e32 v[14:15], v[26:27], v[14:15]
.LBB55_1914:
	s_mov_b32 s14, 0
	s_mov_b32 s15, -1
.LBB55_1915:
	s_and_not1_b32 vcc_lo, exec_lo, s14
	s_mov_b32 s14, 0
	s_cbranch_vccnz .LBB55_1926
; %bb.1916:
	s_cmp_gt_i32 s11, 14
	s_cbranch_scc0 .LBB55_1919
; %bb.1917:
	s_cmp_eq_u32 s11, 15
	s_cbranch_scc0 .LBB55_1922
; %bb.1918:
	global_load_u16 v1, v[24:25], off
	s_mov_b32 s13, 0
	s_mov_b32 s15, -1
	s_wait_loadcnt 0x0
	v_lshlrev_b32_e32 v1, 16, v1
	s_delay_alu instid0(VALU_DEP_1) | instskip(NEXT) | instid1(VALU_DEP_1)
	v_trunc_f32_e32 v1, v1
	v_mul_f32_e64 v3, 0x2f800000, |v1|
	v_ashrrev_i32_e32 v14, 31, v1
	s_delay_alu instid0(VALU_DEP_2) | instskip(NEXT) | instid1(VALU_DEP_2)
	v_floor_f32_e32 v3, v3
	v_mov_b32_e32 v15, v14
	s_delay_alu instid0(VALU_DEP_2) | instskip(SKIP_1) | instid1(VALU_DEP_2)
	v_fma_f32 v5, 0xcf800000, v3, |v1|
	v_cvt_u32_f32_e32 v1, v3
	v_cvt_u32_f32_e32 v3, v5
	s_delay_alu instid0(VALU_DEP_2) | instskip(NEXT) | instid1(VALU_DEP_2)
	v_xor_b32_e32 v27, v1, v14
	v_xor_b32_e32 v26, v3, v14
	s_delay_alu instid0(VALU_DEP_1)
	v_sub_nc_u64_e32 v[14:15], v[26:27], v[14:15]
	s_branch .LBB55_1924
.LBB55_1919:
	s_mov_b32 s14, -1
	s_branch .LBB55_1923
.LBB55_1920:
	s_and_not1_saveexec_b32 s14, s14
	s_cbranch_execz .LBB55_1901
.LBB55_1921:
	v_cmp_ne_u16_e32 vcc_lo, 0, v1
	s_and_not1_b32 s15, s15, exec_lo
	s_and_b32 s16, vcc_lo, exec_lo
	s_delay_alu instid0(SALU_CYCLE_1)
	s_or_b32 s15, s15, s16
	s_or_b32 exec_lo, exec_lo, s14
	v_mov_b64_e32 v[14:15], 0
	s_and_saveexec_b32 s14, s15
	s_cbranch_execnz .LBB55_1902
	s_branch .LBB55_1903
.LBB55_1922:
	s_mov_b32 s13, -1
.LBB55_1923:
                                        ; implicit-def: $vgpr14_vgpr15
.LBB55_1924:
	s_and_b32 vcc_lo, exec_lo, s14
	s_mov_b32 s14, 0
	s_cbranch_vccz .LBB55_1926
; %bb.1925:
	s_cmp_lg_u32 s11, 11
	s_mov_b32 s14, -1
	s_cselect_b32 s13, -1, 0
.LBB55_1926:
	s_delay_alu instid0(SALU_CYCLE_1)
	s_and_b32 vcc_lo, exec_lo, s13
	s_cbranch_vccnz .LBB55_1989
; %bb.1927:
	s_and_not1_b32 vcc_lo, exec_lo, s14
	s_cbranch_vccnz .LBB55_1929
.LBB55_1928:
	global_load_u8 v1, v[24:25], off
	s_mov_b32 s13, 0
	s_mov_b32 s15, -1
	s_wait_loadcnt 0x1
	v_mov_b32_e32 v15, s13
	s_wait_loadcnt 0x0
	v_cmp_ne_u16_e32 vcc_lo, 0, v1
	v_cndmask_b32_e64 v14, 0, 1, vcc_lo
.LBB55_1929:
	s_branch .LBB55_1860
.LBB55_1930:
	s_cmp_lt_i32 s11, 5
	s_cbranch_scc1 .LBB55_1935
; %bb.1931:
	s_cmp_lt_i32 s11, 8
	s_cbranch_scc1 .LBB55_1936
; %bb.1932:
	;; [unrolled: 3-line block ×3, first 2 shown]
	s_cmp_gt_i32 s11, 9
	s_cbranch_scc0 .LBB55_1938
; %bb.1934:
	s_wait_loadcnt 0x0
	global_load_b64 v[14:15], v[24:25], off
	s_mov_b32 s13, 0
	s_wait_loadcnt 0x0
	v_trunc_f64_e32 v[14:15], v[14:15]
	s_delay_alu instid0(VALU_DEP_1) | instskip(NEXT) | instid1(VALU_DEP_1)
	v_ldexp_f64 v[26:27], v[14:15], 0xffffffe0
	v_floor_f64_e32 v[26:27], v[26:27]
	s_delay_alu instid0(VALU_DEP_1) | instskip(SKIP_1) | instid1(VALU_DEP_2)
	v_fmamk_f64 v[28:29], v[26:27], 0xc1f00000, v[14:15]
	v_cvt_i32_f64_e32 v15, v[26:27]
	v_cvt_u32_f64_e32 v14, v[28:29]
	s_branch .LBB55_1939
.LBB55_1935:
	s_mov_b32 s13, -1
                                        ; implicit-def: $vgpr14_vgpr15
	s_branch .LBB55_1957
.LBB55_1936:
	s_mov_b32 s13, -1
                                        ; implicit-def: $vgpr14_vgpr15
	s_branch .LBB55_1945
.LBB55_1937:
	s_mov_b32 s13, -1
                                        ; implicit-def: $vgpr14_vgpr15
	s_branch .LBB55_1942
.LBB55_1938:
	s_mov_b32 s13, -1
                                        ; implicit-def: $vgpr14_vgpr15
.LBB55_1939:
	s_delay_alu instid0(SALU_CYCLE_1)
	s_and_not1_b32 vcc_lo, exec_lo, s13
	s_cbranch_vccnz .LBB55_1941
; %bb.1940:
	global_load_b32 v1, v[24:25], off
	s_wait_loadcnt 0x0
	v_trunc_f32_e32 v1, v1
	s_delay_alu instid0(VALU_DEP_1) | instskip(SKIP_1) | instid1(VALU_DEP_2)
	v_mul_f32_e64 v3, 0x2f800000, |v1|
	v_ashrrev_i32_e32 v14, 31, v1
	v_floor_f32_e32 v3, v3
	s_delay_alu instid0(VALU_DEP_1) | instskip(SKIP_1) | instid1(VALU_DEP_4)
	v_fma_f32 v5, 0xcf800000, v3, |v1|
	v_cvt_u32_f32_e32 v1, v3
	v_mov_b32_e32 v15, v14
	s_delay_alu instid0(VALU_DEP_3) | instskip(NEXT) | instid1(VALU_DEP_3)
	v_cvt_u32_f32_e32 v3, v5
	v_xor_b32_e32 v27, v1, v14
	s_delay_alu instid0(VALU_DEP_2) | instskip(NEXT) | instid1(VALU_DEP_1)
	v_xor_b32_e32 v26, v3, v14
	v_sub_nc_u64_e32 v[14:15], v[26:27], v[14:15]
.LBB55_1941:
	s_mov_b32 s13, 0
.LBB55_1942:
	s_delay_alu instid0(SALU_CYCLE_1)
	s_and_not1_b32 vcc_lo, exec_lo, s13
	s_cbranch_vccnz .LBB55_1944
; %bb.1943:
	global_load_b32 v1, v[24:25], off
	s_wait_loadcnt 0x0
	v_cvt_f32_f16_e32 v1, v1
	s_delay_alu instid0(VALU_DEP_1) | instskip(NEXT) | instid1(VALU_DEP_1)
	v_cvt_i32_f32_e32 v14, v1
	v_ashrrev_i32_e32 v15, 31, v14
.LBB55_1944:
	s_mov_b32 s13, 0
.LBB55_1945:
	s_delay_alu instid0(SALU_CYCLE_1)
	s_and_not1_b32 vcc_lo, exec_lo, s13
	s_cbranch_vccnz .LBB55_1956
; %bb.1946:
	s_cmp_lt_i32 s11, 6
	s_cbranch_scc1 .LBB55_1949
; %bb.1947:
	s_cmp_gt_i32 s11, 6
	s_cbranch_scc0 .LBB55_1950
; %bb.1948:
	s_wait_loadcnt 0x0
	global_load_b64 v[14:15], v[24:25], off
	s_mov_b32 s13, 0
	s_wait_loadcnt 0x0
	v_trunc_f64_e32 v[14:15], v[14:15]
	s_delay_alu instid0(VALU_DEP_1) | instskip(NEXT) | instid1(VALU_DEP_1)
	v_ldexp_f64 v[26:27], v[14:15], 0xffffffe0
	v_floor_f64_e32 v[26:27], v[26:27]
	s_delay_alu instid0(VALU_DEP_1) | instskip(SKIP_1) | instid1(VALU_DEP_2)
	v_fmamk_f64 v[28:29], v[26:27], 0xc1f00000, v[14:15]
	v_cvt_i32_f64_e32 v15, v[26:27]
	v_cvt_u32_f64_e32 v14, v[28:29]
	s_branch .LBB55_1951
.LBB55_1949:
	s_mov_b32 s13, -1
                                        ; implicit-def: $vgpr14_vgpr15
	s_branch .LBB55_1954
.LBB55_1950:
	s_mov_b32 s13, -1
                                        ; implicit-def: $vgpr14_vgpr15
.LBB55_1951:
	s_delay_alu instid0(SALU_CYCLE_1)
	s_and_not1_b32 vcc_lo, exec_lo, s13
	s_cbranch_vccnz .LBB55_1953
; %bb.1952:
	global_load_b32 v1, v[24:25], off
	s_wait_loadcnt 0x0
	v_trunc_f32_e32 v1, v1
	s_delay_alu instid0(VALU_DEP_1) | instskip(SKIP_1) | instid1(VALU_DEP_2)
	v_mul_f32_e64 v3, 0x2f800000, |v1|
	v_ashrrev_i32_e32 v14, 31, v1
	v_floor_f32_e32 v3, v3
	s_delay_alu instid0(VALU_DEP_1) | instskip(SKIP_1) | instid1(VALU_DEP_4)
	v_fma_f32 v5, 0xcf800000, v3, |v1|
	v_cvt_u32_f32_e32 v1, v3
	v_mov_b32_e32 v15, v14
	s_delay_alu instid0(VALU_DEP_3) | instskip(NEXT) | instid1(VALU_DEP_3)
	v_cvt_u32_f32_e32 v3, v5
	v_xor_b32_e32 v27, v1, v14
	s_delay_alu instid0(VALU_DEP_2) | instskip(NEXT) | instid1(VALU_DEP_1)
	v_xor_b32_e32 v26, v3, v14
	v_sub_nc_u64_e32 v[14:15], v[26:27], v[14:15]
.LBB55_1953:
	s_mov_b32 s13, 0
.LBB55_1954:
	s_delay_alu instid0(SALU_CYCLE_1)
	s_and_not1_b32 vcc_lo, exec_lo, s13
	s_cbranch_vccnz .LBB55_1956
; %bb.1955:
	global_load_u16 v1, v[24:25], off
	s_wait_loadcnt 0x0
	v_cvt_f32_f16_e32 v1, v1
	s_delay_alu instid0(VALU_DEP_1) | instskip(NEXT) | instid1(VALU_DEP_1)
	v_cvt_i32_f32_e32 v14, v1
	v_ashrrev_i32_e32 v15, 31, v14
.LBB55_1956:
	s_mov_b32 s13, 0
.LBB55_1957:
	s_delay_alu instid0(SALU_CYCLE_1)
	s_and_not1_b32 vcc_lo, exec_lo, s13
	s_cbranch_vccnz .LBB55_1977
; %bb.1958:
	s_cmp_lt_i32 s11, 2
	s_cbranch_scc1 .LBB55_1962
; %bb.1959:
	s_cmp_lt_i32 s11, 3
	s_cbranch_scc1 .LBB55_1963
; %bb.1960:
	s_cmp_gt_i32 s11, 3
	s_cbranch_scc0 .LBB55_1964
; %bb.1961:
	s_wait_loadcnt 0x0
	global_load_b64 v[14:15], v[24:25], off
	s_mov_b32 s13, 0
	s_branch .LBB55_1965
.LBB55_1962:
	s_mov_b32 s13, -1
                                        ; implicit-def: $vgpr14_vgpr15
	s_branch .LBB55_1971
.LBB55_1963:
	s_mov_b32 s13, -1
                                        ; implicit-def: $vgpr14_vgpr15
	s_branch .LBB55_1968
.LBB55_1964:
	s_mov_b32 s13, -1
                                        ; implicit-def: $vgpr14_vgpr15
.LBB55_1965:
	s_delay_alu instid0(SALU_CYCLE_1)
	s_and_not1_b32 vcc_lo, exec_lo, s13
	s_cbranch_vccnz .LBB55_1967
; %bb.1966:
	s_wait_loadcnt 0x0
	global_load_b32 v14, v[24:25], off
	s_wait_loadcnt 0x0
	v_ashrrev_i32_e32 v15, 31, v14
.LBB55_1967:
	s_mov_b32 s13, 0
.LBB55_1968:
	s_delay_alu instid0(SALU_CYCLE_1)
	s_and_not1_b32 vcc_lo, exec_lo, s13
	s_cbranch_vccnz .LBB55_1970
; %bb.1969:
	global_load_u16 v1, v[24:25], off
	s_wait_loadcnt 0x0
	v_bfe_i32 v14, v1, 0, 16
	s_delay_alu instid0(VALU_DEP_1)
	v_ashrrev_i32_e32 v15, 31, v14
.LBB55_1970:
	s_mov_b32 s13, 0
.LBB55_1971:
	s_delay_alu instid0(SALU_CYCLE_1)
	s_and_not1_b32 vcc_lo, exec_lo, s13
	s_cbranch_vccnz .LBB55_1977
; %bb.1972:
	s_cmp_gt_i32 s11, 0
	s_mov_b32 s13, 0
	s_cbranch_scc0 .LBB55_1974
; %bb.1973:
	global_load_i8 v1, v[24:25], off
	s_wait_loadcnt 0x0
	v_bfe_i32 v14, v1, 0, 16
	s_delay_alu instid0(VALU_DEP_1)
	v_ashrrev_i32_e32 v15, 31, v14
	s_branch .LBB55_1975
.LBB55_1974:
	s_mov_b32 s13, -1
                                        ; implicit-def: $vgpr14_vgpr15
.LBB55_1975:
	s_delay_alu instid0(SALU_CYCLE_1)
	s_and_not1_b32 vcc_lo, exec_lo, s13
	s_cbranch_vccnz .LBB55_1977
; %bb.1976:
	global_load_u8 v1, v[24:25], off
	s_mov_b32 s13, 0
	s_wait_loadcnt 0x1
	v_mov_b32_e32 v15, s13
	s_wait_loadcnt 0x0
	v_and_b32_e32 v14, 0xffff, v1
.LBB55_1977:
.LBB55_1978:
	v_mov_b32_e32 v19, 0
	s_and_b32 s12, 0xffff, s12
	s_delay_alu instid0(SALU_CYCLE_1) | instskip(SKIP_1) | instid1(VALU_DEP_1)
	s_cmp_lt_i32 s12, 11
	s_wait_xcnt 0x0
	v_add_nc_u64_e32 v[24:25], s[0:1], v[18:19]
	s_cbranch_scc1 .LBB55_1985
; %bb.1979:
	s_cmp_gt_i32 s12, 25
	s_mov_b32 s14, 0
	s_cbranch_scc0 .LBB55_1986
; %bb.1980:
	s_cmp_gt_i32 s12, 28
	s_cbranch_scc0 .LBB55_1987
; %bb.1981:
	s_cmp_gt_i32 s12, 43
	;; [unrolled: 3-line block ×3, first 2 shown]
	s_cbranch_scc0 .LBB55_1990
; %bb.1983:
	s_cmp_eq_u32 s12, 46
	s_mov_b32 s16, 0
	s_cbranch_scc0 .LBB55_1991
; %bb.1984:
	global_load_b32 v1, v[24:25], off
	s_mov_b32 s13, 0
	s_mov_b32 s15, -1
	s_wait_loadcnt 0x0
	v_lshlrev_b32_e32 v1, 16, v1
	s_delay_alu instid0(VALU_DEP_1) | instskip(NEXT) | instid1(VALU_DEP_1)
	v_trunc_f32_e32 v1, v1
	v_mul_f32_e64 v3, 0x2f800000, |v1|
	v_ashrrev_i32_e32 v18, 31, v1
	s_delay_alu instid0(VALU_DEP_2) | instskip(NEXT) | instid1(VALU_DEP_2)
	v_floor_f32_e32 v3, v3
	v_mov_b32_e32 v19, v18
	s_delay_alu instid0(VALU_DEP_2) | instskip(SKIP_1) | instid1(VALU_DEP_2)
	v_fma_f32 v5, 0xcf800000, v3, |v1|
	v_cvt_u32_f32_e32 v1, v3
	v_cvt_u32_f32_e32 v3, v5
	s_delay_alu instid0(VALU_DEP_2) | instskip(NEXT) | instid1(VALU_DEP_2)
	v_xor_b32_e32 v27, v1, v18
	v_xor_b32_e32 v26, v3, v18
	s_delay_alu instid0(VALU_DEP_1)
	v_sub_nc_u64_e32 v[18:19], v[26:27], v[18:19]
	s_branch .LBB55_1993
.LBB55_1985:
	s_mov_b32 s13, -1
	s_mov_b32 s15, 0
                                        ; implicit-def: $vgpr18_vgpr19
	s_branch .LBB55_2055
.LBB55_1986:
	s_mov_b32 s16, -1
	s_mov_b32 s15, 0
	s_mov_b32 s13, 0
                                        ; implicit-def: $vgpr18_vgpr19
	s_branch .LBB55_2020
.LBB55_1987:
	s_mov_b32 s16, -1
	s_mov_b32 s15, 0
	s_mov_b32 s13, 0
                                        ; implicit-def: $vgpr18_vgpr19
	s_branch .LBB55_2003
.LBB55_1988:
	s_mov_b32 s16, -1
	s_mov_b32 s15, 0
	s_mov_b32 s13, 0
                                        ; implicit-def: $vgpr18_vgpr19
	s_branch .LBB55_1998
.LBB55_1989:
	s_or_b32 s10, s10, exec_lo
	s_trap 2
	s_cbranch_execz .LBB55_1928
	s_branch .LBB55_1929
.LBB55_1990:
	s_mov_b32 s16, -1
	s_mov_b32 s15, 0
	s_mov_b32 s13, 0
	s_branch .LBB55_1992
.LBB55_1991:
	s_mov_b32 s13, -1
	s_mov_b32 s15, 0
.LBB55_1992:
                                        ; implicit-def: $vgpr18_vgpr19
.LBB55_1993:
	s_and_b32 vcc_lo, exec_lo, s16
	s_cbranch_vccz .LBB55_1997
; %bb.1994:
	s_cmp_eq_u32 s12, 44
	s_cbranch_scc0 .LBB55_1996
; %bb.1995:
	global_load_u8 v1, v[24:25], off
	s_mov_b32 s13, 0
	s_mov_b32 s15, -1
	s_wait_loadcnt 0x0
	v_lshlrev_b32_e32 v3, 23, v1
	v_cmp_ne_u32_e32 vcc_lo, 0, v1
	s_delay_alu instid0(VALU_DEP_2) | instskip(NEXT) | instid1(VALU_DEP_1)
	v_trunc_f32_e32 v3, v3
	v_mul_f32_e64 v5, 0x2f800000, |v3|
	v_ashrrev_i32_e32 v18, 31, v3
	s_delay_alu instid0(VALU_DEP_2) | instskip(NEXT) | instid1(VALU_DEP_2)
	v_floor_f32_e32 v5, v5
	v_mov_b32_e32 v19, v18
	s_delay_alu instid0(VALU_DEP_2) | instskip(SKIP_1) | instid1(VALU_DEP_2)
	v_fma_f32 v7, 0xcf800000, v5, |v3|
	v_cvt_u32_f32_e32 v3, v5
	v_cvt_u32_f32_e32 v5, v7
	s_delay_alu instid0(VALU_DEP_2) | instskip(NEXT) | instid1(VALU_DEP_2)
	v_xor_b32_e32 v27, v3, v18
	v_xor_b32_e32 v26, v5, v18
	s_delay_alu instid0(VALU_DEP_1) | instskip(NEXT) | instid1(VALU_DEP_1)
	v_sub_nc_u64_e32 v[18:19], v[26:27], v[18:19]
	v_dual_cndmask_b32 v19, 0, v19 :: v_dual_cndmask_b32 v18, 0, v18
	s_branch .LBB55_1997
.LBB55_1996:
	s_mov_b32 s13, -1
                                        ; implicit-def: $vgpr18_vgpr19
.LBB55_1997:
	s_mov_b32 s16, 0
.LBB55_1998:
	s_delay_alu instid0(SALU_CYCLE_1)
	s_and_b32 vcc_lo, exec_lo, s16
	s_cbranch_vccz .LBB55_2002
; %bb.1999:
	s_cmp_eq_u32 s12, 29
	s_cbranch_scc0 .LBB55_2001
; %bb.2000:
	global_load_b64 v[18:19], v[24:25], off
	s_mov_b32 s13, 0
	s_mov_b32 s15, -1
	s_branch .LBB55_2002
.LBB55_2001:
	s_mov_b32 s13, -1
                                        ; implicit-def: $vgpr18_vgpr19
.LBB55_2002:
	s_mov_b32 s16, 0
.LBB55_2003:
	s_delay_alu instid0(SALU_CYCLE_1)
	s_and_b32 vcc_lo, exec_lo, s16
	s_cbranch_vccz .LBB55_2019
; %bb.2004:
	s_cmp_lt_i32 s12, 27
	s_cbranch_scc1 .LBB55_2007
; %bb.2005:
	s_cmp_gt_i32 s12, 27
	s_cbranch_scc0 .LBB55_2008
; %bb.2006:
	s_wait_loadcnt 0x0
	global_load_b32 v18, v[24:25], off
	v_mov_b32_e32 v19, 0
	s_mov_b32 s15, 0
	s_branch .LBB55_2009
.LBB55_2007:
	s_mov_b32 s15, -1
                                        ; implicit-def: $vgpr18_vgpr19
	s_branch .LBB55_2012
.LBB55_2008:
	s_mov_b32 s15, -1
                                        ; implicit-def: $vgpr18_vgpr19
.LBB55_2009:
	s_delay_alu instid0(SALU_CYCLE_1)
	s_and_not1_b32 vcc_lo, exec_lo, s15
	s_cbranch_vccnz .LBB55_2011
; %bb.2010:
	global_load_u16 v1, v[24:25], off
	s_mov_b32 s15, 0
	s_wait_loadcnt 0x1
	v_mov_b32_e32 v19, s15
	s_wait_loadcnt 0x0
	v_and_b32_e32 v18, 0xffff, v1
.LBB55_2011:
	s_mov_b32 s15, 0
.LBB55_2012:
	s_delay_alu instid0(SALU_CYCLE_1)
	s_and_not1_b32 vcc_lo, exec_lo, s15
	s_cbranch_vccnz .LBB55_2018
; %bb.2013:
	global_load_u8 v1, v[24:25], off
	s_mov_b32 s16, 0
	s_mov_b32 s15, exec_lo
	s_wait_loadcnt 0x0
	v_cmpx_lt_i16_e32 0x7f, v1
	s_xor_b32 s15, exec_lo, s15
	s_cbranch_execz .LBB55_2030
; %bb.2014:
	v_cmp_ne_u16_e32 vcc_lo, 0x80, v1
	s_and_b32 s16, vcc_lo, exec_lo
	s_and_not1_saveexec_b32 s15, s15
	s_cbranch_execnz .LBB55_2031
.LBB55_2015:
	s_or_b32 exec_lo, exec_lo, s15
	v_mov_b64_e32 v[18:19], 0
	s_and_saveexec_b32 s15, s16
	s_cbranch_execz .LBB55_2017
.LBB55_2016:
	v_and_b32_e32 v3, 0xffff, v1
	s_delay_alu instid0(VALU_DEP_1) | instskip(SKIP_1) | instid1(VALU_DEP_2)
	v_dual_lshlrev_b32 v1, 24, v1 :: v_dual_bitop2_b32 v5, 7, v3 bitop3:0x40
	v_bfe_u32 v17, v3, 3, 4
	v_and_b32_e32 v1, 0x80000000, v1
	s_delay_alu instid0(VALU_DEP_3) | instskip(NEXT) | instid1(VALU_DEP_3)
	v_clz_i32_u32_e32 v7, v5
	v_cmp_eq_u32_e32 vcc_lo, 0, v17
	s_delay_alu instid0(VALU_DEP_2) | instskip(NEXT) | instid1(VALU_DEP_1)
	v_min_u32_e32 v7, 32, v7
	v_subrev_nc_u32_e32 v11, 28, v7
	v_sub_nc_u32_e32 v7, 29, v7
	s_delay_alu instid0(VALU_DEP_2) | instskip(NEXT) | instid1(VALU_DEP_2)
	v_lshlrev_b32_e32 v3, v11, v3
	v_cndmask_b32_e32 v7, v17, v7, vcc_lo
	s_delay_alu instid0(VALU_DEP_2) | instskip(NEXT) | instid1(VALU_DEP_1)
	v_and_b32_e32 v3, 7, v3
	v_cndmask_b32_e32 v3, v5, v3, vcc_lo
	s_delay_alu instid0(VALU_DEP_3) | instskip(NEXT) | instid1(VALU_DEP_2)
	v_lshl_add_u32 v5, v7, 23, 0x3b800000
	v_lshlrev_b32_e32 v3, 20, v3
	s_delay_alu instid0(VALU_DEP_1) | instskip(NEXT) | instid1(VALU_DEP_1)
	v_or3_b32 v1, v1, v5, v3
	v_trunc_f32_e32 v1, v1
	s_delay_alu instid0(VALU_DEP_1) | instskip(SKIP_1) | instid1(VALU_DEP_2)
	v_mul_f32_e64 v3, 0x2f800000, |v1|
	v_ashrrev_i32_e32 v18, 31, v1
	v_floor_f32_e32 v3, v3
	s_delay_alu instid0(VALU_DEP_2) | instskip(NEXT) | instid1(VALU_DEP_2)
	v_mov_b32_e32 v19, v18
	v_fma_f32 v5, 0xcf800000, v3, |v1|
	v_cvt_u32_f32_e32 v1, v3
	s_delay_alu instid0(VALU_DEP_2) | instskip(NEXT) | instid1(VALU_DEP_2)
	v_cvt_u32_f32_e32 v3, v5
	v_xor_b32_e32 v27, v1, v18
	s_delay_alu instid0(VALU_DEP_2) | instskip(NEXT) | instid1(VALU_DEP_1)
	v_xor_b32_e32 v26, v3, v18
	v_sub_nc_u64_e32 v[18:19], v[26:27], v[18:19]
.LBB55_2017:
	s_or_b32 exec_lo, exec_lo, s15
.LBB55_2018:
	s_mov_b32 s15, -1
.LBB55_2019:
	s_mov_b32 s16, 0
.LBB55_2020:
	s_delay_alu instid0(SALU_CYCLE_1)
	s_and_b32 vcc_lo, exec_lo, s16
	s_cbranch_vccz .LBB55_2051
; %bb.2021:
	s_cmp_gt_i32 s12, 22
	s_cbranch_scc0 .LBB55_2029
; %bb.2022:
	s_cmp_lt_i32 s12, 24
	s_cbranch_scc1 .LBB55_2032
; %bb.2023:
	s_cmp_gt_i32 s12, 24
	s_cbranch_scc0 .LBB55_2033
; %bb.2024:
	global_load_u8 v1, v[24:25], off
	s_mov_b32 s15, 0
	s_mov_b32 s14, exec_lo
	s_wait_loadcnt 0x0
	v_cmpx_lt_i16_e32 0x7f, v1
	s_xor_b32 s14, exec_lo, s14
	s_cbranch_execz .LBB55_2045
; %bb.2025:
	v_cmp_ne_u16_e32 vcc_lo, 0x80, v1
	s_and_b32 s15, vcc_lo, exec_lo
	s_and_not1_saveexec_b32 s14, s14
	s_cbranch_execnz .LBB55_2046
.LBB55_2026:
	s_or_b32 exec_lo, exec_lo, s14
	v_mov_b64_e32 v[18:19], 0
	s_and_saveexec_b32 s14, s15
	s_cbranch_execz .LBB55_2028
.LBB55_2027:
	v_and_b32_e32 v3, 0xffff, v1
	s_delay_alu instid0(VALU_DEP_1) | instskip(SKIP_1) | instid1(VALU_DEP_2)
	v_dual_lshlrev_b32 v1, 24, v1 :: v_dual_bitop2_b32 v5, 3, v3 bitop3:0x40
	v_bfe_u32 v17, v3, 2, 5
	v_and_b32_e32 v1, 0x80000000, v1
	s_delay_alu instid0(VALU_DEP_3) | instskip(NEXT) | instid1(VALU_DEP_3)
	v_clz_i32_u32_e32 v7, v5
	v_cmp_eq_u32_e32 vcc_lo, 0, v17
	s_delay_alu instid0(VALU_DEP_2) | instskip(NEXT) | instid1(VALU_DEP_1)
	v_min_u32_e32 v7, 32, v7
	v_subrev_nc_u32_e32 v11, 29, v7
	v_sub_nc_u32_e32 v7, 30, v7
	s_delay_alu instid0(VALU_DEP_2) | instskip(NEXT) | instid1(VALU_DEP_2)
	v_lshlrev_b32_e32 v3, v11, v3
	v_cndmask_b32_e32 v7, v17, v7, vcc_lo
	s_delay_alu instid0(VALU_DEP_2) | instskip(NEXT) | instid1(VALU_DEP_1)
	v_and_b32_e32 v3, 3, v3
	v_cndmask_b32_e32 v3, v5, v3, vcc_lo
	s_delay_alu instid0(VALU_DEP_3) | instskip(NEXT) | instid1(VALU_DEP_2)
	v_lshl_add_u32 v5, v7, 23, 0x37800000
	v_lshlrev_b32_e32 v3, 21, v3
	s_delay_alu instid0(VALU_DEP_1) | instskip(NEXT) | instid1(VALU_DEP_1)
	v_or3_b32 v1, v1, v5, v3
	v_trunc_f32_e32 v1, v1
	s_delay_alu instid0(VALU_DEP_1) | instskip(SKIP_1) | instid1(VALU_DEP_2)
	v_mul_f32_e64 v3, 0x2f800000, |v1|
	v_ashrrev_i32_e32 v18, 31, v1
	v_floor_f32_e32 v3, v3
	s_delay_alu instid0(VALU_DEP_2) | instskip(NEXT) | instid1(VALU_DEP_2)
	v_mov_b32_e32 v19, v18
	v_fma_f32 v5, 0xcf800000, v3, |v1|
	v_cvt_u32_f32_e32 v1, v3
	s_delay_alu instid0(VALU_DEP_2) | instskip(NEXT) | instid1(VALU_DEP_2)
	v_cvt_u32_f32_e32 v3, v5
	v_xor_b32_e32 v27, v1, v18
	s_delay_alu instid0(VALU_DEP_2) | instskip(NEXT) | instid1(VALU_DEP_1)
	v_xor_b32_e32 v26, v3, v18
	v_sub_nc_u64_e32 v[18:19], v[26:27], v[18:19]
.LBB55_2028:
	s_or_b32 exec_lo, exec_lo, s14
	s_mov_b32 s14, 0
	s_branch .LBB55_2034
.LBB55_2029:
	s_mov_b32 s14, -1
                                        ; implicit-def: $vgpr18_vgpr19
	s_branch .LBB55_2040
.LBB55_2030:
	s_and_not1_saveexec_b32 s15, s15
	s_cbranch_execz .LBB55_2015
.LBB55_2031:
	v_cmp_ne_u16_e32 vcc_lo, 0, v1
	s_and_not1_b32 s16, s16, exec_lo
	s_and_b32 s17, vcc_lo, exec_lo
	s_delay_alu instid0(SALU_CYCLE_1)
	s_or_b32 s16, s16, s17
	s_or_b32 exec_lo, exec_lo, s15
	v_mov_b64_e32 v[18:19], 0
	s_and_saveexec_b32 s15, s16
	s_cbranch_execnz .LBB55_2016
	s_branch .LBB55_2017
.LBB55_2032:
	s_mov_b32 s14, -1
                                        ; implicit-def: $vgpr18_vgpr19
	s_branch .LBB55_2037
.LBB55_2033:
	s_mov_b32 s14, -1
                                        ; implicit-def: $vgpr18_vgpr19
.LBB55_2034:
	s_delay_alu instid0(SALU_CYCLE_1)
	s_and_b32 vcc_lo, exec_lo, s14
	s_cbranch_vccz .LBB55_2036
; %bb.2035:
	global_load_u8 v1, v[24:25], off
	s_wait_loadcnt 0x0
	v_lshlrev_b32_e32 v1, 24, v1
	s_delay_alu instid0(VALU_DEP_1) | instskip(NEXT) | instid1(VALU_DEP_1)
	v_and_b32_e32 v3, 0x7f000000, v1
	v_clz_i32_u32_e32 v5, v3
	v_add_nc_u32_e32 v11, 0x1000000, v3
	v_cmp_ne_u32_e32 vcc_lo, 0, v3
	s_delay_alu instid0(VALU_DEP_3) | instskip(NEXT) | instid1(VALU_DEP_1)
	v_min_u32_e32 v5, 32, v5
	v_sub_nc_u32_e64 v5, v5, 4 clamp
	s_delay_alu instid0(VALU_DEP_1) | instskip(NEXT) | instid1(VALU_DEP_1)
	v_dual_lshlrev_b32 v7, v5, v3 :: v_dual_lshlrev_b32 v5, 23, v5
	v_lshrrev_b32_e32 v7, 4, v7
	s_delay_alu instid0(VALU_DEP_1) | instskip(NEXT) | instid1(VALU_DEP_1)
	v_dual_sub_nc_u32 v5, v7, v5 :: v_dual_ashrrev_i32 v7, 8, v11
	v_add_nc_u32_e32 v5, 0x3c000000, v5
	s_delay_alu instid0(VALU_DEP_1) | instskip(NEXT) | instid1(VALU_DEP_1)
	v_and_or_b32 v5, 0x7f800000, v7, v5
	v_cndmask_b32_e32 v3, 0, v5, vcc_lo
	s_delay_alu instid0(VALU_DEP_1) | instskip(NEXT) | instid1(VALU_DEP_1)
	v_and_or_b32 v1, 0x80000000, v1, v3
	v_trunc_f32_e32 v1, v1
	s_delay_alu instid0(VALU_DEP_1) | instskip(SKIP_1) | instid1(VALU_DEP_2)
	v_mul_f32_e64 v3, 0x2f800000, |v1|
	v_ashrrev_i32_e32 v18, 31, v1
	v_floor_f32_e32 v3, v3
	s_delay_alu instid0(VALU_DEP_2) | instskip(NEXT) | instid1(VALU_DEP_2)
	v_mov_b32_e32 v19, v18
	v_fma_f32 v5, 0xcf800000, v3, |v1|
	v_cvt_u32_f32_e32 v1, v3
	s_delay_alu instid0(VALU_DEP_2) | instskip(NEXT) | instid1(VALU_DEP_2)
	v_cvt_u32_f32_e32 v3, v5
	v_xor_b32_e32 v27, v1, v18
	s_delay_alu instid0(VALU_DEP_2) | instskip(NEXT) | instid1(VALU_DEP_1)
	v_xor_b32_e32 v26, v3, v18
	v_sub_nc_u64_e32 v[18:19], v[26:27], v[18:19]
.LBB55_2036:
	s_mov_b32 s14, 0
.LBB55_2037:
	s_delay_alu instid0(SALU_CYCLE_1)
	s_and_not1_b32 vcc_lo, exec_lo, s14
	s_cbranch_vccnz .LBB55_2039
; %bb.2038:
	global_load_u8 v1, v[24:25], off
	s_wait_loadcnt 0x0
	v_lshlrev_b32_e32 v3, 25, v1
	v_lshlrev_b16 v1, 8, v1
	s_delay_alu instid0(VALU_DEP_1) | instskip(SKIP_1) | instid1(VALU_DEP_2)
	v_and_or_b32 v7, 0x7f00, v1, 0.5
	v_bfe_i32 v1, v1, 0, 16
	v_add_f32_e32 v7, -0.5, v7
	v_lshrrev_b32_e32 v5, 4, v3
	v_cmp_gt_u32_e32 vcc_lo, 0x8000000, v3
	s_delay_alu instid0(VALU_DEP_2) | instskip(NEXT) | instid1(VALU_DEP_1)
	v_or_b32_e32 v5, 0x70000000, v5
	v_mul_f32_e32 v5, 0x7800000, v5
	s_delay_alu instid0(VALU_DEP_1) | instskip(NEXT) | instid1(VALU_DEP_1)
	v_cndmask_b32_e32 v3, v5, v7, vcc_lo
	v_and_or_b32 v1, 0x80000000, v1, v3
	s_delay_alu instid0(VALU_DEP_1) | instskip(NEXT) | instid1(VALU_DEP_1)
	v_trunc_f32_e32 v1, v1
	v_mul_f32_e64 v3, 0x2f800000, |v1|
	v_ashrrev_i32_e32 v18, 31, v1
	s_delay_alu instid0(VALU_DEP_2) | instskip(NEXT) | instid1(VALU_DEP_2)
	v_floor_f32_e32 v3, v3
	v_mov_b32_e32 v19, v18
	s_delay_alu instid0(VALU_DEP_2) | instskip(SKIP_1) | instid1(VALU_DEP_2)
	v_fma_f32 v5, 0xcf800000, v3, |v1|
	v_cvt_u32_f32_e32 v1, v3
	v_cvt_u32_f32_e32 v3, v5
	s_delay_alu instid0(VALU_DEP_2) | instskip(NEXT) | instid1(VALU_DEP_2)
	v_xor_b32_e32 v27, v1, v18
	v_xor_b32_e32 v26, v3, v18
	s_delay_alu instid0(VALU_DEP_1)
	v_sub_nc_u64_e32 v[18:19], v[26:27], v[18:19]
.LBB55_2039:
	s_mov_b32 s14, 0
	s_mov_b32 s15, -1
.LBB55_2040:
	s_and_not1_b32 vcc_lo, exec_lo, s14
	s_mov_b32 s14, 0
	s_cbranch_vccnz .LBB55_2051
; %bb.2041:
	s_cmp_gt_i32 s12, 14
	s_cbranch_scc0 .LBB55_2044
; %bb.2042:
	s_cmp_eq_u32 s12, 15
	s_cbranch_scc0 .LBB55_2047
; %bb.2043:
	global_load_u16 v1, v[24:25], off
	s_mov_b32 s13, 0
	s_mov_b32 s15, -1
	s_wait_loadcnt 0x0
	v_lshlrev_b32_e32 v1, 16, v1
	s_delay_alu instid0(VALU_DEP_1) | instskip(NEXT) | instid1(VALU_DEP_1)
	v_trunc_f32_e32 v1, v1
	v_mul_f32_e64 v3, 0x2f800000, |v1|
	v_ashrrev_i32_e32 v18, 31, v1
	s_delay_alu instid0(VALU_DEP_2) | instskip(NEXT) | instid1(VALU_DEP_2)
	v_floor_f32_e32 v3, v3
	v_mov_b32_e32 v19, v18
	s_delay_alu instid0(VALU_DEP_2) | instskip(SKIP_1) | instid1(VALU_DEP_2)
	v_fma_f32 v5, 0xcf800000, v3, |v1|
	v_cvt_u32_f32_e32 v1, v3
	v_cvt_u32_f32_e32 v3, v5
	s_delay_alu instid0(VALU_DEP_2) | instskip(NEXT) | instid1(VALU_DEP_2)
	v_xor_b32_e32 v27, v1, v18
	v_xor_b32_e32 v26, v3, v18
	s_delay_alu instid0(VALU_DEP_1)
	v_sub_nc_u64_e32 v[18:19], v[26:27], v[18:19]
	s_branch .LBB55_2049
.LBB55_2044:
	s_mov_b32 s14, -1
	s_branch .LBB55_2048
.LBB55_2045:
	s_and_not1_saveexec_b32 s14, s14
	s_cbranch_execz .LBB55_2026
.LBB55_2046:
	v_cmp_ne_u16_e32 vcc_lo, 0, v1
	s_and_not1_b32 s15, s15, exec_lo
	s_and_b32 s16, vcc_lo, exec_lo
	s_delay_alu instid0(SALU_CYCLE_1)
	s_or_b32 s15, s15, s16
	s_or_b32 exec_lo, exec_lo, s14
	v_mov_b64_e32 v[18:19], 0
	s_and_saveexec_b32 s14, s15
	s_cbranch_execnz .LBB55_2027
	s_branch .LBB55_2028
.LBB55_2047:
	s_mov_b32 s13, -1
.LBB55_2048:
                                        ; implicit-def: $vgpr18_vgpr19
.LBB55_2049:
	s_and_b32 vcc_lo, exec_lo, s14
	s_mov_b32 s14, 0
	s_cbranch_vccz .LBB55_2051
; %bb.2050:
	s_cmp_lg_u32 s12, 11
	s_mov_b32 s14, -1
	s_cselect_b32 s13, -1, 0
.LBB55_2051:
	s_delay_alu instid0(SALU_CYCLE_1)
	s_and_b32 vcc_lo, exec_lo, s13
	s_cbranch_vccnz .LBB55_2116
; %bb.2052:
	s_and_not1_b32 vcc_lo, exec_lo, s14
	s_cbranch_vccnz .LBB55_2054
.LBB55_2053:
	global_load_u8 v1, v[24:25], off
	s_mov_b32 s13, 0
	s_mov_b32 s15, -1
	s_wait_loadcnt 0x1
	v_mov_b32_e32 v19, s13
	s_wait_loadcnt 0x0
	v_cmp_ne_u16_e32 vcc_lo, 0, v1
	v_cndmask_b32_e64 v18, 0, 1, vcc_lo
.LBB55_2054:
	s_mov_b32 s13, 0
.LBB55_2055:
	s_delay_alu instid0(SALU_CYCLE_1)
	s_and_b32 vcc_lo, exec_lo, s13
	s_cbranch_vccz .LBB55_2104
; %bb.2056:
	s_cmp_lt_i32 s12, 5
	s_cbranch_scc1 .LBB55_2061
; %bb.2057:
	s_cmp_lt_i32 s12, 8
	s_cbranch_scc1 .LBB55_2062
; %bb.2058:
	s_cmp_lt_i32 s12, 9
	s_cbranch_scc1 .LBB55_2063
; %bb.2059:
	s_cmp_gt_i32 s12, 9
	s_cbranch_scc0 .LBB55_2064
; %bb.2060:
	s_wait_loadcnt 0x0
	global_load_b64 v[18:19], v[24:25], off
	s_mov_b32 s13, 0
	s_wait_loadcnt 0x0
	v_trunc_f64_e32 v[18:19], v[18:19]
	s_delay_alu instid0(VALU_DEP_1) | instskip(NEXT) | instid1(VALU_DEP_1)
	v_ldexp_f64 v[26:27], v[18:19], 0xffffffe0
	v_floor_f64_e32 v[26:27], v[26:27]
	s_delay_alu instid0(VALU_DEP_1) | instskip(SKIP_1) | instid1(VALU_DEP_2)
	v_fmamk_f64 v[28:29], v[26:27], 0xc1f00000, v[18:19]
	v_cvt_i32_f64_e32 v19, v[26:27]
	v_cvt_u32_f64_e32 v18, v[28:29]
	s_branch .LBB55_2065
.LBB55_2061:
	s_mov_b32 s13, -1
                                        ; implicit-def: $vgpr18_vgpr19
	s_branch .LBB55_2083
.LBB55_2062:
	s_mov_b32 s13, -1
                                        ; implicit-def: $vgpr18_vgpr19
	s_branch .LBB55_2071
.LBB55_2063:
	s_mov_b32 s13, -1
                                        ; implicit-def: $vgpr18_vgpr19
	s_branch .LBB55_2068
.LBB55_2064:
	s_mov_b32 s13, -1
                                        ; implicit-def: $vgpr18_vgpr19
.LBB55_2065:
	s_delay_alu instid0(SALU_CYCLE_1)
	s_and_not1_b32 vcc_lo, exec_lo, s13
	s_cbranch_vccnz .LBB55_2067
; %bb.2066:
	global_load_b32 v1, v[24:25], off
	s_wait_loadcnt 0x0
	v_trunc_f32_e32 v1, v1
	s_delay_alu instid0(VALU_DEP_1) | instskip(SKIP_1) | instid1(VALU_DEP_2)
	v_mul_f32_e64 v3, 0x2f800000, |v1|
	v_ashrrev_i32_e32 v18, 31, v1
	v_floor_f32_e32 v3, v3
	s_delay_alu instid0(VALU_DEP_1) | instskip(SKIP_1) | instid1(VALU_DEP_4)
	v_fma_f32 v5, 0xcf800000, v3, |v1|
	v_cvt_u32_f32_e32 v1, v3
	v_mov_b32_e32 v19, v18
	s_delay_alu instid0(VALU_DEP_3) | instskip(NEXT) | instid1(VALU_DEP_3)
	v_cvt_u32_f32_e32 v3, v5
	v_xor_b32_e32 v27, v1, v18
	s_delay_alu instid0(VALU_DEP_2) | instskip(NEXT) | instid1(VALU_DEP_1)
	v_xor_b32_e32 v26, v3, v18
	v_sub_nc_u64_e32 v[18:19], v[26:27], v[18:19]
.LBB55_2067:
	s_mov_b32 s13, 0
.LBB55_2068:
	s_delay_alu instid0(SALU_CYCLE_1)
	s_and_not1_b32 vcc_lo, exec_lo, s13
	s_cbranch_vccnz .LBB55_2070
; %bb.2069:
	global_load_b32 v1, v[24:25], off
	s_wait_loadcnt 0x0
	v_cvt_f32_f16_e32 v1, v1
	s_delay_alu instid0(VALU_DEP_1) | instskip(NEXT) | instid1(VALU_DEP_1)
	v_cvt_i32_f32_e32 v18, v1
	v_ashrrev_i32_e32 v19, 31, v18
.LBB55_2070:
	s_mov_b32 s13, 0
.LBB55_2071:
	s_delay_alu instid0(SALU_CYCLE_1)
	s_and_not1_b32 vcc_lo, exec_lo, s13
	s_cbranch_vccnz .LBB55_2082
; %bb.2072:
	s_cmp_lt_i32 s12, 6
	s_cbranch_scc1 .LBB55_2075
; %bb.2073:
	s_cmp_gt_i32 s12, 6
	s_cbranch_scc0 .LBB55_2076
; %bb.2074:
	s_wait_loadcnt 0x0
	global_load_b64 v[18:19], v[24:25], off
	s_mov_b32 s13, 0
	s_wait_loadcnt 0x0
	v_trunc_f64_e32 v[18:19], v[18:19]
	s_delay_alu instid0(VALU_DEP_1) | instskip(NEXT) | instid1(VALU_DEP_1)
	v_ldexp_f64 v[26:27], v[18:19], 0xffffffe0
	v_floor_f64_e32 v[26:27], v[26:27]
	s_delay_alu instid0(VALU_DEP_1) | instskip(SKIP_1) | instid1(VALU_DEP_2)
	v_fmamk_f64 v[28:29], v[26:27], 0xc1f00000, v[18:19]
	v_cvt_i32_f64_e32 v19, v[26:27]
	v_cvt_u32_f64_e32 v18, v[28:29]
	s_branch .LBB55_2077
.LBB55_2075:
	s_mov_b32 s13, -1
                                        ; implicit-def: $vgpr18_vgpr19
	s_branch .LBB55_2080
.LBB55_2076:
	s_mov_b32 s13, -1
                                        ; implicit-def: $vgpr18_vgpr19
.LBB55_2077:
	s_delay_alu instid0(SALU_CYCLE_1)
	s_and_not1_b32 vcc_lo, exec_lo, s13
	s_cbranch_vccnz .LBB55_2079
; %bb.2078:
	global_load_b32 v1, v[24:25], off
	s_wait_loadcnt 0x0
	v_trunc_f32_e32 v1, v1
	s_delay_alu instid0(VALU_DEP_1) | instskip(SKIP_1) | instid1(VALU_DEP_2)
	v_mul_f32_e64 v3, 0x2f800000, |v1|
	v_ashrrev_i32_e32 v18, 31, v1
	v_floor_f32_e32 v3, v3
	s_delay_alu instid0(VALU_DEP_1) | instskip(SKIP_1) | instid1(VALU_DEP_4)
	v_fma_f32 v5, 0xcf800000, v3, |v1|
	v_cvt_u32_f32_e32 v1, v3
	v_mov_b32_e32 v19, v18
	s_delay_alu instid0(VALU_DEP_3) | instskip(NEXT) | instid1(VALU_DEP_3)
	v_cvt_u32_f32_e32 v3, v5
	v_xor_b32_e32 v27, v1, v18
	s_delay_alu instid0(VALU_DEP_2) | instskip(NEXT) | instid1(VALU_DEP_1)
	v_xor_b32_e32 v26, v3, v18
	v_sub_nc_u64_e32 v[18:19], v[26:27], v[18:19]
.LBB55_2079:
	s_mov_b32 s13, 0
.LBB55_2080:
	s_delay_alu instid0(SALU_CYCLE_1)
	s_and_not1_b32 vcc_lo, exec_lo, s13
	s_cbranch_vccnz .LBB55_2082
; %bb.2081:
	global_load_u16 v1, v[24:25], off
	s_wait_loadcnt 0x0
	v_cvt_f32_f16_e32 v1, v1
	s_delay_alu instid0(VALU_DEP_1) | instskip(NEXT) | instid1(VALU_DEP_1)
	v_cvt_i32_f32_e32 v18, v1
	v_ashrrev_i32_e32 v19, 31, v18
.LBB55_2082:
	s_mov_b32 s13, 0
.LBB55_2083:
	s_delay_alu instid0(SALU_CYCLE_1)
	s_and_not1_b32 vcc_lo, exec_lo, s13
	s_cbranch_vccnz .LBB55_2103
; %bb.2084:
	s_cmp_lt_i32 s12, 2
	s_cbranch_scc1 .LBB55_2088
; %bb.2085:
	s_cmp_lt_i32 s12, 3
	s_cbranch_scc1 .LBB55_2089
; %bb.2086:
	s_cmp_gt_i32 s12, 3
	s_cbranch_scc0 .LBB55_2090
; %bb.2087:
	s_wait_loadcnt 0x0
	global_load_b64 v[18:19], v[24:25], off
	s_mov_b32 s13, 0
	s_branch .LBB55_2091
.LBB55_2088:
	s_mov_b32 s13, -1
                                        ; implicit-def: $vgpr18_vgpr19
	s_branch .LBB55_2097
.LBB55_2089:
	s_mov_b32 s13, -1
                                        ; implicit-def: $vgpr18_vgpr19
	s_branch .LBB55_2094
.LBB55_2090:
	s_mov_b32 s13, -1
                                        ; implicit-def: $vgpr18_vgpr19
.LBB55_2091:
	s_delay_alu instid0(SALU_CYCLE_1)
	s_and_not1_b32 vcc_lo, exec_lo, s13
	s_cbranch_vccnz .LBB55_2093
; %bb.2092:
	s_wait_loadcnt 0x0
	global_load_b32 v18, v[24:25], off
	s_wait_loadcnt 0x0
	v_ashrrev_i32_e32 v19, 31, v18
.LBB55_2093:
	s_mov_b32 s13, 0
.LBB55_2094:
	s_delay_alu instid0(SALU_CYCLE_1)
	s_and_not1_b32 vcc_lo, exec_lo, s13
	s_cbranch_vccnz .LBB55_2096
; %bb.2095:
	global_load_u16 v1, v[24:25], off
	s_wait_loadcnt 0x0
	v_bfe_i32 v18, v1, 0, 16
	s_delay_alu instid0(VALU_DEP_1)
	v_ashrrev_i32_e32 v19, 31, v18
.LBB55_2096:
	s_mov_b32 s13, 0
.LBB55_2097:
	s_delay_alu instid0(SALU_CYCLE_1)
	s_and_not1_b32 vcc_lo, exec_lo, s13
	s_cbranch_vccnz .LBB55_2103
; %bb.2098:
	s_cmp_gt_i32 s12, 0
	s_mov_b32 s13, 0
	s_cbranch_scc0 .LBB55_2100
; %bb.2099:
	global_load_i8 v1, v[24:25], off
	s_wait_loadcnt 0x0
	v_bfe_i32 v18, v1, 0, 16
	s_delay_alu instid0(VALU_DEP_1)
	v_ashrrev_i32_e32 v19, 31, v18
	s_branch .LBB55_2101
.LBB55_2100:
	s_mov_b32 s13, -1
                                        ; implicit-def: $vgpr18_vgpr19
.LBB55_2101:
	s_delay_alu instid0(SALU_CYCLE_1)
	s_and_not1_b32 vcc_lo, exec_lo, s13
	s_cbranch_vccnz .LBB55_2103
; %bb.2102:
	global_load_u8 v1, v[24:25], off
	s_mov_b32 s13, 0
	s_wait_loadcnt 0x1
	v_mov_b32_e32 v19, s13
	s_wait_loadcnt 0x0
	v_and_b32_e32 v18, 0xffff, v1
.LBB55_2103:
	s_mov_b32 s15, -1
.LBB55_2104:
	s_delay_alu instid0(SALU_CYCLE_1)
	s_and_not1_b32 vcc_lo, exec_lo, s15
	s_cbranch_vccnz .LBB55_3047
; %bb.2105:
	v_mov_b32_e32 v23, 0
	s_cmp_lt_i32 s11, 11
	s_wait_xcnt 0x0
	s_delay_alu instid0(VALU_DEP_1)
	v_add_nc_u64_e32 v[24:25], s[6:7], v[22:23]
	s_cbranch_scc1 .LBB55_2112
; %bb.2106:
	s_cmp_gt_i32 s11, 25
	s_mov_b32 s14, 0
	s_cbranch_scc0 .LBB55_2113
; %bb.2107:
	s_cmp_gt_i32 s11, 28
	s_cbranch_scc0 .LBB55_2114
; %bb.2108:
	s_cmp_gt_i32 s11, 43
	s_cbranch_scc0 .LBB55_2115
; %bb.2109:
	s_cmp_gt_i32 s11, 45
	s_cbranch_scc0 .LBB55_2117
; %bb.2110:
	s_cmp_eq_u32 s11, 46
	s_mov_b32 s16, 0
	s_cbranch_scc0 .LBB55_2118
; %bb.2111:
	global_load_b32 v1, v[24:25], off
	s_mov_b32 s13, 0
	s_mov_b32 s15, -1
	s_wait_loadcnt 0x0
	v_lshlrev_b32_e32 v1, 16, v1
	s_delay_alu instid0(VALU_DEP_1) | instskip(NEXT) | instid1(VALU_DEP_1)
	v_trunc_f32_e32 v1, v1
	v_mul_f32_e64 v3, 0x2f800000, |v1|
	v_ashrrev_i32_e32 v22, 31, v1
	s_delay_alu instid0(VALU_DEP_2) | instskip(NEXT) | instid1(VALU_DEP_2)
	v_floor_f32_e32 v3, v3
	v_mov_b32_e32 v23, v22
	s_delay_alu instid0(VALU_DEP_2) | instskip(SKIP_1) | instid1(VALU_DEP_2)
	v_fma_f32 v5, 0xcf800000, v3, |v1|
	v_cvt_u32_f32_e32 v1, v3
	v_cvt_u32_f32_e32 v3, v5
	s_delay_alu instid0(VALU_DEP_2) | instskip(NEXT) | instid1(VALU_DEP_2)
	v_xor_b32_e32 v27, v1, v22
	v_xor_b32_e32 v26, v3, v22
	s_delay_alu instid0(VALU_DEP_1)
	v_sub_nc_u64_e32 v[22:23], v[26:27], v[22:23]
	s_branch .LBB55_2120
.LBB55_2112:
	s_mov_b32 s13, -1
	s_mov_b32 s15, 0
                                        ; implicit-def: $vgpr22_vgpr23
	s_branch .LBB55_2182
.LBB55_2113:
	s_mov_b32 s16, -1
	s_mov_b32 s15, 0
	s_mov_b32 s13, 0
                                        ; implicit-def: $vgpr22_vgpr23
	s_branch .LBB55_2147
.LBB55_2114:
	s_mov_b32 s16, -1
	s_mov_b32 s15, 0
	s_mov_b32 s13, 0
                                        ; implicit-def: $vgpr22_vgpr23
	s_branch .LBB55_2130
.LBB55_2115:
	s_mov_b32 s16, -1
	s_mov_b32 s15, 0
	s_mov_b32 s13, 0
                                        ; implicit-def: $vgpr22_vgpr23
	s_branch .LBB55_2125
.LBB55_2116:
	s_or_b32 s10, s10, exec_lo
	s_trap 2
	s_cbranch_execz .LBB55_2053
	s_branch .LBB55_2054
.LBB55_2117:
	s_mov_b32 s16, -1
	s_mov_b32 s15, 0
	s_mov_b32 s13, 0
	s_branch .LBB55_2119
.LBB55_2118:
	s_mov_b32 s13, -1
	s_mov_b32 s15, 0
.LBB55_2119:
                                        ; implicit-def: $vgpr22_vgpr23
.LBB55_2120:
	s_and_b32 vcc_lo, exec_lo, s16
	s_cbranch_vccz .LBB55_2124
; %bb.2121:
	s_cmp_eq_u32 s11, 44
	s_cbranch_scc0 .LBB55_2123
; %bb.2122:
	global_load_u8 v1, v[24:25], off
	s_mov_b32 s13, 0
	s_mov_b32 s15, -1
	s_wait_loadcnt 0x0
	v_lshlrev_b32_e32 v3, 23, v1
	v_cmp_ne_u32_e32 vcc_lo, 0, v1
	s_delay_alu instid0(VALU_DEP_2) | instskip(NEXT) | instid1(VALU_DEP_1)
	v_trunc_f32_e32 v3, v3
	v_mul_f32_e64 v5, 0x2f800000, |v3|
	v_ashrrev_i32_e32 v22, 31, v3
	s_delay_alu instid0(VALU_DEP_2) | instskip(NEXT) | instid1(VALU_DEP_2)
	v_floor_f32_e32 v5, v5
	v_mov_b32_e32 v23, v22
	s_delay_alu instid0(VALU_DEP_2) | instskip(SKIP_1) | instid1(VALU_DEP_2)
	v_fma_f32 v7, 0xcf800000, v5, |v3|
	v_cvt_u32_f32_e32 v3, v5
	v_cvt_u32_f32_e32 v5, v7
	s_delay_alu instid0(VALU_DEP_2) | instskip(NEXT) | instid1(VALU_DEP_2)
	v_xor_b32_e32 v27, v3, v22
	v_xor_b32_e32 v26, v5, v22
	s_delay_alu instid0(VALU_DEP_1) | instskip(NEXT) | instid1(VALU_DEP_1)
	v_sub_nc_u64_e32 v[22:23], v[26:27], v[22:23]
	v_dual_cndmask_b32 v23, 0, v23 :: v_dual_cndmask_b32 v22, 0, v22
	s_branch .LBB55_2124
.LBB55_2123:
	s_mov_b32 s13, -1
                                        ; implicit-def: $vgpr22_vgpr23
.LBB55_2124:
	s_mov_b32 s16, 0
.LBB55_2125:
	s_delay_alu instid0(SALU_CYCLE_1)
	s_and_b32 vcc_lo, exec_lo, s16
	s_cbranch_vccz .LBB55_2129
; %bb.2126:
	s_cmp_eq_u32 s11, 29
	s_cbranch_scc0 .LBB55_2128
; %bb.2127:
	global_load_b64 v[22:23], v[24:25], off
	s_mov_b32 s13, 0
	s_mov_b32 s15, -1
	s_branch .LBB55_2129
.LBB55_2128:
	s_mov_b32 s13, -1
                                        ; implicit-def: $vgpr22_vgpr23
.LBB55_2129:
	s_mov_b32 s16, 0
.LBB55_2130:
	s_delay_alu instid0(SALU_CYCLE_1)
	s_and_b32 vcc_lo, exec_lo, s16
	s_cbranch_vccz .LBB55_2146
; %bb.2131:
	s_cmp_lt_i32 s11, 27
	s_cbranch_scc1 .LBB55_2134
; %bb.2132:
	s_cmp_gt_i32 s11, 27
	s_cbranch_scc0 .LBB55_2135
; %bb.2133:
	s_wait_loadcnt 0x0
	global_load_b32 v22, v[24:25], off
	v_mov_b32_e32 v23, 0
	s_mov_b32 s15, 0
	s_branch .LBB55_2136
.LBB55_2134:
	s_mov_b32 s15, -1
                                        ; implicit-def: $vgpr22_vgpr23
	s_branch .LBB55_2139
.LBB55_2135:
	s_mov_b32 s15, -1
                                        ; implicit-def: $vgpr22_vgpr23
.LBB55_2136:
	s_delay_alu instid0(SALU_CYCLE_1)
	s_and_not1_b32 vcc_lo, exec_lo, s15
	s_cbranch_vccnz .LBB55_2138
; %bb.2137:
	global_load_u16 v1, v[24:25], off
	s_mov_b32 s15, 0
	s_wait_loadcnt 0x1
	v_mov_b32_e32 v23, s15
	s_wait_loadcnt 0x0
	v_and_b32_e32 v22, 0xffff, v1
.LBB55_2138:
	s_mov_b32 s15, 0
.LBB55_2139:
	s_delay_alu instid0(SALU_CYCLE_1)
	s_and_not1_b32 vcc_lo, exec_lo, s15
	s_cbranch_vccnz .LBB55_2145
; %bb.2140:
	global_load_u8 v1, v[24:25], off
	s_mov_b32 s16, 0
	s_mov_b32 s15, exec_lo
	s_wait_loadcnt 0x0
	v_cmpx_lt_i16_e32 0x7f, v1
	s_xor_b32 s15, exec_lo, s15
	s_cbranch_execz .LBB55_2157
; %bb.2141:
	v_cmp_ne_u16_e32 vcc_lo, 0x80, v1
	s_and_b32 s16, vcc_lo, exec_lo
	s_and_not1_saveexec_b32 s15, s15
	s_cbranch_execnz .LBB55_2158
.LBB55_2142:
	s_or_b32 exec_lo, exec_lo, s15
	v_mov_b64_e32 v[22:23], 0
	s_and_saveexec_b32 s15, s16
	s_cbranch_execz .LBB55_2144
.LBB55_2143:
	v_and_b32_e32 v3, 0xffff, v1
	s_delay_alu instid0(VALU_DEP_1) | instskip(SKIP_1) | instid1(VALU_DEP_2)
	v_dual_lshlrev_b32 v1, 24, v1 :: v_dual_bitop2_b32 v5, 7, v3 bitop3:0x40
	v_bfe_u32 v17, v3, 3, 4
	v_and_b32_e32 v1, 0x80000000, v1
	s_delay_alu instid0(VALU_DEP_3) | instskip(NEXT) | instid1(VALU_DEP_3)
	v_clz_i32_u32_e32 v7, v5
	v_cmp_eq_u32_e32 vcc_lo, 0, v17
	s_delay_alu instid0(VALU_DEP_2) | instskip(NEXT) | instid1(VALU_DEP_1)
	v_min_u32_e32 v7, 32, v7
	v_subrev_nc_u32_e32 v11, 28, v7
	v_sub_nc_u32_e32 v7, 29, v7
	s_delay_alu instid0(VALU_DEP_2) | instskip(NEXT) | instid1(VALU_DEP_2)
	v_lshlrev_b32_e32 v3, v11, v3
	v_cndmask_b32_e32 v7, v17, v7, vcc_lo
	s_delay_alu instid0(VALU_DEP_2) | instskip(NEXT) | instid1(VALU_DEP_1)
	v_and_b32_e32 v3, 7, v3
	v_cndmask_b32_e32 v3, v5, v3, vcc_lo
	s_delay_alu instid0(VALU_DEP_3) | instskip(NEXT) | instid1(VALU_DEP_2)
	v_lshl_add_u32 v5, v7, 23, 0x3b800000
	v_lshlrev_b32_e32 v3, 20, v3
	s_delay_alu instid0(VALU_DEP_1) | instskip(NEXT) | instid1(VALU_DEP_1)
	v_or3_b32 v1, v1, v5, v3
	v_trunc_f32_e32 v1, v1
	s_delay_alu instid0(VALU_DEP_1) | instskip(SKIP_1) | instid1(VALU_DEP_2)
	v_mul_f32_e64 v3, 0x2f800000, |v1|
	v_ashrrev_i32_e32 v22, 31, v1
	v_floor_f32_e32 v3, v3
	s_delay_alu instid0(VALU_DEP_2) | instskip(NEXT) | instid1(VALU_DEP_2)
	v_mov_b32_e32 v23, v22
	v_fma_f32 v5, 0xcf800000, v3, |v1|
	v_cvt_u32_f32_e32 v1, v3
	s_delay_alu instid0(VALU_DEP_2) | instskip(NEXT) | instid1(VALU_DEP_2)
	v_cvt_u32_f32_e32 v3, v5
	v_xor_b32_e32 v27, v1, v22
	s_delay_alu instid0(VALU_DEP_2) | instskip(NEXT) | instid1(VALU_DEP_1)
	v_xor_b32_e32 v26, v3, v22
	v_sub_nc_u64_e32 v[22:23], v[26:27], v[22:23]
.LBB55_2144:
	s_or_b32 exec_lo, exec_lo, s15
.LBB55_2145:
	s_mov_b32 s15, -1
.LBB55_2146:
	s_mov_b32 s16, 0
.LBB55_2147:
	s_delay_alu instid0(SALU_CYCLE_1)
	s_and_b32 vcc_lo, exec_lo, s16
	s_cbranch_vccz .LBB55_2178
; %bb.2148:
	s_cmp_gt_i32 s11, 22
	s_cbranch_scc0 .LBB55_2156
; %bb.2149:
	s_cmp_lt_i32 s11, 24
	s_cbranch_scc1 .LBB55_2159
; %bb.2150:
	s_cmp_gt_i32 s11, 24
	s_cbranch_scc0 .LBB55_2160
; %bb.2151:
	global_load_u8 v1, v[24:25], off
	s_mov_b32 s15, 0
	s_mov_b32 s14, exec_lo
	s_wait_loadcnt 0x0
	v_cmpx_lt_i16_e32 0x7f, v1
	s_xor_b32 s14, exec_lo, s14
	s_cbranch_execz .LBB55_2172
; %bb.2152:
	v_cmp_ne_u16_e32 vcc_lo, 0x80, v1
	s_and_b32 s15, vcc_lo, exec_lo
	s_and_not1_saveexec_b32 s14, s14
	s_cbranch_execnz .LBB55_2173
.LBB55_2153:
	s_or_b32 exec_lo, exec_lo, s14
	v_mov_b64_e32 v[22:23], 0
	s_and_saveexec_b32 s14, s15
	s_cbranch_execz .LBB55_2155
.LBB55_2154:
	v_and_b32_e32 v3, 0xffff, v1
	s_delay_alu instid0(VALU_DEP_1) | instskip(SKIP_1) | instid1(VALU_DEP_2)
	v_dual_lshlrev_b32 v1, 24, v1 :: v_dual_bitop2_b32 v5, 3, v3 bitop3:0x40
	v_bfe_u32 v17, v3, 2, 5
	v_and_b32_e32 v1, 0x80000000, v1
	s_delay_alu instid0(VALU_DEP_3) | instskip(NEXT) | instid1(VALU_DEP_3)
	v_clz_i32_u32_e32 v7, v5
	v_cmp_eq_u32_e32 vcc_lo, 0, v17
	s_delay_alu instid0(VALU_DEP_2) | instskip(NEXT) | instid1(VALU_DEP_1)
	v_min_u32_e32 v7, 32, v7
	v_subrev_nc_u32_e32 v11, 29, v7
	v_sub_nc_u32_e32 v7, 30, v7
	s_delay_alu instid0(VALU_DEP_2) | instskip(NEXT) | instid1(VALU_DEP_2)
	v_lshlrev_b32_e32 v3, v11, v3
	v_cndmask_b32_e32 v7, v17, v7, vcc_lo
	s_delay_alu instid0(VALU_DEP_2) | instskip(NEXT) | instid1(VALU_DEP_1)
	v_and_b32_e32 v3, 3, v3
	v_cndmask_b32_e32 v3, v5, v3, vcc_lo
	s_delay_alu instid0(VALU_DEP_3) | instskip(NEXT) | instid1(VALU_DEP_2)
	v_lshl_add_u32 v5, v7, 23, 0x37800000
	v_lshlrev_b32_e32 v3, 21, v3
	s_delay_alu instid0(VALU_DEP_1) | instskip(NEXT) | instid1(VALU_DEP_1)
	v_or3_b32 v1, v1, v5, v3
	v_trunc_f32_e32 v1, v1
	s_delay_alu instid0(VALU_DEP_1) | instskip(SKIP_1) | instid1(VALU_DEP_2)
	v_mul_f32_e64 v3, 0x2f800000, |v1|
	v_ashrrev_i32_e32 v22, 31, v1
	v_floor_f32_e32 v3, v3
	s_delay_alu instid0(VALU_DEP_2) | instskip(NEXT) | instid1(VALU_DEP_2)
	v_mov_b32_e32 v23, v22
	v_fma_f32 v5, 0xcf800000, v3, |v1|
	v_cvt_u32_f32_e32 v1, v3
	s_delay_alu instid0(VALU_DEP_2) | instskip(NEXT) | instid1(VALU_DEP_2)
	v_cvt_u32_f32_e32 v3, v5
	v_xor_b32_e32 v27, v1, v22
	s_delay_alu instid0(VALU_DEP_2) | instskip(NEXT) | instid1(VALU_DEP_1)
	v_xor_b32_e32 v26, v3, v22
	v_sub_nc_u64_e32 v[22:23], v[26:27], v[22:23]
.LBB55_2155:
	s_or_b32 exec_lo, exec_lo, s14
	s_mov_b32 s14, 0
	s_branch .LBB55_2161
.LBB55_2156:
	s_mov_b32 s14, -1
                                        ; implicit-def: $vgpr22_vgpr23
	s_branch .LBB55_2167
.LBB55_2157:
	s_and_not1_saveexec_b32 s15, s15
	s_cbranch_execz .LBB55_2142
.LBB55_2158:
	v_cmp_ne_u16_e32 vcc_lo, 0, v1
	s_and_not1_b32 s16, s16, exec_lo
	s_and_b32 s17, vcc_lo, exec_lo
	s_delay_alu instid0(SALU_CYCLE_1)
	s_or_b32 s16, s16, s17
	s_or_b32 exec_lo, exec_lo, s15
	v_mov_b64_e32 v[22:23], 0
	s_and_saveexec_b32 s15, s16
	s_cbranch_execnz .LBB55_2143
	s_branch .LBB55_2144
.LBB55_2159:
	s_mov_b32 s14, -1
                                        ; implicit-def: $vgpr22_vgpr23
	s_branch .LBB55_2164
.LBB55_2160:
	s_mov_b32 s14, -1
                                        ; implicit-def: $vgpr22_vgpr23
.LBB55_2161:
	s_delay_alu instid0(SALU_CYCLE_1)
	s_and_b32 vcc_lo, exec_lo, s14
	s_cbranch_vccz .LBB55_2163
; %bb.2162:
	global_load_u8 v1, v[24:25], off
	s_wait_loadcnt 0x0
	v_lshlrev_b32_e32 v1, 24, v1
	s_delay_alu instid0(VALU_DEP_1) | instskip(NEXT) | instid1(VALU_DEP_1)
	v_and_b32_e32 v3, 0x7f000000, v1
	v_clz_i32_u32_e32 v5, v3
	v_add_nc_u32_e32 v11, 0x1000000, v3
	v_cmp_ne_u32_e32 vcc_lo, 0, v3
	s_delay_alu instid0(VALU_DEP_3) | instskip(NEXT) | instid1(VALU_DEP_1)
	v_min_u32_e32 v5, 32, v5
	v_sub_nc_u32_e64 v5, v5, 4 clamp
	s_delay_alu instid0(VALU_DEP_1) | instskip(NEXT) | instid1(VALU_DEP_1)
	v_dual_lshlrev_b32 v7, v5, v3 :: v_dual_lshlrev_b32 v5, 23, v5
	v_lshrrev_b32_e32 v7, 4, v7
	s_delay_alu instid0(VALU_DEP_1) | instskip(NEXT) | instid1(VALU_DEP_1)
	v_dual_sub_nc_u32 v5, v7, v5 :: v_dual_ashrrev_i32 v7, 8, v11
	v_add_nc_u32_e32 v5, 0x3c000000, v5
	s_delay_alu instid0(VALU_DEP_1) | instskip(NEXT) | instid1(VALU_DEP_1)
	v_and_or_b32 v5, 0x7f800000, v7, v5
	v_cndmask_b32_e32 v3, 0, v5, vcc_lo
	s_delay_alu instid0(VALU_DEP_1) | instskip(NEXT) | instid1(VALU_DEP_1)
	v_and_or_b32 v1, 0x80000000, v1, v3
	v_trunc_f32_e32 v1, v1
	s_delay_alu instid0(VALU_DEP_1) | instskip(SKIP_1) | instid1(VALU_DEP_2)
	v_mul_f32_e64 v3, 0x2f800000, |v1|
	v_ashrrev_i32_e32 v22, 31, v1
	v_floor_f32_e32 v3, v3
	s_delay_alu instid0(VALU_DEP_2) | instskip(NEXT) | instid1(VALU_DEP_2)
	v_mov_b32_e32 v23, v22
	v_fma_f32 v5, 0xcf800000, v3, |v1|
	v_cvt_u32_f32_e32 v1, v3
	s_delay_alu instid0(VALU_DEP_2) | instskip(NEXT) | instid1(VALU_DEP_2)
	v_cvt_u32_f32_e32 v3, v5
	v_xor_b32_e32 v27, v1, v22
	s_delay_alu instid0(VALU_DEP_2) | instskip(NEXT) | instid1(VALU_DEP_1)
	v_xor_b32_e32 v26, v3, v22
	v_sub_nc_u64_e32 v[22:23], v[26:27], v[22:23]
.LBB55_2163:
	s_mov_b32 s14, 0
.LBB55_2164:
	s_delay_alu instid0(SALU_CYCLE_1)
	s_and_not1_b32 vcc_lo, exec_lo, s14
	s_cbranch_vccnz .LBB55_2166
; %bb.2165:
	global_load_u8 v1, v[24:25], off
	s_wait_loadcnt 0x0
	v_lshlrev_b32_e32 v3, 25, v1
	v_lshlrev_b16 v1, 8, v1
	s_delay_alu instid0(VALU_DEP_1) | instskip(SKIP_1) | instid1(VALU_DEP_2)
	v_and_or_b32 v7, 0x7f00, v1, 0.5
	v_bfe_i32 v1, v1, 0, 16
	v_add_f32_e32 v7, -0.5, v7
	v_lshrrev_b32_e32 v5, 4, v3
	v_cmp_gt_u32_e32 vcc_lo, 0x8000000, v3
	s_delay_alu instid0(VALU_DEP_2) | instskip(NEXT) | instid1(VALU_DEP_1)
	v_or_b32_e32 v5, 0x70000000, v5
	v_mul_f32_e32 v5, 0x7800000, v5
	s_delay_alu instid0(VALU_DEP_1) | instskip(NEXT) | instid1(VALU_DEP_1)
	v_cndmask_b32_e32 v3, v5, v7, vcc_lo
	v_and_or_b32 v1, 0x80000000, v1, v3
	s_delay_alu instid0(VALU_DEP_1) | instskip(NEXT) | instid1(VALU_DEP_1)
	v_trunc_f32_e32 v1, v1
	v_mul_f32_e64 v3, 0x2f800000, |v1|
	v_ashrrev_i32_e32 v22, 31, v1
	s_delay_alu instid0(VALU_DEP_2) | instskip(NEXT) | instid1(VALU_DEP_2)
	v_floor_f32_e32 v3, v3
	v_mov_b32_e32 v23, v22
	s_delay_alu instid0(VALU_DEP_2) | instskip(SKIP_1) | instid1(VALU_DEP_2)
	v_fma_f32 v5, 0xcf800000, v3, |v1|
	v_cvt_u32_f32_e32 v1, v3
	v_cvt_u32_f32_e32 v3, v5
	s_delay_alu instid0(VALU_DEP_2) | instskip(NEXT) | instid1(VALU_DEP_2)
	v_xor_b32_e32 v27, v1, v22
	v_xor_b32_e32 v26, v3, v22
	s_delay_alu instid0(VALU_DEP_1)
	v_sub_nc_u64_e32 v[22:23], v[26:27], v[22:23]
.LBB55_2166:
	s_mov_b32 s14, 0
	s_mov_b32 s15, -1
.LBB55_2167:
	s_and_not1_b32 vcc_lo, exec_lo, s14
	s_mov_b32 s14, 0
	s_cbranch_vccnz .LBB55_2178
; %bb.2168:
	s_cmp_gt_i32 s11, 14
	s_cbranch_scc0 .LBB55_2171
; %bb.2169:
	s_cmp_eq_u32 s11, 15
	s_cbranch_scc0 .LBB55_2174
; %bb.2170:
	global_load_u16 v1, v[24:25], off
	s_mov_b32 s13, 0
	s_mov_b32 s15, -1
	s_wait_loadcnt 0x0
	v_lshlrev_b32_e32 v1, 16, v1
	s_delay_alu instid0(VALU_DEP_1) | instskip(NEXT) | instid1(VALU_DEP_1)
	v_trunc_f32_e32 v1, v1
	v_mul_f32_e64 v3, 0x2f800000, |v1|
	v_ashrrev_i32_e32 v22, 31, v1
	s_delay_alu instid0(VALU_DEP_2) | instskip(NEXT) | instid1(VALU_DEP_2)
	v_floor_f32_e32 v3, v3
	v_mov_b32_e32 v23, v22
	s_delay_alu instid0(VALU_DEP_2) | instskip(SKIP_1) | instid1(VALU_DEP_2)
	v_fma_f32 v5, 0xcf800000, v3, |v1|
	v_cvt_u32_f32_e32 v1, v3
	v_cvt_u32_f32_e32 v3, v5
	s_delay_alu instid0(VALU_DEP_2) | instskip(NEXT) | instid1(VALU_DEP_2)
	v_xor_b32_e32 v27, v1, v22
	v_xor_b32_e32 v26, v3, v22
	s_delay_alu instid0(VALU_DEP_1)
	v_sub_nc_u64_e32 v[22:23], v[26:27], v[22:23]
	s_branch .LBB55_2176
.LBB55_2171:
	s_mov_b32 s14, -1
	s_branch .LBB55_2175
.LBB55_2172:
	s_and_not1_saveexec_b32 s14, s14
	s_cbranch_execz .LBB55_2153
.LBB55_2173:
	v_cmp_ne_u16_e32 vcc_lo, 0, v1
	s_and_not1_b32 s15, s15, exec_lo
	s_and_b32 s16, vcc_lo, exec_lo
	s_delay_alu instid0(SALU_CYCLE_1)
	s_or_b32 s15, s15, s16
	s_or_b32 exec_lo, exec_lo, s14
	v_mov_b64_e32 v[22:23], 0
	s_and_saveexec_b32 s14, s15
	s_cbranch_execnz .LBB55_2154
	s_branch .LBB55_2155
.LBB55_2174:
	s_mov_b32 s13, -1
.LBB55_2175:
                                        ; implicit-def: $vgpr22_vgpr23
.LBB55_2176:
	s_and_b32 vcc_lo, exec_lo, s14
	s_mov_b32 s14, 0
	s_cbranch_vccz .LBB55_2178
; %bb.2177:
	s_cmp_lg_u32 s11, 11
	s_mov_b32 s14, -1
	s_cselect_b32 s13, -1, 0
.LBB55_2178:
	s_delay_alu instid0(SALU_CYCLE_1)
	s_and_b32 vcc_lo, exec_lo, s13
	s_cbranch_vccnz .LBB55_2243
; %bb.2179:
	s_and_not1_b32 vcc_lo, exec_lo, s14
	s_cbranch_vccnz .LBB55_2181
.LBB55_2180:
	global_load_u8 v1, v[24:25], off
	s_mov_b32 s13, 0
	s_mov_b32 s15, -1
	s_wait_loadcnt 0x1
	v_mov_b32_e32 v23, s13
	s_wait_loadcnt 0x0
	v_cmp_ne_u16_e32 vcc_lo, 0, v1
	v_cndmask_b32_e64 v22, 0, 1, vcc_lo
.LBB55_2181:
	s_mov_b32 s13, 0
.LBB55_2182:
	s_delay_alu instid0(SALU_CYCLE_1)
	s_and_b32 vcc_lo, exec_lo, s13
	s_cbranch_vccz .LBB55_2231
; %bb.2183:
	s_cmp_lt_i32 s11, 5
	s_cbranch_scc1 .LBB55_2188
; %bb.2184:
	s_cmp_lt_i32 s11, 8
	s_cbranch_scc1 .LBB55_2189
	;; [unrolled: 3-line block ×3, first 2 shown]
; %bb.2186:
	s_cmp_gt_i32 s11, 9
	s_cbranch_scc0 .LBB55_2191
; %bb.2187:
	s_wait_loadcnt 0x0
	global_load_b64 v[22:23], v[24:25], off
	s_mov_b32 s13, 0
	s_wait_loadcnt 0x0
	v_trunc_f64_e32 v[22:23], v[22:23]
	s_delay_alu instid0(VALU_DEP_1) | instskip(NEXT) | instid1(VALU_DEP_1)
	v_ldexp_f64 v[26:27], v[22:23], 0xffffffe0
	v_floor_f64_e32 v[26:27], v[26:27]
	s_delay_alu instid0(VALU_DEP_1) | instskip(SKIP_1) | instid1(VALU_DEP_2)
	v_fmamk_f64 v[28:29], v[26:27], 0xc1f00000, v[22:23]
	v_cvt_i32_f64_e32 v23, v[26:27]
	v_cvt_u32_f64_e32 v22, v[28:29]
	s_branch .LBB55_2192
.LBB55_2188:
	s_mov_b32 s13, -1
                                        ; implicit-def: $vgpr22_vgpr23
	s_branch .LBB55_2210
.LBB55_2189:
	s_mov_b32 s13, -1
                                        ; implicit-def: $vgpr22_vgpr23
	s_branch .LBB55_2198
.LBB55_2190:
	s_mov_b32 s13, -1
                                        ; implicit-def: $vgpr22_vgpr23
	s_branch .LBB55_2195
.LBB55_2191:
	s_mov_b32 s13, -1
                                        ; implicit-def: $vgpr22_vgpr23
.LBB55_2192:
	s_delay_alu instid0(SALU_CYCLE_1)
	s_and_not1_b32 vcc_lo, exec_lo, s13
	s_cbranch_vccnz .LBB55_2194
; %bb.2193:
	global_load_b32 v1, v[24:25], off
	s_wait_loadcnt 0x0
	v_trunc_f32_e32 v1, v1
	s_delay_alu instid0(VALU_DEP_1) | instskip(SKIP_1) | instid1(VALU_DEP_2)
	v_mul_f32_e64 v3, 0x2f800000, |v1|
	v_ashrrev_i32_e32 v22, 31, v1
	v_floor_f32_e32 v3, v3
	s_delay_alu instid0(VALU_DEP_1) | instskip(SKIP_1) | instid1(VALU_DEP_4)
	v_fma_f32 v5, 0xcf800000, v3, |v1|
	v_cvt_u32_f32_e32 v1, v3
	v_mov_b32_e32 v23, v22
	s_delay_alu instid0(VALU_DEP_3) | instskip(NEXT) | instid1(VALU_DEP_3)
	v_cvt_u32_f32_e32 v3, v5
	v_xor_b32_e32 v27, v1, v22
	s_delay_alu instid0(VALU_DEP_2) | instskip(NEXT) | instid1(VALU_DEP_1)
	v_xor_b32_e32 v26, v3, v22
	v_sub_nc_u64_e32 v[22:23], v[26:27], v[22:23]
.LBB55_2194:
	s_mov_b32 s13, 0
.LBB55_2195:
	s_delay_alu instid0(SALU_CYCLE_1)
	s_and_not1_b32 vcc_lo, exec_lo, s13
	s_cbranch_vccnz .LBB55_2197
; %bb.2196:
	global_load_b32 v1, v[24:25], off
	s_wait_loadcnt 0x0
	v_cvt_f32_f16_e32 v1, v1
	s_delay_alu instid0(VALU_DEP_1) | instskip(NEXT) | instid1(VALU_DEP_1)
	v_cvt_i32_f32_e32 v22, v1
	v_ashrrev_i32_e32 v23, 31, v22
.LBB55_2197:
	s_mov_b32 s13, 0
.LBB55_2198:
	s_delay_alu instid0(SALU_CYCLE_1)
	s_and_not1_b32 vcc_lo, exec_lo, s13
	s_cbranch_vccnz .LBB55_2209
; %bb.2199:
	s_cmp_lt_i32 s11, 6
	s_cbranch_scc1 .LBB55_2202
; %bb.2200:
	s_cmp_gt_i32 s11, 6
	s_cbranch_scc0 .LBB55_2203
; %bb.2201:
	s_wait_loadcnt 0x0
	global_load_b64 v[22:23], v[24:25], off
	s_mov_b32 s13, 0
	s_wait_loadcnt 0x0
	v_trunc_f64_e32 v[22:23], v[22:23]
	s_delay_alu instid0(VALU_DEP_1) | instskip(NEXT) | instid1(VALU_DEP_1)
	v_ldexp_f64 v[26:27], v[22:23], 0xffffffe0
	v_floor_f64_e32 v[26:27], v[26:27]
	s_delay_alu instid0(VALU_DEP_1) | instskip(SKIP_1) | instid1(VALU_DEP_2)
	v_fmamk_f64 v[28:29], v[26:27], 0xc1f00000, v[22:23]
	v_cvt_i32_f64_e32 v23, v[26:27]
	v_cvt_u32_f64_e32 v22, v[28:29]
	s_branch .LBB55_2204
.LBB55_2202:
	s_mov_b32 s13, -1
                                        ; implicit-def: $vgpr22_vgpr23
	s_branch .LBB55_2207
.LBB55_2203:
	s_mov_b32 s13, -1
                                        ; implicit-def: $vgpr22_vgpr23
.LBB55_2204:
	s_delay_alu instid0(SALU_CYCLE_1)
	s_and_not1_b32 vcc_lo, exec_lo, s13
	s_cbranch_vccnz .LBB55_2206
; %bb.2205:
	global_load_b32 v1, v[24:25], off
	s_wait_loadcnt 0x0
	v_trunc_f32_e32 v1, v1
	s_delay_alu instid0(VALU_DEP_1) | instskip(SKIP_1) | instid1(VALU_DEP_2)
	v_mul_f32_e64 v3, 0x2f800000, |v1|
	v_ashrrev_i32_e32 v22, 31, v1
	v_floor_f32_e32 v3, v3
	s_delay_alu instid0(VALU_DEP_1) | instskip(SKIP_1) | instid1(VALU_DEP_4)
	v_fma_f32 v5, 0xcf800000, v3, |v1|
	v_cvt_u32_f32_e32 v1, v3
	v_mov_b32_e32 v23, v22
	s_delay_alu instid0(VALU_DEP_3) | instskip(NEXT) | instid1(VALU_DEP_3)
	v_cvt_u32_f32_e32 v3, v5
	v_xor_b32_e32 v27, v1, v22
	s_delay_alu instid0(VALU_DEP_2) | instskip(NEXT) | instid1(VALU_DEP_1)
	v_xor_b32_e32 v26, v3, v22
	v_sub_nc_u64_e32 v[22:23], v[26:27], v[22:23]
.LBB55_2206:
	s_mov_b32 s13, 0
.LBB55_2207:
	s_delay_alu instid0(SALU_CYCLE_1)
	s_and_not1_b32 vcc_lo, exec_lo, s13
	s_cbranch_vccnz .LBB55_2209
; %bb.2208:
	global_load_u16 v1, v[24:25], off
	s_wait_loadcnt 0x0
	v_cvt_f32_f16_e32 v1, v1
	s_delay_alu instid0(VALU_DEP_1) | instskip(NEXT) | instid1(VALU_DEP_1)
	v_cvt_i32_f32_e32 v22, v1
	v_ashrrev_i32_e32 v23, 31, v22
.LBB55_2209:
	s_mov_b32 s13, 0
.LBB55_2210:
	s_delay_alu instid0(SALU_CYCLE_1)
	s_and_not1_b32 vcc_lo, exec_lo, s13
	s_cbranch_vccnz .LBB55_2230
; %bb.2211:
	s_cmp_lt_i32 s11, 2
	s_cbranch_scc1 .LBB55_2215
; %bb.2212:
	s_cmp_lt_i32 s11, 3
	s_cbranch_scc1 .LBB55_2216
; %bb.2213:
	s_cmp_gt_i32 s11, 3
	s_cbranch_scc0 .LBB55_2217
; %bb.2214:
	s_wait_loadcnt 0x0
	global_load_b64 v[22:23], v[24:25], off
	s_mov_b32 s13, 0
	s_branch .LBB55_2218
.LBB55_2215:
	s_mov_b32 s13, -1
                                        ; implicit-def: $vgpr22_vgpr23
	s_branch .LBB55_2224
.LBB55_2216:
	s_mov_b32 s13, -1
                                        ; implicit-def: $vgpr22_vgpr23
	s_branch .LBB55_2221
.LBB55_2217:
	s_mov_b32 s13, -1
                                        ; implicit-def: $vgpr22_vgpr23
.LBB55_2218:
	s_delay_alu instid0(SALU_CYCLE_1)
	s_and_not1_b32 vcc_lo, exec_lo, s13
	s_cbranch_vccnz .LBB55_2220
; %bb.2219:
	s_wait_loadcnt 0x0
	global_load_b32 v22, v[24:25], off
	s_wait_loadcnt 0x0
	v_ashrrev_i32_e32 v23, 31, v22
.LBB55_2220:
	s_mov_b32 s13, 0
.LBB55_2221:
	s_delay_alu instid0(SALU_CYCLE_1)
	s_and_not1_b32 vcc_lo, exec_lo, s13
	s_cbranch_vccnz .LBB55_2223
; %bb.2222:
	global_load_u16 v1, v[24:25], off
	s_wait_loadcnt 0x0
	v_bfe_i32 v22, v1, 0, 16
	s_delay_alu instid0(VALU_DEP_1)
	v_ashrrev_i32_e32 v23, 31, v22
.LBB55_2223:
	s_mov_b32 s13, 0
.LBB55_2224:
	s_delay_alu instid0(SALU_CYCLE_1)
	s_and_not1_b32 vcc_lo, exec_lo, s13
	s_cbranch_vccnz .LBB55_2230
; %bb.2225:
	s_cmp_gt_i32 s11, 0
	s_mov_b32 s13, 0
	s_cbranch_scc0 .LBB55_2227
; %bb.2226:
	global_load_i8 v1, v[24:25], off
	s_wait_loadcnt 0x0
	v_bfe_i32 v22, v1, 0, 16
	s_delay_alu instid0(VALU_DEP_1)
	v_ashrrev_i32_e32 v23, 31, v22
	s_branch .LBB55_2228
.LBB55_2227:
	s_mov_b32 s13, -1
                                        ; implicit-def: $vgpr22_vgpr23
.LBB55_2228:
	s_delay_alu instid0(SALU_CYCLE_1)
	s_and_not1_b32 vcc_lo, exec_lo, s13
	s_cbranch_vccnz .LBB55_2230
; %bb.2229:
	global_load_u8 v1, v[24:25], off
	s_mov_b32 s13, 0
	s_wait_loadcnt 0x1
	v_mov_b32_e32 v23, s13
	s_wait_loadcnt 0x0
	v_and_b32_e32 v22, 0xffff, v1
.LBB55_2230:
	s_mov_b32 s15, -1
.LBB55_2231:
	s_delay_alu instid0(SALU_CYCLE_1)
	s_and_not1_b32 vcc_lo, exec_lo, s15
	s_cbranch_vccnz .LBB55_3047
; %bb.2232:
	v_mov_b32_e32 v21, 0
	s_cmp_lt_i32 s12, 11
	s_wait_xcnt 0x0
	s_delay_alu instid0(VALU_DEP_1)
	v_add_nc_u64_e32 v[24:25], s[0:1], v[20:21]
	s_cbranch_scc1 .LBB55_2239
; %bb.2233:
	s_cmp_gt_i32 s12, 25
	s_mov_b32 s14, 0
	s_cbranch_scc0 .LBB55_2240
; %bb.2234:
	s_cmp_gt_i32 s12, 28
	s_cbranch_scc0 .LBB55_2241
; %bb.2235:
	s_cmp_gt_i32 s12, 43
	s_cbranch_scc0 .LBB55_2242
; %bb.2236:
	s_cmp_gt_i32 s12, 45
	s_cbranch_scc0 .LBB55_2244
; %bb.2237:
	s_cmp_eq_u32 s12, 46
	s_mov_b32 s16, 0
	s_cbranch_scc0 .LBB55_2247
; %bb.2238:
	global_load_b32 v1, v[24:25], off
	s_mov_b32 s13, 0
	s_mov_b32 s15, -1
	s_wait_loadcnt 0x0
	v_lshlrev_b32_e32 v1, 16, v1
	s_delay_alu instid0(VALU_DEP_1) | instskip(NEXT) | instid1(VALU_DEP_1)
	v_trunc_f32_e32 v1, v1
	v_mul_f32_e64 v3, 0x2f800000, |v1|
	v_ashrrev_i32_e32 v20, 31, v1
	s_delay_alu instid0(VALU_DEP_2) | instskip(NEXT) | instid1(VALU_DEP_2)
	v_floor_f32_e32 v3, v3
	v_mov_b32_e32 v21, v20
	s_delay_alu instid0(VALU_DEP_2) | instskip(SKIP_1) | instid1(VALU_DEP_2)
	v_fma_f32 v5, 0xcf800000, v3, |v1|
	v_cvt_u32_f32_e32 v1, v3
	v_cvt_u32_f32_e32 v3, v5
	s_delay_alu instid0(VALU_DEP_2) | instskip(NEXT) | instid1(VALU_DEP_2)
	v_xor_b32_e32 v27, v1, v20
	v_xor_b32_e32 v26, v3, v20
	s_delay_alu instid0(VALU_DEP_1)
	v_sub_nc_u64_e32 v[20:21], v[26:27], v[20:21]
	s_branch .LBB55_2249
.LBB55_2239:
	s_mov_b32 s13, -1
	s_mov_b32 s15, 0
                                        ; implicit-def: $vgpr20_vgpr21
	s_branch .LBB55_2311
.LBB55_2240:
	s_mov_b32 s16, -1
	s_mov_b32 s15, 0
	s_mov_b32 s13, 0
                                        ; implicit-def: $vgpr20_vgpr21
	s_branch .LBB55_2276
.LBB55_2241:
	s_mov_b32 s16, -1
	s_mov_b32 s15, 0
	s_mov_b32 s13, 0
                                        ; implicit-def: $vgpr20_vgpr21
	s_branch .LBB55_2259
.LBB55_2242:
	s_mov_b32 s16, -1
	s_mov_b32 s15, 0
	s_mov_b32 s13, 0
                                        ; implicit-def: $vgpr20_vgpr21
	s_branch .LBB55_2254
.LBB55_2243:
	s_or_b32 s10, s10, exec_lo
	s_trap 2
	s_cbranch_execz .LBB55_2180
	s_branch .LBB55_2181
.LBB55_2244:
	s_mov_b32 s16, -1
	s_mov_b32 s15, 0
	s_mov_b32 s13, 0
	s_branch .LBB55_2248
.LBB55_2245:
	s_and_not1_saveexec_b32 s53, s53
	s_cbranch_execz .LBB55_1097
.LBB55_2246:
	v_add_f32_e32 v1, 0x42800000, v4
	s_and_not1_b32 s52, s52, exec_lo
	s_delay_alu instid0(VALU_DEP_1) | instskip(NEXT) | instid1(VALU_DEP_1)
	v_and_b32_e32 v1, 0xff, v1
	v_cmp_ne_u32_e32 vcc_lo, 0, v1
	s_and_b32 s54, vcc_lo, exec_lo
	s_delay_alu instid0(SALU_CYCLE_1)
	s_or_b32 s52, s52, s54
	s_or_b32 exec_lo, exec_lo, s53
	v_mov_b32_e32 v5, 0
	s_and_saveexec_b32 s53, s52
	s_cbranch_execnz .LBB55_1098
	s_branch .LBB55_1099
.LBB55_2247:
	s_mov_b32 s13, -1
	s_mov_b32 s15, 0
.LBB55_2248:
                                        ; implicit-def: $vgpr20_vgpr21
.LBB55_2249:
	s_and_b32 vcc_lo, exec_lo, s16
	s_cbranch_vccz .LBB55_2253
; %bb.2250:
	s_cmp_eq_u32 s12, 44
	s_cbranch_scc0 .LBB55_2252
; %bb.2251:
	global_load_u8 v1, v[24:25], off
	s_mov_b32 s13, 0
	s_mov_b32 s15, -1
	s_wait_loadcnt 0x0
	v_lshlrev_b32_e32 v3, 23, v1
	v_cmp_ne_u32_e32 vcc_lo, 0, v1
	s_delay_alu instid0(VALU_DEP_2) | instskip(NEXT) | instid1(VALU_DEP_1)
	v_trunc_f32_e32 v3, v3
	v_mul_f32_e64 v5, 0x2f800000, |v3|
	v_ashrrev_i32_e32 v20, 31, v3
	s_delay_alu instid0(VALU_DEP_2) | instskip(NEXT) | instid1(VALU_DEP_2)
	v_floor_f32_e32 v5, v5
	v_mov_b32_e32 v21, v20
	s_delay_alu instid0(VALU_DEP_2) | instskip(SKIP_1) | instid1(VALU_DEP_2)
	v_fma_f32 v7, 0xcf800000, v5, |v3|
	v_cvt_u32_f32_e32 v3, v5
	v_cvt_u32_f32_e32 v5, v7
	s_delay_alu instid0(VALU_DEP_2) | instskip(NEXT) | instid1(VALU_DEP_2)
	v_xor_b32_e32 v27, v3, v20
	v_xor_b32_e32 v26, v5, v20
	s_delay_alu instid0(VALU_DEP_1) | instskip(NEXT) | instid1(VALU_DEP_1)
	v_sub_nc_u64_e32 v[20:21], v[26:27], v[20:21]
	v_dual_cndmask_b32 v21, 0, v21 :: v_dual_cndmask_b32 v20, 0, v20
	s_branch .LBB55_2253
.LBB55_2252:
	s_mov_b32 s13, -1
                                        ; implicit-def: $vgpr20_vgpr21
.LBB55_2253:
	s_mov_b32 s16, 0
.LBB55_2254:
	s_delay_alu instid0(SALU_CYCLE_1)
	s_and_b32 vcc_lo, exec_lo, s16
	s_cbranch_vccz .LBB55_2258
; %bb.2255:
	s_cmp_eq_u32 s12, 29
	s_cbranch_scc0 .LBB55_2257
; %bb.2256:
	global_load_b64 v[20:21], v[24:25], off
	s_mov_b32 s13, 0
	s_mov_b32 s15, -1
	s_branch .LBB55_2258
.LBB55_2257:
	s_mov_b32 s13, -1
                                        ; implicit-def: $vgpr20_vgpr21
.LBB55_2258:
	s_mov_b32 s16, 0
.LBB55_2259:
	s_delay_alu instid0(SALU_CYCLE_1)
	s_and_b32 vcc_lo, exec_lo, s16
	s_cbranch_vccz .LBB55_2275
; %bb.2260:
	s_cmp_lt_i32 s12, 27
	s_cbranch_scc1 .LBB55_2263
; %bb.2261:
	s_cmp_gt_i32 s12, 27
	s_cbranch_scc0 .LBB55_2264
; %bb.2262:
	s_wait_loadcnt 0x0
	global_load_b32 v20, v[24:25], off
	v_mov_b32_e32 v21, 0
	s_mov_b32 s15, 0
	s_branch .LBB55_2265
.LBB55_2263:
	s_mov_b32 s15, -1
                                        ; implicit-def: $vgpr20_vgpr21
	s_branch .LBB55_2268
.LBB55_2264:
	s_mov_b32 s15, -1
                                        ; implicit-def: $vgpr20_vgpr21
.LBB55_2265:
	s_delay_alu instid0(SALU_CYCLE_1)
	s_and_not1_b32 vcc_lo, exec_lo, s15
	s_cbranch_vccnz .LBB55_2267
; %bb.2266:
	global_load_u16 v1, v[24:25], off
	s_mov_b32 s15, 0
	s_wait_loadcnt 0x1
	v_mov_b32_e32 v21, s15
	s_wait_loadcnt 0x0
	v_and_b32_e32 v20, 0xffff, v1
.LBB55_2267:
	s_mov_b32 s15, 0
.LBB55_2268:
	s_delay_alu instid0(SALU_CYCLE_1)
	s_and_not1_b32 vcc_lo, exec_lo, s15
	s_cbranch_vccnz .LBB55_2274
; %bb.2269:
	global_load_u8 v1, v[24:25], off
	s_mov_b32 s16, 0
	s_mov_b32 s15, exec_lo
	s_wait_loadcnt 0x0
	v_cmpx_lt_i16_e32 0x7f, v1
	s_xor_b32 s15, exec_lo, s15
	s_cbranch_execz .LBB55_2286
; %bb.2270:
	v_cmp_ne_u16_e32 vcc_lo, 0x80, v1
	s_and_b32 s16, vcc_lo, exec_lo
	s_and_not1_saveexec_b32 s15, s15
	s_cbranch_execnz .LBB55_2287
.LBB55_2271:
	s_or_b32 exec_lo, exec_lo, s15
	v_mov_b64_e32 v[20:21], 0
	s_and_saveexec_b32 s15, s16
	s_cbranch_execz .LBB55_2273
.LBB55_2272:
	v_and_b32_e32 v3, 0xffff, v1
	s_delay_alu instid0(VALU_DEP_1) | instskip(SKIP_1) | instid1(VALU_DEP_2)
	v_dual_lshlrev_b32 v1, 24, v1 :: v_dual_bitop2_b32 v5, 7, v3 bitop3:0x40
	v_bfe_u32 v17, v3, 3, 4
	v_and_b32_e32 v1, 0x80000000, v1
	s_delay_alu instid0(VALU_DEP_3) | instskip(NEXT) | instid1(VALU_DEP_3)
	v_clz_i32_u32_e32 v7, v5
	v_cmp_eq_u32_e32 vcc_lo, 0, v17
	s_delay_alu instid0(VALU_DEP_2) | instskip(NEXT) | instid1(VALU_DEP_1)
	v_min_u32_e32 v7, 32, v7
	v_subrev_nc_u32_e32 v11, 28, v7
	v_sub_nc_u32_e32 v7, 29, v7
	s_delay_alu instid0(VALU_DEP_2) | instskip(NEXT) | instid1(VALU_DEP_2)
	v_lshlrev_b32_e32 v3, v11, v3
	v_cndmask_b32_e32 v7, v17, v7, vcc_lo
	s_delay_alu instid0(VALU_DEP_2) | instskip(NEXT) | instid1(VALU_DEP_1)
	v_and_b32_e32 v3, 7, v3
	v_cndmask_b32_e32 v3, v5, v3, vcc_lo
	s_delay_alu instid0(VALU_DEP_3) | instskip(NEXT) | instid1(VALU_DEP_2)
	v_lshl_add_u32 v5, v7, 23, 0x3b800000
	v_lshlrev_b32_e32 v3, 20, v3
	s_delay_alu instid0(VALU_DEP_1) | instskip(NEXT) | instid1(VALU_DEP_1)
	v_or3_b32 v1, v1, v5, v3
	v_trunc_f32_e32 v1, v1
	s_delay_alu instid0(VALU_DEP_1) | instskip(SKIP_1) | instid1(VALU_DEP_2)
	v_mul_f32_e64 v3, 0x2f800000, |v1|
	v_ashrrev_i32_e32 v20, 31, v1
	v_floor_f32_e32 v3, v3
	s_delay_alu instid0(VALU_DEP_2) | instskip(NEXT) | instid1(VALU_DEP_2)
	v_mov_b32_e32 v21, v20
	v_fma_f32 v5, 0xcf800000, v3, |v1|
	v_cvt_u32_f32_e32 v1, v3
	s_delay_alu instid0(VALU_DEP_2) | instskip(NEXT) | instid1(VALU_DEP_2)
	v_cvt_u32_f32_e32 v3, v5
	v_xor_b32_e32 v27, v1, v20
	s_delay_alu instid0(VALU_DEP_2) | instskip(NEXT) | instid1(VALU_DEP_1)
	v_xor_b32_e32 v26, v3, v20
	v_sub_nc_u64_e32 v[20:21], v[26:27], v[20:21]
.LBB55_2273:
	s_or_b32 exec_lo, exec_lo, s15
.LBB55_2274:
	s_mov_b32 s15, -1
.LBB55_2275:
	s_mov_b32 s16, 0
.LBB55_2276:
	s_delay_alu instid0(SALU_CYCLE_1)
	s_and_b32 vcc_lo, exec_lo, s16
	s_cbranch_vccz .LBB55_2307
; %bb.2277:
	s_cmp_gt_i32 s12, 22
	s_cbranch_scc0 .LBB55_2285
; %bb.2278:
	s_cmp_lt_i32 s12, 24
	s_cbranch_scc1 .LBB55_2288
; %bb.2279:
	s_cmp_gt_i32 s12, 24
	s_cbranch_scc0 .LBB55_2289
; %bb.2280:
	global_load_u8 v1, v[24:25], off
	s_mov_b32 s15, 0
	s_mov_b32 s14, exec_lo
	s_wait_loadcnt 0x0
	v_cmpx_lt_i16_e32 0x7f, v1
	s_xor_b32 s14, exec_lo, s14
	s_cbranch_execz .LBB55_2301
; %bb.2281:
	v_cmp_ne_u16_e32 vcc_lo, 0x80, v1
	s_and_b32 s15, vcc_lo, exec_lo
	s_and_not1_saveexec_b32 s14, s14
	s_cbranch_execnz .LBB55_2302
.LBB55_2282:
	s_or_b32 exec_lo, exec_lo, s14
	v_mov_b64_e32 v[20:21], 0
	s_and_saveexec_b32 s14, s15
	s_cbranch_execz .LBB55_2284
.LBB55_2283:
	v_and_b32_e32 v3, 0xffff, v1
	s_delay_alu instid0(VALU_DEP_1) | instskip(SKIP_1) | instid1(VALU_DEP_2)
	v_dual_lshlrev_b32 v1, 24, v1 :: v_dual_bitop2_b32 v5, 3, v3 bitop3:0x40
	v_bfe_u32 v17, v3, 2, 5
	v_and_b32_e32 v1, 0x80000000, v1
	s_delay_alu instid0(VALU_DEP_3) | instskip(NEXT) | instid1(VALU_DEP_3)
	v_clz_i32_u32_e32 v7, v5
	v_cmp_eq_u32_e32 vcc_lo, 0, v17
	s_delay_alu instid0(VALU_DEP_2) | instskip(NEXT) | instid1(VALU_DEP_1)
	v_min_u32_e32 v7, 32, v7
	v_subrev_nc_u32_e32 v11, 29, v7
	v_sub_nc_u32_e32 v7, 30, v7
	s_delay_alu instid0(VALU_DEP_2) | instskip(NEXT) | instid1(VALU_DEP_2)
	v_lshlrev_b32_e32 v3, v11, v3
	v_cndmask_b32_e32 v7, v17, v7, vcc_lo
	s_delay_alu instid0(VALU_DEP_2) | instskip(NEXT) | instid1(VALU_DEP_1)
	v_and_b32_e32 v3, 3, v3
	v_cndmask_b32_e32 v3, v5, v3, vcc_lo
	s_delay_alu instid0(VALU_DEP_3) | instskip(NEXT) | instid1(VALU_DEP_2)
	v_lshl_add_u32 v5, v7, 23, 0x37800000
	v_lshlrev_b32_e32 v3, 21, v3
	s_delay_alu instid0(VALU_DEP_1) | instskip(NEXT) | instid1(VALU_DEP_1)
	v_or3_b32 v1, v1, v5, v3
	v_trunc_f32_e32 v1, v1
	s_delay_alu instid0(VALU_DEP_1) | instskip(SKIP_1) | instid1(VALU_DEP_2)
	v_mul_f32_e64 v3, 0x2f800000, |v1|
	v_ashrrev_i32_e32 v20, 31, v1
	v_floor_f32_e32 v3, v3
	s_delay_alu instid0(VALU_DEP_2) | instskip(NEXT) | instid1(VALU_DEP_2)
	v_mov_b32_e32 v21, v20
	v_fma_f32 v5, 0xcf800000, v3, |v1|
	v_cvt_u32_f32_e32 v1, v3
	s_delay_alu instid0(VALU_DEP_2) | instskip(NEXT) | instid1(VALU_DEP_2)
	v_cvt_u32_f32_e32 v3, v5
	v_xor_b32_e32 v27, v1, v20
	s_delay_alu instid0(VALU_DEP_2) | instskip(NEXT) | instid1(VALU_DEP_1)
	v_xor_b32_e32 v26, v3, v20
	v_sub_nc_u64_e32 v[20:21], v[26:27], v[20:21]
.LBB55_2284:
	s_or_b32 exec_lo, exec_lo, s14
	s_mov_b32 s14, 0
	s_branch .LBB55_2290
.LBB55_2285:
	s_mov_b32 s14, -1
                                        ; implicit-def: $vgpr20_vgpr21
	s_branch .LBB55_2296
.LBB55_2286:
	s_and_not1_saveexec_b32 s15, s15
	s_cbranch_execz .LBB55_2271
.LBB55_2287:
	v_cmp_ne_u16_e32 vcc_lo, 0, v1
	s_and_not1_b32 s16, s16, exec_lo
	s_and_b32 s17, vcc_lo, exec_lo
	s_delay_alu instid0(SALU_CYCLE_1)
	s_or_b32 s16, s16, s17
	s_or_b32 exec_lo, exec_lo, s15
	v_mov_b64_e32 v[20:21], 0
	s_and_saveexec_b32 s15, s16
	s_cbranch_execnz .LBB55_2272
	s_branch .LBB55_2273
.LBB55_2288:
	s_mov_b32 s14, -1
                                        ; implicit-def: $vgpr20_vgpr21
	s_branch .LBB55_2293
.LBB55_2289:
	s_mov_b32 s14, -1
                                        ; implicit-def: $vgpr20_vgpr21
.LBB55_2290:
	s_delay_alu instid0(SALU_CYCLE_1)
	s_and_b32 vcc_lo, exec_lo, s14
	s_cbranch_vccz .LBB55_2292
; %bb.2291:
	global_load_u8 v1, v[24:25], off
	s_wait_loadcnt 0x0
	v_lshlrev_b32_e32 v1, 24, v1
	s_delay_alu instid0(VALU_DEP_1) | instskip(NEXT) | instid1(VALU_DEP_1)
	v_and_b32_e32 v3, 0x7f000000, v1
	v_clz_i32_u32_e32 v5, v3
	v_add_nc_u32_e32 v11, 0x1000000, v3
	v_cmp_ne_u32_e32 vcc_lo, 0, v3
	s_delay_alu instid0(VALU_DEP_3) | instskip(NEXT) | instid1(VALU_DEP_1)
	v_min_u32_e32 v5, 32, v5
	v_sub_nc_u32_e64 v5, v5, 4 clamp
	s_delay_alu instid0(VALU_DEP_1) | instskip(NEXT) | instid1(VALU_DEP_1)
	v_dual_lshlrev_b32 v7, v5, v3 :: v_dual_lshlrev_b32 v5, 23, v5
	v_lshrrev_b32_e32 v7, 4, v7
	s_delay_alu instid0(VALU_DEP_1) | instskip(NEXT) | instid1(VALU_DEP_1)
	v_dual_sub_nc_u32 v5, v7, v5 :: v_dual_ashrrev_i32 v7, 8, v11
	v_add_nc_u32_e32 v5, 0x3c000000, v5
	s_delay_alu instid0(VALU_DEP_1) | instskip(NEXT) | instid1(VALU_DEP_1)
	v_and_or_b32 v5, 0x7f800000, v7, v5
	v_cndmask_b32_e32 v3, 0, v5, vcc_lo
	s_delay_alu instid0(VALU_DEP_1) | instskip(NEXT) | instid1(VALU_DEP_1)
	v_and_or_b32 v1, 0x80000000, v1, v3
	v_trunc_f32_e32 v1, v1
	s_delay_alu instid0(VALU_DEP_1) | instskip(SKIP_1) | instid1(VALU_DEP_2)
	v_mul_f32_e64 v3, 0x2f800000, |v1|
	v_ashrrev_i32_e32 v20, 31, v1
	v_floor_f32_e32 v3, v3
	s_delay_alu instid0(VALU_DEP_2) | instskip(NEXT) | instid1(VALU_DEP_2)
	v_mov_b32_e32 v21, v20
	v_fma_f32 v5, 0xcf800000, v3, |v1|
	v_cvt_u32_f32_e32 v1, v3
	s_delay_alu instid0(VALU_DEP_2) | instskip(NEXT) | instid1(VALU_DEP_2)
	v_cvt_u32_f32_e32 v3, v5
	v_xor_b32_e32 v27, v1, v20
	s_delay_alu instid0(VALU_DEP_2) | instskip(NEXT) | instid1(VALU_DEP_1)
	v_xor_b32_e32 v26, v3, v20
	v_sub_nc_u64_e32 v[20:21], v[26:27], v[20:21]
.LBB55_2292:
	s_mov_b32 s14, 0
.LBB55_2293:
	s_delay_alu instid0(SALU_CYCLE_1)
	s_and_not1_b32 vcc_lo, exec_lo, s14
	s_cbranch_vccnz .LBB55_2295
; %bb.2294:
	global_load_u8 v1, v[24:25], off
	s_wait_loadcnt 0x0
	v_lshlrev_b32_e32 v3, 25, v1
	v_lshlrev_b16 v1, 8, v1
	s_delay_alu instid0(VALU_DEP_1) | instskip(SKIP_1) | instid1(VALU_DEP_2)
	v_and_or_b32 v7, 0x7f00, v1, 0.5
	v_bfe_i32 v1, v1, 0, 16
	v_add_f32_e32 v7, -0.5, v7
	v_lshrrev_b32_e32 v5, 4, v3
	v_cmp_gt_u32_e32 vcc_lo, 0x8000000, v3
	s_delay_alu instid0(VALU_DEP_2) | instskip(NEXT) | instid1(VALU_DEP_1)
	v_or_b32_e32 v5, 0x70000000, v5
	v_mul_f32_e32 v5, 0x7800000, v5
	s_delay_alu instid0(VALU_DEP_1) | instskip(NEXT) | instid1(VALU_DEP_1)
	v_cndmask_b32_e32 v3, v5, v7, vcc_lo
	v_and_or_b32 v1, 0x80000000, v1, v3
	s_delay_alu instid0(VALU_DEP_1) | instskip(NEXT) | instid1(VALU_DEP_1)
	v_trunc_f32_e32 v1, v1
	v_mul_f32_e64 v3, 0x2f800000, |v1|
	v_ashrrev_i32_e32 v20, 31, v1
	s_delay_alu instid0(VALU_DEP_2) | instskip(NEXT) | instid1(VALU_DEP_2)
	v_floor_f32_e32 v3, v3
	v_mov_b32_e32 v21, v20
	s_delay_alu instid0(VALU_DEP_2) | instskip(SKIP_1) | instid1(VALU_DEP_2)
	v_fma_f32 v5, 0xcf800000, v3, |v1|
	v_cvt_u32_f32_e32 v1, v3
	v_cvt_u32_f32_e32 v3, v5
	s_delay_alu instid0(VALU_DEP_2) | instskip(NEXT) | instid1(VALU_DEP_2)
	v_xor_b32_e32 v27, v1, v20
	v_xor_b32_e32 v26, v3, v20
	s_delay_alu instid0(VALU_DEP_1)
	v_sub_nc_u64_e32 v[20:21], v[26:27], v[20:21]
.LBB55_2295:
	s_mov_b32 s14, 0
	s_mov_b32 s15, -1
.LBB55_2296:
	s_and_not1_b32 vcc_lo, exec_lo, s14
	s_mov_b32 s14, 0
	s_cbranch_vccnz .LBB55_2307
; %bb.2297:
	s_cmp_gt_i32 s12, 14
	s_cbranch_scc0 .LBB55_2300
; %bb.2298:
	s_cmp_eq_u32 s12, 15
	s_cbranch_scc0 .LBB55_2303
; %bb.2299:
	global_load_u16 v1, v[24:25], off
	s_mov_b32 s13, 0
	s_mov_b32 s15, -1
	s_wait_loadcnt 0x0
	v_lshlrev_b32_e32 v1, 16, v1
	s_delay_alu instid0(VALU_DEP_1) | instskip(NEXT) | instid1(VALU_DEP_1)
	v_trunc_f32_e32 v1, v1
	v_mul_f32_e64 v3, 0x2f800000, |v1|
	v_ashrrev_i32_e32 v20, 31, v1
	s_delay_alu instid0(VALU_DEP_2) | instskip(NEXT) | instid1(VALU_DEP_2)
	v_floor_f32_e32 v3, v3
	v_mov_b32_e32 v21, v20
	s_delay_alu instid0(VALU_DEP_2) | instskip(SKIP_1) | instid1(VALU_DEP_2)
	v_fma_f32 v5, 0xcf800000, v3, |v1|
	v_cvt_u32_f32_e32 v1, v3
	v_cvt_u32_f32_e32 v3, v5
	s_delay_alu instid0(VALU_DEP_2) | instskip(NEXT) | instid1(VALU_DEP_2)
	v_xor_b32_e32 v27, v1, v20
	v_xor_b32_e32 v26, v3, v20
	s_delay_alu instid0(VALU_DEP_1)
	v_sub_nc_u64_e32 v[20:21], v[26:27], v[20:21]
	s_branch .LBB55_2305
.LBB55_2300:
	s_mov_b32 s14, -1
	s_branch .LBB55_2304
.LBB55_2301:
	s_and_not1_saveexec_b32 s14, s14
	s_cbranch_execz .LBB55_2282
.LBB55_2302:
	v_cmp_ne_u16_e32 vcc_lo, 0, v1
	s_and_not1_b32 s15, s15, exec_lo
	s_and_b32 s16, vcc_lo, exec_lo
	s_delay_alu instid0(SALU_CYCLE_1)
	s_or_b32 s15, s15, s16
	s_or_b32 exec_lo, exec_lo, s14
	v_mov_b64_e32 v[20:21], 0
	s_and_saveexec_b32 s14, s15
	s_cbranch_execnz .LBB55_2283
	s_branch .LBB55_2284
.LBB55_2303:
	s_mov_b32 s13, -1
.LBB55_2304:
                                        ; implicit-def: $vgpr20_vgpr21
.LBB55_2305:
	s_and_b32 vcc_lo, exec_lo, s14
	s_mov_b32 s14, 0
	s_cbranch_vccz .LBB55_2307
; %bb.2306:
	s_cmp_lg_u32 s12, 11
	s_mov_b32 s14, -1
	s_cselect_b32 s13, -1, 0
.LBB55_2307:
	s_delay_alu instid0(SALU_CYCLE_1)
	s_and_b32 vcc_lo, exec_lo, s13
	s_cbranch_vccnz .LBB55_2372
; %bb.2308:
	s_and_not1_b32 vcc_lo, exec_lo, s14
	s_cbranch_vccnz .LBB55_2310
.LBB55_2309:
	global_load_u8 v1, v[24:25], off
	s_mov_b32 s13, 0
	s_mov_b32 s15, -1
	s_wait_loadcnt 0x1
	v_mov_b32_e32 v21, s13
	s_wait_loadcnt 0x0
	v_cmp_ne_u16_e32 vcc_lo, 0, v1
	v_cndmask_b32_e64 v20, 0, 1, vcc_lo
.LBB55_2310:
	s_mov_b32 s13, 0
.LBB55_2311:
	s_delay_alu instid0(SALU_CYCLE_1)
	s_and_b32 vcc_lo, exec_lo, s13
	s_cbranch_vccz .LBB55_2360
; %bb.2312:
	s_cmp_lt_i32 s12, 5
	s_cbranch_scc1 .LBB55_2317
; %bb.2313:
	s_cmp_lt_i32 s12, 8
	s_cbranch_scc1 .LBB55_2318
	;; [unrolled: 3-line block ×3, first 2 shown]
; %bb.2315:
	s_cmp_gt_i32 s12, 9
	s_cbranch_scc0 .LBB55_2320
; %bb.2316:
	s_wait_loadcnt 0x0
	global_load_b64 v[20:21], v[24:25], off
	s_mov_b32 s13, 0
	s_wait_loadcnt 0x0
	v_trunc_f64_e32 v[20:21], v[20:21]
	s_delay_alu instid0(VALU_DEP_1) | instskip(NEXT) | instid1(VALU_DEP_1)
	v_ldexp_f64 v[26:27], v[20:21], 0xffffffe0
	v_floor_f64_e32 v[26:27], v[26:27]
	s_delay_alu instid0(VALU_DEP_1) | instskip(SKIP_1) | instid1(VALU_DEP_2)
	v_fmamk_f64 v[28:29], v[26:27], 0xc1f00000, v[20:21]
	v_cvt_i32_f64_e32 v21, v[26:27]
	v_cvt_u32_f64_e32 v20, v[28:29]
	s_branch .LBB55_2321
.LBB55_2317:
	s_mov_b32 s13, -1
                                        ; implicit-def: $vgpr20_vgpr21
	s_branch .LBB55_2339
.LBB55_2318:
	s_mov_b32 s13, -1
                                        ; implicit-def: $vgpr20_vgpr21
	s_branch .LBB55_2327
.LBB55_2319:
	s_mov_b32 s13, -1
                                        ; implicit-def: $vgpr20_vgpr21
	s_branch .LBB55_2324
.LBB55_2320:
	s_mov_b32 s13, -1
                                        ; implicit-def: $vgpr20_vgpr21
.LBB55_2321:
	s_delay_alu instid0(SALU_CYCLE_1)
	s_and_not1_b32 vcc_lo, exec_lo, s13
	s_cbranch_vccnz .LBB55_2323
; %bb.2322:
	global_load_b32 v1, v[24:25], off
	s_wait_loadcnt 0x0
	v_trunc_f32_e32 v1, v1
	s_delay_alu instid0(VALU_DEP_1) | instskip(SKIP_1) | instid1(VALU_DEP_2)
	v_mul_f32_e64 v3, 0x2f800000, |v1|
	v_ashrrev_i32_e32 v20, 31, v1
	v_floor_f32_e32 v3, v3
	s_delay_alu instid0(VALU_DEP_1) | instskip(SKIP_1) | instid1(VALU_DEP_4)
	v_fma_f32 v5, 0xcf800000, v3, |v1|
	v_cvt_u32_f32_e32 v1, v3
	v_mov_b32_e32 v21, v20
	s_delay_alu instid0(VALU_DEP_3) | instskip(NEXT) | instid1(VALU_DEP_3)
	v_cvt_u32_f32_e32 v3, v5
	v_xor_b32_e32 v27, v1, v20
	s_delay_alu instid0(VALU_DEP_2) | instskip(NEXT) | instid1(VALU_DEP_1)
	v_xor_b32_e32 v26, v3, v20
	v_sub_nc_u64_e32 v[20:21], v[26:27], v[20:21]
.LBB55_2323:
	s_mov_b32 s13, 0
.LBB55_2324:
	s_delay_alu instid0(SALU_CYCLE_1)
	s_and_not1_b32 vcc_lo, exec_lo, s13
	s_cbranch_vccnz .LBB55_2326
; %bb.2325:
	global_load_b32 v1, v[24:25], off
	s_wait_loadcnt 0x0
	v_cvt_f32_f16_e32 v1, v1
	s_delay_alu instid0(VALU_DEP_1) | instskip(NEXT) | instid1(VALU_DEP_1)
	v_cvt_i32_f32_e32 v20, v1
	v_ashrrev_i32_e32 v21, 31, v20
.LBB55_2326:
	s_mov_b32 s13, 0
.LBB55_2327:
	s_delay_alu instid0(SALU_CYCLE_1)
	s_and_not1_b32 vcc_lo, exec_lo, s13
	s_cbranch_vccnz .LBB55_2338
; %bb.2328:
	s_cmp_lt_i32 s12, 6
	s_cbranch_scc1 .LBB55_2331
; %bb.2329:
	s_cmp_gt_i32 s12, 6
	s_cbranch_scc0 .LBB55_2332
; %bb.2330:
	s_wait_loadcnt 0x0
	global_load_b64 v[20:21], v[24:25], off
	s_mov_b32 s13, 0
	s_wait_loadcnt 0x0
	v_trunc_f64_e32 v[20:21], v[20:21]
	s_delay_alu instid0(VALU_DEP_1) | instskip(NEXT) | instid1(VALU_DEP_1)
	v_ldexp_f64 v[26:27], v[20:21], 0xffffffe0
	v_floor_f64_e32 v[26:27], v[26:27]
	s_delay_alu instid0(VALU_DEP_1) | instskip(SKIP_1) | instid1(VALU_DEP_2)
	v_fmamk_f64 v[28:29], v[26:27], 0xc1f00000, v[20:21]
	v_cvt_i32_f64_e32 v21, v[26:27]
	v_cvt_u32_f64_e32 v20, v[28:29]
	s_branch .LBB55_2333
.LBB55_2331:
	s_mov_b32 s13, -1
                                        ; implicit-def: $vgpr20_vgpr21
	s_branch .LBB55_2336
.LBB55_2332:
	s_mov_b32 s13, -1
                                        ; implicit-def: $vgpr20_vgpr21
.LBB55_2333:
	s_delay_alu instid0(SALU_CYCLE_1)
	s_and_not1_b32 vcc_lo, exec_lo, s13
	s_cbranch_vccnz .LBB55_2335
; %bb.2334:
	global_load_b32 v1, v[24:25], off
	s_wait_loadcnt 0x0
	v_trunc_f32_e32 v1, v1
	s_delay_alu instid0(VALU_DEP_1) | instskip(SKIP_1) | instid1(VALU_DEP_2)
	v_mul_f32_e64 v3, 0x2f800000, |v1|
	v_ashrrev_i32_e32 v20, 31, v1
	v_floor_f32_e32 v3, v3
	s_delay_alu instid0(VALU_DEP_1) | instskip(SKIP_1) | instid1(VALU_DEP_4)
	v_fma_f32 v5, 0xcf800000, v3, |v1|
	v_cvt_u32_f32_e32 v1, v3
	v_mov_b32_e32 v21, v20
	s_delay_alu instid0(VALU_DEP_3) | instskip(NEXT) | instid1(VALU_DEP_3)
	v_cvt_u32_f32_e32 v3, v5
	v_xor_b32_e32 v27, v1, v20
	s_delay_alu instid0(VALU_DEP_2) | instskip(NEXT) | instid1(VALU_DEP_1)
	v_xor_b32_e32 v26, v3, v20
	v_sub_nc_u64_e32 v[20:21], v[26:27], v[20:21]
.LBB55_2335:
	s_mov_b32 s13, 0
.LBB55_2336:
	s_delay_alu instid0(SALU_CYCLE_1)
	s_and_not1_b32 vcc_lo, exec_lo, s13
	s_cbranch_vccnz .LBB55_2338
; %bb.2337:
	global_load_u16 v1, v[24:25], off
	s_wait_loadcnt 0x0
	v_cvt_f32_f16_e32 v1, v1
	s_delay_alu instid0(VALU_DEP_1) | instskip(NEXT) | instid1(VALU_DEP_1)
	v_cvt_i32_f32_e32 v20, v1
	v_ashrrev_i32_e32 v21, 31, v20
.LBB55_2338:
	s_mov_b32 s13, 0
.LBB55_2339:
	s_delay_alu instid0(SALU_CYCLE_1)
	s_and_not1_b32 vcc_lo, exec_lo, s13
	s_cbranch_vccnz .LBB55_2359
; %bb.2340:
	s_cmp_lt_i32 s12, 2
	s_cbranch_scc1 .LBB55_2344
; %bb.2341:
	s_cmp_lt_i32 s12, 3
	s_cbranch_scc1 .LBB55_2345
; %bb.2342:
	s_cmp_gt_i32 s12, 3
	s_cbranch_scc0 .LBB55_2346
; %bb.2343:
	s_wait_loadcnt 0x0
	global_load_b64 v[20:21], v[24:25], off
	s_mov_b32 s13, 0
	s_branch .LBB55_2347
.LBB55_2344:
	s_mov_b32 s13, -1
                                        ; implicit-def: $vgpr20_vgpr21
	s_branch .LBB55_2353
.LBB55_2345:
	s_mov_b32 s13, -1
                                        ; implicit-def: $vgpr20_vgpr21
	s_branch .LBB55_2350
.LBB55_2346:
	s_mov_b32 s13, -1
                                        ; implicit-def: $vgpr20_vgpr21
.LBB55_2347:
	s_delay_alu instid0(SALU_CYCLE_1)
	s_and_not1_b32 vcc_lo, exec_lo, s13
	s_cbranch_vccnz .LBB55_2349
; %bb.2348:
	s_wait_loadcnt 0x0
	global_load_b32 v20, v[24:25], off
	s_wait_loadcnt 0x0
	v_ashrrev_i32_e32 v21, 31, v20
.LBB55_2349:
	s_mov_b32 s13, 0
.LBB55_2350:
	s_delay_alu instid0(SALU_CYCLE_1)
	s_and_not1_b32 vcc_lo, exec_lo, s13
	s_cbranch_vccnz .LBB55_2352
; %bb.2351:
	global_load_u16 v1, v[24:25], off
	s_wait_loadcnt 0x0
	v_bfe_i32 v20, v1, 0, 16
	s_delay_alu instid0(VALU_DEP_1)
	v_ashrrev_i32_e32 v21, 31, v20
.LBB55_2352:
	s_mov_b32 s13, 0
.LBB55_2353:
	s_delay_alu instid0(SALU_CYCLE_1)
	s_and_not1_b32 vcc_lo, exec_lo, s13
	s_cbranch_vccnz .LBB55_2359
; %bb.2354:
	s_cmp_gt_i32 s12, 0
	s_mov_b32 s13, 0
	s_cbranch_scc0 .LBB55_2356
; %bb.2355:
	global_load_i8 v1, v[24:25], off
	s_wait_loadcnt 0x0
	v_bfe_i32 v20, v1, 0, 16
	s_delay_alu instid0(VALU_DEP_1)
	v_ashrrev_i32_e32 v21, 31, v20
	s_branch .LBB55_2357
.LBB55_2356:
	s_mov_b32 s13, -1
                                        ; implicit-def: $vgpr20_vgpr21
.LBB55_2357:
	s_delay_alu instid0(SALU_CYCLE_1)
	s_and_not1_b32 vcc_lo, exec_lo, s13
	s_cbranch_vccnz .LBB55_2359
; %bb.2358:
	global_load_u8 v1, v[24:25], off
	s_mov_b32 s13, 0
	s_wait_loadcnt 0x1
	v_mov_b32_e32 v21, s13
	s_wait_loadcnt 0x0
	v_and_b32_e32 v20, 0xffff, v1
.LBB55_2359:
	s_mov_b32 s15, -1
.LBB55_2360:
	s_delay_alu instid0(SALU_CYCLE_1)
	s_and_not1_b32 vcc_lo, exec_lo, s15
	s_cbranch_vccnz .LBB55_3047
; %bb.2361:
	v_mov_b32_e32 v17, 0
	s_cmp_lt_i32 s11, 11
	s_wait_xcnt 0x0
	s_delay_alu instid0(VALU_DEP_1)
	v_add_nc_u64_e32 v[24:25], s[6:7], v[16:17]
	s_cbranch_scc1 .LBB55_2368
; %bb.2362:
	s_cmp_gt_i32 s11, 25
	s_mov_b32 s7, 0
	s_cbranch_scc0 .LBB55_2369
; %bb.2363:
	s_cmp_gt_i32 s11, 28
	s_cbranch_scc0 .LBB55_2370
; %bb.2364:
	s_cmp_gt_i32 s11, 43
	;; [unrolled: 3-line block ×3, first 2 shown]
	s_cbranch_scc0 .LBB55_2373
; %bb.2366:
	s_cmp_eq_u32 s11, 46
	s_mov_b32 s14, 0
	s_cbranch_scc0 .LBB55_2374
; %bb.2367:
	global_load_b32 v1, v[24:25], off
	s_mov_b32 s6, 0
	s_mov_b32 s13, -1
	s_wait_loadcnt 0x0
	v_lshlrev_b32_e32 v1, 16, v1
	s_delay_alu instid0(VALU_DEP_1) | instskip(NEXT) | instid1(VALU_DEP_1)
	v_trunc_f32_e32 v1, v1
	v_mul_f32_e64 v3, 0x2f800000, |v1|
	v_ashrrev_i32_e32 v16, 31, v1
	s_delay_alu instid0(VALU_DEP_2) | instskip(NEXT) | instid1(VALU_DEP_2)
	v_floor_f32_e32 v3, v3
	v_mov_b32_e32 v17, v16
	s_delay_alu instid0(VALU_DEP_2) | instskip(SKIP_1) | instid1(VALU_DEP_2)
	v_fma_f32 v5, 0xcf800000, v3, |v1|
	v_cvt_u32_f32_e32 v1, v3
	v_cvt_u32_f32_e32 v3, v5
	s_delay_alu instid0(VALU_DEP_2) | instskip(NEXT) | instid1(VALU_DEP_2)
	v_xor_b32_e32 v27, v1, v16
	v_xor_b32_e32 v26, v3, v16
	s_delay_alu instid0(VALU_DEP_1)
	v_sub_nc_u64_e32 v[16:17], v[26:27], v[16:17]
	s_branch .LBB55_2376
.LBB55_2368:
	s_mov_b32 s6, -1
	s_mov_b32 s13, 0
                                        ; implicit-def: $vgpr16_vgpr17
	s_branch .LBB55_2438
.LBB55_2369:
	s_mov_b32 s14, -1
	s_mov_b32 s13, 0
	s_mov_b32 s6, 0
                                        ; implicit-def: $vgpr16_vgpr17
	s_branch .LBB55_2403
.LBB55_2370:
	s_mov_b32 s14, -1
	s_mov_b32 s13, 0
	s_mov_b32 s6, 0
                                        ; implicit-def: $vgpr16_vgpr17
	s_branch .LBB55_2386
.LBB55_2371:
	s_mov_b32 s14, -1
	s_mov_b32 s13, 0
	s_mov_b32 s6, 0
                                        ; implicit-def: $vgpr16_vgpr17
	s_branch .LBB55_2381
.LBB55_2372:
	s_or_b32 s10, s10, exec_lo
	s_trap 2
	s_cbranch_execz .LBB55_2309
	s_branch .LBB55_2310
.LBB55_2373:
	s_mov_b32 s14, -1
	s_mov_b32 s13, 0
	s_mov_b32 s6, 0
	s_branch .LBB55_2375
.LBB55_2374:
	s_mov_b32 s6, -1
	s_mov_b32 s13, 0
.LBB55_2375:
                                        ; implicit-def: $vgpr16_vgpr17
.LBB55_2376:
	s_and_b32 vcc_lo, exec_lo, s14
	s_cbranch_vccz .LBB55_2380
; %bb.2377:
	s_cmp_eq_u32 s11, 44
	s_cbranch_scc0 .LBB55_2379
; %bb.2378:
	global_load_u8 v1, v[24:25], off
	s_mov_b32 s6, 0
	s_mov_b32 s13, -1
	s_wait_loadcnt 0x0
	v_lshlrev_b32_e32 v3, 23, v1
	v_cmp_ne_u32_e32 vcc_lo, 0, v1
	s_delay_alu instid0(VALU_DEP_2) | instskip(NEXT) | instid1(VALU_DEP_1)
	v_trunc_f32_e32 v3, v3
	v_mul_f32_e64 v5, 0x2f800000, |v3|
	v_ashrrev_i32_e32 v16, 31, v3
	s_delay_alu instid0(VALU_DEP_2) | instskip(NEXT) | instid1(VALU_DEP_2)
	v_floor_f32_e32 v5, v5
	v_mov_b32_e32 v17, v16
	s_delay_alu instid0(VALU_DEP_2) | instskip(SKIP_1) | instid1(VALU_DEP_2)
	v_fma_f32 v7, 0xcf800000, v5, |v3|
	v_cvt_u32_f32_e32 v3, v5
	v_cvt_u32_f32_e32 v5, v7
	s_delay_alu instid0(VALU_DEP_2) | instskip(NEXT) | instid1(VALU_DEP_2)
	v_xor_b32_e32 v27, v3, v16
	v_xor_b32_e32 v26, v5, v16
	s_delay_alu instid0(VALU_DEP_1) | instskip(NEXT) | instid1(VALU_DEP_1)
	v_sub_nc_u64_e32 v[16:17], v[26:27], v[16:17]
	v_dual_cndmask_b32 v17, 0, v17 :: v_dual_cndmask_b32 v16, 0, v16
	s_branch .LBB55_2380
.LBB55_2379:
	s_mov_b32 s6, -1
                                        ; implicit-def: $vgpr16_vgpr17
.LBB55_2380:
	s_mov_b32 s14, 0
.LBB55_2381:
	s_delay_alu instid0(SALU_CYCLE_1)
	s_and_b32 vcc_lo, exec_lo, s14
	s_cbranch_vccz .LBB55_2385
; %bb.2382:
	s_cmp_eq_u32 s11, 29
	s_cbranch_scc0 .LBB55_2384
; %bb.2383:
	global_load_b64 v[16:17], v[24:25], off
	s_mov_b32 s6, 0
	s_mov_b32 s13, -1
	s_branch .LBB55_2385
.LBB55_2384:
	s_mov_b32 s6, -1
                                        ; implicit-def: $vgpr16_vgpr17
.LBB55_2385:
	s_mov_b32 s14, 0
.LBB55_2386:
	s_delay_alu instid0(SALU_CYCLE_1)
	s_and_b32 vcc_lo, exec_lo, s14
	s_cbranch_vccz .LBB55_2402
; %bb.2387:
	s_cmp_lt_i32 s11, 27
	s_cbranch_scc1 .LBB55_2390
; %bb.2388:
	s_cmp_gt_i32 s11, 27
	s_cbranch_scc0 .LBB55_2391
; %bb.2389:
	s_wait_loadcnt 0x0
	global_load_b32 v16, v[24:25], off
	v_mov_b32_e32 v17, 0
	s_mov_b32 s13, 0
	s_branch .LBB55_2392
.LBB55_2390:
	s_mov_b32 s13, -1
                                        ; implicit-def: $vgpr16_vgpr17
	s_branch .LBB55_2395
.LBB55_2391:
	s_mov_b32 s13, -1
                                        ; implicit-def: $vgpr16_vgpr17
.LBB55_2392:
	s_delay_alu instid0(SALU_CYCLE_1)
	s_and_not1_b32 vcc_lo, exec_lo, s13
	s_cbranch_vccnz .LBB55_2394
; %bb.2393:
	global_load_u16 v1, v[24:25], off
	s_mov_b32 s13, 0
	s_wait_loadcnt 0x1
	v_mov_b32_e32 v17, s13
	s_wait_loadcnt 0x0
	v_and_b32_e32 v16, 0xffff, v1
.LBB55_2394:
	s_mov_b32 s13, 0
.LBB55_2395:
	s_delay_alu instid0(SALU_CYCLE_1)
	s_and_not1_b32 vcc_lo, exec_lo, s13
	s_cbranch_vccnz .LBB55_2401
; %bb.2396:
	global_load_u8 v1, v[24:25], off
	s_mov_b32 s14, 0
	s_mov_b32 s13, exec_lo
	s_wait_loadcnt 0x0
	v_cmpx_lt_i16_e32 0x7f, v1
	s_xor_b32 s13, exec_lo, s13
	s_cbranch_execz .LBB55_2413
; %bb.2397:
	v_cmp_ne_u16_e32 vcc_lo, 0x80, v1
	s_and_b32 s14, vcc_lo, exec_lo
	s_and_not1_saveexec_b32 s13, s13
	s_cbranch_execnz .LBB55_2414
.LBB55_2398:
	s_or_b32 exec_lo, exec_lo, s13
	v_mov_b64_e32 v[16:17], 0
	s_and_saveexec_b32 s13, s14
	s_cbranch_execz .LBB55_2400
.LBB55_2399:
	v_and_b32_e32 v3, 0xffff, v1
	s_delay_alu instid0(VALU_DEP_1) | instskip(SKIP_1) | instid1(VALU_DEP_2)
	v_dual_lshlrev_b32 v1, 24, v1 :: v_dual_bitop2_b32 v5, 7, v3 bitop3:0x40
	v_bfe_u32 v16, v3, 3, 4
	v_and_b32_e32 v1, 0x80000000, v1
	s_delay_alu instid0(VALU_DEP_3) | instskip(NEXT) | instid1(VALU_DEP_3)
	v_clz_i32_u32_e32 v7, v5
	v_cmp_eq_u32_e32 vcc_lo, 0, v16
	s_delay_alu instid0(VALU_DEP_2) | instskip(NEXT) | instid1(VALU_DEP_1)
	v_min_u32_e32 v7, 32, v7
	v_subrev_nc_u32_e32 v11, 28, v7
	v_sub_nc_u32_e32 v7, 29, v7
	s_delay_alu instid0(VALU_DEP_2) | instskip(NEXT) | instid1(VALU_DEP_2)
	v_lshlrev_b32_e32 v3, v11, v3
	v_cndmask_b32_e32 v7, v16, v7, vcc_lo
	s_delay_alu instid0(VALU_DEP_2) | instskip(NEXT) | instid1(VALU_DEP_1)
	v_and_b32_e32 v3, 7, v3
	v_cndmask_b32_e32 v3, v5, v3, vcc_lo
	s_delay_alu instid0(VALU_DEP_3) | instskip(NEXT) | instid1(VALU_DEP_2)
	v_lshl_add_u32 v5, v7, 23, 0x3b800000
	v_lshlrev_b32_e32 v3, 20, v3
	s_delay_alu instid0(VALU_DEP_1) | instskip(NEXT) | instid1(VALU_DEP_1)
	v_or3_b32 v1, v1, v5, v3
	v_trunc_f32_e32 v1, v1
	s_delay_alu instid0(VALU_DEP_1) | instskip(SKIP_1) | instid1(VALU_DEP_2)
	v_mul_f32_e64 v3, 0x2f800000, |v1|
	v_ashrrev_i32_e32 v16, 31, v1
	v_floor_f32_e32 v3, v3
	s_delay_alu instid0(VALU_DEP_2) | instskip(NEXT) | instid1(VALU_DEP_2)
	v_mov_b32_e32 v17, v16
	v_fma_f32 v5, 0xcf800000, v3, |v1|
	v_cvt_u32_f32_e32 v1, v3
	s_delay_alu instid0(VALU_DEP_2) | instskip(NEXT) | instid1(VALU_DEP_2)
	v_cvt_u32_f32_e32 v3, v5
	v_xor_b32_e32 v27, v1, v16
	s_delay_alu instid0(VALU_DEP_2) | instskip(NEXT) | instid1(VALU_DEP_1)
	v_xor_b32_e32 v26, v3, v16
	v_sub_nc_u64_e32 v[16:17], v[26:27], v[16:17]
.LBB55_2400:
	s_or_b32 exec_lo, exec_lo, s13
.LBB55_2401:
	s_mov_b32 s13, -1
.LBB55_2402:
	s_mov_b32 s14, 0
.LBB55_2403:
	s_delay_alu instid0(SALU_CYCLE_1)
	s_and_b32 vcc_lo, exec_lo, s14
	s_cbranch_vccz .LBB55_2434
; %bb.2404:
	s_cmp_gt_i32 s11, 22
	s_cbranch_scc0 .LBB55_2412
; %bb.2405:
	s_cmp_lt_i32 s11, 24
	s_cbranch_scc1 .LBB55_2415
; %bb.2406:
	s_cmp_gt_i32 s11, 24
	s_cbranch_scc0 .LBB55_2416
; %bb.2407:
	global_load_u8 v1, v[24:25], off
	s_mov_b32 s13, 0
	s_mov_b32 s7, exec_lo
	s_wait_loadcnt 0x0
	v_cmpx_lt_i16_e32 0x7f, v1
	s_xor_b32 s7, exec_lo, s7
	s_cbranch_execz .LBB55_2428
; %bb.2408:
	v_cmp_ne_u16_e32 vcc_lo, 0x80, v1
	s_and_b32 s13, vcc_lo, exec_lo
	s_and_not1_saveexec_b32 s7, s7
	s_cbranch_execnz .LBB55_2429
.LBB55_2409:
	s_or_b32 exec_lo, exec_lo, s7
	v_mov_b64_e32 v[16:17], 0
	s_and_saveexec_b32 s7, s13
	s_cbranch_execz .LBB55_2411
.LBB55_2410:
	v_and_b32_e32 v3, 0xffff, v1
	s_delay_alu instid0(VALU_DEP_1) | instskip(SKIP_1) | instid1(VALU_DEP_2)
	v_dual_lshlrev_b32 v1, 24, v1 :: v_dual_bitop2_b32 v5, 3, v3 bitop3:0x40
	v_bfe_u32 v16, v3, 2, 5
	v_and_b32_e32 v1, 0x80000000, v1
	s_delay_alu instid0(VALU_DEP_3) | instskip(NEXT) | instid1(VALU_DEP_3)
	v_clz_i32_u32_e32 v7, v5
	v_cmp_eq_u32_e32 vcc_lo, 0, v16
	s_delay_alu instid0(VALU_DEP_2) | instskip(NEXT) | instid1(VALU_DEP_1)
	v_min_u32_e32 v7, 32, v7
	v_subrev_nc_u32_e32 v11, 29, v7
	v_sub_nc_u32_e32 v7, 30, v7
	s_delay_alu instid0(VALU_DEP_2) | instskip(NEXT) | instid1(VALU_DEP_2)
	v_lshlrev_b32_e32 v3, v11, v3
	v_cndmask_b32_e32 v7, v16, v7, vcc_lo
	s_delay_alu instid0(VALU_DEP_2) | instskip(NEXT) | instid1(VALU_DEP_1)
	v_and_b32_e32 v3, 3, v3
	v_cndmask_b32_e32 v3, v5, v3, vcc_lo
	s_delay_alu instid0(VALU_DEP_3) | instskip(NEXT) | instid1(VALU_DEP_2)
	v_lshl_add_u32 v5, v7, 23, 0x37800000
	v_lshlrev_b32_e32 v3, 21, v3
	s_delay_alu instid0(VALU_DEP_1) | instskip(NEXT) | instid1(VALU_DEP_1)
	v_or3_b32 v1, v1, v5, v3
	v_trunc_f32_e32 v1, v1
	s_delay_alu instid0(VALU_DEP_1) | instskip(SKIP_1) | instid1(VALU_DEP_2)
	v_mul_f32_e64 v3, 0x2f800000, |v1|
	v_ashrrev_i32_e32 v16, 31, v1
	v_floor_f32_e32 v3, v3
	s_delay_alu instid0(VALU_DEP_2) | instskip(NEXT) | instid1(VALU_DEP_2)
	v_mov_b32_e32 v17, v16
	v_fma_f32 v5, 0xcf800000, v3, |v1|
	v_cvt_u32_f32_e32 v1, v3
	s_delay_alu instid0(VALU_DEP_2) | instskip(NEXT) | instid1(VALU_DEP_2)
	v_cvt_u32_f32_e32 v3, v5
	v_xor_b32_e32 v27, v1, v16
	s_delay_alu instid0(VALU_DEP_2) | instskip(NEXT) | instid1(VALU_DEP_1)
	v_xor_b32_e32 v26, v3, v16
	v_sub_nc_u64_e32 v[16:17], v[26:27], v[16:17]
.LBB55_2411:
	s_or_b32 exec_lo, exec_lo, s7
	s_mov_b32 s7, 0
	s_branch .LBB55_2417
.LBB55_2412:
	s_mov_b32 s7, -1
                                        ; implicit-def: $vgpr16_vgpr17
	s_branch .LBB55_2423
.LBB55_2413:
	s_and_not1_saveexec_b32 s13, s13
	s_cbranch_execz .LBB55_2398
.LBB55_2414:
	v_cmp_ne_u16_e32 vcc_lo, 0, v1
	s_and_not1_b32 s14, s14, exec_lo
	s_and_b32 s15, vcc_lo, exec_lo
	s_delay_alu instid0(SALU_CYCLE_1)
	s_or_b32 s14, s14, s15
	s_or_b32 exec_lo, exec_lo, s13
	v_mov_b64_e32 v[16:17], 0
	s_and_saveexec_b32 s13, s14
	s_cbranch_execnz .LBB55_2399
	s_branch .LBB55_2400
.LBB55_2415:
	s_mov_b32 s7, -1
                                        ; implicit-def: $vgpr16_vgpr17
	s_branch .LBB55_2420
.LBB55_2416:
	s_mov_b32 s7, -1
                                        ; implicit-def: $vgpr16_vgpr17
.LBB55_2417:
	s_delay_alu instid0(SALU_CYCLE_1)
	s_and_b32 vcc_lo, exec_lo, s7
	s_cbranch_vccz .LBB55_2419
; %bb.2418:
	global_load_u8 v1, v[24:25], off
	s_wait_loadcnt 0x0
	v_lshlrev_b32_e32 v1, 24, v1
	s_delay_alu instid0(VALU_DEP_1) | instskip(NEXT) | instid1(VALU_DEP_1)
	v_and_b32_e32 v3, 0x7f000000, v1
	v_clz_i32_u32_e32 v5, v3
	v_add_nc_u32_e32 v11, 0x1000000, v3
	v_cmp_ne_u32_e32 vcc_lo, 0, v3
	s_delay_alu instid0(VALU_DEP_3) | instskip(NEXT) | instid1(VALU_DEP_1)
	v_min_u32_e32 v5, 32, v5
	v_sub_nc_u32_e64 v5, v5, 4 clamp
	s_delay_alu instid0(VALU_DEP_1) | instskip(NEXT) | instid1(VALU_DEP_1)
	v_dual_lshlrev_b32 v7, v5, v3 :: v_dual_lshlrev_b32 v5, 23, v5
	v_lshrrev_b32_e32 v7, 4, v7
	s_delay_alu instid0(VALU_DEP_1) | instskip(NEXT) | instid1(VALU_DEP_1)
	v_dual_sub_nc_u32 v5, v7, v5 :: v_dual_ashrrev_i32 v7, 8, v11
	v_add_nc_u32_e32 v5, 0x3c000000, v5
	s_delay_alu instid0(VALU_DEP_1) | instskip(NEXT) | instid1(VALU_DEP_1)
	v_and_or_b32 v5, 0x7f800000, v7, v5
	v_cndmask_b32_e32 v3, 0, v5, vcc_lo
	s_delay_alu instid0(VALU_DEP_1) | instskip(NEXT) | instid1(VALU_DEP_1)
	v_and_or_b32 v1, 0x80000000, v1, v3
	v_trunc_f32_e32 v1, v1
	s_delay_alu instid0(VALU_DEP_1) | instskip(SKIP_1) | instid1(VALU_DEP_2)
	v_mul_f32_e64 v3, 0x2f800000, |v1|
	v_ashrrev_i32_e32 v16, 31, v1
	v_floor_f32_e32 v3, v3
	s_delay_alu instid0(VALU_DEP_2) | instskip(NEXT) | instid1(VALU_DEP_2)
	v_mov_b32_e32 v17, v16
	v_fma_f32 v5, 0xcf800000, v3, |v1|
	v_cvt_u32_f32_e32 v1, v3
	s_delay_alu instid0(VALU_DEP_2) | instskip(NEXT) | instid1(VALU_DEP_2)
	v_cvt_u32_f32_e32 v3, v5
	v_xor_b32_e32 v27, v1, v16
	s_delay_alu instid0(VALU_DEP_2) | instskip(NEXT) | instid1(VALU_DEP_1)
	v_xor_b32_e32 v26, v3, v16
	v_sub_nc_u64_e32 v[16:17], v[26:27], v[16:17]
.LBB55_2419:
	s_mov_b32 s7, 0
.LBB55_2420:
	s_delay_alu instid0(SALU_CYCLE_1)
	s_and_not1_b32 vcc_lo, exec_lo, s7
	s_cbranch_vccnz .LBB55_2422
; %bb.2421:
	global_load_u8 v1, v[24:25], off
	s_wait_loadcnt 0x0
	v_lshlrev_b32_e32 v3, 25, v1
	v_lshlrev_b16 v1, 8, v1
	s_delay_alu instid0(VALU_DEP_1) | instskip(SKIP_1) | instid1(VALU_DEP_2)
	v_and_or_b32 v7, 0x7f00, v1, 0.5
	v_bfe_i32 v1, v1, 0, 16
	v_add_f32_e32 v7, -0.5, v7
	v_lshrrev_b32_e32 v5, 4, v3
	v_cmp_gt_u32_e32 vcc_lo, 0x8000000, v3
	s_delay_alu instid0(VALU_DEP_2) | instskip(NEXT) | instid1(VALU_DEP_1)
	v_or_b32_e32 v5, 0x70000000, v5
	v_mul_f32_e32 v5, 0x7800000, v5
	s_delay_alu instid0(VALU_DEP_1) | instskip(NEXT) | instid1(VALU_DEP_1)
	v_cndmask_b32_e32 v3, v5, v7, vcc_lo
	v_and_or_b32 v1, 0x80000000, v1, v3
	s_delay_alu instid0(VALU_DEP_1) | instskip(NEXT) | instid1(VALU_DEP_1)
	v_trunc_f32_e32 v1, v1
	v_mul_f32_e64 v3, 0x2f800000, |v1|
	v_ashrrev_i32_e32 v16, 31, v1
	s_delay_alu instid0(VALU_DEP_2) | instskip(NEXT) | instid1(VALU_DEP_2)
	v_floor_f32_e32 v3, v3
	v_mov_b32_e32 v17, v16
	s_delay_alu instid0(VALU_DEP_2) | instskip(SKIP_1) | instid1(VALU_DEP_2)
	v_fma_f32 v5, 0xcf800000, v3, |v1|
	v_cvt_u32_f32_e32 v1, v3
	v_cvt_u32_f32_e32 v3, v5
	s_delay_alu instid0(VALU_DEP_2) | instskip(NEXT) | instid1(VALU_DEP_2)
	v_xor_b32_e32 v27, v1, v16
	v_xor_b32_e32 v26, v3, v16
	s_delay_alu instid0(VALU_DEP_1)
	v_sub_nc_u64_e32 v[16:17], v[26:27], v[16:17]
.LBB55_2422:
	s_mov_b32 s7, 0
	s_mov_b32 s13, -1
.LBB55_2423:
	s_and_not1_b32 vcc_lo, exec_lo, s7
	s_mov_b32 s7, 0
	s_cbranch_vccnz .LBB55_2434
; %bb.2424:
	s_cmp_gt_i32 s11, 14
	s_cbranch_scc0 .LBB55_2427
; %bb.2425:
	s_cmp_eq_u32 s11, 15
	s_cbranch_scc0 .LBB55_2430
; %bb.2426:
	global_load_u16 v1, v[24:25], off
	s_mov_b32 s6, 0
	s_mov_b32 s13, -1
	s_wait_loadcnt 0x0
	v_lshlrev_b32_e32 v1, 16, v1
	s_delay_alu instid0(VALU_DEP_1) | instskip(NEXT) | instid1(VALU_DEP_1)
	v_trunc_f32_e32 v1, v1
	v_mul_f32_e64 v3, 0x2f800000, |v1|
	v_ashrrev_i32_e32 v16, 31, v1
	s_delay_alu instid0(VALU_DEP_2) | instskip(NEXT) | instid1(VALU_DEP_2)
	v_floor_f32_e32 v3, v3
	v_mov_b32_e32 v17, v16
	s_delay_alu instid0(VALU_DEP_2) | instskip(SKIP_1) | instid1(VALU_DEP_2)
	v_fma_f32 v5, 0xcf800000, v3, |v1|
	v_cvt_u32_f32_e32 v1, v3
	v_cvt_u32_f32_e32 v3, v5
	s_delay_alu instid0(VALU_DEP_2) | instskip(NEXT) | instid1(VALU_DEP_2)
	v_xor_b32_e32 v27, v1, v16
	v_xor_b32_e32 v26, v3, v16
	s_delay_alu instid0(VALU_DEP_1)
	v_sub_nc_u64_e32 v[16:17], v[26:27], v[16:17]
	s_branch .LBB55_2432
.LBB55_2427:
	s_mov_b32 s7, -1
	s_branch .LBB55_2431
.LBB55_2428:
	s_and_not1_saveexec_b32 s7, s7
	s_cbranch_execz .LBB55_2409
.LBB55_2429:
	v_cmp_ne_u16_e32 vcc_lo, 0, v1
	s_and_not1_b32 s13, s13, exec_lo
	s_and_b32 s14, vcc_lo, exec_lo
	s_delay_alu instid0(SALU_CYCLE_1)
	s_or_b32 s13, s13, s14
	s_or_b32 exec_lo, exec_lo, s7
	v_mov_b64_e32 v[16:17], 0
	s_and_saveexec_b32 s7, s13
	s_cbranch_execnz .LBB55_2410
	s_branch .LBB55_2411
.LBB55_2430:
	s_mov_b32 s6, -1
.LBB55_2431:
                                        ; implicit-def: $vgpr16_vgpr17
.LBB55_2432:
	s_and_b32 vcc_lo, exec_lo, s7
	s_mov_b32 s7, 0
	s_cbranch_vccz .LBB55_2434
; %bb.2433:
	s_cmp_lg_u32 s11, 11
	s_mov_b32 s7, -1
	s_cselect_b32 s6, -1, 0
.LBB55_2434:
	s_delay_alu instid0(SALU_CYCLE_1)
	s_and_b32 vcc_lo, exec_lo, s6
	s_cbranch_vccnz .LBB55_2499
; %bb.2435:
	s_and_not1_b32 vcc_lo, exec_lo, s7
	s_cbranch_vccnz .LBB55_2437
.LBB55_2436:
	global_load_u8 v1, v[24:25], off
	s_mov_b32 s6, 0
	s_mov_b32 s13, -1
	s_wait_loadcnt 0x1
	v_mov_b32_e32 v17, s6
	s_wait_loadcnt 0x0
	v_cmp_ne_u16_e32 vcc_lo, 0, v1
	v_cndmask_b32_e64 v16, 0, 1, vcc_lo
.LBB55_2437:
	s_mov_b32 s6, 0
.LBB55_2438:
	s_delay_alu instid0(SALU_CYCLE_1)
	s_and_b32 vcc_lo, exec_lo, s6
	s_cbranch_vccz .LBB55_2487
; %bb.2439:
	s_cmp_lt_i32 s11, 5
	s_cbranch_scc1 .LBB55_2444
; %bb.2440:
	s_cmp_lt_i32 s11, 8
	s_cbranch_scc1 .LBB55_2445
	;; [unrolled: 3-line block ×3, first 2 shown]
; %bb.2442:
	s_cmp_gt_i32 s11, 9
	s_cbranch_scc0 .LBB55_2447
; %bb.2443:
	s_wait_loadcnt 0x0
	global_load_b64 v[16:17], v[24:25], off
	s_mov_b32 s6, 0
	s_wait_loadcnt 0x0
	v_trunc_f64_e32 v[16:17], v[16:17]
	s_delay_alu instid0(VALU_DEP_1) | instskip(NEXT) | instid1(VALU_DEP_1)
	v_ldexp_f64 v[26:27], v[16:17], 0xffffffe0
	v_floor_f64_e32 v[26:27], v[26:27]
	s_delay_alu instid0(VALU_DEP_1) | instskip(SKIP_1) | instid1(VALU_DEP_2)
	v_fmamk_f64 v[28:29], v[26:27], 0xc1f00000, v[16:17]
	v_cvt_i32_f64_e32 v17, v[26:27]
	v_cvt_u32_f64_e32 v16, v[28:29]
	s_branch .LBB55_2448
.LBB55_2444:
	s_mov_b32 s6, -1
                                        ; implicit-def: $vgpr16_vgpr17
	s_branch .LBB55_2466
.LBB55_2445:
	s_mov_b32 s6, -1
                                        ; implicit-def: $vgpr16_vgpr17
	s_branch .LBB55_2454
.LBB55_2446:
	s_mov_b32 s6, -1
                                        ; implicit-def: $vgpr16_vgpr17
	s_branch .LBB55_2451
.LBB55_2447:
	s_mov_b32 s6, -1
                                        ; implicit-def: $vgpr16_vgpr17
.LBB55_2448:
	s_delay_alu instid0(SALU_CYCLE_1)
	s_and_not1_b32 vcc_lo, exec_lo, s6
	s_cbranch_vccnz .LBB55_2450
; %bb.2449:
	global_load_b32 v1, v[24:25], off
	s_wait_loadcnt 0x0
	v_trunc_f32_e32 v1, v1
	s_delay_alu instid0(VALU_DEP_1) | instskip(SKIP_1) | instid1(VALU_DEP_2)
	v_mul_f32_e64 v3, 0x2f800000, |v1|
	v_ashrrev_i32_e32 v16, 31, v1
	v_floor_f32_e32 v3, v3
	s_delay_alu instid0(VALU_DEP_1) | instskip(SKIP_1) | instid1(VALU_DEP_4)
	v_fma_f32 v5, 0xcf800000, v3, |v1|
	v_cvt_u32_f32_e32 v1, v3
	v_mov_b32_e32 v17, v16
	s_delay_alu instid0(VALU_DEP_3) | instskip(NEXT) | instid1(VALU_DEP_3)
	v_cvt_u32_f32_e32 v3, v5
	v_xor_b32_e32 v27, v1, v16
	s_delay_alu instid0(VALU_DEP_2) | instskip(NEXT) | instid1(VALU_DEP_1)
	v_xor_b32_e32 v26, v3, v16
	v_sub_nc_u64_e32 v[16:17], v[26:27], v[16:17]
.LBB55_2450:
	s_mov_b32 s6, 0
.LBB55_2451:
	s_delay_alu instid0(SALU_CYCLE_1)
	s_and_not1_b32 vcc_lo, exec_lo, s6
	s_cbranch_vccnz .LBB55_2453
; %bb.2452:
	global_load_b32 v1, v[24:25], off
	s_wait_loadcnt 0x0
	v_cvt_f32_f16_e32 v1, v1
	s_delay_alu instid0(VALU_DEP_1) | instskip(NEXT) | instid1(VALU_DEP_1)
	v_cvt_i32_f32_e32 v16, v1
	v_ashrrev_i32_e32 v17, 31, v16
.LBB55_2453:
	s_mov_b32 s6, 0
.LBB55_2454:
	s_delay_alu instid0(SALU_CYCLE_1)
	s_and_not1_b32 vcc_lo, exec_lo, s6
	s_cbranch_vccnz .LBB55_2465
; %bb.2455:
	s_cmp_lt_i32 s11, 6
	s_cbranch_scc1 .LBB55_2458
; %bb.2456:
	s_cmp_gt_i32 s11, 6
	s_cbranch_scc0 .LBB55_2459
; %bb.2457:
	s_wait_loadcnt 0x0
	global_load_b64 v[16:17], v[24:25], off
	s_mov_b32 s6, 0
	s_wait_loadcnt 0x0
	v_trunc_f64_e32 v[16:17], v[16:17]
	s_delay_alu instid0(VALU_DEP_1) | instskip(NEXT) | instid1(VALU_DEP_1)
	v_ldexp_f64 v[26:27], v[16:17], 0xffffffe0
	v_floor_f64_e32 v[26:27], v[26:27]
	s_delay_alu instid0(VALU_DEP_1) | instskip(SKIP_1) | instid1(VALU_DEP_2)
	v_fmamk_f64 v[28:29], v[26:27], 0xc1f00000, v[16:17]
	v_cvt_i32_f64_e32 v17, v[26:27]
	v_cvt_u32_f64_e32 v16, v[28:29]
	s_branch .LBB55_2460
.LBB55_2458:
	s_mov_b32 s6, -1
                                        ; implicit-def: $vgpr16_vgpr17
	s_branch .LBB55_2463
.LBB55_2459:
	s_mov_b32 s6, -1
                                        ; implicit-def: $vgpr16_vgpr17
.LBB55_2460:
	s_delay_alu instid0(SALU_CYCLE_1)
	s_and_not1_b32 vcc_lo, exec_lo, s6
	s_cbranch_vccnz .LBB55_2462
; %bb.2461:
	global_load_b32 v1, v[24:25], off
	s_wait_loadcnt 0x0
	v_trunc_f32_e32 v1, v1
	s_delay_alu instid0(VALU_DEP_1) | instskip(SKIP_1) | instid1(VALU_DEP_2)
	v_mul_f32_e64 v3, 0x2f800000, |v1|
	v_ashrrev_i32_e32 v16, 31, v1
	v_floor_f32_e32 v3, v3
	s_delay_alu instid0(VALU_DEP_1) | instskip(SKIP_1) | instid1(VALU_DEP_4)
	v_fma_f32 v5, 0xcf800000, v3, |v1|
	v_cvt_u32_f32_e32 v1, v3
	v_mov_b32_e32 v17, v16
	s_delay_alu instid0(VALU_DEP_3) | instskip(NEXT) | instid1(VALU_DEP_3)
	v_cvt_u32_f32_e32 v3, v5
	v_xor_b32_e32 v27, v1, v16
	s_delay_alu instid0(VALU_DEP_2) | instskip(NEXT) | instid1(VALU_DEP_1)
	v_xor_b32_e32 v26, v3, v16
	v_sub_nc_u64_e32 v[16:17], v[26:27], v[16:17]
.LBB55_2462:
	s_mov_b32 s6, 0
.LBB55_2463:
	s_delay_alu instid0(SALU_CYCLE_1)
	s_and_not1_b32 vcc_lo, exec_lo, s6
	s_cbranch_vccnz .LBB55_2465
; %bb.2464:
	global_load_u16 v1, v[24:25], off
	s_wait_loadcnt 0x0
	v_cvt_f32_f16_e32 v1, v1
	s_delay_alu instid0(VALU_DEP_1) | instskip(NEXT) | instid1(VALU_DEP_1)
	v_cvt_i32_f32_e32 v16, v1
	v_ashrrev_i32_e32 v17, 31, v16
.LBB55_2465:
	s_mov_b32 s6, 0
.LBB55_2466:
	s_delay_alu instid0(SALU_CYCLE_1)
	s_and_not1_b32 vcc_lo, exec_lo, s6
	s_cbranch_vccnz .LBB55_2486
; %bb.2467:
	s_cmp_lt_i32 s11, 2
	s_cbranch_scc1 .LBB55_2471
; %bb.2468:
	s_cmp_lt_i32 s11, 3
	s_cbranch_scc1 .LBB55_2472
; %bb.2469:
	s_cmp_gt_i32 s11, 3
	s_cbranch_scc0 .LBB55_2473
; %bb.2470:
	s_wait_loadcnt 0x0
	global_load_b64 v[16:17], v[24:25], off
	s_mov_b32 s6, 0
	s_branch .LBB55_2474
.LBB55_2471:
	s_mov_b32 s6, -1
                                        ; implicit-def: $vgpr16_vgpr17
	s_branch .LBB55_2480
.LBB55_2472:
	s_mov_b32 s6, -1
                                        ; implicit-def: $vgpr16_vgpr17
	s_branch .LBB55_2477
.LBB55_2473:
	s_mov_b32 s6, -1
                                        ; implicit-def: $vgpr16_vgpr17
.LBB55_2474:
	s_delay_alu instid0(SALU_CYCLE_1)
	s_and_not1_b32 vcc_lo, exec_lo, s6
	s_cbranch_vccnz .LBB55_2476
; %bb.2475:
	s_wait_loadcnt 0x0
	global_load_b32 v16, v[24:25], off
	s_wait_loadcnt 0x0
	v_ashrrev_i32_e32 v17, 31, v16
.LBB55_2476:
	s_mov_b32 s6, 0
.LBB55_2477:
	s_delay_alu instid0(SALU_CYCLE_1)
	s_and_not1_b32 vcc_lo, exec_lo, s6
	s_cbranch_vccnz .LBB55_2479
; %bb.2478:
	global_load_u16 v1, v[24:25], off
	s_wait_loadcnt 0x0
	v_bfe_i32 v16, v1, 0, 16
	s_delay_alu instid0(VALU_DEP_1)
	v_ashrrev_i32_e32 v17, 31, v16
.LBB55_2479:
	s_mov_b32 s6, 0
.LBB55_2480:
	s_delay_alu instid0(SALU_CYCLE_1)
	s_and_not1_b32 vcc_lo, exec_lo, s6
	s_cbranch_vccnz .LBB55_2486
; %bb.2481:
	s_cmp_gt_i32 s11, 0
	s_mov_b32 s6, 0
	s_cbranch_scc0 .LBB55_2483
; %bb.2482:
	global_load_i8 v1, v[24:25], off
	s_wait_loadcnt 0x0
	v_bfe_i32 v16, v1, 0, 16
	s_delay_alu instid0(VALU_DEP_1)
	v_ashrrev_i32_e32 v17, 31, v16
	s_branch .LBB55_2484
.LBB55_2483:
	s_mov_b32 s6, -1
                                        ; implicit-def: $vgpr16_vgpr17
.LBB55_2484:
	s_delay_alu instid0(SALU_CYCLE_1)
	s_and_not1_b32 vcc_lo, exec_lo, s6
	s_cbranch_vccnz .LBB55_2486
; %bb.2485:
	global_load_u8 v1, v[24:25], off
	s_mov_b32 s6, 0
	s_wait_loadcnt 0x1
	v_mov_b32_e32 v17, s6
	s_wait_loadcnt 0x0
	v_and_b32_e32 v16, 0xffff, v1
.LBB55_2486:
	s_mov_b32 s13, -1
.LBB55_2487:
	s_delay_alu instid0(SALU_CYCLE_1)
	s_and_not1_b32 vcc_lo, exec_lo, s13
	s_cbranch_vccnz .LBB55_3047
; %bb.2488:
	v_mov_b32_e32 v11, 0
	s_cmp_lt_i32 s12, 11
	s_wait_xcnt 0x0
	s_delay_alu instid0(VALU_DEP_1)
	v_add_nc_u64_e32 v[24:25], s[0:1], v[10:11]
	s_cbranch_scc1 .LBB55_2495
; %bb.2489:
	s_cmp_gt_i32 s12, 25
	s_mov_b32 s1, 0
	s_cbranch_scc0 .LBB55_2496
; %bb.2490:
	s_cmp_gt_i32 s12, 28
	s_cbranch_scc0 .LBB55_2497
; %bb.2491:
	s_cmp_gt_i32 s12, 43
	;; [unrolled: 3-line block ×3, first 2 shown]
	s_cbranch_scc0 .LBB55_2500
; %bb.2493:
	s_cmp_eq_u32 s12, 46
	s_mov_b32 s7, 0
	s_cbranch_scc0 .LBB55_2501
; %bb.2494:
	global_load_b32 v1, v[24:25], off
	s_mov_b32 s0, 0
	s_mov_b32 s6, -1
	s_wait_loadcnt 0x0
	v_lshlrev_b32_e32 v1, 16, v1
	s_delay_alu instid0(VALU_DEP_1) | instskip(NEXT) | instid1(VALU_DEP_1)
	v_trunc_f32_e32 v1, v1
	v_mul_f32_e64 v3, 0x2f800000, |v1|
	v_ashrrev_i32_e32 v10, 31, v1
	s_delay_alu instid0(VALU_DEP_2) | instskip(NEXT) | instid1(VALU_DEP_2)
	v_floor_f32_e32 v3, v3
	v_mov_b32_e32 v11, v10
	s_delay_alu instid0(VALU_DEP_2) | instskip(SKIP_1) | instid1(VALU_DEP_2)
	v_fma_f32 v5, 0xcf800000, v3, |v1|
	v_cvt_u32_f32_e32 v1, v3
	v_cvt_u32_f32_e32 v3, v5
	s_delay_alu instid0(VALU_DEP_2) | instskip(NEXT) | instid1(VALU_DEP_2)
	v_xor_b32_e32 v27, v1, v10
	v_xor_b32_e32 v26, v3, v10
	s_delay_alu instid0(VALU_DEP_1)
	v_sub_nc_u64_e32 v[10:11], v[26:27], v[10:11]
	s_branch .LBB55_2503
.LBB55_2495:
	s_mov_b32 s0, -1
	s_mov_b32 s6, 0
                                        ; implicit-def: $vgpr10_vgpr11
	s_branch .LBB55_2565
.LBB55_2496:
	s_mov_b32 s7, -1
	s_mov_b32 s6, 0
	s_mov_b32 s0, 0
                                        ; implicit-def: $vgpr10_vgpr11
	s_branch .LBB55_2530
.LBB55_2497:
	s_mov_b32 s7, -1
	s_mov_b32 s6, 0
	s_mov_b32 s0, 0
                                        ; implicit-def: $vgpr10_vgpr11
	s_branch .LBB55_2513
.LBB55_2498:
	s_mov_b32 s7, -1
	s_mov_b32 s6, 0
	s_mov_b32 s0, 0
                                        ; implicit-def: $vgpr10_vgpr11
	s_branch .LBB55_2508
.LBB55_2499:
	s_or_b32 s10, s10, exec_lo
	s_trap 2
	s_cbranch_execz .LBB55_2436
	s_branch .LBB55_2437
.LBB55_2500:
	s_mov_b32 s7, -1
	s_mov_b32 s6, 0
	s_mov_b32 s0, 0
	s_branch .LBB55_2502
.LBB55_2501:
	s_mov_b32 s0, -1
	s_mov_b32 s6, 0
.LBB55_2502:
                                        ; implicit-def: $vgpr10_vgpr11
.LBB55_2503:
	s_and_b32 vcc_lo, exec_lo, s7
	s_cbranch_vccz .LBB55_2507
; %bb.2504:
	s_cmp_eq_u32 s12, 44
	s_cbranch_scc0 .LBB55_2506
; %bb.2505:
	global_load_u8 v1, v[24:25], off
	s_mov_b32 s0, 0
	s_mov_b32 s6, -1
	s_wait_loadcnt 0x0
	v_lshlrev_b32_e32 v3, 23, v1
	v_cmp_ne_u32_e32 vcc_lo, 0, v1
	s_delay_alu instid0(VALU_DEP_2) | instskip(NEXT) | instid1(VALU_DEP_1)
	v_trunc_f32_e32 v3, v3
	v_mul_f32_e64 v5, 0x2f800000, |v3|
	v_ashrrev_i32_e32 v10, 31, v3
	s_delay_alu instid0(VALU_DEP_2) | instskip(NEXT) | instid1(VALU_DEP_2)
	v_floor_f32_e32 v5, v5
	v_mov_b32_e32 v11, v10
	s_delay_alu instid0(VALU_DEP_2) | instskip(SKIP_1) | instid1(VALU_DEP_2)
	v_fma_f32 v7, 0xcf800000, v5, |v3|
	v_cvt_u32_f32_e32 v3, v5
	v_cvt_u32_f32_e32 v5, v7
	s_delay_alu instid0(VALU_DEP_2) | instskip(NEXT) | instid1(VALU_DEP_2)
	v_xor_b32_e32 v27, v3, v10
	v_xor_b32_e32 v26, v5, v10
	s_delay_alu instid0(VALU_DEP_1) | instskip(NEXT) | instid1(VALU_DEP_1)
	v_sub_nc_u64_e32 v[10:11], v[26:27], v[10:11]
	v_dual_cndmask_b32 v11, 0, v11 :: v_dual_cndmask_b32 v10, 0, v10
	s_branch .LBB55_2507
.LBB55_2506:
	s_mov_b32 s0, -1
                                        ; implicit-def: $vgpr10_vgpr11
.LBB55_2507:
	s_mov_b32 s7, 0
.LBB55_2508:
	s_delay_alu instid0(SALU_CYCLE_1)
	s_and_b32 vcc_lo, exec_lo, s7
	s_cbranch_vccz .LBB55_2512
; %bb.2509:
	s_cmp_eq_u32 s12, 29
	s_cbranch_scc0 .LBB55_2511
; %bb.2510:
	global_load_b64 v[10:11], v[24:25], off
	s_mov_b32 s0, 0
	s_mov_b32 s6, -1
	s_branch .LBB55_2512
.LBB55_2511:
	s_mov_b32 s0, -1
                                        ; implicit-def: $vgpr10_vgpr11
.LBB55_2512:
	s_mov_b32 s7, 0
.LBB55_2513:
	s_delay_alu instid0(SALU_CYCLE_1)
	s_and_b32 vcc_lo, exec_lo, s7
	s_cbranch_vccz .LBB55_2529
; %bb.2514:
	s_cmp_lt_i32 s12, 27
	s_cbranch_scc1 .LBB55_2517
; %bb.2515:
	s_cmp_gt_i32 s12, 27
	s_cbranch_scc0 .LBB55_2518
; %bb.2516:
	s_wait_loadcnt 0x0
	global_load_b32 v10, v[24:25], off
	v_mov_b32_e32 v11, 0
	s_mov_b32 s6, 0
	s_branch .LBB55_2519
.LBB55_2517:
	s_mov_b32 s6, -1
                                        ; implicit-def: $vgpr10_vgpr11
	s_branch .LBB55_2522
.LBB55_2518:
	s_mov_b32 s6, -1
                                        ; implicit-def: $vgpr10_vgpr11
.LBB55_2519:
	s_delay_alu instid0(SALU_CYCLE_1)
	s_and_not1_b32 vcc_lo, exec_lo, s6
	s_cbranch_vccnz .LBB55_2521
; %bb.2520:
	global_load_u16 v1, v[24:25], off
	s_mov_b32 s6, 0
	s_wait_loadcnt 0x1
	v_mov_b32_e32 v11, s6
	s_wait_loadcnt 0x0
	v_and_b32_e32 v10, 0xffff, v1
.LBB55_2521:
	s_mov_b32 s6, 0
.LBB55_2522:
	s_delay_alu instid0(SALU_CYCLE_1)
	s_and_not1_b32 vcc_lo, exec_lo, s6
	s_cbranch_vccnz .LBB55_2528
; %bb.2523:
	global_load_u8 v1, v[24:25], off
	s_mov_b32 s7, 0
	s_mov_b32 s6, exec_lo
	s_wait_loadcnt 0x0
	v_cmpx_lt_i16_e32 0x7f, v1
	s_xor_b32 s6, exec_lo, s6
	s_cbranch_execz .LBB55_2540
; %bb.2524:
	v_cmp_ne_u16_e32 vcc_lo, 0x80, v1
	s_and_b32 s7, vcc_lo, exec_lo
	s_and_not1_saveexec_b32 s6, s6
	s_cbranch_execnz .LBB55_2541
.LBB55_2525:
	s_or_b32 exec_lo, exec_lo, s6
	v_mov_b64_e32 v[10:11], 0
	s_and_saveexec_b32 s6, s7
	s_cbranch_execz .LBB55_2527
.LBB55_2526:
	v_and_b32_e32 v3, 0xffff, v1
	s_delay_alu instid0(VALU_DEP_1) | instskip(SKIP_1) | instid1(VALU_DEP_2)
	v_dual_lshlrev_b32 v1, 24, v1 :: v_dual_bitop2_b32 v5, 7, v3 bitop3:0x40
	v_bfe_u32 v11, v3, 3, 4
	v_and_b32_e32 v1, 0x80000000, v1
	s_delay_alu instid0(VALU_DEP_3) | instskip(NEXT) | instid1(VALU_DEP_3)
	v_clz_i32_u32_e32 v7, v5
	v_cmp_eq_u32_e32 vcc_lo, 0, v11
	s_delay_alu instid0(VALU_DEP_2) | instskip(NEXT) | instid1(VALU_DEP_1)
	v_min_u32_e32 v7, 32, v7
	v_subrev_nc_u32_e32 v10, 28, v7
	v_sub_nc_u32_e32 v7, 29, v7
	s_delay_alu instid0(VALU_DEP_2) | instskip(NEXT) | instid1(VALU_DEP_2)
	v_lshlrev_b32_e32 v3, v10, v3
	v_cndmask_b32_e32 v7, v11, v7, vcc_lo
	s_delay_alu instid0(VALU_DEP_2) | instskip(NEXT) | instid1(VALU_DEP_1)
	v_and_b32_e32 v3, 7, v3
	v_cndmask_b32_e32 v3, v5, v3, vcc_lo
	s_delay_alu instid0(VALU_DEP_3) | instskip(NEXT) | instid1(VALU_DEP_2)
	v_lshl_add_u32 v5, v7, 23, 0x3b800000
	v_lshlrev_b32_e32 v3, 20, v3
	s_delay_alu instid0(VALU_DEP_1) | instskip(NEXT) | instid1(VALU_DEP_1)
	v_or3_b32 v1, v1, v5, v3
	v_trunc_f32_e32 v1, v1
	s_delay_alu instid0(VALU_DEP_1) | instskip(SKIP_1) | instid1(VALU_DEP_2)
	v_mul_f32_e64 v3, 0x2f800000, |v1|
	v_ashrrev_i32_e32 v10, 31, v1
	v_floor_f32_e32 v3, v3
	s_delay_alu instid0(VALU_DEP_2) | instskip(NEXT) | instid1(VALU_DEP_2)
	v_mov_b32_e32 v11, v10
	v_fma_f32 v5, 0xcf800000, v3, |v1|
	v_cvt_u32_f32_e32 v1, v3
	s_delay_alu instid0(VALU_DEP_2) | instskip(NEXT) | instid1(VALU_DEP_2)
	v_cvt_u32_f32_e32 v3, v5
	v_xor_b32_e32 v27, v1, v10
	s_delay_alu instid0(VALU_DEP_2) | instskip(NEXT) | instid1(VALU_DEP_1)
	v_xor_b32_e32 v26, v3, v10
	v_sub_nc_u64_e32 v[10:11], v[26:27], v[10:11]
.LBB55_2527:
	s_or_b32 exec_lo, exec_lo, s6
.LBB55_2528:
	s_mov_b32 s6, -1
.LBB55_2529:
	s_mov_b32 s7, 0
.LBB55_2530:
	s_delay_alu instid0(SALU_CYCLE_1)
	s_and_b32 vcc_lo, exec_lo, s7
	s_cbranch_vccz .LBB55_2561
; %bb.2531:
	s_cmp_gt_i32 s12, 22
	s_cbranch_scc0 .LBB55_2539
; %bb.2532:
	s_cmp_lt_i32 s12, 24
	s_cbranch_scc1 .LBB55_2542
; %bb.2533:
	s_cmp_gt_i32 s12, 24
	s_cbranch_scc0 .LBB55_2543
; %bb.2534:
	global_load_u8 v1, v[24:25], off
	s_mov_b32 s6, 0
	s_mov_b32 s1, exec_lo
	s_wait_loadcnt 0x0
	v_cmpx_lt_i16_e32 0x7f, v1
	s_xor_b32 s1, exec_lo, s1
	s_cbranch_execz .LBB55_2555
; %bb.2535:
	v_cmp_ne_u16_e32 vcc_lo, 0x80, v1
	s_and_b32 s6, vcc_lo, exec_lo
	s_and_not1_saveexec_b32 s1, s1
	s_cbranch_execnz .LBB55_2556
.LBB55_2536:
	s_or_b32 exec_lo, exec_lo, s1
	v_mov_b64_e32 v[10:11], 0
	s_and_saveexec_b32 s1, s6
	s_cbranch_execz .LBB55_2538
.LBB55_2537:
	v_and_b32_e32 v3, 0xffff, v1
	s_delay_alu instid0(VALU_DEP_1) | instskip(SKIP_1) | instid1(VALU_DEP_2)
	v_dual_lshlrev_b32 v1, 24, v1 :: v_dual_bitop2_b32 v5, 3, v3 bitop3:0x40
	v_bfe_u32 v11, v3, 2, 5
	v_and_b32_e32 v1, 0x80000000, v1
	s_delay_alu instid0(VALU_DEP_3) | instskip(NEXT) | instid1(VALU_DEP_3)
	v_clz_i32_u32_e32 v7, v5
	v_cmp_eq_u32_e32 vcc_lo, 0, v11
	s_delay_alu instid0(VALU_DEP_2) | instskip(NEXT) | instid1(VALU_DEP_1)
	v_min_u32_e32 v7, 32, v7
	v_subrev_nc_u32_e32 v10, 29, v7
	v_sub_nc_u32_e32 v7, 30, v7
	s_delay_alu instid0(VALU_DEP_2) | instskip(NEXT) | instid1(VALU_DEP_2)
	v_lshlrev_b32_e32 v3, v10, v3
	v_cndmask_b32_e32 v7, v11, v7, vcc_lo
	s_delay_alu instid0(VALU_DEP_2) | instskip(NEXT) | instid1(VALU_DEP_1)
	v_and_b32_e32 v3, 3, v3
	v_cndmask_b32_e32 v3, v5, v3, vcc_lo
	s_delay_alu instid0(VALU_DEP_3) | instskip(NEXT) | instid1(VALU_DEP_2)
	v_lshl_add_u32 v5, v7, 23, 0x37800000
	v_lshlrev_b32_e32 v3, 21, v3
	s_delay_alu instid0(VALU_DEP_1) | instskip(NEXT) | instid1(VALU_DEP_1)
	v_or3_b32 v1, v1, v5, v3
	v_trunc_f32_e32 v1, v1
	s_delay_alu instid0(VALU_DEP_1) | instskip(SKIP_1) | instid1(VALU_DEP_2)
	v_mul_f32_e64 v3, 0x2f800000, |v1|
	v_ashrrev_i32_e32 v10, 31, v1
	v_floor_f32_e32 v3, v3
	s_delay_alu instid0(VALU_DEP_2) | instskip(NEXT) | instid1(VALU_DEP_2)
	v_mov_b32_e32 v11, v10
	v_fma_f32 v5, 0xcf800000, v3, |v1|
	v_cvt_u32_f32_e32 v1, v3
	s_delay_alu instid0(VALU_DEP_2) | instskip(NEXT) | instid1(VALU_DEP_2)
	v_cvt_u32_f32_e32 v3, v5
	v_xor_b32_e32 v27, v1, v10
	s_delay_alu instid0(VALU_DEP_2) | instskip(NEXT) | instid1(VALU_DEP_1)
	v_xor_b32_e32 v26, v3, v10
	v_sub_nc_u64_e32 v[10:11], v[26:27], v[10:11]
.LBB55_2538:
	s_or_b32 exec_lo, exec_lo, s1
	s_mov_b32 s1, 0
	s_branch .LBB55_2544
.LBB55_2539:
	s_mov_b32 s1, -1
                                        ; implicit-def: $vgpr10_vgpr11
	s_branch .LBB55_2550
.LBB55_2540:
	s_and_not1_saveexec_b32 s6, s6
	s_cbranch_execz .LBB55_2525
.LBB55_2541:
	v_cmp_ne_u16_e32 vcc_lo, 0, v1
	s_and_not1_b32 s7, s7, exec_lo
	s_and_b32 s11, vcc_lo, exec_lo
	s_delay_alu instid0(SALU_CYCLE_1)
	s_or_b32 s7, s7, s11
	s_or_b32 exec_lo, exec_lo, s6
	v_mov_b64_e32 v[10:11], 0
	s_and_saveexec_b32 s6, s7
	s_cbranch_execnz .LBB55_2526
	s_branch .LBB55_2527
.LBB55_2542:
	s_mov_b32 s1, -1
                                        ; implicit-def: $vgpr10_vgpr11
	s_branch .LBB55_2547
.LBB55_2543:
	s_mov_b32 s1, -1
                                        ; implicit-def: $vgpr10_vgpr11
.LBB55_2544:
	s_delay_alu instid0(SALU_CYCLE_1)
	s_and_b32 vcc_lo, exec_lo, s1
	s_cbranch_vccz .LBB55_2546
; %bb.2545:
	global_load_u8 v1, v[24:25], off
	s_wait_loadcnt 0x0
	v_lshlrev_b32_e32 v1, 24, v1
	s_delay_alu instid0(VALU_DEP_1) | instskip(NEXT) | instid1(VALU_DEP_1)
	v_and_b32_e32 v3, 0x7f000000, v1
	v_clz_i32_u32_e32 v5, v3
	v_cmp_ne_u32_e32 vcc_lo, 0, v3
	v_add_nc_u32_e32 v10, 0x1000000, v3
	s_delay_alu instid0(VALU_DEP_3) | instskip(NEXT) | instid1(VALU_DEP_1)
	v_min_u32_e32 v5, 32, v5
	v_sub_nc_u32_e64 v5, v5, 4 clamp
	s_delay_alu instid0(VALU_DEP_1) | instskip(NEXT) | instid1(VALU_DEP_1)
	v_dual_lshlrev_b32 v7, v5, v3 :: v_dual_lshlrev_b32 v5, 23, v5
	v_lshrrev_b32_e32 v7, 4, v7
	s_delay_alu instid0(VALU_DEP_1) | instskip(NEXT) | instid1(VALU_DEP_1)
	v_dual_sub_nc_u32 v5, v7, v5 :: v_dual_ashrrev_i32 v7, 8, v10
	v_add_nc_u32_e32 v5, 0x3c000000, v5
	s_delay_alu instid0(VALU_DEP_1) | instskip(NEXT) | instid1(VALU_DEP_1)
	v_and_or_b32 v5, 0x7f800000, v7, v5
	v_cndmask_b32_e32 v3, 0, v5, vcc_lo
	s_delay_alu instid0(VALU_DEP_1) | instskip(NEXT) | instid1(VALU_DEP_1)
	v_and_or_b32 v1, 0x80000000, v1, v3
	v_trunc_f32_e32 v1, v1
	s_delay_alu instid0(VALU_DEP_1) | instskip(SKIP_1) | instid1(VALU_DEP_2)
	v_mul_f32_e64 v3, 0x2f800000, |v1|
	v_ashrrev_i32_e32 v10, 31, v1
	v_floor_f32_e32 v3, v3
	s_delay_alu instid0(VALU_DEP_1) | instskip(SKIP_1) | instid1(VALU_DEP_4)
	v_fma_f32 v5, 0xcf800000, v3, |v1|
	v_cvt_u32_f32_e32 v1, v3
	v_mov_b32_e32 v11, v10
	s_delay_alu instid0(VALU_DEP_3) | instskip(NEXT) | instid1(VALU_DEP_3)
	v_cvt_u32_f32_e32 v3, v5
	v_xor_b32_e32 v27, v1, v10
	s_delay_alu instid0(VALU_DEP_2) | instskip(NEXT) | instid1(VALU_DEP_1)
	v_xor_b32_e32 v26, v3, v10
	v_sub_nc_u64_e32 v[10:11], v[26:27], v[10:11]
.LBB55_2546:
	s_mov_b32 s1, 0
.LBB55_2547:
	s_delay_alu instid0(SALU_CYCLE_1)
	s_and_not1_b32 vcc_lo, exec_lo, s1
	s_cbranch_vccnz .LBB55_2549
; %bb.2548:
	global_load_u8 v1, v[24:25], off
	s_wait_loadcnt 0x0
	v_lshlrev_b32_e32 v3, 25, v1
	v_lshlrev_b16 v1, 8, v1
	s_delay_alu instid0(VALU_DEP_1) | instskip(SKIP_1) | instid1(VALU_DEP_2)
	v_and_or_b32 v7, 0x7f00, v1, 0.5
	v_bfe_i32 v1, v1, 0, 16
	v_add_f32_e32 v7, -0.5, v7
	v_lshrrev_b32_e32 v5, 4, v3
	v_cmp_gt_u32_e32 vcc_lo, 0x8000000, v3
	s_delay_alu instid0(VALU_DEP_2) | instskip(NEXT) | instid1(VALU_DEP_1)
	v_or_b32_e32 v5, 0x70000000, v5
	v_mul_f32_e32 v5, 0x7800000, v5
	s_delay_alu instid0(VALU_DEP_1) | instskip(NEXT) | instid1(VALU_DEP_1)
	v_cndmask_b32_e32 v3, v5, v7, vcc_lo
	v_and_or_b32 v1, 0x80000000, v1, v3
	s_delay_alu instid0(VALU_DEP_1) | instskip(NEXT) | instid1(VALU_DEP_1)
	v_trunc_f32_e32 v1, v1
	v_mul_f32_e64 v3, 0x2f800000, |v1|
	v_ashrrev_i32_e32 v10, 31, v1
	s_delay_alu instid0(VALU_DEP_2) | instskip(NEXT) | instid1(VALU_DEP_2)
	v_floor_f32_e32 v3, v3
	v_mov_b32_e32 v11, v10
	s_delay_alu instid0(VALU_DEP_2) | instskip(SKIP_1) | instid1(VALU_DEP_2)
	v_fma_f32 v5, 0xcf800000, v3, |v1|
	v_cvt_u32_f32_e32 v1, v3
	v_cvt_u32_f32_e32 v3, v5
	s_delay_alu instid0(VALU_DEP_2) | instskip(NEXT) | instid1(VALU_DEP_2)
	v_xor_b32_e32 v27, v1, v10
	v_xor_b32_e32 v26, v3, v10
	s_delay_alu instid0(VALU_DEP_1)
	v_sub_nc_u64_e32 v[10:11], v[26:27], v[10:11]
.LBB55_2549:
	s_mov_b32 s1, 0
	s_mov_b32 s6, -1
.LBB55_2550:
	s_and_not1_b32 vcc_lo, exec_lo, s1
	s_mov_b32 s1, 0
	s_cbranch_vccnz .LBB55_2561
; %bb.2551:
	s_cmp_gt_i32 s12, 14
	s_cbranch_scc0 .LBB55_2554
; %bb.2552:
	s_cmp_eq_u32 s12, 15
	s_cbranch_scc0 .LBB55_2557
; %bb.2553:
	global_load_u16 v1, v[24:25], off
	s_mov_b32 s0, 0
	s_mov_b32 s6, -1
	s_wait_loadcnt 0x0
	v_lshlrev_b32_e32 v1, 16, v1
	s_delay_alu instid0(VALU_DEP_1) | instskip(NEXT) | instid1(VALU_DEP_1)
	v_trunc_f32_e32 v1, v1
	v_mul_f32_e64 v3, 0x2f800000, |v1|
	v_ashrrev_i32_e32 v10, 31, v1
	s_delay_alu instid0(VALU_DEP_2) | instskip(NEXT) | instid1(VALU_DEP_2)
	v_floor_f32_e32 v3, v3
	v_mov_b32_e32 v11, v10
	s_delay_alu instid0(VALU_DEP_2) | instskip(SKIP_1) | instid1(VALU_DEP_2)
	v_fma_f32 v5, 0xcf800000, v3, |v1|
	v_cvt_u32_f32_e32 v1, v3
	v_cvt_u32_f32_e32 v3, v5
	s_delay_alu instid0(VALU_DEP_2) | instskip(NEXT) | instid1(VALU_DEP_2)
	v_xor_b32_e32 v27, v1, v10
	v_xor_b32_e32 v26, v3, v10
	s_delay_alu instid0(VALU_DEP_1)
	v_sub_nc_u64_e32 v[10:11], v[26:27], v[10:11]
	s_branch .LBB55_2559
.LBB55_2554:
	s_mov_b32 s1, -1
	s_branch .LBB55_2558
.LBB55_2555:
	s_and_not1_saveexec_b32 s1, s1
	s_cbranch_execz .LBB55_2536
.LBB55_2556:
	v_cmp_ne_u16_e32 vcc_lo, 0, v1
	s_and_not1_b32 s6, s6, exec_lo
	s_and_b32 s7, vcc_lo, exec_lo
	s_delay_alu instid0(SALU_CYCLE_1)
	s_or_b32 s6, s6, s7
	s_or_b32 exec_lo, exec_lo, s1
	v_mov_b64_e32 v[10:11], 0
	s_and_saveexec_b32 s1, s6
	s_cbranch_execnz .LBB55_2537
	s_branch .LBB55_2538
.LBB55_2557:
	s_mov_b32 s0, -1
.LBB55_2558:
                                        ; implicit-def: $vgpr10_vgpr11
.LBB55_2559:
	s_and_b32 vcc_lo, exec_lo, s1
	s_mov_b32 s1, 0
	s_cbranch_vccz .LBB55_2561
; %bb.2560:
	s_cmp_lg_u32 s12, 11
	s_mov_b32 s1, -1
	s_cselect_b32 s0, -1, 0
.LBB55_2561:
	s_delay_alu instid0(SALU_CYCLE_1)
	s_and_b32 vcc_lo, exec_lo, s0
	s_cbranch_vccnz .LBB55_3093
; %bb.2562:
	s_and_not1_b32 vcc_lo, exec_lo, s1
	s_cbranch_vccnz .LBB55_2564
.LBB55_2563:
	global_load_u8 v1, v[24:25], off
	s_mov_b32 s0, 0
	s_mov_b32 s6, -1
	s_wait_loadcnt 0x1
	v_mov_b32_e32 v11, s0
	s_wait_loadcnt 0x0
	v_cmp_ne_u16_e32 vcc_lo, 0, v1
	v_cndmask_b32_e64 v10, 0, 1, vcc_lo
.LBB55_2564:
	s_mov_b32 s0, 0
.LBB55_2565:
	s_delay_alu instid0(SALU_CYCLE_1)
	s_and_b32 vcc_lo, exec_lo, s0
	s_cbranch_vccz .LBB55_2614
; %bb.2566:
	s_cmp_lt_i32 s12, 5
	s_cbranch_scc1 .LBB55_2571
; %bb.2567:
	s_cmp_lt_i32 s12, 8
	s_cbranch_scc1 .LBB55_2572
	;; [unrolled: 3-line block ×3, first 2 shown]
; %bb.2569:
	s_cmp_gt_i32 s12, 9
	s_cbranch_scc0 .LBB55_2574
; %bb.2570:
	s_wait_loadcnt 0x0
	global_load_b64 v[10:11], v[24:25], off
	s_mov_b32 s0, 0
	s_wait_loadcnt 0x0
	v_trunc_f64_e32 v[10:11], v[10:11]
	s_delay_alu instid0(VALU_DEP_1) | instskip(NEXT) | instid1(VALU_DEP_1)
	v_ldexp_f64 v[26:27], v[10:11], 0xffffffe0
	v_floor_f64_e32 v[26:27], v[26:27]
	s_delay_alu instid0(VALU_DEP_1) | instskip(SKIP_1) | instid1(VALU_DEP_2)
	v_fmamk_f64 v[28:29], v[26:27], 0xc1f00000, v[10:11]
	v_cvt_i32_f64_e32 v11, v[26:27]
	v_cvt_u32_f64_e32 v10, v[28:29]
	s_branch .LBB55_2575
.LBB55_2571:
	s_mov_b32 s0, -1
                                        ; implicit-def: $vgpr10_vgpr11
	s_branch .LBB55_2593
.LBB55_2572:
	s_mov_b32 s0, -1
                                        ; implicit-def: $vgpr10_vgpr11
	s_branch .LBB55_2581
.LBB55_2573:
	s_mov_b32 s0, -1
                                        ; implicit-def: $vgpr10_vgpr11
	s_branch .LBB55_2578
.LBB55_2574:
	s_mov_b32 s0, -1
                                        ; implicit-def: $vgpr10_vgpr11
.LBB55_2575:
	s_delay_alu instid0(SALU_CYCLE_1)
	s_and_not1_b32 vcc_lo, exec_lo, s0
	s_cbranch_vccnz .LBB55_2577
; %bb.2576:
	global_load_b32 v1, v[24:25], off
	s_wait_loadcnt 0x0
	v_trunc_f32_e32 v1, v1
	s_delay_alu instid0(VALU_DEP_1) | instskip(SKIP_1) | instid1(VALU_DEP_2)
	v_mul_f32_e64 v3, 0x2f800000, |v1|
	v_ashrrev_i32_e32 v10, 31, v1
	v_floor_f32_e32 v3, v3
	s_delay_alu instid0(VALU_DEP_1) | instskip(SKIP_1) | instid1(VALU_DEP_4)
	v_fma_f32 v5, 0xcf800000, v3, |v1|
	v_cvt_u32_f32_e32 v1, v3
	v_mov_b32_e32 v11, v10
	s_delay_alu instid0(VALU_DEP_3) | instskip(NEXT) | instid1(VALU_DEP_3)
	v_cvt_u32_f32_e32 v3, v5
	v_xor_b32_e32 v27, v1, v10
	s_delay_alu instid0(VALU_DEP_2) | instskip(NEXT) | instid1(VALU_DEP_1)
	v_xor_b32_e32 v26, v3, v10
	v_sub_nc_u64_e32 v[10:11], v[26:27], v[10:11]
.LBB55_2577:
	s_mov_b32 s0, 0
.LBB55_2578:
	s_delay_alu instid0(SALU_CYCLE_1)
	s_and_not1_b32 vcc_lo, exec_lo, s0
	s_cbranch_vccnz .LBB55_2580
; %bb.2579:
	global_load_b32 v1, v[24:25], off
	s_wait_loadcnt 0x0
	v_cvt_f32_f16_e32 v1, v1
	s_delay_alu instid0(VALU_DEP_1) | instskip(NEXT) | instid1(VALU_DEP_1)
	v_cvt_i32_f32_e32 v10, v1
	v_ashrrev_i32_e32 v11, 31, v10
.LBB55_2580:
	s_mov_b32 s0, 0
.LBB55_2581:
	s_delay_alu instid0(SALU_CYCLE_1)
	s_and_not1_b32 vcc_lo, exec_lo, s0
	s_cbranch_vccnz .LBB55_2592
; %bb.2582:
	s_cmp_lt_i32 s12, 6
	s_cbranch_scc1 .LBB55_2585
; %bb.2583:
	s_cmp_gt_i32 s12, 6
	s_cbranch_scc0 .LBB55_2586
; %bb.2584:
	s_wait_loadcnt 0x0
	global_load_b64 v[10:11], v[24:25], off
	s_mov_b32 s0, 0
	s_wait_loadcnt 0x0
	v_trunc_f64_e32 v[10:11], v[10:11]
	s_delay_alu instid0(VALU_DEP_1) | instskip(NEXT) | instid1(VALU_DEP_1)
	v_ldexp_f64 v[26:27], v[10:11], 0xffffffe0
	v_floor_f64_e32 v[26:27], v[26:27]
	s_delay_alu instid0(VALU_DEP_1) | instskip(SKIP_1) | instid1(VALU_DEP_2)
	v_fmamk_f64 v[28:29], v[26:27], 0xc1f00000, v[10:11]
	v_cvt_i32_f64_e32 v11, v[26:27]
	v_cvt_u32_f64_e32 v10, v[28:29]
	s_branch .LBB55_2587
.LBB55_2585:
	s_mov_b32 s0, -1
                                        ; implicit-def: $vgpr10_vgpr11
	s_branch .LBB55_2590
.LBB55_2586:
	s_mov_b32 s0, -1
                                        ; implicit-def: $vgpr10_vgpr11
.LBB55_2587:
	s_delay_alu instid0(SALU_CYCLE_1)
	s_and_not1_b32 vcc_lo, exec_lo, s0
	s_cbranch_vccnz .LBB55_2589
; %bb.2588:
	global_load_b32 v1, v[24:25], off
	s_wait_loadcnt 0x0
	v_trunc_f32_e32 v1, v1
	s_delay_alu instid0(VALU_DEP_1) | instskip(SKIP_1) | instid1(VALU_DEP_2)
	v_mul_f32_e64 v3, 0x2f800000, |v1|
	v_ashrrev_i32_e32 v10, 31, v1
	v_floor_f32_e32 v3, v3
	s_delay_alu instid0(VALU_DEP_1) | instskip(SKIP_1) | instid1(VALU_DEP_4)
	v_fma_f32 v5, 0xcf800000, v3, |v1|
	v_cvt_u32_f32_e32 v1, v3
	v_mov_b32_e32 v11, v10
	s_delay_alu instid0(VALU_DEP_3) | instskip(NEXT) | instid1(VALU_DEP_3)
	v_cvt_u32_f32_e32 v3, v5
	v_xor_b32_e32 v27, v1, v10
	s_delay_alu instid0(VALU_DEP_2) | instskip(NEXT) | instid1(VALU_DEP_1)
	v_xor_b32_e32 v26, v3, v10
	v_sub_nc_u64_e32 v[10:11], v[26:27], v[10:11]
.LBB55_2589:
	s_mov_b32 s0, 0
.LBB55_2590:
	s_delay_alu instid0(SALU_CYCLE_1)
	s_and_not1_b32 vcc_lo, exec_lo, s0
	s_cbranch_vccnz .LBB55_2592
; %bb.2591:
	global_load_u16 v1, v[24:25], off
	s_wait_loadcnt 0x0
	v_cvt_f32_f16_e32 v1, v1
	s_delay_alu instid0(VALU_DEP_1) | instskip(NEXT) | instid1(VALU_DEP_1)
	v_cvt_i32_f32_e32 v10, v1
	v_ashrrev_i32_e32 v11, 31, v10
.LBB55_2592:
	s_mov_b32 s0, 0
.LBB55_2593:
	s_delay_alu instid0(SALU_CYCLE_1)
	s_and_not1_b32 vcc_lo, exec_lo, s0
	s_cbranch_vccnz .LBB55_2613
; %bb.2594:
	s_cmp_lt_i32 s12, 2
	s_cbranch_scc1 .LBB55_2598
; %bb.2595:
	s_cmp_lt_i32 s12, 3
	s_cbranch_scc1 .LBB55_2599
; %bb.2596:
	s_cmp_gt_i32 s12, 3
	s_cbranch_scc0 .LBB55_2600
; %bb.2597:
	s_wait_loadcnt 0x0
	global_load_b64 v[10:11], v[24:25], off
	s_mov_b32 s0, 0
	s_branch .LBB55_2601
.LBB55_2598:
	s_mov_b32 s0, -1
                                        ; implicit-def: $vgpr10_vgpr11
	s_branch .LBB55_2607
.LBB55_2599:
	s_mov_b32 s0, -1
                                        ; implicit-def: $vgpr10_vgpr11
	s_branch .LBB55_2604
.LBB55_2600:
	s_mov_b32 s0, -1
                                        ; implicit-def: $vgpr10_vgpr11
.LBB55_2601:
	s_delay_alu instid0(SALU_CYCLE_1)
	s_and_not1_b32 vcc_lo, exec_lo, s0
	s_cbranch_vccnz .LBB55_2603
; %bb.2602:
	s_wait_loadcnt 0x0
	global_load_b32 v10, v[24:25], off
	s_wait_loadcnt 0x0
	v_ashrrev_i32_e32 v11, 31, v10
.LBB55_2603:
	s_mov_b32 s0, 0
.LBB55_2604:
	s_delay_alu instid0(SALU_CYCLE_1)
	s_and_not1_b32 vcc_lo, exec_lo, s0
	s_cbranch_vccnz .LBB55_2606
; %bb.2605:
	global_load_u16 v1, v[24:25], off
	s_wait_loadcnt 0x0
	v_bfe_i32 v10, v1, 0, 16
	s_delay_alu instid0(VALU_DEP_1)
	v_ashrrev_i32_e32 v11, 31, v10
.LBB55_2606:
	s_mov_b32 s0, 0
.LBB55_2607:
	s_delay_alu instid0(SALU_CYCLE_1)
	s_and_not1_b32 vcc_lo, exec_lo, s0
	s_cbranch_vccnz .LBB55_2613
; %bb.2608:
	s_cmp_gt_i32 s12, 0
	s_mov_b32 s0, 0
	s_cbranch_scc0 .LBB55_2610
; %bb.2609:
	global_load_i8 v1, v[24:25], off
	s_wait_loadcnt 0x0
	v_bfe_i32 v10, v1, 0, 16
	s_delay_alu instid0(VALU_DEP_1)
	v_ashrrev_i32_e32 v11, 31, v10
	s_branch .LBB55_2611
.LBB55_2610:
	s_mov_b32 s0, -1
                                        ; implicit-def: $vgpr10_vgpr11
.LBB55_2611:
	s_delay_alu instid0(SALU_CYCLE_1)
	s_and_not1_b32 vcc_lo, exec_lo, s0
	s_cbranch_vccnz .LBB55_2613
; %bb.2612:
	global_load_u8 v1, v[24:25], off
	s_mov_b32 s0, 0
	s_wait_loadcnt 0x1
	v_mov_b32_e32 v11, s0
	s_wait_loadcnt 0x0
	v_and_b32_e32 v10, 0xffff, v1
.LBB55_2613:
	s_mov_b32 s6, -1
.LBB55_2614:
	s_delay_alu instid0(SALU_CYCLE_1)
	s_and_not1_b32 vcc_lo, exec_lo, s6
	s_cbranch_vccnz .LBB55_3047
; %bb.2615:
	s_load_b64 s[0:1], s[2:3], 0x1a0
	v_mov_b32_e32 v7, 0
	s_wait_loadcnt 0x0
	v_cmp_ne_u64_e32 vcc_lo, v[8:9], v[12:13]
	s_mov_b32 s11, 0
	s_delay_alu instid0(VALU_DEP_2)
	v_add_nc_u64_e32 v[6:7], s[4:5], v[6:7]
	s_wait_kmcnt 0x0
	s_cmp_eq_u32 s0, 0
	s_mov_b32 s0, -1
	s_cselect_b32 s2, -1, 0
	s_and_b32 s1, s1, 0xff
	s_xor_b32 s3, s2, vcc_lo
	s_cmp_lt_i32 s1, 11
	s_cbranch_scc1 .LBB55_2694
; %bb.2616:
	s_and_b32 s6, 0xffff, s1
	s_mov_b32 s12, -1
	s_mov_b32 s7, 0
	s_cmp_gt_i32 s6, 25
	s_mov_b32 s0, 0
	s_cbranch_scc0 .LBB55_2649
; %bb.2617:
	s_cmp_gt_i32 s6, 28
	s_cbranch_scc0 .LBB55_2632
; %bb.2618:
	s_cmp_gt_i32 s6, 43
	;; [unrolled: 3-line block ×3, first 2 shown]
	s_cbranch_scc0 .LBB55_2622
; %bb.2620:
	s_mov_b32 s0, -1
	s_mov_b32 s12, 0
	s_cmp_eq_u32 s6, 46
	s_cbranch_scc0 .LBB55_2622
; %bb.2621:
	v_cndmask_b32_e64 v1, 0, 1.0, s3
	s_mov_b32 s0, 0
	s_mov_b32 s11, -1
	s_delay_alu instid0(VALU_DEP_1) | instskip(NEXT) | instid1(VALU_DEP_1)
	v_bfe_u32 v3, v1, 16, 1
	v_add3_u32 v1, v1, v3, 0x7fff
	s_delay_alu instid0(VALU_DEP_1)
	v_lshrrev_b32_e32 v1, 16, v1
	global_store_b32 v[6:7], v1, off
.LBB55_2622:
	s_and_b32 vcc_lo, exec_lo, s12
	s_cbranch_vccz .LBB55_2627
; %bb.2623:
	s_cmp_eq_u32 s6, 44
	s_mov_b32 s0, -1
	s_cbranch_scc0 .LBB55_2627
; %bb.2624:
	v_cndmask_b32_e64 v5, 0, 1.0, s3
	v_mov_b32_e32 v3, 0xff
	s_mov_b32 s11, exec_lo
	s_wait_xcnt 0x0
	s_delay_alu instid0(VALU_DEP_2) | instskip(NEXT) | instid1(VALU_DEP_1)
	v_lshrrev_b32_e32 v1, 23, v5
	v_cmpx_ne_u32_e32 0xff, v1
; %bb.2625:
	v_and_b32_e32 v3, 0x400000, v5
	v_and_or_b32 v5, 0x3fffff, v5, v1
	s_delay_alu instid0(VALU_DEP_2) | instskip(NEXT) | instid1(VALU_DEP_2)
	v_cmp_ne_u32_e32 vcc_lo, 0, v3
	v_cmp_ne_u32_e64 s0, 0, v5
	s_and_b32 s0, vcc_lo, s0
	s_delay_alu instid0(SALU_CYCLE_1) | instskip(NEXT) | instid1(VALU_DEP_1)
	v_cndmask_b32_e64 v3, 0, 1, s0
	v_add_nc_u32_e32 v3, v1, v3
; %bb.2626:
	s_or_b32 exec_lo, exec_lo, s11
	s_mov_b32 s0, 0
	s_mov_b32 s11, -1
	global_store_b8 v[6:7], v3, off
.LBB55_2627:
	s_mov_b32 s12, 0
.LBB55_2628:
	s_delay_alu instid0(SALU_CYCLE_1)
	s_and_b32 vcc_lo, exec_lo, s12
	s_cbranch_vccz .LBB55_2631
; %bb.2629:
	s_cmp_eq_u32 s6, 29
	s_mov_b32 s0, -1
	s_cbranch_scc0 .LBB55_2631
; %bb.2630:
	s_mov_b32 s0, 0
	v_cndmask_b32_e64 v8, 0, 1, s3
	v_mov_b32_e32 v9, s0
	s_mov_b32 s11, -1
	global_store_b64 v[6:7], v[8:9], off
.LBB55_2631:
	s_mov_b32 s12, 0
.LBB55_2632:
	s_delay_alu instid0(SALU_CYCLE_1)
	s_and_b32 vcc_lo, exec_lo, s12
	s_cbranch_vccz .LBB55_2648
; %bb.2633:
	s_cmp_lt_i32 s6, 27
	s_mov_b32 s11, -1
	s_cbranch_scc1 .LBB55_2639
; %bb.2634:
	s_cmp_gt_i32 s6, 27
	s_cbranch_scc0 .LBB55_2636
; %bb.2635:
	s_wait_xcnt 0x0
	v_cndmask_b32_e64 v1, 0, 1, s3
	s_mov_b32 s11, 0
	global_store_b32 v[6:7], v1, off
.LBB55_2636:
	s_and_not1_b32 vcc_lo, exec_lo, s11
	s_cbranch_vccnz .LBB55_2638
; %bb.2637:
	s_wait_xcnt 0x0
	v_cndmask_b32_e64 v1, 0, 1, s3
	global_store_b16 v[6:7], v1, off
.LBB55_2638:
	s_mov_b32 s11, 0
.LBB55_2639:
	s_delay_alu instid0(SALU_CYCLE_1)
	s_and_not1_b32 vcc_lo, exec_lo, s11
	s_cbranch_vccnz .LBB55_2647
; %bb.2640:
	s_wait_xcnt 0x0
	v_cndmask_b32_e64 v3, 0, 1.0, s3
	v_mov_b32_e32 v5, 0x80
	s_mov_b32 s11, exec_lo
	s_delay_alu instid0(VALU_DEP_2)
	v_cmpx_gt_u32_e32 0x43800000, v3
	s_cbranch_execz .LBB55_2646
; %bb.2641:
	s_mov_b32 s12, 0
	s_mov_b32 s13, exec_lo
                                        ; implicit-def: $vgpr1
	v_cmpx_lt_u32_e32 0x3bffffff, v3
	s_xor_b32 s13, exec_lo, s13
	s_cbranch_execz .LBB55_3094
; %bb.2642:
	v_bfe_u32 v1, v3, 20, 1
	s_mov_b32 s12, exec_lo
	s_delay_alu instid0(VALU_DEP_1) | instskip(NEXT) | instid1(VALU_DEP_1)
	v_add3_u32 v1, v3, v1, 0x487ffff
                                        ; implicit-def: $vgpr3
	v_lshrrev_b32_e32 v1, 20, v1
	s_and_not1_saveexec_b32 s13, s13
	s_cbranch_execnz .LBB55_3095
.LBB55_2643:
	s_or_b32 exec_lo, exec_lo, s13
	v_mov_b32_e32 v5, 0
	s_and_saveexec_b32 s13, s12
.LBB55_2644:
	v_mov_b32_e32 v5, v1
.LBB55_2645:
	s_or_b32 exec_lo, exec_lo, s13
.LBB55_2646:
	s_delay_alu instid0(SALU_CYCLE_1)
	s_or_b32 exec_lo, exec_lo, s11
	global_store_b8 v[6:7], v5, off
.LBB55_2647:
	s_mov_b32 s11, -1
.LBB55_2648:
	s_mov_b32 s12, 0
.LBB55_2649:
	s_delay_alu instid0(SALU_CYCLE_1)
	s_and_b32 vcc_lo, exec_lo, s12
	s_cbranch_vccz .LBB55_2689
; %bb.2650:
	s_cmp_gt_i32 s6, 22
	s_mov_b32 s7, -1
	s_cbranch_scc0 .LBB55_2682
; %bb.2651:
	s_cmp_lt_i32 s6, 24
	s_cbranch_scc1 .LBB55_2671
; %bb.2652:
	s_cmp_gt_i32 s6, 24
	s_cbranch_scc0 .LBB55_2660
; %bb.2653:
	s_wait_xcnt 0x0
	v_cndmask_b32_e64 v3, 0, 1.0, s3
	v_mov_b32_e32 v5, 0x80
	s_mov_b32 s7, exec_lo
	s_delay_alu instid0(VALU_DEP_2)
	v_cmpx_gt_u32_e32 0x47800000, v3
	s_cbranch_execz .LBB55_2659
; %bb.2654:
	s_mov_b32 s11, 0
	s_mov_b32 s12, exec_lo
                                        ; implicit-def: $vgpr1
	v_cmpx_lt_u32_e32 0x37ffffff, v3
	s_xor_b32 s12, exec_lo, s12
	s_cbranch_execz .LBB55_3097
; %bb.2655:
	v_bfe_u32 v1, v3, 21, 1
	s_mov_b32 s11, exec_lo
	s_delay_alu instid0(VALU_DEP_1) | instskip(NEXT) | instid1(VALU_DEP_1)
	v_add3_u32 v1, v3, v1, 0x88fffff
                                        ; implicit-def: $vgpr3
	v_lshrrev_b32_e32 v1, 21, v1
	s_and_not1_saveexec_b32 s12, s12
	s_cbranch_execnz .LBB55_3098
.LBB55_2656:
	s_or_b32 exec_lo, exec_lo, s12
	v_mov_b32_e32 v5, 0
	s_and_saveexec_b32 s12, s11
.LBB55_2657:
	v_mov_b32_e32 v5, v1
.LBB55_2658:
	s_or_b32 exec_lo, exec_lo, s12
.LBB55_2659:
	s_delay_alu instid0(SALU_CYCLE_1)
	s_or_b32 exec_lo, exec_lo, s7
	s_mov_b32 s7, 0
	global_store_b8 v[6:7], v5, off
.LBB55_2660:
	s_and_b32 vcc_lo, exec_lo, s7
	s_cbranch_vccz .LBB55_2670
; %bb.2661:
	s_wait_xcnt 0x0
	v_cndmask_b32_e64 v3, 0, 1.0, s3
	s_mov_b32 s7, exec_lo
                                        ; implicit-def: $vgpr1
	s_delay_alu instid0(VALU_DEP_1)
	v_cmpx_gt_u32_e32 0x43f00000, v3
	s_xor_b32 s7, exec_lo, s7
	s_cbranch_execz .LBB55_2667
; %bb.2662:
	s_mov_b32 s11, exec_lo
                                        ; implicit-def: $vgpr1
	v_cmpx_lt_u32_e32 0x3c7fffff, v3
	s_xor_b32 s11, exec_lo, s11
; %bb.2663:
	v_bfe_u32 v1, v3, 20, 1
	s_delay_alu instid0(VALU_DEP_1) | instskip(NEXT) | instid1(VALU_DEP_1)
	v_add3_u32 v1, v3, v1, 0x407ffff
	v_and_b32_e32 v3, 0xff00000, v1
	v_lshrrev_b32_e32 v1, 20, v1
	s_delay_alu instid0(VALU_DEP_2) | instskip(NEXT) | instid1(VALU_DEP_2)
	v_cmp_ne_u32_e32 vcc_lo, 0x7f00000, v3
                                        ; implicit-def: $vgpr3
	v_cndmask_b32_e32 v1, 0x7e, v1, vcc_lo
; %bb.2664:
	s_and_not1_saveexec_b32 s11, s11
; %bb.2665:
	v_add_f32_e32 v1, 0x46800000, v3
; %bb.2666:
	s_or_b32 exec_lo, exec_lo, s11
                                        ; implicit-def: $vgpr3
.LBB55_2667:
	s_and_not1_saveexec_b32 s7, s7
; %bb.2668:
	v_mov_b32_e32 v1, 0x7f
	v_cmp_lt_u32_e32 vcc_lo, 0x7f800000, v3
	s_delay_alu instid0(VALU_DEP_2)
	v_cndmask_b32_e32 v1, 0x7e, v1, vcc_lo
; %bb.2669:
	s_or_b32 exec_lo, exec_lo, s7
	global_store_b8 v[6:7], v1, off
.LBB55_2670:
	s_mov_b32 s7, 0
.LBB55_2671:
	s_delay_alu instid0(SALU_CYCLE_1)
	s_and_not1_b32 vcc_lo, exec_lo, s7
	s_cbranch_vccnz .LBB55_2681
; %bb.2672:
	s_wait_xcnt 0x0
	v_cndmask_b32_e64 v3, 0, 1.0, s3
	s_mov_b32 s7, exec_lo
                                        ; implicit-def: $vgpr1
	s_delay_alu instid0(VALU_DEP_1)
	v_cmpx_gt_u32_e32 0x47800000, v3
	s_xor_b32 s7, exec_lo, s7
	s_cbranch_execz .LBB55_2678
; %bb.2673:
	s_mov_b32 s11, exec_lo
                                        ; implicit-def: $vgpr1
	v_cmpx_lt_u32_e32 0x387fffff, v3
	s_xor_b32 s11, exec_lo, s11
; %bb.2674:
	v_bfe_u32 v1, v3, 21, 1
	s_delay_alu instid0(VALU_DEP_1) | instskip(NEXT) | instid1(VALU_DEP_1)
	v_add3_u32 v1, v3, v1, 0x80fffff
                                        ; implicit-def: $vgpr3
	v_lshrrev_b32_e32 v1, 21, v1
; %bb.2675:
	s_and_not1_saveexec_b32 s11, s11
; %bb.2676:
	v_add_f32_e32 v1, 0x43000000, v3
; %bb.2677:
	s_or_b32 exec_lo, exec_lo, s11
                                        ; implicit-def: $vgpr3
.LBB55_2678:
	s_and_not1_saveexec_b32 s7, s7
; %bb.2679:
	v_mov_b32_e32 v1, 0x7f
	v_cmp_lt_u32_e32 vcc_lo, 0x7f800000, v3
	s_delay_alu instid0(VALU_DEP_2)
	v_cndmask_b32_e32 v1, 0x7c, v1, vcc_lo
; %bb.2680:
	s_or_b32 exec_lo, exec_lo, s7
	global_store_b8 v[6:7], v1, off
.LBB55_2681:
	s_mov_b32 s7, 0
	s_mov_b32 s11, -1
.LBB55_2682:
	s_and_not1_b32 vcc_lo, exec_lo, s7
	s_mov_b32 s7, 0
	s_cbranch_vccnz .LBB55_2689
; %bb.2683:
	s_cmp_gt_i32 s6, 14
	s_mov_b32 s7, -1
	s_cbranch_scc0 .LBB55_2687
; %bb.2684:
	s_cmp_eq_u32 s6, 15
	s_mov_b32 s0, -1
	s_cbranch_scc0 .LBB55_2686
; %bb.2685:
	s_wait_xcnt 0x0
	v_cndmask_b32_e64 v1, 0, 1.0, s3
	s_mov_b32 s0, 0
	s_mov_b32 s11, -1
	s_delay_alu instid0(VALU_DEP_1) | instskip(NEXT) | instid1(VALU_DEP_1)
	v_bfe_u32 v3, v1, 16, 1
	v_add3_u32 v1, v1, v3, 0x7fff
	global_store_d16_hi_b16 v[6:7], v1, off
.LBB55_2686:
	s_mov_b32 s7, 0
.LBB55_2687:
	s_delay_alu instid0(SALU_CYCLE_1)
	s_and_b32 vcc_lo, exec_lo, s7
	s_mov_b32 s7, 0
	s_cbranch_vccz .LBB55_2689
; %bb.2688:
	s_cmp_lg_u32 s6, 11
	s_mov_b32 s7, -1
	s_cselect_b32 s0, -1, 0
.LBB55_2689:
	s_delay_alu instid0(SALU_CYCLE_1)
	s_and_b32 vcc_lo, exec_lo, s0
	s_cbranch_vccnz .LBB55_3096
; %bb.2690:
	s_and_not1_b32 vcc_lo, exec_lo, s7
	s_cbranch_vccnz .LBB55_2692
.LBB55_2691:
	s_wait_xcnt 0x0
	v_cndmask_b32_e64 v1, 0, 1, s3
	s_mov_b32 s11, -1
	global_store_b8 v[6:7], v1, off
.LBB55_2692:
.LBB55_2693:
	s_and_not1_b32 vcc_lo, exec_lo, s11
	s_cbranch_vccnz .LBB55_3047
	s_branch .LBB55_2733
.LBB55_2694:
	s_and_b32 vcc_lo, exec_lo, s0
	s_cbranch_vccz .LBB55_2693
; %bb.2695:
	s_and_b32 s0, 0xffff, s1
	s_mov_b32 s6, -1
	s_cmp_lt_i32 s0, 5
	s_cbranch_scc1 .LBB55_2716
; %bb.2696:
	s_cmp_lt_i32 s0, 8
	s_cbranch_scc1 .LBB55_2706
; %bb.2697:
	;; [unrolled: 3-line block ×3, first 2 shown]
	s_cmp_gt_i32 s0, 9
	s_cbranch_scc0 .LBB55_2700
; %bb.2699:
	s_wait_xcnt 0x0
	v_cndmask_b32_e64 v1, 0, 1, s3
	v_mov_b32_e32 v26, 0
	s_mov_b32 s6, 0
	s_delay_alu instid0(VALU_DEP_2) | instskip(NEXT) | instid1(VALU_DEP_2)
	v_cvt_f64_u32_e32 v[24:25], v1
	v_mov_b32_e32 v27, v26
	global_store_b128 v[6:7], v[24:27], off
.LBB55_2700:
	s_and_not1_b32 vcc_lo, exec_lo, s6
	s_cbranch_vccnz .LBB55_2702
; %bb.2701:
	s_wait_xcnt 0x0
	v_cndmask_b32_e64 v8, 0, 1.0, s3
	v_mov_b32_e32 v9, 0
	global_store_b64 v[6:7], v[8:9], off
.LBB55_2702:
	s_mov_b32 s6, 0
.LBB55_2703:
	s_delay_alu instid0(SALU_CYCLE_1)
	s_and_not1_b32 vcc_lo, exec_lo, s6
	s_cbranch_vccnz .LBB55_2705
; %bb.2704:
	s_wait_xcnt 0x0
	v_cndmask_b32_e64 v1, 0, 1.0, s3
	s_delay_alu instid0(VALU_DEP_1) | instskip(NEXT) | instid1(VALU_DEP_1)
	v_cvt_f16_f32_e32 v1, v1
	v_and_b32_e32 v1, 0xffff, v1
	global_store_b32 v[6:7], v1, off
.LBB55_2705:
	s_mov_b32 s6, 0
.LBB55_2706:
	s_delay_alu instid0(SALU_CYCLE_1)
	s_and_not1_b32 vcc_lo, exec_lo, s6
	s_cbranch_vccnz .LBB55_2715
; %bb.2707:
	s_cmp_lt_i32 s0, 6
	s_mov_b32 s6, -1
	s_cbranch_scc1 .LBB55_2713
; %bb.2708:
	s_cmp_gt_i32 s0, 6
	s_cbranch_scc0 .LBB55_2710
; %bb.2709:
	s_wait_xcnt 0x0
	v_cndmask_b32_e64 v1, 0, 1, s3
	s_mov_b32 s6, 0
	s_delay_alu instid0(VALU_DEP_1)
	v_cvt_f64_u32_e32 v[8:9], v1
	global_store_b64 v[6:7], v[8:9], off
.LBB55_2710:
	s_and_not1_b32 vcc_lo, exec_lo, s6
	s_cbranch_vccnz .LBB55_2712
; %bb.2711:
	s_wait_xcnt 0x0
	v_cndmask_b32_e64 v1, 0, 1.0, s3
	global_store_b32 v[6:7], v1, off
.LBB55_2712:
	s_mov_b32 s6, 0
.LBB55_2713:
	s_delay_alu instid0(SALU_CYCLE_1)
	s_and_not1_b32 vcc_lo, exec_lo, s6
	s_cbranch_vccnz .LBB55_2715
; %bb.2714:
	s_wait_xcnt 0x0
	v_cndmask_b32_e64 v1, 0, 1.0, s3
	s_delay_alu instid0(VALU_DEP_1)
	v_cvt_f16_f32_e32 v1, v1
	global_store_b16 v[6:7], v1, off
.LBB55_2715:
	s_mov_b32 s6, 0
.LBB55_2716:
	s_delay_alu instid0(SALU_CYCLE_1)
	s_and_not1_b32 vcc_lo, exec_lo, s6
	s_cbranch_vccnz .LBB55_2732
; %bb.2717:
	s_cmp_lt_i32 s0, 2
	s_mov_b32 s6, -1
	s_cbranch_scc1 .LBB55_2727
; %bb.2718:
	s_cmp_lt_i32 s0, 3
	s_cbranch_scc1 .LBB55_2724
; %bb.2719:
	s_cmp_gt_i32 s0, 3
	s_cbranch_scc0 .LBB55_2721
; %bb.2720:
	s_mov_b32 s6, 0
	s_wait_xcnt 0x0
	v_cndmask_b32_e64 v8, 0, 1, s3
	v_mov_b32_e32 v9, s6
	global_store_b64 v[6:7], v[8:9], off
.LBB55_2721:
	s_and_not1_b32 vcc_lo, exec_lo, s6
	s_cbranch_vccnz .LBB55_2723
; %bb.2722:
	s_wait_xcnt 0x0
	v_cndmask_b32_e64 v1, 0, 1, s3
	global_store_b32 v[6:7], v1, off
.LBB55_2723:
	s_mov_b32 s6, 0
.LBB55_2724:
	s_delay_alu instid0(SALU_CYCLE_1)
	s_and_not1_b32 vcc_lo, exec_lo, s6
	s_cbranch_vccnz .LBB55_2726
; %bb.2725:
	s_wait_xcnt 0x0
	v_cndmask_b32_e64 v1, 0, 1, s3
	global_store_b16 v[6:7], v1, off
.LBB55_2726:
	s_mov_b32 s6, 0
.LBB55_2727:
	s_delay_alu instid0(SALU_CYCLE_1)
	s_and_not1_b32 vcc_lo, exec_lo, s6
	s_cbranch_vccnz .LBB55_2732
; %bb.2728:
	s_wait_xcnt 0x0
	v_cndmask_b32_e64 v1, 0, 1, s3
	s_cmp_gt_i32 s0, 0
	s_mov_b32 s0, -1
	s_cbranch_scc0 .LBB55_2730
; %bb.2729:
	s_mov_b32 s0, 0
	global_store_b8 v[6:7], v1, off
.LBB55_2730:
	s_and_not1_b32 vcc_lo, exec_lo, s0
	s_cbranch_vccnz .LBB55_2732
; %bb.2731:
	global_store_b8 v[6:7], v1, off
.LBB55_2732:
.LBB55_2733:
	s_wait_xcnt 0x0
	v_mov_b32_e32 v5, 0
	v_cmp_ne_u64_e32 vcc_lo, v[14:15], v[18:19]
	s_and_b32 s3, 0xffff, s1
	s_delay_alu instid0(VALU_DEP_2)
	v_add_nc_u64_e32 v[4:5], s[4:5], v[4:5]
	s_xor_b32 s6, s2, vcc_lo
	s_cmp_lt_i32 s3, 11
	s_cbranch_scc1 .LBB55_2811
; %bb.2734:
	s_mov_b32 s12, -1
	s_mov_b32 s7, 0
	s_cmp_gt_i32 s3, 25
	s_mov_b32 s11, 0
	s_mov_b32 s0, 0
	s_cbranch_scc0 .LBB55_2767
; %bb.2735:
	s_cmp_gt_i32 s3, 28
	s_cbranch_scc0 .LBB55_2750
; %bb.2736:
	s_cmp_gt_i32 s3, 43
	s_cbranch_scc0 .LBB55_2746
; %bb.2737:
	s_cmp_gt_i32 s3, 45
	s_cbranch_scc0 .LBB55_2740
; %bb.2738:
	s_mov_b32 s0, -1
	s_mov_b32 s12, 0
	s_cmp_eq_u32 s3, 46
	s_cbranch_scc0 .LBB55_2740
; %bb.2739:
	v_cndmask_b32_e64 v1, 0, 1.0, s6
	s_mov_b32 s0, 0
	s_mov_b32 s11, -1
	s_delay_alu instid0(VALU_DEP_1) | instskip(NEXT) | instid1(VALU_DEP_1)
	v_bfe_u32 v3, v1, 16, 1
	v_add3_u32 v1, v1, v3, 0x7fff
	s_delay_alu instid0(VALU_DEP_1)
	v_lshrrev_b32_e32 v1, 16, v1
	global_store_b32 v[4:5], v1, off
.LBB55_2740:
	s_and_b32 vcc_lo, exec_lo, s12
	s_cbranch_vccz .LBB55_2745
; %bb.2741:
	s_cmp_eq_u32 s3, 44
	s_mov_b32 s0, -1
	s_cbranch_scc0 .LBB55_2745
; %bb.2742:
	v_cndmask_b32_e64 v6, 0, 1.0, s6
	v_mov_b32_e32 v3, 0xff
	s_mov_b32 s11, exec_lo
	s_wait_xcnt 0x0
	s_delay_alu instid0(VALU_DEP_2) | instskip(NEXT) | instid1(VALU_DEP_1)
	v_lshrrev_b32_e32 v1, 23, v6
	v_cmpx_ne_u32_e32 0xff, v1
; %bb.2743:
	v_and_b32_e32 v3, 0x400000, v6
	v_and_or_b32 v6, 0x3fffff, v6, v1
	s_delay_alu instid0(VALU_DEP_2) | instskip(NEXT) | instid1(VALU_DEP_2)
	v_cmp_ne_u32_e32 vcc_lo, 0, v3
	v_cmp_ne_u32_e64 s0, 0, v6
	s_and_b32 s0, vcc_lo, s0
	s_delay_alu instid0(SALU_CYCLE_1) | instskip(NEXT) | instid1(VALU_DEP_1)
	v_cndmask_b32_e64 v3, 0, 1, s0
	v_add_nc_u32_e32 v3, v1, v3
; %bb.2744:
	s_or_b32 exec_lo, exec_lo, s11
	s_mov_b32 s0, 0
	s_mov_b32 s11, -1
	global_store_b8 v[4:5], v3, off
.LBB55_2745:
	s_mov_b32 s12, 0
.LBB55_2746:
	s_delay_alu instid0(SALU_CYCLE_1)
	s_and_b32 vcc_lo, exec_lo, s12
	s_cbranch_vccz .LBB55_2749
; %bb.2747:
	s_cmp_eq_u32 s3, 29
	s_mov_b32 s0, -1
	s_cbranch_scc0 .LBB55_2749
; %bb.2748:
	s_mov_b32 s0, 0
	v_cndmask_b32_e64 v6, 0, 1, s6
	v_mov_b32_e32 v7, s0
	s_mov_b32 s11, -1
	global_store_b64 v[4:5], v[6:7], off
.LBB55_2749:
	s_mov_b32 s12, 0
.LBB55_2750:
	s_delay_alu instid0(SALU_CYCLE_1)
	s_and_b32 vcc_lo, exec_lo, s12
	s_cbranch_vccz .LBB55_2766
; %bb.2751:
	s_cmp_lt_i32 s3, 27
	s_mov_b32 s11, -1
	s_cbranch_scc1 .LBB55_2757
; %bb.2752:
	s_cmp_gt_i32 s3, 27
	s_cbranch_scc0 .LBB55_2754
; %bb.2753:
	s_wait_xcnt 0x0
	v_cndmask_b32_e64 v1, 0, 1, s6
	s_mov_b32 s11, 0
	global_store_b32 v[4:5], v1, off
.LBB55_2754:
	s_and_not1_b32 vcc_lo, exec_lo, s11
	s_cbranch_vccnz .LBB55_2756
; %bb.2755:
	s_wait_xcnt 0x0
	v_cndmask_b32_e64 v1, 0, 1, s6
	global_store_b16 v[4:5], v1, off
.LBB55_2756:
	s_mov_b32 s11, 0
.LBB55_2757:
	s_delay_alu instid0(SALU_CYCLE_1)
	s_and_not1_b32 vcc_lo, exec_lo, s11
	s_cbranch_vccnz .LBB55_2765
; %bb.2758:
	s_wait_xcnt 0x0
	v_cndmask_b32_e64 v3, 0, 1.0, s6
	v_mov_b32_e32 v6, 0x80
	s_mov_b32 s11, exec_lo
	s_delay_alu instid0(VALU_DEP_2)
	v_cmpx_gt_u32_e32 0x43800000, v3
	s_cbranch_execz .LBB55_2764
; %bb.2759:
	s_mov_b32 s12, 0
	s_mov_b32 s13, exec_lo
                                        ; implicit-def: $vgpr1
	v_cmpx_lt_u32_e32 0x3bffffff, v3
	s_xor_b32 s13, exec_lo, s13
	s_cbranch_execz .LBB55_3099
; %bb.2760:
	v_bfe_u32 v1, v3, 20, 1
	s_mov_b32 s12, exec_lo
	s_delay_alu instid0(VALU_DEP_1) | instskip(NEXT) | instid1(VALU_DEP_1)
	v_add3_u32 v1, v3, v1, 0x487ffff
                                        ; implicit-def: $vgpr3
	v_lshrrev_b32_e32 v1, 20, v1
	s_and_not1_saveexec_b32 s13, s13
	s_cbranch_execnz .LBB55_3100
.LBB55_2761:
	s_or_b32 exec_lo, exec_lo, s13
	v_mov_b32_e32 v6, 0
	s_and_saveexec_b32 s13, s12
.LBB55_2762:
	v_mov_b32_e32 v6, v1
.LBB55_2763:
	s_or_b32 exec_lo, exec_lo, s13
.LBB55_2764:
	s_delay_alu instid0(SALU_CYCLE_1)
	s_or_b32 exec_lo, exec_lo, s11
	global_store_b8 v[4:5], v6, off
.LBB55_2765:
	s_mov_b32 s11, -1
.LBB55_2766:
	s_mov_b32 s12, 0
.LBB55_2767:
	s_delay_alu instid0(SALU_CYCLE_1)
	s_and_b32 vcc_lo, exec_lo, s12
	s_cbranch_vccz .LBB55_2807
; %bb.2768:
	s_cmp_gt_i32 s3, 22
	s_mov_b32 s7, -1
	s_cbranch_scc0 .LBB55_2800
; %bb.2769:
	s_cmp_lt_i32 s3, 24
	s_cbranch_scc1 .LBB55_2789
; %bb.2770:
	s_cmp_gt_i32 s3, 24
	s_cbranch_scc0 .LBB55_2778
; %bb.2771:
	s_wait_xcnt 0x0
	v_cndmask_b32_e64 v3, 0, 1.0, s6
	v_mov_b32_e32 v6, 0x80
	s_mov_b32 s7, exec_lo
	s_delay_alu instid0(VALU_DEP_2)
	v_cmpx_gt_u32_e32 0x47800000, v3
	s_cbranch_execz .LBB55_2777
; %bb.2772:
	s_mov_b32 s11, 0
	s_mov_b32 s12, exec_lo
                                        ; implicit-def: $vgpr1
	v_cmpx_lt_u32_e32 0x37ffffff, v3
	s_xor_b32 s12, exec_lo, s12
	s_cbranch_execz .LBB55_3102
; %bb.2773:
	v_bfe_u32 v1, v3, 21, 1
	s_mov_b32 s11, exec_lo
	s_delay_alu instid0(VALU_DEP_1) | instskip(NEXT) | instid1(VALU_DEP_1)
	v_add3_u32 v1, v3, v1, 0x88fffff
                                        ; implicit-def: $vgpr3
	v_lshrrev_b32_e32 v1, 21, v1
	s_and_not1_saveexec_b32 s12, s12
	s_cbranch_execnz .LBB55_3103
.LBB55_2774:
	s_or_b32 exec_lo, exec_lo, s12
	v_mov_b32_e32 v6, 0
	s_and_saveexec_b32 s12, s11
.LBB55_2775:
	v_mov_b32_e32 v6, v1
.LBB55_2776:
	s_or_b32 exec_lo, exec_lo, s12
.LBB55_2777:
	s_delay_alu instid0(SALU_CYCLE_1)
	s_or_b32 exec_lo, exec_lo, s7
	s_mov_b32 s7, 0
	global_store_b8 v[4:5], v6, off
.LBB55_2778:
	s_and_b32 vcc_lo, exec_lo, s7
	s_cbranch_vccz .LBB55_2788
; %bb.2779:
	s_wait_xcnt 0x0
	v_cndmask_b32_e64 v3, 0, 1.0, s6
	s_mov_b32 s7, exec_lo
                                        ; implicit-def: $vgpr1
	s_delay_alu instid0(VALU_DEP_1)
	v_cmpx_gt_u32_e32 0x43f00000, v3
	s_xor_b32 s7, exec_lo, s7
	s_cbranch_execz .LBB55_2785
; %bb.2780:
	s_mov_b32 s11, exec_lo
                                        ; implicit-def: $vgpr1
	v_cmpx_lt_u32_e32 0x3c7fffff, v3
	s_xor_b32 s11, exec_lo, s11
; %bb.2781:
	v_bfe_u32 v1, v3, 20, 1
	s_delay_alu instid0(VALU_DEP_1) | instskip(NEXT) | instid1(VALU_DEP_1)
	v_add3_u32 v1, v3, v1, 0x407ffff
	v_and_b32_e32 v3, 0xff00000, v1
	v_lshrrev_b32_e32 v1, 20, v1
	s_delay_alu instid0(VALU_DEP_2) | instskip(NEXT) | instid1(VALU_DEP_2)
	v_cmp_ne_u32_e32 vcc_lo, 0x7f00000, v3
                                        ; implicit-def: $vgpr3
	v_cndmask_b32_e32 v1, 0x7e, v1, vcc_lo
; %bb.2782:
	s_and_not1_saveexec_b32 s11, s11
; %bb.2783:
	v_add_f32_e32 v1, 0x46800000, v3
; %bb.2784:
	s_or_b32 exec_lo, exec_lo, s11
                                        ; implicit-def: $vgpr3
.LBB55_2785:
	s_and_not1_saveexec_b32 s7, s7
; %bb.2786:
	v_mov_b32_e32 v1, 0x7f
	v_cmp_lt_u32_e32 vcc_lo, 0x7f800000, v3
	s_delay_alu instid0(VALU_DEP_2)
	v_cndmask_b32_e32 v1, 0x7e, v1, vcc_lo
; %bb.2787:
	s_or_b32 exec_lo, exec_lo, s7
	global_store_b8 v[4:5], v1, off
.LBB55_2788:
	s_mov_b32 s7, 0
.LBB55_2789:
	s_delay_alu instid0(SALU_CYCLE_1)
	s_and_not1_b32 vcc_lo, exec_lo, s7
	s_cbranch_vccnz .LBB55_2799
; %bb.2790:
	s_wait_xcnt 0x0
	v_cndmask_b32_e64 v3, 0, 1.0, s6
	s_mov_b32 s7, exec_lo
                                        ; implicit-def: $vgpr1
	s_delay_alu instid0(VALU_DEP_1)
	v_cmpx_gt_u32_e32 0x47800000, v3
	s_xor_b32 s7, exec_lo, s7
	s_cbranch_execz .LBB55_2796
; %bb.2791:
	s_mov_b32 s11, exec_lo
                                        ; implicit-def: $vgpr1
	v_cmpx_lt_u32_e32 0x387fffff, v3
	s_xor_b32 s11, exec_lo, s11
; %bb.2792:
	v_bfe_u32 v1, v3, 21, 1
	s_delay_alu instid0(VALU_DEP_1) | instskip(NEXT) | instid1(VALU_DEP_1)
	v_add3_u32 v1, v3, v1, 0x80fffff
                                        ; implicit-def: $vgpr3
	v_lshrrev_b32_e32 v1, 21, v1
; %bb.2793:
	s_and_not1_saveexec_b32 s11, s11
; %bb.2794:
	v_add_f32_e32 v1, 0x43000000, v3
; %bb.2795:
	s_or_b32 exec_lo, exec_lo, s11
                                        ; implicit-def: $vgpr3
.LBB55_2796:
	s_and_not1_saveexec_b32 s7, s7
; %bb.2797:
	v_mov_b32_e32 v1, 0x7f
	v_cmp_lt_u32_e32 vcc_lo, 0x7f800000, v3
	s_delay_alu instid0(VALU_DEP_2)
	v_cndmask_b32_e32 v1, 0x7c, v1, vcc_lo
; %bb.2798:
	s_or_b32 exec_lo, exec_lo, s7
	global_store_b8 v[4:5], v1, off
.LBB55_2799:
	s_mov_b32 s7, 0
	s_mov_b32 s11, -1
.LBB55_2800:
	s_and_not1_b32 vcc_lo, exec_lo, s7
	s_mov_b32 s7, 0
	s_cbranch_vccnz .LBB55_2807
; %bb.2801:
	s_cmp_gt_i32 s3, 14
	s_mov_b32 s7, -1
	s_cbranch_scc0 .LBB55_2805
; %bb.2802:
	s_cmp_eq_u32 s3, 15
	s_mov_b32 s0, -1
	s_cbranch_scc0 .LBB55_2804
; %bb.2803:
	s_wait_xcnt 0x0
	v_cndmask_b32_e64 v1, 0, 1.0, s6
	s_mov_b32 s0, 0
	s_mov_b32 s11, -1
	s_delay_alu instid0(VALU_DEP_1) | instskip(NEXT) | instid1(VALU_DEP_1)
	v_bfe_u32 v3, v1, 16, 1
	v_add3_u32 v1, v1, v3, 0x7fff
	global_store_d16_hi_b16 v[4:5], v1, off
.LBB55_2804:
	s_mov_b32 s7, 0
.LBB55_2805:
	s_delay_alu instid0(SALU_CYCLE_1)
	s_and_b32 vcc_lo, exec_lo, s7
	s_mov_b32 s7, 0
	s_cbranch_vccz .LBB55_2807
; %bb.2806:
	s_cmp_lg_u32 s3, 11
	s_mov_b32 s7, -1
	s_cselect_b32 s0, -1, 0
.LBB55_2807:
	s_delay_alu instid0(SALU_CYCLE_1)
	s_and_b32 vcc_lo, exec_lo, s0
	s_cbranch_vccnz .LBB55_3101
; %bb.2808:
	s_and_not1_b32 vcc_lo, exec_lo, s7
	s_cbranch_vccnz .LBB55_2810
.LBB55_2809:
	s_wait_xcnt 0x0
	v_cndmask_b32_e64 v1, 0, 1, s6
	s_mov_b32 s11, -1
	global_store_b8 v[4:5], v1, off
.LBB55_2810:
	s_mov_b32 s0, 0
	s_branch .LBB55_2812
.LBB55_2811:
	s_mov_b32 s0, -1
	s_mov_b32 s11, 0
.LBB55_2812:
	s_and_b32 vcc_lo, exec_lo, s0
	s_cbranch_vccz .LBB55_2851
; %bb.2813:
	s_cmp_lt_i32 s3, 5
	s_mov_b32 s0, -1
	s_cbranch_scc1 .LBB55_2834
; %bb.2814:
	s_cmp_lt_i32 s3, 8
	s_cbranch_scc1 .LBB55_2824
; %bb.2815:
	s_cmp_lt_i32 s3, 9
	s_cbranch_scc1 .LBB55_2821
; %bb.2816:
	s_cmp_gt_i32 s3, 9
	s_cbranch_scc0 .LBB55_2818
; %bb.2817:
	s_wait_xcnt 0x0
	v_cndmask_b32_e64 v1, 0, 1, s6
	v_mov_b32_e32 v8, 0
	s_mov_b32 s0, 0
	s_delay_alu instid0(VALU_DEP_2) | instskip(NEXT) | instid1(VALU_DEP_2)
	v_cvt_f64_u32_e32 v[6:7], v1
	v_mov_b32_e32 v9, v8
	global_store_b128 v[4:5], v[6:9], off
.LBB55_2818:
	s_and_not1_b32 vcc_lo, exec_lo, s0
	s_cbranch_vccnz .LBB55_2820
; %bb.2819:
	s_wait_xcnt 0x0
	v_cndmask_b32_e64 v6, 0, 1.0, s6
	v_mov_b32_e32 v7, 0
	global_store_b64 v[4:5], v[6:7], off
.LBB55_2820:
	s_mov_b32 s0, 0
.LBB55_2821:
	s_delay_alu instid0(SALU_CYCLE_1)
	s_and_not1_b32 vcc_lo, exec_lo, s0
	s_cbranch_vccnz .LBB55_2823
; %bb.2822:
	s_wait_xcnt 0x0
	v_cndmask_b32_e64 v1, 0, 1.0, s6
	s_delay_alu instid0(VALU_DEP_1) | instskip(NEXT) | instid1(VALU_DEP_1)
	v_cvt_f16_f32_e32 v1, v1
	v_and_b32_e32 v1, 0xffff, v1
	global_store_b32 v[4:5], v1, off
.LBB55_2823:
	s_mov_b32 s0, 0
.LBB55_2824:
	s_delay_alu instid0(SALU_CYCLE_1)
	s_and_not1_b32 vcc_lo, exec_lo, s0
	s_cbranch_vccnz .LBB55_2833
; %bb.2825:
	s_cmp_lt_i32 s3, 6
	s_mov_b32 s0, -1
	s_cbranch_scc1 .LBB55_2831
; %bb.2826:
	s_cmp_gt_i32 s3, 6
	s_cbranch_scc0 .LBB55_2828
; %bb.2827:
	s_wait_xcnt 0x0
	v_cndmask_b32_e64 v1, 0, 1, s6
	s_mov_b32 s0, 0
	s_delay_alu instid0(VALU_DEP_1)
	v_cvt_f64_u32_e32 v[6:7], v1
	global_store_b64 v[4:5], v[6:7], off
.LBB55_2828:
	s_and_not1_b32 vcc_lo, exec_lo, s0
	s_cbranch_vccnz .LBB55_2830
; %bb.2829:
	s_wait_xcnt 0x0
	v_cndmask_b32_e64 v1, 0, 1.0, s6
	global_store_b32 v[4:5], v1, off
.LBB55_2830:
	s_mov_b32 s0, 0
.LBB55_2831:
	s_delay_alu instid0(SALU_CYCLE_1)
	s_and_not1_b32 vcc_lo, exec_lo, s0
	s_cbranch_vccnz .LBB55_2833
; %bb.2832:
	s_wait_xcnt 0x0
	v_cndmask_b32_e64 v1, 0, 1.0, s6
	s_delay_alu instid0(VALU_DEP_1)
	v_cvt_f16_f32_e32 v1, v1
	global_store_b16 v[4:5], v1, off
.LBB55_2833:
	s_mov_b32 s0, 0
.LBB55_2834:
	s_delay_alu instid0(SALU_CYCLE_1)
	s_and_not1_b32 vcc_lo, exec_lo, s0
	s_cbranch_vccnz .LBB55_2850
; %bb.2835:
	s_cmp_lt_i32 s3, 2
	s_mov_b32 s0, -1
	s_cbranch_scc1 .LBB55_2845
; %bb.2836:
	s_cmp_lt_i32 s3, 3
	s_cbranch_scc1 .LBB55_2842
; %bb.2837:
	s_cmp_gt_i32 s3, 3
	s_cbranch_scc0 .LBB55_2839
; %bb.2838:
	s_mov_b32 s0, 0
	s_wait_xcnt 0x0
	v_cndmask_b32_e64 v6, 0, 1, s6
	v_mov_b32_e32 v7, s0
	global_store_b64 v[4:5], v[6:7], off
.LBB55_2839:
	s_and_not1_b32 vcc_lo, exec_lo, s0
	s_cbranch_vccnz .LBB55_2841
; %bb.2840:
	s_wait_xcnt 0x0
	v_cndmask_b32_e64 v1, 0, 1, s6
	global_store_b32 v[4:5], v1, off
.LBB55_2841:
	s_mov_b32 s0, 0
.LBB55_2842:
	s_delay_alu instid0(SALU_CYCLE_1)
	s_and_not1_b32 vcc_lo, exec_lo, s0
	s_cbranch_vccnz .LBB55_2844
; %bb.2843:
	s_wait_xcnt 0x0
	v_cndmask_b32_e64 v1, 0, 1, s6
	global_store_b16 v[4:5], v1, off
.LBB55_2844:
	s_mov_b32 s0, 0
.LBB55_2845:
	s_delay_alu instid0(SALU_CYCLE_1)
	s_and_not1_b32 vcc_lo, exec_lo, s0
	s_cbranch_vccnz .LBB55_2850
; %bb.2846:
	s_wait_xcnt 0x0
	v_cndmask_b32_e64 v1, 0, 1, s6
	s_cmp_gt_i32 s3, 0
	s_mov_b32 s0, -1
	s_cbranch_scc0 .LBB55_2848
; %bb.2847:
	s_mov_b32 s0, 0
	global_store_b8 v[4:5], v1, off
.LBB55_2848:
	s_and_not1_b32 vcc_lo, exec_lo, s0
	s_cbranch_vccnz .LBB55_2850
; %bb.2849:
	global_store_b8 v[4:5], v1, off
.LBB55_2850:
	s_mov_b32 s11, -1
.LBB55_2851:
	s_delay_alu instid0(SALU_CYCLE_1)
	s_and_not1_b32 vcc_lo, exec_lo, s11
	s_cbranch_vccnz .LBB55_3047
; %bb.2852:
	s_wait_xcnt 0x0
	v_mov_b32_e32 v3, 0
	v_cmp_ne_u64_e32 vcc_lo, v[22:23], v[20:21]
	s_delay_alu instid0(VALU_DEP_2)
	v_add_nc_u64_e32 v[2:3], s[4:5], v[2:3]
	s_xor_b32 s6, s2, vcc_lo
	s_cmp_lt_i32 s3, 11
	s_cbranch_scc1 .LBB55_2930
; %bb.2853:
	s_mov_b32 s12, -1
	s_mov_b32 s7, 0
	s_cmp_gt_i32 s3, 25
	s_mov_b32 s11, 0
	s_mov_b32 s0, 0
	s_cbranch_scc0 .LBB55_2886
; %bb.2854:
	s_cmp_gt_i32 s3, 28
	s_cbranch_scc0 .LBB55_2869
; %bb.2855:
	s_cmp_gt_i32 s3, 43
	;; [unrolled: 3-line block ×3, first 2 shown]
	s_cbranch_scc0 .LBB55_2859
; %bb.2857:
	s_mov_b32 s0, -1
	s_mov_b32 s12, 0
	s_cmp_eq_u32 s3, 46
	s_cbranch_scc0 .LBB55_2859
; %bb.2858:
	v_cndmask_b32_e64 v1, 0, 1.0, s6
	s_mov_b32 s0, 0
	s_mov_b32 s11, -1
	s_delay_alu instid0(VALU_DEP_1) | instskip(NEXT) | instid1(VALU_DEP_1)
	v_bfe_u32 v4, v1, 16, 1
	v_add3_u32 v1, v1, v4, 0x7fff
	s_delay_alu instid0(VALU_DEP_1)
	v_lshrrev_b32_e32 v1, 16, v1
	global_store_b32 v[2:3], v1, off
.LBB55_2859:
	s_and_b32 vcc_lo, exec_lo, s12
	s_cbranch_vccz .LBB55_2864
; %bb.2860:
	s_cmp_eq_u32 s3, 44
	s_mov_b32 s0, -1
	s_cbranch_scc0 .LBB55_2864
; %bb.2861:
	v_cndmask_b32_e64 v5, 0, 1.0, s6
	s_mov_b32 s11, exec_lo
	s_wait_xcnt 0x0
	s_delay_alu instid0(VALU_DEP_1) | instskip(NEXT) | instid1(VALU_DEP_1)
	v_dual_mov_b32 v4, 0xff :: v_dual_lshrrev_b32 v1, 23, v5
	v_cmpx_ne_u32_e32 0xff, v1
; %bb.2862:
	v_and_b32_e32 v4, 0x400000, v5
	v_and_or_b32 v5, 0x3fffff, v5, v1
	s_delay_alu instid0(VALU_DEP_2) | instskip(NEXT) | instid1(VALU_DEP_2)
	v_cmp_ne_u32_e32 vcc_lo, 0, v4
	v_cmp_ne_u32_e64 s0, 0, v5
	s_and_b32 s0, vcc_lo, s0
	s_delay_alu instid0(SALU_CYCLE_1) | instskip(NEXT) | instid1(VALU_DEP_1)
	v_cndmask_b32_e64 v4, 0, 1, s0
	v_add_nc_u32_e32 v4, v1, v4
; %bb.2863:
	s_or_b32 exec_lo, exec_lo, s11
	s_mov_b32 s0, 0
	s_mov_b32 s11, -1
	global_store_b8 v[2:3], v4, off
.LBB55_2864:
	s_mov_b32 s12, 0
.LBB55_2865:
	s_delay_alu instid0(SALU_CYCLE_1)
	s_and_b32 vcc_lo, exec_lo, s12
	s_cbranch_vccz .LBB55_2868
; %bb.2866:
	s_cmp_eq_u32 s3, 29
	s_mov_b32 s0, -1
	s_cbranch_scc0 .LBB55_2868
; %bb.2867:
	s_mov_b32 s0, 0
	s_wait_xcnt 0x0
	v_cndmask_b32_e64 v4, 0, 1, s6
	v_mov_b32_e32 v5, s0
	s_mov_b32 s11, -1
	global_store_b64 v[2:3], v[4:5], off
.LBB55_2868:
	s_mov_b32 s12, 0
.LBB55_2869:
	s_delay_alu instid0(SALU_CYCLE_1)
	s_and_b32 vcc_lo, exec_lo, s12
	s_cbranch_vccz .LBB55_2885
; %bb.2870:
	s_cmp_lt_i32 s3, 27
	s_mov_b32 s11, -1
	s_cbranch_scc1 .LBB55_2876
; %bb.2871:
	s_cmp_gt_i32 s3, 27
	s_cbranch_scc0 .LBB55_2873
; %bb.2872:
	s_wait_xcnt 0x0
	v_cndmask_b32_e64 v1, 0, 1, s6
	s_mov_b32 s11, 0
	global_store_b32 v[2:3], v1, off
.LBB55_2873:
	s_and_not1_b32 vcc_lo, exec_lo, s11
	s_cbranch_vccnz .LBB55_2875
; %bb.2874:
	s_wait_xcnt 0x0
	v_cndmask_b32_e64 v1, 0, 1, s6
	global_store_b16 v[2:3], v1, off
.LBB55_2875:
	s_mov_b32 s11, 0
.LBB55_2876:
	s_delay_alu instid0(SALU_CYCLE_1)
	s_and_not1_b32 vcc_lo, exec_lo, s11
	s_cbranch_vccnz .LBB55_2884
; %bb.2877:
	s_wait_xcnt 0x0
	v_cndmask_b32_e64 v4, 0, 1.0, s6
	v_mov_b32_e32 v5, 0x80
	s_mov_b32 s11, exec_lo
	s_delay_alu instid0(VALU_DEP_2)
	v_cmpx_gt_u32_e32 0x43800000, v4
	s_cbranch_execz .LBB55_2883
; %bb.2878:
	s_mov_b32 s12, 0
	s_mov_b32 s13, exec_lo
                                        ; implicit-def: $vgpr1
	v_cmpx_lt_u32_e32 0x3bffffff, v4
	s_xor_b32 s13, exec_lo, s13
	s_cbranch_execz .LBB55_3104
; %bb.2879:
	v_bfe_u32 v1, v4, 20, 1
	s_mov_b32 s12, exec_lo
	s_delay_alu instid0(VALU_DEP_1) | instskip(NEXT) | instid1(VALU_DEP_1)
	v_add3_u32 v1, v4, v1, 0x487ffff
                                        ; implicit-def: $vgpr4
	v_lshrrev_b32_e32 v1, 20, v1
	s_and_not1_saveexec_b32 s13, s13
	s_cbranch_execnz .LBB55_3105
.LBB55_2880:
	s_or_b32 exec_lo, exec_lo, s13
	v_mov_b32_e32 v5, 0
	s_and_saveexec_b32 s13, s12
.LBB55_2881:
	v_mov_b32_e32 v5, v1
.LBB55_2882:
	s_or_b32 exec_lo, exec_lo, s13
.LBB55_2883:
	s_delay_alu instid0(SALU_CYCLE_1)
	s_or_b32 exec_lo, exec_lo, s11
	global_store_b8 v[2:3], v5, off
.LBB55_2884:
	s_mov_b32 s11, -1
.LBB55_2885:
	s_mov_b32 s12, 0
.LBB55_2886:
	s_delay_alu instid0(SALU_CYCLE_1)
	s_and_b32 vcc_lo, exec_lo, s12
	s_cbranch_vccz .LBB55_2926
; %bb.2887:
	s_cmp_gt_i32 s3, 22
	s_mov_b32 s7, -1
	s_cbranch_scc0 .LBB55_2919
; %bb.2888:
	s_cmp_lt_i32 s3, 24
	s_cbranch_scc1 .LBB55_2908
; %bb.2889:
	s_cmp_gt_i32 s3, 24
	s_cbranch_scc0 .LBB55_2897
; %bb.2890:
	s_wait_xcnt 0x0
	v_cndmask_b32_e64 v4, 0, 1.0, s6
	v_mov_b32_e32 v5, 0x80
	s_mov_b32 s7, exec_lo
	s_delay_alu instid0(VALU_DEP_2)
	v_cmpx_gt_u32_e32 0x47800000, v4
	s_cbranch_execz .LBB55_2896
; %bb.2891:
	s_mov_b32 s11, 0
	s_mov_b32 s12, exec_lo
                                        ; implicit-def: $vgpr1
	v_cmpx_lt_u32_e32 0x37ffffff, v4
	s_xor_b32 s12, exec_lo, s12
	s_cbranch_execz .LBB55_3107
; %bb.2892:
	v_bfe_u32 v1, v4, 21, 1
	s_mov_b32 s11, exec_lo
	s_delay_alu instid0(VALU_DEP_1) | instskip(NEXT) | instid1(VALU_DEP_1)
	v_add3_u32 v1, v4, v1, 0x88fffff
                                        ; implicit-def: $vgpr4
	v_lshrrev_b32_e32 v1, 21, v1
	s_and_not1_saveexec_b32 s12, s12
	s_cbranch_execnz .LBB55_3108
.LBB55_2893:
	s_or_b32 exec_lo, exec_lo, s12
	v_mov_b32_e32 v5, 0
	s_and_saveexec_b32 s12, s11
.LBB55_2894:
	v_mov_b32_e32 v5, v1
.LBB55_2895:
	s_or_b32 exec_lo, exec_lo, s12
.LBB55_2896:
	s_delay_alu instid0(SALU_CYCLE_1)
	s_or_b32 exec_lo, exec_lo, s7
	s_mov_b32 s7, 0
	global_store_b8 v[2:3], v5, off
.LBB55_2897:
	s_and_b32 vcc_lo, exec_lo, s7
	s_cbranch_vccz .LBB55_2907
; %bb.2898:
	s_wait_xcnt 0x0
	v_cndmask_b32_e64 v4, 0, 1.0, s6
	s_mov_b32 s7, exec_lo
                                        ; implicit-def: $vgpr1
	s_delay_alu instid0(VALU_DEP_1)
	v_cmpx_gt_u32_e32 0x43f00000, v4
	s_xor_b32 s7, exec_lo, s7
	s_cbranch_execz .LBB55_2904
; %bb.2899:
	s_mov_b32 s11, exec_lo
                                        ; implicit-def: $vgpr1
	v_cmpx_lt_u32_e32 0x3c7fffff, v4
	s_xor_b32 s11, exec_lo, s11
; %bb.2900:
	v_bfe_u32 v1, v4, 20, 1
	s_delay_alu instid0(VALU_DEP_1) | instskip(NEXT) | instid1(VALU_DEP_1)
	v_add3_u32 v1, v4, v1, 0x407ffff
	v_and_b32_e32 v4, 0xff00000, v1
	v_lshrrev_b32_e32 v1, 20, v1
	s_delay_alu instid0(VALU_DEP_2) | instskip(NEXT) | instid1(VALU_DEP_2)
	v_cmp_ne_u32_e32 vcc_lo, 0x7f00000, v4
                                        ; implicit-def: $vgpr4
	v_cndmask_b32_e32 v1, 0x7e, v1, vcc_lo
; %bb.2901:
	s_and_not1_saveexec_b32 s11, s11
; %bb.2902:
	v_add_f32_e32 v1, 0x46800000, v4
; %bb.2903:
	s_or_b32 exec_lo, exec_lo, s11
                                        ; implicit-def: $vgpr4
.LBB55_2904:
	s_and_not1_saveexec_b32 s7, s7
; %bb.2905:
	v_mov_b32_e32 v1, 0x7f
	v_cmp_lt_u32_e32 vcc_lo, 0x7f800000, v4
	s_delay_alu instid0(VALU_DEP_2)
	v_cndmask_b32_e32 v1, 0x7e, v1, vcc_lo
; %bb.2906:
	s_or_b32 exec_lo, exec_lo, s7
	global_store_b8 v[2:3], v1, off
.LBB55_2907:
	s_mov_b32 s7, 0
.LBB55_2908:
	s_delay_alu instid0(SALU_CYCLE_1)
	s_and_not1_b32 vcc_lo, exec_lo, s7
	s_cbranch_vccnz .LBB55_2918
; %bb.2909:
	s_wait_xcnt 0x0
	v_cndmask_b32_e64 v4, 0, 1.0, s6
	s_mov_b32 s7, exec_lo
                                        ; implicit-def: $vgpr1
	s_delay_alu instid0(VALU_DEP_1)
	v_cmpx_gt_u32_e32 0x47800000, v4
	s_xor_b32 s7, exec_lo, s7
	s_cbranch_execz .LBB55_2915
; %bb.2910:
	s_mov_b32 s11, exec_lo
                                        ; implicit-def: $vgpr1
	v_cmpx_lt_u32_e32 0x387fffff, v4
	s_xor_b32 s11, exec_lo, s11
; %bb.2911:
	v_bfe_u32 v1, v4, 21, 1
	s_delay_alu instid0(VALU_DEP_1) | instskip(NEXT) | instid1(VALU_DEP_1)
	v_add3_u32 v1, v4, v1, 0x80fffff
                                        ; implicit-def: $vgpr4
	v_lshrrev_b32_e32 v1, 21, v1
; %bb.2912:
	s_and_not1_saveexec_b32 s11, s11
; %bb.2913:
	v_add_f32_e32 v1, 0x43000000, v4
; %bb.2914:
	s_or_b32 exec_lo, exec_lo, s11
                                        ; implicit-def: $vgpr4
.LBB55_2915:
	s_and_not1_saveexec_b32 s7, s7
; %bb.2916:
	v_mov_b32_e32 v1, 0x7f
	v_cmp_lt_u32_e32 vcc_lo, 0x7f800000, v4
	s_delay_alu instid0(VALU_DEP_2)
	v_cndmask_b32_e32 v1, 0x7c, v1, vcc_lo
; %bb.2917:
	s_or_b32 exec_lo, exec_lo, s7
	global_store_b8 v[2:3], v1, off
.LBB55_2918:
	s_mov_b32 s7, 0
	s_mov_b32 s11, -1
.LBB55_2919:
	s_and_not1_b32 vcc_lo, exec_lo, s7
	s_mov_b32 s7, 0
	s_cbranch_vccnz .LBB55_2926
; %bb.2920:
	s_cmp_gt_i32 s3, 14
	s_mov_b32 s7, -1
	s_cbranch_scc0 .LBB55_2924
; %bb.2921:
	s_cmp_eq_u32 s3, 15
	s_mov_b32 s0, -1
	s_cbranch_scc0 .LBB55_2923
; %bb.2922:
	s_wait_xcnt 0x0
	v_cndmask_b32_e64 v1, 0, 1.0, s6
	s_mov_b32 s0, 0
	s_mov_b32 s11, -1
	s_delay_alu instid0(VALU_DEP_1) | instskip(NEXT) | instid1(VALU_DEP_1)
	v_bfe_u32 v4, v1, 16, 1
	v_add3_u32 v1, v1, v4, 0x7fff
	global_store_d16_hi_b16 v[2:3], v1, off
.LBB55_2923:
	s_mov_b32 s7, 0
.LBB55_2924:
	s_delay_alu instid0(SALU_CYCLE_1)
	s_and_b32 vcc_lo, exec_lo, s7
	s_mov_b32 s7, 0
	s_cbranch_vccz .LBB55_2926
; %bb.2925:
	s_cmp_lg_u32 s3, 11
	s_mov_b32 s7, -1
	s_cselect_b32 s0, -1, 0
.LBB55_2926:
	s_delay_alu instid0(SALU_CYCLE_1)
	s_and_b32 vcc_lo, exec_lo, s0
	s_cbranch_vccnz .LBB55_3106
; %bb.2927:
	s_and_not1_b32 vcc_lo, exec_lo, s7
	s_cbranch_vccnz .LBB55_2929
.LBB55_2928:
	s_wait_xcnt 0x0
	v_cndmask_b32_e64 v1, 0, 1, s6
	s_mov_b32 s11, -1
	global_store_b8 v[2:3], v1, off
.LBB55_2929:
	s_mov_b32 s0, 0
	s_branch .LBB55_2931
.LBB55_2930:
	s_mov_b32 s0, -1
	s_mov_b32 s11, 0
.LBB55_2931:
	s_and_b32 vcc_lo, exec_lo, s0
	s_cbranch_vccz .LBB55_2970
; %bb.2932:
	s_cmp_lt_i32 s3, 5
	s_mov_b32 s0, -1
	s_cbranch_scc1 .LBB55_2953
; %bb.2933:
	s_cmp_lt_i32 s3, 8
	s_cbranch_scc1 .LBB55_2943
; %bb.2934:
	s_cmp_lt_i32 s3, 9
	s_cbranch_scc1 .LBB55_2940
; %bb.2935:
	s_cmp_gt_i32 s3, 9
	s_cbranch_scc0 .LBB55_2937
; %bb.2936:
	s_wait_xcnt 0x0
	v_cndmask_b32_e64 v1, 0, 1, s6
	v_mov_b32_e32 v6, 0
	s_mov_b32 s0, 0
	s_delay_alu instid0(VALU_DEP_2) | instskip(NEXT) | instid1(VALU_DEP_2)
	v_cvt_f64_u32_e32 v[4:5], v1
	v_mov_b32_e32 v7, v6
	global_store_b128 v[2:3], v[4:7], off
.LBB55_2937:
	s_and_not1_b32 vcc_lo, exec_lo, s0
	s_cbranch_vccnz .LBB55_2939
; %bb.2938:
	s_wait_xcnt 0x0
	v_cndmask_b32_e64 v4, 0, 1.0, s6
	v_mov_b32_e32 v5, 0
	global_store_b64 v[2:3], v[4:5], off
.LBB55_2939:
	s_mov_b32 s0, 0
.LBB55_2940:
	s_delay_alu instid0(SALU_CYCLE_1)
	s_and_not1_b32 vcc_lo, exec_lo, s0
	s_cbranch_vccnz .LBB55_2942
; %bb.2941:
	s_wait_xcnt 0x0
	v_cndmask_b32_e64 v1, 0, 1.0, s6
	s_delay_alu instid0(VALU_DEP_1) | instskip(NEXT) | instid1(VALU_DEP_1)
	v_cvt_f16_f32_e32 v1, v1
	v_and_b32_e32 v1, 0xffff, v1
	global_store_b32 v[2:3], v1, off
.LBB55_2942:
	s_mov_b32 s0, 0
.LBB55_2943:
	s_delay_alu instid0(SALU_CYCLE_1)
	s_and_not1_b32 vcc_lo, exec_lo, s0
	s_cbranch_vccnz .LBB55_2952
; %bb.2944:
	s_cmp_lt_i32 s3, 6
	s_mov_b32 s0, -1
	s_cbranch_scc1 .LBB55_2950
; %bb.2945:
	s_cmp_gt_i32 s3, 6
	s_cbranch_scc0 .LBB55_2947
; %bb.2946:
	s_wait_xcnt 0x0
	v_cndmask_b32_e64 v1, 0, 1, s6
	s_mov_b32 s0, 0
	s_delay_alu instid0(VALU_DEP_1)
	v_cvt_f64_u32_e32 v[4:5], v1
	global_store_b64 v[2:3], v[4:5], off
.LBB55_2947:
	s_and_not1_b32 vcc_lo, exec_lo, s0
	s_cbranch_vccnz .LBB55_2949
; %bb.2948:
	s_wait_xcnt 0x0
	v_cndmask_b32_e64 v1, 0, 1.0, s6
	global_store_b32 v[2:3], v1, off
.LBB55_2949:
	s_mov_b32 s0, 0
.LBB55_2950:
	s_delay_alu instid0(SALU_CYCLE_1)
	s_and_not1_b32 vcc_lo, exec_lo, s0
	s_cbranch_vccnz .LBB55_2952
; %bb.2951:
	s_wait_xcnt 0x0
	v_cndmask_b32_e64 v1, 0, 1.0, s6
	s_delay_alu instid0(VALU_DEP_1)
	v_cvt_f16_f32_e32 v1, v1
	global_store_b16 v[2:3], v1, off
.LBB55_2952:
	s_mov_b32 s0, 0
.LBB55_2953:
	s_delay_alu instid0(SALU_CYCLE_1)
	s_and_not1_b32 vcc_lo, exec_lo, s0
	s_cbranch_vccnz .LBB55_2969
; %bb.2954:
	s_cmp_lt_i32 s3, 2
	s_mov_b32 s0, -1
	s_cbranch_scc1 .LBB55_2964
; %bb.2955:
	s_cmp_lt_i32 s3, 3
	s_cbranch_scc1 .LBB55_2961
; %bb.2956:
	s_cmp_gt_i32 s3, 3
	s_cbranch_scc0 .LBB55_2958
; %bb.2957:
	s_mov_b32 s0, 0
	s_wait_xcnt 0x0
	v_cndmask_b32_e64 v4, 0, 1, s6
	v_mov_b32_e32 v5, s0
	global_store_b64 v[2:3], v[4:5], off
.LBB55_2958:
	s_and_not1_b32 vcc_lo, exec_lo, s0
	s_cbranch_vccnz .LBB55_2960
; %bb.2959:
	s_wait_xcnt 0x0
	v_cndmask_b32_e64 v1, 0, 1, s6
	global_store_b32 v[2:3], v1, off
.LBB55_2960:
	s_mov_b32 s0, 0
.LBB55_2961:
	s_delay_alu instid0(SALU_CYCLE_1)
	s_and_not1_b32 vcc_lo, exec_lo, s0
	s_cbranch_vccnz .LBB55_2963
; %bb.2962:
	s_wait_xcnt 0x0
	v_cndmask_b32_e64 v1, 0, 1, s6
	global_store_b16 v[2:3], v1, off
.LBB55_2963:
	s_mov_b32 s0, 0
.LBB55_2964:
	s_delay_alu instid0(SALU_CYCLE_1)
	s_and_not1_b32 vcc_lo, exec_lo, s0
	s_cbranch_vccnz .LBB55_2969
; %bb.2965:
	s_cmp_gt_i32 s3, 0
	s_mov_b32 s0, -1
	s_cbranch_scc0 .LBB55_2967
; %bb.2966:
	s_wait_xcnt 0x0
	v_cndmask_b32_e64 v1, 0, 1, s6
	s_mov_b32 s0, 0
	global_store_b8 v[2:3], v1, off
.LBB55_2967:
	s_and_not1_b32 vcc_lo, exec_lo, s0
	s_cbranch_vccnz .LBB55_2969
; %bb.2968:
	s_wait_xcnt 0x0
	v_cndmask_b32_e64 v1, 0, 1, s6
	global_store_b8 v[2:3], v1, off
.LBB55_2969:
	s_mov_b32 s11, -1
.LBB55_2970:
	s_delay_alu instid0(SALU_CYCLE_1)
	s_and_not1_b32 vcc_lo, exec_lo, s11
	s_cbranch_vccnz .LBB55_3047
; %bb.2971:
	s_wait_xcnt 0x0
	v_mov_b32_e32 v1, 0
	v_cmp_ne_u64_e32 vcc_lo, v[16:17], v[10:11]
	s_delay_alu instid0(VALU_DEP_2)
	v_add_nc_u64_e32 v[2:3], s[4:5], v[0:1]
	s_xor_b32 s4, s2, vcc_lo
	s_cmp_lt_i32 s3, 11
	s_cbranch_scc1 .LBB55_3092
; %bb.2972:
	s_mov_b32 s5, -1
	s_mov_b32 s2, 0
	s_cmp_gt_i32 s3, 25
	s_mov_b32 s0, 0
	s_cbranch_scc0 .LBB55_3005
; %bb.2973:
	s_cmp_gt_i32 s3, 28
	s_cbranch_scc0 .LBB55_2989
; %bb.2974:
	s_cmp_gt_i32 s3, 43
	;; [unrolled: 3-line block ×3, first 2 shown]
	s_cbranch_scc0 .LBB55_2979
; %bb.2976:
	s_cmp_eq_u32 s3, 46
	s_mov_b32 s0, -1
	s_cbranch_scc0 .LBB55_2978
; %bb.2977:
	v_cndmask_b32_e64 v0, 0, 1.0, s4
	s_mov_b32 s0, 0
	s_delay_alu instid0(VALU_DEP_1) | instskip(NEXT) | instid1(VALU_DEP_1)
	v_bfe_u32 v1, v0, 16, 1
	v_add3_u32 v0, v0, v1, 0x7fff
	s_delay_alu instid0(VALU_DEP_1)
	v_lshrrev_b32_e32 v0, 16, v0
	global_store_b32 v[2:3], v0, off
.LBB55_2978:
	s_mov_b32 s5, 0
.LBB55_2979:
	s_delay_alu instid0(SALU_CYCLE_1)
	s_and_b32 vcc_lo, exec_lo, s5
	s_cbranch_vccz .LBB55_2984
; %bb.2980:
	s_cmp_eq_u32 s3, 44
	s_mov_b32 s0, -1
	s_cbranch_scc0 .LBB55_2984
; %bb.2981:
	v_cndmask_b32_e64 v4, 0, 1.0, s4
	s_mov_b32 s5, exec_lo
	s_wait_xcnt 0x0
	s_delay_alu instid0(VALU_DEP_1) | instskip(NEXT) | instid1(VALU_DEP_1)
	v_dual_mov_b32 v1, 0xff :: v_dual_lshrrev_b32 v0, 23, v4
	v_cmpx_ne_u32_e32 0xff, v0
; %bb.2982:
	v_and_b32_e32 v1, 0x400000, v4
	v_and_or_b32 v4, 0x3fffff, v4, v0
	s_delay_alu instid0(VALU_DEP_2) | instskip(NEXT) | instid1(VALU_DEP_2)
	v_cmp_ne_u32_e32 vcc_lo, 0, v1
	v_cmp_ne_u32_e64 s0, 0, v4
	s_and_b32 s0, vcc_lo, s0
	s_delay_alu instid0(SALU_CYCLE_1) | instskip(NEXT) | instid1(VALU_DEP_1)
	v_cndmask_b32_e64 v1, 0, 1, s0
	v_add_nc_u32_e32 v1, v0, v1
; %bb.2983:
	s_or_b32 exec_lo, exec_lo, s5
	s_mov_b32 s0, 0
	global_store_b8 v[2:3], v1, off
.LBB55_2984:
	s_mov_b32 s5, 0
.LBB55_2985:
	s_delay_alu instid0(SALU_CYCLE_1)
	s_and_b32 vcc_lo, exec_lo, s5
	s_cbranch_vccz .LBB55_2988
; %bb.2986:
	s_cmp_eq_u32 s3, 29
	s_mov_b32 s0, -1
	s_cbranch_scc0 .LBB55_2988
; %bb.2987:
	s_mov_b32 s0, 0
	s_wait_xcnt 0x0
	v_cndmask_b32_e64 v0, 0, 1, s4
	v_mov_b32_e32 v1, s0
	global_store_b64 v[2:3], v[0:1], off
.LBB55_2988:
	s_mov_b32 s5, 0
.LBB55_2989:
	s_delay_alu instid0(SALU_CYCLE_1)
	s_and_b32 vcc_lo, exec_lo, s5
	s_cbranch_vccz .LBB55_3004
; %bb.2990:
	s_cmp_lt_i32 s3, 27
	s_mov_b32 s5, -1
	s_cbranch_scc1 .LBB55_2996
; %bb.2991:
	s_wait_xcnt 0x0
	v_cndmask_b32_e64 v0, 0, 1, s4
	s_cmp_gt_i32 s3, 27
	s_cbranch_scc0 .LBB55_2993
; %bb.2992:
	s_mov_b32 s5, 0
	global_store_b32 v[2:3], v0, off
.LBB55_2993:
	s_and_not1_b32 vcc_lo, exec_lo, s5
	s_cbranch_vccnz .LBB55_2995
; %bb.2994:
	global_store_b16 v[2:3], v0, off
.LBB55_2995:
	s_mov_b32 s5, 0
.LBB55_2996:
	s_delay_alu instid0(SALU_CYCLE_1)
	s_and_not1_b32 vcc_lo, exec_lo, s5
	s_cbranch_vccnz .LBB55_3004
; %bb.2997:
	s_wait_xcnt 0x0
	v_cndmask_b32_e64 v1, 0, 1.0, s4
	v_mov_b32_e32 v4, 0x80
	s_mov_b32 s5, exec_lo
	s_delay_alu instid0(VALU_DEP_2)
	v_cmpx_gt_u32_e32 0x43800000, v1
	s_cbranch_execz .LBB55_3003
; %bb.2998:
	s_mov_b32 s6, 0
	s_mov_b32 s7, exec_lo
                                        ; implicit-def: $vgpr0
	v_cmpx_lt_u32_e32 0x3bffffff, v1
	s_xor_b32 s7, exec_lo, s7
	s_cbranch_execz .LBB55_3109
; %bb.2999:
	v_bfe_u32 v0, v1, 20, 1
	s_mov_b32 s6, exec_lo
	s_delay_alu instid0(VALU_DEP_1) | instskip(NEXT) | instid1(VALU_DEP_1)
	v_add3_u32 v0, v1, v0, 0x487ffff
                                        ; implicit-def: $vgpr1
	v_lshrrev_b32_e32 v0, 20, v0
	s_and_not1_saveexec_b32 s7, s7
	s_cbranch_execnz .LBB55_3110
.LBB55_3000:
	s_or_b32 exec_lo, exec_lo, s7
	v_mov_b32_e32 v4, 0
	s_and_saveexec_b32 s7, s6
.LBB55_3001:
	v_mov_b32_e32 v4, v0
.LBB55_3002:
	s_or_b32 exec_lo, exec_lo, s7
.LBB55_3003:
	s_delay_alu instid0(SALU_CYCLE_1)
	s_or_b32 exec_lo, exec_lo, s5
	global_store_b8 v[2:3], v4, off
.LBB55_3004:
	s_mov_b32 s5, 0
.LBB55_3005:
	s_delay_alu instid0(SALU_CYCLE_1)
	s_and_b32 vcc_lo, exec_lo, s5
	s_cbranch_vccz .LBB55_3045
; %bb.3006:
	s_cmp_gt_i32 s3, 22
	s_mov_b32 s2, -1
	s_cbranch_scc0 .LBB55_3038
; %bb.3007:
	s_cmp_lt_i32 s3, 24
	s_cbranch_scc1 .LBB55_3027
; %bb.3008:
	s_cmp_gt_i32 s3, 24
	s_cbranch_scc0 .LBB55_3016
; %bb.3009:
	s_wait_xcnt 0x0
	v_cndmask_b32_e64 v1, 0, 1.0, s4
	v_mov_b32_e32 v4, 0x80
	s_mov_b32 s2, exec_lo
	s_delay_alu instid0(VALU_DEP_2)
	v_cmpx_gt_u32_e32 0x47800000, v1
	s_cbranch_execz .LBB55_3015
; %bb.3010:
	s_mov_b32 s5, 0
	s_mov_b32 s6, exec_lo
                                        ; implicit-def: $vgpr0
	v_cmpx_lt_u32_e32 0x37ffffff, v1
	s_xor_b32 s6, exec_lo, s6
	s_cbranch_execz .LBB55_3112
; %bb.3011:
	v_bfe_u32 v0, v1, 21, 1
	s_mov_b32 s5, exec_lo
	s_delay_alu instid0(VALU_DEP_1) | instskip(NEXT) | instid1(VALU_DEP_1)
	v_add3_u32 v0, v1, v0, 0x88fffff
                                        ; implicit-def: $vgpr1
	v_lshrrev_b32_e32 v0, 21, v0
	s_and_not1_saveexec_b32 s6, s6
	s_cbranch_execnz .LBB55_3113
.LBB55_3012:
	s_or_b32 exec_lo, exec_lo, s6
	v_mov_b32_e32 v4, 0
	s_and_saveexec_b32 s6, s5
.LBB55_3013:
	v_mov_b32_e32 v4, v0
.LBB55_3014:
	s_or_b32 exec_lo, exec_lo, s6
.LBB55_3015:
	s_delay_alu instid0(SALU_CYCLE_1)
	s_or_b32 exec_lo, exec_lo, s2
	s_mov_b32 s2, 0
	global_store_b8 v[2:3], v4, off
.LBB55_3016:
	s_and_b32 vcc_lo, exec_lo, s2
	s_cbranch_vccz .LBB55_3026
; %bb.3017:
	s_wait_xcnt 0x0
	v_cndmask_b32_e64 v1, 0, 1.0, s4
	s_mov_b32 s2, exec_lo
                                        ; implicit-def: $vgpr0
	s_delay_alu instid0(VALU_DEP_1)
	v_cmpx_gt_u32_e32 0x43f00000, v1
	s_xor_b32 s2, exec_lo, s2
	s_cbranch_execz .LBB55_3023
; %bb.3018:
	s_mov_b32 s5, exec_lo
                                        ; implicit-def: $vgpr0
	v_cmpx_lt_u32_e32 0x3c7fffff, v1
	s_xor_b32 s5, exec_lo, s5
; %bb.3019:
	v_bfe_u32 v0, v1, 20, 1
	s_delay_alu instid0(VALU_DEP_1) | instskip(NEXT) | instid1(VALU_DEP_1)
	v_add3_u32 v0, v1, v0, 0x407ffff
	v_and_b32_e32 v1, 0xff00000, v0
	v_lshrrev_b32_e32 v0, 20, v0
	s_delay_alu instid0(VALU_DEP_2) | instskip(NEXT) | instid1(VALU_DEP_2)
	v_cmp_ne_u32_e32 vcc_lo, 0x7f00000, v1
                                        ; implicit-def: $vgpr1
	v_cndmask_b32_e32 v0, 0x7e, v0, vcc_lo
; %bb.3020:
	s_and_not1_saveexec_b32 s5, s5
; %bb.3021:
	v_add_f32_e32 v0, 0x46800000, v1
; %bb.3022:
	s_or_b32 exec_lo, exec_lo, s5
                                        ; implicit-def: $vgpr1
.LBB55_3023:
	s_and_not1_saveexec_b32 s2, s2
; %bb.3024:
	v_mov_b32_e32 v0, 0x7f
	v_cmp_lt_u32_e32 vcc_lo, 0x7f800000, v1
	s_delay_alu instid0(VALU_DEP_2)
	v_cndmask_b32_e32 v0, 0x7e, v0, vcc_lo
; %bb.3025:
	s_or_b32 exec_lo, exec_lo, s2
	global_store_b8 v[2:3], v0, off
.LBB55_3026:
	s_mov_b32 s2, 0
.LBB55_3027:
	s_delay_alu instid0(SALU_CYCLE_1)
	s_and_not1_b32 vcc_lo, exec_lo, s2
	s_cbranch_vccnz .LBB55_3037
; %bb.3028:
	s_wait_xcnt 0x0
	v_cndmask_b32_e64 v1, 0, 1.0, s4
	s_mov_b32 s2, exec_lo
                                        ; implicit-def: $vgpr0
	s_delay_alu instid0(VALU_DEP_1)
	v_cmpx_gt_u32_e32 0x47800000, v1
	s_xor_b32 s2, exec_lo, s2
	s_cbranch_execz .LBB55_3034
; %bb.3029:
	s_mov_b32 s5, exec_lo
                                        ; implicit-def: $vgpr0
	v_cmpx_lt_u32_e32 0x387fffff, v1
	s_xor_b32 s5, exec_lo, s5
; %bb.3030:
	v_bfe_u32 v0, v1, 21, 1
	s_delay_alu instid0(VALU_DEP_1) | instskip(NEXT) | instid1(VALU_DEP_1)
	v_add3_u32 v0, v1, v0, 0x80fffff
                                        ; implicit-def: $vgpr1
	v_lshrrev_b32_e32 v0, 21, v0
; %bb.3031:
	s_and_not1_saveexec_b32 s5, s5
; %bb.3032:
	v_add_f32_e32 v0, 0x43000000, v1
; %bb.3033:
	s_or_b32 exec_lo, exec_lo, s5
                                        ; implicit-def: $vgpr1
.LBB55_3034:
	s_and_not1_saveexec_b32 s2, s2
; %bb.3035:
	v_mov_b32_e32 v0, 0x7f
	v_cmp_lt_u32_e32 vcc_lo, 0x7f800000, v1
	s_delay_alu instid0(VALU_DEP_2)
	v_cndmask_b32_e32 v0, 0x7c, v0, vcc_lo
; %bb.3036:
	s_or_b32 exec_lo, exec_lo, s2
	global_store_b8 v[2:3], v0, off
.LBB55_3037:
	s_mov_b32 s2, 0
.LBB55_3038:
	s_delay_alu instid0(SALU_CYCLE_1)
	s_and_not1_b32 vcc_lo, exec_lo, s2
	s_mov_b32 s2, 0
	s_cbranch_vccnz .LBB55_3045
; %bb.3039:
	s_cmp_gt_i32 s3, 14
	s_mov_b32 s2, -1
	s_cbranch_scc0 .LBB55_3043
; %bb.3040:
	s_cmp_eq_u32 s3, 15
	s_mov_b32 s0, -1
	s_cbranch_scc0 .LBB55_3042
; %bb.3041:
	s_wait_xcnt 0x0
	v_cndmask_b32_e64 v0, 0, 1.0, s4
	s_mov_b32 s0, 0
	s_delay_alu instid0(VALU_DEP_1) | instskip(NEXT) | instid1(VALU_DEP_1)
	v_bfe_u32 v1, v0, 16, 1
	v_add3_u32 v0, v0, v1, 0x7fff
	global_store_d16_hi_b16 v[2:3], v0, off
.LBB55_3042:
	s_mov_b32 s2, 0
.LBB55_3043:
	s_delay_alu instid0(SALU_CYCLE_1)
	s_and_b32 vcc_lo, exec_lo, s2
	s_mov_b32 s2, 0
	s_cbranch_vccz .LBB55_3045
; %bb.3044:
	s_cmp_lg_u32 s3, 11
	s_mov_b32 s2, -1
	s_cselect_b32 s0, -1, 0
.LBB55_3045:
	s_delay_alu instid0(SALU_CYCLE_1)
	s_and_b32 vcc_lo, exec_lo, s0
	s_cbranch_vccnz .LBB55_3111
.LBB55_3046:
	s_mov_b32 s0, 0
	s_branch .LBB55_3048
.LBB55_3047:
	s_mov_b32 s0, 0
	s_wait_xcnt 0x0
	s_mov_b32 s2, 0
                                        ; implicit-def: $sgpr4
                                        ; implicit-def: $vgpr2_vgpr3
                                        ; implicit-def: $sgpr1
.LBB55_3048:
	s_and_not1_b32 s3, s8, exec_lo
	s_and_b32 s5, s10, exec_lo
	s_and_b32 s0, s0, exec_lo
	;; [unrolled: 1-line block ×3, first 2 shown]
	s_or_b32 s8, s3, s5
.LBB55_3049:
	s_wait_xcnt 0x0
	s_or_b32 exec_lo, exec_lo, s9
	s_and_saveexec_b32 s2, s8
	s_cbranch_execz .LBB55_3052
; %bb.3050:
	; divergent unreachable
	s_or_b32 exec_lo, exec_lo, s2
	s_and_saveexec_b32 s2, s30
	s_delay_alu instid0(SALU_CYCLE_1)
	s_xor_b32 s2, exec_lo, s2
	s_cbranch_execnz .LBB55_3053
.LBB55_3051:
	s_or_b32 exec_lo, exec_lo, s2
	s_and_saveexec_b32 s2, s0
	s_cbranch_execnz .LBB55_3054
	s_branch .LBB55_3091
.LBB55_3052:
	s_or_b32 exec_lo, exec_lo, s2
	s_and_saveexec_b32 s2, s30
	s_delay_alu instid0(SALU_CYCLE_1)
	s_xor_b32 s2, exec_lo, s2
	s_cbranch_execz .LBB55_3051
.LBB55_3053:
	v_cndmask_b32_e64 v0, 0, 1, s4
	global_store_b8 v[2:3], v0, off
	s_wait_xcnt 0x0
	s_or_b32 exec_lo, exec_lo, s2
	s_and_saveexec_b32 s2, s0
	s_cbranch_execz .LBB55_3091
.LBB55_3054:
	s_sext_i32_i16 s2, s1
	s_mov_b32 s0, -1
	s_cmp_lt_i32 s2, 5
	s_cbranch_scc1 .LBB55_3075
; %bb.3055:
	s_cmp_lt_i32 s2, 8
	s_cbranch_scc1 .LBB55_3065
; %bb.3056:
	;; [unrolled: 3-line block ×3, first 2 shown]
	s_cmp_gt_i32 s2, 9
	s_cbranch_scc0 .LBB55_3059
; %bb.3058:
	v_cndmask_b32_e64 v0, 0, 1, s4
	v_mov_b32_e32 v6, 0
	s_mov_b32 s0, 0
	s_wait_loadcnt 0x0
	s_delay_alu instid0(VALU_DEP_2) | instskip(NEXT) | instid1(VALU_DEP_2)
	v_cvt_f64_u32_e32 v[4:5], v0
	v_mov_b32_e32 v7, v6
	global_store_b128 v[2:3], v[4:7], off
.LBB55_3059:
	s_and_not1_b32 vcc_lo, exec_lo, s0
	s_cbranch_vccnz .LBB55_3061
; %bb.3060:
	v_cndmask_b32_e64 v0, 0, 1.0, s4
	v_mov_b32_e32 v1, 0
	global_store_b64 v[2:3], v[0:1], off
.LBB55_3061:
	s_mov_b32 s0, 0
.LBB55_3062:
	s_delay_alu instid0(SALU_CYCLE_1)
	s_and_not1_b32 vcc_lo, exec_lo, s0
	s_cbranch_vccnz .LBB55_3064
; %bb.3063:
	s_wait_xcnt 0x0
	v_cndmask_b32_e64 v0, 0, 1.0, s4
	s_delay_alu instid0(VALU_DEP_1) | instskip(NEXT) | instid1(VALU_DEP_1)
	v_cvt_f16_f32_e32 v0, v0
	v_and_b32_e32 v0, 0xffff, v0
	global_store_b32 v[2:3], v0, off
.LBB55_3064:
	s_mov_b32 s0, 0
.LBB55_3065:
	s_delay_alu instid0(SALU_CYCLE_1)
	s_and_not1_b32 vcc_lo, exec_lo, s0
	s_cbranch_vccnz .LBB55_3074
; %bb.3066:
	s_sext_i32_i16 s2, s1
	s_mov_b32 s0, -1
	s_cmp_lt_i32 s2, 6
	s_cbranch_scc1 .LBB55_3072
; %bb.3067:
	s_cmp_gt_i32 s2, 6
	s_cbranch_scc0 .LBB55_3069
; %bb.3068:
	s_wait_xcnt 0x0
	v_cndmask_b32_e64 v0, 0, 1, s4
	s_mov_b32 s0, 0
	s_delay_alu instid0(VALU_DEP_1)
	v_cvt_f64_u32_e32 v[0:1], v0
	global_store_b64 v[2:3], v[0:1], off
.LBB55_3069:
	s_and_not1_b32 vcc_lo, exec_lo, s0
	s_cbranch_vccnz .LBB55_3071
; %bb.3070:
	s_wait_xcnt 0x0
	v_cndmask_b32_e64 v0, 0, 1.0, s4
	global_store_b32 v[2:3], v0, off
.LBB55_3071:
	s_mov_b32 s0, 0
.LBB55_3072:
	s_delay_alu instid0(SALU_CYCLE_1)
	s_and_not1_b32 vcc_lo, exec_lo, s0
	s_cbranch_vccnz .LBB55_3074
; %bb.3073:
	s_wait_xcnt 0x0
	v_cndmask_b32_e64 v0, 0, 1.0, s4
	s_delay_alu instid0(VALU_DEP_1)
	v_cvt_f16_f32_e32 v0, v0
	global_store_b16 v[2:3], v0, off
.LBB55_3074:
	s_mov_b32 s0, 0
.LBB55_3075:
	s_delay_alu instid0(SALU_CYCLE_1)
	s_and_not1_b32 vcc_lo, exec_lo, s0
	s_cbranch_vccnz .LBB55_3091
; %bb.3076:
	s_sext_i32_i16 s2, s1
	s_mov_b32 s0, -1
	s_cmp_lt_i32 s2, 2
	s_cbranch_scc1 .LBB55_3086
; %bb.3077:
	s_cmp_lt_i32 s2, 3
	s_cbranch_scc1 .LBB55_3083
; %bb.3078:
	s_cmp_gt_i32 s2, 3
	s_cbranch_scc0 .LBB55_3080
; %bb.3079:
	s_mov_b32 s0, 0
	s_wait_xcnt 0x0
	v_cndmask_b32_e64 v0, 0, 1, s4
	v_mov_b32_e32 v1, s0
	global_store_b64 v[2:3], v[0:1], off
.LBB55_3080:
	s_and_not1_b32 vcc_lo, exec_lo, s0
	s_cbranch_vccnz .LBB55_3082
; %bb.3081:
	s_wait_xcnt 0x0
	v_cndmask_b32_e64 v0, 0, 1, s4
	global_store_b32 v[2:3], v0, off
.LBB55_3082:
	s_mov_b32 s0, 0
.LBB55_3083:
	s_delay_alu instid0(SALU_CYCLE_1)
	s_and_not1_b32 vcc_lo, exec_lo, s0
	s_cbranch_vccnz .LBB55_3085
; %bb.3084:
	s_wait_xcnt 0x0
	v_cndmask_b32_e64 v0, 0, 1, s4
	global_store_b16 v[2:3], v0, off
.LBB55_3085:
	s_mov_b32 s0, 0
.LBB55_3086:
	s_delay_alu instid0(SALU_CYCLE_1)
	s_and_not1_b32 vcc_lo, exec_lo, s0
	s_cbranch_vccnz .LBB55_3091
; %bb.3087:
	s_sext_i32_i16 s0, s1
	s_delay_alu instid0(SALU_CYCLE_1)
	s_cmp_gt_i32 s0, 0
	s_mov_b32 s0, -1
	s_cbranch_scc0 .LBB55_3089
; %bb.3088:
	s_wait_xcnt 0x0
	v_cndmask_b32_e64 v0, 0, 1, s4
	s_mov_b32 s0, 0
	global_store_b8 v[2:3], v0, off
.LBB55_3089:
	s_and_not1_b32 vcc_lo, exec_lo, s0
	s_cbranch_vccnz .LBB55_3091
; %bb.3090:
	s_wait_xcnt 0x0
	v_cndmask_b32_e64 v0, 0, 1, s4
	global_store_b8 v[2:3], v0, off
	s_endpgm
.LBB55_3091:
	s_endpgm
.LBB55_3092:
	s_mov_b32 s2, 0
	s_mov_b32 s0, -1
	s_branch .LBB55_3048
.LBB55_3093:
	s_or_b32 s10, s10, exec_lo
	s_trap 2
	s_cbranch_execz .LBB55_2563
	s_branch .LBB55_2564
.LBB55_3094:
	s_and_not1_saveexec_b32 s13, s13
	s_cbranch_execz .LBB55_2643
.LBB55_3095:
	v_add_f32_e32 v1, 0x46000000, v3
	s_and_not1_b32 s12, s12, exec_lo
	s_delay_alu instid0(VALU_DEP_1) | instskip(NEXT) | instid1(VALU_DEP_1)
	v_and_b32_e32 v1, 0xff, v1
	v_cmp_ne_u32_e32 vcc_lo, 0, v1
	s_and_b32 s14, vcc_lo, exec_lo
	s_delay_alu instid0(SALU_CYCLE_1)
	s_or_b32 s12, s12, s14
	s_or_b32 exec_lo, exec_lo, s13
	v_mov_b32_e32 v5, 0
	s_and_saveexec_b32 s13, s12
	s_cbranch_execnz .LBB55_2644
	s_branch .LBB55_2645
.LBB55_3096:
	s_or_b32 s10, s10, exec_lo
	s_trap 2
	s_cbranch_execz .LBB55_2691
	s_branch .LBB55_2692
.LBB55_3097:
	s_and_not1_saveexec_b32 s12, s12
	s_cbranch_execz .LBB55_2656
.LBB55_3098:
	v_add_f32_e32 v1, 0x42800000, v3
	s_and_not1_b32 s11, s11, exec_lo
	s_delay_alu instid0(VALU_DEP_1) | instskip(NEXT) | instid1(VALU_DEP_1)
	v_and_b32_e32 v1, 0xff, v1
	v_cmp_ne_u32_e32 vcc_lo, 0, v1
	s_and_b32 s13, vcc_lo, exec_lo
	s_delay_alu instid0(SALU_CYCLE_1)
	s_or_b32 s11, s11, s13
	s_or_b32 exec_lo, exec_lo, s12
	v_mov_b32_e32 v5, 0
	s_and_saveexec_b32 s12, s11
	s_cbranch_execnz .LBB55_2657
	s_branch .LBB55_2658
.LBB55_3099:
	s_and_not1_saveexec_b32 s13, s13
	s_cbranch_execz .LBB55_2761
.LBB55_3100:
	v_add_f32_e32 v1, 0x46000000, v3
	s_and_not1_b32 s12, s12, exec_lo
	s_delay_alu instid0(VALU_DEP_1) | instskip(NEXT) | instid1(VALU_DEP_1)
	v_and_b32_e32 v1, 0xff, v1
	v_cmp_ne_u32_e32 vcc_lo, 0, v1
	s_and_b32 s14, vcc_lo, exec_lo
	s_delay_alu instid0(SALU_CYCLE_1)
	s_or_b32 s12, s12, s14
	s_or_b32 exec_lo, exec_lo, s13
	v_mov_b32_e32 v6, 0
	s_and_saveexec_b32 s13, s12
	s_cbranch_execnz .LBB55_2762
	s_branch .LBB55_2763
.LBB55_3101:
	s_or_b32 s10, s10, exec_lo
	s_trap 2
	s_cbranch_execz .LBB55_2809
	s_branch .LBB55_2810
.LBB55_3102:
	s_and_not1_saveexec_b32 s12, s12
	s_cbranch_execz .LBB55_2774
.LBB55_3103:
	v_add_f32_e32 v1, 0x42800000, v3
	s_and_not1_b32 s11, s11, exec_lo
	s_delay_alu instid0(VALU_DEP_1) | instskip(NEXT) | instid1(VALU_DEP_1)
	v_and_b32_e32 v1, 0xff, v1
	v_cmp_ne_u32_e32 vcc_lo, 0, v1
	s_and_b32 s13, vcc_lo, exec_lo
	s_delay_alu instid0(SALU_CYCLE_1)
	s_or_b32 s11, s11, s13
	s_or_b32 exec_lo, exec_lo, s12
	v_mov_b32_e32 v6, 0
	s_and_saveexec_b32 s12, s11
	s_cbranch_execnz .LBB55_2775
	s_branch .LBB55_2776
.LBB55_3104:
	s_and_not1_saveexec_b32 s13, s13
	s_cbranch_execz .LBB55_2880
.LBB55_3105:
	v_add_f32_e32 v1, 0x46000000, v4
	s_and_not1_b32 s12, s12, exec_lo
	s_delay_alu instid0(VALU_DEP_1) | instskip(NEXT) | instid1(VALU_DEP_1)
	v_and_b32_e32 v1, 0xff, v1
	v_cmp_ne_u32_e32 vcc_lo, 0, v1
	s_and_b32 s14, vcc_lo, exec_lo
	s_delay_alu instid0(SALU_CYCLE_1)
	s_or_b32 s12, s12, s14
	s_or_b32 exec_lo, exec_lo, s13
	v_mov_b32_e32 v5, 0
	s_and_saveexec_b32 s13, s12
	s_cbranch_execnz .LBB55_2881
	s_branch .LBB55_2882
.LBB55_3106:
	s_or_b32 s10, s10, exec_lo
	s_trap 2
	s_cbranch_execz .LBB55_2928
	s_branch .LBB55_2929
.LBB55_3107:
	s_and_not1_saveexec_b32 s12, s12
	s_cbranch_execz .LBB55_2893
.LBB55_3108:
	v_add_f32_e32 v1, 0x42800000, v4
	s_and_not1_b32 s11, s11, exec_lo
	s_delay_alu instid0(VALU_DEP_1) | instskip(NEXT) | instid1(VALU_DEP_1)
	v_and_b32_e32 v1, 0xff, v1
	v_cmp_ne_u32_e32 vcc_lo, 0, v1
	s_and_b32 s13, vcc_lo, exec_lo
	s_delay_alu instid0(SALU_CYCLE_1)
	s_or_b32 s11, s11, s13
	s_or_b32 exec_lo, exec_lo, s12
	v_mov_b32_e32 v5, 0
	s_and_saveexec_b32 s12, s11
	s_cbranch_execnz .LBB55_2894
	s_branch .LBB55_2895
.LBB55_3109:
	s_and_not1_saveexec_b32 s7, s7
	s_cbranch_execz .LBB55_3000
.LBB55_3110:
	v_add_f32_e32 v0, 0x46000000, v1
	s_and_not1_b32 s6, s6, exec_lo
	s_delay_alu instid0(VALU_DEP_1) | instskip(NEXT) | instid1(VALU_DEP_1)
	v_and_b32_e32 v0, 0xff, v0
	v_cmp_ne_u32_e32 vcc_lo, 0, v0
	s_and_b32 s11, vcc_lo, exec_lo
	s_delay_alu instid0(SALU_CYCLE_1)
	s_or_b32 s6, s6, s11
	s_or_b32 exec_lo, exec_lo, s7
	v_mov_b32_e32 v4, 0
	s_and_saveexec_b32 s7, s6
	s_cbranch_execnz .LBB55_3001
	s_branch .LBB55_3002
.LBB55_3111:
	s_mov_b32 s2, 0
	s_or_b32 s10, s10, exec_lo
	s_trap 2
	s_branch .LBB55_3046
.LBB55_3112:
	s_and_not1_saveexec_b32 s6, s6
	s_cbranch_execz .LBB55_3012
.LBB55_3113:
	v_add_f32_e32 v0, 0x42800000, v1
	s_and_not1_b32 s5, s5, exec_lo
	s_delay_alu instid0(VALU_DEP_1) | instskip(NEXT) | instid1(VALU_DEP_1)
	v_and_b32_e32 v0, 0xff, v0
	v_cmp_ne_u32_e32 vcc_lo, 0, v0
	s_and_b32 s7, vcc_lo, exec_lo
	s_delay_alu instid0(SALU_CYCLE_1)
	s_or_b32 s5, s5, s7
	s_or_b32 exec_lo, exec_lo, s6
	v_mov_b32_e32 v4, 0
	s_and_saveexec_b32 s6, s5
	s_cbranch_execnz .LBB55_3013
	s_branch .LBB55_3014
	.section	.rodata,"a",@progbits
	.p2align	6, 0x0
	.amdhsa_kernel _ZN2at6native32elementwise_kernel_manual_unrollILi128ELi4EZNS0_15gpu_kernel_implINS0_13BinaryFunctorIllbNS0_12_GLOBAL__N_116CompareEqFunctorIlEEEEEEvRNS_18TensorIteratorBaseERKT_EUlibE0_EEviT1_
		.amdhsa_group_segment_fixed_size 0
		.amdhsa_private_segment_fixed_size 0
		.amdhsa_kernarg_size 432
		.amdhsa_user_sgpr_count 2
		.amdhsa_user_sgpr_dispatch_ptr 0
		.amdhsa_user_sgpr_queue_ptr 0
		.amdhsa_user_sgpr_kernarg_segment_ptr 1
		.amdhsa_user_sgpr_dispatch_id 0
		.amdhsa_user_sgpr_kernarg_preload_length 0
		.amdhsa_user_sgpr_kernarg_preload_offset 0
		.amdhsa_user_sgpr_private_segment_size 0
		.amdhsa_wavefront_size32 1
		.amdhsa_uses_dynamic_stack 0
		.amdhsa_enable_private_segment 0
		.amdhsa_system_sgpr_workgroup_id_x 1
		.amdhsa_system_sgpr_workgroup_id_y 0
		.amdhsa_system_sgpr_workgroup_id_z 0
		.amdhsa_system_sgpr_workgroup_info 0
		.amdhsa_system_vgpr_workitem_id 0
		.amdhsa_next_free_vgpr 30
		.amdhsa_next_free_sgpr 62
		.amdhsa_named_barrier_count 0
		.amdhsa_reserve_vcc 1
		.amdhsa_float_round_mode_32 0
		.amdhsa_float_round_mode_16_64 0
		.amdhsa_float_denorm_mode_32 3
		.amdhsa_float_denorm_mode_16_64 3
		.amdhsa_fp16_overflow 0
		.amdhsa_memory_ordered 1
		.amdhsa_forward_progress 1
		.amdhsa_inst_pref_size 255
		.amdhsa_round_robin_scheduling 0
		.amdhsa_exception_fp_ieee_invalid_op 0
		.amdhsa_exception_fp_denorm_src 0
		.amdhsa_exception_fp_ieee_div_zero 0
		.amdhsa_exception_fp_ieee_overflow 0
		.amdhsa_exception_fp_ieee_underflow 0
		.amdhsa_exception_fp_ieee_inexact 0
		.amdhsa_exception_int_div_zero 0
	.end_amdhsa_kernel
	.section	.text._ZN2at6native32elementwise_kernel_manual_unrollILi128ELi4EZNS0_15gpu_kernel_implINS0_13BinaryFunctorIllbNS0_12_GLOBAL__N_116CompareEqFunctorIlEEEEEEvRNS_18TensorIteratorBaseERKT_EUlibE0_EEviT1_,"axG",@progbits,_ZN2at6native32elementwise_kernel_manual_unrollILi128ELi4EZNS0_15gpu_kernel_implINS0_13BinaryFunctorIllbNS0_12_GLOBAL__N_116CompareEqFunctorIlEEEEEEvRNS_18TensorIteratorBaseERKT_EUlibE0_EEviT1_,comdat
.Lfunc_end55:
	.size	_ZN2at6native32elementwise_kernel_manual_unrollILi128ELi4EZNS0_15gpu_kernel_implINS0_13BinaryFunctorIllbNS0_12_GLOBAL__N_116CompareEqFunctorIlEEEEEEvRNS_18TensorIteratorBaseERKT_EUlibE0_EEviT1_, .Lfunc_end55-_ZN2at6native32elementwise_kernel_manual_unrollILi128ELi4EZNS0_15gpu_kernel_implINS0_13BinaryFunctorIllbNS0_12_GLOBAL__N_116CompareEqFunctorIlEEEEEEvRNS_18TensorIteratorBaseERKT_EUlibE0_EEviT1_
                                        ; -- End function
	.set _ZN2at6native32elementwise_kernel_manual_unrollILi128ELi4EZNS0_15gpu_kernel_implINS0_13BinaryFunctorIllbNS0_12_GLOBAL__N_116CompareEqFunctorIlEEEEEEvRNS_18TensorIteratorBaseERKT_EUlibE0_EEviT1_.num_vgpr, 30
	.set _ZN2at6native32elementwise_kernel_manual_unrollILi128ELi4EZNS0_15gpu_kernel_implINS0_13BinaryFunctorIllbNS0_12_GLOBAL__N_116CompareEqFunctorIlEEEEEEvRNS_18TensorIteratorBaseERKT_EUlibE0_EEviT1_.num_agpr, 0
	.set _ZN2at6native32elementwise_kernel_manual_unrollILi128ELi4EZNS0_15gpu_kernel_implINS0_13BinaryFunctorIllbNS0_12_GLOBAL__N_116CompareEqFunctorIlEEEEEEvRNS_18TensorIteratorBaseERKT_EUlibE0_EEviT1_.numbered_sgpr, 62
	.set _ZN2at6native32elementwise_kernel_manual_unrollILi128ELi4EZNS0_15gpu_kernel_implINS0_13BinaryFunctorIllbNS0_12_GLOBAL__N_116CompareEqFunctorIlEEEEEEvRNS_18TensorIteratorBaseERKT_EUlibE0_EEviT1_.num_named_barrier, 0
	.set _ZN2at6native32elementwise_kernel_manual_unrollILi128ELi4EZNS0_15gpu_kernel_implINS0_13BinaryFunctorIllbNS0_12_GLOBAL__N_116CompareEqFunctorIlEEEEEEvRNS_18TensorIteratorBaseERKT_EUlibE0_EEviT1_.private_seg_size, 0
	.set _ZN2at6native32elementwise_kernel_manual_unrollILi128ELi4EZNS0_15gpu_kernel_implINS0_13BinaryFunctorIllbNS0_12_GLOBAL__N_116CompareEqFunctorIlEEEEEEvRNS_18TensorIteratorBaseERKT_EUlibE0_EEviT1_.uses_vcc, 1
	.set _ZN2at6native32elementwise_kernel_manual_unrollILi128ELi4EZNS0_15gpu_kernel_implINS0_13BinaryFunctorIllbNS0_12_GLOBAL__N_116CompareEqFunctorIlEEEEEEvRNS_18TensorIteratorBaseERKT_EUlibE0_EEviT1_.uses_flat_scratch, 0
	.set _ZN2at6native32elementwise_kernel_manual_unrollILi128ELi4EZNS0_15gpu_kernel_implINS0_13BinaryFunctorIllbNS0_12_GLOBAL__N_116CompareEqFunctorIlEEEEEEvRNS_18TensorIteratorBaseERKT_EUlibE0_EEviT1_.has_dyn_sized_stack, 0
	.set _ZN2at6native32elementwise_kernel_manual_unrollILi128ELi4EZNS0_15gpu_kernel_implINS0_13BinaryFunctorIllbNS0_12_GLOBAL__N_116CompareEqFunctorIlEEEEEEvRNS_18TensorIteratorBaseERKT_EUlibE0_EEviT1_.has_recursion, 0
	.set _ZN2at6native32elementwise_kernel_manual_unrollILi128ELi4EZNS0_15gpu_kernel_implINS0_13BinaryFunctorIllbNS0_12_GLOBAL__N_116CompareEqFunctorIlEEEEEEvRNS_18TensorIteratorBaseERKT_EUlibE0_EEviT1_.has_indirect_call, 0
	.section	.AMDGPU.csdata,"",@progbits
; Kernel info:
; codeLenInByte = 69592
; TotalNumSgprs: 64
; NumVgprs: 30
; ScratchSize: 0
; MemoryBound: 1
; FloatMode: 240
; IeeeMode: 1
; LDSByteSize: 0 bytes/workgroup (compile time only)
; SGPRBlocks: 0
; VGPRBlocks: 1
; NumSGPRsForWavesPerEU: 64
; NumVGPRsForWavesPerEU: 30
; NamedBarCnt: 0
; Occupancy: 16
; WaveLimiterHint : 1
; COMPUTE_PGM_RSRC2:SCRATCH_EN: 0
; COMPUTE_PGM_RSRC2:USER_SGPR: 2
; COMPUTE_PGM_RSRC2:TRAP_HANDLER: 0
; COMPUTE_PGM_RSRC2:TGID_X_EN: 1
; COMPUTE_PGM_RSRC2:TGID_Y_EN: 0
; COMPUTE_PGM_RSRC2:TGID_Z_EN: 0
; COMPUTE_PGM_RSRC2:TIDIG_COMP_CNT: 0
	.section	.text._ZN2at6native29vectorized_elementwise_kernelILi16ENS0_13AUnaryFunctorIllbNS0_12_GLOBAL__N_116CompareEqFunctorIlEEEESt5arrayIPcLm2EEEEviT0_T1_,"axG",@progbits,_ZN2at6native29vectorized_elementwise_kernelILi16ENS0_13AUnaryFunctorIllbNS0_12_GLOBAL__N_116CompareEqFunctorIlEEEESt5arrayIPcLm2EEEEviT0_T1_,comdat
	.globl	_ZN2at6native29vectorized_elementwise_kernelILi16ENS0_13AUnaryFunctorIllbNS0_12_GLOBAL__N_116CompareEqFunctorIlEEEESt5arrayIPcLm2EEEEviT0_T1_ ; -- Begin function _ZN2at6native29vectorized_elementwise_kernelILi16ENS0_13AUnaryFunctorIllbNS0_12_GLOBAL__N_116CompareEqFunctorIlEEEESt5arrayIPcLm2EEEEviT0_T1_
	.p2align	8
	.type	_ZN2at6native29vectorized_elementwise_kernelILi16ENS0_13AUnaryFunctorIllbNS0_12_GLOBAL__N_116CompareEqFunctorIlEEEESt5arrayIPcLm2EEEEviT0_T1_,@function
_ZN2at6native29vectorized_elementwise_kernelILi16ENS0_13AUnaryFunctorIllbNS0_12_GLOBAL__N_116CompareEqFunctorIlEEEESt5arrayIPcLm2EEEEviT0_T1_: ; @_ZN2at6native29vectorized_elementwise_kernelILi16ENS0_13AUnaryFunctorIllbNS0_12_GLOBAL__N_116CompareEqFunctorIlEEEESt5arrayIPcLm2EEEEviT0_T1_
; %bb.0:
	s_clause 0x3
	s_load_b32 s2, s[0:1], 0x0
	s_load_b32 s24, s[0:1], 0x8
	s_load_b128 s[16:19], s[0:1], 0x10
	s_load_b64 s[22:23], s[0:1], 0x20
	s_wait_xcnt 0x0
	s_bfe_u32 s0, ttmp6, 0x4000c
	s_and_b32 s1, ttmp6, 15
	s_add_co_i32 s0, s0, 1
	s_getreg_b32 s3, hwreg(HW_REG_IB_STS2, 6, 4)
	s_mul_i32 s0, ttmp9, s0
	s_delay_alu instid0(SALU_CYCLE_1) | instskip(SKIP_2) | instid1(SALU_CYCLE_1)
	s_add_co_i32 s1, s1, s0
	s_cmp_eq_u32 s3, 0
	s_cselect_b32 s0, ttmp9, s1
	s_lshl_b32 s20, s0, 12
	s_mov_b32 s0, -1
	s_wait_kmcnt 0x0
	s_sub_co_i32 s15, s2, s20
	s_delay_alu instid0(SALU_CYCLE_1)
	s_cmp_gt_i32 s15, 0xfff
	s_cbranch_scc0 .LBB56_2
; %bb.1:
	s_ashr_i32 s21, s20, 31
	v_lshlrev_b32_e32 v1, 7, v0
	s_lshl_b64 s[0:1], s[20:21], 3
	s_cmp_eq_u32 s24, 0
	s_add_nc_u64 s[0:1], s[22:23], s[0:1]
	s_cselect_b32 s25, -1, 0
	s_clause 0x7
	global_load_b128 v[2:5], v1, s[0:1] offset:32
	global_load_b128 v[6:9], v1, s[0:1] offset:48
	global_load_b128 v[10:13], v1, s[0:1]
	global_load_b128 v[14:17], v1, s[0:1] offset:16
	global_load_b128 v[18:21], v1, s[0:1] offset:96
	;; [unrolled: 1-line block ×5, first 2 shown]
	s_wait_loadcnt 0x7
	s_wait_xcnt 0x0
	v_cmp_ne_u64_e64 s0, s[16:17], v[2:3]
	s_wait_loadcnt 0x6
	v_cmp_ne_u64_e64 s1, s[16:17], v[8:9]
	v_cmp_ne_u64_e64 s2, s[16:17], v[6:7]
	s_wait_loadcnt 0x5
	v_cmp_ne_u64_e64 s3, s[16:17], v[12:13]
	;; [unrolled: 3-line block ×3, first 2 shown]
	v_cmp_ne_u64_e64 s6, s[16:17], v[14:15]
	s_xor_b32 s0, s25, s0
	v_cmp_ne_u64_e32 vcc_lo, s[16:17], v[4:5]
	v_cndmask_b32_e64 v2, 0, 1, s0
	s_xor_b32 s0, s25, s1
	s_wait_loadcnt 0x3
	v_cmp_ne_u64_e64 s7, s[16:17], v[20:21]
	v_cndmask_b32_e64 v3, 0, 1, s0
	s_xor_b32 s0, s25, s2
	v_cmp_ne_u64_e64 s8, s[16:17], v[18:19]
	v_cndmask_b32_e64 v4, 0, 1, s0
	s_xor_b32 s0, s25, s3
	s_wait_loadcnt 0x2
	v_cmp_ne_u64_e64 s9, s[16:17], v[24:25]
	v_cndmask_b32_e64 v5, 0, 1, s0
	s_xor_b32 s0, s25, s4
	v_cmp_ne_u64_e64 s10, s[16:17], v[22:23]
	v_cndmask_b32_e64 v6, 0, 1, s0
	s_xor_b32 s0, s25, s5
	s_wait_loadcnt 0x1
	v_cmp_ne_u64_e64 s11, s[16:17], v[28:29]
	v_cndmask_b32_e64 v7, 0, 1, s0
	s_xor_b32 s0, s25, s6
	v_cmp_ne_u64_e64 s12, s[16:17], v[26:27]
	v_cndmask_b32_e64 v8, 0, 1, s0
	s_xor_b32 s0, s25, s7
	s_wait_loadcnt 0x0
	v_cmp_ne_u64_e64 s13, s[16:17], v[32:33]
	v_cndmask_b32_e64 v9, 0, 1, s0
	s_xor_b32 s0, s25, s8
	v_cmp_ne_u64_e64 s14, s[16:17], v[30:31]
	v_cndmask_b32_e64 v10, 0, 1, s0
	s_xor_b32 s0, s25, s9
	s_xor_b32 s26, s25, vcc_lo
	v_cndmask_b32_e64 v11, 0, 1, s0
	s_xor_b32 s0, s25, s10
	v_cndmask_b32_e64 v1, 0, 1, s26
	v_cndmask_b32_e64 v12, 0, 1, s0
	s_xor_b32 s0, s25, s11
	v_lshlrev_b16 v3, 8, v3
	v_cndmask_b32_e64 v13, 0, 1, s0
	s_xor_b32 s0, s25, s12
	v_lshlrev_b16 v1, 8, v1
	;; [unrolled: 3-line block ×4, first 2 shown]
	v_cndmask_b32_e64 v16, 0, 1, s0
	v_lshlrev_b16 v9, 8, v9
	v_lshlrev_b16 v11, 8, v11
	;; [unrolled: 1-line block ×4, first 2 shown]
	v_or_b32_e32 v1, v2, v1
	v_or_b32_e32 v2, v4, v3
	;; [unrolled: 1-line block ×7, first 2 shown]
	v_dual_lshlrev_b32 v2, 16, v2 :: v_dual_bitop2_b32 v5, v10, v9 bitop3:0x54
	v_and_b32_e32 v1, 0xffff, v1
	v_dual_lshlrev_b32 v6, 16, v6 :: v_dual_lshlrev_b32 v4, 16, v4
	v_and_b32_e32 v9, 0xffff, v3
	v_and_b32_e32 v7, 0xffff, v7
	v_lshlrev_b32_e32 v8, 16, v8
	v_and_b32_e32 v5, 0xffff, v5
	v_or_b32_e32 v3, v1, v2
	v_or_b32_e32 v2, v9, v4
	s_add_nc_u64 s[2:3], s[18:19], s[20:21]
	v_or_b32_e32 v4, v7, v8
	v_or_b32_e32 v5, v5, v6
	s_mov_b32 s0, 0
	global_store_b128 v0, v[2:5], s[2:3] scale_offset
.LBB56_2:
	s_and_not1_b32 vcc_lo, exec_lo, s0
	s_cbranch_vccnz .LBB56_52
; %bb.3:
	s_wait_xcnt 0x0
	v_mov_b64_e32 v[2:3], 0
	v_mov_b64_e32 v[12:13], 0
	v_cmp_gt_i32_e32 vcc_lo, s15, v0
	v_dual_mov_b32 v35, v0 :: v_dual_bitop2_b32 v1, s20, v0 bitop3:0x54
	v_or_b32_e32 v34, 0x100, v0
	s_and_saveexec_b32 s0, vcc_lo
	s_cbranch_execz .LBB56_5
; %bb.4:
	global_load_b64 v[12:13], v1, s[22:23] scale_offset
	v_or_b32_e32 v35, 0x100, v0
.LBB56_5:
	s_wait_xcnt 0x0
	s_or_b32 exec_lo, exec_lo, s0
	s_delay_alu instid0(SALU_CYCLE_1) | instskip(NEXT) | instid1(VALU_DEP_1)
	s_mov_b32 s1, exec_lo
	v_cmpx_gt_i32_e64 s15, v35
	s_cbranch_execz .LBB56_7
; %bb.6:
	v_add_nc_u32_e32 v2, s20, v35
	v_add_nc_u32_e32 v35, 0x100, v35
	global_load_b64 v[2:3], v2, s[22:23] scale_offset
.LBB56_7:
	s_wait_xcnt 0x0
	s_or_b32 exec_lo, exec_lo, s1
	v_mov_b64_e32 v[4:5], 0
	v_mov_b64_e32 v[16:17], 0
	s_mov_b32 s1, exec_lo
	v_cmpx_gt_i32_e64 s15, v35
	s_cbranch_execz .LBB56_9
; %bb.8:
	v_add_nc_u32_e32 v6, s20, v35
	v_add_nc_u32_e32 v35, 0x100, v35
	global_load_b64 v[16:17], v6, s[22:23] scale_offset
.LBB56_9:
	s_wait_xcnt 0x0
	s_or_b32 exec_lo, exec_lo, s1
	s_delay_alu instid0(SALU_CYCLE_1)
	s_mov_b32 s1, exec_lo
	v_cmpx_gt_i32_e64 s15, v35
	s_cbranch_execz .LBB56_11
; %bb.10:
	v_add_nc_u32_e32 v4, s20, v35
	v_add_nc_u32_e32 v35, 0x100, v35
	global_load_b64 v[4:5], v4, s[22:23] scale_offset
.LBB56_11:
	s_wait_xcnt 0x0
	s_or_b32 exec_lo, exec_lo, s1
	v_mov_b64_e32 v[6:7], 0
	v_mov_b64_e32 v[20:21], 0
	s_mov_b32 s1, exec_lo
	v_cmpx_gt_i32_e64 s15, v35
	s_cbranch_execz .LBB56_13
; %bb.12:
	v_add_nc_u32_e32 v8, s20, v35
	v_add_nc_u32_e32 v35, 0x100, v35
	global_load_b64 v[20:21], v8, s[22:23] scale_offset
.LBB56_13:
	s_wait_xcnt 0x0
	s_or_b32 exec_lo, exec_lo, s1
	s_delay_alu instid0(SALU_CYCLE_1)
	;; [unrolled: 23-line block ×7, first 2 shown]
	s_mov_b32 s1, exec_lo
	v_cmpx_gt_i32_e64 s15, v35
	s_cbranch_execz .LBB56_35
; %bb.34:
	v_add_nc_u32_e32 v22, s20, v35
	global_load_b64 v[22:23], v22, s[22:23] scale_offset
.LBB56_35:
	s_wait_xcnt 0x0
	s_or_b32 exec_lo, exec_lo, s1
	s_cmp_eq_u32 s24, 0
	s_cselect_b32 s0, -1, 0
	s_and_saveexec_b32 s1, vcc_lo
	s_cbranch_execnz .LBB56_53
; %bb.36:
	s_or_b32 exec_lo, exec_lo, s1
	s_delay_alu instid0(SALU_CYCLE_1)
	s_mov_b32 s1, exec_lo
	v_cmpx_gt_i32_e64 s15, v0
	s_cbranch_execnz .LBB56_54
.LBB56_37:
	s_or_b32 exec_lo, exec_lo, s1
	s_delay_alu instid0(SALU_CYCLE_1)
	s_mov_b32 s1, exec_lo
	v_cmpx_gt_i32_e64 s15, v0
	s_cbranch_execnz .LBB56_55
.LBB56_38:
	s_or_b32 exec_lo, exec_lo, s1
	s_delay_alu instid0(SALU_CYCLE_1)
	s_mov_b32 s1, exec_lo
	v_cmpx_gt_i32_e64 s15, v0
	s_cbranch_execnz .LBB56_56
.LBB56_39:
	s_or_b32 exec_lo, exec_lo, s1
	s_delay_alu instid0(SALU_CYCLE_1)
	s_mov_b32 s1, exec_lo
	v_cmpx_gt_i32_e64 s15, v0
	s_cbranch_execnz .LBB56_57
.LBB56_40:
	s_or_b32 exec_lo, exec_lo, s1
	s_delay_alu instid0(SALU_CYCLE_1)
	s_mov_b32 s1, exec_lo
	v_cmpx_gt_i32_e64 s15, v0
	s_cbranch_execnz .LBB56_58
.LBB56_41:
	s_or_b32 exec_lo, exec_lo, s1
	s_delay_alu instid0(SALU_CYCLE_1)
	s_mov_b32 s1, exec_lo
	v_cmpx_gt_i32_e64 s15, v0
	s_cbranch_execnz .LBB56_59
.LBB56_42:
	s_or_b32 exec_lo, exec_lo, s1
	s_delay_alu instid0(SALU_CYCLE_1)
	s_mov_b32 s1, exec_lo
	v_cmpx_gt_i32_e64 s15, v0
	s_cbranch_execnz .LBB56_60
.LBB56_43:
	s_or_b32 exec_lo, exec_lo, s1
	s_delay_alu instid0(SALU_CYCLE_1)
	s_mov_b32 s1, exec_lo
	v_cmpx_gt_i32_e64 s15, v0
	s_cbranch_execnz .LBB56_61
.LBB56_44:
	s_or_b32 exec_lo, exec_lo, s1
	s_delay_alu instid0(SALU_CYCLE_1)
	s_mov_b32 s1, exec_lo
	v_cmpx_gt_i32_e64 s15, v0
	s_cbranch_execnz .LBB56_62
.LBB56_45:
	s_or_b32 exec_lo, exec_lo, s1
	s_delay_alu instid0(SALU_CYCLE_1)
	s_mov_b32 s1, exec_lo
	v_cmpx_gt_i32_e64 s15, v0
	s_cbranch_execnz .LBB56_63
.LBB56_46:
	s_or_b32 exec_lo, exec_lo, s1
	s_delay_alu instid0(SALU_CYCLE_1)
	s_mov_b32 s1, exec_lo
	v_cmpx_gt_i32_e64 s15, v0
	s_cbranch_execnz .LBB56_64
.LBB56_47:
	s_or_b32 exec_lo, exec_lo, s1
	s_delay_alu instid0(SALU_CYCLE_1)
	s_mov_b32 s1, exec_lo
	v_cmpx_gt_i32_e64 s15, v0
	s_cbranch_execnz .LBB56_65
.LBB56_48:
	s_or_b32 exec_lo, exec_lo, s1
	s_delay_alu instid0(SALU_CYCLE_1)
	s_mov_b32 s1, exec_lo
	v_cmpx_gt_i32_e64 s15, v0
	s_cbranch_execnz .LBB56_66
.LBB56_49:
	s_or_b32 exec_lo, exec_lo, s1
	s_delay_alu instid0(SALU_CYCLE_1)
	s_mov_b32 s1, exec_lo
	v_cmpx_gt_i32_e64 s15, v0
	s_cbranch_execnz .LBB56_67
.LBB56_50:
	s_or_b32 exec_lo, exec_lo, s1
	s_delay_alu instid0(SALU_CYCLE_1)
	s_mov_b32 s1, exec_lo
	v_cmpx_gt_i32_e64 s15, v0
	s_cbranch_execz .LBB56_52
.LBB56_51:
	s_wait_loadcnt 0x0
	v_cmp_ne_u64_e32 vcc_lo, s[16:17], v[22:23]
	v_add_nc_u32_e32 v0, s20, v0
	s_xor_b32 s0, s0, vcc_lo
	s_delay_alu instid0(SALU_CYCLE_1)
	v_cndmask_b32_e64 v1, 0, 1, s0
	global_store_b8 v0, v1, s[18:19]
.LBB56_52:
	s_endpgm
.LBB56_53:
	s_wait_loadcnt 0x0
	v_cmp_ne_u64_e32 vcc_lo, s[16:17], v[12:13]
	v_mov_b32_e32 v0, v34
	s_xor_b32 s2, s0, vcc_lo
	s_delay_alu instid0(SALU_CYCLE_1) | instskip(SKIP_3) | instid1(SALU_CYCLE_1)
	v_cndmask_b32_e64 v12, 0, 1, s2
	global_store_b8 v1, v12, s[18:19]
	s_wait_xcnt 0x0
	s_or_b32 exec_lo, exec_lo, s1
	s_mov_b32 s1, exec_lo
	v_cmpx_gt_i32_e64 s15, v0
	s_cbranch_execz .LBB56_37
.LBB56_54:
	s_wait_loadcnt 0x0
	v_cmp_ne_u64_e32 vcc_lo, s[16:17], v[2:3]
	v_add_nc_u32_e32 v2, s20, v0
	v_add_nc_u32_e32 v0, 0x100, v0
	s_xor_b32 s2, s0, vcc_lo
	s_delay_alu instid0(SALU_CYCLE_1) | instskip(SKIP_3) | instid1(SALU_CYCLE_1)
	v_cndmask_b32_e64 v1, 0, 1, s2
	global_store_b8 v2, v1, s[18:19]
	s_wait_xcnt 0x0
	s_or_b32 exec_lo, exec_lo, s1
	s_mov_b32 s1, exec_lo
	v_cmpx_gt_i32_e64 s15, v0
	s_cbranch_execz .LBB56_38
.LBB56_55:
	s_wait_loadcnt 0x0
	v_cmp_ne_u64_e32 vcc_lo, s[16:17], v[16:17]
	v_add_nc_u32_e32 v2, s20, v0
	v_add_nc_u32_e32 v0, 0x100, v0
	s_xor_b32 s2, s0, vcc_lo
	s_delay_alu instid0(SALU_CYCLE_1) | instskip(SKIP_3) | instid1(SALU_CYCLE_1)
	v_cndmask_b32_e64 v1, 0, 1, s2
	global_store_b8 v2, v1, s[18:19]
	s_wait_xcnt 0x0
	s_or_b32 exec_lo, exec_lo, s1
	s_mov_b32 s1, exec_lo
	v_cmpx_gt_i32_e64 s15, v0
	s_cbranch_execz .LBB56_39
.LBB56_56:
	s_wait_loadcnt 0x0
	v_cmp_ne_u64_e32 vcc_lo, s[16:17], v[4:5]
	v_add_nc_u32_e32 v2, s20, v0
	v_add_nc_u32_e32 v0, 0x100, v0
	s_xor_b32 s2, s0, vcc_lo
	s_delay_alu instid0(SALU_CYCLE_1) | instskip(SKIP_3) | instid1(SALU_CYCLE_1)
	v_cndmask_b32_e64 v1, 0, 1, s2
	global_store_b8 v2, v1, s[18:19]
	s_wait_xcnt 0x0
	s_or_b32 exec_lo, exec_lo, s1
	s_mov_b32 s1, exec_lo
	v_cmpx_gt_i32_e64 s15, v0
	s_cbranch_execz .LBB56_40
.LBB56_57:
	s_wait_loadcnt 0x0
	v_cmp_ne_u64_e32 vcc_lo, s[16:17], v[20:21]
	v_add_nc_u32_e32 v2, s20, v0
	v_add_nc_u32_e32 v0, 0x100, v0
	s_xor_b32 s2, s0, vcc_lo
	s_delay_alu instid0(SALU_CYCLE_1) | instskip(SKIP_3) | instid1(SALU_CYCLE_1)
	v_cndmask_b32_e64 v1, 0, 1, s2
	global_store_b8 v2, v1, s[18:19]
	s_wait_xcnt 0x0
	s_or_b32 exec_lo, exec_lo, s1
	s_mov_b32 s1, exec_lo
	v_cmpx_gt_i32_e64 s15, v0
	s_cbranch_execz .LBB56_41
.LBB56_58:
	s_wait_loadcnt 0x0
	v_cmp_ne_u64_e32 vcc_lo, s[16:17], v[6:7]
	v_add_nc_u32_e32 v2, s20, v0
	v_add_nc_u32_e32 v0, 0x100, v0
	s_xor_b32 s2, s0, vcc_lo
	s_delay_alu instid0(SALU_CYCLE_1) | instskip(SKIP_3) | instid1(SALU_CYCLE_1)
	v_cndmask_b32_e64 v1, 0, 1, s2
	global_store_b8 v2, v1, s[18:19]
	s_wait_xcnt 0x0
	s_or_b32 exec_lo, exec_lo, s1
	s_mov_b32 s1, exec_lo
	v_cmpx_gt_i32_e64 s15, v0
	s_cbranch_execz .LBB56_42
.LBB56_59:
	s_wait_loadcnt 0x0
	v_cmp_ne_u64_e32 vcc_lo, s[16:17], v[24:25]
	v_add_nc_u32_e32 v2, s20, v0
	v_add_nc_u32_e32 v0, 0x100, v0
	s_xor_b32 s2, s0, vcc_lo
	s_delay_alu instid0(SALU_CYCLE_1) | instskip(SKIP_3) | instid1(SALU_CYCLE_1)
	v_cndmask_b32_e64 v1, 0, 1, s2
	global_store_b8 v2, v1, s[18:19]
	s_wait_xcnt 0x0
	s_or_b32 exec_lo, exec_lo, s1
	s_mov_b32 s1, exec_lo
	v_cmpx_gt_i32_e64 s15, v0
	s_cbranch_execz .LBB56_43
.LBB56_60:
	s_wait_loadcnt 0x0
	v_cmp_ne_u64_e32 vcc_lo, s[16:17], v[8:9]
	v_add_nc_u32_e32 v2, s20, v0
	v_add_nc_u32_e32 v0, 0x100, v0
	s_xor_b32 s2, s0, vcc_lo
	s_delay_alu instid0(SALU_CYCLE_1) | instskip(SKIP_3) | instid1(SALU_CYCLE_1)
	v_cndmask_b32_e64 v1, 0, 1, s2
	global_store_b8 v2, v1, s[18:19]
	s_wait_xcnt 0x0
	s_or_b32 exec_lo, exec_lo, s1
	s_mov_b32 s1, exec_lo
	v_cmpx_gt_i32_e64 s15, v0
	s_cbranch_execz .LBB56_44
.LBB56_61:
	s_wait_loadcnt 0x0
	v_cmp_ne_u64_e32 vcc_lo, s[16:17], v[26:27]
	v_add_nc_u32_e32 v2, s20, v0
	v_add_nc_u32_e32 v0, 0x100, v0
	s_xor_b32 s2, s0, vcc_lo
	s_delay_alu instid0(SALU_CYCLE_1) | instskip(SKIP_3) | instid1(SALU_CYCLE_1)
	v_cndmask_b32_e64 v1, 0, 1, s2
	global_store_b8 v2, v1, s[18:19]
	s_wait_xcnt 0x0
	s_or_b32 exec_lo, exec_lo, s1
	s_mov_b32 s1, exec_lo
	v_cmpx_gt_i32_e64 s15, v0
	s_cbranch_execz .LBB56_45
.LBB56_62:
	s_wait_loadcnt 0x0
	v_cmp_ne_u64_e32 vcc_lo, s[16:17], v[10:11]
	v_add_nc_u32_e32 v2, s20, v0
	v_add_nc_u32_e32 v0, 0x100, v0
	s_xor_b32 s2, s0, vcc_lo
	s_delay_alu instid0(SALU_CYCLE_1) | instskip(SKIP_3) | instid1(SALU_CYCLE_1)
	v_cndmask_b32_e64 v1, 0, 1, s2
	global_store_b8 v2, v1, s[18:19]
	s_wait_xcnt 0x0
	s_or_b32 exec_lo, exec_lo, s1
	s_mov_b32 s1, exec_lo
	v_cmpx_gt_i32_e64 s15, v0
	s_cbranch_execz .LBB56_46
.LBB56_63:
	s_wait_loadcnt 0x0
	v_cmp_ne_u64_e32 vcc_lo, s[16:17], v[28:29]
	v_add_nc_u32_e32 v2, s20, v0
	v_add_nc_u32_e32 v0, 0x100, v0
	s_xor_b32 s2, s0, vcc_lo
	s_delay_alu instid0(SALU_CYCLE_1) | instskip(SKIP_3) | instid1(SALU_CYCLE_1)
	v_cndmask_b32_e64 v1, 0, 1, s2
	global_store_b8 v2, v1, s[18:19]
	s_wait_xcnt 0x0
	s_or_b32 exec_lo, exec_lo, s1
	s_mov_b32 s1, exec_lo
	v_cmpx_gt_i32_e64 s15, v0
	s_cbranch_execz .LBB56_47
.LBB56_64:
	s_wait_loadcnt 0x0
	v_cmp_ne_u64_e32 vcc_lo, s[16:17], v[14:15]
	v_add_nc_u32_e32 v2, s20, v0
	v_add_nc_u32_e32 v0, 0x100, v0
	s_xor_b32 s2, s0, vcc_lo
	s_delay_alu instid0(SALU_CYCLE_1) | instskip(SKIP_3) | instid1(SALU_CYCLE_1)
	v_cndmask_b32_e64 v1, 0, 1, s2
	global_store_b8 v2, v1, s[18:19]
	s_wait_xcnt 0x0
	s_or_b32 exec_lo, exec_lo, s1
	s_mov_b32 s1, exec_lo
	v_cmpx_gt_i32_e64 s15, v0
	s_cbranch_execz .LBB56_48
.LBB56_65:
	s_wait_loadcnt 0x0
	v_cmp_ne_u64_e32 vcc_lo, s[16:17], v[30:31]
	v_add_nc_u32_e32 v2, s20, v0
	v_add_nc_u32_e32 v0, 0x100, v0
	s_xor_b32 s2, s0, vcc_lo
	s_delay_alu instid0(SALU_CYCLE_1) | instskip(SKIP_3) | instid1(SALU_CYCLE_1)
	v_cndmask_b32_e64 v1, 0, 1, s2
	global_store_b8 v2, v1, s[18:19]
	s_wait_xcnt 0x0
	s_or_b32 exec_lo, exec_lo, s1
	s_mov_b32 s1, exec_lo
	v_cmpx_gt_i32_e64 s15, v0
	s_cbranch_execz .LBB56_49
.LBB56_66:
	s_wait_loadcnt 0x0
	v_cmp_ne_u64_e32 vcc_lo, s[16:17], v[18:19]
	v_add_nc_u32_e32 v2, s20, v0
	v_add_nc_u32_e32 v0, 0x100, v0
	s_xor_b32 s2, s0, vcc_lo
	s_delay_alu instid0(SALU_CYCLE_1) | instskip(SKIP_3) | instid1(SALU_CYCLE_1)
	v_cndmask_b32_e64 v1, 0, 1, s2
	global_store_b8 v2, v1, s[18:19]
	s_wait_xcnt 0x0
	s_or_b32 exec_lo, exec_lo, s1
	s_mov_b32 s1, exec_lo
	v_cmpx_gt_i32_e64 s15, v0
	s_cbranch_execz .LBB56_50
.LBB56_67:
	s_wait_loadcnt 0x0
	v_cmp_ne_u64_e32 vcc_lo, s[16:17], v[32:33]
	v_add_nc_u32_e32 v2, s20, v0
	v_add_nc_u32_e32 v0, 0x100, v0
	s_xor_b32 s2, s0, vcc_lo
	s_delay_alu instid0(SALU_CYCLE_1) | instskip(SKIP_3) | instid1(SALU_CYCLE_1)
	v_cndmask_b32_e64 v1, 0, 1, s2
	global_store_b8 v2, v1, s[18:19]
	s_wait_xcnt 0x0
	s_or_b32 exec_lo, exec_lo, s1
	s_mov_b32 s1, exec_lo
	v_cmpx_gt_i32_e64 s15, v0
	s_cbranch_execnz .LBB56_51
	s_branch .LBB56_52
	.section	.rodata,"a",@progbits
	.p2align	6, 0x0
	.amdhsa_kernel _ZN2at6native29vectorized_elementwise_kernelILi16ENS0_13AUnaryFunctorIllbNS0_12_GLOBAL__N_116CompareEqFunctorIlEEEESt5arrayIPcLm2EEEEviT0_T1_
		.amdhsa_group_segment_fixed_size 0
		.amdhsa_private_segment_fixed_size 0
		.amdhsa_kernarg_size 40
		.amdhsa_user_sgpr_count 2
		.amdhsa_user_sgpr_dispatch_ptr 0
		.amdhsa_user_sgpr_queue_ptr 0
		.amdhsa_user_sgpr_kernarg_segment_ptr 1
		.amdhsa_user_sgpr_dispatch_id 0
		.amdhsa_user_sgpr_kernarg_preload_length 0
		.amdhsa_user_sgpr_kernarg_preload_offset 0
		.amdhsa_user_sgpr_private_segment_size 0
		.amdhsa_wavefront_size32 1
		.amdhsa_uses_dynamic_stack 0
		.amdhsa_enable_private_segment 0
		.amdhsa_system_sgpr_workgroup_id_x 1
		.amdhsa_system_sgpr_workgroup_id_y 0
		.amdhsa_system_sgpr_workgroup_id_z 0
		.amdhsa_system_sgpr_workgroup_info 0
		.amdhsa_system_vgpr_workitem_id 0
		.amdhsa_next_free_vgpr 36
		.amdhsa_next_free_sgpr 27
		.amdhsa_named_barrier_count 0
		.amdhsa_reserve_vcc 1
		.amdhsa_float_round_mode_32 0
		.amdhsa_float_round_mode_16_64 0
		.amdhsa_float_denorm_mode_32 3
		.amdhsa_float_denorm_mode_16_64 3
		.amdhsa_fp16_overflow 0
		.amdhsa_memory_ordered 1
		.amdhsa_forward_progress 1
		.amdhsa_inst_pref_size 25
		.amdhsa_round_robin_scheduling 0
		.amdhsa_exception_fp_ieee_invalid_op 0
		.amdhsa_exception_fp_denorm_src 0
		.amdhsa_exception_fp_ieee_div_zero 0
		.amdhsa_exception_fp_ieee_overflow 0
		.amdhsa_exception_fp_ieee_underflow 0
		.amdhsa_exception_fp_ieee_inexact 0
		.amdhsa_exception_int_div_zero 0
	.end_amdhsa_kernel
	.section	.text._ZN2at6native29vectorized_elementwise_kernelILi16ENS0_13AUnaryFunctorIllbNS0_12_GLOBAL__N_116CompareEqFunctorIlEEEESt5arrayIPcLm2EEEEviT0_T1_,"axG",@progbits,_ZN2at6native29vectorized_elementwise_kernelILi16ENS0_13AUnaryFunctorIllbNS0_12_GLOBAL__N_116CompareEqFunctorIlEEEESt5arrayIPcLm2EEEEviT0_T1_,comdat
.Lfunc_end56:
	.size	_ZN2at6native29vectorized_elementwise_kernelILi16ENS0_13AUnaryFunctorIllbNS0_12_GLOBAL__N_116CompareEqFunctorIlEEEESt5arrayIPcLm2EEEEviT0_T1_, .Lfunc_end56-_ZN2at6native29vectorized_elementwise_kernelILi16ENS0_13AUnaryFunctorIllbNS0_12_GLOBAL__N_116CompareEqFunctorIlEEEESt5arrayIPcLm2EEEEviT0_T1_
                                        ; -- End function
	.set _ZN2at6native29vectorized_elementwise_kernelILi16ENS0_13AUnaryFunctorIllbNS0_12_GLOBAL__N_116CompareEqFunctorIlEEEESt5arrayIPcLm2EEEEviT0_T1_.num_vgpr, 36
	.set _ZN2at6native29vectorized_elementwise_kernelILi16ENS0_13AUnaryFunctorIllbNS0_12_GLOBAL__N_116CompareEqFunctorIlEEEESt5arrayIPcLm2EEEEviT0_T1_.num_agpr, 0
	.set _ZN2at6native29vectorized_elementwise_kernelILi16ENS0_13AUnaryFunctorIllbNS0_12_GLOBAL__N_116CompareEqFunctorIlEEEESt5arrayIPcLm2EEEEviT0_T1_.numbered_sgpr, 27
	.set _ZN2at6native29vectorized_elementwise_kernelILi16ENS0_13AUnaryFunctorIllbNS0_12_GLOBAL__N_116CompareEqFunctorIlEEEESt5arrayIPcLm2EEEEviT0_T1_.num_named_barrier, 0
	.set _ZN2at6native29vectorized_elementwise_kernelILi16ENS0_13AUnaryFunctorIllbNS0_12_GLOBAL__N_116CompareEqFunctorIlEEEESt5arrayIPcLm2EEEEviT0_T1_.private_seg_size, 0
	.set _ZN2at6native29vectorized_elementwise_kernelILi16ENS0_13AUnaryFunctorIllbNS0_12_GLOBAL__N_116CompareEqFunctorIlEEEESt5arrayIPcLm2EEEEviT0_T1_.uses_vcc, 1
	.set _ZN2at6native29vectorized_elementwise_kernelILi16ENS0_13AUnaryFunctorIllbNS0_12_GLOBAL__N_116CompareEqFunctorIlEEEESt5arrayIPcLm2EEEEviT0_T1_.uses_flat_scratch, 0
	.set _ZN2at6native29vectorized_elementwise_kernelILi16ENS0_13AUnaryFunctorIllbNS0_12_GLOBAL__N_116CompareEqFunctorIlEEEESt5arrayIPcLm2EEEEviT0_T1_.has_dyn_sized_stack, 0
	.set _ZN2at6native29vectorized_elementwise_kernelILi16ENS0_13AUnaryFunctorIllbNS0_12_GLOBAL__N_116CompareEqFunctorIlEEEESt5arrayIPcLm2EEEEviT0_T1_.has_recursion, 0
	.set _ZN2at6native29vectorized_elementwise_kernelILi16ENS0_13AUnaryFunctorIllbNS0_12_GLOBAL__N_116CompareEqFunctorIlEEEESt5arrayIPcLm2EEEEviT0_T1_.has_indirect_call, 0
	.section	.AMDGPU.csdata,"",@progbits
; Kernel info:
; codeLenInByte = 3152
; TotalNumSgprs: 29
; NumVgprs: 36
; ScratchSize: 0
; MemoryBound: 1
; FloatMode: 240
; IeeeMode: 1
; LDSByteSize: 0 bytes/workgroup (compile time only)
; SGPRBlocks: 0
; VGPRBlocks: 2
; NumSGPRsForWavesPerEU: 29
; NumVGPRsForWavesPerEU: 36
; NamedBarCnt: 0
; Occupancy: 16
; WaveLimiterHint : 0
; COMPUTE_PGM_RSRC2:SCRATCH_EN: 0
; COMPUTE_PGM_RSRC2:USER_SGPR: 2
; COMPUTE_PGM_RSRC2:TRAP_HANDLER: 0
; COMPUTE_PGM_RSRC2:TGID_X_EN: 1
; COMPUTE_PGM_RSRC2:TGID_Y_EN: 0
; COMPUTE_PGM_RSRC2:TGID_Z_EN: 0
; COMPUTE_PGM_RSRC2:TIDIG_COMP_CNT: 0
	.section	.text._ZN2at6native29vectorized_elementwise_kernelILi8ENS0_13AUnaryFunctorIllbNS0_12_GLOBAL__N_116CompareEqFunctorIlEEEESt5arrayIPcLm2EEEEviT0_T1_,"axG",@progbits,_ZN2at6native29vectorized_elementwise_kernelILi8ENS0_13AUnaryFunctorIllbNS0_12_GLOBAL__N_116CompareEqFunctorIlEEEESt5arrayIPcLm2EEEEviT0_T1_,comdat
	.globl	_ZN2at6native29vectorized_elementwise_kernelILi8ENS0_13AUnaryFunctorIllbNS0_12_GLOBAL__N_116CompareEqFunctorIlEEEESt5arrayIPcLm2EEEEviT0_T1_ ; -- Begin function _ZN2at6native29vectorized_elementwise_kernelILi8ENS0_13AUnaryFunctorIllbNS0_12_GLOBAL__N_116CompareEqFunctorIlEEEESt5arrayIPcLm2EEEEviT0_T1_
	.p2align	8
	.type	_ZN2at6native29vectorized_elementwise_kernelILi8ENS0_13AUnaryFunctorIllbNS0_12_GLOBAL__N_116CompareEqFunctorIlEEEESt5arrayIPcLm2EEEEviT0_T1_,@function
_ZN2at6native29vectorized_elementwise_kernelILi8ENS0_13AUnaryFunctorIllbNS0_12_GLOBAL__N_116CompareEqFunctorIlEEEESt5arrayIPcLm2EEEEviT0_T1_: ; @_ZN2at6native29vectorized_elementwise_kernelILi8ENS0_13AUnaryFunctorIllbNS0_12_GLOBAL__N_116CompareEqFunctorIlEEEESt5arrayIPcLm2EEEEviT0_T1_
; %bb.0:
	s_clause 0x3
	s_load_b32 s2, s[0:1], 0x0
	s_load_b32 s24, s[0:1], 0x8
	s_load_b128 s[16:19], s[0:1], 0x10
	s_load_b64 s[22:23], s[0:1], 0x20
	s_wait_xcnt 0x0
	s_bfe_u32 s0, ttmp6, 0x4000c
	s_and_b32 s1, ttmp6, 15
	s_add_co_i32 s0, s0, 1
	s_getreg_b32 s3, hwreg(HW_REG_IB_STS2, 6, 4)
	s_mul_i32 s0, ttmp9, s0
	s_delay_alu instid0(SALU_CYCLE_1) | instskip(SKIP_2) | instid1(SALU_CYCLE_1)
	s_add_co_i32 s1, s1, s0
	s_cmp_eq_u32 s3, 0
	s_cselect_b32 s0, ttmp9, s1
	s_lshl_b32 s20, s0, 12
	s_mov_b32 s0, -1
	s_wait_kmcnt 0x0
	s_sub_co_i32 s15, s2, s20
	s_delay_alu instid0(SALU_CYCLE_1)
	s_cmp_gt_i32 s15, 0xfff
	s_cbranch_scc0 .LBB57_2
; %bb.1:
	s_ashr_i32 s21, s20, 31
	v_lshlrev_b32_e32 v1, 6, v0
	s_lshl_b64 s[0:1], s[20:21], 3
	s_cmp_eq_u32 s24, 0
	s_add_nc_u64 s[0:1], s[22:23], s[0:1]
	s_cselect_b32 s25, -1, 0
	s_clause 0x7
	global_load_b128 v[2:5], v1, s[0:1]
	global_load_b128 v[6:9], v1, s[0:1] offset:16
	global_load_b128 v[10:13], v1, s[0:1] offset:32
	;; [unrolled: 1-line block ×7, first 2 shown]
	s_wait_xcnt 0x0
	v_or3_b32 v1, 0, 0, 0
	s_wait_loadcnt 0x7
	v_cmp_ne_u64_e64 s0, s[16:17], v[4:5]
	s_wait_loadcnt 0x6
	v_cmp_ne_u64_e64 s1, s[16:17], v[6:7]
	v_cmp_ne_u64_e64 s2, s[16:17], v[8:9]
	s_wait_loadcnt 0x5
	v_cmp_ne_u64_e64 s3, s[16:17], v[10:11]
	v_cmp_ne_u64_e64 s4, s[16:17], v[12:13]
	v_cmp_ne_u64_e32 vcc_lo, s[16:17], v[2:3]
	s_wait_loadcnt 0x4
	v_cmp_ne_u64_e64 s5, s[16:17], v[14:15]
	s_xor_b32 s0, s25, s0
	v_cmp_ne_u64_e64 s6, s[16:17], v[16:17]
	v_cndmask_b32_e64 v3, 0, 0x100, s0
	s_xor_b32 s0, s25, s1
	s_wait_loadcnt 0x3
	v_cmp_ne_u64_e64 s7, s[16:17], v[18:19]
	v_cndmask_b32_e64 v4, 0, 0x10000, s0
	s_xor_b32 s0, s25, s2
	v_cmp_ne_u64_e64 s8, s[16:17], v[20:21]
	v_cndmask_b32_e64 v5, 0, 0x1000000, s0
	s_xor_b32 s0, s25, s3
	s_wait_loadcnt 0x2
	v_cmp_ne_u64_e64 s9, s[16:17], v[22:23]
	v_cndmask_b32_e64 v6, 0, 1, s0
	s_xor_b32 s0, s25, s4
	v_cmp_ne_u64_e64 s10, s[16:17], v[24:25]
	v_cndmask_b32_e64 v7, 0, 0x100, s0
	s_xor_b32 s0, s25, s5
	s_xor_b32 s26, s25, vcc_lo
	v_cndmask_b32_e64 v8, 0, 0x10000, s0
	s_xor_b32 s0, s25, s6
	s_wait_loadcnt 0x1
	v_cmp_ne_u64_e64 s11, s[16:17], v[26:27]
	v_cndmask_b32_e64 v9, 0, 0x1000000, s0
	s_xor_b32 s0, s25, s7
	v_cndmask_b32_e64 v2, 0, 1, s26
	v_cndmask_b32_e64 v10, 0, 1, s0
	s_xor_b32 s0, s25, s8
	v_cmp_ne_u64_e64 s12, s[16:17], v[28:29]
	v_cndmask_b32_e64 v11, 0, 0x100, s0
	s_xor_b32 s0, s25, s9
	s_wait_loadcnt 0x0
	v_cmp_ne_u64_e64 s13, s[16:17], v[30:31]
	v_cndmask_b32_e64 v12, 0, 0x10000, s0
	s_xor_b32 s0, s25, s10
	v_or_b32_e32 v2, v3, v2
	v_cndmask_b32_e64 v13, 0, 0x1000000, s0
	v_or_b32_e32 v3, v11, v10
	v_cmp_ne_u64_e64 s14, s[16:17], v[32:33]
	s_xor_b32 s0, s25, s11
	v_or3_b32 v2, v2, v4, v5
	v_cndmask_b32_e64 v14, 0, 1, s0
	s_xor_b32 s0, s25, s12
	v_or3_b32 v3, v3, v12, v13
	v_cndmask_b32_e64 v10, 0, 0x100, s0
	;; [unrolled: 3-line block ×4, first 2 shown]
	v_or3_b32 v1, v1, v14, v10
	v_or3_b32 v6, v3, 0, 0
	;; [unrolled: 1-line block ×4, first 2 shown]
	s_add_nc_u64 s[2:3], s[18:19], s[20:21]
	v_or3_b32 v5, v1, v11, v4
	v_or3_b32 v4, v6, 0, 0
	s_mov_b32 s0, 0
	s_clause 0x1
	global_store_b64 v0, v[2:3], s[2:3] scale_offset
	global_store_b64 v0, v[4:5], s[2:3] offset:2048 scale_offset
.LBB57_2:
	s_and_not1_b32 vcc_lo, exec_lo, s0
	s_cbranch_vccnz .LBB57_52
; %bb.3:
	s_wait_xcnt 0x1
	v_mov_b64_e32 v[2:3], 0
	v_mov_b64_e32 v[12:13], 0
	v_cmp_gt_i32_e32 vcc_lo, s15, v0
	v_dual_mov_b32 v35, v0 :: v_dual_bitop2_b32 v1, s20, v0 bitop3:0x54
	v_or_b32_e32 v34, 0x100, v0
	s_wait_xcnt 0x0
	s_and_saveexec_b32 s0, vcc_lo
	s_cbranch_execz .LBB57_5
; %bb.4:
	global_load_b64 v[12:13], v1, s[22:23] scale_offset
	v_or_b32_e32 v35, 0x100, v0
.LBB57_5:
	s_wait_xcnt 0x0
	s_or_b32 exec_lo, exec_lo, s0
	s_delay_alu instid0(SALU_CYCLE_1) | instskip(NEXT) | instid1(VALU_DEP_1)
	s_mov_b32 s1, exec_lo
	v_cmpx_gt_i32_e64 s15, v35
	s_cbranch_execz .LBB57_7
; %bb.6:
	v_add_nc_u32_e32 v2, s20, v35
	v_add_nc_u32_e32 v35, 0x100, v35
	global_load_b64 v[2:3], v2, s[22:23] scale_offset
.LBB57_7:
	s_wait_xcnt 0x0
	s_or_b32 exec_lo, exec_lo, s1
	v_mov_b64_e32 v[4:5], 0
	v_mov_b64_e32 v[16:17], 0
	s_mov_b32 s1, exec_lo
	v_cmpx_gt_i32_e64 s15, v35
	s_cbranch_execz .LBB57_9
; %bb.8:
	v_add_nc_u32_e32 v6, s20, v35
	v_add_nc_u32_e32 v35, 0x100, v35
	global_load_b64 v[16:17], v6, s[22:23] scale_offset
.LBB57_9:
	s_wait_xcnt 0x0
	s_or_b32 exec_lo, exec_lo, s1
	s_delay_alu instid0(SALU_CYCLE_1)
	s_mov_b32 s1, exec_lo
	v_cmpx_gt_i32_e64 s15, v35
	s_cbranch_execz .LBB57_11
; %bb.10:
	v_add_nc_u32_e32 v4, s20, v35
	v_add_nc_u32_e32 v35, 0x100, v35
	global_load_b64 v[4:5], v4, s[22:23] scale_offset
.LBB57_11:
	s_wait_xcnt 0x0
	s_or_b32 exec_lo, exec_lo, s1
	v_mov_b64_e32 v[6:7], 0
	v_mov_b64_e32 v[20:21], 0
	s_mov_b32 s1, exec_lo
	v_cmpx_gt_i32_e64 s15, v35
	s_cbranch_execz .LBB57_13
; %bb.12:
	v_add_nc_u32_e32 v8, s20, v35
	v_add_nc_u32_e32 v35, 0x100, v35
	global_load_b64 v[20:21], v8, s[22:23] scale_offset
.LBB57_13:
	s_wait_xcnt 0x0
	s_or_b32 exec_lo, exec_lo, s1
	s_delay_alu instid0(SALU_CYCLE_1)
	;; [unrolled: 23-line block ×7, first 2 shown]
	s_mov_b32 s1, exec_lo
	v_cmpx_gt_i32_e64 s15, v35
	s_cbranch_execz .LBB57_35
; %bb.34:
	v_add_nc_u32_e32 v22, s20, v35
	global_load_b64 v[22:23], v22, s[22:23] scale_offset
.LBB57_35:
	s_wait_xcnt 0x0
	s_or_b32 exec_lo, exec_lo, s1
	s_cmp_eq_u32 s24, 0
	s_cselect_b32 s0, -1, 0
	s_and_saveexec_b32 s1, vcc_lo
	s_cbranch_execnz .LBB57_53
; %bb.36:
	s_or_b32 exec_lo, exec_lo, s1
	s_delay_alu instid0(SALU_CYCLE_1)
	s_mov_b32 s1, exec_lo
	v_cmpx_gt_i32_e64 s15, v0
	s_cbranch_execnz .LBB57_54
.LBB57_37:
	s_or_b32 exec_lo, exec_lo, s1
	s_delay_alu instid0(SALU_CYCLE_1)
	s_mov_b32 s1, exec_lo
	v_cmpx_gt_i32_e64 s15, v0
	s_cbranch_execnz .LBB57_55
.LBB57_38:
	s_or_b32 exec_lo, exec_lo, s1
	s_delay_alu instid0(SALU_CYCLE_1)
	s_mov_b32 s1, exec_lo
	v_cmpx_gt_i32_e64 s15, v0
	s_cbranch_execnz .LBB57_56
.LBB57_39:
	s_or_b32 exec_lo, exec_lo, s1
	s_delay_alu instid0(SALU_CYCLE_1)
	s_mov_b32 s1, exec_lo
	v_cmpx_gt_i32_e64 s15, v0
	s_cbranch_execnz .LBB57_57
.LBB57_40:
	s_or_b32 exec_lo, exec_lo, s1
	s_delay_alu instid0(SALU_CYCLE_1)
	s_mov_b32 s1, exec_lo
	v_cmpx_gt_i32_e64 s15, v0
	s_cbranch_execnz .LBB57_58
.LBB57_41:
	s_or_b32 exec_lo, exec_lo, s1
	s_delay_alu instid0(SALU_CYCLE_1)
	s_mov_b32 s1, exec_lo
	v_cmpx_gt_i32_e64 s15, v0
	s_cbranch_execnz .LBB57_59
.LBB57_42:
	s_or_b32 exec_lo, exec_lo, s1
	s_delay_alu instid0(SALU_CYCLE_1)
	s_mov_b32 s1, exec_lo
	v_cmpx_gt_i32_e64 s15, v0
	s_cbranch_execnz .LBB57_60
.LBB57_43:
	s_or_b32 exec_lo, exec_lo, s1
	s_delay_alu instid0(SALU_CYCLE_1)
	s_mov_b32 s1, exec_lo
	v_cmpx_gt_i32_e64 s15, v0
	s_cbranch_execnz .LBB57_61
.LBB57_44:
	s_or_b32 exec_lo, exec_lo, s1
	s_delay_alu instid0(SALU_CYCLE_1)
	s_mov_b32 s1, exec_lo
	v_cmpx_gt_i32_e64 s15, v0
	s_cbranch_execnz .LBB57_62
.LBB57_45:
	s_or_b32 exec_lo, exec_lo, s1
	s_delay_alu instid0(SALU_CYCLE_1)
	s_mov_b32 s1, exec_lo
	v_cmpx_gt_i32_e64 s15, v0
	s_cbranch_execnz .LBB57_63
.LBB57_46:
	s_or_b32 exec_lo, exec_lo, s1
	s_delay_alu instid0(SALU_CYCLE_1)
	s_mov_b32 s1, exec_lo
	v_cmpx_gt_i32_e64 s15, v0
	s_cbranch_execnz .LBB57_64
.LBB57_47:
	s_or_b32 exec_lo, exec_lo, s1
	s_delay_alu instid0(SALU_CYCLE_1)
	s_mov_b32 s1, exec_lo
	v_cmpx_gt_i32_e64 s15, v0
	s_cbranch_execnz .LBB57_65
.LBB57_48:
	s_or_b32 exec_lo, exec_lo, s1
	s_delay_alu instid0(SALU_CYCLE_1)
	s_mov_b32 s1, exec_lo
	v_cmpx_gt_i32_e64 s15, v0
	s_cbranch_execnz .LBB57_66
.LBB57_49:
	s_or_b32 exec_lo, exec_lo, s1
	s_delay_alu instid0(SALU_CYCLE_1)
	s_mov_b32 s1, exec_lo
	v_cmpx_gt_i32_e64 s15, v0
	s_cbranch_execnz .LBB57_67
.LBB57_50:
	s_or_b32 exec_lo, exec_lo, s1
	s_delay_alu instid0(SALU_CYCLE_1)
	s_mov_b32 s1, exec_lo
	v_cmpx_gt_i32_e64 s15, v0
	s_cbranch_execz .LBB57_52
.LBB57_51:
	s_wait_loadcnt 0x0
	v_cmp_ne_u64_e32 vcc_lo, s[16:17], v[22:23]
	v_add_nc_u32_e32 v0, s20, v0
	s_xor_b32 s0, s0, vcc_lo
	s_delay_alu instid0(SALU_CYCLE_1)
	v_cndmask_b32_e64 v1, 0, 1, s0
	global_store_b8 v0, v1, s[18:19]
.LBB57_52:
	s_endpgm
.LBB57_53:
	s_wait_loadcnt 0x0
	v_cmp_ne_u64_e32 vcc_lo, s[16:17], v[12:13]
	v_mov_b32_e32 v0, v34
	s_xor_b32 s2, s0, vcc_lo
	s_delay_alu instid0(SALU_CYCLE_1) | instskip(SKIP_3) | instid1(SALU_CYCLE_1)
	v_cndmask_b32_e64 v12, 0, 1, s2
	global_store_b8 v1, v12, s[18:19]
	s_wait_xcnt 0x0
	s_or_b32 exec_lo, exec_lo, s1
	s_mov_b32 s1, exec_lo
	v_cmpx_gt_i32_e64 s15, v0
	s_cbranch_execz .LBB57_37
.LBB57_54:
	s_wait_loadcnt 0x0
	v_cmp_ne_u64_e32 vcc_lo, s[16:17], v[2:3]
	v_add_nc_u32_e32 v2, s20, v0
	v_add_nc_u32_e32 v0, 0x100, v0
	s_xor_b32 s2, s0, vcc_lo
	s_delay_alu instid0(SALU_CYCLE_1) | instskip(SKIP_3) | instid1(SALU_CYCLE_1)
	v_cndmask_b32_e64 v1, 0, 1, s2
	global_store_b8 v2, v1, s[18:19]
	s_wait_xcnt 0x0
	s_or_b32 exec_lo, exec_lo, s1
	s_mov_b32 s1, exec_lo
	v_cmpx_gt_i32_e64 s15, v0
	s_cbranch_execz .LBB57_38
.LBB57_55:
	s_wait_loadcnt 0x0
	v_cmp_ne_u64_e32 vcc_lo, s[16:17], v[16:17]
	v_add_nc_u32_e32 v2, s20, v0
	v_add_nc_u32_e32 v0, 0x100, v0
	s_xor_b32 s2, s0, vcc_lo
	s_delay_alu instid0(SALU_CYCLE_1) | instskip(SKIP_3) | instid1(SALU_CYCLE_1)
	v_cndmask_b32_e64 v1, 0, 1, s2
	global_store_b8 v2, v1, s[18:19]
	s_wait_xcnt 0x0
	s_or_b32 exec_lo, exec_lo, s1
	s_mov_b32 s1, exec_lo
	v_cmpx_gt_i32_e64 s15, v0
	s_cbranch_execz .LBB57_39
.LBB57_56:
	s_wait_loadcnt 0x0
	v_cmp_ne_u64_e32 vcc_lo, s[16:17], v[4:5]
	v_add_nc_u32_e32 v2, s20, v0
	v_add_nc_u32_e32 v0, 0x100, v0
	s_xor_b32 s2, s0, vcc_lo
	s_delay_alu instid0(SALU_CYCLE_1) | instskip(SKIP_3) | instid1(SALU_CYCLE_1)
	v_cndmask_b32_e64 v1, 0, 1, s2
	global_store_b8 v2, v1, s[18:19]
	s_wait_xcnt 0x0
	s_or_b32 exec_lo, exec_lo, s1
	s_mov_b32 s1, exec_lo
	v_cmpx_gt_i32_e64 s15, v0
	s_cbranch_execz .LBB57_40
.LBB57_57:
	s_wait_loadcnt 0x0
	v_cmp_ne_u64_e32 vcc_lo, s[16:17], v[20:21]
	v_add_nc_u32_e32 v2, s20, v0
	v_add_nc_u32_e32 v0, 0x100, v0
	s_xor_b32 s2, s0, vcc_lo
	s_delay_alu instid0(SALU_CYCLE_1) | instskip(SKIP_3) | instid1(SALU_CYCLE_1)
	v_cndmask_b32_e64 v1, 0, 1, s2
	global_store_b8 v2, v1, s[18:19]
	s_wait_xcnt 0x0
	s_or_b32 exec_lo, exec_lo, s1
	s_mov_b32 s1, exec_lo
	v_cmpx_gt_i32_e64 s15, v0
	s_cbranch_execz .LBB57_41
.LBB57_58:
	s_wait_loadcnt 0x0
	v_cmp_ne_u64_e32 vcc_lo, s[16:17], v[6:7]
	v_add_nc_u32_e32 v2, s20, v0
	v_add_nc_u32_e32 v0, 0x100, v0
	s_xor_b32 s2, s0, vcc_lo
	s_delay_alu instid0(SALU_CYCLE_1) | instskip(SKIP_3) | instid1(SALU_CYCLE_1)
	v_cndmask_b32_e64 v1, 0, 1, s2
	global_store_b8 v2, v1, s[18:19]
	s_wait_xcnt 0x0
	s_or_b32 exec_lo, exec_lo, s1
	s_mov_b32 s1, exec_lo
	v_cmpx_gt_i32_e64 s15, v0
	s_cbranch_execz .LBB57_42
.LBB57_59:
	s_wait_loadcnt 0x0
	v_cmp_ne_u64_e32 vcc_lo, s[16:17], v[24:25]
	v_add_nc_u32_e32 v2, s20, v0
	v_add_nc_u32_e32 v0, 0x100, v0
	s_xor_b32 s2, s0, vcc_lo
	s_delay_alu instid0(SALU_CYCLE_1) | instskip(SKIP_3) | instid1(SALU_CYCLE_1)
	v_cndmask_b32_e64 v1, 0, 1, s2
	global_store_b8 v2, v1, s[18:19]
	s_wait_xcnt 0x0
	s_or_b32 exec_lo, exec_lo, s1
	s_mov_b32 s1, exec_lo
	v_cmpx_gt_i32_e64 s15, v0
	s_cbranch_execz .LBB57_43
.LBB57_60:
	s_wait_loadcnt 0x0
	v_cmp_ne_u64_e32 vcc_lo, s[16:17], v[8:9]
	v_add_nc_u32_e32 v2, s20, v0
	v_add_nc_u32_e32 v0, 0x100, v0
	s_xor_b32 s2, s0, vcc_lo
	s_delay_alu instid0(SALU_CYCLE_1) | instskip(SKIP_3) | instid1(SALU_CYCLE_1)
	v_cndmask_b32_e64 v1, 0, 1, s2
	global_store_b8 v2, v1, s[18:19]
	s_wait_xcnt 0x0
	s_or_b32 exec_lo, exec_lo, s1
	s_mov_b32 s1, exec_lo
	v_cmpx_gt_i32_e64 s15, v0
	s_cbranch_execz .LBB57_44
.LBB57_61:
	s_wait_loadcnt 0x0
	v_cmp_ne_u64_e32 vcc_lo, s[16:17], v[26:27]
	v_add_nc_u32_e32 v2, s20, v0
	v_add_nc_u32_e32 v0, 0x100, v0
	s_xor_b32 s2, s0, vcc_lo
	s_delay_alu instid0(SALU_CYCLE_1) | instskip(SKIP_3) | instid1(SALU_CYCLE_1)
	v_cndmask_b32_e64 v1, 0, 1, s2
	global_store_b8 v2, v1, s[18:19]
	s_wait_xcnt 0x0
	s_or_b32 exec_lo, exec_lo, s1
	s_mov_b32 s1, exec_lo
	v_cmpx_gt_i32_e64 s15, v0
	s_cbranch_execz .LBB57_45
.LBB57_62:
	s_wait_loadcnt 0x0
	v_cmp_ne_u64_e32 vcc_lo, s[16:17], v[10:11]
	v_add_nc_u32_e32 v2, s20, v0
	v_add_nc_u32_e32 v0, 0x100, v0
	s_xor_b32 s2, s0, vcc_lo
	s_delay_alu instid0(SALU_CYCLE_1) | instskip(SKIP_3) | instid1(SALU_CYCLE_1)
	v_cndmask_b32_e64 v1, 0, 1, s2
	global_store_b8 v2, v1, s[18:19]
	s_wait_xcnt 0x0
	s_or_b32 exec_lo, exec_lo, s1
	s_mov_b32 s1, exec_lo
	v_cmpx_gt_i32_e64 s15, v0
	s_cbranch_execz .LBB57_46
.LBB57_63:
	s_wait_loadcnt 0x0
	v_cmp_ne_u64_e32 vcc_lo, s[16:17], v[28:29]
	v_add_nc_u32_e32 v2, s20, v0
	v_add_nc_u32_e32 v0, 0x100, v0
	s_xor_b32 s2, s0, vcc_lo
	s_delay_alu instid0(SALU_CYCLE_1) | instskip(SKIP_3) | instid1(SALU_CYCLE_1)
	v_cndmask_b32_e64 v1, 0, 1, s2
	global_store_b8 v2, v1, s[18:19]
	s_wait_xcnt 0x0
	s_or_b32 exec_lo, exec_lo, s1
	s_mov_b32 s1, exec_lo
	v_cmpx_gt_i32_e64 s15, v0
	s_cbranch_execz .LBB57_47
.LBB57_64:
	s_wait_loadcnt 0x0
	v_cmp_ne_u64_e32 vcc_lo, s[16:17], v[14:15]
	v_add_nc_u32_e32 v2, s20, v0
	v_add_nc_u32_e32 v0, 0x100, v0
	s_xor_b32 s2, s0, vcc_lo
	s_delay_alu instid0(SALU_CYCLE_1) | instskip(SKIP_3) | instid1(SALU_CYCLE_1)
	v_cndmask_b32_e64 v1, 0, 1, s2
	global_store_b8 v2, v1, s[18:19]
	s_wait_xcnt 0x0
	s_or_b32 exec_lo, exec_lo, s1
	s_mov_b32 s1, exec_lo
	v_cmpx_gt_i32_e64 s15, v0
	s_cbranch_execz .LBB57_48
.LBB57_65:
	s_wait_loadcnt 0x0
	v_cmp_ne_u64_e32 vcc_lo, s[16:17], v[30:31]
	v_add_nc_u32_e32 v2, s20, v0
	v_add_nc_u32_e32 v0, 0x100, v0
	s_xor_b32 s2, s0, vcc_lo
	s_delay_alu instid0(SALU_CYCLE_1) | instskip(SKIP_3) | instid1(SALU_CYCLE_1)
	v_cndmask_b32_e64 v1, 0, 1, s2
	global_store_b8 v2, v1, s[18:19]
	s_wait_xcnt 0x0
	s_or_b32 exec_lo, exec_lo, s1
	s_mov_b32 s1, exec_lo
	v_cmpx_gt_i32_e64 s15, v0
	s_cbranch_execz .LBB57_49
.LBB57_66:
	s_wait_loadcnt 0x0
	v_cmp_ne_u64_e32 vcc_lo, s[16:17], v[18:19]
	v_add_nc_u32_e32 v2, s20, v0
	v_add_nc_u32_e32 v0, 0x100, v0
	s_xor_b32 s2, s0, vcc_lo
	s_delay_alu instid0(SALU_CYCLE_1) | instskip(SKIP_3) | instid1(SALU_CYCLE_1)
	v_cndmask_b32_e64 v1, 0, 1, s2
	global_store_b8 v2, v1, s[18:19]
	s_wait_xcnt 0x0
	s_or_b32 exec_lo, exec_lo, s1
	s_mov_b32 s1, exec_lo
	v_cmpx_gt_i32_e64 s15, v0
	s_cbranch_execz .LBB57_50
.LBB57_67:
	s_wait_loadcnt 0x0
	v_cmp_ne_u64_e32 vcc_lo, s[16:17], v[32:33]
	v_add_nc_u32_e32 v2, s20, v0
	v_add_nc_u32_e32 v0, 0x100, v0
	s_xor_b32 s2, s0, vcc_lo
	s_delay_alu instid0(SALU_CYCLE_1) | instskip(SKIP_3) | instid1(SALU_CYCLE_1)
	v_cndmask_b32_e64 v1, 0, 1, s2
	global_store_b8 v2, v1, s[18:19]
	s_wait_xcnt 0x0
	s_or_b32 exec_lo, exec_lo, s1
	s_mov_b32 s1, exec_lo
	v_cmpx_gt_i32_e64 s15, v0
	s_cbranch_execnz .LBB57_51
	s_branch .LBB57_52
	.section	.rodata,"a",@progbits
	.p2align	6, 0x0
	.amdhsa_kernel _ZN2at6native29vectorized_elementwise_kernelILi8ENS0_13AUnaryFunctorIllbNS0_12_GLOBAL__N_116CompareEqFunctorIlEEEESt5arrayIPcLm2EEEEviT0_T1_
		.amdhsa_group_segment_fixed_size 0
		.amdhsa_private_segment_fixed_size 0
		.amdhsa_kernarg_size 40
		.amdhsa_user_sgpr_count 2
		.amdhsa_user_sgpr_dispatch_ptr 0
		.amdhsa_user_sgpr_queue_ptr 0
		.amdhsa_user_sgpr_kernarg_segment_ptr 1
		.amdhsa_user_sgpr_dispatch_id 0
		.amdhsa_user_sgpr_kernarg_preload_length 0
		.amdhsa_user_sgpr_kernarg_preload_offset 0
		.amdhsa_user_sgpr_private_segment_size 0
		.amdhsa_wavefront_size32 1
		.amdhsa_uses_dynamic_stack 0
		.amdhsa_enable_private_segment 0
		.amdhsa_system_sgpr_workgroup_id_x 1
		.amdhsa_system_sgpr_workgroup_id_y 0
		.amdhsa_system_sgpr_workgroup_id_z 0
		.amdhsa_system_sgpr_workgroup_info 0
		.amdhsa_system_vgpr_workitem_id 0
		.amdhsa_next_free_vgpr 36
		.amdhsa_next_free_sgpr 27
		.amdhsa_named_barrier_count 0
		.amdhsa_reserve_vcc 1
		.amdhsa_float_round_mode_32 0
		.amdhsa_float_round_mode_16_64 0
		.amdhsa_float_denorm_mode_32 3
		.amdhsa_float_denorm_mode_16_64 3
		.amdhsa_fp16_overflow 0
		.amdhsa_memory_ordered 1
		.amdhsa_forward_progress 1
		.amdhsa_inst_pref_size 25
		.amdhsa_round_robin_scheduling 0
		.amdhsa_exception_fp_ieee_invalid_op 0
		.amdhsa_exception_fp_denorm_src 0
		.amdhsa_exception_fp_ieee_div_zero 0
		.amdhsa_exception_fp_ieee_overflow 0
		.amdhsa_exception_fp_ieee_underflow 0
		.amdhsa_exception_fp_ieee_inexact 0
		.amdhsa_exception_int_div_zero 0
	.end_amdhsa_kernel
	.section	.text._ZN2at6native29vectorized_elementwise_kernelILi8ENS0_13AUnaryFunctorIllbNS0_12_GLOBAL__N_116CompareEqFunctorIlEEEESt5arrayIPcLm2EEEEviT0_T1_,"axG",@progbits,_ZN2at6native29vectorized_elementwise_kernelILi8ENS0_13AUnaryFunctorIllbNS0_12_GLOBAL__N_116CompareEqFunctorIlEEEESt5arrayIPcLm2EEEEviT0_T1_,comdat
.Lfunc_end57:
	.size	_ZN2at6native29vectorized_elementwise_kernelILi8ENS0_13AUnaryFunctorIllbNS0_12_GLOBAL__N_116CompareEqFunctorIlEEEESt5arrayIPcLm2EEEEviT0_T1_, .Lfunc_end57-_ZN2at6native29vectorized_elementwise_kernelILi8ENS0_13AUnaryFunctorIllbNS0_12_GLOBAL__N_116CompareEqFunctorIlEEEESt5arrayIPcLm2EEEEviT0_T1_
                                        ; -- End function
	.set _ZN2at6native29vectorized_elementwise_kernelILi8ENS0_13AUnaryFunctorIllbNS0_12_GLOBAL__N_116CompareEqFunctorIlEEEESt5arrayIPcLm2EEEEviT0_T1_.num_vgpr, 36
	.set _ZN2at6native29vectorized_elementwise_kernelILi8ENS0_13AUnaryFunctorIllbNS0_12_GLOBAL__N_116CompareEqFunctorIlEEEESt5arrayIPcLm2EEEEviT0_T1_.num_agpr, 0
	.set _ZN2at6native29vectorized_elementwise_kernelILi8ENS0_13AUnaryFunctorIllbNS0_12_GLOBAL__N_116CompareEqFunctorIlEEEESt5arrayIPcLm2EEEEviT0_T1_.numbered_sgpr, 27
	.set _ZN2at6native29vectorized_elementwise_kernelILi8ENS0_13AUnaryFunctorIllbNS0_12_GLOBAL__N_116CompareEqFunctorIlEEEESt5arrayIPcLm2EEEEviT0_T1_.num_named_barrier, 0
	.set _ZN2at6native29vectorized_elementwise_kernelILi8ENS0_13AUnaryFunctorIllbNS0_12_GLOBAL__N_116CompareEqFunctorIlEEEESt5arrayIPcLm2EEEEviT0_T1_.private_seg_size, 0
	.set _ZN2at6native29vectorized_elementwise_kernelILi8ENS0_13AUnaryFunctorIllbNS0_12_GLOBAL__N_116CompareEqFunctorIlEEEESt5arrayIPcLm2EEEEviT0_T1_.uses_vcc, 1
	.set _ZN2at6native29vectorized_elementwise_kernelILi8ENS0_13AUnaryFunctorIllbNS0_12_GLOBAL__N_116CompareEqFunctorIlEEEESt5arrayIPcLm2EEEEviT0_T1_.uses_flat_scratch, 0
	.set _ZN2at6native29vectorized_elementwise_kernelILi8ENS0_13AUnaryFunctorIllbNS0_12_GLOBAL__N_116CompareEqFunctorIlEEEESt5arrayIPcLm2EEEEviT0_T1_.has_dyn_sized_stack, 0
	.set _ZN2at6native29vectorized_elementwise_kernelILi8ENS0_13AUnaryFunctorIllbNS0_12_GLOBAL__N_116CompareEqFunctorIlEEEESt5arrayIPcLm2EEEEviT0_T1_.has_recursion, 0
	.set _ZN2at6native29vectorized_elementwise_kernelILi8ENS0_13AUnaryFunctorIllbNS0_12_GLOBAL__N_116CompareEqFunctorIlEEEESt5arrayIPcLm2EEEEviT0_T1_.has_indirect_call, 0
	.section	.AMDGPU.csdata,"",@progbits
; Kernel info:
; codeLenInByte = 3148
; TotalNumSgprs: 29
; NumVgprs: 36
; ScratchSize: 0
; MemoryBound: 0
; FloatMode: 240
; IeeeMode: 1
; LDSByteSize: 0 bytes/workgroup (compile time only)
; SGPRBlocks: 0
; VGPRBlocks: 2
; NumSGPRsForWavesPerEU: 29
; NumVGPRsForWavesPerEU: 36
; NamedBarCnt: 0
; Occupancy: 16
; WaveLimiterHint : 1
; COMPUTE_PGM_RSRC2:SCRATCH_EN: 0
; COMPUTE_PGM_RSRC2:USER_SGPR: 2
; COMPUTE_PGM_RSRC2:TRAP_HANDLER: 0
; COMPUTE_PGM_RSRC2:TGID_X_EN: 1
; COMPUTE_PGM_RSRC2:TGID_Y_EN: 0
; COMPUTE_PGM_RSRC2:TGID_Z_EN: 0
; COMPUTE_PGM_RSRC2:TIDIG_COMP_CNT: 0
	.section	.text._ZN2at6native29vectorized_elementwise_kernelILi4ENS0_13AUnaryFunctorIllbNS0_12_GLOBAL__N_116CompareEqFunctorIlEEEESt5arrayIPcLm2EEEEviT0_T1_,"axG",@progbits,_ZN2at6native29vectorized_elementwise_kernelILi4ENS0_13AUnaryFunctorIllbNS0_12_GLOBAL__N_116CompareEqFunctorIlEEEESt5arrayIPcLm2EEEEviT0_T1_,comdat
	.globl	_ZN2at6native29vectorized_elementwise_kernelILi4ENS0_13AUnaryFunctorIllbNS0_12_GLOBAL__N_116CompareEqFunctorIlEEEESt5arrayIPcLm2EEEEviT0_T1_ ; -- Begin function _ZN2at6native29vectorized_elementwise_kernelILi4ENS0_13AUnaryFunctorIllbNS0_12_GLOBAL__N_116CompareEqFunctorIlEEEESt5arrayIPcLm2EEEEviT0_T1_
	.p2align	8
	.type	_ZN2at6native29vectorized_elementwise_kernelILi4ENS0_13AUnaryFunctorIllbNS0_12_GLOBAL__N_116CompareEqFunctorIlEEEESt5arrayIPcLm2EEEEviT0_T1_,@function
_ZN2at6native29vectorized_elementwise_kernelILi4ENS0_13AUnaryFunctorIllbNS0_12_GLOBAL__N_116CompareEqFunctorIlEEEESt5arrayIPcLm2EEEEviT0_T1_: ; @_ZN2at6native29vectorized_elementwise_kernelILi4ENS0_13AUnaryFunctorIllbNS0_12_GLOBAL__N_116CompareEqFunctorIlEEEESt5arrayIPcLm2EEEEviT0_T1_
; %bb.0:
	s_clause 0x3
	s_load_b32 s2, s[0:1], 0x0
	s_load_b32 s24, s[0:1], 0x8
	s_load_b128 s[16:19], s[0:1], 0x10
	s_load_b64 s[22:23], s[0:1], 0x20
	s_wait_xcnt 0x0
	s_bfe_u32 s0, ttmp6, 0x4000c
	s_and_b32 s1, ttmp6, 15
	s_add_co_i32 s0, s0, 1
	s_getreg_b32 s3, hwreg(HW_REG_IB_STS2, 6, 4)
	s_mul_i32 s0, ttmp9, s0
	s_delay_alu instid0(SALU_CYCLE_1) | instskip(SKIP_2) | instid1(SALU_CYCLE_1)
	s_add_co_i32 s1, s1, s0
	s_cmp_eq_u32 s3, 0
	s_cselect_b32 s0, ttmp9, s1
	s_lshl_b32 s20, s0, 12
	s_mov_b32 s0, -1
	s_wait_kmcnt 0x0
	s_sub_co_i32 s15, s2, s20
	s_delay_alu instid0(SALU_CYCLE_1)
	s_cmp_gt_i32 s15, 0xfff
	s_cbranch_scc0 .LBB58_2
; %bb.1:
	s_ashr_i32 s21, s20, 31
	v_lshlrev_b32_e32 v1, 5, v0
	s_lshl_b64 s[0:1], s[20:21], 3
	s_cmp_eq_u32 s24, 0
	s_add_nc_u64 s[0:1], s[22:23], s[0:1]
	s_cselect_b32 s25, -1, 0
	s_clause 0x7
	global_load_b128 v[2:5], v1, s[0:1]
	global_load_b128 v[6:9], v1, s[0:1] offset:16
	global_load_b128 v[10:13], v1, s[0:1] offset:8192
	;; [unrolled: 1-line block ×7, first 2 shown]
	s_wait_loadcnt 0x7
	s_wait_xcnt 0x0
	v_cmp_ne_u64_e64 s0, s[16:17], v[4:5]
	s_wait_loadcnt 0x6
	v_cmp_ne_u64_e64 s1, s[16:17], v[6:7]
	v_cmp_ne_u64_e64 s2, s[16:17], v[8:9]
	s_wait_loadcnt 0x5
	v_cmp_ne_u64_e64 s3, s[16:17], v[10:11]
	v_cmp_ne_u64_e64 s4, s[16:17], v[12:13]
	v_cmp_ne_u64_e32 vcc_lo, s[16:17], v[2:3]
	s_wait_loadcnt 0x4
	v_cmp_ne_u64_e64 s5, s[16:17], v[14:15]
	s_xor_b32 s0, s25, s0
	v_cmp_ne_u64_e64 s6, s[16:17], v[16:17]
	v_cndmask_b32_e64 v2, 0, 0x100, s0
	s_xor_b32 s0, s25, s1
	s_wait_loadcnt 0x3
	v_cmp_ne_u64_e64 s7, s[16:17], v[18:19]
	v_cndmask_b32_e64 v3, 0, 0x10000, s0
	s_xor_b32 s0, s25, s2
	v_cmp_ne_u64_e64 s8, s[16:17], v[20:21]
	v_cndmask_b32_e64 v4, 0, 0x1000000, s0
	s_xor_b32 s0, s25, s3
	s_wait_loadcnt 0x2
	v_cmp_ne_u64_e64 s9, s[16:17], v[22:23]
	v_cndmask_b32_e64 v5, 0, 1, s0
	s_xor_b32 s0, s25, s4
	v_cmp_ne_u64_e64 s10, s[16:17], v[24:25]
	v_cndmask_b32_e64 v6, 0, 0x100, s0
	s_xor_b32 s0, s25, s5
	s_wait_loadcnt 0x1
	v_cmp_ne_u64_e64 s11, s[16:17], v[26:27]
	v_cndmask_b32_e64 v7, 0, 0x10000, s0
	s_xor_b32 s0, s25, s6
	v_cmp_ne_u64_e64 s12, s[16:17], v[28:29]
	v_cndmask_b32_e64 v8, 0, 0x1000000, s0
	s_xor_b32 s0, s25, s7
	s_wait_loadcnt 0x0
	v_cmp_ne_u64_e64 s13, s[16:17], v[30:31]
	v_cndmask_b32_e64 v9, 0, 1, s0
	s_xor_b32 s0, s25, s8
	s_xor_b32 s26, s25, vcc_lo
	v_cndmask_b32_e64 v10, 0, 0x100, s0
	s_xor_b32 s0, s25, s9
	v_cmp_ne_u64_e64 s14, s[16:17], v[32:33]
	v_cndmask_b32_e64 v11, 0, 0x10000, s0
	s_xor_b32 s0, s25, s10
	v_cndmask_b32_e64 v1, 0, 1, s26
	v_cndmask_b32_e64 v12, 0, 0x1000000, s0
	s_xor_b32 s0, s25, s11
	s_add_nc_u64 s[2:3], s[18:19], s[20:21]
	v_cndmask_b32_e64 v13, 0, 1, s0
	s_xor_b32 s0, s25, s12
	v_or_b32_e32 v1, v2, v1
	v_cndmask_b32_e64 v14, 0, 0x100, s0
	s_xor_b32 s0, s25, s13
	v_or_b32_e32 v2, v6, v5
	;; [unrolled: 3-line block ×3, first 2 shown]
	v_cndmask_b32_e64 v16, 0, 0x1000000, s0
	v_or_b32_e32 v6, v14, v13
	v_or3_b32 v1, v1, v3, v4
	v_or3_b32 v2, v2, v7, v8
	;; [unrolled: 1-line block ×3, first 2 shown]
	s_mov_b32 s0, 0
	v_or3_b32 v4, v6, v15, v16
	s_clause 0x3
	global_store_b32 v0, v1, s[2:3] scale_offset
	global_store_b32 v0, v2, s[2:3] offset:1024 scale_offset
	global_store_b32 v0, v3, s[2:3] offset:2048 scale_offset
	;; [unrolled: 1-line block ×3, first 2 shown]
.LBB58_2:
	s_and_not1_b32 vcc_lo, exec_lo, s0
	s_cbranch_vccnz .LBB58_52
; %bb.3:
	s_wait_xcnt 0x1
	v_mov_b64_e32 v[2:3], 0
	v_mov_b64_e32 v[12:13], 0
	v_cmp_gt_i32_e32 vcc_lo, s15, v0
	v_dual_mov_b32 v35, v0 :: v_dual_bitop2_b32 v1, s20, v0 bitop3:0x54
	v_or_b32_e32 v34, 0x100, v0
	s_wait_xcnt 0x0
	s_and_saveexec_b32 s0, vcc_lo
	s_cbranch_execz .LBB58_5
; %bb.4:
	global_load_b64 v[12:13], v1, s[22:23] scale_offset
	v_or_b32_e32 v35, 0x100, v0
.LBB58_5:
	s_wait_xcnt 0x0
	s_or_b32 exec_lo, exec_lo, s0
	s_delay_alu instid0(SALU_CYCLE_1) | instskip(NEXT) | instid1(VALU_DEP_1)
	s_mov_b32 s1, exec_lo
	v_cmpx_gt_i32_e64 s15, v35
	s_cbranch_execz .LBB58_7
; %bb.6:
	v_add_nc_u32_e32 v2, s20, v35
	v_add_nc_u32_e32 v35, 0x100, v35
	global_load_b64 v[2:3], v2, s[22:23] scale_offset
.LBB58_7:
	s_wait_xcnt 0x0
	s_or_b32 exec_lo, exec_lo, s1
	v_mov_b64_e32 v[4:5], 0
	v_mov_b64_e32 v[16:17], 0
	s_mov_b32 s1, exec_lo
	v_cmpx_gt_i32_e64 s15, v35
	s_cbranch_execz .LBB58_9
; %bb.8:
	v_add_nc_u32_e32 v6, s20, v35
	v_add_nc_u32_e32 v35, 0x100, v35
	global_load_b64 v[16:17], v6, s[22:23] scale_offset
.LBB58_9:
	s_wait_xcnt 0x0
	s_or_b32 exec_lo, exec_lo, s1
	s_delay_alu instid0(SALU_CYCLE_1)
	s_mov_b32 s1, exec_lo
	v_cmpx_gt_i32_e64 s15, v35
	s_cbranch_execz .LBB58_11
; %bb.10:
	v_add_nc_u32_e32 v4, s20, v35
	v_add_nc_u32_e32 v35, 0x100, v35
	global_load_b64 v[4:5], v4, s[22:23] scale_offset
.LBB58_11:
	s_wait_xcnt 0x0
	s_or_b32 exec_lo, exec_lo, s1
	v_mov_b64_e32 v[6:7], 0
	v_mov_b64_e32 v[20:21], 0
	s_mov_b32 s1, exec_lo
	v_cmpx_gt_i32_e64 s15, v35
	s_cbranch_execz .LBB58_13
; %bb.12:
	v_add_nc_u32_e32 v8, s20, v35
	v_add_nc_u32_e32 v35, 0x100, v35
	global_load_b64 v[20:21], v8, s[22:23] scale_offset
.LBB58_13:
	s_wait_xcnt 0x0
	s_or_b32 exec_lo, exec_lo, s1
	s_delay_alu instid0(SALU_CYCLE_1)
	;; [unrolled: 23-line block ×7, first 2 shown]
	s_mov_b32 s1, exec_lo
	v_cmpx_gt_i32_e64 s15, v35
	s_cbranch_execz .LBB58_35
; %bb.34:
	v_add_nc_u32_e32 v22, s20, v35
	global_load_b64 v[22:23], v22, s[22:23] scale_offset
.LBB58_35:
	s_wait_xcnt 0x0
	s_or_b32 exec_lo, exec_lo, s1
	s_cmp_eq_u32 s24, 0
	s_cselect_b32 s0, -1, 0
	s_and_saveexec_b32 s1, vcc_lo
	s_cbranch_execnz .LBB58_53
; %bb.36:
	s_or_b32 exec_lo, exec_lo, s1
	s_delay_alu instid0(SALU_CYCLE_1)
	s_mov_b32 s1, exec_lo
	v_cmpx_gt_i32_e64 s15, v0
	s_cbranch_execnz .LBB58_54
.LBB58_37:
	s_or_b32 exec_lo, exec_lo, s1
	s_delay_alu instid0(SALU_CYCLE_1)
	s_mov_b32 s1, exec_lo
	v_cmpx_gt_i32_e64 s15, v0
	s_cbranch_execnz .LBB58_55
.LBB58_38:
	s_or_b32 exec_lo, exec_lo, s1
	s_delay_alu instid0(SALU_CYCLE_1)
	s_mov_b32 s1, exec_lo
	v_cmpx_gt_i32_e64 s15, v0
	s_cbranch_execnz .LBB58_56
.LBB58_39:
	s_or_b32 exec_lo, exec_lo, s1
	s_delay_alu instid0(SALU_CYCLE_1)
	s_mov_b32 s1, exec_lo
	v_cmpx_gt_i32_e64 s15, v0
	s_cbranch_execnz .LBB58_57
.LBB58_40:
	s_or_b32 exec_lo, exec_lo, s1
	s_delay_alu instid0(SALU_CYCLE_1)
	s_mov_b32 s1, exec_lo
	v_cmpx_gt_i32_e64 s15, v0
	s_cbranch_execnz .LBB58_58
.LBB58_41:
	s_or_b32 exec_lo, exec_lo, s1
	s_delay_alu instid0(SALU_CYCLE_1)
	s_mov_b32 s1, exec_lo
	v_cmpx_gt_i32_e64 s15, v0
	s_cbranch_execnz .LBB58_59
.LBB58_42:
	s_or_b32 exec_lo, exec_lo, s1
	s_delay_alu instid0(SALU_CYCLE_1)
	s_mov_b32 s1, exec_lo
	v_cmpx_gt_i32_e64 s15, v0
	s_cbranch_execnz .LBB58_60
.LBB58_43:
	s_or_b32 exec_lo, exec_lo, s1
	s_delay_alu instid0(SALU_CYCLE_1)
	s_mov_b32 s1, exec_lo
	v_cmpx_gt_i32_e64 s15, v0
	s_cbranch_execnz .LBB58_61
.LBB58_44:
	s_or_b32 exec_lo, exec_lo, s1
	s_delay_alu instid0(SALU_CYCLE_1)
	s_mov_b32 s1, exec_lo
	v_cmpx_gt_i32_e64 s15, v0
	s_cbranch_execnz .LBB58_62
.LBB58_45:
	s_or_b32 exec_lo, exec_lo, s1
	s_delay_alu instid0(SALU_CYCLE_1)
	s_mov_b32 s1, exec_lo
	v_cmpx_gt_i32_e64 s15, v0
	s_cbranch_execnz .LBB58_63
.LBB58_46:
	s_or_b32 exec_lo, exec_lo, s1
	s_delay_alu instid0(SALU_CYCLE_1)
	s_mov_b32 s1, exec_lo
	v_cmpx_gt_i32_e64 s15, v0
	s_cbranch_execnz .LBB58_64
.LBB58_47:
	s_or_b32 exec_lo, exec_lo, s1
	s_delay_alu instid0(SALU_CYCLE_1)
	s_mov_b32 s1, exec_lo
	v_cmpx_gt_i32_e64 s15, v0
	s_cbranch_execnz .LBB58_65
.LBB58_48:
	s_or_b32 exec_lo, exec_lo, s1
	s_delay_alu instid0(SALU_CYCLE_1)
	s_mov_b32 s1, exec_lo
	v_cmpx_gt_i32_e64 s15, v0
	s_cbranch_execnz .LBB58_66
.LBB58_49:
	s_or_b32 exec_lo, exec_lo, s1
	s_delay_alu instid0(SALU_CYCLE_1)
	s_mov_b32 s1, exec_lo
	v_cmpx_gt_i32_e64 s15, v0
	s_cbranch_execnz .LBB58_67
.LBB58_50:
	s_or_b32 exec_lo, exec_lo, s1
	s_delay_alu instid0(SALU_CYCLE_1)
	s_mov_b32 s1, exec_lo
	v_cmpx_gt_i32_e64 s15, v0
	s_cbranch_execz .LBB58_52
.LBB58_51:
	s_wait_loadcnt 0x0
	v_cmp_ne_u64_e32 vcc_lo, s[16:17], v[22:23]
	v_add_nc_u32_e32 v0, s20, v0
	s_xor_b32 s0, s0, vcc_lo
	s_delay_alu instid0(SALU_CYCLE_1)
	v_cndmask_b32_e64 v1, 0, 1, s0
	global_store_b8 v0, v1, s[18:19]
.LBB58_52:
	s_endpgm
.LBB58_53:
	s_wait_loadcnt 0x0
	v_cmp_ne_u64_e32 vcc_lo, s[16:17], v[12:13]
	v_mov_b32_e32 v0, v34
	s_xor_b32 s2, s0, vcc_lo
	s_delay_alu instid0(SALU_CYCLE_1) | instskip(SKIP_3) | instid1(SALU_CYCLE_1)
	v_cndmask_b32_e64 v12, 0, 1, s2
	global_store_b8 v1, v12, s[18:19]
	s_wait_xcnt 0x0
	s_or_b32 exec_lo, exec_lo, s1
	s_mov_b32 s1, exec_lo
	v_cmpx_gt_i32_e64 s15, v0
	s_cbranch_execz .LBB58_37
.LBB58_54:
	s_wait_loadcnt 0x0
	v_cmp_ne_u64_e32 vcc_lo, s[16:17], v[2:3]
	v_add_nc_u32_e32 v2, s20, v0
	v_add_nc_u32_e32 v0, 0x100, v0
	s_xor_b32 s2, s0, vcc_lo
	s_delay_alu instid0(SALU_CYCLE_1) | instskip(SKIP_3) | instid1(SALU_CYCLE_1)
	v_cndmask_b32_e64 v1, 0, 1, s2
	global_store_b8 v2, v1, s[18:19]
	s_wait_xcnt 0x0
	s_or_b32 exec_lo, exec_lo, s1
	s_mov_b32 s1, exec_lo
	v_cmpx_gt_i32_e64 s15, v0
	s_cbranch_execz .LBB58_38
.LBB58_55:
	s_wait_loadcnt 0x0
	v_cmp_ne_u64_e32 vcc_lo, s[16:17], v[16:17]
	v_add_nc_u32_e32 v2, s20, v0
	v_add_nc_u32_e32 v0, 0x100, v0
	s_xor_b32 s2, s0, vcc_lo
	s_delay_alu instid0(SALU_CYCLE_1) | instskip(SKIP_3) | instid1(SALU_CYCLE_1)
	v_cndmask_b32_e64 v1, 0, 1, s2
	global_store_b8 v2, v1, s[18:19]
	s_wait_xcnt 0x0
	s_or_b32 exec_lo, exec_lo, s1
	s_mov_b32 s1, exec_lo
	v_cmpx_gt_i32_e64 s15, v0
	s_cbranch_execz .LBB58_39
.LBB58_56:
	s_wait_loadcnt 0x0
	v_cmp_ne_u64_e32 vcc_lo, s[16:17], v[4:5]
	v_add_nc_u32_e32 v2, s20, v0
	v_add_nc_u32_e32 v0, 0x100, v0
	s_xor_b32 s2, s0, vcc_lo
	s_delay_alu instid0(SALU_CYCLE_1) | instskip(SKIP_3) | instid1(SALU_CYCLE_1)
	v_cndmask_b32_e64 v1, 0, 1, s2
	global_store_b8 v2, v1, s[18:19]
	s_wait_xcnt 0x0
	s_or_b32 exec_lo, exec_lo, s1
	s_mov_b32 s1, exec_lo
	v_cmpx_gt_i32_e64 s15, v0
	s_cbranch_execz .LBB58_40
.LBB58_57:
	s_wait_loadcnt 0x0
	v_cmp_ne_u64_e32 vcc_lo, s[16:17], v[20:21]
	v_add_nc_u32_e32 v2, s20, v0
	v_add_nc_u32_e32 v0, 0x100, v0
	s_xor_b32 s2, s0, vcc_lo
	s_delay_alu instid0(SALU_CYCLE_1) | instskip(SKIP_3) | instid1(SALU_CYCLE_1)
	v_cndmask_b32_e64 v1, 0, 1, s2
	global_store_b8 v2, v1, s[18:19]
	s_wait_xcnt 0x0
	s_or_b32 exec_lo, exec_lo, s1
	s_mov_b32 s1, exec_lo
	v_cmpx_gt_i32_e64 s15, v0
	s_cbranch_execz .LBB58_41
.LBB58_58:
	s_wait_loadcnt 0x0
	v_cmp_ne_u64_e32 vcc_lo, s[16:17], v[6:7]
	v_add_nc_u32_e32 v2, s20, v0
	v_add_nc_u32_e32 v0, 0x100, v0
	s_xor_b32 s2, s0, vcc_lo
	s_delay_alu instid0(SALU_CYCLE_1) | instskip(SKIP_3) | instid1(SALU_CYCLE_1)
	v_cndmask_b32_e64 v1, 0, 1, s2
	global_store_b8 v2, v1, s[18:19]
	s_wait_xcnt 0x0
	s_or_b32 exec_lo, exec_lo, s1
	s_mov_b32 s1, exec_lo
	v_cmpx_gt_i32_e64 s15, v0
	s_cbranch_execz .LBB58_42
.LBB58_59:
	s_wait_loadcnt 0x0
	v_cmp_ne_u64_e32 vcc_lo, s[16:17], v[24:25]
	v_add_nc_u32_e32 v2, s20, v0
	v_add_nc_u32_e32 v0, 0x100, v0
	s_xor_b32 s2, s0, vcc_lo
	s_delay_alu instid0(SALU_CYCLE_1) | instskip(SKIP_3) | instid1(SALU_CYCLE_1)
	v_cndmask_b32_e64 v1, 0, 1, s2
	global_store_b8 v2, v1, s[18:19]
	s_wait_xcnt 0x0
	s_or_b32 exec_lo, exec_lo, s1
	s_mov_b32 s1, exec_lo
	v_cmpx_gt_i32_e64 s15, v0
	s_cbranch_execz .LBB58_43
.LBB58_60:
	s_wait_loadcnt 0x0
	v_cmp_ne_u64_e32 vcc_lo, s[16:17], v[8:9]
	v_add_nc_u32_e32 v2, s20, v0
	v_add_nc_u32_e32 v0, 0x100, v0
	s_xor_b32 s2, s0, vcc_lo
	s_delay_alu instid0(SALU_CYCLE_1) | instskip(SKIP_3) | instid1(SALU_CYCLE_1)
	v_cndmask_b32_e64 v1, 0, 1, s2
	global_store_b8 v2, v1, s[18:19]
	s_wait_xcnt 0x0
	s_or_b32 exec_lo, exec_lo, s1
	s_mov_b32 s1, exec_lo
	v_cmpx_gt_i32_e64 s15, v0
	s_cbranch_execz .LBB58_44
.LBB58_61:
	s_wait_loadcnt 0x0
	v_cmp_ne_u64_e32 vcc_lo, s[16:17], v[26:27]
	v_add_nc_u32_e32 v2, s20, v0
	v_add_nc_u32_e32 v0, 0x100, v0
	s_xor_b32 s2, s0, vcc_lo
	s_delay_alu instid0(SALU_CYCLE_1) | instskip(SKIP_3) | instid1(SALU_CYCLE_1)
	v_cndmask_b32_e64 v1, 0, 1, s2
	global_store_b8 v2, v1, s[18:19]
	s_wait_xcnt 0x0
	s_or_b32 exec_lo, exec_lo, s1
	s_mov_b32 s1, exec_lo
	v_cmpx_gt_i32_e64 s15, v0
	s_cbranch_execz .LBB58_45
.LBB58_62:
	s_wait_loadcnt 0x0
	v_cmp_ne_u64_e32 vcc_lo, s[16:17], v[10:11]
	v_add_nc_u32_e32 v2, s20, v0
	v_add_nc_u32_e32 v0, 0x100, v0
	s_xor_b32 s2, s0, vcc_lo
	s_delay_alu instid0(SALU_CYCLE_1) | instskip(SKIP_3) | instid1(SALU_CYCLE_1)
	v_cndmask_b32_e64 v1, 0, 1, s2
	global_store_b8 v2, v1, s[18:19]
	s_wait_xcnt 0x0
	s_or_b32 exec_lo, exec_lo, s1
	s_mov_b32 s1, exec_lo
	v_cmpx_gt_i32_e64 s15, v0
	s_cbranch_execz .LBB58_46
.LBB58_63:
	s_wait_loadcnt 0x0
	v_cmp_ne_u64_e32 vcc_lo, s[16:17], v[28:29]
	v_add_nc_u32_e32 v2, s20, v0
	v_add_nc_u32_e32 v0, 0x100, v0
	s_xor_b32 s2, s0, vcc_lo
	s_delay_alu instid0(SALU_CYCLE_1) | instskip(SKIP_3) | instid1(SALU_CYCLE_1)
	v_cndmask_b32_e64 v1, 0, 1, s2
	global_store_b8 v2, v1, s[18:19]
	s_wait_xcnt 0x0
	s_or_b32 exec_lo, exec_lo, s1
	s_mov_b32 s1, exec_lo
	v_cmpx_gt_i32_e64 s15, v0
	s_cbranch_execz .LBB58_47
.LBB58_64:
	s_wait_loadcnt 0x0
	v_cmp_ne_u64_e32 vcc_lo, s[16:17], v[14:15]
	v_add_nc_u32_e32 v2, s20, v0
	v_add_nc_u32_e32 v0, 0x100, v0
	s_xor_b32 s2, s0, vcc_lo
	s_delay_alu instid0(SALU_CYCLE_1) | instskip(SKIP_3) | instid1(SALU_CYCLE_1)
	v_cndmask_b32_e64 v1, 0, 1, s2
	global_store_b8 v2, v1, s[18:19]
	s_wait_xcnt 0x0
	s_or_b32 exec_lo, exec_lo, s1
	s_mov_b32 s1, exec_lo
	v_cmpx_gt_i32_e64 s15, v0
	s_cbranch_execz .LBB58_48
.LBB58_65:
	s_wait_loadcnt 0x0
	v_cmp_ne_u64_e32 vcc_lo, s[16:17], v[30:31]
	v_add_nc_u32_e32 v2, s20, v0
	v_add_nc_u32_e32 v0, 0x100, v0
	s_xor_b32 s2, s0, vcc_lo
	s_delay_alu instid0(SALU_CYCLE_1) | instskip(SKIP_3) | instid1(SALU_CYCLE_1)
	v_cndmask_b32_e64 v1, 0, 1, s2
	global_store_b8 v2, v1, s[18:19]
	s_wait_xcnt 0x0
	s_or_b32 exec_lo, exec_lo, s1
	s_mov_b32 s1, exec_lo
	v_cmpx_gt_i32_e64 s15, v0
	s_cbranch_execz .LBB58_49
.LBB58_66:
	s_wait_loadcnt 0x0
	v_cmp_ne_u64_e32 vcc_lo, s[16:17], v[18:19]
	v_add_nc_u32_e32 v2, s20, v0
	v_add_nc_u32_e32 v0, 0x100, v0
	s_xor_b32 s2, s0, vcc_lo
	s_delay_alu instid0(SALU_CYCLE_1) | instskip(SKIP_3) | instid1(SALU_CYCLE_1)
	v_cndmask_b32_e64 v1, 0, 1, s2
	global_store_b8 v2, v1, s[18:19]
	s_wait_xcnt 0x0
	s_or_b32 exec_lo, exec_lo, s1
	s_mov_b32 s1, exec_lo
	v_cmpx_gt_i32_e64 s15, v0
	s_cbranch_execz .LBB58_50
.LBB58_67:
	s_wait_loadcnt 0x0
	v_cmp_ne_u64_e32 vcc_lo, s[16:17], v[32:33]
	v_add_nc_u32_e32 v2, s20, v0
	v_add_nc_u32_e32 v0, 0x100, v0
	s_xor_b32 s2, s0, vcc_lo
	s_delay_alu instid0(SALU_CYCLE_1) | instskip(SKIP_3) | instid1(SALU_CYCLE_1)
	v_cndmask_b32_e64 v1, 0, 1, s2
	global_store_b8 v2, v1, s[18:19]
	s_wait_xcnt 0x0
	s_or_b32 exec_lo, exec_lo, s1
	s_mov_b32 s1, exec_lo
	v_cmpx_gt_i32_e64 s15, v0
	s_cbranch_execnz .LBB58_51
	s_branch .LBB58_52
	.section	.rodata,"a",@progbits
	.p2align	6, 0x0
	.amdhsa_kernel _ZN2at6native29vectorized_elementwise_kernelILi4ENS0_13AUnaryFunctorIllbNS0_12_GLOBAL__N_116CompareEqFunctorIlEEEESt5arrayIPcLm2EEEEviT0_T1_
		.amdhsa_group_segment_fixed_size 0
		.amdhsa_private_segment_fixed_size 0
		.amdhsa_kernarg_size 40
		.amdhsa_user_sgpr_count 2
		.amdhsa_user_sgpr_dispatch_ptr 0
		.amdhsa_user_sgpr_queue_ptr 0
		.amdhsa_user_sgpr_kernarg_segment_ptr 1
		.amdhsa_user_sgpr_dispatch_id 0
		.amdhsa_user_sgpr_kernarg_preload_length 0
		.amdhsa_user_sgpr_kernarg_preload_offset 0
		.amdhsa_user_sgpr_private_segment_size 0
		.amdhsa_wavefront_size32 1
		.amdhsa_uses_dynamic_stack 0
		.amdhsa_enable_private_segment 0
		.amdhsa_system_sgpr_workgroup_id_x 1
		.amdhsa_system_sgpr_workgroup_id_y 0
		.amdhsa_system_sgpr_workgroup_id_z 0
		.amdhsa_system_sgpr_workgroup_info 0
		.amdhsa_system_vgpr_workitem_id 0
		.amdhsa_next_free_vgpr 36
		.amdhsa_next_free_sgpr 27
		.amdhsa_named_barrier_count 0
		.amdhsa_reserve_vcc 1
		.amdhsa_float_round_mode_32 0
		.amdhsa_float_round_mode_16_64 0
		.amdhsa_float_denorm_mode_32 3
		.amdhsa_float_denorm_mode_16_64 3
		.amdhsa_fp16_overflow 0
		.amdhsa_memory_ordered 1
		.amdhsa_forward_progress 1
		.amdhsa_inst_pref_size 25
		.amdhsa_round_robin_scheduling 0
		.amdhsa_exception_fp_ieee_invalid_op 0
		.amdhsa_exception_fp_denorm_src 0
		.amdhsa_exception_fp_ieee_div_zero 0
		.amdhsa_exception_fp_ieee_overflow 0
		.amdhsa_exception_fp_ieee_underflow 0
		.amdhsa_exception_fp_ieee_inexact 0
		.amdhsa_exception_int_div_zero 0
	.end_amdhsa_kernel
	.section	.text._ZN2at6native29vectorized_elementwise_kernelILi4ENS0_13AUnaryFunctorIllbNS0_12_GLOBAL__N_116CompareEqFunctorIlEEEESt5arrayIPcLm2EEEEviT0_T1_,"axG",@progbits,_ZN2at6native29vectorized_elementwise_kernelILi4ENS0_13AUnaryFunctorIllbNS0_12_GLOBAL__N_116CompareEqFunctorIlEEEESt5arrayIPcLm2EEEEviT0_T1_,comdat
.Lfunc_end58:
	.size	_ZN2at6native29vectorized_elementwise_kernelILi4ENS0_13AUnaryFunctorIllbNS0_12_GLOBAL__N_116CompareEqFunctorIlEEEESt5arrayIPcLm2EEEEviT0_T1_, .Lfunc_end58-_ZN2at6native29vectorized_elementwise_kernelILi4ENS0_13AUnaryFunctorIllbNS0_12_GLOBAL__N_116CompareEqFunctorIlEEEESt5arrayIPcLm2EEEEviT0_T1_
                                        ; -- End function
	.set _ZN2at6native29vectorized_elementwise_kernelILi4ENS0_13AUnaryFunctorIllbNS0_12_GLOBAL__N_116CompareEqFunctorIlEEEESt5arrayIPcLm2EEEEviT0_T1_.num_vgpr, 36
	.set _ZN2at6native29vectorized_elementwise_kernelILi4ENS0_13AUnaryFunctorIllbNS0_12_GLOBAL__N_116CompareEqFunctorIlEEEESt5arrayIPcLm2EEEEviT0_T1_.num_agpr, 0
	.set _ZN2at6native29vectorized_elementwise_kernelILi4ENS0_13AUnaryFunctorIllbNS0_12_GLOBAL__N_116CompareEqFunctorIlEEEESt5arrayIPcLm2EEEEviT0_T1_.numbered_sgpr, 27
	.set _ZN2at6native29vectorized_elementwise_kernelILi4ENS0_13AUnaryFunctorIllbNS0_12_GLOBAL__N_116CompareEqFunctorIlEEEESt5arrayIPcLm2EEEEviT0_T1_.num_named_barrier, 0
	.set _ZN2at6native29vectorized_elementwise_kernelILi4ENS0_13AUnaryFunctorIllbNS0_12_GLOBAL__N_116CompareEqFunctorIlEEEESt5arrayIPcLm2EEEEviT0_T1_.private_seg_size, 0
	.set _ZN2at6native29vectorized_elementwise_kernelILi4ENS0_13AUnaryFunctorIllbNS0_12_GLOBAL__N_116CompareEqFunctorIlEEEESt5arrayIPcLm2EEEEviT0_T1_.uses_vcc, 1
	.set _ZN2at6native29vectorized_elementwise_kernelILi4ENS0_13AUnaryFunctorIllbNS0_12_GLOBAL__N_116CompareEqFunctorIlEEEESt5arrayIPcLm2EEEEviT0_T1_.uses_flat_scratch, 0
	.set _ZN2at6native29vectorized_elementwise_kernelILi4ENS0_13AUnaryFunctorIllbNS0_12_GLOBAL__N_116CompareEqFunctorIlEEEESt5arrayIPcLm2EEEEviT0_T1_.has_dyn_sized_stack, 0
	.set _ZN2at6native29vectorized_elementwise_kernelILi4ENS0_13AUnaryFunctorIllbNS0_12_GLOBAL__N_116CompareEqFunctorIlEEEESt5arrayIPcLm2EEEEviT0_T1_.has_recursion, 0
	.set _ZN2at6native29vectorized_elementwise_kernelILi4ENS0_13AUnaryFunctorIllbNS0_12_GLOBAL__N_116CompareEqFunctorIlEEEESt5arrayIPcLm2EEEEviT0_T1_.has_indirect_call, 0
	.section	.AMDGPU.csdata,"",@progbits
; Kernel info:
; codeLenInByte = 3124
; TotalNumSgprs: 29
; NumVgprs: 36
; ScratchSize: 0
; MemoryBound: 0
; FloatMode: 240
; IeeeMode: 1
; LDSByteSize: 0 bytes/workgroup (compile time only)
; SGPRBlocks: 0
; VGPRBlocks: 2
; NumSGPRsForWavesPerEU: 29
; NumVGPRsForWavesPerEU: 36
; NamedBarCnt: 0
; Occupancy: 16
; WaveLimiterHint : 1
; COMPUTE_PGM_RSRC2:SCRATCH_EN: 0
; COMPUTE_PGM_RSRC2:USER_SGPR: 2
; COMPUTE_PGM_RSRC2:TRAP_HANDLER: 0
; COMPUTE_PGM_RSRC2:TGID_X_EN: 1
; COMPUTE_PGM_RSRC2:TGID_Y_EN: 0
; COMPUTE_PGM_RSRC2:TGID_Z_EN: 0
; COMPUTE_PGM_RSRC2:TIDIG_COMP_CNT: 0
	.section	.text._ZN2at6native29vectorized_elementwise_kernelILi2ENS0_13AUnaryFunctorIllbNS0_12_GLOBAL__N_116CompareEqFunctorIlEEEESt5arrayIPcLm2EEEEviT0_T1_,"axG",@progbits,_ZN2at6native29vectorized_elementwise_kernelILi2ENS0_13AUnaryFunctorIllbNS0_12_GLOBAL__N_116CompareEqFunctorIlEEEESt5arrayIPcLm2EEEEviT0_T1_,comdat
	.globl	_ZN2at6native29vectorized_elementwise_kernelILi2ENS0_13AUnaryFunctorIllbNS0_12_GLOBAL__N_116CompareEqFunctorIlEEEESt5arrayIPcLm2EEEEviT0_T1_ ; -- Begin function _ZN2at6native29vectorized_elementwise_kernelILi2ENS0_13AUnaryFunctorIllbNS0_12_GLOBAL__N_116CompareEqFunctorIlEEEESt5arrayIPcLm2EEEEviT0_T1_
	.p2align	8
	.type	_ZN2at6native29vectorized_elementwise_kernelILi2ENS0_13AUnaryFunctorIllbNS0_12_GLOBAL__N_116CompareEqFunctorIlEEEESt5arrayIPcLm2EEEEviT0_T1_,@function
_ZN2at6native29vectorized_elementwise_kernelILi2ENS0_13AUnaryFunctorIllbNS0_12_GLOBAL__N_116CompareEqFunctorIlEEEESt5arrayIPcLm2EEEEviT0_T1_: ; @_ZN2at6native29vectorized_elementwise_kernelILi2ENS0_13AUnaryFunctorIllbNS0_12_GLOBAL__N_116CompareEqFunctorIlEEEESt5arrayIPcLm2EEEEviT0_T1_
; %bb.0:
	s_clause 0x3
	s_load_b32 s2, s[0:1], 0x0
	s_load_b32 s24, s[0:1], 0x8
	s_load_b128 s[16:19], s[0:1], 0x10
	s_load_b64 s[22:23], s[0:1], 0x20
	s_wait_xcnt 0x0
	s_bfe_u32 s0, ttmp6, 0x4000c
	s_and_b32 s1, ttmp6, 15
	s_add_co_i32 s0, s0, 1
	s_getreg_b32 s3, hwreg(HW_REG_IB_STS2, 6, 4)
	s_mul_i32 s0, ttmp9, s0
	s_mov_b32 s25, -1
	s_add_co_i32 s1, s1, s0
	s_cmp_eq_u32 s3, 0
	s_cselect_b32 s0, ttmp9, s1
	s_delay_alu instid0(SALU_CYCLE_1) | instskip(SKIP_2) | instid1(SALU_CYCLE_1)
	s_lshl_b32 s20, s0, 12
	s_wait_kmcnt 0x0
	s_sub_co_i32 s15, s2, s20
	s_cmp_gt_i32 s15, 0xfff
	s_cbranch_scc0 .LBB59_2
; %bb.1:
	s_ashr_i32 s21, s20, 31
	s_mov_b32 s25, 0
	s_lshl_b64 s[0:1], s[20:21], 3
	s_cmp_eq_u32 s24, 0
	s_add_nc_u64 s[0:1], s[22:23], s[0:1]
	s_add_nc_u64 s[26:27], s[18:19], s[20:21]
	s_clause 0x7
	global_load_b128 v[2:5], v0, s[0:1] scale_offset
	global_load_b128 v[6:9], v0, s[0:1] offset:4096 scale_offset
	global_load_b128 v[10:13], v0, s[0:1] offset:8192 scale_offset
	;; [unrolled: 1-line block ×7, first 2 shown]
	s_cselect_b32 s21, -1, 0
	s_wait_loadcnt 0x7
	s_wait_xcnt 0x0
	v_cmp_ne_u64_e64 s0, s[16:17], v[4:5]
	s_wait_loadcnt 0x6
	v_cmp_ne_u64_e64 s1, s[16:17], v[6:7]
	v_cmp_ne_u64_e64 s2, s[16:17], v[8:9]
	s_wait_loadcnt 0x5
	v_cmp_ne_u64_e64 s3, s[16:17], v[10:11]
	v_cmp_ne_u64_e64 s4, s[16:17], v[12:13]
	v_cmp_ne_u64_e32 vcc_lo, s[16:17], v[2:3]
	s_wait_loadcnt 0x4
	v_cmp_ne_u64_e64 s5, s[16:17], v[14:15]
	s_xor_b32 s0, s21, s0
	v_cmp_ne_u64_e64 s6, s[16:17], v[16:17]
	v_cndmask_b32_e64 v2, 0, 0x100, s0
	s_xor_b32 s0, s21, s1
	s_wait_loadcnt 0x3
	v_cmp_ne_u64_e64 s7, s[16:17], v[18:19]
	v_cndmask_b32_e64 v3, 0, 1, s0
	s_xor_b32 s0, s21, s2
	v_cmp_ne_u64_e64 s8, s[16:17], v[20:21]
	v_cndmask_b32_e64 v4, 0, 0x100, s0
	s_xor_b32 s0, s21, s3
	s_wait_loadcnt 0x2
	v_cmp_ne_u64_e64 s9, s[16:17], v[22:23]
	v_cndmask_b32_e64 v5, 0, 1, s0
	;; [unrolled: 7-line block ×4, first 2 shown]
	s_xor_b32 s0, s21, s8
	v_cmp_ne_u64_e64 s14, s[16:17], v[32:33]
	v_cndmask_b32_e64 v10, 0, 0x100, s0
	s_xor_b32 s0, s21, s9
	s_xor_b32 s28, s21, vcc_lo
	v_cndmask_b32_e64 v11, 0, 1, s0
	s_xor_b32 s0, s21, s10
	v_cndmask_b32_e64 v1, 0, 1, s28
	v_cndmask_b32_e64 v12, 0, 0x100, s0
	s_xor_b32 s0, s21, s11
	s_delay_alu instid0(SALU_CYCLE_1)
	v_cndmask_b32_e64 v13, 0, 1, s0
	s_xor_b32 s0, s21, s12
	v_or_b32_e32 v1, v2, v1
	v_cndmask_b32_e64 v14, 0, 0x100, s0
	s_xor_b32 s0, s21, s13
	v_or_b32_e32 v2, v4, v3
	;; [unrolled: 3-line block ×3, first 2 shown]
	v_cndmask_b32_e64 v16, 0, 0x100, s0
	v_or_b32_e32 v4, v8, v7
	v_or_b32_e32 v5, v10, v9
	;; [unrolled: 1-line block ×5, first 2 shown]
	s_clause 0x7
	global_store_b16 v0, v1, s[26:27] scale_offset
	global_store_b16 v0, v2, s[26:27] offset:512 scale_offset
	global_store_b16 v0, v3, s[26:27] offset:1024 scale_offset
	;; [unrolled: 1-line block ×7, first 2 shown]
.LBB59_2:
	s_and_not1_b32 vcc_lo, exec_lo, s25
	s_cbranch_vccnz .LBB59_52
; %bb.3:
	s_wait_xcnt 0x5
	v_mov_b64_e32 v[2:3], 0
	v_mov_b64_e32 v[12:13], 0
	v_cmp_gt_i32_e32 vcc_lo, s15, v0
	v_dual_mov_b32 v35, v0 :: v_dual_bitop2_b32 v1, s20, v0 bitop3:0x54
	v_or_b32_e32 v34, 0x100, v0
	s_wait_xcnt 0x0
	s_and_saveexec_b32 s0, vcc_lo
	s_cbranch_execz .LBB59_5
; %bb.4:
	global_load_b64 v[12:13], v1, s[22:23] scale_offset
	v_or_b32_e32 v35, 0x100, v0
.LBB59_5:
	s_wait_xcnt 0x0
	s_or_b32 exec_lo, exec_lo, s0
	s_delay_alu instid0(SALU_CYCLE_1) | instskip(NEXT) | instid1(VALU_DEP_1)
	s_mov_b32 s1, exec_lo
	v_cmpx_gt_i32_e64 s15, v35
	s_cbranch_execz .LBB59_7
; %bb.6:
	v_add_nc_u32_e32 v2, s20, v35
	v_add_nc_u32_e32 v35, 0x100, v35
	global_load_b64 v[2:3], v2, s[22:23] scale_offset
.LBB59_7:
	s_wait_xcnt 0x0
	s_or_b32 exec_lo, exec_lo, s1
	v_mov_b64_e32 v[4:5], 0
	v_mov_b64_e32 v[16:17], 0
	s_mov_b32 s1, exec_lo
	v_cmpx_gt_i32_e64 s15, v35
	s_cbranch_execz .LBB59_9
; %bb.8:
	v_add_nc_u32_e32 v6, s20, v35
	v_add_nc_u32_e32 v35, 0x100, v35
	global_load_b64 v[16:17], v6, s[22:23] scale_offset
.LBB59_9:
	s_wait_xcnt 0x0
	s_or_b32 exec_lo, exec_lo, s1
	s_delay_alu instid0(SALU_CYCLE_1)
	s_mov_b32 s1, exec_lo
	v_cmpx_gt_i32_e64 s15, v35
	s_cbranch_execz .LBB59_11
; %bb.10:
	v_add_nc_u32_e32 v4, s20, v35
	v_add_nc_u32_e32 v35, 0x100, v35
	global_load_b64 v[4:5], v4, s[22:23] scale_offset
.LBB59_11:
	s_wait_xcnt 0x0
	s_or_b32 exec_lo, exec_lo, s1
	v_mov_b64_e32 v[6:7], 0
	v_mov_b64_e32 v[20:21], 0
	s_mov_b32 s1, exec_lo
	v_cmpx_gt_i32_e64 s15, v35
	s_cbranch_execz .LBB59_13
; %bb.12:
	v_add_nc_u32_e32 v8, s20, v35
	v_add_nc_u32_e32 v35, 0x100, v35
	global_load_b64 v[20:21], v8, s[22:23] scale_offset
.LBB59_13:
	s_wait_xcnt 0x0
	s_or_b32 exec_lo, exec_lo, s1
	s_delay_alu instid0(SALU_CYCLE_1)
	;; [unrolled: 23-line block ×7, first 2 shown]
	s_mov_b32 s1, exec_lo
	v_cmpx_gt_i32_e64 s15, v35
	s_cbranch_execz .LBB59_35
; %bb.34:
	v_add_nc_u32_e32 v22, s20, v35
	global_load_b64 v[22:23], v22, s[22:23] scale_offset
.LBB59_35:
	s_wait_xcnt 0x0
	s_or_b32 exec_lo, exec_lo, s1
	s_cmp_eq_u32 s24, 0
	s_cselect_b32 s0, -1, 0
	s_and_saveexec_b32 s1, vcc_lo
	s_cbranch_execnz .LBB59_53
; %bb.36:
	s_or_b32 exec_lo, exec_lo, s1
	s_delay_alu instid0(SALU_CYCLE_1)
	s_mov_b32 s1, exec_lo
	v_cmpx_gt_i32_e64 s15, v0
	s_cbranch_execnz .LBB59_54
.LBB59_37:
	s_or_b32 exec_lo, exec_lo, s1
	s_delay_alu instid0(SALU_CYCLE_1)
	s_mov_b32 s1, exec_lo
	v_cmpx_gt_i32_e64 s15, v0
	s_cbranch_execnz .LBB59_55
.LBB59_38:
	s_or_b32 exec_lo, exec_lo, s1
	s_delay_alu instid0(SALU_CYCLE_1)
	s_mov_b32 s1, exec_lo
	v_cmpx_gt_i32_e64 s15, v0
	s_cbranch_execnz .LBB59_56
.LBB59_39:
	s_or_b32 exec_lo, exec_lo, s1
	s_delay_alu instid0(SALU_CYCLE_1)
	s_mov_b32 s1, exec_lo
	v_cmpx_gt_i32_e64 s15, v0
	s_cbranch_execnz .LBB59_57
.LBB59_40:
	s_or_b32 exec_lo, exec_lo, s1
	s_delay_alu instid0(SALU_CYCLE_1)
	s_mov_b32 s1, exec_lo
	v_cmpx_gt_i32_e64 s15, v0
	s_cbranch_execnz .LBB59_58
.LBB59_41:
	s_or_b32 exec_lo, exec_lo, s1
	s_delay_alu instid0(SALU_CYCLE_1)
	s_mov_b32 s1, exec_lo
	v_cmpx_gt_i32_e64 s15, v0
	s_cbranch_execnz .LBB59_59
.LBB59_42:
	s_or_b32 exec_lo, exec_lo, s1
	s_delay_alu instid0(SALU_CYCLE_1)
	s_mov_b32 s1, exec_lo
	v_cmpx_gt_i32_e64 s15, v0
	s_cbranch_execnz .LBB59_60
.LBB59_43:
	s_or_b32 exec_lo, exec_lo, s1
	s_delay_alu instid0(SALU_CYCLE_1)
	s_mov_b32 s1, exec_lo
	v_cmpx_gt_i32_e64 s15, v0
	s_cbranch_execnz .LBB59_61
.LBB59_44:
	s_or_b32 exec_lo, exec_lo, s1
	s_delay_alu instid0(SALU_CYCLE_1)
	s_mov_b32 s1, exec_lo
	v_cmpx_gt_i32_e64 s15, v0
	s_cbranch_execnz .LBB59_62
.LBB59_45:
	s_or_b32 exec_lo, exec_lo, s1
	s_delay_alu instid0(SALU_CYCLE_1)
	s_mov_b32 s1, exec_lo
	v_cmpx_gt_i32_e64 s15, v0
	s_cbranch_execnz .LBB59_63
.LBB59_46:
	s_or_b32 exec_lo, exec_lo, s1
	s_delay_alu instid0(SALU_CYCLE_1)
	s_mov_b32 s1, exec_lo
	v_cmpx_gt_i32_e64 s15, v0
	s_cbranch_execnz .LBB59_64
.LBB59_47:
	s_or_b32 exec_lo, exec_lo, s1
	s_delay_alu instid0(SALU_CYCLE_1)
	s_mov_b32 s1, exec_lo
	v_cmpx_gt_i32_e64 s15, v0
	s_cbranch_execnz .LBB59_65
.LBB59_48:
	s_or_b32 exec_lo, exec_lo, s1
	s_delay_alu instid0(SALU_CYCLE_1)
	s_mov_b32 s1, exec_lo
	v_cmpx_gt_i32_e64 s15, v0
	s_cbranch_execnz .LBB59_66
.LBB59_49:
	s_or_b32 exec_lo, exec_lo, s1
	s_delay_alu instid0(SALU_CYCLE_1)
	s_mov_b32 s1, exec_lo
	v_cmpx_gt_i32_e64 s15, v0
	s_cbranch_execnz .LBB59_67
.LBB59_50:
	s_or_b32 exec_lo, exec_lo, s1
	s_delay_alu instid0(SALU_CYCLE_1)
	s_mov_b32 s1, exec_lo
	v_cmpx_gt_i32_e64 s15, v0
	s_cbranch_execz .LBB59_52
.LBB59_51:
	s_wait_loadcnt 0x0
	v_cmp_ne_u64_e32 vcc_lo, s[16:17], v[22:23]
	v_add_nc_u32_e32 v0, s20, v0
	s_xor_b32 s0, s0, vcc_lo
	s_delay_alu instid0(SALU_CYCLE_1)
	v_cndmask_b32_e64 v1, 0, 1, s0
	global_store_b8 v0, v1, s[18:19]
.LBB59_52:
	s_endpgm
.LBB59_53:
	s_wait_loadcnt 0x0
	v_cmp_ne_u64_e32 vcc_lo, s[16:17], v[12:13]
	v_mov_b32_e32 v0, v34
	s_xor_b32 s2, s0, vcc_lo
	s_delay_alu instid0(SALU_CYCLE_1) | instskip(SKIP_3) | instid1(SALU_CYCLE_1)
	v_cndmask_b32_e64 v12, 0, 1, s2
	global_store_b8 v1, v12, s[18:19]
	s_wait_xcnt 0x0
	s_or_b32 exec_lo, exec_lo, s1
	s_mov_b32 s1, exec_lo
	v_cmpx_gt_i32_e64 s15, v0
	s_cbranch_execz .LBB59_37
.LBB59_54:
	s_wait_loadcnt 0x0
	v_cmp_ne_u64_e32 vcc_lo, s[16:17], v[2:3]
	v_add_nc_u32_e32 v2, s20, v0
	v_add_nc_u32_e32 v0, 0x100, v0
	s_xor_b32 s2, s0, vcc_lo
	s_delay_alu instid0(SALU_CYCLE_1) | instskip(SKIP_3) | instid1(SALU_CYCLE_1)
	v_cndmask_b32_e64 v1, 0, 1, s2
	global_store_b8 v2, v1, s[18:19]
	s_wait_xcnt 0x0
	s_or_b32 exec_lo, exec_lo, s1
	s_mov_b32 s1, exec_lo
	v_cmpx_gt_i32_e64 s15, v0
	s_cbranch_execz .LBB59_38
.LBB59_55:
	s_wait_loadcnt 0x0
	v_cmp_ne_u64_e32 vcc_lo, s[16:17], v[16:17]
	v_add_nc_u32_e32 v2, s20, v0
	v_add_nc_u32_e32 v0, 0x100, v0
	s_xor_b32 s2, s0, vcc_lo
	s_delay_alu instid0(SALU_CYCLE_1) | instskip(SKIP_3) | instid1(SALU_CYCLE_1)
	v_cndmask_b32_e64 v1, 0, 1, s2
	global_store_b8 v2, v1, s[18:19]
	s_wait_xcnt 0x0
	s_or_b32 exec_lo, exec_lo, s1
	s_mov_b32 s1, exec_lo
	v_cmpx_gt_i32_e64 s15, v0
	s_cbranch_execz .LBB59_39
.LBB59_56:
	s_wait_loadcnt 0x0
	v_cmp_ne_u64_e32 vcc_lo, s[16:17], v[4:5]
	v_add_nc_u32_e32 v2, s20, v0
	v_add_nc_u32_e32 v0, 0x100, v0
	s_xor_b32 s2, s0, vcc_lo
	s_delay_alu instid0(SALU_CYCLE_1) | instskip(SKIP_3) | instid1(SALU_CYCLE_1)
	v_cndmask_b32_e64 v1, 0, 1, s2
	global_store_b8 v2, v1, s[18:19]
	s_wait_xcnt 0x0
	s_or_b32 exec_lo, exec_lo, s1
	s_mov_b32 s1, exec_lo
	v_cmpx_gt_i32_e64 s15, v0
	s_cbranch_execz .LBB59_40
.LBB59_57:
	s_wait_loadcnt 0x0
	v_cmp_ne_u64_e32 vcc_lo, s[16:17], v[20:21]
	v_add_nc_u32_e32 v2, s20, v0
	v_add_nc_u32_e32 v0, 0x100, v0
	s_xor_b32 s2, s0, vcc_lo
	s_delay_alu instid0(SALU_CYCLE_1) | instskip(SKIP_3) | instid1(SALU_CYCLE_1)
	v_cndmask_b32_e64 v1, 0, 1, s2
	global_store_b8 v2, v1, s[18:19]
	s_wait_xcnt 0x0
	s_or_b32 exec_lo, exec_lo, s1
	s_mov_b32 s1, exec_lo
	v_cmpx_gt_i32_e64 s15, v0
	s_cbranch_execz .LBB59_41
.LBB59_58:
	s_wait_loadcnt 0x0
	v_cmp_ne_u64_e32 vcc_lo, s[16:17], v[6:7]
	v_add_nc_u32_e32 v2, s20, v0
	v_add_nc_u32_e32 v0, 0x100, v0
	s_xor_b32 s2, s0, vcc_lo
	s_delay_alu instid0(SALU_CYCLE_1) | instskip(SKIP_3) | instid1(SALU_CYCLE_1)
	v_cndmask_b32_e64 v1, 0, 1, s2
	global_store_b8 v2, v1, s[18:19]
	s_wait_xcnt 0x0
	s_or_b32 exec_lo, exec_lo, s1
	s_mov_b32 s1, exec_lo
	v_cmpx_gt_i32_e64 s15, v0
	s_cbranch_execz .LBB59_42
.LBB59_59:
	s_wait_loadcnt 0x0
	v_cmp_ne_u64_e32 vcc_lo, s[16:17], v[24:25]
	v_add_nc_u32_e32 v2, s20, v0
	v_add_nc_u32_e32 v0, 0x100, v0
	s_xor_b32 s2, s0, vcc_lo
	s_delay_alu instid0(SALU_CYCLE_1) | instskip(SKIP_3) | instid1(SALU_CYCLE_1)
	v_cndmask_b32_e64 v1, 0, 1, s2
	global_store_b8 v2, v1, s[18:19]
	s_wait_xcnt 0x0
	s_or_b32 exec_lo, exec_lo, s1
	s_mov_b32 s1, exec_lo
	v_cmpx_gt_i32_e64 s15, v0
	s_cbranch_execz .LBB59_43
.LBB59_60:
	s_wait_loadcnt 0x0
	v_cmp_ne_u64_e32 vcc_lo, s[16:17], v[8:9]
	v_add_nc_u32_e32 v2, s20, v0
	v_add_nc_u32_e32 v0, 0x100, v0
	s_xor_b32 s2, s0, vcc_lo
	s_delay_alu instid0(SALU_CYCLE_1) | instskip(SKIP_3) | instid1(SALU_CYCLE_1)
	v_cndmask_b32_e64 v1, 0, 1, s2
	global_store_b8 v2, v1, s[18:19]
	s_wait_xcnt 0x0
	s_or_b32 exec_lo, exec_lo, s1
	s_mov_b32 s1, exec_lo
	v_cmpx_gt_i32_e64 s15, v0
	s_cbranch_execz .LBB59_44
.LBB59_61:
	s_wait_loadcnt 0x0
	v_cmp_ne_u64_e32 vcc_lo, s[16:17], v[26:27]
	v_add_nc_u32_e32 v2, s20, v0
	v_add_nc_u32_e32 v0, 0x100, v0
	s_xor_b32 s2, s0, vcc_lo
	s_delay_alu instid0(SALU_CYCLE_1) | instskip(SKIP_3) | instid1(SALU_CYCLE_1)
	v_cndmask_b32_e64 v1, 0, 1, s2
	global_store_b8 v2, v1, s[18:19]
	s_wait_xcnt 0x0
	s_or_b32 exec_lo, exec_lo, s1
	s_mov_b32 s1, exec_lo
	v_cmpx_gt_i32_e64 s15, v0
	s_cbranch_execz .LBB59_45
.LBB59_62:
	s_wait_loadcnt 0x0
	v_cmp_ne_u64_e32 vcc_lo, s[16:17], v[10:11]
	v_add_nc_u32_e32 v2, s20, v0
	v_add_nc_u32_e32 v0, 0x100, v0
	s_xor_b32 s2, s0, vcc_lo
	s_delay_alu instid0(SALU_CYCLE_1) | instskip(SKIP_3) | instid1(SALU_CYCLE_1)
	v_cndmask_b32_e64 v1, 0, 1, s2
	global_store_b8 v2, v1, s[18:19]
	s_wait_xcnt 0x0
	s_or_b32 exec_lo, exec_lo, s1
	s_mov_b32 s1, exec_lo
	v_cmpx_gt_i32_e64 s15, v0
	s_cbranch_execz .LBB59_46
.LBB59_63:
	s_wait_loadcnt 0x0
	v_cmp_ne_u64_e32 vcc_lo, s[16:17], v[28:29]
	v_add_nc_u32_e32 v2, s20, v0
	v_add_nc_u32_e32 v0, 0x100, v0
	s_xor_b32 s2, s0, vcc_lo
	s_delay_alu instid0(SALU_CYCLE_1) | instskip(SKIP_3) | instid1(SALU_CYCLE_1)
	v_cndmask_b32_e64 v1, 0, 1, s2
	global_store_b8 v2, v1, s[18:19]
	s_wait_xcnt 0x0
	s_or_b32 exec_lo, exec_lo, s1
	s_mov_b32 s1, exec_lo
	v_cmpx_gt_i32_e64 s15, v0
	s_cbranch_execz .LBB59_47
.LBB59_64:
	s_wait_loadcnt 0x0
	v_cmp_ne_u64_e32 vcc_lo, s[16:17], v[14:15]
	v_add_nc_u32_e32 v2, s20, v0
	v_add_nc_u32_e32 v0, 0x100, v0
	s_xor_b32 s2, s0, vcc_lo
	s_delay_alu instid0(SALU_CYCLE_1) | instskip(SKIP_3) | instid1(SALU_CYCLE_1)
	v_cndmask_b32_e64 v1, 0, 1, s2
	global_store_b8 v2, v1, s[18:19]
	s_wait_xcnt 0x0
	s_or_b32 exec_lo, exec_lo, s1
	s_mov_b32 s1, exec_lo
	v_cmpx_gt_i32_e64 s15, v0
	s_cbranch_execz .LBB59_48
.LBB59_65:
	s_wait_loadcnt 0x0
	v_cmp_ne_u64_e32 vcc_lo, s[16:17], v[30:31]
	v_add_nc_u32_e32 v2, s20, v0
	v_add_nc_u32_e32 v0, 0x100, v0
	s_xor_b32 s2, s0, vcc_lo
	s_delay_alu instid0(SALU_CYCLE_1) | instskip(SKIP_3) | instid1(SALU_CYCLE_1)
	v_cndmask_b32_e64 v1, 0, 1, s2
	global_store_b8 v2, v1, s[18:19]
	s_wait_xcnt 0x0
	s_or_b32 exec_lo, exec_lo, s1
	s_mov_b32 s1, exec_lo
	v_cmpx_gt_i32_e64 s15, v0
	s_cbranch_execz .LBB59_49
.LBB59_66:
	s_wait_loadcnt 0x0
	v_cmp_ne_u64_e32 vcc_lo, s[16:17], v[18:19]
	v_add_nc_u32_e32 v2, s20, v0
	v_add_nc_u32_e32 v0, 0x100, v0
	s_xor_b32 s2, s0, vcc_lo
	s_delay_alu instid0(SALU_CYCLE_1) | instskip(SKIP_3) | instid1(SALU_CYCLE_1)
	v_cndmask_b32_e64 v1, 0, 1, s2
	global_store_b8 v2, v1, s[18:19]
	s_wait_xcnt 0x0
	s_or_b32 exec_lo, exec_lo, s1
	s_mov_b32 s1, exec_lo
	v_cmpx_gt_i32_e64 s15, v0
	s_cbranch_execz .LBB59_50
.LBB59_67:
	s_wait_loadcnt 0x0
	v_cmp_ne_u64_e32 vcc_lo, s[16:17], v[32:33]
	v_add_nc_u32_e32 v2, s20, v0
	v_add_nc_u32_e32 v0, 0x100, v0
	s_xor_b32 s2, s0, vcc_lo
	s_delay_alu instid0(SALU_CYCLE_1) | instskip(SKIP_3) | instid1(SALU_CYCLE_1)
	v_cndmask_b32_e64 v1, 0, 1, s2
	global_store_b8 v2, v1, s[18:19]
	s_wait_xcnt 0x0
	s_or_b32 exec_lo, exec_lo, s1
	s_mov_b32 s1, exec_lo
	v_cmpx_gt_i32_e64 s15, v0
	s_cbranch_execnz .LBB59_51
	s_branch .LBB59_52
	.section	.rodata,"a",@progbits
	.p2align	6, 0x0
	.amdhsa_kernel _ZN2at6native29vectorized_elementwise_kernelILi2ENS0_13AUnaryFunctorIllbNS0_12_GLOBAL__N_116CompareEqFunctorIlEEEESt5arrayIPcLm2EEEEviT0_T1_
		.amdhsa_group_segment_fixed_size 0
		.amdhsa_private_segment_fixed_size 0
		.amdhsa_kernarg_size 40
		.amdhsa_user_sgpr_count 2
		.amdhsa_user_sgpr_dispatch_ptr 0
		.amdhsa_user_sgpr_queue_ptr 0
		.amdhsa_user_sgpr_kernarg_segment_ptr 1
		.amdhsa_user_sgpr_dispatch_id 0
		.amdhsa_user_sgpr_kernarg_preload_length 0
		.amdhsa_user_sgpr_kernarg_preload_offset 0
		.amdhsa_user_sgpr_private_segment_size 0
		.amdhsa_wavefront_size32 1
		.amdhsa_uses_dynamic_stack 0
		.amdhsa_enable_private_segment 0
		.amdhsa_system_sgpr_workgroup_id_x 1
		.amdhsa_system_sgpr_workgroup_id_y 0
		.amdhsa_system_sgpr_workgroup_id_z 0
		.amdhsa_system_sgpr_workgroup_info 0
		.amdhsa_system_vgpr_workitem_id 0
		.amdhsa_next_free_vgpr 36
		.amdhsa_next_free_sgpr 29
		.amdhsa_named_barrier_count 0
		.amdhsa_reserve_vcc 1
		.amdhsa_float_round_mode_32 0
		.amdhsa_float_round_mode_16_64 0
		.amdhsa_float_denorm_mode_32 3
		.amdhsa_float_denorm_mode_16_64 3
		.amdhsa_fp16_overflow 0
		.amdhsa_memory_ordered 1
		.amdhsa_forward_progress 1
		.amdhsa_inst_pref_size 25
		.amdhsa_round_robin_scheduling 0
		.amdhsa_exception_fp_ieee_invalid_op 0
		.amdhsa_exception_fp_denorm_src 0
		.amdhsa_exception_fp_ieee_div_zero 0
		.amdhsa_exception_fp_ieee_overflow 0
		.amdhsa_exception_fp_ieee_underflow 0
		.amdhsa_exception_fp_ieee_inexact 0
		.amdhsa_exception_int_div_zero 0
	.end_amdhsa_kernel
	.section	.text._ZN2at6native29vectorized_elementwise_kernelILi2ENS0_13AUnaryFunctorIllbNS0_12_GLOBAL__N_116CompareEqFunctorIlEEEESt5arrayIPcLm2EEEEviT0_T1_,"axG",@progbits,_ZN2at6native29vectorized_elementwise_kernelILi2ENS0_13AUnaryFunctorIllbNS0_12_GLOBAL__N_116CompareEqFunctorIlEEEESt5arrayIPcLm2EEEEviT0_T1_,comdat
.Lfunc_end59:
	.size	_ZN2at6native29vectorized_elementwise_kernelILi2ENS0_13AUnaryFunctorIllbNS0_12_GLOBAL__N_116CompareEqFunctorIlEEEESt5arrayIPcLm2EEEEviT0_T1_, .Lfunc_end59-_ZN2at6native29vectorized_elementwise_kernelILi2ENS0_13AUnaryFunctorIllbNS0_12_GLOBAL__N_116CompareEqFunctorIlEEEESt5arrayIPcLm2EEEEviT0_T1_
                                        ; -- End function
	.set _ZN2at6native29vectorized_elementwise_kernelILi2ENS0_13AUnaryFunctorIllbNS0_12_GLOBAL__N_116CompareEqFunctorIlEEEESt5arrayIPcLm2EEEEviT0_T1_.num_vgpr, 36
	.set _ZN2at6native29vectorized_elementwise_kernelILi2ENS0_13AUnaryFunctorIllbNS0_12_GLOBAL__N_116CompareEqFunctorIlEEEESt5arrayIPcLm2EEEEviT0_T1_.num_agpr, 0
	.set _ZN2at6native29vectorized_elementwise_kernelILi2ENS0_13AUnaryFunctorIllbNS0_12_GLOBAL__N_116CompareEqFunctorIlEEEESt5arrayIPcLm2EEEEviT0_T1_.numbered_sgpr, 29
	.set _ZN2at6native29vectorized_elementwise_kernelILi2ENS0_13AUnaryFunctorIllbNS0_12_GLOBAL__N_116CompareEqFunctorIlEEEESt5arrayIPcLm2EEEEviT0_T1_.num_named_barrier, 0
	.set _ZN2at6native29vectorized_elementwise_kernelILi2ENS0_13AUnaryFunctorIllbNS0_12_GLOBAL__N_116CompareEqFunctorIlEEEESt5arrayIPcLm2EEEEviT0_T1_.private_seg_size, 0
	.set _ZN2at6native29vectorized_elementwise_kernelILi2ENS0_13AUnaryFunctorIllbNS0_12_GLOBAL__N_116CompareEqFunctorIlEEEESt5arrayIPcLm2EEEEviT0_T1_.uses_vcc, 1
	.set _ZN2at6native29vectorized_elementwise_kernelILi2ENS0_13AUnaryFunctorIllbNS0_12_GLOBAL__N_116CompareEqFunctorIlEEEESt5arrayIPcLm2EEEEviT0_T1_.uses_flat_scratch, 0
	.set _ZN2at6native29vectorized_elementwise_kernelILi2ENS0_13AUnaryFunctorIllbNS0_12_GLOBAL__N_116CompareEqFunctorIlEEEESt5arrayIPcLm2EEEEviT0_T1_.has_dyn_sized_stack, 0
	.set _ZN2at6native29vectorized_elementwise_kernelILi2ENS0_13AUnaryFunctorIllbNS0_12_GLOBAL__N_116CompareEqFunctorIlEEEESt5arrayIPcLm2EEEEviT0_T1_.has_recursion, 0
	.set _ZN2at6native29vectorized_elementwise_kernelILi2ENS0_13AUnaryFunctorIllbNS0_12_GLOBAL__N_116CompareEqFunctorIlEEEESt5arrayIPcLm2EEEEviT0_T1_.has_indirect_call, 0
	.section	.AMDGPU.csdata,"",@progbits
; Kernel info:
; codeLenInByte = 3136
; TotalNumSgprs: 31
; NumVgprs: 36
; ScratchSize: 0
; MemoryBound: 0
; FloatMode: 240
; IeeeMode: 1
; LDSByteSize: 0 bytes/workgroup (compile time only)
; SGPRBlocks: 0
; VGPRBlocks: 2
; NumSGPRsForWavesPerEU: 31
; NumVGPRsForWavesPerEU: 36
; NamedBarCnt: 0
; Occupancy: 16
; WaveLimiterHint : 1
; COMPUTE_PGM_RSRC2:SCRATCH_EN: 0
; COMPUTE_PGM_RSRC2:USER_SGPR: 2
; COMPUTE_PGM_RSRC2:TRAP_HANDLER: 0
; COMPUTE_PGM_RSRC2:TGID_X_EN: 1
; COMPUTE_PGM_RSRC2:TGID_Y_EN: 0
; COMPUTE_PGM_RSRC2:TGID_Z_EN: 0
; COMPUTE_PGM_RSRC2:TIDIG_COMP_CNT: 0
	.section	.text._ZN2at6native27unrolled_elementwise_kernelINS0_13AUnaryFunctorIllbNS0_12_GLOBAL__N_116CompareEqFunctorIlEEEESt5arrayIPcLm2EELi4E23TrivialOffsetCalculatorILi1EjESB_NS0_6memory15LoadWithoutCastENSC_16StoreWithoutCastEEEviT_T0_T2_T3_T4_T5_,"axG",@progbits,_ZN2at6native27unrolled_elementwise_kernelINS0_13AUnaryFunctorIllbNS0_12_GLOBAL__N_116CompareEqFunctorIlEEEESt5arrayIPcLm2EELi4E23TrivialOffsetCalculatorILi1EjESB_NS0_6memory15LoadWithoutCastENSC_16StoreWithoutCastEEEviT_T0_T2_T3_T4_T5_,comdat
	.globl	_ZN2at6native27unrolled_elementwise_kernelINS0_13AUnaryFunctorIllbNS0_12_GLOBAL__N_116CompareEqFunctorIlEEEESt5arrayIPcLm2EELi4E23TrivialOffsetCalculatorILi1EjESB_NS0_6memory15LoadWithoutCastENSC_16StoreWithoutCastEEEviT_T0_T2_T3_T4_T5_ ; -- Begin function _ZN2at6native27unrolled_elementwise_kernelINS0_13AUnaryFunctorIllbNS0_12_GLOBAL__N_116CompareEqFunctorIlEEEESt5arrayIPcLm2EELi4E23TrivialOffsetCalculatorILi1EjESB_NS0_6memory15LoadWithoutCastENSC_16StoreWithoutCastEEEviT_T0_T2_T3_T4_T5_
	.p2align	8
	.type	_ZN2at6native27unrolled_elementwise_kernelINS0_13AUnaryFunctorIllbNS0_12_GLOBAL__N_116CompareEqFunctorIlEEEESt5arrayIPcLm2EELi4E23TrivialOffsetCalculatorILi1EjESB_NS0_6memory15LoadWithoutCastENSC_16StoreWithoutCastEEEviT_T0_T2_T3_T4_T5_,@function
_ZN2at6native27unrolled_elementwise_kernelINS0_13AUnaryFunctorIllbNS0_12_GLOBAL__N_116CompareEqFunctorIlEEEESt5arrayIPcLm2EELi4E23TrivialOffsetCalculatorILi1EjESB_NS0_6memory15LoadWithoutCastENSC_16StoreWithoutCastEEEviT_T0_T2_T3_T4_T5_: ; @_ZN2at6native27unrolled_elementwise_kernelINS0_13AUnaryFunctorIllbNS0_12_GLOBAL__N_116CompareEqFunctorIlEEEESt5arrayIPcLm2EELi4E23TrivialOffsetCalculatorILi1EjESB_NS0_6memory15LoadWithoutCastENSC_16StoreWithoutCastEEEviT_T0_T2_T3_T4_T5_
; %bb.0:
	s_clause 0x1
	s_load_b32 s2, s[0:1], 0x0
	s_load_b64 s[8:9], s[0:1], 0x20
	s_bfe_u32 s3, ttmp6, 0x4000c
	s_and_b32 s4, ttmp6, 15
	s_add_co_i32 s3, s3, 1
	s_getreg_b32 s5, hwreg(HW_REG_IB_STS2, 6, 4)
	s_mul_i32 s3, ttmp9, s3
	v_mov_b64_e32 v[2:3], 0
	s_add_co_i32 s4, s4, s3
	s_cmp_eq_u32 s5, 0
	v_mov_b64_e32 v[4:5], 0
	s_cselect_b32 s3, ttmp9, s4
	v_or_b32_e32 v1, 0x100, v0
	s_lshl_b32 s3, s3, 10
	s_delay_alu instid0(SALU_CYCLE_1) | instskip(SKIP_2) | instid1(SALU_CYCLE_1)
	v_dual_mov_b32 v11, v0 :: v_dual_bitop2_b32 v10, s3, v0 bitop3:0x54
	s_wait_kmcnt 0x0
	s_sub_co_i32 s10, s2, s3
	v_cmp_gt_i32_e32 vcc_lo, s10, v0
	s_and_saveexec_b32 s2, vcc_lo
	s_cbranch_execz .LBB60_2
; %bb.1:
	global_load_b64 v[4:5], v10, s[8:9] scale_offset
	v_or_b32_e32 v11, 0x100, v0
.LBB60_2:
	s_wait_xcnt 0x0
	s_or_b32 exec_lo, exec_lo, s2
	s_load_b128 s[4:7], s[0:1], 0x10
	s_mov_b32 s11, exec_lo
	v_cmpx_gt_i32_e64 s10, v11
	s_cbranch_execz .LBB60_4
; %bb.3:
	v_add_nc_u32_e32 v2, s3, v11
	v_add_nc_u32_e32 v11, 0x100, v11
	global_load_b64 v[2:3], v2, s[8:9] scale_offset
.LBB60_4:
	s_wait_xcnt 0x0
	s_or_b32 exec_lo, exec_lo, s11
	v_mov_b64_e32 v[6:7], 0
	v_mov_b64_e32 v[8:9], 0
	s_mov_b32 s11, exec_lo
	v_cmpx_gt_i32_e64 s10, v11
	s_cbranch_execz .LBB60_6
; %bb.5:
	v_add_nc_u32_e32 v8, s3, v11
	v_add_nc_u32_e32 v11, 0x100, v11
	global_load_b64 v[8:9], v8, s[8:9] scale_offset
.LBB60_6:
	s_wait_xcnt 0x0
	s_or_b32 exec_lo, exec_lo, s11
	s_load_b32 s2, s[0:1], 0x8
	s_wait_xcnt 0x0
	s_mov_b32 s1, exec_lo
	v_cmpx_gt_i32_e64 s10, v11
	s_cbranch_execz .LBB60_8
; %bb.7:
	v_add_nc_u32_e32 v6, s3, v11
	global_load_b64 v[6:7], v6, s[8:9] scale_offset
.LBB60_8:
	s_wait_xcnt 0x0
	s_or_b32 exec_lo, exec_lo, s1
	s_wait_loadcnt 0x0
	s_wait_kmcnt 0x0
	v_cmp_ne_u64_e64 s0, s[4:5], v[4:5]
	v_cmp_ne_u64_e64 s1, s[4:5], v[2:3]
	s_cmp_eq_u32 s2, 0
	s_cselect_b32 s2, -1, 0
	s_delay_alu instid0(SALU_CYCLE_1) | instskip(NEXT) | instid1(SALU_CYCLE_1)
	s_xor_b32 s0, s2, s0
	v_cndmask_b32_e64 v2, 0, 1, s0
	s_xor_b32 s0, s2, s1
	s_delay_alu instid0(SALU_CYCLE_1) | instskip(SKIP_1) | instid1(VALU_DEP_2)
	v_cndmask_b32_e64 v3, 0, 1, s0
	v_cmp_ne_u64_e64 s0, s[4:5], v[8:9]
	v_lshlrev_b16 v3, 8, v3
	s_xor_b32 s0, s2, s0
	s_delay_alu instid0(SALU_CYCLE_1) | instskip(SKIP_2) | instid1(VALU_DEP_2)
	v_cndmask_b32_e64 v4, 0, 1, s0
	v_cndmask_b32_e32 v2, 0, v2, vcc_lo
	v_cmp_gt_i32_e64 s0, s10, v1
	v_dual_lshlrev_b32 v4, 16, v4 :: v_dual_bitop2_b32 v3, v2, v3 bitop3:0x54
	s_delay_alu instid0(VALU_DEP_1) | instskip(NEXT) | instid1(VALU_DEP_1)
	v_and_b32_e32 v3, 0xffff, v3
	v_cndmask_b32_e64 v2, v2, v3, s0
	v_or_b32_e32 v3, 0x200, v0
	v_cmp_ne_u64_e64 s0, s[4:5], v[6:7]
	s_delay_alu instid0(VALU_DEP_3) | instskip(NEXT) | instid1(VALU_DEP_3)
	v_or_b32_e32 v4, v2, v4
	v_cmp_gt_i32_e64 s1, s10, v3
	s_xor_b32 s0, s2, s0
	v_cndmask_b32_e64 v2, v2, v4, s1
	v_cndmask_b32_e64 v3, 0, 1, s0
	s_delay_alu instid0(VALU_DEP_2) | instskip(NEXT) | instid1(VALU_DEP_2)
	v_lshrrev_b32_e32 v4, 16, v2
	v_lshlrev_b16 v3, 8, v3
	s_delay_alu instid0(VALU_DEP_1) | instskip(SKIP_1) | instid1(VALU_DEP_2)
	v_bitop3_b16 v3, v4, v3, 0xff bitop3:0xec
	v_or_b32_e32 v4, 0x300, v0
	v_lshlrev_b32_e32 v3, 16, v3
	s_delay_alu instid0(VALU_DEP_2) | instskip(NEXT) | instid1(VALU_DEP_2)
	v_cmp_gt_i32_e64 s0, s10, v4
	v_and_or_b32 v3, 0xffff, v2, v3
	s_delay_alu instid0(VALU_DEP_1)
	v_cndmask_b32_e64 v2, v2, v3, s0
	s_and_saveexec_b32 s0, vcc_lo
	s_cbranch_execnz .LBB60_13
; %bb.9:
	s_or_b32 exec_lo, exec_lo, s0
	s_delay_alu instid0(SALU_CYCLE_1)
	s_mov_b32 s0, exec_lo
	v_cmpx_gt_i32_e64 s10, v0
	s_cbranch_execnz .LBB60_14
.LBB60_10:
	s_or_b32 exec_lo, exec_lo, s0
	s_delay_alu instid0(SALU_CYCLE_1)
	s_mov_b32 s0, exec_lo
	v_cmpx_gt_i32_e64 s10, v0
	s_cbranch_execnz .LBB60_15
.LBB60_11:
	s_or_b32 exec_lo, exec_lo, s0
	s_delay_alu instid0(SALU_CYCLE_1)
	s_mov_b32 s0, exec_lo
	v_cmpx_gt_i32_e64 s10, v0
	s_cbranch_execnz .LBB60_16
.LBB60_12:
	s_endpgm
.LBB60_13:
	v_mov_b32_e32 v0, v1
	global_store_b8 v10, v2, s[6:7]
	s_wait_xcnt 0x0
	s_or_b32 exec_lo, exec_lo, s0
	s_delay_alu instid0(SALU_CYCLE_1)
	s_mov_b32 s0, exec_lo
	v_cmpx_gt_i32_e64 s10, v0
	s_cbranch_execz .LBB60_10
.LBB60_14:
	v_add_nc_u32_e32 v1, 0x100, v0
	v_dual_add_nc_u32 v3, s3, v0 :: v_dual_lshrrev_b32 v4, 8, v2
	s_delay_alu instid0(VALU_DEP_2) | instskip(SKIP_3) | instid1(SALU_CYCLE_1)
	v_mov_b32_e32 v0, v1
	global_store_b8 v3, v4, s[6:7]
	s_wait_xcnt 0x0
	s_or_b32 exec_lo, exec_lo, s0
	s_mov_b32 s0, exec_lo
	v_cmpx_gt_i32_e64 s10, v0
	s_cbranch_execz .LBB60_11
.LBB60_15:
	v_add_nc_u32_e32 v1, 0x100, v0
	s_delay_alu instid0(VALU_DEP_1) | instskip(SKIP_3) | instid1(SALU_CYCLE_1)
	v_dual_mov_b32 v0, v1 :: v_dual_add_nc_u32 v3, s3, v0
	global_store_d16_hi_b8 v3, v2, s[6:7]
	s_wait_xcnt 0x0
	s_or_b32 exec_lo, exec_lo, s0
	s_mov_b32 s0, exec_lo
	v_cmpx_gt_i32_e64 s10, v0
	s_cbranch_execz .LBB60_12
.LBB60_16:
	v_dual_add_nc_u32 v0, s3, v0 :: v_dual_lshrrev_b32 v1, 24, v2
	global_store_b8 v0, v1, s[6:7]
	s_endpgm
	.section	.rodata,"a",@progbits
	.p2align	6, 0x0
	.amdhsa_kernel _ZN2at6native27unrolled_elementwise_kernelINS0_13AUnaryFunctorIllbNS0_12_GLOBAL__N_116CompareEqFunctorIlEEEESt5arrayIPcLm2EELi4E23TrivialOffsetCalculatorILi1EjESB_NS0_6memory15LoadWithoutCastENSC_16StoreWithoutCastEEEviT_T0_T2_T3_T4_T5_
		.amdhsa_group_segment_fixed_size 0
		.amdhsa_private_segment_fixed_size 0
		.amdhsa_kernarg_size 44
		.amdhsa_user_sgpr_count 2
		.amdhsa_user_sgpr_dispatch_ptr 0
		.amdhsa_user_sgpr_queue_ptr 0
		.amdhsa_user_sgpr_kernarg_segment_ptr 1
		.amdhsa_user_sgpr_dispatch_id 0
		.amdhsa_user_sgpr_kernarg_preload_length 0
		.amdhsa_user_sgpr_kernarg_preload_offset 0
		.amdhsa_user_sgpr_private_segment_size 0
		.amdhsa_wavefront_size32 1
		.amdhsa_uses_dynamic_stack 0
		.amdhsa_enable_private_segment 0
		.amdhsa_system_sgpr_workgroup_id_x 1
		.amdhsa_system_sgpr_workgroup_id_y 0
		.amdhsa_system_sgpr_workgroup_id_z 0
		.amdhsa_system_sgpr_workgroup_info 0
		.amdhsa_system_vgpr_workitem_id 0
		.amdhsa_next_free_vgpr 12
		.amdhsa_next_free_sgpr 12
		.amdhsa_named_barrier_count 0
		.amdhsa_reserve_vcc 1
		.amdhsa_float_round_mode_32 0
		.amdhsa_float_round_mode_16_64 0
		.amdhsa_float_denorm_mode_32 3
		.amdhsa_float_denorm_mode_16_64 3
		.amdhsa_fp16_overflow 0
		.amdhsa_memory_ordered 1
		.amdhsa_forward_progress 1
		.amdhsa_inst_pref_size 7
		.amdhsa_round_robin_scheduling 0
		.amdhsa_exception_fp_ieee_invalid_op 0
		.amdhsa_exception_fp_denorm_src 0
		.amdhsa_exception_fp_ieee_div_zero 0
		.amdhsa_exception_fp_ieee_overflow 0
		.amdhsa_exception_fp_ieee_underflow 0
		.amdhsa_exception_fp_ieee_inexact 0
		.amdhsa_exception_int_div_zero 0
	.end_amdhsa_kernel
	.section	.text._ZN2at6native27unrolled_elementwise_kernelINS0_13AUnaryFunctorIllbNS0_12_GLOBAL__N_116CompareEqFunctorIlEEEESt5arrayIPcLm2EELi4E23TrivialOffsetCalculatorILi1EjESB_NS0_6memory15LoadWithoutCastENSC_16StoreWithoutCastEEEviT_T0_T2_T3_T4_T5_,"axG",@progbits,_ZN2at6native27unrolled_elementwise_kernelINS0_13AUnaryFunctorIllbNS0_12_GLOBAL__N_116CompareEqFunctorIlEEEESt5arrayIPcLm2EELi4E23TrivialOffsetCalculatorILi1EjESB_NS0_6memory15LoadWithoutCastENSC_16StoreWithoutCastEEEviT_T0_T2_T3_T4_T5_,comdat
.Lfunc_end60:
	.size	_ZN2at6native27unrolled_elementwise_kernelINS0_13AUnaryFunctorIllbNS0_12_GLOBAL__N_116CompareEqFunctorIlEEEESt5arrayIPcLm2EELi4E23TrivialOffsetCalculatorILi1EjESB_NS0_6memory15LoadWithoutCastENSC_16StoreWithoutCastEEEviT_T0_T2_T3_T4_T5_, .Lfunc_end60-_ZN2at6native27unrolled_elementwise_kernelINS0_13AUnaryFunctorIllbNS0_12_GLOBAL__N_116CompareEqFunctorIlEEEESt5arrayIPcLm2EELi4E23TrivialOffsetCalculatorILi1EjESB_NS0_6memory15LoadWithoutCastENSC_16StoreWithoutCastEEEviT_T0_T2_T3_T4_T5_
                                        ; -- End function
	.set _ZN2at6native27unrolled_elementwise_kernelINS0_13AUnaryFunctorIllbNS0_12_GLOBAL__N_116CompareEqFunctorIlEEEESt5arrayIPcLm2EELi4E23TrivialOffsetCalculatorILi1EjESB_NS0_6memory15LoadWithoutCastENSC_16StoreWithoutCastEEEviT_T0_T2_T3_T4_T5_.num_vgpr, 12
	.set _ZN2at6native27unrolled_elementwise_kernelINS0_13AUnaryFunctorIllbNS0_12_GLOBAL__N_116CompareEqFunctorIlEEEESt5arrayIPcLm2EELi4E23TrivialOffsetCalculatorILi1EjESB_NS0_6memory15LoadWithoutCastENSC_16StoreWithoutCastEEEviT_T0_T2_T3_T4_T5_.num_agpr, 0
	.set _ZN2at6native27unrolled_elementwise_kernelINS0_13AUnaryFunctorIllbNS0_12_GLOBAL__N_116CompareEqFunctorIlEEEESt5arrayIPcLm2EELi4E23TrivialOffsetCalculatorILi1EjESB_NS0_6memory15LoadWithoutCastENSC_16StoreWithoutCastEEEviT_T0_T2_T3_T4_T5_.numbered_sgpr, 12
	.set _ZN2at6native27unrolled_elementwise_kernelINS0_13AUnaryFunctorIllbNS0_12_GLOBAL__N_116CompareEqFunctorIlEEEESt5arrayIPcLm2EELi4E23TrivialOffsetCalculatorILi1EjESB_NS0_6memory15LoadWithoutCastENSC_16StoreWithoutCastEEEviT_T0_T2_T3_T4_T5_.num_named_barrier, 0
	.set _ZN2at6native27unrolled_elementwise_kernelINS0_13AUnaryFunctorIllbNS0_12_GLOBAL__N_116CompareEqFunctorIlEEEESt5arrayIPcLm2EELi4E23TrivialOffsetCalculatorILi1EjESB_NS0_6memory15LoadWithoutCastENSC_16StoreWithoutCastEEEviT_T0_T2_T3_T4_T5_.private_seg_size, 0
	.set _ZN2at6native27unrolled_elementwise_kernelINS0_13AUnaryFunctorIllbNS0_12_GLOBAL__N_116CompareEqFunctorIlEEEESt5arrayIPcLm2EELi4E23TrivialOffsetCalculatorILi1EjESB_NS0_6memory15LoadWithoutCastENSC_16StoreWithoutCastEEEviT_T0_T2_T3_T4_T5_.uses_vcc, 1
	.set _ZN2at6native27unrolled_elementwise_kernelINS0_13AUnaryFunctorIllbNS0_12_GLOBAL__N_116CompareEqFunctorIlEEEESt5arrayIPcLm2EELi4E23TrivialOffsetCalculatorILi1EjESB_NS0_6memory15LoadWithoutCastENSC_16StoreWithoutCastEEEviT_T0_T2_T3_T4_T5_.uses_flat_scratch, 0
	.set _ZN2at6native27unrolled_elementwise_kernelINS0_13AUnaryFunctorIllbNS0_12_GLOBAL__N_116CompareEqFunctorIlEEEESt5arrayIPcLm2EELi4E23TrivialOffsetCalculatorILi1EjESB_NS0_6memory15LoadWithoutCastENSC_16StoreWithoutCastEEEviT_T0_T2_T3_T4_T5_.has_dyn_sized_stack, 0
	.set _ZN2at6native27unrolled_elementwise_kernelINS0_13AUnaryFunctorIllbNS0_12_GLOBAL__N_116CompareEqFunctorIlEEEESt5arrayIPcLm2EELi4E23TrivialOffsetCalculatorILi1EjESB_NS0_6memory15LoadWithoutCastENSC_16StoreWithoutCastEEEviT_T0_T2_T3_T4_T5_.has_recursion, 0
	.set _ZN2at6native27unrolled_elementwise_kernelINS0_13AUnaryFunctorIllbNS0_12_GLOBAL__N_116CompareEqFunctorIlEEEESt5arrayIPcLm2EELi4E23TrivialOffsetCalculatorILi1EjESB_NS0_6memory15LoadWithoutCastENSC_16StoreWithoutCastEEEviT_T0_T2_T3_T4_T5_.has_indirect_call, 0
	.section	.AMDGPU.csdata,"",@progbits
; Kernel info:
; codeLenInByte = 852
; TotalNumSgprs: 14
; NumVgprs: 12
; ScratchSize: 0
; MemoryBound: 0
; FloatMode: 240
; IeeeMode: 1
; LDSByteSize: 0 bytes/workgroup (compile time only)
; SGPRBlocks: 0
; VGPRBlocks: 0
; NumSGPRsForWavesPerEU: 14
; NumVGPRsForWavesPerEU: 12
; NamedBarCnt: 0
; Occupancy: 16
; WaveLimiterHint : 0
; COMPUTE_PGM_RSRC2:SCRATCH_EN: 0
; COMPUTE_PGM_RSRC2:USER_SGPR: 2
; COMPUTE_PGM_RSRC2:TRAP_HANDLER: 0
; COMPUTE_PGM_RSRC2:TGID_X_EN: 1
; COMPUTE_PGM_RSRC2:TGID_Y_EN: 0
; COMPUTE_PGM_RSRC2:TGID_Z_EN: 0
; COMPUTE_PGM_RSRC2:TIDIG_COMP_CNT: 0
	.section	.text._ZN2at6native32elementwise_kernel_manual_unrollILi128ELi8EZNS0_22gpu_kernel_impl_nocastINS0_13AUnaryFunctorIllbNS0_12_GLOBAL__N_116CompareEqFunctorIlEEEEEEvRNS_18TensorIteratorBaseERKT_EUlibE_EEviT1_,"axG",@progbits,_ZN2at6native32elementwise_kernel_manual_unrollILi128ELi8EZNS0_22gpu_kernel_impl_nocastINS0_13AUnaryFunctorIllbNS0_12_GLOBAL__N_116CompareEqFunctorIlEEEEEEvRNS_18TensorIteratorBaseERKT_EUlibE_EEviT1_,comdat
	.globl	_ZN2at6native32elementwise_kernel_manual_unrollILi128ELi8EZNS0_22gpu_kernel_impl_nocastINS0_13AUnaryFunctorIllbNS0_12_GLOBAL__N_116CompareEqFunctorIlEEEEEEvRNS_18TensorIteratorBaseERKT_EUlibE_EEviT1_ ; -- Begin function _ZN2at6native32elementwise_kernel_manual_unrollILi128ELi8EZNS0_22gpu_kernel_impl_nocastINS0_13AUnaryFunctorIllbNS0_12_GLOBAL__N_116CompareEqFunctorIlEEEEEEvRNS_18TensorIteratorBaseERKT_EUlibE_EEviT1_
	.p2align	8
	.type	_ZN2at6native32elementwise_kernel_manual_unrollILi128ELi8EZNS0_22gpu_kernel_impl_nocastINS0_13AUnaryFunctorIllbNS0_12_GLOBAL__N_116CompareEqFunctorIlEEEEEEvRNS_18TensorIteratorBaseERKT_EUlibE_EEviT1_,@function
_ZN2at6native32elementwise_kernel_manual_unrollILi128ELi8EZNS0_22gpu_kernel_impl_nocastINS0_13AUnaryFunctorIllbNS0_12_GLOBAL__N_116CompareEqFunctorIlEEEEEEvRNS_18TensorIteratorBaseERKT_EUlibE_EEviT1_: ; @_ZN2at6native32elementwise_kernel_manual_unrollILi128ELi8EZNS0_22gpu_kernel_impl_nocastINS0_13AUnaryFunctorIllbNS0_12_GLOBAL__N_116CompareEqFunctorIlEEEEEEvRNS_18TensorIteratorBaseERKT_EUlibE_EEviT1_
; %bb.0:
	s_clause 0x1
	s_load_b32 s30, s[0:1], 0x8
	s_load_b32 s36, s[0:1], 0x0
	s_bfe_u32 s2, ttmp6, 0x4000c
	s_and_b32 s3, ttmp6, 15
	s_add_co_i32 s2, s2, 1
	s_getreg_b32 s4, hwreg(HW_REG_IB_STS2, 6, 4)
	s_mul_i32 s2, ttmp9, s2
	s_add_nc_u64 s[12:13], s[0:1], 8
	s_add_co_i32 s3, s3, s2
	s_cmp_eq_u32 s4, 0
	s_mov_b32 s19, 0
	s_cselect_b32 s2, ttmp9, s3
	s_wait_xcnt 0x0
	s_mov_b32 s0, exec_lo
	v_lshl_or_b32 v0, s2, 10, v0
	s_delay_alu instid0(VALU_DEP_1) | instskip(SKIP_2) | instid1(SALU_CYCLE_1)
	v_or_b32_e32 v16, 0x380, v0
	s_wait_kmcnt 0x0
	s_add_co_i32 s31, s30, -1
	s_cmp_gt_u32 s31, 1
	s_cselect_b32 s33, -1, 0
	v_cmpx_le_i32_e64 s36, v16
	s_xor_b32 s34, exec_lo, s0
	s_cbranch_execz .LBB61_7
; %bb.1:
	s_clause 0x5
	s_load_b128 s[4:7], s[12:13], 0x4
	s_load_b64 s[16:17], s[12:13], 0x14
	s_load_b32 s21, s[12:13], 0x158
	s_load_b128 s[8:11], s[12:13], 0xc4
	s_load_b128 s[0:3], s[12:13], 0x148
	s_load_b64 s[14:15], s[12:13], 0x160
	s_cmp_lg_u32 s30, 0
	s_add_nc_u64 s[22:23], s[12:13], 0xc4
	s_cselect_b32 s38, -1, 0
	s_min_u32 s37, s31, 15
	s_cmp_gt_u32 s30, 1
	s_cselect_b32 s35, -1, 0
	s_wait_kmcnt 0x0
	s_mov_b32 s18, s5
	s_mov_b32 s20, s16
	s_cmp_eq_u32 s21, 0
	s_mov_b32 s21, s19
	s_cselect_b32 s5, -1, 0
	s_mov_b32 s16, exec_lo
	v_cmpx_gt_i32_e64 s36, v0
	s_cbranch_execz .LBB61_14
; %bb.2:
	s_and_not1_b32 vcc_lo, exec_lo, s33
	s_cbranch_vccnz .LBB61_21
; %bb.3:
	s_and_not1_b32 vcc_lo, exec_lo, s38
	s_cbranch_vccnz .LBB61_129
; %bb.4:
	s_add_co_i32 s25, s37, 1
	s_cmp_eq_u32 s31, 2
	s_cbranch_scc1 .LBB61_131
; %bb.5:
	v_dual_mov_b32 v2, 0 :: v_dual_mov_b32 v3, 0
	v_mov_b32_e32 v1, v0
	s_and_b32 s24, s25, 28
	s_mov_b32 s39, 0
	s_mov_b64 s[26:27], s[12:13]
	s_mov_b64 s[28:29], s[22:23]
.LBB61_6:                               ; =>This Inner Loop Header: Depth=1
	s_clause 0x1
	s_load_b256 s[40:47], s[26:27], 0x4
	s_load_b128 s[56:59], s[26:27], 0x24
	s_load_b256 s[48:55], s[28:29], 0x0
	s_add_co_i32 s39, s39, 4
	s_wait_xcnt 0x0
	s_add_nc_u64 s[26:27], s[26:27], 48
	s_cmp_lg_u32 s24, s39
	s_add_nc_u64 s[28:29], s[28:29], 32
	s_wait_kmcnt 0x0
	v_mul_hi_u32 v4, s41, v1
	s_delay_alu instid0(VALU_DEP_1) | instskip(NEXT) | instid1(VALU_DEP_1)
	v_add_nc_u32_e32 v4, v1, v4
	v_lshrrev_b32_e32 v4, s42, v4
	s_delay_alu instid0(VALU_DEP_1) | instskip(NEXT) | instid1(VALU_DEP_1)
	v_mul_hi_u32 v5, s44, v4
	v_add_nc_u32_e32 v5, v4, v5
	s_delay_alu instid0(VALU_DEP_1) | instskip(NEXT) | instid1(VALU_DEP_1)
	v_lshrrev_b32_e32 v5, s45, v5
	v_mul_hi_u32 v6, s47, v5
	s_delay_alu instid0(VALU_DEP_1) | instskip(SKIP_1) | instid1(VALU_DEP_1)
	v_add_nc_u32_e32 v6, v5, v6
	v_mul_lo_u32 v7, v4, s40
	v_sub_nc_u32_e32 v1, v1, v7
	v_mul_lo_u32 v7, v5, s43
	s_delay_alu instid0(VALU_DEP_4) | instskip(NEXT) | instid1(VALU_DEP_3)
	v_lshrrev_b32_e32 v6, s56, v6
	v_mad_u32 v3, v1, s49, v3
	v_mad_u32 v1, v1, s48, v2
	s_delay_alu instid0(VALU_DEP_4) | instskip(NEXT) | instid1(VALU_DEP_4)
	v_sub_nc_u32_e32 v2, v4, v7
	v_mul_hi_u32 v8, s58, v6
	v_mul_lo_u32 v4, v6, s46
	s_delay_alu instid0(VALU_DEP_3) | instskip(SKIP_1) | instid1(VALU_DEP_4)
	v_mad_u32 v3, v2, s51, v3
	v_mad_u32 v2, v2, s50, v1
	v_add_nc_u32_e32 v7, v6, v8
	s_delay_alu instid0(VALU_DEP_1) | instskip(NEXT) | instid1(VALU_DEP_1)
	v_dual_sub_nc_u32 v4, v5, v4 :: v_dual_lshrrev_b32 v1, s59, v7
	v_mad_u32 v3, v4, s53, v3
	s_delay_alu instid0(VALU_DEP_4) | instskip(NEXT) | instid1(VALU_DEP_3)
	v_mad_u32 v2, v4, s52, v2
	v_mul_lo_u32 v5, v1, s57
	s_delay_alu instid0(VALU_DEP_1) | instskip(NEXT) | instid1(VALU_DEP_1)
	v_sub_nc_u32_e32 v4, v6, v5
	v_mad_u32 v3, v4, s55, v3
	s_delay_alu instid0(VALU_DEP_4)
	v_mad_u32 v2, v4, s54, v2
	s_cbranch_scc1 .LBB61_6
	s_branch .LBB61_132
.LBB61_7:
	s_and_not1_saveexec_b32 s0, s34
	s_cbranch_execz .LBB61_221
.LBB61_8:
	v_cndmask_b32_e64 v14, 0, 1, s33
	s_and_not1_b32 vcc_lo, exec_lo, s33
	s_cbranch_vccnz .LBB61_20
; %bb.9:
	s_cmp_lg_u32 s30, 0
	s_mov_b32 s6, 0
	s_cbranch_scc0 .LBB61_23
; %bb.10:
	s_min_u32 s1, s31, 15
	s_delay_alu instid0(SALU_CYCLE_1)
	s_add_co_i32 s1, s1, 1
	s_cmp_eq_u32 s31, 2
	s_cbranch_scc1 .LBB61_24
; %bb.11:
	v_dual_mov_b32 v2, 0 :: v_dual_mov_b32 v3, 0
	v_mov_b32_e32 v1, v0
	s_and_b32 s0, s1, 28
	s_add_nc_u64 s[2:3], s[12:13], 0xc4
	s_mov_b32 s7, 0
	s_mov_b64 s[4:5], s[12:13]
.LBB61_12:                              ; =>This Inner Loop Header: Depth=1
	s_clause 0x1
	s_load_b256 s[16:23], s[4:5], 0x4
	s_load_b128 s[8:11], s[4:5], 0x24
	s_load_b256 s[36:43], s[2:3], 0x0
	s_add_co_i32 s7, s7, 4
	s_wait_xcnt 0x0
	s_add_nc_u64 s[4:5], s[4:5], 48
	s_cmp_lg_u32 s0, s7
	s_add_nc_u64 s[2:3], s[2:3], 32
	s_wait_kmcnt 0x0
	v_mul_hi_u32 v4, s17, v1
	s_delay_alu instid0(VALU_DEP_1) | instskip(NEXT) | instid1(VALU_DEP_1)
	v_add_nc_u32_e32 v4, v1, v4
	v_lshrrev_b32_e32 v4, s18, v4
	s_delay_alu instid0(VALU_DEP_1) | instskip(NEXT) | instid1(VALU_DEP_1)
	v_mul_hi_u32 v5, s20, v4
	v_add_nc_u32_e32 v5, v4, v5
	s_delay_alu instid0(VALU_DEP_1) | instskip(NEXT) | instid1(VALU_DEP_1)
	v_lshrrev_b32_e32 v5, s21, v5
	v_mul_hi_u32 v6, s23, v5
	s_delay_alu instid0(VALU_DEP_1) | instskip(SKIP_1) | instid1(VALU_DEP_1)
	v_add_nc_u32_e32 v6, v5, v6
	v_mul_lo_u32 v7, v4, s16
	v_sub_nc_u32_e32 v1, v1, v7
	v_mul_lo_u32 v7, v5, s19
	s_delay_alu instid0(VALU_DEP_4) | instskip(NEXT) | instid1(VALU_DEP_3)
	v_lshrrev_b32_e32 v6, s8, v6
	v_mad_u32 v3, v1, s37, v3
	v_mad_u32 v1, v1, s36, v2
	s_delay_alu instid0(VALU_DEP_4) | instskip(NEXT) | instid1(VALU_DEP_4)
	v_sub_nc_u32_e32 v2, v4, v7
	v_mul_hi_u32 v8, s10, v6
	v_mul_lo_u32 v4, v6, s22
	s_delay_alu instid0(VALU_DEP_3) | instskip(SKIP_1) | instid1(VALU_DEP_4)
	v_mad_u32 v3, v2, s39, v3
	v_mad_u32 v2, v2, s38, v1
	v_add_nc_u32_e32 v7, v6, v8
	s_delay_alu instid0(VALU_DEP_1) | instskip(NEXT) | instid1(VALU_DEP_1)
	v_dual_sub_nc_u32 v4, v5, v4 :: v_dual_lshrrev_b32 v1, s11, v7
	v_mad_u32 v3, v4, s41, v3
	s_delay_alu instid0(VALU_DEP_4) | instskip(NEXT) | instid1(VALU_DEP_3)
	v_mad_u32 v2, v4, s40, v2
	v_mul_lo_u32 v5, v1, s9
	s_delay_alu instid0(VALU_DEP_1) | instskip(NEXT) | instid1(VALU_DEP_1)
	v_sub_nc_u32_e32 v4, v6, v5
	v_mad_u32 v3, v4, s43, v3
	s_delay_alu instid0(VALU_DEP_4)
	v_mad_u32 v2, v4, s42, v2
	s_cbranch_scc1 .LBB61_12
; %bb.13:
	s_and_b32 s4, s1, 3
	s_mov_b32 s1, 0
	s_cmp_eq_u32 s4, 0
	s_cbranch_scc0 .LBB61_25
	s_branch .LBB61_27
.LBB61_14:
	s_or_b32 exec_lo, exec_lo, s16
	s_delay_alu instid0(SALU_CYCLE_1)
	s_mov_b32 s16, exec_lo
	v_cmpx_gt_i32_e64 s36, v0
	s_cbranch_execz .LBB61_139
.LBB61_15:
	s_and_not1_b32 vcc_lo, exec_lo, s33
	s_cbranch_vccnz .LBB61_22
; %bb.16:
	s_and_not1_b32 vcc_lo, exec_lo, s38
	s_cbranch_vccnz .LBB61_130
; %bb.17:
	s_add_co_i32 s25, s37, 1
	s_cmp_eq_u32 s31, 2
	s_cbranch_scc1 .LBB61_147
; %bb.18:
	v_dual_mov_b32 v2, 0 :: v_dual_mov_b32 v3, 0
	v_mov_b32_e32 v1, v0
	s_and_b32 s24, s25, 28
	s_mov_b32 s39, 0
	s_mov_b64 s[26:27], s[12:13]
	s_mov_b64 s[28:29], s[22:23]
.LBB61_19:                              ; =>This Inner Loop Header: Depth=1
	s_clause 0x1
	s_load_b256 s[40:47], s[26:27], 0x4
	s_load_b128 s[56:59], s[26:27], 0x24
	s_load_b256 s[48:55], s[28:29], 0x0
	s_add_co_i32 s39, s39, 4
	s_wait_xcnt 0x0
	s_add_nc_u64 s[26:27], s[26:27], 48
	s_cmp_eq_u32 s24, s39
	s_add_nc_u64 s[28:29], s[28:29], 32
	s_wait_kmcnt 0x0
	v_mul_hi_u32 v4, s41, v1
	s_delay_alu instid0(VALU_DEP_1) | instskip(NEXT) | instid1(VALU_DEP_1)
	v_add_nc_u32_e32 v4, v1, v4
	v_lshrrev_b32_e32 v4, s42, v4
	s_delay_alu instid0(VALU_DEP_1) | instskip(NEXT) | instid1(VALU_DEP_1)
	v_mul_hi_u32 v5, s44, v4
	v_add_nc_u32_e32 v5, v4, v5
	s_delay_alu instid0(VALU_DEP_1) | instskip(NEXT) | instid1(VALU_DEP_1)
	v_lshrrev_b32_e32 v5, s45, v5
	v_mul_hi_u32 v6, s47, v5
	s_delay_alu instid0(VALU_DEP_1) | instskip(SKIP_1) | instid1(VALU_DEP_1)
	v_add_nc_u32_e32 v6, v5, v6
	v_mul_lo_u32 v7, v4, s40
	v_sub_nc_u32_e32 v1, v1, v7
	v_mul_lo_u32 v7, v5, s43
	s_delay_alu instid0(VALU_DEP_4) | instskip(NEXT) | instid1(VALU_DEP_3)
	v_lshrrev_b32_e32 v6, s56, v6
	v_mad_u32 v3, v1, s49, v3
	v_mad_u32 v1, v1, s48, v2
	s_delay_alu instid0(VALU_DEP_4) | instskip(NEXT) | instid1(VALU_DEP_4)
	v_sub_nc_u32_e32 v2, v4, v7
	v_mul_hi_u32 v8, s58, v6
	v_mul_lo_u32 v4, v6, s46
	s_delay_alu instid0(VALU_DEP_3) | instskip(SKIP_1) | instid1(VALU_DEP_4)
	v_mad_u32 v3, v2, s51, v3
	v_mad_u32 v2, v2, s50, v1
	v_add_nc_u32_e32 v7, v6, v8
	s_delay_alu instid0(VALU_DEP_1) | instskip(NEXT) | instid1(VALU_DEP_1)
	v_dual_sub_nc_u32 v4, v5, v4 :: v_dual_lshrrev_b32 v1, s59, v7
	v_mad_u32 v3, v4, s53, v3
	s_delay_alu instid0(VALU_DEP_4) | instskip(NEXT) | instid1(VALU_DEP_3)
	v_mad_u32 v2, v4, s52, v2
	v_mul_lo_u32 v5, v1, s57
	s_delay_alu instid0(VALU_DEP_1) | instskip(NEXT) | instid1(VALU_DEP_1)
	v_sub_nc_u32_e32 v4, v6, v5
	v_mad_u32 v3, v4, s55, v3
	s_delay_alu instid0(VALU_DEP_4)
	v_mad_u32 v2, v4, s54, v2
	s_cbranch_scc0 .LBB61_19
	s_branch .LBB61_148
.LBB61_20:
	s_mov_b32 s6, -1
                                        ; implicit-def: $vgpr3
	s_branch .LBB61_27
.LBB61_21:
                                        ; implicit-def: $vgpr3
	s_branch .LBB61_136
.LBB61_22:
                                        ; implicit-def: $vgpr3
	s_branch .LBB61_152
.LBB61_23:
	v_dual_mov_b32 v3, 0 :: v_dual_mov_b32 v2, 0
	s_branch .LBB61_27
.LBB61_24:
	v_mov_b64_e32 v[2:3], 0
	v_mov_b32_e32 v1, v0
	s_mov_b32 s0, 0
	s_and_b32 s4, s1, 3
	s_mov_b32 s1, 0
	s_cmp_eq_u32 s4, 0
	s_cbranch_scc1 .LBB61_27
.LBB61_25:
	s_lshl_b32 s2, s0, 3
	s_mov_b32 s3, s1
	s_mul_u64 s[8:9], s[0:1], 12
	s_add_nc_u64 s[2:3], s[12:13], s[2:3]
	s_delay_alu instid0(SALU_CYCLE_1)
	s_add_nc_u64 s[0:1], s[2:3], 0xc4
	s_add_nc_u64 s[2:3], s[12:13], s[8:9]
.LBB61_26:                              ; =>This Inner Loop Header: Depth=1
	s_load_b96 s[8:10], s[2:3], 0x4
	s_add_co_i32 s4, s4, -1
	s_wait_xcnt 0x0
	s_add_nc_u64 s[2:3], s[2:3], 12
	s_cmp_lg_u32 s4, 0
	s_wait_kmcnt 0x0
	v_mul_hi_u32 v4, s9, v1
	s_delay_alu instid0(VALU_DEP_1) | instskip(NEXT) | instid1(VALU_DEP_1)
	v_add_nc_u32_e32 v4, v1, v4
	v_lshrrev_b32_e32 v4, s10, v4
	s_load_b64 s[10:11], s[0:1], 0x0
	s_wait_xcnt 0x0
	s_add_nc_u64 s[0:1], s[0:1], 8
	s_delay_alu instid0(VALU_DEP_1) | instskip(NEXT) | instid1(VALU_DEP_1)
	v_mul_lo_u32 v5, v4, s8
	v_sub_nc_u32_e32 v1, v1, v5
	s_wait_kmcnt 0x0
	s_delay_alu instid0(VALU_DEP_1)
	v_mad_u32 v3, v1, s11, v3
	v_mad_u32 v2, v1, s10, v2
	v_mov_b32_e32 v1, v4
	s_cbranch_scc1 .LBB61_26
.LBB61_27:
	s_and_not1_b32 vcc_lo, exec_lo, s6
	s_cbranch_vccnz .LBB61_30
; %bb.28:
	s_clause 0x1
	s_load_b96 s[0:2], s[12:13], 0x4
	s_load_b64 s[4:5], s[12:13], 0xc4
	s_cmp_lt_u32 s30, 2
	s_wait_kmcnt 0x0
	v_mul_hi_u32 v1, s1, v0
	s_delay_alu instid0(VALU_DEP_1) | instskip(NEXT) | instid1(VALU_DEP_1)
	v_add_nc_u32_e32 v1, v0, v1
	v_lshrrev_b32_e32 v1, s2, v1
	s_delay_alu instid0(VALU_DEP_1) | instskip(NEXT) | instid1(VALU_DEP_1)
	v_mul_lo_u32 v2, v1, s0
	v_sub_nc_u32_e32 v2, v0, v2
	s_delay_alu instid0(VALU_DEP_1)
	v_mul_lo_u32 v3, v2, s5
	v_mul_lo_u32 v2, v2, s4
	s_cbranch_scc1 .LBB61_30
; %bb.29:
	s_clause 0x1
	s_load_b96 s[0:2], s[12:13], 0x10
	s_load_b64 s[4:5], s[12:13], 0xcc
	s_wait_kmcnt 0x0
	v_mul_hi_u32 v4, s1, v1
	s_delay_alu instid0(VALU_DEP_1) | instskip(NEXT) | instid1(VALU_DEP_1)
	v_add_nc_u32_e32 v4, v1, v4
	v_lshrrev_b32_e32 v4, s2, v4
	s_delay_alu instid0(VALU_DEP_1) | instskip(NEXT) | instid1(VALU_DEP_1)
	v_mul_lo_u32 v4, v4, s0
	v_sub_nc_u32_e32 v1, v1, v4
	s_delay_alu instid0(VALU_DEP_1)
	v_mad_u32 v2, v1, s4, v2
	v_mad_u32 v3, v1, s5, v3
.LBB61_30:
	v_cmp_ne_u32_e32 vcc_lo, 1, v14
	v_add_nc_u32_e32 v1, 0x80, v0
	s_cbranch_vccnz .LBB61_36
; %bb.31:
	s_cmp_lg_u32 s30, 0
	s_mov_b32 s6, 0
	s_cbranch_scc0 .LBB61_37
; %bb.32:
	s_min_u32 s1, s31, 15
	s_delay_alu instid0(SALU_CYCLE_1)
	s_add_co_i32 s1, s1, 1
	s_cmp_eq_u32 s31, 2
	s_cbranch_scc1 .LBB61_38
; %bb.33:
	v_dual_mov_b32 v4, 0 :: v_dual_mov_b32 v5, 0
	v_mov_b32_e32 v6, v1
	s_and_b32 s0, s1, 28
	s_add_nc_u64 s[2:3], s[12:13], 0xc4
	s_mov_b32 s7, 0
	s_mov_b64 s[4:5], s[12:13]
.LBB61_34:                              ; =>This Inner Loop Header: Depth=1
	s_clause 0x1
	s_load_b256 s[16:23], s[4:5], 0x4
	s_load_b128 s[8:11], s[4:5], 0x24
	s_load_b256 s[36:43], s[2:3], 0x0
	s_add_co_i32 s7, s7, 4
	s_wait_xcnt 0x0
	s_add_nc_u64 s[4:5], s[4:5], 48
	s_cmp_lg_u32 s0, s7
	s_add_nc_u64 s[2:3], s[2:3], 32
	s_wait_kmcnt 0x0
	v_mul_hi_u32 v7, s17, v6
	s_delay_alu instid0(VALU_DEP_1) | instskip(NEXT) | instid1(VALU_DEP_1)
	v_add_nc_u32_e32 v7, v6, v7
	v_lshrrev_b32_e32 v7, s18, v7
	s_delay_alu instid0(VALU_DEP_1) | instskip(NEXT) | instid1(VALU_DEP_1)
	v_mul_hi_u32 v8, s20, v7
	v_add_nc_u32_e32 v8, v7, v8
	s_delay_alu instid0(VALU_DEP_1) | instskip(NEXT) | instid1(VALU_DEP_1)
	v_lshrrev_b32_e32 v8, s21, v8
	v_mul_hi_u32 v9, s23, v8
	s_delay_alu instid0(VALU_DEP_1) | instskip(SKIP_1) | instid1(VALU_DEP_1)
	v_add_nc_u32_e32 v9, v8, v9
	v_mul_lo_u32 v10, v7, s16
	v_sub_nc_u32_e32 v6, v6, v10
	v_mul_lo_u32 v10, v8, s19
	s_delay_alu instid0(VALU_DEP_4) | instskip(NEXT) | instid1(VALU_DEP_3)
	v_lshrrev_b32_e32 v9, s8, v9
	v_mad_u32 v5, v6, s37, v5
	v_mad_u32 v4, v6, s36, v4
	s_delay_alu instid0(VALU_DEP_4) | instskip(NEXT) | instid1(VALU_DEP_4)
	v_sub_nc_u32_e32 v6, v7, v10
	v_mul_hi_u32 v11, s10, v9
	v_mul_lo_u32 v7, v9, s22
	s_delay_alu instid0(VALU_DEP_3) | instskip(SKIP_1) | instid1(VALU_DEP_4)
	v_mad_u32 v5, v6, s39, v5
	v_mad_u32 v4, v6, s38, v4
	v_add_nc_u32_e32 v10, v9, v11
	s_delay_alu instid0(VALU_DEP_1) | instskip(NEXT) | instid1(VALU_DEP_1)
	v_dual_sub_nc_u32 v7, v8, v7 :: v_dual_lshrrev_b32 v6, s11, v10
	v_mad_u32 v5, v7, s41, v5
	s_delay_alu instid0(VALU_DEP_4) | instskip(NEXT) | instid1(VALU_DEP_3)
	v_mad_u32 v4, v7, s40, v4
	v_mul_lo_u32 v8, v6, s9
	s_delay_alu instid0(VALU_DEP_1) | instskip(NEXT) | instid1(VALU_DEP_1)
	v_sub_nc_u32_e32 v7, v9, v8
	v_mad_u32 v5, v7, s43, v5
	s_delay_alu instid0(VALU_DEP_4)
	v_mad_u32 v4, v7, s42, v4
	s_cbranch_scc1 .LBB61_34
; %bb.35:
	s_and_b32 s4, s1, 3
	s_mov_b32 s1, 0
	s_cmp_eq_u32 s4, 0
	s_cbranch_scc0 .LBB61_39
	s_branch .LBB61_41
.LBB61_36:
	s_mov_b32 s6, -1
                                        ; implicit-def: $vgpr5
	s_branch .LBB61_41
.LBB61_37:
	v_dual_mov_b32 v5, 0 :: v_dual_mov_b32 v4, 0
	s_branch .LBB61_41
.LBB61_38:
	v_mov_b64_e32 v[4:5], 0
	v_mov_b32_e32 v6, v1
	s_mov_b32 s0, 0
	s_and_b32 s4, s1, 3
	s_mov_b32 s1, 0
	s_cmp_eq_u32 s4, 0
	s_cbranch_scc1 .LBB61_41
.LBB61_39:
	s_lshl_b32 s2, s0, 3
	s_mov_b32 s3, s1
	s_mul_u64 s[8:9], s[0:1], 12
	s_add_nc_u64 s[2:3], s[12:13], s[2:3]
	s_delay_alu instid0(SALU_CYCLE_1)
	s_add_nc_u64 s[0:1], s[2:3], 0xc4
	s_add_nc_u64 s[2:3], s[12:13], s[8:9]
.LBB61_40:                              ; =>This Inner Loop Header: Depth=1
	s_load_b96 s[8:10], s[2:3], 0x4
	s_add_co_i32 s4, s4, -1
	s_wait_xcnt 0x0
	s_add_nc_u64 s[2:3], s[2:3], 12
	s_cmp_lg_u32 s4, 0
	s_wait_kmcnt 0x0
	v_mul_hi_u32 v7, s9, v6
	s_delay_alu instid0(VALU_DEP_1) | instskip(NEXT) | instid1(VALU_DEP_1)
	v_add_nc_u32_e32 v7, v6, v7
	v_lshrrev_b32_e32 v7, s10, v7
	s_load_b64 s[10:11], s[0:1], 0x0
	s_wait_xcnt 0x0
	s_add_nc_u64 s[0:1], s[0:1], 8
	s_delay_alu instid0(VALU_DEP_1) | instskip(NEXT) | instid1(VALU_DEP_1)
	v_mul_lo_u32 v8, v7, s8
	v_sub_nc_u32_e32 v6, v6, v8
	s_wait_kmcnt 0x0
	s_delay_alu instid0(VALU_DEP_1)
	v_mad_u32 v5, v6, s11, v5
	v_mad_u32 v4, v6, s10, v4
	v_mov_b32_e32 v6, v7
	s_cbranch_scc1 .LBB61_40
.LBB61_41:
	s_and_not1_b32 vcc_lo, exec_lo, s6
	s_cbranch_vccnz .LBB61_44
; %bb.42:
	s_clause 0x1
	s_load_b96 s[0:2], s[12:13], 0x4
	s_load_b64 s[4:5], s[12:13], 0xc4
	s_cmp_lt_u32 s30, 2
	s_wait_kmcnt 0x0
	v_mul_hi_u32 v4, s1, v1
	s_delay_alu instid0(VALU_DEP_1) | instskip(NEXT) | instid1(VALU_DEP_1)
	v_add_nc_u32_e32 v4, v1, v4
	v_lshrrev_b32_e32 v6, s2, v4
	s_delay_alu instid0(VALU_DEP_1) | instskip(NEXT) | instid1(VALU_DEP_1)
	v_mul_lo_u32 v4, v6, s0
	v_sub_nc_u32_e32 v1, v1, v4
	s_delay_alu instid0(VALU_DEP_1)
	v_mul_lo_u32 v5, v1, s5
	v_mul_lo_u32 v4, v1, s4
	s_cbranch_scc1 .LBB61_44
; %bb.43:
	s_clause 0x1
	s_load_b96 s[0:2], s[12:13], 0x10
	s_load_b64 s[4:5], s[12:13], 0xcc
	s_wait_kmcnt 0x0
	v_mul_hi_u32 v1, s1, v6
	s_delay_alu instid0(VALU_DEP_1) | instskip(NEXT) | instid1(VALU_DEP_1)
	v_add_nc_u32_e32 v1, v6, v1
	v_lshrrev_b32_e32 v1, s2, v1
	s_delay_alu instid0(VALU_DEP_1) | instskip(NEXT) | instid1(VALU_DEP_1)
	v_mul_lo_u32 v1, v1, s0
	v_sub_nc_u32_e32 v1, v6, v1
	s_delay_alu instid0(VALU_DEP_1)
	v_mad_u32 v4, v1, s4, v4
	v_mad_u32 v5, v1, s5, v5
.LBB61_44:
	v_cmp_ne_u32_e32 vcc_lo, 1, v14
	v_add_nc_u32_e32 v1, 0x100, v0
	s_cbranch_vccnz .LBB61_50
; %bb.45:
	s_cmp_lg_u32 s30, 0
	s_mov_b32 s6, 0
	s_cbranch_scc0 .LBB61_51
; %bb.46:
	s_min_u32 s1, s31, 15
	s_delay_alu instid0(SALU_CYCLE_1)
	s_add_co_i32 s1, s1, 1
	s_cmp_eq_u32 s31, 2
	s_cbranch_scc1 .LBB61_52
; %bb.47:
	v_dual_mov_b32 v6, 0 :: v_dual_mov_b32 v7, 0
	v_mov_b32_e32 v8, v1
	s_and_b32 s0, s1, 28
	s_add_nc_u64 s[2:3], s[12:13], 0xc4
	s_mov_b32 s7, 0
	s_mov_b64 s[4:5], s[12:13]
.LBB61_48:                              ; =>This Inner Loop Header: Depth=1
	s_clause 0x1
	s_load_b256 s[16:23], s[4:5], 0x4
	s_load_b128 s[8:11], s[4:5], 0x24
	s_load_b256 s[36:43], s[2:3], 0x0
	s_add_co_i32 s7, s7, 4
	s_wait_xcnt 0x0
	s_add_nc_u64 s[4:5], s[4:5], 48
	s_cmp_lg_u32 s0, s7
	s_add_nc_u64 s[2:3], s[2:3], 32
	s_wait_kmcnt 0x0
	v_mul_hi_u32 v9, s17, v8
	s_delay_alu instid0(VALU_DEP_1) | instskip(NEXT) | instid1(VALU_DEP_1)
	v_add_nc_u32_e32 v9, v8, v9
	v_lshrrev_b32_e32 v9, s18, v9
	s_delay_alu instid0(VALU_DEP_1) | instskip(NEXT) | instid1(VALU_DEP_1)
	v_mul_hi_u32 v10, s20, v9
	v_add_nc_u32_e32 v10, v9, v10
	s_delay_alu instid0(VALU_DEP_1) | instskip(NEXT) | instid1(VALU_DEP_1)
	v_lshrrev_b32_e32 v10, s21, v10
	v_mul_hi_u32 v11, s23, v10
	s_delay_alu instid0(VALU_DEP_1) | instskip(SKIP_1) | instid1(VALU_DEP_1)
	v_add_nc_u32_e32 v11, v10, v11
	v_mul_lo_u32 v12, v9, s16
	v_sub_nc_u32_e32 v8, v8, v12
	v_mul_lo_u32 v12, v10, s19
	s_delay_alu instid0(VALU_DEP_4) | instskip(NEXT) | instid1(VALU_DEP_3)
	v_lshrrev_b32_e32 v11, s8, v11
	v_mad_u32 v7, v8, s37, v7
	v_mad_u32 v6, v8, s36, v6
	s_delay_alu instid0(VALU_DEP_4) | instskip(NEXT) | instid1(VALU_DEP_4)
	v_sub_nc_u32_e32 v8, v9, v12
	v_mul_hi_u32 v13, s10, v11
	v_mul_lo_u32 v9, v11, s22
	s_delay_alu instid0(VALU_DEP_3) | instskip(SKIP_1) | instid1(VALU_DEP_4)
	v_mad_u32 v7, v8, s39, v7
	v_mad_u32 v6, v8, s38, v6
	v_add_nc_u32_e32 v12, v11, v13
	s_delay_alu instid0(VALU_DEP_1) | instskip(NEXT) | instid1(VALU_DEP_1)
	v_dual_sub_nc_u32 v9, v10, v9 :: v_dual_lshrrev_b32 v8, s11, v12
	v_mad_u32 v7, v9, s41, v7
	s_delay_alu instid0(VALU_DEP_4) | instskip(NEXT) | instid1(VALU_DEP_3)
	v_mad_u32 v6, v9, s40, v6
	v_mul_lo_u32 v10, v8, s9
	s_delay_alu instid0(VALU_DEP_1) | instskip(NEXT) | instid1(VALU_DEP_1)
	v_sub_nc_u32_e32 v9, v11, v10
	v_mad_u32 v7, v9, s43, v7
	s_delay_alu instid0(VALU_DEP_4)
	v_mad_u32 v6, v9, s42, v6
	s_cbranch_scc1 .LBB61_48
; %bb.49:
	s_and_b32 s4, s1, 3
	s_mov_b32 s1, 0
	s_cmp_eq_u32 s4, 0
	s_cbranch_scc0 .LBB61_53
	s_branch .LBB61_55
.LBB61_50:
	s_mov_b32 s6, -1
                                        ; implicit-def: $vgpr7
	s_branch .LBB61_55
.LBB61_51:
	v_dual_mov_b32 v7, 0 :: v_dual_mov_b32 v6, 0
	s_branch .LBB61_55
.LBB61_52:
	v_mov_b64_e32 v[6:7], 0
	v_mov_b32_e32 v8, v1
	s_mov_b32 s0, 0
	s_and_b32 s4, s1, 3
	s_mov_b32 s1, 0
	s_cmp_eq_u32 s4, 0
	s_cbranch_scc1 .LBB61_55
.LBB61_53:
	s_lshl_b32 s2, s0, 3
	s_mov_b32 s3, s1
	s_mul_u64 s[8:9], s[0:1], 12
	s_add_nc_u64 s[2:3], s[12:13], s[2:3]
	s_delay_alu instid0(SALU_CYCLE_1)
	s_add_nc_u64 s[0:1], s[2:3], 0xc4
	s_add_nc_u64 s[2:3], s[12:13], s[8:9]
.LBB61_54:                              ; =>This Inner Loop Header: Depth=1
	s_load_b96 s[8:10], s[2:3], 0x4
	s_add_co_i32 s4, s4, -1
	s_wait_xcnt 0x0
	s_add_nc_u64 s[2:3], s[2:3], 12
	s_cmp_lg_u32 s4, 0
	s_wait_kmcnt 0x0
	v_mul_hi_u32 v9, s9, v8
	s_delay_alu instid0(VALU_DEP_1) | instskip(NEXT) | instid1(VALU_DEP_1)
	v_add_nc_u32_e32 v9, v8, v9
	v_lshrrev_b32_e32 v9, s10, v9
	s_load_b64 s[10:11], s[0:1], 0x0
	s_wait_xcnt 0x0
	s_add_nc_u64 s[0:1], s[0:1], 8
	s_delay_alu instid0(VALU_DEP_1) | instskip(NEXT) | instid1(VALU_DEP_1)
	v_mul_lo_u32 v10, v9, s8
	v_sub_nc_u32_e32 v8, v8, v10
	s_wait_kmcnt 0x0
	s_delay_alu instid0(VALU_DEP_1)
	v_mad_u32 v7, v8, s11, v7
	v_mad_u32 v6, v8, s10, v6
	v_mov_b32_e32 v8, v9
	s_cbranch_scc1 .LBB61_54
.LBB61_55:
	s_and_not1_b32 vcc_lo, exec_lo, s6
	s_cbranch_vccnz .LBB61_58
; %bb.56:
	s_clause 0x1
	s_load_b96 s[0:2], s[12:13], 0x4
	s_load_b64 s[4:5], s[12:13], 0xc4
	s_cmp_lt_u32 s30, 2
	s_wait_kmcnt 0x0
	v_mul_hi_u32 v6, s1, v1
	s_delay_alu instid0(VALU_DEP_1) | instskip(NEXT) | instid1(VALU_DEP_1)
	v_add_nc_u32_e32 v6, v1, v6
	v_lshrrev_b32_e32 v8, s2, v6
	s_delay_alu instid0(VALU_DEP_1) | instskip(NEXT) | instid1(VALU_DEP_1)
	v_mul_lo_u32 v6, v8, s0
	v_sub_nc_u32_e32 v1, v1, v6
	s_delay_alu instid0(VALU_DEP_1)
	v_mul_lo_u32 v7, v1, s5
	v_mul_lo_u32 v6, v1, s4
	s_cbranch_scc1 .LBB61_58
; %bb.57:
	s_clause 0x1
	s_load_b96 s[0:2], s[12:13], 0x10
	s_load_b64 s[4:5], s[12:13], 0xcc
	s_wait_kmcnt 0x0
	v_mul_hi_u32 v1, s1, v8
	s_delay_alu instid0(VALU_DEP_1) | instskip(NEXT) | instid1(VALU_DEP_1)
	v_add_nc_u32_e32 v1, v8, v1
	v_lshrrev_b32_e32 v1, s2, v1
	s_delay_alu instid0(VALU_DEP_1) | instskip(NEXT) | instid1(VALU_DEP_1)
	v_mul_lo_u32 v1, v1, s0
	v_sub_nc_u32_e32 v1, v8, v1
	s_delay_alu instid0(VALU_DEP_1)
	v_mad_u32 v6, v1, s4, v6
	v_mad_u32 v7, v1, s5, v7
.LBB61_58:
	v_cmp_ne_u32_e32 vcc_lo, 1, v14
	v_add_nc_u32_e32 v1, 0x180, v0
	s_cbranch_vccnz .LBB61_64
; %bb.59:
	s_cmp_lg_u32 s30, 0
	s_mov_b32 s6, 0
	s_cbranch_scc0 .LBB61_65
; %bb.60:
	s_min_u32 s1, s31, 15
	s_delay_alu instid0(SALU_CYCLE_1)
	s_add_co_i32 s1, s1, 1
	s_cmp_eq_u32 s31, 2
	s_cbranch_scc1 .LBB61_66
; %bb.61:
	v_dual_mov_b32 v8, 0 :: v_dual_mov_b32 v9, 0
	v_mov_b32_e32 v10, v1
	s_and_b32 s0, s1, 28
	s_add_nc_u64 s[2:3], s[12:13], 0xc4
	s_mov_b32 s7, 0
	s_mov_b64 s[4:5], s[12:13]
.LBB61_62:                              ; =>This Inner Loop Header: Depth=1
	s_clause 0x1
	s_load_b256 s[16:23], s[4:5], 0x4
	s_load_b128 s[8:11], s[4:5], 0x24
	s_load_b256 s[36:43], s[2:3], 0x0
	s_add_co_i32 s7, s7, 4
	s_wait_xcnt 0x0
	s_add_nc_u64 s[4:5], s[4:5], 48
	s_cmp_lg_u32 s0, s7
	s_add_nc_u64 s[2:3], s[2:3], 32
	s_wait_kmcnt 0x0
	v_mul_hi_u32 v11, s17, v10
	s_delay_alu instid0(VALU_DEP_1) | instskip(NEXT) | instid1(VALU_DEP_1)
	v_add_nc_u32_e32 v11, v10, v11
	v_lshrrev_b32_e32 v11, s18, v11
	s_delay_alu instid0(VALU_DEP_1) | instskip(NEXT) | instid1(VALU_DEP_1)
	v_mul_hi_u32 v12, s20, v11
	v_add_nc_u32_e32 v12, v11, v12
	s_delay_alu instid0(VALU_DEP_1) | instskip(NEXT) | instid1(VALU_DEP_1)
	v_lshrrev_b32_e32 v12, s21, v12
	v_mul_hi_u32 v13, s23, v12
	s_delay_alu instid0(VALU_DEP_1) | instskip(SKIP_1) | instid1(VALU_DEP_1)
	v_add_nc_u32_e32 v13, v12, v13
	v_mul_lo_u32 v15, v11, s16
	v_sub_nc_u32_e32 v10, v10, v15
	v_mul_lo_u32 v15, v12, s19
	s_delay_alu instid0(VALU_DEP_4) | instskip(NEXT) | instid1(VALU_DEP_3)
	v_lshrrev_b32_e32 v13, s8, v13
	v_mad_u32 v9, v10, s37, v9
	v_mad_u32 v8, v10, s36, v8
	s_delay_alu instid0(VALU_DEP_4) | instskip(NEXT) | instid1(VALU_DEP_4)
	v_sub_nc_u32_e32 v10, v11, v15
	v_mul_hi_u32 v17, s10, v13
	v_mul_lo_u32 v11, v13, s22
	s_delay_alu instid0(VALU_DEP_3) | instskip(SKIP_1) | instid1(VALU_DEP_3)
	v_mad_u32 v9, v10, s39, v9
	v_mad_u32 v8, v10, s38, v8
	v_dual_add_nc_u32 v15, v13, v17 :: v_dual_sub_nc_u32 v11, v12, v11
	s_delay_alu instid0(VALU_DEP_1) | instskip(NEXT) | instid1(VALU_DEP_2)
	v_lshrrev_b32_e32 v10, s11, v15
	v_mad_u32 v9, v11, s41, v9
	s_delay_alu instid0(VALU_DEP_4) | instskip(NEXT) | instid1(VALU_DEP_3)
	v_mad_u32 v8, v11, s40, v8
	v_mul_lo_u32 v12, v10, s9
	s_delay_alu instid0(VALU_DEP_1) | instskip(NEXT) | instid1(VALU_DEP_1)
	v_sub_nc_u32_e32 v11, v13, v12
	v_mad_u32 v9, v11, s43, v9
	s_delay_alu instid0(VALU_DEP_4)
	v_mad_u32 v8, v11, s42, v8
	s_cbranch_scc1 .LBB61_62
; %bb.63:
	s_and_b32 s4, s1, 3
	s_mov_b32 s1, 0
	s_cmp_eq_u32 s4, 0
	s_cbranch_scc0 .LBB61_67
	s_branch .LBB61_69
.LBB61_64:
	s_mov_b32 s6, -1
                                        ; implicit-def: $vgpr9
	s_branch .LBB61_69
.LBB61_65:
	v_dual_mov_b32 v9, 0 :: v_dual_mov_b32 v8, 0
	s_branch .LBB61_69
.LBB61_66:
	v_mov_b64_e32 v[8:9], 0
	v_mov_b32_e32 v10, v1
	s_mov_b32 s0, 0
	s_and_b32 s4, s1, 3
	s_mov_b32 s1, 0
	s_cmp_eq_u32 s4, 0
	s_cbranch_scc1 .LBB61_69
.LBB61_67:
	s_lshl_b32 s2, s0, 3
	s_mov_b32 s3, s1
	s_mul_u64 s[8:9], s[0:1], 12
	s_add_nc_u64 s[2:3], s[12:13], s[2:3]
	s_delay_alu instid0(SALU_CYCLE_1)
	s_add_nc_u64 s[0:1], s[2:3], 0xc4
	s_add_nc_u64 s[2:3], s[12:13], s[8:9]
.LBB61_68:                              ; =>This Inner Loop Header: Depth=1
	s_load_b96 s[8:10], s[2:3], 0x4
	s_add_co_i32 s4, s4, -1
	s_wait_xcnt 0x0
	s_add_nc_u64 s[2:3], s[2:3], 12
	s_cmp_lg_u32 s4, 0
	s_wait_kmcnt 0x0
	v_mul_hi_u32 v11, s9, v10
	s_delay_alu instid0(VALU_DEP_1) | instskip(NEXT) | instid1(VALU_DEP_1)
	v_add_nc_u32_e32 v11, v10, v11
	v_lshrrev_b32_e32 v11, s10, v11
	s_load_b64 s[10:11], s[0:1], 0x0
	s_wait_xcnt 0x0
	s_add_nc_u64 s[0:1], s[0:1], 8
	s_delay_alu instid0(VALU_DEP_1) | instskip(NEXT) | instid1(VALU_DEP_1)
	v_mul_lo_u32 v12, v11, s8
	v_sub_nc_u32_e32 v10, v10, v12
	s_wait_kmcnt 0x0
	s_delay_alu instid0(VALU_DEP_1)
	v_mad_u32 v9, v10, s11, v9
	v_mad_u32 v8, v10, s10, v8
	v_mov_b32_e32 v10, v11
	s_cbranch_scc1 .LBB61_68
.LBB61_69:
	s_and_not1_b32 vcc_lo, exec_lo, s6
	s_cbranch_vccnz .LBB61_72
; %bb.70:
	s_clause 0x1
	s_load_b96 s[0:2], s[12:13], 0x4
	s_load_b64 s[4:5], s[12:13], 0xc4
	s_cmp_lt_u32 s30, 2
	s_wait_kmcnt 0x0
	v_mul_hi_u32 v8, s1, v1
	s_delay_alu instid0(VALU_DEP_1) | instskip(NEXT) | instid1(VALU_DEP_1)
	v_add_nc_u32_e32 v8, v1, v8
	v_lshrrev_b32_e32 v10, s2, v8
	s_delay_alu instid0(VALU_DEP_1) | instskip(NEXT) | instid1(VALU_DEP_1)
	v_mul_lo_u32 v8, v10, s0
	v_sub_nc_u32_e32 v1, v1, v8
	s_delay_alu instid0(VALU_DEP_1)
	v_mul_lo_u32 v9, v1, s5
	v_mul_lo_u32 v8, v1, s4
	s_cbranch_scc1 .LBB61_72
; %bb.71:
	s_clause 0x1
	s_load_b96 s[0:2], s[12:13], 0x10
	s_load_b64 s[4:5], s[12:13], 0xcc
	s_wait_kmcnt 0x0
	v_mul_hi_u32 v1, s1, v10
	s_delay_alu instid0(VALU_DEP_1) | instskip(NEXT) | instid1(VALU_DEP_1)
	v_add_nc_u32_e32 v1, v10, v1
	v_lshrrev_b32_e32 v1, s2, v1
	s_delay_alu instid0(VALU_DEP_1) | instskip(NEXT) | instid1(VALU_DEP_1)
	v_mul_lo_u32 v1, v1, s0
	v_sub_nc_u32_e32 v1, v10, v1
	s_delay_alu instid0(VALU_DEP_1)
	v_mad_u32 v8, v1, s4, v8
	v_mad_u32 v9, v1, s5, v9
.LBB61_72:
	v_cmp_ne_u32_e32 vcc_lo, 1, v14
	v_add_nc_u32_e32 v1, 0x200, v0
	s_cbranch_vccnz .LBB61_78
; %bb.73:
	s_cmp_lg_u32 s30, 0
	s_mov_b32 s6, 0
	s_cbranch_scc0 .LBB61_79
; %bb.74:
	s_min_u32 s1, s31, 15
	s_delay_alu instid0(SALU_CYCLE_1)
	s_add_co_i32 s1, s1, 1
	s_cmp_eq_u32 s31, 2
	s_cbranch_scc1 .LBB61_80
; %bb.75:
	v_dual_mov_b32 v10, 0 :: v_dual_mov_b32 v11, 0
	v_mov_b32_e32 v12, v1
	s_and_b32 s0, s1, 28
	s_add_nc_u64 s[2:3], s[12:13], 0xc4
	s_mov_b32 s7, 0
	s_mov_b64 s[4:5], s[12:13]
.LBB61_76:                              ; =>This Inner Loop Header: Depth=1
	s_clause 0x1
	s_load_b256 s[16:23], s[4:5], 0x4
	s_load_b128 s[8:11], s[4:5], 0x24
	s_load_b256 s[36:43], s[2:3], 0x0
	s_add_co_i32 s7, s7, 4
	s_wait_xcnt 0x0
	s_add_nc_u64 s[4:5], s[4:5], 48
	s_cmp_lg_u32 s0, s7
	s_add_nc_u64 s[2:3], s[2:3], 32
	s_wait_kmcnt 0x0
	v_mul_hi_u32 v13, s17, v12
	s_delay_alu instid0(VALU_DEP_1) | instskip(NEXT) | instid1(VALU_DEP_1)
	v_add_nc_u32_e32 v13, v12, v13
	v_lshrrev_b32_e32 v13, s18, v13
	s_delay_alu instid0(VALU_DEP_1) | instskip(NEXT) | instid1(VALU_DEP_1)
	v_mul_lo_u32 v18, v13, s16
	v_sub_nc_u32_e32 v12, v12, v18
	v_mul_hi_u32 v15, s20, v13
	s_delay_alu instid0(VALU_DEP_2) | instskip(SKIP_1) | instid1(VALU_DEP_3)
	v_mad_u32 v11, v12, s37, v11
	v_mad_u32 v10, v12, s36, v10
	v_add_nc_u32_e32 v15, v13, v15
	s_delay_alu instid0(VALU_DEP_1) | instskip(NEXT) | instid1(VALU_DEP_1)
	v_lshrrev_b32_e32 v15, s21, v15
	v_mul_hi_u32 v17, s23, v15
	v_mul_lo_u32 v18, v15, s19
	s_delay_alu instid0(VALU_DEP_1) | instskip(NEXT) | instid1(VALU_DEP_1)
	v_dual_add_nc_u32 v17, v15, v17 :: v_dual_sub_nc_u32 v12, v13, v18
	v_lshrrev_b32_e32 v17, s8, v17
	s_delay_alu instid0(VALU_DEP_2) | instskip(SKIP_1) | instid1(VALU_DEP_3)
	v_mad_u32 v11, v12, s39, v11
	v_mad_u32 v10, v12, s38, v10
	v_mul_hi_u32 v19, s10, v17
	v_mul_lo_u32 v13, v17, s22
	s_delay_alu instid0(VALU_DEP_1) | instskip(NEXT) | instid1(VALU_DEP_1)
	v_dual_add_nc_u32 v18, v17, v19 :: v_dual_sub_nc_u32 v13, v15, v13
	v_lshrrev_b32_e32 v12, s11, v18
	s_delay_alu instid0(VALU_DEP_2) | instskip(SKIP_1) | instid1(VALU_DEP_3)
	v_mad_u32 v11, v13, s41, v11
	v_mad_u32 v10, v13, s40, v10
	v_mul_lo_u32 v15, v12, s9
	s_delay_alu instid0(VALU_DEP_1) | instskip(NEXT) | instid1(VALU_DEP_1)
	v_sub_nc_u32_e32 v13, v17, v15
	v_mad_u32 v11, v13, s43, v11
	s_delay_alu instid0(VALU_DEP_4)
	v_mad_u32 v10, v13, s42, v10
	s_cbranch_scc1 .LBB61_76
; %bb.77:
	s_and_b32 s4, s1, 3
	s_mov_b32 s1, 0
	s_cmp_eq_u32 s4, 0
	s_cbranch_scc0 .LBB61_81
	s_branch .LBB61_83
.LBB61_78:
	s_mov_b32 s6, -1
                                        ; implicit-def: $vgpr11
	s_branch .LBB61_83
.LBB61_79:
	v_dual_mov_b32 v11, 0 :: v_dual_mov_b32 v10, 0
	s_branch .LBB61_83
.LBB61_80:
	v_mov_b64_e32 v[10:11], 0
	v_mov_b32_e32 v12, v1
	s_mov_b32 s0, 0
	s_and_b32 s4, s1, 3
	s_mov_b32 s1, 0
	s_cmp_eq_u32 s4, 0
	s_cbranch_scc1 .LBB61_83
.LBB61_81:
	s_lshl_b32 s2, s0, 3
	s_mov_b32 s3, s1
	s_mul_u64 s[8:9], s[0:1], 12
	s_add_nc_u64 s[2:3], s[12:13], s[2:3]
	s_delay_alu instid0(SALU_CYCLE_1)
	s_add_nc_u64 s[0:1], s[2:3], 0xc4
	s_add_nc_u64 s[2:3], s[12:13], s[8:9]
.LBB61_82:                              ; =>This Inner Loop Header: Depth=1
	s_load_b96 s[8:10], s[2:3], 0x4
	s_add_co_i32 s4, s4, -1
	s_wait_xcnt 0x0
	s_add_nc_u64 s[2:3], s[2:3], 12
	s_cmp_lg_u32 s4, 0
	s_wait_kmcnt 0x0
	v_mul_hi_u32 v13, s9, v12
	s_delay_alu instid0(VALU_DEP_1) | instskip(NEXT) | instid1(VALU_DEP_1)
	v_add_nc_u32_e32 v13, v12, v13
	v_lshrrev_b32_e32 v13, s10, v13
	s_load_b64 s[10:11], s[0:1], 0x0
	s_wait_xcnt 0x0
	s_add_nc_u64 s[0:1], s[0:1], 8
	s_delay_alu instid0(VALU_DEP_1) | instskip(NEXT) | instid1(VALU_DEP_1)
	v_mul_lo_u32 v15, v13, s8
	v_sub_nc_u32_e32 v12, v12, v15
	s_wait_kmcnt 0x0
	s_delay_alu instid0(VALU_DEP_1)
	v_mad_u32 v11, v12, s11, v11
	v_mad_u32 v10, v12, s10, v10
	v_mov_b32_e32 v12, v13
	s_cbranch_scc1 .LBB61_82
.LBB61_83:
	s_and_not1_b32 vcc_lo, exec_lo, s6
	s_cbranch_vccnz .LBB61_86
; %bb.84:
	s_clause 0x1
	s_load_b96 s[0:2], s[12:13], 0x4
	s_load_b64 s[4:5], s[12:13], 0xc4
	s_cmp_lt_u32 s30, 2
	s_wait_kmcnt 0x0
	v_mul_hi_u32 v10, s1, v1
	s_delay_alu instid0(VALU_DEP_1) | instskip(NEXT) | instid1(VALU_DEP_1)
	v_add_nc_u32_e32 v10, v1, v10
	v_lshrrev_b32_e32 v12, s2, v10
	s_delay_alu instid0(VALU_DEP_1) | instskip(NEXT) | instid1(VALU_DEP_1)
	v_mul_lo_u32 v10, v12, s0
	v_sub_nc_u32_e32 v1, v1, v10
	s_delay_alu instid0(VALU_DEP_1)
	v_mul_lo_u32 v11, v1, s5
	v_mul_lo_u32 v10, v1, s4
	s_cbranch_scc1 .LBB61_86
; %bb.85:
	s_clause 0x1
	s_load_b96 s[0:2], s[12:13], 0x10
	s_load_b64 s[4:5], s[12:13], 0xcc
	s_wait_kmcnt 0x0
	v_mul_hi_u32 v1, s1, v12
	s_delay_alu instid0(VALU_DEP_1) | instskip(NEXT) | instid1(VALU_DEP_1)
	v_add_nc_u32_e32 v1, v12, v1
	v_lshrrev_b32_e32 v1, s2, v1
	s_delay_alu instid0(VALU_DEP_1) | instskip(NEXT) | instid1(VALU_DEP_1)
	v_mul_lo_u32 v1, v1, s0
	v_sub_nc_u32_e32 v1, v12, v1
	s_delay_alu instid0(VALU_DEP_1)
	v_mad_u32 v10, v1, s4, v10
	v_mad_u32 v11, v1, s5, v11
.LBB61_86:
	v_cmp_ne_u32_e32 vcc_lo, 1, v14
	v_add_nc_u32_e32 v1, 0x280, v0
	s_cbranch_vccnz .LBB61_92
; %bb.87:
	s_cmp_lg_u32 s30, 0
	s_mov_b32 s6, 0
	s_cbranch_scc0 .LBB61_93
; %bb.88:
	s_min_u32 s1, s31, 15
	s_delay_alu instid0(SALU_CYCLE_1)
	s_add_co_i32 s1, s1, 1
	s_cmp_eq_u32 s31, 2
	s_cbranch_scc1 .LBB61_94
; %bb.89:
	v_dual_mov_b32 v12, 0 :: v_dual_mov_b32 v13, 0
	v_mov_b32_e32 v15, v1
	s_and_b32 s0, s1, 28
	s_add_nc_u64 s[2:3], s[12:13], 0xc4
	s_mov_b32 s7, 0
	s_mov_b64 s[4:5], s[12:13]
.LBB61_90:                              ; =>This Inner Loop Header: Depth=1
	s_clause 0x1
	s_load_b256 s[16:23], s[4:5], 0x4
	s_load_b128 s[8:11], s[4:5], 0x24
	s_load_b256 s[36:43], s[2:3], 0x0
	s_add_co_i32 s7, s7, 4
	s_wait_xcnt 0x0
	s_add_nc_u64 s[4:5], s[4:5], 48
	s_cmp_lg_u32 s0, s7
	s_add_nc_u64 s[2:3], s[2:3], 32
	s_wait_kmcnt 0x0
	v_mul_hi_u32 v17, s17, v15
	s_delay_alu instid0(VALU_DEP_1) | instskip(NEXT) | instid1(VALU_DEP_1)
	v_add_nc_u32_e32 v17, v15, v17
	v_lshrrev_b32_e32 v17, s18, v17
	s_delay_alu instid0(VALU_DEP_1) | instskip(NEXT) | instid1(VALU_DEP_1)
	v_mul_hi_u32 v18, s20, v17
	v_add_nc_u32_e32 v18, v17, v18
	s_delay_alu instid0(VALU_DEP_1) | instskip(NEXT) | instid1(VALU_DEP_1)
	v_lshrrev_b32_e32 v18, s21, v18
	v_mul_hi_u32 v19, s23, v18
	s_delay_alu instid0(VALU_DEP_1) | instskip(SKIP_1) | instid1(VALU_DEP_1)
	v_add_nc_u32_e32 v19, v18, v19
	v_mul_lo_u32 v20, v17, s16
	v_sub_nc_u32_e32 v15, v15, v20
	v_mul_lo_u32 v20, v18, s19
	s_delay_alu instid0(VALU_DEP_4) | instskip(NEXT) | instid1(VALU_DEP_3)
	v_lshrrev_b32_e32 v19, s8, v19
	v_mad_u32 v13, v15, s37, v13
	v_mad_u32 v12, v15, s36, v12
	s_delay_alu instid0(VALU_DEP_4) | instskip(NEXT) | instid1(VALU_DEP_4)
	v_sub_nc_u32_e32 v15, v17, v20
	v_mul_hi_u32 v21, s10, v19
	v_mul_lo_u32 v17, v19, s22
	s_delay_alu instid0(VALU_DEP_3) | instskip(SKIP_1) | instid1(VALU_DEP_4)
	v_mad_u32 v13, v15, s39, v13
	v_mad_u32 v12, v15, s38, v12
	v_add_nc_u32_e32 v20, v19, v21
	s_delay_alu instid0(VALU_DEP_1) | instskip(NEXT) | instid1(VALU_DEP_1)
	v_dual_sub_nc_u32 v17, v18, v17 :: v_dual_lshrrev_b32 v15, s11, v20
	v_mad_u32 v13, v17, s41, v13
	s_delay_alu instid0(VALU_DEP_4) | instskip(NEXT) | instid1(VALU_DEP_3)
	v_mad_u32 v12, v17, s40, v12
	v_mul_lo_u32 v18, v15, s9
	s_delay_alu instid0(VALU_DEP_1) | instskip(NEXT) | instid1(VALU_DEP_1)
	v_sub_nc_u32_e32 v17, v19, v18
	v_mad_u32 v13, v17, s43, v13
	s_delay_alu instid0(VALU_DEP_4)
	v_mad_u32 v12, v17, s42, v12
	s_cbranch_scc1 .LBB61_90
; %bb.91:
	s_and_b32 s4, s1, 3
	s_mov_b32 s1, 0
	s_cmp_eq_u32 s4, 0
	s_cbranch_scc0 .LBB61_95
	s_branch .LBB61_97
.LBB61_92:
	s_mov_b32 s6, -1
                                        ; implicit-def: $vgpr13
	s_branch .LBB61_97
.LBB61_93:
	v_dual_mov_b32 v13, 0 :: v_dual_mov_b32 v12, 0
	s_branch .LBB61_97
.LBB61_94:
	v_mov_b64_e32 v[12:13], 0
	v_mov_b32_e32 v15, v1
	s_mov_b32 s0, 0
	s_and_b32 s4, s1, 3
	s_mov_b32 s1, 0
	s_cmp_eq_u32 s4, 0
	s_cbranch_scc1 .LBB61_97
.LBB61_95:
	s_lshl_b32 s2, s0, 3
	s_mov_b32 s3, s1
	s_mul_u64 s[8:9], s[0:1], 12
	s_add_nc_u64 s[2:3], s[12:13], s[2:3]
	s_delay_alu instid0(SALU_CYCLE_1)
	s_add_nc_u64 s[0:1], s[2:3], 0xc4
	s_add_nc_u64 s[2:3], s[12:13], s[8:9]
.LBB61_96:                              ; =>This Inner Loop Header: Depth=1
	s_load_b96 s[8:10], s[2:3], 0x4
	s_add_co_i32 s4, s4, -1
	s_wait_xcnt 0x0
	s_add_nc_u64 s[2:3], s[2:3], 12
	s_cmp_lg_u32 s4, 0
	s_wait_kmcnt 0x0
	v_mul_hi_u32 v17, s9, v15
	s_delay_alu instid0(VALU_DEP_1) | instskip(NEXT) | instid1(VALU_DEP_1)
	v_add_nc_u32_e32 v17, v15, v17
	v_lshrrev_b32_e32 v17, s10, v17
	s_load_b64 s[10:11], s[0:1], 0x0
	s_wait_xcnt 0x0
	s_add_nc_u64 s[0:1], s[0:1], 8
	s_delay_alu instid0(VALU_DEP_1) | instskip(NEXT) | instid1(VALU_DEP_1)
	v_mul_lo_u32 v18, v17, s8
	v_sub_nc_u32_e32 v15, v15, v18
	s_wait_kmcnt 0x0
	s_delay_alu instid0(VALU_DEP_1)
	v_mad_u32 v13, v15, s11, v13
	v_mad_u32 v12, v15, s10, v12
	v_mov_b32_e32 v15, v17
	s_cbranch_scc1 .LBB61_96
.LBB61_97:
	s_and_not1_b32 vcc_lo, exec_lo, s6
	s_cbranch_vccnz .LBB61_100
; %bb.98:
	s_clause 0x1
	s_load_b96 s[0:2], s[12:13], 0x4
	s_load_b64 s[4:5], s[12:13], 0xc4
	s_cmp_lt_u32 s30, 2
	s_wait_kmcnt 0x0
	v_mul_hi_u32 v12, s1, v1
	s_delay_alu instid0(VALU_DEP_1) | instskip(NEXT) | instid1(VALU_DEP_1)
	v_add_nc_u32_e32 v12, v1, v12
	v_lshrrev_b32_e32 v15, s2, v12
	s_delay_alu instid0(VALU_DEP_1) | instskip(NEXT) | instid1(VALU_DEP_1)
	v_mul_lo_u32 v12, v15, s0
	v_sub_nc_u32_e32 v1, v1, v12
	s_delay_alu instid0(VALU_DEP_1)
	v_mul_lo_u32 v13, v1, s5
	v_mul_lo_u32 v12, v1, s4
	s_cbranch_scc1 .LBB61_100
; %bb.99:
	s_clause 0x1
	s_load_b96 s[0:2], s[12:13], 0x10
	s_load_b64 s[4:5], s[12:13], 0xcc
	s_wait_kmcnt 0x0
	v_mul_hi_u32 v1, s1, v15
	s_delay_alu instid0(VALU_DEP_1) | instskip(NEXT) | instid1(VALU_DEP_1)
	v_add_nc_u32_e32 v1, v15, v1
	v_lshrrev_b32_e32 v1, s2, v1
	s_delay_alu instid0(VALU_DEP_1) | instskip(NEXT) | instid1(VALU_DEP_1)
	v_mul_lo_u32 v1, v1, s0
	v_sub_nc_u32_e32 v1, v15, v1
	s_delay_alu instid0(VALU_DEP_1)
	v_mad_u32 v12, v1, s4, v12
	v_mad_u32 v13, v1, s5, v13
.LBB61_100:
	v_cmp_ne_u32_e32 vcc_lo, 1, v14
	v_add_nc_u32_e32 v15, 0x300, v0
	s_cbranch_vccnz .LBB61_106
; %bb.101:
	s_cmp_lg_u32 s30, 0
	s_mov_b32 s6, 0
	s_cbranch_scc0 .LBB61_107
; %bb.102:
	s_min_u32 s1, s31, 15
	s_delay_alu instid0(SALU_CYCLE_1)
	s_add_co_i32 s1, s1, 1
	s_cmp_eq_u32 s31, 2
	s_cbranch_scc1 .LBB61_108
; %bb.103:
	v_dual_mov_b32 v0, 0 :: v_dual_mov_b32 v1, 0
	v_mov_b32_e32 v17, v15
	s_and_b32 s0, s1, 28
	s_add_nc_u64 s[2:3], s[12:13], 0xc4
	s_mov_b32 s7, 0
	s_mov_b64 s[4:5], s[12:13]
.LBB61_104:                             ; =>This Inner Loop Header: Depth=1
	s_clause 0x1
	s_load_b256 s[16:23], s[4:5], 0x4
	s_load_b128 s[8:11], s[4:5], 0x24
	s_load_b256 s[36:43], s[2:3], 0x0
	s_add_co_i32 s7, s7, 4
	s_wait_xcnt 0x0
	s_add_nc_u64 s[4:5], s[4:5], 48
	s_cmp_lg_u32 s0, s7
	s_add_nc_u64 s[2:3], s[2:3], 32
	s_wait_kmcnt 0x0
	v_mul_hi_u32 v18, s17, v17
	s_delay_alu instid0(VALU_DEP_1) | instskip(NEXT) | instid1(VALU_DEP_1)
	v_add_nc_u32_e32 v18, v17, v18
	v_lshrrev_b32_e32 v18, s18, v18
	s_delay_alu instid0(VALU_DEP_1) | instskip(NEXT) | instid1(VALU_DEP_1)
	v_mul_hi_u32 v19, s20, v18
	v_add_nc_u32_e32 v19, v18, v19
	s_delay_alu instid0(VALU_DEP_1) | instskip(NEXT) | instid1(VALU_DEP_1)
	v_lshrrev_b32_e32 v19, s21, v19
	v_mul_hi_u32 v20, s23, v19
	s_delay_alu instid0(VALU_DEP_1) | instskip(SKIP_1) | instid1(VALU_DEP_1)
	v_add_nc_u32_e32 v20, v19, v20
	v_mul_lo_u32 v21, v18, s16
	v_sub_nc_u32_e32 v17, v17, v21
	v_mul_lo_u32 v21, v19, s19
	s_delay_alu instid0(VALU_DEP_4) | instskip(NEXT) | instid1(VALU_DEP_3)
	v_lshrrev_b32_e32 v20, s8, v20
	v_mad_u32 v1, v17, s37, v1
	v_mad_u32 v0, v17, s36, v0
	s_delay_alu instid0(VALU_DEP_4) | instskip(NEXT) | instid1(VALU_DEP_4)
	v_sub_nc_u32_e32 v17, v18, v21
	v_mul_hi_u32 v22, s10, v20
	v_mul_lo_u32 v18, v20, s22
	s_delay_alu instid0(VALU_DEP_3) | instskip(SKIP_1) | instid1(VALU_DEP_4)
	v_mad_u32 v1, v17, s39, v1
	v_mad_u32 v0, v17, s38, v0
	v_add_nc_u32_e32 v21, v20, v22
	s_delay_alu instid0(VALU_DEP_1) | instskip(NEXT) | instid1(VALU_DEP_1)
	v_dual_sub_nc_u32 v18, v19, v18 :: v_dual_lshrrev_b32 v17, s11, v21
	v_mad_u32 v1, v18, s41, v1
	s_delay_alu instid0(VALU_DEP_4) | instskip(NEXT) | instid1(VALU_DEP_3)
	v_mad_u32 v0, v18, s40, v0
	v_mul_lo_u32 v19, v17, s9
	s_delay_alu instid0(VALU_DEP_1) | instskip(NEXT) | instid1(VALU_DEP_1)
	v_sub_nc_u32_e32 v18, v20, v19
	v_mad_u32 v1, v18, s43, v1
	s_delay_alu instid0(VALU_DEP_4)
	v_mad_u32 v0, v18, s42, v0
	s_cbranch_scc1 .LBB61_104
; %bb.105:
	s_and_b32 s4, s1, 3
	s_mov_b32 s1, 0
	s_cmp_eq_u32 s4, 0
	s_cbranch_scc0 .LBB61_109
	s_branch .LBB61_111
.LBB61_106:
	s_mov_b32 s6, -1
                                        ; implicit-def: $vgpr1
	s_branch .LBB61_111
.LBB61_107:
	v_dual_mov_b32 v1, 0 :: v_dual_mov_b32 v0, 0
	s_branch .LBB61_111
.LBB61_108:
	v_mov_b64_e32 v[0:1], 0
	v_mov_b32_e32 v17, v15
	s_mov_b32 s0, 0
	s_and_b32 s4, s1, 3
	s_mov_b32 s1, 0
	s_cmp_eq_u32 s4, 0
	s_cbranch_scc1 .LBB61_111
.LBB61_109:
	s_lshl_b32 s2, s0, 3
	s_mov_b32 s3, s1
	s_mul_u64 s[8:9], s[0:1], 12
	s_add_nc_u64 s[2:3], s[12:13], s[2:3]
	s_delay_alu instid0(SALU_CYCLE_1)
	s_add_nc_u64 s[0:1], s[2:3], 0xc4
	s_add_nc_u64 s[2:3], s[12:13], s[8:9]
.LBB61_110:                             ; =>This Inner Loop Header: Depth=1
	s_load_b96 s[8:10], s[2:3], 0x4
	s_add_co_i32 s4, s4, -1
	s_wait_xcnt 0x0
	s_add_nc_u64 s[2:3], s[2:3], 12
	s_cmp_lg_u32 s4, 0
	s_wait_kmcnt 0x0
	v_mul_hi_u32 v18, s9, v17
	s_delay_alu instid0(VALU_DEP_1) | instskip(NEXT) | instid1(VALU_DEP_1)
	v_add_nc_u32_e32 v18, v17, v18
	v_lshrrev_b32_e32 v18, s10, v18
	s_load_b64 s[10:11], s[0:1], 0x0
	s_wait_xcnt 0x0
	s_add_nc_u64 s[0:1], s[0:1], 8
	s_delay_alu instid0(VALU_DEP_1) | instskip(NEXT) | instid1(VALU_DEP_1)
	v_mul_lo_u32 v19, v18, s8
	v_sub_nc_u32_e32 v17, v17, v19
	s_wait_kmcnt 0x0
	s_delay_alu instid0(VALU_DEP_1)
	v_mad_u32 v1, v17, s11, v1
	v_mad_u32 v0, v17, s10, v0
	v_mov_b32_e32 v17, v18
	s_cbranch_scc1 .LBB61_110
.LBB61_111:
	s_and_not1_b32 vcc_lo, exec_lo, s6
	s_cbranch_vccnz .LBB61_114
; %bb.112:
	s_clause 0x1
	s_load_b96 s[0:2], s[12:13], 0x4
	s_load_b64 s[4:5], s[12:13], 0xc4
	s_cmp_lt_u32 s30, 2
	s_wait_kmcnt 0x0
	v_mul_hi_u32 v0, s1, v15
	s_delay_alu instid0(VALU_DEP_1) | instskip(NEXT) | instid1(VALU_DEP_1)
	v_add_nc_u32_e32 v0, v15, v0
	v_lshrrev_b32_e32 v17, s2, v0
	s_delay_alu instid0(VALU_DEP_1) | instskip(NEXT) | instid1(VALU_DEP_1)
	v_mul_lo_u32 v0, v17, s0
	v_sub_nc_u32_e32 v0, v15, v0
	s_delay_alu instid0(VALU_DEP_1)
	v_mul_lo_u32 v1, v0, s5
	v_mul_lo_u32 v0, v0, s4
	s_cbranch_scc1 .LBB61_114
; %bb.113:
	s_clause 0x1
	s_load_b96 s[0:2], s[12:13], 0x10
	s_load_b64 s[4:5], s[12:13], 0xcc
	s_wait_kmcnt 0x0
	v_mul_hi_u32 v15, s1, v17
	s_delay_alu instid0(VALU_DEP_1) | instskip(NEXT) | instid1(VALU_DEP_1)
	v_add_nc_u32_e32 v15, v17, v15
	v_lshrrev_b32_e32 v15, s2, v15
	s_delay_alu instid0(VALU_DEP_1) | instskip(NEXT) | instid1(VALU_DEP_1)
	v_mul_lo_u32 v15, v15, s0
	v_sub_nc_u32_e32 v15, v17, v15
	s_delay_alu instid0(VALU_DEP_1)
	v_mad_u32 v0, v15, s4, v0
	v_mad_u32 v1, v15, s5, v1
.LBB61_114:
	v_cmp_ne_u32_e32 vcc_lo, 1, v14
	s_cbranch_vccnz .LBB61_120
; %bb.115:
	s_cmp_lg_u32 s30, 0
	s_mov_b32 s6, 0
	s_cbranch_scc0 .LBB61_121
; %bb.116:
	s_min_u32 s1, s31, 15
	s_delay_alu instid0(SALU_CYCLE_1)
	s_add_co_i32 s1, s1, 1
	s_cmp_eq_u32 s31, 2
	s_cbranch_scc1 .LBB61_122
; %bb.117:
	v_dual_mov_b32 v14, 0 :: v_dual_mov_b32 v15, 0
	v_mov_b32_e32 v17, v16
	s_and_b32 s0, s1, 28
	s_add_nc_u64 s[2:3], s[12:13], 0xc4
	s_mov_b32 s7, 0
	s_mov_b64 s[4:5], s[12:13]
.LBB61_118:                             ; =>This Inner Loop Header: Depth=1
	s_clause 0x1
	s_load_b256 s[16:23], s[4:5], 0x4
	s_load_b128 s[8:11], s[4:5], 0x24
	s_load_b256 s[36:43], s[2:3], 0x0
	s_add_co_i32 s7, s7, 4
	s_wait_xcnt 0x0
	s_add_nc_u64 s[4:5], s[4:5], 48
	s_cmp_lg_u32 s0, s7
	s_add_nc_u64 s[2:3], s[2:3], 32
	s_wait_kmcnt 0x0
	v_mul_hi_u32 v18, s17, v17
	s_delay_alu instid0(VALU_DEP_1) | instskip(NEXT) | instid1(VALU_DEP_1)
	v_add_nc_u32_e32 v18, v17, v18
	v_lshrrev_b32_e32 v18, s18, v18
	s_delay_alu instid0(VALU_DEP_1) | instskip(NEXT) | instid1(VALU_DEP_1)
	v_mul_hi_u32 v19, s20, v18
	v_add_nc_u32_e32 v19, v18, v19
	s_delay_alu instid0(VALU_DEP_1) | instskip(NEXT) | instid1(VALU_DEP_1)
	v_lshrrev_b32_e32 v19, s21, v19
	v_mul_hi_u32 v20, s23, v19
	s_delay_alu instid0(VALU_DEP_1) | instskip(SKIP_1) | instid1(VALU_DEP_1)
	v_add_nc_u32_e32 v20, v19, v20
	v_mul_lo_u32 v21, v18, s16
	v_sub_nc_u32_e32 v17, v17, v21
	v_mul_lo_u32 v21, v19, s19
	s_delay_alu instid0(VALU_DEP_4) | instskip(NEXT) | instid1(VALU_DEP_3)
	v_lshrrev_b32_e32 v20, s8, v20
	v_mad_u32 v15, v17, s37, v15
	v_mad_u32 v14, v17, s36, v14
	s_delay_alu instid0(VALU_DEP_4) | instskip(NEXT) | instid1(VALU_DEP_4)
	v_sub_nc_u32_e32 v17, v18, v21
	v_mul_hi_u32 v22, s10, v20
	v_mul_lo_u32 v18, v20, s22
	s_delay_alu instid0(VALU_DEP_3) | instskip(SKIP_1) | instid1(VALU_DEP_4)
	v_mad_u32 v15, v17, s39, v15
	v_mad_u32 v14, v17, s38, v14
	v_add_nc_u32_e32 v21, v20, v22
	s_delay_alu instid0(VALU_DEP_1) | instskip(NEXT) | instid1(VALU_DEP_1)
	v_dual_sub_nc_u32 v18, v19, v18 :: v_dual_lshrrev_b32 v17, s11, v21
	v_mad_u32 v15, v18, s41, v15
	s_delay_alu instid0(VALU_DEP_4) | instskip(NEXT) | instid1(VALU_DEP_3)
	v_mad_u32 v14, v18, s40, v14
	v_mul_lo_u32 v19, v17, s9
	s_delay_alu instid0(VALU_DEP_1) | instskip(NEXT) | instid1(VALU_DEP_1)
	v_sub_nc_u32_e32 v18, v20, v19
	v_mad_u32 v15, v18, s43, v15
	s_delay_alu instid0(VALU_DEP_4)
	v_mad_u32 v14, v18, s42, v14
	s_cbranch_scc1 .LBB61_118
; %bb.119:
	s_and_b32 s4, s1, 3
	s_mov_b32 s1, 0
	s_cmp_eq_u32 s4, 0
	s_cbranch_scc0 .LBB61_123
	s_branch .LBB61_125
.LBB61_120:
	s_mov_b32 s6, -1
                                        ; implicit-def: $vgpr15
	s_branch .LBB61_125
.LBB61_121:
	v_dual_mov_b32 v15, 0 :: v_dual_mov_b32 v14, 0
	s_branch .LBB61_125
.LBB61_122:
	v_mov_b64_e32 v[14:15], 0
	v_mov_b32_e32 v17, v16
	s_mov_b32 s0, 0
	s_and_b32 s4, s1, 3
	s_mov_b32 s1, 0
	s_cmp_eq_u32 s4, 0
	s_cbranch_scc1 .LBB61_125
.LBB61_123:
	s_lshl_b32 s2, s0, 3
	s_mov_b32 s3, s1
	s_mul_u64 s[8:9], s[0:1], 12
	s_add_nc_u64 s[2:3], s[12:13], s[2:3]
	s_delay_alu instid0(SALU_CYCLE_1)
	s_add_nc_u64 s[0:1], s[2:3], 0xc4
	s_add_nc_u64 s[2:3], s[12:13], s[8:9]
.LBB61_124:                             ; =>This Inner Loop Header: Depth=1
	s_load_b96 s[8:10], s[2:3], 0x4
	s_add_co_i32 s4, s4, -1
	s_wait_xcnt 0x0
	s_add_nc_u64 s[2:3], s[2:3], 12
	s_cmp_lg_u32 s4, 0
	s_wait_kmcnt 0x0
	v_mul_hi_u32 v18, s9, v17
	s_delay_alu instid0(VALU_DEP_1) | instskip(NEXT) | instid1(VALU_DEP_1)
	v_add_nc_u32_e32 v18, v17, v18
	v_lshrrev_b32_e32 v18, s10, v18
	s_load_b64 s[10:11], s[0:1], 0x0
	s_wait_xcnt 0x0
	s_add_nc_u64 s[0:1], s[0:1], 8
	s_delay_alu instid0(VALU_DEP_1) | instskip(NEXT) | instid1(VALU_DEP_1)
	v_mul_lo_u32 v19, v18, s8
	v_sub_nc_u32_e32 v17, v17, v19
	s_wait_kmcnt 0x0
	s_delay_alu instid0(VALU_DEP_1)
	v_mad_u32 v15, v17, s11, v15
	v_mad_u32 v14, v17, s10, v14
	v_mov_b32_e32 v17, v18
	s_cbranch_scc1 .LBB61_124
.LBB61_125:
	s_and_not1_b32 vcc_lo, exec_lo, s6
	s_cbranch_vccnz .LBB61_128
; %bb.126:
	s_clause 0x1
	s_load_b96 s[0:2], s[12:13], 0x4
	s_load_b64 s[4:5], s[12:13], 0xc4
	s_cmp_lt_u32 s30, 2
	s_wait_kmcnt 0x0
	v_mul_hi_u32 v14, s1, v16
	s_delay_alu instid0(VALU_DEP_1) | instskip(NEXT) | instid1(VALU_DEP_1)
	v_add_nc_u32_e32 v14, v16, v14
	v_lshrrev_b32_e32 v17, s2, v14
	s_delay_alu instid0(VALU_DEP_1) | instskip(NEXT) | instid1(VALU_DEP_1)
	v_mul_lo_u32 v14, v17, s0
	v_sub_nc_u32_e32 v14, v16, v14
	s_delay_alu instid0(VALU_DEP_1)
	v_mul_lo_u32 v15, v14, s5
	v_mul_lo_u32 v14, v14, s4
	s_cbranch_scc1 .LBB61_128
; %bb.127:
	s_clause 0x1
	s_load_b96 s[0:2], s[12:13], 0x10
	s_load_b64 s[4:5], s[12:13], 0xcc
	s_wait_kmcnt 0x0
	v_mul_hi_u32 v16, s1, v17
	s_delay_alu instid0(VALU_DEP_1) | instskip(NEXT) | instid1(VALU_DEP_1)
	v_add_nc_u32_e32 v16, v17, v16
	v_lshrrev_b32_e32 v16, s2, v16
	s_delay_alu instid0(VALU_DEP_1) | instskip(NEXT) | instid1(VALU_DEP_1)
	v_mul_lo_u32 v16, v16, s0
	v_sub_nc_u32_e32 v16, v17, v16
	s_delay_alu instid0(VALU_DEP_1)
	v_mad_u32 v14, v16, s4, v14
	v_mad_u32 v15, v16, s5, v15
.LBB61_128:
	s_clause 0x2
	s_load_b128 s[8:11], s[12:13], 0x148
	s_load_b32 s0, s[12:13], 0x158
	s_load_b64 s[6:7], s[12:13], 0x160
	s_wait_kmcnt 0x0
	s_clause 0x7
	global_load_b64 v[16:17], v3, s[10:11]
	global_load_b64 v[18:19], v5, s[10:11]
	;; [unrolled: 1-line block ×8, first 2 shown]
	s_cmp_eq_u32 s0, 0
	s_wait_xcnt 0x0
	s_cselect_b32 s10, -1, 0
	s_wait_loadcnt 0x7
	v_cmp_ne_u64_e32 vcc_lo, s[6:7], v[16:17]
	s_wait_loadcnt 0x6
	v_cmp_ne_u64_e64 s0, s[6:7], v[18:19]
	s_wait_loadcnt 0x5
	v_cmp_ne_u64_e64 s1, s[6:7], v[20:21]
	s_wait_loadcnt 0x4
	v_cmp_ne_u64_e64 s2, s[6:7], v[22:23]
	s_wait_loadcnt 0x3
	v_cmp_ne_u64_e64 s3, s[6:7], v[24:25]
	s_wait_loadcnt 0x2
	v_cmp_ne_u64_e64 s4, s[6:7], v[26:27]
	s_wait_loadcnt 0x1
	v_cmp_ne_u64_e64 s5, s[6:7], v[28:29]
	s_wait_loadcnt 0x0
	v_cmp_ne_u64_e64 s6, s[6:7], v[30:31]
	s_xor_b32 s0, s10, s0
	s_xor_b32 s7, s10, vcc_lo
	v_cndmask_b32_e64 v3, 0, 1, s0
	s_xor_b32 s0, s10, s1
	v_cndmask_b32_e64 v1, 0, 1, s7
	v_cndmask_b32_e64 v5, 0, 1, s0
	s_xor_b32 s0, s10, s2
	s_delay_alu instid0(SALU_CYCLE_1) | instskip(SKIP_1) | instid1(SALU_CYCLE_1)
	v_cndmask_b32_e64 v7, 0, 1, s0
	s_xor_b32 s0, s10, s3
	v_cndmask_b32_e64 v9, 0, 1, s0
	s_xor_b32 s0, s10, s4
	s_delay_alu instid0(SALU_CYCLE_1) | instskip(SKIP_1) | instid1(SALU_CYCLE_1)
	v_cndmask_b32_e64 v11, 0, 1, s0
	s_xor_b32 s0, s10, s5
	v_cndmask_b32_e64 v13, 0, 1, s0
	s_xor_b32 s0, s10, s6
	s_delay_alu instid0(SALU_CYCLE_1)
	v_cndmask_b32_e64 v15, 0, 1, s0
	s_clause 0x7
	global_store_b8 v2, v1, s[8:9]
	global_store_b8 v4, v3, s[8:9]
	;; [unrolled: 1-line block ×8, first 2 shown]
	s_endpgm
.LBB61_129:
	v_dual_mov_b32 v3, 0 :: v_dual_mov_b32 v2, 0
	s_branch .LBB61_135
.LBB61_130:
	v_dual_mov_b32 v3, 0 :: v_dual_mov_b32 v2, 0
	s_branch .LBB61_151
.LBB61_131:
	v_mov_b64_e32 v[2:3], 0
	v_mov_b32_e32 v1, v0
	s_mov_b32 s24, 0
.LBB61_132:
	s_and_b32 s28, s25, 3
	s_mov_b32 s25, 0
	s_cmp_eq_u32 s28, 0
	s_cbranch_scc1 .LBB61_135
; %bb.133:
	s_lshl_b32 s26, s24, 3
	s_mov_b32 s27, s25
	s_mul_u64 s[40:41], s[24:25], 12
	s_add_nc_u64 s[26:27], s[12:13], s[26:27]
	s_delay_alu instid0(SALU_CYCLE_1)
	s_add_nc_u64 s[24:25], s[26:27], 0xc4
	s_add_nc_u64 s[26:27], s[12:13], s[40:41]
.LBB61_134:                             ; =>This Inner Loop Header: Depth=1
	s_load_b96 s[40:42], s[26:27], 0x4
	s_add_co_i32 s28, s28, -1
	s_wait_xcnt 0x0
	s_add_nc_u64 s[26:27], s[26:27], 12
	s_cmp_lg_u32 s28, 0
	s_wait_kmcnt 0x0
	v_mul_hi_u32 v4, s41, v1
	s_delay_alu instid0(VALU_DEP_1) | instskip(NEXT) | instid1(VALU_DEP_1)
	v_add_nc_u32_e32 v4, v1, v4
	v_lshrrev_b32_e32 v4, s42, v4
	s_load_b64 s[42:43], s[24:25], 0x0
	s_wait_xcnt 0x0
	s_add_nc_u64 s[24:25], s[24:25], 8
	s_delay_alu instid0(VALU_DEP_1) | instskip(NEXT) | instid1(VALU_DEP_1)
	v_mul_lo_u32 v5, v4, s40
	v_sub_nc_u32_e32 v1, v1, v5
	s_wait_kmcnt 0x0
	s_delay_alu instid0(VALU_DEP_1)
	v_mad_u32 v3, v1, s43, v3
	v_mad_u32 v2, v1, s42, v2
	v_mov_b32_e32 v1, v4
	s_cbranch_scc1 .LBB61_134
.LBB61_135:
	s_cbranch_execnz .LBB61_138
.LBB61_136:
	v_mov_b32_e32 v1, 0
	s_and_not1_b32 vcc_lo, exec_lo, s35
	s_delay_alu instid0(VALU_DEP_1) | instskip(NEXT) | instid1(VALU_DEP_1)
	v_mul_u64_e32 v[2:3], s[18:19], v[0:1]
	v_add_nc_u32_e32 v2, v0, v3
	s_delay_alu instid0(VALU_DEP_1) | instskip(NEXT) | instid1(VALU_DEP_1)
	v_lshrrev_b32_e32 v4, s6, v2
	v_mul_lo_u32 v2, v4, s4
	s_delay_alu instid0(VALU_DEP_1) | instskip(NEXT) | instid1(VALU_DEP_1)
	v_sub_nc_u32_e32 v2, v0, v2
	v_mul_lo_u32 v3, v2, s9
	v_mul_lo_u32 v2, v2, s8
	s_cbranch_vccnz .LBB61_138
; %bb.137:
	v_mov_b32_e32 v5, v1
	s_delay_alu instid0(VALU_DEP_1) | instskip(NEXT) | instid1(VALU_DEP_1)
	v_mul_u64_e32 v[6:7], s[20:21], v[4:5]
	v_add_nc_u32_e32 v1, v4, v7
	s_delay_alu instid0(VALU_DEP_1) | instskip(NEXT) | instid1(VALU_DEP_1)
	v_lshrrev_b32_e32 v1, s17, v1
	v_mul_lo_u32 v1, v1, s7
	s_delay_alu instid0(VALU_DEP_1) | instskip(NEXT) | instid1(VALU_DEP_1)
	v_sub_nc_u32_e32 v1, v4, v1
	v_mad_u32 v2, v1, s10, v2
	v_mad_u32 v3, v1, s11, v3
.LBB61_138:
	global_load_b64 v[4:5], v3, s[2:3]
	v_add_nc_u32_e32 v0, 0x80, v0
	s_wait_loadcnt 0x0
	v_cmp_ne_u64_e32 vcc_lo, s[14:15], v[4:5]
	s_xor_b32 s24, s5, vcc_lo
	s_delay_alu instid0(SALU_CYCLE_1) | instskip(SKIP_3) | instid1(SALU_CYCLE_1)
	v_cndmask_b32_e64 v1, 0, 1, s24
	global_store_b8 v2, v1, s[0:1]
	s_wait_xcnt 0x0
	s_or_b32 exec_lo, exec_lo, s16
	s_mov_b32 s16, exec_lo
	v_cmpx_gt_i32_e64 s36, v0
	s_cbranch_execnz .LBB61_15
.LBB61_139:
	s_or_b32 exec_lo, exec_lo, s16
	s_delay_alu instid0(SALU_CYCLE_1)
	s_mov_b32 s16, exec_lo
	v_cmpx_gt_i32_e64 s36, v0
	s_cbranch_execz .LBB61_155
.LBB61_140:
	s_and_not1_b32 vcc_lo, exec_lo, s33
	s_cbranch_vccnz .LBB61_145
; %bb.141:
	s_and_not1_b32 vcc_lo, exec_lo, s38
	s_cbranch_vccnz .LBB61_146
; %bb.142:
	s_add_co_i32 s25, s37, 1
	s_cmp_eq_u32 s31, 2
	s_cbranch_scc1 .LBB61_163
; %bb.143:
	v_dual_mov_b32 v2, 0 :: v_dual_mov_b32 v3, 0
	v_mov_b32_e32 v1, v0
	s_and_b32 s24, s25, 28
	s_mov_b32 s39, 0
	s_mov_b64 s[26:27], s[12:13]
	s_mov_b64 s[28:29], s[22:23]
.LBB61_144:                             ; =>This Inner Loop Header: Depth=1
	s_clause 0x1
	s_load_b256 s[40:47], s[26:27], 0x4
	s_load_b128 s[56:59], s[26:27], 0x24
	s_load_b256 s[48:55], s[28:29], 0x0
	s_add_co_i32 s39, s39, 4
	s_wait_xcnt 0x0
	s_add_nc_u64 s[26:27], s[26:27], 48
	s_cmp_eq_u32 s24, s39
	s_add_nc_u64 s[28:29], s[28:29], 32
	s_wait_kmcnt 0x0
	v_mul_hi_u32 v4, s41, v1
	s_delay_alu instid0(VALU_DEP_1) | instskip(NEXT) | instid1(VALU_DEP_1)
	v_add_nc_u32_e32 v4, v1, v4
	v_lshrrev_b32_e32 v4, s42, v4
	s_delay_alu instid0(VALU_DEP_1) | instskip(NEXT) | instid1(VALU_DEP_1)
	v_mul_hi_u32 v5, s44, v4
	v_add_nc_u32_e32 v5, v4, v5
	s_delay_alu instid0(VALU_DEP_1) | instskip(NEXT) | instid1(VALU_DEP_1)
	v_lshrrev_b32_e32 v5, s45, v5
	v_mul_hi_u32 v6, s47, v5
	s_delay_alu instid0(VALU_DEP_1) | instskip(SKIP_1) | instid1(VALU_DEP_1)
	v_add_nc_u32_e32 v6, v5, v6
	v_mul_lo_u32 v7, v4, s40
	v_sub_nc_u32_e32 v1, v1, v7
	v_mul_lo_u32 v7, v5, s43
	s_delay_alu instid0(VALU_DEP_4) | instskip(NEXT) | instid1(VALU_DEP_3)
	v_lshrrev_b32_e32 v6, s56, v6
	v_mad_u32 v3, v1, s49, v3
	v_mad_u32 v1, v1, s48, v2
	s_delay_alu instid0(VALU_DEP_4) | instskip(NEXT) | instid1(VALU_DEP_4)
	v_sub_nc_u32_e32 v2, v4, v7
	v_mul_hi_u32 v8, s58, v6
	v_mul_lo_u32 v4, v6, s46
	s_delay_alu instid0(VALU_DEP_3) | instskip(SKIP_1) | instid1(VALU_DEP_4)
	v_mad_u32 v3, v2, s51, v3
	v_mad_u32 v2, v2, s50, v1
	v_add_nc_u32_e32 v7, v6, v8
	s_delay_alu instid0(VALU_DEP_1) | instskip(NEXT) | instid1(VALU_DEP_1)
	v_dual_sub_nc_u32 v4, v5, v4 :: v_dual_lshrrev_b32 v1, s59, v7
	v_mad_u32 v3, v4, s53, v3
	s_delay_alu instid0(VALU_DEP_4) | instskip(NEXT) | instid1(VALU_DEP_3)
	v_mad_u32 v2, v4, s52, v2
	v_mul_lo_u32 v5, v1, s57
	s_delay_alu instid0(VALU_DEP_1) | instskip(NEXT) | instid1(VALU_DEP_1)
	v_sub_nc_u32_e32 v4, v6, v5
	v_mad_u32 v3, v4, s55, v3
	s_delay_alu instid0(VALU_DEP_4)
	v_mad_u32 v2, v4, s54, v2
	s_cbranch_scc0 .LBB61_144
	s_branch .LBB61_164
.LBB61_145:
                                        ; implicit-def: $vgpr3
	s_branch .LBB61_168
.LBB61_146:
	v_dual_mov_b32 v3, 0 :: v_dual_mov_b32 v2, 0
	s_branch .LBB61_167
.LBB61_147:
	v_mov_b64_e32 v[2:3], 0
	v_mov_b32_e32 v1, v0
	s_mov_b32 s24, 0
.LBB61_148:
	s_and_b32 s28, s25, 3
	s_mov_b32 s25, 0
	s_cmp_eq_u32 s28, 0
	s_cbranch_scc1 .LBB61_151
; %bb.149:
	s_lshl_b32 s26, s24, 3
	s_mov_b32 s27, s25
	s_mul_u64 s[40:41], s[24:25], 12
	s_add_nc_u64 s[26:27], s[12:13], s[26:27]
	s_delay_alu instid0(SALU_CYCLE_1)
	s_add_nc_u64 s[24:25], s[26:27], 0xc4
	s_add_nc_u64 s[26:27], s[12:13], s[40:41]
.LBB61_150:                             ; =>This Inner Loop Header: Depth=1
	s_load_b96 s[40:42], s[26:27], 0x4
	s_add_co_i32 s28, s28, -1
	s_wait_xcnt 0x0
	s_add_nc_u64 s[26:27], s[26:27], 12
	s_cmp_lg_u32 s28, 0
	s_wait_kmcnt 0x0
	v_mul_hi_u32 v4, s41, v1
	s_delay_alu instid0(VALU_DEP_1) | instskip(NEXT) | instid1(VALU_DEP_1)
	v_add_nc_u32_e32 v4, v1, v4
	v_lshrrev_b32_e32 v4, s42, v4
	s_load_b64 s[42:43], s[24:25], 0x0
	s_wait_xcnt 0x0
	s_add_nc_u64 s[24:25], s[24:25], 8
	s_delay_alu instid0(VALU_DEP_1) | instskip(NEXT) | instid1(VALU_DEP_1)
	v_mul_lo_u32 v5, v4, s40
	v_sub_nc_u32_e32 v1, v1, v5
	s_wait_kmcnt 0x0
	s_delay_alu instid0(VALU_DEP_1)
	v_mad_u32 v3, v1, s43, v3
	v_mad_u32 v2, v1, s42, v2
	v_mov_b32_e32 v1, v4
	s_cbranch_scc1 .LBB61_150
.LBB61_151:
	s_cbranch_execnz .LBB61_154
.LBB61_152:
	v_mov_b32_e32 v1, 0
	s_and_not1_b32 vcc_lo, exec_lo, s35
	s_delay_alu instid0(VALU_DEP_1) | instskip(NEXT) | instid1(VALU_DEP_1)
	v_mul_u64_e32 v[2:3], s[18:19], v[0:1]
	v_add_nc_u32_e32 v2, v0, v3
	s_delay_alu instid0(VALU_DEP_1) | instskip(NEXT) | instid1(VALU_DEP_1)
	v_lshrrev_b32_e32 v4, s6, v2
	v_mul_lo_u32 v2, v4, s4
	s_delay_alu instid0(VALU_DEP_1) | instskip(NEXT) | instid1(VALU_DEP_1)
	v_sub_nc_u32_e32 v2, v0, v2
	v_mul_lo_u32 v3, v2, s9
	v_mul_lo_u32 v2, v2, s8
	s_cbranch_vccnz .LBB61_154
; %bb.153:
	v_mov_b32_e32 v5, v1
	s_delay_alu instid0(VALU_DEP_1) | instskip(NEXT) | instid1(VALU_DEP_1)
	v_mul_u64_e32 v[6:7], s[20:21], v[4:5]
	v_add_nc_u32_e32 v1, v4, v7
	s_delay_alu instid0(VALU_DEP_1) | instskip(NEXT) | instid1(VALU_DEP_1)
	v_lshrrev_b32_e32 v1, s17, v1
	v_mul_lo_u32 v1, v1, s7
	s_delay_alu instid0(VALU_DEP_1) | instskip(NEXT) | instid1(VALU_DEP_1)
	v_sub_nc_u32_e32 v1, v4, v1
	v_mad_u32 v2, v1, s10, v2
	v_mad_u32 v3, v1, s11, v3
.LBB61_154:
	global_load_b64 v[4:5], v3, s[2:3]
	v_add_nc_u32_e32 v0, 0x80, v0
	s_wait_loadcnt 0x0
	v_cmp_ne_u64_e32 vcc_lo, s[14:15], v[4:5]
	s_xor_b32 s24, s5, vcc_lo
	s_delay_alu instid0(SALU_CYCLE_1) | instskip(SKIP_3) | instid1(SALU_CYCLE_1)
	v_cndmask_b32_e64 v1, 0, 1, s24
	global_store_b8 v2, v1, s[0:1]
	s_wait_xcnt 0x0
	s_or_b32 exec_lo, exec_lo, s16
	s_mov_b32 s16, exec_lo
	v_cmpx_gt_i32_e64 s36, v0
	s_cbranch_execnz .LBB61_140
.LBB61_155:
	s_or_b32 exec_lo, exec_lo, s16
	s_delay_alu instid0(SALU_CYCLE_1)
	s_mov_b32 s16, exec_lo
	v_cmpx_gt_i32_e64 s36, v0
	s_cbranch_execz .LBB61_171
.LBB61_156:
	s_and_not1_b32 vcc_lo, exec_lo, s33
	s_cbranch_vccnz .LBB61_161
; %bb.157:
	s_and_not1_b32 vcc_lo, exec_lo, s38
	s_cbranch_vccnz .LBB61_162
; %bb.158:
	s_add_co_i32 s25, s37, 1
	s_cmp_eq_u32 s31, 2
	s_cbranch_scc1 .LBB61_179
; %bb.159:
	v_dual_mov_b32 v2, 0 :: v_dual_mov_b32 v3, 0
	v_mov_b32_e32 v1, v0
	s_and_b32 s24, s25, 28
	s_mov_b32 s39, 0
	s_mov_b64 s[26:27], s[12:13]
	s_mov_b64 s[28:29], s[22:23]
.LBB61_160:                             ; =>This Inner Loop Header: Depth=1
	s_clause 0x1
	s_load_b256 s[40:47], s[26:27], 0x4
	s_load_b128 s[56:59], s[26:27], 0x24
	s_load_b256 s[48:55], s[28:29], 0x0
	s_add_co_i32 s39, s39, 4
	s_wait_xcnt 0x0
	s_add_nc_u64 s[26:27], s[26:27], 48
	s_cmp_eq_u32 s24, s39
	s_add_nc_u64 s[28:29], s[28:29], 32
	s_wait_kmcnt 0x0
	v_mul_hi_u32 v4, s41, v1
	s_delay_alu instid0(VALU_DEP_1) | instskip(NEXT) | instid1(VALU_DEP_1)
	v_add_nc_u32_e32 v4, v1, v4
	v_lshrrev_b32_e32 v4, s42, v4
	s_delay_alu instid0(VALU_DEP_1) | instskip(NEXT) | instid1(VALU_DEP_1)
	v_mul_hi_u32 v5, s44, v4
	v_add_nc_u32_e32 v5, v4, v5
	s_delay_alu instid0(VALU_DEP_1) | instskip(NEXT) | instid1(VALU_DEP_1)
	v_lshrrev_b32_e32 v5, s45, v5
	v_mul_hi_u32 v6, s47, v5
	s_delay_alu instid0(VALU_DEP_1) | instskip(SKIP_1) | instid1(VALU_DEP_1)
	v_add_nc_u32_e32 v6, v5, v6
	v_mul_lo_u32 v7, v4, s40
	v_sub_nc_u32_e32 v1, v1, v7
	v_mul_lo_u32 v7, v5, s43
	s_delay_alu instid0(VALU_DEP_4) | instskip(NEXT) | instid1(VALU_DEP_3)
	v_lshrrev_b32_e32 v6, s56, v6
	v_mad_u32 v3, v1, s49, v3
	v_mad_u32 v1, v1, s48, v2
	s_delay_alu instid0(VALU_DEP_4) | instskip(NEXT) | instid1(VALU_DEP_4)
	v_sub_nc_u32_e32 v2, v4, v7
	v_mul_hi_u32 v8, s58, v6
	v_mul_lo_u32 v4, v6, s46
	s_delay_alu instid0(VALU_DEP_3) | instskip(SKIP_1) | instid1(VALU_DEP_4)
	v_mad_u32 v3, v2, s51, v3
	v_mad_u32 v2, v2, s50, v1
	v_add_nc_u32_e32 v7, v6, v8
	s_delay_alu instid0(VALU_DEP_1) | instskip(NEXT) | instid1(VALU_DEP_1)
	v_dual_sub_nc_u32 v4, v5, v4 :: v_dual_lshrrev_b32 v1, s59, v7
	v_mad_u32 v3, v4, s53, v3
	s_delay_alu instid0(VALU_DEP_4) | instskip(NEXT) | instid1(VALU_DEP_3)
	v_mad_u32 v2, v4, s52, v2
	v_mul_lo_u32 v5, v1, s57
	s_delay_alu instid0(VALU_DEP_1) | instskip(NEXT) | instid1(VALU_DEP_1)
	v_sub_nc_u32_e32 v4, v6, v5
	v_mad_u32 v3, v4, s55, v3
	s_delay_alu instid0(VALU_DEP_4)
	v_mad_u32 v2, v4, s54, v2
	s_cbranch_scc0 .LBB61_160
	s_branch .LBB61_180
.LBB61_161:
                                        ; implicit-def: $vgpr3
	s_branch .LBB61_184
.LBB61_162:
	v_dual_mov_b32 v3, 0 :: v_dual_mov_b32 v2, 0
	s_branch .LBB61_183
.LBB61_163:
	v_mov_b64_e32 v[2:3], 0
	v_mov_b32_e32 v1, v0
	s_mov_b32 s24, 0
.LBB61_164:
	s_and_b32 s28, s25, 3
	s_mov_b32 s25, 0
	s_cmp_eq_u32 s28, 0
	s_cbranch_scc1 .LBB61_167
; %bb.165:
	s_lshl_b32 s26, s24, 3
	s_mov_b32 s27, s25
	s_mul_u64 s[40:41], s[24:25], 12
	s_add_nc_u64 s[26:27], s[12:13], s[26:27]
	s_delay_alu instid0(SALU_CYCLE_1)
	s_add_nc_u64 s[24:25], s[26:27], 0xc4
	s_add_nc_u64 s[26:27], s[12:13], s[40:41]
.LBB61_166:                             ; =>This Inner Loop Header: Depth=1
	s_load_b96 s[40:42], s[26:27], 0x4
	s_add_co_i32 s28, s28, -1
	s_wait_xcnt 0x0
	s_add_nc_u64 s[26:27], s[26:27], 12
	s_cmp_lg_u32 s28, 0
	s_wait_kmcnt 0x0
	v_mul_hi_u32 v4, s41, v1
	s_delay_alu instid0(VALU_DEP_1) | instskip(NEXT) | instid1(VALU_DEP_1)
	v_add_nc_u32_e32 v4, v1, v4
	v_lshrrev_b32_e32 v4, s42, v4
	s_load_b64 s[42:43], s[24:25], 0x0
	s_wait_xcnt 0x0
	s_add_nc_u64 s[24:25], s[24:25], 8
	s_delay_alu instid0(VALU_DEP_1) | instskip(NEXT) | instid1(VALU_DEP_1)
	v_mul_lo_u32 v5, v4, s40
	v_sub_nc_u32_e32 v1, v1, v5
	s_wait_kmcnt 0x0
	s_delay_alu instid0(VALU_DEP_1)
	v_mad_u32 v3, v1, s43, v3
	v_mad_u32 v2, v1, s42, v2
	v_mov_b32_e32 v1, v4
	s_cbranch_scc1 .LBB61_166
.LBB61_167:
	s_cbranch_execnz .LBB61_170
.LBB61_168:
	v_mov_b32_e32 v1, 0
	s_and_not1_b32 vcc_lo, exec_lo, s35
	s_delay_alu instid0(VALU_DEP_1) | instskip(NEXT) | instid1(VALU_DEP_1)
	v_mul_u64_e32 v[2:3], s[18:19], v[0:1]
	v_add_nc_u32_e32 v2, v0, v3
	s_delay_alu instid0(VALU_DEP_1) | instskip(NEXT) | instid1(VALU_DEP_1)
	v_lshrrev_b32_e32 v4, s6, v2
	v_mul_lo_u32 v2, v4, s4
	s_delay_alu instid0(VALU_DEP_1) | instskip(NEXT) | instid1(VALU_DEP_1)
	v_sub_nc_u32_e32 v2, v0, v2
	v_mul_lo_u32 v3, v2, s9
	v_mul_lo_u32 v2, v2, s8
	s_cbranch_vccnz .LBB61_170
; %bb.169:
	v_mov_b32_e32 v5, v1
	s_delay_alu instid0(VALU_DEP_1) | instskip(NEXT) | instid1(VALU_DEP_1)
	v_mul_u64_e32 v[6:7], s[20:21], v[4:5]
	v_add_nc_u32_e32 v1, v4, v7
	s_delay_alu instid0(VALU_DEP_1) | instskip(NEXT) | instid1(VALU_DEP_1)
	v_lshrrev_b32_e32 v1, s17, v1
	v_mul_lo_u32 v1, v1, s7
	s_delay_alu instid0(VALU_DEP_1) | instskip(NEXT) | instid1(VALU_DEP_1)
	v_sub_nc_u32_e32 v1, v4, v1
	v_mad_u32 v2, v1, s10, v2
	v_mad_u32 v3, v1, s11, v3
.LBB61_170:
	global_load_b64 v[4:5], v3, s[2:3]
	v_add_nc_u32_e32 v0, 0x80, v0
	s_wait_loadcnt 0x0
	v_cmp_ne_u64_e32 vcc_lo, s[14:15], v[4:5]
	s_xor_b32 s24, s5, vcc_lo
	s_delay_alu instid0(SALU_CYCLE_1) | instskip(SKIP_3) | instid1(SALU_CYCLE_1)
	v_cndmask_b32_e64 v1, 0, 1, s24
	global_store_b8 v2, v1, s[0:1]
	s_wait_xcnt 0x0
	s_or_b32 exec_lo, exec_lo, s16
	s_mov_b32 s16, exec_lo
	v_cmpx_gt_i32_e64 s36, v0
	s_cbranch_execnz .LBB61_156
.LBB61_171:
	s_or_b32 exec_lo, exec_lo, s16
	s_delay_alu instid0(SALU_CYCLE_1)
	s_mov_b32 s16, exec_lo
	v_cmpx_gt_i32_e64 s36, v0
	s_cbranch_execz .LBB61_187
.LBB61_172:
	s_and_not1_b32 vcc_lo, exec_lo, s33
	s_cbranch_vccnz .LBB61_177
; %bb.173:
	s_and_not1_b32 vcc_lo, exec_lo, s38
	s_cbranch_vccnz .LBB61_178
; %bb.174:
	s_add_co_i32 s25, s37, 1
	s_cmp_eq_u32 s31, 2
	s_cbranch_scc1 .LBB61_195
; %bb.175:
	v_dual_mov_b32 v2, 0 :: v_dual_mov_b32 v3, 0
	v_mov_b32_e32 v1, v0
	s_and_b32 s24, s25, 28
	s_mov_b32 s39, 0
	s_mov_b64 s[26:27], s[12:13]
	s_mov_b64 s[28:29], s[22:23]
.LBB61_176:                             ; =>This Inner Loop Header: Depth=1
	s_clause 0x1
	s_load_b256 s[40:47], s[26:27], 0x4
	s_load_b128 s[56:59], s[26:27], 0x24
	s_load_b256 s[48:55], s[28:29], 0x0
	s_add_co_i32 s39, s39, 4
	s_wait_xcnt 0x0
	s_add_nc_u64 s[26:27], s[26:27], 48
	s_cmp_eq_u32 s24, s39
	s_add_nc_u64 s[28:29], s[28:29], 32
	s_wait_kmcnt 0x0
	v_mul_hi_u32 v4, s41, v1
	s_delay_alu instid0(VALU_DEP_1) | instskip(NEXT) | instid1(VALU_DEP_1)
	v_add_nc_u32_e32 v4, v1, v4
	v_lshrrev_b32_e32 v4, s42, v4
	s_delay_alu instid0(VALU_DEP_1) | instskip(NEXT) | instid1(VALU_DEP_1)
	v_mul_hi_u32 v5, s44, v4
	v_add_nc_u32_e32 v5, v4, v5
	s_delay_alu instid0(VALU_DEP_1) | instskip(NEXT) | instid1(VALU_DEP_1)
	v_lshrrev_b32_e32 v5, s45, v5
	v_mul_hi_u32 v6, s47, v5
	s_delay_alu instid0(VALU_DEP_1) | instskip(SKIP_1) | instid1(VALU_DEP_1)
	v_add_nc_u32_e32 v6, v5, v6
	v_mul_lo_u32 v7, v4, s40
	v_sub_nc_u32_e32 v1, v1, v7
	v_mul_lo_u32 v7, v5, s43
	s_delay_alu instid0(VALU_DEP_4) | instskip(NEXT) | instid1(VALU_DEP_3)
	v_lshrrev_b32_e32 v6, s56, v6
	v_mad_u32 v3, v1, s49, v3
	v_mad_u32 v1, v1, s48, v2
	s_delay_alu instid0(VALU_DEP_4) | instskip(NEXT) | instid1(VALU_DEP_4)
	v_sub_nc_u32_e32 v2, v4, v7
	v_mul_hi_u32 v8, s58, v6
	v_mul_lo_u32 v4, v6, s46
	s_delay_alu instid0(VALU_DEP_3) | instskip(SKIP_1) | instid1(VALU_DEP_4)
	v_mad_u32 v3, v2, s51, v3
	v_mad_u32 v2, v2, s50, v1
	v_add_nc_u32_e32 v7, v6, v8
	s_delay_alu instid0(VALU_DEP_1) | instskip(NEXT) | instid1(VALU_DEP_1)
	v_dual_sub_nc_u32 v4, v5, v4 :: v_dual_lshrrev_b32 v1, s59, v7
	v_mad_u32 v3, v4, s53, v3
	s_delay_alu instid0(VALU_DEP_4) | instskip(NEXT) | instid1(VALU_DEP_3)
	v_mad_u32 v2, v4, s52, v2
	v_mul_lo_u32 v5, v1, s57
	s_delay_alu instid0(VALU_DEP_1) | instskip(NEXT) | instid1(VALU_DEP_1)
	v_sub_nc_u32_e32 v4, v6, v5
	v_mad_u32 v3, v4, s55, v3
	s_delay_alu instid0(VALU_DEP_4)
	v_mad_u32 v2, v4, s54, v2
	s_cbranch_scc0 .LBB61_176
	s_branch .LBB61_196
.LBB61_177:
                                        ; implicit-def: $vgpr3
	s_branch .LBB61_200
.LBB61_178:
	v_dual_mov_b32 v3, 0 :: v_dual_mov_b32 v2, 0
	s_branch .LBB61_199
.LBB61_179:
	v_mov_b64_e32 v[2:3], 0
	v_mov_b32_e32 v1, v0
	s_mov_b32 s24, 0
.LBB61_180:
	s_and_b32 s28, s25, 3
	s_mov_b32 s25, 0
	s_cmp_eq_u32 s28, 0
	s_cbranch_scc1 .LBB61_183
; %bb.181:
	s_lshl_b32 s26, s24, 3
	s_mov_b32 s27, s25
	s_mul_u64 s[40:41], s[24:25], 12
	s_add_nc_u64 s[26:27], s[12:13], s[26:27]
	s_delay_alu instid0(SALU_CYCLE_1)
	s_add_nc_u64 s[24:25], s[26:27], 0xc4
	s_add_nc_u64 s[26:27], s[12:13], s[40:41]
.LBB61_182:                             ; =>This Inner Loop Header: Depth=1
	s_load_b96 s[40:42], s[26:27], 0x4
	s_add_co_i32 s28, s28, -1
	s_wait_xcnt 0x0
	s_add_nc_u64 s[26:27], s[26:27], 12
	s_cmp_lg_u32 s28, 0
	s_wait_kmcnt 0x0
	v_mul_hi_u32 v4, s41, v1
	s_delay_alu instid0(VALU_DEP_1) | instskip(NEXT) | instid1(VALU_DEP_1)
	v_add_nc_u32_e32 v4, v1, v4
	v_lshrrev_b32_e32 v4, s42, v4
	s_load_b64 s[42:43], s[24:25], 0x0
	s_wait_xcnt 0x0
	s_add_nc_u64 s[24:25], s[24:25], 8
	s_delay_alu instid0(VALU_DEP_1) | instskip(NEXT) | instid1(VALU_DEP_1)
	v_mul_lo_u32 v5, v4, s40
	v_sub_nc_u32_e32 v1, v1, v5
	s_wait_kmcnt 0x0
	s_delay_alu instid0(VALU_DEP_1)
	v_mad_u32 v3, v1, s43, v3
	v_mad_u32 v2, v1, s42, v2
	v_mov_b32_e32 v1, v4
	s_cbranch_scc1 .LBB61_182
.LBB61_183:
	s_cbranch_execnz .LBB61_186
.LBB61_184:
	v_mov_b32_e32 v1, 0
	s_and_not1_b32 vcc_lo, exec_lo, s35
	s_delay_alu instid0(VALU_DEP_1) | instskip(NEXT) | instid1(VALU_DEP_1)
	v_mul_u64_e32 v[2:3], s[18:19], v[0:1]
	v_add_nc_u32_e32 v2, v0, v3
	s_delay_alu instid0(VALU_DEP_1) | instskip(NEXT) | instid1(VALU_DEP_1)
	v_lshrrev_b32_e32 v4, s6, v2
	v_mul_lo_u32 v2, v4, s4
	s_delay_alu instid0(VALU_DEP_1) | instskip(NEXT) | instid1(VALU_DEP_1)
	v_sub_nc_u32_e32 v2, v0, v2
	v_mul_lo_u32 v3, v2, s9
	v_mul_lo_u32 v2, v2, s8
	s_cbranch_vccnz .LBB61_186
; %bb.185:
	v_mov_b32_e32 v5, v1
	s_delay_alu instid0(VALU_DEP_1) | instskip(NEXT) | instid1(VALU_DEP_1)
	v_mul_u64_e32 v[6:7], s[20:21], v[4:5]
	v_add_nc_u32_e32 v1, v4, v7
	s_delay_alu instid0(VALU_DEP_1) | instskip(NEXT) | instid1(VALU_DEP_1)
	v_lshrrev_b32_e32 v1, s17, v1
	v_mul_lo_u32 v1, v1, s7
	s_delay_alu instid0(VALU_DEP_1) | instskip(NEXT) | instid1(VALU_DEP_1)
	v_sub_nc_u32_e32 v1, v4, v1
	v_mad_u32 v2, v1, s10, v2
	v_mad_u32 v3, v1, s11, v3
.LBB61_186:
	global_load_b64 v[4:5], v3, s[2:3]
	v_add_nc_u32_e32 v0, 0x80, v0
	s_wait_loadcnt 0x0
	v_cmp_ne_u64_e32 vcc_lo, s[14:15], v[4:5]
	s_xor_b32 s24, s5, vcc_lo
	s_delay_alu instid0(SALU_CYCLE_1) | instskip(SKIP_3) | instid1(SALU_CYCLE_1)
	v_cndmask_b32_e64 v1, 0, 1, s24
	global_store_b8 v2, v1, s[0:1]
	s_wait_xcnt 0x0
	s_or_b32 exec_lo, exec_lo, s16
	s_mov_b32 s16, exec_lo
	v_cmpx_gt_i32_e64 s36, v0
	s_cbranch_execnz .LBB61_172
.LBB61_187:
	s_or_b32 exec_lo, exec_lo, s16
	s_delay_alu instid0(SALU_CYCLE_1)
	s_mov_b32 s16, exec_lo
	v_cmpx_gt_i32_e64 s36, v0
	s_cbranch_execz .LBB61_203
.LBB61_188:
	s_and_not1_b32 vcc_lo, exec_lo, s33
	s_cbranch_vccnz .LBB61_193
; %bb.189:
	s_and_not1_b32 vcc_lo, exec_lo, s38
	s_cbranch_vccnz .LBB61_194
; %bb.190:
	s_add_co_i32 s25, s37, 1
	s_cmp_eq_u32 s31, 2
	s_cbranch_scc1 .LBB61_211
; %bb.191:
	v_dual_mov_b32 v2, 0 :: v_dual_mov_b32 v3, 0
	v_mov_b32_e32 v1, v0
	s_and_b32 s24, s25, 28
	s_mov_b32 s39, 0
	s_mov_b64 s[26:27], s[12:13]
	s_mov_b64 s[28:29], s[22:23]
.LBB61_192:                             ; =>This Inner Loop Header: Depth=1
	s_clause 0x1
	s_load_b256 s[40:47], s[26:27], 0x4
	s_load_b128 s[56:59], s[26:27], 0x24
	s_load_b256 s[48:55], s[28:29], 0x0
	s_add_co_i32 s39, s39, 4
	s_wait_xcnt 0x0
	s_add_nc_u64 s[26:27], s[26:27], 48
	s_cmp_eq_u32 s24, s39
	s_add_nc_u64 s[28:29], s[28:29], 32
	s_wait_kmcnt 0x0
	v_mul_hi_u32 v4, s41, v1
	s_delay_alu instid0(VALU_DEP_1) | instskip(NEXT) | instid1(VALU_DEP_1)
	v_add_nc_u32_e32 v4, v1, v4
	v_lshrrev_b32_e32 v4, s42, v4
	s_delay_alu instid0(VALU_DEP_1) | instskip(NEXT) | instid1(VALU_DEP_1)
	v_mul_hi_u32 v5, s44, v4
	v_add_nc_u32_e32 v5, v4, v5
	s_delay_alu instid0(VALU_DEP_1) | instskip(NEXT) | instid1(VALU_DEP_1)
	v_lshrrev_b32_e32 v5, s45, v5
	v_mul_hi_u32 v6, s47, v5
	s_delay_alu instid0(VALU_DEP_1) | instskip(SKIP_1) | instid1(VALU_DEP_1)
	v_add_nc_u32_e32 v6, v5, v6
	v_mul_lo_u32 v7, v4, s40
	v_sub_nc_u32_e32 v1, v1, v7
	v_mul_lo_u32 v7, v5, s43
	s_delay_alu instid0(VALU_DEP_4) | instskip(NEXT) | instid1(VALU_DEP_3)
	v_lshrrev_b32_e32 v6, s56, v6
	v_mad_u32 v3, v1, s49, v3
	v_mad_u32 v1, v1, s48, v2
	s_delay_alu instid0(VALU_DEP_4) | instskip(NEXT) | instid1(VALU_DEP_4)
	v_sub_nc_u32_e32 v2, v4, v7
	v_mul_hi_u32 v8, s58, v6
	v_mul_lo_u32 v4, v6, s46
	s_delay_alu instid0(VALU_DEP_3) | instskip(SKIP_1) | instid1(VALU_DEP_4)
	v_mad_u32 v3, v2, s51, v3
	v_mad_u32 v2, v2, s50, v1
	v_add_nc_u32_e32 v7, v6, v8
	s_delay_alu instid0(VALU_DEP_1) | instskip(NEXT) | instid1(VALU_DEP_1)
	v_dual_sub_nc_u32 v4, v5, v4 :: v_dual_lshrrev_b32 v1, s59, v7
	v_mad_u32 v3, v4, s53, v3
	s_delay_alu instid0(VALU_DEP_4) | instskip(NEXT) | instid1(VALU_DEP_3)
	v_mad_u32 v2, v4, s52, v2
	v_mul_lo_u32 v5, v1, s57
	s_delay_alu instid0(VALU_DEP_1) | instskip(NEXT) | instid1(VALU_DEP_1)
	v_sub_nc_u32_e32 v4, v6, v5
	v_mad_u32 v3, v4, s55, v3
	s_delay_alu instid0(VALU_DEP_4)
	v_mad_u32 v2, v4, s54, v2
	s_cbranch_scc0 .LBB61_192
	s_branch .LBB61_212
.LBB61_193:
                                        ; implicit-def: $vgpr3
	s_branch .LBB61_216
.LBB61_194:
	v_dual_mov_b32 v3, 0 :: v_dual_mov_b32 v2, 0
	s_branch .LBB61_215
.LBB61_195:
	v_mov_b64_e32 v[2:3], 0
	v_mov_b32_e32 v1, v0
	s_mov_b32 s24, 0
.LBB61_196:
	s_and_b32 s28, s25, 3
	s_mov_b32 s25, 0
	s_cmp_eq_u32 s28, 0
	s_cbranch_scc1 .LBB61_199
; %bb.197:
	s_lshl_b32 s26, s24, 3
	s_mov_b32 s27, s25
	s_mul_u64 s[40:41], s[24:25], 12
	s_add_nc_u64 s[26:27], s[12:13], s[26:27]
	s_delay_alu instid0(SALU_CYCLE_1)
	s_add_nc_u64 s[24:25], s[26:27], 0xc4
	s_add_nc_u64 s[26:27], s[12:13], s[40:41]
.LBB61_198:                             ; =>This Inner Loop Header: Depth=1
	s_load_b96 s[40:42], s[26:27], 0x4
	s_add_co_i32 s28, s28, -1
	s_wait_xcnt 0x0
	s_add_nc_u64 s[26:27], s[26:27], 12
	s_cmp_lg_u32 s28, 0
	s_wait_kmcnt 0x0
	v_mul_hi_u32 v4, s41, v1
	s_delay_alu instid0(VALU_DEP_1) | instskip(NEXT) | instid1(VALU_DEP_1)
	v_add_nc_u32_e32 v4, v1, v4
	v_lshrrev_b32_e32 v4, s42, v4
	s_load_b64 s[42:43], s[24:25], 0x0
	s_wait_xcnt 0x0
	s_add_nc_u64 s[24:25], s[24:25], 8
	s_delay_alu instid0(VALU_DEP_1) | instskip(NEXT) | instid1(VALU_DEP_1)
	v_mul_lo_u32 v5, v4, s40
	v_sub_nc_u32_e32 v1, v1, v5
	s_wait_kmcnt 0x0
	s_delay_alu instid0(VALU_DEP_1)
	v_mad_u32 v3, v1, s43, v3
	v_mad_u32 v2, v1, s42, v2
	v_mov_b32_e32 v1, v4
	s_cbranch_scc1 .LBB61_198
.LBB61_199:
	s_cbranch_execnz .LBB61_202
.LBB61_200:
	v_mov_b32_e32 v1, 0
	s_and_not1_b32 vcc_lo, exec_lo, s35
	s_delay_alu instid0(VALU_DEP_1) | instskip(NEXT) | instid1(VALU_DEP_1)
	v_mul_u64_e32 v[2:3], s[18:19], v[0:1]
	v_add_nc_u32_e32 v2, v0, v3
	s_delay_alu instid0(VALU_DEP_1) | instskip(NEXT) | instid1(VALU_DEP_1)
	v_lshrrev_b32_e32 v4, s6, v2
	v_mul_lo_u32 v2, v4, s4
	s_delay_alu instid0(VALU_DEP_1) | instskip(NEXT) | instid1(VALU_DEP_1)
	v_sub_nc_u32_e32 v2, v0, v2
	v_mul_lo_u32 v3, v2, s9
	v_mul_lo_u32 v2, v2, s8
	s_cbranch_vccnz .LBB61_202
; %bb.201:
	v_mov_b32_e32 v5, v1
	s_delay_alu instid0(VALU_DEP_1) | instskip(NEXT) | instid1(VALU_DEP_1)
	v_mul_u64_e32 v[6:7], s[20:21], v[4:5]
	v_add_nc_u32_e32 v1, v4, v7
	s_delay_alu instid0(VALU_DEP_1) | instskip(NEXT) | instid1(VALU_DEP_1)
	v_lshrrev_b32_e32 v1, s17, v1
	v_mul_lo_u32 v1, v1, s7
	s_delay_alu instid0(VALU_DEP_1) | instskip(NEXT) | instid1(VALU_DEP_1)
	v_sub_nc_u32_e32 v1, v4, v1
	v_mad_u32 v2, v1, s10, v2
	v_mad_u32 v3, v1, s11, v3
.LBB61_202:
	global_load_b64 v[4:5], v3, s[2:3]
	v_add_nc_u32_e32 v0, 0x80, v0
	s_wait_loadcnt 0x0
	v_cmp_ne_u64_e32 vcc_lo, s[14:15], v[4:5]
	s_xor_b32 s24, s5, vcc_lo
	s_delay_alu instid0(SALU_CYCLE_1) | instskip(SKIP_3) | instid1(SALU_CYCLE_1)
	v_cndmask_b32_e64 v1, 0, 1, s24
	global_store_b8 v2, v1, s[0:1]
	s_wait_xcnt 0x0
	s_or_b32 exec_lo, exec_lo, s16
	s_mov_b32 s16, exec_lo
	v_cmpx_gt_i32_e64 s36, v0
	s_cbranch_execnz .LBB61_188
.LBB61_203:
	s_or_b32 exec_lo, exec_lo, s16
	s_delay_alu instid0(SALU_CYCLE_1)
	s_mov_b32 s16, exec_lo
	v_cmpx_gt_i32_e64 s36, v0
	s_cbranch_execz .LBB61_219
.LBB61_204:
	s_and_not1_b32 vcc_lo, exec_lo, s33
	s_cbranch_vccnz .LBB61_209
; %bb.205:
	s_and_not1_b32 vcc_lo, exec_lo, s38
	s_cbranch_vccnz .LBB61_210
; %bb.206:
	s_add_co_i32 s25, s37, 1
	s_cmp_eq_u32 s31, 2
	s_cbranch_scc1 .LBB61_222
; %bb.207:
	v_dual_mov_b32 v2, 0 :: v_dual_mov_b32 v3, 0
	v_mov_b32_e32 v1, v0
	s_and_b32 s24, s25, 28
	s_mov_b32 s39, 0
	s_mov_b64 s[26:27], s[12:13]
	s_mov_b64 s[28:29], s[22:23]
.LBB61_208:                             ; =>This Inner Loop Header: Depth=1
	s_clause 0x1
	s_load_b256 s[40:47], s[26:27], 0x4
	s_load_b128 s[56:59], s[26:27], 0x24
	s_load_b256 s[48:55], s[28:29], 0x0
	s_add_co_i32 s39, s39, 4
	s_wait_xcnt 0x0
	s_add_nc_u64 s[26:27], s[26:27], 48
	s_cmp_eq_u32 s24, s39
	s_add_nc_u64 s[28:29], s[28:29], 32
	s_wait_kmcnt 0x0
	v_mul_hi_u32 v4, s41, v1
	s_delay_alu instid0(VALU_DEP_1) | instskip(NEXT) | instid1(VALU_DEP_1)
	v_add_nc_u32_e32 v4, v1, v4
	v_lshrrev_b32_e32 v4, s42, v4
	s_delay_alu instid0(VALU_DEP_1) | instskip(NEXT) | instid1(VALU_DEP_1)
	v_mul_hi_u32 v5, s44, v4
	v_add_nc_u32_e32 v5, v4, v5
	s_delay_alu instid0(VALU_DEP_1) | instskip(NEXT) | instid1(VALU_DEP_1)
	v_lshrrev_b32_e32 v5, s45, v5
	v_mul_hi_u32 v6, s47, v5
	s_delay_alu instid0(VALU_DEP_1) | instskip(SKIP_1) | instid1(VALU_DEP_1)
	v_add_nc_u32_e32 v6, v5, v6
	v_mul_lo_u32 v7, v4, s40
	v_sub_nc_u32_e32 v1, v1, v7
	v_mul_lo_u32 v7, v5, s43
	s_delay_alu instid0(VALU_DEP_4) | instskip(NEXT) | instid1(VALU_DEP_3)
	v_lshrrev_b32_e32 v6, s56, v6
	v_mad_u32 v3, v1, s49, v3
	v_mad_u32 v1, v1, s48, v2
	s_delay_alu instid0(VALU_DEP_4) | instskip(NEXT) | instid1(VALU_DEP_4)
	v_sub_nc_u32_e32 v2, v4, v7
	v_mul_hi_u32 v8, s58, v6
	v_mul_lo_u32 v4, v6, s46
	s_delay_alu instid0(VALU_DEP_3) | instskip(SKIP_1) | instid1(VALU_DEP_4)
	v_mad_u32 v3, v2, s51, v3
	v_mad_u32 v2, v2, s50, v1
	v_add_nc_u32_e32 v7, v6, v8
	s_delay_alu instid0(VALU_DEP_1) | instskip(NEXT) | instid1(VALU_DEP_1)
	v_dual_sub_nc_u32 v4, v5, v4 :: v_dual_lshrrev_b32 v1, s59, v7
	v_mad_u32 v3, v4, s53, v3
	s_delay_alu instid0(VALU_DEP_4) | instskip(NEXT) | instid1(VALU_DEP_3)
	v_mad_u32 v2, v4, s52, v2
	v_mul_lo_u32 v5, v1, s57
	s_delay_alu instid0(VALU_DEP_1) | instskip(NEXT) | instid1(VALU_DEP_1)
	v_sub_nc_u32_e32 v4, v6, v5
	v_mad_u32 v3, v4, s55, v3
	s_delay_alu instid0(VALU_DEP_4)
	v_mad_u32 v2, v4, s54, v2
	s_cbranch_scc0 .LBB61_208
	s_branch .LBB61_223
.LBB61_209:
                                        ; implicit-def: $vgpr3
	s_branch .LBB61_227
.LBB61_210:
	v_dual_mov_b32 v3, 0 :: v_dual_mov_b32 v2, 0
	s_branch .LBB61_226
.LBB61_211:
	v_mov_b64_e32 v[2:3], 0
	v_mov_b32_e32 v1, v0
	s_mov_b32 s24, 0
.LBB61_212:
	s_and_b32 s28, s25, 3
	s_mov_b32 s25, 0
	s_cmp_eq_u32 s28, 0
	s_cbranch_scc1 .LBB61_215
; %bb.213:
	s_lshl_b32 s26, s24, 3
	s_mov_b32 s27, s25
	s_mul_u64 s[40:41], s[24:25], 12
	s_add_nc_u64 s[26:27], s[12:13], s[26:27]
	s_delay_alu instid0(SALU_CYCLE_1)
	s_add_nc_u64 s[24:25], s[26:27], 0xc4
	s_add_nc_u64 s[26:27], s[12:13], s[40:41]
.LBB61_214:                             ; =>This Inner Loop Header: Depth=1
	s_load_b96 s[40:42], s[26:27], 0x4
	s_add_co_i32 s28, s28, -1
	s_wait_xcnt 0x0
	s_add_nc_u64 s[26:27], s[26:27], 12
	s_cmp_lg_u32 s28, 0
	s_wait_kmcnt 0x0
	v_mul_hi_u32 v4, s41, v1
	s_delay_alu instid0(VALU_DEP_1) | instskip(NEXT) | instid1(VALU_DEP_1)
	v_add_nc_u32_e32 v4, v1, v4
	v_lshrrev_b32_e32 v4, s42, v4
	s_load_b64 s[42:43], s[24:25], 0x0
	s_wait_xcnt 0x0
	s_add_nc_u64 s[24:25], s[24:25], 8
	s_delay_alu instid0(VALU_DEP_1) | instskip(NEXT) | instid1(VALU_DEP_1)
	v_mul_lo_u32 v5, v4, s40
	v_sub_nc_u32_e32 v1, v1, v5
	s_wait_kmcnt 0x0
	s_delay_alu instid0(VALU_DEP_1)
	v_mad_u32 v3, v1, s43, v3
	v_mad_u32 v2, v1, s42, v2
	v_mov_b32_e32 v1, v4
	s_cbranch_scc1 .LBB61_214
.LBB61_215:
	s_cbranch_execnz .LBB61_218
.LBB61_216:
	v_mov_b32_e32 v1, 0
	s_and_not1_b32 vcc_lo, exec_lo, s35
	s_delay_alu instid0(VALU_DEP_1) | instskip(NEXT) | instid1(VALU_DEP_1)
	v_mul_u64_e32 v[2:3], s[18:19], v[0:1]
	v_add_nc_u32_e32 v2, v0, v3
	s_delay_alu instid0(VALU_DEP_1) | instskip(NEXT) | instid1(VALU_DEP_1)
	v_lshrrev_b32_e32 v4, s6, v2
	v_mul_lo_u32 v2, v4, s4
	s_delay_alu instid0(VALU_DEP_1) | instskip(NEXT) | instid1(VALU_DEP_1)
	v_sub_nc_u32_e32 v2, v0, v2
	v_mul_lo_u32 v3, v2, s9
	v_mul_lo_u32 v2, v2, s8
	s_cbranch_vccnz .LBB61_218
; %bb.217:
	v_mov_b32_e32 v5, v1
	s_delay_alu instid0(VALU_DEP_1) | instskip(NEXT) | instid1(VALU_DEP_1)
	v_mul_u64_e32 v[6:7], s[20:21], v[4:5]
	v_add_nc_u32_e32 v1, v4, v7
	s_delay_alu instid0(VALU_DEP_1) | instskip(NEXT) | instid1(VALU_DEP_1)
	v_lshrrev_b32_e32 v1, s17, v1
	v_mul_lo_u32 v1, v1, s7
	s_delay_alu instid0(VALU_DEP_1) | instskip(NEXT) | instid1(VALU_DEP_1)
	v_sub_nc_u32_e32 v1, v4, v1
	v_mad_u32 v2, v1, s10, v2
	v_mad_u32 v3, v1, s11, v3
.LBB61_218:
	global_load_b64 v[4:5], v3, s[2:3]
	v_add_nc_u32_e32 v0, 0x80, v0
	s_wait_loadcnt 0x0
	v_cmp_ne_u64_e32 vcc_lo, s[14:15], v[4:5]
	s_xor_b32 s24, s5, vcc_lo
	s_delay_alu instid0(SALU_CYCLE_1) | instskip(SKIP_3) | instid1(SALU_CYCLE_1)
	v_cndmask_b32_e64 v1, 0, 1, s24
	global_store_b8 v2, v1, s[0:1]
	s_wait_xcnt 0x0
	s_or_b32 exec_lo, exec_lo, s16
	s_mov_b32 s16, exec_lo
	v_cmpx_gt_i32_e64 s36, v0
	s_cbranch_execnz .LBB61_204
.LBB61_219:
	s_or_b32 exec_lo, exec_lo, s16
	s_delay_alu instid0(SALU_CYCLE_1)
	s_mov_b32 s16, exec_lo
	v_cmpx_gt_i32_e64 s36, v0
	s_cbranch_execnz .LBB61_230
.LBB61_220:
	s_or_b32 exec_lo, exec_lo, s16
                                        ; implicit-def: $vgpr16
                                        ; implicit-def: $vgpr0
	s_and_not1_saveexec_b32 s0, s34
	s_cbranch_execnz .LBB61_8
.LBB61_221:
	s_endpgm
.LBB61_222:
	v_mov_b64_e32 v[2:3], 0
	v_mov_b32_e32 v1, v0
	s_mov_b32 s24, 0
.LBB61_223:
	s_and_b32 s28, s25, 3
	s_mov_b32 s25, 0
	s_cmp_eq_u32 s28, 0
	s_cbranch_scc1 .LBB61_226
; %bb.224:
	s_lshl_b32 s26, s24, 3
	s_mov_b32 s27, s25
	s_mul_u64 s[40:41], s[24:25], 12
	s_add_nc_u64 s[26:27], s[12:13], s[26:27]
	s_delay_alu instid0(SALU_CYCLE_1)
	s_add_nc_u64 s[24:25], s[26:27], 0xc4
	s_add_nc_u64 s[26:27], s[12:13], s[40:41]
.LBB61_225:                             ; =>This Inner Loop Header: Depth=1
	s_load_b96 s[40:42], s[26:27], 0x4
	s_add_co_i32 s28, s28, -1
	s_wait_xcnt 0x0
	s_add_nc_u64 s[26:27], s[26:27], 12
	s_cmp_lg_u32 s28, 0
	s_wait_kmcnt 0x0
	v_mul_hi_u32 v4, s41, v1
	s_delay_alu instid0(VALU_DEP_1) | instskip(NEXT) | instid1(VALU_DEP_1)
	v_add_nc_u32_e32 v4, v1, v4
	v_lshrrev_b32_e32 v4, s42, v4
	s_load_b64 s[42:43], s[24:25], 0x0
	s_wait_xcnt 0x0
	s_add_nc_u64 s[24:25], s[24:25], 8
	s_delay_alu instid0(VALU_DEP_1) | instskip(NEXT) | instid1(VALU_DEP_1)
	v_mul_lo_u32 v5, v4, s40
	v_sub_nc_u32_e32 v1, v1, v5
	s_wait_kmcnt 0x0
	s_delay_alu instid0(VALU_DEP_1)
	v_mad_u32 v3, v1, s43, v3
	v_mad_u32 v2, v1, s42, v2
	v_mov_b32_e32 v1, v4
	s_cbranch_scc1 .LBB61_225
.LBB61_226:
	s_cbranch_execnz .LBB61_229
.LBB61_227:
	v_mov_b32_e32 v1, 0
	s_and_not1_b32 vcc_lo, exec_lo, s35
	s_delay_alu instid0(VALU_DEP_1) | instskip(NEXT) | instid1(VALU_DEP_1)
	v_mul_u64_e32 v[2:3], s[18:19], v[0:1]
	v_add_nc_u32_e32 v2, v0, v3
	s_delay_alu instid0(VALU_DEP_1) | instskip(NEXT) | instid1(VALU_DEP_1)
	v_lshrrev_b32_e32 v4, s6, v2
	v_mul_lo_u32 v2, v4, s4
	s_delay_alu instid0(VALU_DEP_1) | instskip(NEXT) | instid1(VALU_DEP_1)
	v_sub_nc_u32_e32 v2, v0, v2
	v_mul_lo_u32 v3, v2, s9
	v_mul_lo_u32 v2, v2, s8
	s_cbranch_vccnz .LBB61_229
; %bb.228:
	v_mov_b32_e32 v5, v1
	s_delay_alu instid0(VALU_DEP_1) | instskip(NEXT) | instid1(VALU_DEP_1)
	v_mul_u64_e32 v[6:7], s[20:21], v[4:5]
	v_add_nc_u32_e32 v1, v4, v7
	s_delay_alu instid0(VALU_DEP_1) | instskip(NEXT) | instid1(VALU_DEP_1)
	v_lshrrev_b32_e32 v1, s17, v1
	v_mul_lo_u32 v1, v1, s7
	s_delay_alu instid0(VALU_DEP_1) | instskip(NEXT) | instid1(VALU_DEP_1)
	v_sub_nc_u32_e32 v1, v4, v1
	v_mad_u32 v2, v1, s10, v2
	v_mad_u32 v3, v1, s11, v3
.LBB61_229:
	global_load_b64 v[4:5], v3, s[2:3]
	v_add_nc_u32_e32 v0, 0x80, v0
	s_wait_loadcnt 0x0
	v_cmp_ne_u64_e32 vcc_lo, s[14:15], v[4:5]
	s_xor_b32 s24, s5, vcc_lo
	s_delay_alu instid0(SALU_CYCLE_1) | instskip(SKIP_3) | instid1(SALU_CYCLE_1)
	v_cndmask_b32_e64 v1, 0, 1, s24
	global_store_b8 v2, v1, s[0:1]
	s_wait_xcnt 0x0
	s_or_b32 exec_lo, exec_lo, s16
	s_mov_b32 s16, exec_lo
	v_cmpx_gt_i32_e64 s36, v0
	s_cbranch_execz .LBB61_220
.LBB61_230:
	s_and_not1_b32 vcc_lo, exec_lo, s33
	s_cbranch_vccnz .LBB61_235
; %bb.231:
	s_and_not1_b32 vcc_lo, exec_lo, s38
	s_cbranch_vccnz .LBB61_236
; %bb.232:
	s_add_co_i32 s37, s37, 1
	s_cmp_eq_u32 s31, 2
	s_cbranch_scc1 .LBB61_237
; %bb.233:
	v_dual_mov_b32 v2, 0 :: v_dual_mov_b32 v3, 0
	v_mov_b32_e32 v1, v0
	s_and_b32 s24, s37, 28
	s_mov_b32 s25, 0
	s_mov_b64 s[26:27], s[12:13]
.LBB61_234:                             ; =>This Inner Loop Header: Depth=1
	s_clause 0x1
	s_load_b256 s[40:47], s[26:27], 0x4
	s_load_b128 s[56:59], s[26:27], 0x24
	s_load_b256 s[48:55], s[22:23], 0x0
	s_add_co_i32 s25, s25, 4
	s_wait_xcnt 0x0
	s_add_nc_u64 s[26:27], s[26:27], 48
	s_cmp_eq_u32 s24, s25
	s_add_nc_u64 s[22:23], s[22:23], 32
	s_wait_kmcnt 0x0
	v_mul_hi_u32 v4, s41, v1
	s_delay_alu instid0(VALU_DEP_1) | instskip(NEXT) | instid1(VALU_DEP_1)
	v_add_nc_u32_e32 v4, v1, v4
	v_lshrrev_b32_e32 v4, s42, v4
	s_delay_alu instid0(VALU_DEP_1) | instskip(NEXT) | instid1(VALU_DEP_1)
	v_mul_hi_u32 v5, s44, v4
	v_add_nc_u32_e32 v5, v4, v5
	s_delay_alu instid0(VALU_DEP_1) | instskip(NEXT) | instid1(VALU_DEP_1)
	v_lshrrev_b32_e32 v5, s45, v5
	v_mul_hi_u32 v6, s47, v5
	s_delay_alu instid0(VALU_DEP_1) | instskip(SKIP_1) | instid1(VALU_DEP_1)
	v_add_nc_u32_e32 v6, v5, v6
	v_mul_lo_u32 v7, v4, s40
	v_sub_nc_u32_e32 v1, v1, v7
	v_mul_lo_u32 v7, v5, s43
	s_delay_alu instid0(VALU_DEP_4) | instskip(NEXT) | instid1(VALU_DEP_3)
	v_lshrrev_b32_e32 v6, s56, v6
	v_mad_u32 v3, v1, s49, v3
	v_mad_u32 v1, v1, s48, v2
	s_delay_alu instid0(VALU_DEP_4) | instskip(NEXT) | instid1(VALU_DEP_4)
	v_sub_nc_u32_e32 v2, v4, v7
	v_mul_hi_u32 v8, s58, v6
	v_mul_lo_u32 v4, v6, s46
	s_delay_alu instid0(VALU_DEP_3) | instskip(SKIP_1) | instid1(VALU_DEP_4)
	v_mad_u32 v3, v2, s51, v3
	v_mad_u32 v2, v2, s50, v1
	v_add_nc_u32_e32 v7, v6, v8
	s_delay_alu instid0(VALU_DEP_1) | instskip(NEXT) | instid1(VALU_DEP_1)
	v_dual_sub_nc_u32 v4, v5, v4 :: v_dual_lshrrev_b32 v1, s59, v7
	v_mad_u32 v3, v4, s53, v3
	s_delay_alu instid0(VALU_DEP_4) | instskip(NEXT) | instid1(VALU_DEP_3)
	v_mad_u32 v2, v4, s52, v2
	v_mul_lo_u32 v5, v1, s57
	s_delay_alu instid0(VALU_DEP_1) | instskip(NEXT) | instid1(VALU_DEP_1)
	v_sub_nc_u32_e32 v4, v6, v5
	v_mad_u32 v3, v4, s55, v3
	s_delay_alu instid0(VALU_DEP_4)
	v_mad_u32 v2, v4, s54, v2
	s_cbranch_scc0 .LBB61_234
	s_branch .LBB61_238
.LBB61_235:
                                        ; implicit-def: $vgpr3
	s_branch .LBB61_242
.LBB61_236:
	v_dual_mov_b32 v3, 0 :: v_dual_mov_b32 v2, 0
	s_branch .LBB61_241
.LBB61_237:
	v_mov_b64_e32 v[2:3], 0
	v_mov_b32_e32 v1, v0
	s_mov_b32 s24, 0
.LBB61_238:
	s_and_b32 s26, s37, 3
	s_mov_b32 s25, 0
	s_cmp_eq_u32 s26, 0
	s_cbranch_scc1 .LBB61_241
; %bb.239:
	s_lshl_b32 s22, s24, 3
	s_mov_b32 s23, s25
	s_mul_u64 s[24:25], s[24:25], 12
	s_add_nc_u64 s[22:23], s[12:13], s[22:23]
	s_add_nc_u64 s[24:25], s[12:13], s[24:25]
	;; [unrolled: 1-line block ×3, first 2 shown]
.LBB61_240:                             ; =>This Inner Loop Header: Depth=1
	s_load_b96 s[36:38], s[24:25], 0x4
	s_load_b64 s[28:29], s[22:23], 0x0
	s_add_co_i32 s26, s26, -1
	s_wait_xcnt 0x0
	s_add_nc_u64 s[24:25], s[24:25], 12
	s_cmp_lg_u32 s26, 0
	s_add_nc_u64 s[22:23], s[22:23], 8
	s_wait_kmcnt 0x0
	v_mul_hi_u32 v4, s37, v1
	s_delay_alu instid0(VALU_DEP_1) | instskip(NEXT) | instid1(VALU_DEP_1)
	v_add_nc_u32_e32 v4, v1, v4
	v_lshrrev_b32_e32 v4, s38, v4
	s_delay_alu instid0(VALU_DEP_1) | instskip(NEXT) | instid1(VALU_DEP_1)
	v_mul_lo_u32 v5, v4, s36
	v_sub_nc_u32_e32 v1, v1, v5
	s_delay_alu instid0(VALU_DEP_1)
	v_mad_u32 v3, v1, s29, v3
	v_mad_u32 v2, v1, s28, v2
	v_mov_b32_e32 v1, v4
	s_cbranch_scc1 .LBB61_240
.LBB61_241:
	s_cbranch_execnz .LBB61_244
.LBB61_242:
	v_mov_b32_e32 v1, 0
	s_and_not1_b32 vcc_lo, exec_lo, s35
	s_delay_alu instid0(VALU_DEP_1) | instskip(NEXT) | instid1(VALU_DEP_1)
	v_mul_u64_e32 v[2:3], s[18:19], v[0:1]
	v_add_nc_u32_e32 v2, v0, v3
	s_delay_alu instid0(VALU_DEP_1) | instskip(NEXT) | instid1(VALU_DEP_1)
	v_lshrrev_b32_e32 v4, s6, v2
	v_mul_lo_u32 v2, v4, s4
	s_delay_alu instid0(VALU_DEP_1) | instskip(NEXT) | instid1(VALU_DEP_1)
	v_sub_nc_u32_e32 v0, v0, v2
	v_mul_lo_u32 v3, v0, s9
	v_mul_lo_u32 v2, v0, s8
	s_cbranch_vccnz .LBB61_244
; %bb.243:
	v_mov_b32_e32 v5, v1
	s_delay_alu instid0(VALU_DEP_1) | instskip(NEXT) | instid1(VALU_DEP_1)
	v_mul_u64_e32 v[0:1], s[20:21], v[4:5]
	v_add_nc_u32_e32 v0, v4, v1
	s_delay_alu instid0(VALU_DEP_1) | instskip(NEXT) | instid1(VALU_DEP_1)
	v_lshrrev_b32_e32 v0, s17, v0
	v_mul_lo_u32 v0, v0, s7
	s_delay_alu instid0(VALU_DEP_1) | instskip(NEXT) | instid1(VALU_DEP_1)
	v_sub_nc_u32_e32 v0, v4, v0
	v_mad_u32 v2, v0, s10, v2
	v_mad_u32 v3, v0, s11, v3
.LBB61_244:
	global_load_b64 v[0:1], v3, s[2:3]
	s_wait_loadcnt 0x0
	v_cmp_ne_u64_e32 vcc_lo, s[14:15], v[0:1]
	s_wait_xcnt 0x0
	s_xor_b32 s2, s5, vcc_lo
	s_delay_alu instid0(SALU_CYCLE_1)
	v_cndmask_b32_e64 v0, 0, 1, s2
	global_store_b8 v2, v0, s[0:1]
	s_wait_xcnt 0x0
	s_or_b32 exec_lo, exec_lo, s16
                                        ; implicit-def: $vgpr16
                                        ; implicit-def: $vgpr0
	s_and_not1_saveexec_b32 s0, s34
	s_cbranch_execz .LBB61_221
	s_branch .LBB61_8
	.section	.rodata,"a",@progbits
	.p2align	6, 0x0
	.amdhsa_kernel _ZN2at6native32elementwise_kernel_manual_unrollILi128ELi8EZNS0_22gpu_kernel_impl_nocastINS0_13AUnaryFunctorIllbNS0_12_GLOBAL__N_116CompareEqFunctorIlEEEEEEvRNS_18TensorIteratorBaseERKT_EUlibE_EEviT1_
		.amdhsa_group_segment_fixed_size 0
		.amdhsa_private_segment_fixed_size 0
		.amdhsa_kernarg_size 368
		.amdhsa_user_sgpr_count 2
		.amdhsa_user_sgpr_dispatch_ptr 0
		.amdhsa_user_sgpr_queue_ptr 0
		.amdhsa_user_sgpr_kernarg_segment_ptr 1
		.amdhsa_user_sgpr_dispatch_id 0
		.amdhsa_user_sgpr_kernarg_preload_length 0
		.amdhsa_user_sgpr_kernarg_preload_offset 0
		.amdhsa_user_sgpr_private_segment_size 0
		.amdhsa_wavefront_size32 1
		.amdhsa_uses_dynamic_stack 0
		.amdhsa_enable_private_segment 0
		.amdhsa_system_sgpr_workgroup_id_x 1
		.amdhsa_system_sgpr_workgroup_id_y 0
		.amdhsa_system_sgpr_workgroup_id_z 0
		.amdhsa_system_sgpr_workgroup_info 0
		.amdhsa_system_vgpr_workitem_id 0
		.amdhsa_next_free_vgpr 32
		.amdhsa_next_free_sgpr 60
		.amdhsa_named_barrier_count 0
		.amdhsa_reserve_vcc 1
		.amdhsa_float_round_mode_32 0
		.amdhsa_float_round_mode_16_64 0
		.amdhsa_float_denorm_mode_32 3
		.amdhsa_float_denorm_mode_16_64 3
		.amdhsa_fp16_overflow 0
		.amdhsa_memory_ordered 1
		.amdhsa_forward_progress 1
		.amdhsa_inst_pref_size 100
		.amdhsa_round_robin_scheduling 0
		.amdhsa_exception_fp_ieee_invalid_op 0
		.amdhsa_exception_fp_denorm_src 0
		.amdhsa_exception_fp_ieee_div_zero 0
		.amdhsa_exception_fp_ieee_overflow 0
		.amdhsa_exception_fp_ieee_underflow 0
		.amdhsa_exception_fp_ieee_inexact 0
		.amdhsa_exception_int_div_zero 0
	.end_amdhsa_kernel
	.section	.text._ZN2at6native32elementwise_kernel_manual_unrollILi128ELi8EZNS0_22gpu_kernel_impl_nocastINS0_13AUnaryFunctorIllbNS0_12_GLOBAL__N_116CompareEqFunctorIlEEEEEEvRNS_18TensorIteratorBaseERKT_EUlibE_EEviT1_,"axG",@progbits,_ZN2at6native32elementwise_kernel_manual_unrollILi128ELi8EZNS0_22gpu_kernel_impl_nocastINS0_13AUnaryFunctorIllbNS0_12_GLOBAL__N_116CompareEqFunctorIlEEEEEEvRNS_18TensorIteratorBaseERKT_EUlibE_EEviT1_,comdat
.Lfunc_end61:
	.size	_ZN2at6native32elementwise_kernel_manual_unrollILi128ELi8EZNS0_22gpu_kernel_impl_nocastINS0_13AUnaryFunctorIllbNS0_12_GLOBAL__N_116CompareEqFunctorIlEEEEEEvRNS_18TensorIteratorBaseERKT_EUlibE_EEviT1_, .Lfunc_end61-_ZN2at6native32elementwise_kernel_manual_unrollILi128ELi8EZNS0_22gpu_kernel_impl_nocastINS0_13AUnaryFunctorIllbNS0_12_GLOBAL__N_116CompareEqFunctorIlEEEEEEvRNS_18TensorIteratorBaseERKT_EUlibE_EEviT1_
                                        ; -- End function
	.set _ZN2at6native32elementwise_kernel_manual_unrollILi128ELi8EZNS0_22gpu_kernel_impl_nocastINS0_13AUnaryFunctorIllbNS0_12_GLOBAL__N_116CompareEqFunctorIlEEEEEEvRNS_18TensorIteratorBaseERKT_EUlibE_EEviT1_.num_vgpr, 32
	.set _ZN2at6native32elementwise_kernel_manual_unrollILi128ELi8EZNS0_22gpu_kernel_impl_nocastINS0_13AUnaryFunctorIllbNS0_12_GLOBAL__N_116CompareEqFunctorIlEEEEEEvRNS_18TensorIteratorBaseERKT_EUlibE_EEviT1_.num_agpr, 0
	.set _ZN2at6native32elementwise_kernel_manual_unrollILi128ELi8EZNS0_22gpu_kernel_impl_nocastINS0_13AUnaryFunctorIllbNS0_12_GLOBAL__N_116CompareEqFunctorIlEEEEEEvRNS_18TensorIteratorBaseERKT_EUlibE_EEviT1_.numbered_sgpr, 60
	.set _ZN2at6native32elementwise_kernel_manual_unrollILi128ELi8EZNS0_22gpu_kernel_impl_nocastINS0_13AUnaryFunctorIllbNS0_12_GLOBAL__N_116CompareEqFunctorIlEEEEEEvRNS_18TensorIteratorBaseERKT_EUlibE_EEviT1_.num_named_barrier, 0
	.set _ZN2at6native32elementwise_kernel_manual_unrollILi128ELi8EZNS0_22gpu_kernel_impl_nocastINS0_13AUnaryFunctorIllbNS0_12_GLOBAL__N_116CompareEqFunctorIlEEEEEEvRNS_18TensorIteratorBaseERKT_EUlibE_EEviT1_.private_seg_size, 0
	.set _ZN2at6native32elementwise_kernel_manual_unrollILi128ELi8EZNS0_22gpu_kernel_impl_nocastINS0_13AUnaryFunctorIllbNS0_12_GLOBAL__N_116CompareEqFunctorIlEEEEEEvRNS_18TensorIteratorBaseERKT_EUlibE_EEviT1_.uses_vcc, 1
	.set _ZN2at6native32elementwise_kernel_manual_unrollILi128ELi8EZNS0_22gpu_kernel_impl_nocastINS0_13AUnaryFunctorIllbNS0_12_GLOBAL__N_116CompareEqFunctorIlEEEEEEvRNS_18TensorIteratorBaseERKT_EUlibE_EEviT1_.uses_flat_scratch, 0
	.set _ZN2at6native32elementwise_kernel_manual_unrollILi128ELi8EZNS0_22gpu_kernel_impl_nocastINS0_13AUnaryFunctorIllbNS0_12_GLOBAL__N_116CompareEqFunctorIlEEEEEEvRNS_18TensorIteratorBaseERKT_EUlibE_EEviT1_.has_dyn_sized_stack, 0
	.set _ZN2at6native32elementwise_kernel_manual_unrollILi128ELi8EZNS0_22gpu_kernel_impl_nocastINS0_13AUnaryFunctorIllbNS0_12_GLOBAL__N_116CompareEqFunctorIlEEEEEEvRNS_18TensorIteratorBaseERKT_EUlibE_EEviT1_.has_recursion, 0
	.set _ZN2at6native32elementwise_kernel_manual_unrollILi128ELi8EZNS0_22gpu_kernel_impl_nocastINS0_13AUnaryFunctorIllbNS0_12_GLOBAL__N_116CompareEqFunctorIlEEEEEEvRNS_18TensorIteratorBaseERKT_EUlibE_EEviT1_.has_indirect_call, 0
	.section	.AMDGPU.csdata,"",@progbits
; Kernel info:
; codeLenInByte = 12692
; TotalNumSgprs: 62
; NumVgprs: 32
; ScratchSize: 0
; MemoryBound: 0
; FloatMode: 240
; IeeeMode: 1
; LDSByteSize: 0 bytes/workgroup (compile time only)
; SGPRBlocks: 0
; VGPRBlocks: 1
; NumSGPRsForWavesPerEU: 62
; NumVGPRsForWavesPerEU: 32
; NamedBarCnt: 0
; Occupancy: 16
; WaveLimiterHint : 1
; COMPUTE_PGM_RSRC2:SCRATCH_EN: 0
; COMPUTE_PGM_RSRC2:USER_SGPR: 2
; COMPUTE_PGM_RSRC2:TRAP_HANDLER: 0
; COMPUTE_PGM_RSRC2:TGID_X_EN: 1
; COMPUTE_PGM_RSRC2:TGID_Y_EN: 0
; COMPUTE_PGM_RSRC2:TGID_Z_EN: 0
; COMPUTE_PGM_RSRC2:TIDIG_COMP_CNT: 0
	.section	.text._ZN2at6native32elementwise_kernel_manual_unrollILi128ELi4EZNS0_15gpu_kernel_implINS0_13AUnaryFunctorIllbNS0_12_GLOBAL__N_116CompareEqFunctorIlEEEEEEvRNS_18TensorIteratorBaseERKT_EUlibE_EEviT1_,"axG",@progbits,_ZN2at6native32elementwise_kernel_manual_unrollILi128ELi4EZNS0_15gpu_kernel_implINS0_13AUnaryFunctorIllbNS0_12_GLOBAL__N_116CompareEqFunctorIlEEEEEEvRNS_18TensorIteratorBaseERKT_EUlibE_EEviT1_,comdat
	.globl	_ZN2at6native32elementwise_kernel_manual_unrollILi128ELi4EZNS0_15gpu_kernel_implINS0_13AUnaryFunctorIllbNS0_12_GLOBAL__N_116CompareEqFunctorIlEEEEEEvRNS_18TensorIteratorBaseERKT_EUlibE_EEviT1_ ; -- Begin function _ZN2at6native32elementwise_kernel_manual_unrollILi128ELi4EZNS0_15gpu_kernel_implINS0_13AUnaryFunctorIllbNS0_12_GLOBAL__N_116CompareEqFunctorIlEEEEEEvRNS_18TensorIteratorBaseERKT_EUlibE_EEviT1_
	.p2align	8
	.type	_ZN2at6native32elementwise_kernel_manual_unrollILi128ELi4EZNS0_15gpu_kernel_implINS0_13AUnaryFunctorIllbNS0_12_GLOBAL__N_116CompareEqFunctorIlEEEEEEvRNS_18TensorIteratorBaseERKT_EUlibE_EEviT1_,@function
_ZN2at6native32elementwise_kernel_manual_unrollILi128ELi4EZNS0_15gpu_kernel_implINS0_13AUnaryFunctorIllbNS0_12_GLOBAL__N_116CompareEqFunctorIlEEEEEEvRNS_18TensorIteratorBaseERKT_EUlibE_EEviT1_: ; @_ZN2at6native32elementwise_kernel_manual_unrollILi128ELi4EZNS0_15gpu_kernel_implINS0_13AUnaryFunctorIllbNS0_12_GLOBAL__N_116CompareEqFunctorIlEEEEEEvRNS_18TensorIteratorBaseERKT_EUlibE_EEviT1_
; %bb.0:
	s_clause 0x1
	s_load_b96 s[8:10], s[0:1], 0x28
	s_load_b96 s[12:14], s[0:1], 0x18
	s_bfe_u32 s2, ttmp6, 0x4000c
	s_clause 0x1
	s_load_b32 s15, s[0:1], 0x0
	s_load_b128 s[4:7], s[0:1], 0x8
	s_add_co_i32 s2, s2, 1
	s_and_b32 s3, ttmp6, 15
	s_wait_xcnt 0x0
	s_mul_i32 s0, ttmp9, s2
	s_getreg_b32 s11, hwreg(HW_REG_IB_STS2, 6, 4)
	s_add_co_i32 s3, s3, s0
	s_mov_b32 s1, 0
	s_wait_kmcnt 0x0
	s_bfe_u32 s2, s10, 0x80008
	s_cmp_eq_u32 s11, 0
	s_mov_b32 s11, 0
	s_cselect_b32 s0, ttmp9, s3
	s_delay_alu instid0(SALU_CYCLE_1) | instskip(SKIP_1) | instid1(VALU_DEP_1)
	v_lshl_or_b32 v10, s0, 9, v0
	s_mov_b32 s0, exec_lo
	v_or_b32_e32 v0, 0x180, v10
	s_delay_alu instid0(VALU_DEP_1)
	v_cmpx_le_i32_e64 s15, v0
	s_xor_b32 s3, exec_lo, s0
	s_cbranch_execz .LBB62_1015
; %bb.1:
	s_cmp_eq_u32 s14, 0
	s_mov_b32 s19, 0
	s_cselect_b32 s11, -1, 0
	s_mov_b32 s21, -1
	s_mov_b32 s17, 0
	s_mov_b32 s16, 0
	s_mov_b32 s18, exec_lo
	v_cmpx_gt_i32_e64 s15, v10
	s_cbranch_execz .LBB62_248
; %bb.2:
	v_mul_lo_u32 v0, v10, s13
	s_and_b32 s0, 0xffff, s2
	s_delay_alu instid0(SALU_CYCLE_1) | instskip(NEXT) | instid1(VALU_DEP_1)
	s_cmp_lt_i32 s0, 11
	v_ashrrev_i32_e32 v1, 31, v0
	s_delay_alu instid0(VALU_DEP_1)
	v_add_nc_u64_e32 v[0:1], s[6:7], v[0:1]
	s_cbranch_scc1 .LBB62_9
; %bb.3:
	s_cmp_gt_i32 s0, 25
	s_cbranch_scc0 .LBB62_18
; %bb.4:
	s_cmp_gt_i32 s0, 28
	s_cbranch_scc0 .LBB62_21
	;; [unrolled: 3-line block ×4, first 2 shown]
; %bb.7:
	s_cmp_eq_u32 s0, 46
	s_mov_b32 s20, 0
	s_cbranch_scc0 .LBB62_27
; %bb.8:
	global_load_b32 v2, v[0:1], off
	s_mov_b32 s16, -1
	s_wait_loadcnt 0x0
	v_lshlrev_b32_e32 v2, 16, v2
	s_delay_alu instid0(VALU_DEP_1) | instskip(NEXT) | instid1(VALU_DEP_1)
	v_trunc_f32_e32 v2, v2
	v_mul_f32_e64 v3, 0x2f800000, |v2|
	s_delay_alu instid0(VALU_DEP_1) | instskip(NEXT) | instid1(VALU_DEP_1)
	v_floor_f32_e32 v3, v3
	v_fma_f32 v4, 0xcf800000, v3, |v2|
	v_ashrrev_i32_e32 v2, 31, v2
	v_cvt_u32_f32_e32 v5, v3
	s_delay_alu instid0(VALU_DEP_3) | instskip(NEXT) | instid1(VALU_DEP_2)
	v_cvt_u32_f32_e32 v4, v4
	v_dual_mov_b32 v3, v2 :: v_dual_bitop2_b32 v5, v5, v2 bitop3:0x14
	s_delay_alu instid0(VALU_DEP_2) | instskip(NEXT) | instid1(VALU_DEP_1)
	v_xor_b32_e32 v4, v4, v2
	v_sub_nc_u64_e32 v[2:3], v[4:5], v[2:3]
	s_branch .LBB62_29
.LBB62_9:
                                        ; implicit-def: $vgpr2_vgpr3
	s_cbranch_execnz .LBB62_198
.LBB62_10:
	s_and_not1_b32 vcc_lo, exec_lo, s16
	s_cbranch_vccnz .LBB62_245
.LBB62_11:
	s_wait_xcnt 0x0
	v_mul_lo_u32 v0, v10, s12
	s_wait_loadcnt 0x0
	s_delay_alu instid0(VALU_DEP_2) | instskip(SKIP_3) | instid1(VALU_DEP_2)
	v_cmp_ne_u64_e32 vcc_lo, s[8:9], v[2:3]
	s_and_b32 s20, s10, 0xff
	s_xor_b32 s16, s11, vcc_lo
	s_cmp_lt_i32 s20, 11
	v_ashrrev_i32_e32 v1, 31, v0
	s_delay_alu instid0(VALU_DEP_1)
	v_add_nc_u64_e32 v[0:1], s[4:5], v[0:1]
	s_cbranch_scc1 .LBB62_19
; %bb.12:
	s_and_b32 s21, 0xffff, s20
	s_delay_alu instid0(SALU_CYCLE_1)
	s_cmp_gt_i32 s21, 25
	s_cbranch_scc0 .LBB62_22
; %bb.13:
	s_cmp_gt_i32 s21, 28
	s_cbranch_scc0 .LBB62_24
; %bb.14:
	;; [unrolled: 3-line block ×4, first 2 shown]
	s_mov_b32 s23, 0
	s_mov_b32 s0, -1
	s_cmp_eq_u32 s21, 46
	s_mov_b32 s22, 0
	s_cbranch_scc0 .LBB62_33
; %bb.17:
	v_cndmask_b32_e64 v2, 0, 1.0, s16
	s_mov_b32 s22, -1
	s_mov_b32 s0, 0
	s_delay_alu instid0(VALU_DEP_1) | instskip(NEXT) | instid1(VALU_DEP_1)
	v_bfe_u32 v3, v2, 16, 1
	v_add3_u32 v2, v2, v3, 0x7fff
	s_delay_alu instid0(VALU_DEP_1)
	v_lshrrev_b32_e32 v2, 16, v2
	global_store_b32 v[0:1], v2, off
	s_branch .LBB62_33
.LBB62_18:
                                        ; implicit-def: $vgpr2_vgpr3
	s_cbranch_execnz .LBB62_165
	s_branch .LBB62_197
.LBB62_19:
	s_mov_b32 s0, 0
	s_mov_b32 s22, 0
	s_cbranch_execnz .LBB62_102
.LBB62_20:
	s_and_not1_b32 vcc_lo, exec_lo, s22
	s_cbranch_vccnz .LBB62_246
	s_branch .LBB62_140
.LBB62_21:
	s_mov_b32 s20, -1
                                        ; implicit-def: $vgpr2_vgpr3
	s_branch .LBB62_148
.LBB62_22:
	s_mov_b32 s23, -1
	s_mov_b32 s0, 0
	s_mov_b32 s22, 0
	s_branch .LBB62_60
.LBB62_23:
	s_mov_b32 s20, -1
                                        ; implicit-def: $vgpr2_vgpr3
	s_branch .LBB62_143
.LBB62_24:
	s_mov_b32 s23, -1
	s_mov_b32 s0, 0
	s_mov_b32 s22, 0
	s_branch .LBB62_43
.LBB62_25:
	s_mov_b32 s20, -1
	s_branch .LBB62_28
.LBB62_26:
	s_mov_b32 s23, -1
	s_mov_b32 s0, 0
	s_mov_b32 s22, 0
	s_branch .LBB62_39
.LBB62_27:
	s_mov_b32 s17, -1
.LBB62_28:
                                        ; implicit-def: $vgpr2_vgpr3
.LBB62_29:
	s_and_b32 vcc_lo, exec_lo, s20
	s_cbranch_vccz .LBB62_142
; %bb.30:
	s_cmp_eq_u32 s0, 44
	s_cbranch_scc0 .LBB62_141
; %bb.31:
	global_load_u8 v6, v[0:1], off
	s_mov_b32 s17, 0
	s_mov_b32 s16, -1
	s_wait_loadcnt 0x0
	v_cmp_ne_u32_e32 vcc_lo, 0, v6
	v_lshlrev_b32_e32 v2, 23, v6
	s_delay_alu instid0(VALU_DEP_1) | instskip(NEXT) | instid1(VALU_DEP_1)
	v_trunc_f32_e32 v2, v2
	v_mul_f32_e64 v3, 0x2f800000, |v2|
	s_delay_alu instid0(VALU_DEP_1) | instskip(NEXT) | instid1(VALU_DEP_1)
	v_floor_f32_e32 v3, v3
	v_fma_f32 v4, 0xcf800000, v3, |v2|
	v_ashrrev_i32_e32 v2, 31, v2
	v_cvt_u32_f32_e32 v5, v3
	s_delay_alu instid0(VALU_DEP_3) | instskip(NEXT) | instid1(VALU_DEP_2)
	v_cvt_u32_f32_e32 v4, v4
	v_dual_mov_b32 v3, v2 :: v_dual_bitop2_b32 v5, v5, v2 bitop3:0x14
	s_delay_alu instid0(VALU_DEP_2) | instskip(NEXT) | instid1(VALU_DEP_1)
	v_xor_b32_e32 v4, v4, v2
	v_sub_nc_u64_e32 v[2:3], v[4:5], v[2:3]
	s_delay_alu instid0(VALU_DEP_1)
	v_dual_cndmask_b32 v3, 0, v3 :: v_dual_cndmask_b32 v2, 0, v2
	s_branch .LBB62_142
.LBB62_32:
	s_mov_b32 s23, -1
	s_mov_b32 s0, 0
	s_mov_b32 s22, 0
.LBB62_33:
	s_and_b32 vcc_lo, exec_lo, s23
	s_cbranch_vccz .LBB62_38
; %bb.34:
	s_cmp_eq_u32 s21, 44
	s_mov_b32 s0, -1
	s_cbranch_scc0 .LBB62_38
; %bb.35:
	v_cndmask_b32_e64 v4, 0, 1.0, s16
	s_mov_b32 s22, exec_lo
	s_wait_xcnt 0x0
	s_delay_alu instid0(VALU_DEP_1) | instskip(NEXT) | instid1(VALU_DEP_1)
	v_dual_mov_b32 v3, 0xff :: v_dual_lshrrev_b32 v2, 23, v4
	v_cmpx_ne_u32_e32 0xff, v2
; %bb.36:
	v_and_b32_e32 v3, 0x400000, v4
	v_and_or_b32 v4, 0x3fffff, v4, v2
	s_delay_alu instid0(VALU_DEP_2) | instskip(NEXT) | instid1(VALU_DEP_2)
	v_cmp_ne_u32_e32 vcc_lo, 0, v3
	v_cmp_ne_u32_e64 s0, 0, v4
	s_and_b32 s0, vcc_lo, s0
	s_delay_alu instid0(SALU_CYCLE_1) | instskip(NEXT) | instid1(VALU_DEP_1)
	v_cndmask_b32_e64 v3, 0, 1, s0
	v_add_nc_u32_e32 v3, v2, v3
; %bb.37:
	s_or_b32 exec_lo, exec_lo, s22
	s_mov_b32 s22, -1
	s_mov_b32 s0, 0
	global_store_b8 v[0:1], v3, off
.LBB62_38:
	s_mov_b32 s23, 0
.LBB62_39:
	s_delay_alu instid0(SALU_CYCLE_1)
	s_and_b32 vcc_lo, exec_lo, s23
	s_cbranch_vccz .LBB62_42
; %bb.40:
	s_cmp_eq_u32 s21, 29
	s_mov_b32 s0, -1
	s_cbranch_scc0 .LBB62_42
; %bb.41:
	s_mov_b32 s0, 0
	s_wait_xcnt 0x0
	v_cndmask_b32_e64 v2, 0, 1, s16
	v_mov_b32_e32 v3, s0
	s_mov_b32 s22, -1
	s_mov_b32 s23, 0
	global_store_b64 v[0:1], v[2:3], off
	s_branch .LBB62_43
.LBB62_42:
	s_mov_b32 s23, 0
.LBB62_43:
	s_delay_alu instid0(SALU_CYCLE_1)
	s_and_b32 vcc_lo, exec_lo, s23
	s_cbranch_vccz .LBB62_59
; %bb.44:
	s_cmp_lt_i32 s21, 27
	s_mov_b32 s22, -1
	s_cbranch_scc1 .LBB62_50
; %bb.45:
	s_cmp_gt_i32 s21, 27
	s_cbranch_scc0 .LBB62_47
; %bb.46:
	s_wait_xcnt 0x0
	v_cndmask_b32_e64 v2, 0, 1, s16
	s_mov_b32 s22, 0
	global_store_b32 v[0:1], v2, off
.LBB62_47:
	s_and_not1_b32 vcc_lo, exec_lo, s22
	s_cbranch_vccnz .LBB62_49
; %bb.48:
	s_wait_xcnt 0x0
	v_cndmask_b32_e64 v2, 0, 1, s16
	global_store_b16 v[0:1], v2, off
.LBB62_49:
	s_mov_b32 s22, 0
.LBB62_50:
	s_delay_alu instid0(SALU_CYCLE_1)
	s_and_not1_b32 vcc_lo, exec_lo, s22
	s_cbranch_vccnz .LBB62_58
; %bb.51:
	s_wait_xcnt 0x0
	v_cndmask_b32_e64 v3, 0, 1.0, s16
	v_mov_b32_e32 v4, 0x80
	s_mov_b32 s22, exec_lo
	s_delay_alu instid0(VALU_DEP_2)
	v_cmpx_gt_u32_e32 0x43800000, v3
	s_cbranch_execz .LBB62_57
; %bb.52:
	s_mov_b32 s23, 0
	s_mov_b32 s24, exec_lo
                                        ; implicit-def: $vgpr2
	v_cmpx_lt_u32_e32 0x3bffffff, v3
	s_xor_b32 s24, exec_lo, s24
	s_cbranch_execz .LBB62_275
; %bb.53:
	v_bfe_u32 v2, v3, 20, 1
	s_mov_b32 s23, exec_lo
	s_delay_alu instid0(VALU_DEP_1) | instskip(NEXT) | instid1(VALU_DEP_1)
	v_add3_u32 v2, v3, v2, 0x487ffff
                                        ; implicit-def: $vgpr3
	v_lshrrev_b32_e32 v2, 20, v2
	s_and_not1_saveexec_b32 s24, s24
	s_cbranch_execnz .LBB62_276
.LBB62_54:
	s_or_b32 exec_lo, exec_lo, s24
	v_mov_b32_e32 v4, 0
	s_and_saveexec_b32 s24, s23
.LBB62_55:
	v_mov_b32_e32 v4, v2
.LBB62_56:
	s_or_b32 exec_lo, exec_lo, s24
.LBB62_57:
	s_delay_alu instid0(SALU_CYCLE_1)
	s_or_b32 exec_lo, exec_lo, s22
	global_store_b8 v[0:1], v4, off
.LBB62_58:
	s_mov_b32 s22, -1
.LBB62_59:
	s_mov_b32 s23, 0
.LBB62_60:
	s_delay_alu instid0(SALU_CYCLE_1)
	s_and_b32 vcc_lo, exec_lo, s23
	s_cbranch_vccz .LBB62_101
; %bb.61:
	s_cmp_gt_i32 s21, 22
	s_mov_b32 s23, -1
	s_cbranch_scc0 .LBB62_93
; %bb.62:
	s_cmp_lt_i32 s21, 24
	s_mov_b32 s22, -1
	s_cbranch_scc1 .LBB62_82
; %bb.63:
	s_cmp_gt_i32 s21, 24
	s_cbranch_scc0 .LBB62_71
; %bb.64:
	s_wait_xcnt 0x0
	v_cndmask_b32_e64 v3, 0, 1.0, s16
	v_mov_b32_e32 v4, 0x80
	s_mov_b32 s22, exec_lo
	s_delay_alu instid0(VALU_DEP_2)
	v_cmpx_gt_u32_e32 0x47800000, v3
	s_cbranch_execz .LBB62_70
; %bb.65:
	s_mov_b32 s23, 0
	s_mov_b32 s24, exec_lo
                                        ; implicit-def: $vgpr2
	v_cmpx_lt_u32_e32 0x37ffffff, v3
	s_xor_b32 s24, exec_lo, s24
	s_cbranch_execz .LBB62_279
; %bb.66:
	v_bfe_u32 v2, v3, 21, 1
	s_mov_b32 s23, exec_lo
	s_delay_alu instid0(VALU_DEP_1) | instskip(NEXT) | instid1(VALU_DEP_1)
	v_add3_u32 v2, v3, v2, 0x88fffff
                                        ; implicit-def: $vgpr3
	v_lshrrev_b32_e32 v2, 21, v2
	s_and_not1_saveexec_b32 s24, s24
	s_cbranch_execnz .LBB62_280
.LBB62_67:
	s_or_b32 exec_lo, exec_lo, s24
	v_mov_b32_e32 v4, 0
	s_and_saveexec_b32 s24, s23
.LBB62_68:
	v_mov_b32_e32 v4, v2
.LBB62_69:
	s_or_b32 exec_lo, exec_lo, s24
.LBB62_70:
	s_delay_alu instid0(SALU_CYCLE_1)
	s_or_b32 exec_lo, exec_lo, s22
	s_mov_b32 s22, 0
	global_store_b8 v[0:1], v4, off
.LBB62_71:
	s_and_b32 vcc_lo, exec_lo, s22
	s_cbranch_vccz .LBB62_81
; %bb.72:
	s_wait_xcnt 0x0
	v_cndmask_b32_e64 v3, 0, 1.0, s16
	s_mov_b32 s22, exec_lo
                                        ; implicit-def: $vgpr2
	s_delay_alu instid0(VALU_DEP_1)
	v_cmpx_gt_u32_e32 0x43f00000, v3
	s_xor_b32 s22, exec_lo, s22
	s_cbranch_execz .LBB62_78
; %bb.73:
	s_mov_b32 s23, exec_lo
                                        ; implicit-def: $vgpr2
	v_cmpx_lt_u32_e32 0x3c7fffff, v3
	s_xor_b32 s23, exec_lo, s23
; %bb.74:
	v_bfe_u32 v2, v3, 20, 1
	s_delay_alu instid0(VALU_DEP_1) | instskip(NEXT) | instid1(VALU_DEP_1)
	v_add3_u32 v2, v3, v2, 0x407ffff
	v_and_b32_e32 v3, 0xff00000, v2
	v_lshrrev_b32_e32 v2, 20, v2
	s_delay_alu instid0(VALU_DEP_2) | instskip(NEXT) | instid1(VALU_DEP_2)
	v_cmp_ne_u32_e32 vcc_lo, 0x7f00000, v3
                                        ; implicit-def: $vgpr3
	v_cndmask_b32_e32 v2, 0x7e, v2, vcc_lo
; %bb.75:
	s_and_not1_saveexec_b32 s23, s23
; %bb.76:
	v_add_f32_e32 v2, 0x46800000, v3
; %bb.77:
	s_or_b32 exec_lo, exec_lo, s23
                                        ; implicit-def: $vgpr3
.LBB62_78:
	s_and_not1_saveexec_b32 s22, s22
; %bb.79:
	v_mov_b32_e32 v2, 0x7f
	v_cmp_lt_u32_e32 vcc_lo, 0x7f800000, v3
	s_delay_alu instid0(VALU_DEP_2)
	v_cndmask_b32_e32 v2, 0x7e, v2, vcc_lo
; %bb.80:
	s_or_b32 exec_lo, exec_lo, s22
	global_store_b8 v[0:1], v2, off
.LBB62_81:
	s_mov_b32 s22, 0
.LBB62_82:
	s_delay_alu instid0(SALU_CYCLE_1)
	s_and_not1_b32 vcc_lo, exec_lo, s22
	s_cbranch_vccnz .LBB62_92
; %bb.83:
	s_wait_xcnt 0x0
	v_cndmask_b32_e64 v3, 0, 1.0, s16
	s_mov_b32 s22, exec_lo
                                        ; implicit-def: $vgpr2
	s_delay_alu instid0(VALU_DEP_1)
	v_cmpx_gt_u32_e32 0x47800000, v3
	s_xor_b32 s22, exec_lo, s22
	s_cbranch_execz .LBB62_89
; %bb.84:
	s_mov_b32 s23, exec_lo
                                        ; implicit-def: $vgpr2
	v_cmpx_lt_u32_e32 0x387fffff, v3
	s_xor_b32 s23, exec_lo, s23
; %bb.85:
	v_bfe_u32 v2, v3, 21, 1
	s_delay_alu instid0(VALU_DEP_1) | instskip(NEXT) | instid1(VALU_DEP_1)
	v_add3_u32 v2, v3, v2, 0x80fffff
                                        ; implicit-def: $vgpr3
	v_lshrrev_b32_e32 v2, 21, v2
; %bb.86:
	s_and_not1_saveexec_b32 s23, s23
; %bb.87:
	v_add_f32_e32 v2, 0x43000000, v3
; %bb.88:
	s_or_b32 exec_lo, exec_lo, s23
                                        ; implicit-def: $vgpr3
.LBB62_89:
	s_and_not1_saveexec_b32 s22, s22
; %bb.90:
	v_mov_b32_e32 v2, 0x7f
	v_cmp_lt_u32_e32 vcc_lo, 0x7f800000, v3
	s_delay_alu instid0(VALU_DEP_2)
	v_cndmask_b32_e32 v2, 0x7c, v2, vcc_lo
; %bb.91:
	s_or_b32 exec_lo, exec_lo, s22
	global_store_b8 v[0:1], v2, off
.LBB62_92:
	s_mov_b32 s23, 0
	s_mov_b32 s22, -1
.LBB62_93:
	s_and_not1_b32 vcc_lo, exec_lo, s23
	s_cbranch_vccnz .LBB62_101
; %bb.94:
	s_cmp_gt_i32 s21, 14
	s_mov_b32 s23, -1
	s_cbranch_scc0 .LBB62_98
; %bb.95:
	s_cmp_eq_u32 s21, 15
	s_mov_b32 s0, -1
	s_cbranch_scc0 .LBB62_97
; %bb.96:
	s_wait_xcnt 0x0
	v_cndmask_b32_e64 v2, 0, 1.0, s16
	s_mov_b32 s22, -1
	s_mov_b32 s0, 0
	s_delay_alu instid0(VALU_DEP_1) | instskip(NEXT) | instid1(VALU_DEP_1)
	v_bfe_u32 v3, v2, 16, 1
	v_add3_u32 v2, v2, v3, 0x7fff
	global_store_d16_hi_b16 v[0:1], v2, off
.LBB62_97:
	s_mov_b32 s23, 0
.LBB62_98:
	s_delay_alu instid0(SALU_CYCLE_1)
	s_and_b32 vcc_lo, exec_lo, s23
	s_cbranch_vccz .LBB62_101
; %bb.99:
	s_cmp_eq_u32 s21, 11
	s_mov_b32 s0, -1
	s_cbranch_scc0 .LBB62_101
; %bb.100:
	s_wait_xcnt 0x0
	v_cndmask_b32_e64 v2, 0, 1, s16
	s_mov_b32 s22, -1
	s_mov_b32 s0, 0
	global_store_b8 v[0:1], v2, off
.LBB62_101:
	s_branch .LBB62_20
.LBB62_102:
	s_and_b32 s20, 0xffff, s20
	s_mov_b32 s21, -1
	s_cmp_lt_i32 s20, 5
	s_cbranch_scc1 .LBB62_123
; %bb.103:
	s_cmp_lt_i32 s20, 8
	s_cbranch_scc1 .LBB62_113
; %bb.104:
	;; [unrolled: 3-line block ×3, first 2 shown]
	s_cmp_gt_i32 s20, 9
	s_cbranch_scc0 .LBB62_107
; %bb.106:
	s_wait_xcnt 0x0
	v_cndmask_b32_e64 v2, 0, 1, s16
	v_mov_b32_e32 v4, 0
	s_mov_b32 s21, 0
	s_delay_alu instid0(VALU_DEP_2) | instskip(NEXT) | instid1(VALU_DEP_2)
	v_cvt_f64_u32_e32 v[2:3], v2
	v_mov_b32_e32 v5, v4
	global_store_b128 v[0:1], v[2:5], off
.LBB62_107:
	s_and_not1_b32 vcc_lo, exec_lo, s21
	s_cbranch_vccnz .LBB62_109
; %bb.108:
	s_wait_xcnt 0x0
	v_cndmask_b32_e64 v2, 0, 1.0, s16
	v_mov_b32_e32 v3, 0
	global_store_b64 v[0:1], v[2:3], off
.LBB62_109:
	s_mov_b32 s21, 0
.LBB62_110:
	s_delay_alu instid0(SALU_CYCLE_1)
	s_and_not1_b32 vcc_lo, exec_lo, s21
	s_cbranch_vccnz .LBB62_112
; %bb.111:
	s_wait_xcnt 0x0
	v_cndmask_b32_e64 v2, 0, 1.0, s16
	s_delay_alu instid0(VALU_DEP_1) | instskip(NEXT) | instid1(VALU_DEP_1)
	v_cvt_f16_f32_e32 v2, v2
	v_and_b32_e32 v2, 0xffff, v2
	global_store_b32 v[0:1], v2, off
.LBB62_112:
	s_mov_b32 s21, 0
.LBB62_113:
	s_delay_alu instid0(SALU_CYCLE_1)
	s_and_not1_b32 vcc_lo, exec_lo, s21
	s_cbranch_vccnz .LBB62_122
; %bb.114:
	s_cmp_lt_i32 s20, 6
	s_mov_b32 s21, -1
	s_cbranch_scc1 .LBB62_120
; %bb.115:
	s_cmp_gt_i32 s20, 6
	s_cbranch_scc0 .LBB62_117
; %bb.116:
	s_wait_xcnt 0x0
	v_cndmask_b32_e64 v2, 0, 1, s16
	s_mov_b32 s21, 0
	s_delay_alu instid0(VALU_DEP_1)
	v_cvt_f64_u32_e32 v[2:3], v2
	global_store_b64 v[0:1], v[2:3], off
.LBB62_117:
	s_and_not1_b32 vcc_lo, exec_lo, s21
	s_cbranch_vccnz .LBB62_119
; %bb.118:
	s_wait_xcnt 0x0
	v_cndmask_b32_e64 v2, 0, 1.0, s16
	global_store_b32 v[0:1], v2, off
.LBB62_119:
	s_mov_b32 s21, 0
.LBB62_120:
	s_delay_alu instid0(SALU_CYCLE_1)
	s_and_not1_b32 vcc_lo, exec_lo, s21
	s_cbranch_vccnz .LBB62_122
; %bb.121:
	s_wait_xcnt 0x0
	v_cndmask_b32_e64 v2, 0, 1.0, s16
	s_delay_alu instid0(VALU_DEP_1)
	v_cvt_f16_f32_e32 v2, v2
	global_store_b16 v[0:1], v2, off
.LBB62_122:
	s_mov_b32 s21, 0
.LBB62_123:
	s_delay_alu instid0(SALU_CYCLE_1)
	s_and_not1_b32 vcc_lo, exec_lo, s21
	s_cbranch_vccnz .LBB62_139
; %bb.124:
	s_cmp_lt_i32 s20, 2
	s_mov_b32 s21, -1
	s_cbranch_scc1 .LBB62_134
; %bb.125:
	s_cmp_lt_i32 s20, 3
	s_cbranch_scc1 .LBB62_131
; %bb.126:
	s_cmp_gt_i32 s20, 3
	s_cbranch_scc0 .LBB62_128
; %bb.127:
	s_mov_b32 s21, 0
	s_wait_xcnt 0x0
	v_cndmask_b32_e64 v2, 0, 1, s16
	v_mov_b32_e32 v3, s21
	global_store_b64 v[0:1], v[2:3], off
.LBB62_128:
	s_and_not1_b32 vcc_lo, exec_lo, s21
	s_cbranch_vccnz .LBB62_130
; %bb.129:
	s_wait_xcnt 0x0
	v_cndmask_b32_e64 v2, 0, 1, s16
	global_store_b32 v[0:1], v2, off
.LBB62_130:
	s_mov_b32 s21, 0
.LBB62_131:
	s_delay_alu instid0(SALU_CYCLE_1)
	s_and_not1_b32 vcc_lo, exec_lo, s21
	s_cbranch_vccnz .LBB62_133
; %bb.132:
	s_wait_xcnt 0x0
	v_cndmask_b32_e64 v2, 0, 1, s16
	global_store_b16 v[0:1], v2, off
.LBB62_133:
	s_mov_b32 s21, 0
.LBB62_134:
	s_delay_alu instid0(SALU_CYCLE_1)
	s_and_not1_b32 vcc_lo, exec_lo, s21
	s_cbranch_vccnz .LBB62_139
; %bb.135:
	s_wait_xcnt 0x0
	v_cndmask_b32_e64 v2, 0, 1, s16
	s_cmp_gt_i32 s20, 0
	s_mov_b32 s16, -1
	s_cbranch_scc0 .LBB62_137
; %bb.136:
	s_mov_b32 s16, 0
	global_store_b8 v[0:1], v2, off
.LBB62_137:
	s_and_not1_b32 vcc_lo, exec_lo, s16
	s_cbranch_vccnz .LBB62_139
; %bb.138:
	global_store_b8 v[0:1], v2, off
.LBB62_139:
.LBB62_140:
	v_add_nc_u32_e32 v10, 0x80, v10
	s_mov_b32 s20, -1
	s_branch .LBB62_247
.LBB62_141:
	s_mov_b32 s17, -1
                                        ; implicit-def: $vgpr2_vgpr3
.LBB62_142:
	s_mov_b32 s20, 0
.LBB62_143:
	s_delay_alu instid0(SALU_CYCLE_1)
	s_and_b32 vcc_lo, exec_lo, s20
	s_cbranch_vccz .LBB62_147
; %bb.144:
	s_cmp_eq_u32 s0, 29
	s_cbranch_scc0 .LBB62_146
; %bb.145:
	global_load_b64 v[2:3], v[0:1], off
	s_mov_b32 s16, -1
	s_mov_b32 s17, 0
	s_branch .LBB62_147
.LBB62_146:
	s_mov_b32 s17, -1
                                        ; implicit-def: $vgpr2_vgpr3
.LBB62_147:
	s_mov_b32 s20, 0
.LBB62_148:
	s_delay_alu instid0(SALU_CYCLE_1)
	s_and_b32 vcc_lo, exec_lo, s20
	s_cbranch_vccz .LBB62_164
; %bb.149:
	s_cmp_lt_i32 s0, 27
	s_cbranch_scc1 .LBB62_152
; %bb.150:
	s_cmp_gt_i32 s0, 27
	s_cbranch_scc0 .LBB62_153
; %bb.151:
	s_wait_loadcnt 0x0
	global_load_b32 v2, v[0:1], off
	v_mov_b32_e32 v3, 0
	s_mov_b32 s16, 0
	s_branch .LBB62_154
.LBB62_152:
	s_mov_b32 s16, -1
                                        ; implicit-def: $vgpr2_vgpr3
	s_branch .LBB62_157
.LBB62_153:
	s_mov_b32 s16, -1
                                        ; implicit-def: $vgpr2_vgpr3
.LBB62_154:
	s_delay_alu instid0(SALU_CYCLE_1)
	s_and_not1_b32 vcc_lo, exec_lo, s16
	s_cbranch_vccnz .LBB62_156
; %bb.155:
	s_wait_loadcnt 0x0
	global_load_u16 v2, v[0:1], off
	s_mov_b32 s16, 0
	s_delay_alu instid0(SALU_CYCLE_1)
	v_mov_b32_e32 v3, s16
	s_wait_loadcnt 0x0
	v_and_b32_e32 v2, 0xffff, v2
.LBB62_156:
	s_mov_b32 s16, 0
.LBB62_157:
	s_delay_alu instid0(SALU_CYCLE_1)
	s_and_not1_b32 vcc_lo, exec_lo, s16
	s_cbranch_vccnz .LBB62_163
; %bb.158:
	global_load_u8 v4, v[0:1], off
	s_mov_b32 s20, 0
	s_mov_b32 s16, exec_lo
	s_wait_loadcnt 0x0
	v_cmpx_lt_i16_e32 0x7f, v4
	s_xor_b32 s16, exec_lo, s16
	s_cbranch_execz .LBB62_174
; %bb.159:
	v_cmp_ne_u16_e32 vcc_lo, 0x80, v4
	s_and_b32 s20, vcc_lo, exec_lo
	s_and_not1_saveexec_b32 s16, s16
	s_cbranch_execnz .LBB62_175
.LBB62_160:
	s_or_b32 exec_lo, exec_lo, s16
	v_mov_b64_e32 v[2:3], 0
	s_and_saveexec_b32 s16, s20
	s_cbranch_execz .LBB62_162
.LBB62_161:
	v_and_b32_e32 v2, 0xffff, v4
	s_delay_alu instid0(VALU_DEP_1) | instskip(SKIP_1) | instid1(VALU_DEP_2)
	v_and_b32_e32 v3, 7, v2
	v_bfe_u32 v7, v2, 3, 4
	v_clz_i32_u32_e32 v5, v3
	s_delay_alu instid0(VALU_DEP_2) | instskip(NEXT) | instid1(VALU_DEP_2)
	v_cmp_eq_u32_e32 vcc_lo, 0, v7
	v_min_u32_e32 v5, 32, v5
	s_delay_alu instid0(VALU_DEP_1) | instskip(NEXT) | instid1(VALU_DEP_1)
	v_subrev_nc_u32_e32 v6, 28, v5
	v_dual_lshlrev_b32 v2, v6, v2 :: v_dual_sub_nc_u32 v5, 29, v5
	s_delay_alu instid0(VALU_DEP_1) | instskip(NEXT) | instid1(VALU_DEP_2)
	v_dual_lshlrev_b32 v4, 24, v4 :: v_dual_bitop2_b32 v2, 7, v2 bitop3:0x40
	v_cndmask_b32_e32 v5, v7, v5, vcc_lo
	s_delay_alu instid0(VALU_DEP_2) | instskip(NEXT) | instid1(VALU_DEP_3)
	v_cndmask_b32_e32 v2, v3, v2, vcc_lo
	v_and_b32_e32 v3, 0x80000000, v4
	s_delay_alu instid0(VALU_DEP_3) | instskip(NEXT) | instid1(VALU_DEP_3)
	v_lshl_add_u32 v4, v5, 23, 0x3b800000
	v_lshlrev_b32_e32 v2, 20, v2
	s_delay_alu instid0(VALU_DEP_1) | instskip(NEXT) | instid1(VALU_DEP_1)
	v_or3_b32 v2, v3, v4, v2
	v_trunc_f32_e32 v2, v2
	s_delay_alu instid0(VALU_DEP_1) | instskip(NEXT) | instid1(VALU_DEP_1)
	v_mul_f32_e64 v3, 0x2f800000, |v2|
	v_floor_f32_e32 v3, v3
	s_delay_alu instid0(VALU_DEP_1) | instskip(SKIP_2) | instid1(VALU_DEP_3)
	v_fma_f32 v4, 0xcf800000, v3, |v2|
	v_ashrrev_i32_e32 v2, 31, v2
	v_cvt_u32_f32_e32 v5, v3
	v_cvt_u32_f32_e32 v4, v4
	s_delay_alu instid0(VALU_DEP_2) | instskip(NEXT) | instid1(VALU_DEP_2)
	v_dual_mov_b32 v3, v2 :: v_dual_bitop2_b32 v5, v5, v2 bitop3:0x14
	v_xor_b32_e32 v4, v4, v2
	s_delay_alu instid0(VALU_DEP_1)
	v_sub_nc_u64_e32 v[2:3], v[4:5], v[2:3]
.LBB62_162:
	s_or_b32 exec_lo, exec_lo, s16
.LBB62_163:
	s_mov_b32 s16, -1
.LBB62_164:
	s_branch .LBB62_197
.LBB62_165:
	s_cmp_gt_i32 s0, 22
	s_cbranch_scc0 .LBB62_173
; %bb.166:
	s_cmp_lt_i32 s0, 24
	s_cbranch_scc1 .LBB62_176
; %bb.167:
	s_cmp_gt_i32 s0, 24
	s_cbranch_scc0 .LBB62_177
; %bb.168:
	global_load_u8 v4, v[0:1], off
	s_mov_b32 s20, 0
	s_mov_b32 s16, exec_lo
	s_wait_loadcnt 0x0
	v_cmpx_lt_i16_e32 0x7f, v4
	s_xor_b32 s16, exec_lo, s16
	s_cbranch_execz .LBB62_189
; %bb.169:
	v_cmp_ne_u16_e32 vcc_lo, 0x80, v4
	s_and_b32 s20, vcc_lo, exec_lo
	s_and_not1_saveexec_b32 s16, s16
	s_cbranch_execnz .LBB62_190
.LBB62_170:
	s_or_b32 exec_lo, exec_lo, s16
	v_mov_b64_e32 v[2:3], 0
	s_and_saveexec_b32 s16, s20
	s_cbranch_execz .LBB62_172
.LBB62_171:
	v_and_b32_e32 v2, 0xffff, v4
	s_delay_alu instid0(VALU_DEP_1) | instskip(SKIP_1) | instid1(VALU_DEP_2)
	v_and_b32_e32 v3, 3, v2
	v_bfe_u32 v7, v2, 2, 5
	v_clz_i32_u32_e32 v5, v3
	s_delay_alu instid0(VALU_DEP_2) | instskip(NEXT) | instid1(VALU_DEP_2)
	v_cmp_eq_u32_e32 vcc_lo, 0, v7
	v_min_u32_e32 v5, 32, v5
	s_delay_alu instid0(VALU_DEP_1) | instskip(NEXT) | instid1(VALU_DEP_1)
	v_subrev_nc_u32_e32 v6, 29, v5
	v_dual_lshlrev_b32 v2, v6, v2 :: v_dual_sub_nc_u32 v5, 30, v5
	s_delay_alu instid0(VALU_DEP_1) | instskip(NEXT) | instid1(VALU_DEP_2)
	v_dual_lshlrev_b32 v4, 24, v4 :: v_dual_bitop2_b32 v2, 3, v2 bitop3:0x40
	v_cndmask_b32_e32 v5, v7, v5, vcc_lo
	s_delay_alu instid0(VALU_DEP_2) | instskip(NEXT) | instid1(VALU_DEP_3)
	v_cndmask_b32_e32 v2, v3, v2, vcc_lo
	v_and_b32_e32 v3, 0x80000000, v4
	s_delay_alu instid0(VALU_DEP_3) | instskip(NEXT) | instid1(VALU_DEP_3)
	v_lshl_add_u32 v4, v5, 23, 0x37800000
	v_lshlrev_b32_e32 v2, 21, v2
	s_delay_alu instid0(VALU_DEP_1) | instskip(NEXT) | instid1(VALU_DEP_1)
	v_or3_b32 v2, v3, v4, v2
	v_trunc_f32_e32 v2, v2
	s_delay_alu instid0(VALU_DEP_1) | instskip(NEXT) | instid1(VALU_DEP_1)
	v_mul_f32_e64 v3, 0x2f800000, |v2|
	v_floor_f32_e32 v3, v3
	s_delay_alu instid0(VALU_DEP_1) | instskip(SKIP_2) | instid1(VALU_DEP_3)
	v_fma_f32 v4, 0xcf800000, v3, |v2|
	v_ashrrev_i32_e32 v2, 31, v2
	v_cvt_u32_f32_e32 v5, v3
	v_cvt_u32_f32_e32 v4, v4
	s_delay_alu instid0(VALU_DEP_2) | instskip(NEXT) | instid1(VALU_DEP_2)
	v_dual_mov_b32 v3, v2 :: v_dual_bitop2_b32 v5, v5, v2 bitop3:0x14
	v_xor_b32_e32 v4, v4, v2
	s_delay_alu instid0(VALU_DEP_1)
	v_sub_nc_u64_e32 v[2:3], v[4:5], v[2:3]
.LBB62_172:
	s_or_b32 exec_lo, exec_lo, s16
	s_mov_b32 s16, 0
	s_branch .LBB62_178
.LBB62_173:
	s_mov_b32 s20, -1
                                        ; implicit-def: $vgpr2_vgpr3
	s_branch .LBB62_184
.LBB62_174:
	s_and_not1_saveexec_b32 s16, s16
	s_cbranch_execz .LBB62_160
.LBB62_175:
	v_cmp_ne_u16_e32 vcc_lo, 0, v4
	s_and_not1_b32 s20, s20, exec_lo
	s_and_b32 s21, vcc_lo, exec_lo
	s_delay_alu instid0(SALU_CYCLE_1)
	s_or_b32 s20, s20, s21
	s_or_b32 exec_lo, exec_lo, s16
	v_mov_b64_e32 v[2:3], 0
	s_and_saveexec_b32 s16, s20
	s_cbranch_execnz .LBB62_161
	s_branch .LBB62_162
.LBB62_176:
	s_mov_b32 s16, -1
                                        ; implicit-def: $vgpr2_vgpr3
	s_branch .LBB62_181
.LBB62_177:
	s_mov_b32 s16, -1
                                        ; implicit-def: $vgpr2_vgpr3
.LBB62_178:
	s_delay_alu instid0(SALU_CYCLE_1)
	s_and_b32 vcc_lo, exec_lo, s16
	s_cbranch_vccz .LBB62_180
; %bb.179:
	s_wait_loadcnt 0x0
	global_load_u8 v2, v[0:1], off
	s_wait_loadcnt 0x0
	v_lshlrev_b32_e32 v2, 24, v2
	s_delay_alu instid0(VALU_DEP_1) | instskip(NEXT) | instid1(VALU_DEP_1)
	v_and_b32_e32 v3, 0x7f000000, v2
	v_clz_i32_u32_e32 v4, v3
	v_cmp_ne_u32_e32 vcc_lo, 0, v3
	v_add_nc_u32_e32 v6, 0x1000000, v3
	s_delay_alu instid0(VALU_DEP_3) | instskip(NEXT) | instid1(VALU_DEP_1)
	v_min_u32_e32 v4, 32, v4
	v_sub_nc_u32_e64 v4, v4, 4 clamp
	s_delay_alu instid0(VALU_DEP_1) | instskip(NEXT) | instid1(VALU_DEP_1)
	v_dual_lshlrev_b32 v5, v4, v3 :: v_dual_lshlrev_b32 v4, 23, v4
	v_lshrrev_b32_e32 v5, 4, v5
	s_delay_alu instid0(VALU_DEP_1) | instskip(NEXT) | instid1(VALU_DEP_1)
	v_dual_sub_nc_u32 v4, v5, v4 :: v_dual_ashrrev_i32 v5, 8, v6
	v_add_nc_u32_e32 v4, 0x3c000000, v4
	s_delay_alu instid0(VALU_DEP_1) | instskip(NEXT) | instid1(VALU_DEP_1)
	v_and_or_b32 v4, 0x7f800000, v5, v4
	v_cndmask_b32_e32 v3, 0, v4, vcc_lo
	s_delay_alu instid0(VALU_DEP_1) | instskip(NEXT) | instid1(VALU_DEP_1)
	v_and_or_b32 v2, 0x80000000, v2, v3
	v_trunc_f32_e32 v2, v2
	s_delay_alu instid0(VALU_DEP_1) | instskip(NEXT) | instid1(VALU_DEP_1)
	v_mul_f32_e64 v3, 0x2f800000, |v2|
	v_floor_f32_e32 v3, v3
	s_delay_alu instid0(VALU_DEP_1) | instskip(SKIP_2) | instid1(VALU_DEP_3)
	v_fma_f32 v4, 0xcf800000, v3, |v2|
	v_ashrrev_i32_e32 v2, 31, v2
	v_cvt_u32_f32_e32 v5, v3
	v_cvt_u32_f32_e32 v4, v4
	s_delay_alu instid0(VALU_DEP_2) | instskip(NEXT) | instid1(VALU_DEP_2)
	v_dual_mov_b32 v3, v2 :: v_dual_bitop2_b32 v5, v5, v2 bitop3:0x14
	v_xor_b32_e32 v4, v4, v2
	s_delay_alu instid0(VALU_DEP_1)
	v_sub_nc_u64_e32 v[2:3], v[4:5], v[2:3]
.LBB62_180:
	s_mov_b32 s16, 0
.LBB62_181:
	s_delay_alu instid0(SALU_CYCLE_1)
	s_and_not1_b32 vcc_lo, exec_lo, s16
	s_cbranch_vccnz .LBB62_183
; %bb.182:
	s_wait_loadcnt 0x0
	global_load_u8 v2, v[0:1], off
	s_wait_loadcnt 0x0
	v_lshlrev_b32_e32 v3, 25, v2
	v_lshlrev_b16 v2, 8, v2
	s_delay_alu instid0(VALU_DEP_1) | instskip(SKIP_1) | instid1(VALU_DEP_2)
	v_and_or_b32 v5, 0x7f00, v2, 0.5
	v_bfe_i32 v2, v2, 0, 16
	v_dual_add_f32 v5, -0.5, v5 :: v_dual_lshrrev_b32 v4, 4, v3
	v_cmp_gt_u32_e32 vcc_lo, 0x8000000, v3
	s_delay_alu instid0(VALU_DEP_2) | instskip(NEXT) | instid1(VALU_DEP_1)
	v_or_b32_e32 v4, 0x70000000, v4
	v_mul_f32_e32 v4, 0x7800000, v4
	s_delay_alu instid0(VALU_DEP_1) | instskip(NEXT) | instid1(VALU_DEP_1)
	v_cndmask_b32_e32 v3, v4, v5, vcc_lo
	v_and_or_b32 v2, 0x80000000, v2, v3
	s_delay_alu instid0(VALU_DEP_1) | instskip(NEXT) | instid1(VALU_DEP_1)
	v_trunc_f32_e32 v2, v2
	v_mul_f32_e64 v3, 0x2f800000, |v2|
	s_delay_alu instid0(VALU_DEP_1) | instskip(NEXT) | instid1(VALU_DEP_1)
	v_floor_f32_e32 v3, v3
	v_fma_f32 v4, 0xcf800000, v3, |v2|
	v_ashrrev_i32_e32 v2, 31, v2
	v_cvt_u32_f32_e32 v5, v3
	s_delay_alu instid0(VALU_DEP_3) | instskip(NEXT) | instid1(VALU_DEP_2)
	v_cvt_u32_f32_e32 v4, v4
	v_dual_mov_b32 v3, v2 :: v_dual_bitop2_b32 v5, v5, v2 bitop3:0x14
	s_delay_alu instid0(VALU_DEP_2) | instskip(NEXT) | instid1(VALU_DEP_1)
	v_xor_b32_e32 v4, v4, v2
	v_sub_nc_u64_e32 v[2:3], v[4:5], v[2:3]
.LBB62_183:
	s_mov_b32 s20, 0
	s_mov_b32 s16, -1
.LBB62_184:
	s_and_not1_b32 vcc_lo, exec_lo, s20
	s_cbranch_vccnz .LBB62_197
; %bb.185:
	s_cmp_gt_i32 s0, 14
	s_cbranch_scc0 .LBB62_188
; %bb.186:
	s_cmp_eq_u32 s0, 15
	s_cbranch_scc0 .LBB62_191
; %bb.187:
	s_wait_loadcnt 0x0
	global_load_u16 v2, v[0:1], off
	s_mov_b32 s16, -1
	s_mov_b32 s17, 0
	s_wait_loadcnt 0x0
	v_lshlrev_b32_e32 v2, 16, v2
	s_delay_alu instid0(VALU_DEP_1) | instskip(NEXT) | instid1(VALU_DEP_1)
	v_trunc_f32_e32 v2, v2
	v_mul_f32_e64 v3, 0x2f800000, |v2|
	s_delay_alu instid0(VALU_DEP_1) | instskip(NEXT) | instid1(VALU_DEP_1)
	v_floor_f32_e32 v3, v3
	v_fma_f32 v4, 0xcf800000, v3, |v2|
	v_ashrrev_i32_e32 v2, 31, v2
	v_cvt_u32_f32_e32 v5, v3
	s_delay_alu instid0(VALU_DEP_3) | instskip(NEXT) | instid1(VALU_DEP_2)
	v_cvt_u32_f32_e32 v4, v4
	v_dual_mov_b32 v3, v2 :: v_dual_bitop2_b32 v5, v5, v2 bitop3:0x14
	s_delay_alu instid0(VALU_DEP_2) | instskip(NEXT) | instid1(VALU_DEP_1)
	v_xor_b32_e32 v4, v4, v2
	v_sub_nc_u64_e32 v[2:3], v[4:5], v[2:3]
	s_branch .LBB62_192
.LBB62_188:
	s_mov_b32 s20, -1
                                        ; implicit-def: $vgpr2_vgpr3
	s_branch .LBB62_193
.LBB62_189:
	s_and_not1_saveexec_b32 s16, s16
	s_cbranch_execz .LBB62_170
.LBB62_190:
	v_cmp_ne_u16_e32 vcc_lo, 0, v4
	s_and_not1_b32 s20, s20, exec_lo
	s_and_b32 s21, vcc_lo, exec_lo
	s_delay_alu instid0(SALU_CYCLE_1)
	s_or_b32 s20, s20, s21
	s_or_b32 exec_lo, exec_lo, s16
	v_mov_b64_e32 v[2:3], 0
	s_and_saveexec_b32 s16, s20
	s_cbranch_execnz .LBB62_171
	s_branch .LBB62_172
.LBB62_191:
	s_mov_b32 s17, -1
                                        ; implicit-def: $vgpr2_vgpr3
.LBB62_192:
	s_mov_b32 s20, 0
.LBB62_193:
	s_delay_alu instid0(SALU_CYCLE_1)
	s_and_b32 vcc_lo, exec_lo, s20
	s_cbranch_vccz .LBB62_197
; %bb.194:
	s_cmp_eq_u32 s0, 11
	s_cbranch_scc0 .LBB62_196
; %bb.195:
	s_wait_loadcnt 0x0
	global_load_u8 v2, v[0:1], off
	s_mov_b32 s17, 0
	s_mov_b32 s16, -1
	v_mov_b32_e32 v3, s17
	s_wait_loadcnt 0x0
	v_cmp_ne_u16_e32 vcc_lo, 0, v2
	v_cndmask_b32_e64 v2, 0, 1, vcc_lo
	s_branch .LBB62_197
.LBB62_196:
	s_mov_b32 s17, -1
                                        ; implicit-def: $vgpr2_vgpr3
.LBB62_197:
	s_branch .LBB62_10
.LBB62_198:
	s_cmp_lt_i32 s0, 5
	s_cbranch_scc1 .LBB62_203
; %bb.199:
	s_cmp_lt_i32 s0, 8
	s_cbranch_scc1 .LBB62_204
; %bb.200:
	;; [unrolled: 3-line block ×3, first 2 shown]
	s_cmp_gt_i32 s0, 9
	s_cbranch_scc0 .LBB62_206
; %bb.202:
	s_wait_loadcnt 0x0
	global_load_b64 v[2:3], v[0:1], off
	s_mov_b32 s16, 0
	s_wait_loadcnt 0x0
	v_trunc_f64_e32 v[2:3], v[2:3]
	s_delay_alu instid0(VALU_DEP_1) | instskip(NEXT) | instid1(VALU_DEP_1)
	v_ldexp_f64 v[4:5], v[2:3], 0xffffffe0
	v_floor_f64_e32 v[4:5], v[4:5]
	s_delay_alu instid0(VALU_DEP_1) | instskip(SKIP_1) | instid1(VALU_DEP_2)
	v_fmamk_f64 v[6:7], v[4:5], 0xc1f00000, v[2:3]
	v_cvt_i32_f64_e32 v3, v[4:5]
	v_cvt_u32_f64_e32 v2, v[6:7]
	s_branch .LBB62_207
.LBB62_203:
                                        ; implicit-def: $vgpr2_vgpr3
	s_branch .LBB62_225
.LBB62_204:
	s_mov_b32 s16, -1
                                        ; implicit-def: $vgpr2_vgpr3
	s_branch .LBB62_213
.LBB62_205:
	s_mov_b32 s16, -1
                                        ; implicit-def: $vgpr2_vgpr3
	s_branch .LBB62_210
.LBB62_206:
	s_mov_b32 s16, -1
                                        ; implicit-def: $vgpr2_vgpr3
.LBB62_207:
	s_delay_alu instid0(SALU_CYCLE_1)
	s_and_not1_b32 vcc_lo, exec_lo, s16
	s_cbranch_vccnz .LBB62_209
; %bb.208:
	s_wait_loadcnt 0x0
	global_load_b32 v2, v[0:1], off
	s_wait_loadcnt 0x0
	v_trunc_f32_e32 v2, v2
	s_delay_alu instid0(VALU_DEP_1) | instskip(NEXT) | instid1(VALU_DEP_1)
	v_mul_f32_e64 v3, 0x2f800000, |v2|
	v_floor_f32_e32 v3, v3
	s_delay_alu instid0(VALU_DEP_1) | instskip(SKIP_2) | instid1(VALU_DEP_3)
	v_fma_f32 v4, 0xcf800000, v3, |v2|
	v_ashrrev_i32_e32 v2, 31, v2
	v_cvt_u32_f32_e32 v5, v3
	v_cvt_u32_f32_e32 v4, v4
	s_delay_alu instid0(VALU_DEP_2) | instskip(NEXT) | instid1(VALU_DEP_2)
	v_dual_mov_b32 v3, v2 :: v_dual_bitop2_b32 v5, v5, v2 bitop3:0x14
	v_xor_b32_e32 v4, v4, v2
	s_delay_alu instid0(VALU_DEP_1)
	v_sub_nc_u64_e32 v[2:3], v[4:5], v[2:3]
.LBB62_209:
	s_mov_b32 s16, 0
.LBB62_210:
	s_delay_alu instid0(SALU_CYCLE_1)
	s_and_not1_b32 vcc_lo, exec_lo, s16
	s_cbranch_vccnz .LBB62_212
; %bb.211:
	s_wait_loadcnt 0x0
	global_load_b32 v2, v[0:1], off
	s_wait_loadcnt 0x0
	v_cvt_f32_f16_e32 v2, v2
	s_delay_alu instid0(VALU_DEP_1) | instskip(NEXT) | instid1(VALU_DEP_1)
	v_cvt_i32_f32_e32 v2, v2
	v_ashrrev_i32_e32 v3, 31, v2
.LBB62_212:
	s_mov_b32 s16, 0
.LBB62_213:
	s_delay_alu instid0(SALU_CYCLE_1)
	s_and_not1_b32 vcc_lo, exec_lo, s16
	s_cbranch_vccnz .LBB62_224
; %bb.214:
	s_cmp_lt_i32 s0, 6
	s_cbranch_scc1 .LBB62_217
; %bb.215:
	s_cmp_gt_i32 s0, 6
	s_cbranch_scc0 .LBB62_218
; %bb.216:
	s_wait_loadcnt 0x0
	global_load_b64 v[2:3], v[0:1], off
	s_mov_b32 s16, 0
	s_wait_loadcnt 0x0
	v_trunc_f64_e32 v[2:3], v[2:3]
	s_delay_alu instid0(VALU_DEP_1) | instskip(NEXT) | instid1(VALU_DEP_1)
	v_ldexp_f64 v[4:5], v[2:3], 0xffffffe0
	v_floor_f64_e32 v[4:5], v[4:5]
	s_delay_alu instid0(VALU_DEP_1) | instskip(SKIP_1) | instid1(VALU_DEP_2)
	v_fmamk_f64 v[6:7], v[4:5], 0xc1f00000, v[2:3]
	v_cvt_i32_f64_e32 v3, v[4:5]
	v_cvt_u32_f64_e32 v2, v[6:7]
	s_branch .LBB62_219
.LBB62_217:
	s_mov_b32 s16, -1
                                        ; implicit-def: $vgpr2_vgpr3
	s_branch .LBB62_222
.LBB62_218:
	s_mov_b32 s16, -1
                                        ; implicit-def: $vgpr2_vgpr3
.LBB62_219:
	s_delay_alu instid0(SALU_CYCLE_1)
	s_and_not1_b32 vcc_lo, exec_lo, s16
	s_cbranch_vccnz .LBB62_221
; %bb.220:
	s_wait_loadcnt 0x0
	global_load_b32 v2, v[0:1], off
	s_wait_loadcnt 0x0
	v_trunc_f32_e32 v2, v2
	s_delay_alu instid0(VALU_DEP_1) | instskip(NEXT) | instid1(VALU_DEP_1)
	v_mul_f32_e64 v3, 0x2f800000, |v2|
	v_floor_f32_e32 v3, v3
	s_delay_alu instid0(VALU_DEP_1) | instskip(SKIP_2) | instid1(VALU_DEP_3)
	v_fma_f32 v4, 0xcf800000, v3, |v2|
	v_ashrrev_i32_e32 v2, 31, v2
	v_cvt_u32_f32_e32 v5, v3
	v_cvt_u32_f32_e32 v4, v4
	s_delay_alu instid0(VALU_DEP_2) | instskip(NEXT) | instid1(VALU_DEP_2)
	v_dual_mov_b32 v3, v2 :: v_dual_bitop2_b32 v5, v5, v2 bitop3:0x14
	v_xor_b32_e32 v4, v4, v2
	s_delay_alu instid0(VALU_DEP_1)
	v_sub_nc_u64_e32 v[2:3], v[4:5], v[2:3]
.LBB62_221:
	s_mov_b32 s16, 0
.LBB62_222:
	s_delay_alu instid0(SALU_CYCLE_1)
	s_and_not1_b32 vcc_lo, exec_lo, s16
	s_cbranch_vccnz .LBB62_224
; %bb.223:
	s_wait_loadcnt 0x0
	global_load_u16 v2, v[0:1], off
	s_wait_loadcnt 0x0
	v_cvt_f32_f16_e32 v2, v2
	s_delay_alu instid0(VALU_DEP_1) | instskip(NEXT) | instid1(VALU_DEP_1)
	v_cvt_i32_f32_e32 v2, v2
	v_ashrrev_i32_e32 v3, 31, v2
.LBB62_224:
	s_cbranch_execnz .LBB62_244
.LBB62_225:
	s_cmp_lt_i32 s0, 2
	s_cbranch_scc1 .LBB62_229
; %bb.226:
	s_cmp_lt_i32 s0, 3
	s_cbranch_scc1 .LBB62_230
; %bb.227:
	s_cmp_gt_i32 s0, 3
	s_cbranch_scc0 .LBB62_231
; %bb.228:
	s_wait_loadcnt 0x0
	global_load_b64 v[2:3], v[0:1], off
	s_mov_b32 s16, 0
	s_branch .LBB62_232
.LBB62_229:
	s_mov_b32 s16, -1
                                        ; implicit-def: $vgpr2_vgpr3
	s_branch .LBB62_238
.LBB62_230:
	s_mov_b32 s16, -1
                                        ; implicit-def: $vgpr2_vgpr3
	s_branch .LBB62_235
.LBB62_231:
	s_mov_b32 s16, -1
                                        ; implicit-def: $vgpr2_vgpr3
.LBB62_232:
	s_delay_alu instid0(SALU_CYCLE_1)
	s_and_not1_b32 vcc_lo, exec_lo, s16
	s_cbranch_vccnz .LBB62_234
; %bb.233:
	s_wait_loadcnt 0x0
	global_load_b32 v2, v[0:1], off
	s_wait_loadcnt 0x0
	v_ashrrev_i32_e32 v3, 31, v2
.LBB62_234:
	s_mov_b32 s16, 0
.LBB62_235:
	s_delay_alu instid0(SALU_CYCLE_1)
	s_and_not1_b32 vcc_lo, exec_lo, s16
	s_cbranch_vccnz .LBB62_237
; %bb.236:
	s_wait_loadcnt 0x0
	global_load_u16 v2, v[0:1], off
	s_wait_loadcnt 0x0
	v_bfe_i32 v2, v2, 0, 16
	s_delay_alu instid0(VALU_DEP_1)
	v_ashrrev_i32_e32 v3, 31, v2
.LBB62_237:
	s_mov_b32 s16, 0
.LBB62_238:
	s_delay_alu instid0(SALU_CYCLE_1)
	s_and_not1_b32 vcc_lo, exec_lo, s16
	s_cbranch_vccnz .LBB62_244
; %bb.239:
	s_cmp_gt_i32 s0, 0
	s_mov_b32 s0, 0
	s_cbranch_scc0 .LBB62_241
; %bb.240:
	s_wait_loadcnt 0x0
	global_load_i8 v2, v[0:1], off
	s_wait_loadcnt 0x0
	v_bfe_i32 v2, v2, 0, 16
	s_delay_alu instid0(VALU_DEP_1)
	v_ashrrev_i32_e32 v3, 31, v2
	s_branch .LBB62_242
.LBB62_241:
	s_mov_b32 s0, -1
                                        ; implicit-def: $vgpr2_vgpr3
.LBB62_242:
	s_delay_alu instid0(SALU_CYCLE_1)
	s_and_not1_b32 vcc_lo, exec_lo, s0
	s_cbranch_vccnz .LBB62_244
; %bb.243:
	global_load_u8 v0, v[0:1], off
	s_mov_b32 s0, 0
	s_wait_loadcnt 0x1
	v_mov_b32_e32 v3, s0
	s_wait_loadcnt 0x0
	v_and_b32_e32 v2, 0xffff, v0
.LBB62_244:
	s_branch .LBB62_11
.LBB62_245:
	s_mov_b32 s0, 0
.LBB62_246:
	s_mov_b32 s20, 0
                                        ; implicit-def: $vgpr10
.LBB62_247:
	s_and_b32 s16, s0, exec_lo
	s_and_b32 s17, s17, exec_lo
	s_or_not1_b32 s21, s20, exec_lo
.LBB62_248:
	s_wait_xcnt 0x0
	s_or_b32 exec_lo, exec_lo, s18
	s_mov_b32 s20, 0
	s_mov_b32 s0, 0
                                        ; implicit-def: $vgpr0_vgpr1
                                        ; implicit-def: $vgpr2_vgpr3
	s_and_saveexec_b32 s18, s21
	s_cbranch_execz .LBB62_257
; %bb.249:
	s_mov_b32 s0, -1
	s_mov_b32 s19, s17
	s_mov_b32 s20, s16
	s_mov_b32 s21, exec_lo
	v_cmpx_gt_i32_e64 s15, v10
	s_cbranch_execz .LBB62_507
; %bb.250:
	v_mul_lo_u32 v0, v10, s13
	s_and_b32 s0, 0xffff, s2
	s_delay_alu instid0(SALU_CYCLE_1) | instskip(NEXT) | instid1(VALU_DEP_1)
	s_cmp_lt_i32 s0, 11
	v_ashrrev_i32_e32 v1, 31, v0
	s_delay_alu instid0(VALU_DEP_1)
	v_add_nc_u64_e32 v[0:1], s[6:7], v[0:1]
	s_cbranch_scc1 .LBB62_260
; %bb.251:
	s_cmp_gt_i32 s0, 25
	s_cbranch_scc0 .LBB62_269
; %bb.252:
	s_cmp_gt_i32 s0, 28
	s_cbranch_scc0 .LBB62_271
	;; [unrolled: 3-line block ×4, first 2 shown]
; %bb.255:
	s_cmp_eq_u32 s0, 46
	s_mov_b32 s22, 0
	s_cbranch_scc0 .LBB62_281
; %bb.256:
	s_wait_loadcnt 0x0
	global_load_b32 v2, v[0:1], off
	s_mov_b32 s20, -1
	s_mov_b32 s19, 0
	s_wait_loadcnt 0x0
	v_lshlrev_b32_e32 v2, 16, v2
	s_delay_alu instid0(VALU_DEP_1) | instskip(NEXT) | instid1(VALU_DEP_1)
	v_trunc_f32_e32 v2, v2
	v_mul_f32_e64 v3, 0x2f800000, |v2|
	s_delay_alu instid0(VALU_DEP_1) | instskip(NEXT) | instid1(VALU_DEP_1)
	v_floor_f32_e32 v3, v3
	v_fma_f32 v4, 0xcf800000, v3, |v2|
	v_ashrrev_i32_e32 v2, 31, v2
	v_cvt_u32_f32_e32 v5, v3
	s_delay_alu instid0(VALU_DEP_3) | instskip(NEXT) | instid1(VALU_DEP_2)
	v_cvt_u32_f32_e32 v4, v4
	v_dual_mov_b32 v3, v2 :: v_dual_bitop2_b32 v5, v5, v2 bitop3:0x14
	s_delay_alu instid0(VALU_DEP_2) | instskip(NEXT) | instid1(VALU_DEP_1)
	v_xor_b32_e32 v4, v4, v2
	v_sub_nc_u64_e32 v[2:3], v[4:5], v[2:3]
	s_branch .LBB62_283
.LBB62_257:
	s_or_b32 exec_lo, exec_lo, s18
	s_mov_b32 s15, 0
	s_and_saveexec_b32 s18, s17
	s_cbranch_execnz .LBB62_847
.LBB62_258:
	s_or_b32 exec_lo, exec_lo, s18
	s_and_saveexec_b32 s17, s19
	s_delay_alu instid0(SALU_CYCLE_1)
	s_xor_b32 s17, exec_lo, s17
	s_cbranch_execz .LBB62_848
.LBB62_259:
	s_wait_loadcnt 0x0
	global_load_u8 v2, v[0:1], off
	s_mov_b32 s18, 0
	s_or_b32 s0, s0, exec_lo
	v_mov_b32_e32 v3, s18
	s_wait_loadcnt 0x0
	v_cmp_ne_u16_e32 vcc_lo, 0, v2
	v_cndmask_b32_e64 v2, 0, 1, vcc_lo
	s_wait_xcnt 0x0
	s_or_b32 exec_lo, exec_lo, s17
	s_and_saveexec_b32 s17, s20
	s_cbranch_execz .LBB62_894
	s_branch .LBB62_849
.LBB62_260:
	s_mov_b32 s20, 0
	s_mov_b32 s19, s17
                                        ; implicit-def: $vgpr2_vgpr3
	s_cbranch_execnz .LBB62_456
.LBB62_261:
	s_and_not1_b32 vcc_lo, exec_lo, s20
	s_cbranch_vccnz .LBB62_504
.LBB62_262:
	s_wait_xcnt 0x0
	v_mul_lo_u32 v0, v10, s12
	s_wait_loadcnt 0x0
	s_delay_alu instid0(VALU_DEP_2) | instskip(SKIP_3) | instid1(VALU_DEP_2)
	v_cmp_ne_u64_e32 vcc_lo, s[8:9], v[2:3]
	s_and_b32 s22, s10, 0xff
	s_xor_b32 s20, s11, vcc_lo
	s_cmp_lt_i32 s22, 11
	v_ashrrev_i32_e32 v1, 31, v0
	s_delay_alu instid0(VALU_DEP_1)
	v_add_nc_u64_e32 v[0:1], s[4:5], v[0:1]
	s_cbranch_scc1 .LBB62_270
; %bb.263:
	s_and_b32 s23, 0xffff, s22
	s_delay_alu instid0(SALU_CYCLE_1)
	s_cmp_gt_i32 s23, 25
	s_cbranch_scc0 .LBB62_272
; %bb.264:
	s_cmp_gt_i32 s23, 28
	s_cbranch_scc0 .LBB62_274
; %bb.265:
	;; [unrolled: 3-line block ×4, first 2 shown]
	s_mov_b32 s25, 0
	s_mov_b32 s0, -1
	s_cmp_eq_u32 s23, 46
	s_mov_b32 s24, 0
	s_cbranch_scc0 .LBB62_287
; %bb.268:
	v_cndmask_b32_e64 v2, 0, 1.0, s20
	s_mov_b32 s24, -1
	s_mov_b32 s0, 0
	s_delay_alu instid0(VALU_DEP_1) | instskip(NEXT) | instid1(VALU_DEP_1)
	v_bfe_u32 v3, v2, 16, 1
	v_add3_u32 v2, v2, v3, 0x7fff
	s_delay_alu instid0(VALU_DEP_1)
	v_lshrrev_b32_e32 v2, 16, v2
	global_store_b32 v[0:1], v2, off
	s_branch .LBB62_287
.LBB62_269:
	s_mov_b32 s22, -1
	s_mov_b32 s20, 0
	s_mov_b32 s19, s17
                                        ; implicit-def: $vgpr2_vgpr3
	s_branch .LBB62_422
.LBB62_270:
	s_mov_b32 s23, -1
	s_mov_b32 s24, 0
	s_mov_b32 s0, s16
	s_branch .LBB62_356
.LBB62_271:
	s_mov_b32 s22, -1
	s_mov_b32 s20, 0
	s_mov_b32 s19, s17
                                        ; implicit-def: $vgpr2_vgpr3
	s_branch .LBB62_405
.LBB62_272:
	s_mov_b32 s25, -1
	s_mov_b32 s24, 0
	s_mov_b32 s0, s16
	s_branch .LBB62_314
.LBB62_273:
	s_mov_b32 s22, -1
	s_mov_b32 s20, 0
	s_mov_b32 s19, s17
                                        ; implicit-def: $vgpr2_vgpr3
	s_branch .LBB62_400
.LBB62_274:
	s_mov_b32 s25, -1
	s_mov_b32 s24, 0
	s_mov_b32 s0, s16
	s_branch .LBB62_297
.LBB62_275:
	s_and_not1_saveexec_b32 s24, s24
	s_cbranch_execz .LBB62_54
.LBB62_276:
	v_add_f32_e32 v2, 0x46000000, v3
	s_and_not1_b32 s23, s23, exec_lo
	s_delay_alu instid0(VALU_DEP_1) | instskip(NEXT) | instid1(VALU_DEP_1)
	v_and_b32_e32 v2, 0xff, v2
	v_cmp_ne_u32_e32 vcc_lo, 0, v2
	s_and_b32 s25, vcc_lo, exec_lo
	s_delay_alu instid0(SALU_CYCLE_1)
	s_or_b32 s23, s23, s25
	s_or_b32 exec_lo, exec_lo, s24
	v_mov_b32_e32 v4, 0
	s_and_saveexec_b32 s24, s23
	s_cbranch_execnz .LBB62_55
	s_branch .LBB62_56
.LBB62_277:
	s_mov_b32 s22, -1
	s_mov_b32 s20, 0
	s_mov_b32 s19, s17
	s_branch .LBB62_282
.LBB62_278:
	s_mov_b32 s25, -1
	s_mov_b32 s24, 0
	s_mov_b32 s0, s16
	s_branch .LBB62_293
.LBB62_279:
	s_and_not1_saveexec_b32 s24, s24
	s_cbranch_execz .LBB62_67
.LBB62_280:
	v_add_f32_e32 v2, 0x42800000, v3
	s_and_not1_b32 s23, s23, exec_lo
	s_delay_alu instid0(VALU_DEP_1) | instskip(NEXT) | instid1(VALU_DEP_1)
	v_and_b32_e32 v2, 0xff, v2
	v_cmp_ne_u32_e32 vcc_lo, 0, v2
	s_and_b32 s25, vcc_lo, exec_lo
	s_delay_alu instid0(SALU_CYCLE_1)
	s_or_b32 s23, s23, s25
	s_or_b32 exec_lo, exec_lo, s24
	v_mov_b32_e32 v4, 0
	s_and_saveexec_b32 s24, s23
	s_cbranch_execnz .LBB62_68
	s_branch .LBB62_69
.LBB62_281:
	s_mov_b32 s19, -1
	s_mov_b32 s20, 0
.LBB62_282:
                                        ; implicit-def: $vgpr2_vgpr3
.LBB62_283:
	s_and_b32 vcc_lo, exec_lo, s22
	s_cbranch_vccz .LBB62_399
; %bb.284:
	s_cmp_eq_u32 s0, 44
	s_cbranch_scc0 .LBB62_398
; %bb.285:
	global_load_u8 v6, v[0:1], off
	s_mov_b32 s19, 0
	s_mov_b32 s20, -1
	s_wait_loadcnt 0x0
	v_cmp_ne_u32_e32 vcc_lo, 0, v6
	v_lshlrev_b32_e32 v2, 23, v6
	s_delay_alu instid0(VALU_DEP_1) | instskip(NEXT) | instid1(VALU_DEP_1)
	v_trunc_f32_e32 v2, v2
	v_mul_f32_e64 v3, 0x2f800000, |v2|
	s_delay_alu instid0(VALU_DEP_1) | instskip(NEXT) | instid1(VALU_DEP_1)
	v_floor_f32_e32 v3, v3
	v_fma_f32 v4, 0xcf800000, v3, |v2|
	v_ashrrev_i32_e32 v2, 31, v2
	v_cvt_u32_f32_e32 v5, v3
	s_delay_alu instid0(VALU_DEP_3) | instskip(NEXT) | instid1(VALU_DEP_2)
	v_cvt_u32_f32_e32 v4, v4
	v_dual_mov_b32 v3, v2 :: v_dual_bitop2_b32 v5, v5, v2 bitop3:0x14
	s_delay_alu instid0(VALU_DEP_2) | instskip(NEXT) | instid1(VALU_DEP_1)
	v_xor_b32_e32 v4, v4, v2
	v_sub_nc_u64_e32 v[2:3], v[4:5], v[2:3]
	s_delay_alu instid0(VALU_DEP_1)
	v_dual_cndmask_b32 v3, 0, v3 :: v_dual_cndmask_b32 v2, 0, v2
	s_branch .LBB62_399
.LBB62_286:
	s_mov_b32 s25, -1
	s_mov_b32 s24, 0
	s_mov_b32 s0, s16
.LBB62_287:
	s_and_b32 vcc_lo, exec_lo, s25
	s_cbranch_vccz .LBB62_292
; %bb.288:
	s_cmp_eq_u32 s23, 44
	s_mov_b32 s0, -1
	s_cbranch_scc0 .LBB62_292
; %bb.289:
	v_cndmask_b32_e64 v4, 0, 1.0, s20
	s_mov_b32 s24, exec_lo
	s_wait_xcnt 0x0
	s_delay_alu instid0(VALU_DEP_1) | instskip(NEXT) | instid1(VALU_DEP_1)
	v_dual_mov_b32 v3, 0xff :: v_dual_lshrrev_b32 v2, 23, v4
	v_cmpx_ne_u32_e32 0xff, v2
; %bb.290:
	v_and_b32_e32 v3, 0x400000, v4
	v_and_or_b32 v4, 0x3fffff, v4, v2
	s_delay_alu instid0(VALU_DEP_2) | instskip(NEXT) | instid1(VALU_DEP_2)
	v_cmp_ne_u32_e32 vcc_lo, 0, v3
	v_cmp_ne_u32_e64 s0, 0, v4
	s_and_b32 s0, vcc_lo, s0
	s_delay_alu instid0(SALU_CYCLE_1) | instskip(NEXT) | instid1(VALU_DEP_1)
	v_cndmask_b32_e64 v3, 0, 1, s0
	v_add_nc_u32_e32 v3, v2, v3
; %bb.291:
	s_or_b32 exec_lo, exec_lo, s24
	s_mov_b32 s24, -1
	s_mov_b32 s0, 0
	global_store_b8 v[0:1], v3, off
.LBB62_292:
	s_mov_b32 s25, 0
.LBB62_293:
	s_delay_alu instid0(SALU_CYCLE_1)
	s_and_b32 vcc_lo, exec_lo, s25
	s_cbranch_vccz .LBB62_296
; %bb.294:
	s_cmp_eq_u32 s23, 29
	s_mov_b32 s0, -1
	s_cbranch_scc0 .LBB62_296
; %bb.295:
	s_mov_b32 s0, 0
	s_wait_xcnt 0x0
	v_cndmask_b32_e64 v2, 0, 1, s20
	v_mov_b32_e32 v3, s0
	s_mov_b32 s24, -1
	s_mov_b32 s25, 0
	global_store_b64 v[0:1], v[2:3], off
	s_branch .LBB62_297
.LBB62_296:
	s_mov_b32 s25, 0
.LBB62_297:
	s_delay_alu instid0(SALU_CYCLE_1)
	s_and_b32 vcc_lo, exec_lo, s25
	s_cbranch_vccz .LBB62_313
; %bb.298:
	s_cmp_lt_i32 s23, 27
	s_mov_b32 s24, -1
	s_cbranch_scc1 .LBB62_304
; %bb.299:
	s_cmp_gt_i32 s23, 27
	s_cbranch_scc0 .LBB62_301
; %bb.300:
	s_wait_xcnt 0x0
	v_cndmask_b32_e64 v2, 0, 1, s20
	s_mov_b32 s24, 0
	global_store_b32 v[0:1], v2, off
.LBB62_301:
	s_and_not1_b32 vcc_lo, exec_lo, s24
	s_cbranch_vccnz .LBB62_303
; %bb.302:
	s_wait_xcnt 0x0
	v_cndmask_b32_e64 v2, 0, 1, s20
	global_store_b16 v[0:1], v2, off
.LBB62_303:
	s_mov_b32 s24, 0
.LBB62_304:
	s_delay_alu instid0(SALU_CYCLE_1)
	s_and_not1_b32 vcc_lo, exec_lo, s24
	s_cbranch_vccnz .LBB62_312
; %bb.305:
	s_wait_xcnt 0x0
	v_cndmask_b32_e64 v3, 0, 1.0, s20
	v_mov_b32_e32 v4, 0x80
	s_mov_b32 s24, exec_lo
	s_delay_alu instid0(VALU_DEP_2)
	v_cmpx_gt_u32_e32 0x43800000, v3
	s_cbranch_execz .LBB62_311
; %bb.306:
	s_mov_b32 s25, 0
	s_mov_b32 s26, exec_lo
                                        ; implicit-def: $vgpr2
	v_cmpx_lt_u32_e32 0x3bffffff, v3
	s_xor_b32 s26, exec_lo, s26
	s_cbranch_execz .LBB62_520
; %bb.307:
	v_bfe_u32 v2, v3, 20, 1
	s_mov_b32 s25, exec_lo
	s_delay_alu instid0(VALU_DEP_1) | instskip(NEXT) | instid1(VALU_DEP_1)
	v_add3_u32 v2, v3, v2, 0x487ffff
                                        ; implicit-def: $vgpr3
	v_lshrrev_b32_e32 v2, 20, v2
	s_and_not1_saveexec_b32 s26, s26
	s_cbranch_execnz .LBB62_521
.LBB62_308:
	s_or_b32 exec_lo, exec_lo, s26
	v_mov_b32_e32 v4, 0
	s_and_saveexec_b32 s26, s25
.LBB62_309:
	v_mov_b32_e32 v4, v2
.LBB62_310:
	s_or_b32 exec_lo, exec_lo, s26
.LBB62_311:
	s_delay_alu instid0(SALU_CYCLE_1)
	s_or_b32 exec_lo, exec_lo, s24
	global_store_b8 v[0:1], v4, off
.LBB62_312:
	s_mov_b32 s24, -1
.LBB62_313:
	s_mov_b32 s25, 0
.LBB62_314:
	s_delay_alu instid0(SALU_CYCLE_1)
	s_and_b32 vcc_lo, exec_lo, s25
	s_cbranch_vccz .LBB62_355
; %bb.315:
	s_cmp_gt_i32 s23, 22
	s_mov_b32 s25, -1
	s_cbranch_scc0 .LBB62_347
; %bb.316:
	s_cmp_lt_i32 s23, 24
	s_mov_b32 s24, -1
	s_cbranch_scc1 .LBB62_336
; %bb.317:
	s_cmp_gt_i32 s23, 24
	s_cbranch_scc0 .LBB62_325
; %bb.318:
	s_wait_xcnt 0x0
	v_cndmask_b32_e64 v3, 0, 1.0, s20
	v_mov_b32_e32 v4, 0x80
	s_mov_b32 s24, exec_lo
	s_delay_alu instid0(VALU_DEP_2)
	v_cmpx_gt_u32_e32 0x47800000, v3
	s_cbranch_execz .LBB62_324
; %bb.319:
	s_mov_b32 s25, 0
	s_mov_b32 s26, exec_lo
                                        ; implicit-def: $vgpr2
	v_cmpx_lt_u32_e32 0x37ffffff, v3
	s_xor_b32 s26, exec_lo, s26
	s_cbranch_execz .LBB62_523
; %bb.320:
	v_bfe_u32 v2, v3, 21, 1
	s_mov_b32 s25, exec_lo
	s_delay_alu instid0(VALU_DEP_1) | instskip(NEXT) | instid1(VALU_DEP_1)
	v_add3_u32 v2, v3, v2, 0x88fffff
                                        ; implicit-def: $vgpr3
	v_lshrrev_b32_e32 v2, 21, v2
	s_and_not1_saveexec_b32 s26, s26
	s_cbranch_execnz .LBB62_524
.LBB62_321:
	s_or_b32 exec_lo, exec_lo, s26
	v_mov_b32_e32 v4, 0
	s_and_saveexec_b32 s26, s25
.LBB62_322:
	v_mov_b32_e32 v4, v2
.LBB62_323:
	s_or_b32 exec_lo, exec_lo, s26
.LBB62_324:
	s_delay_alu instid0(SALU_CYCLE_1)
	s_or_b32 exec_lo, exec_lo, s24
	s_mov_b32 s24, 0
	global_store_b8 v[0:1], v4, off
.LBB62_325:
	s_and_b32 vcc_lo, exec_lo, s24
	s_cbranch_vccz .LBB62_335
; %bb.326:
	s_wait_xcnt 0x0
	v_cndmask_b32_e64 v3, 0, 1.0, s20
	s_mov_b32 s24, exec_lo
                                        ; implicit-def: $vgpr2
	s_delay_alu instid0(VALU_DEP_1)
	v_cmpx_gt_u32_e32 0x43f00000, v3
	s_xor_b32 s24, exec_lo, s24
	s_cbranch_execz .LBB62_332
; %bb.327:
	s_mov_b32 s25, exec_lo
                                        ; implicit-def: $vgpr2
	v_cmpx_lt_u32_e32 0x3c7fffff, v3
	s_xor_b32 s25, exec_lo, s25
; %bb.328:
	v_bfe_u32 v2, v3, 20, 1
	s_delay_alu instid0(VALU_DEP_1) | instskip(NEXT) | instid1(VALU_DEP_1)
	v_add3_u32 v2, v3, v2, 0x407ffff
	v_and_b32_e32 v3, 0xff00000, v2
	v_lshrrev_b32_e32 v2, 20, v2
	s_delay_alu instid0(VALU_DEP_2) | instskip(NEXT) | instid1(VALU_DEP_2)
	v_cmp_ne_u32_e32 vcc_lo, 0x7f00000, v3
                                        ; implicit-def: $vgpr3
	v_cndmask_b32_e32 v2, 0x7e, v2, vcc_lo
; %bb.329:
	s_and_not1_saveexec_b32 s25, s25
; %bb.330:
	v_add_f32_e32 v2, 0x46800000, v3
; %bb.331:
	s_or_b32 exec_lo, exec_lo, s25
                                        ; implicit-def: $vgpr3
.LBB62_332:
	s_and_not1_saveexec_b32 s24, s24
; %bb.333:
	v_mov_b32_e32 v2, 0x7f
	v_cmp_lt_u32_e32 vcc_lo, 0x7f800000, v3
	s_delay_alu instid0(VALU_DEP_2)
	v_cndmask_b32_e32 v2, 0x7e, v2, vcc_lo
; %bb.334:
	s_or_b32 exec_lo, exec_lo, s24
	global_store_b8 v[0:1], v2, off
.LBB62_335:
	s_mov_b32 s24, 0
.LBB62_336:
	s_delay_alu instid0(SALU_CYCLE_1)
	s_and_not1_b32 vcc_lo, exec_lo, s24
	s_cbranch_vccnz .LBB62_346
; %bb.337:
	s_wait_xcnt 0x0
	v_cndmask_b32_e64 v3, 0, 1.0, s20
	s_mov_b32 s24, exec_lo
                                        ; implicit-def: $vgpr2
	s_delay_alu instid0(VALU_DEP_1)
	v_cmpx_gt_u32_e32 0x47800000, v3
	s_xor_b32 s24, exec_lo, s24
	s_cbranch_execz .LBB62_343
; %bb.338:
	s_mov_b32 s25, exec_lo
                                        ; implicit-def: $vgpr2
	v_cmpx_lt_u32_e32 0x387fffff, v3
	s_xor_b32 s25, exec_lo, s25
; %bb.339:
	v_bfe_u32 v2, v3, 21, 1
	s_delay_alu instid0(VALU_DEP_1) | instskip(NEXT) | instid1(VALU_DEP_1)
	v_add3_u32 v2, v3, v2, 0x80fffff
                                        ; implicit-def: $vgpr3
	v_lshrrev_b32_e32 v2, 21, v2
; %bb.340:
	s_and_not1_saveexec_b32 s25, s25
; %bb.341:
	v_add_f32_e32 v2, 0x43000000, v3
; %bb.342:
	s_or_b32 exec_lo, exec_lo, s25
                                        ; implicit-def: $vgpr3
.LBB62_343:
	s_and_not1_saveexec_b32 s24, s24
; %bb.344:
	v_mov_b32_e32 v2, 0x7f
	v_cmp_lt_u32_e32 vcc_lo, 0x7f800000, v3
	s_delay_alu instid0(VALU_DEP_2)
	v_cndmask_b32_e32 v2, 0x7c, v2, vcc_lo
; %bb.345:
	s_or_b32 exec_lo, exec_lo, s24
	global_store_b8 v[0:1], v2, off
.LBB62_346:
	s_mov_b32 s25, 0
	s_mov_b32 s24, -1
.LBB62_347:
	s_and_not1_b32 vcc_lo, exec_lo, s25
	s_cbranch_vccnz .LBB62_355
; %bb.348:
	s_cmp_gt_i32 s23, 14
	s_mov_b32 s25, -1
	s_cbranch_scc0 .LBB62_352
; %bb.349:
	s_cmp_eq_u32 s23, 15
	s_mov_b32 s0, -1
	s_cbranch_scc0 .LBB62_351
; %bb.350:
	s_wait_xcnt 0x0
	v_cndmask_b32_e64 v2, 0, 1.0, s20
	s_mov_b32 s24, -1
	s_mov_b32 s0, 0
	s_delay_alu instid0(VALU_DEP_1) | instskip(NEXT) | instid1(VALU_DEP_1)
	v_bfe_u32 v3, v2, 16, 1
	v_add3_u32 v2, v2, v3, 0x7fff
	global_store_d16_hi_b16 v[0:1], v2, off
.LBB62_351:
	s_mov_b32 s25, 0
.LBB62_352:
	s_delay_alu instid0(SALU_CYCLE_1)
	s_and_b32 vcc_lo, exec_lo, s25
	s_cbranch_vccz .LBB62_355
; %bb.353:
	s_cmp_eq_u32 s23, 11
	s_mov_b32 s0, -1
	s_cbranch_scc0 .LBB62_355
; %bb.354:
	s_wait_xcnt 0x0
	v_cndmask_b32_e64 v2, 0, 1, s20
	s_mov_b32 s24, -1
	s_mov_b32 s0, 0
	global_store_b8 v[0:1], v2, off
.LBB62_355:
	s_mov_b32 s23, 0
.LBB62_356:
	s_delay_alu instid0(SALU_CYCLE_1)
	s_and_b32 vcc_lo, exec_lo, s23
	s_cbranch_vccz .LBB62_395
; %bb.357:
	s_and_b32 s22, 0xffff, s22
	s_mov_b32 s23, -1
	s_cmp_lt_i32 s22, 5
	s_cbranch_scc1 .LBB62_378
; %bb.358:
	s_cmp_lt_i32 s22, 8
	s_cbranch_scc1 .LBB62_368
; %bb.359:
	;; [unrolled: 3-line block ×3, first 2 shown]
	s_cmp_gt_i32 s22, 9
	s_cbranch_scc0 .LBB62_362
; %bb.361:
	s_wait_xcnt 0x0
	v_cndmask_b32_e64 v2, 0, 1, s20
	v_mov_b32_e32 v4, 0
	s_mov_b32 s23, 0
	s_delay_alu instid0(VALU_DEP_2) | instskip(NEXT) | instid1(VALU_DEP_2)
	v_cvt_f64_u32_e32 v[2:3], v2
	v_mov_b32_e32 v5, v4
	global_store_b128 v[0:1], v[2:5], off
.LBB62_362:
	s_and_not1_b32 vcc_lo, exec_lo, s23
	s_cbranch_vccnz .LBB62_364
; %bb.363:
	s_wait_xcnt 0x0
	v_cndmask_b32_e64 v2, 0, 1.0, s20
	v_mov_b32_e32 v3, 0
	global_store_b64 v[0:1], v[2:3], off
.LBB62_364:
	s_mov_b32 s23, 0
.LBB62_365:
	s_delay_alu instid0(SALU_CYCLE_1)
	s_and_not1_b32 vcc_lo, exec_lo, s23
	s_cbranch_vccnz .LBB62_367
; %bb.366:
	s_wait_xcnt 0x0
	v_cndmask_b32_e64 v2, 0, 1.0, s20
	s_delay_alu instid0(VALU_DEP_1) | instskip(NEXT) | instid1(VALU_DEP_1)
	v_cvt_f16_f32_e32 v2, v2
	v_and_b32_e32 v2, 0xffff, v2
	global_store_b32 v[0:1], v2, off
.LBB62_367:
	s_mov_b32 s23, 0
.LBB62_368:
	s_delay_alu instid0(SALU_CYCLE_1)
	s_and_not1_b32 vcc_lo, exec_lo, s23
	s_cbranch_vccnz .LBB62_377
; %bb.369:
	s_cmp_lt_i32 s22, 6
	s_mov_b32 s23, -1
	s_cbranch_scc1 .LBB62_375
; %bb.370:
	s_cmp_gt_i32 s22, 6
	s_cbranch_scc0 .LBB62_372
; %bb.371:
	s_wait_xcnt 0x0
	v_cndmask_b32_e64 v2, 0, 1, s20
	s_mov_b32 s23, 0
	s_delay_alu instid0(VALU_DEP_1)
	v_cvt_f64_u32_e32 v[2:3], v2
	global_store_b64 v[0:1], v[2:3], off
.LBB62_372:
	s_and_not1_b32 vcc_lo, exec_lo, s23
	s_cbranch_vccnz .LBB62_374
; %bb.373:
	s_wait_xcnt 0x0
	v_cndmask_b32_e64 v2, 0, 1.0, s20
	global_store_b32 v[0:1], v2, off
.LBB62_374:
	s_mov_b32 s23, 0
.LBB62_375:
	s_delay_alu instid0(SALU_CYCLE_1)
	s_and_not1_b32 vcc_lo, exec_lo, s23
	s_cbranch_vccnz .LBB62_377
; %bb.376:
	s_wait_xcnt 0x0
	v_cndmask_b32_e64 v2, 0, 1.0, s20
	s_delay_alu instid0(VALU_DEP_1)
	v_cvt_f16_f32_e32 v2, v2
	global_store_b16 v[0:1], v2, off
.LBB62_377:
	s_mov_b32 s23, 0
.LBB62_378:
	s_delay_alu instid0(SALU_CYCLE_1)
	s_and_not1_b32 vcc_lo, exec_lo, s23
	s_cbranch_vccnz .LBB62_394
; %bb.379:
	s_cmp_lt_i32 s22, 2
	s_mov_b32 s23, -1
	s_cbranch_scc1 .LBB62_389
; %bb.380:
	s_cmp_lt_i32 s22, 3
	s_cbranch_scc1 .LBB62_386
; %bb.381:
	s_cmp_gt_i32 s22, 3
	s_cbranch_scc0 .LBB62_383
; %bb.382:
	s_mov_b32 s23, 0
	s_wait_xcnt 0x0
	v_cndmask_b32_e64 v2, 0, 1, s20
	v_mov_b32_e32 v3, s23
	global_store_b64 v[0:1], v[2:3], off
.LBB62_383:
	s_and_not1_b32 vcc_lo, exec_lo, s23
	s_cbranch_vccnz .LBB62_385
; %bb.384:
	s_wait_xcnt 0x0
	v_cndmask_b32_e64 v2, 0, 1, s20
	global_store_b32 v[0:1], v2, off
.LBB62_385:
	s_mov_b32 s23, 0
.LBB62_386:
	s_delay_alu instid0(SALU_CYCLE_1)
	s_and_not1_b32 vcc_lo, exec_lo, s23
	s_cbranch_vccnz .LBB62_388
; %bb.387:
	s_wait_xcnt 0x0
	v_cndmask_b32_e64 v2, 0, 1, s20
	global_store_b16 v[0:1], v2, off
.LBB62_388:
	s_mov_b32 s23, 0
.LBB62_389:
	s_delay_alu instid0(SALU_CYCLE_1)
	s_and_not1_b32 vcc_lo, exec_lo, s23
	s_cbranch_vccnz .LBB62_394
; %bb.390:
	s_wait_xcnt 0x0
	v_cndmask_b32_e64 v2, 0, 1, s20
	s_cmp_gt_i32 s22, 0
	s_mov_b32 s20, -1
	s_cbranch_scc0 .LBB62_392
; %bb.391:
	s_mov_b32 s20, 0
	global_store_b8 v[0:1], v2, off
.LBB62_392:
	s_and_not1_b32 vcc_lo, exec_lo, s20
	s_cbranch_vccnz .LBB62_394
; %bb.393:
	global_store_b8 v[0:1], v2, off
.LBB62_394:
	s_mov_b32 s24, -1
.LBB62_395:
	s_delay_alu instid0(SALU_CYCLE_1)
	s_and_not1_b32 vcc_lo, exec_lo, s24
	s_cbranch_vccnz .LBB62_397
; %bb.396:
	v_add_nc_u32_e32 v10, 0x80, v10
	s_mov_b32 s22, -1
	s_branch .LBB62_506
.LBB62_397:
	s_mov_b32 s22, 0
	s_branch .LBB62_505
.LBB62_398:
	s_mov_b32 s19, -1
                                        ; implicit-def: $vgpr2_vgpr3
.LBB62_399:
	s_mov_b32 s22, 0
.LBB62_400:
	s_delay_alu instid0(SALU_CYCLE_1)
	s_and_b32 vcc_lo, exec_lo, s22
	s_cbranch_vccz .LBB62_404
; %bb.401:
	s_cmp_eq_u32 s0, 29
	s_cbranch_scc0 .LBB62_403
; %bb.402:
	s_wait_loadcnt 0x0
	global_load_b64 v[2:3], v[0:1], off
	s_mov_b32 s20, -1
	s_mov_b32 s19, 0
	s_branch .LBB62_404
.LBB62_403:
	s_mov_b32 s19, -1
                                        ; implicit-def: $vgpr2_vgpr3
.LBB62_404:
	s_mov_b32 s22, 0
.LBB62_405:
	s_delay_alu instid0(SALU_CYCLE_1)
	s_and_b32 vcc_lo, exec_lo, s22
	s_cbranch_vccz .LBB62_421
; %bb.406:
	s_cmp_lt_i32 s0, 27
	s_cbranch_scc1 .LBB62_409
; %bb.407:
	s_cmp_gt_i32 s0, 27
	s_cbranch_scc0 .LBB62_410
; %bb.408:
	s_wait_loadcnt 0x0
	global_load_b32 v2, v[0:1], off
	v_mov_b32_e32 v3, 0
	s_mov_b32 s20, 0
	s_branch .LBB62_411
.LBB62_409:
	s_mov_b32 s20, -1
                                        ; implicit-def: $vgpr2_vgpr3
	s_branch .LBB62_414
.LBB62_410:
	s_mov_b32 s20, -1
                                        ; implicit-def: $vgpr2_vgpr3
.LBB62_411:
	s_delay_alu instid0(SALU_CYCLE_1)
	s_and_not1_b32 vcc_lo, exec_lo, s20
	s_cbranch_vccnz .LBB62_413
; %bb.412:
	s_wait_loadcnt 0x0
	global_load_u16 v2, v[0:1], off
	s_mov_b32 s20, 0
	s_delay_alu instid0(SALU_CYCLE_1)
	v_mov_b32_e32 v3, s20
	s_wait_loadcnt 0x0
	v_and_b32_e32 v2, 0xffff, v2
.LBB62_413:
	s_mov_b32 s20, 0
.LBB62_414:
	s_delay_alu instid0(SALU_CYCLE_1)
	s_and_not1_b32 vcc_lo, exec_lo, s20
	s_cbranch_vccnz .LBB62_420
; %bb.415:
	global_load_u8 v4, v[0:1], off
	s_mov_b32 s22, 0
	s_mov_b32 s20, exec_lo
	s_wait_loadcnt 0x0
	v_cmpx_lt_i16_e32 0x7f, v4
	s_xor_b32 s20, exec_lo, s20
	s_cbranch_execz .LBB62_432
; %bb.416:
	v_cmp_ne_u16_e32 vcc_lo, 0x80, v4
	s_and_b32 s22, vcc_lo, exec_lo
	s_and_not1_saveexec_b32 s20, s20
	s_cbranch_execnz .LBB62_433
.LBB62_417:
	s_or_b32 exec_lo, exec_lo, s20
	v_mov_b64_e32 v[2:3], 0
	s_and_saveexec_b32 s20, s22
	s_cbranch_execz .LBB62_419
.LBB62_418:
	v_and_b32_e32 v2, 0xffff, v4
	s_delay_alu instid0(VALU_DEP_1) | instskip(SKIP_1) | instid1(VALU_DEP_2)
	v_and_b32_e32 v3, 7, v2
	v_bfe_u32 v7, v2, 3, 4
	v_clz_i32_u32_e32 v5, v3
	s_delay_alu instid0(VALU_DEP_2) | instskip(NEXT) | instid1(VALU_DEP_2)
	v_cmp_eq_u32_e32 vcc_lo, 0, v7
	v_min_u32_e32 v5, 32, v5
	s_delay_alu instid0(VALU_DEP_1) | instskip(NEXT) | instid1(VALU_DEP_1)
	v_subrev_nc_u32_e32 v6, 28, v5
	v_dual_lshlrev_b32 v2, v6, v2 :: v_dual_sub_nc_u32 v5, 29, v5
	s_delay_alu instid0(VALU_DEP_1) | instskip(NEXT) | instid1(VALU_DEP_2)
	v_dual_lshlrev_b32 v4, 24, v4 :: v_dual_bitop2_b32 v2, 7, v2 bitop3:0x40
	v_cndmask_b32_e32 v5, v7, v5, vcc_lo
	s_delay_alu instid0(VALU_DEP_2) | instskip(NEXT) | instid1(VALU_DEP_3)
	v_cndmask_b32_e32 v2, v3, v2, vcc_lo
	v_and_b32_e32 v3, 0x80000000, v4
	s_delay_alu instid0(VALU_DEP_3) | instskip(NEXT) | instid1(VALU_DEP_3)
	v_lshl_add_u32 v4, v5, 23, 0x3b800000
	v_lshlrev_b32_e32 v2, 20, v2
	s_delay_alu instid0(VALU_DEP_1) | instskip(NEXT) | instid1(VALU_DEP_1)
	v_or3_b32 v2, v3, v4, v2
	v_trunc_f32_e32 v2, v2
	s_delay_alu instid0(VALU_DEP_1) | instskip(NEXT) | instid1(VALU_DEP_1)
	v_mul_f32_e64 v3, 0x2f800000, |v2|
	v_floor_f32_e32 v3, v3
	s_delay_alu instid0(VALU_DEP_1) | instskip(SKIP_2) | instid1(VALU_DEP_3)
	v_fma_f32 v4, 0xcf800000, v3, |v2|
	v_ashrrev_i32_e32 v2, 31, v2
	v_cvt_u32_f32_e32 v5, v3
	v_cvt_u32_f32_e32 v4, v4
	s_delay_alu instid0(VALU_DEP_2) | instskip(NEXT) | instid1(VALU_DEP_2)
	v_dual_mov_b32 v3, v2 :: v_dual_bitop2_b32 v5, v5, v2 bitop3:0x14
	v_xor_b32_e32 v4, v4, v2
	s_delay_alu instid0(VALU_DEP_1)
	v_sub_nc_u64_e32 v[2:3], v[4:5], v[2:3]
.LBB62_419:
	s_or_b32 exec_lo, exec_lo, s20
.LBB62_420:
	s_mov_b32 s20, -1
.LBB62_421:
	s_mov_b32 s22, 0
.LBB62_422:
	s_delay_alu instid0(SALU_CYCLE_1)
	s_and_b32 vcc_lo, exec_lo, s22
	s_cbranch_vccz .LBB62_455
; %bb.423:
	s_cmp_gt_i32 s0, 22
	s_cbranch_scc0 .LBB62_431
; %bb.424:
	s_cmp_lt_i32 s0, 24
	s_cbranch_scc1 .LBB62_434
; %bb.425:
	s_cmp_gt_i32 s0, 24
	s_cbranch_scc0 .LBB62_435
; %bb.426:
	global_load_u8 v4, v[0:1], off
	s_mov_b32 s22, 0
	s_mov_b32 s20, exec_lo
	s_wait_loadcnt 0x0
	v_cmpx_lt_i16_e32 0x7f, v4
	s_xor_b32 s20, exec_lo, s20
	s_cbranch_execz .LBB62_447
; %bb.427:
	v_cmp_ne_u16_e32 vcc_lo, 0x80, v4
	s_and_b32 s22, vcc_lo, exec_lo
	s_and_not1_saveexec_b32 s20, s20
	s_cbranch_execnz .LBB62_448
.LBB62_428:
	s_or_b32 exec_lo, exec_lo, s20
	v_mov_b64_e32 v[2:3], 0
	s_and_saveexec_b32 s20, s22
	s_cbranch_execz .LBB62_430
.LBB62_429:
	v_and_b32_e32 v2, 0xffff, v4
	s_delay_alu instid0(VALU_DEP_1) | instskip(SKIP_1) | instid1(VALU_DEP_2)
	v_and_b32_e32 v3, 3, v2
	v_bfe_u32 v7, v2, 2, 5
	v_clz_i32_u32_e32 v5, v3
	s_delay_alu instid0(VALU_DEP_2) | instskip(NEXT) | instid1(VALU_DEP_2)
	v_cmp_eq_u32_e32 vcc_lo, 0, v7
	v_min_u32_e32 v5, 32, v5
	s_delay_alu instid0(VALU_DEP_1) | instskip(NEXT) | instid1(VALU_DEP_1)
	v_subrev_nc_u32_e32 v6, 29, v5
	v_dual_lshlrev_b32 v2, v6, v2 :: v_dual_sub_nc_u32 v5, 30, v5
	s_delay_alu instid0(VALU_DEP_1) | instskip(NEXT) | instid1(VALU_DEP_2)
	v_dual_lshlrev_b32 v4, 24, v4 :: v_dual_bitop2_b32 v2, 3, v2 bitop3:0x40
	v_cndmask_b32_e32 v5, v7, v5, vcc_lo
	s_delay_alu instid0(VALU_DEP_2) | instskip(NEXT) | instid1(VALU_DEP_3)
	v_cndmask_b32_e32 v2, v3, v2, vcc_lo
	v_and_b32_e32 v3, 0x80000000, v4
	s_delay_alu instid0(VALU_DEP_3) | instskip(NEXT) | instid1(VALU_DEP_3)
	v_lshl_add_u32 v4, v5, 23, 0x37800000
	v_lshlrev_b32_e32 v2, 21, v2
	s_delay_alu instid0(VALU_DEP_1) | instskip(NEXT) | instid1(VALU_DEP_1)
	v_or3_b32 v2, v3, v4, v2
	v_trunc_f32_e32 v2, v2
	s_delay_alu instid0(VALU_DEP_1) | instskip(NEXT) | instid1(VALU_DEP_1)
	v_mul_f32_e64 v3, 0x2f800000, |v2|
	v_floor_f32_e32 v3, v3
	s_delay_alu instid0(VALU_DEP_1) | instskip(SKIP_2) | instid1(VALU_DEP_3)
	v_fma_f32 v4, 0xcf800000, v3, |v2|
	v_ashrrev_i32_e32 v2, 31, v2
	v_cvt_u32_f32_e32 v5, v3
	v_cvt_u32_f32_e32 v4, v4
	s_delay_alu instid0(VALU_DEP_2) | instskip(NEXT) | instid1(VALU_DEP_2)
	v_dual_mov_b32 v3, v2 :: v_dual_bitop2_b32 v5, v5, v2 bitop3:0x14
	v_xor_b32_e32 v4, v4, v2
	s_delay_alu instid0(VALU_DEP_1)
	v_sub_nc_u64_e32 v[2:3], v[4:5], v[2:3]
.LBB62_430:
	s_or_b32 exec_lo, exec_lo, s20
	s_mov_b32 s20, 0
	s_branch .LBB62_436
.LBB62_431:
	s_mov_b32 s22, -1
                                        ; implicit-def: $vgpr2_vgpr3
	s_branch .LBB62_442
.LBB62_432:
	s_and_not1_saveexec_b32 s20, s20
	s_cbranch_execz .LBB62_417
.LBB62_433:
	v_cmp_ne_u16_e32 vcc_lo, 0, v4
	s_and_not1_b32 s22, s22, exec_lo
	s_and_b32 s23, vcc_lo, exec_lo
	s_delay_alu instid0(SALU_CYCLE_1)
	s_or_b32 s22, s22, s23
	s_or_b32 exec_lo, exec_lo, s20
	v_mov_b64_e32 v[2:3], 0
	s_and_saveexec_b32 s20, s22
	s_cbranch_execnz .LBB62_418
	s_branch .LBB62_419
.LBB62_434:
	s_mov_b32 s20, -1
                                        ; implicit-def: $vgpr2_vgpr3
	s_branch .LBB62_439
.LBB62_435:
	s_mov_b32 s20, -1
                                        ; implicit-def: $vgpr2_vgpr3
.LBB62_436:
	s_delay_alu instid0(SALU_CYCLE_1)
	s_and_b32 vcc_lo, exec_lo, s20
	s_cbranch_vccz .LBB62_438
; %bb.437:
	s_wait_loadcnt 0x0
	global_load_u8 v2, v[0:1], off
	s_wait_loadcnt 0x0
	v_lshlrev_b32_e32 v2, 24, v2
	s_delay_alu instid0(VALU_DEP_1) | instskip(NEXT) | instid1(VALU_DEP_1)
	v_and_b32_e32 v3, 0x7f000000, v2
	v_clz_i32_u32_e32 v4, v3
	v_cmp_ne_u32_e32 vcc_lo, 0, v3
	v_add_nc_u32_e32 v6, 0x1000000, v3
	s_delay_alu instid0(VALU_DEP_3) | instskip(NEXT) | instid1(VALU_DEP_1)
	v_min_u32_e32 v4, 32, v4
	v_sub_nc_u32_e64 v4, v4, 4 clamp
	s_delay_alu instid0(VALU_DEP_1) | instskip(NEXT) | instid1(VALU_DEP_1)
	v_dual_lshlrev_b32 v5, v4, v3 :: v_dual_lshlrev_b32 v4, 23, v4
	v_lshrrev_b32_e32 v5, 4, v5
	s_delay_alu instid0(VALU_DEP_1) | instskip(NEXT) | instid1(VALU_DEP_1)
	v_dual_sub_nc_u32 v4, v5, v4 :: v_dual_ashrrev_i32 v5, 8, v6
	v_add_nc_u32_e32 v4, 0x3c000000, v4
	s_delay_alu instid0(VALU_DEP_1) | instskip(NEXT) | instid1(VALU_DEP_1)
	v_and_or_b32 v4, 0x7f800000, v5, v4
	v_cndmask_b32_e32 v3, 0, v4, vcc_lo
	s_delay_alu instid0(VALU_DEP_1) | instskip(NEXT) | instid1(VALU_DEP_1)
	v_and_or_b32 v2, 0x80000000, v2, v3
	v_trunc_f32_e32 v2, v2
	s_delay_alu instid0(VALU_DEP_1) | instskip(NEXT) | instid1(VALU_DEP_1)
	v_mul_f32_e64 v3, 0x2f800000, |v2|
	v_floor_f32_e32 v3, v3
	s_delay_alu instid0(VALU_DEP_1) | instskip(SKIP_2) | instid1(VALU_DEP_3)
	v_fma_f32 v4, 0xcf800000, v3, |v2|
	v_ashrrev_i32_e32 v2, 31, v2
	v_cvt_u32_f32_e32 v5, v3
	v_cvt_u32_f32_e32 v4, v4
	s_delay_alu instid0(VALU_DEP_2) | instskip(NEXT) | instid1(VALU_DEP_2)
	v_dual_mov_b32 v3, v2 :: v_dual_bitop2_b32 v5, v5, v2 bitop3:0x14
	v_xor_b32_e32 v4, v4, v2
	s_delay_alu instid0(VALU_DEP_1)
	v_sub_nc_u64_e32 v[2:3], v[4:5], v[2:3]
.LBB62_438:
	s_mov_b32 s20, 0
.LBB62_439:
	s_delay_alu instid0(SALU_CYCLE_1)
	s_and_not1_b32 vcc_lo, exec_lo, s20
	s_cbranch_vccnz .LBB62_441
; %bb.440:
	s_wait_loadcnt 0x0
	global_load_u8 v2, v[0:1], off
	s_wait_loadcnt 0x0
	v_lshlrev_b32_e32 v3, 25, v2
	v_lshlrev_b16 v2, 8, v2
	s_delay_alu instid0(VALU_DEP_1) | instskip(SKIP_1) | instid1(VALU_DEP_2)
	v_and_or_b32 v5, 0x7f00, v2, 0.5
	v_bfe_i32 v2, v2, 0, 16
	v_dual_add_f32 v5, -0.5, v5 :: v_dual_lshrrev_b32 v4, 4, v3
	v_cmp_gt_u32_e32 vcc_lo, 0x8000000, v3
	s_delay_alu instid0(VALU_DEP_2) | instskip(NEXT) | instid1(VALU_DEP_1)
	v_or_b32_e32 v4, 0x70000000, v4
	v_mul_f32_e32 v4, 0x7800000, v4
	s_delay_alu instid0(VALU_DEP_1) | instskip(NEXT) | instid1(VALU_DEP_1)
	v_cndmask_b32_e32 v3, v4, v5, vcc_lo
	v_and_or_b32 v2, 0x80000000, v2, v3
	s_delay_alu instid0(VALU_DEP_1) | instskip(NEXT) | instid1(VALU_DEP_1)
	v_trunc_f32_e32 v2, v2
	v_mul_f32_e64 v3, 0x2f800000, |v2|
	s_delay_alu instid0(VALU_DEP_1) | instskip(NEXT) | instid1(VALU_DEP_1)
	v_floor_f32_e32 v3, v3
	v_fma_f32 v4, 0xcf800000, v3, |v2|
	v_ashrrev_i32_e32 v2, 31, v2
	v_cvt_u32_f32_e32 v5, v3
	s_delay_alu instid0(VALU_DEP_3) | instskip(NEXT) | instid1(VALU_DEP_2)
	v_cvt_u32_f32_e32 v4, v4
	v_dual_mov_b32 v3, v2 :: v_dual_bitop2_b32 v5, v5, v2 bitop3:0x14
	s_delay_alu instid0(VALU_DEP_2) | instskip(NEXT) | instid1(VALU_DEP_1)
	v_xor_b32_e32 v4, v4, v2
	v_sub_nc_u64_e32 v[2:3], v[4:5], v[2:3]
.LBB62_441:
	s_mov_b32 s22, 0
	s_mov_b32 s20, -1
.LBB62_442:
	s_and_not1_b32 vcc_lo, exec_lo, s22
	s_cbranch_vccnz .LBB62_455
; %bb.443:
	s_cmp_gt_i32 s0, 14
	s_cbranch_scc0 .LBB62_446
; %bb.444:
	s_cmp_eq_u32 s0, 15
	s_cbranch_scc0 .LBB62_449
; %bb.445:
	s_wait_loadcnt 0x0
	global_load_u16 v2, v[0:1], off
	s_mov_b32 s20, -1
	s_mov_b32 s19, 0
	s_wait_loadcnt 0x0
	v_lshlrev_b32_e32 v2, 16, v2
	s_delay_alu instid0(VALU_DEP_1) | instskip(NEXT) | instid1(VALU_DEP_1)
	v_trunc_f32_e32 v2, v2
	v_mul_f32_e64 v3, 0x2f800000, |v2|
	s_delay_alu instid0(VALU_DEP_1) | instskip(NEXT) | instid1(VALU_DEP_1)
	v_floor_f32_e32 v3, v3
	v_fma_f32 v4, 0xcf800000, v3, |v2|
	v_ashrrev_i32_e32 v2, 31, v2
	v_cvt_u32_f32_e32 v5, v3
	s_delay_alu instid0(VALU_DEP_3) | instskip(NEXT) | instid1(VALU_DEP_2)
	v_cvt_u32_f32_e32 v4, v4
	v_dual_mov_b32 v3, v2 :: v_dual_bitop2_b32 v5, v5, v2 bitop3:0x14
	s_delay_alu instid0(VALU_DEP_2) | instskip(NEXT) | instid1(VALU_DEP_1)
	v_xor_b32_e32 v4, v4, v2
	v_sub_nc_u64_e32 v[2:3], v[4:5], v[2:3]
	s_branch .LBB62_450
.LBB62_446:
	s_mov_b32 s22, -1
                                        ; implicit-def: $vgpr2_vgpr3
	s_branch .LBB62_451
.LBB62_447:
	s_and_not1_saveexec_b32 s20, s20
	s_cbranch_execz .LBB62_428
.LBB62_448:
	v_cmp_ne_u16_e32 vcc_lo, 0, v4
	s_and_not1_b32 s22, s22, exec_lo
	s_and_b32 s23, vcc_lo, exec_lo
	s_delay_alu instid0(SALU_CYCLE_1)
	s_or_b32 s22, s22, s23
	s_or_b32 exec_lo, exec_lo, s20
	v_mov_b64_e32 v[2:3], 0
	s_and_saveexec_b32 s20, s22
	s_cbranch_execnz .LBB62_429
	s_branch .LBB62_430
.LBB62_449:
	s_mov_b32 s19, -1
                                        ; implicit-def: $vgpr2_vgpr3
.LBB62_450:
	s_mov_b32 s22, 0
.LBB62_451:
	s_delay_alu instid0(SALU_CYCLE_1)
	s_and_b32 vcc_lo, exec_lo, s22
	s_cbranch_vccz .LBB62_455
; %bb.452:
	s_cmp_eq_u32 s0, 11
	s_cbranch_scc0 .LBB62_454
; %bb.453:
	s_wait_loadcnt 0x0
	global_load_u8 v2, v[0:1], off
	s_mov_b32 s19, 0
	s_mov_b32 s20, -1
	v_mov_b32_e32 v3, s19
	s_wait_loadcnt 0x0
	v_cmp_ne_u16_e32 vcc_lo, 0, v2
	v_cndmask_b32_e64 v2, 0, 1, vcc_lo
	s_branch .LBB62_455
.LBB62_454:
	s_mov_b32 s19, -1
                                        ; implicit-def: $vgpr2_vgpr3
.LBB62_455:
	s_branch .LBB62_261
.LBB62_456:
	s_cmp_lt_i32 s0, 5
	s_cbranch_scc1 .LBB62_461
; %bb.457:
	s_cmp_lt_i32 s0, 8
	s_cbranch_scc1 .LBB62_462
; %bb.458:
	;; [unrolled: 3-line block ×3, first 2 shown]
	s_cmp_gt_i32 s0, 9
	s_cbranch_scc0 .LBB62_464
; %bb.460:
	s_wait_loadcnt 0x0
	global_load_b64 v[2:3], v[0:1], off
	s_mov_b32 s20, 0
	s_wait_loadcnt 0x0
	v_trunc_f64_e32 v[2:3], v[2:3]
	s_delay_alu instid0(VALU_DEP_1) | instskip(NEXT) | instid1(VALU_DEP_1)
	v_ldexp_f64 v[4:5], v[2:3], 0xffffffe0
	v_floor_f64_e32 v[4:5], v[4:5]
	s_delay_alu instid0(VALU_DEP_1) | instskip(SKIP_1) | instid1(VALU_DEP_2)
	v_fmamk_f64 v[6:7], v[4:5], 0xc1f00000, v[2:3]
	v_cvt_i32_f64_e32 v3, v[4:5]
	v_cvt_u32_f64_e32 v2, v[6:7]
	s_branch .LBB62_465
.LBB62_461:
	s_mov_b32 s20, -1
                                        ; implicit-def: $vgpr2_vgpr3
	s_branch .LBB62_483
.LBB62_462:
	s_mov_b32 s20, -1
                                        ; implicit-def: $vgpr2_vgpr3
	s_branch .LBB62_471
.LBB62_463:
	s_mov_b32 s20, -1
                                        ; implicit-def: $vgpr2_vgpr3
	s_branch .LBB62_468
.LBB62_464:
	s_mov_b32 s20, -1
                                        ; implicit-def: $vgpr2_vgpr3
.LBB62_465:
	s_delay_alu instid0(SALU_CYCLE_1)
	s_and_not1_b32 vcc_lo, exec_lo, s20
	s_cbranch_vccnz .LBB62_467
; %bb.466:
	s_wait_loadcnt 0x0
	global_load_b32 v2, v[0:1], off
	s_wait_loadcnt 0x0
	v_trunc_f32_e32 v2, v2
	s_delay_alu instid0(VALU_DEP_1) | instskip(NEXT) | instid1(VALU_DEP_1)
	v_mul_f32_e64 v3, 0x2f800000, |v2|
	v_floor_f32_e32 v3, v3
	s_delay_alu instid0(VALU_DEP_1) | instskip(SKIP_2) | instid1(VALU_DEP_3)
	v_fma_f32 v4, 0xcf800000, v3, |v2|
	v_ashrrev_i32_e32 v2, 31, v2
	v_cvt_u32_f32_e32 v5, v3
	v_cvt_u32_f32_e32 v4, v4
	s_delay_alu instid0(VALU_DEP_2) | instskip(NEXT) | instid1(VALU_DEP_2)
	v_dual_mov_b32 v3, v2 :: v_dual_bitop2_b32 v5, v5, v2 bitop3:0x14
	v_xor_b32_e32 v4, v4, v2
	s_delay_alu instid0(VALU_DEP_1)
	v_sub_nc_u64_e32 v[2:3], v[4:5], v[2:3]
.LBB62_467:
	s_mov_b32 s20, 0
.LBB62_468:
	s_delay_alu instid0(SALU_CYCLE_1)
	s_and_not1_b32 vcc_lo, exec_lo, s20
	s_cbranch_vccnz .LBB62_470
; %bb.469:
	s_wait_loadcnt 0x0
	global_load_b32 v2, v[0:1], off
	s_wait_loadcnt 0x0
	v_cvt_f32_f16_e32 v2, v2
	s_delay_alu instid0(VALU_DEP_1) | instskip(NEXT) | instid1(VALU_DEP_1)
	v_cvt_i32_f32_e32 v2, v2
	v_ashrrev_i32_e32 v3, 31, v2
.LBB62_470:
	s_mov_b32 s20, 0
.LBB62_471:
	s_delay_alu instid0(SALU_CYCLE_1)
	s_and_not1_b32 vcc_lo, exec_lo, s20
	s_cbranch_vccnz .LBB62_482
; %bb.472:
	s_cmp_lt_i32 s0, 6
	s_cbranch_scc1 .LBB62_475
; %bb.473:
	s_cmp_gt_i32 s0, 6
	s_cbranch_scc0 .LBB62_476
; %bb.474:
	s_wait_loadcnt 0x0
	global_load_b64 v[2:3], v[0:1], off
	s_mov_b32 s20, 0
	s_wait_loadcnt 0x0
	v_trunc_f64_e32 v[2:3], v[2:3]
	s_delay_alu instid0(VALU_DEP_1) | instskip(NEXT) | instid1(VALU_DEP_1)
	v_ldexp_f64 v[4:5], v[2:3], 0xffffffe0
	v_floor_f64_e32 v[4:5], v[4:5]
	s_delay_alu instid0(VALU_DEP_1) | instskip(SKIP_1) | instid1(VALU_DEP_2)
	v_fmamk_f64 v[6:7], v[4:5], 0xc1f00000, v[2:3]
	v_cvt_i32_f64_e32 v3, v[4:5]
	v_cvt_u32_f64_e32 v2, v[6:7]
	s_branch .LBB62_477
.LBB62_475:
	s_mov_b32 s20, -1
                                        ; implicit-def: $vgpr2_vgpr3
	s_branch .LBB62_480
.LBB62_476:
	s_mov_b32 s20, -1
                                        ; implicit-def: $vgpr2_vgpr3
.LBB62_477:
	s_delay_alu instid0(SALU_CYCLE_1)
	s_and_not1_b32 vcc_lo, exec_lo, s20
	s_cbranch_vccnz .LBB62_479
; %bb.478:
	s_wait_loadcnt 0x0
	global_load_b32 v2, v[0:1], off
	s_wait_loadcnt 0x0
	v_trunc_f32_e32 v2, v2
	s_delay_alu instid0(VALU_DEP_1) | instskip(NEXT) | instid1(VALU_DEP_1)
	v_mul_f32_e64 v3, 0x2f800000, |v2|
	v_floor_f32_e32 v3, v3
	s_delay_alu instid0(VALU_DEP_1) | instskip(SKIP_2) | instid1(VALU_DEP_3)
	v_fma_f32 v4, 0xcf800000, v3, |v2|
	v_ashrrev_i32_e32 v2, 31, v2
	v_cvt_u32_f32_e32 v5, v3
	v_cvt_u32_f32_e32 v4, v4
	s_delay_alu instid0(VALU_DEP_2) | instskip(NEXT) | instid1(VALU_DEP_2)
	v_dual_mov_b32 v3, v2 :: v_dual_bitop2_b32 v5, v5, v2 bitop3:0x14
	v_xor_b32_e32 v4, v4, v2
	s_delay_alu instid0(VALU_DEP_1)
	v_sub_nc_u64_e32 v[2:3], v[4:5], v[2:3]
.LBB62_479:
	s_mov_b32 s20, 0
.LBB62_480:
	s_delay_alu instid0(SALU_CYCLE_1)
	s_and_not1_b32 vcc_lo, exec_lo, s20
	s_cbranch_vccnz .LBB62_482
; %bb.481:
	s_wait_loadcnt 0x0
	global_load_u16 v2, v[0:1], off
	s_wait_loadcnt 0x0
	v_cvt_f32_f16_e32 v2, v2
	s_delay_alu instid0(VALU_DEP_1) | instskip(NEXT) | instid1(VALU_DEP_1)
	v_cvt_i32_f32_e32 v2, v2
	v_ashrrev_i32_e32 v3, 31, v2
.LBB62_482:
	s_mov_b32 s20, 0
.LBB62_483:
	s_delay_alu instid0(SALU_CYCLE_1)
	s_and_not1_b32 vcc_lo, exec_lo, s20
	s_cbranch_vccnz .LBB62_503
; %bb.484:
	s_cmp_lt_i32 s0, 2
	s_cbranch_scc1 .LBB62_488
; %bb.485:
	s_cmp_lt_i32 s0, 3
	s_cbranch_scc1 .LBB62_489
; %bb.486:
	s_cmp_gt_i32 s0, 3
	s_cbranch_scc0 .LBB62_490
; %bb.487:
	s_wait_loadcnt 0x0
	global_load_b64 v[2:3], v[0:1], off
	s_mov_b32 s20, 0
	s_branch .LBB62_491
.LBB62_488:
	s_mov_b32 s20, -1
                                        ; implicit-def: $vgpr2_vgpr3
	s_branch .LBB62_497
.LBB62_489:
	s_mov_b32 s20, -1
                                        ; implicit-def: $vgpr2_vgpr3
	s_branch .LBB62_494
.LBB62_490:
	s_mov_b32 s20, -1
                                        ; implicit-def: $vgpr2_vgpr3
.LBB62_491:
	s_delay_alu instid0(SALU_CYCLE_1)
	s_and_not1_b32 vcc_lo, exec_lo, s20
	s_cbranch_vccnz .LBB62_493
; %bb.492:
	s_wait_loadcnt 0x0
	global_load_b32 v2, v[0:1], off
	s_wait_loadcnt 0x0
	v_ashrrev_i32_e32 v3, 31, v2
.LBB62_493:
	s_mov_b32 s20, 0
.LBB62_494:
	s_delay_alu instid0(SALU_CYCLE_1)
	s_and_not1_b32 vcc_lo, exec_lo, s20
	s_cbranch_vccnz .LBB62_496
; %bb.495:
	s_wait_loadcnt 0x0
	global_load_u16 v2, v[0:1], off
	s_wait_loadcnt 0x0
	v_bfe_i32 v2, v2, 0, 16
	s_delay_alu instid0(VALU_DEP_1)
	v_ashrrev_i32_e32 v3, 31, v2
.LBB62_496:
	s_mov_b32 s20, 0
.LBB62_497:
	s_delay_alu instid0(SALU_CYCLE_1)
	s_and_not1_b32 vcc_lo, exec_lo, s20
	s_cbranch_vccnz .LBB62_503
; %bb.498:
	s_cmp_gt_i32 s0, 0
	s_mov_b32 s0, 0
	s_cbranch_scc0 .LBB62_500
; %bb.499:
	s_wait_loadcnt 0x0
	global_load_i8 v2, v[0:1], off
	s_wait_loadcnt 0x0
	v_bfe_i32 v2, v2, 0, 16
	s_delay_alu instid0(VALU_DEP_1)
	v_ashrrev_i32_e32 v3, 31, v2
	s_branch .LBB62_501
.LBB62_500:
	s_mov_b32 s0, -1
                                        ; implicit-def: $vgpr2_vgpr3
.LBB62_501:
	s_delay_alu instid0(SALU_CYCLE_1)
	s_and_not1_b32 vcc_lo, exec_lo, s0
	s_cbranch_vccnz .LBB62_503
; %bb.502:
	global_load_u8 v0, v[0:1], off
	s_mov_b32 s0, 0
	s_wait_loadcnt 0x1
	v_mov_b32_e32 v3, s0
	s_wait_loadcnt 0x0
	v_and_b32_e32 v2, 0xffff, v0
.LBB62_503:
	s_branch .LBB62_262
.LBB62_504:
	s_mov_b32 s22, 0
	s_mov_b32 s0, s16
.LBB62_505:
                                        ; implicit-def: $vgpr10
.LBB62_506:
	s_and_not1_b32 s20, s16, exec_lo
	s_and_b32 s0, s0, exec_lo
	s_and_not1_b32 s23, s17, exec_lo
	s_and_b32 s19, s19, exec_lo
	s_or_b32 s20, s20, s0
	s_or_b32 s19, s23, s19
	s_or_not1_b32 s0, s22, exec_lo
.LBB62_507:
	s_wait_xcnt 0x0
	s_or_b32 exec_lo, exec_lo, s21
	s_mov_b32 s22, 0
	s_mov_b32 s23, 0
	;; [unrolled: 1-line block ×3, first 2 shown]
                                        ; implicit-def: $vgpr0_vgpr1
                                        ; implicit-def: $vgpr2_vgpr3
	s_and_saveexec_b32 s21, s0
	s_cbranch_execz .LBB62_846
; %bb.508:
	s_mov_b32 s24, -1
	s_mov_b32 s0, s19
	s_mov_b32 s23, s20
	s_mov_b32 s22, exec_lo
	v_cmpx_gt_i32_e64 s15, v10
	s_cbranch_execz .LBB62_764
; %bb.509:
	v_mul_lo_u32 v0, v10, s13
	s_and_b32 s0, 0xffff, s2
	s_delay_alu instid0(SALU_CYCLE_1) | instskip(NEXT) | instid1(VALU_DEP_1)
	s_cmp_lt_i32 s0, 11
	v_ashrrev_i32_e32 v1, 31, v0
	s_delay_alu instid0(VALU_DEP_1)
	v_add_nc_u64_e32 v[0:1], s[6:7], v[0:1]
	s_cbranch_scc1 .LBB62_516
; %bb.510:
	s_cmp_gt_i32 s0, 25
	s_cbranch_scc0 .LBB62_517
; %bb.511:
	s_cmp_gt_i32 s0, 28
	s_cbranch_scc0 .LBB62_518
	;; [unrolled: 3-line block ×4, first 2 shown]
; %bb.514:
	s_cmp_eq_u32 s0, 46
	s_mov_b32 s25, 0
	s_cbranch_scc0 .LBB62_525
; %bb.515:
	s_wait_loadcnt 0x0
	global_load_b32 v2, v[0:1], off
	s_mov_b32 s23, 0
	s_wait_loadcnt 0x0
	v_lshlrev_b32_e32 v2, 16, v2
	s_delay_alu instid0(VALU_DEP_1) | instskip(NEXT) | instid1(VALU_DEP_1)
	v_trunc_f32_e32 v2, v2
	v_mul_f32_e64 v3, 0x2f800000, |v2|
	s_delay_alu instid0(VALU_DEP_1) | instskip(NEXT) | instid1(VALU_DEP_1)
	v_floor_f32_e32 v3, v3
	v_fma_f32 v4, 0xcf800000, v3, |v2|
	v_ashrrev_i32_e32 v2, 31, v2
	v_cvt_u32_f32_e32 v5, v3
	s_delay_alu instid0(VALU_DEP_3) | instskip(NEXT) | instid1(VALU_DEP_2)
	v_cvt_u32_f32_e32 v4, v4
	v_dual_mov_b32 v3, v2 :: v_dual_bitop2_b32 v5, v5, v2 bitop3:0x14
	s_delay_alu instid0(VALU_DEP_2) | instskip(NEXT) | instid1(VALU_DEP_1)
	v_xor_b32_e32 v4, v4, v2
	v_sub_nc_u64_e32 v[2:3], v[4:5], v[2:3]
	s_branch .LBB62_527
.LBB62_516:
	s_mov_b32 s25, -1
	s_mov_b32 s24, 0
	s_mov_b32 s23, s19
                                        ; implicit-def: $vgpr2_vgpr3
	s_branch .LBB62_588
.LBB62_517:
	s_mov_b32 s25, -1
	s_mov_b32 s24, 0
	s_mov_b32 s23, s19
                                        ; implicit-def: $vgpr2_vgpr3
	s_branch .LBB62_554
.LBB62_518:
	s_mov_b32 s25, -1
	s_mov_b32 s24, 0
	s_mov_b32 s23, s19
                                        ; implicit-def: $vgpr2_vgpr3
	s_branch .LBB62_537
.LBB62_519:
	s_mov_b32 s25, -1
	s_mov_b32 s24, 0
	s_mov_b32 s23, s19
                                        ; implicit-def: $vgpr2_vgpr3
	s_branch .LBB62_532
.LBB62_520:
	s_and_not1_saveexec_b32 s26, s26
	s_cbranch_execz .LBB62_308
.LBB62_521:
	v_add_f32_e32 v2, 0x46000000, v3
	s_and_not1_b32 s25, s25, exec_lo
	s_delay_alu instid0(VALU_DEP_1) | instskip(NEXT) | instid1(VALU_DEP_1)
	v_and_b32_e32 v2, 0xff, v2
	v_cmp_ne_u32_e32 vcc_lo, 0, v2
	s_and_b32 s27, vcc_lo, exec_lo
	s_delay_alu instid0(SALU_CYCLE_1)
	s_or_b32 s25, s25, s27
	s_or_b32 exec_lo, exec_lo, s26
	v_mov_b32_e32 v4, 0
	s_and_saveexec_b32 s26, s25
	s_cbranch_execnz .LBB62_309
	s_branch .LBB62_310
.LBB62_522:
	s_mov_b32 s25, -1
	s_mov_b32 s24, 0
	s_mov_b32 s23, s19
	s_branch .LBB62_526
.LBB62_523:
	s_and_not1_saveexec_b32 s26, s26
	s_cbranch_execz .LBB62_321
.LBB62_524:
	v_add_f32_e32 v2, 0x42800000, v3
	s_and_not1_b32 s25, s25, exec_lo
	s_delay_alu instid0(VALU_DEP_1) | instskip(NEXT) | instid1(VALU_DEP_1)
	v_and_b32_e32 v2, 0xff, v2
	v_cmp_ne_u32_e32 vcc_lo, 0, v2
	s_and_b32 s27, vcc_lo, exec_lo
	s_delay_alu instid0(SALU_CYCLE_1)
	s_or_b32 s25, s25, s27
	s_or_b32 exec_lo, exec_lo, s26
	v_mov_b32_e32 v4, 0
	s_and_saveexec_b32 s26, s25
	s_cbranch_execnz .LBB62_322
	s_branch .LBB62_323
.LBB62_525:
	s_mov_b32 s23, -1
	s_mov_b32 s24, 0
.LBB62_526:
                                        ; implicit-def: $vgpr2_vgpr3
.LBB62_527:
	s_and_b32 vcc_lo, exec_lo, s25
	s_cbranch_vccz .LBB62_531
; %bb.528:
	s_cmp_eq_u32 s0, 44
	s_cbranch_scc0 .LBB62_530
; %bb.529:
	global_load_u8 v6, v[0:1], off
	s_mov_b32 s23, 0
	s_mov_b32 s24, -1
	s_wait_loadcnt 0x0
	v_cmp_ne_u32_e32 vcc_lo, 0, v6
	v_lshlrev_b32_e32 v2, 23, v6
	s_delay_alu instid0(VALU_DEP_1) | instskip(NEXT) | instid1(VALU_DEP_1)
	v_trunc_f32_e32 v2, v2
	v_mul_f32_e64 v3, 0x2f800000, |v2|
	s_delay_alu instid0(VALU_DEP_1) | instskip(NEXT) | instid1(VALU_DEP_1)
	v_floor_f32_e32 v3, v3
	v_fma_f32 v4, 0xcf800000, v3, |v2|
	v_ashrrev_i32_e32 v2, 31, v2
	v_cvt_u32_f32_e32 v5, v3
	s_delay_alu instid0(VALU_DEP_3) | instskip(NEXT) | instid1(VALU_DEP_2)
	v_cvt_u32_f32_e32 v4, v4
	v_dual_mov_b32 v3, v2 :: v_dual_bitop2_b32 v5, v5, v2 bitop3:0x14
	s_delay_alu instid0(VALU_DEP_2) | instskip(NEXT) | instid1(VALU_DEP_1)
	v_xor_b32_e32 v4, v4, v2
	v_sub_nc_u64_e32 v[2:3], v[4:5], v[2:3]
	s_delay_alu instid0(VALU_DEP_1)
	v_dual_cndmask_b32 v3, 0, v3 :: v_dual_cndmask_b32 v2, 0, v2
	s_branch .LBB62_531
.LBB62_530:
	s_mov_b32 s23, -1
                                        ; implicit-def: $vgpr2_vgpr3
.LBB62_531:
	s_mov_b32 s25, 0
.LBB62_532:
	s_delay_alu instid0(SALU_CYCLE_1)
	s_and_b32 vcc_lo, exec_lo, s25
	s_cbranch_vccz .LBB62_536
; %bb.533:
	s_cmp_eq_u32 s0, 29
	s_cbranch_scc0 .LBB62_535
; %bb.534:
	s_wait_loadcnt 0x0
	global_load_b64 v[2:3], v[0:1], off
	s_mov_b32 s24, -1
	s_mov_b32 s23, 0
	s_branch .LBB62_536
.LBB62_535:
	s_mov_b32 s23, -1
                                        ; implicit-def: $vgpr2_vgpr3
.LBB62_536:
	s_mov_b32 s25, 0
.LBB62_537:
	s_delay_alu instid0(SALU_CYCLE_1)
	s_and_b32 vcc_lo, exec_lo, s25
	s_cbranch_vccz .LBB62_553
; %bb.538:
	s_cmp_lt_i32 s0, 27
	s_cbranch_scc1 .LBB62_541
; %bb.539:
	s_cmp_gt_i32 s0, 27
	s_cbranch_scc0 .LBB62_542
; %bb.540:
	s_wait_loadcnt 0x0
	global_load_b32 v2, v[0:1], off
	v_mov_b32_e32 v3, 0
	s_mov_b32 s24, 0
	s_branch .LBB62_543
.LBB62_541:
	s_mov_b32 s24, -1
                                        ; implicit-def: $vgpr2_vgpr3
	s_branch .LBB62_546
.LBB62_542:
	s_mov_b32 s24, -1
                                        ; implicit-def: $vgpr2_vgpr3
.LBB62_543:
	s_delay_alu instid0(SALU_CYCLE_1)
	s_and_not1_b32 vcc_lo, exec_lo, s24
	s_cbranch_vccnz .LBB62_545
; %bb.544:
	s_wait_loadcnt 0x0
	global_load_u16 v2, v[0:1], off
	s_mov_b32 s24, 0
	s_delay_alu instid0(SALU_CYCLE_1)
	v_mov_b32_e32 v3, s24
	s_wait_loadcnt 0x0
	v_and_b32_e32 v2, 0xffff, v2
.LBB62_545:
	s_mov_b32 s24, 0
.LBB62_546:
	s_delay_alu instid0(SALU_CYCLE_1)
	s_and_not1_b32 vcc_lo, exec_lo, s24
	s_cbranch_vccnz .LBB62_552
; %bb.547:
	global_load_u8 v4, v[0:1], off
	s_mov_b32 s25, 0
	s_mov_b32 s24, exec_lo
	s_wait_loadcnt 0x0
	v_cmpx_lt_i16_e32 0x7f, v4
	s_xor_b32 s24, exec_lo, s24
	s_cbranch_execz .LBB62_564
; %bb.548:
	v_cmp_ne_u16_e32 vcc_lo, 0x80, v4
	s_and_b32 s25, vcc_lo, exec_lo
	s_and_not1_saveexec_b32 s24, s24
	s_cbranch_execnz .LBB62_565
.LBB62_549:
	s_or_b32 exec_lo, exec_lo, s24
	v_mov_b64_e32 v[2:3], 0
	s_and_saveexec_b32 s24, s25
	s_cbranch_execz .LBB62_551
.LBB62_550:
	v_and_b32_e32 v2, 0xffff, v4
	s_delay_alu instid0(VALU_DEP_1) | instskip(SKIP_1) | instid1(VALU_DEP_2)
	v_and_b32_e32 v3, 7, v2
	v_bfe_u32 v7, v2, 3, 4
	v_clz_i32_u32_e32 v5, v3
	s_delay_alu instid0(VALU_DEP_2) | instskip(NEXT) | instid1(VALU_DEP_2)
	v_cmp_eq_u32_e32 vcc_lo, 0, v7
	v_min_u32_e32 v5, 32, v5
	s_delay_alu instid0(VALU_DEP_1) | instskip(NEXT) | instid1(VALU_DEP_1)
	v_subrev_nc_u32_e32 v6, 28, v5
	v_dual_lshlrev_b32 v2, v6, v2 :: v_dual_sub_nc_u32 v5, 29, v5
	s_delay_alu instid0(VALU_DEP_1) | instskip(NEXT) | instid1(VALU_DEP_2)
	v_dual_lshlrev_b32 v4, 24, v4 :: v_dual_bitop2_b32 v2, 7, v2 bitop3:0x40
	v_cndmask_b32_e32 v5, v7, v5, vcc_lo
	s_delay_alu instid0(VALU_DEP_2) | instskip(NEXT) | instid1(VALU_DEP_3)
	v_cndmask_b32_e32 v2, v3, v2, vcc_lo
	v_and_b32_e32 v3, 0x80000000, v4
	s_delay_alu instid0(VALU_DEP_3) | instskip(NEXT) | instid1(VALU_DEP_3)
	v_lshl_add_u32 v4, v5, 23, 0x3b800000
	v_lshlrev_b32_e32 v2, 20, v2
	s_delay_alu instid0(VALU_DEP_1) | instskip(NEXT) | instid1(VALU_DEP_1)
	v_or3_b32 v2, v3, v4, v2
	v_trunc_f32_e32 v2, v2
	s_delay_alu instid0(VALU_DEP_1) | instskip(NEXT) | instid1(VALU_DEP_1)
	v_mul_f32_e64 v3, 0x2f800000, |v2|
	v_floor_f32_e32 v3, v3
	s_delay_alu instid0(VALU_DEP_1) | instskip(SKIP_2) | instid1(VALU_DEP_3)
	v_fma_f32 v4, 0xcf800000, v3, |v2|
	v_ashrrev_i32_e32 v2, 31, v2
	v_cvt_u32_f32_e32 v5, v3
	v_cvt_u32_f32_e32 v4, v4
	s_delay_alu instid0(VALU_DEP_2) | instskip(NEXT) | instid1(VALU_DEP_2)
	v_dual_mov_b32 v3, v2 :: v_dual_bitop2_b32 v5, v5, v2 bitop3:0x14
	v_xor_b32_e32 v4, v4, v2
	s_delay_alu instid0(VALU_DEP_1)
	v_sub_nc_u64_e32 v[2:3], v[4:5], v[2:3]
.LBB62_551:
	s_or_b32 exec_lo, exec_lo, s24
.LBB62_552:
	s_mov_b32 s24, -1
.LBB62_553:
	s_mov_b32 s25, 0
.LBB62_554:
	s_delay_alu instid0(SALU_CYCLE_1)
	s_and_b32 vcc_lo, exec_lo, s25
	s_cbranch_vccz .LBB62_587
; %bb.555:
	s_cmp_gt_i32 s0, 22
	s_cbranch_scc0 .LBB62_563
; %bb.556:
	s_cmp_lt_i32 s0, 24
	s_cbranch_scc1 .LBB62_566
; %bb.557:
	s_cmp_gt_i32 s0, 24
	s_cbranch_scc0 .LBB62_567
; %bb.558:
	global_load_u8 v4, v[0:1], off
	s_mov_b32 s25, 0
	s_mov_b32 s24, exec_lo
	s_wait_loadcnt 0x0
	v_cmpx_lt_i16_e32 0x7f, v4
	s_xor_b32 s24, exec_lo, s24
	s_cbranch_execz .LBB62_579
; %bb.559:
	v_cmp_ne_u16_e32 vcc_lo, 0x80, v4
	s_and_b32 s25, vcc_lo, exec_lo
	s_and_not1_saveexec_b32 s24, s24
	s_cbranch_execnz .LBB62_580
.LBB62_560:
	s_or_b32 exec_lo, exec_lo, s24
	v_mov_b64_e32 v[2:3], 0
	s_and_saveexec_b32 s24, s25
	s_cbranch_execz .LBB62_562
.LBB62_561:
	v_and_b32_e32 v2, 0xffff, v4
	s_delay_alu instid0(VALU_DEP_1) | instskip(SKIP_1) | instid1(VALU_DEP_2)
	v_and_b32_e32 v3, 3, v2
	v_bfe_u32 v7, v2, 2, 5
	v_clz_i32_u32_e32 v5, v3
	s_delay_alu instid0(VALU_DEP_2) | instskip(NEXT) | instid1(VALU_DEP_2)
	v_cmp_eq_u32_e32 vcc_lo, 0, v7
	v_min_u32_e32 v5, 32, v5
	s_delay_alu instid0(VALU_DEP_1) | instskip(NEXT) | instid1(VALU_DEP_1)
	v_subrev_nc_u32_e32 v6, 29, v5
	v_dual_lshlrev_b32 v2, v6, v2 :: v_dual_sub_nc_u32 v5, 30, v5
	s_delay_alu instid0(VALU_DEP_1) | instskip(NEXT) | instid1(VALU_DEP_2)
	v_dual_lshlrev_b32 v4, 24, v4 :: v_dual_bitop2_b32 v2, 3, v2 bitop3:0x40
	v_cndmask_b32_e32 v5, v7, v5, vcc_lo
	s_delay_alu instid0(VALU_DEP_2) | instskip(NEXT) | instid1(VALU_DEP_3)
	v_cndmask_b32_e32 v2, v3, v2, vcc_lo
	v_and_b32_e32 v3, 0x80000000, v4
	s_delay_alu instid0(VALU_DEP_3) | instskip(NEXT) | instid1(VALU_DEP_3)
	v_lshl_add_u32 v4, v5, 23, 0x37800000
	v_lshlrev_b32_e32 v2, 21, v2
	s_delay_alu instid0(VALU_DEP_1) | instskip(NEXT) | instid1(VALU_DEP_1)
	v_or3_b32 v2, v3, v4, v2
	v_trunc_f32_e32 v2, v2
	s_delay_alu instid0(VALU_DEP_1) | instskip(NEXT) | instid1(VALU_DEP_1)
	v_mul_f32_e64 v3, 0x2f800000, |v2|
	v_floor_f32_e32 v3, v3
	s_delay_alu instid0(VALU_DEP_1) | instskip(SKIP_2) | instid1(VALU_DEP_3)
	v_fma_f32 v4, 0xcf800000, v3, |v2|
	v_ashrrev_i32_e32 v2, 31, v2
	v_cvt_u32_f32_e32 v5, v3
	v_cvt_u32_f32_e32 v4, v4
	s_delay_alu instid0(VALU_DEP_2) | instskip(NEXT) | instid1(VALU_DEP_2)
	v_dual_mov_b32 v3, v2 :: v_dual_bitop2_b32 v5, v5, v2 bitop3:0x14
	v_xor_b32_e32 v4, v4, v2
	s_delay_alu instid0(VALU_DEP_1)
	v_sub_nc_u64_e32 v[2:3], v[4:5], v[2:3]
.LBB62_562:
	s_or_b32 exec_lo, exec_lo, s24
	s_mov_b32 s24, 0
	s_branch .LBB62_568
.LBB62_563:
	s_mov_b32 s25, -1
                                        ; implicit-def: $vgpr2_vgpr3
	s_branch .LBB62_574
.LBB62_564:
	s_and_not1_saveexec_b32 s24, s24
	s_cbranch_execz .LBB62_549
.LBB62_565:
	v_cmp_ne_u16_e32 vcc_lo, 0, v4
	s_and_not1_b32 s25, s25, exec_lo
	s_and_b32 s26, vcc_lo, exec_lo
	s_delay_alu instid0(SALU_CYCLE_1)
	s_or_b32 s25, s25, s26
	s_or_b32 exec_lo, exec_lo, s24
	v_mov_b64_e32 v[2:3], 0
	s_and_saveexec_b32 s24, s25
	s_cbranch_execnz .LBB62_550
	s_branch .LBB62_551
.LBB62_566:
	s_mov_b32 s24, -1
                                        ; implicit-def: $vgpr2_vgpr3
	s_branch .LBB62_571
.LBB62_567:
	s_mov_b32 s24, -1
                                        ; implicit-def: $vgpr2_vgpr3
.LBB62_568:
	s_delay_alu instid0(SALU_CYCLE_1)
	s_and_b32 vcc_lo, exec_lo, s24
	s_cbranch_vccz .LBB62_570
; %bb.569:
	s_wait_loadcnt 0x0
	global_load_u8 v2, v[0:1], off
	s_wait_loadcnt 0x0
	v_lshlrev_b32_e32 v2, 24, v2
	s_delay_alu instid0(VALU_DEP_1) | instskip(NEXT) | instid1(VALU_DEP_1)
	v_and_b32_e32 v3, 0x7f000000, v2
	v_clz_i32_u32_e32 v4, v3
	v_cmp_ne_u32_e32 vcc_lo, 0, v3
	v_add_nc_u32_e32 v6, 0x1000000, v3
	s_delay_alu instid0(VALU_DEP_3) | instskip(NEXT) | instid1(VALU_DEP_1)
	v_min_u32_e32 v4, 32, v4
	v_sub_nc_u32_e64 v4, v4, 4 clamp
	s_delay_alu instid0(VALU_DEP_1) | instskip(NEXT) | instid1(VALU_DEP_1)
	v_dual_lshlrev_b32 v5, v4, v3 :: v_dual_lshlrev_b32 v4, 23, v4
	v_lshrrev_b32_e32 v5, 4, v5
	s_delay_alu instid0(VALU_DEP_1) | instskip(NEXT) | instid1(VALU_DEP_1)
	v_dual_sub_nc_u32 v4, v5, v4 :: v_dual_ashrrev_i32 v5, 8, v6
	v_add_nc_u32_e32 v4, 0x3c000000, v4
	s_delay_alu instid0(VALU_DEP_1) | instskip(NEXT) | instid1(VALU_DEP_1)
	v_and_or_b32 v4, 0x7f800000, v5, v4
	v_cndmask_b32_e32 v3, 0, v4, vcc_lo
	s_delay_alu instid0(VALU_DEP_1) | instskip(NEXT) | instid1(VALU_DEP_1)
	v_and_or_b32 v2, 0x80000000, v2, v3
	v_trunc_f32_e32 v2, v2
	s_delay_alu instid0(VALU_DEP_1) | instskip(NEXT) | instid1(VALU_DEP_1)
	v_mul_f32_e64 v3, 0x2f800000, |v2|
	v_floor_f32_e32 v3, v3
	s_delay_alu instid0(VALU_DEP_1) | instskip(SKIP_2) | instid1(VALU_DEP_3)
	v_fma_f32 v4, 0xcf800000, v3, |v2|
	v_ashrrev_i32_e32 v2, 31, v2
	v_cvt_u32_f32_e32 v5, v3
	v_cvt_u32_f32_e32 v4, v4
	s_delay_alu instid0(VALU_DEP_2) | instskip(NEXT) | instid1(VALU_DEP_2)
	v_dual_mov_b32 v3, v2 :: v_dual_bitop2_b32 v5, v5, v2 bitop3:0x14
	v_xor_b32_e32 v4, v4, v2
	s_delay_alu instid0(VALU_DEP_1)
	v_sub_nc_u64_e32 v[2:3], v[4:5], v[2:3]
.LBB62_570:
	s_mov_b32 s24, 0
.LBB62_571:
	s_delay_alu instid0(SALU_CYCLE_1)
	s_and_not1_b32 vcc_lo, exec_lo, s24
	s_cbranch_vccnz .LBB62_573
; %bb.572:
	s_wait_loadcnt 0x0
	global_load_u8 v2, v[0:1], off
	s_wait_loadcnt 0x0
	v_lshlrev_b32_e32 v3, 25, v2
	v_lshlrev_b16 v2, 8, v2
	s_delay_alu instid0(VALU_DEP_1) | instskip(SKIP_1) | instid1(VALU_DEP_2)
	v_and_or_b32 v5, 0x7f00, v2, 0.5
	v_bfe_i32 v2, v2, 0, 16
	v_dual_add_f32 v5, -0.5, v5 :: v_dual_lshrrev_b32 v4, 4, v3
	v_cmp_gt_u32_e32 vcc_lo, 0x8000000, v3
	s_delay_alu instid0(VALU_DEP_2) | instskip(NEXT) | instid1(VALU_DEP_1)
	v_or_b32_e32 v4, 0x70000000, v4
	v_mul_f32_e32 v4, 0x7800000, v4
	s_delay_alu instid0(VALU_DEP_1) | instskip(NEXT) | instid1(VALU_DEP_1)
	v_cndmask_b32_e32 v3, v4, v5, vcc_lo
	v_and_or_b32 v2, 0x80000000, v2, v3
	s_delay_alu instid0(VALU_DEP_1) | instskip(NEXT) | instid1(VALU_DEP_1)
	v_trunc_f32_e32 v2, v2
	v_mul_f32_e64 v3, 0x2f800000, |v2|
	s_delay_alu instid0(VALU_DEP_1) | instskip(NEXT) | instid1(VALU_DEP_1)
	v_floor_f32_e32 v3, v3
	v_fma_f32 v4, 0xcf800000, v3, |v2|
	v_ashrrev_i32_e32 v2, 31, v2
	v_cvt_u32_f32_e32 v5, v3
	s_delay_alu instid0(VALU_DEP_3) | instskip(NEXT) | instid1(VALU_DEP_2)
	v_cvt_u32_f32_e32 v4, v4
	v_dual_mov_b32 v3, v2 :: v_dual_bitop2_b32 v5, v5, v2 bitop3:0x14
	s_delay_alu instid0(VALU_DEP_2) | instskip(NEXT) | instid1(VALU_DEP_1)
	v_xor_b32_e32 v4, v4, v2
	v_sub_nc_u64_e32 v[2:3], v[4:5], v[2:3]
.LBB62_573:
	s_mov_b32 s25, 0
	s_mov_b32 s24, -1
.LBB62_574:
	s_and_not1_b32 vcc_lo, exec_lo, s25
	s_cbranch_vccnz .LBB62_587
; %bb.575:
	s_cmp_gt_i32 s0, 14
	s_cbranch_scc0 .LBB62_578
; %bb.576:
	s_cmp_eq_u32 s0, 15
	s_cbranch_scc0 .LBB62_581
; %bb.577:
	s_wait_loadcnt 0x0
	global_load_u16 v2, v[0:1], off
	s_mov_b32 s24, -1
	s_mov_b32 s23, 0
	s_wait_loadcnt 0x0
	v_lshlrev_b32_e32 v2, 16, v2
	s_delay_alu instid0(VALU_DEP_1) | instskip(NEXT) | instid1(VALU_DEP_1)
	v_trunc_f32_e32 v2, v2
	v_mul_f32_e64 v3, 0x2f800000, |v2|
	s_delay_alu instid0(VALU_DEP_1) | instskip(NEXT) | instid1(VALU_DEP_1)
	v_floor_f32_e32 v3, v3
	v_fma_f32 v4, 0xcf800000, v3, |v2|
	v_ashrrev_i32_e32 v2, 31, v2
	v_cvt_u32_f32_e32 v5, v3
	s_delay_alu instid0(VALU_DEP_3) | instskip(NEXT) | instid1(VALU_DEP_2)
	v_cvt_u32_f32_e32 v4, v4
	v_dual_mov_b32 v3, v2 :: v_dual_bitop2_b32 v5, v5, v2 bitop3:0x14
	s_delay_alu instid0(VALU_DEP_2) | instskip(NEXT) | instid1(VALU_DEP_1)
	v_xor_b32_e32 v4, v4, v2
	v_sub_nc_u64_e32 v[2:3], v[4:5], v[2:3]
	s_branch .LBB62_582
.LBB62_578:
	s_mov_b32 s25, -1
                                        ; implicit-def: $vgpr2_vgpr3
	s_branch .LBB62_583
.LBB62_579:
	s_and_not1_saveexec_b32 s24, s24
	s_cbranch_execz .LBB62_560
.LBB62_580:
	v_cmp_ne_u16_e32 vcc_lo, 0, v4
	s_and_not1_b32 s25, s25, exec_lo
	s_and_b32 s26, vcc_lo, exec_lo
	s_delay_alu instid0(SALU_CYCLE_1)
	s_or_b32 s25, s25, s26
	s_or_b32 exec_lo, exec_lo, s24
	v_mov_b64_e32 v[2:3], 0
	s_and_saveexec_b32 s24, s25
	s_cbranch_execnz .LBB62_561
	s_branch .LBB62_562
.LBB62_581:
	s_mov_b32 s23, -1
                                        ; implicit-def: $vgpr2_vgpr3
.LBB62_582:
	s_mov_b32 s25, 0
.LBB62_583:
	s_delay_alu instid0(SALU_CYCLE_1)
	s_and_b32 vcc_lo, exec_lo, s25
	s_cbranch_vccz .LBB62_587
; %bb.584:
	s_cmp_eq_u32 s0, 11
	s_cbranch_scc0 .LBB62_586
; %bb.585:
	s_wait_loadcnt 0x0
	global_load_u8 v2, v[0:1], off
	s_mov_b32 s23, 0
	s_mov_b32 s24, -1
	v_mov_b32_e32 v3, s23
	s_wait_loadcnt 0x0
	v_cmp_ne_u16_e32 vcc_lo, 0, v2
	v_cndmask_b32_e64 v2, 0, 1, vcc_lo
	s_branch .LBB62_587
.LBB62_586:
	s_mov_b32 s23, -1
                                        ; implicit-def: $vgpr2_vgpr3
.LBB62_587:
	s_mov_b32 s25, 0
.LBB62_588:
	s_delay_alu instid0(SALU_CYCLE_1)
	s_and_b32 vcc_lo, exec_lo, s25
	s_cbranch_vccz .LBB62_637
; %bb.589:
	s_cmp_lt_i32 s0, 5
	s_cbranch_scc1 .LBB62_594
; %bb.590:
	s_cmp_lt_i32 s0, 8
	s_cbranch_scc1 .LBB62_595
	;; [unrolled: 3-line block ×3, first 2 shown]
; %bb.592:
	s_cmp_gt_i32 s0, 9
	s_cbranch_scc0 .LBB62_597
; %bb.593:
	s_wait_loadcnt 0x0
	global_load_b64 v[2:3], v[0:1], off
	s_mov_b32 s24, 0
	s_wait_loadcnt 0x0
	v_trunc_f64_e32 v[2:3], v[2:3]
	s_delay_alu instid0(VALU_DEP_1) | instskip(NEXT) | instid1(VALU_DEP_1)
	v_ldexp_f64 v[4:5], v[2:3], 0xffffffe0
	v_floor_f64_e32 v[4:5], v[4:5]
	s_delay_alu instid0(VALU_DEP_1) | instskip(SKIP_1) | instid1(VALU_DEP_2)
	v_fmamk_f64 v[6:7], v[4:5], 0xc1f00000, v[2:3]
	v_cvt_i32_f64_e32 v3, v[4:5]
	v_cvt_u32_f64_e32 v2, v[6:7]
	s_branch .LBB62_598
.LBB62_594:
	s_mov_b32 s24, -1
                                        ; implicit-def: $vgpr2_vgpr3
	s_branch .LBB62_616
.LBB62_595:
	s_mov_b32 s24, -1
                                        ; implicit-def: $vgpr2_vgpr3
	s_branch .LBB62_604
.LBB62_596:
	s_mov_b32 s24, -1
                                        ; implicit-def: $vgpr2_vgpr3
	s_branch .LBB62_601
.LBB62_597:
	s_mov_b32 s24, -1
                                        ; implicit-def: $vgpr2_vgpr3
.LBB62_598:
	s_delay_alu instid0(SALU_CYCLE_1)
	s_and_not1_b32 vcc_lo, exec_lo, s24
	s_cbranch_vccnz .LBB62_600
; %bb.599:
	s_wait_loadcnt 0x0
	global_load_b32 v2, v[0:1], off
	s_wait_loadcnt 0x0
	v_trunc_f32_e32 v2, v2
	s_delay_alu instid0(VALU_DEP_1) | instskip(NEXT) | instid1(VALU_DEP_1)
	v_mul_f32_e64 v3, 0x2f800000, |v2|
	v_floor_f32_e32 v3, v3
	s_delay_alu instid0(VALU_DEP_1) | instskip(SKIP_2) | instid1(VALU_DEP_3)
	v_fma_f32 v4, 0xcf800000, v3, |v2|
	v_ashrrev_i32_e32 v2, 31, v2
	v_cvt_u32_f32_e32 v5, v3
	v_cvt_u32_f32_e32 v4, v4
	s_delay_alu instid0(VALU_DEP_2) | instskip(NEXT) | instid1(VALU_DEP_2)
	v_dual_mov_b32 v3, v2 :: v_dual_bitop2_b32 v5, v5, v2 bitop3:0x14
	v_xor_b32_e32 v4, v4, v2
	s_delay_alu instid0(VALU_DEP_1)
	v_sub_nc_u64_e32 v[2:3], v[4:5], v[2:3]
.LBB62_600:
	s_mov_b32 s24, 0
.LBB62_601:
	s_delay_alu instid0(SALU_CYCLE_1)
	s_and_not1_b32 vcc_lo, exec_lo, s24
	s_cbranch_vccnz .LBB62_603
; %bb.602:
	s_wait_loadcnt 0x0
	global_load_b32 v2, v[0:1], off
	s_wait_loadcnt 0x0
	v_cvt_f32_f16_e32 v2, v2
	s_delay_alu instid0(VALU_DEP_1) | instskip(NEXT) | instid1(VALU_DEP_1)
	v_cvt_i32_f32_e32 v2, v2
	v_ashrrev_i32_e32 v3, 31, v2
.LBB62_603:
	s_mov_b32 s24, 0
.LBB62_604:
	s_delay_alu instid0(SALU_CYCLE_1)
	s_and_not1_b32 vcc_lo, exec_lo, s24
	s_cbranch_vccnz .LBB62_615
; %bb.605:
	s_cmp_lt_i32 s0, 6
	s_cbranch_scc1 .LBB62_608
; %bb.606:
	s_cmp_gt_i32 s0, 6
	s_cbranch_scc0 .LBB62_609
; %bb.607:
	s_wait_loadcnt 0x0
	global_load_b64 v[2:3], v[0:1], off
	s_mov_b32 s24, 0
	s_wait_loadcnt 0x0
	v_trunc_f64_e32 v[2:3], v[2:3]
	s_delay_alu instid0(VALU_DEP_1) | instskip(NEXT) | instid1(VALU_DEP_1)
	v_ldexp_f64 v[4:5], v[2:3], 0xffffffe0
	v_floor_f64_e32 v[4:5], v[4:5]
	s_delay_alu instid0(VALU_DEP_1) | instskip(SKIP_1) | instid1(VALU_DEP_2)
	v_fmamk_f64 v[6:7], v[4:5], 0xc1f00000, v[2:3]
	v_cvt_i32_f64_e32 v3, v[4:5]
	v_cvt_u32_f64_e32 v2, v[6:7]
	s_branch .LBB62_610
.LBB62_608:
	s_mov_b32 s24, -1
                                        ; implicit-def: $vgpr2_vgpr3
	s_branch .LBB62_613
.LBB62_609:
	s_mov_b32 s24, -1
                                        ; implicit-def: $vgpr2_vgpr3
.LBB62_610:
	s_delay_alu instid0(SALU_CYCLE_1)
	s_and_not1_b32 vcc_lo, exec_lo, s24
	s_cbranch_vccnz .LBB62_612
; %bb.611:
	s_wait_loadcnt 0x0
	global_load_b32 v2, v[0:1], off
	s_wait_loadcnt 0x0
	v_trunc_f32_e32 v2, v2
	s_delay_alu instid0(VALU_DEP_1) | instskip(NEXT) | instid1(VALU_DEP_1)
	v_mul_f32_e64 v3, 0x2f800000, |v2|
	v_floor_f32_e32 v3, v3
	s_delay_alu instid0(VALU_DEP_1) | instskip(SKIP_2) | instid1(VALU_DEP_3)
	v_fma_f32 v4, 0xcf800000, v3, |v2|
	v_ashrrev_i32_e32 v2, 31, v2
	v_cvt_u32_f32_e32 v5, v3
	v_cvt_u32_f32_e32 v4, v4
	s_delay_alu instid0(VALU_DEP_2) | instskip(NEXT) | instid1(VALU_DEP_2)
	v_dual_mov_b32 v3, v2 :: v_dual_bitop2_b32 v5, v5, v2 bitop3:0x14
	v_xor_b32_e32 v4, v4, v2
	s_delay_alu instid0(VALU_DEP_1)
	v_sub_nc_u64_e32 v[2:3], v[4:5], v[2:3]
.LBB62_612:
	s_mov_b32 s24, 0
.LBB62_613:
	s_delay_alu instid0(SALU_CYCLE_1)
	s_and_not1_b32 vcc_lo, exec_lo, s24
	s_cbranch_vccnz .LBB62_615
; %bb.614:
	s_wait_loadcnt 0x0
	global_load_u16 v2, v[0:1], off
	s_wait_loadcnt 0x0
	v_cvt_f32_f16_e32 v2, v2
	s_delay_alu instid0(VALU_DEP_1) | instskip(NEXT) | instid1(VALU_DEP_1)
	v_cvt_i32_f32_e32 v2, v2
	v_ashrrev_i32_e32 v3, 31, v2
.LBB62_615:
	s_mov_b32 s24, 0
.LBB62_616:
	s_delay_alu instid0(SALU_CYCLE_1)
	s_and_not1_b32 vcc_lo, exec_lo, s24
	s_cbranch_vccnz .LBB62_636
; %bb.617:
	s_cmp_lt_i32 s0, 2
	s_cbranch_scc1 .LBB62_621
; %bb.618:
	s_cmp_lt_i32 s0, 3
	s_cbranch_scc1 .LBB62_622
; %bb.619:
	s_cmp_gt_i32 s0, 3
	s_cbranch_scc0 .LBB62_623
; %bb.620:
	s_wait_loadcnt 0x0
	global_load_b64 v[2:3], v[0:1], off
	s_mov_b32 s24, 0
	s_branch .LBB62_624
.LBB62_621:
	s_mov_b32 s24, -1
                                        ; implicit-def: $vgpr2_vgpr3
	s_branch .LBB62_630
.LBB62_622:
	s_mov_b32 s24, -1
                                        ; implicit-def: $vgpr2_vgpr3
	s_branch .LBB62_627
.LBB62_623:
	s_mov_b32 s24, -1
                                        ; implicit-def: $vgpr2_vgpr3
.LBB62_624:
	s_delay_alu instid0(SALU_CYCLE_1)
	s_and_not1_b32 vcc_lo, exec_lo, s24
	s_cbranch_vccnz .LBB62_626
; %bb.625:
	s_wait_loadcnt 0x0
	global_load_b32 v2, v[0:1], off
	s_wait_loadcnt 0x0
	v_ashrrev_i32_e32 v3, 31, v2
.LBB62_626:
	s_mov_b32 s24, 0
.LBB62_627:
	s_delay_alu instid0(SALU_CYCLE_1)
	s_and_not1_b32 vcc_lo, exec_lo, s24
	s_cbranch_vccnz .LBB62_629
; %bb.628:
	s_wait_loadcnt 0x0
	global_load_u16 v2, v[0:1], off
	s_wait_loadcnt 0x0
	v_bfe_i32 v2, v2, 0, 16
	s_delay_alu instid0(VALU_DEP_1)
	v_ashrrev_i32_e32 v3, 31, v2
.LBB62_629:
	s_mov_b32 s24, 0
.LBB62_630:
	s_delay_alu instid0(SALU_CYCLE_1)
	s_and_not1_b32 vcc_lo, exec_lo, s24
	s_cbranch_vccnz .LBB62_636
; %bb.631:
	s_cmp_gt_i32 s0, 0
	s_mov_b32 s0, 0
	s_cbranch_scc0 .LBB62_633
; %bb.632:
	s_wait_loadcnt 0x0
	global_load_i8 v2, v[0:1], off
	s_wait_loadcnt 0x0
	v_bfe_i32 v2, v2, 0, 16
	s_delay_alu instid0(VALU_DEP_1)
	v_ashrrev_i32_e32 v3, 31, v2
	s_branch .LBB62_634
.LBB62_633:
	s_mov_b32 s0, -1
                                        ; implicit-def: $vgpr2_vgpr3
.LBB62_634:
	s_delay_alu instid0(SALU_CYCLE_1)
	s_and_not1_b32 vcc_lo, exec_lo, s0
	s_cbranch_vccnz .LBB62_636
; %bb.635:
	global_load_u8 v0, v[0:1], off
	s_mov_b32 s0, 0
	s_wait_loadcnt 0x1
	v_mov_b32_e32 v3, s0
	s_wait_loadcnt 0x0
	v_and_b32_e32 v2, 0xffff, v0
.LBB62_636:
	s_mov_b32 s24, -1
.LBB62_637:
	s_delay_alu instid0(SALU_CYCLE_1)
	s_and_not1_b32 vcc_lo, exec_lo, s24
	s_cbranch_vccnz .LBB62_645
; %bb.638:
	s_wait_xcnt 0x0
	v_mul_lo_u32 v0, v10, s12
	s_wait_loadcnt 0x0
	s_delay_alu instid0(VALU_DEP_2) | instskip(SKIP_3) | instid1(VALU_DEP_2)
	v_cmp_ne_u64_e32 vcc_lo, s[8:9], v[2:3]
	s_and_b32 s25, s10, 0xff
	s_xor_b32 s24, s11, vcc_lo
	s_cmp_lt_i32 s25, 11
	v_ashrrev_i32_e32 v1, 31, v0
	s_delay_alu instid0(VALU_DEP_1)
	v_add_nc_u64_e32 v[0:1], s[4:5], v[0:1]
	s_cbranch_scc1 .LBB62_646
; %bb.639:
	s_and_b32 s26, 0xffff, s25
	s_delay_alu instid0(SALU_CYCLE_1)
	s_cmp_gt_i32 s26, 25
	s_cbranch_scc0 .LBB62_647
; %bb.640:
	s_cmp_gt_i32 s26, 28
	s_cbranch_scc0 .LBB62_648
; %bb.641:
	s_cmp_gt_i32 s26, 43
	s_cbranch_scc0 .LBB62_649
; %bb.642:
	s_cmp_gt_i32 s26, 45
	s_cbranch_scc0 .LBB62_650
; %bb.643:
	s_mov_b32 s28, 0
	s_mov_b32 s0, -1
	s_cmp_eq_u32 s26, 46
	s_mov_b32 s27, 0
	s_cbranch_scc0 .LBB62_651
; %bb.644:
	v_cndmask_b32_e64 v2, 0, 1.0, s24
	s_mov_b32 s27, -1
	s_mov_b32 s0, 0
	s_delay_alu instid0(VALU_DEP_1) | instskip(NEXT) | instid1(VALU_DEP_1)
	v_bfe_u32 v3, v2, 16, 1
	v_add3_u32 v2, v2, v3, 0x7fff
	s_delay_alu instid0(VALU_DEP_1)
	v_lshrrev_b32_e32 v2, 16, v2
	global_store_b32 v[0:1], v2, off
	s_branch .LBB62_651
.LBB62_645:
	s_mov_b32 s24, 0
	s_mov_b32 s0, s20
	s_branch .LBB62_762
.LBB62_646:
	s_mov_b32 s26, -1
	s_mov_b32 s27, 0
	s_mov_b32 s0, s20
	s_branch .LBB62_720
.LBB62_647:
	s_mov_b32 s28, -1
	s_mov_b32 s27, 0
	s_mov_b32 s0, s20
	s_branch .LBB62_678
.LBB62_648:
	s_mov_b32 s28, -1
	s_mov_b32 s27, 0
	s_mov_b32 s0, s20
	s_branch .LBB62_661
.LBB62_649:
	s_mov_b32 s28, -1
	s_mov_b32 s27, 0
	s_mov_b32 s0, s20
	s_branch .LBB62_657
.LBB62_650:
	s_mov_b32 s28, -1
	s_mov_b32 s27, 0
	s_mov_b32 s0, s20
.LBB62_651:
	s_and_b32 vcc_lo, exec_lo, s28
	s_cbranch_vccz .LBB62_656
; %bb.652:
	s_cmp_eq_u32 s26, 44
	s_mov_b32 s0, -1
	s_cbranch_scc0 .LBB62_656
; %bb.653:
	v_cndmask_b32_e64 v4, 0, 1.0, s24
	s_mov_b32 s27, exec_lo
	s_wait_xcnt 0x0
	s_delay_alu instid0(VALU_DEP_1) | instskip(NEXT) | instid1(VALU_DEP_1)
	v_dual_mov_b32 v3, 0xff :: v_dual_lshrrev_b32 v2, 23, v4
	v_cmpx_ne_u32_e32 0xff, v2
; %bb.654:
	v_and_b32_e32 v3, 0x400000, v4
	v_and_or_b32 v4, 0x3fffff, v4, v2
	s_delay_alu instid0(VALU_DEP_2) | instskip(NEXT) | instid1(VALU_DEP_2)
	v_cmp_ne_u32_e32 vcc_lo, 0, v3
	v_cmp_ne_u32_e64 s0, 0, v4
	s_and_b32 s0, vcc_lo, s0
	s_delay_alu instid0(SALU_CYCLE_1) | instskip(NEXT) | instid1(VALU_DEP_1)
	v_cndmask_b32_e64 v3, 0, 1, s0
	v_add_nc_u32_e32 v3, v2, v3
; %bb.655:
	s_or_b32 exec_lo, exec_lo, s27
	s_mov_b32 s27, -1
	s_mov_b32 s0, 0
	global_store_b8 v[0:1], v3, off
.LBB62_656:
	s_mov_b32 s28, 0
.LBB62_657:
	s_delay_alu instid0(SALU_CYCLE_1)
	s_and_b32 vcc_lo, exec_lo, s28
	s_cbranch_vccz .LBB62_660
; %bb.658:
	s_cmp_eq_u32 s26, 29
	s_mov_b32 s0, -1
	s_cbranch_scc0 .LBB62_660
; %bb.659:
	s_mov_b32 s0, 0
	s_wait_xcnt 0x0
	v_cndmask_b32_e64 v2, 0, 1, s24
	v_mov_b32_e32 v3, s0
	s_mov_b32 s27, -1
	s_mov_b32 s28, 0
	global_store_b64 v[0:1], v[2:3], off
	s_branch .LBB62_661
.LBB62_660:
	s_mov_b32 s28, 0
.LBB62_661:
	s_delay_alu instid0(SALU_CYCLE_1)
	s_and_b32 vcc_lo, exec_lo, s28
	s_cbranch_vccz .LBB62_677
; %bb.662:
	s_cmp_lt_i32 s26, 27
	s_mov_b32 s27, -1
	s_cbranch_scc1 .LBB62_668
; %bb.663:
	s_cmp_gt_i32 s26, 27
	s_cbranch_scc0 .LBB62_665
; %bb.664:
	s_wait_xcnt 0x0
	v_cndmask_b32_e64 v2, 0, 1, s24
	s_mov_b32 s27, 0
	global_store_b32 v[0:1], v2, off
.LBB62_665:
	s_and_not1_b32 vcc_lo, exec_lo, s27
	s_cbranch_vccnz .LBB62_667
; %bb.666:
	s_wait_xcnt 0x0
	v_cndmask_b32_e64 v2, 0, 1, s24
	global_store_b16 v[0:1], v2, off
.LBB62_667:
	s_mov_b32 s27, 0
.LBB62_668:
	s_delay_alu instid0(SALU_CYCLE_1)
	s_and_not1_b32 vcc_lo, exec_lo, s27
	s_cbranch_vccnz .LBB62_676
; %bb.669:
	s_wait_xcnt 0x0
	v_cndmask_b32_e64 v3, 0, 1.0, s24
	v_mov_b32_e32 v4, 0x80
	s_mov_b32 s27, exec_lo
	s_delay_alu instid0(VALU_DEP_2)
	v_cmpx_gt_u32_e32 0x43800000, v3
	s_cbranch_execz .LBB62_675
; %bb.670:
	s_mov_b32 s28, 0
	s_mov_b32 s29, exec_lo
                                        ; implicit-def: $vgpr2
	v_cmpx_lt_u32_e32 0x3bffffff, v3
	s_xor_b32 s29, exec_lo, s29
	s_cbranch_execz .LBB62_777
; %bb.671:
	v_bfe_u32 v2, v3, 20, 1
	s_mov_b32 s28, exec_lo
	s_delay_alu instid0(VALU_DEP_1) | instskip(NEXT) | instid1(VALU_DEP_1)
	v_add3_u32 v2, v3, v2, 0x487ffff
                                        ; implicit-def: $vgpr3
	v_lshrrev_b32_e32 v2, 20, v2
	s_and_not1_saveexec_b32 s29, s29
	s_cbranch_execnz .LBB62_778
.LBB62_672:
	s_or_b32 exec_lo, exec_lo, s29
	v_mov_b32_e32 v4, 0
	s_and_saveexec_b32 s29, s28
.LBB62_673:
	v_mov_b32_e32 v4, v2
.LBB62_674:
	s_or_b32 exec_lo, exec_lo, s29
.LBB62_675:
	s_delay_alu instid0(SALU_CYCLE_1)
	s_or_b32 exec_lo, exec_lo, s27
	global_store_b8 v[0:1], v4, off
.LBB62_676:
	s_mov_b32 s27, -1
.LBB62_677:
	s_mov_b32 s28, 0
.LBB62_678:
	s_delay_alu instid0(SALU_CYCLE_1)
	s_and_b32 vcc_lo, exec_lo, s28
	s_cbranch_vccz .LBB62_719
; %bb.679:
	s_cmp_gt_i32 s26, 22
	s_mov_b32 s28, -1
	s_cbranch_scc0 .LBB62_711
; %bb.680:
	s_cmp_lt_i32 s26, 24
	s_mov_b32 s27, -1
	s_cbranch_scc1 .LBB62_700
; %bb.681:
	s_cmp_gt_i32 s26, 24
	s_cbranch_scc0 .LBB62_689
; %bb.682:
	s_wait_xcnt 0x0
	v_cndmask_b32_e64 v3, 0, 1.0, s24
	v_mov_b32_e32 v4, 0x80
	s_mov_b32 s27, exec_lo
	s_delay_alu instid0(VALU_DEP_2)
	v_cmpx_gt_u32_e32 0x47800000, v3
	s_cbranch_execz .LBB62_688
; %bb.683:
	s_mov_b32 s28, 0
	s_mov_b32 s29, exec_lo
                                        ; implicit-def: $vgpr2
	v_cmpx_lt_u32_e32 0x37ffffff, v3
	s_xor_b32 s29, exec_lo, s29
	s_cbranch_execz .LBB62_780
; %bb.684:
	v_bfe_u32 v2, v3, 21, 1
	s_mov_b32 s28, exec_lo
	s_delay_alu instid0(VALU_DEP_1) | instskip(NEXT) | instid1(VALU_DEP_1)
	v_add3_u32 v2, v3, v2, 0x88fffff
                                        ; implicit-def: $vgpr3
	v_lshrrev_b32_e32 v2, 21, v2
	s_and_not1_saveexec_b32 s29, s29
	s_cbranch_execnz .LBB62_781
.LBB62_685:
	s_or_b32 exec_lo, exec_lo, s29
	v_mov_b32_e32 v4, 0
	s_and_saveexec_b32 s29, s28
.LBB62_686:
	v_mov_b32_e32 v4, v2
.LBB62_687:
	s_or_b32 exec_lo, exec_lo, s29
.LBB62_688:
	s_delay_alu instid0(SALU_CYCLE_1)
	s_or_b32 exec_lo, exec_lo, s27
	s_mov_b32 s27, 0
	global_store_b8 v[0:1], v4, off
.LBB62_689:
	s_and_b32 vcc_lo, exec_lo, s27
	s_cbranch_vccz .LBB62_699
; %bb.690:
	s_wait_xcnt 0x0
	v_cndmask_b32_e64 v3, 0, 1.0, s24
	s_mov_b32 s27, exec_lo
                                        ; implicit-def: $vgpr2
	s_delay_alu instid0(VALU_DEP_1)
	v_cmpx_gt_u32_e32 0x43f00000, v3
	s_xor_b32 s27, exec_lo, s27
	s_cbranch_execz .LBB62_696
; %bb.691:
	s_mov_b32 s28, exec_lo
                                        ; implicit-def: $vgpr2
	v_cmpx_lt_u32_e32 0x3c7fffff, v3
	s_xor_b32 s28, exec_lo, s28
; %bb.692:
	v_bfe_u32 v2, v3, 20, 1
	s_delay_alu instid0(VALU_DEP_1) | instskip(NEXT) | instid1(VALU_DEP_1)
	v_add3_u32 v2, v3, v2, 0x407ffff
	v_and_b32_e32 v3, 0xff00000, v2
	v_lshrrev_b32_e32 v2, 20, v2
	s_delay_alu instid0(VALU_DEP_2) | instskip(NEXT) | instid1(VALU_DEP_2)
	v_cmp_ne_u32_e32 vcc_lo, 0x7f00000, v3
                                        ; implicit-def: $vgpr3
	v_cndmask_b32_e32 v2, 0x7e, v2, vcc_lo
; %bb.693:
	s_and_not1_saveexec_b32 s28, s28
; %bb.694:
	v_add_f32_e32 v2, 0x46800000, v3
; %bb.695:
	s_or_b32 exec_lo, exec_lo, s28
                                        ; implicit-def: $vgpr3
.LBB62_696:
	s_and_not1_saveexec_b32 s27, s27
; %bb.697:
	v_mov_b32_e32 v2, 0x7f
	v_cmp_lt_u32_e32 vcc_lo, 0x7f800000, v3
	s_delay_alu instid0(VALU_DEP_2)
	v_cndmask_b32_e32 v2, 0x7e, v2, vcc_lo
; %bb.698:
	s_or_b32 exec_lo, exec_lo, s27
	global_store_b8 v[0:1], v2, off
.LBB62_699:
	s_mov_b32 s27, 0
.LBB62_700:
	s_delay_alu instid0(SALU_CYCLE_1)
	s_and_not1_b32 vcc_lo, exec_lo, s27
	s_cbranch_vccnz .LBB62_710
; %bb.701:
	s_wait_xcnt 0x0
	v_cndmask_b32_e64 v3, 0, 1.0, s24
	s_mov_b32 s27, exec_lo
                                        ; implicit-def: $vgpr2
	s_delay_alu instid0(VALU_DEP_1)
	v_cmpx_gt_u32_e32 0x47800000, v3
	s_xor_b32 s27, exec_lo, s27
	s_cbranch_execz .LBB62_707
; %bb.702:
	s_mov_b32 s28, exec_lo
                                        ; implicit-def: $vgpr2
	v_cmpx_lt_u32_e32 0x387fffff, v3
	s_xor_b32 s28, exec_lo, s28
; %bb.703:
	v_bfe_u32 v2, v3, 21, 1
	s_delay_alu instid0(VALU_DEP_1) | instskip(NEXT) | instid1(VALU_DEP_1)
	v_add3_u32 v2, v3, v2, 0x80fffff
                                        ; implicit-def: $vgpr3
	v_lshrrev_b32_e32 v2, 21, v2
; %bb.704:
	s_and_not1_saveexec_b32 s28, s28
; %bb.705:
	v_add_f32_e32 v2, 0x43000000, v3
; %bb.706:
	s_or_b32 exec_lo, exec_lo, s28
                                        ; implicit-def: $vgpr3
.LBB62_707:
	s_and_not1_saveexec_b32 s27, s27
; %bb.708:
	v_mov_b32_e32 v2, 0x7f
	v_cmp_lt_u32_e32 vcc_lo, 0x7f800000, v3
	s_delay_alu instid0(VALU_DEP_2)
	v_cndmask_b32_e32 v2, 0x7c, v2, vcc_lo
; %bb.709:
	s_or_b32 exec_lo, exec_lo, s27
	global_store_b8 v[0:1], v2, off
.LBB62_710:
	s_mov_b32 s28, 0
	s_mov_b32 s27, -1
.LBB62_711:
	s_and_not1_b32 vcc_lo, exec_lo, s28
	s_cbranch_vccnz .LBB62_719
; %bb.712:
	s_cmp_gt_i32 s26, 14
	s_mov_b32 s28, -1
	s_cbranch_scc0 .LBB62_716
; %bb.713:
	s_cmp_eq_u32 s26, 15
	s_mov_b32 s0, -1
	s_cbranch_scc0 .LBB62_715
; %bb.714:
	s_wait_xcnt 0x0
	v_cndmask_b32_e64 v2, 0, 1.0, s24
	s_mov_b32 s27, -1
	s_mov_b32 s0, 0
	s_delay_alu instid0(VALU_DEP_1) | instskip(NEXT) | instid1(VALU_DEP_1)
	v_bfe_u32 v3, v2, 16, 1
	v_add3_u32 v2, v2, v3, 0x7fff
	global_store_d16_hi_b16 v[0:1], v2, off
.LBB62_715:
	s_mov_b32 s28, 0
.LBB62_716:
	s_delay_alu instid0(SALU_CYCLE_1)
	s_and_b32 vcc_lo, exec_lo, s28
	s_cbranch_vccz .LBB62_719
; %bb.717:
	s_cmp_eq_u32 s26, 11
	s_mov_b32 s0, -1
	s_cbranch_scc0 .LBB62_719
; %bb.718:
	s_wait_xcnt 0x0
	v_cndmask_b32_e64 v2, 0, 1, s24
	s_mov_b32 s27, -1
	s_mov_b32 s0, 0
	global_store_b8 v[0:1], v2, off
.LBB62_719:
	s_mov_b32 s26, 0
.LBB62_720:
	s_delay_alu instid0(SALU_CYCLE_1)
	s_and_b32 vcc_lo, exec_lo, s26
	s_cbranch_vccz .LBB62_759
; %bb.721:
	s_and_b32 s25, 0xffff, s25
	s_mov_b32 s26, -1
	s_cmp_lt_i32 s25, 5
	s_cbranch_scc1 .LBB62_742
; %bb.722:
	s_cmp_lt_i32 s25, 8
	s_cbranch_scc1 .LBB62_732
; %bb.723:
	;; [unrolled: 3-line block ×3, first 2 shown]
	s_cmp_gt_i32 s25, 9
	s_cbranch_scc0 .LBB62_726
; %bb.725:
	s_wait_xcnt 0x0
	v_cndmask_b32_e64 v2, 0, 1, s24
	v_mov_b32_e32 v4, 0
	s_mov_b32 s26, 0
	s_delay_alu instid0(VALU_DEP_2) | instskip(NEXT) | instid1(VALU_DEP_2)
	v_cvt_f64_u32_e32 v[2:3], v2
	v_mov_b32_e32 v5, v4
	global_store_b128 v[0:1], v[2:5], off
.LBB62_726:
	s_and_not1_b32 vcc_lo, exec_lo, s26
	s_cbranch_vccnz .LBB62_728
; %bb.727:
	s_wait_xcnt 0x0
	v_cndmask_b32_e64 v2, 0, 1.0, s24
	v_mov_b32_e32 v3, 0
	global_store_b64 v[0:1], v[2:3], off
.LBB62_728:
	s_mov_b32 s26, 0
.LBB62_729:
	s_delay_alu instid0(SALU_CYCLE_1)
	s_and_not1_b32 vcc_lo, exec_lo, s26
	s_cbranch_vccnz .LBB62_731
; %bb.730:
	s_wait_xcnt 0x0
	v_cndmask_b32_e64 v2, 0, 1.0, s24
	s_delay_alu instid0(VALU_DEP_1) | instskip(NEXT) | instid1(VALU_DEP_1)
	v_cvt_f16_f32_e32 v2, v2
	v_and_b32_e32 v2, 0xffff, v2
	global_store_b32 v[0:1], v2, off
.LBB62_731:
	s_mov_b32 s26, 0
.LBB62_732:
	s_delay_alu instid0(SALU_CYCLE_1)
	s_and_not1_b32 vcc_lo, exec_lo, s26
	s_cbranch_vccnz .LBB62_741
; %bb.733:
	s_cmp_lt_i32 s25, 6
	s_mov_b32 s26, -1
	s_cbranch_scc1 .LBB62_739
; %bb.734:
	s_cmp_gt_i32 s25, 6
	s_cbranch_scc0 .LBB62_736
; %bb.735:
	s_wait_xcnt 0x0
	v_cndmask_b32_e64 v2, 0, 1, s24
	s_mov_b32 s26, 0
	s_delay_alu instid0(VALU_DEP_1)
	v_cvt_f64_u32_e32 v[2:3], v2
	global_store_b64 v[0:1], v[2:3], off
.LBB62_736:
	s_and_not1_b32 vcc_lo, exec_lo, s26
	s_cbranch_vccnz .LBB62_738
; %bb.737:
	s_wait_xcnt 0x0
	v_cndmask_b32_e64 v2, 0, 1.0, s24
	global_store_b32 v[0:1], v2, off
.LBB62_738:
	s_mov_b32 s26, 0
.LBB62_739:
	s_delay_alu instid0(SALU_CYCLE_1)
	s_and_not1_b32 vcc_lo, exec_lo, s26
	s_cbranch_vccnz .LBB62_741
; %bb.740:
	s_wait_xcnt 0x0
	v_cndmask_b32_e64 v2, 0, 1.0, s24
	s_delay_alu instid0(VALU_DEP_1)
	v_cvt_f16_f32_e32 v2, v2
	global_store_b16 v[0:1], v2, off
.LBB62_741:
	s_mov_b32 s26, 0
.LBB62_742:
	s_delay_alu instid0(SALU_CYCLE_1)
	s_and_not1_b32 vcc_lo, exec_lo, s26
	s_cbranch_vccnz .LBB62_758
; %bb.743:
	s_cmp_lt_i32 s25, 2
	s_mov_b32 s26, -1
	s_cbranch_scc1 .LBB62_753
; %bb.744:
	s_cmp_lt_i32 s25, 3
	s_cbranch_scc1 .LBB62_750
; %bb.745:
	s_cmp_gt_i32 s25, 3
	s_cbranch_scc0 .LBB62_747
; %bb.746:
	s_mov_b32 s26, 0
	s_wait_xcnt 0x0
	v_cndmask_b32_e64 v2, 0, 1, s24
	v_mov_b32_e32 v3, s26
	global_store_b64 v[0:1], v[2:3], off
.LBB62_747:
	s_and_not1_b32 vcc_lo, exec_lo, s26
	s_cbranch_vccnz .LBB62_749
; %bb.748:
	s_wait_xcnt 0x0
	v_cndmask_b32_e64 v2, 0, 1, s24
	global_store_b32 v[0:1], v2, off
.LBB62_749:
	s_mov_b32 s26, 0
.LBB62_750:
	s_delay_alu instid0(SALU_CYCLE_1)
	s_and_not1_b32 vcc_lo, exec_lo, s26
	s_cbranch_vccnz .LBB62_752
; %bb.751:
	s_wait_xcnt 0x0
	v_cndmask_b32_e64 v2, 0, 1, s24
	global_store_b16 v[0:1], v2, off
.LBB62_752:
	s_mov_b32 s26, 0
.LBB62_753:
	s_delay_alu instid0(SALU_CYCLE_1)
	s_and_not1_b32 vcc_lo, exec_lo, s26
	s_cbranch_vccnz .LBB62_758
; %bb.754:
	s_wait_xcnt 0x0
	v_cndmask_b32_e64 v2, 0, 1, s24
	s_cmp_gt_i32 s25, 0
	s_mov_b32 s24, -1
	s_cbranch_scc0 .LBB62_756
; %bb.755:
	s_mov_b32 s24, 0
	global_store_b8 v[0:1], v2, off
.LBB62_756:
	s_and_not1_b32 vcc_lo, exec_lo, s24
	s_cbranch_vccnz .LBB62_758
; %bb.757:
	global_store_b8 v[0:1], v2, off
.LBB62_758:
	s_mov_b32 s27, -1
.LBB62_759:
	s_delay_alu instid0(SALU_CYCLE_1)
	s_and_not1_b32 vcc_lo, exec_lo, s27
	s_cbranch_vccnz .LBB62_761
; %bb.760:
	v_add_nc_u32_e32 v10, 0x80, v10
	s_mov_b32 s24, -1
	s_branch .LBB62_763
.LBB62_761:
	s_mov_b32 s24, 0
.LBB62_762:
                                        ; implicit-def: $vgpr10
.LBB62_763:
	s_and_not1_b32 s25, s20, exec_lo
	s_and_b32 s0, s0, exec_lo
	s_and_not1_b32 s26, s19, exec_lo
	s_and_b32 s27, s23, exec_lo
	s_or_b32 s23, s25, s0
	s_or_b32 s0, s26, s27
	s_or_not1_b32 s24, s24, exec_lo
.LBB62_764:
	s_wait_xcnt 0x0
	s_or_b32 exec_lo, exec_lo, s22
	s_mov_b32 s25, 0
	s_mov_b32 s26, 0
	;; [unrolled: 1-line block ×3, first 2 shown]
                                        ; implicit-def: $vgpr0_vgpr1
                                        ; implicit-def: $vgpr2_vgpr3
	s_and_saveexec_b32 s22, s24
	s_cbranch_execz .LBB62_845
; %bb.765:
	v_cmp_gt_i32_e32 vcc_lo, s15, v10
	s_mov_b32 s24, 0
	s_mov_b32 s25, s0
	;; [unrolled: 1-line block ×3, first 2 shown]
                                        ; implicit-def: $vgpr0_vgpr1
                                        ; implicit-def: $vgpr2_vgpr3
	s_and_saveexec_b32 s15, vcc_lo
	s_cbranch_execz .LBB62_844
; %bb.766:
	v_mul_lo_u32 v0, v10, s13
	s_and_b32 s24, 0xffff, s2
	s_delay_alu instid0(SALU_CYCLE_1) | instskip(NEXT) | instid1(VALU_DEP_1)
	s_cmp_lt_i32 s24, 11
	v_ashrrev_i32_e32 v1, 31, v0
	s_delay_alu instid0(VALU_DEP_1)
	v_add_nc_u64_e32 v[0:1], s[6:7], v[0:1]
	s_cbranch_scc1 .LBB62_773
; %bb.767:
	s_cmp_gt_i32 s24, 25
	s_cbranch_scc0 .LBB62_774
; %bb.768:
	s_cmp_gt_i32 s24, 28
	s_cbranch_scc0 .LBB62_775
	;; [unrolled: 3-line block ×4, first 2 shown]
; %bb.771:
	s_cmp_eq_u32 s24, 46
	s_cbranch_scc0 .LBB62_782
; %bb.772:
	s_wait_loadcnt 0x0
	global_load_b32 v2, v[0:1], off
	s_mov_b32 s25, 0
	s_mov_b32 s27, -1
	s_wait_loadcnt 0x0
	v_lshlrev_b32_e32 v2, 16, v2
	s_delay_alu instid0(VALU_DEP_1) | instskip(NEXT) | instid1(VALU_DEP_1)
	v_trunc_f32_e32 v2, v2
	v_mul_f32_e64 v3, 0x2f800000, |v2|
	s_delay_alu instid0(VALU_DEP_1) | instskip(NEXT) | instid1(VALU_DEP_1)
	v_floor_f32_e32 v3, v3
	v_fma_f32 v4, 0xcf800000, v3, |v2|
	v_ashrrev_i32_e32 v2, 31, v2
	v_cvt_u32_f32_e32 v5, v3
	s_delay_alu instid0(VALU_DEP_3) | instskip(NEXT) | instid1(VALU_DEP_2)
	v_cvt_u32_f32_e32 v4, v4
	v_dual_mov_b32 v3, v2 :: v_dual_bitop2_b32 v5, v5, v2 bitop3:0x14
	s_delay_alu instid0(VALU_DEP_2) | instskip(NEXT) | instid1(VALU_DEP_1)
	v_xor_b32_e32 v4, v4, v2
	v_sub_nc_u64_e32 v[2:3], v[4:5], v[2:3]
	s_branch .LBB62_784
.LBB62_773:
	s_mov_b32 s24, -1
	s_mov_b32 s25, s0
                                        ; implicit-def: $vgpr2_vgpr3
	s_branch .LBB62_843
.LBB62_774:
	s_mov_b32 s28, -1
	s_mov_b32 s25, s0
                                        ; implicit-def: $vgpr2_vgpr3
	s_branch .LBB62_811
.LBB62_775:
	s_mov_b32 s28, -1
	s_mov_b32 s25, s0
                                        ; implicit-def: $vgpr2_vgpr3
	s_branch .LBB62_794
.LBB62_776:
	s_mov_b32 s28, -1
	s_mov_b32 s25, s0
                                        ; implicit-def: $vgpr2_vgpr3
	s_branch .LBB62_789
.LBB62_777:
	s_and_not1_saveexec_b32 s29, s29
	s_cbranch_execz .LBB62_672
.LBB62_778:
	v_add_f32_e32 v2, 0x46000000, v3
	s_and_not1_b32 s28, s28, exec_lo
	s_delay_alu instid0(VALU_DEP_1) | instskip(NEXT) | instid1(VALU_DEP_1)
	v_and_b32_e32 v2, 0xff, v2
	v_cmp_ne_u32_e32 vcc_lo, 0, v2
	s_and_b32 s30, vcc_lo, exec_lo
	s_delay_alu instid0(SALU_CYCLE_1)
	s_or_b32 s28, s28, s30
	s_or_b32 exec_lo, exec_lo, s29
	v_mov_b32_e32 v4, 0
	s_and_saveexec_b32 s29, s28
	s_cbranch_execnz .LBB62_673
	s_branch .LBB62_674
.LBB62_779:
	s_mov_b32 s28, -1
	s_mov_b32 s25, s0
	s_branch .LBB62_783
.LBB62_780:
	s_and_not1_saveexec_b32 s29, s29
	s_cbranch_execz .LBB62_685
.LBB62_781:
	v_add_f32_e32 v2, 0x42800000, v3
	s_and_not1_b32 s28, s28, exec_lo
	s_delay_alu instid0(VALU_DEP_1) | instskip(NEXT) | instid1(VALU_DEP_1)
	v_and_b32_e32 v2, 0xff, v2
	v_cmp_ne_u32_e32 vcc_lo, 0, v2
	s_and_b32 s30, vcc_lo, exec_lo
	s_delay_alu instid0(SALU_CYCLE_1)
	s_or_b32 s28, s28, s30
	s_or_b32 exec_lo, exec_lo, s29
	v_mov_b32_e32 v4, 0
	s_and_saveexec_b32 s29, s28
	s_cbranch_execnz .LBB62_686
	s_branch .LBB62_687
.LBB62_782:
	s_mov_b32 s25, -1
.LBB62_783:
                                        ; implicit-def: $vgpr2_vgpr3
.LBB62_784:
	s_and_b32 vcc_lo, exec_lo, s28
	s_cbranch_vccz .LBB62_788
; %bb.785:
	s_cmp_eq_u32 s24, 44
	s_cbranch_scc0 .LBB62_787
; %bb.786:
	global_load_u8 v6, v[0:1], off
	s_mov_b32 s25, 0
	s_mov_b32 s27, -1
	s_wait_loadcnt 0x0
	v_cmp_ne_u32_e32 vcc_lo, 0, v6
	v_lshlrev_b32_e32 v2, 23, v6
	s_delay_alu instid0(VALU_DEP_1) | instskip(NEXT) | instid1(VALU_DEP_1)
	v_trunc_f32_e32 v2, v2
	v_mul_f32_e64 v3, 0x2f800000, |v2|
	s_delay_alu instid0(VALU_DEP_1) | instskip(NEXT) | instid1(VALU_DEP_1)
	v_floor_f32_e32 v3, v3
	v_fma_f32 v4, 0xcf800000, v3, |v2|
	v_ashrrev_i32_e32 v2, 31, v2
	v_cvt_u32_f32_e32 v5, v3
	s_delay_alu instid0(VALU_DEP_3) | instskip(NEXT) | instid1(VALU_DEP_2)
	v_cvt_u32_f32_e32 v4, v4
	v_dual_mov_b32 v3, v2 :: v_dual_bitop2_b32 v5, v5, v2 bitop3:0x14
	s_delay_alu instid0(VALU_DEP_2) | instskip(NEXT) | instid1(VALU_DEP_1)
	v_xor_b32_e32 v4, v4, v2
	v_sub_nc_u64_e32 v[2:3], v[4:5], v[2:3]
	s_delay_alu instid0(VALU_DEP_1)
	v_dual_cndmask_b32 v3, 0, v3 :: v_dual_cndmask_b32 v2, 0, v2
	s_branch .LBB62_788
.LBB62_787:
	s_mov_b32 s25, -1
                                        ; implicit-def: $vgpr2_vgpr3
.LBB62_788:
	s_mov_b32 s28, 0
.LBB62_789:
	s_delay_alu instid0(SALU_CYCLE_1)
	s_and_b32 vcc_lo, exec_lo, s28
	s_cbranch_vccz .LBB62_793
; %bb.790:
	s_cmp_eq_u32 s24, 29
	s_cbranch_scc0 .LBB62_792
; %bb.791:
	s_wait_loadcnt 0x0
	global_load_b64 v[2:3], v[0:1], off
	s_mov_b32 s25, 0
	s_mov_b32 s27, -1
	s_branch .LBB62_793
.LBB62_792:
	s_mov_b32 s25, -1
                                        ; implicit-def: $vgpr2_vgpr3
.LBB62_793:
	s_mov_b32 s28, 0
.LBB62_794:
	s_delay_alu instid0(SALU_CYCLE_1)
	s_and_b32 vcc_lo, exec_lo, s28
	s_cbranch_vccz .LBB62_810
; %bb.795:
	s_cmp_lt_i32 s24, 27
	s_cbranch_scc1 .LBB62_798
; %bb.796:
	s_cmp_gt_i32 s24, 27
	s_cbranch_scc0 .LBB62_799
; %bb.797:
	s_wait_loadcnt 0x0
	global_load_b32 v2, v[0:1], off
	v_mov_b32_e32 v3, 0
	s_mov_b32 s27, 0
	s_branch .LBB62_800
.LBB62_798:
	s_mov_b32 s27, -1
                                        ; implicit-def: $vgpr2_vgpr3
	s_branch .LBB62_803
.LBB62_799:
	s_mov_b32 s27, -1
                                        ; implicit-def: $vgpr2_vgpr3
.LBB62_800:
	s_delay_alu instid0(SALU_CYCLE_1)
	s_and_not1_b32 vcc_lo, exec_lo, s27
	s_cbranch_vccnz .LBB62_802
; %bb.801:
	s_wait_loadcnt 0x0
	global_load_u16 v2, v[0:1], off
	s_mov_b32 s27, 0
	s_delay_alu instid0(SALU_CYCLE_1)
	v_mov_b32_e32 v3, s27
	s_wait_loadcnt 0x0
	v_and_b32_e32 v2, 0xffff, v2
.LBB62_802:
	s_mov_b32 s27, 0
.LBB62_803:
	s_delay_alu instid0(SALU_CYCLE_1)
	s_and_not1_b32 vcc_lo, exec_lo, s27
	s_cbranch_vccnz .LBB62_809
; %bb.804:
	global_load_u8 v4, v[0:1], off
	s_mov_b32 s28, 0
	s_mov_b32 s27, exec_lo
	s_wait_loadcnt 0x0
	v_cmpx_lt_i16_e32 0x7f, v4
	s_xor_b32 s27, exec_lo, s27
	s_cbranch_execz .LBB62_821
; %bb.805:
	v_cmp_ne_u16_e32 vcc_lo, 0x80, v4
	s_and_b32 s28, vcc_lo, exec_lo
	s_and_not1_saveexec_b32 s27, s27
	s_cbranch_execnz .LBB62_822
.LBB62_806:
	s_or_b32 exec_lo, exec_lo, s27
	v_mov_b64_e32 v[2:3], 0
	s_and_saveexec_b32 s27, s28
	s_cbranch_execz .LBB62_808
.LBB62_807:
	v_and_b32_e32 v2, 0xffff, v4
	s_delay_alu instid0(VALU_DEP_1) | instskip(SKIP_1) | instid1(VALU_DEP_2)
	v_and_b32_e32 v3, 7, v2
	v_bfe_u32 v7, v2, 3, 4
	v_clz_i32_u32_e32 v5, v3
	s_delay_alu instid0(VALU_DEP_2) | instskip(NEXT) | instid1(VALU_DEP_2)
	v_cmp_eq_u32_e32 vcc_lo, 0, v7
	v_min_u32_e32 v5, 32, v5
	s_delay_alu instid0(VALU_DEP_1) | instskip(NEXT) | instid1(VALU_DEP_1)
	v_subrev_nc_u32_e32 v6, 28, v5
	v_dual_lshlrev_b32 v2, v6, v2 :: v_dual_sub_nc_u32 v5, 29, v5
	s_delay_alu instid0(VALU_DEP_1) | instskip(NEXT) | instid1(VALU_DEP_2)
	v_dual_lshlrev_b32 v4, 24, v4 :: v_dual_bitop2_b32 v2, 7, v2 bitop3:0x40
	v_cndmask_b32_e32 v5, v7, v5, vcc_lo
	s_delay_alu instid0(VALU_DEP_2) | instskip(NEXT) | instid1(VALU_DEP_3)
	v_cndmask_b32_e32 v2, v3, v2, vcc_lo
	v_and_b32_e32 v3, 0x80000000, v4
	s_delay_alu instid0(VALU_DEP_3) | instskip(NEXT) | instid1(VALU_DEP_3)
	v_lshl_add_u32 v4, v5, 23, 0x3b800000
	v_lshlrev_b32_e32 v2, 20, v2
	s_delay_alu instid0(VALU_DEP_1) | instskip(NEXT) | instid1(VALU_DEP_1)
	v_or3_b32 v2, v3, v4, v2
	v_trunc_f32_e32 v2, v2
	s_delay_alu instid0(VALU_DEP_1) | instskip(NEXT) | instid1(VALU_DEP_1)
	v_mul_f32_e64 v3, 0x2f800000, |v2|
	v_floor_f32_e32 v3, v3
	s_delay_alu instid0(VALU_DEP_1) | instskip(SKIP_2) | instid1(VALU_DEP_3)
	v_fma_f32 v4, 0xcf800000, v3, |v2|
	v_ashrrev_i32_e32 v2, 31, v2
	v_cvt_u32_f32_e32 v5, v3
	v_cvt_u32_f32_e32 v4, v4
	s_delay_alu instid0(VALU_DEP_2) | instskip(NEXT) | instid1(VALU_DEP_2)
	v_dual_mov_b32 v3, v2 :: v_dual_bitop2_b32 v5, v5, v2 bitop3:0x14
	v_xor_b32_e32 v4, v4, v2
	s_delay_alu instid0(VALU_DEP_1)
	v_sub_nc_u64_e32 v[2:3], v[4:5], v[2:3]
.LBB62_808:
	s_or_b32 exec_lo, exec_lo, s27
.LBB62_809:
	s_mov_b32 s27, -1
.LBB62_810:
	s_mov_b32 s28, 0
.LBB62_811:
	s_delay_alu instid0(SALU_CYCLE_1)
	s_and_b32 vcc_lo, exec_lo, s28
	s_cbranch_vccz .LBB62_842
; %bb.812:
	s_cmp_gt_i32 s24, 22
	s_cbranch_scc0 .LBB62_820
; %bb.813:
	s_cmp_lt_i32 s24, 24
	s_cbranch_scc1 .LBB62_823
; %bb.814:
	s_cmp_gt_i32 s24, 24
	s_cbranch_scc0 .LBB62_824
; %bb.815:
	global_load_u8 v4, v[0:1], off
	s_mov_b32 s27, 0
	s_mov_b32 s26, exec_lo
	s_wait_loadcnt 0x0
	v_cmpx_lt_i16_e32 0x7f, v4
	s_xor_b32 s26, exec_lo, s26
	s_cbranch_execz .LBB62_836
; %bb.816:
	v_cmp_ne_u16_e32 vcc_lo, 0x80, v4
	s_and_b32 s27, vcc_lo, exec_lo
	s_and_not1_saveexec_b32 s26, s26
	s_cbranch_execnz .LBB62_837
.LBB62_817:
	s_or_b32 exec_lo, exec_lo, s26
	v_mov_b64_e32 v[2:3], 0
	s_and_saveexec_b32 s26, s27
	s_cbranch_execz .LBB62_819
.LBB62_818:
	v_and_b32_e32 v2, 0xffff, v4
	s_delay_alu instid0(VALU_DEP_1) | instskip(SKIP_1) | instid1(VALU_DEP_2)
	v_and_b32_e32 v3, 3, v2
	v_bfe_u32 v7, v2, 2, 5
	v_clz_i32_u32_e32 v5, v3
	s_delay_alu instid0(VALU_DEP_2) | instskip(NEXT) | instid1(VALU_DEP_2)
	v_cmp_eq_u32_e32 vcc_lo, 0, v7
	v_min_u32_e32 v5, 32, v5
	s_delay_alu instid0(VALU_DEP_1) | instskip(NEXT) | instid1(VALU_DEP_1)
	v_subrev_nc_u32_e32 v6, 29, v5
	v_dual_lshlrev_b32 v2, v6, v2 :: v_dual_sub_nc_u32 v5, 30, v5
	s_delay_alu instid0(VALU_DEP_1) | instskip(NEXT) | instid1(VALU_DEP_2)
	v_dual_lshlrev_b32 v4, 24, v4 :: v_dual_bitop2_b32 v2, 3, v2 bitop3:0x40
	v_cndmask_b32_e32 v5, v7, v5, vcc_lo
	s_delay_alu instid0(VALU_DEP_2) | instskip(NEXT) | instid1(VALU_DEP_3)
	v_cndmask_b32_e32 v2, v3, v2, vcc_lo
	v_and_b32_e32 v3, 0x80000000, v4
	s_delay_alu instid0(VALU_DEP_3) | instskip(NEXT) | instid1(VALU_DEP_3)
	v_lshl_add_u32 v4, v5, 23, 0x37800000
	v_lshlrev_b32_e32 v2, 21, v2
	s_delay_alu instid0(VALU_DEP_1) | instskip(NEXT) | instid1(VALU_DEP_1)
	v_or3_b32 v2, v3, v4, v2
	v_trunc_f32_e32 v2, v2
	s_delay_alu instid0(VALU_DEP_1) | instskip(NEXT) | instid1(VALU_DEP_1)
	v_mul_f32_e64 v3, 0x2f800000, |v2|
	v_floor_f32_e32 v3, v3
	s_delay_alu instid0(VALU_DEP_1) | instskip(SKIP_2) | instid1(VALU_DEP_3)
	v_fma_f32 v4, 0xcf800000, v3, |v2|
	v_ashrrev_i32_e32 v2, 31, v2
	v_cvt_u32_f32_e32 v5, v3
	v_cvt_u32_f32_e32 v4, v4
	s_delay_alu instid0(VALU_DEP_2) | instskip(NEXT) | instid1(VALU_DEP_2)
	v_dual_mov_b32 v3, v2 :: v_dual_bitop2_b32 v5, v5, v2 bitop3:0x14
	v_xor_b32_e32 v4, v4, v2
	s_delay_alu instid0(VALU_DEP_1)
	v_sub_nc_u64_e32 v[2:3], v[4:5], v[2:3]
.LBB62_819:
	s_or_b32 exec_lo, exec_lo, s26
	s_mov_b32 s26, 0
	s_branch .LBB62_825
.LBB62_820:
	s_mov_b32 s26, -1
                                        ; implicit-def: $vgpr2_vgpr3
	s_branch .LBB62_831
.LBB62_821:
	s_and_not1_saveexec_b32 s27, s27
	s_cbranch_execz .LBB62_806
.LBB62_822:
	v_cmp_ne_u16_e32 vcc_lo, 0, v4
	s_and_not1_b32 s28, s28, exec_lo
	s_and_b32 s29, vcc_lo, exec_lo
	s_delay_alu instid0(SALU_CYCLE_1)
	s_or_b32 s28, s28, s29
	s_or_b32 exec_lo, exec_lo, s27
	v_mov_b64_e32 v[2:3], 0
	s_and_saveexec_b32 s27, s28
	s_cbranch_execnz .LBB62_807
	s_branch .LBB62_808
.LBB62_823:
	s_mov_b32 s26, -1
                                        ; implicit-def: $vgpr2_vgpr3
	s_branch .LBB62_828
.LBB62_824:
	s_mov_b32 s26, -1
                                        ; implicit-def: $vgpr2_vgpr3
.LBB62_825:
	s_delay_alu instid0(SALU_CYCLE_1)
	s_and_b32 vcc_lo, exec_lo, s26
	s_cbranch_vccz .LBB62_827
; %bb.826:
	s_wait_loadcnt 0x0
	global_load_u8 v2, v[0:1], off
	s_wait_loadcnt 0x0
	v_lshlrev_b32_e32 v2, 24, v2
	s_delay_alu instid0(VALU_DEP_1) | instskip(NEXT) | instid1(VALU_DEP_1)
	v_and_b32_e32 v3, 0x7f000000, v2
	v_clz_i32_u32_e32 v4, v3
	v_cmp_ne_u32_e32 vcc_lo, 0, v3
	v_add_nc_u32_e32 v6, 0x1000000, v3
	s_delay_alu instid0(VALU_DEP_3) | instskip(NEXT) | instid1(VALU_DEP_1)
	v_min_u32_e32 v4, 32, v4
	v_sub_nc_u32_e64 v4, v4, 4 clamp
	s_delay_alu instid0(VALU_DEP_1) | instskip(NEXT) | instid1(VALU_DEP_1)
	v_dual_lshlrev_b32 v5, v4, v3 :: v_dual_lshlrev_b32 v4, 23, v4
	v_lshrrev_b32_e32 v5, 4, v5
	s_delay_alu instid0(VALU_DEP_1) | instskip(NEXT) | instid1(VALU_DEP_1)
	v_dual_sub_nc_u32 v4, v5, v4 :: v_dual_ashrrev_i32 v5, 8, v6
	v_add_nc_u32_e32 v4, 0x3c000000, v4
	s_delay_alu instid0(VALU_DEP_1) | instskip(NEXT) | instid1(VALU_DEP_1)
	v_and_or_b32 v4, 0x7f800000, v5, v4
	v_cndmask_b32_e32 v3, 0, v4, vcc_lo
	s_delay_alu instid0(VALU_DEP_1) | instskip(NEXT) | instid1(VALU_DEP_1)
	v_and_or_b32 v2, 0x80000000, v2, v3
	v_trunc_f32_e32 v2, v2
	s_delay_alu instid0(VALU_DEP_1) | instskip(NEXT) | instid1(VALU_DEP_1)
	v_mul_f32_e64 v3, 0x2f800000, |v2|
	v_floor_f32_e32 v3, v3
	s_delay_alu instid0(VALU_DEP_1) | instskip(SKIP_2) | instid1(VALU_DEP_3)
	v_fma_f32 v4, 0xcf800000, v3, |v2|
	v_ashrrev_i32_e32 v2, 31, v2
	v_cvt_u32_f32_e32 v5, v3
	v_cvt_u32_f32_e32 v4, v4
	s_delay_alu instid0(VALU_DEP_2) | instskip(NEXT) | instid1(VALU_DEP_2)
	v_dual_mov_b32 v3, v2 :: v_dual_bitop2_b32 v5, v5, v2 bitop3:0x14
	v_xor_b32_e32 v4, v4, v2
	s_delay_alu instid0(VALU_DEP_1)
	v_sub_nc_u64_e32 v[2:3], v[4:5], v[2:3]
.LBB62_827:
	s_mov_b32 s26, 0
.LBB62_828:
	s_delay_alu instid0(SALU_CYCLE_1)
	s_and_not1_b32 vcc_lo, exec_lo, s26
	s_cbranch_vccnz .LBB62_830
; %bb.829:
	s_wait_loadcnt 0x0
	global_load_u8 v2, v[0:1], off
	s_wait_loadcnt 0x0
	v_lshlrev_b32_e32 v3, 25, v2
	v_lshlrev_b16 v2, 8, v2
	s_delay_alu instid0(VALU_DEP_1) | instskip(SKIP_1) | instid1(VALU_DEP_2)
	v_and_or_b32 v5, 0x7f00, v2, 0.5
	v_bfe_i32 v2, v2, 0, 16
	v_dual_add_f32 v5, -0.5, v5 :: v_dual_lshrrev_b32 v4, 4, v3
	v_cmp_gt_u32_e32 vcc_lo, 0x8000000, v3
	s_delay_alu instid0(VALU_DEP_2) | instskip(NEXT) | instid1(VALU_DEP_1)
	v_or_b32_e32 v4, 0x70000000, v4
	v_mul_f32_e32 v4, 0x7800000, v4
	s_delay_alu instid0(VALU_DEP_1) | instskip(NEXT) | instid1(VALU_DEP_1)
	v_cndmask_b32_e32 v3, v4, v5, vcc_lo
	v_and_or_b32 v2, 0x80000000, v2, v3
	s_delay_alu instid0(VALU_DEP_1) | instskip(NEXT) | instid1(VALU_DEP_1)
	v_trunc_f32_e32 v2, v2
	v_mul_f32_e64 v3, 0x2f800000, |v2|
	s_delay_alu instid0(VALU_DEP_1) | instskip(NEXT) | instid1(VALU_DEP_1)
	v_floor_f32_e32 v3, v3
	v_fma_f32 v4, 0xcf800000, v3, |v2|
	v_ashrrev_i32_e32 v2, 31, v2
	v_cvt_u32_f32_e32 v5, v3
	s_delay_alu instid0(VALU_DEP_3) | instskip(NEXT) | instid1(VALU_DEP_2)
	v_cvt_u32_f32_e32 v4, v4
	v_dual_mov_b32 v3, v2 :: v_dual_bitop2_b32 v5, v5, v2 bitop3:0x14
	s_delay_alu instid0(VALU_DEP_2) | instskip(NEXT) | instid1(VALU_DEP_1)
	v_xor_b32_e32 v4, v4, v2
	v_sub_nc_u64_e32 v[2:3], v[4:5], v[2:3]
.LBB62_830:
	s_mov_b32 s26, 0
	s_mov_b32 s27, -1
.LBB62_831:
	s_and_not1_b32 vcc_lo, exec_lo, s26
	s_mov_b32 s26, 0
	s_cbranch_vccnz .LBB62_842
; %bb.832:
	s_cmp_gt_i32 s24, 14
	s_cbranch_scc0 .LBB62_835
; %bb.833:
	s_cmp_eq_u32 s24, 15
	s_cbranch_scc0 .LBB62_838
; %bb.834:
	s_wait_loadcnt 0x0
	global_load_u16 v2, v[0:1], off
	s_mov_b32 s25, 0
	s_mov_b32 s27, -1
	s_wait_loadcnt 0x0
	v_lshlrev_b32_e32 v2, 16, v2
	s_delay_alu instid0(VALU_DEP_1) | instskip(NEXT) | instid1(VALU_DEP_1)
	v_trunc_f32_e32 v2, v2
	v_mul_f32_e64 v3, 0x2f800000, |v2|
	s_delay_alu instid0(VALU_DEP_1) | instskip(NEXT) | instid1(VALU_DEP_1)
	v_floor_f32_e32 v3, v3
	v_fma_f32 v4, 0xcf800000, v3, |v2|
	v_ashrrev_i32_e32 v2, 31, v2
	v_cvt_u32_f32_e32 v5, v3
	s_delay_alu instid0(VALU_DEP_3) | instskip(NEXT) | instid1(VALU_DEP_2)
	v_cvt_u32_f32_e32 v4, v4
	v_dual_mov_b32 v3, v2 :: v_dual_bitop2_b32 v5, v5, v2 bitop3:0x14
	s_delay_alu instid0(VALU_DEP_2) | instskip(NEXT) | instid1(VALU_DEP_1)
	v_xor_b32_e32 v4, v4, v2
	v_sub_nc_u64_e32 v[2:3], v[4:5], v[2:3]
	s_branch .LBB62_840
.LBB62_835:
	s_mov_b32 s26, -1
	s_branch .LBB62_839
.LBB62_836:
	s_and_not1_saveexec_b32 s26, s26
	s_cbranch_execz .LBB62_817
.LBB62_837:
	v_cmp_ne_u16_e32 vcc_lo, 0, v4
	s_and_not1_b32 s27, s27, exec_lo
	s_and_b32 s28, vcc_lo, exec_lo
	s_delay_alu instid0(SALU_CYCLE_1)
	s_or_b32 s27, s27, s28
	s_or_b32 exec_lo, exec_lo, s26
	v_mov_b64_e32 v[2:3], 0
	s_and_saveexec_b32 s26, s27
	s_cbranch_execnz .LBB62_818
	s_branch .LBB62_819
.LBB62_838:
	s_mov_b32 s25, -1
.LBB62_839:
                                        ; implicit-def: $vgpr2_vgpr3
.LBB62_840:
	s_and_b32 vcc_lo, exec_lo, s26
	s_mov_b32 s26, 0
	s_cbranch_vccz .LBB62_842
; %bb.841:
	s_cmp_lg_u32 s24, 11
	s_mov_b32 s26, -1
	s_cselect_b32 s24, -1, 0
	s_and_not1_b32 s25, s25, exec_lo
	s_and_b32 s24, s24, exec_lo
	s_delay_alu instid0(SALU_CYCLE_1)
	s_or_b32 s25, s25, s24
.LBB62_842:
	s_mov_b32 s24, 0
.LBB62_843:
	s_and_not1_b32 s29, s0, exec_lo
	s_and_b32 s25, s25, exec_lo
	s_and_b32 s27, s27, exec_lo
	;; [unrolled: 1-line block ×4, first 2 shown]
	s_or_b32 s25, s29, s25
.LBB62_844:
	s_wait_xcnt 0x0
	s_or_b32 exec_lo, exec_lo, s15
	s_delay_alu instid0(SALU_CYCLE_1)
	s_and_not1_b32 s0, s0, exec_lo
	s_and_b32 s15, s25, exec_lo
	s_and_b32 s27, s27, exec_lo
	;; [unrolled: 1-line block ×4, first 2 shown]
	s_or_b32 s0, s0, s15
.LBB62_845:
	s_or_b32 exec_lo, exec_lo, s22
	s_delay_alu instid0(SALU_CYCLE_1)
	s_and_not1_b32 s15, s20, exec_lo
	s_and_b32 s20, s23, exec_lo
	s_and_b32 s0, s0, exec_lo
	s_or_b32 s20, s15, s20
	s_and_not1_b32 s15, s19, exec_lo
	s_and_b32 s24, s27, exec_lo
	s_and_b32 s23, s26, exec_lo
	;; [unrolled: 1-line block ×3, first 2 shown]
	s_or_b32 s19, s15, s0
.LBB62_846:
	s_or_b32 exec_lo, exec_lo, s21
	s_delay_alu instid0(SALU_CYCLE_1)
	s_and_not1_b32 s0, s16, exec_lo
	s_and_b32 s15, s20, exec_lo
	s_and_b32 s20, s23, exec_lo
	s_or_b32 s16, s0, s15
	s_and_not1_b32 s15, s17, exec_lo
	s_and_b32 s17, s19, exec_lo
	s_and_b32 s0, s24, exec_lo
	;; [unrolled: 1-line block ×3, first 2 shown]
	s_or_b32 s17, s15, s17
	s_or_b32 exec_lo, exec_lo, s18
	s_mov_b32 s15, 0
	s_and_saveexec_b32 s18, s17
	s_cbranch_execz .LBB62_258
.LBB62_847:
	s_mov_b32 s15, exec_lo
	s_and_not1_b32 s19, s19, exec_lo
	s_trap 2
	s_or_b32 exec_lo, exec_lo, s18
	s_and_saveexec_b32 s17, s19
	s_delay_alu instid0(SALU_CYCLE_1)
	s_xor_b32 s17, exec_lo, s17
	s_cbranch_execnz .LBB62_259
.LBB62_848:
	s_or_b32 exec_lo, exec_lo, s17
	s_and_saveexec_b32 s17, s20
	s_cbranch_execz .LBB62_894
.LBB62_849:
	s_sext_i32_i16 s18, s2
	s_delay_alu instid0(SALU_CYCLE_1)
	s_cmp_lt_i32 s18, 5
	s_cbranch_scc1 .LBB62_854
; %bb.850:
	s_cmp_lt_i32 s18, 8
	s_cbranch_scc1 .LBB62_855
; %bb.851:
	;; [unrolled: 3-line block ×3, first 2 shown]
	s_cmp_gt_i32 s18, 9
	s_cbranch_scc0 .LBB62_857
; %bb.853:
	s_wait_loadcnt 0x0
	global_load_b64 v[2:3], v[0:1], off
	s_mov_b32 s18, 0
	s_wait_loadcnt 0x0
	v_trunc_f64_e32 v[2:3], v[2:3]
	s_delay_alu instid0(VALU_DEP_1) | instskip(NEXT) | instid1(VALU_DEP_1)
	v_ldexp_f64 v[4:5], v[2:3], 0xffffffe0
	v_floor_f64_e32 v[4:5], v[4:5]
	s_delay_alu instid0(VALU_DEP_1) | instskip(SKIP_1) | instid1(VALU_DEP_2)
	v_fmamk_f64 v[6:7], v[4:5], 0xc1f00000, v[2:3]
	v_cvt_i32_f64_e32 v3, v[4:5]
	v_cvt_u32_f64_e32 v2, v[6:7]
	s_branch .LBB62_858
.LBB62_854:
                                        ; implicit-def: $vgpr2_vgpr3
	s_branch .LBB62_875
.LBB62_855:
                                        ; implicit-def: $vgpr2_vgpr3
	s_branch .LBB62_864
.LBB62_856:
	s_mov_b32 s18, -1
                                        ; implicit-def: $vgpr2_vgpr3
	s_branch .LBB62_861
.LBB62_857:
	s_mov_b32 s18, -1
                                        ; implicit-def: $vgpr2_vgpr3
.LBB62_858:
	s_delay_alu instid0(SALU_CYCLE_1)
	s_and_not1_b32 vcc_lo, exec_lo, s18
	s_cbranch_vccnz .LBB62_860
; %bb.859:
	s_wait_loadcnt 0x0
	global_load_b32 v2, v[0:1], off
	s_wait_loadcnt 0x0
	v_trunc_f32_e32 v2, v2
	s_delay_alu instid0(VALU_DEP_1) | instskip(NEXT) | instid1(VALU_DEP_1)
	v_mul_f32_e64 v3, 0x2f800000, |v2|
	v_floor_f32_e32 v3, v3
	s_delay_alu instid0(VALU_DEP_1) | instskip(SKIP_2) | instid1(VALU_DEP_3)
	v_fma_f32 v4, 0xcf800000, v3, |v2|
	v_ashrrev_i32_e32 v2, 31, v2
	v_cvt_u32_f32_e32 v5, v3
	v_cvt_u32_f32_e32 v4, v4
	s_delay_alu instid0(VALU_DEP_2) | instskip(NEXT) | instid1(VALU_DEP_2)
	v_dual_mov_b32 v3, v2 :: v_dual_bitop2_b32 v5, v5, v2 bitop3:0x14
	v_xor_b32_e32 v4, v4, v2
	s_delay_alu instid0(VALU_DEP_1)
	v_sub_nc_u64_e32 v[2:3], v[4:5], v[2:3]
.LBB62_860:
	s_mov_b32 s18, 0
.LBB62_861:
	s_delay_alu instid0(SALU_CYCLE_1)
	s_and_not1_b32 vcc_lo, exec_lo, s18
	s_cbranch_vccnz .LBB62_863
; %bb.862:
	s_wait_loadcnt 0x0
	global_load_b32 v2, v[0:1], off
	s_wait_loadcnt 0x0
	v_cvt_f32_f16_e32 v2, v2
	s_delay_alu instid0(VALU_DEP_1) | instskip(NEXT) | instid1(VALU_DEP_1)
	v_cvt_i32_f32_e32 v2, v2
	v_ashrrev_i32_e32 v3, 31, v2
.LBB62_863:
	s_cbranch_execnz .LBB62_874
.LBB62_864:
	s_sext_i32_i16 s18, s2
	s_delay_alu instid0(SALU_CYCLE_1)
	s_cmp_lt_i32 s18, 6
	s_cbranch_scc1 .LBB62_867
; %bb.865:
	s_cmp_gt_i32 s18, 6
	s_cbranch_scc0 .LBB62_868
; %bb.866:
	s_wait_loadcnt 0x0
	global_load_b64 v[2:3], v[0:1], off
	s_mov_b32 s18, 0
	s_wait_loadcnt 0x0
	v_trunc_f64_e32 v[2:3], v[2:3]
	s_delay_alu instid0(VALU_DEP_1) | instskip(NEXT) | instid1(VALU_DEP_1)
	v_ldexp_f64 v[4:5], v[2:3], 0xffffffe0
	v_floor_f64_e32 v[4:5], v[4:5]
	s_delay_alu instid0(VALU_DEP_1) | instskip(SKIP_1) | instid1(VALU_DEP_2)
	v_fmamk_f64 v[6:7], v[4:5], 0xc1f00000, v[2:3]
	v_cvt_i32_f64_e32 v3, v[4:5]
	v_cvt_u32_f64_e32 v2, v[6:7]
	s_branch .LBB62_869
.LBB62_867:
	s_mov_b32 s18, -1
                                        ; implicit-def: $vgpr2_vgpr3
	s_branch .LBB62_872
.LBB62_868:
	s_mov_b32 s18, -1
                                        ; implicit-def: $vgpr2_vgpr3
.LBB62_869:
	s_delay_alu instid0(SALU_CYCLE_1)
	s_and_not1_b32 vcc_lo, exec_lo, s18
	s_cbranch_vccnz .LBB62_871
; %bb.870:
	s_wait_loadcnt 0x0
	global_load_b32 v2, v[0:1], off
	s_wait_loadcnt 0x0
	v_trunc_f32_e32 v2, v2
	s_delay_alu instid0(VALU_DEP_1) | instskip(NEXT) | instid1(VALU_DEP_1)
	v_mul_f32_e64 v3, 0x2f800000, |v2|
	v_floor_f32_e32 v3, v3
	s_delay_alu instid0(VALU_DEP_1) | instskip(SKIP_2) | instid1(VALU_DEP_3)
	v_fma_f32 v4, 0xcf800000, v3, |v2|
	v_ashrrev_i32_e32 v2, 31, v2
	v_cvt_u32_f32_e32 v5, v3
	v_cvt_u32_f32_e32 v4, v4
	s_delay_alu instid0(VALU_DEP_2) | instskip(NEXT) | instid1(VALU_DEP_2)
	v_dual_mov_b32 v3, v2 :: v_dual_bitop2_b32 v5, v5, v2 bitop3:0x14
	v_xor_b32_e32 v4, v4, v2
	s_delay_alu instid0(VALU_DEP_1)
	v_sub_nc_u64_e32 v[2:3], v[4:5], v[2:3]
.LBB62_871:
	s_mov_b32 s18, 0
.LBB62_872:
	s_delay_alu instid0(SALU_CYCLE_1)
	s_and_not1_b32 vcc_lo, exec_lo, s18
	s_cbranch_vccnz .LBB62_874
; %bb.873:
	s_wait_loadcnt 0x0
	global_load_u16 v2, v[0:1], off
	s_wait_loadcnt 0x0
	v_cvt_f32_f16_e32 v2, v2
	s_delay_alu instid0(VALU_DEP_1) | instskip(NEXT) | instid1(VALU_DEP_1)
	v_cvt_i32_f32_e32 v2, v2
	v_ashrrev_i32_e32 v3, 31, v2
.LBB62_874:
	s_cbranch_execnz .LBB62_893
.LBB62_875:
	s_sext_i32_i16 s18, s2
	s_delay_alu instid0(SALU_CYCLE_1)
	s_cmp_lt_i32 s18, 2
	s_cbranch_scc1 .LBB62_879
; %bb.876:
	s_cmp_lt_i32 s18, 3
	s_cbranch_scc1 .LBB62_880
; %bb.877:
	s_cmp_gt_i32 s18, 3
	s_cbranch_scc0 .LBB62_881
; %bb.878:
	s_wait_loadcnt 0x0
	global_load_b64 v[2:3], v[0:1], off
	s_mov_b32 s18, 0
	s_branch .LBB62_882
.LBB62_879:
                                        ; implicit-def: $vgpr2_vgpr3
	s_branch .LBB62_888
.LBB62_880:
	s_mov_b32 s18, -1
                                        ; implicit-def: $vgpr2_vgpr3
	s_branch .LBB62_885
.LBB62_881:
	s_mov_b32 s18, -1
                                        ; implicit-def: $vgpr2_vgpr3
.LBB62_882:
	s_delay_alu instid0(SALU_CYCLE_1)
	s_and_not1_b32 vcc_lo, exec_lo, s18
	s_cbranch_vccnz .LBB62_884
; %bb.883:
	s_wait_loadcnt 0x0
	global_load_b32 v2, v[0:1], off
	s_wait_loadcnt 0x0
	v_ashrrev_i32_e32 v3, 31, v2
.LBB62_884:
	s_mov_b32 s18, 0
.LBB62_885:
	s_delay_alu instid0(SALU_CYCLE_1)
	s_and_not1_b32 vcc_lo, exec_lo, s18
	s_cbranch_vccnz .LBB62_887
; %bb.886:
	s_wait_loadcnt 0x0
	global_load_u16 v2, v[0:1], off
	s_wait_loadcnt 0x0
	v_bfe_i32 v2, v2, 0, 16
	s_delay_alu instid0(VALU_DEP_1)
	v_ashrrev_i32_e32 v3, 31, v2
.LBB62_887:
	s_cbranch_execnz .LBB62_893
.LBB62_888:
	s_sext_i32_i16 s18, s2
	s_delay_alu instid0(SALU_CYCLE_1)
	s_cmp_gt_i32 s18, 0
	s_mov_b32 s18, 0
	s_cbranch_scc0 .LBB62_890
; %bb.889:
	s_wait_loadcnt 0x0
	global_load_i8 v2, v[0:1], off
	s_wait_loadcnt 0x0
	v_bfe_i32 v2, v2, 0, 16
	s_delay_alu instid0(VALU_DEP_1)
	v_ashrrev_i32_e32 v3, 31, v2
	s_branch .LBB62_891
.LBB62_890:
	s_mov_b32 s18, -1
                                        ; implicit-def: $vgpr2_vgpr3
.LBB62_891:
	s_delay_alu instid0(SALU_CYCLE_1)
	s_and_not1_b32 vcc_lo, exec_lo, s18
	s_cbranch_vccnz .LBB62_893
; %bb.892:
	global_load_u8 v0, v[0:1], off
	s_mov_b32 s18, 0
	s_wait_loadcnt 0x1
	v_mov_b32_e32 v3, s18
	s_wait_loadcnt 0x0
	v_and_b32_e32 v2, 0xffff, v0
.LBB62_893:
	s_or_b32 s0, s0, exec_lo
.LBB62_894:
	s_wait_xcnt 0x0
	s_or_b32 exec_lo, exec_lo, s17
	s_mov_b32 s21, 0
	s_mov_b32 s20, 0
                                        ; implicit-def: $sgpr17
                                        ; implicit-def: $sgpr18
                                        ; implicit-def: $vgpr0_vgpr1
	s_and_saveexec_b32 s19, s0
	s_cbranch_execz .LBB62_902
; %bb.895:
	v_mul_lo_u32 v0, v10, s12
	s_wait_loadcnt 0x0
	s_delay_alu instid0(VALU_DEP_2) | instskip(SKIP_3) | instid1(VALU_DEP_2)
	v_cmp_ne_u64_e32 vcc_lo, s[8:9], v[2:3]
	s_and_b32 s18, s10, 0xff
	s_xor_b32 s17, s11, vcc_lo
	s_cmp_lt_i32 s18, 11
	v_ashrrev_i32_e32 v1, 31, v0
	s_delay_alu instid0(VALU_DEP_1)
	v_add_nc_u64_e32 v[0:1], s[4:5], v[0:1]
	s_cbranch_scc1 .LBB62_905
; %bb.896:
	s_and_b32 s11, 0xffff, s18
	s_mov_b32 s20, -1
	s_cmp_gt_i32 s11, 25
	s_mov_b32 s0, s16
	s_cbranch_scc0 .LBB62_933
; %bb.897:
	s_cmp_gt_i32 s11, 28
	s_mov_b32 s0, s16
	s_cbranch_scc0 .LBB62_917
; %bb.898:
	;; [unrolled: 4-line block ×4, first 2 shown]
	s_cmp_eq_u32 s11, 46
	s_mov_b32 s0, -1
	s_cbranch_scc0 .LBB62_906
; %bb.901:
	v_cndmask_b32_e64 v2, 0, 1.0, s17
	s_mov_b32 s0, 0
	s_mov_b32 s20, 0
	s_delay_alu instid0(VALU_DEP_1) | instskip(NEXT) | instid1(VALU_DEP_1)
	v_bfe_u32 v3, v2, 16, 1
	v_add3_u32 v2, v2, v3, 0x7fff
	s_delay_alu instid0(VALU_DEP_1)
	v_lshrrev_b32_e32 v2, 16, v2
	global_store_b32 v[0:1], v2, off
	s_branch .LBB62_907
.LBB62_902:
	s_or_b32 exec_lo, exec_lo, s19
	s_and_saveexec_b32 s0, s16
	s_cbranch_execnz .LBB62_975
.LBB62_903:
	s_or_b32 exec_lo, exec_lo, s0
	s_and_saveexec_b32 s0, s21
	s_delay_alu instid0(SALU_CYCLE_1)
	s_xor_b32 s0, exec_lo, s0
	s_cbranch_execz .LBB62_976
.LBB62_904:
	s_wait_loadcnt 0x0
	v_cndmask_b32_e64 v2, 0, 1, s17
	global_store_b8 v[0:1], v2, off
	s_wait_xcnt 0x0
	s_or_b32 exec_lo, exec_lo, s0
	s_and_saveexec_b32 s0, s20
	s_delay_alu instid0(SALU_CYCLE_1)
	s_xor_b32 s0, exec_lo, s0
	s_cbranch_execz .LBB62_1014
	s_branch .LBB62_977
.LBB62_905:
	s_mov_b32 s20, -1
	s_mov_b32 s0, s16
	s_branch .LBB62_974
.LBB62_906:
	s_mov_b32 s20, 0
.LBB62_907:
	s_delay_alu instid0(SALU_CYCLE_1)
	s_and_b32 vcc_lo, exec_lo, s20
	s_cbranch_vccz .LBB62_912
; %bb.908:
	s_cmp_eq_u32 s11, 44
	s_mov_b32 s0, -1
	s_cbranch_scc0 .LBB62_912
; %bb.909:
	v_cndmask_b32_e64 v4, 0, 1.0, s17
	s_mov_b32 s20, exec_lo
	s_wait_xcnt 0x0
	s_delay_alu instid0(VALU_DEP_1) | instskip(NEXT) | instid1(VALU_DEP_1)
	v_dual_mov_b32 v3, 0xff :: v_dual_lshrrev_b32 v2, 23, v4
	v_cmpx_ne_u32_e32 0xff, v2
; %bb.910:
	v_and_b32_e32 v3, 0x400000, v4
	v_and_or_b32 v4, 0x3fffff, v4, v2
	s_delay_alu instid0(VALU_DEP_2) | instskip(NEXT) | instid1(VALU_DEP_2)
	v_cmp_ne_u32_e32 vcc_lo, 0, v3
	v_cmp_ne_u32_e64 s0, 0, v4
	s_and_b32 s0, vcc_lo, s0
	s_delay_alu instid0(SALU_CYCLE_1) | instskip(NEXT) | instid1(VALU_DEP_1)
	v_cndmask_b32_e64 v3, 0, 1, s0
	v_add_nc_u32_e32 v3, v2, v3
; %bb.911:
	s_or_b32 exec_lo, exec_lo, s20
	s_mov_b32 s0, 0
	global_store_b8 v[0:1], v3, off
.LBB62_912:
	s_mov_b32 s20, 0
.LBB62_913:
	s_delay_alu instid0(SALU_CYCLE_1)
	s_and_b32 vcc_lo, exec_lo, s20
	s_cbranch_vccz .LBB62_916
; %bb.914:
	s_cmp_eq_u32 s11, 29
	s_mov_b32 s0, -1
	s_cbranch_scc0 .LBB62_916
; %bb.915:
	s_mov_b32 s0, 0
	s_wait_xcnt 0x0
	v_cndmask_b32_e64 v2, 0, 1, s17
	v_mov_b32_e32 v3, s0
	s_mov_b32 s20, 0
	global_store_b64 v[0:1], v[2:3], off
	s_branch .LBB62_917
.LBB62_916:
	s_mov_b32 s20, 0
.LBB62_917:
	s_delay_alu instid0(SALU_CYCLE_1)
	s_and_b32 vcc_lo, exec_lo, s20
	s_cbranch_vccz .LBB62_932
; %bb.918:
	s_cmp_lt_i32 s11, 27
	s_mov_b32 s20, -1
	s_cbranch_scc1 .LBB62_924
; %bb.919:
	s_wait_xcnt 0x0
	v_cndmask_b32_e64 v2, 0, 1, s17
	s_cmp_gt_i32 s11, 27
	s_cbranch_scc0 .LBB62_921
; %bb.920:
	s_mov_b32 s20, 0
	global_store_b32 v[0:1], v2, off
.LBB62_921:
	s_and_not1_b32 vcc_lo, exec_lo, s20
	s_cbranch_vccnz .LBB62_923
; %bb.922:
	global_store_b16 v[0:1], v2, off
.LBB62_923:
	s_mov_b32 s20, 0
.LBB62_924:
	s_delay_alu instid0(SALU_CYCLE_1)
	s_and_not1_b32 vcc_lo, exec_lo, s20
	s_cbranch_vccnz .LBB62_932
; %bb.925:
	s_wait_xcnt 0x0
	v_cndmask_b32_e64 v3, 0, 1.0, s17
	v_mov_b32_e32 v4, 0x80
	s_mov_b32 s20, exec_lo
	s_delay_alu instid0(VALU_DEP_2)
	v_cmpx_gt_u32_e32 0x43800000, v3
	s_cbranch_execz .LBB62_931
; %bb.926:
	s_mov_b32 s22, exec_lo
                                        ; implicit-def: $vgpr2
	v_cmpx_lt_u32_e32 0x3bffffff, v3
	s_xor_b32 s22, exec_lo, s22
	s_cbranch_execz .LBB62_1029
; %bb.927:
	v_bfe_u32 v2, v3, 20, 1
	s_mov_b32 s21, exec_lo
	s_delay_alu instid0(VALU_DEP_1) | instskip(NEXT) | instid1(VALU_DEP_1)
	v_add3_u32 v2, v3, v2, 0x487ffff
                                        ; implicit-def: $vgpr3
	v_lshrrev_b32_e32 v2, 20, v2
	s_and_not1_saveexec_b32 s22, s22
	s_cbranch_execnz .LBB62_1030
.LBB62_928:
	s_or_b32 exec_lo, exec_lo, s22
	v_mov_b32_e32 v4, 0
	s_and_saveexec_b32 s22, s21
.LBB62_929:
	v_mov_b32_e32 v4, v2
.LBB62_930:
	s_or_b32 exec_lo, exec_lo, s22
.LBB62_931:
	s_delay_alu instid0(SALU_CYCLE_1)
	s_or_b32 exec_lo, exec_lo, s20
	global_store_b8 v[0:1], v4, off
.LBB62_932:
	s_mov_b32 s20, 0
.LBB62_933:
	s_delay_alu instid0(SALU_CYCLE_1)
	s_and_b32 vcc_lo, exec_lo, s20
	s_mov_b32 s20, 0
	s_cbranch_vccz .LBB62_973
; %bb.934:
	s_cmp_gt_i32 s11, 22
	s_mov_b32 s21, -1
	s_cbranch_scc0 .LBB62_966
; %bb.935:
	s_cmp_lt_i32 s11, 24
	s_cbranch_scc1 .LBB62_955
; %bb.936:
	s_cmp_gt_i32 s11, 24
	s_cbranch_scc0 .LBB62_944
; %bb.937:
	s_wait_xcnt 0x0
	v_cndmask_b32_e64 v3, 0, 1.0, s17
	v_mov_b32_e32 v4, 0x80
	s_mov_b32 s21, exec_lo
	s_delay_alu instid0(VALU_DEP_2)
	v_cmpx_gt_u32_e32 0x47800000, v3
	s_cbranch_execz .LBB62_943
; %bb.938:
	s_mov_b32 s22, 0
	s_mov_b32 s23, exec_lo
                                        ; implicit-def: $vgpr2
	v_cmpx_lt_u32_e32 0x37ffffff, v3
	s_xor_b32 s23, exec_lo, s23
	s_cbranch_execz .LBB62_1150
; %bb.939:
	v_bfe_u32 v2, v3, 21, 1
	s_mov_b32 s22, exec_lo
	s_delay_alu instid0(VALU_DEP_1) | instskip(NEXT) | instid1(VALU_DEP_1)
	v_add3_u32 v2, v3, v2, 0x88fffff
                                        ; implicit-def: $vgpr3
	v_lshrrev_b32_e32 v2, 21, v2
	s_and_not1_saveexec_b32 s23, s23
	s_cbranch_execnz .LBB62_1151
.LBB62_940:
	s_or_b32 exec_lo, exec_lo, s23
	v_mov_b32_e32 v4, 0
	s_and_saveexec_b32 s23, s22
.LBB62_941:
	v_mov_b32_e32 v4, v2
.LBB62_942:
	s_or_b32 exec_lo, exec_lo, s23
.LBB62_943:
	s_delay_alu instid0(SALU_CYCLE_1)
	s_or_b32 exec_lo, exec_lo, s21
	s_mov_b32 s21, 0
	global_store_b8 v[0:1], v4, off
.LBB62_944:
	s_and_b32 vcc_lo, exec_lo, s21
	s_cbranch_vccz .LBB62_954
; %bb.945:
	s_wait_xcnt 0x0
	v_cndmask_b32_e64 v3, 0, 1.0, s17
	s_mov_b32 s21, exec_lo
                                        ; implicit-def: $vgpr2
	s_delay_alu instid0(VALU_DEP_1)
	v_cmpx_gt_u32_e32 0x43f00000, v3
	s_xor_b32 s21, exec_lo, s21
	s_cbranch_execz .LBB62_951
; %bb.946:
	s_mov_b32 s22, exec_lo
                                        ; implicit-def: $vgpr2
	v_cmpx_lt_u32_e32 0x3c7fffff, v3
	s_xor_b32 s22, exec_lo, s22
; %bb.947:
	v_bfe_u32 v2, v3, 20, 1
	s_delay_alu instid0(VALU_DEP_1) | instskip(NEXT) | instid1(VALU_DEP_1)
	v_add3_u32 v2, v3, v2, 0x407ffff
	v_and_b32_e32 v3, 0xff00000, v2
	v_lshrrev_b32_e32 v2, 20, v2
	s_delay_alu instid0(VALU_DEP_2) | instskip(NEXT) | instid1(VALU_DEP_2)
	v_cmp_ne_u32_e32 vcc_lo, 0x7f00000, v3
                                        ; implicit-def: $vgpr3
	v_cndmask_b32_e32 v2, 0x7e, v2, vcc_lo
; %bb.948:
	s_and_not1_saveexec_b32 s22, s22
; %bb.949:
	v_add_f32_e32 v2, 0x46800000, v3
; %bb.950:
	s_or_b32 exec_lo, exec_lo, s22
                                        ; implicit-def: $vgpr3
.LBB62_951:
	s_and_not1_saveexec_b32 s21, s21
; %bb.952:
	v_mov_b32_e32 v2, 0x7f
	v_cmp_lt_u32_e32 vcc_lo, 0x7f800000, v3
	s_delay_alu instid0(VALU_DEP_2)
	v_cndmask_b32_e32 v2, 0x7e, v2, vcc_lo
; %bb.953:
	s_or_b32 exec_lo, exec_lo, s21
	global_store_b8 v[0:1], v2, off
.LBB62_954:
	s_mov_b32 s21, 0
.LBB62_955:
	s_delay_alu instid0(SALU_CYCLE_1)
	s_and_not1_b32 vcc_lo, exec_lo, s21
	s_cbranch_vccnz .LBB62_965
; %bb.956:
	s_wait_xcnt 0x0
	v_cndmask_b32_e64 v3, 0, 1.0, s17
	s_mov_b32 s21, exec_lo
                                        ; implicit-def: $vgpr2
	s_delay_alu instid0(VALU_DEP_1)
	v_cmpx_gt_u32_e32 0x47800000, v3
	s_xor_b32 s21, exec_lo, s21
	s_cbranch_execz .LBB62_962
; %bb.957:
	s_mov_b32 s22, exec_lo
                                        ; implicit-def: $vgpr2
	v_cmpx_lt_u32_e32 0x387fffff, v3
	s_xor_b32 s22, exec_lo, s22
; %bb.958:
	v_bfe_u32 v2, v3, 21, 1
	s_delay_alu instid0(VALU_DEP_1) | instskip(NEXT) | instid1(VALU_DEP_1)
	v_add3_u32 v2, v3, v2, 0x80fffff
                                        ; implicit-def: $vgpr3
	v_lshrrev_b32_e32 v2, 21, v2
; %bb.959:
	s_and_not1_saveexec_b32 s22, s22
; %bb.960:
	v_add_f32_e32 v2, 0x43000000, v3
; %bb.961:
	s_or_b32 exec_lo, exec_lo, s22
                                        ; implicit-def: $vgpr3
.LBB62_962:
	s_and_not1_saveexec_b32 s21, s21
; %bb.963:
	v_mov_b32_e32 v2, 0x7f
	v_cmp_lt_u32_e32 vcc_lo, 0x7f800000, v3
	s_delay_alu instid0(VALU_DEP_2)
	v_cndmask_b32_e32 v2, 0x7c, v2, vcc_lo
; %bb.964:
	s_or_b32 exec_lo, exec_lo, s21
	global_store_b8 v[0:1], v2, off
.LBB62_965:
	s_mov_b32 s21, 0
.LBB62_966:
	s_delay_alu instid0(SALU_CYCLE_1)
	s_and_not1_b32 vcc_lo, exec_lo, s21
	s_mov_b32 s21, 0
	s_cbranch_vccnz .LBB62_974
; %bb.967:
	s_cmp_gt_i32 s11, 14
	s_mov_b32 s21, -1
	s_cbranch_scc0 .LBB62_971
; %bb.968:
	s_cmp_eq_u32 s11, 15
	s_mov_b32 s0, -1
	s_cbranch_scc0 .LBB62_970
; %bb.969:
	s_wait_xcnt 0x0
	v_cndmask_b32_e64 v2, 0, 1.0, s17
	s_mov_b32 s0, 0
	s_delay_alu instid0(VALU_DEP_1) | instskip(NEXT) | instid1(VALU_DEP_1)
	v_bfe_u32 v3, v2, 16, 1
	v_add3_u32 v2, v2, v3, 0x7fff
	global_store_d16_hi_b16 v[0:1], v2, off
.LBB62_970:
	s_mov_b32 s21, 0
.LBB62_971:
	s_delay_alu instid0(SALU_CYCLE_1)
	s_and_b32 vcc_lo, exec_lo, s21
	s_mov_b32 s21, 0
	s_cbranch_vccz .LBB62_974
; %bb.972:
	s_cmp_lg_u32 s11, 11
	s_mov_b32 s21, -1
	s_cselect_b32 s11, -1, 0
	s_and_not1_b32 s0, s0, exec_lo
	s_and_b32 s11, s11, exec_lo
	s_delay_alu instid0(SALU_CYCLE_1)
	s_or_b32 s0, s0, s11
	s_branch .LBB62_974
.LBB62_973:
	s_mov_b32 s21, 0
.LBB62_974:
	s_and_not1_b32 s11, s16, exec_lo
	s_and_b32 s0, s0, exec_lo
	s_and_b32 s20, s20, exec_lo
	s_and_b32 s21, s21, exec_lo
	s_or_b32 s16, s11, s0
	s_wait_xcnt 0x0
	s_or_b32 exec_lo, exec_lo, s19
	s_and_saveexec_b32 s0, s16
	s_cbranch_execz .LBB62_903
.LBB62_975:
	s_or_b32 s15, s15, exec_lo
	s_and_not1_b32 s21, s21, exec_lo
	s_trap 2
	s_or_b32 exec_lo, exec_lo, s0
	s_and_saveexec_b32 s0, s21
	s_delay_alu instid0(SALU_CYCLE_1)
	s_xor_b32 s0, exec_lo, s0
	s_cbranch_execnz .LBB62_904
.LBB62_976:
	s_or_b32 exec_lo, exec_lo, s0
	s_and_saveexec_b32 s0, s20
	s_delay_alu instid0(SALU_CYCLE_1)
	s_xor_b32 s0, exec_lo, s0
	s_cbranch_execz .LBB62_1014
.LBB62_977:
	s_sext_i32_i16 s16, s18
	s_mov_b32 s11, -1
	s_cmp_lt_i32 s16, 5
	s_cbranch_scc1 .LBB62_998
; %bb.978:
	s_cmp_lt_i32 s16, 8
	s_cbranch_scc1 .LBB62_988
; %bb.979:
	;; [unrolled: 3-line block ×3, first 2 shown]
	s_cmp_gt_i32 s16, 9
	s_cbranch_scc0 .LBB62_982
; %bb.981:
	s_wait_loadcnt 0x0
	v_cndmask_b32_e64 v2, 0, 1, s17
	v_mov_b32_e32 v4, 0
	s_mov_b32 s11, 0
	s_delay_alu instid0(VALU_DEP_2) | instskip(NEXT) | instid1(VALU_DEP_2)
	v_cvt_f64_u32_e32 v[2:3], v2
	v_mov_b32_e32 v5, v4
	global_store_b128 v[0:1], v[2:5], off
.LBB62_982:
	s_and_not1_b32 vcc_lo, exec_lo, s11
	s_cbranch_vccnz .LBB62_984
; %bb.983:
	s_wait_loadcnt 0x0
	v_cndmask_b32_e64 v2, 0, 1.0, s17
	v_mov_b32_e32 v3, 0
	global_store_b64 v[0:1], v[2:3], off
.LBB62_984:
	s_mov_b32 s11, 0
.LBB62_985:
	s_delay_alu instid0(SALU_CYCLE_1)
	s_and_not1_b32 vcc_lo, exec_lo, s11
	s_cbranch_vccnz .LBB62_987
; %bb.986:
	s_wait_loadcnt 0x0
	v_cndmask_b32_e64 v2, 0, 1.0, s17
	s_delay_alu instid0(VALU_DEP_1) | instskip(NEXT) | instid1(VALU_DEP_1)
	v_cvt_f16_f32_e32 v2, v2
	v_and_b32_e32 v2, 0xffff, v2
	global_store_b32 v[0:1], v2, off
.LBB62_987:
	s_mov_b32 s11, 0
.LBB62_988:
	s_delay_alu instid0(SALU_CYCLE_1)
	s_and_not1_b32 vcc_lo, exec_lo, s11
	s_cbranch_vccnz .LBB62_997
; %bb.989:
	s_sext_i32_i16 s16, s18
	s_mov_b32 s11, -1
	s_cmp_lt_i32 s16, 6
	s_cbranch_scc1 .LBB62_995
; %bb.990:
	s_cmp_gt_i32 s16, 6
	s_cbranch_scc0 .LBB62_992
; %bb.991:
	s_wait_loadcnt 0x0
	v_cndmask_b32_e64 v2, 0, 1, s17
	s_mov_b32 s11, 0
	s_delay_alu instid0(VALU_DEP_1)
	v_cvt_f64_u32_e32 v[2:3], v2
	global_store_b64 v[0:1], v[2:3], off
.LBB62_992:
	s_and_not1_b32 vcc_lo, exec_lo, s11
	s_cbranch_vccnz .LBB62_994
; %bb.993:
	s_wait_loadcnt 0x0
	v_cndmask_b32_e64 v2, 0, 1.0, s17
	global_store_b32 v[0:1], v2, off
.LBB62_994:
	s_mov_b32 s11, 0
.LBB62_995:
	s_delay_alu instid0(SALU_CYCLE_1)
	s_and_not1_b32 vcc_lo, exec_lo, s11
	s_cbranch_vccnz .LBB62_997
; %bb.996:
	s_wait_loadcnt 0x0
	v_cndmask_b32_e64 v2, 0, 1.0, s17
	s_delay_alu instid0(VALU_DEP_1)
	v_cvt_f16_f32_e32 v2, v2
	global_store_b16 v[0:1], v2, off
.LBB62_997:
	s_mov_b32 s11, 0
.LBB62_998:
	s_delay_alu instid0(SALU_CYCLE_1)
	s_and_not1_b32 vcc_lo, exec_lo, s11
	s_cbranch_vccnz .LBB62_1014
; %bb.999:
	s_sext_i32_i16 s16, s18
	s_mov_b32 s11, -1
	s_cmp_lt_i32 s16, 2
	s_cbranch_scc1 .LBB62_1009
; %bb.1000:
	s_cmp_lt_i32 s16, 3
	s_cbranch_scc1 .LBB62_1006
; %bb.1001:
	s_cmp_gt_i32 s16, 3
	s_cbranch_scc0 .LBB62_1003
; %bb.1002:
	s_mov_b32 s11, 0
	s_wait_loadcnt 0x0
	v_cndmask_b32_e64 v2, 0, 1, s17
	v_mov_b32_e32 v3, s11
	global_store_b64 v[0:1], v[2:3], off
.LBB62_1003:
	s_and_not1_b32 vcc_lo, exec_lo, s11
	s_cbranch_vccnz .LBB62_1005
; %bb.1004:
	s_wait_loadcnt 0x0
	v_cndmask_b32_e64 v2, 0, 1, s17
	global_store_b32 v[0:1], v2, off
.LBB62_1005:
	s_mov_b32 s11, 0
.LBB62_1006:
	s_delay_alu instid0(SALU_CYCLE_1)
	s_and_not1_b32 vcc_lo, exec_lo, s11
	s_cbranch_vccnz .LBB62_1008
; %bb.1007:
	s_wait_loadcnt 0x0
	v_cndmask_b32_e64 v2, 0, 1, s17
	global_store_b16 v[0:1], v2, off
.LBB62_1008:
	s_mov_b32 s11, 0
.LBB62_1009:
	s_delay_alu instid0(SALU_CYCLE_1)
	s_and_not1_b32 vcc_lo, exec_lo, s11
	s_cbranch_vccnz .LBB62_1014
; %bb.1010:
	s_wait_loadcnt 0x0
	v_cndmask_b32_e64 v2, 0, 1, s17
	s_sext_i32_i16 s11, s18
	s_delay_alu instid0(SALU_CYCLE_1)
	s_cmp_gt_i32 s11, 0
	s_mov_b32 s11, -1
	s_cbranch_scc0 .LBB62_1012
; %bb.1011:
	s_mov_b32 s11, 0
	global_store_b8 v[0:1], v2, off
.LBB62_1012:
	s_and_not1_b32 vcc_lo, exec_lo, s11
	s_cbranch_vccnz .LBB62_1014
; %bb.1013:
	global_store_b8 v[0:1], v2, off
.LBB62_1014:
	s_wait_xcnt 0x0
	s_or_b32 exec_lo, exec_lo, s0
	s_delay_alu instid0(SALU_CYCLE_1)
	s_and_b32 s11, s15, exec_lo
                                        ; implicit-def: $vgpr10
.LBB62_1015:
	s_or_saveexec_b32 s3, s3
	s_mov_b32 s0, 0
                                        ; implicit-def: $sgpr16
                                        ; implicit-def: $sgpr15
                                        ; implicit-def: $vgpr0_vgpr1
	s_xor_b32 exec_lo, exec_lo, s3
	s_cbranch_execz .LBB62_1949
; %bb.1016:
	s_wait_loadcnt 0x0
	v_mul_lo_u32 v2, s13, v10
	s_and_b32 s0, 0xffff, s2
	s_delay_alu instid0(SALU_CYCLE_1) | instskip(NEXT) | instid1(VALU_DEP_1)
	s_cmp_lt_i32 s0, 11
	v_ashrrev_i32_e32 v3, 31, v2
	s_delay_alu instid0(VALU_DEP_1)
	v_add_nc_u64_e32 v[4:5], s[6:7], v[2:3]
	s_cbranch_scc1 .LBB62_1023
; %bb.1017:
	s_cmp_gt_i32 s0, 25
	s_mov_b32 s2, 0
	s_cbranch_scc0 .LBB62_1025
; %bb.1018:
	s_cmp_gt_i32 s0, 28
	s_cbranch_scc0 .LBB62_1026
; %bb.1019:
	s_cmp_gt_i32 s0, 43
	s_cbranch_scc0 .LBB62_1027
; %bb.1020:
	s_cmp_gt_i32 s0, 45
	s_cbranch_scc0 .LBB62_1028
; %bb.1021:
	s_cmp_eq_u32 s0, 46
	s_mov_b32 s16, 0
	s_cbranch_scc0 .LBB62_1031
; %bb.1022:
	global_load_b32 v0, v[4:5], off
	s_mov_b32 s15, -1
	s_wait_loadcnt 0x0
	v_lshlrev_b32_e32 v0, 16, v0
	s_delay_alu instid0(VALU_DEP_1) | instskip(NEXT) | instid1(VALU_DEP_1)
	v_trunc_f32_e32 v0, v0
	v_mul_f32_e64 v1, 0x2f800000, |v0|
	s_delay_alu instid0(VALU_DEP_1) | instskip(NEXT) | instid1(VALU_DEP_1)
	v_floor_f32_e32 v1, v1
	v_fma_f32 v3, 0xcf800000, v1, |v0|
	v_ashrrev_i32_e32 v0, 31, v0
	v_cvt_u32_f32_e32 v6, v1
	s_delay_alu instid0(VALU_DEP_3) | instskip(NEXT) | instid1(VALU_DEP_2)
	v_cvt_u32_f32_e32 v3, v3
	v_dual_mov_b32 v1, v0 :: v_dual_bitop2_b32 v7, v6, v0 bitop3:0x14
	s_delay_alu instid0(VALU_DEP_2) | instskip(NEXT) | instid1(VALU_DEP_1)
	v_xor_b32_e32 v6, v3, v0
	v_sub_nc_u64_e32 v[0:1], v[6:7], v[0:1]
	s_branch .LBB62_1033
.LBB62_1023:
	s_mov_b32 s15, 0
	s_mov_b32 s1, s11
                                        ; implicit-def: $vgpr0_vgpr1
	s_cbranch_execnz .LBB62_1091
.LBB62_1024:
	s_and_not1_b32 vcc_lo, exec_lo, s15
	s_cbranch_vccz .LBB62_1136
	s_branch .LBB62_1947
.LBB62_1025:
	s_mov_b32 s15, 0
                                        ; implicit-def: $vgpr0_vgpr1
	s_cbranch_execnz .LBB62_1058
	s_branch .LBB62_1087
.LBB62_1026:
	s_mov_b32 s15, 0
                                        ; implicit-def: $vgpr0_vgpr1
	s_cbranch_execz .LBB62_1057
	s_branch .LBB62_1042
.LBB62_1027:
	s_mov_b32 s15, 0
                                        ; implicit-def: $vgpr0_vgpr1
	s_cbranch_execnz .LBB62_1038
	s_branch .LBB62_1041
.LBB62_1028:
	s_mov_b32 s16, -1
	s_branch .LBB62_1032
.LBB62_1029:
	s_and_not1_saveexec_b32 s22, s22
	s_cbranch_execz .LBB62_928
.LBB62_1030:
	v_add_f32_e32 v2, 0x46000000, v3
	s_and_not1_b32 s21, s21, exec_lo
	s_delay_alu instid0(VALU_DEP_1) | instskip(NEXT) | instid1(VALU_DEP_1)
	v_and_b32_e32 v2, 0xff, v2
	v_cmp_ne_u32_e32 vcc_lo, 0, v2
	s_and_b32 s23, vcc_lo, exec_lo
	s_delay_alu instid0(SALU_CYCLE_1)
	s_or_b32 s21, s21, s23
	s_or_b32 exec_lo, exec_lo, s22
	v_mov_b32_e32 v4, 0
	s_and_saveexec_b32 s22, s21
	s_cbranch_execnz .LBB62_929
	s_branch .LBB62_930
.LBB62_1031:
	s_mov_b32 s1, -1
.LBB62_1032:
	s_mov_b32 s15, 0
                                        ; implicit-def: $vgpr0_vgpr1
.LBB62_1033:
	s_and_b32 vcc_lo, exec_lo, s16
	s_cbranch_vccz .LBB62_1036
; %bb.1034:
	s_cmp_eq_u32 s0, 44
	s_cbranch_scc0 .LBB62_1037
; %bb.1035:
	global_load_u8 v3, v[4:5], off
	s_mov_b32 s1, 0
	s_mov_b32 s15, -1
	s_wait_loadcnt 0x0
	v_cmp_ne_u32_e32 vcc_lo, 0, v3
	v_lshlrev_b32_e32 v0, 23, v3
	s_delay_alu instid0(VALU_DEP_1) | instskip(NEXT) | instid1(VALU_DEP_1)
	v_trunc_f32_e32 v0, v0
	v_mul_f32_e64 v1, 0x2f800000, |v0|
	s_delay_alu instid0(VALU_DEP_1) | instskip(NEXT) | instid1(VALU_DEP_1)
	v_floor_f32_e32 v1, v1
	v_fma_f32 v6, 0xcf800000, v1, |v0|
	v_ashrrev_i32_e32 v0, 31, v0
	v_cvt_u32_f32_e32 v7, v1
	s_delay_alu instid0(VALU_DEP_3) | instskip(NEXT) | instid1(VALU_DEP_2)
	v_cvt_u32_f32_e32 v6, v6
	v_dual_mov_b32 v1, v0 :: v_dual_bitop2_b32 v7, v7, v0 bitop3:0x14
	s_delay_alu instid0(VALU_DEP_2) | instskip(NEXT) | instid1(VALU_DEP_1)
	v_xor_b32_e32 v6, v6, v0
	v_sub_nc_u64_e32 v[0:1], v[6:7], v[0:1]
	s_delay_alu instid0(VALU_DEP_1)
	v_dual_cndmask_b32 v1, 0, v1 :: v_dual_cndmask_b32 v0, 0, v0
.LBB62_1036:
	s_branch .LBB62_1041
.LBB62_1037:
	s_mov_b32 s1, -1
                                        ; implicit-def: $vgpr0_vgpr1
	s_branch .LBB62_1041
.LBB62_1038:
	s_cmp_eq_u32 s0, 29
	s_cbranch_scc0 .LBB62_1040
; %bb.1039:
	global_load_b64 v[0:1], v[4:5], off
	s_mov_b32 s1, 0
	s_mov_b32 s15, -1
	s_branch .LBB62_1041
.LBB62_1040:
	s_mov_b32 s1, -1
                                        ; implicit-def: $vgpr0_vgpr1
.LBB62_1041:
	s_branch .LBB62_1057
.LBB62_1042:
	s_cmp_lt_i32 s0, 27
	s_cbranch_scc1 .LBB62_1045
; %bb.1043:
	s_cmp_gt_i32 s0, 27
	s_cbranch_scc0 .LBB62_1046
; %bb.1044:
	s_wait_loadcnt 0x0
	global_load_b32 v0, v[4:5], off
	v_mov_b32_e32 v1, 0
	s_mov_b32 s15, 0
	s_branch .LBB62_1047
.LBB62_1045:
	s_mov_b32 s15, -1
                                        ; implicit-def: $vgpr0_vgpr1
	s_branch .LBB62_1050
.LBB62_1046:
	s_mov_b32 s15, -1
                                        ; implicit-def: $vgpr0_vgpr1
.LBB62_1047:
	s_delay_alu instid0(SALU_CYCLE_1)
	s_and_not1_b32 vcc_lo, exec_lo, s15
	s_cbranch_vccnz .LBB62_1049
; %bb.1048:
	s_wait_loadcnt 0x0
	global_load_u16 v0, v[4:5], off
	s_mov_b32 s15, 0
	s_delay_alu instid0(SALU_CYCLE_1)
	v_mov_b32_e32 v1, s15
	s_wait_loadcnt 0x0
	v_and_b32_e32 v0, 0xffff, v0
.LBB62_1049:
	s_mov_b32 s15, 0
.LBB62_1050:
	s_delay_alu instid0(SALU_CYCLE_1)
	s_and_not1_b32 vcc_lo, exec_lo, s15
	s_cbranch_vccnz .LBB62_1056
; %bb.1051:
	global_load_u8 v3, v[4:5], off
	s_mov_b32 s16, 0
	s_mov_b32 s15, exec_lo
	s_wait_loadcnt 0x0
	v_cmpx_lt_i16_e32 0x7f, v3
	s_xor_b32 s15, exec_lo, s15
	s_cbranch_execz .LBB62_1067
; %bb.1052:
	v_cmp_ne_u16_e32 vcc_lo, 0x80, v3
	s_and_b32 s16, vcc_lo, exec_lo
	s_and_not1_saveexec_b32 s15, s15
	s_cbranch_execnz .LBB62_1068
.LBB62_1053:
	s_or_b32 exec_lo, exec_lo, s15
	v_mov_b64_e32 v[0:1], 0
	s_and_saveexec_b32 s15, s16
	s_cbranch_execz .LBB62_1055
.LBB62_1054:
	v_and_b32_e32 v0, 0xffff, v3
	s_delay_alu instid0(VALU_DEP_1) | instskip(SKIP_1) | instid1(VALU_DEP_2)
	v_and_b32_e32 v1, 7, v0
	v_bfe_u32 v8, v0, 3, 4
	v_clz_i32_u32_e32 v6, v1
	s_delay_alu instid0(VALU_DEP_2) | instskip(NEXT) | instid1(VALU_DEP_2)
	v_cmp_eq_u32_e32 vcc_lo, 0, v8
	v_min_u32_e32 v6, 32, v6
	s_delay_alu instid0(VALU_DEP_1) | instskip(NEXT) | instid1(VALU_DEP_1)
	v_subrev_nc_u32_e32 v7, 28, v6
	v_dual_lshlrev_b32 v0, v7, v0 :: v_dual_sub_nc_u32 v6, 29, v6
	s_delay_alu instid0(VALU_DEP_1) | instskip(NEXT) | instid1(VALU_DEP_1)
	v_dual_lshlrev_b32 v3, 24, v3 :: v_dual_bitop2_b32 v0, 7, v0 bitop3:0x40
	v_dual_cndmask_b32 v6, v8, v6, vcc_lo :: v_dual_cndmask_b32 v0, v1, v0, vcc_lo
	s_delay_alu instid0(VALU_DEP_2) | instskip(NEXT) | instid1(VALU_DEP_2)
	v_and_b32_e32 v1, 0x80000000, v3
	v_lshl_add_u32 v3, v6, 23, 0x3b800000
	s_delay_alu instid0(VALU_DEP_3) | instskip(NEXT) | instid1(VALU_DEP_1)
	v_lshlrev_b32_e32 v0, 20, v0
	v_or3_b32 v0, v1, v3, v0
	s_delay_alu instid0(VALU_DEP_1) | instskip(NEXT) | instid1(VALU_DEP_1)
	v_trunc_f32_e32 v0, v0
	v_mul_f32_e64 v1, 0x2f800000, |v0|
	s_delay_alu instid0(VALU_DEP_1) | instskip(NEXT) | instid1(VALU_DEP_1)
	v_floor_f32_e32 v1, v1
	v_fma_f32 v3, 0xcf800000, v1, |v0|
	v_ashrrev_i32_e32 v0, 31, v0
	v_cvt_u32_f32_e32 v6, v1
	s_delay_alu instid0(VALU_DEP_3) | instskip(NEXT) | instid1(VALU_DEP_2)
	v_cvt_u32_f32_e32 v3, v3
	v_dual_mov_b32 v1, v0 :: v_dual_bitop2_b32 v7, v6, v0 bitop3:0x14
	s_delay_alu instid0(VALU_DEP_2) | instskip(NEXT) | instid1(VALU_DEP_1)
	v_xor_b32_e32 v6, v3, v0
	v_sub_nc_u64_e32 v[0:1], v[6:7], v[0:1]
.LBB62_1055:
	s_or_b32 exec_lo, exec_lo, s15
.LBB62_1056:
	s_mov_b32 s15, -1
.LBB62_1057:
	s_branch .LBB62_1087
.LBB62_1058:
	s_cmp_gt_i32 s0, 22
	s_cbranch_scc0 .LBB62_1066
; %bb.1059:
	s_cmp_lt_i32 s0, 24
	s_cbranch_scc1 .LBB62_1069
; %bb.1060:
	s_cmp_gt_i32 s0, 24
	s_cbranch_scc0 .LBB62_1070
; %bb.1061:
	global_load_u8 v3, v[4:5], off
	s_mov_b32 s15, 0
	s_mov_b32 s2, exec_lo
	s_wait_loadcnt 0x0
	v_cmpx_lt_i16_e32 0x7f, v3
	s_xor_b32 s2, exec_lo, s2
	s_cbranch_execz .LBB62_1081
; %bb.1062:
	v_cmp_ne_u16_e32 vcc_lo, 0x80, v3
	s_and_b32 s15, vcc_lo, exec_lo
	s_and_not1_saveexec_b32 s2, s2
	s_cbranch_execnz .LBB62_1082
.LBB62_1063:
	s_or_b32 exec_lo, exec_lo, s2
	v_mov_b64_e32 v[0:1], 0
	s_and_saveexec_b32 s2, s15
	s_cbranch_execz .LBB62_1065
.LBB62_1064:
	v_and_b32_e32 v0, 0xffff, v3
	s_delay_alu instid0(VALU_DEP_1) | instskip(SKIP_1) | instid1(VALU_DEP_2)
	v_and_b32_e32 v1, 3, v0
	v_bfe_u32 v8, v0, 2, 5
	v_clz_i32_u32_e32 v6, v1
	s_delay_alu instid0(VALU_DEP_2) | instskip(NEXT) | instid1(VALU_DEP_2)
	v_cmp_eq_u32_e32 vcc_lo, 0, v8
	v_min_u32_e32 v6, 32, v6
	s_delay_alu instid0(VALU_DEP_1) | instskip(NEXT) | instid1(VALU_DEP_1)
	v_subrev_nc_u32_e32 v7, 29, v6
	v_dual_lshlrev_b32 v0, v7, v0 :: v_dual_sub_nc_u32 v6, 30, v6
	s_delay_alu instid0(VALU_DEP_1) | instskip(NEXT) | instid1(VALU_DEP_1)
	v_dual_lshlrev_b32 v3, 24, v3 :: v_dual_bitop2_b32 v0, 3, v0 bitop3:0x40
	v_dual_cndmask_b32 v6, v8, v6, vcc_lo :: v_dual_cndmask_b32 v0, v1, v0, vcc_lo
	s_delay_alu instid0(VALU_DEP_2) | instskip(NEXT) | instid1(VALU_DEP_2)
	v_and_b32_e32 v1, 0x80000000, v3
	v_lshl_add_u32 v3, v6, 23, 0x37800000
	s_delay_alu instid0(VALU_DEP_3) | instskip(NEXT) | instid1(VALU_DEP_1)
	v_lshlrev_b32_e32 v0, 21, v0
	v_or3_b32 v0, v1, v3, v0
	s_delay_alu instid0(VALU_DEP_1) | instskip(NEXT) | instid1(VALU_DEP_1)
	v_trunc_f32_e32 v0, v0
	v_mul_f32_e64 v1, 0x2f800000, |v0|
	s_delay_alu instid0(VALU_DEP_1) | instskip(NEXT) | instid1(VALU_DEP_1)
	v_floor_f32_e32 v1, v1
	v_fma_f32 v3, 0xcf800000, v1, |v0|
	v_ashrrev_i32_e32 v0, 31, v0
	v_cvt_u32_f32_e32 v6, v1
	s_delay_alu instid0(VALU_DEP_3) | instskip(NEXT) | instid1(VALU_DEP_2)
	v_cvt_u32_f32_e32 v3, v3
	v_dual_mov_b32 v1, v0 :: v_dual_bitop2_b32 v7, v6, v0 bitop3:0x14
	s_delay_alu instid0(VALU_DEP_2) | instskip(NEXT) | instid1(VALU_DEP_1)
	v_xor_b32_e32 v6, v3, v0
	v_sub_nc_u64_e32 v[0:1], v[6:7], v[0:1]
.LBB62_1065:
	s_or_b32 exec_lo, exec_lo, s2
	s_mov_b32 s2, 0
	s_branch .LBB62_1071
.LBB62_1066:
                                        ; implicit-def: $vgpr0_vgpr1
	s_mov_b32 s2, 0
	s_branch .LBB62_1077
.LBB62_1067:
	s_and_not1_saveexec_b32 s15, s15
	s_cbranch_execz .LBB62_1053
.LBB62_1068:
	v_cmp_ne_u16_e32 vcc_lo, 0, v3
	s_and_not1_b32 s16, s16, exec_lo
	s_and_b32 s17, vcc_lo, exec_lo
	s_delay_alu instid0(SALU_CYCLE_1)
	s_or_b32 s16, s16, s17
	s_or_b32 exec_lo, exec_lo, s15
	v_mov_b64_e32 v[0:1], 0
	s_and_saveexec_b32 s15, s16
	s_cbranch_execnz .LBB62_1054
	s_branch .LBB62_1055
.LBB62_1069:
	s_mov_b32 s2, -1
                                        ; implicit-def: $vgpr0_vgpr1
	s_branch .LBB62_1074
.LBB62_1070:
	s_mov_b32 s2, -1
                                        ; implicit-def: $vgpr0_vgpr1
.LBB62_1071:
	s_delay_alu instid0(SALU_CYCLE_1)
	s_and_b32 vcc_lo, exec_lo, s2
	s_cbranch_vccz .LBB62_1073
; %bb.1072:
	s_wait_loadcnt 0x0
	global_load_u8 v0, v[4:5], off
	s_wait_loadcnt 0x0
	v_lshlrev_b32_e32 v0, 24, v0
	s_delay_alu instid0(VALU_DEP_1) | instskip(NEXT) | instid1(VALU_DEP_1)
	v_and_b32_e32 v1, 0x7f000000, v0
	v_clz_i32_u32_e32 v3, v1
	v_add_nc_u32_e32 v7, 0x1000000, v1
	v_cmp_ne_u32_e32 vcc_lo, 0, v1
	s_delay_alu instid0(VALU_DEP_3) | instskip(NEXT) | instid1(VALU_DEP_1)
	v_min_u32_e32 v3, 32, v3
	v_sub_nc_u32_e64 v3, v3, 4 clamp
	s_delay_alu instid0(VALU_DEP_1) | instskip(NEXT) | instid1(VALU_DEP_1)
	v_dual_lshlrev_b32 v6, v3, v1 :: v_dual_lshlrev_b32 v3, 23, v3
	v_lshrrev_b32_e32 v6, 4, v6
	s_delay_alu instid0(VALU_DEP_1) | instskip(SKIP_1) | instid1(VALU_DEP_2)
	v_sub_nc_u32_e32 v3, v6, v3
	v_ashrrev_i32_e32 v6, 8, v7
	v_add_nc_u32_e32 v3, 0x3c000000, v3
	s_delay_alu instid0(VALU_DEP_1) | instskip(NEXT) | instid1(VALU_DEP_1)
	v_and_or_b32 v3, 0x7f800000, v6, v3
	v_cndmask_b32_e32 v1, 0, v3, vcc_lo
	s_delay_alu instid0(VALU_DEP_1) | instskip(NEXT) | instid1(VALU_DEP_1)
	v_and_or_b32 v0, 0x80000000, v0, v1
	v_trunc_f32_e32 v0, v0
	s_delay_alu instid0(VALU_DEP_1) | instskip(NEXT) | instid1(VALU_DEP_1)
	v_mul_f32_e64 v1, 0x2f800000, |v0|
	v_floor_f32_e32 v1, v1
	s_delay_alu instid0(VALU_DEP_1) | instskip(SKIP_2) | instid1(VALU_DEP_3)
	v_fma_f32 v3, 0xcf800000, v1, |v0|
	v_ashrrev_i32_e32 v0, 31, v0
	v_cvt_u32_f32_e32 v6, v1
	v_cvt_u32_f32_e32 v3, v3
	s_delay_alu instid0(VALU_DEP_2) | instskip(NEXT) | instid1(VALU_DEP_2)
	v_dual_mov_b32 v1, v0 :: v_dual_bitop2_b32 v7, v6, v0 bitop3:0x14
	v_xor_b32_e32 v6, v3, v0
	s_delay_alu instid0(VALU_DEP_1)
	v_sub_nc_u64_e32 v[0:1], v[6:7], v[0:1]
.LBB62_1073:
	s_mov_b32 s2, 0
.LBB62_1074:
	s_delay_alu instid0(SALU_CYCLE_1)
	s_and_not1_b32 vcc_lo, exec_lo, s2
	s_cbranch_vccnz .LBB62_1076
; %bb.1075:
	s_wait_loadcnt 0x0
	global_load_u8 v0, v[4:5], off
	s_wait_loadcnt 0x0
	v_lshlrev_b32_e32 v1, 25, v0
	v_lshlrev_b16 v0, 8, v0
	s_delay_alu instid0(VALU_DEP_1) | instskip(SKIP_1) | instid1(VALU_DEP_2)
	v_and_or_b32 v6, 0x7f00, v0, 0.5
	v_bfe_i32 v0, v0, 0, 16
	v_dual_add_f32 v6, -0.5, v6 :: v_dual_lshrrev_b32 v3, 4, v1
	v_cmp_gt_u32_e32 vcc_lo, 0x8000000, v1
	s_delay_alu instid0(VALU_DEP_2) | instskip(NEXT) | instid1(VALU_DEP_1)
	v_or_b32_e32 v3, 0x70000000, v3
	v_mul_f32_e32 v3, 0x7800000, v3
	s_delay_alu instid0(VALU_DEP_1) | instskip(NEXT) | instid1(VALU_DEP_1)
	v_cndmask_b32_e32 v1, v3, v6, vcc_lo
	v_and_or_b32 v0, 0x80000000, v0, v1
	s_delay_alu instid0(VALU_DEP_1) | instskip(NEXT) | instid1(VALU_DEP_1)
	v_trunc_f32_e32 v0, v0
	v_mul_f32_e64 v1, 0x2f800000, |v0|
	s_delay_alu instid0(VALU_DEP_1) | instskip(NEXT) | instid1(VALU_DEP_1)
	v_floor_f32_e32 v1, v1
	v_fma_f32 v3, 0xcf800000, v1, |v0|
	v_ashrrev_i32_e32 v0, 31, v0
	v_cvt_u32_f32_e32 v6, v1
	s_delay_alu instid0(VALU_DEP_3) | instskip(NEXT) | instid1(VALU_DEP_2)
	v_cvt_u32_f32_e32 v3, v3
	v_dual_mov_b32 v1, v0 :: v_dual_bitop2_b32 v7, v6, v0 bitop3:0x14
	s_delay_alu instid0(VALU_DEP_2) | instskip(NEXT) | instid1(VALU_DEP_1)
	v_xor_b32_e32 v6, v3, v0
	v_sub_nc_u64_e32 v[0:1], v[6:7], v[0:1]
.LBB62_1076:
	s_mov_b32 s15, -1
	s_mov_b32 s2, 0
	s_cbranch_execnz .LBB62_1087
.LBB62_1077:
	s_cmp_gt_i32 s0, 14
	s_cbranch_scc0 .LBB62_1080
; %bb.1078:
	s_cmp_eq_u32 s0, 15
	s_cbranch_scc0 .LBB62_1083
; %bb.1079:
	s_wait_loadcnt 0x0
	global_load_u16 v0, v[4:5], off
	s_mov_b32 s1, 0
	s_mov_b32 s15, -1
	s_wait_loadcnt 0x0
	v_lshlrev_b32_e32 v0, 16, v0
	s_delay_alu instid0(VALU_DEP_1) | instskip(NEXT) | instid1(VALU_DEP_1)
	v_trunc_f32_e32 v0, v0
	v_mul_f32_e64 v1, 0x2f800000, |v0|
	s_delay_alu instid0(VALU_DEP_1) | instskip(NEXT) | instid1(VALU_DEP_1)
	v_floor_f32_e32 v1, v1
	v_fma_f32 v3, 0xcf800000, v1, |v0|
	v_ashrrev_i32_e32 v0, 31, v0
	v_cvt_u32_f32_e32 v6, v1
	s_delay_alu instid0(VALU_DEP_3) | instskip(NEXT) | instid1(VALU_DEP_2)
	v_cvt_u32_f32_e32 v3, v3
	v_dual_mov_b32 v1, v0 :: v_dual_bitop2_b32 v7, v6, v0 bitop3:0x14
	s_delay_alu instid0(VALU_DEP_2) | instskip(NEXT) | instid1(VALU_DEP_1)
	v_xor_b32_e32 v6, v3, v0
	v_sub_nc_u64_e32 v[0:1], v[6:7], v[0:1]
	s_branch .LBB62_1085
.LBB62_1080:
	s_mov_b32 s2, -1
	s_branch .LBB62_1084
.LBB62_1081:
	s_and_not1_saveexec_b32 s2, s2
	s_cbranch_execz .LBB62_1063
.LBB62_1082:
	v_cmp_ne_u16_e32 vcc_lo, 0, v3
	s_and_not1_b32 s15, s15, exec_lo
	s_and_b32 s16, vcc_lo, exec_lo
	s_delay_alu instid0(SALU_CYCLE_1)
	s_or_b32 s15, s15, s16
	s_or_b32 exec_lo, exec_lo, s2
	v_mov_b64_e32 v[0:1], 0
	s_and_saveexec_b32 s2, s15
	s_cbranch_execnz .LBB62_1064
	s_branch .LBB62_1065
.LBB62_1083:
	s_mov_b32 s1, -1
.LBB62_1084:
                                        ; implicit-def: $vgpr0_vgpr1
.LBB62_1085:
	s_and_b32 vcc_lo, exec_lo, s2
	s_mov_b32 s2, 0
	s_cbranch_vccz .LBB62_1087
; %bb.1086:
	s_cmp_lg_u32 s0, 11
	s_mov_b32 s2, -1
	s_cselect_b32 s1, -1, 0
.LBB62_1087:
	s_delay_alu instid0(SALU_CYCLE_1)
	s_and_b32 vcc_lo, exec_lo, s1
	s_mov_b32 s1, s11
	s_cbranch_vccnz .LBB62_1148
; %bb.1088:
	s_and_not1_b32 vcc_lo, exec_lo, s2
	s_cbranch_vccnz .LBB62_1090
.LBB62_1089:
	s_wait_loadcnt 0x0
	global_load_u8 v0, v[4:5], off
	s_mov_b32 s2, 0
	s_mov_b32 s15, -1
	v_mov_b32_e32 v1, s2
	s_wait_loadcnt 0x0
	v_cmp_ne_u16_e32 vcc_lo, 0, v0
	v_cndmask_b32_e64 v0, 0, 1, vcc_lo
.LBB62_1090:
	s_branch .LBB62_1024
.LBB62_1091:
	s_cmp_lt_i32 s0, 5
	s_cbranch_scc1 .LBB62_1096
; %bb.1092:
	s_cmp_lt_i32 s0, 8
	s_cbranch_scc1 .LBB62_1097
; %bb.1093:
	;; [unrolled: 3-line block ×3, first 2 shown]
	s_cmp_gt_i32 s0, 9
	s_cbranch_scc0 .LBB62_1099
; %bb.1095:
	s_wait_loadcnt 0x0
	global_load_b64 v[0:1], v[4:5], off
	s_mov_b32 s2, 0
	s_wait_loadcnt 0x0
	v_trunc_f64_e32 v[0:1], v[0:1]
	s_delay_alu instid0(VALU_DEP_1) | instskip(NEXT) | instid1(VALU_DEP_1)
	v_ldexp_f64 v[6:7], v[0:1], 0xffffffe0
	v_floor_f64_e32 v[6:7], v[6:7]
	s_delay_alu instid0(VALU_DEP_1) | instskip(SKIP_1) | instid1(VALU_DEP_2)
	v_fmamk_f64 v[8:9], v[6:7], 0xc1f00000, v[0:1]
	v_cvt_i32_f64_e32 v1, v[6:7]
	v_cvt_u32_f64_e32 v0, v[8:9]
	s_branch .LBB62_1100
.LBB62_1096:
                                        ; implicit-def: $vgpr0_vgpr1
	s_branch .LBB62_1117
.LBB62_1097:
                                        ; implicit-def: $vgpr0_vgpr1
	s_branch .LBB62_1106
.LBB62_1098:
	s_mov_b32 s2, -1
                                        ; implicit-def: $vgpr0_vgpr1
	s_branch .LBB62_1103
.LBB62_1099:
	s_mov_b32 s2, -1
                                        ; implicit-def: $vgpr0_vgpr1
.LBB62_1100:
	s_delay_alu instid0(SALU_CYCLE_1)
	s_and_not1_b32 vcc_lo, exec_lo, s2
	s_cbranch_vccnz .LBB62_1102
; %bb.1101:
	s_wait_loadcnt 0x0
	global_load_b32 v0, v[4:5], off
	s_wait_loadcnt 0x0
	v_trunc_f32_e32 v0, v0
	s_delay_alu instid0(VALU_DEP_1) | instskip(NEXT) | instid1(VALU_DEP_1)
	v_mul_f32_e64 v1, 0x2f800000, |v0|
	v_floor_f32_e32 v1, v1
	s_delay_alu instid0(VALU_DEP_1) | instskip(SKIP_2) | instid1(VALU_DEP_3)
	v_fma_f32 v3, 0xcf800000, v1, |v0|
	v_ashrrev_i32_e32 v0, 31, v0
	v_cvt_u32_f32_e32 v6, v1
	v_cvt_u32_f32_e32 v3, v3
	s_delay_alu instid0(VALU_DEP_2) | instskip(NEXT) | instid1(VALU_DEP_2)
	v_dual_mov_b32 v1, v0 :: v_dual_bitop2_b32 v7, v6, v0 bitop3:0x14
	v_xor_b32_e32 v6, v3, v0
	s_delay_alu instid0(VALU_DEP_1)
	v_sub_nc_u64_e32 v[0:1], v[6:7], v[0:1]
.LBB62_1102:
	s_mov_b32 s2, 0
.LBB62_1103:
	s_delay_alu instid0(SALU_CYCLE_1)
	s_and_not1_b32 vcc_lo, exec_lo, s2
	s_cbranch_vccnz .LBB62_1105
; %bb.1104:
	s_wait_loadcnt 0x0
	global_load_b32 v0, v[4:5], off
	s_wait_loadcnt 0x0
	v_cvt_f32_f16_e32 v0, v0
	s_delay_alu instid0(VALU_DEP_1) | instskip(NEXT) | instid1(VALU_DEP_1)
	v_cvt_i32_f32_e32 v0, v0
	v_ashrrev_i32_e32 v1, 31, v0
.LBB62_1105:
	s_cbranch_execnz .LBB62_1116
.LBB62_1106:
	s_cmp_lt_i32 s0, 6
	s_cbranch_scc1 .LBB62_1109
; %bb.1107:
	s_cmp_gt_i32 s0, 6
	s_cbranch_scc0 .LBB62_1110
; %bb.1108:
	s_wait_loadcnt 0x0
	global_load_b64 v[0:1], v[4:5], off
	s_mov_b32 s2, 0
	s_wait_loadcnt 0x0
	v_trunc_f64_e32 v[0:1], v[0:1]
	s_delay_alu instid0(VALU_DEP_1) | instskip(NEXT) | instid1(VALU_DEP_1)
	v_ldexp_f64 v[6:7], v[0:1], 0xffffffe0
	v_floor_f64_e32 v[6:7], v[6:7]
	s_delay_alu instid0(VALU_DEP_1) | instskip(SKIP_1) | instid1(VALU_DEP_2)
	v_fmamk_f64 v[8:9], v[6:7], 0xc1f00000, v[0:1]
	v_cvt_i32_f64_e32 v1, v[6:7]
	v_cvt_u32_f64_e32 v0, v[8:9]
	s_branch .LBB62_1111
.LBB62_1109:
	s_mov_b32 s2, -1
                                        ; implicit-def: $vgpr0_vgpr1
	s_branch .LBB62_1114
.LBB62_1110:
	s_mov_b32 s2, -1
                                        ; implicit-def: $vgpr0_vgpr1
.LBB62_1111:
	s_delay_alu instid0(SALU_CYCLE_1)
	s_and_not1_b32 vcc_lo, exec_lo, s2
	s_cbranch_vccnz .LBB62_1113
; %bb.1112:
	s_wait_loadcnt 0x0
	global_load_b32 v0, v[4:5], off
	s_wait_loadcnt 0x0
	v_trunc_f32_e32 v0, v0
	s_delay_alu instid0(VALU_DEP_1) | instskip(NEXT) | instid1(VALU_DEP_1)
	v_mul_f32_e64 v1, 0x2f800000, |v0|
	v_floor_f32_e32 v1, v1
	s_delay_alu instid0(VALU_DEP_1) | instskip(SKIP_2) | instid1(VALU_DEP_3)
	v_fma_f32 v3, 0xcf800000, v1, |v0|
	v_ashrrev_i32_e32 v0, 31, v0
	v_cvt_u32_f32_e32 v6, v1
	v_cvt_u32_f32_e32 v3, v3
	s_delay_alu instid0(VALU_DEP_2) | instskip(NEXT) | instid1(VALU_DEP_2)
	v_dual_mov_b32 v1, v0 :: v_dual_bitop2_b32 v7, v6, v0 bitop3:0x14
	v_xor_b32_e32 v6, v3, v0
	s_delay_alu instid0(VALU_DEP_1)
	v_sub_nc_u64_e32 v[0:1], v[6:7], v[0:1]
.LBB62_1113:
	s_mov_b32 s2, 0
.LBB62_1114:
	s_delay_alu instid0(SALU_CYCLE_1)
	s_and_not1_b32 vcc_lo, exec_lo, s2
	s_cbranch_vccnz .LBB62_1116
; %bb.1115:
	s_wait_loadcnt 0x0
	global_load_u16 v0, v[4:5], off
	s_wait_loadcnt 0x0
	v_cvt_f32_f16_e32 v0, v0
	s_delay_alu instid0(VALU_DEP_1) | instskip(NEXT) | instid1(VALU_DEP_1)
	v_cvt_i32_f32_e32 v0, v0
	v_ashrrev_i32_e32 v1, 31, v0
.LBB62_1116:
	s_cbranch_execnz .LBB62_1135
.LBB62_1117:
	s_cmp_lt_i32 s0, 2
	s_cbranch_scc1 .LBB62_1121
; %bb.1118:
	s_cmp_lt_i32 s0, 3
	s_cbranch_scc1 .LBB62_1122
; %bb.1119:
	s_cmp_gt_i32 s0, 3
	s_cbranch_scc0 .LBB62_1123
; %bb.1120:
	s_wait_loadcnt 0x0
	global_load_b64 v[0:1], v[4:5], off
	s_mov_b32 s2, 0
	s_branch .LBB62_1124
.LBB62_1121:
                                        ; implicit-def: $vgpr0_vgpr1
	s_branch .LBB62_1130
.LBB62_1122:
	s_mov_b32 s2, -1
                                        ; implicit-def: $vgpr0_vgpr1
	s_branch .LBB62_1127
.LBB62_1123:
	s_mov_b32 s2, -1
                                        ; implicit-def: $vgpr0_vgpr1
.LBB62_1124:
	s_delay_alu instid0(SALU_CYCLE_1)
	s_and_not1_b32 vcc_lo, exec_lo, s2
	s_cbranch_vccnz .LBB62_1126
; %bb.1125:
	s_wait_loadcnt 0x0
	global_load_b32 v0, v[4:5], off
	s_wait_loadcnt 0x0
	v_ashrrev_i32_e32 v1, 31, v0
.LBB62_1126:
	s_mov_b32 s2, 0
.LBB62_1127:
	s_delay_alu instid0(SALU_CYCLE_1)
	s_and_not1_b32 vcc_lo, exec_lo, s2
	s_cbranch_vccnz .LBB62_1129
; %bb.1128:
	s_wait_loadcnt 0x0
	global_load_u16 v0, v[4:5], off
	s_wait_loadcnt 0x0
	v_bfe_i32 v0, v0, 0, 16
	s_delay_alu instid0(VALU_DEP_1)
	v_ashrrev_i32_e32 v1, 31, v0
.LBB62_1129:
	s_cbranch_execnz .LBB62_1135
.LBB62_1130:
	s_cmp_gt_i32 s0, 0
	s_mov_b32 s2, 0
	s_cbranch_scc0 .LBB62_1132
; %bb.1131:
	s_wait_loadcnt 0x0
	global_load_i8 v0, v[4:5], off
	s_wait_loadcnt 0x0
	v_bfe_i32 v0, v0, 0, 16
	s_delay_alu instid0(VALU_DEP_1)
	v_ashrrev_i32_e32 v1, 31, v0
	s_branch .LBB62_1133
.LBB62_1132:
	s_mov_b32 s2, -1
                                        ; implicit-def: $vgpr0_vgpr1
.LBB62_1133:
	s_delay_alu instid0(SALU_CYCLE_1)
	s_and_not1_b32 vcc_lo, exec_lo, s2
	s_cbranch_vccnz .LBB62_1135
; %bb.1134:
	s_wait_loadcnt 0x0
	global_load_u8 v0, v[4:5], off
	s_mov_b32 s2, 0
	s_delay_alu instid0(SALU_CYCLE_1)
	v_mov_b32_e32 v1, s2
	s_wait_loadcnt 0x0
	v_and_b32_e32 v0, 0xffff, v0
.LBB62_1135:
.LBB62_1136:
	s_lshl_b32 s2, s13, 7
	s_cmp_lt_i32 s0, 11
	s_wait_xcnt 0x0
	v_add_nc_u32_e32 v4, s2, v2
	s_delay_alu instid0(VALU_DEP_1) | instskip(NEXT) | instid1(VALU_DEP_1)
	v_ashrrev_i32_e32 v5, 31, v4
	v_add_nc_u64_e32 v[6:7], s[6:7], v[4:5]
	s_cbranch_scc1 .LBB62_1143
; %bb.1137:
	s_cmp_gt_i32 s0, 25
	s_mov_b32 s15, 0
	s_cbranch_scc0 .LBB62_1145
; %bb.1138:
	s_cmp_gt_i32 s0, 28
	s_cbranch_scc0 .LBB62_1146
; %bb.1139:
	s_cmp_gt_i32 s0, 43
	;; [unrolled: 3-line block ×3, first 2 shown]
	s_cbranch_scc0 .LBB62_1149
; %bb.1141:
	s_cmp_eq_u32 s0, 46
	s_mov_b32 s17, 0
	s_cbranch_scc0 .LBB62_1152
; %bb.1142:
	global_load_b32 v2, v[6:7], off
	s_mov_b32 s13, 0
	s_mov_b32 s16, -1
	s_wait_loadcnt 0x0
	v_lshlrev_b32_e32 v2, 16, v2
	s_delay_alu instid0(VALU_DEP_1) | instskip(NEXT) | instid1(VALU_DEP_1)
	v_trunc_f32_e32 v2, v2
	v_mul_f32_e64 v3, 0x2f800000, |v2|
	s_delay_alu instid0(VALU_DEP_1) | instskip(NEXT) | instid1(VALU_DEP_1)
	v_floor_f32_e32 v3, v3
	v_fma_f32 v5, 0xcf800000, v3, |v2|
	v_ashrrev_i32_e32 v2, 31, v2
	v_cvt_u32_f32_e32 v8, v3
	s_delay_alu instid0(VALU_DEP_3) | instskip(NEXT) | instid1(VALU_DEP_2)
	v_cvt_u32_f32_e32 v5, v5
	v_dual_mov_b32 v3, v2 :: v_dual_bitop2_b32 v9, v8, v2 bitop3:0x14
	s_delay_alu instid0(VALU_DEP_2) | instskip(NEXT) | instid1(VALU_DEP_1)
	v_xor_b32_e32 v8, v5, v2
	v_sub_nc_u64_e32 v[2:3], v[8:9], v[2:3]
	s_branch .LBB62_1154
.LBB62_1143:
	s_mov_b32 s16, 0
                                        ; implicit-def: $vgpr2_vgpr3
	s_cbranch_execnz .LBB62_1215
.LBB62_1144:
	s_and_not1_b32 vcc_lo, exec_lo, s16
	s_cbranch_vccnz .LBB62_1947
	s_branch .LBB62_1262
.LBB62_1145:
	s_mov_b32 s16, 0
	s_mov_b32 s13, 0
                                        ; implicit-def: $vgpr2_vgpr3
	s_cbranch_execnz .LBB62_1181
	s_branch .LBB62_1211
.LBB62_1146:
	s_mov_b32 s17, -1
	s_mov_b32 s16, 0
	s_mov_b32 s13, 0
                                        ; implicit-def: $vgpr2_vgpr3
	s_branch .LBB62_1164
.LBB62_1147:
	s_mov_b32 s17, -1
	s_mov_b32 s16, 0
	s_mov_b32 s13, 0
                                        ; implicit-def: $vgpr2_vgpr3
	s_branch .LBB62_1159
.LBB62_1148:
	s_or_b32 s1, s11, exec_lo
	s_trap 2
	s_cbranch_execz .LBB62_1089
	s_branch .LBB62_1090
.LBB62_1149:
	s_mov_b32 s17, -1
	s_mov_b32 s16, 0
	s_mov_b32 s13, 0
	s_branch .LBB62_1153
.LBB62_1150:
	s_and_not1_saveexec_b32 s23, s23
	s_cbranch_execz .LBB62_940
.LBB62_1151:
	v_add_f32_e32 v2, 0x42800000, v3
	s_and_not1_b32 s22, s22, exec_lo
	s_delay_alu instid0(VALU_DEP_1) | instskip(NEXT) | instid1(VALU_DEP_1)
	v_and_b32_e32 v2, 0xff, v2
	v_cmp_ne_u32_e32 vcc_lo, 0, v2
	s_and_b32 s24, vcc_lo, exec_lo
	s_delay_alu instid0(SALU_CYCLE_1)
	s_or_b32 s22, s22, s24
	s_or_b32 exec_lo, exec_lo, s23
	v_mov_b32_e32 v4, 0
	s_and_saveexec_b32 s23, s22
	s_cbranch_execnz .LBB62_941
	s_branch .LBB62_942
.LBB62_1152:
	s_mov_b32 s13, -1
	s_mov_b32 s16, 0
.LBB62_1153:
                                        ; implicit-def: $vgpr2_vgpr3
.LBB62_1154:
	s_and_b32 vcc_lo, exec_lo, s17
	s_cbranch_vccz .LBB62_1158
; %bb.1155:
	s_cmp_eq_u32 s0, 44
	s_cbranch_scc0 .LBB62_1157
; %bb.1156:
	global_load_u8 v5, v[6:7], off
	s_mov_b32 s13, 0
	s_mov_b32 s16, -1
	s_wait_loadcnt 0x0
	v_cmp_ne_u32_e32 vcc_lo, 0, v5
	v_lshlrev_b32_e32 v2, 23, v5
	s_delay_alu instid0(VALU_DEP_1) | instskip(NEXT) | instid1(VALU_DEP_1)
	v_trunc_f32_e32 v2, v2
	v_mul_f32_e64 v3, 0x2f800000, |v2|
	s_delay_alu instid0(VALU_DEP_1) | instskip(NEXT) | instid1(VALU_DEP_1)
	v_floor_f32_e32 v3, v3
	v_fma_f32 v8, 0xcf800000, v3, |v2|
	v_ashrrev_i32_e32 v2, 31, v2
	v_cvt_u32_f32_e32 v9, v3
	s_delay_alu instid0(VALU_DEP_3) | instskip(NEXT) | instid1(VALU_DEP_2)
	v_cvt_u32_f32_e32 v8, v8
	v_dual_mov_b32 v3, v2 :: v_dual_bitop2_b32 v9, v9, v2 bitop3:0x14
	s_delay_alu instid0(VALU_DEP_2) | instskip(NEXT) | instid1(VALU_DEP_1)
	v_xor_b32_e32 v8, v8, v2
	v_sub_nc_u64_e32 v[2:3], v[8:9], v[2:3]
	s_delay_alu instid0(VALU_DEP_1)
	v_dual_cndmask_b32 v3, 0, v3 :: v_dual_cndmask_b32 v2, 0, v2
	s_branch .LBB62_1158
.LBB62_1157:
	s_mov_b32 s13, -1
                                        ; implicit-def: $vgpr2_vgpr3
.LBB62_1158:
	s_mov_b32 s17, 0
.LBB62_1159:
	s_delay_alu instid0(SALU_CYCLE_1)
	s_and_b32 vcc_lo, exec_lo, s17
	s_cbranch_vccz .LBB62_1163
; %bb.1160:
	s_cmp_eq_u32 s0, 29
	s_cbranch_scc0 .LBB62_1162
; %bb.1161:
	global_load_b64 v[2:3], v[6:7], off
	s_mov_b32 s13, 0
	s_mov_b32 s16, -1
	s_branch .LBB62_1163
.LBB62_1162:
	s_mov_b32 s13, -1
                                        ; implicit-def: $vgpr2_vgpr3
.LBB62_1163:
	s_mov_b32 s17, 0
.LBB62_1164:
	s_delay_alu instid0(SALU_CYCLE_1)
	s_and_b32 vcc_lo, exec_lo, s17
	s_cbranch_vccz .LBB62_1180
; %bb.1165:
	s_cmp_lt_i32 s0, 27
	s_cbranch_scc1 .LBB62_1168
; %bb.1166:
	s_cmp_gt_i32 s0, 27
	s_cbranch_scc0 .LBB62_1169
; %bb.1167:
	s_wait_loadcnt 0x0
	global_load_b32 v2, v[6:7], off
	v_mov_b32_e32 v3, 0
	s_mov_b32 s16, 0
	s_branch .LBB62_1170
.LBB62_1168:
	s_mov_b32 s16, -1
                                        ; implicit-def: $vgpr2_vgpr3
	s_branch .LBB62_1173
.LBB62_1169:
	s_mov_b32 s16, -1
                                        ; implicit-def: $vgpr2_vgpr3
.LBB62_1170:
	s_delay_alu instid0(SALU_CYCLE_1)
	s_and_not1_b32 vcc_lo, exec_lo, s16
	s_cbranch_vccnz .LBB62_1172
; %bb.1171:
	s_wait_loadcnt 0x0
	global_load_u16 v2, v[6:7], off
	s_mov_b32 s16, 0
	s_delay_alu instid0(SALU_CYCLE_1)
	v_mov_b32_e32 v3, s16
	s_wait_loadcnt 0x0
	v_and_b32_e32 v2, 0xffff, v2
.LBB62_1172:
	s_mov_b32 s16, 0
.LBB62_1173:
	s_delay_alu instid0(SALU_CYCLE_1)
	s_and_not1_b32 vcc_lo, exec_lo, s16
	s_cbranch_vccnz .LBB62_1179
; %bb.1174:
	global_load_u8 v5, v[6:7], off
	s_mov_b32 s17, 0
	s_mov_b32 s16, exec_lo
	s_wait_loadcnt 0x0
	v_cmpx_lt_i16_e32 0x7f, v5
	s_xor_b32 s16, exec_lo, s16
	s_cbranch_execz .LBB62_1190
; %bb.1175:
	v_cmp_ne_u16_e32 vcc_lo, 0x80, v5
	s_and_b32 s17, vcc_lo, exec_lo
	s_and_not1_saveexec_b32 s16, s16
	s_cbranch_execnz .LBB62_1191
.LBB62_1176:
	s_or_b32 exec_lo, exec_lo, s16
	v_mov_b64_e32 v[2:3], 0
	s_and_saveexec_b32 s16, s17
	s_cbranch_execz .LBB62_1178
.LBB62_1177:
	v_and_b32_e32 v2, 0xffff, v5
	s_delay_alu instid0(VALU_DEP_1) | instskip(SKIP_1) | instid1(VALU_DEP_2)
	v_and_b32_e32 v3, 7, v2
	v_bfe_u32 v11, v2, 3, 4
	v_clz_i32_u32_e32 v8, v3
	s_delay_alu instid0(VALU_DEP_2) | instskip(NEXT) | instid1(VALU_DEP_2)
	v_cmp_eq_u32_e32 vcc_lo, 0, v11
	v_min_u32_e32 v8, 32, v8
	s_delay_alu instid0(VALU_DEP_1) | instskip(NEXT) | instid1(VALU_DEP_1)
	v_subrev_nc_u32_e32 v9, 28, v8
	v_dual_lshlrev_b32 v2, v9, v2 :: v_dual_sub_nc_u32 v8, 29, v8
	s_delay_alu instid0(VALU_DEP_1) | instskip(NEXT) | instid1(VALU_DEP_2)
	v_dual_lshlrev_b32 v5, 24, v5 :: v_dual_bitop2_b32 v2, 7, v2 bitop3:0x40
	v_cndmask_b32_e32 v8, v11, v8, vcc_lo
	s_delay_alu instid0(VALU_DEP_2) | instskip(NEXT) | instid1(VALU_DEP_3)
	v_cndmask_b32_e32 v2, v3, v2, vcc_lo
	v_and_b32_e32 v3, 0x80000000, v5
	s_delay_alu instid0(VALU_DEP_3) | instskip(NEXT) | instid1(VALU_DEP_3)
	v_lshl_add_u32 v5, v8, 23, 0x3b800000
	v_lshlrev_b32_e32 v2, 20, v2
	s_delay_alu instid0(VALU_DEP_1) | instskip(NEXT) | instid1(VALU_DEP_1)
	v_or3_b32 v2, v3, v5, v2
	v_trunc_f32_e32 v2, v2
	s_delay_alu instid0(VALU_DEP_1) | instskip(NEXT) | instid1(VALU_DEP_1)
	v_mul_f32_e64 v3, 0x2f800000, |v2|
	v_floor_f32_e32 v3, v3
	s_delay_alu instid0(VALU_DEP_1) | instskip(SKIP_2) | instid1(VALU_DEP_3)
	v_fma_f32 v5, 0xcf800000, v3, |v2|
	v_ashrrev_i32_e32 v2, 31, v2
	v_cvt_u32_f32_e32 v8, v3
	v_cvt_u32_f32_e32 v5, v5
	s_delay_alu instid0(VALU_DEP_2) | instskip(NEXT) | instid1(VALU_DEP_2)
	v_dual_mov_b32 v3, v2 :: v_dual_bitop2_b32 v9, v8, v2 bitop3:0x14
	v_xor_b32_e32 v8, v5, v2
	s_delay_alu instid0(VALU_DEP_1)
	v_sub_nc_u64_e32 v[2:3], v[8:9], v[2:3]
.LBB62_1178:
	s_or_b32 exec_lo, exec_lo, s16
.LBB62_1179:
	s_mov_b32 s16, -1
.LBB62_1180:
	s_branch .LBB62_1211
.LBB62_1181:
	s_cmp_gt_i32 s0, 22
	s_cbranch_scc0 .LBB62_1189
; %bb.1182:
	s_cmp_lt_i32 s0, 24
	s_cbranch_scc1 .LBB62_1192
; %bb.1183:
	s_cmp_gt_i32 s0, 24
	s_cbranch_scc0 .LBB62_1193
; %bb.1184:
	global_load_u8 v5, v[6:7], off
	s_mov_b32 s16, 0
	s_mov_b32 s15, exec_lo
	s_wait_loadcnt 0x0
	v_cmpx_lt_i16_e32 0x7f, v5
	s_xor_b32 s15, exec_lo, s15
	s_cbranch_execz .LBB62_1205
; %bb.1185:
	v_cmp_ne_u16_e32 vcc_lo, 0x80, v5
	s_and_b32 s16, vcc_lo, exec_lo
	s_and_not1_saveexec_b32 s15, s15
	s_cbranch_execnz .LBB62_1206
.LBB62_1186:
	s_or_b32 exec_lo, exec_lo, s15
	v_mov_b64_e32 v[2:3], 0
	s_and_saveexec_b32 s15, s16
	s_cbranch_execz .LBB62_1188
.LBB62_1187:
	v_and_b32_e32 v2, 0xffff, v5
	s_delay_alu instid0(VALU_DEP_1) | instskip(SKIP_1) | instid1(VALU_DEP_2)
	v_and_b32_e32 v3, 3, v2
	v_bfe_u32 v11, v2, 2, 5
	v_clz_i32_u32_e32 v8, v3
	s_delay_alu instid0(VALU_DEP_2) | instskip(NEXT) | instid1(VALU_DEP_2)
	v_cmp_eq_u32_e32 vcc_lo, 0, v11
	v_min_u32_e32 v8, 32, v8
	s_delay_alu instid0(VALU_DEP_1) | instskip(NEXT) | instid1(VALU_DEP_1)
	v_subrev_nc_u32_e32 v9, 29, v8
	v_dual_lshlrev_b32 v2, v9, v2 :: v_dual_sub_nc_u32 v8, 30, v8
	s_delay_alu instid0(VALU_DEP_1) | instskip(NEXT) | instid1(VALU_DEP_2)
	v_dual_lshlrev_b32 v5, 24, v5 :: v_dual_bitop2_b32 v2, 3, v2 bitop3:0x40
	v_cndmask_b32_e32 v8, v11, v8, vcc_lo
	s_delay_alu instid0(VALU_DEP_2) | instskip(NEXT) | instid1(VALU_DEP_3)
	v_cndmask_b32_e32 v2, v3, v2, vcc_lo
	v_and_b32_e32 v3, 0x80000000, v5
	s_delay_alu instid0(VALU_DEP_3) | instskip(NEXT) | instid1(VALU_DEP_3)
	v_lshl_add_u32 v5, v8, 23, 0x37800000
	v_lshlrev_b32_e32 v2, 21, v2
	s_delay_alu instid0(VALU_DEP_1) | instskip(NEXT) | instid1(VALU_DEP_1)
	v_or3_b32 v2, v3, v5, v2
	v_trunc_f32_e32 v2, v2
	s_delay_alu instid0(VALU_DEP_1) | instskip(NEXT) | instid1(VALU_DEP_1)
	v_mul_f32_e64 v3, 0x2f800000, |v2|
	v_floor_f32_e32 v3, v3
	s_delay_alu instid0(VALU_DEP_1) | instskip(SKIP_2) | instid1(VALU_DEP_3)
	v_fma_f32 v5, 0xcf800000, v3, |v2|
	v_ashrrev_i32_e32 v2, 31, v2
	v_cvt_u32_f32_e32 v8, v3
	v_cvt_u32_f32_e32 v5, v5
	s_delay_alu instid0(VALU_DEP_2) | instskip(NEXT) | instid1(VALU_DEP_2)
	v_dual_mov_b32 v3, v2 :: v_dual_bitop2_b32 v9, v8, v2 bitop3:0x14
	v_xor_b32_e32 v8, v5, v2
	s_delay_alu instid0(VALU_DEP_1)
	v_sub_nc_u64_e32 v[2:3], v[8:9], v[2:3]
.LBB62_1188:
	s_or_b32 exec_lo, exec_lo, s15
	s_mov_b32 s15, 0
	s_branch .LBB62_1194
.LBB62_1189:
	s_mov_b32 s15, -1
                                        ; implicit-def: $vgpr2_vgpr3
	s_branch .LBB62_1200
.LBB62_1190:
	s_and_not1_saveexec_b32 s16, s16
	s_cbranch_execz .LBB62_1176
.LBB62_1191:
	v_cmp_ne_u16_e32 vcc_lo, 0, v5
	s_and_not1_b32 s17, s17, exec_lo
	s_and_b32 s18, vcc_lo, exec_lo
	s_delay_alu instid0(SALU_CYCLE_1)
	s_or_b32 s17, s17, s18
	s_or_b32 exec_lo, exec_lo, s16
	v_mov_b64_e32 v[2:3], 0
	s_and_saveexec_b32 s16, s17
	s_cbranch_execnz .LBB62_1177
	s_branch .LBB62_1178
.LBB62_1192:
	s_mov_b32 s15, -1
                                        ; implicit-def: $vgpr2_vgpr3
	s_branch .LBB62_1197
.LBB62_1193:
	s_mov_b32 s15, -1
                                        ; implicit-def: $vgpr2_vgpr3
.LBB62_1194:
	s_delay_alu instid0(SALU_CYCLE_1)
	s_and_b32 vcc_lo, exec_lo, s15
	s_cbranch_vccz .LBB62_1196
; %bb.1195:
	s_wait_loadcnt 0x0
	global_load_u8 v2, v[6:7], off
	s_wait_loadcnt 0x0
	v_lshlrev_b32_e32 v2, 24, v2
	s_delay_alu instid0(VALU_DEP_1) | instskip(NEXT) | instid1(VALU_DEP_1)
	v_and_b32_e32 v3, 0x7f000000, v2
	v_clz_i32_u32_e32 v5, v3
	v_add_nc_u32_e32 v9, 0x1000000, v3
	v_cmp_ne_u32_e32 vcc_lo, 0, v3
	s_delay_alu instid0(VALU_DEP_3) | instskip(NEXT) | instid1(VALU_DEP_1)
	v_min_u32_e32 v5, 32, v5
	v_sub_nc_u32_e64 v5, v5, 4 clamp
	s_delay_alu instid0(VALU_DEP_1) | instskip(NEXT) | instid1(VALU_DEP_1)
	v_dual_lshlrev_b32 v8, v5, v3 :: v_dual_lshlrev_b32 v5, 23, v5
	v_lshrrev_b32_e32 v8, 4, v8
	s_delay_alu instid0(VALU_DEP_1) | instskip(SKIP_1) | instid1(VALU_DEP_2)
	v_sub_nc_u32_e32 v5, v8, v5
	v_ashrrev_i32_e32 v8, 8, v9
	v_add_nc_u32_e32 v5, 0x3c000000, v5
	s_delay_alu instid0(VALU_DEP_1) | instskip(NEXT) | instid1(VALU_DEP_1)
	v_and_or_b32 v5, 0x7f800000, v8, v5
	v_cndmask_b32_e32 v3, 0, v5, vcc_lo
	s_delay_alu instid0(VALU_DEP_1) | instskip(NEXT) | instid1(VALU_DEP_1)
	v_and_or_b32 v2, 0x80000000, v2, v3
	v_trunc_f32_e32 v2, v2
	s_delay_alu instid0(VALU_DEP_1) | instskip(NEXT) | instid1(VALU_DEP_1)
	v_mul_f32_e64 v3, 0x2f800000, |v2|
	v_floor_f32_e32 v3, v3
	s_delay_alu instid0(VALU_DEP_1) | instskip(SKIP_2) | instid1(VALU_DEP_3)
	v_fma_f32 v5, 0xcf800000, v3, |v2|
	v_ashrrev_i32_e32 v2, 31, v2
	v_cvt_u32_f32_e32 v8, v3
	v_cvt_u32_f32_e32 v5, v5
	s_delay_alu instid0(VALU_DEP_2) | instskip(NEXT) | instid1(VALU_DEP_2)
	v_dual_mov_b32 v3, v2 :: v_dual_bitop2_b32 v9, v8, v2 bitop3:0x14
	v_xor_b32_e32 v8, v5, v2
	s_delay_alu instid0(VALU_DEP_1)
	v_sub_nc_u64_e32 v[2:3], v[8:9], v[2:3]
.LBB62_1196:
	s_mov_b32 s15, 0
.LBB62_1197:
	s_delay_alu instid0(SALU_CYCLE_1)
	s_and_not1_b32 vcc_lo, exec_lo, s15
	s_cbranch_vccnz .LBB62_1199
; %bb.1198:
	s_wait_loadcnt 0x0
	global_load_u8 v2, v[6:7], off
	s_wait_loadcnt 0x0
	v_lshlrev_b32_e32 v3, 25, v2
	v_lshlrev_b16 v2, 8, v2
	s_delay_alu instid0(VALU_DEP_1) | instskip(SKIP_1) | instid1(VALU_DEP_2)
	v_and_or_b32 v8, 0x7f00, v2, 0.5
	v_bfe_i32 v2, v2, 0, 16
	v_dual_add_f32 v8, -0.5, v8 :: v_dual_lshrrev_b32 v5, 4, v3
	v_cmp_gt_u32_e32 vcc_lo, 0x8000000, v3
	s_delay_alu instid0(VALU_DEP_2) | instskip(NEXT) | instid1(VALU_DEP_1)
	v_or_b32_e32 v5, 0x70000000, v5
	v_mul_f32_e32 v5, 0x7800000, v5
	s_delay_alu instid0(VALU_DEP_1) | instskip(NEXT) | instid1(VALU_DEP_1)
	v_cndmask_b32_e32 v3, v5, v8, vcc_lo
	v_and_or_b32 v2, 0x80000000, v2, v3
	s_delay_alu instid0(VALU_DEP_1) | instskip(NEXT) | instid1(VALU_DEP_1)
	v_trunc_f32_e32 v2, v2
	v_mul_f32_e64 v3, 0x2f800000, |v2|
	s_delay_alu instid0(VALU_DEP_1) | instskip(NEXT) | instid1(VALU_DEP_1)
	v_floor_f32_e32 v3, v3
	v_fma_f32 v5, 0xcf800000, v3, |v2|
	v_ashrrev_i32_e32 v2, 31, v2
	v_cvt_u32_f32_e32 v8, v3
	s_delay_alu instid0(VALU_DEP_3) | instskip(NEXT) | instid1(VALU_DEP_2)
	v_cvt_u32_f32_e32 v5, v5
	v_dual_mov_b32 v3, v2 :: v_dual_bitop2_b32 v9, v8, v2 bitop3:0x14
	s_delay_alu instid0(VALU_DEP_2) | instskip(NEXT) | instid1(VALU_DEP_1)
	v_xor_b32_e32 v8, v5, v2
	v_sub_nc_u64_e32 v[2:3], v[8:9], v[2:3]
.LBB62_1199:
	s_mov_b32 s15, 0
	s_mov_b32 s16, -1
.LBB62_1200:
	s_and_not1_b32 vcc_lo, exec_lo, s15
	s_mov_b32 s15, 0
	s_cbranch_vccnz .LBB62_1211
; %bb.1201:
	s_cmp_gt_i32 s0, 14
	s_cbranch_scc0 .LBB62_1204
; %bb.1202:
	s_cmp_eq_u32 s0, 15
	s_cbranch_scc0 .LBB62_1207
; %bb.1203:
	s_wait_loadcnt 0x0
	global_load_u16 v2, v[6:7], off
	s_mov_b32 s13, 0
	s_mov_b32 s16, -1
	s_wait_loadcnt 0x0
	v_lshlrev_b32_e32 v2, 16, v2
	s_delay_alu instid0(VALU_DEP_1) | instskip(NEXT) | instid1(VALU_DEP_1)
	v_trunc_f32_e32 v2, v2
	v_mul_f32_e64 v3, 0x2f800000, |v2|
	s_delay_alu instid0(VALU_DEP_1) | instskip(NEXT) | instid1(VALU_DEP_1)
	v_floor_f32_e32 v3, v3
	v_fma_f32 v5, 0xcf800000, v3, |v2|
	v_ashrrev_i32_e32 v2, 31, v2
	v_cvt_u32_f32_e32 v8, v3
	s_delay_alu instid0(VALU_DEP_3) | instskip(NEXT) | instid1(VALU_DEP_2)
	v_cvt_u32_f32_e32 v5, v5
	v_dual_mov_b32 v3, v2 :: v_dual_bitop2_b32 v9, v8, v2 bitop3:0x14
	s_delay_alu instid0(VALU_DEP_2) | instskip(NEXT) | instid1(VALU_DEP_1)
	v_xor_b32_e32 v8, v5, v2
	v_sub_nc_u64_e32 v[2:3], v[8:9], v[2:3]
	s_branch .LBB62_1209
.LBB62_1204:
	s_mov_b32 s15, -1
	s_branch .LBB62_1208
.LBB62_1205:
	s_and_not1_saveexec_b32 s15, s15
	s_cbranch_execz .LBB62_1186
.LBB62_1206:
	v_cmp_ne_u16_e32 vcc_lo, 0, v5
	s_and_not1_b32 s16, s16, exec_lo
	s_and_b32 s17, vcc_lo, exec_lo
	s_delay_alu instid0(SALU_CYCLE_1)
	s_or_b32 s16, s16, s17
	s_or_b32 exec_lo, exec_lo, s15
	v_mov_b64_e32 v[2:3], 0
	s_and_saveexec_b32 s15, s16
	s_cbranch_execnz .LBB62_1187
	s_branch .LBB62_1188
.LBB62_1207:
	s_mov_b32 s13, -1
.LBB62_1208:
                                        ; implicit-def: $vgpr2_vgpr3
.LBB62_1209:
	s_and_b32 vcc_lo, exec_lo, s15
	s_mov_b32 s15, 0
	s_cbranch_vccz .LBB62_1211
; %bb.1210:
	s_cmp_lg_u32 s0, 11
	s_mov_b32 s15, -1
	s_cselect_b32 s13, -1, 0
.LBB62_1211:
	s_delay_alu instid0(SALU_CYCLE_1)
	s_and_b32 vcc_lo, exec_lo, s13
	s_cbranch_vccnz .LBB62_1274
; %bb.1212:
	s_and_not1_b32 vcc_lo, exec_lo, s15
	s_cbranch_vccnz .LBB62_1214
.LBB62_1213:
	s_wait_loadcnt 0x0
	global_load_u8 v2, v[6:7], off
	s_mov_b32 s13, 0
	s_mov_b32 s16, -1
	v_mov_b32_e32 v3, s13
	s_wait_loadcnt 0x0
	v_cmp_ne_u16_e32 vcc_lo, 0, v2
	v_cndmask_b32_e64 v2, 0, 1, vcc_lo
.LBB62_1214:
	s_branch .LBB62_1144
.LBB62_1215:
	s_cmp_lt_i32 s0, 5
	s_cbranch_scc1 .LBB62_1220
; %bb.1216:
	s_cmp_lt_i32 s0, 8
	s_cbranch_scc1 .LBB62_1221
; %bb.1217:
	;; [unrolled: 3-line block ×3, first 2 shown]
	s_cmp_gt_i32 s0, 9
	s_cbranch_scc0 .LBB62_1223
; %bb.1219:
	s_wait_loadcnt 0x0
	global_load_b64 v[2:3], v[6:7], off
	s_mov_b32 s13, 0
	s_wait_loadcnt 0x0
	v_trunc_f64_e32 v[2:3], v[2:3]
	s_delay_alu instid0(VALU_DEP_1) | instskip(NEXT) | instid1(VALU_DEP_1)
	v_ldexp_f64 v[8:9], v[2:3], 0xffffffe0
	v_floor_f64_e32 v[8:9], v[8:9]
	s_delay_alu instid0(VALU_DEP_1) | instskip(SKIP_1) | instid1(VALU_DEP_2)
	v_fmamk_f64 v[12:13], v[8:9], 0xc1f00000, v[2:3]
	v_cvt_i32_f64_e32 v3, v[8:9]
	v_cvt_u32_f64_e32 v2, v[12:13]
	s_branch .LBB62_1224
.LBB62_1220:
                                        ; implicit-def: $vgpr2_vgpr3
	s_branch .LBB62_1242
.LBB62_1221:
	s_mov_b32 s13, -1
                                        ; implicit-def: $vgpr2_vgpr3
	s_branch .LBB62_1230
.LBB62_1222:
	s_mov_b32 s13, -1
                                        ; implicit-def: $vgpr2_vgpr3
	s_branch .LBB62_1227
.LBB62_1223:
	s_mov_b32 s13, -1
                                        ; implicit-def: $vgpr2_vgpr3
.LBB62_1224:
	s_delay_alu instid0(SALU_CYCLE_1)
	s_and_not1_b32 vcc_lo, exec_lo, s13
	s_cbranch_vccnz .LBB62_1226
; %bb.1225:
	s_wait_loadcnt 0x0
	global_load_b32 v2, v[6:7], off
	s_wait_loadcnt 0x0
	v_trunc_f32_e32 v2, v2
	s_delay_alu instid0(VALU_DEP_1) | instskip(NEXT) | instid1(VALU_DEP_1)
	v_mul_f32_e64 v3, 0x2f800000, |v2|
	v_floor_f32_e32 v3, v3
	s_delay_alu instid0(VALU_DEP_1) | instskip(SKIP_2) | instid1(VALU_DEP_3)
	v_fma_f32 v5, 0xcf800000, v3, |v2|
	v_ashrrev_i32_e32 v2, 31, v2
	v_cvt_u32_f32_e32 v8, v3
	v_cvt_u32_f32_e32 v5, v5
	s_delay_alu instid0(VALU_DEP_2) | instskip(NEXT) | instid1(VALU_DEP_2)
	v_dual_mov_b32 v3, v2 :: v_dual_bitop2_b32 v9, v8, v2 bitop3:0x14
	v_xor_b32_e32 v8, v5, v2
	s_delay_alu instid0(VALU_DEP_1)
	v_sub_nc_u64_e32 v[2:3], v[8:9], v[2:3]
.LBB62_1226:
	s_mov_b32 s13, 0
.LBB62_1227:
	s_delay_alu instid0(SALU_CYCLE_1)
	s_and_not1_b32 vcc_lo, exec_lo, s13
	s_cbranch_vccnz .LBB62_1229
; %bb.1228:
	s_wait_loadcnt 0x0
	global_load_b32 v2, v[6:7], off
	s_wait_loadcnt 0x0
	v_cvt_f32_f16_e32 v2, v2
	s_delay_alu instid0(VALU_DEP_1) | instskip(NEXT) | instid1(VALU_DEP_1)
	v_cvt_i32_f32_e32 v2, v2
	v_ashrrev_i32_e32 v3, 31, v2
.LBB62_1229:
	s_mov_b32 s13, 0
.LBB62_1230:
	s_delay_alu instid0(SALU_CYCLE_1)
	s_and_not1_b32 vcc_lo, exec_lo, s13
	s_cbranch_vccnz .LBB62_1241
; %bb.1231:
	s_cmp_lt_i32 s0, 6
	s_cbranch_scc1 .LBB62_1234
; %bb.1232:
	s_cmp_gt_i32 s0, 6
	s_cbranch_scc0 .LBB62_1235
; %bb.1233:
	s_wait_loadcnt 0x0
	global_load_b64 v[2:3], v[6:7], off
	s_mov_b32 s13, 0
	s_wait_loadcnt 0x0
	v_trunc_f64_e32 v[2:3], v[2:3]
	s_delay_alu instid0(VALU_DEP_1) | instskip(NEXT) | instid1(VALU_DEP_1)
	v_ldexp_f64 v[8:9], v[2:3], 0xffffffe0
	v_floor_f64_e32 v[8:9], v[8:9]
	s_delay_alu instid0(VALU_DEP_1) | instskip(SKIP_1) | instid1(VALU_DEP_2)
	v_fmamk_f64 v[12:13], v[8:9], 0xc1f00000, v[2:3]
	v_cvt_i32_f64_e32 v3, v[8:9]
	v_cvt_u32_f64_e32 v2, v[12:13]
	s_branch .LBB62_1236
.LBB62_1234:
	s_mov_b32 s13, -1
                                        ; implicit-def: $vgpr2_vgpr3
	s_branch .LBB62_1239
.LBB62_1235:
	s_mov_b32 s13, -1
                                        ; implicit-def: $vgpr2_vgpr3
.LBB62_1236:
	s_delay_alu instid0(SALU_CYCLE_1)
	s_and_not1_b32 vcc_lo, exec_lo, s13
	s_cbranch_vccnz .LBB62_1238
; %bb.1237:
	s_wait_loadcnt 0x0
	global_load_b32 v2, v[6:7], off
	s_wait_loadcnt 0x0
	v_trunc_f32_e32 v2, v2
	s_delay_alu instid0(VALU_DEP_1) | instskip(NEXT) | instid1(VALU_DEP_1)
	v_mul_f32_e64 v3, 0x2f800000, |v2|
	v_floor_f32_e32 v3, v3
	s_delay_alu instid0(VALU_DEP_1) | instskip(SKIP_2) | instid1(VALU_DEP_3)
	v_fma_f32 v5, 0xcf800000, v3, |v2|
	v_ashrrev_i32_e32 v2, 31, v2
	v_cvt_u32_f32_e32 v8, v3
	v_cvt_u32_f32_e32 v5, v5
	s_delay_alu instid0(VALU_DEP_2) | instskip(NEXT) | instid1(VALU_DEP_2)
	v_dual_mov_b32 v3, v2 :: v_dual_bitop2_b32 v9, v8, v2 bitop3:0x14
	v_xor_b32_e32 v8, v5, v2
	s_delay_alu instid0(VALU_DEP_1)
	v_sub_nc_u64_e32 v[2:3], v[8:9], v[2:3]
.LBB62_1238:
	s_mov_b32 s13, 0
.LBB62_1239:
	s_delay_alu instid0(SALU_CYCLE_1)
	s_and_not1_b32 vcc_lo, exec_lo, s13
	s_cbranch_vccnz .LBB62_1241
; %bb.1240:
	s_wait_loadcnt 0x0
	global_load_u16 v2, v[6:7], off
	s_wait_loadcnt 0x0
	v_cvt_f32_f16_e32 v2, v2
	s_delay_alu instid0(VALU_DEP_1) | instskip(NEXT) | instid1(VALU_DEP_1)
	v_cvt_i32_f32_e32 v2, v2
	v_ashrrev_i32_e32 v3, 31, v2
.LBB62_1241:
	s_cbranch_execnz .LBB62_1261
.LBB62_1242:
	s_cmp_lt_i32 s0, 2
	s_cbranch_scc1 .LBB62_1246
; %bb.1243:
	s_cmp_lt_i32 s0, 3
	s_cbranch_scc1 .LBB62_1247
; %bb.1244:
	s_cmp_gt_i32 s0, 3
	s_cbranch_scc0 .LBB62_1248
; %bb.1245:
	s_wait_loadcnt 0x0
	global_load_b64 v[2:3], v[6:7], off
	s_mov_b32 s13, 0
	s_branch .LBB62_1249
.LBB62_1246:
	s_mov_b32 s13, -1
                                        ; implicit-def: $vgpr2_vgpr3
	s_branch .LBB62_1255
.LBB62_1247:
	s_mov_b32 s13, -1
                                        ; implicit-def: $vgpr2_vgpr3
	s_branch .LBB62_1252
.LBB62_1248:
	s_mov_b32 s13, -1
                                        ; implicit-def: $vgpr2_vgpr3
.LBB62_1249:
	s_delay_alu instid0(SALU_CYCLE_1)
	s_and_not1_b32 vcc_lo, exec_lo, s13
	s_cbranch_vccnz .LBB62_1251
; %bb.1250:
	s_wait_loadcnt 0x0
	global_load_b32 v2, v[6:7], off
	s_wait_loadcnt 0x0
	v_ashrrev_i32_e32 v3, 31, v2
.LBB62_1251:
	s_mov_b32 s13, 0
.LBB62_1252:
	s_delay_alu instid0(SALU_CYCLE_1)
	s_and_not1_b32 vcc_lo, exec_lo, s13
	s_cbranch_vccnz .LBB62_1254
; %bb.1253:
	s_wait_loadcnt 0x0
	global_load_u16 v2, v[6:7], off
	s_wait_loadcnt 0x0
	v_bfe_i32 v2, v2, 0, 16
	s_delay_alu instid0(VALU_DEP_1)
	v_ashrrev_i32_e32 v3, 31, v2
.LBB62_1254:
	s_mov_b32 s13, 0
.LBB62_1255:
	s_delay_alu instid0(SALU_CYCLE_1)
	s_and_not1_b32 vcc_lo, exec_lo, s13
	s_cbranch_vccnz .LBB62_1261
; %bb.1256:
	s_cmp_gt_i32 s0, 0
	s_mov_b32 s13, 0
	s_cbranch_scc0 .LBB62_1258
; %bb.1257:
	s_wait_loadcnt 0x0
	global_load_i8 v2, v[6:7], off
	s_wait_loadcnt 0x0
	v_bfe_i32 v2, v2, 0, 16
	s_delay_alu instid0(VALU_DEP_1)
	v_ashrrev_i32_e32 v3, 31, v2
	s_branch .LBB62_1259
.LBB62_1258:
	s_mov_b32 s13, -1
                                        ; implicit-def: $vgpr2_vgpr3
.LBB62_1259:
	s_delay_alu instid0(SALU_CYCLE_1)
	s_and_not1_b32 vcc_lo, exec_lo, s13
	s_cbranch_vccnz .LBB62_1261
; %bb.1260:
	s_wait_loadcnt 0x0
	global_load_u8 v2, v[6:7], off
	s_mov_b32 s13, 0
	s_delay_alu instid0(SALU_CYCLE_1)
	v_mov_b32_e32 v3, s13
	s_wait_loadcnt 0x0
	v_and_b32_e32 v2, 0xffff, v2
.LBB62_1261:
.LBB62_1262:
	s_wait_xcnt 0x0
	v_add_nc_u32_e32 v6, s2, v4
	s_cmp_lt_i32 s0, 11
	s_delay_alu instid0(VALU_DEP_1) | instskip(NEXT) | instid1(VALU_DEP_1)
	v_ashrrev_i32_e32 v7, 31, v6
	v_add_nc_u64_e32 v[8:9], s[6:7], v[6:7]
	s_cbranch_scc1 .LBB62_1269
; %bb.1263:
	s_cmp_gt_i32 s0, 25
	s_mov_b32 s15, 0
	s_cbranch_scc0 .LBB62_1271
; %bb.1264:
	s_cmp_gt_i32 s0, 28
	s_cbranch_scc0 .LBB62_1272
; %bb.1265:
	s_cmp_gt_i32 s0, 43
	;; [unrolled: 3-line block ×3, first 2 shown]
	s_cbranch_scc0 .LBB62_1275
; %bb.1267:
	s_cmp_eq_u32 s0, 46
	s_mov_b32 s17, 0
	s_cbranch_scc0 .LBB62_1276
; %bb.1268:
	global_load_b32 v4, v[8:9], off
	s_mov_b32 s13, 0
	s_mov_b32 s16, -1
	s_wait_loadcnt 0x0
	v_lshlrev_b32_e32 v4, 16, v4
	s_delay_alu instid0(VALU_DEP_1) | instskip(NEXT) | instid1(VALU_DEP_1)
	v_trunc_f32_e32 v4, v4
	v_mul_f32_e64 v5, 0x2f800000, |v4|
	s_delay_alu instid0(VALU_DEP_1) | instskip(NEXT) | instid1(VALU_DEP_1)
	v_floor_f32_e32 v5, v5
	v_fma_f32 v7, 0xcf800000, v5, |v4|
	v_ashrrev_i32_e32 v4, 31, v4
	v_cvt_u32_f32_e32 v11, v5
	s_delay_alu instid0(VALU_DEP_3) | instskip(NEXT) | instid1(VALU_DEP_2)
	v_cvt_u32_f32_e32 v7, v7
	v_dual_mov_b32 v5, v4 :: v_dual_bitop2_b32 v13, v11, v4 bitop3:0x14
	s_delay_alu instid0(VALU_DEP_2) | instskip(NEXT) | instid1(VALU_DEP_1)
	v_xor_b32_e32 v12, v7, v4
	v_sub_nc_u64_e32 v[4:5], v[12:13], v[4:5]
	s_branch .LBB62_1278
.LBB62_1269:
	s_mov_b32 s16, 0
                                        ; implicit-def: $vgpr4_vgpr5
	s_cbranch_execnz .LBB62_1340
.LBB62_1270:
	s_and_not1_b32 vcc_lo, exec_lo, s16
	s_cbranch_vccnz .LBB62_1947
	s_branch .LBB62_1388
.LBB62_1271:
	s_mov_b32 s17, -1
	s_mov_b32 s16, 0
	s_mov_b32 s13, 0
                                        ; implicit-def: $vgpr4_vgpr5
	s_branch .LBB62_1305
.LBB62_1272:
	s_mov_b32 s17, -1
	s_mov_b32 s16, 0
	s_mov_b32 s13, 0
                                        ; implicit-def: $vgpr4_vgpr5
	s_branch .LBB62_1288
.LBB62_1273:
	s_mov_b32 s17, -1
	s_mov_b32 s16, 0
	s_mov_b32 s13, 0
                                        ; implicit-def: $vgpr4_vgpr5
	s_branch .LBB62_1283
.LBB62_1274:
	s_or_b32 s1, s1, exec_lo
	s_trap 2
	s_cbranch_execz .LBB62_1213
	s_branch .LBB62_1214
.LBB62_1275:
	s_mov_b32 s17, -1
	s_mov_b32 s16, 0
	s_mov_b32 s13, 0
	s_branch .LBB62_1277
.LBB62_1276:
	s_mov_b32 s13, -1
	s_mov_b32 s16, 0
.LBB62_1277:
                                        ; implicit-def: $vgpr4_vgpr5
.LBB62_1278:
	s_and_b32 vcc_lo, exec_lo, s17
	s_cbranch_vccz .LBB62_1282
; %bb.1279:
	s_cmp_eq_u32 s0, 44
	s_cbranch_scc0 .LBB62_1281
; %bb.1280:
	global_load_u8 v7, v[8:9], off
	s_mov_b32 s13, 0
	s_mov_b32 s16, -1
	s_wait_loadcnt 0x0
	v_cmp_ne_u32_e32 vcc_lo, 0, v7
	v_lshlrev_b32_e32 v4, 23, v7
	s_delay_alu instid0(VALU_DEP_1) | instskip(NEXT) | instid1(VALU_DEP_1)
	v_trunc_f32_e32 v4, v4
	v_mul_f32_e64 v5, 0x2f800000, |v4|
	s_delay_alu instid0(VALU_DEP_1) | instskip(NEXT) | instid1(VALU_DEP_1)
	v_floor_f32_e32 v5, v5
	v_fma_f32 v11, 0xcf800000, v5, |v4|
	v_ashrrev_i32_e32 v4, 31, v4
	v_cvt_u32_f32_e32 v12, v5
	s_delay_alu instid0(VALU_DEP_3) | instskip(NEXT) | instid1(VALU_DEP_3)
	v_cvt_u32_f32_e32 v11, v11
	v_mov_b32_e32 v5, v4
	s_delay_alu instid0(VALU_DEP_3) | instskip(NEXT) | instid1(VALU_DEP_3)
	v_xor_b32_e32 v13, v12, v4
	v_xor_b32_e32 v12, v11, v4
	s_delay_alu instid0(VALU_DEP_1) | instskip(NEXT) | instid1(VALU_DEP_1)
	v_sub_nc_u64_e32 v[4:5], v[12:13], v[4:5]
	v_dual_cndmask_b32 v5, 0, v5 :: v_dual_cndmask_b32 v4, 0, v4
	s_branch .LBB62_1282
.LBB62_1281:
	s_mov_b32 s13, -1
                                        ; implicit-def: $vgpr4_vgpr5
.LBB62_1282:
	s_mov_b32 s17, 0
.LBB62_1283:
	s_delay_alu instid0(SALU_CYCLE_1)
	s_and_b32 vcc_lo, exec_lo, s17
	s_cbranch_vccz .LBB62_1287
; %bb.1284:
	s_cmp_eq_u32 s0, 29
	s_cbranch_scc0 .LBB62_1286
; %bb.1285:
	global_load_b64 v[4:5], v[8:9], off
	s_mov_b32 s13, 0
	s_mov_b32 s16, -1
	s_branch .LBB62_1287
.LBB62_1286:
	s_mov_b32 s13, -1
                                        ; implicit-def: $vgpr4_vgpr5
.LBB62_1287:
	s_mov_b32 s17, 0
.LBB62_1288:
	s_delay_alu instid0(SALU_CYCLE_1)
	s_and_b32 vcc_lo, exec_lo, s17
	s_cbranch_vccz .LBB62_1304
; %bb.1289:
	s_cmp_lt_i32 s0, 27
	s_cbranch_scc1 .LBB62_1292
; %bb.1290:
	s_cmp_gt_i32 s0, 27
	s_cbranch_scc0 .LBB62_1293
; %bb.1291:
	s_wait_loadcnt 0x0
	global_load_b32 v4, v[8:9], off
	v_mov_b32_e32 v5, 0
	s_mov_b32 s16, 0
	s_branch .LBB62_1294
.LBB62_1292:
	s_mov_b32 s16, -1
                                        ; implicit-def: $vgpr4_vgpr5
	s_branch .LBB62_1297
.LBB62_1293:
	s_mov_b32 s16, -1
                                        ; implicit-def: $vgpr4_vgpr5
.LBB62_1294:
	s_delay_alu instid0(SALU_CYCLE_1)
	s_and_not1_b32 vcc_lo, exec_lo, s16
	s_cbranch_vccnz .LBB62_1296
; %bb.1295:
	s_wait_loadcnt 0x0
	global_load_u16 v4, v[8:9], off
	s_mov_b32 s16, 0
	s_delay_alu instid0(SALU_CYCLE_1)
	v_mov_b32_e32 v5, s16
	s_wait_loadcnt 0x0
	v_and_b32_e32 v4, 0xffff, v4
.LBB62_1296:
	s_mov_b32 s16, 0
.LBB62_1297:
	s_delay_alu instid0(SALU_CYCLE_1)
	s_and_not1_b32 vcc_lo, exec_lo, s16
	s_cbranch_vccnz .LBB62_1303
; %bb.1298:
	global_load_u8 v7, v[8:9], off
	s_mov_b32 s17, 0
	s_mov_b32 s16, exec_lo
	s_wait_loadcnt 0x0
	v_cmpx_lt_i16_e32 0x7f, v7
	s_xor_b32 s16, exec_lo, s16
	s_cbranch_execz .LBB62_1315
; %bb.1299:
	v_cmp_ne_u16_e32 vcc_lo, 0x80, v7
	s_and_b32 s17, vcc_lo, exec_lo
	s_and_not1_saveexec_b32 s16, s16
	s_cbranch_execnz .LBB62_1316
.LBB62_1300:
	s_or_b32 exec_lo, exec_lo, s16
	v_mov_b64_e32 v[4:5], 0
	s_and_saveexec_b32 s16, s17
	s_cbranch_execz .LBB62_1302
.LBB62_1301:
	v_and_b32_e32 v4, 0xffff, v7
	s_delay_alu instid0(VALU_DEP_1) | instskip(SKIP_1) | instid1(VALU_DEP_2)
	v_and_b32_e32 v5, 7, v4
	v_bfe_u32 v13, v4, 3, 4
	v_clz_i32_u32_e32 v11, v5
	s_delay_alu instid0(VALU_DEP_2) | instskip(NEXT) | instid1(VALU_DEP_2)
	v_cmp_eq_u32_e32 vcc_lo, 0, v13
	v_min_u32_e32 v11, 32, v11
	s_delay_alu instid0(VALU_DEP_1) | instskip(NEXT) | instid1(VALU_DEP_1)
	v_subrev_nc_u32_e32 v12, 28, v11
	v_dual_lshlrev_b32 v4, v12, v4 :: v_dual_sub_nc_u32 v11, 29, v11
	s_delay_alu instid0(VALU_DEP_1) | instskip(NEXT) | instid1(VALU_DEP_1)
	v_dual_lshlrev_b32 v7, 24, v7 :: v_dual_bitop2_b32 v4, 7, v4 bitop3:0x40
	v_cndmask_b32_e32 v4, v5, v4, vcc_lo
	s_delay_alu instid0(VALU_DEP_3) | instskip(NEXT) | instid1(VALU_DEP_3)
	v_cndmask_b32_e32 v11, v13, v11, vcc_lo
	v_and_b32_e32 v5, 0x80000000, v7
	s_delay_alu instid0(VALU_DEP_3) | instskip(NEXT) | instid1(VALU_DEP_3)
	v_lshlrev_b32_e32 v4, 20, v4
	v_lshl_add_u32 v7, v11, 23, 0x3b800000
	s_delay_alu instid0(VALU_DEP_1) | instskip(NEXT) | instid1(VALU_DEP_1)
	v_or3_b32 v4, v5, v7, v4
	v_trunc_f32_e32 v4, v4
	s_delay_alu instid0(VALU_DEP_1) | instskip(NEXT) | instid1(VALU_DEP_1)
	v_mul_f32_e64 v5, 0x2f800000, |v4|
	v_floor_f32_e32 v5, v5
	s_delay_alu instid0(VALU_DEP_1) | instskip(SKIP_2) | instid1(VALU_DEP_3)
	v_fma_f32 v7, 0xcf800000, v5, |v4|
	v_ashrrev_i32_e32 v4, 31, v4
	v_cvt_u32_f32_e32 v11, v5
	v_cvt_u32_f32_e32 v7, v7
	s_delay_alu instid0(VALU_DEP_2) | instskip(NEXT) | instid1(VALU_DEP_2)
	v_dual_mov_b32 v5, v4 :: v_dual_bitop2_b32 v13, v11, v4 bitop3:0x14
	v_xor_b32_e32 v12, v7, v4
	s_delay_alu instid0(VALU_DEP_1)
	v_sub_nc_u64_e32 v[4:5], v[12:13], v[4:5]
.LBB62_1302:
	s_or_b32 exec_lo, exec_lo, s16
.LBB62_1303:
	s_mov_b32 s16, -1
.LBB62_1304:
	s_mov_b32 s17, 0
.LBB62_1305:
	s_delay_alu instid0(SALU_CYCLE_1)
	s_and_b32 vcc_lo, exec_lo, s17
	s_cbranch_vccz .LBB62_1336
; %bb.1306:
	s_cmp_gt_i32 s0, 22
	s_cbranch_scc0 .LBB62_1314
; %bb.1307:
	s_cmp_lt_i32 s0, 24
	s_cbranch_scc1 .LBB62_1317
; %bb.1308:
	s_cmp_gt_i32 s0, 24
	s_cbranch_scc0 .LBB62_1318
; %bb.1309:
	global_load_u8 v7, v[8:9], off
	s_mov_b32 s16, 0
	s_mov_b32 s15, exec_lo
	s_wait_loadcnt 0x0
	v_cmpx_lt_i16_e32 0x7f, v7
	s_xor_b32 s15, exec_lo, s15
	s_cbranch_execz .LBB62_1330
; %bb.1310:
	v_cmp_ne_u16_e32 vcc_lo, 0x80, v7
	s_and_b32 s16, vcc_lo, exec_lo
	s_and_not1_saveexec_b32 s15, s15
	s_cbranch_execnz .LBB62_1331
.LBB62_1311:
	s_or_b32 exec_lo, exec_lo, s15
	v_mov_b64_e32 v[4:5], 0
	s_and_saveexec_b32 s15, s16
	s_cbranch_execz .LBB62_1313
.LBB62_1312:
	v_and_b32_e32 v4, 0xffff, v7
	s_delay_alu instid0(VALU_DEP_1) | instskip(SKIP_1) | instid1(VALU_DEP_2)
	v_and_b32_e32 v5, 3, v4
	v_bfe_u32 v13, v4, 2, 5
	v_clz_i32_u32_e32 v11, v5
	s_delay_alu instid0(VALU_DEP_2) | instskip(NEXT) | instid1(VALU_DEP_2)
	v_cmp_eq_u32_e32 vcc_lo, 0, v13
	v_min_u32_e32 v11, 32, v11
	s_delay_alu instid0(VALU_DEP_1) | instskip(NEXT) | instid1(VALU_DEP_1)
	v_subrev_nc_u32_e32 v12, 29, v11
	v_dual_lshlrev_b32 v4, v12, v4 :: v_dual_sub_nc_u32 v11, 30, v11
	s_delay_alu instid0(VALU_DEP_1) | instskip(NEXT) | instid1(VALU_DEP_1)
	v_dual_lshlrev_b32 v7, 24, v7 :: v_dual_bitop2_b32 v4, 3, v4 bitop3:0x40
	v_cndmask_b32_e32 v4, v5, v4, vcc_lo
	s_delay_alu instid0(VALU_DEP_3) | instskip(NEXT) | instid1(VALU_DEP_3)
	v_cndmask_b32_e32 v11, v13, v11, vcc_lo
	v_and_b32_e32 v5, 0x80000000, v7
	s_delay_alu instid0(VALU_DEP_3) | instskip(NEXT) | instid1(VALU_DEP_3)
	v_lshlrev_b32_e32 v4, 21, v4
	v_lshl_add_u32 v7, v11, 23, 0x37800000
	s_delay_alu instid0(VALU_DEP_1) | instskip(NEXT) | instid1(VALU_DEP_1)
	v_or3_b32 v4, v5, v7, v4
	v_trunc_f32_e32 v4, v4
	s_delay_alu instid0(VALU_DEP_1) | instskip(NEXT) | instid1(VALU_DEP_1)
	v_mul_f32_e64 v5, 0x2f800000, |v4|
	v_floor_f32_e32 v5, v5
	s_delay_alu instid0(VALU_DEP_1) | instskip(SKIP_2) | instid1(VALU_DEP_3)
	v_fma_f32 v7, 0xcf800000, v5, |v4|
	v_ashrrev_i32_e32 v4, 31, v4
	v_cvt_u32_f32_e32 v11, v5
	v_cvt_u32_f32_e32 v7, v7
	s_delay_alu instid0(VALU_DEP_2) | instskip(NEXT) | instid1(VALU_DEP_2)
	v_dual_mov_b32 v5, v4 :: v_dual_bitop2_b32 v13, v11, v4 bitop3:0x14
	v_xor_b32_e32 v12, v7, v4
	s_delay_alu instid0(VALU_DEP_1)
	v_sub_nc_u64_e32 v[4:5], v[12:13], v[4:5]
.LBB62_1313:
	s_or_b32 exec_lo, exec_lo, s15
	s_mov_b32 s15, 0
	s_branch .LBB62_1319
.LBB62_1314:
	s_mov_b32 s15, -1
                                        ; implicit-def: $vgpr4_vgpr5
	s_branch .LBB62_1325
.LBB62_1315:
	s_and_not1_saveexec_b32 s16, s16
	s_cbranch_execz .LBB62_1300
.LBB62_1316:
	v_cmp_ne_u16_e32 vcc_lo, 0, v7
	s_and_not1_b32 s17, s17, exec_lo
	s_and_b32 s18, vcc_lo, exec_lo
	s_delay_alu instid0(SALU_CYCLE_1)
	s_or_b32 s17, s17, s18
	s_or_b32 exec_lo, exec_lo, s16
	v_mov_b64_e32 v[4:5], 0
	s_and_saveexec_b32 s16, s17
	s_cbranch_execnz .LBB62_1301
	s_branch .LBB62_1302
.LBB62_1317:
	s_mov_b32 s15, -1
                                        ; implicit-def: $vgpr4_vgpr5
	s_branch .LBB62_1322
.LBB62_1318:
	s_mov_b32 s15, -1
                                        ; implicit-def: $vgpr4_vgpr5
.LBB62_1319:
	s_delay_alu instid0(SALU_CYCLE_1)
	s_and_b32 vcc_lo, exec_lo, s15
	s_cbranch_vccz .LBB62_1321
; %bb.1320:
	s_wait_loadcnt 0x0
	global_load_u8 v4, v[8:9], off
	s_wait_loadcnt 0x0
	v_lshlrev_b32_e32 v4, 24, v4
	s_delay_alu instid0(VALU_DEP_1) | instskip(NEXT) | instid1(VALU_DEP_1)
	v_and_b32_e32 v5, 0x7f000000, v4
	v_clz_i32_u32_e32 v7, v5
	v_cmp_ne_u32_e32 vcc_lo, 0, v5
	v_add_nc_u32_e32 v12, 0x1000000, v5
	s_delay_alu instid0(VALU_DEP_3) | instskip(NEXT) | instid1(VALU_DEP_1)
	v_min_u32_e32 v7, 32, v7
	v_sub_nc_u32_e64 v7, v7, 4 clamp
	s_delay_alu instid0(VALU_DEP_1) | instskip(NEXT) | instid1(VALU_DEP_1)
	v_dual_lshlrev_b32 v11, v7, v5 :: v_dual_lshlrev_b32 v7, 23, v7
	v_lshrrev_b32_e32 v11, 4, v11
	s_delay_alu instid0(VALU_DEP_1) | instskip(NEXT) | instid1(VALU_DEP_1)
	v_dual_sub_nc_u32 v7, v11, v7 :: v_dual_ashrrev_i32 v11, 8, v12
	v_add_nc_u32_e32 v7, 0x3c000000, v7
	s_delay_alu instid0(VALU_DEP_1) | instskip(NEXT) | instid1(VALU_DEP_1)
	v_and_or_b32 v7, 0x7f800000, v11, v7
	v_cndmask_b32_e32 v5, 0, v7, vcc_lo
	s_delay_alu instid0(VALU_DEP_1) | instskip(NEXT) | instid1(VALU_DEP_1)
	v_and_or_b32 v4, 0x80000000, v4, v5
	v_trunc_f32_e32 v4, v4
	s_delay_alu instid0(VALU_DEP_1) | instskip(NEXT) | instid1(VALU_DEP_1)
	v_mul_f32_e64 v5, 0x2f800000, |v4|
	v_floor_f32_e32 v5, v5
	s_delay_alu instid0(VALU_DEP_1) | instskip(SKIP_2) | instid1(VALU_DEP_3)
	v_fma_f32 v7, 0xcf800000, v5, |v4|
	v_ashrrev_i32_e32 v4, 31, v4
	v_cvt_u32_f32_e32 v11, v5
	v_cvt_u32_f32_e32 v7, v7
	s_delay_alu instid0(VALU_DEP_2) | instskip(NEXT) | instid1(VALU_DEP_2)
	v_dual_mov_b32 v5, v4 :: v_dual_bitop2_b32 v13, v11, v4 bitop3:0x14
	v_xor_b32_e32 v12, v7, v4
	s_delay_alu instid0(VALU_DEP_1)
	v_sub_nc_u64_e32 v[4:5], v[12:13], v[4:5]
.LBB62_1321:
	s_mov_b32 s15, 0
.LBB62_1322:
	s_delay_alu instid0(SALU_CYCLE_1)
	s_and_not1_b32 vcc_lo, exec_lo, s15
	s_cbranch_vccnz .LBB62_1324
; %bb.1323:
	s_wait_loadcnt 0x0
	global_load_u8 v4, v[8:9], off
	s_wait_loadcnt 0x0
	v_lshlrev_b32_e32 v5, 25, v4
	v_lshlrev_b16 v4, 8, v4
	s_delay_alu instid0(VALU_DEP_1) | instskip(SKIP_1) | instid1(VALU_DEP_2)
	v_and_or_b32 v11, 0x7f00, v4, 0.5
	v_bfe_i32 v4, v4, 0, 16
	v_dual_add_f32 v11, -0.5, v11 :: v_dual_lshrrev_b32 v7, 4, v5
	v_cmp_gt_u32_e32 vcc_lo, 0x8000000, v5
	s_delay_alu instid0(VALU_DEP_2) | instskip(NEXT) | instid1(VALU_DEP_1)
	v_or_b32_e32 v7, 0x70000000, v7
	v_mul_f32_e32 v7, 0x7800000, v7
	s_delay_alu instid0(VALU_DEP_1) | instskip(NEXT) | instid1(VALU_DEP_1)
	v_cndmask_b32_e32 v5, v7, v11, vcc_lo
	v_and_or_b32 v4, 0x80000000, v4, v5
	s_delay_alu instid0(VALU_DEP_1) | instskip(NEXT) | instid1(VALU_DEP_1)
	v_trunc_f32_e32 v4, v4
	v_mul_f32_e64 v5, 0x2f800000, |v4|
	s_delay_alu instid0(VALU_DEP_1) | instskip(NEXT) | instid1(VALU_DEP_1)
	v_floor_f32_e32 v5, v5
	v_fma_f32 v7, 0xcf800000, v5, |v4|
	v_ashrrev_i32_e32 v4, 31, v4
	v_cvt_u32_f32_e32 v11, v5
	s_delay_alu instid0(VALU_DEP_3) | instskip(NEXT) | instid1(VALU_DEP_2)
	v_cvt_u32_f32_e32 v7, v7
	v_dual_mov_b32 v5, v4 :: v_dual_bitop2_b32 v13, v11, v4 bitop3:0x14
	s_delay_alu instid0(VALU_DEP_2) | instskip(NEXT) | instid1(VALU_DEP_1)
	v_xor_b32_e32 v12, v7, v4
	v_sub_nc_u64_e32 v[4:5], v[12:13], v[4:5]
.LBB62_1324:
	s_mov_b32 s15, 0
	s_mov_b32 s16, -1
.LBB62_1325:
	s_and_not1_b32 vcc_lo, exec_lo, s15
	s_mov_b32 s15, 0
	s_cbranch_vccnz .LBB62_1336
; %bb.1326:
	s_cmp_gt_i32 s0, 14
	s_cbranch_scc0 .LBB62_1329
; %bb.1327:
	s_cmp_eq_u32 s0, 15
	s_cbranch_scc0 .LBB62_1332
; %bb.1328:
	s_wait_loadcnt 0x0
	global_load_u16 v4, v[8:9], off
	s_mov_b32 s13, 0
	s_mov_b32 s16, -1
	s_wait_loadcnt 0x0
	v_lshlrev_b32_e32 v4, 16, v4
	s_delay_alu instid0(VALU_DEP_1) | instskip(NEXT) | instid1(VALU_DEP_1)
	v_trunc_f32_e32 v4, v4
	v_mul_f32_e64 v5, 0x2f800000, |v4|
	s_delay_alu instid0(VALU_DEP_1) | instskip(NEXT) | instid1(VALU_DEP_1)
	v_floor_f32_e32 v5, v5
	v_fma_f32 v7, 0xcf800000, v5, |v4|
	v_ashrrev_i32_e32 v4, 31, v4
	v_cvt_u32_f32_e32 v11, v5
	s_delay_alu instid0(VALU_DEP_3) | instskip(NEXT) | instid1(VALU_DEP_2)
	v_cvt_u32_f32_e32 v7, v7
	v_dual_mov_b32 v5, v4 :: v_dual_bitop2_b32 v13, v11, v4 bitop3:0x14
	s_delay_alu instid0(VALU_DEP_2) | instskip(NEXT) | instid1(VALU_DEP_1)
	v_xor_b32_e32 v12, v7, v4
	v_sub_nc_u64_e32 v[4:5], v[12:13], v[4:5]
	s_branch .LBB62_1334
.LBB62_1329:
	s_mov_b32 s15, -1
	s_branch .LBB62_1333
.LBB62_1330:
	s_and_not1_saveexec_b32 s15, s15
	s_cbranch_execz .LBB62_1311
.LBB62_1331:
	v_cmp_ne_u16_e32 vcc_lo, 0, v7
	s_and_not1_b32 s16, s16, exec_lo
	s_and_b32 s17, vcc_lo, exec_lo
	s_delay_alu instid0(SALU_CYCLE_1)
	s_or_b32 s16, s16, s17
	s_or_b32 exec_lo, exec_lo, s15
	v_mov_b64_e32 v[4:5], 0
	s_and_saveexec_b32 s15, s16
	s_cbranch_execnz .LBB62_1312
	s_branch .LBB62_1313
.LBB62_1332:
	s_mov_b32 s13, -1
.LBB62_1333:
                                        ; implicit-def: $vgpr4_vgpr5
.LBB62_1334:
	s_and_b32 vcc_lo, exec_lo, s15
	s_mov_b32 s15, 0
	s_cbranch_vccz .LBB62_1336
; %bb.1335:
	s_cmp_lg_u32 s0, 11
	s_mov_b32 s15, -1
	s_cselect_b32 s13, -1, 0
.LBB62_1336:
	s_delay_alu instid0(SALU_CYCLE_1)
	s_and_b32 vcc_lo, exec_lo, s13
	s_cbranch_vccnz .LBB62_1399
; %bb.1337:
	s_and_not1_b32 vcc_lo, exec_lo, s15
	s_cbranch_vccnz .LBB62_1339
.LBB62_1338:
	s_wait_loadcnt 0x0
	global_load_u8 v4, v[8:9], off
	s_mov_b32 s13, 0
	s_mov_b32 s16, -1
	v_mov_b32_e32 v5, s13
	s_wait_loadcnt 0x0
	v_cmp_ne_u16_e32 vcc_lo, 0, v4
	v_cndmask_b32_e64 v4, 0, 1, vcc_lo
.LBB62_1339:
	s_branch .LBB62_1270
.LBB62_1340:
	s_cmp_lt_i32 s0, 5
	s_cbranch_scc1 .LBB62_1345
; %bb.1341:
	s_cmp_lt_i32 s0, 8
	s_cbranch_scc1 .LBB62_1346
; %bb.1342:
	;; [unrolled: 3-line block ×3, first 2 shown]
	s_cmp_gt_i32 s0, 9
	s_cbranch_scc0 .LBB62_1348
; %bb.1344:
	s_wait_loadcnt 0x0
	global_load_b64 v[4:5], v[8:9], off
	s_mov_b32 s13, 0
	s_wait_loadcnt 0x0
	v_trunc_f64_e32 v[4:5], v[4:5]
	s_delay_alu instid0(VALU_DEP_1) | instskip(NEXT) | instid1(VALU_DEP_1)
	v_ldexp_f64 v[12:13], v[4:5], 0xffffffe0
	v_floor_f64_e32 v[12:13], v[12:13]
	s_delay_alu instid0(VALU_DEP_1) | instskip(SKIP_1) | instid1(VALU_DEP_2)
	v_fmamk_f64 v[14:15], v[12:13], 0xc1f00000, v[4:5]
	v_cvt_i32_f64_e32 v5, v[12:13]
	v_cvt_u32_f64_e32 v4, v[14:15]
	s_branch .LBB62_1349
.LBB62_1345:
	s_mov_b32 s13, -1
                                        ; implicit-def: $vgpr4_vgpr5
	s_branch .LBB62_1367
.LBB62_1346:
	s_mov_b32 s13, -1
                                        ; implicit-def: $vgpr4_vgpr5
	s_branch .LBB62_1355
.LBB62_1347:
	s_mov_b32 s13, -1
                                        ; implicit-def: $vgpr4_vgpr5
	s_branch .LBB62_1352
.LBB62_1348:
	s_mov_b32 s13, -1
                                        ; implicit-def: $vgpr4_vgpr5
.LBB62_1349:
	s_delay_alu instid0(SALU_CYCLE_1)
	s_and_not1_b32 vcc_lo, exec_lo, s13
	s_cbranch_vccnz .LBB62_1351
; %bb.1350:
	s_wait_loadcnt 0x0
	global_load_b32 v4, v[8:9], off
	s_wait_loadcnt 0x0
	v_trunc_f32_e32 v4, v4
	s_delay_alu instid0(VALU_DEP_1) | instskip(NEXT) | instid1(VALU_DEP_1)
	v_mul_f32_e64 v5, 0x2f800000, |v4|
	v_floor_f32_e32 v5, v5
	s_delay_alu instid0(VALU_DEP_1) | instskip(SKIP_2) | instid1(VALU_DEP_3)
	v_fma_f32 v7, 0xcf800000, v5, |v4|
	v_ashrrev_i32_e32 v4, 31, v4
	v_cvt_u32_f32_e32 v11, v5
	v_cvt_u32_f32_e32 v7, v7
	s_delay_alu instid0(VALU_DEP_2) | instskip(NEXT) | instid1(VALU_DEP_2)
	v_dual_mov_b32 v5, v4 :: v_dual_bitop2_b32 v13, v11, v4 bitop3:0x14
	v_xor_b32_e32 v12, v7, v4
	s_delay_alu instid0(VALU_DEP_1)
	v_sub_nc_u64_e32 v[4:5], v[12:13], v[4:5]
.LBB62_1351:
	s_mov_b32 s13, 0
.LBB62_1352:
	s_delay_alu instid0(SALU_CYCLE_1)
	s_and_not1_b32 vcc_lo, exec_lo, s13
	s_cbranch_vccnz .LBB62_1354
; %bb.1353:
	s_wait_loadcnt 0x0
	global_load_b32 v4, v[8:9], off
	s_wait_loadcnt 0x0
	v_cvt_f32_f16_e32 v4, v4
	s_delay_alu instid0(VALU_DEP_1) | instskip(NEXT) | instid1(VALU_DEP_1)
	v_cvt_i32_f32_e32 v4, v4
	v_ashrrev_i32_e32 v5, 31, v4
.LBB62_1354:
	s_mov_b32 s13, 0
.LBB62_1355:
	s_delay_alu instid0(SALU_CYCLE_1)
	s_and_not1_b32 vcc_lo, exec_lo, s13
	s_cbranch_vccnz .LBB62_1366
; %bb.1356:
	s_cmp_lt_i32 s0, 6
	s_cbranch_scc1 .LBB62_1359
; %bb.1357:
	s_cmp_gt_i32 s0, 6
	s_cbranch_scc0 .LBB62_1360
; %bb.1358:
	s_wait_loadcnt 0x0
	global_load_b64 v[4:5], v[8:9], off
	s_mov_b32 s13, 0
	s_wait_loadcnt 0x0
	v_trunc_f64_e32 v[4:5], v[4:5]
	s_delay_alu instid0(VALU_DEP_1) | instskip(NEXT) | instid1(VALU_DEP_1)
	v_ldexp_f64 v[12:13], v[4:5], 0xffffffe0
	v_floor_f64_e32 v[12:13], v[12:13]
	s_delay_alu instid0(VALU_DEP_1) | instskip(SKIP_1) | instid1(VALU_DEP_2)
	v_fmamk_f64 v[14:15], v[12:13], 0xc1f00000, v[4:5]
	v_cvt_i32_f64_e32 v5, v[12:13]
	v_cvt_u32_f64_e32 v4, v[14:15]
	s_branch .LBB62_1361
.LBB62_1359:
	s_mov_b32 s13, -1
                                        ; implicit-def: $vgpr4_vgpr5
	s_branch .LBB62_1364
.LBB62_1360:
	s_mov_b32 s13, -1
                                        ; implicit-def: $vgpr4_vgpr5
.LBB62_1361:
	s_delay_alu instid0(SALU_CYCLE_1)
	s_and_not1_b32 vcc_lo, exec_lo, s13
	s_cbranch_vccnz .LBB62_1363
; %bb.1362:
	s_wait_loadcnt 0x0
	global_load_b32 v4, v[8:9], off
	s_wait_loadcnt 0x0
	v_trunc_f32_e32 v4, v4
	s_delay_alu instid0(VALU_DEP_1) | instskip(NEXT) | instid1(VALU_DEP_1)
	v_mul_f32_e64 v5, 0x2f800000, |v4|
	v_floor_f32_e32 v5, v5
	s_delay_alu instid0(VALU_DEP_1) | instskip(SKIP_2) | instid1(VALU_DEP_3)
	v_fma_f32 v7, 0xcf800000, v5, |v4|
	v_ashrrev_i32_e32 v4, 31, v4
	v_cvt_u32_f32_e32 v11, v5
	v_cvt_u32_f32_e32 v7, v7
	s_delay_alu instid0(VALU_DEP_2) | instskip(NEXT) | instid1(VALU_DEP_2)
	v_dual_mov_b32 v5, v4 :: v_dual_bitop2_b32 v13, v11, v4 bitop3:0x14
	v_xor_b32_e32 v12, v7, v4
	s_delay_alu instid0(VALU_DEP_1)
	v_sub_nc_u64_e32 v[4:5], v[12:13], v[4:5]
.LBB62_1363:
	s_mov_b32 s13, 0
.LBB62_1364:
	s_delay_alu instid0(SALU_CYCLE_1)
	s_and_not1_b32 vcc_lo, exec_lo, s13
	s_cbranch_vccnz .LBB62_1366
; %bb.1365:
	s_wait_loadcnt 0x0
	global_load_u16 v4, v[8:9], off
	s_wait_loadcnt 0x0
	v_cvt_f32_f16_e32 v4, v4
	s_delay_alu instid0(VALU_DEP_1) | instskip(NEXT) | instid1(VALU_DEP_1)
	v_cvt_i32_f32_e32 v4, v4
	v_ashrrev_i32_e32 v5, 31, v4
.LBB62_1366:
	s_mov_b32 s13, 0
.LBB62_1367:
	s_delay_alu instid0(SALU_CYCLE_1)
	s_and_not1_b32 vcc_lo, exec_lo, s13
	s_cbranch_vccnz .LBB62_1387
; %bb.1368:
	s_cmp_lt_i32 s0, 2
	s_cbranch_scc1 .LBB62_1372
; %bb.1369:
	s_cmp_lt_i32 s0, 3
	s_cbranch_scc1 .LBB62_1373
; %bb.1370:
	s_cmp_gt_i32 s0, 3
	s_cbranch_scc0 .LBB62_1374
; %bb.1371:
	s_wait_loadcnt 0x0
	global_load_b64 v[4:5], v[8:9], off
	s_mov_b32 s13, 0
	s_branch .LBB62_1375
.LBB62_1372:
	s_mov_b32 s13, -1
                                        ; implicit-def: $vgpr4_vgpr5
	s_branch .LBB62_1381
.LBB62_1373:
	s_mov_b32 s13, -1
                                        ; implicit-def: $vgpr4_vgpr5
	s_branch .LBB62_1378
.LBB62_1374:
	s_mov_b32 s13, -1
                                        ; implicit-def: $vgpr4_vgpr5
.LBB62_1375:
	s_delay_alu instid0(SALU_CYCLE_1)
	s_and_not1_b32 vcc_lo, exec_lo, s13
	s_cbranch_vccnz .LBB62_1377
; %bb.1376:
	s_wait_loadcnt 0x0
	global_load_b32 v4, v[8:9], off
	s_wait_loadcnt 0x0
	v_ashrrev_i32_e32 v5, 31, v4
.LBB62_1377:
	s_mov_b32 s13, 0
.LBB62_1378:
	s_delay_alu instid0(SALU_CYCLE_1)
	s_and_not1_b32 vcc_lo, exec_lo, s13
	s_cbranch_vccnz .LBB62_1380
; %bb.1379:
	s_wait_loadcnt 0x0
	global_load_u16 v4, v[8:9], off
	s_wait_loadcnt 0x0
	v_bfe_i32 v4, v4, 0, 16
	s_delay_alu instid0(VALU_DEP_1)
	v_ashrrev_i32_e32 v5, 31, v4
.LBB62_1380:
	s_mov_b32 s13, 0
.LBB62_1381:
	s_delay_alu instid0(SALU_CYCLE_1)
	s_and_not1_b32 vcc_lo, exec_lo, s13
	s_cbranch_vccnz .LBB62_1387
; %bb.1382:
	s_cmp_gt_i32 s0, 0
	s_mov_b32 s13, 0
	s_cbranch_scc0 .LBB62_1384
; %bb.1383:
	s_wait_loadcnt 0x0
	global_load_i8 v4, v[8:9], off
	s_wait_loadcnt 0x0
	v_bfe_i32 v4, v4, 0, 16
	s_delay_alu instid0(VALU_DEP_1)
	v_ashrrev_i32_e32 v5, 31, v4
	s_branch .LBB62_1385
.LBB62_1384:
	s_mov_b32 s13, -1
                                        ; implicit-def: $vgpr4_vgpr5
.LBB62_1385:
	s_delay_alu instid0(SALU_CYCLE_1)
	s_and_not1_b32 vcc_lo, exec_lo, s13
	s_cbranch_vccnz .LBB62_1387
; %bb.1386:
	s_wait_loadcnt 0x0
	global_load_u8 v4, v[8:9], off
	s_mov_b32 s13, 0
	s_delay_alu instid0(SALU_CYCLE_1)
	v_mov_b32_e32 v5, s13
	s_wait_loadcnt 0x0
	v_and_b32_e32 v4, 0xffff, v4
.LBB62_1387:
.LBB62_1388:
	v_add_nc_u32_e32 v6, s2, v6
	s_cmp_lt_i32 s0, 11
	s_delay_alu instid0(VALU_DEP_1) | instskip(SKIP_1) | instid1(VALU_DEP_1)
	v_ashrrev_i32_e32 v7, 31, v6
	s_wait_xcnt 0x0
	v_add_nc_u64_e32 v[8:9], s[6:7], v[6:7]
	s_cbranch_scc1 .LBB62_1395
; %bb.1389:
	s_cmp_gt_i32 s0, 25
	s_mov_b32 s6, 0
	s_cbranch_scc0 .LBB62_1396
; %bb.1390:
	s_cmp_gt_i32 s0, 28
	s_cbranch_scc0 .LBB62_1397
; %bb.1391:
	s_cmp_gt_i32 s0, 43
	s_cbranch_scc0 .LBB62_1398
; %bb.1392:
	s_cmp_gt_i32 s0, 45
	s_cbranch_scc0 .LBB62_1400
; %bb.1393:
	s_cmp_eq_u32 s0, 46
	s_mov_b32 s13, 0
	s_cbranch_scc0 .LBB62_1401
; %bb.1394:
	global_load_b32 v6, v[8:9], off
	s_mov_b32 s2, 0
	s_mov_b32 s7, -1
	s_wait_loadcnt 0x0
	v_lshlrev_b32_e32 v6, 16, v6
	s_delay_alu instid0(VALU_DEP_1) | instskip(NEXT) | instid1(VALU_DEP_1)
	v_trunc_f32_e32 v6, v6
	v_mul_f32_e64 v7, 0x2f800000, |v6|
	s_delay_alu instid0(VALU_DEP_1) | instskip(NEXT) | instid1(VALU_DEP_1)
	v_floor_f32_e32 v7, v7
	v_fma_f32 v11, 0xcf800000, v7, |v6|
	v_ashrrev_i32_e32 v6, 31, v6
	v_cvt_u32_f32_e32 v12, v7
	s_delay_alu instid0(VALU_DEP_3) | instskip(NEXT) | instid1(VALU_DEP_2)
	v_cvt_u32_f32_e32 v11, v11
	v_dual_mov_b32 v7, v6 :: v_dual_bitop2_b32 v13, v12, v6 bitop3:0x14
	s_delay_alu instid0(VALU_DEP_2) | instskip(NEXT) | instid1(VALU_DEP_1)
	v_xor_b32_e32 v12, v11, v6
	v_sub_nc_u64_e32 v[6:7], v[12:13], v[6:7]
	s_branch .LBB62_1403
.LBB62_1395:
	s_mov_b32 s2, -1
	s_mov_b32 s7, 0
                                        ; implicit-def: $vgpr6_vgpr7
	s_branch .LBB62_1465
.LBB62_1396:
	s_mov_b32 s13, -1
	s_mov_b32 s7, 0
	s_mov_b32 s2, 0
                                        ; implicit-def: $vgpr6_vgpr7
	s_branch .LBB62_1430
.LBB62_1397:
	s_mov_b32 s13, -1
	s_mov_b32 s7, 0
	s_mov_b32 s2, 0
                                        ; implicit-def: $vgpr6_vgpr7
	s_branch .LBB62_1413
.LBB62_1398:
	s_mov_b32 s13, -1
	s_mov_b32 s7, 0
	s_mov_b32 s2, 0
                                        ; implicit-def: $vgpr6_vgpr7
	s_branch .LBB62_1408
.LBB62_1399:
	s_or_b32 s1, s1, exec_lo
	s_trap 2
	s_cbranch_execz .LBB62_1338
	s_branch .LBB62_1339
.LBB62_1400:
	s_mov_b32 s13, -1
	s_mov_b32 s7, 0
	s_mov_b32 s2, 0
	s_branch .LBB62_1402
.LBB62_1401:
	s_mov_b32 s2, -1
	s_mov_b32 s7, 0
.LBB62_1402:
                                        ; implicit-def: $vgpr6_vgpr7
.LBB62_1403:
	s_and_b32 vcc_lo, exec_lo, s13
	s_cbranch_vccz .LBB62_1407
; %bb.1404:
	s_cmp_eq_u32 s0, 44
	s_cbranch_scc0 .LBB62_1406
; %bb.1405:
	global_load_u8 v11, v[8:9], off
	s_mov_b32 s2, 0
	s_mov_b32 s7, -1
	s_wait_loadcnt 0x0
	v_lshlrev_b32_e32 v6, 23, v11
	v_cmp_ne_u32_e32 vcc_lo, 0, v11
	s_delay_alu instid0(VALU_DEP_2) | instskip(NEXT) | instid1(VALU_DEP_1)
	v_trunc_f32_e32 v6, v6
	v_mul_f32_e64 v7, 0x2f800000, |v6|
	s_delay_alu instid0(VALU_DEP_1) | instskip(NEXT) | instid1(VALU_DEP_1)
	v_floor_f32_e32 v7, v7
	v_fma_f32 v12, 0xcf800000, v7, |v6|
	v_ashrrev_i32_e32 v6, 31, v6
	v_cvt_u32_f32_e32 v13, v7
	s_delay_alu instid0(VALU_DEP_3) | instskip(NEXT) | instid1(VALU_DEP_2)
	v_cvt_u32_f32_e32 v12, v12
	v_dual_mov_b32 v7, v6 :: v_dual_bitop2_b32 v13, v13, v6 bitop3:0x14
	s_delay_alu instid0(VALU_DEP_2) | instskip(NEXT) | instid1(VALU_DEP_1)
	v_xor_b32_e32 v12, v12, v6
	v_sub_nc_u64_e32 v[6:7], v[12:13], v[6:7]
	s_delay_alu instid0(VALU_DEP_1)
	v_dual_cndmask_b32 v7, 0, v7 :: v_dual_cndmask_b32 v6, 0, v6
	s_branch .LBB62_1407
.LBB62_1406:
	s_mov_b32 s2, -1
                                        ; implicit-def: $vgpr6_vgpr7
.LBB62_1407:
	s_mov_b32 s13, 0
.LBB62_1408:
	s_delay_alu instid0(SALU_CYCLE_1)
	s_and_b32 vcc_lo, exec_lo, s13
	s_cbranch_vccz .LBB62_1412
; %bb.1409:
	s_cmp_eq_u32 s0, 29
	s_cbranch_scc0 .LBB62_1411
; %bb.1410:
	global_load_b64 v[6:7], v[8:9], off
	s_mov_b32 s2, 0
	s_mov_b32 s7, -1
	s_branch .LBB62_1412
.LBB62_1411:
	s_mov_b32 s2, -1
                                        ; implicit-def: $vgpr6_vgpr7
.LBB62_1412:
	s_mov_b32 s13, 0
.LBB62_1413:
	s_delay_alu instid0(SALU_CYCLE_1)
	s_and_b32 vcc_lo, exec_lo, s13
	s_cbranch_vccz .LBB62_1429
; %bb.1414:
	s_cmp_lt_i32 s0, 27
	s_cbranch_scc1 .LBB62_1417
; %bb.1415:
	s_cmp_gt_i32 s0, 27
	s_cbranch_scc0 .LBB62_1418
; %bb.1416:
	s_wait_loadcnt 0x0
	global_load_b32 v6, v[8:9], off
	v_mov_b32_e32 v7, 0
	s_mov_b32 s7, 0
	s_branch .LBB62_1419
.LBB62_1417:
	s_mov_b32 s7, -1
                                        ; implicit-def: $vgpr6_vgpr7
	s_branch .LBB62_1422
.LBB62_1418:
	s_mov_b32 s7, -1
                                        ; implicit-def: $vgpr6_vgpr7
.LBB62_1419:
	s_delay_alu instid0(SALU_CYCLE_1)
	s_and_not1_b32 vcc_lo, exec_lo, s7
	s_cbranch_vccnz .LBB62_1421
; %bb.1420:
	s_wait_loadcnt 0x0
	global_load_u16 v6, v[8:9], off
	s_mov_b32 s7, 0
	s_delay_alu instid0(SALU_CYCLE_1)
	v_mov_b32_e32 v7, s7
	s_wait_loadcnt 0x0
	v_and_b32_e32 v6, 0xffff, v6
.LBB62_1421:
	s_mov_b32 s7, 0
.LBB62_1422:
	s_delay_alu instid0(SALU_CYCLE_1)
	s_and_not1_b32 vcc_lo, exec_lo, s7
	s_cbranch_vccnz .LBB62_1428
; %bb.1423:
	global_load_u8 v11, v[8:9], off
	s_mov_b32 s13, 0
	s_mov_b32 s7, exec_lo
	s_wait_loadcnt 0x0
	v_cmpx_lt_i16_e32 0x7f, v11
	s_xor_b32 s7, exec_lo, s7
	s_cbranch_execz .LBB62_1440
; %bb.1424:
	v_cmp_ne_u16_e32 vcc_lo, 0x80, v11
	s_and_b32 s13, vcc_lo, exec_lo
	s_and_not1_saveexec_b32 s7, s7
	s_cbranch_execnz .LBB62_1441
.LBB62_1425:
	s_or_b32 exec_lo, exec_lo, s7
	v_mov_b64_e32 v[6:7], 0
	s_and_saveexec_b32 s7, s13
	s_cbranch_execz .LBB62_1427
.LBB62_1426:
	v_and_b32_e32 v6, 0xffff, v11
	s_delay_alu instid0(VALU_DEP_1) | instskip(SKIP_1) | instid1(VALU_DEP_2)
	v_and_b32_e32 v7, 7, v6
	v_bfe_u32 v14, v6, 3, 4
	v_clz_i32_u32_e32 v12, v7
	s_delay_alu instid0(VALU_DEP_2) | instskip(NEXT) | instid1(VALU_DEP_2)
	v_cmp_eq_u32_e32 vcc_lo, 0, v14
	v_min_u32_e32 v12, 32, v12
	s_delay_alu instid0(VALU_DEP_1) | instskip(NEXT) | instid1(VALU_DEP_1)
	v_subrev_nc_u32_e32 v13, 28, v12
	v_dual_lshlrev_b32 v6, v13, v6 :: v_dual_sub_nc_u32 v12, 29, v12
	s_delay_alu instid0(VALU_DEP_1) | instskip(NEXT) | instid1(VALU_DEP_1)
	v_dual_lshlrev_b32 v11, 24, v11 :: v_dual_bitop2_b32 v6, 7, v6 bitop3:0x40
	v_dual_cndmask_b32 v12, v14, v12, vcc_lo :: v_dual_cndmask_b32 v6, v7, v6, vcc_lo
	s_delay_alu instid0(VALU_DEP_2) | instskip(NEXT) | instid1(VALU_DEP_2)
	v_and_b32_e32 v7, 0x80000000, v11
	v_lshl_add_u32 v11, v12, 23, 0x3b800000
	s_delay_alu instid0(VALU_DEP_3) | instskip(NEXT) | instid1(VALU_DEP_1)
	v_lshlrev_b32_e32 v6, 20, v6
	v_or3_b32 v6, v7, v11, v6
	s_delay_alu instid0(VALU_DEP_1) | instskip(NEXT) | instid1(VALU_DEP_1)
	v_trunc_f32_e32 v6, v6
	v_mul_f32_e64 v7, 0x2f800000, |v6|
	s_delay_alu instid0(VALU_DEP_1) | instskip(NEXT) | instid1(VALU_DEP_1)
	v_floor_f32_e32 v7, v7
	v_fma_f32 v11, 0xcf800000, v7, |v6|
	v_ashrrev_i32_e32 v6, 31, v6
	v_cvt_u32_f32_e32 v12, v7
	s_delay_alu instid0(VALU_DEP_3) | instskip(NEXT) | instid1(VALU_DEP_2)
	v_cvt_u32_f32_e32 v11, v11
	v_dual_mov_b32 v7, v6 :: v_dual_bitop2_b32 v13, v12, v6 bitop3:0x14
	s_delay_alu instid0(VALU_DEP_2) | instskip(NEXT) | instid1(VALU_DEP_1)
	v_xor_b32_e32 v12, v11, v6
	v_sub_nc_u64_e32 v[6:7], v[12:13], v[6:7]
.LBB62_1427:
	s_or_b32 exec_lo, exec_lo, s7
.LBB62_1428:
	s_mov_b32 s7, -1
.LBB62_1429:
	s_mov_b32 s13, 0
.LBB62_1430:
	s_delay_alu instid0(SALU_CYCLE_1)
	s_and_b32 vcc_lo, exec_lo, s13
	s_cbranch_vccz .LBB62_1461
; %bb.1431:
	s_cmp_gt_i32 s0, 22
	s_cbranch_scc0 .LBB62_1439
; %bb.1432:
	s_cmp_lt_i32 s0, 24
	s_cbranch_scc1 .LBB62_1442
; %bb.1433:
	s_cmp_gt_i32 s0, 24
	s_cbranch_scc0 .LBB62_1443
; %bb.1434:
	global_load_u8 v11, v[8:9], off
	s_mov_b32 s7, 0
	s_mov_b32 s6, exec_lo
	s_wait_loadcnt 0x0
	v_cmpx_lt_i16_e32 0x7f, v11
	s_xor_b32 s6, exec_lo, s6
	s_cbranch_execz .LBB62_1455
; %bb.1435:
	v_cmp_ne_u16_e32 vcc_lo, 0x80, v11
	s_and_b32 s7, vcc_lo, exec_lo
	s_and_not1_saveexec_b32 s6, s6
	s_cbranch_execnz .LBB62_1456
.LBB62_1436:
	s_or_b32 exec_lo, exec_lo, s6
	v_mov_b64_e32 v[6:7], 0
	s_and_saveexec_b32 s6, s7
	s_cbranch_execz .LBB62_1438
.LBB62_1437:
	v_and_b32_e32 v6, 0xffff, v11
	s_delay_alu instid0(VALU_DEP_1) | instskip(SKIP_1) | instid1(VALU_DEP_2)
	v_and_b32_e32 v7, 3, v6
	v_bfe_u32 v14, v6, 2, 5
	v_clz_i32_u32_e32 v12, v7
	s_delay_alu instid0(VALU_DEP_2) | instskip(NEXT) | instid1(VALU_DEP_2)
	v_cmp_eq_u32_e32 vcc_lo, 0, v14
	v_min_u32_e32 v12, 32, v12
	s_delay_alu instid0(VALU_DEP_1) | instskip(NEXT) | instid1(VALU_DEP_1)
	v_subrev_nc_u32_e32 v13, 29, v12
	v_dual_lshlrev_b32 v6, v13, v6 :: v_dual_sub_nc_u32 v12, 30, v12
	s_delay_alu instid0(VALU_DEP_1) | instskip(NEXT) | instid1(VALU_DEP_1)
	v_dual_lshlrev_b32 v11, 24, v11 :: v_dual_bitop2_b32 v6, 3, v6 bitop3:0x40
	v_dual_cndmask_b32 v12, v14, v12, vcc_lo :: v_dual_cndmask_b32 v6, v7, v6, vcc_lo
	s_delay_alu instid0(VALU_DEP_2) | instskip(NEXT) | instid1(VALU_DEP_2)
	v_and_b32_e32 v7, 0x80000000, v11
	v_lshl_add_u32 v11, v12, 23, 0x37800000
	s_delay_alu instid0(VALU_DEP_3) | instskip(NEXT) | instid1(VALU_DEP_1)
	v_lshlrev_b32_e32 v6, 21, v6
	v_or3_b32 v6, v7, v11, v6
	s_delay_alu instid0(VALU_DEP_1) | instskip(NEXT) | instid1(VALU_DEP_1)
	v_trunc_f32_e32 v6, v6
	v_mul_f32_e64 v7, 0x2f800000, |v6|
	s_delay_alu instid0(VALU_DEP_1) | instskip(NEXT) | instid1(VALU_DEP_1)
	v_floor_f32_e32 v7, v7
	v_fma_f32 v11, 0xcf800000, v7, |v6|
	v_ashrrev_i32_e32 v6, 31, v6
	v_cvt_u32_f32_e32 v12, v7
	s_delay_alu instid0(VALU_DEP_3) | instskip(NEXT) | instid1(VALU_DEP_2)
	v_cvt_u32_f32_e32 v11, v11
	v_dual_mov_b32 v7, v6 :: v_dual_bitop2_b32 v13, v12, v6 bitop3:0x14
	s_delay_alu instid0(VALU_DEP_2) | instskip(NEXT) | instid1(VALU_DEP_1)
	v_xor_b32_e32 v12, v11, v6
	v_sub_nc_u64_e32 v[6:7], v[12:13], v[6:7]
.LBB62_1438:
	s_or_b32 exec_lo, exec_lo, s6
	s_mov_b32 s6, 0
	s_branch .LBB62_1444
.LBB62_1439:
	s_mov_b32 s6, -1
                                        ; implicit-def: $vgpr6_vgpr7
	s_branch .LBB62_1450
.LBB62_1440:
	s_and_not1_saveexec_b32 s7, s7
	s_cbranch_execz .LBB62_1425
.LBB62_1441:
	v_cmp_ne_u16_e32 vcc_lo, 0, v11
	s_and_not1_b32 s13, s13, exec_lo
	s_and_b32 s15, vcc_lo, exec_lo
	s_delay_alu instid0(SALU_CYCLE_1)
	s_or_b32 s13, s13, s15
	s_or_b32 exec_lo, exec_lo, s7
	v_mov_b64_e32 v[6:7], 0
	s_and_saveexec_b32 s7, s13
	s_cbranch_execnz .LBB62_1426
	s_branch .LBB62_1427
.LBB62_1442:
	s_mov_b32 s6, -1
                                        ; implicit-def: $vgpr6_vgpr7
	s_branch .LBB62_1447
.LBB62_1443:
	s_mov_b32 s6, -1
                                        ; implicit-def: $vgpr6_vgpr7
.LBB62_1444:
	s_delay_alu instid0(SALU_CYCLE_1)
	s_and_b32 vcc_lo, exec_lo, s6
	s_cbranch_vccz .LBB62_1446
; %bb.1445:
	s_wait_loadcnt 0x0
	global_load_u8 v6, v[8:9], off
	s_wait_loadcnt 0x0
	v_lshlrev_b32_e32 v6, 24, v6
	s_delay_alu instid0(VALU_DEP_1) | instskip(NEXT) | instid1(VALU_DEP_1)
	v_and_b32_e32 v7, 0x7f000000, v6
	v_clz_i32_u32_e32 v11, v7
	v_add_nc_u32_e32 v13, 0x1000000, v7
	v_cmp_ne_u32_e32 vcc_lo, 0, v7
	s_delay_alu instid0(VALU_DEP_3) | instskip(NEXT) | instid1(VALU_DEP_1)
	v_min_u32_e32 v11, 32, v11
	v_sub_nc_u32_e64 v11, v11, 4 clamp
	s_delay_alu instid0(VALU_DEP_1) | instskip(NEXT) | instid1(VALU_DEP_1)
	v_lshlrev_b32_e32 v12, v11, v7
	v_dual_lshlrev_b32 v11, 23, v11 :: v_dual_lshrrev_b32 v12, 4, v12
	s_delay_alu instid0(VALU_DEP_1) | instskip(NEXT) | instid1(VALU_DEP_1)
	v_dual_sub_nc_u32 v11, v12, v11 :: v_dual_ashrrev_i32 v12, 8, v13
	v_add_nc_u32_e32 v11, 0x3c000000, v11
	s_delay_alu instid0(VALU_DEP_1) | instskip(NEXT) | instid1(VALU_DEP_1)
	v_and_or_b32 v11, 0x7f800000, v12, v11
	v_cndmask_b32_e32 v7, 0, v11, vcc_lo
	s_delay_alu instid0(VALU_DEP_1) | instskip(NEXT) | instid1(VALU_DEP_1)
	v_and_or_b32 v6, 0x80000000, v6, v7
	v_trunc_f32_e32 v6, v6
	s_delay_alu instid0(VALU_DEP_1) | instskip(NEXT) | instid1(VALU_DEP_1)
	v_mul_f32_e64 v7, 0x2f800000, |v6|
	v_floor_f32_e32 v7, v7
	s_delay_alu instid0(VALU_DEP_1) | instskip(SKIP_2) | instid1(VALU_DEP_3)
	v_fma_f32 v11, 0xcf800000, v7, |v6|
	v_ashrrev_i32_e32 v6, 31, v6
	v_cvt_u32_f32_e32 v12, v7
	v_cvt_u32_f32_e32 v11, v11
	s_delay_alu instid0(VALU_DEP_2) | instskip(NEXT) | instid1(VALU_DEP_2)
	v_dual_mov_b32 v7, v6 :: v_dual_bitop2_b32 v13, v12, v6 bitop3:0x14
	v_xor_b32_e32 v12, v11, v6
	s_delay_alu instid0(VALU_DEP_1)
	v_sub_nc_u64_e32 v[6:7], v[12:13], v[6:7]
.LBB62_1446:
	s_mov_b32 s6, 0
.LBB62_1447:
	s_delay_alu instid0(SALU_CYCLE_1)
	s_and_not1_b32 vcc_lo, exec_lo, s6
	s_cbranch_vccnz .LBB62_1449
; %bb.1448:
	s_wait_loadcnt 0x0
	global_load_u8 v6, v[8:9], off
	s_wait_loadcnt 0x0
	v_lshlrev_b32_e32 v7, 25, v6
	v_lshlrev_b16 v6, 8, v6
	s_delay_alu instid0(VALU_DEP_1) | instskip(SKIP_1) | instid1(VALU_DEP_2)
	v_and_or_b32 v12, 0x7f00, v6, 0.5
	v_bfe_i32 v6, v6, 0, 16
	v_dual_add_f32 v12, -0.5, v12 :: v_dual_lshrrev_b32 v11, 4, v7
	v_cmp_gt_u32_e32 vcc_lo, 0x8000000, v7
	s_delay_alu instid0(VALU_DEP_2) | instskip(NEXT) | instid1(VALU_DEP_1)
	v_or_b32_e32 v11, 0x70000000, v11
	v_mul_f32_e32 v11, 0x7800000, v11
	s_delay_alu instid0(VALU_DEP_1) | instskip(NEXT) | instid1(VALU_DEP_1)
	v_cndmask_b32_e32 v7, v11, v12, vcc_lo
	v_and_or_b32 v6, 0x80000000, v6, v7
	s_delay_alu instid0(VALU_DEP_1) | instskip(NEXT) | instid1(VALU_DEP_1)
	v_trunc_f32_e32 v6, v6
	v_mul_f32_e64 v7, 0x2f800000, |v6|
	s_delay_alu instid0(VALU_DEP_1) | instskip(NEXT) | instid1(VALU_DEP_1)
	v_floor_f32_e32 v7, v7
	v_fma_f32 v11, 0xcf800000, v7, |v6|
	v_ashrrev_i32_e32 v6, 31, v6
	v_cvt_u32_f32_e32 v12, v7
	s_delay_alu instid0(VALU_DEP_3) | instskip(NEXT) | instid1(VALU_DEP_2)
	v_cvt_u32_f32_e32 v11, v11
	v_dual_mov_b32 v7, v6 :: v_dual_bitop2_b32 v13, v12, v6 bitop3:0x14
	s_delay_alu instid0(VALU_DEP_2) | instskip(NEXT) | instid1(VALU_DEP_1)
	v_xor_b32_e32 v12, v11, v6
	v_sub_nc_u64_e32 v[6:7], v[12:13], v[6:7]
.LBB62_1449:
	s_mov_b32 s6, 0
	s_mov_b32 s7, -1
.LBB62_1450:
	s_and_not1_b32 vcc_lo, exec_lo, s6
	s_mov_b32 s6, 0
	s_cbranch_vccnz .LBB62_1461
; %bb.1451:
	s_cmp_gt_i32 s0, 14
	s_cbranch_scc0 .LBB62_1454
; %bb.1452:
	s_cmp_eq_u32 s0, 15
	s_cbranch_scc0 .LBB62_1457
; %bb.1453:
	s_wait_loadcnt 0x0
	global_load_u16 v6, v[8:9], off
	s_mov_b32 s2, 0
	s_mov_b32 s7, -1
	s_wait_loadcnt 0x0
	v_lshlrev_b32_e32 v6, 16, v6
	s_delay_alu instid0(VALU_DEP_1) | instskip(NEXT) | instid1(VALU_DEP_1)
	v_trunc_f32_e32 v6, v6
	v_mul_f32_e64 v7, 0x2f800000, |v6|
	s_delay_alu instid0(VALU_DEP_1) | instskip(NEXT) | instid1(VALU_DEP_1)
	v_floor_f32_e32 v7, v7
	v_fma_f32 v11, 0xcf800000, v7, |v6|
	v_ashrrev_i32_e32 v6, 31, v6
	v_cvt_u32_f32_e32 v12, v7
	s_delay_alu instid0(VALU_DEP_3) | instskip(NEXT) | instid1(VALU_DEP_2)
	v_cvt_u32_f32_e32 v11, v11
	v_dual_mov_b32 v7, v6 :: v_dual_bitop2_b32 v13, v12, v6 bitop3:0x14
	s_delay_alu instid0(VALU_DEP_2) | instskip(NEXT) | instid1(VALU_DEP_1)
	v_xor_b32_e32 v12, v11, v6
	v_sub_nc_u64_e32 v[6:7], v[12:13], v[6:7]
	s_branch .LBB62_1459
.LBB62_1454:
	s_mov_b32 s6, -1
	s_branch .LBB62_1458
.LBB62_1455:
	s_and_not1_saveexec_b32 s6, s6
	s_cbranch_execz .LBB62_1436
.LBB62_1456:
	v_cmp_ne_u16_e32 vcc_lo, 0, v11
	s_and_not1_b32 s7, s7, exec_lo
	s_and_b32 s13, vcc_lo, exec_lo
	s_delay_alu instid0(SALU_CYCLE_1)
	s_or_b32 s7, s7, s13
	s_or_b32 exec_lo, exec_lo, s6
	v_mov_b64_e32 v[6:7], 0
	s_and_saveexec_b32 s6, s7
	s_cbranch_execnz .LBB62_1437
	s_branch .LBB62_1438
.LBB62_1457:
	s_mov_b32 s2, -1
.LBB62_1458:
                                        ; implicit-def: $vgpr6_vgpr7
.LBB62_1459:
	s_and_b32 vcc_lo, exec_lo, s6
	s_mov_b32 s6, 0
	s_cbranch_vccz .LBB62_1461
; %bb.1460:
	s_cmp_lg_u32 s0, 11
	s_mov_b32 s6, -1
	s_cselect_b32 s2, -1, 0
.LBB62_1461:
	s_delay_alu instid0(SALU_CYCLE_1)
	s_and_b32 vcc_lo, exec_lo, s2
	s_cbranch_vccnz .LBB62_1993
; %bb.1462:
	s_and_not1_b32 vcc_lo, exec_lo, s6
	s_cbranch_vccnz .LBB62_1464
.LBB62_1463:
	s_wait_loadcnt 0x0
	global_load_u8 v6, v[8:9], off
	s_mov_b32 s2, 0
	s_mov_b32 s7, -1
	v_mov_b32_e32 v7, s2
	s_wait_loadcnt 0x0
	v_cmp_ne_u16_e32 vcc_lo, 0, v6
	v_cndmask_b32_e64 v6, 0, 1, vcc_lo
.LBB62_1464:
	s_mov_b32 s2, 0
.LBB62_1465:
	s_delay_alu instid0(SALU_CYCLE_1)
	s_and_b32 vcc_lo, exec_lo, s2
	s_cbranch_vccz .LBB62_1514
; %bb.1466:
	s_cmp_lt_i32 s0, 5
	s_cbranch_scc1 .LBB62_1471
; %bb.1467:
	s_cmp_lt_i32 s0, 8
	s_cbranch_scc1 .LBB62_1472
	;; [unrolled: 3-line block ×3, first 2 shown]
; %bb.1469:
	s_cmp_gt_i32 s0, 9
	s_cbranch_scc0 .LBB62_1474
; %bb.1470:
	s_wait_loadcnt 0x0
	global_load_b64 v[6:7], v[8:9], off
	s_mov_b32 s2, 0
	s_wait_loadcnt 0x0
	v_trunc_f64_e32 v[6:7], v[6:7]
	s_delay_alu instid0(VALU_DEP_1) | instskip(NEXT) | instid1(VALU_DEP_1)
	v_ldexp_f64 v[12:13], v[6:7], 0xffffffe0
	v_floor_f64_e32 v[12:13], v[12:13]
	s_delay_alu instid0(VALU_DEP_1) | instskip(SKIP_1) | instid1(VALU_DEP_2)
	v_fmamk_f64 v[14:15], v[12:13], 0xc1f00000, v[6:7]
	v_cvt_i32_f64_e32 v7, v[12:13]
	v_cvt_u32_f64_e32 v6, v[14:15]
	s_branch .LBB62_1475
.LBB62_1471:
	s_mov_b32 s2, -1
                                        ; implicit-def: $vgpr6_vgpr7
	s_branch .LBB62_1493
.LBB62_1472:
	s_mov_b32 s2, -1
                                        ; implicit-def: $vgpr6_vgpr7
	s_branch .LBB62_1481
.LBB62_1473:
	s_mov_b32 s2, -1
                                        ; implicit-def: $vgpr6_vgpr7
	s_branch .LBB62_1478
.LBB62_1474:
	s_mov_b32 s2, -1
                                        ; implicit-def: $vgpr6_vgpr7
.LBB62_1475:
	s_delay_alu instid0(SALU_CYCLE_1)
	s_and_not1_b32 vcc_lo, exec_lo, s2
	s_cbranch_vccnz .LBB62_1477
; %bb.1476:
	s_wait_loadcnt 0x0
	global_load_b32 v6, v[8:9], off
	s_wait_loadcnt 0x0
	v_trunc_f32_e32 v6, v6
	s_delay_alu instid0(VALU_DEP_1) | instskip(NEXT) | instid1(VALU_DEP_1)
	v_mul_f32_e64 v7, 0x2f800000, |v6|
	v_floor_f32_e32 v7, v7
	s_delay_alu instid0(VALU_DEP_1) | instskip(SKIP_2) | instid1(VALU_DEP_3)
	v_fma_f32 v11, 0xcf800000, v7, |v6|
	v_ashrrev_i32_e32 v6, 31, v6
	v_cvt_u32_f32_e32 v12, v7
	v_cvt_u32_f32_e32 v11, v11
	s_delay_alu instid0(VALU_DEP_2) | instskip(NEXT) | instid1(VALU_DEP_2)
	v_dual_mov_b32 v7, v6 :: v_dual_bitop2_b32 v13, v12, v6 bitop3:0x14
	v_xor_b32_e32 v12, v11, v6
	s_delay_alu instid0(VALU_DEP_1)
	v_sub_nc_u64_e32 v[6:7], v[12:13], v[6:7]
.LBB62_1477:
	s_mov_b32 s2, 0
.LBB62_1478:
	s_delay_alu instid0(SALU_CYCLE_1)
	s_and_not1_b32 vcc_lo, exec_lo, s2
	s_cbranch_vccnz .LBB62_1480
; %bb.1479:
	s_wait_loadcnt 0x0
	global_load_b32 v6, v[8:9], off
	s_wait_loadcnt 0x0
	v_cvt_f32_f16_e32 v6, v6
	s_delay_alu instid0(VALU_DEP_1) | instskip(NEXT) | instid1(VALU_DEP_1)
	v_cvt_i32_f32_e32 v6, v6
	v_ashrrev_i32_e32 v7, 31, v6
.LBB62_1480:
	s_mov_b32 s2, 0
.LBB62_1481:
	s_delay_alu instid0(SALU_CYCLE_1)
	s_and_not1_b32 vcc_lo, exec_lo, s2
	s_cbranch_vccnz .LBB62_1492
; %bb.1482:
	s_cmp_lt_i32 s0, 6
	s_cbranch_scc1 .LBB62_1485
; %bb.1483:
	s_cmp_gt_i32 s0, 6
	s_cbranch_scc0 .LBB62_1486
; %bb.1484:
	s_wait_loadcnt 0x0
	global_load_b64 v[6:7], v[8:9], off
	s_mov_b32 s2, 0
	s_wait_loadcnt 0x0
	v_trunc_f64_e32 v[6:7], v[6:7]
	s_delay_alu instid0(VALU_DEP_1) | instskip(NEXT) | instid1(VALU_DEP_1)
	v_ldexp_f64 v[12:13], v[6:7], 0xffffffe0
	v_floor_f64_e32 v[12:13], v[12:13]
	s_delay_alu instid0(VALU_DEP_1) | instskip(SKIP_1) | instid1(VALU_DEP_2)
	v_fmamk_f64 v[14:15], v[12:13], 0xc1f00000, v[6:7]
	v_cvt_i32_f64_e32 v7, v[12:13]
	v_cvt_u32_f64_e32 v6, v[14:15]
	s_branch .LBB62_1487
.LBB62_1485:
	s_mov_b32 s2, -1
                                        ; implicit-def: $vgpr6_vgpr7
	s_branch .LBB62_1490
.LBB62_1486:
	s_mov_b32 s2, -1
                                        ; implicit-def: $vgpr6_vgpr7
.LBB62_1487:
	s_delay_alu instid0(SALU_CYCLE_1)
	s_and_not1_b32 vcc_lo, exec_lo, s2
	s_cbranch_vccnz .LBB62_1489
; %bb.1488:
	s_wait_loadcnt 0x0
	global_load_b32 v6, v[8:9], off
	s_wait_loadcnt 0x0
	v_trunc_f32_e32 v6, v6
	s_delay_alu instid0(VALU_DEP_1) | instskip(NEXT) | instid1(VALU_DEP_1)
	v_mul_f32_e64 v7, 0x2f800000, |v6|
	v_floor_f32_e32 v7, v7
	s_delay_alu instid0(VALU_DEP_1) | instskip(SKIP_2) | instid1(VALU_DEP_3)
	v_fma_f32 v11, 0xcf800000, v7, |v6|
	v_ashrrev_i32_e32 v6, 31, v6
	v_cvt_u32_f32_e32 v12, v7
	v_cvt_u32_f32_e32 v11, v11
	s_delay_alu instid0(VALU_DEP_2) | instskip(NEXT) | instid1(VALU_DEP_2)
	v_dual_mov_b32 v7, v6 :: v_dual_bitop2_b32 v13, v12, v6 bitop3:0x14
	v_xor_b32_e32 v12, v11, v6
	s_delay_alu instid0(VALU_DEP_1)
	v_sub_nc_u64_e32 v[6:7], v[12:13], v[6:7]
.LBB62_1489:
	s_mov_b32 s2, 0
.LBB62_1490:
	s_delay_alu instid0(SALU_CYCLE_1)
	s_and_not1_b32 vcc_lo, exec_lo, s2
	s_cbranch_vccnz .LBB62_1492
; %bb.1491:
	s_wait_loadcnt 0x0
	global_load_u16 v6, v[8:9], off
	s_wait_loadcnt 0x0
	v_cvt_f32_f16_e32 v6, v6
	s_delay_alu instid0(VALU_DEP_1) | instskip(NEXT) | instid1(VALU_DEP_1)
	v_cvt_i32_f32_e32 v6, v6
	v_ashrrev_i32_e32 v7, 31, v6
.LBB62_1492:
	s_mov_b32 s2, 0
.LBB62_1493:
	s_delay_alu instid0(SALU_CYCLE_1)
	s_and_not1_b32 vcc_lo, exec_lo, s2
	s_cbranch_vccnz .LBB62_1513
; %bb.1494:
	s_cmp_lt_i32 s0, 2
	s_cbranch_scc1 .LBB62_1498
; %bb.1495:
	s_cmp_lt_i32 s0, 3
	s_cbranch_scc1 .LBB62_1499
; %bb.1496:
	s_cmp_gt_i32 s0, 3
	s_cbranch_scc0 .LBB62_1500
; %bb.1497:
	s_wait_loadcnt 0x0
	global_load_b64 v[6:7], v[8:9], off
	s_mov_b32 s2, 0
	s_branch .LBB62_1501
.LBB62_1498:
	s_mov_b32 s2, -1
                                        ; implicit-def: $vgpr6_vgpr7
	s_branch .LBB62_1507
.LBB62_1499:
	s_mov_b32 s2, -1
                                        ; implicit-def: $vgpr6_vgpr7
	s_branch .LBB62_1504
.LBB62_1500:
	s_mov_b32 s2, -1
                                        ; implicit-def: $vgpr6_vgpr7
.LBB62_1501:
	s_delay_alu instid0(SALU_CYCLE_1)
	s_and_not1_b32 vcc_lo, exec_lo, s2
	s_cbranch_vccnz .LBB62_1503
; %bb.1502:
	s_wait_loadcnt 0x0
	global_load_b32 v6, v[8:9], off
	s_wait_loadcnt 0x0
	v_ashrrev_i32_e32 v7, 31, v6
.LBB62_1503:
	s_mov_b32 s2, 0
.LBB62_1504:
	s_delay_alu instid0(SALU_CYCLE_1)
	s_and_not1_b32 vcc_lo, exec_lo, s2
	s_cbranch_vccnz .LBB62_1506
; %bb.1505:
	s_wait_loadcnt 0x0
	global_load_u16 v6, v[8:9], off
	s_wait_loadcnt 0x0
	v_bfe_i32 v6, v6, 0, 16
	s_delay_alu instid0(VALU_DEP_1)
	v_ashrrev_i32_e32 v7, 31, v6
.LBB62_1506:
	s_mov_b32 s2, 0
.LBB62_1507:
	s_delay_alu instid0(SALU_CYCLE_1)
	s_and_not1_b32 vcc_lo, exec_lo, s2
	s_cbranch_vccnz .LBB62_1513
; %bb.1508:
	s_cmp_gt_i32 s0, 0
	s_mov_b32 s0, 0
	s_cbranch_scc0 .LBB62_1510
; %bb.1509:
	s_wait_loadcnt 0x0
	global_load_i8 v6, v[8:9], off
	s_wait_loadcnt 0x0
	v_bfe_i32 v6, v6, 0, 16
	s_delay_alu instid0(VALU_DEP_1)
	v_ashrrev_i32_e32 v7, 31, v6
	s_branch .LBB62_1511
.LBB62_1510:
	s_mov_b32 s0, -1
                                        ; implicit-def: $vgpr6_vgpr7
.LBB62_1511:
	s_delay_alu instid0(SALU_CYCLE_1)
	s_and_not1_b32 vcc_lo, exec_lo, s0
	s_cbranch_vccnz .LBB62_1513
; %bb.1512:
	s_wait_loadcnt 0x0
	global_load_u8 v6, v[8:9], off
	s_mov_b32 s0, 0
	s_delay_alu instid0(SALU_CYCLE_1)
	v_mov_b32_e32 v7, s0
	s_wait_loadcnt 0x0
	v_and_b32_e32 v6, 0xffff, v6
.LBB62_1513:
	s_mov_b32 s7, -1
.LBB62_1514:
	s_delay_alu instid0(SALU_CYCLE_1)
	s_and_not1_b32 vcc_lo, exec_lo, s7
	s_cbranch_vccnz .LBB62_1947
; %bb.1515:
	s_wait_xcnt 0x0
	v_mul_lo_u32 v8, s12, v10
	s_wait_loadcnt 0x0
	v_cmp_ne_u64_e32 vcc_lo, s[8:9], v[0:1]
	s_cmp_eq_u32 s14, 0
	s_mov_b32 s13, 0
	s_cselect_b32 s2, -1, 0
	s_and_b32 s15, s10, 0xff
	s_mov_b32 s0, -1
	s_xor_b32 s6, s2, vcc_lo
	s_cmp_lt_i32 s15, 11
	s_delay_alu instid0(VALU_DEP_2) | instskip(NEXT) | instid1(VALU_DEP_1)
	v_ashrrev_i32_e32 v9, 31, v8
	v_add_nc_u64_e32 v[0:1], s[4:5], v[8:9]
	s_cbranch_scc1 .LBB62_1594
; %bb.1516:
	s_and_b32 s7, 0xffff, s15
	s_mov_b32 s14, -1
	s_mov_b32 s10, 0
	s_cmp_gt_i32 s7, 25
	s_mov_b32 s0, 0
	s_cbranch_scc0 .LBB62_1549
; %bb.1517:
	s_cmp_gt_i32 s7, 28
	s_cbranch_scc0 .LBB62_1532
; %bb.1518:
	s_cmp_gt_i32 s7, 43
	s_cbranch_scc0 .LBB62_1528
; %bb.1519:
	s_cmp_gt_i32 s7, 45
	s_cbranch_scc0 .LBB62_1522
; %bb.1520:
	s_mov_b32 s0, -1
	s_mov_b32 s14, 0
	s_cmp_eq_u32 s7, 46
	s_cbranch_scc0 .LBB62_1522
; %bb.1521:
	v_cndmask_b32_e64 v9, 0, 1.0, s6
	s_mov_b32 s0, 0
	s_mov_b32 s13, -1
	s_delay_alu instid0(VALU_DEP_1) | instskip(NEXT) | instid1(VALU_DEP_1)
	v_bfe_u32 v10, v9, 16, 1
	v_add3_u32 v9, v9, v10, 0x7fff
	s_delay_alu instid0(VALU_DEP_1)
	v_lshrrev_b32_e32 v9, 16, v9
	global_store_b32 v[0:1], v9, off
.LBB62_1522:
	s_and_b32 vcc_lo, exec_lo, s14
	s_cbranch_vccz .LBB62_1527
; %bb.1523:
	s_cmp_eq_u32 s7, 44
	s_mov_b32 s0, -1
	s_cbranch_scc0 .LBB62_1527
; %bb.1524:
	v_cndmask_b32_e64 v11, 0, 1.0, s6
	s_mov_b32 s13, exec_lo
	s_wait_xcnt 0x0
	s_delay_alu instid0(VALU_DEP_1) | instskip(NEXT) | instid1(VALU_DEP_1)
	v_dual_mov_b32 v10, 0xff :: v_dual_lshrrev_b32 v9, 23, v11
	v_cmpx_ne_u32_e32 0xff, v9
; %bb.1525:
	v_and_b32_e32 v10, 0x400000, v11
	v_and_or_b32 v11, 0x3fffff, v11, v9
	s_delay_alu instid0(VALU_DEP_2) | instskip(NEXT) | instid1(VALU_DEP_2)
	v_cmp_ne_u32_e32 vcc_lo, 0, v10
	v_cmp_ne_u32_e64 s0, 0, v11
	s_and_b32 s0, vcc_lo, s0
	s_delay_alu instid0(SALU_CYCLE_1) | instskip(NEXT) | instid1(VALU_DEP_1)
	v_cndmask_b32_e64 v10, 0, 1, s0
	v_add_nc_u32_e32 v10, v9, v10
; %bb.1526:
	s_or_b32 exec_lo, exec_lo, s13
	s_mov_b32 s0, 0
	s_mov_b32 s13, -1
	global_store_b8 v[0:1], v10, off
.LBB62_1527:
	s_mov_b32 s14, 0
.LBB62_1528:
	s_delay_alu instid0(SALU_CYCLE_1)
	s_and_b32 vcc_lo, exec_lo, s14
	s_cbranch_vccz .LBB62_1531
; %bb.1529:
	s_cmp_eq_u32 s7, 29
	s_mov_b32 s0, -1
	s_cbranch_scc0 .LBB62_1531
; %bb.1530:
	s_mov_b32 s0, 0
	s_wait_xcnt 0x0
	v_cndmask_b32_e64 v10, 0, 1, s6
	v_mov_b32_e32 v11, s0
	s_mov_b32 s13, -1
	global_store_b64 v[0:1], v[10:11], off
.LBB62_1531:
	s_mov_b32 s14, 0
.LBB62_1532:
	s_delay_alu instid0(SALU_CYCLE_1)
	s_and_b32 vcc_lo, exec_lo, s14
	s_cbranch_vccz .LBB62_1548
; %bb.1533:
	s_cmp_lt_i32 s7, 27
	s_mov_b32 s13, -1
	s_cbranch_scc1 .LBB62_1539
; %bb.1534:
	s_cmp_gt_i32 s7, 27
	s_cbranch_scc0 .LBB62_1536
; %bb.1535:
	s_wait_xcnt 0x0
	v_cndmask_b32_e64 v9, 0, 1, s6
	s_mov_b32 s13, 0
	global_store_b32 v[0:1], v9, off
.LBB62_1536:
	s_and_not1_b32 vcc_lo, exec_lo, s13
	s_cbranch_vccnz .LBB62_1538
; %bb.1537:
	s_wait_xcnt 0x0
	v_cndmask_b32_e64 v9, 0, 1, s6
	global_store_b16 v[0:1], v9, off
.LBB62_1538:
	s_mov_b32 s13, 0
.LBB62_1539:
	s_delay_alu instid0(SALU_CYCLE_1)
	s_and_not1_b32 vcc_lo, exec_lo, s13
	s_cbranch_vccnz .LBB62_1547
; %bb.1540:
	s_wait_xcnt 0x0
	v_cndmask_b32_e64 v10, 0, 1.0, s6
	v_mov_b32_e32 v11, 0x80
	s_mov_b32 s13, exec_lo
	s_delay_alu instid0(VALU_DEP_2)
	v_cmpx_gt_u32_e32 0x43800000, v10
	s_cbranch_execz .LBB62_1546
; %bb.1541:
	s_mov_b32 s14, 0
	s_mov_b32 s16, exec_lo
                                        ; implicit-def: $vgpr9
	v_cmpx_lt_u32_e32 0x3bffffff, v10
	s_xor_b32 s16, exec_lo, s16
	s_cbranch_execz .LBB62_1994
; %bb.1542:
	v_bfe_u32 v9, v10, 20, 1
	s_mov_b32 s14, exec_lo
	s_delay_alu instid0(VALU_DEP_1) | instskip(NEXT) | instid1(VALU_DEP_1)
	v_add3_u32 v9, v10, v9, 0x487ffff
                                        ; implicit-def: $vgpr10
	v_lshrrev_b32_e32 v9, 20, v9
	s_and_not1_saveexec_b32 s16, s16
	s_cbranch_execnz .LBB62_1995
.LBB62_1543:
	s_or_b32 exec_lo, exec_lo, s16
	v_mov_b32_e32 v11, 0
	s_and_saveexec_b32 s16, s14
.LBB62_1544:
	v_mov_b32_e32 v11, v9
.LBB62_1545:
	s_or_b32 exec_lo, exec_lo, s16
.LBB62_1546:
	s_delay_alu instid0(SALU_CYCLE_1)
	s_or_b32 exec_lo, exec_lo, s13
	global_store_b8 v[0:1], v11, off
.LBB62_1547:
	s_mov_b32 s13, -1
.LBB62_1548:
	s_mov_b32 s14, 0
.LBB62_1549:
	s_delay_alu instid0(SALU_CYCLE_1)
	s_and_b32 vcc_lo, exec_lo, s14
	s_cbranch_vccz .LBB62_1589
; %bb.1550:
	s_cmp_gt_i32 s7, 22
	s_mov_b32 s10, -1
	s_cbranch_scc0 .LBB62_1582
; %bb.1551:
	s_cmp_lt_i32 s7, 24
	s_cbranch_scc1 .LBB62_1571
; %bb.1552:
	s_cmp_gt_i32 s7, 24
	s_cbranch_scc0 .LBB62_1560
; %bb.1553:
	s_wait_xcnt 0x0
	v_cndmask_b32_e64 v10, 0, 1.0, s6
	v_mov_b32_e32 v11, 0x80
	s_mov_b32 s10, exec_lo
	s_delay_alu instid0(VALU_DEP_2)
	v_cmpx_gt_u32_e32 0x47800000, v10
	s_cbranch_execz .LBB62_1559
; %bb.1554:
	s_mov_b32 s13, 0
	s_mov_b32 s14, exec_lo
                                        ; implicit-def: $vgpr9
	v_cmpx_lt_u32_e32 0x37ffffff, v10
	s_xor_b32 s14, exec_lo, s14
	s_cbranch_execz .LBB62_1997
; %bb.1555:
	v_bfe_u32 v9, v10, 21, 1
	s_mov_b32 s13, exec_lo
	s_delay_alu instid0(VALU_DEP_1) | instskip(NEXT) | instid1(VALU_DEP_1)
	v_add3_u32 v9, v10, v9, 0x88fffff
                                        ; implicit-def: $vgpr10
	v_lshrrev_b32_e32 v9, 21, v9
	s_and_not1_saveexec_b32 s14, s14
	s_cbranch_execnz .LBB62_1998
.LBB62_1556:
	s_or_b32 exec_lo, exec_lo, s14
	v_mov_b32_e32 v11, 0
	s_and_saveexec_b32 s14, s13
.LBB62_1557:
	v_mov_b32_e32 v11, v9
.LBB62_1558:
	s_or_b32 exec_lo, exec_lo, s14
.LBB62_1559:
	s_delay_alu instid0(SALU_CYCLE_1)
	s_or_b32 exec_lo, exec_lo, s10
	s_mov_b32 s10, 0
	global_store_b8 v[0:1], v11, off
.LBB62_1560:
	s_and_b32 vcc_lo, exec_lo, s10
	s_cbranch_vccz .LBB62_1570
; %bb.1561:
	s_wait_xcnt 0x0
	v_cndmask_b32_e64 v10, 0, 1.0, s6
	s_mov_b32 s10, exec_lo
                                        ; implicit-def: $vgpr9
	s_delay_alu instid0(VALU_DEP_1)
	v_cmpx_gt_u32_e32 0x43f00000, v10
	s_xor_b32 s10, exec_lo, s10
	s_cbranch_execz .LBB62_1567
; %bb.1562:
	s_mov_b32 s13, exec_lo
                                        ; implicit-def: $vgpr9
	v_cmpx_lt_u32_e32 0x3c7fffff, v10
	s_xor_b32 s13, exec_lo, s13
; %bb.1563:
	v_bfe_u32 v9, v10, 20, 1
	s_delay_alu instid0(VALU_DEP_1) | instskip(NEXT) | instid1(VALU_DEP_1)
	v_add3_u32 v9, v10, v9, 0x407ffff
	v_and_b32_e32 v10, 0xff00000, v9
	v_lshrrev_b32_e32 v9, 20, v9
	s_delay_alu instid0(VALU_DEP_2) | instskip(NEXT) | instid1(VALU_DEP_2)
	v_cmp_ne_u32_e32 vcc_lo, 0x7f00000, v10
                                        ; implicit-def: $vgpr10
	v_cndmask_b32_e32 v9, 0x7e, v9, vcc_lo
; %bb.1564:
	s_and_not1_saveexec_b32 s13, s13
; %bb.1565:
	v_add_f32_e32 v9, 0x46800000, v10
; %bb.1566:
	s_or_b32 exec_lo, exec_lo, s13
                                        ; implicit-def: $vgpr10
.LBB62_1567:
	s_and_not1_saveexec_b32 s10, s10
; %bb.1568:
	v_mov_b32_e32 v9, 0x7f
	v_cmp_lt_u32_e32 vcc_lo, 0x7f800000, v10
	s_delay_alu instid0(VALU_DEP_2)
	v_cndmask_b32_e32 v9, 0x7e, v9, vcc_lo
; %bb.1569:
	s_or_b32 exec_lo, exec_lo, s10
	global_store_b8 v[0:1], v9, off
.LBB62_1570:
	s_mov_b32 s10, 0
.LBB62_1571:
	s_delay_alu instid0(SALU_CYCLE_1)
	s_and_not1_b32 vcc_lo, exec_lo, s10
	s_cbranch_vccnz .LBB62_1581
; %bb.1572:
	s_wait_xcnt 0x0
	v_cndmask_b32_e64 v10, 0, 1.0, s6
	s_mov_b32 s10, exec_lo
                                        ; implicit-def: $vgpr9
	s_delay_alu instid0(VALU_DEP_1)
	v_cmpx_gt_u32_e32 0x47800000, v10
	s_xor_b32 s10, exec_lo, s10
	s_cbranch_execz .LBB62_1578
; %bb.1573:
	s_mov_b32 s13, exec_lo
                                        ; implicit-def: $vgpr9
	v_cmpx_lt_u32_e32 0x387fffff, v10
	s_xor_b32 s13, exec_lo, s13
; %bb.1574:
	v_bfe_u32 v9, v10, 21, 1
	s_delay_alu instid0(VALU_DEP_1) | instskip(NEXT) | instid1(VALU_DEP_1)
	v_add3_u32 v9, v10, v9, 0x80fffff
                                        ; implicit-def: $vgpr10
	v_lshrrev_b32_e32 v9, 21, v9
; %bb.1575:
	s_and_not1_saveexec_b32 s13, s13
; %bb.1576:
	v_add_f32_e32 v9, 0x43000000, v10
; %bb.1577:
	s_or_b32 exec_lo, exec_lo, s13
                                        ; implicit-def: $vgpr10
.LBB62_1578:
	s_and_not1_saveexec_b32 s10, s10
; %bb.1579:
	v_mov_b32_e32 v9, 0x7f
	v_cmp_lt_u32_e32 vcc_lo, 0x7f800000, v10
	s_delay_alu instid0(VALU_DEP_2)
	v_cndmask_b32_e32 v9, 0x7c, v9, vcc_lo
; %bb.1580:
	s_or_b32 exec_lo, exec_lo, s10
	global_store_b8 v[0:1], v9, off
.LBB62_1581:
	s_mov_b32 s10, 0
	s_mov_b32 s13, -1
.LBB62_1582:
	s_and_not1_b32 vcc_lo, exec_lo, s10
	s_mov_b32 s10, 0
	s_cbranch_vccnz .LBB62_1589
; %bb.1583:
	s_cmp_gt_i32 s7, 14
	s_mov_b32 s10, -1
	s_cbranch_scc0 .LBB62_1587
; %bb.1584:
	s_cmp_eq_u32 s7, 15
	s_mov_b32 s0, -1
	s_cbranch_scc0 .LBB62_1586
; %bb.1585:
	s_wait_xcnt 0x0
	v_cndmask_b32_e64 v9, 0, 1.0, s6
	s_mov_b32 s0, 0
	s_mov_b32 s13, -1
	s_delay_alu instid0(VALU_DEP_1) | instskip(NEXT) | instid1(VALU_DEP_1)
	v_bfe_u32 v10, v9, 16, 1
	v_add3_u32 v9, v9, v10, 0x7fff
	global_store_d16_hi_b16 v[0:1], v9, off
.LBB62_1586:
	s_mov_b32 s10, 0
.LBB62_1587:
	s_delay_alu instid0(SALU_CYCLE_1)
	s_and_b32 vcc_lo, exec_lo, s10
	s_mov_b32 s10, 0
	s_cbranch_vccz .LBB62_1589
; %bb.1588:
	s_cmp_lg_u32 s7, 11
	s_mov_b32 s10, -1
	s_cselect_b32 s0, -1, 0
.LBB62_1589:
	s_delay_alu instid0(SALU_CYCLE_1)
	s_and_b32 vcc_lo, exec_lo, s0
	s_cbranch_vccnz .LBB62_1996
; %bb.1590:
	s_and_not1_b32 vcc_lo, exec_lo, s10
	s_cbranch_vccnz .LBB62_1592
.LBB62_1591:
	s_wait_xcnt 0x0
	v_cndmask_b32_e64 v9, 0, 1, s6
	s_mov_b32 s13, -1
	global_store_b8 v[0:1], v9, off
.LBB62_1592:
.LBB62_1593:
	s_and_not1_b32 vcc_lo, exec_lo, s13
	s_cbranch_vccnz .LBB62_1947
	s_branch .LBB62_1633
.LBB62_1594:
	s_and_b32 vcc_lo, exec_lo, s0
	s_cbranch_vccz .LBB62_1593
; %bb.1595:
	s_and_b32 s0, 0xffff, s15
	s_mov_b32 s7, -1
	s_cmp_lt_i32 s0, 5
	s_cbranch_scc1 .LBB62_1616
; %bb.1596:
	s_cmp_lt_i32 s0, 8
	s_cbranch_scc1 .LBB62_1606
; %bb.1597:
	;; [unrolled: 3-line block ×3, first 2 shown]
	s_cmp_gt_i32 s0, 9
	s_cbranch_scc0 .LBB62_1600
; %bb.1599:
	s_wait_xcnt 0x0
	v_cndmask_b32_e64 v9, 0, 1, s6
	v_mov_b32_e32 v12, 0
	s_mov_b32 s7, 0
	s_delay_alu instid0(VALU_DEP_2) | instskip(NEXT) | instid1(VALU_DEP_2)
	v_cvt_f64_u32_e32 v[10:11], v9
	v_mov_b32_e32 v13, v12
	global_store_b128 v[0:1], v[10:13], off
.LBB62_1600:
	s_and_not1_b32 vcc_lo, exec_lo, s7
	s_cbranch_vccnz .LBB62_1602
; %bb.1601:
	s_wait_xcnt 0x0
	v_cndmask_b32_e64 v10, 0, 1.0, s6
	v_mov_b32_e32 v11, 0
	global_store_b64 v[0:1], v[10:11], off
.LBB62_1602:
	s_mov_b32 s7, 0
.LBB62_1603:
	s_delay_alu instid0(SALU_CYCLE_1)
	s_and_not1_b32 vcc_lo, exec_lo, s7
	s_cbranch_vccnz .LBB62_1605
; %bb.1604:
	s_wait_xcnt 0x0
	v_cndmask_b32_e64 v9, 0, 1.0, s6
	s_delay_alu instid0(VALU_DEP_1) | instskip(NEXT) | instid1(VALU_DEP_1)
	v_cvt_f16_f32_e32 v9, v9
	v_and_b32_e32 v9, 0xffff, v9
	global_store_b32 v[0:1], v9, off
.LBB62_1605:
	s_mov_b32 s7, 0
.LBB62_1606:
	s_delay_alu instid0(SALU_CYCLE_1)
	s_and_not1_b32 vcc_lo, exec_lo, s7
	s_cbranch_vccnz .LBB62_1615
; %bb.1607:
	s_cmp_lt_i32 s0, 6
	s_mov_b32 s7, -1
	s_cbranch_scc1 .LBB62_1613
; %bb.1608:
	s_cmp_gt_i32 s0, 6
	s_cbranch_scc0 .LBB62_1610
; %bb.1609:
	s_wait_xcnt 0x0
	v_cndmask_b32_e64 v9, 0, 1, s6
	s_mov_b32 s7, 0
	s_delay_alu instid0(VALU_DEP_1)
	v_cvt_f64_u32_e32 v[10:11], v9
	global_store_b64 v[0:1], v[10:11], off
.LBB62_1610:
	s_and_not1_b32 vcc_lo, exec_lo, s7
	s_cbranch_vccnz .LBB62_1612
; %bb.1611:
	s_wait_xcnt 0x0
	v_cndmask_b32_e64 v9, 0, 1.0, s6
	global_store_b32 v[0:1], v9, off
.LBB62_1612:
	s_mov_b32 s7, 0
.LBB62_1613:
	s_delay_alu instid0(SALU_CYCLE_1)
	s_and_not1_b32 vcc_lo, exec_lo, s7
	s_cbranch_vccnz .LBB62_1615
; %bb.1614:
	s_wait_xcnt 0x0
	v_cndmask_b32_e64 v9, 0, 1.0, s6
	s_delay_alu instid0(VALU_DEP_1)
	v_cvt_f16_f32_e32 v9, v9
	global_store_b16 v[0:1], v9, off
.LBB62_1615:
	s_mov_b32 s7, 0
.LBB62_1616:
	s_delay_alu instid0(SALU_CYCLE_1)
	s_and_not1_b32 vcc_lo, exec_lo, s7
	s_cbranch_vccnz .LBB62_1632
; %bb.1617:
	s_cmp_lt_i32 s0, 2
	s_mov_b32 s7, -1
	s_cbranch_scc1 .LBB62_1627
; %bb.1618:
	s_cmp_lt_i32 s0, 3
	s_cbranch_scc1 .LBB62_1624
; %bb.1619:
	s_cmp_gt_i32 s0, 3
	s_cbranch_scc0 .LBB62_1621
; %bb.1620:
	s_mov_b32 s7, 0
	s_wait_xcnt 0x0
	v_cndmask_b32_e64 v10, 0, 1, s6
	v_mov_b32_e32 v11, s7
	global_store_b64 v[0:1], v[10:11], off
.LBB62_1621:
	s_and_not1_b32 vcc_lo, exec_lo, s7
	s_cbranch_vccnz .LBB62_1623
; %bb.1622:
	s_wait_xcnt 0x0
	v_cndmask_b32_e64 v9, 0, 1, s6
	global_store_b32 v[0:1], v9, off
.LBB62_1623:
	s_mov_b32 s7, 0
.LBB62_1624:
	s_delay_alu instid0(SALU_CYCLE_1)
	s_and_not1_b32 vcc_lo, exec_lo, s7
	s_cbranch_vccnz .LBB62_1626
; %bb.1625:
	s_wait_xcnt 0x0
	v_cndmask_b32_e64 v9, 0, 1, s6
	global_store_b16 v[0:1], v9, off
.LBB62_1626:
	s_mov_b32 s7, 0
.LBB62_1627:
	s_delay_alu instid0(SALU_CYCLE_1)
	s_and_not1_b32 vcc_lo, exec_lo, s7
	s_cbranch_vccnz .LBB62_1632
; %bb.1628:
	s_wait_xcnt 0x0
	v_cndmask_b32_e64 v9, 0, 1, s6
	s_cmp_gt_i32 s0, 0
	s_mov_b32 s0, -1
	s_cbranch_scc0 .LBB62_1630
; %bb.1629:
	s_mov_b32 s0, 0
	global_store_b8 v[0:1], v9, off
.LBB62_1630:
	s_and_not1_b32 vcc_lo, exec_lo, s0
	s_cbranch_vccnz .LBB62_1632
; %bb.1631:
	global_store_b8 v[0:1], v9, off
.LBB62_1632:
.LBB62_1633:
	s_lshl_b32 s6, s12, 7
	v_cmp_ne_u64_e32 vcc_lo, s[8:9], v[2:3]
	s_wait_xcnt 0x0
	v_add_nc_u32_e32 v0, s6, v8
	s_delay_alu instid0(VALU_DEP_1) | instskip(SKIP_2) | instid1(VALU_DEP_1)
	v_ashrrev_i32_e32 v1, 31, v0
	s_xor_b32 s7, s2, vcc_lo
	s_cmp_lt_i32 s15, 11
	v_add_nc_u64_e32 v[2:3], s[4:5], v[0:1]
	s_cbranch_scc1 .LBB62_1711
; %bb.1634:
	s_and_b32 s10, 0xffff, s15
	s_mov_b32 s14, -1
	s_mov_b32 s12, 0
	s_cmp_gt_i32 s10, 25
	s_mov_b32 s13, 0
	s_mov_b32 s0, 0
	s_cbranch_scc0 .LBB62_1667
; %bb.1635:
	s_cmp_gt_i32 s10, 28
	s_cbranch_scc0 .LBB62_1650
; %bb.1636:
	s_cmp_gt_i32 s10, 43
	;; [unrolled: 3-line block ×3, first 2 shown]
	s_cbranch_scc0 .LBB62_1640
; %bb.1638:
	s_mov_b32 s0, -1
	s_mov_b32 s14, 0
	s_cmp_eq_u32 s10, 46
	s_cbranch_scc0 .LBB62_1640
; %bb.1639:
	v_cndmask_b32_e64 v1, 0, 1.0, s7
	s_mov_b32 s0, 0
	s_mov_b32 s13, -1
	s_delay_alu instid0(VALU_DEP_1) | instskip(NEXT) | instid1(VALU_DEP_1)
	v_bfe_u32 v8, v1, 16, 1
	v_add3_u32 v1, v1, v8, 0x7fff
	s_delay_alu instid0(VALU_DEP_1)
	v_lshrrev_b32_e32 v1, 16, v1
	global_store_b32 v[2:3], v1, off
.LBB62_1640:
	s_and_b32 vcc_lo, exec_lo, s14
	s_cbranch_vccz .LBB62_1645
; %bb.1641:
	s_cmp_eq_u32 s10, 44
	s_mov_b32 s0, -1
	s_cbranch_scc0 .LBB62_1645
; %bb.1642:
	v_cndmask_b32_e64 v9, 0, 1.0, s7
	s_mov_b32 s13, exec_lo
	s_wait_xcnt 0x0
	s_delay_alu instid0(VALU_DEP_1) | instskip(NEXT) | instid1(VALU_DEP_1)
	v_dual_mov_b32 v8, 0xff :: v_dual_lshrrev_b32 v1, 23, v9
	v_cmpx_ne_u32_e32 0xff, v1
; %bb.1643:
	v_and_b32_e32 v8, 0x400000, v9
	v_and_or_b32 v9, 0x3fffff, v9, v1
	s_delay_alu instid0(VALU_DEP_2) | instskip(NEXT) | instid1(VALU_DEP_2)
	v_cmp_ne_u32_e32 vcc_lo, 0, v8
	v_cmp_ne_u32_e64 s0, 0, v9
	s_and_b32 s0, vcc_lo, s0
	s_delay_alu instid0(SALU_CYCLE_1) | instskip(NEXT) | instid1(VALU_DEP_1)
	v_cndmask_b32_e64 v8, 0, 1, s0
	v_add_nc_u32_e32 v8, v1, v8
; %bb.1644:
	s_or_b32 exec_lo, exec_lo, s13
	s_mov_b32 s0, 0
	s_mov_b32 s13, -1
	global_store_b8 v[2:3], v8, off
.LBB62_1645:
	s_mov_b32 s14, 0
.LBB62_1646:
	s_delay_alu instid0(SALU_CYCLE_1)
	s_and_b32 vcc_lo, exec_lo, s14
	s_cbranch_vccz .LBB62_1649
; %bb.1647:
	s_cmp_eq_u32 s10, 29
	s_mov_b32 s0, -1
	s_cbranch_scc0 .LBB62_1649
; %bb.1648:
	s_mov_b32 s0, 0
	s_wait_xcnt 0x0
	v_cndmask_b32_e64 v8, 0, 1, s7
	v_mov_b32_e32 v9, s0
	s_mov_b32 s13, -1
	global_store_b64 v[2:3], v[8:9], off
.LBB62_1649:
	s_mov_b32 s14, 0
.LBB62_1650:
	s_delay_alu instid0(SALU_CYCLE_1)
	s_and_b32 vcc_lo, exec_lo, s14
	s_cbranch_vccz .LBB62_1666
; %bb.1651:
	s_cmp_lt_i32 s10, 27
	s_mov_b32 s13, -1
	s_cbranch_scc1 .LBB62_1657
; %bb.1652:
	s_cmp_gt_i32 s10, 27
	s_cbranch_scc0 .LBB62_1654
; %bb.1653:
	s_wait_xcnt 0x0
	v_cndmask_b32_e64 v1, 0, 1, s7
	s_mov_b32 s13, 0
	global_store_b32 v[2:3], v1, off
.LBB62_1654:
	s_and_not1_b32 vcc_lo, exec_lo, s13
	s_cbranch_vccnz .LBB62_1656
; %bb.1655:
	s_wait_xcnt 0x0
	v_cndmask_b32_e64 v1, 0, 1, s7
	global_store_b16 v[2:3], v1, off
.LBB62_1656:
	s_mov_b32 s13, 0
.LBB62_1657:
	s_delay_alu instid0(SALU_CYCLE_1)
	s_and_not1_b32 vcc_lo, exec_lo, s13
	s_cbranch_vccnz .LBB62_1665
; %bb.1658:
	s_wait_xcnt 0x0
	v_cndmask_b32_e64 v8, 0, 1.0, s7
	v_mov_b32_e32 v9, 0x80
	s_mov_b32 s13, exec_lo
	s_delay_alu instid0(VALU_DEP_2)
	v_cmpx_gt_u32_e32 0x43800000, v8
	s_cbranch_execz .LBB62_1664
; %bb.1659:
	s_mov_b32 s14, 0
	s_mov_b32 s16, exec_lo
                                        ; implicit-def: $vgpr1
	v_cmpx_lt_u32_e32 0x3bffffff, v8
	s_xor_b32 s16, exec_lo, s16
	s_cbranch_execz .LBB62_1999
; %bb.1660:
	v_bfe_u32 v1, v8, 20, 1
	s_mov_b32 s14, exec_lo
	s_delay_alu instid0(VALU_DEP_1) | instskip(NEXT) | instid1(VALU_DEP_1)
	v_add3_u32 v1, v8, v1, 0x487ffff
                                        ; implicit-def: $vgpr8
	v_lshrrev_b32_e32 v1, 20, v1
	s_and_not1_saveexec_b32 s16, s16
	s_cbranch_execnz .LBB62_2000
.LBB62_1661:
	s_or_b32 exec_lo, exec_lo, s16
	v_mov_b32_e32 v9, 0
	s_and_saveexec_b32 s16, s14
.LBB62_1662:
	v_mov_b32_e32 v9, v1
.LBB62_1663:
	s_or_b32 exec_lo, exec_lo, s16
.LBB62_1664:
	s_delay_alu instid0(SALU_CYCLE_1)
	s_or_b32 exec_lo, exec_lo, s13
	global_store_b8 v[2:3], v9, off
.LBB62_1665:
	s_mov_b32 s13, -1
.LBB62_1666:
	s_mov_b32 s14, 0
.LBB62_1667:
	s_delay_alu instid0(SALU_CYCLE_1)
	s_and_b32 vcc_lo, exec_lo, s14
	s_cbranch_vccz .LBB62_1707
; %bb.1668:
	s_cmp_gt_i32 s10, 22
	s_mov_b32 s12, -1
	s_cbranch_scc0 .LBB62_1700
; %bb.1669:
	s_cmp_lt_i32 s10, 24
	s_cbranch_scc1 .LBB62_1689
; %bb.1670:
	s_cmp_gt_i32 s10, 24
	s_cbranch_scc0 .LBB62_1678
; %bb.1671:
	s_wait_xcnt 0x0
	v_cndmask_b32_e64 v8, 0, 1.0, s7
	v_mov_b32_e32 v9, 0x80
	s_mov_b32 s12, exec_lo
	s_delay_alu instid0(VALU_DEP_2)
	v_cmpx_gt_u32_e32 0x47800000, v8
	s_cbranch_execz .LBB62_1677
; %bb.1672:
	s_mov_b32 s13, 0
	s_mov_b32 s14, exec_lo
                                        ; implicit-def: $vgpr1
	v_cmpx_lt_u32_e32 0x37ffffff, v8
	s_xor_b32 s14, exec_lo, s14
	s_cbranch_execz .LBB62_2002
; %bb.1673:
	v_bfe_u32 v1, v8, 21, 1
	s_mov_b32 s13, exec_lo
	s_delay_alu instid0(VALU_DEP_1) | instskip(NEXT) | instid1(VALU_DEP_1)
	v_add3_u32 v1, v8, v1, 0x88fffff
                                        ; implicit-def: $vgpr8
	v_lshrrev_b32_e32 v1, 21, v1
	s_and_not1_saveexec_b32 s14, s14
	s_cbranch_execnz .LBB62_2003
.LBB62_1674:
	s_or_b32 exec_lo, exec_lo, s14
	v_mov_b32_e32 v9, 0
	s_and_saveexec_b32 s14, s13
.LBB62_1675:
	v_mov_b32_e32 v9, v1
.LBB62_1676:
	s_or_b32 exec_lo, exec_lo, s14
.LBB62_1677:
	s_delay_alu instid0(SALU_CYCLE_1)
	s_or_b32 exec_lo, exec_lo, s12
	s_mov_b32 s12, 0
	global_store_b8 v[2:3], v9, off
.LBB62_1678:
	s_and_b32 vcc_lo, exec_lo, s12
	s_cbranch_vccz .LBB62_1688
; %bb.1679:
	s_wait_xcnt 0x0
	v_cndmask_b32_e64 v8, 0, 1.0, s7
	s_mov_b32 s12, exec_lo
                                        ; implicit-def: $vgpr1
	s_delay_alu instid0(VALU_DEP_1)
	v_cmpx_gt_u32_e32 0x43f00000, v8
	s_xor_b32 s12, exec_lo, s12
	s_cbranch_execz .LBB62_1685
; %bb.1680:
	s_mov_b32 s13, exec_lo
                                        ; implicit-def: $vgpr1
	v_cmpx_lt_u32_e32 0x3c7fffff, v8
	s_xor_b32 s13, exec_lo, s13
; %bb.1681:
	v_bfe_u32 v1, v8, 20, 1
	s_delay_alu instid0(VALU_DEP_1) | instskip(NEXT) | instid1(VALU_DEP_1)
	v_add3_u32 v1, v8, v1, 0x407ffff
	v_and_b32_e32 v8, 0xff00000, v1
	v_lshrrev_b32_e32 v1, 20, v1
	s_delay_alu instid0(VALU_DEP_2) | instskip(NEXT) | instid1(VALU_DEP_2)
	v_cmp_ne_u32_e32 vcc_lo, 0x7f00000, v8
                                        ; implicit-def: $vgpr8
	v_cndmask_b32_e32 v1, 0x7e, v1, vcc_lo
; %bb.1682:
	s_and_not1_saveexec_b32 s13, s13
; %bb.1683:
	v_add_f32_e32 v1, 0x46800000, v8
; %bb.1684:
	s_or_b32 exec_lo, exec_lo, s13
                                        ; implicit-def: $vgpr8
.LBB62_1685:
	s_and_not1_saveexec_b32 s12, s12
; %bb.1686:
	v_mov_b32_e32 v1, 0x7f
	v_cmp_lt_u32_e32 vcc_lo, 0x7f800000, v8
	s_delay_alu instid0(VALU_DEP_2)
	v_cndmask_b32_e32 v1, 0x7e, v1, vcc_lo
; %bb.1687:
	s_or_b32 exec_lo, exec_lo, s12
	global_store_b8 v[2:3], v1, off
.LBB62_1688:
	s_mov_b32 s12, 0
.LBB62_1689:
	s_delay_alu instid0(SALU_CYCLE_1)
	s_and_not1_b32 vcc_lo, exec_lo, s12
	s_cbranch_vccnz .LBB62_1699
; %bb.1690:
	s_wait_xcnt 0x0
	v_cndmask_b32_e64 v8, 0, 1.0, s7
	s_mov_b32 s12, exec_lo
                                        ; implicit-def: $vgpr1
	s_delay_alu instid0(VALU_DEP_1)
	v_cmpx_gt_u32_e32 0x47800000, v8
	s_xor_b32 s12, exec_lo, s12
	s_cbranch_execz .LBB62_1696
; %bb.1691:
	s_mov_b32 s13, exec_lo
                                        ; implicit-def: $vgpr1
	v_cmpx_lt_u32_e32 0x387fffff, v8
	s_xor_b32 s13, exec_lo, s13
; %bb.1692:
	v_bfe_u32 v1, v8, 21, 1
	s_delay_alu instid0(VALU_DEP_1) | instskip(NEXT) | instid1(VALU_DEP_1)
	v_add3_u32 v1, v8, v1, 0x80fffff
                                        ; implicit-def: $vgpr8
	v_lshrrev_b32_e32 v1, 21, v1
; %bb.1693:
	s_and_not1_saveexec_b32 s13, s13
; %bb.1694:
	v_add_f32_e32 v1, 0x43000000, v8
; %bb.1695:
	s_or_b32 exec_lo, exec_lo, s13
                                        ; implicit-def: $vgpr8
.LBB62_1696:
	s_and_not1_saveexec_b32 s12, s12
; %bb.1697:
	v_mov_b32_e32 v1, 0x7f
	v_cmp_lt_u32_e32 vcc_lo, 0x7f800000, v8
	s_delay_alu instid0(VALU_DEP_2)
	v_cndmask_b32_e32 v1, 0x7c, v1, vcc_lo
; %bb.1698:
	s_or_b32 exec_lo, exec_lo, s12
	global_store_b8 v[2:3], v1, off
.LBB62_1699:
	s_mov_b32 s12, 0
	s_mov_b32 s13, -1
.LBB62_1700:
	s_and_not1_b32 vcc_lo, exec_lo, s12
	s_mov_b32 s12, 0
	s_cbranch_vccnz .LBB62_1707
; %bb.1701:
	s_cmp_gt_i32 s10, 14
	s_mov_b32 s12, -1
	s_cbranch_scc0 .LBB62_1705
; %bb.1702:
	s_cmp_eq_u32 s10, 15
	s_mov_b32 s0, -1
	s_cbranch_scc0 .LBB62_1704
; %bb.1703:
	s_wait_xcnt 0x0
	v_cndmask_b32_e64 v1, 0, 1.0, s7
	s_mov_b32 s0, 0
	s_mov_b32 s13, -1
	s_delay_alu instid0(VALU_DEP_1) | instskip(NEXT) | instid1(VALU_DEP_1)
	v_bfe_u32 v8, v1, 16, 1
	v_add3_u32 v1, v1, v8, 0x7fff
	global_store_d16_hi_b16 v[2:3], v1, off
.LBB62_1704:
	s_mov_b32 s12, 0
.LBB62_1705:
	s_delay_alu instid0(SALU_CYCLE_1)
	s_and_b32 vcc_lo, exec_lo, s12
	s_mov_b32 s12, 0
	s_cbranch_vccz .LBB62_1707
; %bb.1706:
	s_cmp_lg_u32 s10, 11
	s_mov_b32 s12, -1
	s_cselect_b32 s0, -1, 0
.LBB62_1707:
	s_delay_alu instid0(SALU_CYCLE_1)
	s_and_b32 vcc_lo, exec_lo, s0
	s_cbranch_vccnz .LBB62_2001
; %bb.1708:
	s_and_not1_b32 vcc_lo, exec_lo, s12
	s_cbranch_vccnz .LBB62_1710
.LBB62_1709:
	s_wait_xcnt 0x0
	v_cndmask_b32_e64 v1, 0, 1, s7
	s_mov_b32 s13, -1
	global_store_b8 v[2:3], v1, off
.LBB62_1710:
	s_mov_b32 s0, 0
	s_branch .LBB62_1712
.LBB62_1711:
	s_mov_b32 s0, -1
	s_mov_b32 s13, 0
.LBB62_1712:
	s_and_b32 vcc_lo, exec_lo, s0
	s_cbranch_vccz .LBB62_1751
; %bb.1713:
	s_and_b32 s0, 0xffff, s15
	s_mov_b32 s10, -1
	s_cmp_lt_i32 s0, 5
	s_cbranch_scc1 .LBB62_1734
; %bb.1714:
	s_cmp_lt_i32 s0, 8
	s_cbranch_scc1 .LBB62_1724
; %bb.1715:
	;; [unrolled: 3-line block ×3, first 2 shown]
	s_cmp_gt_i32 s0, 9
	s_cbranch_scc0 .LBB62_1718
; %bb.1717:
	s_wait_xcnt 0x0
	v_cndmask_b32_e64 v1, 0, 1, s7
	v_mov_b32_e32 v10, 0
	s_mov_b32 s10, 0
	s_delay_alu instid0(VALU_DEP_2) | instskip(NEXT) | instid1(VALU_DEP_2)
	v_cvt_f64_u32_e32 v[8:9], v1
	v_mov_b32_e32 v11, v10
	global_store_b128 v[2:3], v[8:11], off
.LBB62_1718:
	s_and_not1_b32 vcc_lo, exec_lo, s10
	s_cbranch_vccnz .LBB62_1720
; %bb.1719:
	s_wait_xcnt 0x0
	v_cndmask_b32_e64 v8, 0, 1.0, s7
	v_mov_b32_e32 v9, 0
	global_store_b64 v[2:3], v[8:9], off
.LBB62_1720:
	s_mov_b32 s10, 0
.LBB62_1721:
	s_delay_alu instid0(SALU_CYCLE_1)
	s_and_not1_b32 vcc_lo, exec_lo, s10
	s_cbranch_vccnz .LBB62_1723
; %bb.1722:
	s_wait_xcnt 0x0
	v_cndmask_b32_e64 v1, 0, 1.0, s7
	s_delay_alu instid0(VALU_DEP_1) | instskip(NEXT) | instid1(VALU_DEP_1)
	v_cvt_f16_f32_e32 v1, v1
	v_and_b32_e32 v1, 0xffff, v1
	global_store_b32 v[2:3], v1, off
.LBB62_1723:
	s_mov_b32 s10, 0
.LBB62_1724:
	s_delay_alu instid0(SALU_CYCLE_1)
	s_and_not1_b32 vcc_lo, exec_lo, s10
	s_cbranch_vccnz .LBB62_1733
; %bb.1725:
	s_cmp_lt_i32 s0, 6
	s_mov_b32 s10, -1
	s_cbranch_scc1 .LBB62_1731
; %bb.1726:
	s_cmp_gt_i32 s0, 6
	s_cbranch_scc0 .LBB62_1728
; %bb.1727:
	s_wait_xcnt 0x0
	v_cndmask_b32_e64 v1, 0, 1, s7
	s_mov_b32 s10, 0
	s_delay_alu instid0(VALU_DEP_1)
	v_cvt_f64_u32_e32 v[8:9], v1
	global_store_b64 v[2:3], v[8:9], off
.LBB62_1728:
	s_and_not1_b32 vcc_lo, exec_lo, s10
	s_cbranch_vccnz .LBB62_1730
; %bb.1729:
	s_wait_xcnt 0x0
	v_cndmask_b32_e64 v1, 0, 1.0, s7
	global_store_b32 v[2:3], v1, off
.LBB62_1730:
	s_mov_b32 s10, 0
.LBB62_1731:
	s_delay_alu instid0(SALU_CYCLE_1)
	s_and_not1_b32 vcc_lo, exec_lo, s10
	s_cbranch_vccnz .LBB62_1733
; %bb.1732:
	s_wait_xcnt 0x0
	v_cndmask_b32_e64 v1, 0, 1.0, s7
	s_delay_alu instid0(VALU_DEP_1)
	v_cvt_f16_f32_e32 v1, v1
	global_store_b16 v[2:3], v1, off
.LBB62_1733:
	s_mov_b32 s10, 0
.LBB62_1734:
	s_delay_alu instid0(SALU_CYCLE_1)
	s_and_not1_b32 vcc_lo, exec_lo, s10
	s_cbranch_vccnz .LBB62_1750
; %bb.1735:
	s_cmp_lt_i32 s0, 2
	s_mov_b32 s10, -1
	s_cbranch_scc1 .LBB62_1745
; %bb.1736:
	s_cmp_lt_i32 s0, 3
	s_cbranch_scc1 .LBB62_1742
; %bb.1737:
	s_cmp_gt_i32 s0, 3
	s_cbranch_scc0 .LBB62_1739
; %bb.1738:
	s_mov_b32 s10, 0
	s_wait_xcnt 0x0
	v_cndmask_b32_e64 v8, 0, 1, s7
	v_mov_b32_e32 v9, s10
	global_store_b64 v[2:3], v[8:9], off
.LBB62_1739:
	s_and_not1_b32 vcc_lo, exec_lo, s10
	s_cbranch_vccnz .LBB62_1741
; %bb.1740:
	s_wait_xcnt 0x0
	v_cndmask_b32_e64 v1, 0, 1, s7
	global_store_b32 v[2:3], v1, off
.LBB62_1741:
	s_mov_b32 s10, 0
.LBB62_1742:
	s_delay_alu instid0(SALU_CYCLE_1)
	s_and_not1_b32 vcc_lo, exec_lo, s10
	s_cbranch_vccnz .LBB62_1744
; %bb.1743:
	s_wait_xcnt 0x0
	v_cndmask_b32_e64 v1, 0, 1, s7
	global_store_b16 v[2:3], v1, off
.LBB62_1744:
	s_mov_b32 s10, 0
.LBB62_1745:
	s_delay_alu instid0(SALU_CYCLE_1)
	s_and_not1_b32 vcc_lo, exec_lo, s10
	s_cbranch_vccnz .LBB62_1750
; %bb.1746:
	s_wait_xcnt 0x0
	v_cndmask_b32_e64 v1, 0, 1, s7
	s_cmp_gt_i32 s0, 0
	s_mov_b32 s0, -1
	s_cbranch_scc0 .LBB62_1748
; %bb.1747:
	s_mov_b32 s0, 0
	global_store_b8 v[2:3], v1, off
.LBB62_1748:
	s_and_not1_b32 vcc_lo, exec_lo, s0
	s_cbranch_vccnz .LBB62_1750
; %bb.1749:
	global_store_b8 v[2:3], v1, off
.LBB62_1750:
	s_mov_b32 s13, -1
.LBB62_1751:
	s_delay_alu instid0(SALU_CYCLE_1)
	s_and_not1_b32 vcc_lo, exec_lo, s13
	s_cbranch_vccnz .LBB62_1947
; %bb.1752:
	v_add_nc_u32_e32 v0, s6, v0
	v_cmp_ne_u64_e32 vcc_lo, s[8:9], v[4:5]
	s_wait_xcnt 0x0
	s_delay_alu instid0(VALU_DEP_2) | instskip(SKIP_2) | instid1(VALU_DEP_1)
	v_ashrrev_i32_e32 v1, 31, v0
	s_xor_b32 s7, s2, vcc_lo
	s_cmp_lt_i32 s15, 11
	v_add_nc_u64_e32 v[2:3], s[4:5], v[0:1]
	s_cbranch_scc1 .LBB62_1830
; %bb.1753:
	s_and_b32 s10, 0xffff, s15
	s_mov_b32 s14, -1
	s_mov_b32 s12, 0
	s_cmp_gt_i32 s10, 25
	s_mov_b32 s13, 0
	s_mov_b32 s0, 0
	s_cbranch_scc0 .LBB62_1786
; %bb.1754:
	s_cmp_gt_i32 s10, 28
	s_cbranch_scc0 .LBB62_1769
; %bb.1755:
	s_cmp_gt_i32 s10, 43
	;; [unrolled: 3-line block ×3, first 2 shown]
	s_cbranch_scc0 .LBB62_1759
; %bb.1757:
	s_mov_b32 s0, -1
	s_mov_b32 s14, 0
	s_cmp_eq_u32 s10, 46
	s_cbranch_scc0 .LBB62_1759
; %bb.1758:
	v_cndmask_b32_e64 v1, 0, 1.0, s7
	s_mov_b32 s0, 0
	s_mov_b32 s13, -1
	s_delay_alu instid0(VALU_DEP_1) | instskip(NEXT) | instid1(VALU_DEP_1)
	v_bfe_u32 v4, v1, 16, 1
	v_add3_u32 v1, v1, v4, 0x7fff
	s_delay_alu instid0(VALU_DEP_1)
	v_lshrrev_b32_e32 v1, 16, v1
	global_store_b32 v[2:3], v1, off
.LBB62_1759:
	s_and_b32 vcc_lo, exec_lo, s14
	s_cbranch_vccz .LBB62_1764
; %bb.1760:
	s_cmp_eq_u32 s10, 44
	s_mov_b32 s0, -1
	s_cbranch_scc0 .LBB62_1764
; %bb.1761:
	v_cndmask_b32_e64 v5, 0, 1.0, s7
	s_mov_b32 s13, exec_lo
	s_wait_xcnt 0x0
	s_delay_alu instid0(VALU_DEP_1) | instskip(NEXT) | instid1(VALU_DEP_1)
	v_dual_mov_b32 v4, 0xff :: v_dual_lshrrev_b32 v1, 23, v5
	v_cmpx_ne_u32_e32 0xff, v1
; %bb.1762:
	v_and_b32_e32 v4, 0x400000, v5
	v_and_or_b32 v5, 0x3fffff, v5, v1
	s_delay_alu instid0(VALU_DEP_2) | instskip(NEXT) | instid1(VALU_DEP_2)
	v_cmp_ne_u32_e32 vcc_lo, 0, v4
	v_cmp_ne_u32_e64 s0, 0, v5
	s_and_b32 s0, vcc_lo, s0
	s_delay_alu instid0(SALU_CYCLE_1) | instskip(NEXT) | instid1(VALU_DEP_1)
	v_cndmask_b32_e64 v4, 0, 1, s0
	v_add_nc_u32_e32 v4, v1, v4
; %bb.1763:
	s_or_b32 exec_lo, exec_lo, s13
	s_mov_b32 s0, 0
	s_mov_b32 s13, -1
	global_store_b8 v[2:3], v4, off
.LBB62_1764:
	s_mov_b32 s14, 0
.LBB62_1765:
	s_delay_alu instid0(SALU_CYCLE_1)
	s_and_b32 vcc_lo, exec_lo, s14
	s_cbranch_vccz .LBB62_1768
; %bb.1766:
	s_cmp_eq_u32 s10, 29
	s_mov_b32 s0, -1
	s_cbranch_scc0 .LBB62_1768
; %bb.1767:
	s_mov_b32 s0, 0
	s_wait_xcnt 0x0
	v_cndmask_b32_e64 v4, 0, 1, s7
	v_mov_b32_e32 v5, s0
	s_mov_b32 s13, -1
	global_store_b64 v[2:3], v[4:5], off
.LBB62_1768:
	s_mov_b32 s14, 0
.LBB62_1769:
	s_delay_alu instid0(SALU_CYCLE_1)
	s_and_b32 vcc_lo, exec_lo, s14
	s_cbranch_vccz .LBB62_1785
; %bb.1770:
	s_cmp_lt_i32 s10, 27
	s_mov_b32 s13, -1
	s_cbranch_scc1 .LBB62_1776
; %bb.1771:
	s_cmp_gt_i32 s10, 27
	s_cbranch_scc0 .LBB62_1773
; %bb.1772:
	s_wait_xcnt 0x0
	v_cndmask_b32_e64 v1, 0, 1, s7
	s_mov_b32 s13, 0
	global_store_b32 v[2:3], v1, off
.LBB62_1773:
	s_and_not1_b32 vcc_lo, exec_lo, s13
	s_cbranch_vccnz .LBB62_1775
; %bb.1774:
	s_wait_xcnt 0x0
	v_cndmask_b32_e64 v1, 0, 1, s7
	global_store_b16 v[2:3], v1, off
.LBB62_1775:
	s_mov_b32 s13, 0
.LBB62_1776:
	s_delay_alu instid0(SALU_CYCLE_1)
	s_and_not1_b32 vcc_lo, exec_lo, s13
	s_cbranch_vccnz .LBB62_1784
; %bb.1777:
	s_wait_xcnt 0x0
	v_cndmask_b32_e64 v4, 0, 1.0, s7
	v_mov_b32_e32 v5, 0x80
	s_mov_b32 s13, exec_lo
	s_delay_alu instid0(VALU_DEP_2)
	v_cmpx_gt_u32_e32 0x43800000, v4
	s_cbranch_execz .LBB62_1783
; %bb.1778:
	s_mov_b32 s14, 0
	s_mov_b32 s16, exec_lo
                                        ; implicit-def: $vgpr1
	v_cmpx_lt_u32_e32 0x3bffffff, v4
	s_xor_b32 s16, exec_lo, s16
	s_cbranch_execz .LBB62_2004
; %bb.1779:
	v_bfe_u32 v1, v4, 20, 1
	s_mov_b32 s14, exec_lo
	s_delay_alu instid0(VALU_DEP_1) | instskip(NEXT) | instid1(VALU_DEP_1)
	v_add3_u32 v1, v4, v1, 0x487ffff
                                        ; implicit-def: $vgpr4
	v_lshrrev_b32_e32 v1, 20, v1
	s_and_not1_saveexec_b32 s16, s16
	s_cbranch_execnz .LBB62_2005
.LBB62_1780:
	s_or_b32 exec_lo, exec_lo, s16
	v_mov_b32_e32 v5, 0
	s_and_saveexec_b32 s16, s14
.LBB62_1781:
	v_mov_b32_e32 v5, v1
.LBB62_1782:
	s_or_b32 exec_lo, exec_lo, s16
.LBB62_1783:
	s_delay_alu instid0(SALU_CYCLE_1)
	s_or_b32 exec_lo, exec_lo, s13
	global_store_b8 v[2:3], v5, off
.LBB62_1784:
	s_mov_b32 s13, -1
.LBB62_1785:
	s_mov_b32 s14, 0
.LBB62_1786:
	s_delay_alu instid0(SALU_CYCLE_1)
	s_and_b32 vcc_lo, exec_lo, s14
	s_cbranch_vccz .LBB62_1826
; %bb.1787:
	s_cmp_gt_i32 s10, 22
	s_mov_b32 s12, -1
	s_cbranch_scc0 .LBB62_1819
; %bb.1788:
	s_cmp_lt_i32 s10, 24
	s_cbranch_scc1 .LBB62_1808
; %bb.1789:
	s_cmp_gt_i32 s10, 24
	s_cbranch_scc0 .LBB62_1797
; %bb.1790:
	s_wait_xcnt 0x0
	v_cndmask_b32_e64 v4, 0, 1.0, s7
	v_mov_b32_e32 v5, 0x80
	s_mov_b32 s12, exec_lo
	s_delay_alu instid0(VALU_DEP_2)
	v_cmpx_gt_u32_e32 0x47800000, v4
	s_cbranch_execz .LBB62_1796
; %bb.1791:
	s_mov_b32 s13, 0
	s_mov_b32 s14, exec_lo
                                        ; implicit-def: $vgpr1
	v_cmpx_lt_u32_e32 0x37ffffff, v4
	s_xor_b32 s14, exec_lo, s14
	s_cbranch_execz .LBB62_2007
; %bb.1792:
	v_bfe_u32 v1, v4, 21, 1
	s_mov_b32 s13, exec_lo
	s_delay_alu instid0(VALU_DEP_1) | instskip(NEXT) | instid1(VALU_DEP_1)
	v_add3_u32 v1, v4, v1, 0x88fffff
                                        ; implicit-def: $vgpr4
	v_lshrrev_b32_e32 v1, 21, v1
	s_and_not1_saveexec_b32 s14, s14
	s_cbranch_execnz .LBB62_2008
.LBB62_1793:
	s_or_b32 exec_lo, exec_lo, s14
	v_mov_b32_e32 v5, 0
	s_and_saveexec_b32 s14, s13
.LBB62_1794:
	v_mov_b32_e32 v5, v1
.LBB62_1795:
	s_or_b32 exec_lo, exec_lo, s14
.LBB62_1796:
	s_delay_alu instid0(SALU_CYCLE_1)
	s_or_b32 exec_lo, exec_lo, s12
	s_mov_b32 s12, 0
	global_store_b8 v[2:3], v5, off
.LBB62_1797:
	s_and_b32 vcc_lo, exec_lo, s12
	s_cbranch_vccz .LBB62_1807
; %bb.1798:
	s_wait_xcnt 0x0
	v_cndmask_b32_e64 v4, 0, 1.0, s7
	s_mov_b32 s12, exec_lo
                                        ; implicit-def: $vgpr1
	s_delay_alu instid0(VALU_DEP_1)
	v_cmpx_gt_u32_e32 0x43f00000, v4
	s_xor_b32 s12, exec_lo, s12
	s_cbranch_execz .LBB62_1804
; %bb.1799:
	s_mov_b32 s13, exec_lo
                                        ; implicit-def: $vgpr1
	v_cmpx_lt_u32_e32 0x3c7fffff, v4
	s_xor_b32 s13, exec_lo, s13
; %bb.1800:
	v_bfe_u32 v1, v4, 20, 1
	s_delay_alu instid0(VALU_DEP_1) | instskip(NEXT) | instid1(VALU_DEP_1)
	v_add3_u32 v1, v4, v1, 0x407ffff
	v_and_b32_e32 v4, 0xff00000, v1
	v_lshrrev_b32_e32 v1, 20, v1
	s_delay_alu instid0(VALU_DEP_2) | instskip(NEXT) | instid1(VALU_DEP_2)
	v_cmp_ne_u32_e32 vcc_lo, 0x7f00000, v4
                                        ; implicit-def: $vgpr4
	v_cndmask_b32_e32 v1, 0x7e, v1, vcc_lo
; %bb.1801:
	s_and_not1_saveexec_b32 s13, s13
; %bb.1802:
	v_add_f32_e32 v1, 0x46800000, v4
; %bb.1803:
	s_or_b32 exec_lo, exec_lo, s13
                                        ; implicit-def: $vgpr4
.LBB62_1804:
	s_and_not1_saveexec_b32 s12, s12
; %bb.1805:
	v_mov_b32_e32 v1, 0x7f
	v_cmp_lt_u32_e32 vcc_lo, 0x7f800000, v4
	s_delay_alu instid0(VALU_DEP_2)
	v_cndmask_b32_e32 v1, 0x7e, v1, vcc_lo
; %bb.1806:
	s_or_b32 exec_lo, exec_lo, s12
	global_store_b8 v[2:3], v1, off
.LBB62_1807:
	s_mov_b32 s12, 0
.LBB62_1808:
	s_delay_alu instid0(SALU_CYCLE_1)
	s_and_not1_b32 vcc_lo, exec_lo, s12
	s_cbranch_vccnz .LBB62_1818
; %bb.1809:
	s_wait_xcnt 0x0
	v_cndmask_b32_e64 v4, 0, 1.0, s7
	s_mov_b32 s12, exec_lo
                                        ; implicit-def: $vgpr1
	s_delay_alu instid0(VALU_DEP_1)
	v_cmpx_gt_u32_e32 0x47800000, v4
	s_xor_b32 s12, exec_lo, s12
	s_cbranch_execz .LBB62_1815
; %bb.1810:
	s_mov_b32 s13, exec_lo
                                        ; implicit-def: $vgpr1
	v_cmpx_lt_u32_e32 0x387fffff, v4
	s_xor_b32 s13, exec_lo, s13
; %bb.1811:
	v_bfe_u32 v1, v4, 21, 1
	s_delay_alu instid0(VALU_DEP_1) | instskip(NEXT) | instid1(VALU_DEP_1)
	v_add3_u32 v1, v4, v1, 0x80fffff
                                        ; implicit-def: $vgpr4
	v_lshrrev_b32_e32 v1, 21, v1
; %bb.1812:
	s_and_not1_saveexec_b32 s13, s13
; %bb.1813:
	v_add_f32_e32 v1, 0x43000000, v4
; %bb.1814:
	s_or_b32 exec_lo, exec_lo, s13
                                        ; implicit-def: $vgpr4
.LBB62_1815:
	s_and_not1_saveexec_b32 s12, s12
; %bb.1816:
	v_mov_b32_e32 v1, 0x7f
	v_cmp_lt_u32_e32 vcc_lo, 0x7f800000, v4
	s_delay_alu instid0(VALU_DEP_2)
	v_cndmask_b32_e32 v1, 0x7c, v1, vcc_lo
; %bb.1817:
	s_or_b32 exec_lo, exec_lo, s12
	global_store_b8 v[2:3], v1, off
.LBB62_1818:
	s_mov_b32 s12, 0
	s_mov_b32 s13, -1
.LBB62_1819:
	s_and_not1_b32 vcc_lo, exec_lo, s12
	s_mov_b32 s12, 0
	s_cbranch_vccnz .LBB62_1826
; %bb.1820:
	s_cmp_gt_i32 s10, 14
	s_mov_b32 s12, -1
	s_cbranch_scc0 .LBB62_1824
; %bb.1821:
	s_cmp_eq_u32 s10, 15
	s_mov_b32 s0, -1
	s_cbranch_scc0 .LBB62_1823
; %bb.1822:
	s_wait_xcnt 0x0
	v_cndmask_b32_e64 v1, 0, 1.0, s7
	s_mov_b32 s0, 0
	s_mov_b32 s13, -1
	s_delay_alu instid0(VALU_DEP_1) | instskip(NEXT) | instid1(VALU_DEP_1)
	v_bfe_u32 v4, v1, 16, 1
	v_add3_u32 v1, v1, v4, 0x7fff
	global_store_d16_hi_b16 v[2:3], v1, off
.LBB62_1823:
	s_mov_b32 s12, 0
.LBB62_1824:
	s_delay_alu instid0(SALU_CYCLE_1)
	s_and_b32 vcc_lo, exec_lo, s12
	s_mov_b32 s12, 0
	s_cbranch_vccz .LBB62_1826
; %bb.1825:
	s_cmp_lg_u32 s10, 11
	s_mov_b32 s12, -1
	s_cselect_b32 s0, -1, 0
.LBB62_1826:
	s_delay_alu instid0(SALU_CYCLE_1)
	s_and_b32 vcc_lo, exec_lo, s0
	s_cbranch_vccnz .LBB62_2006
; %bb.1827:
	s_and_not1_b32 vcc_lo, exec_lo, s12
	s_cbranch_vccnz .LBB62_1829
.LBB62_1828:
	s_wait_xcnt 0x0
	v_cndmask_b32_e64 v1, 0, 1, s7
	s_mov_b32 s13, -1
	global_store_b8 v[2:3], v1, off
.LBB62_1829:
	s_mov_b32 s0, 0
	s_branch .LBB62_1831
.LBB62_1830:
	s_mov_b32 s0, -1
	s_mov_b32 s13, 0
.LBB62_1831:
	s_and_b32 vcc_lo, exec_lo, s0
	s_cbranch_vccz .LBB62_1870
; %bb.1832:
	s_and_b32 s0, 0xffff, s15
	s_mov_b32 s10, -1
	s_cmp_lt_i32 s0, 5
	s_cbranch_scc1 .LBB62_1853
; %bb.1833:
	s_cmp_lt_i32 s0, 8
	s_cbranch_scc1 .LBB62_1843
; %bb.1834:
	;; [unrolled: 3-line block ×3, first 2 shown]
	s_cmp_gt_i32 s0, 9
	s_cbranch_scc0 .LBB62_1837
; %bb.1836:
	s_wait_xcnt 0x0
	v_cndmask_b32_e64 v1, 0, 1, s7
	v_mov_b32_e32 v10, 0
	s_mov_b32 s10, 0
	s_delay_alu instid0(VALU_DEP_2) | instskip(NEXT) | instid1(VALU_DEP_2)
	v_cvt_f64_u32_e32 v[8:9], v1
	v_mov_b32_e32 v11, v10
	global_store_b128 v[2:3], v[8:11], off
.LBB62_1837:
	s_and_not1_b32 vcc_lo, exec_lo, s10
	s_cbranch_vccnz .LBB62_1839
; %bb.1838:
	s_wait_xcnt 0x0
	v_cndmask_b32_e64 v4, 0, 1.0, s7
	v_mov_b32_e32 v5, 0
	global_store_b64 v[2:3], v[4:5], off
.LBB62_1839:
	s_mov_b32 s10, 0
.LBB62_1840:
	s_delay_alu instid0(SALU_CYCLE_1)
	s_and_not1_b32 vcc_lo, exec_lo, s10
	s_cbranch_vccnz .LBB62_1842
; %bb.1841:
	s_wait_xcnt 0x0
	v_cndmask_b32_e64 v1, 0, 1.0, s7
	s_delay_alu instid0(VALU_DEP_1) | instskip(NEXT) | instid1(VALU_DEP_1)
	v_cvt_f16_f32_e32 v1, v1
	v_and_b32_e32 v1, 0xffff, v1
	global_store_b32 v[2:3], v1, off
.LBB62_1842:
	s_mov_b32 s10, 0
.LBB62_1843:
	s_delay_alu instid0(SALU_CYCLE_1)
	s_and_not1_b32 vcc_lo, exec_lo, s10
	s_cbranch_vccnz .LBB62_1852
; %bb.1844:
	s_cmp_lt_i32 s0, 6
	s_mov_b32 s10, -1
	s_cbranch_scc1 .LBB62_1850
; %bb.1845:
	s_cmp_gt_i32 s0, 6
	s_cbranch_scc0 .LBB62_1847
; %bb.1846:
	s_wait_xcnt 0x0
	v_cndmask_b32_e64 v1, 0, 1, s7
	s_mov_b32 s10, 0
	s_delay_alu instid0(VALU_DEP_1)
	v_cvt_f64_u32_e32 v[4:5], v1
	global_store_b64 v[2:3], v[4:5], off
.LBB62_1847:
	s_and_not1_b32 vcc_lo, exec_lo, s10
	s_cbranch_vccnz .LBB62_1849
; %bb.1848:
	s_wait_xcnt 0x0
	v_cndmask_b32_e64 v1, 0, 1.0, s7
	global_store_b32 v[2:3], v1, off
.LBB62_1849:
	s_mov_b32 s10, 0
.LBB62_1850:
	s_delay_alu instid0(SALU_CYCLE_1)
	s_and_not1_b32 vcc_lo, exec_lo, s10
	s_cbranch_vccnz .LBB62_1852
; %bb.1851:
	s_wait_xcnt 0x0
	v_cndmask_b32_e64 v1, 0, 1.0, s7
	s_delay_alu instid0(VALU_DEP_1)
	v_cvt_f16_f32_e32 v1, v1
	global_store_b16 v[2:3], v1, off
.LBB62_1852:
	s_mov_b32 s10, 0
.LBB62_1853:
	s_delay_alu instid0(SALU_CYCLE_1)
	s_and_not1_b32 vcc_lo, exec_lo, s10
	s_cbranch_vccnz .LBB62_1869
; %bb.1854:
	s_cmp_lt_i32 s0, 2
	s_mov_b32 s10, -1
	s_cbranch_scc1 .LBB62_1864
; %bb.1855:
	s_cmp_lt_i32 s0, 3
	s_cbranch_scc1 .LBB62_1861
; %bb.1856:
	s_cmp_gt_i32 s0, 3
	s_cbranch_scc0 .LBB62_1858
; %bb.1857:
	s_mov_b32 s10, 0
	s_wait_xcnt 0x0
	v_cndmask_b32_e64 v4, 0, 1, s7
	v_mov_b32_e32 v5, s10
	global_store_b64 v[2:3], v[4:5], off
.LBB62_1858:
	s_and_not1_b32 vcc_lo, exec_lo, s10
	s_cbranch_vccnz .LBB62_1860
; %bb.1859:
	s_wait_xcnt 0x0
	v_cndmask_b32_e64 v1, 0, 1, s7
	global_store_b32 v[2:3], v1, off
.LBB62_1860:
	s_mov_b32 s10, 0
.LBB62_1861:
	s_delay_alu instid0(SALU_CYCLE_1)
	s_and_not1_b32 vcc_lo, exec_lo, s10
	s_cbranch_vccnz .LBB62_1863
; %bb.1862:
	s_wait_xcnt 0x0
	v_cndmask_b32_e64 v1, 0, 1, s7
	global_store_b16 v[2:3], v1, off
.LBB62_1863:
	s_mov_b32 s10, 0
.LBB62_1864:
	s_delay_alu instid0(SALU_CYCLE_1)
	s_and_not1_b32 vcc_lo, exec_lo, s10
	s_cbranch_vccnz .LBB62_1869
; %bb.1865:
	s_wait_xcnt 0x0
	v_cndmask_b32_e64 v1, 0, 1, s7
	s_cmp_gt_i32 s0, 0
	s_mov_b32 s0, -1
	s_cbranch_scc0 .LBB62_1867
; %bb.1866:
	s_mov_b32 s0, 0
	global_store_b8 v[2:3], v1, off
.LBB62_1867:
	s_and_not1_b32 vcc_lo, exec_lo, s0
	s_cbranch_vccnz .LBB62_1869
; %bb.1868:
	global_store_b8 v[2:3], v1, off
.LBB62_1869:
	s_mov_b32 s13, -1
.LBB62_1870:
	s_delay_alu instid0(SALU_CYCLE_1)
	s_and_not1_b32 vcc_lo, exec_lo, s13
	s_cbranch_vccnz .LBB62_1947
; %bb.1871:
	v_add_nc_u32_e32 v0, s6, v0
	v_cmp_ne_u64_e32 vcc_lo, s[8:9], v[6:7]
	s_wait_xcnt 0x0
	s_delay_alu instid0(VALU_DEP_2) | instskip(SKIP_2) | instid1(VALU_DEP_1)
	v_ashrrev_i32_e32 v1, 31, v0
	s_xor_b32 s16, s2, vcc_lo
	s_cmp_lt_i32 s15, 11
	v_add_nc_u64_e32 v[0:1], s[4:5], v[0:1]
	s_cbranch_scc1 .LBB62_1992
; %bb.1872:
	s_and_b32 s2, 0xffff, s15
	s_mov_b32 s5, -1
	s_mov_b32 s4, 0
	s_cmp_gt_i32 s2, 25
	s_mov_b32 s0, 0
	s_cbranch_scc0 .LBB62_1905
; %bb.1873:
	s_cmp_gt_i32 s2, 28
	s_cbranch_scc0 .LBB62_1889
; %bb.1874:
	s_cmp_gt_i32 s2, 43
	;; [unrolled: 3-line block ×3, first 2 shown]
	s_cbranch_scc0 .LBB62_1879
; %bb.1876:
	s_cmp_eq_u32 s2, 46
	s_mov_b32 s0, -1
	s_cbranch_scc0 .LBB62_1878
; %bb.1877:
	v_cndmask_b32_e64 v2, 0, 1.0, s16
	s_mov_b32 s0, 0
	s_delay_alu instid0(VALU_DEP_1) | instskip(NEXT) | instid1(VALU_DEP_1)
	v_bfe_u32 v3, v2, 16, 1
	v_add3_u32 v2, v2, v3, 0x7fff
	s_delay_alu instid0(VALU_DEP_1)
	v_lshrrev_b32_e32 v2, 16, v2
	global_store_b32 v[0:1], v2, off
.LBB62_1878:
	s_mov_b32 s5, 0
.LBB62_1879:
	s_delay_alu instid0(SALU_CYCLE_1)
	s_and_b32 vcc_lo, exec_lo, s5
	s_cbranch_vccz .LBB62_1884
; %bb.1880:
	s_cmp_eq_u32 s2, 44
	s_mov_b32 s0, -1
	s_cbranch_scc0 .LBB62_1884
; %bb.1881:
	v_cndmask_b32_e64 v4, 0, 1.0, s16
	s_mov_b32 s5, exec_lo
	s_wait_xcnt 0x0
	s_delay_alu instid0(VALU_DEP_1) | instskip(NEXT) | instid1(VALU_DEP_1)
	v_dual_mov_b32 v3, 0xff :: v_dual_lshrrev_b32 v2, 23, v4
	v_cmpx_ne_u32_e32 0xff, v2
; %bb.1882:
	v_and_b32_e32 v3, 0x400000, v4
	v_and_or_b32 v4, 0x3fffff, v4, v2
	s_delay_alu instid0(VALU_DEP_2) | instskip(NEXT) | instid1(VALU_DEP_2)
	v_cmp_ne_u32_e32 vcc_lo, 0, v3
	v_cmp_ne_u32_e64 s0, 0, v4
	s_and_b32 s0, vcc_lo, s0
	s_delay_alu instid0(SALU_CYCLE_1) | instskip(NEXT) | instid1(VALU_DEP_1)
	v_cndmask_b32_e64 v3, 0, 1, s0
	v_add_nc_u32_e32 v3, v2, v3
; %bb.1883:
	s_or_b32 exec_lo, exec_lo, s5
	s_mov_b32 s0, 0
	global_store_b8 v[0:1], v3, off
.LBB62_1884:
	s_mov_b32 s5, 0
.LBB62_1885:
	s_delay_alu instid0(SALU_CYCLE_1)
	s_and_b32 vcc_lo, exec_lo, s5
	s_cbranch_vccz .LBB62_1888
; %bb.1886:
	s_cmp_eq_u32 s2, 29
	s_mov_b32 s0, -1
	s_cbranch_scc0 .LBB62_1888
; %bb.1887:
	s_mov_b32 s0, 0
	s_wait_xcnt 0x0
	v_cndmask_b32_e64 v2, 0, 1, s16
	v_mov_b32_e32 v3, s0
	global_store_b64 v[0:1], v[2:3], off
.LBB62_1888:
	s_mov_b32 s5, 0
.LBB62_1889:
	s_delay_alu instid0(SALU_CYCLE_1)
	s_and_b32 vcc_lo, exec_lo, s5
	s_cbranch_vccz .LBB62_1904
; %bb.1890:
	s_cmp_lt_i32 s2, 27
	s_mov_b32 s5, -1
	s_cbranch_scc1 .LBB62_1896
; %bb.1891:
	s_wait_xcnt 0x0
	v_cndmask_b32_e64 v2, 0, 1, s16
	s_cmp_gt_i32 s2, 27
	s_cbranch_scc0 .LBB62_1893
; %bb.1892:
	s_mov_b32 s5, 0
	global_store_b32 v[0:1], v2, off
.LBB62_1893:
	s_and_not1_b32 vcc_lo, exec_lo, s5
	s_cbranch_vccnz .LBB62_1895
; %bb.1894:
	global_store_b16 v[0:1], v2, off
.LBB62_1895:
	s_mov_b32 s5, 0
.LBB62_1896:
	s_delay_alu instid0(SALU_CYCLE_1)
	s_and_not1_b32 vcc_lo, exec_lo, s5
	s_cbranch_vccnz .LBB62_1904
; %bb.1897:
	s_wait_xcnt 0x0
	v_cndmask_b32_e64 v3, 0, 1.0, s16
	v_mov_b32_e32 v4, 0x80
	s_mov_b32 s5, exec_lo
	s_delay_alu instid0(VALU_DEP_2)
	v_cmpx_gt_u32_e32 0x43800000, v3
	s_cbranch_execz .LBB62_1903
; %bb.1898:
	s_mov_b32 s6, 0
	s_mov_b32 s7, exec_lo
                                        ; implicit-def: $vgpr2
	v_cmpx_lt_u32_e32 0x3bffffff, v3
	s_xor_b32 s7, exec_lo, s7
	s_cbranch_execz .LBB62_2009
; %bb.1899:
	v_bfe_u32 v2, v3, 20, 1
	s_mov_b32 s6, exec_lo
	s_delay_alu instid0(VALU_DEP_1) | instskip(NEXT) | instid1(VALU_DEP_1)
	v_add3_u32 v2, v3, v2, 0x487ffff
                                        ; implicit-def: $vgpr3
	v_lshrrev_b32_e32 v2, 20, v2
	s_and_not1_saveexec_b32 s7, s7
	s_cbranch_execnz .LBB62_2010
.LBB62_1900:
	s_or_b32 exec_lo, exec_lo, s7
	v_mov_b32_e32 v4, 0
	s_and_saveexec_b32 s7, s6
.LBB62_1901:
	v_mov_b32_e32 v4, v2
.LBB62_1902:
	s_or_b32 exec_lo, exec_lo, s7
.LBB62_1903:
	s_delay_alu instid0(SALU_CYCLE_1)
	s_or_b32 exec_lo, exec_lo, s5
	global_store_b8 v[0:1], v4, off
.LBB62_1904:
	s_mov_b32 s5, 0
.LBB62_1905:
	s_delay_alu instid0(SALU_CYCLE_1)
	s_and_b32 vcc_lo, exec_lo, s5
	s_cbranch_vccz .LBB62_1945
; %bb.1906:
	s_cmp_gt_i32 s2, 22
	s_mov_b32 s4, -1
	s_cbranch_scc0 .LBB62_1938
; %bb.1907:
	s_cmp_lt_i32 s2, 24
	s_cbranch_scc1 .LBB62_1927
; %bb.1908:
	s_cmp_gt_i32 s2, 24
	s_cbranch_scc0 .LBB62_1916
; %bb.1909:
	s_wait_xcnt 0x0
	v_cndmask_b32_e64 v3, 0, 1.0, s16
	v_mov_b32_e32 v4, 0x80
	s_mov_b32 s4, exec_lo
	s_delay_alu instid0(VALU_DEP_2)
	v_cmpx_gt_u32_e32 0x47800000, v3
	s_cbranch_execz .LBB62_1915
; %bb.1910:
	s_mov_b32 s5, 0
	s_mov_b32 s6, exec_lo
                                        ; implicit-def: $vgpr2
	v_cmpx_lt_u32_e32 0x37ffffff, v3
	s_xor_b32 s6, exec_lo, s6
	s_cbranch_execz .LBB62_2012
; %bb.1911:
	v_bfe_u32 v2, v3, 21, 1
	s_mov_b32 s5, exec_lo
	s_delay_alu instid0(VALU_DEP_1) | instskip(NEXT) | instid1(VALU_DEP_1)
	v_add3_u32 v2, v3, v2, 0x88fffff
                                        ; implicit-def: $vgpr3
	v_lshrrev_b32_e32 v2, 21, v2
	s_and_not1_saveexec_b32 s6, s6
	s_cbranch_execnz .LBB62_2013
.LBB62_1912:
	s_or_b32 exec_lo, exec_lo, s6
	v_mov_b32_e32 v4, 0
	s_and_saveexec_b32 s6, s5
.LBB62_1913:
	v_mov_b32_e32 v4, v2
.LBB62_1914:
	s_or_b32 exec_lo, exec_lo, s6
.LBB62_1915:
	s_delay_alu instid0(SALU_CYCLE_1)
	s_or_b32 exec_lo, exec_lo, s4
	s_mov_b32 s4, 0
	global_store_b8 v[0:1], v4, off
.LBB62_1916:
	s_and_b32 vcc_lo, exec_lo, s4
	s_cbranch_vccz .LBB62_1926
; %bb.1917:
	s_wait_xcnt 0x0
	v_cndmask_b32_e64 v3, 0, 1.0, s16
	s_mov_b32 s4, exec_lo
                                        ; implicit-def: $vgpr2
	s_delay_alu instid0(VALU_DEP_1)
	v_cmpx_gt_u32_e32 0x43f00000, v3
	s_xor_b32 s4, exec_lo, s4
	s_cbranch_execz .LBB62_1923
; %bb.1918:
	s_mov_b32 s5, exec_lo
                                        ; implicit-def: $vgpr2
	v_cmpx_lt_u32_e32 0x3c7fffff, v3
	s_xor_b32 s5, exec_lo, s5
; %bb.1919:
	v_bfe_u32 v2, v3, 20, 1
	s_delay_alu instid0(VALU_DEP_1) | instskip(NEXT) | instid1(VALU_DEP_1)
	v_add3_u32 v2, v3, v2, 0x407ffff
	v_and_b32_e32 v3, 0xff00000, v2
	v_lshrrev_b32_e32 v2, 20, v2
	s_delay_alu instid0(VALU_DEP_2) | instskip(NEXT) | instid1(VALU_DEP_2)
	v_cmp_ne_u32_e32 vcc_lo, 0x7f00000, v3
                                        ; implicit-def: $vgpr3
	v_cndmask_b32_e32 v2, 0x7e, v2, vcc_lo
; %bb.1920:
	s_and_not1_saveexec_b32 s5, s5
; %bb.1921:
	v_add_f32_e32 v2, 0x46800000, v3
; %bb.1922:
	s_or_b32 exec_lo, exec_lo, s5
                                        ; implicit-def: $vgpr3
.LBB62_1923:
	s_and_not1_saveexec_b32 s4, s4
; %bb.1924:
	v_mov_b32_e32 v2, 0x7f
	v_cmp_lt_u32_e32 vcc_lo, 0x7f800000, v3
	s_delay_alu instid0(VALU_DEP_2)
	v_cndmask_b32_e32 v2, 0x7e, v2, vcc_lo
; %bb.1925:
	s_or_b32 exec_lo, exec_lo, s4
	global_store_b8 v[0:1], v2, off
.LBB62_1926:
	s_mov_b32 s4, 0
.LBB62_1927:
	s_delay_alu instid0(SALU_CYCLE_1)
	s_and_not1_b32 vcc_lo, exec_lo, s4
	s_cbranch_vccnz .LBB62_1937
; %bb.1928:
	s_wait_xcnt 0x0
	v_cndmask_b32_e64 v3, 0, 1.0, s16
	s_mov_b32 s4, exec_lo
                                        ; implicit-def: $vgpr2
	s_delay_alu instid0(VALU_DEP_1)
	v_cmpx_gt_u32_e32 0x47800000, v3
	s_xor_b32 s4, exec_lo, s4
	s_cbranch_execz .LBB62_1934
; %bb.1929:
	s_mov_b32 s5, exec_lo
                                        ; implicit-def: $vgpr2
	v_cmpx_lt_u32_e32 0x387fffff, v3
	s_xor_b32 s5, exec_lo, s5
; %bb.1930:
	v_bfe_u32 v2, v3, 21, 1
	s_delay_alu instid0(VALU_DEP_1) | instskip(NEXT) | instid1(VALU_DEP_1)
	v_add3_u32 v2, v3, v2, 0x80fffff
                                        ; implicit-def: $vgpr3
	v_lshrrev_b32_e32 v2, 21, v2
; %bb.1931:
	s_and_not1_saveexec_b32 s5, s5
; %bb.1932:
	v_add_f32_e32 v2, 0x43000000, v3
; %bb.1933:
	s_or_b32 exec_lo, exec_lo, s5
                                        ; implicit-def: $vgpr3
.LBB62_1934:
	s_and_not1_saveexec_b32 s4, s4
; %bb.1935:
	v_mov_b32_e32 v2, 0x7f
	v_cmp_lt_u32_e32 vcc_lo, 0x7f800000, v3
	s_delay_alu instid0(VALU_DEP_2)
	v_cndmask_b32_e32 v2, 0x7c, v2, vcc_lo
; %bb.1936:
	s_or_b32 exec_lo, exec_lo, s4
	global_store_b8 v[0:1], v2, off
.LBB62_1937:
	s_mov_b32 s4, 0
.LBB62_1938:
	s_delay_alu instid0(SALU_CYCLE_1)
	s_and_not1_b32 vcc_lo, exec_lo, s4
	s_mov_b32 s4, 0
	s_cbranch_vccnz .LBB62_1945
; %bb.1939:
	s_cmp_gt_i32 s2, 14
	s_mov_b32 s4, -1
	s_cbranch_scc0 .LBB62_1943
; %bb.1940:
	s_cmp_eq_u32 s2, 15
	s_mov_b32 s0, -1
	s_cbranch_scc0 .LBB62_1942
; %bb.1941:
	s_wait_xcnt 0x0
	v_cndmask_b32_e64 v2, 0, 1.0, s16
	s_mov_b32 s0, 0
	s_delay_alu instid0(VALU_DEP_1) | instskip(NEXT) | instid1(VALU_DEP_1)
	v_bfe_u32 v3, v2, 16, 1
	v_add3_u32 v2, v2, v3, 0x7fff
	global_store_d16_hi_b16 v[0:1], v2, off
.LBB62_1942:
	s_mov_b32 s4, 0
.LBB62_1943:
	s_delay_alu instid0(SALU_CYCLE_1)
	s_and_b32 vcc_lo, exec_lo, s4
	s_mov_b32 s4, 0
	s_cbranch_vccz .LBB62_1945
; %bb.1944:
	s_cmp_lg_u32 s2, 11
	s_mov_b32 s4, -1
	s_cselect_b32 s0, -1, 0
.LBB62_1945:
	s_delay_alu instid0(SALU_CYCLE_1)
	s_and_b32 vcc_lo, exec_lo, s0
	s_cbranch_vccnz .LBB62_2011
.LBB62_1946:
	s_mov_b32 s0, 0
	s_branch .LBB62_1948
.LBB62_1947:
	s_mov_b32 s0, 0
	s_mov_b32 s4, 0
                                        ; implicit-def: $sgpr16
                                        ; implicit-def: $sgpr15
                                        ; implicit-def: $vgpr0_vgpr1
.LBB62_1948:
	s_and_not1_b32 s2, s11, exec_lo
	s_and_b32 s5, s1, exec_lo
	s_and_b32 s0, s0, exec_lo
	;; [unrolled: 1-line block ×3, first 2 shown]
	s_or_b32 s11, s2, s5
.LBB62_1949:
	s_wait_xcnt 0x0
	s_or_b32 exec_lo, exec_lo, s3
	s_and_saveexec_b32 s2, s11
	s_cbranch_execz .LBB62_1952
; %bb.1950:
	; divergent unreachable
	s_or_b32 exec_lo, exec_lo, s2
	s_and_saveexec_b32 s2, s1
	s_delay_alu instid0(SALU_CYCLE_1)
	s_xor_b32 s1, exec_lo, s2
	s_cbranch_execnz .LBB62_1953
.LBB62_1951:
	s_or_b32 exec_lo, exec_lo, s1
	s_and_saveexec_b32 s1, s0
	s_cbranch_execnz .LBB62_1954
	s_branch .LBB62_1991
.LBB62_1952:
	s_or_b32 exec_lo, exec_lo, s2
	s_and_saveexec_b32 s2, s1
	s_delay_alu instid0(SALU_CYCLE_1)
	s_xor_b32 s1, exec_lo, s2
	s_cbranch_execz .LBB62_1951
.LBB62_1953:
	s_wait_loadcnt 0x0
	v_cndmask_b32_e64 v2, 0, 1, s16
	global_store_b8 v[0:1], v2, off
	s_wait_xcnt 0x0
	s_or_b32 exec_lo, exec_lo, s1
	s_and_saveexec_b32 s1, s0
	s_cbranch_execz .LBB62_1991
.LBB62_1954:
	s_sext_i32_i16 s1, s15
	s_mov_b32 s0, -1
	s_cmp_lt_i32 s1, 5
	s_cbranch_scc1 .LBB62_1975
; %bb.1955:
	s_cmp_lt_i32 s1, 8
	s_cbranch_scc1 .LBB62_1965
; %bb.1956:
	;; [unrolled: 3-line block ×3, first 2 shown]
	s_cmp_gt_i32 s1, 9
	s_cbranch_scc0 .LBB62_1959
; %bb.1958:
	s_wait_loadcnt 0x0
	v_cndmask_b32_e64 v2, 0, 1, s16
	v_mov_b32_e32 v4, 0
	s_mov_b32 s0, 0
	s_delay_alu instid0(VALU_DEP_2) | instskip(NEXT) | instid1(VALU_DEP_2)
	v_cvt_f64_u32_e32 v[2:3], v2
	v_mov_b32_e32 v5, v4
	global_store_b128 v[0:1], v[2:5], off
.LBB62_1959:
	s_and_not1_b32 vcc_lo, exec_lo, s0
	s_cbranch_vccnz .LBB62_1961
; %bb.1960:
	s_wait_loadcnt 0x0
	v_cndmask_b32_e64 v2, 0, 1.0, s16
	v_mov_b32_e32 v3, 0
	global_store_b64 v[0:1], v[2:3], off
.LBB62_1961:
	s_mov_b32 s0, 0
.LBB62_1962:
	s_delay_alu instid0(SALU_CYCLE_1)
	s_and_not1_b32 vcc_lo, exec_lo, s0
	s_cbranch_vccnz .LBB62_1964
; %bb.1963:
	s_wait_loadcnt 0x0
	v_cndmask_b32_e64 v2, 0, 1.0, s16
	s_delay_alu instid0(VALU_DEP_1) | instskip(NEXT) | instid1(VALU_DEP_1)
	v_cvt_f16_f32_e32 v2, v2
	v_and_b32_e32 v2, 0xffff, v2
	global_store_b32 v[0:1], v2, off
.LBB62_1964:
	s_mov_b32 s0, 0
.LBB62_1965:
	s_delay_alu instid0(SALU_CYCLE_1)
	s_and_not1_b32 vcc_lo, exec_lo, s0
	s_cbranch_vccnz .LBB62_1974
; %bb.1966:
	s_sext_i32_i16 s1, s15
	s_mov_b32 s0, -1
	s_cmp_lt_i32 s1, 6
	s_cbranch_scc1 .LBB62_1972
; %bb.1967:
	s_cmp_gt_i32 s1, 6
	s_cbranch_scc0 .LBB62_1969
; %bb.1968:
	s_wait_loadcnt 0x0
	v_cndmask_b32_e64 v2, 0, 1, s16
	s_mov_b32 s0, 0
	s_delay_alu instid0(VALU_DEP_1)
	v_cvt_f64_u32_e32 v[2:3], v2
	global_store_b64 v[0:1], v[2:3], off
.LBB62_1969:
	s_and_not1_b32 vcc_lo, exec_lo, s0
	s_cbranch_vccnz .LBB62_1971
; %bb.1970:
	s_wait_loadcnt 0x0
	v_cndmask_b32_e64 v2, 0, 1.0, s16
	global_store_b32 v[0:1], v2, off
.LBB62_1971:
	s_mov_b32 s0, 0
.LBB62_1972:
	s_delay_alu instid0(SALU_CYCLE_1)
	s_and_not1_b32 vcc_lo, exec_lo, s0
	s_cbranch_vccnz .LBB62_1974
; %bb.1973:
	s_wait_loadcnt 0x0
	v_cndmask_b32_e64 v2, 0, 1.0, s16
	s_delay_alu instid0(VALU_DEP_1)
	v_cvt_f16_f32_e32 v2, v2
	global_store_b16 v[0:1], v2, off
.LBB62_1974:
	s_mov_b32 s0, 0
.LBB62_1975:
	s_delay_alu instid0(SALU_CYCLE_1)
	s_and_not1_b32 vcc_lo, exec_lo, s0
	s_cbranch_vccnz .LBB62_1991
; %bb.1976:
	s_sext_i32_i16 s1, s15
	s_mov_b32 s0, -1
	s_cmp_lt_i32 s1, 2
	s_cbranch_scc1 .LBB62_1986
; %bb.1977:
	s_cmp_lt_i32 s1, 3
	s_cbranch_scc1 .LBB62_1983
; %bb.1978:
	s_cmp_gt_i32 s1, 3
	s_cbranch_scc0 .LBB62_1980
; %bb.1979:
	s_mov_b32 s0, 0
	s_wait_loadcnt 0x0
	v_cndmask_b32_e64 v2, 0, 1, s16
	v_mov_b32_e32 v3, s0
	global_store_b64 v[0:1], v[2:3], off
.LBB62_1980:
	s_and_not1_b32 vcc_lo, exec_lo, s0
	s_cbranch_vccnz .LBB62_1982
; %bb.1981:
	s_wait_loadcnt 0x0
	v_cndmask_b32_e64 v2, 0, 1, s16
	global_store_b32 v[0:1], v2, off
.LBB62_1982:
	s_mov_b32 s0, 0
.LBB62_1983:
	s_delay_alu instid0(SALU_CYCLE_1)
	s_and_not1_b32 vcc_lo, exec_lo, s0
	s_cbranch_vccnz .LBB62_1985
; %bb.1984:
	s_wait_loadcnt 0x0
	v_cndmask_b32_e64 v2, 0, 1, s16
	global_store_b16 v[0:1], v2, off
.LBB62_1985:
	s_mov_b32 s0, 0
.LBB62_1986:
	s_delay_alu instid0(SALU_CYCLE_1)
	s_and_not1_b32 vcc_lo, exec_lo, s0
	s_cbranch_vccnz .LBB62_1991
; %bb.1987:
	s_wait_loadcnt 0x0
	v_cndmask_b32_e64 v2, 0, 1, s16
	s_sext_i32_i16 s0, s15
	s_delay_alu instid0(SALU_CYCLE_1)
	s_cmp_gt_i32 s0, 0
	s_mov_b32 s0, -1
	s_cbranch_scc0 .LBB62_1989
; %bb.1988:
	s_mov_b32 s0, 0
	global_store_b8 v[0:1], v2, off
.LBB62_1989:
	s_and_not1_b32 vcc_lo, exec_lo, s0
	s_cbranch_vccnz .LBB62_1991
; %bb.1990:
	global_store_b8 v[0:1], v2, off
	s_endpgm
.LBB62_1991:
	s_endpgm
.LBB62_1992:
	s_mov_b32 s4, 0
	s_mov_b32 s0, -1
	s_branch .LBB62_1948
.LBB62_1993:
	s_or_b32 s1, s1, exec_lo
	s_trap 2
	s_cbranch_execz .LBB62_1463
	s_branch .LBB62_1464
.LBB62_1994:
	s_and_not1_saveexec_b32 s16, s16
	s_cbranch_execz .LBB62_1543
.LBB62_1995:
	v_add_f32_e32 v9, 0x46000000, v10
	s_and_not1_b32 s14, s14, exec_lo
	s_delay_alu instid0(VALU_DEP_1) | instskip(NEXT) | instid1(VALU_DEP_1)
	v_and_b32_e32 v9, 0xff, v9
	v_cmp_ne_u32_e32 vcc_lo, 0, v9
	s_and_b32 s17, vcc_lo, exec_lo
	s_delay_alu instid0(SALU_CYCLE_1)
	s_or_b32 s14, s14, s17
	s_or_b32 exec_lo, exec_lo, s16
	v_mov_b32_e32 v11, 0
	s_and_saveexec_b32 s16, s14
	s_cbranch_execnz .LBB62_1544
	s_branch .LBB62_1545
.LBB62_1996:
	s_or_b32 s1, s1, exec_lo
	s_trap 2
	s_cbranch_execz .LBB62_1591
	s_branch .LBB62_1592
.LBB62_1997:
	s_and_not1_saveexec_b32 s14, s14
	s_cbranch_execz .LBB62_1556
.LBB62_1998:
	v_add_f32_e32 v9, 0x42800000, v10
	s_and_not1_b32 s13, s13, exec_lo
	s_delay_alu instid0(VALU_DEP_1) | instskip(NEXT) | instid1(VALU_DEP_1)
	v_and_b32_e32 v9, 0xff, v9
	v_cmp_ne_u32_e32 vcc_lo, 0, v9
	s_and_b32 s16, vcc_lo, exec_lo
	s_delay_alu instid0(SALU_CYCLE_1)
	s_or_b32 s13, s13, s16
	s_or_b32 exec_lo, exec_lo, s14
	v_mov_b32_e32 v11, 0
	s_and_saveexec_b32 s14, s13
	s_cbranch_execnz .LBB62_1557
	s_branch .LBB62_1558
.LBB62_1999:
	s_and_not1_saveexec_b32 s16, s16
	s_cbranch_execz .LBB62_1661
.LBB62_2000:
	v_add_f32_e32 v1, 0x46000000, v8
	s_and_not1_b32 s14, s14, exec_lo
	s_delay_alu instid0(VALU_DEP_1) | instskip(NEXT) | instid1(VALU_DEP_1)
	v_and_b32_e32 v1, 0xff, v1
	v_cmp_ne_u32_e32 vcc_lo, 0, v1
	s_and_b32 s17, vcc_lo, exec_lo
	s_delay_alu instid0(SALU_CYCLE_1)
	s_or_b32 s14, s14, s17
	s_or_b32 exec_lo, exec_lo, s16
	v_mov_b32_e32 v9, 0
	s_and_saveexec_b32 s16, s14
	s_cbranch_execnz .LBB62_1662
	s_branch .LBB62_1663
.LBB62_2001:
	s_or_b32 s1, s1, exec_lo
	s_trap 2
	s_cbranch_execz .LBB62_1709
	s_branch .LBB62_1710
.LBB62_2002:
	s_and_not1_saveexec_b32 s14, s14
	s_cbranch_execz .LBB62_1674
.LBB62_2003:
	v_add_f32_e32 v1, 0x42800000, v8
	s_and_not1_b32 s13, s13, exec_lo
	s_delay_alu instid0(VALU_DEP_1) | instskip(NEXT) | instid1(VALU_DEP_1)
	v_and_b32_e32 v1, 0xff, v1
	v_cmp_ne_u32_e32 vcc_lo, 0, v1
	s_and_b32 s16, vcc_lo, exec_lo
	s_delay_alu instid0(SALU_CYCLE_1)
	s_or_b32 s13, s13, s16
	s_or_b32 exec_lo, exec_lo, s14
	v_mov_b32_e32 v9, 0
	s_and_saveexec_b32 s14, s13
	s_cbranch_execnz .LBB62_1675
	s_branch .LBB62_1676
.LBB62_2004:
	s_and_not1_saveexec_b32 s16, s16
	s_cbranch_execz .LBB62_1780
.LBB62_2005:
	v_add_f32_e32 v1, 0x46000000, v4
	s_and_not1_b32 s14, s14, exec_lo
	s_delay_alu instid0(VALU_DEP_1) | instskip(NEXT) | instid1(VALU_DEP_1)
	v_and_b32_e32 v1, 0xff, v1
	v_cmp_ne_u32_e32 vcc_lo, 0, v1
	s_and_b32 s17, vcc_lo, exec_lo
	s_delay_alu instid0(SALU_CYCLE_1)
	s_or_b32 s14, s14, s17
	s_or_b32 exec_lo, exec_lo, s16
	v_mov_b32_e32 v5, 0
	s_and_saveexec_b32 s16, s14
	s_cbranch_execnz .LBB62_1781
	s_branch .LBB62_1782
.LBB62_2006:
	s_or_b32 s1, s1, exec_lo
	s_trap 2
	s_cbranch_execz .LBB62_1828
	s_branch .LBB62_1829
.LBB62_2007:
	s_and_not1_saveexec_b32 s14, s14
	s_cbranch_execz .LBB62_1793
.LBB62_2008:
	v_add_f32_e32 v1, 0x42800000, v4
	s_and_not1_b32 s13, s13, exec_lo
	s_delay_alu instid0(VALU_DEP_1) | instskip(NEXT) | instid1(VALU_DEP_1)
	v_and_b32_e32 v1, 0xff, v1
	v_cmp_ne_u32_e32 vcc_lo, 0, v1
	s_and_b32 s16, vcc_lo, exec_lo
	s_delay_alu instid0(SALU_CYCLE_1)
	s_or_b32 s13, s13, s16
	s_or_b32 exec_lo, exec_lo, s14
	v_mov_b32_e32 v5, 0
	s_and_saveexec_b32 s14, s13
	s_cbranch_execnz .LBB62_1794
	s_branch .LBB62_1795
.LBB62_2009:
	s_and_not1_saveexec_b32 s7, s7
	s_cbranch_execz .LBB62_1900
.LBB62_2010:
	v_add_f32_e32 v2, 0x46000000, v3
	s_and_not1_b32 s6, s6, exec_lo
	s_delay_alu instid0(VALU_DEP_1) | instskip(NEXT) | instid1(VALU_DEP_1)
	v_and_b32_e32 v2, 0xff, v2
	v_cmp_ne_u32_e32 vcc_lo, 0, v2
	s_and_b32 s8, vcc_lo, exec_lo
	s_delay_alu instid0(SALU_CYCLE_1)
	s_or_b32 s6, s6, s8
	s_or_b32 exec_lo, exec_lo, s7
	v_mov_b32_e32 v4, 0
	s_and_saveexec_b32 s7, s6
	s_cbranch_execnz .LBB62_1901
	s_branch .LBB62_1902
.LBB62_2011:
	s_mov_b32 s4, 0
	s_or_b32 s1, s1, exec_lo
	s_trap 2
	s_branch .LBB62_1946
.LBB62_2012:
	s_and_not1_saveexec_b32 s6, s6
	s_cbranch_execz .LBB62_1912
.LBB62_2013:
	v_add_f32_e32 v2, 0x42800000, v3
	s_and_not1_b32 s5, s5, exec_lo
	s_delay_alu instid0(VALU_DEP_1) | instskip(NEXT) | instid1(VALU_DEP_1)
	v_and_b32_e32 v2, 0xff, v2
	v_cmp_ne_u32_e32 vcc_lo, 0, v2
	s_and_b32 s7, vcc_lo, exec_lo
	s_delay_alu instid0(SALU_CYCLE_1)
	s_or_b32 s5, s5, s7
	s_or_b32 exec_lo, exec_lo, s6
	v_mov_b32_e32 v4, 0
	s_and_saveexec_b32 s6, s5
	s_cbranch_execnz .LBB62_1913
	s_branch .LBB62_1914
	.section	.rodata,"a",@progbits
	.p2align	6, 0x0
	.amdhsa_kernel _ZN2at6native32elementwise_kernel_manual_unrollILi128ELi4EZNS0_15gpu_kernel_implINS0_13AUnaryFunctorIllbNS0_12_GLOBAL__N_116CompareEqFunctorIlEEEEEEvRNS_18TensorIteratorBaseERKT_EUlibE_EEviT1_
		.amdhsa_group_segment_fixed_size 0
		.amdhsa_private_segment_fixed_size 0
		.amdhsa_kernarg_size 56
		.amdhsa_user_sgpr_count 2
		.amdhsa_user_sgpr_dispatch_ptr 0
		.amdhsa_user_sgpr_queue_ptr 0
		.amdhsa_user_sgpr_kernarg_segment_ptr 1
		.amdhsa_user_sgpr_dispatch_id 0
		.amdhsa_user_sgpr_kernarg_preload_length 0
		.amdhsa_user_sgpr_kernarg_preload_offset 0
		.amdhsa_user_sgpr_private_segment_size 0
		.amdhsa_wavefront_size32 1
		.amdhsa_uses_dynamic_stack 0
		.amdhsa_enable_private_segment 0
		.amdhsa_system_sgpr_workgroup_id_x 1
		.amdhsa_system_sgpr_workgroup_id_y 0
		.amdhsa_system_sgpr_workgroup_id_z 0
		.amdhsa_system_sgpr_workgroup_info 0
		.amdhsa_system_vgpr_workitem_id 0
		.amdhsa_next_free_vgpr 16
		.amdhsa_next_free_sgpr 31
		.amdhsa_named_barrier_count 0
		.amdhsa_reserve_vcc 1
		.amdhsa_float_round_mode_32 0
		.amdhsa_float_round_mode_16_64 0
		.amdhsa_float_denorm_mode_32 3
		.amdhsa_float_denorm_mode_16_64 3
		.amdhsa_fp16_overflow 0
		.amdhsa_memory_ordered 1
		.amdhsa_forward_progress 1
		.amdhsa_inst_pref_size 255
		.amdhsa_round_robin_scheduling 0
		.amdhsa_exception_fp_ieee_invalid_op 0
		.amdhsa_exception_fp_denorm_src 0
		.amdhsa_exception_fp_ieee_div_zero 0
		.amdhsa_exception_fp_ieee_overflow 0
		.amdhsa_exception_fp_ieee_underflow 0
		.amdhsa_exception_fp_ieee_inexact 0
		.amdhsa_exception_int_div_zero 0
	.end_amdhsa_kernel
	.section	.text._ZN2at6native32elementwise_kernel_manual_unrollILi128ELi4EZNS0_15gpu_kernel_implINS0_13AUnaryFunctorIllbNS0_12_GLOBAL__N_116CompareEqFunctorIlEEEEEEvRNS_18TensorIteratorBaseERKT_EUlibE_EEviT1_,"axG",@progbits,_ZN2at6native32elementwise_kernel_manual_unrollILi128ELi4EZNS0_15gpu_kernel_implINS0_13AUnaryFunctorIllbNS0_12_GLOBAL__N_116CompareEqFunctorIlEEEEEEvRNS_18TensorIteratorBaseERKT_EUlibE_EEviT1_,comdat
.Lfunc_end62:
	.size	_ZN2at6native32elementwise_kernel_manual_unrollILi128ELi4EZNS0_15gpu_kernel_implINS0_13AUnaryFunctorIllbNS0_12_GLOBAL__N_116CompareEqFunctorIlEEEEEEvRNS_18TensorIteratorBaseERKT_EUlibE_EEviT1_, .Lfunc_end62-_ZN2at6native32elementwise_kernel_manual_unrollILi128ELi4EZNS0_15gpu_kernel_implINS0_13AUnaryFunctorIllbNS0_12_GLOBAL__N_116CompareEqFunctorIlEEEEEEvRNS_18TensorIteratorBaseERKT_EUlibE_EEviT1_
                                        ; -- End function
	.set _ZN2at6native32elementwise_kernel_manual_unrollILi128ELi4EZNS0_15gpu_kernel_implINS0_13AUnaryFunctorIllbNS0_12_GLOBAL__N_116CompareEqFunctorIlEEEEEEvRNS_18TensorIteratorBaseERKT_EUlibE_EEviT1_.num_vgpr, 16
	.set _ZN2at6native32elementwise_kernel_manual_unrollILi128ELi4EZNS0_15gpu_kernel_implINS0_13AUnaryFunctorIllbNS0_12_GLOBAL__N_116CompareEqFunctorIlEEEEEEvRNS_18TensorIteratorBaseERKT_EUlibE_EEviT1_.num_agpr, 0
	.set _ZN2at6native32elementwise_kernel_manual_unrollILi128ELi4EZNS0_15gpu_kernel_implINS0_13AUnaryFunctorIllbNS0_12_GLOBAL__N_116CompareEqFunctorIlEEEEEEvRNS_18TensorIteratorBaseERKT_EUlibE_EEviT1_.numbered_sgpr, 31
	.set _ZN2at6native32elementwise_kernel_manual_unrollILi128ELi4EZNS0_15gpu_kernel_implINS0_13AUnaryFunctorIllbNS0_12_GLOBAL__N_116CompareEqFunctorIlEEEEEEvRNS_18TensorIteratorBaseERKT_EUlibE_EEviT1_.num_named_barrier, 0
	.set _ZN2at6native32elementwise_kernel_manual_unrollILi128ELi4EZNS0_15gpu_kernel_implINS0_13AUnaryFunctorIllbNS0_12_GLOBAL__N_116CompareEqFunctorIlEEEEEEvRNS_18TensorIteratorBaseERKT_EUlibE_EEviT1_.private_seg_size, 0
	.set _ZN2at6native32elementwise_kernel_manual_unrollILi128ELi4EZNS0_15gpu_kernel_implINS0_13AUnaryFunctorIllbNS0_12_GLOBAL__N_116CompareEqFunctorIlEEEEEEvRNS_18TensorIteratorBaseERKT_EUlibE_EEviT1_.uses_vcc, 1
	.set _ZN2at6native32elementwise_kernel_manual_unrollILi128ELi4EZNS0_15gpu_kernel_implINS0_13AUnaryFunctorIllbNS0_12_GLOBAL__N_116CompareEqFunctorIlEEEEEEvRNS_18TensorIteratorBaseERKT_EUlibE_EEviT1_.uses_flat_scratch, 0
	.set _ZN2at6native32elementwise_kernel_manual_unrollILi128ELi4EZNS0_15gpu_kernel_implINS0_13AUnaryFunctorIllbNS0_12_GLOBAL__N_116CompareEqFunctorIlEEEEEEvRNS_18TensorIteratorBaseERKT_EUlibE_EEviT1_.has_dyn_sized_stack, 0
	.set _ZN2at6native32elementwise_kernel_manual_unrollILi128ELi4EZNS0_15gpu_kernel_implINS0_13AUnaryFunctorIllbNS0_12_GLOBAL__N_116CompareEqFunctorIlEEEEEEvRNS_18TensorIteratorBaseERKT_EUlibE_EEviT1_.has_recursion, 0
	.set _ZN2at6native32elementwise_kernel_manual_unrollILi128ELi4EZNS0_15gpu_kernel_implINS0_13AUnaryFunctorIllbNS0_12_GLOBAL__N_116CompareEqFunctorIlEEEEEEvRNS_18TensorIteratorBaseERKT_EUlibE_EEviT1_.has_indirect_call, 0
	.section	.AMDGPU.csdata,"",@progbits
; Kernel info:
; codeLenInByte = 41352
; TotalNumSgprs: 33
; NumVgprs: 16
; ScratchSize: 0
; MemoryBound: 1
; FloatMode: 240
; IeeeMode: 1
; LDSByteSize: 0 bytes/workgroup (compile time only)
; SGPRBlocks: 0
; VGPRBlocks: 0
; NumSGPRsForWavesPerEU: 33
; NumVGPRsForWavesPerEU: 16
; NamedBarCnt: 0
; Occupancy: 16
; WaveLimiterHint : 0
; COMPUTE_PGM_RSRC2:SCRATCH_EN: 0
; COMPUTE_PGM_RSRC2:USER_SGPR: 2
; COMPUTE_PGM_RSRC2:TRAP_HANDLER: 0
; COMPUTE_PGM_RSRC2:TGID_X_EN: 1
; COMPUTE_PGM_RSRC2:TGID_Y_EN: 0
; COMPUTE_PGM_RSRC2:TGID_Z_EN: 0
; COMPUTE_PGM_RSRC2:TIDIG_COMP_CNT: 0
	.section	.text._ZN2at6native32elementwise_kernel_manual_unrollILi128ELi4EZNS0_15gpu_kernel_implINS0_13AUnaryFunctorIllbNS0_12_GLOBAL__N_116CompareEqFunctorIlEEEEEEvRNS_18TensorIteratorBaseERKT_EUlibE0_EEviT1_,"axG",@progbits,_ZN2at6native32elementwise_kernel_manual_unrollILi128ELi4EZNS0_15gpu_kernel_implINS0_13AUnaryFunctorIllbNS0_12_GLOBAL__N_116CompareEqFunctorIlEEEEEEvRNS_18TensorIteratorBaseERKT_EUlibE0_EEviT1_,comdat
	.globl	_ZN2at6native32elementwise_kernel_manual_unrollILi128ELi4EZNS0_15gpu_kernel_implINS0_13AUnaryFunctorIllbNS0_12_GLOBAL__N_116CompareEqFunctorIlEEEEEEvRNS_18TensorIteratorBaseERKT_EUlibE0_EEviT1_ ; -- Begin function _ZN2at6native32elementwise_kernel_manual_unrollILi128ELi4EZNS0_15gpu_kernel_implINS0_13AUnaryFunctorIllbNS0_12_GLOBAL__N_116CompareEqFunctorIlEEEEEEvRNS_18TensorIteratorBaseERKT_EUlibE0_EEviT1_
	.p2align	8
	.type	_ZN2at6native32elementwise_kernel_manual_unrollILi128ELi4EZNS0_15gpu_kernel_implINS0_13AUnaryFunctorIllbNS0_12_GLOBAL__N_116CompareEqFunctorIlEEEEEEvRNS_18TensorIteratorBaseERKT_EUlibE0_EEviT1_,@function
_ZN2at6native32elementwise_kernel_manual_unrollILi128ELi4EZNS0_15gpu_kernel_implINS0_13AUnaryFunctorIllbNS0_12_GLOBAL__N_116CompareEqFunctorIlEEEEEEvRNS_18TensorIteratorBaseERKT_EUlibE0_EEviT1_: ; @_ZN2at6native32elementwise_kernel_manual_unrollILi128ELi4EZNS0_15gpu_kernel_implINS0_13AUnaryFunctorIllbNS0_12_GLOBAL__N_116CompareEqFunctorIlEEEEEEvRNS_18TensorIteratorBaseERKT_EUlibE0_EEviT1_
; %bb.0:
	s_clause 0x1
	s_load_b32 s19, s[0:1], 0x8
	s_load_b32 s39, s[0:1], 0x0
	s_bfe_u32 s2, ttmp6, 0x4000c
	s_and_b32 s3, ttmp6, 15
	s_add_co_i32 s2, s2, 1
	s_getreg_b32 s4, hwreg(HW_REG_IB_STS2, 6, 4)
	s_mul_i32 s2, ttmp9, s2
	s_mov_b32 s34, 0
	s_add_co_i32 s3, s3, s2
	s_cmp_eq_u32 s4, 0
	s_mov_b32 s27, -1
	s_cselect_b32 s2, ttmp9, s3
	s_mov_b32 s11, 0
	v_lshl_or_b32 v0, s2, 9, v0
	s_add_nc_u64 s[2:3], s[0:1], 8
	s_wait_xcnt 0x0
	s_mov_b32 s0, exec_lo
	s_delay_alu instid0(VALU_DEP_1) | instskip(SKIP_2) | instid1(SALU_CYCLE_1)
	v_or_b32_e32 v9, 0x180, v0
	s_wait_kmcnt 0x0
	s_add_co_i32 s33, s19, -1
	s_cmp_gt_u32 s33, 1
	s_cselect_b32 s35, -1, 0
	v_cmpx_le_i32_e64 s39, v9
	s_xor_b32 s36, exec_lo, s0
	s_cbranch_execz .LBB63_1080
; %bb.1:
	s_clause 0x5
	s_load_b128 s[8:11], s[2:3], 0x4
	s_load_b96 s[16:18], s[2:3], 0x160
	s_load_b32 s22, s[2:3], 0x158
	s_load_b64 s[0:1], s[2:3], 0x14
	s_load_b128 s[12:15], s[2:3], 0xc4
	s_load_b128 s[4:7], s[2:3], 0x148
	s_cmp_lg_u32 s19, 0
	s_mov_b32 s21, 0
	s_cselect_b32 s41, -1, 0
	s_min_u32 s40, s33, 15
	s_cmp_gt_u32 s19, 1
	s_add_nc_u64 s[24:25], s[2:3], 0xc4
	s_cselect_b32 s38, -1, 0
	s_mov_b32 s23, s21
	s_mov_b32 s43, s21
	;; [unrolled: 1-line block ×3, first 2 shown]
	s_mov_b32 s44, exec_lo
	s_wait_kmcnt 0x0
	s_mov_b32 s20, s9
	s_bfe_u32 s37, s18, 0x80008
	s_cmp_eq_u32 s22, 0
	s_mov_b32 s22, s0
	s_cselect_b32 s9, -1, 0
	v_cmpx_gt_i32_e64 s39, v0
	s_cbranch_execz .LBB63_263
; %bb.2:
	s_and_not1_b32 vcc_lo, exec_lo, s35
	s_cbranch_vccnz .LBB63_8
; %bb.3:
	s_and_not1_b32 vcc_lo, exec_lo, s41
	s_cbranch_vccnz .LBB63_9
; %bb.4:
	s_add_co_i32 s0, s40, 1
	s_cmp_eq_u32 s33, 2
	s_cbranch_scc1 .LBB63_10
; %bb.5:
	v_dual_mov_b32 v2, 0 :: v_dual_mov_b32 v4, 0
	v_mov_b32_e32 v1, v0
	s_and_b32 s26, s0, 28
	s_mov_b32 s27, 0
	s_mov_b64 s[28:29], s[2:3]
	s_mov_b64 s[30:31], s[24:25]
.LBB63_6:                               ; =>This Inner Loop Header: Depth=1
	s_clause 0x1
	s_load_b256 s[48:55], s[28:29], 0x4
	s_load_b128 s[64:67], s[28:29], 0x24
	s_load_b256 s[56:63], s[30:31], 0x0
	s_add_co_i32 s27, s27, 4
	s_wait_xcnt 0x0
	s_add_nc_u64 s[28:29], s[28:29], 48
	s_cmp_lg_u32 s26, s27
	s_add_nc_u64 s[30:31], s[30:31], 32
	s_wait_kmcnt 0x0
	v_mul_hi_u32 v3, s49, v1
	s_delay_alu instid0(VALU_DEP_1) | instskip(NEXT) | instid1(VALU_DEP_1)
	v_add_nc_u32_e32 v3, v1, v3
	v_lshrrev_b32_e32 v3, s50, v3
	s_delay_alu instid0(VALU_DEP_1) | instskip(NEXT) | instid1(VALU_DEP_1)
	v_mul_hi_u32 v5, s52, v3
	v_add_nc_u32_e32 v5, v3, v5
	s_delay_alu instid0(VALU_DEP_1) | instskip(NEXT) | instid1(VALU_DEP_1)
	v_lshrrev_b32_e32 v5, s53, v5
	v_mul_hi_u32 v6, s55, v5
	s_delay_alu instid0(VALU_DEP_1) | instskip(SKIP_1) | instid1(VALU_DEP_1)
	v_add_nc_u32_e32 v6, v5, v6
	v_mul_lo_u32 v7, v3, s48
	v_sub_nc_u32_e32 v1, v1, v7
	v_mul_lo_u32 v7, v5, s51
	s_delay_alu instid0(VALU_DEP_4) | instskip(NEXT) | instid1(VALU_DEP_3)
	v_lshrrev_b32_e32 v6, s64, v6
	v_mad_u32 v4, v1, s57, v4
	v_mad_u32 v1, v1, s56, v2
	s_delay_alu instid0(VALU_DEP_4) | instskip(NEXT) | instid1(VALU_DEP_4)
	v_sub_nc_u32_e32 v2, v3, v7
	v_mul_hi_u32 v8, s66, v6
	v_mul_lo_u32 v3, v6, s54
	s_delay_alu instid0(VALU_DEP_3) | instskip(SKIP_1) | instid1(VALU_DEP_3)
	v_mad_u32 v4, v2, s59, v4
	v_mad_u32 v2, v2, s58, v1
	v_dual_add_nc_u32 v7, v6, v8 :: v_dual_sub_nc_u32 v3, v5, v3
	s_delay_alu instid0(VALU_DEP_1) | instskip(NEXT) | instid1(VALU_DEP_2)
	v_lshrrev_b32_e32 v1, s67, v7
	v_mad_u32 v4, v3, s61, v4
	s_delay_alu instid0(VALU_DEP_4) | instskip(NEXT) | instid1(VALU_DEP_3)
	v_mad_u32 v2, v3, s60, v2
	v_mul_lo_u32 v5, v1, s65
	s_delay_alu instid0(VALU_DEP_1) | instskip(NEXT) | instid1(VALU_DEP_1)
	v_sub_nc_u32_e32 v3, v6, v5
	v_mad_u32 v4, v3, s63, v4
	s_delay_alu instid0(VALU_DEP_4)
	v_mad_u32 v2, v3, s62, v2
	s_cbranch_scc1 .LBB63_6
; %bb.7:
	s_delay_alu instid0(VALU_DEP_2)
	v_mov_b32_e32 v3, v4
	s_and_b32 s0, s0, 3
	s_mov_b32 s27, 0
	s_cmp_eq_u32 s0, 0
	s_cbranch_scc0 .LBB63_11
	s_branch .LBB63_14
.LBB63_8:
                                        ; implicit-def: $vgpr4
                                        ; implicit-def: $vgpr2
	s_branch .LBB63_15
.LBB63_9:
	v_dual_mov_b32 v4, 0 :: v_dual_mov_b32 v2, 0
	s_branch .LBB63_14
.LBB63_10:
	v_mov_b64_e32 v[2:3], 0
	v_mov_b32_e32 v1, v0
	s_mov_b32 s26, 0
                                        ; implicit-def: $vgpr4
	s_and_b32 s0, s0, 3
	s_mov_b32 s27, 0
	s_cmp_eq_u32 s0, 0
	s_cbranch_scc1 .LBB63_14
.LBB63_11:
	s_lshl_b32 s28, s26, 3
	s_mov_b32 s29, s27
	s_mul_u64 s[30:31], s[26:27], 12
	s_add_nc_u64 s[28:29], s[2:3], s[28:29]
	s_delay_alu instid0(SALU_CYCLE_1)
	s_add_nc_u64 s[26:27], s[28:29], 0xc4
	s_add_nc_u64 s[28:29], s[2:3], s[30:31]
.LBB63_12:                              ; =>This Inner Loop Header: Depth=1
	s_load_b96 s[48:50], s[28:29], 0x4
	s_load_b64 s[30:31], s[26:27], 0x0
	s_add_co_i32 s0, s0, -1
	s_wait_xcnt 0x0
	s_add_nc_u64 s[28:29], s[28:29], 12
	s_cmp_lg_u32 s0, 0
	s_add_nc_u64 s[26:27], s[26:27], 8
	s_wait_kmcnt 0x0
	v_mul_hi_u32 v4, s49, v1
	s_delay_alu instid0(VALU_DEP_1) | instskip(NEXT) | instid1(VALU_DEP_1)
	v_add_nc_u32_e32 v4, v1, v4
	v_lshrrev_b32_e32 v4, s50, v4
	s_delay_alu instid0(VALU_DEP_1) | instskip(NEXT) | instid1(VALU_DEP_1)
	v_mul_lo_u32 v5, v4, s48
	v_sub_nc_u32_e32 v1, v1, v5
	s_delay_alu instid0(VALU_DEP_1)
	v_mad_u32 v3, v1, s31, v3
	v_mad_u32 v2, v1, s30, v2
	v_mov_b32_e32 v1, v4
	s_cbranch_scc1 .LBB63_12
; %bb.13:
	s_delay_alu instid0(VALU_DEP_3)
	v_mov_b32_e32 v4, v3
.LBB63_14:
	s_cbranch_execnz .LBB63_17
.LBB63_15:
	v_mov_b32_e32 v1, 0
	s_and_not1_b32 vcc_lo, exec_lo, s38
	s_delay_alu instid0(VALU_DEP_1) | instskip(NEXT) | instid1(VALU_DEP_1)
	v_mul_u64_e32 v[2:3], s[20:21], v[0:1]
	v_add_nc_u32_e32 v2, v0, v3
	s_delay_alu instid0(VALU_DEP_1) | instskip(NEXT) | instid1(VALU_DEP_1)
	v_lshrrev_b32_e32 v6, s10, v2
	v_mul_lo_u32 v2, v6, s8
	s_delay_alu instid0(VALU_DEP_1) | instskip(NEXT) | instid1(VALU_DEP_1)
	v_sub_nc_u32_e32 v2, v0, v2
	v_mul_lo_u32 v4, v2, s13
	v_mul_lo_u32 v2, v2, s12
	s_cbranch_vccnz .LBB63_17
; %bb.16:
	v_mov_b32_e32 v7, v1
	s_delay_alu instid0(VALU_DEP_1) | instskip(NEXT) | instid1(VALU_DEP_1)
	v_mul_u64_e32 v[8:9], s[22:23], v[6:7]
	v_add_nc_u32_e32 v1, v6, v9
	s_delay_alu instid0(VALU_DEP_1) | instskip(NEXT) | instid1(VALU_DEP_1)
	v_lshrrev_b32_e32 v1, s1, v1
	v_mul_lo_u32 v1, v1, s11
	s_delay_alu instid0(VALU_DEP_1) | instskip(NEXT) | instid1(VALU_DEP_1)
	v_sub_nc_u32_e32 v1, v6, v1
	v_mad_u32 v2, v1, s14, v2
	v_mad_u32 v4, v1, s15, v4
.LBB63_17:
	v_mov_b32_e32 v5, 0
	s_and_b32 s0, 0xffff, s37
	s_delay_alu instid0(SALU_CYCLE_1) | instskip(NEXT) | instid1(VALU_DEP_1)
	s_cmp_lt_i32 s0, 11
	v_add_nc_u64_e32 v[4:5], s[6:7], v[4:5]
	s_cbranch_scc1 .LBB63_24
; %bb.18:
	s_cmp_gt_i32 s0, 25
	s_cbranch_scc0 .LBB63_33
; %bb.19:
	s_cmp_gt_i32 s0, 28
	s_cbranch_scc0 .LBB63_36
; %bb.20:
	s_cmp_gt_i32 s0, 43
	s_cbranch_scc0 .LBB63_38
; %bb.21:
	s_cmp_gt_i32 s0, 45
	s_cbranch_scc0 .LBB63_40
; %bb.22:
	s_cmp_eq_u32 s0, 46
	s_mov_b32 s28, 0
	s_cbranch_scc0 .LBB63_42
; %bb.23:
	global_load_b32 v1, v[4:5], off
	s_mov_b32 s27, -1
	s_mov_b32 s26, 0
	s_wait_loadcnt 0x0
	v_lshlrev_b32_e32 v1, 16, v1
	s_delay_alu instid0(VALU_DEP_1) | instskip(NEXT) | instid1(VALU_DEP_1)
	v_trunc_f32_e32 v1, v1
	v_mul_f32_e64 v3, 0x2f800000, |v1|
	v_ashrrev_i32_e32 v6, 31, v1
	s_delay_alu instid0(VALU_DEP_2) | instskip(NEXT) | instid1(VALU_DEP_1)
	v_floor_f32_e32 v3, v3
	v_fma_f32 v7, 0xcf800000, v3, |v1|
	v_cvt_u32_f32_e32 v1, v3
	s_delay_alu instid0(VALU_DEP_2) | instskip(NEXT) | instid1(VALU_DEP_2)
	v_cvt_u32_f32_e32 v3, v7
	v_dual_mov_b32 v7, v6 :: v_dual_bitop2_b32 v9, v1, v6 bitop3:0x14
	s_delay_alu instid0(VALU_DEP_2) | instskip(NEXT) | instid1(VALU_DEP_1)
	v_xor_b32_e32 v8, v3, v6
	v_sub_nc_u64_e32 v[6:7], v[8:9], v[6:7]
	s_branch .LBB63_44
.LBB63_24:
	s_mov_b32 s26, 0
	s_mov_b32 s27, 0
                                        ; implicit-def: $vgpr6_vgpr7
	s_cbranch_execnz .LBB63_213
.LBB63_25:
	s_and_not1_b32 vcc_lo, exec_lo, s27
	s_cbranch_vccnz .LBB63_260
.LBB63_26:
	v_mov_b32_e32 v3, 0
	s_wait_loadcnt 0x0
	s_delay_alu instid0(VALU_DEP_2) | instskip(SKIP_1) | instid1(VALU_DEP_2)
	v_cmp_ne_u64_e32 vcc_lo, s[16:17], v[6:7]
	s_and_b32 s28, s18, 0xff
	v_add_nc_u64_e32 v[2:3], s[4:5], v[2:3]
	s_xor_b32 s27, s9, vcc_lo
	s_cmp_lt_i32 s28, 11
	s_cbranch_scc1 .LBB63_34
; %bb.27:
	s_and_b32 s29, 0xffff, s28
	s_delay_alu instid0(SALU_CYCLE_1)
	s_cmp_gt_i32 s29, 25
	s_cbranch_scc0 .LBB63_37
; %bb.28:
	s_cmp_gt_i32 s29, 28
	s_cbranch_scc0 .LBB63_39
; %bb.29:
	;; [unrolled: 3-line block ×4, first 2 shown]
	s_mov_b32 s31, 0
	s_mov_b32 s0, -1
	s_cmp_eq_u32 s29, 46
	s_mov_b32 s30, 0
	s_cbranch_scc0 .LBB63_48
; %bb.32:
	v_cndmask_b32_e64 v1, 0, 1.0, s27
	s_mov_b32 s30, -1
	s_mov_b32 s0, 0
	s_delay_alu instid0(VALU_DEP_1) | instskip(NEXT) | instid1(VALU_DEP_1)
	v_bfe_u32 v4, v1, 16, 1
	v_add3_u32 v1, v1, v4, 0x7fff
	s_delay_alu instid0(VALU_DEP_1)
	v_lshrrev_b32_e32 v1, 16, v1
	global_store_b32 v[2:3], v1, off
	s_branch .LBB63_48
.LBB63_33:
	s_mov_b32 s26, 0
	s_mov_b32 s27, 0
                                        ; implicit-def: $vgpr6_vgpr7
	s_cbranch_execnz .LBB63_180
	s_branch .LBB63_212
.LBB63_34:
	s_mov_b32 s0, 0
	s_mov_b32 s30, 0
	s_cbranch_execnz .LBB63_117
.LBB63_35:
	s_and_not1_b32 vcc_lo, exec_lo, s30
	s_cbranch_vccz .LBB63_155
	s_branch .LBB63_261
.LBB63_36:
	s_mov_b32 s28, -1
	s_mov_b32 s26, 0
	s_mov_b32 s27, 0
                                        ; implicit-def: $vgpr6_vgpr7
	s_branch .LBB63_163
.LBB63_37:
	s_mov_b32 s31, -1
	s_mov_b32 s0, 0
	s_mov_b32 s30, 0
	s_branch .LBB63_75
.LBB63_38:
	s_mov_b32 s28, -1
	s_mov_b32 s26, 0
	s_mov_b32 s27, 0
                                        ; implicit-def: $vgpr6_vgpr7
	s_branch .LBB63_158
.LBB63_39:
	s_mov_b32 s31, -1
	s_mov_b32 s0, 0
	s_mov_b32 s30, 0
	s_branch .LBB63_58
.LBB63_40:
	s_mov_b32 s28, -1
	s_mov_b32 s26, 0
	s_branch .LBB63_43
.LBB63_41:
	s_mov_b32 s31, -1
	s_mov_b32 s0, 0
	s_mov_b32 s30, 0
	s_branch .LBB63_54
.LBB63_42:
	s_mov_b32 s26, -1
.LBB63_43:
	s_mov_b32 s27, 0
                                        ; implicit-def: $vgpr6_vgpr7
.LBB63_44:
	s_and_b32 vcc_lo, exec_lo, s28
	s_cbranch_vccz .LBB63_157
; %bb.45:
	s_cmp_eq_u32 s0, 44
	s_cbranch_scc0 .LBB63_156
; %bb.46:
	global_load_u8 v1, v[4:5], off
	s_mov_b32 s26, 0
	s_mov_b32 s27, -1
	s_wait_loadcnt 0x0
	v_lshlrev_b32_e32 v3, 23, v1
	v_cmp_ne_u32_e32 vcc_lo, 0, v1
	s_delay_alu instid0(VALU_DEP_2) | instskip(NEXT) | instid1(VALU_DEP_1)
	v_trunc_f32_e32 v3, v3
	v_mul_f32_e64 v6, 0x2f800000, |v3|
	s_delay_alu instid0(VALU_DEP_1) | instskip(SKIP_1) | instid1(VALU_DEP_2)
	v_floor_f32_e32 v7, v6
	v_ashrrev_i32_e32 v6, 31, v3
	v_fma_f32 v8, 0xcf800000, v7, |v3|
	v_cvt_u32_f32_e32 v3, v7
	s_delay_alu instid0(VALU_DEP_3) | instskip(NEXT) | instid1(VALU_DEP_3)
	v_mov_b32_e32 v7, v6
	v_cvt_u32_f32_e32 v8, v8
	s_delay_alu instid0(VALU_DEP_3) | instskip(NEXT) | instid1(VALU_DEP_2)
	v_xor_b32_e32 v9, v3, v6
	v_xor_b32_e32 v8, v8, v6
	s_delay_alu instid0(VALU_DEP_1) | instskip(NEXT) | instid1(VALU_DEP_1)
	v_sub_nc_u64_e32 v[6:7], v[8:9], v[6:7]
	v_dual_cndmask_b32 v7, 0, v7 :: v_dual_cndmask_b32 v6, 0, v6
	s_branch .LBB63_157
.LBB63_47:
	s_mov_b32 s31, -1
	s_mov_b32 s0, 0
	s_mov_b32 s30, 0
.LBB63_48:
	s_and_b32 vcc_lo, exec_lo, s31
	s_cbranch_vccz .LBB63_53
; %bb.49:
	s_cmp_eq_u32 s29, 44
	s_mov_b32 s0, -1
	s_cbranch_scc0 .LBB63_53
; %bb.50:
	v_cndmask_b32_e64 v5, 0, 1.0, s27
	s_mov_b32 s30, exec_lo
	s_wait_xcnt 0x0
	s_delay_alu instid0(VALU_DEP_1) | instskip(NEXT) | instid1(VALU_DEP_1)
	v_dual_mov_b32 v4, 0xff :: v_dual_lshrrev_b32 v1, 23, v5
	v_cmpx_ne_u32_e32 0xff, v1
; %bb.51:
	v_and_b32_e32 v4, 0x400000, v5
	v_and_or_b32 v5, 0x3fffff, v5, v1
	s_delay_alu instid0(VALU_DEP_2) | instskip(NEXT) | instid1(VALU_DEP_2)
	v_cmp_ne_u32_e32 vcc_lo, 0, v4
	v_cmp_ne_u32_e64 s0, 0, v5
	s_and_b32 s0, vcc_lo, s0
	s_delay_alu instid0(SALU_CYCLE_1) | instskip(NEXT) | instid1(VALU_DEP_1)
	v_cndmask_b32_e64 v4, 0, 1, s0
	v_add_nc_u32_e32 v4, v1, v4
; %bb.52:
	s_or_b32 exec_lo, exec_lo, s30
	s_mov_b32 s30, -1
	s_mov_b32 s0, 0
	global_store_b8 v[2:3], v4, off
.LBB63_53:
	s_mov_b32 s31, 0
.LBB63_54:
	s_delay_alu instid0(SALU_CYCLE_1)
	s_and_b32 vcc_lo, exec_lo, s31
	s_cbranch_vccz .LBB63_57
; %bb.55:
	s_cmp_eq_u32 s29, 29
	s_mov_b32 s0, -1
	s_cbranch_scc0 .LBB63_57
; %bb.56:
	s_mov_b32 s0, 0
	s_wait_xcnt 0x0
	v_cndmask_b32_e64 v4, 0, 1, s27
	v_mov_b32_e32 v5, s0
	s_mov_b32 s30, -1
	s_mov_b32 s31, 0
	global_store_b64 v[2:3], v[4:5], off
	s_branch .LBB63_58
.LBB63_57:
	s_mov_b32 s31, 0
.LBB63_58:
	s_delay_alu instid0(SALU_CYCLE_1)
	s_and_b32 vcc_lo, exec_lo, s31
	s_cbranch_vccz .LBB63_74
; %bb.59:
	s_cmp_lt_i32 s29, 27
	s_mov_b32 s30, -1
	s_cbranch_scc1 .LBB63_65
; %bb.60:
	s_cmp_gt_i32 s29, 27
	s_cbranch_scc0 .LBB63_62
; %bb.61:
	s_wait_xcnt 0x0
	v_cndmask_b32_e64 v1, 0, 1, s27
	s_mov_b32 s30, 0
	global_store_b32 v[2:3], v1, off
.LBB63_62:
	s_and_not1_b32 vcc_lo, exec_lo, s30
	s_cbranch_vccnz .LBB63_64
; %bb.63:
	s_wait_xcnt 0x0
	v_cndmask_b32_e64 v1, 0, 1, s27
	global_store_b16 v[2:3], v1, off
.LBB63_64:
	s_mov_b32 s30, 0
.LBB63_65:
	s_delay_alu instid0(SALU_CYCLE_1)
	s_and_not1_b32 vcc_lo, exec_lo, s30
	s_cbranch_vccnz .LBB63_73
; %bb.66:
	s_wait_xcnt 0x0
	v_cndmask_b32_e64 v4, 0, 1.0, s27
	v_mov_b32_e32 v5, 0x80
	s_mov_b32 s30, exec_lo
	s_delay_alu instid0(VALU_DEP_2)
	v_cmpx_gt_u32_e32 0x43800000, v4
	s_cbranch_execz .LBB63_72
; %bb.67:
	s_mov_b32 s31, 0
	s_mov_b32 s42, exec_lo
                                        ; implicit-def: $vgpr1
	v_cmpx_lt_u32_e32 0x3bffffff, v4
	s_xor_b32 s42, exec_lo, s42
	s_cbranch_execz .LBB63_306
; %bb.68:
	v_bfe_u32 v1, v4, 20, 1
	s_mov_b32 s31, exec_lo
	s_delay_alu instid0(VALU_DEP_1) | instskip(NEXT) | instid1(VALU_DEP_1)
	v_add3_u32 v1, v4, v1, 0x487ffff
                                        ; implicit-def: $vgpr4
	v_lshrrev_b32_e32 v1, 20, v1
	s_and_not1_saveexec_b32 s42, s42
	s_cbranch_execnz .LBB63_307
.LBB63_69:
	s_or_b32 exec_lo, exec_lo, s42
	v_mov_b32_e32 v5, 0
	s_and_saveexec_b32 s42, s31
.LBB63_70:
	v_mov_b32_e32 v5, v1
.LBB63_71:
	s_or_b32 exec_lo, exec_lo, s42
.LBB63_72:
	s_delay_alu instid0(SALU_CYCLE_1)
	s_or_b32 exec_lo, exec_lo, s30
	global_store_b8 v[2:3], v5, off
.LBB63_73:
	s_mov_b32 s30, -1
.LBB63_74:
	s_mov_b32 s31, 0
.LBB63_75:
	s_delay_alu instid0(SALU_CYCLE_1)
	s_and_b32 vcc_lo, exec_lo, s31
	s_cbranch_vccz .LBB63_116
; %bb.76:
	s_cmp_gt_i32 s29, 22
	s_mov_b32 s31, -1
	s_cbranch_scc0 .LBB63_108
; %bb.77:
	s_cmp_lt_i32 s29, 24
	s_mov_b32 s30, -1
	s_cbranch_scc1 .LBB63_97
; %bb.78:
	s_cmp_gt_i32 s29, 24
	s_cbranch_scc0 .LBB63_86
; %bb.79:
	s_wait_xcnt 0x0
	v_cndmask_b32_e64 v4, 0, 1.0, s27
	v_mov_b32_e32 v5, 0x80
	s_mov_b32 s30, exec_lo
	s_delay_alu instid0(VALU_DEP_2)
	v_cmpx_gt_u32_e32 0x47800000, v4
	s_cbranch_execz .LBB63_85
; %bb.80:
	s_mov_b32 s31, 0
	s_mov_b32 s42, exec_lo
                                        ; implicit-def: $vgpr1
	v_cmpx_lt_u32_e32 0x37ffffff, v4
	s_xor_b32 s42, exec_lo, s42
	s_cbranch_execz .LBB63_310
; %bb.81:
	v_bfe_u32 v1, v4, 21, 1
	s_mov_b32 s31, exec_lo
	s_delay_alu instid0(VALU_DEP_1) | instskip(NEXT) | instid1(VALU_DEP_1)
	v_add3_u32 v1, v4, v1, 0x88fffff
                                        ; implicit-def: $vgpr4
	v_lshrrev_b32_e32 v1, 21, v1
	s_and_not1_saveexec_b32 s42, s42
	s_cbranch_execnz .LBB63_311
.LBB63_82:
	s_or_b32 exec_lo, exec_lo, s42
	v_mov_b32_e32 v5, 0
	s_and_saveexec_b32 s42, s31
.LBB63_83:
	v_mov_b32_e32 v5, v1
.LBB63_84:
	s_or_b32 exec_lo, exec_lo, s42
.LBB63_85:
	s_delay_alu instid0(SALU_CYCLE_1)
	s_or_b32 exec_lo, exec_lo, s30
	s_mov_b32 s30, 0
	global_store_b8 v[2:3], v5, off
.LBB63_86:
	s_and_b32 vcc_lo, exec_lo, s30
	s_cbranch_vccz .LBB63_96
; %bb.87:
	s_wait_xcnt 0x0
	v_cndmask_b32_e64 v4, 0, 1.0, s27
	s_mov_b32 s30, exec_lo
                                        ; implicit-def: $vgpr1
	s_delay_alu instid0(VALU_DEP_1)
	v_cmpx_gt_u32_e32 0x43f00000, v4
	s_xor_b32 s30, exec_lo, s30
	s_cbranch_execz .LBB63_93
; %bb.88:
	s_mov_b32 s31, exec_lo
                                        ; implicit-def: $vgpr1
	v_cmpx_lt_u32_e32 0x3c7fffff, v4
	s_xor_b32 s31, exec_lo, s31
; %bb.89:
	v_bfe_u32 v1, v4, 20, 1
	s_delay_alu instid0(VALU_DEP_1) | instskip(NEXT) | instid1(VALU_DEP_1)
	v_add3_u32 v1, v4, v1, 0x407ffff
	v_and_b32_e32 v4, 0xff00000, v1
	v_lshrrev_b32_e32 v1, 20, v1
	s_delay_alu instid0(VALU_DEP_2) | instskip(NEXT) | instid1(VALU_DEP_2)
	v_cmp_ne_u32_e32 vcc_lo, 0x7f00000, v4
                                        ; implicit-def: $vgpr4
	v_cndmask_b32_e32 v1, 0x7e, v1, vcc_lo
; %bb.90:
	s_and_not1_saveexec_b32 s31, s31
; %bb.91:
	v_add_f32_e32 v1, 0x46800000, v4
; %bb.92:
	s_or_b32 exec_lo, exec_lo, s31
                                        ; implicit-def: $vgpr4
.LBB63_93:
	s_and_not1_saveexec_b32 s30, s30
; %bb.94:
	v_mov_b32_e32 v1, 0x7f
	v_cmp_lt_u32_e32 vcc_lo, 0x7f800000, v4
	s_delay_alu instid0(VALU_DEP_2)
	v_cndmask_b32_e32 v1, 0x7e, v1, vcc_lo
; %bb.95:
	s_or_b32 exec_lo, exec_lo, s30
	global_store_b8 v[2:3], v1, off
.LBB63_96:
	s_mov_b32 s30, 0
.LBB63_97:
	s_delay_alu instid0(SALU_CYCLE_1)
	s_and_not1_b32 vcc_lo, exec_lo, s30
	s_cbranch_vccnz .LBB63_107
; %bb.98:
	s_wait_xcnt 0x0
	v_cndmask_b32_e64 v4, 0, 1.0, s27
	s_mov_b32 s30, exec_lo
                                        ; implicit-def: $vgpr1
	s_delay_alu instid0(VALU_DEP_1)
	v_cmpx_gt_u32_e32 0x47800000, v4
	s_xor_b32 s30, exec_lo, s30
	s_cbranch_execz .LBB63_104
; %bb.99:
	s_mov_b32 s31, exec_lo
                                        ; implicit-def: $vgpr1
	v_cmpx_lt_u32_e32 0x387fffff, v4
	s_xor_b32 s31, exec_lo, s31
; %bb.100:
	v_bfe_u32 v1, v4, 21, 1
	s_delay_alu instid0(VALU_DEP_1) | instskip(NEXT) | instid1(VALU_DEP_1)
	v_add3_u32 v1, v4, v1, 0x80fffff
                                        ; implicit-def: $vgpr4
	v_lshrrev_b32_e32 v1, 21, v1
; %bb.101:
	s_and_not1_saveexec_b32 s31, s31
; %bb.102:
	v_add_f32_e32 v1, 0x43000000, v4
; %bb.103:
	s_or_b32 exec_lo, exec_lo, s31
                                        ; implicit-def: $vgpr4
.LBB63_104:
	s_and_not1_saveexec_b32 s30, s30
; %bb.105:
	v_mov_b32_e32 v1, 0x7f
	v_cmp_lt_u32_e32 vcc_lo, 0x7f800000, v4
	s_delay_alu instid0(VALU_DEP_2)
	v_cndmask_b32_e32 v1, 0x7c, v1, vcc_lo
; %bb.106:
	s_or_b32 exec_lo, exec_lo, s30
	global_store_b8 v[2:3], v1, off
.LBB63_107:
	s_mov_b32 s31, 0
	s_mov_b32 s30, -1
.LBB63_108:
	s_and_not1_b32 vcc_lo, exec_lo, s31
	s_cbranch_vccnz .LBB63_116
; %bb.109:
	s_cmp_gt_i32 s29, 14
	s_mov_b32 s31, -1
	s_cbranch_scc0 .LBB63_113
; %bb.110:
	s_cmp_eq_u32 s29, 15
	s_mov_b32 s0, -1
	s_cbranch_scc0 .LBB63_112
; %bb.111:
	s_wait_xcnt 0x0
	v_cndmask_b32_e64 v1, 0, 1.0, s27
	s_mov_b32 s30, -1
	s_mov_b32 s0, 0
	s_delay_alu instid0(VALU_DEP_1) | instskip(NEXT) | instid1(VALU_DEP_1)
	v_bfe_u32 v4, v1, 16, 1
	v_add3_u32 v1, v1, v4, 0x7fff
	global_store_d16_hi_b16 v[2:3], v1, off
.LBB63_112:
	s_mov_b32 s31, 0
.LBB63_113:
	s_delay_alu instid0(SALU_CYCLE_1)
	s_and_b32 vcc_lo, exec_lo, s31
	s_cbranch_vccz .LBB63_116
; %bb.114:
	s_cmp_eq_u32 s29, 11
	s_mov_b32 s0, -1
	s_cbranch_scc0 .LBB63_116
; %bb.115:
	s_wait_xcnt 0x0
	v_cndmask_b32_e64 v1, 0, 1, s27
	s_mov_b32 s30, -1
	s_mov_b32 s0, 0
	global_store_b8 v[2:3], v1, off
.LBB63_116:
	s_branch .LBB63_35
.LBB63_117:
	s_and_b32 s28, 0xffff, s28
	s_mov_b32 s29, -1
	s_cmp_lt_i32 s28, 5
	s_cbranch_scc1 .LBB63_138
; %bb.118:
	s_cmp_lt_i32 s28, 8
	s_cbranch_scc1 .LBB63_128
; %bb.119:
	;; [unrolled: 3-line block ×3, first 2 shown]
	s_cmp_gt_i32 s28, 9
	s_cbranch_scc0 .LBB63_122
; %bb.121:
	s_wait_xcnt 0x0
	v_cndmask_b32_e64 v1, 0, 1, s27
	v_mov_b32_e32 v6, 0
	s_mov_b32 s29, 0
	s_delay_alu instid0(VALU_DEP_2) | instskip(NEXT) | instid1(VALU_DEP_2)
	v_cvt_f64_u32_e32 v[4:5], v1
	v_mov_b32_e32 v7, v6
	global_store_b128 v[2:3], v[4:7], off
.LBB63_122:
	s_and_not1_b32 vcc_lo, exec_lo, s29
	s_cbranch_vccnz .LBB63_124
; %bb.123:
	s_wait_xcnt 0x0
	v_cndmask_b32_e64 v4, 0, 1.0, s27
	v_mov_b32_e32 v5, 0
	global_store_b64 v[2:3], v[4:5], off
.LBB63_124:
	s_mov_b32 s29, 0
.LBB63_125:
	s_delay_alu instid0(SALU_CYCLE_1)
	s_and_not1_b32 vcc_lo, exec_lo, s29
	s_cbranch_vccnz .LBB63_127
; %bb.126:
	s_wait_xcnt 0x0
	v_cndmask_b32_e64 v1, 0, 1.0, s27
	s_delay_alu instid0(VALU_DEP_1) | instskip(NEXT) | instid1(VALU_DEP_1)
	v_cvt_f16_f32_e32 v1, v1
	v_and_b32_e32 v1, 0xffff, v1
	global_store_b32 v[2:3], v1, off
.LBB63_127:
	s_mov_b32 s29, 0
.LBB63_128:
	s_delay_alu instid0(SALU_CYCLE_1)
	s_and_not1_b32 vcc_lo, exec_lo, s29
	s_cbranch_vccnz .LBB63_137
; %bb.129:
	s_cmp_lt_i32 s28, 6
	s_mov_b32 s29, -1
	s_cbranch_scc1 .LBB63_135
; %bb.130:
	s_cmp_gt_i32 s28, 6
	s_cbranch_scc0 .LBB63_132
; %bb.131:
	s_wait_xcnt 0x0
	v_cndmask_b32_e64 v1, 0, 1, s27
	s_mov_b32 s29, 0
	s_delay_alu instid0(VALU_DEP_1)
	v_cvt_f64_u32_e32 v[4:5], v1
	global_store_b64 v[2:3], v[4:5], off
.LBB63_132:
	s_and_not1_b32 vcc_lo, exec_lo, s29
	s_cbranch_vccnz .LBB63_134
; %bb.133:
	s_wait_xcnt 0x0
	v_cndmask_b32_e64 v1, 0, 1.0, s27
	global_store_b32 v[2:3], v1, off
.LBB63_134:
	s_mov_b32 s29, 0
.LBB63_135:
	s_delay_alu instid0(SALU_CYCLE_1)
	s_and_not1_b32 vcc_lo, exec_lo, s29
	s_cbranch_vccnz .LBB63_137
; %bb.136:
	s_wait_xcnt 0x0
	v_cndmask_b32_e64 v1, 0, 1.0, s27
	s_delay_alu instid0(VALU_DEP_1)
	v_cvt_f16_f32_e32 v1, v1
	global_store_b16 v[2:3], v1, off
.LBB63_137:
	s_mov_b32 s29, 0
.LBB63_138:
	s_delay_alu instid0(SALU_CYCLE_1)
	s_and_not1_b32 vcc_lo, exec_lo, s29
	s_cbranch_vccnz .LBB63_154
; %bb.139:
	s_cmp_lt_i32 s28, 2
	s_mov_b32 s29, -1
	s_cbranch_scc1 .LBB63_149
; %bb.140:
	s_cmp_lt_i32 s28, 3
	s_cbranch_scc1 .LBB63_146
; %bb.141:
	s_cmp_gt_i32 s28, 3
	s_cbranch_scc0 .LBB63_143
; %bb.142:
	s_mov_b32 s29, 0
	s_wait_xcnt 0x0
	v_cndmask_b32_e64 v4, 0, 1, s27
	v_mov_b32_e32 v5, s29
	global_store_b64 v[2:3], v[4:5], off
.LBB63_143:
	s_and_not1_b32 vcc_lo, exec_lo, s29
	s_cbranch_vccnz .LBB63_145
; %bb.144:
	s_wait_xcnt 0x0
	v_cndmask_b32_e64 v1, 0, 1, s27
	global_store_b32 v[2:3], v1, off
.LBB63_145:
	s_mov_b32 s29, 0
.LBB63_146:
	s_delay_alu instid0(SALU_CYCLE_1)
	s_and_not1_b32 vcc_lo, exec_lo, s29
	s_cbranch_vccnz .LBB63_148
; %bb.147:
	s_wait_xcnt 0x0
	v_cndmask_b32_e64 v1, 0, 1, s27
	global_store_b16 v[2:3], v1, off
.LBB63_148:
	s_mov_b32 s29, 0
.LBB63_149:
	s_delay_alu instid0(SALU_CYCLE_1)
	s_and_not1_b32 vcc_lo, exec_lo, s29
	s_cbranch_vccnz .LBB63_154
; %bb.150:
	s_cmp_gt_i32 s28, 0
	s_mov_b32 s28, -1
	s_cbranch_scc0 .LBB63_152
; %bb.151:
	s_wait_xcnt 0x0
	v_cndmask_b32_e64 v1, 0, 1, s27
	s_mov_b32 s28, 0
	global_store_b8 v[2:3], v1, off
.LBB63_152:
	s_and_not1_b32 vcc_lo, exec_lo, s28
	s_cbranch_vccnz .LBB63_154
; %bb.153:
	s_wait_xcnt 0x0
	v_cndmask_b32_e64 v1, 0, 1, s27
	global_store_b8 v[2:3], v1, off
.LBB63_154:
.LBB63_155:
	v_add_nc_u32_e32 v0, 0x80, v0
	s_mov_b32 s27, -1
	s_branch .LBB63_262
.LBB63_156:
	s_mov_b32 s26, -1
                                        ; implicit-def: $vgpr6_vgpr7
.LBB63_157:
	s_mov_b32 s28, 0
.LBB63_158:
	s_delay_alu instid0(SALU_CYCLE_1)
	s_and_b32 vcc_lo, exec_lo, s28
	s_cbranch_vccz .LBB63_162
; %bb.159:
	s_cmp_eq_u32 s0, 29
	s_cbranch_scc0 .LBB63_161
; %bb.160:
	global_load_b64 v[6:7], v[4:5], off
	s_mov_b32 s27, -1
	s_mov_b32 s26, 0
	s_branch .LBB63_162
.LBB63_161:
	s_mov_b32 s26, -1
                                        ; implicit-def: $vgpr6_vgpr7
.LBB63_162:
	s_mov_b32 s28, 0
.LBB63_163:
	s_delay_alu instid0(SALU_CYCLE_1)
	s_and_b32 vcc_lo, exec_lo, s28
	s_cbranch_vccz .LBB63_179
; %bb.164:
	s_cmp_lt_i32 s0, 27
	s_cbranch_scc1 .LBB63_167
; %bb.165:
	s_cmp_gt_i32 s0, 27
	s_cbranch_scc0 .LBB63_168
; %bb.166:
	s_wait_loadcnt 0x0
	global_load_b32 v6, v[4:5], off
	v_mov_b32_e32 v7, 0
	s_mov_b32 s27, 0
	s_branch .LBB63_169
.LBB63_167:
	s_mov_b32 s27, -1
                                        ; implicit-def: $vgpr6_vgpr7
	s_branch .LBB63_172
.LBB63_168:
	s_mov_b32 s27, -1
                                        ; implicit-def: $vgpr6_vgpr7
.LBB63_169:
	s_delay_alu instid0(SALU_CYCLE_1)
	s_and_not1_b32 vcc_lo, exec_lo, s27
	s_cbranch_vccnz .LBB63_171
; %bb.170:
	global_load_u16 v1, v[4:5], off
	s_mov_b32 s27, 0
	s_wait_loadcnt 0x1
	v_mov_b32_e32 v7, s27
	s_wait_loadcnt 0x0
	v_and_b32_e32 v6, 0xffff, v1
.LBB63_171:
	s_mov_b32 s27, 0
.LBB63_172:
	s_delay_alu instid0(SALU_CYCLE_1)
	s_and_not1_b32 vcc_lo, exec_lo, s27
	s_cbranch_vccnz .LBB63_178
; %bb.173:
	global_load_u8 v1, v[4:5], off
	s_mov_b32 s28, 0
	s_mov_b32 s27, exec_lo
	s_wait_loadcnt 0x0
	v_cmpx_lt_i16_e32 0x7f, v1
	s_xor_b32 s27, exec_lo, s27
	s_cbranch_execz .LBB63_189
; %bb.174:
	v_cmp_ne_u16_e32 vcc_lo, 0x80, v1
	s_and_b32 s28, vcc_lo, exec_lo
	s_and_not1_saveexec_b32 s27, s27
	s_cbranch_execnz .LBB63_190
.LBB63_175:
	s_or_b32 exec_lo, exec_lo, s27
	v_mov_b64_e32 v[6:7], 0
	s_and_saveexec_b32 s27, s28
	s_cbranch_execz .LBB63_177
.LBB63_176:
	v_and_b32_e32 v3, 0xffff, v1
	s_delay_alu instid0(VALU_DEP_1) | instskip(SKIP_1) | instid1(VALU_DEP_2)
	v_dual_lshlrev_b32 v1, 24, v1 :: v_dual_bitop2_b32 v6, 7, v3 bitop3:0x40
	v_bfe_u32 v9, v3, 3, 4
	v_and_b32_e32 v1, 0x80000000, v1
	s_delay_alu instid0(VALU_DEP_3) | instskip(NEXT) | instid1(VALU_DEP_3)
	v_clz_i32_u32_e32 v7, v6
	v_cmp_eq_u32_e32 vcc_lo, 0, v9
	s_delay_alu instid0(VALU_DEP_2) | instskip(NEXT) | instid1(VALU_DEP_1)
	v_min_u32_e32 v7, 32, v7
	v_subrev_nc_u32_e32 v8, 28, v7
	v_sub_nc_u32_e32 v7, 29, v7
	s_delay_alu instid0(VALU_DEP_2) | instskip(NEXT) | instid1(VALU_DEP_2)
	v_lshlrev_b32_e32 v3, v8, v3
	v_cndmask_b32_e32 v7, v9, v7, vcc_lo
	s_delay_alu instid0(VALU_DEP_2) | instskip(NEXT) | instid1(VALU_DEP_1)
	v_and_b32_e32 v3, 7, v3
	v_cndmask_b32_e32 v3, v6, v3, vcc_lo
	s_delay_alu instid0(VALU_DEP_3) | instskip(NEXT) | instid1(VALU_DEP_2)
	v_lshl_add_u32 v6, v7, 23, 0x3b800000
	v_lshlrev_b32_e32 v3, 20, v3
	s_delay_alu instid0(VALU_DEP_1) | instskip(NEXT) | instid1(VALU_DEP_1)
	v_or3_b32 v1, v1, v6, v3
	v_trunc_f32_e32 v1, v1
	s_delay_alu instid0(VALU_DEP_1) | instskip(SKIP_1) | instid1(VALU_DEP_2)
	v_mul_f32_e64 v3, 0x2f800000, |v1|
	v_ashrrev_i32_e32 v6, 31, v1
	v_floor_f32_e32 v3, v3
	s_delay_alu instid0(VALU_DEP_1) | instskip(SKIP_1) | instid1(VALU_DEP_2)
	v_fma_f32 v7, 0xcf800000, v3, |v1|
	v_cvt_u32_f32_e32 v1, v3
	v_cvt_u32_f32_e32 v3, v7
	s_delay_alu instid0(VALU_DEP_2) | instskip(NEXT) | instid1(VALU_DEP_2)
	v_dual_mov_b32 v7, v6 :: v_dual_bitop2_b32 v9, v1, v6 bitop3:0x14
	v_xor_b32_e32 v8, v3, v6
	s_delay_alu instid0(VALU_DEP_1)
	v_sub_nc_u64_e32 v[6:7], v[8:9], v[6:7]
.LBB63_177:
	s_or_b32 exec_lo, exec_lo, s27
.LBB63_178:
	s_mov_b32 s27, -1
.LBB63_179:
	s_branch .LBB63_212
.LBB63_180:
	s_cmp_gt_i32 s0, 22
	s_cbranch_scc0 .LBB63_188
; %bb.181:
	s_cmp_lt_i32 s0, 24
	s_cbranch_scc1 .LBB63_191
; %bb.182:
	s_cmp_gt_i32 s0, 24
	s_cbranch_scc0 .LBB63_192
; %bb.183:
	global_load_u8 v1, v[4:5], off
	s_mov_b32 s28, 0
	s_mov_b32 s27, exec_lo
	s_wait_loadcnt 0x0
	v_cmpx_lt_i16_e32 0x7f, v1
	s_xor_b32 s27, exec_lo, s27
	s_cbranch_execz .LBB63_204
; %bb.184:
	v_cmp_ne_u16_e32 vcc_lo, 0x80, v1
	s_and_b32 s28, vcc_lo, exec_lo
	s_and_not1_saveexec_b32 s27, s27
	s_cbranch_execnz .LBB63_205
.LBB63_185:
	s_or_b32 exec_lo, exec_lo, s27
	v_mov_b64_e32 v[6:7], 0
	s_and_saveexec_b32 s27, s28
	s_cbranch_execz .LBB63_187
.LBB63_186:
	v_and_b32_e32 v3, 0xffff, v1
	s_delay_alu instid0(VALU_DEP_1) | instskip(SKIP_1) | instid1(VALU_DEP_2)
	v_dual_lshlrev_b32 v1, 24, v1 :: v_dual_bitop2_b32 v6, 3, v3 bitop3:0x40
	v_bfe_u32 v9, v3, 2, 5
	v_and_b32_e32 v1, 0x80000000, v1
	s_delay_alu instid0(VALU_DEP_3) | instskip(NEXT) | instid1(VALU_DEP_3)
	v_clz_i32_u32_e32 v7, v6
	v_cmp_eq_u32_e32 vcc_lo, 0, v9
	s_delay_alu instid0(VALU_DEP_2) | instskip(NEXT) | instid1(VALU_DEP_1)
	v_min_u32_e32 v7, 32, v7
	v_subrev_nc_u32_e32 v8, 29, v7
	v_sub_nc_u32_e32 v7, 30, v7
	s_delay_alu instid0(VALU_DEP_2) | instskip(NEXT) | instid1(VALU_DEP_2)
	v_lshlrev_b32_e32 v3, v8, v3
	v_cndmask_b32_e32 v7, v9, v7, vcc_lo
	s_delay_alu instid0(VALU_DEP_2) | instskip(NEXT) | instid1(VALU_DEP_1)
	v_and_b32_e32 v3, 3, v3
	v_cndmask_b32_e32 v3, v6, v3, vcc_lo
	s_delay_alu instid0(VALU_DEP_3) | instskip(NEXT) | instid1(VALU_DEP_2)
	v_lshl_add_u32 v6, v7, 23, 0x37800000
	v_lshlrev_b32_e32 v3, 21, v3
	s_delay_alu instid0(VALU_DEP_1) | instskip(NEXT) | instid1(VALU_DEP_1)
	v_or3_b32 v1, v1, v6, v3
	v_trunc_f32_e32 v1, v1
	s_delay_alu instid0(VALU_DEP_1) | instskip(SKIP_1) | instid1(VALU_DEP_2)
	v_mul_f32_e64 v3, 0x2f800000, |v1|
	v_ashrrev_i32_e32 v6, 31, v1
	v_floor_f32_e32 v3, v3
	s_delay_alu instid0(VALU_DEP_1) | instskip(SKIP_1) | instid1(VALU_DEP_2)
	v_fma_f32 v7, 0xcf800000, v3, |v1|
	v_cvt_u32_f32_e32 v1, v3
	v_cvt_u32_f32_e32 v3, v7
	s_delay_alu instid0(VALU_DEP_2) | instskip(NEXT) | instid1(VALU_DEP_2)
	v_dual_mov_b32 v7, v6 :: v_dual_bitop2_b32 v9, v1, v6 bitop3:0x14
	v_xor_b32_e32 v8, v3, v6
	s_delay_alu instid0(VALU_DEP_1)
	v_sub_nc_u64_e32 v[6:7], v[8:9], v[6:7]
.LBB63_187:
	s_or_b32 exec_lo, exec_lo, s27
	s_mov_b32 s27, 0
	s_branch .LBB63_193
.LBB63_188:
	s_mov_b32 s28, -1
                                        ; implicit-def: $vgpr6_vgpr7
	s_branch .LBB63_199
.LBB63_189:
	s_and_not1_saveexec_b32 s27, s27
	s_cbranch_execz .LBB63_175
.LBB63_190:
	v_cmp_ne_u16_e32 vcc_lo, 0, v1
	s_and_not1_b32 s28, s28, exec_lo
	s_and_b32 s29, vcc_lo, exec_lo
	s_delay_alu instid0(SALU_CYCLE_1)
	s_or_b32 s28, s28, s29
	s_or_b32 exec_lo, exec_lo, s27
	v_mov_b64_e32 v[6:7], 0
	s_and_saveexec_b32 s27, s28
	s_cbranch_execnz .LBB63_176
	s_branch .LBB63_177
.LBB63_191:
	s_mov_b32 s27, -1
                                        ; implicit-def: $vgpr6_vgpr7
	s_branch .LBB63_196
.LBB63_192:
	s_mov_b32 s27, -1
                                        ; implicit-def: $vgpr6_vgpr7
.LBB63_193:
	s_delay_alu instid0(SALU_CYCLE_1)
	s_and_b32 vcc_lo, exec_lo, s27
	s_cbranch_vccz .LBB63_195
; %bb.194:
	global_load_u8 v1, v[4:5], off
	s_wait_loadcnt 0x0
	v_lshlrev_b32_e32 v1, 24, v1
	s_delay_alu instid0(VALU_DEP_1) | instskip(NEXT) | instid1(VALU_DEP_1)
	v_and_b32_e32 v3, 0x7f000000, v1
	v_clz_i32_u32_e32 v6, v3
	v_cmp_ne_u32_e32 vcc_lo, 0, v3
	v_add_nc_u32_e32 v8, 0x1000000, v3
	s_delay_alu instid0(VALU_DEP_3) | instskip(NEXT) | instid1(VALU_DEP_1)
	v_min_u32_e32 v6, 32, v6
	v_sub_nc_u32_e64 v6, v6, 4 clamp
	s_delay_alu instid0(VALU_DEP_1) | instskip(NEXT) | instid1(VALU_DEP_1)
	v_dual_lshlrev_b32 v7, v6, v3 :: v_dual_lshlrev_b32 v6, 23, v6
	v_lshrrev_b32_e32 v7, 4, v7
	s_delay_alu instid0(VALU_DEP_1) | instskip(NEXT) | instid1(VALU_DEP_1)
	v_dual_sub_nc_u32 v6, v7, v6 :: v_dual_ashrrev_i32 v7, 8, v8
	v_add_nc_u32_e32 v6, 0x3c000000, v6
	s_delay_alu instid0(VALU_DEP_1) | instskip(NEXT) | instid1(VALU_DEP_1)
	v_and_or_b32 v6, 0x7f800000, v7, v6
	v_cndmask_b32_e32 v3, 0, v6, vcc_lo
	s_delay_alu instid0(VALU_DEP_1) | instskip(NEXT) | instid1(VALU_DEP_1)
	v_and_or_b32 v1, 0x80000000, v1, v3
	v_trunc_f32_e32 v1, v1
	s_delay_alu instid0(VALU_DEP_1) | instskip(SKIP_1) | instid1(VALU_DEP_2)
	v_mul_f32_e64 v3, 0x2f800000, |v1|
	v_ashrrev_i32_e32 v6, 31, v1
	v_floor_f32_e32 v3, v3
	s_delay_alu instid0(VALU_DEP_1) | instskip(SKIP_1) | instid1(VALU_DEP_2)
	v_fma_f32 v7, 0xcf800000, v3, |v1|
	v_cvt_u32_f32_e32 v1, v3
	v_cvt_u32_f32_e32 v3, v7
	s_delay_alu instid0(VALU_DEP_2) | instskip(NEXT) | instid1(VALU_DEP_2)
	v_dual_mov_b32 v7, v6 :: v_dual_bitop2_b32 v9, v1, v6 bitop3:0x14
	v_xor_b32_e32 v8, v3, v6
	s_delay_alu instid0(VALU_DEP_1)
	v_sub_nc_u64_e32 v[6:7], v[8:9], v[6:7]
.LBB63_195:
	s_mov_b32 s27, 0
.LBB63_196:
	s_delay_alu instid0(SALU_CYCLE_1)
	s_and_not1_b32 vcc_lo, exec_lo, s27
	s_cbranch_vccnz .LBB63_198
; %bb.197:
	global_load_u8 v1, v[4:5], off
	s_wait_loadcnt 0x0
	v_lshlrev_b32_e32 v3, 25, v1
	v_lshlrev_b16 v1, 8, v1
	s_delay_alu instid0(VALU_DEP_1) | instskip(SKIP_1) | instid1(VALU_DEP_2)
	v_and_or_b32 v7, 0x7f00, v1, 0.5
	v_bfe_i32 v1, v1, 0, 16
	v_add_f32_e32 v7, -0.5, v7
	v_lshrrev_b32_e32 v6, 4, v3
	v_cmp_gt_u32_e32 vcc_lo, 0x8000000, v3
	s_delay_alu instid0(VALU_DEP_2) | instskip(NEXT) | instid1(VALU_DEP_1)
	v_or_b32_e32 v6, 0x70000000, v6
	v_mul_f32_e32 v6, 0x7800000, v6
	s_delay_alu instid0(VALU_DEP_1) | instskip(NEXT) | instid1(VALU_DEP_1)
	v_cndmask_b32_e32 v3, v6, v7, vcc_lo
	v_and_or_b32 v1, 0x80000000, v1, v3
	s_delay_alu instid0(VALU_DEP_1) | instskip(NEXT) | instid1(VALU_DEP_1)
	v_trunc_f32_e32 v1, v1
	v_mul_f32_e64 v3, 0x2f800000, |v1|
	v_ashrrev_i32_e32 v6, 31, v1
	s_delay_alu instid0(VALU_DEP_2) | instskip(NEXT) | instid1(VALU_DEP_1)
	v_floor_f32_e32 v3, v3
	v_fma_f32 v7, 0xcf800000, v3, |v1|
	v_cvt_u32_f32_e32 v1, v3
	s_delay_alu instid0(VALU_DEP_2) | instskip(NEXT) | instid1(VALU_DEP_2)
	v_cvt_u32_f32_e32 v3, v7
	v_dual_mov_b32 v7, v6 :: v_dual_bitop2_b32 v9, v1, v6 bitop3:0x14
	s_delay_alu instid0(VALU_DEP_2) | instskip(NEXT) | instid1(VALU_DEP_1)
	v_xor_b32_e32 v8, v3, v6
	v_sub_nc_u64_e32 v[6:7], v[8:9], v[6:7]
.LBB63_198:
	s_mov_b32 s28, 0
	s_mov_b32 s27, -1
.LBB63_199:
	s_and_not1_b32 vcc_lo, exec_lo, s28
	s_cbranch_vccnz .LBB63_212
; %bb.200:
	s_cmp_gt_i32 s0, 14
	s_cbranch_scc0 .LBB63_203
; %bb.201:
	s_cmp_eq_u32 s0, 15
	s_cbranch_scc0 .LBB63_206
; %bb.202:
	global_load_u16 v1, v[4:5], off
	s_mov_b32 s27, -1
	s_mov_b32 s26, 0
	s_wait_loadcnt 0x0
	v_lshlrev_b32_e32 v1, 16, v1
	s_delay_alu instid0(VALU_DEP_1) | instskip(NEXT) | instid1(VALU_DEP_1)
	v_trunc_f32_e32 v1, v1
	v_mul_f32_e64 v3, 0x2f800000, |v1|
	v_ashrrev_i32_e32 v6, 31, v1
	s_delay_alu instid0(VALU_DEP_2) | instskip(NEXT) | instid1(VALU_DEP_1)
	v_floor_f32_e32 v3, v3
	v_fma_f32 v7, 0xcf800000, v3, |v1|
	v_cvt_u32_f32_e32 v1, v3
	s_delay_alu instid0(VALU_DEP_2) | instskip(NEXT) | instid1(VALU_DEP_2)
	v_cvt_u32_f32_e32 v3, v7
	v_dual_mov_b32 v7, v6 :: v_dual_bitop2_b32 v9, v1, v6 bitop3:0x14
	s_delay_alu instid0(VALU_DEP_2) | instskip(NEXT) | instid1(VALU_DEP_1)
	v_xor_b32_e32 v8, v3, v6
	v_sub_nc_u64_e32 v[6:7], v[8:9], v[6:7]
	s_branch .LBB63_207
.LBB63_203:
	s_mov_b32 s28, -1
                                        ; implicit-def: $vgpr6_vgpr7
	s_branch .LBB63_208
.LBB63_204:
	s_and_not1_saveexec_b32 s27, s27
	s_cbranch_execz .LBB63_185
.LBB63_205:
	v_cmp_ne_u16_e32 vcc_lo, 0, v1
	s_and_not1_b32 s28, s28, exec_lo
	s_and_b32 s29, vcc_lo, exec_lo
	s_delay_alu instid0(SALU_CYCLE_1)
	s_or_b32 s28, s28, s29
	s_or_b32 exec_lo, exec_lo, s27
	v_mov_b64_e32 v[6:7], 0
	s_and_saveexec_b32 s27, s28
	s_cbranch_execnz .LBB63_186
	s_branch .LBB63_187
.LBB63_206:
	s_mov_b32 s26, -1
                                        ; implicit-def: $vgpr6_vgpr7
.LBB63_207:
	s_mov_b32 s28, 0
.LBB63_208:
	s_delay_alu instid0(SALU_CYCLE_1)
	s_and_b32 vcc_lo, exec_lo, s28
	s_cbranch_vccz .LBB63_212
; %bb.209:
	s_cmp_eq_u32 s0, 11
	s_cbranch_scc0 .LBB63_211
; %bb.210:
	global_load_u8 v1, v[4:5], off
	s_mov_b32 s26, 0
	s_mov_b32 s27, -1
	s_wait_loadcnt 0x1
	v_mov_b32_e32 v7, s26
	s_wait_loadcnt 0x0
	v_cmp_ne_u16_e32 vcc_lo, 0, v1
	v_cndmask_b32_e64 v6, 0, 1, vcc_lo
	s_branch .LBB63_212
.LBB63_211:
	s_mov_b32 s26, -1
                                        ; implicit-def: $vgpr6_vgpr7
.LBB63_212:
	s_branch .LBB63_25
.LBB63_213:
	s_cmp_lt_i32 s0, 5
	s_cbranch_scc1 .LBB63_218
; %bb.214:
	s_cmp_lt_i32 s0, 8
	s_cbranch_scc1 .LBB63_219
; %bb.215:
	s_cmp_lt_i32 s0, 9
	s_cbranch_scc1 .LBB63_220
; %bb.216:
	s_cmp_gt_i32 s0, 9
	s_cbranch_scc0 .LBB63_221
; %bb.217:
	s_wait_loadcnt 0x0
	global_load_b64 v[6:7], v[4:5], off
	s_mov_b32 s27, 0
	s_wait_loadcnt 0x0
	v_trunc_f64_e32 v[6:7], v[6:7]
	s_delay_alu instid0(VALU_DEP_1) | instskip(NEXT) | instid1(VALU_DEP_1)
	v_ldexp_f64 v[8:9], v[6:7], 0xffffffe0
	v_floor_f64_e32 v[8:9], v[8:9]
	s_delay_alu instid0(VALU_DEP_1) | instskip(SKIP_1) | instid1(VALU_DEP_2)
	v_fmamk_f64 v[10:11], v[8:9], 0xc1f00000, v[6:7]
	v_cvt_i32_f64_e32 v7, v[8:9]
	v_cvt_u32_f64_e32 v6, v[10:11]
	s_branch .LBB63_222
.LBB63_218:
                                        ; implicit-def: $vgpr6_vgpr7
	s_branch .LBB63_240
.LBB63_219:
	s_mov_b32 s27, -1
                                        ; implicit-def: $vgpr6_vgpr7
	s_branch .LBB63_228
.LBB63_220:
	s_mov_b32 s27, -1
                                        ; implicit-def: $vgpr6_vgpr7
	s_branch .LBB63_225
.LBB63_221:
	s_mov_b32 s27, -1
                                        ; implicit-def: $vgpr6_vgpr7
.LBB63_222:
	s_delay_alu instid0(SALU_CYCLE_1)
	s_and_not1_b32 vcc_lo, exec_lo, s27
	s_cbranch_vccnz .LBB63_224
; %bb.223:
	global_load_b32 v1, v[4:5], off
	s_wait_loadcnt 0x0
	v_trunc_f32_e32 v1, v1
	s_delay_alu instid0(VALU_DEP_1) | instskip(SKIP_1) | instid1(VALU_DEP_2)
	v_mul_f32_e64 v3, 0x2f800000, |v1|
	v_ashrrev_i32_e32 v6, 31, v1
	v_floor_f32_e32 v3, v3
	s_delay_alu instid0(VALU_DEP_1) | instskip(SKIP_1) | instid1(VALU_DEP_2)
	v_fma_f32 v7, 0xcf800000, v3, |v1|
	v_cvt_u32_f32_e32 v1, v3
	v_cvt_u32_f32_e32 v3, v7
	s_delay_alu instid0(VALU_DEP_2) | instskip(NEXT) | instid1(VALU_DEP_2)
	v_dual_mov_b32 v7, v6 :: v_dual_bitop2_b32 v9, v1, v6 bitop3:0x14
	v_xor_b32_e32 v8, v3, v6
	s_delay_alu instid0(VALU_DEP_1)
	v_sub_nc_u64_e32 v[6:7], v[8:9], v[6:7]
.LBB63_224:
	s_mov_b32 s27, 0
.LBB63_225:
	s_delay_alu instid0(SALU_CYCLE_1)
	s_and_not1_b32 vcc_lo, exec_lo, s27
	s_cbranch_vccnz .LBB63_227
; %bb.226:
	global_load_b32 v1, v[4:5], off
	s_wait_loadcnt 0x0
	v_cvt_f32_f16_e32 v1, v1
	s_delay_alu instid0(VALU_DEP_1) | instskip(NEXT) | instid1(VALU_DEP_1)
	v_cvt_i32_f32_e32 v6, v1
	v_ashrrev_i32_e32 v7, 31, v6
.LBB63_227:
	s_mov_b32 s27, 0
.LBB63_228:
	s_delay_alu instid0(SALU_CYCLE_1)
	s_and_not1_b32 vcc_lo, exec_lo, s27
	s_cbranch_vccnz .LBB63_239
; %bb.229:
	s_cmp_lt_i32 s0, 6
	s_cbranch_scc1 .LBB63_232
; %bb.230:
	s_cmp_gt_i32 s0, 6
	s_cbranch_scc0 .LBB63_233
; %bb.231:
	s_wait_loadcnt 0x0
	global_load_b64 v[6:7], v[4:5], off
	s_mov_b32 s27, 0
	s_wait_loadcnt 0x0
	v_trunc_f64_e32 v[6:7], v[6:7]
	s_delay_alu instid0(VALU_DEP_1) | instskip(NEXT) | instid1(VALU_DEP_1)
	v_ldexp_f64 v[8:9], v[6:7], 0xffffffe0
	v_floor_f64_e32 v[8:9], v[8:9]
	s_delay_alu instid0(VALU_DEP_1) | instskip(SKIP_1) | instid1(VALU_DEP_2)
	v_fmamk_f64 v[10:11], v[8:9], 0xc1f00000, v[6:7]
	v_cvt_i32_f64_e32 v7, v[8:9]
	v_cvt_u32_f64_e32 v6, v[10:11]
	s_branch .LBB63_234
.LBB63_232:
	s_mov_b32 s27, -1
                                        ; implicit-def: $vgpr6_vgpr7
	s_branch .LBB63_237
.LBB63_233:
	s_mov_b32 s27, -1
                                        ; implicit-def: $vgpr6_vgpr7
.LBB63_234:
	s_delay_alu instid0(SALU_CYCLE_1)
	s_and_not1_b32 vcc_lo, exec_lo, s27
	s_cbranch_vccnz .LBB63_236
; %bb.235:
	global_load_b32 v1, v[4:5], off
	s_wait_loadcnt 0x0
	v_trunc_f32_e32 v1, v1
	s_delay_alu instid0(VALU_DEP_1) | instskip(SKIP_1) | instid1(VALU_DEP_2)
	v_mul_f32_e64 v3, 0x2f800000, |v1|
	v_ashrrev_i32_e32 v6, 31, v1
	v_floor_f32_e32 v3, v3
	s_delay_alu instid0(VALU_DEP_1) | instskip(SKIP_1) | instid1(VALU_DEP_2)
	v_fma_f32 v7, 0xcf800000, v3, |v1|
	v_cvt_u32_f32_e32 v1, v3
	v_cvt_u32_f32_e32 v3, v7
	s_delay_alu instid0(VALU_DEP_2) | instskip(NEXT) | instid1(VALU_DEP_2)
	v_dual_mov_b32 v7, v6 :: v_dual_bitop2_b32 v9, v1, v6 bitop3:0x14
	v_xor_b32_e32 v8, v3, v6
	s_delay_alu instid0(VALU_DEP_1)
	v_sub_nc_u64_e32 v[6:7], v[8:9], v[6:7]
.LBB63_236:
	s_mov_b32 s27, 0
.LBB63_237:
	s_delay_alu instid0(SALU_CYCLE_1)
	s_and_not1_b32 vcc_lo, exec_lo, s27
	s_cbranch_vccnz .LBB63_239
; %bb.238:
	global_load_u16 v1, v[4:5], off
	s_wait_loadcnt 0x0
	v_cvt_f32_f16_e32 v1, v1
	s_delay_alu instid0(VALU_DEP_1) | instskip(NEXT) | instid1(VALU_DEP_1)
	v_cvt_i32_f32_e32 v6, v1
	v_ashrrev_i32_e32 v7, 31, v6
.LBB63_239:
	s_cbranch_execnz .LBB63_259
.LBB63_240:
	s_cmp_lt_i32 s0, 2
	s_cbranch_scc1 .LBB63_244
; %bb.241:
	s_cmp_lt_i32 s0, 3
	s_cbranch_scc1 .LBB63_245
; %bb.242:
	s_cmp_gt_i32 s0, 3
	s_cbranch_scc0 .LBB63_246
; %bb.243:
	s_wait_loadcnt 0x0
	global_load_b64 v[6:7], v[4:5], off
	s_mov_b32 s27, 0
	s_branch .LBB63_247
.LBB63_244:
	s_mov_b32 s27, -1
                                        ; implicit-def: $vgpr6_vgpr7
	s_branch .LBB63_253
.LBB63_245:
	s_mov_b32 s27, -1
                                        ; implicit-def: $vgpr6_vgpr7
	s_branch .LBB63_250
.LBB63_246:
	s_mov_b32 s27, -1
                                        ; implicit-def: $vgpr6_vgpr7
.LBB63_247:
	s_delay_alu instid0(SALU_CYCLE_1)
	s_and_not1_b32 vcc_lo, exec_lo, s27
	s_cbranch_vccnz .LBB63_249
; %bb.248:
	s_wait_loadcnt 0x0
	global_load_b32 v6, v[4:5], off
	s_wait_loadcnt 0x0
	v_ashrrev_i32_e32 v7, 31, v6
.LBB63_249:
	s_mov_b32 s27, 0
.LBB63_250:
	s_delay_alu instid0(SALU_CYCLE_1)
	s_and_not1_b32 vcc_lo, exec_lo, s27
	s_cbranch_vccnz .LBB63_252
; %bb.251:
	global_load_u16 v1, v[4:5], off
	s_wait_loadcnt 0x0
	v_bfe_i32 v6, v1, 0, 16
	s_delay_alu instid0(VALU_DEP_1)
	v_ashrrev_i32_e32 v7, 31, v6
.LBB63_252:
	s_mov_b32 s27, 0
.LBB63_253:
	s_delay_alu instid0(SALU_CYCLE_1)
	s_and_not1_b32 vcc_lo, exec_lo, s27
	s_cbranch_vccnz .LBB63_259
; %bb.254:
	s_cmp_gt_i32 s0, 0
	s_mov_b32 s0, 0
	s_cbranch_scc0 .LBB63_256
; %bb.255:
	global_load_i8 v1, v[4:5], off
	s_wait_loadcnt 0x0
	v_bfe_i32 v6, v1, 0, 16
	s_delay_alu instid0(VALU_DEP_1)
	v_ashrrev_i32_e32 v7, 31, v6
	s_branch .LBB63_257
.LBB63_256:
	s_mov_b32 s0, -1
                                        ; implicit-def: $vgpr6_vgpr7
.LBB63_257:
	s_delay_alu instid0(SALU_CYCLE_1)
	s_and_not1_b32 vcc_lo, exec_lo, s0
	s_cbranch_vccnz .LBB63_259
; %bb.258:
	global_load_u8 v1, v[4:5], off
	s_mov_b32 s0, 0
	s_wait_loadcnt 0x1
	v_mov_b32_e32 v7, s0
	s_wait_loadcnt 0x0
	v_and_b32_e32 v6, 0xffff, v1
.LBB63_259:
	s_branch .LBB63_26
.LBB63_260:
	s_mov_b32 s0, 0
.LBB63_261:
	s_mov_b32 s27, 0
                                        ; implicit-def: $vgpr0
.LBB63_262:
	s_and_b32 s42, s0, exec_lo
	s_and_b32 s43, s26, exec_lo
	s_or_not1_b32 s27, s27, exec_lo
.LBB63_263:
	s_wait_xcnt 0x0
	s_or_b32 exec_lo, exec_lo, s44
	s_mov_b32 s26, 0
	s_mov_b32 s0, 0
                                        ; implicit-def: $vgpr4_vgpr5
                                        ; implicit-def: $vgpr2
                                        ; implicit-def: $vgpr6_vgpr7
	s_and_saveexec_b32 s44, s27
	s_cbranch_execz .LBB63_271
; %bb.264:
	s_mov_b32 s0, -1
	s_mov_b32 s45, s43
	s_mov_b32 s46, s42
	s_mov_b32 s47, exec_lo
	v_cmpx_gt_i32_e64 s39, v0
	s_cbranch_execz .LBB63_538
; %bb.265:
	s_and_not1_b32 vcc_lo, exec_lo, s35
	s_cbranch_vccnz .LBB63_274
; %bb.266:
	s_and_not1_b32 vcc_lo, exec_lo, s41
	s_cbranch_vccnz .LBB63_275
; %bb.267:
	s_add_co_i32 s0, s40, 1
	s_cmp_eq_u32 s33, 2
	s_cbranch_scc1 .LBB63_276
; %bb.268:
	v_dual_mov_b32 v2, 0 :: v_dual_mov_b32 v4, 0
	v_mov_b32_e32 v1, v0
	s_and_b32 s26, s0, 28
	s_mov_b32 s27, 0
	s_mov_b64 s[28:29], s[2:3]
	s_mov_b64 s[30:31], s[24:25]
.LBB63_269:                             ; =>This Inner Loop Header: Depth=1
	s_clause 0x1
	s_load_b256 s[48:55], s[28:29], 0x4
	s_load_b128 s[64:67], s[28:29], 0x24
	s_load_b256 s[56:63], s[30:31], 0x0
	s_add_co_i32 s27, s27, 4
	s_wait_xcnt 0x0
	s_add_nc_u64 s[28:29], s[28:29], 48
	s_cmp_eq_u32 s26, s27
	s_add_nc_u64 s[30:31], s[30:31], 32
	s_wait_kmcnt 0x0
	v_mul_hi_u32 v3, s49, v1
	s_delay_alu instid0(VALU_DEP_1) | instskip(NEXT) | instid1(VALU_DEP_1)
	v_add_nc_u32_e32 v3, v1, v3
	v_lshrrev_b32_e32 v3, s50, v3
	s_delay_alu instid0(VALU_DEP_1) | instskip(NEXT) | instid1(VALU_DEP_1)
	v_mul_hi_u32 v5, s52, v3
	v_add_nc_u32_e32 v5, v3, v5
	s_delay_alu instid0(VALU_DEP_1) | instskip(SKIP_1) | instid1(VALU_DEP_1)
	v_lshrrev_b32_e32 v5, s53, v5
	s_wait_loadcnt 0x0
	v_mul_hi_u32 v6, s55, v5
	s_delay_alu instid0(VALU_DEP_1) | instskip(SKIP_1) | instid1(VALU_DEP_1)
	v_add_nc_u32_e32 v6, v5, v6
	v_mul_lo_u32 v7, v3, s48
	v_sub_nc_u32_e32 v1, v1, v7
	v_mul_lo_u32 v7, v5, s51
	s_delay_alu instid0(VALU_DEP_4) | instskip(NEXT) | instid1(VALU_DEP_3)
	v_lshrrev_b32_e32 v6, s64, v6
	v_mad_u32 v4, v1, s57, v4
	v_mad_u32 v1, v1, s56, v2
	s_delay_alu instid0(VALU_DEP_4) | instskip(NEXT) | instid1(VALU_DEP_4)
	v_sub_nc_u32_e32 v2, v3, v7
	v_mul_hi_u32 v8, s66, v6
	v_mul_lo_u32 v3, v6, s54
	s_delay_alu instid0(VALU_DEP_3) | instskip(SKIP_1) | instid1(VALU_DEP_3)
	v_mad_u32 v4, v2, s59, v4
	v_mad_u32 v2, v2, s58, v1
	v_dual_add_nc_u32 v7, v6, v8 :: v_dual_sub_nc_u32 v3, v5, v3
	s_delay_alu instid0(VALU_DEP_1) | instskip(NEXT) | instid1(VALU_DEP_2)
	v_lshrrev_b32_e32 v1, s67, v7
	v_mad_u32 v4, v3, s61, v4
	s_delay_alu instid0(VALU_DEP_4) | instskip(NEXT) | instid1(VALU_DEP_3)
	v_mad_u32 v2, v3, s60, v2
	v_mul_lo_u32 v5, v1, s65
	s_delay_alu instid0(VALU_DEP_1) | instskip(NEXT) | instid1(VALU_DEP_1)
	v_sub_nc_u32_e32 v3, v6, v5
	v_mad_u32 v4, v3, s63, v4
	s_delay_alu instid0(VALU_DEP_4)
	v_mad_u32 v2, v3, s62, v2
	s_cbranch_scc0 .LBB63_269
; %bb.270:
	s_delay_alu instid0(VALU_DEP_2)
	v_mov_b32_e32 v3, v4
	s_branch .LBB63_277
.LBB63_271:
	s_or_b32 exec_lo, exec_lo, s44
	s_mov_b32 s1, 0
	s_and_saveexec_b32 s6, s43
	s_cbranch_execnz .LBB63_912
.LBB63_272:
	s_or_b32 exec_lo, exec_lo, s6
	s_and_saveexec_b32 s6, s21
	s_delay_alu instid0(SALU_CYCLE_1)
	s_xor_b32 s6, exec_lo, s6
	s_cbranch_execz .LBB63_913
.LBB63_273:
	global_load_u8 v0, v[4:5], off
	s_mov_b32 s7, 0
	s_or_b32 s0, s0, exec_lo
	s_wait_loadcnt 0x1
	v_mov_b32_e32 v7, s7
	s_wait_loadcnt 0x0
	v_cmp_ne_u16_e32 vcc_lo, 0, v0
	v_cndmask_b32_e64 v6, 0, 1, vcc_lo
	s_wait_xcnt 0x0
	s_or_b32 exec_lo, exec_lo, s6
	s_and_saveexec_b32 s6, s26
	s_cbranch_execz .LBB63_959
	s_branch .LBB63_914
.LBB63_274:
                                        ; implicit-def: $vgpr4
                                        ; implicit-def: $vgpr2
	s_and_not1_b32 vcc_lo, exec_lo, s0
	s_cbranch_vccnz .LBB63_284
	s_branch .LBB63_282
.LBB63_275:
	v_dual_mov_b32 v4, 0 :: v_dual_mov_b32 v2, 0
	s_branch .LBB63_281
.LBB63_276:
	v_mov_b64_e32 v[2:3], 0
	v_mov_b32_e32 v1, v0
                                        ; implicit-def: $vgpr4
.LBB63_277:
	s_and_b32 s0, s0, 3
	s_mov_b32 s27, 0
	s_cmp_eq_u32 s0, 0
	s_cbranch_scc1 .LBB63_281
; %bb.278:
	s_lshl_b32 s28, s26, 3
	s_mov_b32 s29, s27
	s_mul_u64 s[30:31], s[26:27], 12
	s_add_nc_u64 s[28:29], s[2:3], s[28:29]
	s_delay_alu instid0(SALU_CYCLE_1)
	s_add_nc_u64 s[26:27], s[28:29], 0xc4
	s_add_nc_u64 s[28:29], s[2:3], s[30:31]
.LBB63_279:                             ; =>This Inner Loop Header: Depth=1
	s_load_b96 s[48:50], s[28:29], 0x4
	s_load_b64 s[30:31], s[26:27], 0x0
	s_add_co_i32 s0, s0, -1
	s_wait_xcnt 0x0
	s_add_nc_u64 s[28:29], s[28:29], 12
	s_cmp_lg_u32 s0, 0
	s_add_nc_u64 s[26:27], s[26:27], 8
	s_wait_kmcnt 0x0
	v_mul_hi_u32 v4, s49, v1
	s_delay_alu instid0(VALU_DEP_1) | instskip(NEXT) | instid1(VALU_DEP_1)
	v_add_nc_u32_e32 v4, v1, v4
	v_lshrrev_b32_e32 v4, s50, v4
	s_delay_alu instid0(VALU_DEP_1) | instskip(NEXT) | instid1(VALU_DEP_1)
	v_mul_lo_u32 v5, v4, s48
	v_sub_nc_u32_e32 v1, v1, v5
	s_delay_alu instid0(VALU_DEP_1)
	v_mad_u32 v3, v1, s31, v3
	v_mad_u32 v2, v1, s30, v2
	v_mov_b32_e32 v1, v4
	s_cbranch_scc1 .LBB63_279
; %bb.280:
	s_delay_alu instid0(VALU_DEP_3)
	v_mov_b32_e32 v4, v3
.LBB63_281:
	s_cbranch_execnz .LBB63_284
.LBB63_282:
	v_mov_b32_e32 v1, 0
	s_and_not1_b32 vcc_lo, exec_lo, s38
	s_delay_alu instid0(VALU_DEP_1) | instskip(NEXT) | instid1(VALU_DEP_1)
	v_mul_u64_e32 v[2:3], s[20:21], v[0:1]
	v_add_nc_u32_e32 v2, v0, v3
	s_wait_loadcnt 0x0
	s_delay_alu instid0(VALU_DEP_1) | instskip(NEXT) | instid1(VALU_DEP_1)
	v_lshrrev_b32_e32 v6, s10, v2
	v_mul_lo_u32 v2, v6, s8
	s_delay_alu instid0(VALU_DEP_1) | instskip(NEXT) | instid1(VALU_DEP_1)
	v_sub_nc_u32_e32 v2, v0, v2
	v_mul_lo_u32 v4, v2, s13
	v_mul_lo_u32 v2, v2, s12
	s_cbranch_vccnz .LBB63_284
; %bb.283:
	v_mov_b32_e32 v7, v1
	s_delay_alu instid0(VALU_DEP_1) | instskip(NEXT) | instid1(VALU_DEP_1)
	v_mul_u64_e32 v[8:9], s[22:23], v[6:7]
	v_add_nc_u32_e32 v1, v6, v9
	s_delay_alu instid0(VALU_DEP_1) | instskip(NEXT) | instid1(VALU_DEP_1)
	v_lshrrev_b32_e32 v1, s1, v1
	v_mul_lo_u32 v1, v1, s11
	s_delay_alu instid0(VALU_DEP_1) | instskip(NEXT) | instid1(VALU_DEP_1)
	v_sub_nc_u32_e32 v1, v6, v1
	v_mad_u32 v2, v1, s14, v2
	v_mad_u32 v4, v1, s15, v4
.LBB63_284:
	v_mov_b32_e32 v5, 0
	s_and_b32 s0, 0xffff, s37
	s_delay_alu instid0(SALU_CYCLE_1) | instskip(NEXT) | instid1(VALU_DEP_1)
	s_cmp_lt_i32 s0, 11
	v_add_nc_u64_e32 v[4:5], s[6:7], v[4:5]
	s_cbranch_scc1 .LBB63_291
; %bb.285:
	s_cmp_gt_i32 s0, 25
	s_cbranch_scc0 .LBB63_300
; %bb.286:
	s_cmp_gt_i32 s0, 28
	s_cbranch_scc0 .LBB63_302
	;; [unrolled: 3-line block ×4, first 2 shown]
; %bb.289:
	s_cmp_eq_u32 s0, 46
	s_mov_b32 s28, 0
	s_cbranch_scc0 .LBB63_312
; %bb.290:
	global_load_b32 v1, v[4:5], off
	s_mov_b32 s27, -1
	s_mov_b32 s26, 0
	s_wait_loadcnt 0x0
	v_lshlrev_b32_e32 v1, 16, v1
	s_delay_alu instid0(VALU_DEP_1) | instskip(NEXT) | instid1(VALU_DEP_1)
	v_trunc_f32_e32 v1, v1
	v_mul_f32_e64 v3, 0x2f800000, |v1|
	v_ashrrev_i32_e32 v6, 31, v1
	s_delay_alu instid0(VALU_DEP_2) | instskip(NEXT) | instid1(VALU_DEP_1)
	v_floor_f32_e32 v3, v3
	v_fma_f32 v7, 0xcf800000, v3, |v1|
	v_cvt_u32_f32_e32 v1, v3
	s_delay_alu instid0(VALU_DEP_2) | instskip(NEXT) | instid1(VALU_DEP_2)
	v_cvt_u32_f32_e32 v3, v7
	v_dual_mov_b32 v7, v6 :: v_dual_bitop2_b32 v9, v1, v6 bitop3:0x14
	s_delay_alu instid0(VALU_DEP_2) | instskip(NEXT) | instid1(VALU_DEP_1)
	v_xor_b32_e32 v8, v3, v6
	v_sub_nc_u64_e32 v[6:7], v[8:9], v[6:7]
	s_branch .LBB63_314
.LBB63_291:
	s_mov_b32 s27, 0
	s_mov_b32 s26, s43
                                        ; implicit-def: $vgpr6_vgpr7
	s_cbranch_execnz .LBB63_487
.LBB63_292:
	s_and_not1_b32 vcc_lo, exec_lo, s27
	s_cbranch_vccnz .LBB63_535
.LBB63_293:
	v_mov_b32_e32 v3, 0
	s_wait_loadcnt 0x0
	s_delay_alu instid0(VALU_DEP_2) | instskip(SKIP_1) | instid1(VALU_DEP_2)
	v_cmp_ne_u64_e32 vcc_lo, s[16:17], v[6:7]
	s_and_b32 s28, s18, 0xff
	v_add_nc_u64_e32 v[2:3], s[4:5], v[2:3]
	s_xor_b32 s27, s9, vcc_lo
	s_cmp_lt_i32 s28, 11
	s_cbranch_scc1 .LBB63_301
; %bb.294:
	s_and_b32 s29, 0xffff, s28
	s_delay_alu instid0(SALU_CYCLE_1)
	s_cmp_gt_i32 s29, 25
	s_cbranch_scc0 .LBB63_303
; %bb.295:
	s_cmp_gt_i32 s29, 28
	s_cbranch_scc0 .LBB63_305
; %bb.296:
	;; [unrolled: 3-line block ×4, first 2 shown]
	s_mov_b32 s31, 0
	s_mov_b32 s0, -1
	s_cmp_eq_u32 s29, 46
	s_mov_b32 s30, 0
	s_cbranch_scc0 .LBB63_318
; %bb.299:
	v_cndmask_b32_e64 v1, 0, 1.0, s27
	s_mov_b32 s30, -1
	s_mov_b32 s0, 0
	s_wait_xcnt 0x0
	s_delay_alu instid0(VALU_DEP_1) | instskip(NEXT) | instid1(VALU_DEP_1)
	v_bfe_u32 v4, v1, 16, 1
	v_add3_u32 v1, v1, v4, 0x7fff
	s_delay_alu instid0(VALU_DEP_1)
	v_lshrrev_b32_e32 v1, 16, v1
	global_store_b32 v[2:3], v1, off
	s_branch .LBB63_318
.LBB63_300:
	s_mov_b32 s28, -1
	s_mov_b32 s27, 0
	s_mov_b32 s26, s43
                                        ; implicit-def: $vgpr6_vgpr7
	s_branch .LBB63_453
.LBB63_301:
	s_mov_b32 s29, -1
	s_mov_b32 s30, 0
	s_mov_b32 s0, s42
	s_branch .LBB63_387
.LBB63_302:
	s_mov_b32 s28, -1
	s_mov_b32 s27, 0
	s_mov_b32 s26, s43
                                        ; implicit-def: $vgpr6_vgpr7
	s_branch .LBB63_436
.LBB63_303:
	s_mov_b32 s31, -1
	s_mov_b32 s30, 0
	s_mov_b32 s0, s42
	s_branch .LBB63_345
.LBB63_304:
	s_mov_b32 s28, -1
	s_mov_b32 s27, 0
	s_mov_b32 s26, s43
                                        ; implicit-def: $vgpr6_vgpr7
	s_branch .LBB63_431
.LBB63_305:
	s_mov_b32 s31, -1
	s_mov_b32 s30, 0
	s_mov_b32 s0, s42
	s_branch .LBB63_328
.LBB63_306:
	s_and_not1_saveexec_b32 s42, s42
	s_cbranch_execz .LBB63_69
.LBB63_307:
	v_add_f32_e32 v1, 0x46000000, v4
	s_and_not1_b32 s31, s31, exec_lo
	s_delay_alu instid0(VALU_DEP_1) | instskip(NEXT) | instid1(VALU_DEP_1)
	v_and_b32_e32 v1, 0xff, v1
	v_cmp_ne_u32_e32 vcc_lo, 0, v1
	s_and_b32 s43, vcc_lo, exec_lo
	s_delay_alu instid0(SALU_CYCLE_1)
	s_or_b32 s31, s31, s43
	s_or_b32 exec_lo, exec_lo, s42
	v_mov_b32_e32 v5, 0
	s_and_saveexec_b32 s42, s31
	s_cbranch_execnz .LBB63_70
	s_branch .LBB63_71
.LBB63_308:
	s_mov_b32 s28, -1
	s_mov_b32 s27, 0
	s_mov_b32 s26, s43
	s_branch .LBB63_313
.LBB63_309:
	s_mov_b32 s31, -1
	s_mov_b32 s30, 0
	s_mov_b32 s0, s42
	s_branch .LBB63_324
.LBB63_310:
	s_and_not1_saveexec_b32 s42, s42
	s_cbranch_execz .LBB63_82
.LBB63_311:
	v_add_f32_e32 v1, 0x42800000, v4
	s_and_not1_b32 s31, s31, exec_lo
	s_delay_alu instid0(VALU_DEP_1) | instskip(NEXT) | instid1(VALU_DEP_1)
	v_and_b32_e32 v1, 0xff, v1
	v_cmp_ne_u32_e32 vcc_lo, 0, v1
	s_and_b32 s43, vcc_lo, exec_lo
	s_delay_alu instid0(SALU_CYCLE_1)
	s_or_b32 s31, s31, s43
	s_or_b32 exec_lo, exec_lo, s42
	v_mov_b32_e32 v5, 0
	s_and_saveexec_b32 s42, s31
	s_cbranch_execnz .LBB63_83
	s_branch .LBB63_84
.LBB63_312:
	s_mov_b32 s26, -1
	s_mov_b32 s27, 0
.LBB63_313:
                                        ; implicit-def: $vgpr6_vgpr7
.LBB63_314:
	s_and_b32 vcc_lo, exec_lo, s28
	s_cbranch_vccz .LBB63_430
; %bb.315:
	s_cmp_eq_u32 s0, 44
	s_cbranch_scc0 .LBB63_429
; %bb.316:
	global_load_u8 v1, v[4:5], off
	s_mov_b32 s26, 0
	s_mov_b32 s27, -1
	s_wait_loadcnt 0x0
	v_lshlrev_b32_e32 v3, 23, v1
	v_cmp_ne_u32_e32 vcc_lo, 0, v1
	s_delay_alu instid0(VALU_DEP_2) | instskip(NEXT) | instid1(VALU_DEP_1)
	v_trunc_f32_e32 v3, v3
	v_mul_f32_e64 v6, 0x2f800000, |v3|
	s_delay_alu instid0(VALU_DEP_1) | instskip(SKIP_1) | instid1(VALU_DEP_2)
	v_floor_f32_e32 v7, v6
	v_ashrrev_i32_e32 v6, 31, v3
	v_fma_f32 v8, 0xcf800000, v7, |v3|
	v_cvt_u32_f32_e32 v3, v7
	s_delay_alu instid0(VALU_DEP_3) | instskip(NEXT) | instid1(VALU_DEP_3)
	v_mov_b32_e32 v7, v6
	v_cvt_u32_f32_e32 v8, v8
	s_delay_alu instid0(VALU_DEP_3) | instskip(NEXT) | instid1(VALU_DEP_2)
	v_xor_b32_e32 v9, v3, v6
	v_xor_b32_e32 v8, v8, v6
	s_delay_alu instid0(VALU_DEP_1) | instskip(NEXT) | instid1(VALU_DEP_1)
	v_sub_nc_u64_e32 v[6:7], v[8:9], v[6:7]
	v_dual_cndmask_b32 v7, 0, v7 :: v_dual_cndmask_b32 v6, 0, v6
	s_branch .LBB63_430
.LBB63_317:
	s_mov_b32 s31, -1
	s_mov_b32 s30, 0
	s_mov_b32 s0, s42
.LBB63_318:
	s_and_b32 vcc_lo, exec_lo, s31
	s_cbranch_vccz .LBB63_323
; %bb.319:
	s_cmp_eq_u32 s29, 44
	s_mov_b32 s0, -1
	s_cbranch_scc0 .LBB63_323
; %bb.320:
	s_wait_xcnt 0x0
	v_cndmask_b32_e64 v5, 0, 1.0, s27
	s_mov_b32 s30, exec_lo
	s_delay_alu instid0(VALU_DEP_1) | instskip(NEXT) | instid1(VALU_DEP_1)
	v_dual_mov_b32 v4, 0xff :: v_dual_lshrrev_b32 v1, 23, v5
	v_cmpx_ne_u32_e32 0xff, v1
; %bb.321:
	v_and_b32_e32 v4, 0x400000, v5
	v_and_or_b32 v5, 0x3fffff, v5, v1
	s_delay_alu instid0(VALU_DEP_2) | instskip(NEXT) | instid1(VALU_DEP_2)
	v_cmp_ne_u32_e32 vcc_lo, 0, v4
	v_cmp_ne_u32_e64 s0, 0, v5
	s_and_b32 s0, vcc_lo, s0
	s_delay_alu instid0(SALU_CYCLE_1) | instskip(NEXT) | instid1(VALU_DEP_1)
	v_cndmask_b32_e64 v4, 0, 1, s0
	v_add_nc_u32_e32 v4, v1, v4
; %bb.322:
	s_or_b32 exec_lo, exec_lo, s30
	s_mov_b32 s30, -1
	s_mov_b32 s0, 0
	global_store_b8 v[2:3], v4, off
.LBB63_323:
	s_mov_b32 s31, 0
.LBB63_324:
	s_delay_alu instid0(SALU_CYCLE_1)
	s_and_b32 vcc_lo, exec_lo, s31
	s_cbranch_vccz .LBB63_327
; %bb.325:
	s_cmp_eq_u32 s29, 29
	s_mov_b32 s0, -1
	s_cbranch_scc0 .LBB63_327
; %bb.326:
	s_mov_b32 s0, 0
	s_wait_xcnt 0x0
	v_cndmask_b32_e64 v4, 0, 1, s27
	v_mov_b32_e32 v5, s0
	s_mov_b32 s30, -1
	s_mov_b32 s31, 0
	global_store_b64 v[2:3], v[4:5], off
	s_branch .LBB63_328
.LBB63_327:
	s_mov_b32 s31, 0
.LBB63_328:
	s_delay_alu instid0(SALU_CYCLE_1)
	s_and_b32 vcc_lo, exec_lo, s31
	s_cbranch_vccz .LBB63_344
; %bb.329:
	s_cmp_lt_i32 s29, 27
	s_mov_b32 s30, -1
	s_cbranch_scc1 .LBB63_335
; %bb.330:
	s_cmp_gt_i32 s29, 27
	s_cbranch_scc0 .LBB63_332
; %bb.331:
	s_wait_xcnt 0x0
	v_cndmask_b32_e64 v1, 0, 1, s27
	s_mov_b32 s30, 0
	global_store_b32 v[2:3], v1, off
.LBB63_332:
	s_and_not1_b32 vcc_lo, exec_lo, s30
	s_cbranch_vccnz .LBB63_334
; %bb.333:
	s_wait_xcnt 0x0
	v_cndmask_b32_e64 v1, 0, 1, s27
	global_store_b16 v[2:3], v1, off
.LBB63_334:
	s_mov_b32 s30, 0
.LBB63_335:
	s_delay_alu instid0(SALU_CYCLE_1)
	s_and_not1_b32 vcc_lo, exec_lo, s30
	s_cbranch_vccnz .LBB63_343
; %bb.336:
	s_wait_xcnt 0x0
	v_cndmask_b32_e64 v4, 0, 1.0, s27
	v_mov_b32_e32 v5, 0x80
	s_mov_b32 s30, exec_lo
	s_delay_alu instid0(VALU_DEP_2)
	v_cmpx_gt_u32_e32 0x43800000, v4
	s_cbranch_execz .LBB63_342
; %bb.337:
	s_mov_b32 s31, 0
	s_mov_b32 s45, exec_lo
                                        ; implicit-def: $vgpr1
	v_cmpx_lt_u32_e32 0x3bffffff, v4
	s_xor_b32 s45, exec_lo, s45
	s_cbranch_execz .LBB63_568
; %bb.338:
	v_bfe_u32 v1, v4, 20, 1
	s_mov_b32 s31, exec_lo
	s_delay_alu instid0(VALU_DEP_1) | instskip(NEXT) | instid1(VALU_DEP_1)
	v_add3_u32 v1, v4, v1, 0x487ffff
                                        ; implicit-def: $vgpr4
	v_lshrrev_b32_e32 v1, 20, v1
	s_and_not1_saveexec_b32 s45, s45
	s_cbranch_execnz .LBB63_569
.LBB63_339:
	s_or_b32 exec_lo, exec_lo, s45
	v_mov_b32_e32 v5, 0
	s_and_saveexec_b32 s45, s31
.LBB63_340:
	v_mov_b32_e32 v5, v1
.LBB63_341:
	s_or_b32 exec_lo, exec_lo, s45
.LBB63_342:
	s_delay_alu instid0(SALU_CYCLE_1)
	s_or_b32 exec_lo, exec_lo, s30
	global_store_b8 v[2:3], v5, off
.LBB63_343:
	s_mov_b32 s30, -1
.LBB63_344:
	s_mov_b32 s31, 0
.LBB63_345:
	s_delay_alu instid0(SALU_CYCLE_1)
	s_and_b32 vcc_lo, exec_lo, s31
	s_cbranch_vccz .LBB63_386
; %bb.346:
	s_cmp_gt_i32 s29, 22
	s_mov_b32 s31, -1
	s_cbranch_scc0 .LBB63_378
; %bb.347:
	s_cmp_lt_i32 s29, 24
	s_mov_b32 s30, -1
	s_cbranch_scc1 .LBB63_367
; %bb.348:
	s_cmp_gt_i32 s29, 24
	s_cbranch_scc0 .LBB63_356
; %bb.349:
	s_wait_xcnt 0x0
	v_cndmask_b32_e64 v4, 0, 1.0, s27
	v_mov_b32_e32 v5, 0x80
	s_mov_b32 s30, exec_lo
	s_delay_alu instid0(VALU_DEP_2)
	v_cmpx_gt_u32_e32 0x47800000, v4
	s_cbranch_execz .LBB63_355
; %bb.350:
	s_mov_b32 s31, 0
	s_mov_b32 s45, exec_lo
                                        ; implicit-def: $vgpr1
	v_cmpx_lt_u32_e32 0x37ffffff, v4
	s_xor_b32 s45, exec_lo, s45
	s_cbranch_execz .LBB63_571
; %bb.351:
	v_bfe_u32 v1, v4, 21, 1
	s_mov_b32 s31, exec_lo
	s_delay_alu instid0(VALU_DEP_1) | instskip(NEXT) | instid1(VALU_DEP_1)
	v_add3_u32 v1, v4, v1, 0x88fffff
                                        ; implicit-def: $vgpr4
	v_lshrrev_b32_e32 v1, 21, v1
	s_and_not1_saveexec_b32 s45, s45
	s_cbranch_execnz .LBB63_572
.LBB63_352:
	s_or_b32 exec_lo, exec_lo, s45
	v_mov_b32_e32 v5, 0
	s_and_saveexec_b32 s45, s31
.LBB63_353:
	v_mov_b32_e32 v5, v1
.LBB63_354:
	s_or_b32 exec_lo, exec_lo, s45
.LBB63_355:
	s_delay_alu instid0(SALU_CYCLE_1)
	s_or_b32 exec_lo, exec_lo, s30
	s_mov_b32 s30, 0
	global_store_b8 v[2:3], v5, off
.LBB63_356:
	s_and_b32 vcc_lo, exec_lo, s30
	s_cbranch_vccz .LBB63_366
; %bb.357:
	s_wait_xcnt 0x0
	v_cndmask_b32_e64 v4, 0, 1.0, s27
	s_mov_b32 s30, exec_lo
                                        ; implicit-def: $vgpr1
	s_delay_alu instid0(VALU_DEP_1)
	v_cmpx_gt_u32_e32 0x43f00000, v4
	s_xor_b32 s30, exec_lo, s30
	s_cbranch_execz .LBB63_363
; %bb.358:
	s_mov_b32 s31, exec_lo
                                        ; implicit-def: $vgpr1
	v_cmpx_lt_u32_e32 0x3c7fffff, v4
	s_xor_b32 s31, exec_lo, s31
; %bb.359:
	v_bfe_u32 v1, v4, 20, 1
	s_delay_alu instid0(VALU_DEP_1) | instskip(NEXT) | instid1(VALU_DEP_1)
	v_add3_u32 v1, v4, v1, 0x407ffff
	v_and_b32_e32 v4, 0xff00000, v1
	v_lshrrev_b32_e32 v1, 20, v1
	s_delay_alu instid0(VALU_DEP_2) | instskip(NEXT) | instid1(VALU_DEP_2)
	v_cmp_ne_u32_e32 vcc_lo, 0x7f00000, v4
                                        ; implicit-def: $vgpr4
	v_cndmask_b32_e32 v1, 0x7e, v1, vcc_lo
; %bb.360:
	s_and_not1_saveexec_b32 s31, s31
; %bb.361:
	v_add_f32_e32 v1, 0x46800000, v4
; %bb.362:
	s_or_b32 exec_lo, exec_lo, s31
                                        ; implicit-def: $vgpr4
.LBB63_363:
	s_and_not1_saveexec_b32 s30, s30
; %bb.364:
	v_mov_b32_e32 v1, 0x7f
	v_cmp_lt_u32_e32 vcc_lo, 0x7f800000, v4
	s_delay_alu instid0(VALU_DEP_2)
	v_cndmask_b32_e32 v1, 0x7e, v1, vcc_lo
; %bb.365:
	s_or_b32 exec_lo, exec_lo, s30
	global_store_b8 v[2:3], v1, off
.LBB63_366:
	s_mov_b32 s30, 0
.LBB63_367:
	s_delay_alu instid0(SALU_CYCLE_1)
	s_and_not1_b32 vcc_lo, exec_lo, s30
	s_cbranch_vccnz .LBB63_377
; %bb.368:
	s_wait_xcnt 0x0
	v_cndmask_b32_e64 v4, 0, 1.0, s27
	s_mov_b32 s30, exec_lo
                                        ; implicit-def: $vgpr1
	s_delay_alu instid0(VALU_DEP_1)
	v_cmpx_gt_u32_e32 0x47800000, v4
	s_xor_b32 s30, exec_lo, s30
	s_cbranch_execz .LBB63_374
; %bb.369:
	s_mov_b32 s31, exec_lo
                                        ; implicit-def: $vgpr1
	v_cmpx_lt_u32_e32 0x387fffff, v4
	s_xor_b32 s31, exec_lo, s31
; %bb.370:
	v_bfe_u32 v1, v4, 21, 1
	s_delay_alu instid0(VALU_DEP_1) | instskip(NEXT) | instid1(VALU_DEP_1)
	v_add3_u32 v1, v4, v1, 0x80fffff
                                        ; implicit-def: $vgpr4
	v_lshrrev_b32_e32 v1, 21, v1
; %bb.371:
	s_and_not1_saveexec_b32 s31, s31
; %bb.372:
	v_add_f32_e32 v1, 0x43000000, v4
; %bb.373:
	s_or_b32 exec_lo, exec_lo, s31
                                        ; implicit-def: $vgpr4
.LBB63_374:
	s_and_not1_saveexec_b32 s30, s30
; %bb.375:
	v_mov_b32_e32 v1, 0x7f
	v_cmp_lt_u32_e32 vcc_lo, 0x7f800000, v4
	s_delay_alu instid0(VALU_DEP_2)
	v_cndmask_b32_e32 v1, 0x7c, v1, vcc_lo
; %bb.376:
	s_or_b32 exec_lo, exec_lo, s30
	global_store_b8 v[2:3], v1, off
.LBB63_377:
	s_mov_b32 s31, 0
	s_mov_b32 s30, -1
.LBB63_378:
	s_and_not1_b32 vcc_lo, exec_lo, s31
	s_cbranch_vccnz .LBB63_386
; %bb.379:
	s_cmp_gt_i32 s29, 14
	s_mov_b32 s31, -1
	s_cbranch_scc0 .LBB63_383
; %bb.380:
	s_cmp_eq_u32 s29, 15
	s_mov_b32 s0, -1
	s_cbranch_scc0 .LBB63_382
; %bb.381:
	s_wait_xcnt 0x0
	v_cndmask_b32_e64 v1, 0, 1.0, s27
	s_mov_b32 s30, -1
	s_mov_b32 s0, 0
	s_delay_alu instid0(VALU_DEP_1) | instskip(NEXT) | instid1(VALU_DEP_1)
	v_bfe_u32 v4, v1, 16, 1
	v_add3_u32 v1, v1, v4, 0x7fff
	global_store_d16_hi_b16 v[2:3], v1, off
.LBB63_382:
	s_mov_b32 s31, 0
.LBB63_383:
	s_delay_alu instid0(SALU_CYCLE_1)
	s_and_b32 vcc_lo, exec_lo, s31
	s_cbranch_vccz .LBB63_386
; %bb.384:
	s_cmp_eq_u32 s29, 11
	s_mov_b32 s0, -1
	s_cbranch_scc0 .LBB63_386
; %bb.385:
	s_wait_xcnt 0x0
	v_cndmask_b32_e64 v1, 0, 1, s27
	s_mov_b32 s30, -1
	s_mov_b32 s0, 0
	global_store_b8 v[2:3], v1, off
.LBB63_386:
	s_mov_b32 s29, 0
.LBB63_387:
	s_delay_alu instid0(SALU_CYCLE_1)
	s_and_b32 vcc_lo, exec_lo, s29
	s_cbranch_vccz .LBB63_426
; %bb.388:
	s_and_b32 s28, 0xffff, s28
	s_mov_b32 s29, -1
	s_cmp_lt_i32 s28, 5
	s_cbranch_scc1 .LBB63_409
; %bb.389:
	s_cmp_lt_i32 s28, 8
	s_cbranch_scc1 .LBB63_399
; %bb.390:
	;; [unrolled: 3-line block ×3, first 2 shown]
	s_cmp_gt_i32 s28, 9
	s_cbranch_scc0 .LBB63_393
; %bb.392:
	s_wait_xcnt 0x0
	v_cndmask_b32_e64 v1, 0, 1, s27
	v_mov_b32_e32 v6, 0
	s_mov_b32 s29, 0
	s_delay_alu instid0(VALU_DEP_2) | instskip(NEXT) | instid1(VALU_DEP_2)
	v_cvt_f64_u32_e32 v[4:5], v1
	v_mov_b32_e32 v7, v6
	global_store_b128 v[2:3], v[4:7], off
.LBB63_393:
	s_and_not1_b32 vcc_lo, exec_lo, s29
	s_cbranch_vccnz .LBB63_395
; %bb.394:
	s_wait_xcnt 0x0
	v_cndmask_b32_e64 v4, 0, 1.0, s27
	v_mov_b32_e32 v5, 0
	global_store_b64 v[2:3], v[4:5], off
.LBB63_395:
	s_mov_b32 s29, 0
.LBB63_396:
	s_delay_alu instid0(SALU_CYCLE_1)
	s_and_not1_b32 vcc_lo, exec_lo, s29
	s_cbranch_vccnz .LBB63_398
; %bb.397:
	s_wait_xcnt 0x0
	v_cndmask_b32_e64 v1, 0, 1.0, s27
	s_delay_alu instid0(VALU_DEP_1) | instskip(NEXT) | instid1(VALU_DEP_1)
	v_cvt_f16_f32_e32 v1, v1
	v_and_b32_e32 v1, 0xffff, v1
	global_store_b32 v[2:3], v1, off
.LBB63_398:
	s_mov_b32 s29, 0
.LBB63_399:
	s_delay_alu instid0(SALU_CYCLE_1)
	s_and_not1_b32 vcc_lo, exec_lo, s29
	s_cbranch_vccnz .LBB63_408
; %bb.400:
	s_cmp_lt_i32 s28, 6
	s_mov_b32 s29, -1
	s_cbranch_scc1 .LBB63_406
; %bb.401:
	s_cmp_gt_i32 s28, 6
	s_cbranch_scc0 .LBB63_403
; %bb.402:
	s_wait_xcnt 0x0
	v_cndmask_b32_e64 v1, 0, 1, s27
	s_mov_b32 s29, 0
	s_delay_alu instid0(VALU_DEP_1)
	v_cvt_f64_u32_e32 v[4:5], v1
	global_store_b64 v[2:3], v[4:5], off
.LBB63_403:
	s_and_not1_b32 vcc_lo, exec_lo, s29
	s_cbranch_vccnz .LBB63_405
; %bb.404:
	s_wait_xcnt 0x0
	v_cndmask_b32_e64 v1, 0, 1.0, s27
	global_store_b32 v[2:3], v1, off
.LBB63_405:
	s_mov_b32 s29, 0
.LBB63_406:
	s_delay_alu instid0(SALU_CYCLE_1)
	s_and_not1_b32 vcc_lo, exec_lo, s29
	s_cbranch_vccnz .LBB63_408
; %bb.407:
	s_wait_xcnt 0x0
	v_cndmask_b32_e64 v1, 0, 1.0, s27
	s_delay_alu instid0(VALU_DEP_1)
	v_cvt_f16_f32_e32 v1, v1
	global_store_b16 v[2:3], v1, off
.LBB63_408:
	s_mov_b32 s29, 0
.LBB63_409:
	s_delay_alu instid0(SALU_CYCLE_1)
	s_and_not1_b32 vcc_lo, exec_lo, s29
	s_cbranch_vccnz .LBB63_425
; %bb.410:
	s_cmp_lt_i32 s28, 2
	s_mov_b32 s29, -1
	s_cbranch_scc1 .LBB63_420
; %bb.411:
	s_cmp_lt_i32 s28, 3
	s_cbranch_scc1 .LBB63_417
; %bb.412:
	s_cmp_gt_i32 s28, 3
	s_cbranch_scc0 .LBB63_414
; %bb.413:
	s_mov_b32 s29, 0
	s_wait_xcnt 0x0
	v_cndmask_b32_e64 v4, 0, 1, s27
	v_mov_b32_e32 v5, s29
	global_store_b64 v[2:3], v[4:5], off
.LBB63_414:
	s_and_not1_b32 vcc_lo, exec_lo, s29
	s_cbranch_vccnz .LBB63_416
; %bb.415:
	s_wait_xcnt 0x0
	v_cndmask_b32_e64 v1, 0, 1, s27
	global_store_b32 v[2:3], v1, off
.LBB63_416:
	s_mov_b32 s29, 0
.LBB63_417:
	s_delay_alu instid0(SALU_CYCLE_1)
	s_and_not1_b32 vcc_lo, exec_lo, s29
	s_cbranch_vccnz .LBB63_419
; %bb.418:
	s_wait_xcnt 0x0
	v_cndmask_b32_e64 v1, 0, 1, s27
	global_store_b16 v[2:3], v1, off
.LBB63_419:
	s_mov_b32 s29, 0
.LBB63_420:
	s_delay_alu instid0(SALU_CYCLE_1)
	s_and_not1_b32 vcc_lo, exec_lo, s29
	s_cbranch_vccnz .LBB63_425
; %bb.421:
	s_wait_xcnt 0x0
	v_cndmask_b32_e64 v1, 0, 1, s27
	s_cmp_gt_i32 s28, 0
	s_mov_b32 s27, -1
	s_cbranch_scc0 .LBB63_423
; %bb.422:
	s_mov_b32 s27, 0
	global_store_b8 v[2:3], v1, off
.LBB63_423:
	s_and_not1_b32 vcc_lo, exec_lo, s27
	s_cbranch_vccnz .LBB63_425
; %bb.424:
	global_store_b8 v[2:3], v1, off
.LBB63_425:
	s_mov_b32 s30, -1
.LBB63_426:
	s_delay_alu instid0(SALU_CYCLE_1)
	s_and_not1_b32 vcc_lo, exec_lo, s30
	s_cbranch_vccnz .LBB63_428
; %bb.427:
	v_add_nc_u32_e32 v0, 0x80, v0
	s_mov_b32 s27, -1
	s_branch .LBB63_537
.LBB63_428:
	s_mov_b32 s27, 0
	s_branch .LBB63_536
.LBB63_429:
	s_mov_b32 s26, -1
                                        ; implicit-def: $vgpr6_vgpr7
.LBB63_430:
	s_mov_b32 s28, 0
.LBB63_431:
	s_delay_alu instid0(SALU_CYCLE_1)
	s_and_b32 vcc_lo, exec_lo, s28
	s_cbranch_vccz .LBB63_435
; %bb.432:
	s_cmp_eq_u32 s0, 29
	s_cbranch_scc0 .LBB63_434
; %bb.433:
	s_wait_loadcnt 0x0
	global_load_b64 v[6:7], v[4:5], off
	s_mov_b32 s27, -1
	s_mov_b32 s26, 0
	s_branch .LBB63_435
.LBB63_434:
	s_mov_b32 s26, -1
                                        ; implicit-def: $vgpr6_vgpr7
.LBB63_435:
	s_mov_b32 s28, 0
.LBB63_436:
	s_delay_alu instid0(SALU_CYCLE_1)
	s_and_b32 vcc_lo, exec_lo, s28
	s_cbranch_vccz .LBB63_452
; %bb.437:
	s_cmp_lt_i32 s0, 27
	s_cbranch_scc1 .LBB63_440
; %bb.438:
	s_cmp_gt_i32 s0, 27
	s_cbranch_scc0 .LBB63_441
; %bb.439:
	s_wait_loadcnt 0x0
	global_load_b32 v6, v[4:5], off
	v_mov_b32_e32 v7, 0
	s_mov_b32 s27, 0
	s_branch .LBB63_442
.LBB63_440:
	s_mov_b32 s27, -1
                                        ; implicit-def: $vgpr6_vgpr7
	s_branch .LBB63_445
.LBB63_441:
	s_mov_b32 s27, -1
                                        ; implicit-def: $vgpr6_vgpr7
.LBB63_442:
	s_delay_alu instid0(SALU_CYCLE_1)
	s_and_not1_b32 vcc_lo, exec_lo, s27
	s_cbranch_vccnz .LBB63_444
; %bb.443:
	global_load_u16 v1, v[4:5], off
	s_mov_b32 s27, 0
	s_wait_loadcnt 0x1
	v_mov_b32_e32 v7, s27
	s_wait_loadcnt 0x0
	v_and_b32_e32 v6, 0xffff, v1
.LBB63_444:
	s_mov_b32 s27, 0
.LBB63_445:
	s_delay_alu instid0(SALU_CYCLE_1)
	s_and_not1_b32 vcc_lo, exec_lo, s27
	s_cbranch_vccnz .LBB63_451
; %bb.446:
	global_load_u8 v1, v[4:5], off
	s_mov_b32 s28, 0
	s_mov_b32 s27, exec_lo
	s_wait_loadcnt 0x0
	v_cmpx_lt_i16_e32 0x7f, v1
	s_xor_b32 s27, exec_lo, s27
	s_cbranch_execz .LBB63_463
; %bb.447:
	v_cmp_ne_u16_e32 vcc_lo, 0x80, v1
	s_and_b32 s28, vcc_lo, exec_lo
	s_and_not1_saveexec_b32 s27, s27
	s_cbranch_execnz .LBB63_464
.LBB63_448:
	s_or_b32 exec_lo, exec_lo, s27
	v_mov_b64_e32 v[6:7], 0
	s_and_saveexec_b32 s27, s28
	s_cbranch_execz .LBB63_450
.LBB63_449:
	v_and_b32_e32 v3, 0xffff, v1
	s_delay_alu instid0(VALU_DEP_1) | instskip(SKIP_1) | instid1(VALU_DEP_2)
	v_dual_lshlrev_b32 v1, 24, v1 :: v_dual_bitop2_b32 v6, 7, v3 bitop3:0x40
	v_bfe_u32 v9, v3, 3, 4
	v_and_b32_e32 v1, 0x80000000, v1
	s_delay_alu instid0(VALU_DEP_3) | instskip(NEXT) | instid1(VALU_DEP_3)
	v_clz_i32_u32_e32 v7, v6
	v_cmp_eq_u32_e32 vcc_lo, 0, v9
	s_delay_alu instid0(VALU_DEP_2) | instskip(NEXT) | instid1(VALU_DEP_1)
	v_min_u32_e32 v7, 32, v7
	v_subrev_nc_u32_e32 v8, 28, v7
	v_sub_nc_u32_e32 v7, 29, v7
	s_delay_alu instid0(VALU_DEP_2) | instskip(NEXT) | instid1(VALU_DEP_2)
	v_lshlrev_b32_e32 v3, v8, v3
	v_cndmask_b32_e32 v7, v9, v7, vcc_lo
	s_delay_alu instid0(VALU_DEP_2) | instskip(NEXT) | instid1(VALU_DEP_1)
	v_and_b32_e32 v3, 7, v3
	v_cndmask_b32_e32 v3, v6, v3, vcc_lo
	s_delay_alu instid0(VALU_DEP_3) | instskip(NEXT) | instid1(VALU_DEP_2)
	v_lshl_add_u32 v6, v7, 23, 0x3b800000
	v_lshlrev_b32_e32 v3, 20, v3
	s_delay_alu instid0(VALU_DEP_1) | instskip(NEXT) | instid1(VALU_DEP_1)
	v_or3_b32 v1, v1, v6, v3
	v_trunc_f32_e32 v1, v1
	s_delay_alu instid0(VALU_DEP_1) | instskip(SKIP_1) | instid1(VALU_DEP_2)
	v_mul_f32_e64 v3, 0x2f800000, |v1|
	v_ashrrev_i32_e32 v6, 31, v1
	v_floor_f32_e32 v3, v3
	s_delay_alu instid0(VALU_DEP_1) | instskip(SKIP_1) | instid1(VALU_DEP_2)
	v_fma_f32 v7, 0xcf800000, v3, |v1|
	v_cvt_u32_f32_e32 v1, v3
	v_cvt_u32_f32_e32 v3, v7
	s_delay_alu instid0(VALU_DEP_2) | instskip(NEXT) | instid1(VALU_DEP_2)
	v_dual_mov_b32 v7, v6 :: v_dual_bitop2_b32 v9, v1, v6 bitop3:0x14
	v_xor_b32_e32 v8, v3, v6
	s_delay_alu instid0(VALU_DEP_1)
	v_sub_nc_u64_e32 v[6:7], v[8:9], v[6:7]
.LBB63_450:
	s_or_b32 exec_lo, exec_lo, s27
.LBB63_451:
	s_mov_b32 s27, -1
.LBB63_452:
	s_mov_b32 s28, 0
.LBB63_453:
	s_delay_alu instid0(SALU_CYCLE_1)
	s_and_b32 vcc_lo, exec_lo, s28
	s_cbranch_vccz .LBB63_486
; %bb.454:
	s_cmp_gt_i32 s0, 22
	s_cbranch_scc0 .LBB63_462
; %bb.455:
	s_cmp_lt_i32 s0, 24
	s_cbranch_scc1 .LBB63_465
; %bb.456:
	s_cmp_gt_i32 s0, 24
	s_cbranch_scc0 .LBB63_466
; %bb.457:
	global_load_u8 v1, v[4:5], off
	s_mov_b32 s28, 0
	s_mov_b32 s27, exec_lo
	s_wait_loadcnt 0x0
	v_cmpx_lt_i16_e32 0x7f, v1
	s_xor_b32 s27, exec_lo, s27
	s_cbranch_execz .LBB63_478
; %bb.458:
	v_cmp_ne_u16_e32 vcc_lo, 0x80, v1
	s_and_b32 s28, vcc_lo, exec_lo
	s_and_not1_saveexec_b32 s27, s27
	s_cbranch_execnz .LBB63_479
.LBB63_459:
	s_or_b32 exec_lo, exec_lo, s27
	v_mov_b64_e32 v[6:7], 0
	s_and_saveexec_b32 s27, s28
	s_cbranch_execz .LBB63_461
.LBB63_460:
	v_and_b32_e32 v3, 0xffff, v1
	s_delay_alu instid0(VALU_DEP_1) | instskip(SKIP_1) | instid1(VALU_DEP_2)
	v_dual_lshlrev_b32 v1, 24, v1 :: v_dual_bitop2_b32 v6, 3, v3 bitop3:0x40
	v_bfe_u32 v9, v3, 2, 5
	v_and_b32_e32 v1, 0x80000000, v1
	s_delay_alu instid0(VALU_DEP_3) | instskip(NEXT) | instid1(VALU_DEP_3)
	v_clz_i32_u32_e32 v7, v6
	v_cmp_eq_u32_e32 vcc_lo, 0, v9
	s_delay_alu instid0(VALU_DEP_2) | instskip(NEXT) | instid1(VALU_DEP_1)
	v_min_u32_e32 v7, 32, v7
	v_subrev_nc_u32_e32 v8, 29, v7
	v_sub_nc_u32_e32 v7, 30, v7
	s_delay_alu instid0(VALU_DEP_2) | instskip(NEXT) | instid1(VALU_DEP_2)
	v_lshlrev_b32_e32 v3, v8, v3
	v_cndmask_b32_e32 v7, v9, v7, vcc_lo
	s_delay_alu instid0(VALU_DEP_2) | instskip(NEXT) | instid1(VALU_DEP_1)
	v_and_b32_e32 v3, 3, v3
	v_cndmask_b32_e32 v3, v6, v3, vcc_lo
	s_delay_alu instid0(VALU_DEP_3) | instskip(NEXT) | instid1(VALU_DEP_2)
	v_lshl_add_u32 v6, v7, 23, 0x37800000
	v_lshlrev_b32_e32 v3, 21, v3
	s_delay_alu instid0(VALU_DEP_1) | instskip(NEXT) | instid1(VALU_DEP_1)
	v_or3_b32 v1, v1, v6, v3
	v_trunc_f32_e32 v1, v1
	s_delay_alu instid0(VALU_DEP_1) | instskip(SKIP_1) | instid1(VALU_DEP_2)
	v_mul_f32_e64 v3, 0x2f800000, |v1|
	v_ashrrev_i32_e32 v6, 31, v1
	v_floor_f32_e32 v3, v3
	s_delay_alu instid0(VALU_DEP_1) | instskip(SKIP_1) | instid1(VALU_DEP_2)
	v_fma_f32 v7, 0xcf800000, v3, |v1|
	v_cvt_u32_f32_e32 v1, v3
	v_cvt_u32_f32_e32 v3, v7
	s_delay_alu instid0(VALU_DEP_2) | instskip(NEXT) | instid1(VALU_DEP_2)
	v_dual_mov_b32 v7, v6 :: v_dual_bitop2_b32 v9, v1, v6 bitop3:0x14
	v_xor_b32_e32 v8, v3, v6
	s_delay_alu instid0(VALU_DEP_1)
	v_sub_nc_u64_e32 v[6:7], v[8:9], v[6:7]
.LBB63_461:
	s_or_b32 exec_lo, exec_lo, s27
	s_mov_b32 s27, 0
	s_branch .LBB63_467
.LBB63_462:
	s_mov_b32 s28, -1
                                        ; implicit-def: $vgpr6_vgpr7
	s_branch .LBB63_473
.LBB63_463:
	s_and_not1_saveexec_b32 s27, s27
	s_cbranch_execz .LBB63_448
.LBB63_464:
	v_cmp_ne_u16_e32 vcc_lo, 0, v1
	s_and_not1_b32 s28, s28, exec_lo
	s_and_b32 s29, vcc_lo, exec_lo
	s_delay_alu instid0(SALU_CYCLE_1)
	s_or_b32 s28, s28, s29
	s_or_b32 exec_lo, exec_lo, s27
	v_mov_b64_e32 v[6:7], 0
	s_and_saveexec_b32 s27, s28
	s_cbranch_execnz .LBB63_449
	s_branch .LBB63_450
.LBB63_465:
	s_mov_b32 s27, -1
                                        ; implicit-def: $vgpr6_vgpr7
	s_branch .LBB63_470
.LBB63_466:
	s_mov_b32 s27, -1
                                        ; implicit-def: $vgpr6_vgpr7
.LBB63_467:
	s_delay_alu instid0(SALU_CYCLE_1)
	s_and_b32 vcc_lo, exec_lo, s27
	s_cbranch_vccz .LBB63_469
; %bb.468:
	global_load_u8 v1, v[4:5], off
	s_wait_loadcnt 0x0
	v_lshlrev_b32_e32 v1, 24, v1
	s_delay_alu instid0(VALU_DEP_1) | instskip(NEXT) | instid1(VALU_DEP_1)
	v_and_b32_e32 v3, 0x7f000000, v1
	v_clz_i32_u32_e32 v6, v3
	v_cmp_ne_u32_e32 vcc_lo, 0, v3
	v_add_nc_u32_e32 v8, 0x1000000, v3
	s_delay_alu instid0(VALU_DEP_3) | instskip(NEXT) | instid1(VALU_DEP_1)
	v_min_u32_e32 v6, 32, v6
	v_sub_nc_u32_e64 v6, v6, 4 clamp
	s_delay_alu instid0(VALU_DEP_1) | instskip(NEXT) | instid1(VALU_DEP_1)
	v_dual_lshlrev_b32 v7, v6, v3 :: v_dual_lshlrev_b32 v6, 23, v6
	v_lshrrev_b32_e32 v7, 4, v7
	s_delay_alu instid0(VALU_DEP_1) | instskip(NEXT) | instid1(VALU_DEP_1)
	v_dual_sub_nc_u32 v6, v7, v6 :: v_dual_ashrrev_i32 v7, 8, v8
	v_add_nc_u32_e32 v6, 0x3c000000, v6
	s_delay_alu instid0(VALU_DEP_1) | instskip(NEXT) | instid1(VALU_DEP_1)
	v_and_or_b32 v6, 0x7f800000, v7, v6
	v_cndmask_b32_e32 v3, 0, v6, vcc_lo
	s_delay_alu instid0(VALU_DEP_1) | instskip(NEXT) | instid1(VALU_DEP_1)
	v_and_or_b32 v1, 0x80000000, v1, v3
	v_trunc_f32_e32 v1, v1
	s_delay_alu instid0(VALU_DEP_1) | instskip(SKIP_1) | instid1(VALU_DEP_2)
	v_mul_f32_e64 v3, 0x2f800000, |v1|
	v_ashrrev_i32_e32 v6, 31, v1
	v_floor_f32_e32 v3, v3
	s_delay_alu instid0(VALU_DEP_1) | instskip(SKIP_1) | instid1(VALU_DEP_2)
	v_fma_f32 v7, 0xcf800000, v3, |v1|
	v_cvt_u32_f32_e32 v1, v3
	v_cvt_u32_f32_e32 v3, v7
	s_delay_alu instid0(VALU_DEP_2) | instskip(NEXT) | instid1(VALU_DEP_2)
	v_dual_mov_b32 v7, v6 :: v_dual_bitop2_b32 v9, v1, v6 bitop3:0x14
	v_xor_b32_e32 v8, v3, v6
	s_delay_alu instid0(VALU_DEP_1)
	v_sub_nc_u64_e32 v[6:7], v[8:9], v[6:7]
.LBB63_469:
	s_mov_b32 s27, 0
.LBB63_470:
	s_delay_alu instid0(SALU_CYCLE_1)
	s_and_not1_b32 vcc_lo, exec_lo, s27
	s_cbranch_vccnz .LBB63_472
; %bb.471:
	global_load_u8 v1, v[4:5], off
	s_wait_loadcnt 0x0
	v_lshlrev_b32_e32 v3, 25, v1
	v_lshlrev_b16 v1, 8, v1
	s_delay_alu instid0(VALU_DEP_1) | instskip(SKIP_1) | instid1(VALU_DEP_2)
	v_and_or_b32 v7, 0x7f00, v1, 0.5
	v_bfe_i32 v1, v1, 0, 16
	v_add_f32_e32 v7, -0.5, v7
	v_lshrrev_b32_e32 v6, 4, v3
	v_cmp_gt_u32_e32 vcc_lo, 0x8000000, v3
	s_delay_alu instid0(VALU_DEP_2) | instskip(NEXT) | instid1(VALU_DEP_1)
	v_or_b32_e32 v6, 0x70000000, v6
	v_mul_f32_e32 v6, 0x7800000, v6
	s_delay_alu instid0(VALU_DEP_1) | instskip(NEXT) | instid1(VALU_DEP_1)
	v_cndmask_b32_e32 v3, v6, v7, vcc_lo
	v_and_or_b32 v1, 0x80000000, v1, v3
	s_delay_alu instid0(VALU_DEP_1) | instskip(NEXT) | instid1(VALU_DEP_1)
	v_trunc_f32_e32 v1, v1
	v_mul_f32_e64 v3, 0x2f800000, |v1|
	v_ashrrev_i32_e32 v6, 31, v1
	s_delay_alu instid0(VALU_DEP_2) | instskip(NEXT) | instid1(VALU_DEP_1)
	v_floor_f32_e32 v3, v3
	v_fma_f32 v7, 0xcf800000, v3, |v1|
	v_cvt_u32_f32_e32 v1, v3
	s_delay_alu instid0(VALU_DEP_2) | instskip(NEXT) | instid1(VALU_DEP_2)
	v_cvt_u32_f32_e32 v3, v7
	v_dual_mov_b32 v7, v6 :: v_dual_bitop2_b32 v9, v1, v6 bitop3:0x14
	s_delay_alu instid0(VALU_DEP_2) | instskip(NEXT) | instid1(VALU_DEP_1)
	v_xor_b32_e32 v8, v3, v6
	v_sub_nc_u64_e32 v[6:7], v[8:9], v[6:7]
.LBB63_472:
	s_mov_b32 s28, 0
	s_mov_b32 s27, -1
.LBB63_473:
	s_and_not1_b32 vcc_lo, exec_lo, s28
	s_cbranch_vccnz .LBB63_486
; %bb.474:
	s_cmp_gt_i32 s0, 14
	s_cbranch_scc0 .LBB63_477
; %bb.475:
	s_cmp_eq_u32 s0, 15
	s_cbranch_scc0 .LBB63_480
; %bb.476:
	global_load_u16 v1, v[4:5], off
	s_mov_b32 s27, -1
	s_mov_b32 s26, 0
	s_wait_loadcnt 0x0
	v_lshlrev_b32_e32 v1, 16, v1
	s_delay_alu instid0(VALU_DEP_1) | instskip(NEXT) | instid1(VALU_DEP_1)
	v_trunc_f32_e32 v1, v1
	v_mul_f32_e64 v3, 0x2f800000, |v1|
	v_ashrrev_i32_e32 v6, 31, v1
	s_delay_alu instid0(VALU_DEP_2) | instskip(NEXT) | instid1(VALU_DEP_1)
	v_floor_f32_e32 v3, v3
	v_fma_f32 v7, 0xcf800000, v3, |v1|
	v_cvt_u32_f32_e32 v1, v3
	s_delay_alu instid0(VALU_DEP_2) | instskip(NEXT) | instid1(VALU_DEP_2)
	v_cvt_u32_f32_e32 v3, v7
	v_dual_mov_b32 v7, v6 :: v_dual_bitop2_b32 v9, v1, v6 bitop3:0x14
	s_delay_alu instid0(VALU_DEP_2) | instskip(NEXT) | instid1(VALU_DEP_1)
	v_xor_b32_e32 v8, v3, v6
	v_sub_nc_u64_e32 v[6:7], v[8:9], v[6:7]
	s_branch .LBB63_481
.LBB63_477:
	s_mov_b32 s28, -1
                                        ; implicit-def: $vgpr6_vgpr7
	s_branch .LBB63_482
.LBB63_478:
	s_and_not1_saveexec_b32 s27, s27
	s_cbranch_execz .LBB63_459
.LBB63_479:
	v_cmp_ne_u16_e32 vcc_lo, 0, v1
	s_and_not1_b32 s28, s28, exec_lo
	s_and_b32 s29, vcc_lo, exec_lo
	s_delay_alu instid0(SALU_CYCLE_1)
	s_or_b32 s28, s28, s29
	s_or_b32 exec_lo, exec_lo, s27
	v_mov_b64_e32 v[6:7], 0
	s_and_saveexec_b32 s27, s28
	s_cbranch_execnz .LBB63_460
	s_branch .LBB63_461
.LBB63_480:
	s_mov_b32 s26, -1
                                        ; implicit-def: $vgpr6_vgpr7
.LBB63_481:
	s_mov_b32 s28, 0
.LBB63_482:
	s_delay_alu instid0(SALU_CYCLE_1)
	s_and_b32 vcc_lo, exec_lo, s28
	s_cbranch_vccz .LBB63_486
; %bb.483:
	s_cmp_eq_u32 s0, 11
	s_cbranch_scc0 .LBB63_485
; %bb.484:
	global_load_u8 v1, v[4:5], off
	s_mov_b32 s26, 0
	s_mov_b32 s27, -1
	s_wait_loadcnt 0x1
	v_mov_b32_e32 v7, s26
	s_wait_loadcnt 0x0
	v_cmp_ne_u16_e32 vcc_lo, 0, v1
	v_cndmask_b32_e64 v6, 0, 1, vcc_lo
	s_branch .LBB63_486
.LBB63_485:
	s_mov_b32 s26, -1
                                        ; implicit-def: $vgpr6_vgpr7
.LBB63_486:
	s_branch .LBB63_292
.LBB63_487:
	s_cmp_lt_i32 s0, 5
	s_cbranch_scc1 .LBB63_492
; %bb.488:
	s_cmp_lt_i32 s0, 8
	s_cbranch_scc1 .LBB63_493
; %bb.489:
	;; [unrolled: 3-line block ×3, first 2 shown]
	s_cmp_gt_i32 s0, 9
	s_cbranch_scc0 .LBB63_495
; %bb.491:
	s_wait_loadcnt 0x0
	global_load_b64 v[6:7], v[4:5], off
	s_mov_b32 s27, 0
	s_wait_loadcnt 0x0
	v_trunc_f64_e32 v[6:7], v[6:7]
	s_delay_alu instid0(VALU_DEP_1) | instskip(NEXT) | instid1(VALU_DEP_1)
	v_ldexp_f64 v[8:9], v[6:7], 0xffffffe0
	v_floor_f64_e32 v[8:9], v[8:9]
	s_delay_alu instid0(VALU_DEP_1) | instskip(SKIP_1) | instid1(VALU_DEP_2)
	v_fmamk_f64 v[10:11], v[8:9], 0xc1f00000, v[6:7]
	v_cvt_i32_f64_e32 v7, v[8:9]
	v_cvt_u32_f64_e32 v6, v[10:11]
	s_branch .LBB63_496
.LBB63_492:
	s_mov_b32 s27, -1
                                        ; implicit-def: $vgpr6_vgpr7
	s_branch .LBB63_514
.LBB63_493:
	s_mov_b32 s27, -1
                                        ; implicit-def: $vgpr6_vgpr7
	s_branch .LBB63_502
.LBB63_494:
	s_mov_b32 s27, -1
                                        ; implicit-def: $vgpr6_vgpr7
	s_branch .LBB63_499
.LBB63_495:
	s_mov_b32 s27, -1
                                        ; implicit-def: $vgpr6_vgpr7
.LBB63_496:
	s_delay_alu instid0(SALU_CYCLE_1)
	s_and_not1_b32 vcc_lo, exec_lo, s27
	s_cbranch_vccnz .LBB63_498
; %bb.497:
	global_load_b32 v1, v[4:5], off
	s_wait_loadcnt 0x0
	v_trunc_f32_e32 v1, v1
	s_delay_alu instid0(VALU_DEP_1) | instskip(SKIP_1) | instid1(VALU_DEP_2)
	v_mul_f32_e64 v3, 0x2f800000, |v1|
	v_ashrrev_i32_e32 v6, 31, v1
	v_floor_f32_e32 v3, v3
	s_delay_alu instid0(VALU_DEP_1) | instskip(SKIP_1) | instid1(VALU_DEP_2)
	v_fma_f32 v7, 0xcf800000, v3, |v1|
	v_cvt_u32_f32_e32 v1, v3
	v_cvt_u32_f32_e32 v3, v7
	s_delay_alu instid0(VALU_DEP_2) | instskip(NEXT) | instid1(VALU_DEP_2)
	v_dual_mov_b32 v7, v6 :: v_dual_bitop2_b32 v9, v1, v6 bitop3:0x14
	v_xor_b32_e32 v8, v3, v6
	s_delay_alu instid0(VALU_DEP_1)
	v_sub_nc_u64_e32 v[6:7], v[8:9], v[6:7]
.LBB63_498:
	s_mov_b32 s27, 0
.LBB63_499:
	s_delay_alu instid0(SALU_CYCLE_1)
	s_and_not1_b32 vcc_lo, exec_lo, s27
	s_cbranch_vccnz .LBB63_501
; %bb.500:
	global_load_b32 v1, v[4:5], off
	s_wait_loadcnt 0x0
	v_cvt_f32_f16_e32 v1, v1
	s_delay_alu instid0(VALU_DEP_1) | instskip(NEXT) | instid1(VALU_DEP_1)
	v_cvt_i32_f32_e32 v6, v1
	v_ashrrev_i32_e32 v7, 31, v6
.LBB63_501:
	s_mov_b32 s27, 0
.LBB63_502:
	s_delay_alu instid0(SALU_CYCLE_1)
	s_and_not1_b32 vcc_lo, exec_lo, s27
	s_cbranch_vccnz .LBB63_513
; %bb.503:
	s_cmp_lt_i32 s0, 6
	s_cbranch_scc1 .LBB63_506
; %bb.504:
	s_cmp_gt_i32 s0, 6
	s_cbranch_scc0 .LBB63_507
; %bb.505:
	s_wait_loadcnt 0x0
	global_load_b64 v[6:7], v[4:5], off
	s_mov_b32 s27, 0
	s_wait_loadcnt 0x0
	v_trunc_f64_e32 v[6:7], v[6:7]
	s_delay_alu instid0(VALU_DEP_1) | instskip(NEXT) | instid1(VALU_DEP_1)
	v_ldexp_f64 v[8:9], v[6:7], 0xffffffe0
	v_floor_f64_e32 v[8:9], v[8:9]
	s_delay_alu instid0(VALU_DEP_1) | instskip(SKIP_1) | instid1(VALU_DEP_2)
	v_fmamk_f64 v[10:11], v[8:9], 0xc1f00000, v[6:7]
	v_cvt_i32_f64_e32 v7, v[8:9]
	v_cvt_u32_f64_e32 v6, v[10:11]
	s_branch .LBB63_508
.LBB63_506:
	s_mov_b32 s27, -1
                                        ; implicit-def: $vgpr6_vgpr7
	s_branch .LBB63_511
.LBB63_507:
	s_mov_b32 s27, -1
                                        ; implicit-def: $vgpr6_vgpr7
.LBB63_508:
	s_delay_alu instid0(SALU_CYCLE_1)
	s_and_not1_b32 vcc_lo, exec_lo, s27
	s_cbranch_vccnz .LBB63_510
; %bb.509:
	global_load_b32 v1, v[4:5], off
	s_wait_loadcnt 0x0
	v_trunc_f32_e32 v1, v1
	s_delay_alu instid0(VALU_DEP_1) | instskip(SKIP_1) | instid1(VALU_DEP_2)
	v_mul_f32_e64 v3, 0x2f800000, |v1|
	v_ashrrev_i32_e32 v6, 31, v1
	v_floor_f32_e32 v3, v3
	s_delay_alu instid0(VALU_DEP_1) | instskip(SKIP_1) | instid1(VALU_DEP_2)
	v_fma_f32 v7, 0xcf800000, v3, |v1|
	v_cvt_u32_f32_e32 v1, v3
	v_cvt_u32_f32_e32 v3, v7
	s_delay_alu instid0(VALU_DEP_2) | instskip(NEXT) | instid1(VALU_DEP_2)
	v_dual_mov_b32 v7, v6 :: v_dual_bitop2_b32 v9, v1, v6 bitop3:0x14
	v_xor_b32_e32 v8, v3, v6
	s_delay_alu instid0(VALU_DEP_1)
	v_sub_nc_u64_e32 v[6:7], v[8:9], v[6:7]
.LBB63_510:
	s_mov_b32 s27, 0
.LBB63_511:
	s_delay_alu instid0(SALU_CYCLE_1)
	s_and_not1_b32 vcc_lo, exec_lo, s27
	s_cbranch_vccnz .LBB63_513
; %bb.512:
	global_load_u16 v1, v[4:5], off
	s_wait_loadcnt 0x0
	v_cvt_f32_f16_e32 v1, v1
	s_delay_alu instid0(VALU_DEP_1) | instskip(NEXT) | instid1(VALU_DEP_1)
	v_cvt_i32_f32_e32 v6, v1
	v_ashrrev_i32_e32 v7, 31, v6
.LBB63_513:
	s_mov_b32 s27, 0
.LBB63_514:
	s_delay_alu instid0(SALU_CYCLE_1)
	s_and_not1_b32 vcc_lo, exec_lo, s27
	s_cbranch_vccnz .LBB63_534
; %bb.515:
	s_cmp_lt_i32 s0, 2
	s_cbranch_scc1 .LBB63_519
; %bb.516:
	s_cmp_lt_i32 s0, 3
	s_cbranch_scc1 .LBB63_520
; %bb.517:
	s_cmp_gt_i32 s0, 3
	s_cbranch_scc0 .LBB63_521
; %bb.518:
	s_wait_loadcnt 0x0
	global_load_b64 v[6:7], v[4:5], off
	s_mov_b32 s27, 0
	s_branch .LBB63_522
.LBB63_519:
	s_mov_b32 s27, -1
                                        ; implicit-def: $vgpr6_vgpr7
	s_branch .LBB63_528
.LBB63_520:
	s_mov_b32 s27, -1
                                        ; implicit-def: $vgpr6_vgpr7
	s_branch .LBB63_525
.LBB63_521:
	s_mov_b32 s27, -1
                                        ; implicit-def: $vgpr6_vgpr7
.LBB63_522:
	s_delay_alu instid0(SALU_CYCLE_1)
	s_and_not1_b32 vcc_lo, exec_lo, s27
	s_cbranch_vccnz .LBB63_524
; %bb.523:
	s_wait_loadcnt 0x0
	global_load_b32 v6, v[4:5], off
	s_wait_loadcnt 0x0
	v_ashrrev_i32_e32 v7, 31, v6
.LBB63_524:
	s_mov_b32 s27, 0
.LBB63_525:
	s_delay_alu instid0(SALU_CYCLE_1)
	s_and_not1_b32 vcc_lo, exec_lo, s27
	s_cbranch_vccnz .LBB63_527
; %bb.526:
	global_load_u16 v1, v[4:5], off
	s_wait_loadcnt 0x0
	v_bfe_i32 v6, v1, 0, 16
	s_delay_alu instid0(VALU_DEP_1)
	v_ashrrev_i32_e32 v7, 31, v6
.LBB63_527:
	s_mov_b32 s27, 0
.LBB63_528:
	s_delay_alu instid0(SALU_CYCLE_1)
	s_and_not1_b32 vcc_lo, exec_lo, s27
	s_cbranch_vccnz .LBB63_534
; %bb.529:
	s_cmp_gt_i32 s0, 0
	s_mov_b32 s0, 0
	s_cbranch_scc0 .LBB63_531
; %bb.530:
	global_load_i8 v1, v[4:5], off
	s_wait_loadcnt 0x0
	v_bfe_i32 v6, v1, 0, 16
	s_delay_alu instid0(VALU_DEP_1)
	v_ashrrev_i32_e32 v7, 31, v6
	s_branch .LBB63_532
.LBB63_531:
	s_mov_b32 s0, -1
                                        ; implicit-def: $vgpr6_vgpr7
.LBB63_532:
	s_delay_alu instid0(SALU_CYCLE_1)
	s_and_not1_b32 vcc_lo, exec_lo, s0
	s_cbranch_vccnz .LBB63_534
; %bb.533:
	global_load_u8 v1, v[4:5], off
	s_mov_b32 s0, 0
	s_wait_loadcnt 0x1
	v_mov_b32_e32 v7, s0
	s_wait_loadcnt 0x0
	v_and_b32_e32 v6, 0xffff, v1
.LBB63_534:
	s_branch .LBB63_293
.LBB63_535:
	s_mov_b32 s27, 0
	s_mov_b32 s0, s42
.LBB63_536:
                                        ; implicit-def: $vgpr0
.LBB63_537:
	s_and_not1_b32 s28, s42, exec_lo
	s_and_b32 s0, s0, exec_lo
	s_and_not1_b32 s29, s43, exec_lo
	s_and_b32 s26, s26, exec_lo
	s_or_b32 s46, s28, s0
	s_or_b32 s45, s29, s26
	s_or_not1_b32 s0, s27, exec_lo
.LBB63_538:
	s_wait_xcnt 0x0
	s_or_b32 exec_lo, exec_lo, s47
	s_mov_b32 s27, 0
	s_mov_b32 s26, 0
	;; [unrolled: 1-line block ×3, first 2 shown]
                                        ; implicit-def: $vgpr4_vgpr5
                                        ; implicit-def: $vgpr2
                                        ; implicit-def: $vgpr6_vgpr7
	s_and_saveexec_b32 s47, s0
	s_cbranch_execz .LBB63_911
; %bb.539:
	s_mov_b32 s29, -1
	s_mov_b32 s0, s45
	s_mov_b32 s30, s46
	s_mov_b32 s48, exec_lo
	v_cmpx_gt_i32_e64 s39, v0
	s_cbranch_execz .LBB63_812
; %bb.540:
	s_and_not1_b32 vcc_lo, exec_lo, s35
	s_cbranch_vccnz .LBB63_546
; %bb.541:
	s_and_not1_b32 vcc_lo, exec_lo, s41
	s_cbranch_vccnz .LBB63_547
; %bb.542:
	s_add_co_i32 s0, s40, 1
	s_cmp_eq_u32 s33, 2
	s_cbranch_scc1 .LBB63_548
; %bb.543:
	v_dual_mov_b32 v2, 0 :: v_dual_mov_b32 v4, 0
	v_mov_b32_e32 v1, v0
	s_and_b32 s26, s0, 28
	s_mov_b64 s[28:29], s[2:3]
	s_mov_b64 s[30:31], s[24:25]
.LBB63_544:                             ; =>This Inner Loop Header: Depth=1
	s_clause 0x1
	s_load_b256 s[52:59], s[28:29], 0x4
	s_load_b128 s[68:71], s[28:29], 0x24
	s_load_b256 s[60:67], s[30:31], 0x0
	s_add_co_i32 s27, s27, 4
	s_wait_xcnt 0x0
	s_add_nc_u64 s[28:29], s[28:29], 48
	s_cmp_eq_u32 s26, s27
	s_add_nc_u64 s[30:31], s[30:31], 32
	s_wait_kmcnt 0x0
	v_mul_hi_u32 v3, s53, v1
	s_delay_alu instid0(VALU_DEP_1) | instskip(NEXT) | instid1(VALU_DEP_1)
	v_add_nc_u32_e32 v3, v1, v3
	v_lshrrev_b32_e32 v3, s54, v3
	s_delay_alu instid0(VALU_DEP_1) | instskip(NEXT) | instid1(VALU_DEP_1)
	v_mul_hi_u32 v5, s56, v3
	v_add_nc_u32_e32 v5, v3, v5
	s_delay_alu instid0(VALU_DEP_1) | instskip(SKIP_1) | instid1(VALU_DEP_1)
	v_lshrrev_b32_e32 v5, s57, v5
	s_wait_loadcnt 0x0
	v_mul_hi_u32 v6, s59, v5
	s_delay_alu instid0(VALU_DEP_1) | instskip(SKIP_1) | instid1(VALU_DEP_1)
	v_add_nc_u32_e32 v6, v5, v6
	v_mul_lo_u32 v7, v3, s52
	v_sub_nc_u32_e32 v1, v1, v7
	v_mul_lo_u32 v7, v5, s55
	s_delay_alu instid0(VALU_DEP_4) | instskip(NEXT) | instid1(VALU_DEP_3)
	v_lshrrev_b32_e32 v6, s68, v6
	v_mad_u32 v4, v1, s61, v4
	v_mad_u32 v1, v1, s60, v2
	s_delay_alu instid0(VALU_DEP_4) | instskip(NEXT) | instid1(VALU_DEP_4)
	v_sub_nc_u32_e32 v2, v3, v7
	v_mul_hi_u32 v8, s70, v6
	v_mul_lo_u32 v3, v6, s58
	s_delay_alu instid0(VALU_DEP_3) | instskip(SKIP_1) | instid1(VALU_DEP_3)
	v_mad_u32 v4, v2, s63, v4
	v_mad_u32 v2, v2, s62, v1
	v_dual_add_nc_u32 v7, v6, v8 :: v_dual_sub_nc_u32 v3, v5, v3
	s_delay_alu instid0(VALU_DEP_1) | instskip(NEXT) | instid1(VALU_DEP_2)
	v_lshrrev_b32_e32 v1, s71, v7
	v_mad_u32 v4, v3, s65, v4
	s_delay_alu instid0(VALU_DEP_4) | instskip(NEXT) | instid1(VALU_DEP_3)
	v_mad_u32 v2, v3, s64, v2
	v_mul_lo_u32 v5, v1, s69
	s_delay_alu instid0(VALU_DEP_1) | instskip(NEXT) | instid1(VALU_DEP_1)
	v_sub_nc_u32_e32 v3, v6, v5
	v_mad_u32 v4, v3, s67, v4
	s_delay_alu instid0(VALU_DEP_4)
	v_mad_u32 v2, v3, s66, v2
	s_cbranch_scc0 .LBB63_544
; %bb.545:
	s_delay_alu instid0(VALU_DEP_2)
	v_mov_b32_e32 v3, v4
	s_branch .LBB63_549
.LBB63_546:
	s_mov_b32 s0, -1
                                        ; implicit-def: $vgpr4
                                        ; implicit-def: $vgpr2
	s_branch .LBB63_554
.LBB63_547:
	v_dual_mov_b32 v4, 0 :: v_dual_mov_b32 v2, 0
	s_branch .LBB63_553
.LBB63_548:
	v_mov_b64_e32 v[2:3], 0
	v_mov_b32_e32 v1, v0
                                        ; implicit-def: $vgpr4
.LBB63_549:
	s_and_b32 s0, s0, 3
	s_mov_b32 s27, 0
	s_cmp_eq_u32 s0, 0
	s_cbranch_scc1 .LBB63_553
; %bb.550:
	s_lshl_b32 s28, s26, 3
	s_mov_b32 s29, s27
	s_mul_u64 s[30:31], s[26:27], 12
	s_add_nc_u64 s[28:29], s[2:3], s[28:29]
	s_delay_alu instid0(SALU_CYCLE_1)
	s_add_nc_u64 s[26:27], s[28:29], 0xc4
	s_add_nc_u64 s[28:29], s[2:3], s[30:31]
.LBB63_551:                             ; =>This Inner Loop Header: Depth=1
	s_load_b96 s[52:54], s[28:29], 0x4
	s_load_b64 s[30:31], s[26:27], 0x0
	s_add_co_i32 s0, s0, -1
	s_wait_xcnt 0x0
	s_add_nc_u64 s[28:29], s[28:29], 12
	s_cmp_lg_u32 s0, 0
	s_add_nc_u64 s[26:27], s[26:27], 8
	s_wait_kmcnt 0x0
	v_mul_hi_u32 v4, s53, v1
	s_delay_alu instid0(VALU_DEP_1) | instskip(NEXT) | instid1(VALU_DEP_1)
	v_add_nc_u32_e32 v4, v1, v4
	v_lshrrev_b32_e32 v4, s54, v4
	s_delay_alu instid0(VALU_DEP_1) | instskip(NEXT) | instid1(VALU_DEP_1)
	v_mul_lo_u32 v5, v4, s52
	v_sub_nc_u32_e32 v1, v1, v5
	s_delay_alu instid0(VALU_DEP_1)
	v_mad_u32 v3, v1, s31, v3
	v_mad_u32 v2, v1, s30, v2
	v_mov_b32_e32 v1, v4
	s_cbranch_scc1 .LBB63_551
; %bb.552:
	s_delay_alu instid0(VALU_DEP_3)
	v_mov_b32_e32 v4, v3
.LBB63_553:
	s_mov_b32 s0, 0
.LBB63_554:
	s_delay_alu instid0(SALU_CYCLE_1)
	s_and_not1_b32 vcc_lo, exec_lo, s0
	s_cbranch_vccnz .LBB63_557
; %bb.555:
	v_mov_b32_e32 v1, 0
	s_and_not1_b32 vcc_lo, exec_lo, s38
	s_delay_alu instid0(VALU_DEP_1) | instskip(NEXT) | instid1(VALU_DEP_1)
	v_mul_u64_e32 v[2:3], s[20:21], v[0:1]
	v_add_nc_u32_e32 v2, v0, v3
	s_wait_loadcnt 0x0
	s_delay_alu instid0(VALU_DEP_1) | instskip(NEXT) | instid1(VALU_DEP_1)
	v_lshrrev_b32_e32 v6, s10, v2
	v_mul_lo_u32 v2, v6, s8
	s_delay_alu instid0(VALU_DEP_1) | instskip(NEXT) | instid1(VALU_DEP_1)
	v_sub_nc_u32_e32 v2, v0, v2
	v_mul_lo_u32 v4, v2, s13
	v_mul_lo_u32 v2, v2, s12
	s_cbranch_vccnz .LBB63_557
; %bb.556:
	v_mov_b32_e32 v7, v1
	s_delay_alu instid0(VALU_DEP_1) | instskip(NEXT) | instid1(VALU_DEP_1)
	v_mul_u64_e32 v[8:9], s[22:23], v[6:7]
	v_add_nc_u32_e32 v1, v6, v9
	s_delay_alu instid0(VALU_DEP_1) | instskip(NEXT) | instid1(VALU_DEP_1)
	v_lshrrev_b32_e32 v1, s1, v1
	v_mul_lo_u32 v1, v1, s11
	s_delay_alu instid0(VALU_DEP_1) | instskip(NEXT) | instid1(VALU_DEP_1)
	v_sub_nc_u32_e32 v1, v6, v1
	v_mad_u32 v2, v1, s14, v2
	v_mad_u32 v4, v1, s15, v4
.LBB63_557:
	v_mov_b32_e32 v5, 0
	s_and_b32 s0, 0xffff, s37
	s_delay_alu instid0(SALU_CYCLE_1) | instskip(NEXT) | instid1(VALU_DEP_1)
	s_cmp_lt_i32 s0, 11
	v_add_nc_u64_e32 v[4:5], s[6:7], v[4:5]
	s_cbranch_scc1 .LBB63_564
; %bb.558:
	s_cmp_gt_i32 s0, 25
	s_cbranch_scc0 .LBB63_565
; %bb.559:
	s_cmp_gt_i32 s0, 28
	s_cbranch_scc0 .LBB63_566
	;; [unrolled: 3-line block ×4, first 2 shown]
; %bb.562:
	s_cmp_eq_u32 s0, 46
	s_mov_b32 s28, 0
	s_cbranch_scc0 .LBB63_573
; %bb.563:
	global_load_b32 v1, v[4:5], off
	s_mov_b32 s27, -1
	s_mov_b32 s26, 0
	s_wait_loadcnt 0x0
	v_lshlrev_b32_e32 v1, 16, v1
	s_delay_alu instid0(VALU_DEP_1) | instskip(NEXT) | instid1(VALU_DEP_1)
	v_trunc_f32_e32 v1, v1
	v_mul_f32_e64 v3, 0x2f800000, |v1|
	v_ashrrev_i32_e32 v6, 31, v1
	s_delay_alu instid0(VALU_DEP_2) | instskip(NEXT) | instid1(VALU_DEP_1)
	v_floor_f32_e32 v3, v3
	v_fma_f32 v7, 0xcf800000, v3, |v1|
	v_cvt_u32_f32_e32 v1, v3
	s_delay_alu instid0(VALU_DEP_2) | instskip(NEXT) | instid1(VALU_DEP_2)
	v_cvt_u32_f32_e32 v3, v7
	v_dual_mov_b32 v7, v6 :: v_dual_bitop2_b32 v9, v1, v6 bitop3:0x14
	s_delay_alu instid0(VALU_DEP_2) | instskip(NEXT) | instid1(VALU_DEP_1)
	v_xor_b32_e32 v8, v3, v6
	v_sub_nc_u64_e32 v[6:7], v[8:9], v[6:7]
	s_branch .LBB63_575
.LBB63_564:
	s_mov_b32 s28, -1
	s_mov_b32 s27, 0
	s_mov_b32 s26, s45
                                        ; implicit-def: $vgpr6_vgpr7
	s_branch .LBB63_636
.LBB63_565:
	s_mov_b32 s28, -1
	s_mov_b32 s27, 0
	s_mov_b32 s26, s45
                                        ; implicit-def: $vgpr6_vgpr7
	s_branch .LBB63_602
.LBB63_566:
	s_mov_b32 s28, -1
	s_mov_b32 s27, 0
	s_mov_b32 s26, s45
                                        ; implicit-def: $vgpr6_vgpr7
	s_branch .LBB63_585
.LBB63_567:
	s_mov_b32 s28, -1
	s_mov_b32 s27, 0
	s_mov_b32 s26, s45
                                        ; implicit-def: $vgpr6_vgpr7
	s_branch .LBB63_580
.LBB63_568:
	s_and_not1_saveexec_b32 s45, s45
	s_cbranch_execz .LBB63_339
.LBB63_569:
	v_add_f32_e32 v1, 0x46000000, v4
	s_and_not1_b32 s31, s31, exec_lo
	s_delay_alu instid0(VALU_DEP_1) | instskip(NEXT) | instid1(VALU_DEP_1)
	v_and_b32_e32 v1, 0xff, v1
	v_cmp_ne_u32_e32 vcc_lo, 0, v1
	s_and_b32 s46, vcc_lo, exec_lo
	s_delay_alu instid0(SALU_CYCLE_1)
	s_or_b32 s31, s31, s46
	s_or_b32 exec_lo, exec_lo, s45
	v_mov_b32_e32 v5, 0
	s_and_saveexec_b32 s45, s31
	s_cbranch_execnz .LBB63_340
	s_branch .LBB63_341
.LBB63_570:
	s_mov_b32 s28, -1
	s_mov_b32 s27, 0
	s_mov_b32 s26, s45
	s_branch .LBB63_574
.LBB63_571:
	s_and_not1_saveexec_b32 s45, s45
	s_cbranch_execz .LBB63_352
.LBB63_572:
	v_add_f32_e32 v1, 0x42800000, v4
	s_and_not1_b32 s31, s31, exec_lo
	s_delay_alu instid0(VALU_DEP_1) | instskip(NEXT) | instid1(VALU_DEP_1)
	v_and_b32_e32 v1, 0xff, v1
	v_cmp_ne_u32_e32 vcc_lo, 0, v1
	s_and_b32 s46, vcc_lo, exec_lo
	s_delay_alu instid0(SALU_CYCLE_1)
	s_or_b32 s31, s31, s46
	s_or_b32 exec_lo, exec_lo, s45
	v_mov_b32_e32 v5, 0
	s_and_saveexec_b32 s45, s31
	s_cbranch_execnz .LBB63_353
	s_branch .LBB63_354
.LBB63_573:
	s_mov_b32 s26, -1
	s_mov_b32 s27, 0
.LBB63_574:
                                        ; implicit-def: $vgpr6_vgpr7
.LBB63_575:
	s_and_b32 vcc_lo, exec_lo, s28
	s_cbranch_vccz .LBB63_579
; %bb.576:
	s_cmp_eq_u32 s0, 44
	s_cbranch_scc0 .LBB63_578
; %bb.577:
	global_load_u8 v1, v[4:5], off
	s_mov_b32 s26, 0
	s_mov_b32 s27, -1
	s_wait_loadcnt 0x0
	v_lshlrev_b32_e32 v3, 23, v1
	v_cmp_ne_u32_e32 vcc_lo, 0, v1
	s_delay_alu instid0(VALU_DEP_2) | instskip(NEXT) | instid1(VALU_DEP_1)
	v_trunc_f32_e32 v3, v3
	v_mul_f32_e64 v6, 0x2f800000, |v3|
	s_delay_alu instid0(VALU_DEP_1) | instskip(SKIP_1) | instid1(VALU_DEP_2)
	v_floor_f32_e32 v7, v6
	v_ashrrev_i32_e32 v6, 31, v3
	v_fma_f32 v8, 0xcf800000, v7, |v3|
	v_cvt_u32_f32_e32 v3, v7
	s_delay_alu instid0(VALU_DEP_3) | instskip(NEXT) | instid1(VALU_DEP_3)
	v_mov_b32_e32 v7, v6
	v_cvt_u32_f32_e32 v8, v8
	s_delay_alu instid0(VALU_DEP_3) | instskip(NEXT) | instid1(VALU_DEP_2)
	v_xor_b32_e32 v9, v3, v6
	v_xor_b32_e32 v8, v8, v6
	s_delay_alu instid0(VALU_DEP_1) | instskip(NEXT) | instid1(VALU_DEP_1)
	v_sub_nc_u64_e32 v[6:7], v[8:9], v[6:7]
	v_dual_cndmask_b32 v7, 0, v7 :: v_dual_cndmask_b32 v6, 0, v6
	s_branch .LBB63_579
.LBB63_578:
	s_mov_b32 s26, -1
                                        ; implicit-def: $vgpr6_vgpr7
.LBB63_579:
	s_mov_b32 s28, 0
.LBB63_580:
	s_delay_alu instid0(SALU_CYCLE_1)
	s_and_b32 vcc_lo, exec_lo, s28
	s_cbranch_vccz .LBB63_584
; %bb.581:
	s_cmp_eq_u32 s0, 29
	s_cbranch_scc0 .LBB63_583
; %bb.582:
	s_wait_loadcnt 0x0
	global_load_b64 v[6:7], v[4:5], off
	s_mov_b32 s27, -1
	s_mov_b32 s26, 0
	s_branch .LBB63_584
.LBB63_583:
	s_mov_b32 s26, -1
                                        ; implicit-def: $vgpr6_vgpr7
.LBB63_584:
	s_mov_b32 s28, 0
.LBB63_585:
	s_delay_alu instid0(SALU_CYCLE_1)
	s_and_b32 vcc_lo, exec_lo, s28
	s_cbranch_vccz .LBB63_601
; %bb.586:
	s_cmp_lt_i32 s0, 27
	s_cbranch_scc1 .LBB63_589
; %bb.587:
	s_cmp_gt_i32 s0, 27
	s_cbranch_scc0 .LBB63_590
; %bb.588:
	s_wait_loadcnt 0x0
	global_load_b32 v6, v[4:5], off
	v_mov_b32_e32 v7, 0
	s_mov_b32 s27, 0
	s_branch .LBB63_591
.LBB63_589:
	s_mov_b32 s27, -1
                                        ; implicit-def: $vgpr6_vgpr7
	s_branch .LBB63_594
.LBB63_590:
	s_mov_b32 s27, -1
                                        ; implicit-def: $vgpr6_vgpr7
.LBB63_591:
	s_delay_alu instid0(SALU_CYCLE_1)
	s_and_not1_b32 vcc_lo, exec_lo, s27
	s_cbranch_vccnz .LBB63_593
; %bb.592:
	global_load_u16 v1, v[4:5], off
	s_mov_b32 s27, 0
	s_wait_loadcnt 0x1
	v_mov_b32_e32 v7, s27
	s_wait_loadcnt 0x0
	v_and_b32_e32 v6, 0xffff, v1
.LBB63_593:
	s_mov_b32 s27, 0
.LBB63_594:
	s_delay_alu instid0(SALU_CYCLE_1)
	s_and_not1_b32 vcc_lo, exec_lo, s27
	s_cbranch_vccnz .LBB63_600
; %bb.595:
	global_load_u8 v1, v[4:5], off
	s_mov_b32 s28, 0
	s_mov_b32 s27, exec_lo
	s_wait_loadcnt 0x0
	v_cmpx_lt_i16_e32 0x7f, v1
	s_xor_b32 s27, exec_lo, s27
	s_cbranch_execz .LBB63_612
; %bb.596:
	v_cmp_ne_u16_e32 vcc_lo, 0x80, v1
	s_and_b32 s28, vcc_lo, exec_lo
	s_and_not1_saveexec_b32 s27, s27
	s_cbranch_execnz .LBB63_613
.LBB63_597:
	s_or_b32 exec_lo, exec_lo, s27
	v_mov_b64_e32 v[6:7], 0
	s_and_saveexec_b32 s27, s28
	s_cbranch_execz .LBB63_599
.LBB63_598:
	v_and_b32_e32 v3, 0xffff, v1
	s_delay_alu instid0(VALU_DEP_1) | instskip(SKIP_1) | instid1(VALU_DEP_2)
	v_dual_lshlrev_b32 v1, 24, v1 :: v_dual_bitop2_b32 v6, 7, v3 bitop3:0x40
	v_bfe_u32 v9, v3, 3, 4
	v_and_b32_e32 v1, 0x80000000, v1
	s_delay_alu instid0(VALU_DEP_3) | instskip(NEXT) | instid1(VALU_DEP_3)
	v_clz_i32_u32_e32 v7, v6
	v_cmp_eq_u32_e32 vcc_lo, 0, v9
	s_delay_alu instid0(VALU_DEP_2) | instskip(NEXT) | instid1(VALU_DEP_1)
	v_min_u32_e32 v7, 32, v7
	v_subrev_nc_u32_e32 v8, 28, v7
	v_sub_nc_u32_e32 v7, 29, v7
	s_delay_alu instid0(VALU_DEP_2) | instskip(NEXT) | instid1(VALU_DEP_2)
	v_lshlrev_b32_e32 v3, v8, v3
	v_cndmask_b32_e32 v7, v9, v7, vcc_lo
	s_delay_alu instid0(VALU_DEP_2) | instskip(NEXT) | instid1(VALU_DEP_1)
	v_and_b32_e32 v3, 7, v3
	v_cndmask_b32_e32 v3, v6, v3, vcc_lo
	s_delay_alu instid0(VALU_DEP_3) | instskip(NEXT) | instid1(VALU_DEP_2)
	v_lshl_add_u32 v6, v7, 23, 0x3b800000
	v_lshlrev_b32_e32 v3, 20, v3
	s_delay_alu instid0(VALU_DEP_1) | instskip(NEXT) | instid1(VALU_DEP_1)
	v_or3_b32 v1, v1, v6, v3
	v_trunc_f32_e32 v1, v1
	s_delay_alu instid0(VALU_DEP_1) | instskip(SKIP_1) | instid1(VALU_DEP_2)
	v_mul_f32_e64 v3, 0x2f800000, |v1|
	v_ashrrev_i32_e32 v6, 31, v1
	v_floor_f32_e32 v3, v3
	s_delay_alu instid0(VALU_DEP_1) | instskip(SKIP_1) | instid1(VALU_DEP_2)
	v_fma_f32 v7, 0xcf800000, v3, |v1|
	v_cvt_u32_f32_e32 v1, v3
	v_cvt_u32_f32_e32 v3, v7
	s_delay_alu instid0(VALU_DEP_2) | instskip(NEXT) | instid1(VALU_DEP_2)
	v_dual_mov_b32 v7, v6 :: v_dual_bitop2_b32 v9, v1, v6 bitop3:0x14
	v_xor_b32_e32 v8, v3, v6
	s_delay_alu instid0(VALU_DEP_1)
	v_sub_nc_u64_e32 v[6:7], v[8:9], v[6:7]
.LBB63_599:
	s_or_b32 exec_lo, exec_lo, s27
.LBB63_600:
	s_mov_b32 s27, -1
.LBB63_601:
	s_mov_b32 s28, 0
.LBB63_602:
	s_delay_alu instid0(SALU_CYCLE_1)
	s_and_b32 vcc_lo, exec_lo, s28
	s_cbranch_vccz .LBB63_635
; %bb.603:
	s_cmp_gt_i32 s0, 22
	s_cbranch_scc0 .LBB63_611
; %bb.604:
	s_cmp_lt_i32 s0, 24
	s_cbranch_scc1 .LBB63_614
; %bb.605:
	s_cmp_gt_i32 s0, 24
	s_cbranch_scc0 .LBB63_615
; %bb.606:
	global_load_u8 v1, v[4:5], off
	s_mov_b32 s28, 0
	s_mov_b32 s27, exec_lo
	s_wait_loadcnt 0x0
	v_cmpx_lt_i16_e32 0x7f, v1
	s_xor_b32 s27, exec_lo, s27
	s_cbranch_execz .LBB63_627
; %bb.607:
	v_cmp_ne_u16_e32 vcc_lo, 0x80, v1
	s_and_b32 s28, vcc_lo, exec_lo
	s_and_not1_saveexec_b32 s27, s27
	s_cbranch_execnz .LBB63_628
.LBB63_608:
	s_or_b32 exec_lo, exec_lo, s27
	v_mov_b64_e32 v[6:7], 0
	s_and_saveexec_b32 s27, s28
	s_cbranch_execz .LBB63_610
.LBB63_609:
	v_and_b32_e32 v3, 0xffff, v1
	s_delay_alu instid0(VALU_DEP_1) | instskip(SKIP_1) | instid1(VALU_DEP_2)
	v_dual_lshlrev_b32 v1, 24, v1 :: v_dual_bitop2_b32 v6, 3, v3 bitop3:0x40
	v_bfe_u32 v9, v3, 2, 5
	v_and_b32_e32 v1, 0x80000000, v1
	s_delay_alu instid0(VALU_DEP_3) | instskip(NEXT) | instid1(VALU_DEP_3)
	v_clz_i32_u32_e32 v7, v6
	v_cmp_eq_u32_e32 vcc_lo, 0, v9
	s_delay_alu instid0(VALU_DEP_2) | instskip(NEXT) | instid1(VALU_DEP_1)
	v_min_u32_e32 v7, 32, v7
	v_subrev_nc_u32_e32 v8, 29, v7
	v_sub_nc_u32_e32 v7, 30, v7
	s_delay_alu instid0(VALU_DEP_2) | instskip(NEXT) | instid1(VALU_DEP_2)
	v_lshlrev_b32_e32 v3, v8, v3
	v_cndmask_b32_e32 v7, v9, v7, vcc_lo
	s_delay_alu instid0(VALU_DEP_2) | instskip(NEXT) | instid1(VALU_DEP_1)
	v_and_b32_e32 v3, 3, v3
	v_cndmask_b32_e32 v3, v6, v3, vcc_lo
	s_delay_alu instid0(VALU_DEP_3) | instskip(NEXT) | instid1(VALU_DEP_2)
	v_lshl_add_u32 v6, v7, 23, 0x37800000
	v_lshlrev_b32_e32 v3, 21, v3
	s_delay_alu instid0(VALU_DEP_1) | instskip(NEXT) | instid1(VALU_DEP_1)
	v_or3_b32 v1, v1, v6, v3
	v_trunc_f32_e32 v1, v1
	s_delay_alu instid0(VALU_DEP_1) | instskip(SKIP_1) | instid1(VALU_DEP_2)
	v_mul_f32_e64 v3, 0x2f800000, |v1|
	v_ashrrev_i32_e32 v6, 31, v1
	v_floor_f32_e32 v3, v3
	s_delay_alu instid0(VALU_DEP_1) | instskip(SKIP_1) | instid1(VALU_DEP_2)
	v_fma_f32 v7, 0xcf800000, v3, |v1|
	v_cvt_u32_f32_e32 v1, v3
	v_cvt_u32_f32_e32 v3, v7
	s_delay_alu instid0(VALU_DEP_2) | instskip(NEXT) | instid1(VALU_DEP_2)
	v_dual_mov_b32 v7, v6 :: v_dual_bitop2_b32 v9, v1, v6 bitop3:0x14
	v_xor_b32_e32 v8, v3, v6
	s_delay_alu instid0(VALU_DEP_1)
	v_sub_nc_u64_e32 v[6:7], v[8:9], v[6:7]
.LBB63_610:
	s_or_b32 exec_lo, exec_lo, s27
	s_mov_b32 s27, 0
	s_branch .LBB63_616
.LBB63_611:
	s_mov_b32 s28, -1
                                        ; implicit-def: $vgpr6_vgpr7
	s_branch .LBB63_622
.LBB63_612:
	s_and_not1_saveexec_b32 s27, s27
	s_cbranch_execz .LBB63_597
.LBB63_613:
	v_cmp_ne_u16_e32 vcc_lo, 0, v1
	s_and_not1_b32 s28, s28, exec_lo
	s_and_b32 s29, vcc_lo, exec_lo
	s_delay_alu instid0(SALU_CYCLE_1)
	s_or_b32 s28, s28, s29
	s_or_b32 exec_lo, exec_lo, s27
	v_mov_b64_e32 v[6:7], 0
	s_and_saveexec_b32 s27, s28
	s_cbranch_execnz .LBB63_598
	s_branch .LBB63_599
.LBB63_614:
	s_mov_b32 s27, -1
                                        ; implicit-def: $vgpr6_vgpr7
	s_branch .LBB63_619
.LBB63_615:
	s_mov_b32 s27, -1
                                        ; implicit-def: $vgpr6_vgpr7
.LBB63_616:
	s_delay_alu instid0(SALU_CYCLE_1)
	s_and_b32 vcc_lo, exec_lo, s27
	s_cbranch_vccz .LBB63_618
; %bb.617:
	global_load_u8 v1, v[4:5], off
	s_wait_loadcnt 0x0
	v_lshlrev_b32_e32 v1, 24, v1
	s_delay_alu instid0(VALU_DEP_1) | instskip(NEXT) | instid1(VALU_DEP_1)
	v_and_b32_e32 v3, 0x7f000000, v1
	v_clz_i32_u32_e32 v6, v3
	v_cmp_ne_u32_e32 vcc_lo, 0, v3
	v_add_nc_u32_e32 v8, 0x1000000, v3
	s_delay_alu instid0(VALU_DEP_3) | instskip(NEXT) | instid1(VALU_DEP_1)
	v_min_u32_e32 v6, 32, v6
	v_sub_nc_u32_e64 v6, v6, 4 clamp
	s_delay_alu instid0(VALU_DEP_1) | instskip(NEXT) | instid1(VALU_DEP_1)
	v_dual_lshlrev_b32 v7, v6, v3 :: v_dual_lshlrev_b32 v6, 23, v6
	v_lshrrev_b32_e32 v7, 4, v7
	s_delay_alu instid0(VALU_DEP_1) | instskip(NEXT) | instid1(VALU_DEP_1)
	v_dual_sub_nc_u32 v6, v7, v6 :: v_dual_ashrrev_i32 v7, 8, v8
	v_add_nc_u32_e32 v6, 0x3c000000, v6
	s_delay_alu instid0(VALU_DEP_1) | instskip(NEXT) | instid1(VALU_DEP_1)
	v_and_or_b32 v6, 0x7f800000, v7, v6
	v_cndmask_b32_e32 v3, 0, v6, vcc_lo
	s_delay_alu instid0(VALU_DEP_1) | instskip(NEXT) | instid1(VALU_DEP_1)
	v_and_or_b32 v1, 0x80000000, v1, v3
	v_trunc_f32_e32 v1, v1
	s_delay_alu instid0(VALU_DEP_1) | instskip(SKIP_1) | instid1(VALU_DEP_2)
	v_mul_f32_e64 v3, 0x2f800000, |v1|
	v_ashrrev_i32_e32 v6, 31, v1
	v_floor_f32_e32 v3, v3
	s_delay_alu instid0(VALU_DEP_1) | instskip(SKIP_1) | instid1(VALU_DEP_2)
	v_fma_f32 v7, 0xcf800000, v3, |v1|
	v_cvt_u32_f32_e32 v1, v3
	v_cvt_u32_f32_e32 v3, v7
	s_delay_alu instid0(VALU_DEP_2) | instskip(NEXT) | instid1(VALU_DEP_2)
	v_dual_mov_b32 v7, v6 :: v_dual_bitop2_b32 v9, v1, v6 bitop3:0x14
	v_xor_b32_e32 v8, v3, v6
	s_delay_alu instid0(VALU_DEP_1)
	v_sub_nc_u64_e32 v[6:7], v[8:9], v[6:7]
.LBB63_618:
	s_mov_b32 s27, 0
.LBB63_619:
	s_delay_alu instid0(SALU_CYCLE_1)
	s_and_not1_b32 vcc_lo, exec_lo, s27
	s_cbranch_vccnz .LBB63_621
; %bb.620:
	global_load_u8 v1, v[4:5], off
	s_wait_loadcnt 0x0
	v_lshlrev_b32_e32 v3, 25, v1
	v_lshlrev_b16 v1, 8, v1
	s_delay_alu instid0(VALU_DEP_1) | instskip(SKIP_1) | instid1(VALU_DEP_2)
	v_and_or_b32 v7, 0x7f00, v1, 0.5
	v_bfe_i32 v1, v1, 0, 16
	v_add_f32_e32 v7, -0.5, v7
	v_lshrrev_b32_e32 v6, 4, v3
	v_cmp_gt_u32_e32 vcc_lo, 0x8000000, v3
	s_delay_alu instid0(VALU_DEP_2) | instskip(NEXT) | instid1(VALU_DEP_1)
	v_or_b32_e32 v6, 0x70000000, v6
	v_mul_f32_e32 v6, 0x7800000, v6
	s_delay_alu instid0(VALU_DEP_1) | instskip(NEXT) | instid1(VALU_DEP_1)
	v_cndmask_b32_e32 v3, v6, v7, vcc_lo
	v_and_or_b32 v1, 0x80000000, v1, v3
	s_delay_alu instid0(VALU_DEP_1) | instskip(NEXT) | instid1(VALU_DEP_1)
	v_trunc_f32_e32 v1, v1
	v_mul_f32_e64 v3, 0x2f800000, |v1|
	v_ashrrev_i32_e32 v6, 31, v1
	s_delay_alu instid0(VALU_DEP_2) | instskip(NEXT) | instid1(VALU_DEP_1)
	v_floor_f32_e32 v3, v3
	v_fma_f32 v7, 0xcf800000, v3, |v1|
	v_cvt_u32_f32_e32 v1, v3
	s_delay_alu instid0(VALU_DEP_2) | instskip(NEXT) | instid1(VALU_DEP_2)
	v_cvt_u32_f32_e32 v3, v7
	v_dual_mov_b32 v7, v6 :: v_dual_bitop2_b32 v9, v1, v6 bitop3:0x14
	s_delay_alu instid0(VALU_DEP_2) | instskip(NEXT) | instid1(VALU_DEP_1)
	v_xor_b32_e32 v8, v3, v6
	v_sub_nc_u64_e32 v[6:7], v[8:9], v[6:7]
.LBB63_621:
	s_mov_b32 s28, 0
	s_mov_b32 s27, -1
.LBB63_622:
	s_and_not1_b32 vcc_lo, exec_lo, s28
	s_cbranch_vccnz .LBB63_635
; %bb.623:
	s_cmp_gt_i32 s0, 14
	s_cbranch_scc0 .LBB63_626
; %bb.624:
	s_cmp_eq_u32 s0, 15
	s_cbranch_scc0 .LBB63_629
; %bb.625:
	global_load_u16 v1, v[4:5], off
	s_mov_b32 s27, -1
	s_mov_b32 s26, 0
	s_wait_loadcnt 0x0
	v_lshlrev_b32_e32 v1, 16, v1
	s_delay_alu instid0(VALU_DEP_1) | instskip(NEXT) | instid1(VALU_DEP_1)
	v_trunc_f32_e32 v1, v1
	v_mul_f32_e64 v3, 0x2f800000, |v1|
	v_ashrrev_i32_e32 v6, 31, v1
	s_delay_alu instid0(VALU_DEP_2) | instskip(NEXT) | instid1(VALU_DEP_1)
	v_floor_f32_e32 v3, v3
	v_fma_f32 v7, 0xcf800000, v3, |v1|
	v_cvt_u32_f32_e32 v1, v3
	s_delay_alu instid0(VALU_DEP_2) | instskip(NEXT) | instid1(VALU_DEP_2)
	v_cvt_u32_f32_e32 v3, v7
	v_dual_mov_b32 v7, v6 :: v_dual_bitop2_b32 v9, v1, v6 bitop3:0x14
	s_delay_alu instid0(VALU_DEP_2) | instskip(NEXT) | instid1(VALU_DEP_1)
	v_xor_b32_e32 v8, v3, v6
	v_sub_nc_u64_e32 v[6:7], v[8:9], v[6:7]
	s_branch .LBB63_630
.LBB63_626:
	s_mov_b32 s28, -1
                                        ; implicit-def: $vgpr6_vgpr7
	s_branch .LBB63_631
.LBB63_627:
	s_and_not1_saveexec_b32 s27, s27
	s_cbranch_execz .LBB63_608
.LBB63_628:
	v_cmp_ne_u16_e32 vcc_lo, 0, v1
	s_and_not1_b32 s28, s28, exec_lo
	s_and_b32 s29, vcc_lo, exec_lo
	s_delay_alu instid0(SALU_CYCLE_1)
	s_or_b32 s28, s28, s29
	s_or_b32 exec_lo, exec_lo, s27
	v_mov_b64_e32 v[6:7], 0
	s_and_saveexec_b32 s27, s28
	s_cbranch_execnz .LBB63_609
	s_branch .LBB63_610
.LBB63_629:
	s_mov_b32 s26, -1
                                        ; implicit-def: $vgpr6_vgpr7
.LBB63_630:
	s_mov_b32 s28, 0
.LBB63_631:
	s_delay_alu instid0(SALU_CYCLE_1)
	s_and_b32 vcc_lo, exec_lo, s28
	s_cbranch_vccz .LBB63_635
; %bb.632:
	s_cmp_eq_u32 s0, 11
	s_cbranch_scc0 .LBB63_634
; %bb.633:
	global_load_u8 v1, v[4:5], off
	s_mov_b32 s26, 0
	s_mov_b32 s27, -1
	s_wait_loadcnt 0x1
	v_mov_b32_e32 v7, s26
	s_wait_loadcnt 0x0
	v_cmp_ne_u16_e32 vcc_lo, 0, v1
	v_cndmask_b32_e64 v6, 0, 1, vcc_lo
	s_branch .LBB63_635
.LBB63_634:
	s_mov_b32 s26, -1
                                        ; implicit-def: $vgpr6_vgpr7
.LBB63_635:
	s_mov_b32 s28, 0
.LBB63_636:
	s_delay_alu instid0(SALU_CYCLE_1)
	s_and_b32 vcc_lo, exec_lo, s28
	s_cbranch_vccz .LBB63_685
; %bb.637:
	s_cmp_lt_i32 s0, 5
	s_cbranch_scc1 .LBB63_642
; %bb.638:
	s_cmp_lt_i32 s0, 8
	s_cbranch_scc1 .LBB63_643
	;; [unrolled: 3-line block ×3, first 2 shown]
; %bb.640:
	s_cmp_gt_i32 s0, 9
	s_cbranch_scc0 .LBB63_645
; %bb.641:
	s_wait_loadcnt 0x0
	global_load_b64 v[6:7], v[4:5], off
	s_mov_b32 s27, 0
	s_wait_loadcnt 0x0
	v_trunc_f64_e32 v[6:7], v[6:7]
	s_delay_alu instid0(VALU_DEP_1) | instskip(NEXT) | instid1(VALU_DEP_1)
	v_ldexp_f64 v[8:9], v[6:7], 0xffffffe0
	v_floor_f64_e32 v[8:9], v[8:9]
	s_delay_alu instid0(VALU_DEP_1) | instskip(SKIP_1) | instid1(VALU_DEP_2)
	v_fmamk_f64 v[10:11], v[8:9], 0xc1f00000, v[6:7]
	v_cvt_i32_f64_e32 v7, v[8:9]
	v_cvt_u32_f64_e32 v6, v[10:11]
	s_branch .LBB63_646
.LBB63_642:
	s_mov_b32 s27, -1
                                        ; implicit-def: $vgpr6_vgpr7
	s_branch .LBB63_664
.LBB63_643:
	s_mov_b32 s27, -1
                                        ; implicit-def: $vgpr6_vgpr7
	s_branch .LBB63_652
.LBB63_644:
	s_mov_b32 s27, -1
                                        ; implicit-def: $vgpr6_vgpr7
	s_branch .LBB63_649
.LBB63_645:
	s_mov_b32 s27, -1
                                        ; implicit-def: $vgpr6_vgpr7
.LBB63_646:
	s_delay_alu instid0(SALU_CYCLE_1)
	s_and_not1_b32 vcc_lo, exec_lo, s27
	s_cbranch_vccnz .LBB63_648
; %bb.647:
	global_load_b32 v1, v[4:5], off
	s_wait_loadcnt 0x0
	v_trunc_f32_e32 v1, v1
	s_delay_alu instid0(VALU_DEP_1) | instskip(SKIP_1) | instid1(VALU_DEP_2)
	v_mul_f32_e64 v3, 0x2f800000, |v1|
	v_ashrrev_i32_e32 v6, 31, v1
	v_floor_f32_e32 v3, v3
	s_delay_alu instid0(VALU_DEP_1) | instskip(SKIP_1) | instid1(VALU_DEP_2)
	v_fma_f32 v7, 0xcf800000, v3, |v1|
	v_cvt_u32_f32_e32 v1, v3
	v_cvt_u32_f32_e32 v3, v7
	s_delay_alu instid0(VALU_DEP_2) | instskip(NEXT) | instid1(VALU_DEP_2)
	v_dual_mov_b32 v7, v6 :: v_dual_bitop2_b32 v9, v1, v6 bitop3:0x14
	v_xor_b32_e32 v8, v3, v6
	s_delay_alu instid0(VALU_DEP_1)
	v_sub_nc_u64_e32 v[6:7], v[8:9], v[6:7]
.LBB63_648:
	s_mov_b32 s27, 0
.LBB63_649:
	s_delay_alu instid0(SALU_CYCLE_1)
	s_and_not1_b32 vcc_lo, exec_lo, s27
	s_cbranch_vccnz .LBB63_651
; %bb.650:
	global_load_b32 v1, v[4:5], off
	s_wait_loadcnt 0x0
	v_cvt_f32_f16_e32 v1, v1
	s_delay_alu instid0(VALU_DEP_1) | instskip(NEXT) | instid1(VALU_DEP_1)
	v_cvt_i32_f32_e32 v6, v1
	v_ashrrev_i32_e32 v7, 31, v6
.LBB63_651:
	s_mov_b32 s27, 0
.LBB63_652:
	s_delay_alu instid0(SALU_CYCLE_1)
	s_and_not1_b32 vcc_lo, exec_lo, s27
	s_cbranch_vccnz .LBB63_663
; %bb.653:
	s_cmp_lt_i32 s0, 6
	s_cbranch_scc1 .LBB63_656
; %bb.654:
	s_cmp_gt_i32 s0, 6
	s_cbranch_scc0 .LBB63_657
; %bb.655:
	s_wait_loadcnt 0x0
	global_load_b64 v[6:7], v[4:5], off
	s_mov_b32 s27, 0
	s_wait_loadcnt 0x0
	v_trunc_f64_e32 v[6:7], v[6:7]
	s_delay_alu instid0(VALU_DEP_1) | instskip(NEXT) | instid1(VALU_DEP_1)
	v_ldexp_f64 v[8:9], v[6:7], 0xffffffe0
	v_floor_f64_e32 v[8:9], v[8:9]
	s_delay_alu instid0(VALU_DEP_1) | instskip(SKIP_1) | instid1(VALU_DEP_2)
	v_fmamk_f64 v[10:11], v[8:9], 0xc1f00000, v[6:7]
	v_cvt_i32_f64_e32 v7, v[8:9]
	v_cvt_u32_f64_e32 v6, v[10:11]
	s_branch .LBB63_658
.LBB63_656:
	s_mov_b32 s27, -1
                                        ; implicit-def: $vgpr6_vgpr7
	s_branch .LBB63_661
.LBB63_657:
	s_mov_b32 s27, -1
                                        ; implicit-def: $vgpr6_vgpr7
.LBB63_658:
	s_delay_alu instid0(SALU_CYCLE_1)
	s_and_not1_b32 vcc_lo, exec_lo, s27
	s_cbranch_vccnz .LBB63_660
; %bb.659:
	global_load_b32 v1, v[4:5], off
	s_wait_loadcnt 0x0
	v_trunc_f32_e32 v1, v1
	s_delay_alu instid0(VALU_DEP_1) | instskip(SKIP_1) | instid1(VALU_DEP_2)
	v_mul_f32_e64 v3, 0x2f800000, |v1|
	v_ashrrev_i32_e32 v6, 31, v1
	v_floor_f32_e32 v3, v3
	s_delay_alu instid0(VALU_DEP_1) | instskip(SKIP_1) | instid1(VALU_DEP_2)
	v_fma_f32 v7, 0xcf800000, v3, |v1|
	v_cvt_u32_f32_e32 v1, v3
	v_cvt_u32_f32_e32 v3, v7
	s_delay_alu instid0(VALU_DEP_2) | instskip(NEXT) | instid1(VALU_DEP_2)
	v_dual_mov_b32 v7, v6 :: v_dual_bitop2_b32 v9, v1, v6 bitop3:0x14
	v_xor_b32_e32 v8, v3, v6
	s_delay_alu instid0(VALU_DEP_1)
	v_sub_nc_u64_e32 v[6:7], v[8:9], v[6:7]
.LBB63_660:
	s_mov_b32 s27, 0
.LBB63_661:
	s_delay_alu instid0(SALU_CYCLE_1)
	s_and_not1_b32 vcc_lo, exec_lo, s27
	s_cbranch_vccnz .LBB63_663
; %bb.662:
	global_load_u16 v1, v[4:5], off
	s_wait_loadcnt 0x0
	v_cvt_f32_f16_e32 v1, v1
	s_delay_alu instid0(VALU_DEP_1) | instskip(NEXT) | instid1(VALU_DEP_1)
	v_cvt_i32_f32_e32 v6, v1
	v_ashrrev_i32_e32 v7, 31, v6
.LBB63_663:
	s_mov_b32 s27, 0
.LBB63_664:
	s_delay_alu instid0(SALU_CYCLE_1)
	s_and_not1_b32 vcc_lo, exec_lo, s27
	s_cbranch_vccnz .LBB63_684
; %bb.665:
	s_cmp_lt_i32 s0, 2
	s_cbranch_scc1 .LBB63_669
; %bb.666:
	s_cmp_lt_i32 s0, 3
	s_cbranch_scc1 .LBB63_670
; %bb.667:
	s_cmp_gt_i32 s0, 3
	s_cbranch_scc0 .LBB63_671
; %bb.668:
	s_wait_loadcnt 0x0
	global_load_b64 v[6:7], v[4:5], off
	s_mov_b32 s27, 0
	s_branch .LBB63_672
.LBB63_669:
	s_mov_b32 s27, -1
                                        ; implicit-def: $vgpr6_vgpr7
	s_branch .LBB63_678
.LBB63_670:
	s_mov_b32 s27, -1
                                        ; implicit-def: $vgpr6_vgpr7
	s_branch .LBB63_675
.LBB63_671:
	s_mov_b32 s27, -1
                                        ; implicit-def: $vgpr6_vgpr7
.LBB63_672:
	s_delay_alu instid0(SALU_CYCLE_1)
	s_and_not1_b32 vcc_lo, exec_lo, s27
	s_cbranch_vccnz .LBB63_674
; %bb.673:
	s_wait_loadcnt 0x0
	global_load_b32 v6, v[4:5], off
	s_wait_loadcnt 0x0
	v_ashrrev_i32_e32 v7, 31, v6
.LBB63_674:
	s_mov_b32 s27, 0
.LBB63_675:
	s_delay_alu instid0(SALU_CYCLE_1)
	s_and_not1_b32 vcc_lo, exec_lo, s27
	s_cbranch_vccnz .LBB63_677
; %bb.676:
	global_load_u16 v1, v[4:5], off
	s_wait_loadcnt 0x0
	v_bfe_i32 v6, v1, 0, 16
	s_delay_alu instid0(VALU_DEP_1)
	v_ashrrev_i32_e32 v7, 31, v6
.LBB63_677:
	s_mov_b32 s27, 0
.LBB63_678:
	s_delay_alu instid0(SALU_CYCLE_1)
	s_and_not1_b32 vcc_lo, exec_lo, s27
	s_cbranch_vccnz .LBB63_684
; %bb.679:
	s_cmp_gt_i32 s0, 0
	s_mov_b32 s0, 0
	s_cbranch_scc0 .LBB63_681
; %bb.680:
	global_load_i8 v1, v[4:5], off
	s_wait_loadcnt 0x0
	v_bfe_i32 v6, v1, 0, 16
	s_delay_alu instid0(VALU_DEP_1)
	v_ashrrev_i32_e32 v7, 31, v6
	s_branch .LBB63_682
.LBB63_681:
	s_mov_b32 s0, -1
                                        ; implicit-def: $vgpr6_vgpr7
.LBB63_682:
	s_delay_alu instid0(SALU_CYCLE_1)
	s_and_not1_b32 vcc_lo, exec_lo, s0
	s_cbranch_vccnz .LBB63_684
; %bb.683:
	global_load_u8 v1, v[4:5], off
	s_mov_b32 s0, 0
	s_wait_loadcnt 0x1
	v_mov_b32_e32 v7, s0
	s_wait_loadcnt 0x0
	v_and_b32_e32 v6, 0xffff, v1
.LBB63_684:
	s_mov_b32 s27, -1
.LBB63_685:
	s_delay_alu instid0(SALU_CYCLE_1)
	s_and_not1_b32 vcc_lo, exec_lo, s27
	s_cbranch_vccnz .LBB63_693
; %bb.686:
	v_mov_b32_e32 v3, 0
	s_wait_loadcnt 0x0
	s_delay_alu instid0(VALU_DEP_2) | instskip(SKIP_1) | instid1(VALU_DEP_2)
	v_cmp_ne_u64_e32 vcc_lo, s[16:17], v[6:7]
	s_and_b32 s28, s18, 0xff
	v_add_nc_u64_e32 v[2:3], s[4:5], v[2:3]
	s_xor_b32 s27, s9, vcc_lo
	s_cmp_lt_i32 s28, 11
	s_cbranch_scc1 .LBB63_694
; %bb.687:
	s_and_b32 s29, 0xffff, s28
	s_delay_alu instid0(SALU_CYCLE_1)
	s_cmp_gt_i32 s29, 25
	s_cbranch_scc0 .LBB63_695
; %bb.688:
	s_cmp_gt_i32 s29, 28
	s_cbranch_scc0 .LBB63_696
; %bb.689:
	;; [unrolled: 3-line block ×4, first 2 shown]
	s_mov_b32 s31, 0
	s_mov_b32 s0, -1
	s_cmp_eq_u32 s29, 46
	s_mov_b32 s30, 0
	s_cbranch_scc0 .LBB63_699
; %bb.692:
	v_cndmask_b32_e64 v1, 0, 1.0, s27
	s_mov_b32 s30, -1
	s_mov_b32 s0, 0
	s_wait_xcnt 0x0
	s_delay_alu instid0(VALU_DEP_1) | instskip(NEXT) | instid1(VALU_DEP_1)
	v_bfe_u32 v4, v1, 16, 1
	v_add3_u32 v1, v1, v4, 0x7fff
	s_delay_alu instid0(VALU_DEP_1)
	v_lshrrev_b32_e32 v1, 16, v1
	global_store_b32 v[2:3], v1, off
	s_branch .LBB63_699
.LBB63_693:
	s_mov_b32 s27, 0
	s_mov_b32 s0, s46
	s_branch .LBB63_810
.LBB63_694:
	s_mov_b32 s29, -1
	s_mov_b32 s30, 0
	s_mov_b32 s0, s46
	s_branch .LBB63_768
.LBB63_695:
	s_mov_b32 s31, -1
	s_mov_b32 s30, 0
	s_mov_b32 s0, s46
	s_branch .LBB63_726
.LBB63_696:
	s_mov_b32 s31, -1
	s_mov_b32 s30, 0
	s_mov_b32 s0, s46
	s_branch .LBB63_709
.LBB63_697:
	s_mov_b32 s31, -1
	s_mov_b32 s30, 0
	s_mov_b32 s0, s46
	s_branch .LBB63_705
.LBB63_698:
	s_mov_b32 s31, -1
	s_mov_b32 s30, 0
	s_mov_b32 s0, s46
.LBB63_699:
	s_and_b32 vcc_lo, exec_lo, s31
	s_cbranch_vccz .LBB63_704
; %bb.700:
	s_cmp_eq_u32 s29, 44
	s_mov_b32 s0, -1
	s_cbranch_scc0 .LBB63_704
; %bb.701:
	s_wait_xcnt 0x0
	v_cndmask_b32_e64 v5, 0, 1.0, s27
	s_mov_b32 s30, exec_lo
	s_delay_alu instid0(VALU_DEP_1) | instskip(NEXT) | instid1(VALU_DEP_1)
	v_dual_mov_b32 v4, 0xff :: v_dual_lshrrev_b32 v1, 23, v5
	v_cmpx_ne_u32_e32 0xff, v1
; %bb.702:
	v_and_b32_e32 v4, 0x400000, v5
	v_and_or_b32 v5, 0x3fffff, v5, v1
	s_delay_alu instid0(VALU_DEP_2) | instskip(NEXT) | instid1(VALU_DEP_2)
	v_cmp_ne_u32_e32 vcc_lo, 0, v4
	v_cmp_ne_u32_e64 s0, 0, v5
	s_and_b32 s0, vcc_lo, s0
	s_delay_alu instid0(SALU_CYCLE_1) | instskip(NEXT) | instid1(VALU_DEP_1)
	v_cndmask_b32_e64 v4, 0, 1, s0
	v_add_nc_u32_e32 v4, v1, v4
; %bb.703:
	s_or_b32 exec_lo, exec_lo, s30
	s_mov_b32 s30, -1
	s_mov_b32 s0, 0
	global_store_b8 v[2:3], v4, off
.LBB63_704:
	s_mov_b32 s31, 0
.LBB63_705:
	s_delay_alu instid0(SALU_CYCLE_1)
	s_and_b32 vcc_lo, exec_lo, s31
	s_cbranch_vccz .LBB63_708
; %bb.706:
	s_cmp_eq_u32 s29, 29
	s_mov_b32 s0, -1
	s_cbranch_scc0 .LBB63_708
; %bb.707:
	s_mov_b32 s0, 0
	s_wait_xcnt 0x0
	v_cndmask_b32_e64 v4, 0, 1, s27
	v_mov_b32_e32 v5, s0
	s_mov_b32 s30, -1
	s_mov_b32 s31, 0
	global_store_b64 v[2:3], v[4:5], off
	s_branch .LBB63_709
.LBB63_708:
	s_mov_b32 s31, 0
.LBB63_709:
	s_delay_alu instid0(SALU_CYCLE_1)
	s_and_b32 vcc_lo, exec_lo, s31
	s_cbranch_vccz .LBB63_725
; %bb.710:
	s_cmp_lt_i32 s29, 27
	s_mov_b32 s30, -1
	s_cbranch_scc1 .LBB63_716
; %bb.711:
	s_cmp_gt_i32 s29, 27
	s_cbranch_scc0 .LBB63_713
; %bb.712:
	s_wait_xcnt 0x0
	v_cndmask_b32_e64 v1, 0, 1, s27
	s_mov_b32 s30, 0
	global_store_b32 v[2:3], v1, off
.LBB63_713:
	s_and_not1_b32 vcc_lo, exec_lo, s30
	s_cbranch_vccnz .LBB63_715
; %bb.714:
	s_wait_xcnt 0x0
	v_cndmask_b32_e64 v1, 0, 1, s27
	global_store_b16 v[2:3], v1, off
.LBB63_715:
	s_mov_b32 s30, 0
.LBB63_716:
	s_delay_alu instid0(SALU_CYCLE_1)
	s_and_not1_b32 vcc_lo, exec_lo, s30
	s_cbranch_vccnz .LBB63_724
; %bb.717:
	s_wait_xcnt 0x0
	v_cndmask_b32_e64 v4, 0, 1.0, s27
	v_mov_b32_e32 v5, 0x80
	s_mov_b32 s30, exec_lo
	s_delay_alu instid0(VALU_DEP_2)
	v_cmpx_gt_u32_e32 0x43800000, v4
	s_cbranch_execz .LBB63_723
; %bb.718:
	s_mov_b32 s31, 0
	s_mov_b32 s49, exec_lo
                                        ; implicit-def: $vgpr1
	v_cmpx_lt_u32_e32 0x3bffffff, v4
	s_xor_b32 s49, exec_lo, s49
	s_cbranch_execz .LBB63_842
; %bb.719:
	v_bfe_u32 v1, v4, 20, 1
	s_mov_b32 s31, exec_lo
	s_delay_alu instid0(VALU_DEP_1) | instskip(NEXT) | instid1(VALU_DEP_1)
	v_add3_u32 v1, v4, v1, 0x487ffff
                                        ; implicit-def: $vgpr4
	v_lshrrev_b32_e32 v1, 20, v1
	s_and_not1_saveexec_b32 s49, s49
	s_cbranch_execnz .LBB63_843
.LBB63_720:
	s_or_b32 exec_lo, exec_lo, s49
	v_mov_b32_e32 v5, 0
	s_and_saveexec_b32 s49, s31
.LBB63_721:
	v_mov_b32_e32 v5, v1
.LBB63_722:
	s_or_b32 exec_lo, exec_lo, s49
.LBB63_723:
	s_delay_alu instid0(SALU_CYCLE_1)
	s_or_b32 exec_lo, exec_lo, s30
	global_store_b8 v[2:3], v5, off
.LBB63_724:
	s_mov_b32 s30, -1
.LBB63_725:
	s_mov_b32 s31, 0
.LBB63_726:
	s_delay_alu instid0(SALU_CYCLE_1)
	s_and_b32 vcc_lo, exec_lo, s31
	s_cbranch_vccz .LBB63_767
; %bb.727:
	s_cmp_gt_i32 s29, 22
	s_mov_b32 s31, -1
	s_cbranch_scc0 .LBB63_759
; %bb.728:
	s_cmp_lt_i32 s29, 24
	s_mov_b32 s30, -1
	s_cbranch_scc1 .LBB63_748
; %bb.729:
	s_cmp_gt_i32 s29, 24
	s_cbranch_scc0 .LBB63_737
; %bb.730:
	s_wait_xcnt 0x0
	v_cndmask_b32_e64 v4, 0, 1.0, s27
	v_mov_b32_e32 v5, 0x80
	s_mov_b32 s30, exec_lo
	s_delay_alu instid0(VALU_DEP_2)
	v_cmpx_gt_u32_e32 0x47800000, v4
	s_cbranch_execz .LBB63_736
; %bb.731:
	s_mov_b32 s31, 0
	s_mov_b32 s49, exec_lo
                                        ; implicit-def: $vgpr1
	v_cmpx_lt_u32_e32 0x37ffffff, v4
	s_xor_b32 s49, exec_lo, s49
	s_cbranch_execz .LBB63_845
; %bb.732:
	v_bfe_u32 v1, v4, 21, 1
	s_mov_b32 s31, exec_lo
	s_delay_alu instid0(VALU_DEP_1) | instskip(NEXT) | instid1(VALU_DEP_1)
	v_add3_u32 v1, v4, v1, 0x88fffff
                                        ; implicit-def: $vgpr4
	v_lshrrev_b32_e32 v1, 21, v1
	s_and_not1_saveexec_b32 s49, s49
	s_cbranch_execnz .LBB63_846
.LBB63_733:
	s_or_b32 exec_lo, exec_lo, s49
	v_mov_b32_e32 v5, 0
	s_and_saveexec_b32 s49, s31
.LBB63_734:
	v_mov_b32_e32 v5, v1
.LBB63_735:
	s_or_b32 exec_lo, exec_lo, s49
.LBB63_736:
	s_delay_alu instid0(SALU_CYCLE_1)
	s_or_b32 exec_lo, exec_lo, s30
	s_mov_b32 s30, 0
	global_store_b8 v[2:3], v5, off
.LBB63_737:
	s_and_b32 vcc_lo, exec_lo, s30
	s_cbranch_vccz .LBB63_747
; %bb.738:
	s_wait_xcnt 0x0
	v_cndmask_b32_e64 v4, 0, 1.0, s27
	s_mov_b32 s30, exec_lo
                                        ; implicit-def: $vgpr1
	s_delay_alu instid0(VALU_DEP_1)
	v_cmpx_gt_u32_e32 0x43f00000, v4
	s_xor_b32 s30, exec_lo, s30
	s_cbranch_execz .LBB63_744
; %bb.739:
	s_mov_b32 s31, exec_lo
                                        ; implicit-def: $vgpr1
	v_cmpx_lt_u32_e32 0x3c7fffff, v4
	s_xor_b32 s31, exec_lo, s31
; %bb.740:
	v_bfe_u32 v1, v4, 20, 1
	s_delay_alu instid0(VALU_DEP_1) | instskip(NEXT) | instid1(VALU_DEP_1)
	v_add3_u32 v1, v4, v1, 0x407ffff
	v_and_b32_e32 v4, 0xff00000, v1
	v_lshrrev_b32_e32 v1, 20, v1
	s_delay_alu instid0(VALU_DEP_2) | instskip(NEXT) | instid1(VALU_DEP_2)
	v_cmp_ne_u32_e32 vcc_lo, 0x7f00000, v4
                                        ; implicit-def: $vgpr4
	v_cndmask_b32_e32 v1, 0x7e, v1, vcc_lo
; %bb.741:
	s_and_not1_saveexec_b32 s31, s31
; %bb.742:
	v_add_f32_e32 v1, 0x46800000, v4
; %bb.743:
	s_or_b32 exec_lo, exec_lo, s31
                                        ; implicit-def: $vgpr4
.LBB63_744:
	s_and_not1_saveexec_b32 s30, s30
; %bb.745:
	v_mov_b32_e32 v1, 0x7f
	v_cmp_lt_u32_e32 vcc_lo, 0x7f800000, v4
	s_delay_alu instid0(VALU_DEP_2)
	v_cndmask_b32_e32 v1, 0x7e, v1, vcc_lo
; %bb.746:
	s_or_b32 exec_lo, exec_lo, s30
	global_store_b8 v[2:3], v1, off
.LBB63_747:
	s_mov_b32 s30, 0
.LBB63_748:
	s_delay_alu instid0(SALU_CYCLE_1)
	s_and_not1_b32 vcc_lo, exec_lo, s30
	s_cbranch_vccnz .LBB63_758
; %bb.749:
	s_wait_xcnt 0x0
	v_cndmask_b32_e64 v4, 0, 1.0, s27
	s_mov_b32 s30, exec_lo
                                        ; implicit-def: $vgpr1
	s_delay_alu instid0(VALU_DEP_1)
	v_cmpx_gt_u32_e32 0x47800000, v4
	s_xor_b32 s30, exec_lo, s30
	s_cbranch_execz .LBB63_755
; %bb.750:
	s_mov_b32 s31, exec_lo
                                        ; implicit-def: $vgpr1
	v_cmpx_lt_u32_e32 0x387fffff, v4
	s_xor_b32 s31, exec_lo, s31
; %bb.751:
	v_bfe_u32 v1, v4, 21, 1
	s_delay_alu instid0(VALU_DEP_1) | instskip(NEXT) | instid1(VALU_DEP_1)
	v_add3_u32 v1, v4, v1, 0x80fffff
                                        ; implicit-def: $vgpr4
	v_lshrrev_b32_e32 v1, 21, v1
; %bb.752:
	s_and_not1_saveexec_b32 s31, s31
; %bb.753:
	v_add_f32_e32 v1, 0x43000000, v4
; %bb.754:
	s_or_b32 exec_lo, exec_lo, s31
                                        ; implicit-def: $vgpr4
.LBB63_755:
	s_and_not1_saveexec_b32 s30, s30
; %bb.756:
	v_mov_b32_e32 v1, 0x7f
	v_cmp_lt_u32_e32 vcc_lo, 0x7f800000, v4
	s_delay_alu instid0(VALU_DEP_2)
	v_cndmask_b32_e32 v1, 0x7c, v1, vcc_lo
; %bb.757:
	s_or_b32 exec_lo, exec_lo, s30
	global_store_b8 v[2:3], v1, off
.LBB63_758:
	s_mov_b32 s31, 0
	s_mov_b32 s30, -1
.LBB63_759:
	s_and_not1_b32 vcc_lo, exec_lo, s31
	s_cbranch_vccnz .LBB63_767
; %bb.760:
	s_cmp_gt_i32 s29, 14
	s_mov_b32 s31, -1
	s_cbranch_scc0 .LBB63_764
; %bb.761:
	s_cmp_eq_u32 s29, 15
	s_mov_b32 s0, -1
	s_cbranch_scc0 .LBB63_763
; %bb.762:
	s_wait_xcnt 0x0
	v_cndmask_b32_e64 v1, 0, 1.0, s27
	s_mov_b32 s30, -1
	s_mov_b32 s0, 0
	s_delay_alu instid0(VALU_DEP_1) | instskip(NEXT) | instid1(VALU_DEP_1)
	v_bfe_u32 v4, v1, 16, 1
	v_add3_u32 v1, v1, v4, 0x7fff
	global_store_d16_hi_b16 v[2:3], v1, off
.LBB63_763:
	s_mov_b32 s31, 0
.LBB63_764:
	s_delay_alu instid0(SALU_CYCLE_1)
	s_and_b32 vcc_lo, exec_lo, s31
	s_cbranch_vccz .LBB63_767
; %bb.765:
	s_cmp_eq_u32 s29, 11
	s_mov_b32 s0, -1
	s_cbranch_scc0 .LBB63_767
; %bb.766:
	s_wait_xcnt 0x0
	v_cndmask_b32_e64 v1, 0, 1, s27
	s_mov_b32 s30, -1
	s_mov_b32 s0, 0
	global_store_b8 v[2:3], v1, off
.LBB63_767:
	s_mov_b32 s29, 0
.LBB63_768:
	s_delay_alu instid0(SALU_CYCLE_1)
	s_and_b32 vcc_lo, exec_lo, s29
	s_cbranch_vccz .LBB63_807
; %bb.769:
	s_and_b32 s28, 0xffff, s28
	s_mov_b32 s29, -1
	s_cmp_lt_i32 s28, 5
	s_cbranch_scc1 .LBB63_790
; %bb.770:
	s_cmp_lt_i32 s28, 8
	s_cbranch_scc1 .LBB63_780
; %bb.771:
	;; [unrolled: 3-line block ×3, first 2 shown]
	s_cmp_gt_i32 s28, 9
	s_cbranch_scc0 .LBB63_774
; %bb.773:
	s_wait_xcnt 0x0
	v_cndmask_b32_e64 v1, 0, 1, s27
	v_mov_b32_e32 v6, 0
	s_mov_b32 s29, 0
	s_delay_alu instid0(VALU_DEP_2) | instskip(NEXT) | instid1(VALU_DEP_2)
	v_cvt_f64_u32_e32 v[4:5], v1
	v_mov_b32_e32 v7, v6
	global_store_b128 v[2:3], v[4:7], off
.LBB63_774:
	s_and_not1_b32 vcc_lo, exec_lo, s29
	s_cbranch_vccnz .LBB63_776
; %bb.775:
	s_wait_xcnt 0x0
	v_cndmask_b32_e64 v4, 0, 1.0, s27
	v_mov_b32_e32 v5, 0
	global_store_b64 v[2:3], v[4:5], off
.LBB63_776:
	s_mov_b32 s29, 0
.LBB63_777:
	s_delay_alu instid0(SALU_CYCLE_1)
	s_and_not1_b32 vcc_lo, exec_lo, s29
	s_cbranch_vccnz .LBB63_779
; %bb.778:
	s_wait_xcnt 0x0
	v_cndmask_b32_e64 v1, 0, 1.0, s27
	s_delay_alu instid0(VALU_DEP_1) | instskip(NEXT) | instid1(VALU_DEP_1)
	v_cvt_f16_f32_e32 v1, v1
	v_and_b32_e32 v1, 0xffff, v1
	global_store_b32 v[2:3], v1, off
.LBB63_779:
	s_mov_b32 s29, 0
.LBB63_780:
	s_delay_alu instid0(SALU_CYCLE_1)
	s_and_not1_b32 vcc_lo, exec_lo, s29
	s_cbranch_vccnz .LBB63_789
; %bb.781:
	s_cmp_lt_i32 s28, 6
	s_mov_b32 s29, -1
	s_cbranch_scc1 .LBB63_787
; %bb.782:
	s_cmp_gt_i32 s28, 6
	s_cbranch_scc0 .LBB63_784
; %bb.783:
	s_wait_xcnt 0x0
	v_cndmask_b32_e64 v1, 0, 1, s27
	s_mov_b32 s29, 0
	s_delay_alu instid0(VALU_DEP_1)
	v_cvt_f64_u32_e32 v[4:5], v1
	global_store_b64 v[2:3], v[4:5], off
.LBB63_784:
	s_and_not1_b32 vcc_lo, exec_lo, s29
	s_cbranch_vccnz .LBB63_786
; %bb.785:
	s_wait_xcnt 0x0
	v_cndmask_b32_e64 v1, 0, 1.0, s27
	global_store_b32 v[2:3], v1, off
.LBB63_786:
	s_mov_b32 s29, 0
.LBB63_787:
	s_delay_alu instid0(SALU_CYCLE_1)
	s_and_not1_b32 vcc_lo, exec_lo, s29
	s_cbranch_vccnz .LBB63_789
; %bb.788:
	s_wait_xcnt 0x0
	v_cndmask_b32_e64 v1, 0, 1.0, s27
	s_delay_alu instid0(VALU_DEP_1)
	v_cvt_f16_f32_e32 v1, v1
	global_store_b16 v[2:3], v1, off
.LBB63_789:
	s_mov_b32 s29, 0
.LBB63_790:
	s_delay_alu instid0(SALU_CYCLE_1)
	s_and_not1_b32 vcc_lo, exec_lo, s29
	s_cbranch_vccnz .LBB63_806
; %bb.791:
	s_cmp_lt_i32 s28, 2
	s_mov_b32 s29, -1
	s_cbranch_scc1 .LBB63_801
; %bb.792:
	s_cmp_lt_i32 s28, 3
	s_cbranch_scc1 .LBB63_798
; %bb.793:
	s_cmp_gt_i32 s28, 3
	s_cbranch_scc0 .LBB63_795
; %bb.794:
	s_mov_b32 s29, 0
	s_wait_xcnt 0x0
	v_cndmask_b32_e64 v4, 0, 1, s27
	v_mov_b32_e32 v5, s29
	global_store_b64 v[2:3], v[4:5], off
.LBB63_795:
	s_and_not1_b32 vcc_lo, exec_lo, s29
	s_cbranch_vccnz .LBB63_797
; %bb.796:
	s_wait_xcnt 0x0
	v_cndmask_b32_e64 v1, 0, 1, s27
	global_store_b32 v[2:3], v1, off
.LBB63_797:
	s_mov_b32 s29, 0
.LBB63_798:
	s_delay_alu instid0(SALU_CYCLE_1)
	s_and_not1_b32 vcc_lo, exec_lo, s29
	s_cbranch_vccnz .LBB63_800
; %bb.799:
	s_wait_xcnt 0x0
	v_cndmask_b32_e64 v1, 0, 1, s27
	global_store_b16 v[2:3], v1, off
.LBB63_800:
	s_mov_b32 s29, 0
.LBB63_801:
	s_delay_alu instid0(SALU_CYCLE_1)
	s_and_not1_b32 vcc_lo, exec_lo, s29
	s_cbranch_vccnz .LBB63_806
; %bb.802:
	s_wait_xcnt 0x0
	v_cndmask_b32_e64 v1, 0, 1, s27
	s_cmp_gt_i32 s28, 0
	s_mov_b32 s27, -1
	s_cbranch_scc0 .LBB63_804
; %bb.803:
	s_mov_b32 s27, 0
	global_store_b8 v[2:3], v1, off
.LBB63_804:
	s_and_not1_b32 vcc_lo, exec_lo, s27
	s_cbranch_vccnz .LBB63_806
; %bb.805:
	global_store_b8 v[2:3], v1, off
.LBB63_806:
	s_mov_b32 s30, -1
.LBB63_807:
	s_delay_alu instid0(SALU_CYCLE_1)
	s_and_not1_b32 vcc_lo, exec_lo, s30
	s_cbranch_vccnz .LBB63_809
; %bb.808:
	v_add_nc_u32_e32 v0, 0x80, v0
	s_mov_b32 s27, -1
	s_branch .LBB63_811
.LBB63_809:
	s_mov_b32 s27, 0
.LBB63_810:
                                        ; implicit-def: $vgpr0
.LBB63_811:
	s_and_not1_b32 s28, s46, exec_lo
	s_and_b32 s0, s0, exec_lo
	s_and_not1_b32 s29, s45, exec_lo
	s_and_b32 s26, s26, exec_lo
	s_or_b32 s30, s28, s0
	s_or_b32 s0, s29, s26
	s_or_not1_b32 s29, s27, exec_lo
.LBB63_812:
	s_wait_xcnt 0x0
	s_or_b32 exec_lo, exec_lo, s48
	s_mov_b32 s27, 0
	s_mov_b32 s26, 0
	;; [unrolled: 1-line block ×3, first 2 shown]
                                        ; implicit-def: $vgpr4_vgpr5
                                        ; implicit-def: $vgpr2
                                        ; implicit-def: $vgpr6_vgpr7
	s_and_saveexec_b32 s31, s29
	s_cbranch_execz .LBB63_910
; %bb.813:
	v_cmp_gt_i32_e32 vcc_lo, s39, v0
	s_mov_b32 s29, s0
                                        ; implicit-def: $vgpr4_vgpr5
                                        ; implicit-def: $vgpr2
                                        ; implicit-def: $vgpr6_vgpr7
	s_and_saveexec_b32 s39, vcc_lo
	s_cbranch_execz .LBB63_909
; %bb.814:
	s_and_not1_b32 vcc_lo, exec_lo, s35
	s_cbranch_vccnz .LBB63_820
; %bb.815:
	s_and_not1_b32 vcc_lo, exec_lo, s41
	s_cbranch_vccnz .LBB63_821
; %bb.816:
	s_add_co_i32 s40, s40, 1
	s_cmp_eq_u32 s33, 2
	s_cbranch_scc1 .LBB63_822
; %bb.817:
	v_dual_mov_b32 v2, 0 :: v_dual_mov_b32 v4, 0
	v_mov_b32_e32 v1, v0
	s_and_b32 s26, s40, 28
	s_mov_b64 s[28:29], s[2:3]
.LBB63_818:                             ; =>This Inner Loop Header: Depth=1
	s_clause 0x1
	s_load_b256 s[48:55], s[28:29], 0x4
	s_load_b128 s[64:67], s[28:29], 0x24
	s_load_b256 s[56:63], s[24:25], 0x0
	s_add_co_i32 s27, s27, 4
	s_wait_xcnt 0x0
	s_add_nc_u64 s[28:29], s[28:29], 48
	s_cmp_eq_u32 s26, s27
	s_add_nc_u64 s[24:25], s[24:25], 32
	s_wait_kmcnt 0x0
	v_mul_hi_u32 v3, s49, v1
	s_delay_alu instid0(VALU_DEP_1) | instskip(NEXT) | instid1(VALU_DEP_1)
	v_add_nc_u32_e32 v3, v1, v3
	v_lshrrev_b32_e32 v3, s50, v3
	s_delay_alu instid0(VALU_DEP_1) | instskip(NEXT) | instid1(VALU_DEP_1)
	v_mul_hi_u32 v5, s52, v3
	v_add_nc_u32_e32 v5, v3, v5
	s_delay_alu instid0(VALU_DEP_1) | instskip(SKIP_1) | instid1(VALU_DEP_1)
	v_lshrrev_b32_e32 v5, s53, v5
	s_wait_loadcnt 0x0
	v_mul_hi_u32 v6, s55, v5
	s_delay_alu instid0(VALU_DEP_1) | instskip(SKIP_1) | instid1(VALU_DEP_1)
	v_add_nc_u32_e32 v6, v5, v6
	v_mul_lo_u32 v7, v3, s48
	v_sub_nc_u32_e32 v1, v1, v7
	v_mul_lo_u32 v7, v5, s51
	s_delay_alu instid0(VALU_DEP_4) | instskip(NEXT) | instid1(VALU_DEP_3)
	v_lshrrev_b32_e32 v6, s64, v6
	v_mad_u32 v4, v1, s57, v4
	v_mad_u32 v1, v1, s56, v2
	s_delay_alu instid0(VALU_DEP_4) | instskip(NEXT) | instid1(VALU_DEP_4)
	v_sub_nc_u32_e32 v2, v3, v7
	v_mul_hi_u32 v8, s66, v6
	v_mul_lo_u32 v3, v6, s54
	s_delay_alu instid0(VALU_DEP_3) | instskip(SKIP_1) | instid1(VALU_DEP_3)
	v_mad_u32 v4, v2, s59, v4
	v_mad_u32 v2, v2, s58, v1
	v_dual_add_nc_u32 v7, v6, v8 :: v_dual_sub_nc_u32 v3, v5, v3
	s_delay_alu instid0(VALU_DEP_1) | instskip(NEXT) | instid1(VALU_DEP_2)
	v_lshrrev_b32_e32 v1, s67, v7
	v_mad_u32 v4, v3, s61, v4
	s_delay_alu instid0(VALU_DEP_4) | instskip(NEXT) | instid1(VALU_DEP_3)
	v_mad_u32 v2, v3, s60, v2
	v_mul_lo_u32 v5, v1, s65
	s_delay_alu instid0(VALU_DEP_1) | instskip(NEXT) | instid1(VALU_DEP_1)
	v_sub_nc_u32_e32 v3, v6, v5
	v_mad_u32 v4, v3, s63, v4
	s_delay_alu instid0(VALU_DEP_4)
	v_mad_u32 v2, v3, s62, v2
	s_cbranch_scc0 .LBB63_818
; %bb.819:
	s_delay_alu instid0(VALU_DEP_2)
	v_mov_b32_e32 v3, v4
	s_branch .LBB63_823
.LBB63_820:
	s_mov_b32 s24, -1
                                        ; implicit-def: $vgpr4
                                        ; implicit-def: $vgpr2
	s_branch .LBB63_828
.LBB63_821:
	v_dual_mov_b32 v4, 0 :: v_dual_mov_b32 v2, 0
	s_branch .LBB63_827
.LBB63_822:
	v_mov_b64_e32 v[2:3], 0
	v_mov_b32_e32 v1, v0
                                        ; implicit-def: $vgpr4
.LBB63_823:
	s_and_b32 s28, s40, 3
	s_mov_b32 s27, 0
	s_cmp_eq_u32 s28, 0
	s_cbranch_scc1 .LBB63_827
; %bb.824:
	s_lshl_b32 s24, s26, 3
	s_mov_b32 s25, s27
	s_mul_u64 s[26:27], s[26:27], 12
	s_add_nc_u64 s[24:25], s[2:3], s[24:25]
	s_add_nc_u64 s[26:27], s[2:3], s[26:27]
	;; [unrolled: 1-line block ×3, first 2 shown]
.LBB63_825:                             ; =>This Inner Loop Header: Depth=1
	s_load_b96 s[48:50], s[26:27], 0x4
	s_load_b64 s[40:41], s[24:25], 0x0
	s_add_co_i32 s28, s28, -1
	s_wait_xcnt 0x0
	s_add_nc_u64 s[26:27], s[26:27], 12
	s_cmp_lg_u32 s28, 0
	s_add_nc_u64 s[24:25], s[24:25], 8
	s_wait_kmcnt 0x0
	v_mul_hi_u32 v4, s49, v1
	s_delay_alu instid0(VALU_DEP_1) | instskip(NEXT) | instid1(VALU_DEP_1)
	v_add_nc_u32_e32 v4, v1, v4
	v_lshrrev_b32_e32 v4, s50, v4
	s_delay_alu instid0(VALU_DEP_1) | instskip(NEXT) | instid1(VALU_DEP_1)
	v_mul_lo_u32 v5, v4, s48
	v_sub_nc_u32_e32 v1, v1, v5
	s_delay_alu instid0(VALU_DEP_1)
	v_mad_u32 v3, v1, s41, v3
	v_mad_u32 v2, v1, s40, v2
	v_mov_b32_e32 v1, v4
	s_cbranch_scc1 .LBB63_825
; %bb.826:
	s_delay_alu instid0(VALU_DEP_3)
	v_mov_b32_e32 v4, v3
.LBB63_827:
	s_mov_b32 s24, 0
.LBB63_828:
	s_delay_alu instid0(SALU_CYCLE_1)
	s_and_not1_b32 vcc_lo, exec_lo, s24
	s_cbranch_vccnz .LBB63_831
; %bb.829:
	v_mov_b32_e32 v1, 0
	s_and_not1_b32 vcc_lo, exec_lo, s38
	s_delay_alu instid0(VALU_DEP_1) | instskip(NEXT) | instid1(VALU_DEP_1)
	v_mul_u64_e32 v[2:3], s[20:21], v[0:1]
	v_add_nc_u32_e32 v2, v0, v3
	s_wait_loadcnt 0x0
	s_delay_alu instid0(VALU_DEP_1) | instskip(NEXT) | instid1(VALU_DEP_1)
	v_lshrrev_b32_e32 v6, s10, v2
	v_mul_lo_u32 v2, v6, s8
	s_delay_alu instid0(VALU_DEP_1) | instskip(NEXT) | instid1(VALU_DEP_1)
	v_sub_nc_u32_e32 v0, v0, v2
	v_mul_lo_u32 v4, v0, s13
	v_mul_lo_u32 v2, v0, s12
	s_cbranch_vccnz .LBB63_831
; %bb.830:
	v_mov_b32_e32 v7, v1
	s_delay_alu instid0(VALU_DEP_1) | instskip(NEXT) | instid1(VALU_DEP_1)
	v_mul_u64_e32 v[0:1], s[22:23], v[6:7]
	v_add_nc_u32_e32 v0, v6, v1
	s_delay_alu instid0(VALU_DEP_1) | instskip(NEXT) | instid1(VALU_DEP_1)
	v_lshrrev_b32_e32 v0, s1, v0
	v_mul_lo_u32 v0, v0, s11
	s_delay_alu instid0(VALU_DEP_1) | instskip(NEXT) | instid1(VALU_DEP_1)
	v_sub_nc_u32_e32 v0, v6, v0
	v_mad_u32 v2, v0, s14, v2
	v_mad_u32 v4, v0, s15, v4
.LBB63_831:
	v_mov_b32_e32 v5, 0
	s_and_b32 s1, 0xffff, s37
	s_delay_alu instid0(SALU_CYCLE_1) | instskip(NEXT) | instid1(VALU_DEP_1)
	s_cmp_lt_i32 s1, 11
	v_add_nc_u64_e32 v[4:5], s[6:7], v[4:5]
	s_cbranch_scc1 .LBB63_838
; %bb.832:
	s_cmp_gt_i32 s1, 25
	s_mov_b32 s7, 0
	s_cbranch_scc0 .LBB63_839
; %bb.833:
	s_cmp_gt_i32 s1, 28
	s_cbranch_scc0 .LBB63_840
; %bb.834:
	s_cmp_gt_i32 s1, 43
	;; [unrolled: 3-line block ×3, first 2 shown]
	s_cbranch_scc0 .LBB63_844
; %bb.836:
	s_cmp_eq_u32 s1, 46
	s_mov_b32 s10, 0
	s_cbranch_scc0 .LBB63_847
; %bb.837:
	global_load_b32 v0, v[4:5], off
	s_mov_b32 s6, 0
	s_mov_b32 s8, -1
	s_wait_loadcnt 0x0
	v_lshlrev_b32_e32 v0, 16, v0
	s_delay_alu instid0(VALU_DEP_1) | instskip(NEXT) | instid1(VALU_DEP_1)
	v_trunc_f32_e32 v0, v0
	v_mul_f32_e64 v1, 0x2f800000, |v0|
	s_delay_alu instid0(VALU_DEP_1) | instskip(NEXT) | instid1(VALU_DEP_1)
	v_floor_f32_e32 v1, v1
	v_fma_f32 v3, 0xcf800000, v1, |v0|
	v_ashrrev_i32_e32 v0, 31, v0
	v_cvt_u32_f32_e32 v6, v1
	s_delay_alu instid0(VALU_DEP_3) | instskip(NEXT) | instid1(VALU_DEP_2)
	v_cvt_u32_f32_e32 v3, v3
	v_dual_mov_b32 v1, v0 :: v_dual_bitop2_b32 v7, v6, v0 bitop3:0x14
	s_delay_alu instid0(VALU_DEP_2) | instskip(NEXT) | instid1(VALU_DEP_1)
	v_xor_b32_e32 v6, v3, v0
	v_sub_nc_u64_e32 v[6:7], v[6:7], v[0:1]
	s_branch .LBB63_849
.LBB63_838:
	s_mov_b32 s1, -1
	s_mov_b32 s8, 0
	s_mov_b32 s7, 0
	;; [unrolled: 1-line block ×3, first 2 shown]
                                        ; implicit-def: $vgpr6_vgpr7
	s_branch .LBB63_908
.LBB63_839:
	s_mov_b32 s10, -1
	s_mov_b32 s8, 0
	s_mov_b32 s6, s0
                                        ; implicit-def: $vgpr6_vgpr7
	s_branch .LBB63_876
.LBB63_840:
	s_mov_b32 s10, -1
	s_mov_b32 s8, 0
	s_mov_b32 s6, s0
                                        ; implicit-def: $vgpr6_vgpr7
	s_branch .LBB63_859
.LBB63_841:
	s_mov_b32 s10, -1
	s_mov_b32 s8, 0
	s_mov_b32 s6, s0
                                        ; implicit-def: $vgpr6_vgpr7
	s_branch .LBB63_854
.LBB63_842:
	s_and_not1_saveexec_b32 s49, s49
	s_cbranch_execz .LBB63_720
.LBB63_843:
	v_add_f32_e32 v1, 0x46000000, v4
	s_and_not1_b32 s31, s31, exec_lo
	s_delay_alu instid0(VALU_DEP_1) | instskip(NEXT) | instid1(VALU_DEP_1)
	v_and_b32_e32 v1, 0xff, v1
	v_cmp_ne_u32_e32 vcc_lo, 0, v1
	s_and_b32 s50, vcc_lo, exec_lo
	s_delay_alu instid0(SALU_CYCLE_1)
	s_or_b32 s31, s31, s50
	s_or_b32 exec_lo, exec_lo, s49
	v_mov_b32_e32 v5, 0
	s_and_saveexec_b32 s49, s31
	s_cbranch_execnz .LBB63_721
	s_branch .LBB63_722
.LBB63_844:
	s_mov_b32 s10, -1
	s_mov_b32 s8, 0
	s_mov_b32 s6, s0
	s_branch .LBB63_848
.LBB63_845:
	s_and_not1_saveexec_b32 s49, s49
	s_cbranch_execz .LBB63_733
.LBB63_846:
	v_add_f32_e32 v1, 0x42800000, v4
	s_and_not1_b32 s31, s31, exec_lo
	s_delay_alu instid0(VALU_DEP_1) | instskip(NEXT) | instid1(VALU_DEP_1)
	v_and_b32_e32 v1, 0xff, v1
	v_cmp_ne_u32_e32 vcc_lo, 0, v1
	s_and_b32 s50, vcc_lo, exec_lo
	s_delay_alu instid0(SALU_CYCLE_1)
	s_or_b32 s31, s31, s50
	s_or_b32 exec_lo, exec_lo, s49
	v_mov_b32_e32 v5, 0
	s_and_saveexec_b32 s49, s31
	s_cbranch_execnz .LBB63_734
	s_branch .LBB63_735
.LBB63_847:
	s_mov_b32 s6, -1
	s_mov_b32 s8, 0
.LBB63_848:
                                        ; implicit-def: $vgpr6_vgpr7
.LBB63_849:
	s_and_b32 vcc_lo, exec_lo, s10
	s_cbranch_vccz .LBB63_853
; %bb.850:
	s_cmp_eq_u32 s1, 44
	s_cbranch_scc0 .LBB63_852
; %bb.851:
	global_load_u8 v3, v[4:5], off
	s_mov_b32 s6, 0
	s_mov_b32 s8, -1
	s_wait_loadcnt 0x0
	v_cmp_ne_u32_e32 vcc_lo, 0, v3
	v_lshlrev_b32_e32 v0, 23, v3
	s_delay_alu instid0(VALU_DEP_1) | instskip(NEXT) | instid1(VALU_DEP_1)
	v_trunc_f32_e32 v0, v0
	v_mul_f32_e64 v1, 0x2f800000, |v0|
	s_delay_alu instid0(VALU_DEP_1) | instskip(NEXT) | instid1(VALU_DEP_1)
	v_floor_f32_e32 v1, v1
	v_fma_f32 v6, 0xcf800000, v1, |v0|
	v_ashrrev_i32_e32 v0, 31, v0
	v_cvt_u32_f32_e32 v7, v1
	s_delay_alu instid0(VALU_DEP_3) | instskip(NEXT) | instid1(VALU_DEP_2)
	v_cvt_u32_f32_e32 v6, v6
	v_dual_mov_b32 v1, v0 :: v_dual_bitop2_b32 v7, v7, v0 bitop3:0x14
	s_delay_alu instid0(VALU_DEP_2) | instskip(NEXT) | instid1(VALU_DEP_1)
	v_xor_b32_e32 v6, v6, v0
	v_sub_nc_u64_e32 v[0:1], v[6:7], v[0:1]
	s_delay_alu instid0(VALU_DEP_1)
	v_dual_cndmask_b32 v7, 0, v1 :: v_dual_cndmask_b32 v6, 0, v0
	s_branch .LBB63_853
.LBB63_852:
	s_mov_b32 s6, -1
                                        ; implicit-def: $vgpr6_vgpr7
.LBB63_853:
	s_mov_b32 s10, 0
.LBB63_854:
	s_delay_alu instid0(SALU_CYCLE_1)
	s_and_b32 vcc_lo, exec_lo, s10
	s_cbranch_vccz .LBB63_858
; %bb.855:
	s_cmp_eq_u32 s1, 29
	s_cbranch_scc0 .LBB63_857
; %bb.856:
	s_wait_loadcnt 0x0
	global_load_b64 v[6:7], v[4:5], off
	s_mov_b32 s6, 0
	s_mov_b32 s8, -1
	s_branch .LBB63_858
.LBB63_857:
	s_mov_b32 s6, -1
                                        ; implicit-def: $vgpr6_vgpr7
.LBB63_858:
	s_mov_b32 s10, 0
.LBB63_859:
	s_delay_alu instid0(SALU_CYCLE_1)
	s_and_b32 vcc_lo, exec_lo, s10
	s_cbranch_vccz .LBB63_875
; %bb.860:
	s_cmp_lt_i32 s1, 27
	s_cbranch_scc1 .LBB63_863
; %bb.861:
	s_cmp_gt_i32 s1, 27
	s_cbranch_scc0 .LBB63_864
; %bb.862:
	s_wait_loadcnt 0x0
	global_load_b32 v6, v[4:5], off
	v_mov_b32_e32 v7, 0
	s_mov_b32 s8, 0
	s_branch .LBB63_865
.LBB63_863:
	s_mov_b32 s8, -1
                                        ; implicit-def: $vgpr6_vgpr7
	s_branch .LBB63_868
.LBB63_864:
	s_mov_b32 s8, -1
                                        ; implicit-def: $vgpr6_vgpr7
.LBB63_865:
	s_delay_alu instid0(SALU_CYCLE_1)
	s_and_not1_b32 vcc_lo, exec_lo, s8
	s_cbranch_vccnz .LBB63_867
; %bb.866:
	global_load_u16 v0, v[4:5], off
	s_mov_b32 s8, 0
	s_wait_loadcnt 0x1
	v_mov_b32_e32 v7, s8
	s_wait_loadcnt 0x0
	v_and_b32_e32 v6, 0xffff, v0
.LBB63_867:
	s_mov_b32 s8, 0
.LBB63_868:
	s_delay_alu instid0(SALU_CYCLE_1)
	s_and_not1_b32 vcc_lo, exec_lo, s8
	s_cbranch_vccnz .LBB63_874
; %bb.869:
	global_load_u8 v0, v[4:5], off
	s_mov_b32 s10, 0
	s_mov_b32 s8, exec_lo
	s_wait_loadcnt 0x0
	v_cmpx_lt_i16_e32 0x7f, v0
	s_xor_b32 s8, exec_lo, s8
	s_cbranch_execz .LBB63_886
; %bb.870:
	v_cmp_ne_u16_e32 vcc_lo, 0x80, v0
	s_and_b32 s10, vcc_lo, exec_lo
	s_and_not1_saveexec_b32 s8, s8
	s_cbranch_execnz .LBB63_887
.LBB63_871:
	s_or_b32 exec_lo, exec_lo, s8
	v_mov_b64_e32 v[6:7], 0
	s_and_saveexec_b32 s8, s10
	s_cbranch_execz .LBB63_873
.LBB63_872:
	v_and_b32_e32 v1, 0xffff, v0
	s_delay_alu instid0(VALU_DEP_1) | instskip(SKIP_1) | instid1(VALU_DEP_2)
	v_and_b32_e32 v3, 7, v1
	v_bfe_u32 v8, v1, 3, 4
	v_clz_i32_u32_e32 v6, v3
	s_delay_alu instid0(VALU_DEP_2) | instskip(NEXT) | instid1(VALU_DEP_2)
	v_cmp_eq_u32_e32 vcc_lo, 0, v8
	v_min_u32_e32 v6, 32, v6
	s_delay_alu instid0(VALU_DEP_1) | instskip(NEXT) | instid1(VALU_DEP_1)
	v_subrev_nc_u32_e32 v7, 28, v6
	v_dual_lshlrev_b32 v1, v7, v1 :: v_dual_sub_nc_u32 v6, 29, v6
	s_delay_alu instid0(VALU_DEP_1) | instskip(NEXT) | instid1(VALU_DEP_1)
	v_dual_lshlrev_b32 v0, 24, v0 :: v_dual_bitop2_b32 v1, 7, v1 bitop3:0x40
	v_dual_cndmask_b32 v6, v8, v6 :: v_dual_cndmask_b32 v1, v3, v1
	s_delay_alu instid0(VALU_DEP_2) | instskip(NEXT) | instid1(VALU_DEP_2)
	v_and_b32_e32 v0, 0x80000000, v0
	v_lshl_add_u32 v3, v6, 23, 0x3b800000
	s_delay_alu instid0(VALU_DEP_3) | instskip(NEXT) | instid1(VALU_DEP_1)
	v_lshlrev_b32_e32 v1, 20, v1
	v_or3_b32 v0, v0, v3, v1
	s_delay_alu instid0(VALU_DEP_1) | instskip(NEXT) | instid1(VALU_DEP_1)
	v_trunc_f32_e32 v0, v0
	v_mul_f32_e64 v1, 0x2f800000, |v0|
	s_delay_alu instid0(VALU_DEP_1) | instskip(NEXT) | instid1(VALU_DEP_1)
	v_floor_f32_e32 v1, v1
	v_fma_f32 v3, 0xcf800000, v1, |v0|
	v_ashrrev_i32_e32 v0, 31, v0
	v_cvt_u32_f32_e32 v6, v1
	s_delay_alu instid0(VALU_DEP_3) | instskip(NEXT) | instid1(VALU_DEP_2)
	v_cvt_u32_f32_e32 v3, v3
	v_dual_mov_b32 v1, v0 :: v_dual_bitop2_b32 v7, v6, v0 bitop3:0x14
	s_delay_alu instid0(VALU_DEP_2) | instskip(NEXT) | instid1(VALU_DEP_1)
	v_xor_b32_e32 v6, v3, v0
	v_sub_nc_u64_e32 v[6:7], v[6:7], v[0:1]
.LBB63_873:
	s_or_b32 exec_lo, exec_lo, s8
.LBB63_874:
	s_mov_b32 s8, -1
.LBB63_875:
	s_mov_b32 s10, 0
.LBB63_876:
	s_delay_alu instid0(SALU_CYCLE_1)
	s_and_b32 vcc_lo, exec_lo, s10
	s_cbranch_vccz .LBB63_907
; %bb.877:
	s_cmp_gt_i32 s1, 22
	s_cbranch_scc0 .LBB63_885
; %bb.878:
	s_cmp_lt_i32 s1, 24
	s_cbranch_scc1 .LBB63_888
; %bb.879:
	s_cmp_gt_i32 s1, 24
	s_cbranch_scc0 .LBB63_889
; %bb.880:
	global_load_u8 v0, v[4:5], off
	s_mov_b32 s8, 0
	s_mov_b32 s7, exec_lo
	s_wait_loadcnt 0x0
	v_cmpx_lt_i16_e32 0x7f, v0
	s_xor_b32 s7, exec_lo, s7
	s_cbranch_execz .LBB63_901
; %bb.881:
	v_cmp_ne_u16_e32 vcc_lo, 0x80, v0
	s_and_b32 s8, vcc_lo, exec_lo
	s_and_not1_saveexec_b32 s7, s7
	s_cbranch_execnz .LBB63_902
.LBB63_882:
	s_or_b32 exec_lo, exec_lo, s7
	v_mov_b64_e32 v[6:7], 0
	s_and_saveexec_b32 s7, s8
	s_cbranch_execz .LBB63_884
.LBB63_883:
	v_and_b32_e32 v1, 0xffff, v0
	s_delay_alu instid0(VALU_DEP_1) | instskip(SKIP_1) | instid1(VALU_DEP_2)
	v_and_b32_e32 v3, 3, v1
	v_bfe_u32 v8, v1, 2, 5
	v_clz_i32_u32_e32 v6, v3
	s_delay_alu instid0(VALU_DEP_2) | instskip(NEXT) | instid1(VALU_DEP_2)
	v_cmp_eq_u32_e32 vcc_lo, 0, v8
	v_min_u32_e32 v6, 32, v6
	s_delay_alu instid0(VALU_DEP_1) | instskip(NEXT) | instid1(VALU_DEP_1)
	v_subrev_nc_u32_e32 v7, 29, v6
	v_dual_lshlrev_b32 v1, v7, v1 :: v_dual_sub_nc_u32 v6, 30, v6
	s_delay_alu instid0(VALU_DEP_1) | instskip(NEXT) | instid1(VALU_DEP_1)
	v_dual_lshlrev_b32 v0, 24, v0 :: v_dual_bitop2_b32 v1, 3, v1 bitop3:0x40
	v_dual_cndmask_b32 v6, v8, v6 :: v_dual_cndmask_b32 v1, v3, v1
	s_delay_alu instid0(VALU_DEP_2) | instskip(NEXT) | instid1(VALU_DEP_2)
	v_and_b32_e32 v0, 0x80000000, v0
	v_lshl_add_u32 v3, v6, 23, 0x37800000
	s_delay_alu instid0(VALU_DEP_3) | instskip(NEXT) | instid1(VALU_DEP_1)
	v_lshlrev_b32_e32 v1, 21, v1
	v_or3_b32 v0, v0, v3, v1
	s_delay_alu instid0(VALU_DEP_1) | instskip(NEXT) | instid1(VALU_DEP_1)
	v_trunc_f32_e32 v0, v0
	v_mul_f32_e64 v1, 0x2f800000, |v0|
	s_delay_alu instid0(VALU_DEP_1) | instskip(NEXT) | instid1(VALU_DEP_1)
	v_floor_f32_e32 v1, v1
	v_fma_f32 v3, 0xcf800000, v1, |v0|
	v_ashrrev_i32_e32 v0, 31, v0
	v_cvt_u32_f32_e32 v6, v1
	s_delay_alu instid0(VALU_DEP_3) | instskip(NEXT) | instid1(VALU_DEP_2)
	v_cvt_u32_f32_e32 v3, v3
	v_dual_mov_b32 v1, v0 :: v_dual_bitop2_b32 v7, v6, v0 bitop3:0x14
	s_delay_alu instid0(VALU_DEP_2) | instskip(NEXT) | instid1(VALU_DEP_1)
	v_xor_b32_e32 v6, v3, v0
	v_sub_nc_u64_e32 v[6:7], v[6:7], v[0:1]
.LBB63_884:
	s_or_b32 exec_lo, exec_lo, s7
	s_mov_b32 s7, 0
	s_branch .LBB63_890
.LBB63_885:
	s_mov_b32 s7, -1
                                        ; implicit-def: $vgpr6_vgpr7
	s_branch .LBB63_896
.LBB63_886:
	s_and_not1_saveexec_b32 s8, s8
	s_cbranch_execz .LBB63_871
.LBB63_887:
	v_cmp_ne_u16_e32 vcc_lo, 0, v0
	s_and_not1_b32 s10, s10, exec_lo
	s_and_b32 s11, vcc_lo, exec_lo
	s_delay_alu instid0(SALU_CYCLE_1)
	s_or_b32 s10, s10, s11
	s_or_b32 exec_lo, exec_lo, s8
	v_mov_b64_e32 v[6:7], 0
	s_and_saveexec_b32 s8, s10
	s_cbranch_execnz .LBB63_872
	s_branch .LBB63_873
.LBB63_888:
	s_mov_b32 s7, -1
                                        ; implicit-def: $vgpr6_vgpr7
	s_branch .LBB63_893
.LBB63_889:
	s_mov_b32 s7, -1
                                        ; implicit-def: $vgpr6_vgpr7
.LBB63_890:
	s_delay_alu instid0(SALU_CYCLE_1)
	s_and_b32 vcc_lo, exec_lo, s7
	s_cbranch_vccz .LBB63_892
; %bb.891:
	global_load_u8 v0, v[4:5], off
	s_wait_loadcnt 0x0
	v_lshlrev_b32_e32 v0, 24, v0
	s_delay_alu instid0(VALU_DEP_1) | instskip(NEXT) | instid1(VALU_DEP_1)
	v_and_b32_e32 v1, 0x7f000000, v0
	v_clz_i32_u32_e32 v3, v1
	v_add_nc_u32_e32 v7, 0x1000000, v1
	v_cmp_ne_u32_e32 vcc_lo, 0, v1
	s_delay_alu instid0(VALU_DEP_3) | instskip(NEXT) | instid1(VALU_DEP_1)
	v_min_u32_e32 v3, 32, v3
	v_sub_nc_u32_e64 v3, v3, 4 clamp
	s_delay_alu instid0(VALU_DEP_1) | instskip(NEXT) | instid1(VALU_DEP_1)
	v_dual_lshlrev_b32 v6, v3, v1 :: v_dual_lshlrev_b32 v3, 23, v3
	v_lshrrev_b32_e32 v6, 4, v6
	s_delay_alu instid0(VALU_DEP_1) | instskip(SKIP_1) | instid1(VALU_DEP_2)
	v_sub_nc_u32_e32 v3, v6, v3
	v_ashrrev_i32_e32 v6, 8, v7
	v_add_nc_u32_e32 v3, 0x3c000000, v3
	s_delay_alu instid0(VALU_DEP_1) | instskip(NEXT) | instid1(VALU_DEP_1)
	v_and_or_b32 v3, 0x7f800000, v6, v3
	v_cndmask_b32_e32 v1, 0, v3, vcc_lo
	s_delay_alu instid0(VALU_DEP_1) | instskip(NEXT) | instid1(VALU_DEP_1)
	v_and_or_b32 v0, 0x80000000, v0, v1
	v_trunc_f32_e32 v0, v0
	s_delay_alu instid0(VALU_DEP_1) | instskip(NEXT) | instid1(VALU_DEP_1)
	v_mul_f32_e64 v1, 0x2f800000, |v0|
	v_floor_f32_e32 v1, v1
	s_delay_alu instid0(VALU_DEP_1) | instskip(SKIP_2) | instid1(VALU_DEP_3)
	v_fma_f32 v3, 0xcf800000, v1, |v0|
	v_ashrrev_i32_e32 v0, 31, v0
	v_cvt_u32_f32_e32 v6, v1
	v_cvt_u32_f32_e32 v3, v3
	s_delay_alu instid0(VALU_DEP_2) | instskip(NEXT) | instid1(VALU_DEP_2)
	v_dual_mov_b32 v1, v0 :: v_dual_bitop2_b32 v7, v6, v0 bitop3:0x14
	v_xor_b32_e32 v6, v3, v0
	s_delay_alu instid0(VALU_DEP_1)
	v_sub_nc_u64_e32 v[6:7], v[6:7], v[0:1]
.LBB63_892:
	s_mov_b32 s7, 0
.LBB63_893:
	s_delay_alu instid0(SALU_CYCLE_1)
	s_and_not1_b32 vcc_lo, exec_lo, s7
	s_cbranch_vccnz .LBB63_895
; %bb.894:
	global_load_u8 v0, v[4:5], off
	s_wait_loadcnt 0x0
	v_lshlrev_b32_e32 v1, 25, v0
	v_lshlrev_b16 v0, 8, v0
	s_delay_alu instid0(VALU_DEP_1) | instskip(SKIP_1) | instid1(VALU_DEP_2)
	v_and_or_b32 v6, 0x7f00, v0, 0.5
	v_bfe_i32 v0, v0, 0, 16
	v_dual_add_f32 v6, -0.5, v6 :: v_dual_lshrrev_b32 v3, 4, v1
	v_cmp_gt_u32_e32 vcc_lo, 0x8000000, v1
	s_delay_alu instid0(VALU_DEP_2) | instskip(NEXT) | instid1(VALU_DEP_1)
	v_or_b32_e32 v3, 0x70000000, v3
	v_mul_f32_e32 v3, 0x7800000, v3
	s_delay_alu instid0(VALU_DEP_1) | instskip(NEXT) | instid1(VALU_DEP_1)
	v_cndmask_b32_e32 v1, v3, v6, vcc_lo
	v_and_or_b32 v0, 0x80000000, v0, v1
	s_delay_alu instid0(VALU_DEP_1) | instskip(NEXT) | instid1(VALU_DEP_1)
	v_trunc_f32_e32 v0, v0
	v_mul_f32_e64 v1, 0x2f800000, |v0|
	s_delay_alu instid0(VALU_DEP_1) | instskip(NEXT) | instid1(VALU_DEP_1)
	v_floor_f32_e32 v1, v1
	v_fma_f32 v3, 0xcf800000, v1, |v0|
	v_ashrrev_i32_e32 v0, 31, v0
	v_cvt_u32_f32_e32 v6, v1
	s_delay_alu instid0(VALU_DEP_3) | instskip(NEXT) | instid1(VALU_DEP_2)
	v_cvt_u32_f32_e32 v3, v3
	v_dual_mov_b32 v1, v0 :: v_dual_bitop2_b32 v7, v6, v0 bitop3:0x14
	s_delay_alu instid0(VALU_DEP_2) | instskip(NEXT) | instid1(VALU_DEP_1)
	v_xor_b32_e32 v6, v3, v0
	v_sub_nc_u64_e32 v[6:7], v[6:7], v[0:1]
.LBB63_895:
	s_mov_b32 s7, 0
	s_mov_b32 s8, -1
.LBB63_896:
	s_and_not1_b32 vcc_lo, exec_lo, s7
	s_mov_b32 s7, 0
	s_cbranch_vccnz .LBB63_907
; %bb.897:
	s_cmp_gt_i32 s1, 14
	s_cbranch_scc0 .LBB63_900
; %bb.898:
	s_cmp_eq_u32 s1, 15
	s_cbranch_scc0 .LBB63_903
; %bb.899:
	global_load_u16 v0, v[4:5], off
	s_mov_b32 s6, 0
	s_mov_b32 s8, -1
	s_wait_loadcnt 0x0
	v_lshlrev_b32_e32 v0, 16, v0
	s_delay_alu instid0(VALU_DEP_1) | instskip(NEXT) | instid1(VALU_DEP_1)
	v_trunc_f32_e32 v0, v0
	v_mul_f32_e64 v1, 0x2f800000, |v0|
	s_delay_alu instid0(VALU_DEP_1) | instskip(NEXT) | instid1(VALU_DEP_1)
	v_floor_f32_e32 v1, v1
	v_fma_f32 v3, 0xcf800000, v1, |v0|
	v_ashrrev_i32_e32 v0, 31, v0
	v_cvt_u32_f32_e32 v6, v1
	s_delay_alu instid0(VALU_DEP_3) | instskip(NEXT) | instid1(VALU_DEP_2)
	v_cvt_u32_f32_e32 v3, v3
	v_dual_mov_b32 v1, v0 :: v_dual_bitop2_b32 v7, v6, v0 bitop3:0x14
	s_delay_alu instid0(VALU_DEP_2) | instskip(NEXT) | instid1(VALU_DEP_1)
	v_xor_b32_e32 v6, v3, v0
	v_sub_nc_u64_e32 v[6:7], v[6:7], v[0:1]
	s_branch .LBB63_905
.LBB63_900:
	s_mov_b32 s7, -1
	s_branch .LBB63_904
.LBB63_901:
	s_and_not1_saveexec_b32 s7, s7
	s_cbranch_execz .LBB63_882
.LBB63_902:
	v_cmp_ne_u16_e32 vcc_lo, 0, v0
	s_and_not1_b32 s8, s8, exec_lo
	s_and_b32 s10, vcc_lo, exec_lo
	s_delay_alu instid0(SALU_CYCLE_1)
	s_or_b32 s8, s8, s10
	s_or_b32 exec_lo, exec_lo, s7
	v_mov_b64_e32 v[6:7], 0
	s_and_saveexec_b32 s7, s8
	s_cbranch_execnz .LBB63_883
	s_branch .LBB63_884
.LBB63_903:
	s_mov_b32 s6, -1
.LBB63_904:
                                        ; implicit-def: $vgpr6_vgpr7
.LBB63_905:
	s_and_b32 vcc_lo, exec_lo, s7
	s_mov_b32 s7, 0
	s_cbranch_vccz .LBB63_907
; %bb.906:
	s_cmp_lg_u32 s1, 11
	s_mov_b32 s7, -1
	s_cselect_b32 s1, -1, 0
	s_and_not1_b32 s6, s6, exec_lo
	s_and_b32 s1, s1, exec_lo
	s_delay_alu instid0(SALU_CYCLE_1)
	s_or_b32 s6, s6, s1
.LBB63_907:
	s_mov_b32 s1, 0
.LBB63_908:
	s_delay_alu instid0(SALU_CYCLE_1)
	s_and_b32 s26, s1, exec_lo
	s_and_not1_b32 s1, s0, exec_lo
	s_and_b32 s6, s6, exec_lo
	s_and_b32 s28, s8, exec_lo
	;; [unrolled: 1-line block ×3, first 2 shown]
	s_or_b32 s29, s1, s6
.LBB63_909:
	s_wait_xcnt 0x0
	s_or_b32 exec_lo, exec_lo, s39
	s_delay_alu instid0(SALU_CYCLE_1)
	s_and_not1_b32 s0, s0, exec_lo
	s_and_b32 s1, s29, exec_lo
	s_and_b32 s28, s28, exec_lo
	;; [unrolled: 1-line block ×4, first 2 shown]
	s_or_b32 s0, s0, s1
.LBB63_910:
	s_or_b32 exec_lo, exec_lo, s31
	s_delay_alu instid0(SALU_CYCLE_1)
	s_and_not1_b32 s1, s46, exec_lo
	s_and_b32 s6, s30, exec_lo
	s_and_b32 s0, s0, exec_lo
	s_or_b32 s46, s1, s6
	s_and_not1_b32 s1, s45, exec_lo
	s_and_b32 s28, s28, exec_lo
	s_and_b32 s26, s26, exec_lo
	;; [unrolled: 1-line block ×3, first 2 shown]
	s_or_b32 s45, s1, s0
.LBB63_911:
	s_or_b32 exec_lo, exec_lo, s47
	s_delay_alu instid0(SALU_CYCLE_1)
	s_and_not1_b32 s0, s42, exec_lo
	s_and_b32 s1, s46, exec_lo
	s_and_b32 s6, s45, exec_lo
	s_or_b32 s42, s0, s1
	s_and_not1_b32 s1, s43, exec_lo
	s_and_b32 s0, s28, exec_lo
	s_and_b32 s26, s26, exec_lo
	;; [unrolled: 1-line block ×3, first 2 shown]
	s_or_b32 s43, s1, s6
	s_or_b32 exec_lo, exec_lo, s44
	s_mov_b32 s1, 0
	s_and_saveexec_b32 s6, s43
	s_cbranch_execz .LBB63_272
.LBB63_912:
	s_mov_b32 s1, exec_lo
	s_and_not1_b32 s21, s21, exec_lo
	s_trap 2
	s_or_b32 exec_lo, exec_lo, s6
	s_and_saveexec_b32 s6, s21
	s_delay_alu instid0(SALU_CYCLE_1)
	s_xor_b32 s6, exec_lo, s6
	s_cbranch_execnz .LBB63_273
.LBB63_913:
	s_or_b32 exec_lo, exec_lo, s6
	s_and_saveexec_b32 s6, s26
	s_cbranch_execz .LBB63_959
.LBB63_914:
	s_sext_i32_i16 s7, s37
	s_delay_alu instid0(SALU_CYCLE_1)
	s_cmp_lt_i32 s7, 5
	s_cbranch_scc1 .LBB63_919
; %bb.915:
	s_cmp_lt_i32 s7, 8
	s_cbranch_scc1 .LBB63_920
; %bb.916:
	;; [unrolled: 3-line block ×3, first 2 shown]
	s_cmp_gt_i32 s7, 9
	s_cbranch_scc0 .LBB63_922
; %bb.918:
	global_load_b64 v[0:1], v[4:5], off
	s_mov_b32 s7, 0
	s_wait_loadcnt 0x0
	v_trunc_f64_e32 v[0:1], v[0:1]
	s_delay_alu instid0(VALU_DEP_1) | instskip(NEXT) | instid1(VALU_DEP_1)
	v_ldexp_f64 v[6:7], v[0:1], 0xffffffe0
	v_floor_f64_e32 v[6:7], v[6:7]
	s_delay_alu instid0(VALU_DEP_1) | instskip(SKIP_1) | instid1(VALU_DEP_2)
	v_fmamk_f64 v[0:1], v[6:7], 0xc1f00000, v[0:1]
	v_cvt_i32_f64_e32 v7, v[6:7]
	v_cvt_u32_f64_e32 v6, v[0:1]
	s_branch .LBB63_923
.LBB63_919:
                                        ; implicit-def: $vgpr6_vgpr7
	s_branch .LBB63_940
.LBB63_920:
                                        ; implicit-def: $vgpr6_vgpr7
	s_branch .LBB63_929
.LBB63_921:
	s_mov_b32 s7, -1
                                        ; implicit-def: $vgpr6_vgpr7
	s_branch .LBB63_926
.LBB63_922:
	s_mov_b32 s7, -1
                                        ; implicit-def: $vgpr6_vgpr7
.LBB63_923:
	s_delay_alu instid0(SALU_CYCLE_1)
	s_and_not1_b32 vcc_lo, exec_lo, s7
	s_cbranch_vccnz .LBB63_925
; %bb.924:
	global_load_b32 v0, v[4:5], off
	s_wait_loadcnt 0x0
	v_trunc_f32_e32 v0, v0
	s_delay_alu instid0(VALU_DEP_1) | instskip(NEXT) | instid1(VALU_DEP_1)
	v_mul_f32_e64 v1, 0x2f800000, |v0|
	v_floor_f32_e32 v1, v1
	s_delay_alu instid0(VALU_DEP_1) | instskip(SKIP_2) | instid1(VALU_DEP_3)
	v_fma_f32 v3, 0xcf800000, v1, |v0|
	v_ashrrev_i32_e32 v0, 31, v0
	v_cvt_u32_f32_e32 v6, v1
	v_cvt_u32_f32_e32 v3, v3
	s_delay_alu instid0(VALU_DEP_2) | instskip(NEXT) | instid1(VALU_DEP_2)
	v_dual_mov_b32 v1, v0 :: v_dual_bitop2_b32 v7, v6, v0 bitop3:0x14
	v_xor_b32_e32 v6, v3, v0
	s_delay_alu instid0(VALU_DEP_1)
	v_sub_nc_u64_e32 v[6:7], v[6:7], v[0:1]
.LBB63_925:
	s_mov_b32 s7, 0
.LBB63_926:
	s_delay_alu instid0(SALU_CYCLE_1)
	s_and_not1_b32 vcc_lo, exec_lo, s7
	s_cbranch_vccnz .LBB63_928
; %bb.927:
	global_load_b32 v0, v[4:5], off
	s_wait_loadcnt 0x0
	v_cvt_f32_f16_e32 v0, v0
	s_delay_alu instid0(VALU_DEP_1) | instskip(NEXT) | instid1(VALU_DEP_1)
	v_cvt_i32_f32_e32 v6, v0
	v_ashrrev_i32_e32 v7, 31, v6
.LBB63_928:
	s_cbranch_execnz .LBB63_939
.LBB63_929:
	s_sext_i32_i16 s7, s37
	s_delay_alu instid0(SALU_CYCLE_1)
	s_cmp_lt_i32 s7, 6
	s_cbranch_scc1 .LBB63_932
; %bb.930:
	s_cmp_gt_i32 s7, 6
	s_cbranch_scc0 .LBB63_933
; %bb.931:
	global_load_b64 v[0:1], v[4:5], off
	s_mov_b32 s7, 0
	s_wait_loadcnt 0x0
	v_trunc_f64_e32 v[0:1], v[0:1]
	s_delay_alu instid0(VALU_DEP_1) | instskip(NEXT) | instid1(VALU_DEP_1)
	v_ldexp_f64 v[6:7], v[0:1], 0xffffffe0
	v_floor_f64_e32 v[6:7], v[6:7]
	s_delay_alu instid0(VALU_DEP_1) | instskip(SKIP_1) | instid1(VALU_DEP_2)
	v_fmamk_f64 v[0:1], v[6:7], 0xc1f00000, v[0:1]
	v_cvt_i32_f64_e32 v7, v[6:7]
	v_cvt_u32_f64_e32 v6, v[0:1]
	s_branch .LBB63_934
.LBB63_932:
	s_mov_b32 s7, -1
                                        ; implicit-def: $vgpr6_vgpr7
	s_branch .LBB63_937
.LBB63_933:
	s_mov_b32 s7, -1
                                        ; implicit-def: $vgpr6_vgpr7
.LBB63_934:
	s_delay_alu instid0(SALU_CYCLE_1)
	s_and_not1_b32 vcc_lo, exec_lo, s7
	s_cbranch_vccnz .LBB63_936
; %bb.935:
	global_load_b32 v0, v[4:5], off
	s_wait_loadcnt 0x0
	v_trunc_f32_e32 v0, v0
	s_delay_alu instid0(VALU_DEP_1) | instskip(NEXT) | instid1(VALU_DEP_1)
	v_mul_f32_e64 v1, 0x2f800000, |v0|
	v_floor_f32_e32 v1, v1
	s_delay_alu instid0(VALU_DEP_1) | instskip(SKIP_2) | instid1(VALU_DEP_3)
	v_fma_f32 v3, 0xcf800000, v1, |v0|
	v_ashrrev_i32_e32 v0, 31, v0
	v_cvt_u32_f32_e32 v6, v1
	v_cvt_u32_f32_e32 v3, v3
	s_delay_alu instid0(VALU_DEP_2) | instskip(NEXT) | instid1(VALU_DEP_2)
	v_dual_mov_b32 v1, v0 :: v_dual_bitop2_b32 v7, v6, v0 bitop3:0x14
	v_xor_b32_e32 v6, v3, v0
	s_delay_alu instid0(VALU_DEP_1)
	v_sub_nc_u64_e32 v[6:7], v[6:7], v[0:1]
.LBB63_936:
	s_mov_b32 s7, 0
.LBB63_937:
	s_delay_alu instid0(SALU_CYCLE_1)
	s_and_not1_b32 vcc_lo, exec_lo, s7
	s_cbranch_vccnz .LBB63_939
; %bb.938:
	global_load_u16 v0, v[4:5], off
	s_wait_loadcnt 0x0
	v_cvt_f32_f16_e32 v0, v0
	s_delay_alu instid0(VALU_DEP_1) | instskip(NEXT) | instid1(VALU_DEP_1)
	v_cvt_i32_f32_e32 v6, v0
	v_ashrrev_i32_e32 v7, 31, v6
.LBB63_939:
	s_cbranch_execnz .LBB63_958
.LBB63_940:
	s_sext_i32_i16 s7, s37
	s_delay_alu instid0(SALU_CYCLE_1)
	s_cmp_lt_i32 s7, 2
	s_cbranch_scc1 .LBB63_944
; %bb.941:
	s_cmp_lt_i32 s7, 3
	s_cbranch_scc1 .LBB63_945
; %bb.942:
	s_cmp_gt_i32 s7, 3
	s_cbranch_scc0 .LBB63_946
; %bb.943:
	s_wait_loadcnt 0x0
	global_load_b64 v[6:7], v[4:5], off
	s_mov_b32 s7, 0
	s_branch .LBB63_947
.LBB63_944:
                                        ; implicit-def: $vgpr6_vgpr7
	s_branch .LBB63_953
.LBB63_945:
	s_mov_b32 s7, -1
                                        ; implicit-def: $vgpr6_vgpr7
	s_branch .LBB63_950
.LBB63_946:
	s_mov_b32 s7, -1
                                        ; implicit-def: $vgpr6_vgpr7
.LBB63_947:
	s_delay_alu instid0(SALU_CYCLE_1)
	s_and_not1_b32 vcc_lo, exec_lo, s7
	s_cbranch_vccnz .LBB63_949
; %bb.948:
	s_wait_loadcnt 0x0
	global_load_b32 v6, v[4:5], off
	s_wait_loadcnt 0x0
	v_ashrrev_i32_e32 v7, 31, v6
.LBB63_949:
	s_mov_b32 s7, 0
.LBB63_950:
	s_delay_alu instid0(SALU_CYCLE_1)
	s_and_not1_b32 vcc_lo, exec_lo, s7
	s_cbranch_vccnz .LBB63_952
; %bb.951:
	global_load_u16 v0, v[4:5], off
	s_wait_loadcnt 0x0
	v_bfe_i32 v6, v0, 0, 16
	s_delay_alu instid0(VALU_DEP_1)
	v_ashrrev_i32_e32 v7, 31, v6
.LBB63_952:
	s_cbranch_execnz .LBB63_958
.LBB63_953:
	s_sext_i32_i16 s7, s37
	s_delay_alu instid0(SALU_CYCLE_1)
	s_cmp_gt_i32 s7, 0
	s_mov_b32 s7, 0
	s_cbranch_scc0 .LBB63_955
; %bb.954:
	global_load_i8 v0, v[4:5], off
	s_wait_loadcnt 0x0
	v_bfe_i32 v6, v0, 0, 16
	s_delay_alu instid0(VALU_DEP_1)
	v_ashrrev_i32_e32 v7, 31, v6
	s_branch .LBB63_956
.LBB63_955:
	s_mov_b32 s7, -1
                                        ; implicit-def: $vgpr6_vgpr7
.LBB63_956:
	s_delay_alu instid0(SALU_CYCLE_1)
	s_and_not1_b32 vcc_lo, exec_lo, s7
	s_cbranch_vccnz .LBB63_958
; %bb.957:
	global_load_u8 v0, v[4:5], off
	s_mov_b32 s7, 0
	s_wait_loadcnt 0x1
	v_mov_b32_e32 v7, s7
	s_wait_loadcnt 0x0
	v_and_b32_e32 v6, 0xffff, v0
.LBB63_958:
	s_or_b32 s0, s0, exec_lo
.LBB63_959:
	s_wait_xcnt 0x0
	s_or_b32 exec_lo, exec_lo, s6
	s_mov_b32 s11, 0
	s_mov_b32 s10, 0
                                        ; implicit-def: $sgpr6
                                        ; implicit-def: $sgpr7
                                        ; implicit-def: $vgpr0_vgpr1
	s_and_saveexec_b32 s8, s0
	s_cbranch_execz .LBB63_967
; %bb.960:
	v_mov_b32_e32 v3, 0
	s_wait_loadcnt 0x0
	s_delay_alu instid0(VALU_DEP_2) | instskip(SKIP_1) | instid1(VALU_DEP_2)
	v_cmp_ne_u64_e32 vcc_lo, s[16:17], v[6:7]
	s_and_b32 s7, s18, 0xff
	v_add_nc_u64_e32 v[0:1], s[4:5], v[2:3]
	s_xor_b32 s6, s9, vcc_lo
	s_cmp_lt_i32 s7, 11
	s_cbranch_scc1 .LBB63_970
; %bb.961:
	s_and_b32 s4, 0xffff, s7
	s_mov_b32 s5, -1
	s_cmp_gt_i32 s4, 25
	s_mov_b32 s0, s42
	s_cbranch_scc0 .LBB63_998
; %bb.962:
	s_cmp_gt_i32 s4, 28
	s_mov_b32 s0, s42
	s_cbranch_scc0 .LBB63_982
; %bb.963:
	;; [unrolled: 4-line block ×4, first 2 shown]
	s_cmp_eq_u32 s4, 46
	s_mov_b32 s0, -1
	s_cbranch_scc0 .LBB63_971
; %bb.966:
	v_cndmask_b32_e64 v2, 0, 1.0, s6
	s_mov_b32 s0, 0
	s_mov_b32 s5, 0
	s_delay_alu instid0(VALU_DEP_1) | instskip(NEXT) | instid1(VALU_DEP_1)
	v_bfe_u32 v3, v2, 16, 1
	v_add3_u32 v2, v2, v3, 0x7fff
	s_delay_alu instid0(VALU_DEP_1)
	v_lshrrev_b32_e32 v2, 16, v2
	global_store_b32 v[0:1], v2, off
	s_branch .LBB63_972
.LBB63_967:
	s_or_b32 exec_lo, exec_lo, s8
	s_and_saveexec_b32 s0, s42
	s_cbranch_execnz .LBB63_1040
.LBB63_968:
	s_or_b32 exec_lo, exec_lo, s0
	s_and_saveexec_b32 s0, s11
	s_delay_alu instid0(SALU_CYCLE_1)
	s_xor_b32 s0, exec_lo, s0
	s_cbranch_execz .LBB63_1041
.LBB63_969:
	v_cndmask_b32_e64 v2, 0, 1, s6
	global_store_b8 v[0:1], v2, off
	s_wait_xcnt 0x0
	s_or_b32 exec_lo, exec_lo, s0
	s_and_saveexec_b32 s0, s10
	s_delay_alu instid0(SALU_CYCLE_1)
	s_xor_b32 s0, exec_lo, s0
	s_cbranch_execz .LBB63_1079
	s_branch .LBB63_1042
.LBB63_970:
	s_mov_b32 s9, 0
	s_mov_b32 s5, -1
	s_mov_b32 s0, s42
	s_branch .LBB63_1039
.LBB63_971:
	s_mov_b32 s5, 0
.LBB63_972:
	s_delay_alu instid0(SALU_CYCLE_1)
	s_and_b32 vcc_lo, exec_lo, s5
	s_cbranch_vccz .LBB63_977
; %bb.973:
	s_cmp_eq_u32 s4, 44
	s_mov_b32 s0, -1
	s_cbranch_scc0 .LBB63_977
; %bb.974:
	v_cndmask_b32_e64 v4, 0, 1.0, s6
	s_mov_b32 s5, exec_lo
	s_wait_xcnt 0x0
	s_delay_alu instid0(VALU_DEP_1) | instskip(NEXT) | instid1(VALU_DEP_1)
	v_dual_mov_b32 v3, 0xff :: v_dual_lshrrev_b32 v2, 23, v4
	v_cmpx_ne_u32_e32 0xff, v2
; %bb.975:
	v_and_b32_e32 v3, 0x400000, v4
	v_and_or_b32 v4, 0x3fffff, v4, v2
	s_delay_alu instid0(VALU_DEP_2) | instskip(NEXT) | instid1(VALU_DEP_2)
	v_cmp_ne_u32_e32 vcc_lo, 0, v3
	v_cmp_ne_u32_e64 s0, 0, v4
	s_and_b32 s0, vcc_lo, s0
	s_delay_alu instid0(SALU_CYCLE_1) | instskip(NEXT) | instid1(VALU_DEP_1)
	v_cndmask_b32_e64 v3, 0, 1, s0
	v_add_nc_u32_e32 v3, v2, v3
; %bb.976:
	s_or_b32 exec_lo, exec_lo, s5
	s_mov_b32 s0, 0
	global_store_b8 v[0:1], v3, off
.LBB63_977:
	s_mov_b32 s5, 0
.LBB63_978:
	s_delay_alu instid0(SALU_CYCLE_1)
	s_and_b32 vcc_lo, exec_lo, s5
	s_cbranch_vccz .LBB63_981
; %bb.979:
	s_cmp_eq_u32 s4, 29
	s_mov_b32 s0, -1
	s_cbranch_scc0 .LBB63_981
; %bb.980:
	s_mov_b32 s0, 0
	s_wait_xcnt 0x0
	v_cndmask_b32_e64 v2, 0, 1, s6
	v_mov_b32_e32 v3, s0
	s_mov_b32 s5, 0
	global_store_b64 v[0:1], v[2:3], off
	s_branch .LBB63_982
.LBB63_981:
	s_mov_b32 s5, 0
.LBB63_982:
	s_delay_alu instid0(SALU_CYCLE_1)
	s_and_b32 vcc_lo, exec_lo, s5
	s_cbranch_vccz .LBB63_997
; %bb.983:
	s_cmp_lt_i32 s4, 27
	s_mov_b32 s5, -1
	s_cbranch_scc1 .LBB63_989
; %bb.984:
	s_cmp_gt_i32 s4, 27
	s_cbranch_scc0 .LBB63_986
; %bb.985:
	s_wait_xcnt 0x0
	v_cndmask_b32_e64 v2, 0, 1, s6
	s_mov_b32 s5, 0
	global_store_b32 v[0:1], v2, off
.LBB63_986:
	s_and_not1_b32 vcc_lo, exec_lo, s5
	s_cbranch_vccnz .LBB63_988
; %bb.987:
	s_wait_xcnt 0x0
	v_cndmask_b32_e64 v2, 0, 1, s6
	global_store_b16 v[0:1], v2, off
.LBB63_988:
	s_mov_b32 s5, 0
.LBB63_989:
	s_delay_alu instid0(SALU_CYCLE_1)
	s_and_not1_b32 vcc_lo, exec_lo, s5
	s_cbranch_vccnz .LBB63_997
; %bb.990:
	s_wait_xcnt 0x0
	v_cndmask_b32_e64 v3, 0, 1.0, s6
	v_mov_b32_e32 v4, 0x80
	s_mov_b32 s5, exec_lo
	s_delay_alu instid0(VALU_DEP_2)
	v_cmpx_gt_u32_e32 0x43800000, v3
	s_cbranch_execz .LBB63_996
; %bb.991:
	s_mov_b32 s9, 0
	s_mov_b32 s10, exec_lo
                                        ; implicit-def: $vgpr2
	v_cmpx_lt_u32_e32 0x3bffffff, v3
	s_xor_b32 s10, exec_lo, s10
	s_cbranch_execz .LBB63_1154
; %bb.992:
	v_bfe_u32 v2, v3, 20, 1
	s_mov_b32 s9, exec_lo
	s_delay_alu instid0(VALU_DEP_1) | instskip(NEXT) | instid1(VALU_DEP_1)
	v_add3_u32 v2, v3, v2, 0x487ffff
                                        ; implicit-def: $vgpr3
	v_lshrrev_b32_e32 v2, 20, v2
	s_and_not1_saveexec_b32 s10, s10
	s_cbranch_execnz .LBB63_1155
.LBB63_993:
	s_or_b32 exec_lo, exec_lo, s10
	v_mov_b32_e32 v4, 0
	s_and_saveexec_b32 s10, s9
.LBB63_994:
	v_mov_b32_e32 v4, v2
.LBB63_995:
	s_or_b32 exec_lo, exec_lo, s10
.LBB63_996:
	s_delay_alu instid0(SALU_CYCLE_1)
	s_or_b32 exec_lo, exec_lo, s5
	global_store_b8 v[0:1], v4, off
.LBB63_997:
	s_mov_b32 s5, 0
.LBB63_998:
	s_delay_alu instid0(SALU_CYCLE_1)
	s_and_b32 vcc_lo, exec_lo, s5
	s_mov_b32 s5, 0
	s_cbranch_vccz .LBB63_1038
; %bb.999:
	s_cmp_gt_i32 s4, 22
	s_mov_b32 s9, -1
	s_cbranch_scc0 .LBB63_1031
; %bb.1000:
	s_cmp_lt_i32 s4, 24
	s_cbranch_scc1 .LBB63_1020
; %bb.1001:
	s_cmp_gt_i32 s4, 24
	s_cbranch_scc0 .LBB63_1009
; %bb.1002:
	s_wait_xcnt 0x0
	v_cndmask_b32_e64 v3, 0, 1.0, s6
	v_mov_b32_e32 v4, 0x80
	s_mov_b32 s9, exec_lo
	s_delay_alu instid0(VALU_DEP_2)
	v_cmpx_gt_u32_e32 0x47800000, v3
	s_cbranch_execz .LBB63_1008
; %bb.1003:
	s_mov_b32 s10, 0
	s_mov_b32 s11, exec_lo
                                        ; implicit-def: $vgpr2
	v_cmpx_lt_u32_e32 0x37ffffff, v3
	s_xor_b32 s11, exec_lo, s11
	s_cbranch_execz .LBB63_1275
; %bb.1004:
	v_bfe_u32 v2, v3, 21, 1
	s_mov_b32 s10, exec_lo
	s_delay_alu instid0(VALU_DEP_1) | instskip(NEXT) | instid1(VALU_DEP_1)
	v_add3_u32 v2, v3, v2, 0x88fffff
                                        ; implicit-def: $vgpr3
	v_lshrrev_b32_e32 v2, 21, v2
	s_and_not1_saveexec_b32 s11, s11
	s_cbranch_execnz .LBB63_1276
.LBB63_1005:
	s_or_b32 exec_lo, exec_lo, s11
	v_mov_b32_e32 v4, 0
	s_and_saveexec_b32 s11, s10
.LBB63_1006:
	v_mov_b32_e32 v4, v2
.LBB63_1007:
	s_or_b32 exec_lo, exec_lo, s11
.LBB63_1008:
	s_delay_alu instid0(SALU_CYCLE_1)
	s_or_b32 exec_lo, exec_lo, s9
	s_mov_b32 s9, 0
	global_store_b8 v[0:1], v4, off
.LBB63_1009:
	s_and_b32 vcc_lo, exec_lo, s9
	s_cbranch_vccz .LBB63_1019
; %bb.1010:
	s_wait_xcnt 0x0
	v_cndmask_b32_e64 v3, 0, 1.0, s6
	s_mov_b32 s9, exec_lo
                                        ; implicit-def: $vgpr2
	s_delay_alu instid0(VALU_DEP_1)
	v_cmpx_gt_u32_e32 0x43f00000, v3
	s_xor_b32 s9, exec_lo, s9
	s_cbranch_execz .LBB63_1016
; %bb.1011:
	s_mov_b32 s10, exec_lo
                                        ; implicit-def: $vgpr2
	v_cmpx_lt_u32_e32 0x3c7fffff, v3
	s_xor_b32 s10, exec_lo, s10
; %bb.1012:
	v_bfe_u32 v2, v3, 20, 1
	s_delay_alu instid0(VALU_DEP_1) | instskip(NEXT) | instid1(VALU_DEP_1)
	v_add3_u32 v2, v3, v2, 0x407ffff
	v_and_b32_e32 v3, 0xff00000, v2
	v_lshrrev_b32_e32 v2, 20, v2
	s_delay_alu instid0(VALU_DEP_2) | instskip(NEXT) | instid1(VALU_DEP_2)
	v_cmp_ne_u32_e32 vcc_lo, 0x7f00000, v3
                                        ; implicit-def: $vgpr3
	v_cndmask_b32_e32 v2, 0x7e, v2, vcc_lo
; %bb.1013:
	s_and_not1_saveexec_b32 s10, s10
; %bb.1014:
	v_add_f32_e32 v2, 0x46800000, v3
; %bb.1015:
	s_or_b32 exec_lo, exec_lo, s10
                                        ; implicit-def: $vgpr3
.LBB63_1016:
	s_and_not1_saveexec_b32 s9, s9
; %bb.1017:
	v_mov_b32_e32 v2, 0x7f
	v_cmp_lt_u32_e32 vcc_lo, 0x7f800000, v3
	s_delay_alu instid0(VALU_DEP_2)
	v_cndmask_b32_e32 v2, 0x7e, v2, vcc_lo
; %bb.1018:
	s_or_b32 exec_lo, exec_lo, s9
	global_store_b8 v[0:1], v2, off
.LBB63_1019:
	s_mov_b32 s9, 0
.LBB63_1020:
	s_delay_alu instid0(SALU_CYCLE_1)
	s_and_not1_b32 vcc_lo, exec_lo, s9
	s_cbranch_vccnz .LBB63_1030
; %bb.1021:
	s_wait_xcnt 0x0
	v_cndmask_b32_e64 v3, 0, 1.0, s6
	s_mov_b32 s9, exec_lo
                                        ; implicit-def: $vgpr2
	s_delay_alu instid0(VALU_DEP_1)
	v_cmpx_gt_u32_e32 0x47800000, v3
	s_xor_b32 s9, exec_lo, s9
	s_cbranch_execz .LBB63_1027
; %bb.1022:
	s_mov_b32 s10, exec_lo
                                        ; implicit-def: $vgpr2
	v_cmpx_lt_u32_e32 0x387fffff, v3
	s_xor_b32 s10, exec_lo, s10
; %bb.1023:
	v_bfe_u32 v2, v3, 21, 1
	s_delay_alu instid0(VALU_DEP_1) | instskip(NEXT) | instid1(VALU_DEP_1)
	v_add3_u32 v2, v3, v2, 0x80fffff
                                        ; implicit-def: $vgpr3
	v_lshrrev_b32_e32 v2, 21, v2
; %bb.1024:
	s_and_not1_saveexec_b32 s10, s10
; %bb.1025:
	v_add_f32_e32 v2, 0x43000000, v3
; %bb.1026:
	s_or_b32 exec_lo, exec_lo, s10
                                        ; implicit-def: $vgpr3
.LBB63_1027:
	s_and_not1_saveexec_b32 s9, s9
; %bb.1028:
	v_mov_b32_e32 v2, 0x7f
	v_cmp_lt_u32_e32 vcc_lo, 0x7f800000, v3
	s_delay_alu instid0(VALU_DEP_2)
	v_cndmask_b32_e32 v2, 0x7c, v2, vcc_lo
; %bb.1029:
	s_or_b32 exec_lo, exec_lo, s9
	global_store_b8 v[0:1], v2, off
.LBB63_1030:
	s_mov_b32 s9, 0
.LBB63_1031:
	s_delay_alu instid0(SALU_CYCLE_1)
	s_and_not1_b32 vcc_lo, exec_lo, s9
	s_mov_b32 s9, 0
	s_cbranch_vccnz .LBB63_1039
; %bb.1032:
	s_cmp_gt_i32 s4, 14
	s_mov_b32 s9, -1
	s_cbranch_scc0 .LBB63_1036
; %bb.1033:
	s_cmp_eq_u32 s4, 15
	s_mov_b32 s0, -1
	s_cbranch_scc0 .LBB63_1035
; %bb.1034:
	s_wait_xcnt 0x0
	v_cndmask_b32_e64 v2, 0, 1.0, s6
	s_mov_b32 s0, 0
	s_delay_alu instid0(VALU_DEP_1) | instskip(NEXT) | instid1(VALU_DEP_1)
	v_bfe_u32 v3, v2, 16, 1
	v_add3_u32 v2, v2, v3, 0x7fff
	global_store_d16_hi_b16 v[0:1], v2, off
.LBB63_1035:
	s_mov_b32 s9, 0
.LBB63_1036:
	s_delay_alu instid0(SALU_CYCLE_1)
	s_and_b32 vcc_lo, exec_lo, s9
	s_mov_b32 s9, 0
	s_cbranch_vccz .LBB63_1039
; %bb.1037:
	s_cmp_lg_u32 s4, 11
	s_mov_b32 s9, -1
	s_cselect_b32 s4, -1, 0
	s_and_not1_b32 s0, s0, exec_lo
	s_and_b32 s4, s4, exec_lo
	s_delay_alu instid0(SALU_CYCLE_1)
	s_or_b32 s0, s0, s4
	s_branch .LBB63_1039
.LBB63_1038:
	s_mov_b32 s9, 0
.LBB63_1039:
	s_and_not1_b32 s4, s42, exec_lo
	s_and_b32 s0, s0, exec_lo
	s_and_b32 s10, s5, exec_lo
	;; [unrolled: 1-line block ×3, first 2 shown]
	s_or_b32 s42, s4, s0
	s_wait_xcnt 0x0
	s_or_b32 exec_lo, exec_lo, s8
	s_and_saveexec_b32 s0, s42
	s_cbranch_execz .LBB63_968
.LBB63_1040:
	s_or_b32 s1, s1, exec_lo
	s_and_not1_b32 s11, s11, exec_lo
	s_trap 2
	s_or_b32 exec_lo, exec_lo, s0
	s_and_saveexec_b32 s0, s11
	s_delay_alu instid0(SALU_CYCLE_1)
	s_xor_b32 s0, exec_lo, s0
	s_cbranch_execnz .LBB63_969
.LBB63_1041:
	s_or_b32 exec_lo, exec_lo, s0
	s_and_saveexec_b32 s0, s10
	s_delay_alu instid0(SALU_CYCLE_1)
	s_xor_b32 s0, exec_lo, s0
	s_cbranch_execz .LBB63_1079
.LBB63_1042:
	s_sext_i32_i16 s5, s7
	s_mov_b32 s4, -1
	s_cmp_lt_i32 s5, 5
	s_cbranch_scc1 .LBB63_1063
; %bb.1043:
	s_cmp_lt_i32 s5, 8
	s_cbranch_scc1 .LBB63_1053
; %bb.1044:
	;; [unrolled: 3-line block ×3, first 2 shown]
	s_cmp_gt_i32 s5, 9
	s_cbranch_scc0 .LBB63_1047
; %bb.1046:
	v_cndmask_b32_e64 v2, 0, 1, s6
	v_mov_b32_e32 v4, 0
	s_mov_b32 s4, 0
	s_delay_alu instid0(VALU_DEP_2) | instskip(NEXT) | instid1(VALU_DEP_2)
	v_cvt_f64_u32_e32 v[2:3], v2
	v_mov_b32_e32 v5, v4
	global_store_b128 v[0:1], v[2:5], off
.LBB63_1047:
	s_and_not1_b32 vcc_lo, exec_lo, s4
	s_cbranch_vccnz .LBB63_1049
; %bb.1048:
	s_wait_xcnt 0x0
	v_cndmask_b32_e64 v2, 0, 1.0, s6
	v_mov_b32_e32 v3, 0
	global_store_b64 v[0:1], v[2:3], off
.LBB63_1049:
	s_mov_b32 s4, 0
.LBB63_1050:
	s_delay_alu instid0(SALU_CYCLE_1)
	s_and_not1_b32 vcc_lo, exec_lo, s4
	s_cbranch_vccnz .LBB63_1052
; %bb.1051:
	s_wait_xcnt 0x0
	v_cndmask_b32_e64 v2, 0, 1.0, s6
	s_delay_alu instid0(VALU_DEP_1) | instskip(NEXT) | instid1(VALU_DEP_1)
	v_cvt_f16_f32_e32 v2, v2
	v_and_b32_e32 v2, 0xffff, v2
	global_store_b32 v[0:1], v2, off
.LBB63_1052:
	s_mov_b32 s4, 0
.LBB63_1053:
	s_delay_alu instid0(SALU_CYCLE_1)
	s_and_not1_b32 vcc_lo, exec_lo, s4
	s_cbranch_vccnz .LBB63_1062
; %bb.1054:
	s_sext_i32_i16 s5, s7
	s_mov_b32 s4, -1
	s_cmp_lt_i32 s5, 6
	s_cbranch_scc1 .LBB63_1060
; %bb.1055:
	s_cmp_gt_i32 s5, 6
	s_cbranch_scc0 .LBB63_1057
; %bb.1056:
	s_wait_xcnt 0x0
	v_cndmask_b32_e64 v2, 0, 1, s6
	s_mov_b32 s4, 0
	s_delay_alu instid0(VALU_DEP_1)
	v_cvt_f64_u32_e32 v[2:3], v2
	global_store_b64 v[0:1], v[2:3], off
.LBB63_1057:
	s_and_not1_b32 vcc_lo, exec_lo, s4
	s_cbranch_vccnz .LBB63_1059
; %bb.1058:
	s_wait_xcnt 0x0
	v_cndmask_b32_e64 v2, 0, 1.0, s6
	global_store_b32 v[0:1], v2, off
.LBB63_1059:
	s_mov_b32 s4, 0
.LBB63_1060:
	s_delay_alu instid0(SALU_CYCLE_1)
	s_and_not1_b32 vcc_lo, exec_lo, s4
	s_cbranch_vccnz .LBB63_1062
; %bb.1061:
	s_wait_xcnt 0x0
	v_cndmask_b32_e64 v2, 0, 1.0, s6
	s_delay_alu instid0(VALU_DEP_1)
	v_cvt_f16_f32_e32 v2, v2
	global_store_b16 v[0:1], v2, off
.LBB63_1062:
	s_mov_b32 s4, 0
.LBB63_1063:
	s_delay_alu instid0(SALU_CYCLE_1)
	s_and_not1_b32 vcc_lo, exec_lo, s4
	s_cbranch_vccnz .LBB63_1079
; %bb.1064:
	s_sext_i32_i16 s5, s7
	s_mov_b32 s4, -1
	s_cmp_lt_i32 s5, 2
	s_cbranch_scc1 .LBB63_1074
; %bb.1065:
	s_cmp_lt_i32 s5, 3
	s_cbranch_scc1 .LBB63_1071
; %bb.1066:
	s_cmp_gt_i32 s5, 3
	s_cbranch_scc0 .LBB63_1068
; %bb.1067:
	s_mov_b32 s4, 0
	s_wait_xcnt 0x0
	v_cndmask_b32_e64 v2, 0, 1, s6
	v_mov_b32_e32 v3, s4
	global_store_b64 v[0:1], v[2:3], off
.LBB63_1068:
	s_and_not1_b32 vcc_lo, exec_lo, s4
	s_cbranch_vccnz .LBB63_1070
; %bb.1069:
	s_wait_xcnt 0x0
	v_cndmask_b32_e64 v2, 0, 1, s6
	global_store_b32 v[0:1], v2, off
.LBB63_1070:
	s_mov_b32 s4, 0
.LBB63_1071:
	s_delay_alu instid0(SALU_CYCLE_1)
	s_and_not1_b32 vcc_lo, exec_lo, s4
	s_cbranch_vccnz .LBB63_1073
; %bb.1072:
	s_wait_xcnt 0x0
	v_cndmask_b32_e64 v2, 0, 1, s6
	global_store_b16 v[0:1], v2, off
.LBB63_1073:
	s_mov_b32 s4, 0
.LBB63_1074:
	s_delay_alu instid0(SALU_CYCLE_1)
	s_and_not1_b32 vcc_lo, exec_lo, s4
	s_cbranch_vccnz .LBB63_1079
; %bb.1075:
	s_sext_i32_i16 s4, s7
	s_delay_alu instid0(SALU_CYCLE_1)
	s_cmp_gt_i32 s4, 0
	s_mov_b32 s4, -1
	s_cbranch_scc0 .LBB63_1077
; %bb.1076:
	s_wait_xcnt 0x0
	v_cndmask_b32_e64 v2, 0, 1, s6
	s_mov_b32 s4, 0
	global_store_b8 v[0:1], v2, off
.LBB63_1077:
	s_and_not1_b32 vcc_lo, exec_lo, s4
	s_cbranch_vccnz .LBB63_1079
; %bb.1078:
	s_wait_xcnt 0x0
	v_cndmask_b32_e64 v2, 0, 1, s6
	global_store_b8 v[0:1], v2, off
.LBB63_1079:
	s_wait_xcnt 0x0
	s_or_b32 exec_lo, exec_lo, s0
	s_delay_alu instid0(SALU_CYCLE_1)
	s_and_b32 s11, s1, exec_lo
                                        ; implicit-def: $vgpr9
                                        ; implicit-def: $vgpr0
.LBB63_1080:
	s_or_saveexec_b32 s12, s36
	s_mov_b32 s0, 0
                                        ; implicit-def: $sgpr4
                                        ; implicit-def: $vgpr2_vgpr3
                                        ; implicit-def: $sgpr6
	s_xor_b32 exec_lo, exec_lo, s12
	s_cbranch_execz .LBB63_2074
; %bb.1081:
	v_cndmask_b32_e64 v1, 0, 1, s35
	s_and_not1_b32 vcc_lo, exec_lo, s35
	s_cbranch_vccnz .LBB63_1087
; %bb.1082:
	s_cmp_lg_u32 s19, 0
	s_mov_b32 s8, 0
	s_cbranch_scc0 .LBB63_1088
; %bb.1083:
	s_min_u32 s1, s33, 15
	s_delay_alu instid0(SALU_CYCLE_1)
	s_add_co_i32 s1, s1, 1
	s_cmp_eq_u32 s33, 2
	s_cbranch_scc1 .LBB63_1089
; %bb.1084:
	s_wait_loadcnt 0x0
	v_dual_mov_b32 v6, 0 :: v_dual_mov_b32 v8, 0
	v_mov_b32_e32 v2, v0
	s_and_b32 s0, s1, 28
	s_add_nc_u64 s[4:5], s[2:3], 0xc4
	s_mov_b32 s9, 0
	s_mov_b64 s[6:7], s[2:3]
.LBB63_1085:                            ; =>This Inner Loop Header: Depth=1
	s_clause 0x1
	s_load_b256 s[20:27], s[6:7], 0x4
	s_load_b128 s[28:31], s[6:7], 0x24
	s_load_b256 s[36:43], s[4:5], 0x0
	s_add_co_i32 s9, s9, 4
	s_wait_xcnt 0x0
	s_add_nc_u64 s[6:7], s[6:7], 48
	s_cmp_lg_u32 s0, s9
	s_add_nc_u64 s[4:5], s[4:5], 32
	s_wait_kmcnt 0x0
	v_mul_hi_u32 v3, s21, v2
	s_delay_alu instid0(VALU_DEP_1) | instskip(NEXT) | instid1(VALU_DEP_1)
	v_add_nc_u32_e32 v3, v2, v3
	v_lshrrev_b32_e32 v3, s22, v3
	s_delay_alu instid0(VALU_DEP_1) | instskip(NEXT) | instid1(VALU_DEP_1)
	v_mul_hi_u32 v4, s24, v3
	v_add_nc_u32_e32 v4, v3, v4
	s_delay_alu instid0(VALU_DEP_1) | instskip(NEXT) | instid1(VALU_DEP_1)
	v_lshrrev_b32_e32 v4, s25, v4
	v_mul_hi_u32 v5, s27, v4
	s_delay_alu instid0(VALU_DEP_1) | instskip(SKIP_1) | instid1(VALU_DEP_1)
	v_add_nc_u32_e32 v5, v4, v5
	v_mul_lo_u32 v7, v3, s20
	v_sub_nc_u32_e32 v2, v2, v7
	v_mul_lo_u32 v7, v4, s23
	s_delay_alu instid0(VALU_DEP_4) | instskip(NEXT) | instid1(VALU_DEP_3)
	v_lshrrev_b32_e32 v5, s28, v5
	v_mad_u32 v8, v2, s37, v8
	v_mad_u32 v2, v2, s36, v6
	s_delay_alu instid0(VALU_DEP_4) | instskip(NEXT) | instid1(VALU_DEP_4)
	v_sub_nc_u32_e32 v3, v3, v7
	v_mul_hi_u32 v10, s30, v5
	v_mul_lo_u32 v6, v5, s26
	s_delay_alu instid0(VALU_DEP_3) | instskip(SKIP_1) | instid1(VALU_DEP_4)
	v_mad_u32 v8, v3, s39, v8
	v_mad_u32 v3, v3, s38, v2
	v_add_nc_u32_e32 v7, v5, v10
	s_delay_alu instid0(VALU_DEP_1) | instskip(NEXT) | instid1(VALU_DEP_1)
	v_dual_sub_nc_u32 v4, v4, v6 :: v_dual_lshrrev_b32 v2, s31, v7
	v_mad_u32 v7, v4, s41, v8
	s_delay_alu instid0(VALU_DEP_4) | instskip(NEXT) | instid1(VALU_DEP_3)
	v_mad_u32 v3, v4, s40, v3
	v_mul_lo_u32 v6, v2, s29
	s_delay_alu instid0(VALU_DEP_1) | instskip(NEXT) | instid1(VALU_DEP_1)
	v_sub_nc_u32_e32 v4, v5, v6
	v_mad_u32 v8, v4, s43, v7
	s_delay_alu instid0(VALU_DEP_4)
	v_mad_u32 v6, v4, s42, v3
	s_cbranch_scc1 .LBB63_1085
; %bb.1086:
	s_delay_alu instid0(VALU_DEP_2)
	v_mov_b32_e32 v7, v8
	s_and_b32 s6, s1, 3
	s_mov_b32 s1, 0
	s_cmp_eq_u32 s6, 0
	s_cbranch_scc0 .LBB63_1090
	s_branch .LBB63_1093
.LBB63_1087:
	s_mov_b32 s8, -1
                                        ; implicit-def: $vgpr8
                                        ; implicit-def: $vgpr6
	s_branch .LBB63_1093
.LBB63_1088:
	s_wait_loadcnt 0x0
	v_dual_mov_b32 v8, 0 :: v_dual_mov_b32 v6, 0
	s_branch .LBB63_1093
.LBB63_1089:
	s_wait_loadcnt 0x0
	v_mov_b64_e32 v[6:7], 0
	v_mov_b32_e32 v2, v0
                                        ; implicit-def: $vgpr8
	s_and_b32 s6, s1, 3
	s_mov_b32 s1, 0
	s_cmp_eq_u32 s6, 0
	s_cbranch_scc1 .LBB63_1093
.LBB63_1090:
	s_lshl_b32 s4, s0, 3
	s_mov_b32 s5, s1
	s_mul_u64 s[14:15], s[0:1], 12
	s_add_nc_u64 s[4:5], s[2:3], s[4:5]
	s_delay_alu instid0(SALU_CYCLE_1)
	s_add_nc_u64 s[0:1], s[4:5], 0xc4
	s_add_nc_u64 s[4:5], s[2:3], s[14:15]
.LBB63_1091:                            ; =>This Inner Loop Header: Depth=1
	s_load_b96 s[16:18], s[4:5], 0x4
	s_load_b64 s[14:15], s[0:1], 0x0
	s_add_co_i32 s6, s6, -1
	s_wait_xcnt 0x0
	s_add_nc_u64 s[4:5], s[4:5], 12
	s_cmp_lg_u32 s6, 0
	s_add_nc_u64 s[0:1], s[0:1], 8
	s_wait_kmcnt 0x0
	v_mul_hi_u32 v3, s17, v2
	s_delay_alu instid0(VALU_DEP_1) | instskip(NEXT) | instid1(VALU_DEP_1)
	v_add_nc_u32_e32 v3, v2, v3
	v_lshrrev_b32_e32 v3, s18, v3
	s_delay_alu instid0(VALU_DEP_1) | instskip(NEXT) | instid1(VALU_DEP_1)
	v_mul_lo_u32 v4, v3, s16
	v_sub_nc_u32_e32 v2, v2, v4
	s_delay_alu instid0(VALU_DEP_1)
	v_mad_u32 v7, v2, s15, v7
	v_mad_u32 v6, v2, s14, v6
	v_mov_b32_e32 v2, v3
	s_cbranch_scc1 .LBB63_1091
; %bb.1092:
	s_delay_alu instid0(VALU_DEP_3)
	v_mov_b32_e32 v8, v7
.LBB63_1093:
	s_and_not1_b32 vcc_lo, exec_lo, s8
	s_cbranch_vccnz .LBB63_1096
; %bb.1094:
	s_clause 0x1
	s_load_b96 s[4:6], s[2:3], 0x4
	s_load_b64 s[0:1], s[2:3], 0xc4
	s_cmp_lt_u32 s19, 2
	s_wait_kmcnt 0x0
	v_mul_hi_u32 v2, s5, v0
	s_delay_alu instid0(VALU_DEP_1) | instskip(NEXT) | instid1(VALU_DEP_1)
	v_add_nc_u32_e32 v2, v0, v2
	v_lshrrev_b32_e32 v2, s6, v2
	s_delay_alu instid0(VALU_DEP_1) | instskip(NEXT) | instid1(VALU_DEP_1)
	v_mul_lo_u32 v3, v2, s4
	v_sub_nc_u32_e32 v3, v0, v3
	s_delay_alu instid0(VALU_DEP_1)
	v_mul_lo_u32 v8, v3, s1
	s_wait_loadcnt 0x0
	v_mul_lo_u32 v6, v3, s0
	s_cbranch_scc1 .LBB63_1096
; %bb.1095:
	s_clause 0x1
	s_load_b96 s[4:6], s[2:3], 0x10
	s_load_b64 s[0:1], s[2:3], 0xcc
	s_wait_kmcnt 0x0
	v_mul_hi_u32 v3, s5, v2
	s_delay_alu instid0(VALU_DEP_1) | instskip(NEXT) | instid1(VALU_DEP_1)
	v_add_nc_u32_e32 v3, v2, v3
	v_lshrrev_b32_e32 v3, s6, v3
	s_delay_alu instid0(VALU_DEP_1) | instskip(NEXT) | instid1(VALU_DEP_1)
	v_mul_lo_u32 v3, v3, s4
	v_sub_nc_u32_e32 v2, v2, v3
	s_delay_alu instid0(VALU_DEP_1)
	v_mad_u32 v6, v2, s0, v6
	v_mad_u32 v8, v2, s1, v8
.LBB63_1096:
	v_cmp_ne_u32_e32 vcc_lo, 1, v1
	v_add_nc_u32_e32 v2, 0x80, v0
	s_cbranch_vccnz .LBB63_1102
; %bb.1097:
	s_cmp_lg_u32 s19, 0
	s_mov_b32 s8, 0
	s_cbranch_scc0 .LBB63_1103
; %bb.1098:
	s_min_u32 s1, s33, 15
	s_delay_alu instid0(SALU_CYCLE_1)
	s_add_co_i32 s1, s1, 1
	s_cmp_eq_u32 s33, 2
	s_cbranch_scc1 .LBB63_1104
; %bb.1099:
	v_dual_mov_b32 v4, 0 :: v_dual_mov_b32 v10, 0
	v_mov_b32_e32 v3, v2
	s_and_b32 s0, s1, 28
	s_add_nc_u64 s[4:5], s[2:3], 0xc4
	s_mov_b32 s9, 0
	s_mov_b64 s[6:7], s[2:3]
.LBB63_1100:                            ; =>This Inner Loop Header: Depth=1
	s_clause 0x1
	s_load_b256 s[20:27], s[6:7], 0x4
	s_load_b128 s[28:31], s[6:7], 0x24
	s_load_b256 s[36:43], s[4:5], 0x0
	s_add_co_i32 s9, s9, 4
	s_wait_xcnt 0x0
	s_add_nc_u64 s[6:7], s[6:7], 48
	s_cmp_lg_u32 s0, s9
	s_add_nc_u64 s[4:5], s[4:5], 32
	s_wait_kmcnt 0x0
	v_mul_hi_u32 v5, s21, v3
	s_delay_alu instid0(VALU_DEP_1) | instskip(NEXT) | instid1(VALU_DEP_1)
	v_add_nc_u32_e32 v5, v3, v5
	v_lshrrev_b32_e32 v5, s22, v5
	s_wait_loadcnt 0x0
	s_delay_alu instid0(VALU_DEP_1) | instskip(NEXT) | instid1(VALU_DEP_1)
	v_mul_hi_u32 v7, s24, v5
	v_add_nc_u32_e32 v7, v5, v7
	s_delay_alu instid0(VALU_DEP_1) | instskip(NEXT) | instid1(VALU_DEP_1)
	v_lshrrev_b32_e32 v7, s25, v7
	v_mul_hi_u32 v11, s27, v7
	s_delay_alu instid0(VALU_DEP_1) | instskip(SKIP_1) | instid1(VALU_DEP_1)
	v_add_nc_u32_e32 v11, v7, v11
	v_mul_lo_u32 v12, v5, s20
	v_sub_nc_u32_e32 v3, v3, v12
	v_mul_lo_u32 v12, v7, s23
	s_delay_alu instid0(VALU_DEP_4) | instskip(NEXT) | instid1(VALU_DEP_3)
	v_lshrrev_b32_e32 v11, s28, v11
	v_mad_u32 v10, v3, s37, v10
	v_mad_u32 v3, v3, s36, v4
	s_delay_alu instid0(VALU_DEP_4) | instskip(NEXT) | instid1(VALU_DEP_4)
	v_sub_nc_u32_e32 v4, v5, v12
	v_mul_hi_u32 v13, s30, v11
	v_mul_lo_u32 v5, v11, s26
	s_delay_alu instid0(VALU_DEP_3) | instskip(SKIP_1) | instid1(VALU_DEP_4)
	v_mad_u32 v10, v4, s39, v10
	v_mad_u32 v4, v4, s38, v3
	v_add_nc_u32_e32 v12, v11, v13
	s_delay_alu instid0(VALU_DEP_1) | instskip(NEXT) | instid1(VALU_DEP_1)
	v_dual_sub_nc_u32 v5, v7, v5 :: v_dual_lshrrev_b32 v3, s31, v12
	v_mad_u32 v10, v5, s41, v10
	s_delay_alu instid0(VALU_DEP_4) | instskip(NEXT) | instid1(VALU_DEP_3)
	v_mad_u32 v4, v5, s40, v4
	v_mul_lo_u32 v7, v3, s29
	s_delay_alu instid0(VALU_DEP_1) | instskip(NEXT) | instid1(VALU_DEP_1)
	v_sub_nc_u32_e32 v5, v11, v7
	v_mad_u32 v10, v5, s43, v10
	s_delay_alu instid0(VALU_DEP_4)
	v_mad_u32 v4, v5, s42, v4
	s_cbranch_scc1 .LBB63_1100
; %bb.1101:
	s_delay_alu instid0(VALU_DEP_2)
	v_mov_b32_e32 v5, v10
	s_and_b32 s6, s1, 3
	s_mov_b32 s1, 0
	s_cmp_eq_u32 s6, 0
	s_cbranch_scc0 .LBB63_1105
	s_branch .LBB63_1108
.LBB63_1102:
	s_mov_b32 s8, -1
                                        ; implicit-def: $vgpr10
                                        ; implicit-def: $vgpr4
	s_branch .LBB63_1108
.LBB63_1103:
	v_dual_mov_b32 v10, 0 :: v_dual_mov_b32 v4, 0
	s_branch .LBB63_1108
.LBB63_1104:
	v_mov_b64_e32 v[4:5], 0
	v_mov_b32_e32 v3, v2
	s_mov_b32 s0, 0
                                        ; implicit-def: $vgpr10
	s_and_b32 s6, s1, 3
	s_mov_b32 s1, 0
	s_cmp_eq_u32 s6, 0
	s_cbranch_scc1 .LBB63_1108
.LBB63_1105:
	s_lshl_b32 s4, s0, 3
	s_mov_b32 s5, s1
	s_mul_u64 s[14:15], s[0:1], 12
	s_add_nc_u64 s[4:5], s[2:3], s[4:5]
	s_delay_alu instid0(SALU_CYCLE_1)
	s_add_nc_u64 s[0:1], s[4:5], 0xc4
	s_add_nc_u64 s[4:5], s[2:3], s[14:15]
.LBB63_1106:                            ; =>This Inner Loop Header: Depth=1
	s_load_b96 s[16:18], s[4:5], 0x4
	s_load_b64 s[14:15], s[0:1], 0x0
	s_add_co_i32 s6, s6, -1
	s_wait_xcnt 0x0
	s_add_nc_u64 s[4:5], s[4:5], 12
	s_cmp_lg_u32 s6, 0
	s_add_nc_u64 s[0:1], s[0:1], 8
	s_wait_loadcnt 0x0
	s_wait_kmcnt 0x0
	v_mul_hi_u32 v7, s17, v3
	s_delay_alu instid0(VALU_DEP_1) | instskip(NEXT) | instid1(VALU_DEP_1)
	v_add_nc_u32_e32 v7, v3, v7
	v_lshrrev_b32_e32 v7, s18, v7
	s_delay_alu instid0(VALU_DEP_1) | instskip(NEXT) | instid1(VALU_DEP_1)
	v_mul_lo_u32 v10, v7, s16
	v_sub_nc_u32_e32 v3, v3, v10
	s_delay_alu instid0(VALU_DEP_1)
	v_mad_u32 v5, v3, s15, v5
	v_mad_u32 v4, v3, s14, v4
	v_mov_b32_e32 v3, v7
	s_cbranch_scc1 .LBB63_1106
; %bb.1107:
	s_delay_alu instid0(VALU_DEP_3)
	v_mov_b32_e32 v10, v5
.LBB63_1108:
	s_and_not1_b32 vcc_lo, exec_lo, s8
	s_cbranch_vccnz .LBB63_1111
; %bb.1109:
	s_clause 0x1
	s_load_b96 s[4:6], s[2:3], 0x4
	s_load_b64 s[0:1], s[2:3], 0xc4
	s_cmp_lt_u32 s19, 2
	s_wait_kmcnt 0x0
	v_mul_hi_u32 v3, s5, v2
	s_delay_alu instid0(VALU_DEP_1) | instskip(NEXT) | instid1(VALU_DEP_1)
	v_add_nc_u32_e32 v3, v2, v3
	v_lshrrev_b32_e32 v3, s6, v3
	s_delay_alu instid0(VALU_DEP_1) | instskip(NEXT) | instid1(VALU_DEP_1)
	v_mul_lo_u32 v4, v3, s4
	v_sub_nc_u32_e32 v2, v2, v4
	s_delay_alu instid0(VALU_DEP_1)
	v_mul_lo_u32 v10, v2, s1
	v_mul_lo_u32 v4, v2, s0
	s_cbranch_scc1 .LBB63_1111
; %bb.1110:
	s_clause 0x1
	s_load_b96 s[4:6], s[2:3], 0x10
	s_load_b64 s[0:1], s[2:3], 0xcc
	s_wait_kmcnt 0x0
	v_mul_hi_u32 v2, s5, v3
	s_delay_alu instid0(VALU_DEP_1) | instskip(NEXT) | instid1(VALU_DEP_1)
	v_add_nc_u32_e32 v2, v3, v2
	v_lshrrev_b32_e32 v2, s6, v2
	s_delay_alu instid0(VALU_DEP_1) | instskip(NEXT) | instid1(VALU_DEP_1)
	v_mul_lo_u32 v2, v2, s4
	v_sub_nc_u32_e32 v2, v3, v2
	s_delay_alu instid0(VALU_DEP_1)
	v_mad_u32 v4, v2, s0, v4
	v_mad_u32 v10, v2, s1, v10
.LBB63_1111:
	v_cmp_ne_u32_e32 vcc_lo, 1, v1
	v_add_nc_u32_e32 v0, 0x100, v0
	s_cbranch_vccnz .LBB63_1117
; %bb.1112:
	s_cmp_lg_u32 s19, 0
	s_mov_b32 s8, 0
	s_cbranch_scc0 .LBB63_1118
; %bb.1113:
	s_min_u32 s1, s33, 15
	s_delay_alu instid0(SALU_CYCLE_1)
	s_add_co_i32 s1, s1, 1
	s_cmp_eq_u32 s33, 2
	s_cbranch_scc1 .LBB63_1119
; %bb.1114:
	v_dual_mov_b32 v2, 0 :: v_dual_mov_b32 v12, 0
	v_mov_b32_e32 v5, v0
	s_and_b32 s0, s1, 28
	s_add_nc_u64 s[4:5], s[2:3], 0xc4
	s_mov_b32 s9, 0
	s_mov_b64 s[6:7], s[2:3]
.LBB63_1115:                            ; =>This Inner Loop Header: Depth=1
	s_clause 0x1
	s_load_b256 s[20:27], s[6:7], 0x4
	s_load_b128 s[28:31], s[6:7], 0x24
	s_load_b256 s[36:43], s[4:5], 0x0
	s_add_co_i32 s9, s9, 4
	s_wait_xcnt 0x0
	s_add_nc_u64 s[6:7], s[6:7], 48
	s_cmp_lg_u32 s0, s9
	s_add_nc_u64 s[4:5], s[4:5], 32
	s_wait_kmcnt 0x0
	v_mul_hi_u32 v3, s21, v5
	s_delay_alu instid0(VALU_DEP_1) | instskip(NEXT) | instid1(VALU_DEP_1)
	v_add_nc_u32_e32 v3, v5, v3
	v_lshrrev_b32_e32 v3, s22, v3
	s_wait_loadcnt 0x0
	s_delay_alu instid0(VALU_DEP_1) | instskip(SKIP_1) | instid1(VALU_DEP_1)
	v_mul_hi_u32 v7, s24, v3
	v_mul_lo_u32 v13, v3, s20
	v_dual_add_nc_u32 v7, v3, v7 :: v_dual_sub_nc_u32 v5, v5, v13
	s_delay_alu instid0(VALU_DEP_1) | instskip(NEXT) | instid1(VALU_DEP_2)
	v_lshrrev_b32_e32 v7, s25, v7
	v_mad_u32 v12, v5, s37, v12
	v_mad_u32 v2, v5, s36, v2
	s_delay_alu instid0(VALU_DEP_3) | instskip(NEXT) | instid1(VALU_DEP_1)
	v_mul_hi_u32 v11, s27, v7
	v_add_nc_u32_e32 v11, v7, v11
	s_delay_alu instid0(VALU_DEP_1) | instskip(NEXT) | instid1(VALU_DEP_1)
	v_lshrrev_b32_e32 v11, s28, v11
	v_mul_hi_u32 v14, s30, v11
	s_delay_alu instid0(VALU_DEP_1) | instskip(NEXT) | instid1(VALU_DEP_1)
	v_add_nc_u32_e32 v5, v11, v14
	v_lshrrev_b32_e32 v5, s31, v5
	v_mul_lo_u32 v13, v7, s23
	s_delay_alu instid0(VALU_DEP_1) | instskip(SKIP_1) | instid1(VALU_DEP_2)
	v_sub_nc_u32_e32 v3, v3, v13
	v_mul_lo_u32 v13, v11, s26
	v_mad_u32 v12, v3, s39, v12
	v_mad_u32 v2, v3, s38, v2
	s_delay_alu instid0(VALU_DEP_3) | instskip(SKIP_1) | instid1(VALU_DEP_2)
	v_sub_nc_u32_e32 v3, v7, v13
	v_mul_lo_u32 v7, v5, s29
	v_mad_u32 v12, v3, s41, v12
	s_delay_alu instid0(VALU_DEP_4) | instskip(NEXT) | instid1(VALU_DEP_3)
	v_mad_u32 v2, v3, s40, v2
	v_sub_nc_u32_e32 v3, v11, v7
	s_delay_alu instid0(VALU_DEP_1) | instskip(NEXT) | instid1(VALU_DEP_3)
	v_mad_u32 v12, v3, s43, v12
	v_mad_u32 v2, v3, s42, v2
	s_cbranch_scc1 .LBB63_1115
; %bb.1116:
	s_delay_alu instid0(VALU_DEP_2)
	v_mov_b32_e32 v3, v12
	s_and_b32 s6, s1, 3
	s_mov_b32 s1, 0
	s_cmp_eq_u32 s6, 0
	s_cbranch_scc0 .LBB63_1120
	s_branch .LBB63_1123
.LBB63_1117:
	s_mov_b32 s8, -1
                                        ; implicit-def: $vgpr12
                                        ; implicit-def: $vgpr2
	s_branch .LBB63_1123
.LBB63_1118:
	v_dual_mov_b32 v12, 0 :: v_dual_mov_b32 v2, 0
	s_branch .LBB63_1123
.LBB63_1119:
	v_mov_b64_e32 v[2:3], 0
	v_mov_b32_e32 v5, v0
	s_mov_b32 s0, 0
                                        ; implicit-def: $vgpr12
	s_and_b32 s6, s1, 3
	s_mov_b32 s1, 0
	s_cmp_eq_u32 s6, 0
	s_cbranch_scc1 .LBB63_1123
.LBB63_1120:
	s_lshl_b32 s4, s0, 3
	s_mov_b32 s5, s1
	s_mul_u64 s[14:15], s[0:1], 12
	s_add_nc_u64 s[4:5], s[2:3], s[4:5]
	s_delay_alu instid0(SALU_CYCLE_1)
	s_add_nc_u64 s[0:1], s[4:5], 0xc4
	s_add_nc_u64 s[4:5], s[2:3], s[14:15]
.LBB63_1121:                            ; =>This Inner Loop Header: Depth=1
	s_load_b96 s[16:18], s[4:5], 0x4
	s_load_b64 s[14:15], s[0:1], 0x0
	s_add_co_i32 s6, s6, -1
	s_wait_xcnt 0x0
	s_add_nc_u64 s[4:5], s[4:5], 12
	s_cmp_lg_u32 s6, 0
	s_add_nc_u64 s[0:1], s[0:1], 8
	s_wait_loadcnt 0x0
	s_wait_kmcnt 0x0
	v_mul_hi_u32 v7, s17, v5
	s_delay_alu instid0(VALU_DEP_1) | instskip(NEXT) | instid1(VALU_DEP_1)
	v_add_nc_u32_e32 v7, v5, v7
	v_lshrrev_b32_e32 v7, s18, v7
	s_delay_alu instid0(VALU_DEP_1) | instskip(NEXT) | instid1(VALU_DEP_1)
	v_mul_lo_u32 v11, v7, s16
	v_sub_nc_u32_e32 v5, v5, v11
	s_delay_alu instid0(VALU_DEP_1)
	v_mad_u32 v3, v5, s15, v3
	v_mad_u32 v2, v5, s14, v2
	v_mov_b32_e32 v5, v7
	s_cbranch_scc1 .LBB63_1121
; %bb.1122:
	s_delay_alu instid0(VALU_DEP_3)
	v_mov_b32_e32 v12, v3
.LBB63_1123:
	s_and_not1_b32 vcc_lo, exec_lo, s8
	s_cbranch_vccnz .LBB63_1126
; %bb.1124:
	s_clause 0x1
	s_load_b96 s[4:6], s[2:3], 0x4
	s_load_b64 s[0:1], s[2:3], 0xc4
	s_cmp_lt_u32 s19, 2
	s_wait_kmcnt 0x0
	v_mul_hi_u32 v2, s5, v0
	s_delay_alu instid0(VALU_DEP_1) | instskip(NEXT) | instid1(VALU_DEP_1)
	v_add_nc_u32_e32 v2, v0, v2
	v_lshrrev_b32_e32 v3, s6, v2
	s_delay_alu instid0(VALU_DEP_1) | instskip(NEXT) | instid1(VALU_DEP_1)
	v_mul_lo_u32 v2, v3, s4
	v_sub_nc_u32_e32 v0, v0, v2
	s_delay_alu instid0(VALU_DEP_1)
	v_mul_lo_u32 v12, v0, s1
	v_mul_lo_u32 v2, v0, s0
	s_cbranch_scc1 .LBB63_1126
; %bb.1125:
	s_clause 0x1
	s_load_b96 s[4:6], s[2:3], 0x10
	s_load_b64 s[0:1], s[2:3], 0xcc
	s_wait_kmcnt 0x0
	v_mul_hi_u32 v0, s5, v3
	s_delay_alu instid0(VALU_DEP_1) | instskip(NEXT) | instid1(VALU_DEP_1)
	v_add_nc_u32_e32 v0, v3, v0
	v_lshrrev_b32_e32 v0, s6, v0
	s_delay_alu instid0(VALU_DEP_1) | instskip(NEXT) | instid1(VALU_DEP_1)
	v_mul_lo_u32 v0, v0, s4
	v_sub_nc_u32_e32 v0, v3, v0
	s_delay_alu instid0(VALU_DEP_1)
	v_mad_u32 v2, v0, s0, v2
	v_mad_u32 v12, v0, s1, v12
.LBB63_1126:
	v_cmp_ne_u32_e32 vcc_lo, 1, v1
	s_cbranch_vccnz .LBB63_1132
; %bb.1127:
	s_cmp_lg_u32 s19, 0
	s_mov_b32 s8, 0
	s_cbranch_scc0 .LBB63_1133
; %bb.1128:
	s_min_u32 s1, s33, 15
	s_delay_alu instid0(SALU_CYCLE_1)
	s_add_co_i32 s1, s1, 1
	s_cmp_eq_u32 s33, 2
	s_cbranch_scc1 .LBB63_1134
; %bb.1129:
	v_dual_mov_b32 v0, 0 :: v_dual_mov_b32 v14, 0
	v_mov_b32_e32 v3, v9
	s_and_b32 s0, s1, 28
	s_add_nc_u64 s[4:5], s[2:3], 0xc4
	s_mov_b32 s9, 0
	s_mov_b64 s[6:7], s[2:3]
.LBB63_1130:                            ; =>This Inner Loop Header: Depth=1
	s_clause 0x1
	s_load_b256 s[20:27], s[6:7], 0x4
	s_load_b128 s[28:31], s[6:7], 0x24
	s_load_b256 s[36:43], s[4:5], 0x0
	s_add_co_i32 s9, s9, 4
	s_wait_xcnt 0x0
	s_add_nc_u64 s[6:7], s[6:7], 48
	s_cmp_lg_u32 s0, s9
	s_add_nc_u64 s[4:5], s[4:5], 32
	s_wait_kmcnt 0x0
	v_mul_hi_u32 v1, s21, v3
	s_delay_alu instid0(VALU_DEP_1) | instskip(NEXT) | instid1(VALU_DEP_1)
	v_add_nc_u32_e32 v1, v3, v1
	v_lshrrev_b32_e32 v1, s22, v1
	s_delay_alu instid0(VALU_DEP_1) | instskip(NEXT) | instid1(VALU_DEP_1)
	v_mul_lo_u32 v11, v1, s20
	v_sub_nc_u32_e32 v3, v3, v11
	v_mul_hi_u32 v5, s24, v1
	s_delay_alu instid0(VALU_DEP_2) | instskip(SKIP_1) | instid1(VALU_DEP_3)
	v_mad_u32 v14, v3, s37, v14
	v_mad_u32 v0, v3, s36, v0
	v_add_nc_u32_e32 v5, v1, v5
	s_delay_alu instid0(VALU_DEP_1) | instskip(NEXT) | instid1(VALU_DEP_1)
	v_lshrrev_b32_e32 v5, s25, v5
	v_mul_lo_u32 v11, v5, s23
	s_delay_alu instid0(VALU_DEP_1) | instskip(SKIP_2) | instid1(VALU_DEP_2)
	v_sub_nc_u32_e32 v1, v1, v11
	s_wait_loadcnt 0x0
	v_mul_hi_u32 v7, s27, v5
	v_mad_u32 v0, v1, s38, v0
	s_delay_alu instid0(VALU_DEP_2) | instskip(NEXT) | instid1(VALU_DEP_1)
	v_add_nc_u32_e32 v7, v5, v7
	v_lshrrev_b32_e32 v7, s28, v7
	s_delay_alu instid0(VALU_DEP_1) | instskip(SKIP_1) | instid1(VALU_DEP_2)
	v_mul_hi_u32 v13, s30, v7
	v_mul_lo_u32 v11, v7, s26
	v_add_nc_u32_e32 v3, v7, v13
	v_mad_u32 v13, v1, s39, v14
	s_delay_alu instid0(VALU_DEP_3) | instskip(NEXT) | instid1(VALU_DEP_3)
	v_sub_nc_u32_e32 v1, v5, v11
	v_lshrrev_b32_e32 v3, s31, v3
	s_delay_alu instid0(VALU_DEP_2) | instskip(NEXT) | instid1(VALU_DEP_2)
	v_mad_u32 v0, v1, s40, v0
	v_mul_lo_u32 v5, v3, s29
	v_mad_u32 v11, v1, s41, v13
	s_delay_alu instid0(VALU_DEP_2) | instskip(NEXT) | instid1(VALU_DEP_1)
	v_sub_nc_u32_e32 v1, v7, v5
	v_mad_u32 v14, v1, s43, v11
	v_mad_u32 v0, v1, s42, v0
	s_cbranch_scc1 .LBB63_1130
; %bb.1131:
	s_delay_alu instid0(VALU_DEP_2)
	v_mov_b32_e32 v1, v14
	s_and_b32 s6, s1, 3
	s_mov_b32 s1, 0
	s_cmp_eq_u32 s6, 0
	s_cbranch_scc0 .LBB63_1135
	s_branch .LBB63_1138
.LBB63_1132:
	s_mov_b32 s8, -1
                                        ; implicit-def: $vgpr14
                                        ; implicit-def: $vgpr0
	s_branch .LBB63_1138
.LBB63_1133:
	v_dual_mov_b32 v14, 0 :: v_dual_mov_b32 v0, 0
	s_branch .LBB63_1138
.LBB63_1134:
	v_mov_b64_e32 v[0:1], 0
	v_mov_b32_e32 v3, v9
	s_mov_b32 s0, 0
                                        ; implicit-def: $vgpr14
	s_and_b32 s6, s1, 3
	s_mov_b32 s1, 0
	s_cmp_eq_u32 s6, 0
	s_cbranch_scc1 .LBB63_1138
.LBB63_1135:
	s_lshl_b32 s4, s0, 3
	s_mov_b32 s5, s1
	s_mul_u64 s[14:15], s[0:1], 12
	s_add_nc_u64 s[4:5], s[2:3], s[4:5]
	s_delay_alu instid0(SALU_CYCLE_1)
	s_add_nc_u64 s[0:1], s[4:5], 0xc4
	s_add_nc_u64 s[4:5], s[2:3], s[14:15]
.LBB63_1136:                            ; =>This Inner Loop Header: Depth=1
	s_load_b96 s[16:18], s[4:5], 0x4
	s_load_b64 s[14:15], s[0:1], 0x0
	s_add_co_i32 s6, s6, -1
	s_wait_xcnt 0x0
	s_add_nc_u64 s[4:5], s[4:5], 12
	s_cmp_lg_u32 s6, 0
	s_add_nc_u64 s[0:1], s[0:1], 8
	s_wait_kmcnt 0x0
	v_mul_hi_u32 v5, s17, v3
	s_delay_alu instid0(VALU_DEP_1) | instskip(NEXT) | instid1(VALU_DEP_1)
	v_add_nc_u32_e32 v5, v3, v5
	v_lshrrev_b32_e32 v5, s18, v5
	s_wait_loadcnt 0x0
	s_delay_alu instid0(VALU_DEP_1) | instskip(NEXT) | instid1(VALU_DEP_1)
	v_mul_lo_u32 v7, v5, s16
	v_sub_nc_u32_e32 v3, v3, v7
	s_delay_alu instid0(VALU_DEP_1)
	v_mad_u32 v1, v3, s15, v1
	v_mad_u32 v0, v3, s14, v0
	v_mov_b32_e32 v3, v5
	s_cbranch_scc1 .LBB63_1136
; %bb.1137:
	s_delay_alu instid0(VALU_DEP_3)
	v_mov_b32_e32 v14, v1
.LBB63_1138:
	s_and_not1_b32 vcc_lo, exec_lo, s8
	s_cbranch_vccnz .LBB63_1141
; %bb.1139:
	s_clause 0x1
	s_load_b96 s[4:6], s[2:3], 0x4
	s_load_b64 s[0:1], s[2:3], 0xc4
	s_cmp_lt_u32 s19, 2
	s_wait_kmcnt 0x0
	v_mul_hi_u32 v0, s5, v9
	s_delay_alu instid0(VALU_DEP_1) | instskip(NEXT) | instid1(VALU_DEP_1)
	v_add_nc_u32_e32 v0, v9, v0
	v_lshrrev_b32_e32 v1, s6, v0
	s_delay_alu instid0(VALU_DEP_1) | instskip(NEXT) | instid1(VALU_DEP_1)
	v_mul_lo_u32 v0, v1, s4
	v_sub_nc_u32_e32 v0, v9, v0
	s_delay_alu instid0(VALU_DEP_1)
	v_mul_lo_u32 v14, v0, s1
	v_mul_lo_u32 v0, v0, s0
	s_cbranch_scc1 .LBB63_1141
; %bb.1140:
	s_clause 0x1
	s_load_b96 s[4:6], s[2:3], 0x10
	s_load_b64 s[0:1], s[2:3], 0xcc
	s_wait_kmcnt 0x0
	v_mul_hi_u32 v3, s5, v1
	s_delay_alu instid0(VALU_DEP_1) | instskip(NEXT) | instid1(VALU_DEP_1)
	v_add_nc_u32_e32 v3, v1, v3
	v_lshrrev_b32_e32 v3, s6, v3
	s_delay_alu instid0(VALU_DEP_1) | instskip(NEXT) | instid1(VALU_DEP_1)
	v_mul_lo_u32 v3, v3, s4
	v_sub_nc_u32_e32 v1, v1, v3
	s_delay_alu instid0(VALU_DEP_1)
	v_mad_u32 v0, v1, s0, v0
	v_mad_u32 v14, v1, s1, v14
.LBB63_1141:
	v_mov_b32_e32 v9, 0
	s_load_b128 s[4:7], s[2:3], 0x148
	global_load_u8 v1, v9, s[2:3] offset:361
	s_wait_kmcnt 0x0
	v_add_nc_u64_e32 v[16:17], s[6:7], v[8:9]
	s_wait_loadcnt 0x0
	v_and_b32_e32 v3, 0xffff, v1
	v_readfirstlane_b32 s0, v1
	s_delay_alu instid0(VALU_DEP_2)
	v_cmp_gt_i32_e32 vcc_lo, 11, v3
	s_cbranch_vccnz .LBB63_1148
; %bb.1142:
	s_and_b32 s1, 0xffff, s0
	s_mov_b32 s9, 0
	s_cmp_gt_i32 s1, 25
	s_cbranch_scc0 .LBB63_1150
; %bb.1143:
	s_cmp_gt_i32 s1, 28
	s_cbranch_scc0 .LBB63_1151
; %bb.1144:
	;; [unrolled: 3-line block ×4, first 2 shown]
	s_cmp_eq_u32 s1, 46
	s_mov_b32 s13, 0
	s_cbranch_scc0 .LBB63_1156
; %bb.1147:
	global_load_b32 v1, v[16:17], off
	s_mov_b32 s8, 0
	s_mov_b32 s10, -1
	s_wait_loadcnt 0x0
	v_lshlrev_b32_e32 v1, 16, v1
	s_delay_alu instid0(VALU_DEP_1) | instskip(NEXT) | instid1(VALU_DEP_1)
	v_trunc_f32_e32 v1, v1
	v_mul_f32_e64 v3, 0x2f800000, |v1|
	v_ashrrev_i32_e32 v8, 31, v1
	s_delay_alu instid0(VALU_DEP_2) | instskip(SKIP_1) | instid1(VALU_DEP_2)
	v_floor_f32_e32 v3, v3
	s_wait_xcnt 0x1
	v_mov_b32_e32 v9, v8
	s_delay_alu instid0(VALU_DEP_2) | instskip(SKIP_1) | instid1(VALU_DEP_2)
	v_fma_f32 v5, 0xcf800000, v3, |v1|
	v_cvt_u32_f32_e32 v1, v3
	v_cvt_u32_f32_e32 v3, v5
	s_delay_alu instid0(VALU_DEP_2) | instskip(NEXT) | instid1(VALU_DEP_2)
	v_xor_b32_e32 v19, v1, v8
	v_xor_b32_e32 v18, v3, v8
	s_delay_alu instid0(VALU_DEP_1)
	v_sub_nc_u64_e32 v[8:9], v[18:19], v[8:9]
	s_branch .LBB63_1158
.LBB63_1148:
	s_mov_b32 s10, 0
	s_mov_b32 s1, s11
                                        ; implicit-def: $vgpr8_vgpr9
	s_cbranch_execnz .LBB63_1216
.LBB63_1149:
	s_and_not1_b32 vcc_lo, exec_lo, s10
	s_cbranch_vccz .LBB63_1261
	s_branch .LBB63_2072
.LBB63_1150:
	s_mov_b32 s10, 0
	s_mov_b32 s8, 0
                                        ; implicit-def: $vgpr8_vgpr9
	s_cbranch_execnz .LBB63_1183
	s_branch .LBB63_1212
.LBB63_1151:
	s_mov_b32 s10, 0
	s_mov_b32 s8, 0
                                        ; implicit-def: $vgpr8_vgpr9
	s_cbranch_execz .LBB63_1182
	s_branch .LBB63_1167
.LBB63_1152:
	s_mov_b32 s10, 0
	s_mov_b32 s8, 0
                                        ; implicit-def: $vgpr8_vgpr9
	s_cbranch_execnz .LBB63_1163
	s_branch .LBB63_1166
.LBB63_1153:
	s_mov_b32 s13, -1
	s_mov_b32 s10, 0
	s_mov_b32 s8, 0
	s_branch .LBB63_1157
.LBB63_1154:
	s_and_not1_saveexec_b32 s10, s10
	s_cbranch_execz .LBB63_993
.LBB63_1155:
	v_add_f32_e32 v2, 0x46000000, v3
	s_and_not1_b32 s9, s9, exec_lo
	s_delay_alu instid0(VALU_DEP_1) | instskip(NEXT) | instid1(VALU_DEP_1)
	v_and_b32_e32 v2, 0xff, v2
	v_cmp_ne_u32_e32 vcc_lo, 0, v2
	s_and_b32 s11, vcc_lo, exec_lo
	s_delay_alu instid0(SALU_CYCLE_1)
	s_or_b32 s9, s9, s11
	s_or_b32 exec_lo, exec_lo, s10
	v_mov_b32_e32 v4, 0
	s_and_saveexec_b32 s10, s9
	s_cbranch_execnz .LBB63_994
	s_branch .LBB63_995
.LBB63_1156:
	s_mov_b32 s8, -1
	s_mov_b32 s10, 0
.LBB63_1157:
                                        ; implicit-def: $vgpr8_vgpr9
.LBB63_1158:
	s_and_b32 vcc_lo, exec_lo, s13
	s_cbranch_vccz .LBB63_1161
; %bb.1159:
	s_cmp_eq_u32 s1, 44
	s_cbranch_scc0 .LBB63_1162
; %bb.1160:
	global_load_u8 v1, v[16:17], off
	s_mov_b32 s8, 0
	s_mov_b32 s10, -1
	s_wait_loadcnt 0x0
	v_lshlrev_b32_e32 v3, 23, v1
	v_cmp_ne_u32_e32 vcc_lo, 0, v1
	s_delay_alu instid0(VALU_DEP_2) | instskip(NEXT) | instid1(VALU_DEP_1)
	v_trunc_f32_e32 v3, v3
	v_mul_f32_e64 v5, 0x2f800000, |v3|
	v_ashrrev_i32_e32 v8, 31, v3
	s_delay_alu instid0(VALU_DEP_2) | instskip(SKIP_1) | instid1(VALU_DEP_2)
	v_floor_f32_e32 v5, v5
	s_wait_xcnt 0x1
	v_mov_b32_e32 v9, v8
	s_delay_alu instid0(VALU_DEP_2) | instskip(SKIP_1) | instid1(VALU_DEP_2)
	v_fma_f32 v7, 0xcf800000, v5, |v3|
	v_cvt_u32_f32_e32 v3, v5
	v_cvt_u32_f32_e32 v5, v7
	s_delay_alu instid0(VALU_DEP_2) | instskip(NEXT) | instid1(VALU_DEP_2)
	v_xor_b32_e32 v19, v3, v8
	v_xor_b32_e32 v18, v5, v8
	s_delay_alu instid0(VALU_DEP_1) | instskip(NEXT) | instid1(VALU_DEP_1)
	v_sub_nc_u64_e32 v[8:9], v[18:19], v[8:9]
	v_dual_cndmask_b32 v9, 0, v9 :: v_dual_cndmask_b32 v8, 0, v8
.LBB63_1161:
	s_branch .LBB63_1166
.LBB63_1162:
	s_mov_b32 s8, -1
                                        ; implicit-def: $vgpr8_vgpr9
	s_branch .LBB63_1166
.LBB63_1163:
	s_cmp_eq_u32 s1, 29
	s_cbranch_scc0 .LBB63_1165
; %bb.1164:
	global_load_b64 v[8:9], v[16:17], off
	s_mov_b32 s8, 0
	s_mov_b32 s10, -1
	s_branch .LBB63_1166
.LBB63_1165:
	s_mov_b32 s8, -1
                                        ; implicit-def: $vgpr8_vgpr9
.LBB63_1166:
	s_branch .LBB63_1182
.LBB63_1167:
	s_cmp_lt_i32 s1, 27
	s_cbranch_scc1 .LBB63_1170
; %bb.1168:
	s_cmp_gt_i32 s1, 27
	s_cbranch_scc0 .LBB63_1171
; %bb.1169:
	s_wait_loadcnt 0x0
	global_load_b32 v8, v[16:17], off
	s_wait_xcnt 0x1
	v_mov_b32_e32 v9, 0
	s_mov_b32 s10, 0
	s_branch .LBB63_1172
.LBB63_1170:
	s_mov_b32 s10, -1
                                        ; implicit-def: $vgpr8_vgpr9
	s_branch .LBB63_1175
.LBB63_1171:
	s_mov_b32 s10, -1
                                        ; implicit-def: $vgpr8_vgpr9
.LBB63_1172:
	s_delay_alu instid0(SALU_CYCLE_1)
	s_and_not1_b32 vcc_lo, exec_lo, s10
	s_cbranch_vccnz .LBB63_1174
; %bb.1173:
	global_load_u16 v1, v[16:17], off
	s_mov_b32 s10, 0
	s_wait_loadcnt 0x1
	s_wait_xcnt 0x1
	v_mov_b32_e32 v9, s10
	s_wait_loadcnt 0x0
	v_and_b32_e32 v8, 0xffff, v1
.LBB63_1174:
	s_mov_b32 s10, 0
.LBB63_1175:
	s_delay_alu instid0(SALU_CYCLE_1)
	s_and_not1_b32 vcc_lo, exec_lo, s10
	s_cbranch_vccnz .LBB63_1181
; %bb.1176:
	global_load_u8 v1, v[16:17], off
	s_mov_b32 s13, 0
	s_mov_b32 s10, exec_lo
	s_wait_loadcnt 0x0
	v_cmpx_lt_i16_e32 0x7f, v1
	s_xor_b32 s10, exec_lo, s10
	s_cbranch_execz .LBB63_1192
; %bb.1177:
	v_cmp_ne_u16_e32 vcc_lo, 0x80, v1
	s_and_b32 s13, vcc_lo, exec_lo
	s_and_not1_saveexec_b32 s10, s10
	s_cbranch_execnz .LBB63_1193
.LBB63_1178:
	s_or_b32 exec_lo, exec_lo, s10
	v_mov_b64_e32 v[8:9], 0
	s_and_saveexec_b32 s10, s13
	s_cbranch_execz .LBB63_1180
.LBB63_1179:
	v_and_b32_e32 v3, 0xffff, v1
	s_delay_alu instid0(VALU_DEP_1) | instskip(SKIP_1) | instid1(VALU_DEP_2)
	v_dual_lshlrev_b32 v1, 24, v1 :: v_dual_bitop2_b32 v5, 7, v3 bitop3:0x40
	v_bfe_u32 v9, v3, 3, 4
	v_and_b32_e32 v1, 0x80000000, v1
	s_delay_alu instid0(VALU_DEP_3) | instskip(NEXT) | instid1(VALU_DEP_3)
	v_clz_i32_u32_e32 v7, v5
	v_cmp_eq_u32_e32 vcc_lo, 0, v9
	s_delay_alu instid0(VALU_DEP_2) | instskip(NEXT) | instid1(VALU_DEP_1)
	v_min_u32_e32 v7, 32, v7
	v_subrev_nc_u32_e32 v8, 28, v7
	v_sub_nc_u32_e32 v7, 29, v7
	s_delay_alu instid0(VALU_DEP_2) | instskip(NEXT) | instid1(VALU_DEP_2)
	v_lshlrev_b32_e32 v3, v8, v3
	v_cndmask_b32_e32 v7, v9, v7, vcc_lo
	s_delay_alu instid0(VALU_DEP_2) | instskip(NEXT) | instid1(VALU_DEP_1)
	v_and_b32_e32 v3, 7, v3
	v_cndmask_b32_e32 v3, v5, v3, vcc_lo
	s_delay_alu instid0(VALU_DEP_3) | instskip(NEXT) | instid1(VALU_DEP_2)
	v_lshl_add_u32 v5, v7, 23, 0x3b800000
	v_lshlrev_b32_e32 v3, 20, v3
	s_delay_alu instid0(VALU_DEP_1) | instskip(NEXT) | instid1(VALU_DEP_1)
	v_or3_b32 v1, v1, v5, v3
	v_trunc_f32_e32 v1, v1
	s_delay_alu instid0(VALU_DEP_1) | instskip(SKIP_1) | instid1(VALU_DEP_2)
	v_mul_f32_e64 v3, 0x2f800000, |v1|
	v_ashrrev_i32_e32 v8, 31, v1
	v_floor_f32_e32 v3, v3
	s_delay_alu instid0(VALU_DEP_2) | instskip(NEXT) | instid1(VALU_DEP_2)
	v_mov_b32_e32 v9, v8
	v_fma_f32 v5, 0xcf800000, v3, |v1|
	v_cvt_u32_f32_e32 v1, v3
	s_delay_alu instid0(VALU_DEP_2) | instskip(NEXT) | instid1(VALU_DEP_2)
	v_cvt_u32_f32_e32 v3, v5
	v_xor_b32_e32 v19, v1, v8
	s_delay_alu instid0(VALU_DEP_2) | instskip(NEXT) | instid1(VALU_DEP_1)
	v_xor_b32_e32 v18, v3, v8
	v_sub_nc_u64_e32 v[8:9], v[18:19], v[8:9]
.LBB63_1180:
	s_or_b32 exec_lo, exec_lo, s10
.LBB63_1181:
	s_mov_b32 s10, -1
.LBB63_1182:
	s_branch .LBB63_1212
.LBB63_1183:
	s_cmp_gt_i32 s1, 22
	s_cbranch_scc0 .LBB63_1191
; %bb.1184:
	s_cmp_lt_i32 s1, 24
	s_cbranch_scc1 .LBB63_1194
; %bb.1185:
	s_cmp_gt_i32 s1, 24
	s_cbranch_scc0 .LBB63_1195
; %bb.1186:
	global_load_u8 v1, v[16:17], off
	s_mov_b32 s10, 0
	s_mov_b32 s9, exec_lo
	s_wait_loadcnt 0x0
	v_cmpx_lt_i16_e32 0x7f, v1
	s_xor_b32 s9, exec_lo, s9
	s_cbranch_execz .LBB63_1206
; %bb.1187:
	v_cmp_ne_u16_e32 vcc_lo, 0x80, v1
	s_and_b32 s10, vcc_lo, exec_lo
	s_and_not1_saveexec_b32 s9, s9
	s_cbranch_execnz .LBB63_1207
.LBB63_1188:
	s_or_b32 exec_lo, exec_lo, s9
	v_mov_b64_e32 v[8:9], 0
	s_and_saveexec_b32 s9, s10
	s_cbranch_execz .LBB63_1190
.LBB63_1189:
	v_and_b32_e32 v3, 0xffff, v1
	s_delay_alu instid0(VALU_DEP_1) | instskip(SKIP_1) | instid1(VALU_DEP_2)
	v_dual_lshlrev_b32 v1, 24, v1 :: v_dual_bitop2_b32 v5, 3, v3 bitop3:0x40
	v_bfe_u32 v9, v3, 2, 5
	v_and_b32_e32 v1, 0x80000000, v1
	s_delay_alu instid0(VALU_DEP_3) | instskip(NEXT) | instid1(VALU_DEP_3)
	v_clz_i32_u32_e32 v7, v5
	v_cmp_eq_u32_e32 vcc_lo, 0, v9
	s_delay_alu instid0(VALU_DEP_2) | instskip(NEXT) | instid1(VALU_DEP_1)
	v_min_u32_e32 v7, 32, v7
	v_subrev_nc_u32_e32 v8, 29, v7
	v_sub_nc_u32_e32 v7, 30, v7
	s_delay_alu instid0(VALU_DEP_2) | instskip(NEXT) | instid1(VALU_DEP_2)
	v_lshlrev_b32_e32 v3, v8, v3
	v_cndmask_b32_e32 v7, v9, v7, vcc_lo
	s_delay_alu instid0(VALU_DEP_2) | instskip(NEXT) | instid1(VALU_DEP_1)
	v_and_b32_e32 v3, 3, v3
	v_cndmask_b32_e32 v3, v5, v3, vcc_lo
	s_delay_alu instid0(VALU_DEP_3) | instskip(NEXT) | instid1(VALU_DEP_2)
	v_lshl_add_u32 v5, v7, 23, 0x37800000
	v_lshlrev_b32_e32 v3, 21, v3
	s_delay_alu instid0(VALU_DEP_1) | instskip(NEXT) | instid1(VALU_DEP_1)
	v_or3_b32 v1, v1, v5, v3
	v_trunc_f32_e32 v1, v1
	s_delay_alu instid0(VALU_DEP_1) | instskip(SKIP_1) | instid1(VALU_DEP_2)
	v_mul_f32_e64 v3, 0x2f800000, |v1|
	v_ashrrev_i32_e32 v8, 31, v1
	v_floor_f32_e32 v3, v3
	s_delay_alu instid0(VALU_DEP_2) | instskip(NEXT) | instid1(VALU_DEP_2)
	v_mov_b32_e32 v9, v8
	v_fma_f32 v5, 0xcf800000, v3, |v1|
	v_cvt_u32_f32_e32 v1, v3
	s_delay_alu instid0(VALU_DEP_2) | instskip(NEXT) | instid1(VALU_DEP_2)
	v_cvt_u32_f32_e32 v3, v5
	v_xor_b32_e32 v19, v1, v8
	s_delay_alu instid0(VALU_DEP_2) | instskip(NEXT) | instid1(VALU_DEP_1)
	v_xor_b32_e32 v18, v3, v8
	v_sub_nc_u64_e32 v[8:9], v[18:19], v[8:9]
.LBB63_1190:
	s_or_b32 exec_lo, exec_lo, s9
	s_mov_b32 s9, 0
	s_branch .LBB63_1196
.LBB63_1191:
                                        ; implicit-def: $vgpr8_vgpr9
	s_mov_b32 s9, 0
	s_branch .LBB63_1202
.LBB63_1192:
	s_and_not1_saveexec_b32 s10, s10
	s_cbranch_execz .LBB63_1178
.LBB63_1193:
	v_cmp_ne_u16_e32 vcc_lo, 0, v1
	s_and_not1_b32 s13, s13, exec_lo
	s_and_b32 s14, vcc_lo, exec_lo
	s_delay_alu instid0(SALU_CYCLE_1)
	s_or_b32 s13, s13, s14
	s_or_b32 exec_lo, exec_lo, s10
	v_mov_b64_e32 v[8:9], 0
	s_and_saveexec_b32 s10, s13
	s_cbranch_execnz .LBB63_1179
	s_branch .LBB63_1180
.LBB63_1194:
	s_mov_b32 s9, -1
                                        ; implicit-def: $vgpr8_vgpr9
	s_branch .LBB63_1199
.LBB63_1195:
	s_mov_b32 s9, -1
                                        ; implicit-def: $vgpr8_vgpr9
.LBB63_1196:
	s_delay_alu instid0(SALU_CYCLE_1)
	s_and_b32 vcc_lo, exec_lo, s9
	s_cbranch_vccz .LBB63_1198
; %bb.1197:
	global_load_u8 v1, v[16:17], off
	s_wait_loadcnt 0x0
	v_lshlrev_b32_e32 v1, 24, v1
	s_delay_alu instid0(VALU_DEP_1) | instskip(NEXT) | instid1(VALU_DEP_1)
	v_and_b32_e32 v3, 0x7f000000, v1
	v_clz_i32_u32_e32 v5, v3
	v_cmp_ne_u32_e32 vcc_lo, 0, v3
	v_add_nc_u32_e32 v8, 0x1000000, v3
	s_delay_alu instid0(VALU_DEP_3) | instskip(NEXT) | instid1(VALU_DEP_1)
	v_min_u32_e32 v5, 32, v5
	v_sub_nc_u32_e64 v5, v5, 4 clamp
	s_delay_alu instid0(VALU_DEP_1) | instskip(NEXT) | instid1(VALU_DEP_1)
	v_dual_lshlrev_b32 v7, v5, v3 :: v_dual_lshlrev_b32 v5, 23, v5
	v_lshrrev_b32_e32 v7, 4, v7
	s_delay_alu instid0(VALU_DEP_1) | instskip(NEXT) | instid1(VALU_DEP_1)
	v_dual_sub_nc_u32 v5, v7, v5 :: v_dual_ashrrev_i32 v7, 8, v8
	v_add_nc_u32_e32 v5, 0x3c000000, v5
	s_delay_alu instid0(VALU_DEP_1) | instskip(NEXT) | instid1(VALU_DEP_1)
	v_and_or_b32 v5, 0x7f800000, v7, v5
	v_cndmask_b32_e32 v3, 0, v5, vcc_lo
	s_delay_alu instid0(VALU_DEP_1) | instskip(NEXT) | instid1(VALU_DEP_1)
	v_and_or_b32 v1, 0x80000000, v1, v3
	v_trunc_f32_e32 v1, v1
	s_delay_alu instid0(VALU_DEP_1) | instskip(SKIP_1) | instid1(VALU_DEP_2)
	v_mul_f32_e64 v3, 0x2f800000, |v1|
	v_ashrrev_i32_e32 v8, 31, v1
	v_floor_f32_e32 v3, v3
	s_delay_alu instid0(VALU_DEP_1) | instskip(SKIP_3) | instid1(VALU_DEP_3)
	v_fma_f32 v5, 0xcf800000, v3, |v1|
	v_cvt_u32_f32_e32 v1, v3
	s_wait_xcnt 0x1
	v_mov_b32_e32 v9, v8
	v_cvt_u32_f32_e32 v3, v5
	s_delay_alu instid0(VALU_DEP_3) | instskip(NEXT) | instid1(VALU_DEP_2)
	v_xor_b32_e32 v19, v1, v8
	v_xor_b32_e32 v18, v3, v8
	s_delay_alu instid0(VALU_DEP_1)
	v_sub_nc_u64_e32 v[8:9], v[18:19], v[8:9]
.LBB63_1198:
	s_mov_b32 s9, 0
.LBB63_1199:
	s_delay_alu instid0(SALU_CYCLE_1)
	s_and_not1_b32 vcc_lo, exec_lo, s9
	s_cbranch_vccnz .LBB63_1201
; %bb.1200:
	global_load_u8 v1, v[16:17], off
	s_wait_loadcnt 0x0
	v_lshlrev_b32_e32 v3, 25, v1
	v_lshlrev_b16 v1, 8, v1
	s_delay_alu instid0(VALU_DEP_1) | instskip(SKIP_1) | instid1(VALU_DEP_2)
	v_and_or_b32 v7, 0x7f00, v1, 0.5
	v_bfe_i32 v1, v1, 0, 16
	v_add_f32_e32 v7, -0.5, v7
	v_lshrrev_b32_e32 v5, 4, v3
	v_cmp_gt_u32_e32 vcc_lo, 0x8000000, v3
	s_delay_alu instid0(VALU_DEP_2) | instskip(NEXT) | instid1(VALU_DEP_1)
	v_or_b32_e32 v5, 0x70000000, v5
	v_mul_f32_e32 v5, 0x7800000, v5
	s_delay_alu instid0(VALU_DEP_1) | instskip(NEXT) | instid1(VALU_DEP_1)
	v_cndmask_b32_e32 v3, v5, v7, vcc_lo
	v_and_or_b32 v1, 0x80000000, v1, v3
	s_delay_alu instid0(VALU_DEP_1) | instskip(NEXT) | instid1(VALU_DEP_1)
	v_trunc_f32_e32 v1, v1
	v_mul_f32_e64 v3, 0x2f800000, |v1|
	v_ashrrev_i32_e32 v8, 31, v1
	s_delay_alu instid0(VALU_DEP_2) | instskip(SKIP_1) | instid1(VALU_DEP_2)
	v_floor_f32_e32 v3, v3
	s_wait_xcnt 0x1
	v_mov_b32_e32 v9, v8
	s_delay_alu instid0(VALU_DEP_2) | instskip(SKIP_1) | instid1(VALU_DEP_2)
	v_fma_f32 v5, 0xcf800000, v3, |v1|
	v_cvt_u32_f32_e32 v1, v3
	v_cvt_u32_f32_e32 v3, v5
	s_delay_alu instid0(VALU_DEP_2) | instskip(NEXT) | instid1(VALU_DEP_2)
	v_xor_b32_e32 v19, v1, v8
	v_xor_b32_e32 v18, v3, v8
	s_delay_alu instid0(VALU_DEP_1)
	v_sub_nc_u64_e32 v[8:9], v[18:19], v[8:9]
.LBB63_1201:
	s_mov_b32 s10, -1
	s_mov_b32 s9, 0
	s_cbranch_execnz .LBB63_1212
.LBB63_1202:
	s_cmp_gt_i32 s1, 14
	s_cbranch_scc0 .LBB63_1205
; %bb.1203:
	s_cmp_eq_u32 s1, 15
	s_cbranch_scc0 .LBB63_1208
; %bb.1204:
	global_load_u16 v1, v[16:17], off
	s_mov_b32 s8, 0
	s_mov_b32 s10, -1
	s_wait_loadcnt 0x0
	v_lshlrev_b32_e32 v1, 16, v1
	s_delay_alu instid0(VALU_DEP_1) | instskip(NEXT) | instid1(VALU_DEP_1)
	v_trunc_f32_e32 v1, v1
	v_mul_f32_e64 v3, 0x2f800000, |v1|
	v_ashrrev_i32_e32 v8, 31, v1
	s_delay_alu instid0(VALU_DEP_2) | instskip(SKIP_1) | instid1(VALU_DEP_2)
	v_floor_f32_e32 v3, v3
	s_wait_xcnt 0x1
	v_mov_b32_e32 v9, v8
	s_delay_alu instid0(VALU_DEP_2) | instskip(SKIP_1) | instid1(VALU_DEP_2)
	v_fma_f32 v5, 0xcf800000, v3, |v1|
	v_cvt_u32_f32_e32 v1, v3
	v_cvt_u32_f32_e32 v3, v5
	s_delay_alu instid0(VALU_DEP_2) | instskip(NEXT) | instid1(VALU_DEP_2)
	v_xor_b32_e32 v19, v1, v8
	v_xor_b32_e32 v18, v3, v8
	s_delay_alu instid0(VALU_DEP_1)
	v_sub_nc_u64_e32 v[8:9], v[18:19], v[8:9]
	s_branch .LBB63_1210
.LBB63_1205:
	s_mov_b32 s9, -1
	s_branch .LBB63_1209
.LBB63_1206:
	s_and_not1_saveexec_b32 s9, s9
	s_cbranch_execz .LBB63_1188
.LBB63_1207:
	v_cmp_ne_u16_e32 vcc_lo, 0, v1
	s_and_not1_b32 s10, s10, exec_lo
	s_and_b32 s13, vcc_lo, exec_lo
	s_delay_alu instid0(SALU_CYCLE_1)
	s_or_b32 s10, s10, s13
	s_or_b32 exec_lo, exec_lo, s9
	v_mov_b64_e32 v[8:9], 0
	s_and_saveexec_b32 s9, s10
	s_cbranch_execnz .LBB63_1189
	s_branch .LBB63_1190
.LBB63_1208:
	s_mov_b32 s8, -1
.LBB63_1209:
                                        ; implicit-def: $vgpr8_vgpr9
.LBB63_1210:
	s_and_b32 vcc_lo, exec_lo, s9
	s_mov_b32 s9, 0
	s_cbranch_vccz .LBB63_1212
; %bb.1211:
	s_cmp_lg_u32 s1, 11
	s_mov_b32 s9, -1
	s_cselect_b32 s8, -1, 0
.LBB63_1212:
	s_delay_alu instid0(SALU_CYCLE_1)
	s_and_b32 vcc_lo, exec_lo, s8
	s_mov_b32 s1, s11
	s_cbranch_vccnz .LBB63_1273
; %bb.1213:
	s_and_not1_b32 vcc_lo, exec_lo, s9
	s_cbranch_vccnz .LBB63_1215
.LBB63_1214:
	global_load_u8 v1, v[16:17], off
	s_mov_b32 s8, 0
	s_mov_b32 s10, -1
	s_wait_loadcnt 0x1
	s_wait_xcnt 0x1
	v_mov_b32_e32 v9, s8
	s_wait_loadcnt 0x0
	v_cmp_ne_u16_e32 vcc_lo, 0, v1
	v_cndmask_b32_e64 v8, 0, 1, vcc_lo
.LBB63_1215:
	s_branch .LBB63_1149
.LBB63_1216:
	s_and_b32 s8, 0xffff, s0
	s_delay_alu instid0(SALU_CYCLE_1)
	s_cmp_lt_i32 s8, 5
	s_cbranch_scc1 .LBB63_1221
; %bb.1217:
	s_cmp_lt_i32 s8, 8
	s_cbranch_scc1 .LBB63_1222
; %bb.1218:
	;; [unrolled: 3-line block ×3, first 2 shown]
	s_cmp_gt_i32 s8, 9
	s_cbranch_scc0 .LBB63_1224
; %bb.1220:
	s_wait_loadcnt 0x0
	global_load_b64 v[8:9], v[16:17], off
	s_mov_b32 s9, 0
	s_wait_loadcnt 0x0
	v_trunc_f64_e32 v[8:9], v[8:9]
	s_delay_alu instid0(VALU_DEP_1) | instskip(NEXT) | instid1(VALU_DEP_1)
	v_ldexp_f64 v[18:19], v[8:9], 0xffffffe0
	v_floor_f64_e32 v[18:19], v[18:19]
	s_delay_alu instid0(VALU_DEP_1) | instskip(SKIP_1) | instid1(VALU_DEP_2)
	v_fmamk_f64 v[20:21], v[18:19], 0xc1f00000, v[8:9]
	v_cvt_i32_f64_e32 v9, v[18:19]
	v_cvt_u32_f64_e32 v8, v[20:21]
	s_branch .LBB63_1225
.LBB63_1221:
                                        ; implicit-def: $vgpr8_vgpr9
	s_branch .LBB63_1242
.LBB63_1222:
                                        ; implicit-def: $vgpr8_vgpr9
	s_branch .LBB63_1231
.LBB63_1223:
	s_mov_b32 s9, -1
                                        ; implicit-def: $vgpr8_vgpr9
	s_branch .LBB63_1228
.LBB63_1224:
	s_mov_b32 s9, -1
                                        ; implicit-def: $vgpr8_vgpr9
.LBB63_1225:
	s_delay_alu instid0(SALU_CYCLE_1)
	s_and_not1_b32 vcc_lo, exec_lo, s9
	s_cbranch_vccnz .LBB63_1227
; %bb.1226:
	global_load_b32 v1, v[16:17], off
	s_wait_loadcnt 0x0
	v_trunc_f32_e32 v1, v1
	s_delay_alu instid0(VALU_DEP_1) | instskip(SKIP_1) | instid1(VALU_DEP_2)
	v_mul_f32_e64 v3, 0x2f800000, |v1|
	v_ashrrev_i32_e32 v8, 31, v1
	v_floor_f32_e32 v3, v3
	s_delay_alu instid0(VALU_DEP_1) | instskip(SKIP_3) | instid1(VALU_DEP_3)
	v_fma_f32 v5, 0xcf800000, v3, |v1|
	v_cvt_u32_f32_e32 v1, v3
	s_wait_xcnt 0x1
	v_mov_b32_e32 v9, v8
	v_cvt_u32_f32_e32 v3, v5
	s_delay_alu instid0(VALU_DEP_3) | instskip(NEXT) | instid1(VALU_DEP_2)
	v_xor_b32_e32 v19, v1, v8
	v_xor_b32_e32 v18, v3, v8
	s_delay_alu instid0(VALU_DEP_1)
	v_sub_nc_u64_e32 v[8:9], v[18:19], v[8:9]
.LBB63_1227:
	s_mov_b32 s9, 0
.LBB63_1228:
	s_delay_alu instid0(SALU_CYCLE_1)
	s_and_not1_b32 vcc_lo, exec_lo, s9
	s_cbranch_vccnz .LBB63_1230
; %bb.1229:
	global_load_b32 v1, v[16:17], off
	s_wait_loadcnt 0x0
	v_cvt_f32_f16_e32 v1, v1
	s_delay_alu instid0(VALU_DEP_1) | instskip(SKIP_1) | instid1(VALU_DEP_1)
	v_cvt_i32_f32_e32 v8, v1
	s_wait_xcnt 0x1
	v_ashrrev_i32_e32 v9, 31, v8
.LBB63_1230:
	s_cbranch_execnz .LBB63_1241
.LBB63_1231:
	s_cmp_lt_i32 s8, 6
	s_cbranch_scc1 .LBB63_1234
; %bb.1232:
	s_cmp_gt_i32 s8, 6
	s_cbranch_scc0 .LBB63_1235
; %bb.1233:
	s_wait_loadcnt 0x0
	global_load_b64 v[8:9], v[16:17], off
	s_mov_b32 s9, 0
	s_wait_loadcnt 0x0
	v_trunc_f64_e32 v[8:9], v[8:9]
	s_delay_alu instid0(VALU_DEP_1) | instskip(NEXT) | instid1(VALU_DEP_1)
	v_ldexp_f64 v[18:19], v[8:9], 0xffffffe0
	v_floor_f64_e32 v[18:19], v[18:19]
	s_delay_alu instid0(VALU_DEP_1) | instskip(SKIP_1) | instid1(VALU_DEP_2)
	v_fmamk_f64 v[20:21], v[18:19], 0xc1f00000, v[8:9]
	v_cvt_i32_f64_e32 v9, v[18:19]
	v_cvt_u32_f64_e32 v8, v[20:21]
	s_branch .LBB63_1236
.LBB63_1234:
	s_mov_b32 s9, -1
                                        ; implicit-def: $vgpr8_vgpr9
	s_branch .LBB63_1239
.LBB63_1235:
	s_mov_b32 s9, -1
                                        ; implicit-def: $vgpr8_vgpr9
.LBB63_1236:
	s_delay_alu instid0(SALU_CYCLE_1)
	s_and_not1_b32 vcc_lo, exec_lo, s9
	s_cbranch_vccnz .LBB63_1238
; %bb.1237:
	global_load_b32 v1, v[16:17], off
	s_wait_loadcnt 0x0
	v_trunc_f32_e32 v1, v1
	s_delay_alu instid0(VALU_DEP_1) | instskip(SKIP_1) | instid1(VALU_DEP_2)
	v_mul_f32_e64 v3, 0x2f800000, |v1|
	v_ashrrev_i32_e32 v8, 31, v1
	v_floor_f32_e32 v3, v3
	s_delay_alu instid0(VALU_DEP_1) | instskip(SKIP_3) | instid1(VALU_DEP_3)
	v_fma_f32 v5, 0xcf800000, v3, |v1|
	v_cvt_u32_f32_e32 v1, v3
	s_wait_xcnt 0x1
	v_mov_b32_e32 v9, v8
	v_cvt_u32_f32_e32 v3, v5
	s_delay_alu instid0(VALU_DEP_3) | instskip(NEXT) | instid1(VALU_DEP_2)
	v_xor_b32_e32 v19, v1, v8
	v_xor_b32_e32 v18, v3, v8
	s_delay_alu instid0(VALU_DEP_1)
	v_sub_nc_u64_e32 v[8:9], v[18:19], v[8:9]
.LBB63_1238:
	s_mov_b32 s9, 0
.LBB63_1239:
	s_delay_alu instid0(SALU_CYCLE_1)
	s_and_not1_b32 vcc_lo, exec_lo, s9
	s_cbranch_vccnz .LBB63_1241
; %bb.1240:
	global_load_u16 v1, v[16:17], off
	s_wait_loadcnt 0x0
	v_cvt_f32_f16_e32 v1, v1
	s_delay_alu instid0(VALU_DEP_1) | instskip(SKIP_1) | instid1(VALU_DEP_1)
	v_cvt_i32_f32_e32 v8, v1
	s_wait_xcnt 0x1
	v_ashrrev_i32_e32 v9, 31, v8
.LBB63_1241:
	s_cbranch_execnz .LBB63_1260
.LBB63_1242:
	s_cmp_lt_i32 s8, 2
	s_cbranch_scc1 .LBB63_1246
; %bb.1243:
	s_cmp_lt_i32 s8, 3
	s_cbranch_scc1 .LBB63_1247
; %bb.1244:
	s_cmp_gt_i32 s8, 3
	s_cbranch_scc0 .LBB63_1248
; %bb.1245:
	s_wait_loadcnt 0x0
	global_load_b64 v[8:9], v[16:17], off
	s_mov_b32 s9, 0
	s_branch .LBB63_1249
.LBB63_1246:
                                        ; implicit-def: $vgpr8_vgpr9
	s_branch .LBB63_1255
.LBB63_1247:
	s_mov_b32 s9, -1
                                        ; implicit-def: $vgpr8_vgpr9
	s_branch .LBB63_1252
.LBB63_1248:
	s_mov_b32 s9, -1
                                        ; implicit-def: $vgpr8_vgpr9
.LBB63_1249:
	s_delay_alu instid0(SALU_CYCLE_1)
	s_and_not1_b32 vcc_lo, exec_lo, s9
	s_cbranch_vccnz .LBB63_1251
; %bb.1250:
	s_wait_loadcnt 0x0
	global_load_b32 v8, v[16:17], off
	s_wait_loadcnt 0x0
	s_wait_xcnt 0x1
	v_ashrrev_i32_e32 v9, 31, v8
.LBB63_1251:
	s_mov_b32 s9, 0
.LBB63_1252:
	s_delay_alu instid0(SALU_CYCLE_1)
	s_and_not1_b32 vcc_lo, exec_lo, s9
	s_cbranch_vccnz .LBB63_1254
; %bb.1253:
	global_load_u16 v1, v[16:17], off
	s_wait_loadcnt 0x0
	v_bfe_i32 v8, v1, 0, 16
	s_wait_xcnt 0x1
	s_delay_alu instid0(VALU_DEP_1)
	v_ashrrev_i32_e32 v9, 31, v8
.LBB63_1254:
	s_cbranch_execnz .LBB63_1260
.LBB63_1255:
	s_cmp_gt_i32 s8, 0
	s_mov_b32 s8, 0
	s_cbranch_scc0 .LBB63_1257
; %bb.1256:
	global_load_i8 v1, v[16:17], off
	s_wait_loadcnt 0x0
	v_bfe_i32 v8, v1, 0, 16
	s_wait_xcnt 0x1
	s_delay_alu instid0(VALU_DEP_1)
	v_ashrrev_i32_e32 v9, 31, v8
	s_branch .LBB63_1258
.LBB63_1257:
	s_mov_b32 s8, -1
                                        ; implicit-def: $vgpr8_vgpr9
.LBB63_1258:
	s_delay_alu instid0(SALU_CYCLE_1)
	s_and_not1_b32 vcc_lo, exec_lo, s8
	s_cbranch_vccnz .LBB63_1260
; %bb.1259:
	global_load_u8 v1, v[16:17], off
	s_mov_b32 s8, 0
	s_wait_loadcnt 0x1
	s_wait_xcnt 0x1
	v_mov_b32_e32 v9, s8
	s_wait_loadcnt 0x0
	v_and_b32_e32 v8, 0xffff, v1
.LBB63_1260:
.LBB63_1261:
	v_mov_b32_e32 v11, 0
	s_and_b32 s0, 0xffff, s0
	s_delay_alu instid0(SALU_CYCLE_1) | instskip(SKIP_1) | instid1(VALU_DEP_1)
	s_cmp_lt_i32 s0, 11
	s_wait_xcnt 0x0
	v_add_nc_u64_e32 v[16:17], s[6:7], v[10:11]
	s_cbranch_scc1 .LBB63_1268
; %bb.1262:
	s_cmp_gt_i32 s0, 25
	s_mov_b32 s9, 0
	s_cbranch_scc0 .LBB63_1270
; %bb.1263:
	s_cmp_gt_i32 s0, 28
	s_cbranch_scc0 .LBB63_1271
; %bb.1264:
	s_cmp_gt_i32 s0, 43
	;; [unrolled: 3-line block ×3, first 2 shown]
	s_cbranch_scc0 .LBB63_1274
; %bb.1266:
	s_cmp_eq_u32 s0, 46
	s_mov_b32 s13, 0
	s_cbranch_scc0 .LBB63_1277
; %bb.1267:
	global_load_b32 v1, v[16:17], off
	s_mov_b32 s8, 0
	s_mov_b32 s10, -1
	s_wait_loadcnt 0x0
	v_lshlrev_b32_e32 v1, 16, v1
	s_delay_alu instid0(VALU_DEP_1) | instskip(NEXT) | instid1(VALU_DEP_1)
	v_trunc_f32_e32 v1, v1
	v_mul_f32_e64 v3, 0x2f800000, |v1|
	v_ashrrev_i32_e32 v10, 31, v1
	s_delay_alu instid0(VALU_DEP_2) | instskip(NEXT) | instid1(VALU_DEP_2)
	v_floor_f32_e32 v3, v3
	v_mov_b32_e32 v11, v10
	s_delay_alu instid0(VALU_DEP_2) | instskip(SKIP_1) | instid1(VALU_DEP_2)
	v_fma_f32 v5, 0xcf800000, v3, |v1|
	v_cvt_u32_f32_e32 v1, v3
	v_cvt_u32_f32_e32 v3, v5
	s_delay_alu instid0(VALU_DEP_2) | instskip(NEXT) | instid1(VALU_DEP_2)
	v_xor_b32_e32 v19, v1, v10
	v_xor_b32_e32 v18, v3, v10
	s_delay_alu instid0(VALU_DEP_1)
	v_sub_nc_u64_e32 v[10:11], v[18:19], v[10:11]
	s_branch .LBB63_1279
.LBB63_1268:
	s_mov_b32 s10, 0
                                        ; implicit-def: $vgpr10_vgpr11
	s_cbranch_execnz .LBB63_1340
.LBB63_1269:
	s_and_not1_b32 vcc_lo, exec_lo, s10
	s_cbranch_vccnz .LBB63_2072
	s_branch .LBB63_1387
.LBB63_1270:
	s_mov_b32 s10, 0
	s_mov_b32 s8, 0
                                        ; implicit-def: $vgpr10_vgpr11
	s_cbranch_execnz .LBB63_1306
	s_branch .LBB63_1336
.LBB63_1271:
	s_mov_b32 s13, -1
	s_mov_b32 s10, 0
	s_mov_b32 s8, 0
                                        ; implicit-def: $vgpr10_vgpr11
	s_branch .LBB63_1289
.LBB63_1272:
	s_mov_b32 s13, -1
	s_mov_b32 s10, 0
	s_mov_b32 s8, 0
                                        ; implicit-def: $vgpr10_vgpr11
	s_branch .LBB63_1284
.LBB63_1273:
	s_or_b32 s1, s11, exec_lo
	s_trap 2
	s_cbranch_execz .LBB63_1214
	s_branch .LBB63_1215
.LBB63_1274:
	s_mov_b32 s13, -1
	s_mov_b32 s10, 0
	s_mov_b32 s8, 0
	s_branch .LBB63_1278
.LBB63_1275:
	s_and_not1_saveexec_b32 s11, s11
	s_cbranch_execz .LBB63_1005
.LBB63_1276:
	v_add_f32_e32 v2, 0x42800000, v3
	s_and_not1_b32 s10, s10, exec_lo
	s_delay_alu instid0(VALU_DEP_1) | instskip(NEXT) | instid1(VALU_DEP_1)
	v_and_b32_e32 v2, 0xff, v2
	v_cmp_ne_u32_e32 vcc_lo, 0, v2
	s_and_b32 s12, vcc_lo, exec_lo
	s_delay_alu instid0(SALU_CYCLE_1)
	s_or_b32 s10, s10, s12
	s_or_b32 exec_lo, exec_lo, s11
	v_mov_b32_e32 v4, 0
	s_and_saveexec_b32 s11, s10
	s_cbranch_execnz .LBB63_1006
	s_branch .LBB63_1007
.LBB63_1277:
	s_mov_b32 s8, -1
	s_mov_b32 s10, 0
.LBB63_1278:
                                        ; implicit-def: $vgpr10_vgpr11
.LBB63_1279:
	s_and_b32 vcc_lo, exec_lo, s13
	s_cbranch_vccz .LBB63_1283
; %bb.1280:
	s_cmp_eq_u32 s0, 44
	s_cbranch_scc0 .LBB63_1282
; %bb.1281:
	global_load_u8 v1, v[16:17], off
	s_mov_b32 s8, 0
	s_mov_b32 s10, -1
	s_wait_loadcnt 0x0
	v_lshlrev_b32_e32 v3, 23, v1
	v_cmp_ne_u32_e32 vcc_lo, 0, v1
	s_delay_alu instid0(VALU_DEP_2) | instskip(NEXT) | instid1(VALU_DEP_1)
	v_trunc_f32_e32 v3, v3
	v_mul_f32_e64 v5, 0x2f800000, |v3|
	v_ashrrev_i32_e32 v10, 31, v3
	s_delay_alu instid0(VALU_DEP_2) | instskip(NEXT) | instid1(VALU_DEP_2)
	v_floor_f32_e32 v5, v5
	v_mov_b32_e32 v11, v10
	s_delay_alu instid0(VALU_DEP_2) | instskip(SKIP_1) | instid1(VALU_DEP_2)
	v_fma_f32 v7, 0xcf800000, v5, |v3|
	v_cvt_u32_f32_e32 v3, v5
	v_cvt_u32_f32_e32 v5, v7
	s_delay_alu instid0(VALU_DEP_2) | instskip(NEXT) | instid1(VALU_DEP_2)
	v_xor_b32_e32 v19, v3, v10
	v_xor_b32_e32 v18, v5, v10
	s_delay_alu instid0(VALU_DEP_1) | instskip(NEXT) | instid1(VALU_DEP_1)
	v_sub_nc_u64_e32 v[10:11], v[18:19], v[10:11]
	v_dual_cndmask_b32 v11, 0, v11 :: v_dual_cndmask_b32 v10, 0, v10
	s_branch .LBB63_1283
.LBB63_1282:
	s_mov_b32 s8, -1
                                        ; implicit-def: $vgpr10_vgpr11
.LBB63_1283:
	s_mov_b32 s13, 0
.LBB63_1284:
	s_delay_alu instid0(SALU_CYCLE_1)
	s_and_b32 vcc_lo, exec_lo, s13
	s_cbranch_vccz .LBB63_1288
; %bb.1285:
	s_cmp_eq_u32 s0, 29
	s_cbranch_scc0 .LBB63_1287
; %bb.1286:
	global_load_b64 v[10:11], v[16:17], off
	s_mov_b32 s8, 0
	s_mov_b32 s10, -1
	s_branch .LBB63_1288
.LBB63_1287:
	s_mov_b32 s8, -1
                                        ; implicit-def: $vgpr10_vgpr11
.LBB63_1288:
	s_mov_b32 s13, 0
.LBB63_1289:
	s_delay_alu instid0(SALU_CYCLE_1)
	s_and_b32 vcc_lo, exec_lo, s13
	s_cbranch_vccz .LBB63_1305
; %bb.1290:
	s_cmp_lt_i32 s0, 27
	s_cbranch_scc1 .LBB63_1293
; %bb.1291:
	s_cmp_gt_i32 s0, 27
	s_cbranch_scc0 .LBB63_1294
; %bb.1292:
	s_wait_loadcnt 0x0
	global_load_b32 v10, v[16:17], off
	v_mov_b32_e32 v11, 0
	s_mov_b32 s10, 0
	s_branch .LBB63_1295
.LBB63_1293:
	s_mov_b32 s10, -1
                                        ; implicit-def: $vgpr10_vgpr11
	s_branch .LBB63_1298
.LBB63_1294:
	s_mov_b32 s10, -1
                                        ; implicit-def: $vgpr10_vgpr11
.LBB63_1295:
	s_delay_alu instid0(SALU_CYCLE_1)
	s_and_not1_b32 vcc_lo, exec_lo, s10
	s_cbranch_vccnz .LBB63_1297
; %bb.1296:
	global_load_u16 v1, v[16:17], off
	s_mov_b32 s10, 0
	s_wait_loadcnt 0x1
	v_mov_b32_e32 v11, s10
	s_wait_loadcnt 0x0
	v_and_b32_e32 v10, 0xffff, v1
.LBB63_1297:
	s_mov_b32 s10, 0
.LBB63_1298:
	s_delay_alu instid0(SALU_CYCLE_1)
	s_and_not1_b32 vcc_lo, exec_lo, s10
	s_cbranch_vccnz .LBB63_1304
; %bb.1299:
	global_load_u8 v1, v[16:17], off
	s_mov_b32 s13, 0
	s_mov_b32 s10, exec_lo
	s_wait_loadcnt 0x0
	v_cmpx_lt_i16_e32 0x7f, v1
	s_xor_b32 s10, exec_lo, s10
	s_cbranch_execz .LBB63_1315
; %bb.1300:
	v_cmp_ne_u16_e32 vcc_lo, 0x80, v1
	s_and_b32 s13, vcc_lo, exec_lo
	s_and_not1_saveexec_b32 s10, s10
	s_cbranch_execnz .LBB63_1316
.LBB63_1301:
	s_or_b32 exec_lo, exec_lo, s10
	v_mov_b64_e32 v[10:11], 0
	s_and_saveexec_b32 s10, s13
	s_cbranch_execz .LBB63_1303
.LBB63_1302:
	v_and_b32_e32 v3, 0xffff, v1
	s_delay_alu instid0(VALU_DEP_1) | instskip(SKIP_1) | instid1(VALU_DEP_2)
	v_dual_lshlrev_b32 v1, 24, v1 :: v_dual_bitop2_b32 v5, 7, v3 bitop3:0x40
	v_bfe_u32 v11, v3, 3, 4
	v_and_b32_e32 v1, 0x80000000, v1
	s_delay_alu instid0(VALU_DEP_3) | instskip(NEXT) | instid1(VALU_DEP_3)
	v_clz_i32_u32_e32 v7, v5
	v_cmp_eq_u32_e32 vcc_lo, 0, v11
	s_delay_alu instid0(VALU_DEP_2) | instskip(NEXT) | instid1(VALU_DEP_1)
	v_min_u32_e32 v7, 32, v7
	v_subrev_nc_u32_e32 v10, 28, v7
	v_sub_nc_u32_e32 v7, 29, v7
	s_delay_alu instid0(VALU_DEP_2) | instskip(NEXT) | instid1(VALU_DEP_2)
	v_lshlrev_b32_e32 v3, v10, v3
	v_cndmask_b32_e32 v7, v11, v7, vcc_lo
	s_delay_alu instid0(VALU_DEP_2) | instskip(NEXT) | instid1(VALU_DEP_1)
	v_and_b32_e32 v3, 7, v3
	v_cndmask_b32_e32 v3, v5, v3, vcc_lo
	s_delay_alu instid0(VALU_DEP_3) | instskip(NEXT) | instid1(VALU_DEP_2)
	v_lshl_add_u32 v5, v7, 23, 0x3b800000
	v_lshlrev_b32_e32 v3, 20, v3
	s_delay_alu instid0(VALU_DEP_1) | instskip(NEXT) | instid1(VALU_DEP_1)
	v_or3_b32 v1, v1, v5, v3
	v_trunc_f32_e32 v1, v1
	s_delay_alu instid0(VALU_DEP_1) | instskip(SKIP_1) | instid1(VALU_DEP_2)
	v_mul_f32_e64 v3, 0x2f800000, |v1|
	v_ashrrev_i32_e32 v10, 31, v1
	v_floor_f32_e32 v3, v3
	s_delay_alu instid0(VALU_DEP_2) | instskip(NEXT) | instid1(VALU_DEP_2)
	v_mov_b32_e32 v11, v10
	v_fma_f32 v5, 0xcf800000, v3, |v1|
	v_cvt_u32_f32_e32 v1, v3
	s_delay_alu instid0(VALU_DEP_2) | instskip(NEXT) | instid1(VALU_DEP_2)
	v_cvt_u32_f32_e32 v3, v5
	v_xor_b32_e32 v19, v1, v10
	s_delay_alu instid0(VALU_DEP_2) | instskip(NEXT) | instid1(VALU_DEP_1)
	v_xor_b32_e32 v18, v3, v10
	v_sub_nc_u64_e32 v[10:11], v[18:19], v[10:11]
.LBB63_1303:
	s_or_b32 exec_lo, exec_lo, s10
.LBB63_1304:
	s_mov_b32 s10, -1
.LBB63_1305:
	s_branch .LBB63_1336
.LBB63_1306:
	s_cmp_gt_i32 s0, 22
	s_cbranch_scc0 .LBB63_1314
; %bb.1307:
	s_cmp_lt_i32 s0, 24
	s_cbranch_scc1 .LBB63_1317
; %bb.1308:
	s_cmp_gt_i32 s0, 24
	s_cbranch_scc0 .LBB63_1318
; %bb.1309:
	global_load_u8 v1, v[16:17], off
	s_mov_b32 s10, 0
	s_mov_b32 s9, exec_lo
	s_wait_loadcnt 0x0
	v_cmpx_lt_i16_e32 0x7f, v1
	s_xor_b32 s9, exec_lo, s9
	s_cbranch_execz .LBB63_1330
; %bb.1310:
	v_cmp_ne_u16_e32 vcc_lo, 0x80, v1
	s_and_b32 s10, vcc_lo, exec_lo
	s_and_not1_saveexec_b32 s9, s9
	s_cbranch_execnz .LBB63_1331
.LBB63_1311:
	s_or_b32 exec_lo, exec_lo, s9
	v_mov_b64_e32 v[10:11], 0
	s_and_saveexec_b32 s9, s10
	s_cbranch_execz .LBB63_1313
.LBB63_1312:
	v_and_b32_e32 v3, 0xffff, v1
	s_delay_alu instid0(VALU_DEP_1) | instskip(SKIP_1) | instid1(VALU_DEP_2)
	v_dual_lshlrev_b32 v1, 24, v1 :: v_dual_bitop2_b32 v5, 3, v3 bitop3:0x40
	v_bfe_u32 v11, v3, 2, 5
	v_and_b32_e32 v1, 0x80000000, v1
	s_delay_alu instid0(VALU_DEP_3) | instskip(NEXT) | instid1(VALU_DEP_3)
	v_clz_i32_u32_e32 v7, v5
	v_cmp_eq_u32_e32 vcc_lo, 0, v11
	s_delay_alu instid0(VALU_DEP_2) | instskip(NEXT) | instid1(VALU_DEP_1)
	v_min_u32_e32 v7, 32, v7
	v_subrev_nc_u32_e32 v10, 29, v7
	v_sub_nc_u32_e32 v7, 30, v7
	s_delay_alu instid0(VALU_DEP_2) | instskip(NEXT) | instid1(VALU_DEP_2)
	v_lshlrev_b32_e32 v3, v10, v3
	v_cndmask_b32_e32 v7, v11, v7, vcc_lo
	s_delay_alu instid0(VALU_DEP_2) | instskip(NEXT) | instid1(VALU_DEP_1)
	v_and_b32_e32 v3, 3, v3
	v_cndmask_b32_e32 v3, v5, v3, vcc_lo
	s_delay_alu instid0(VALU_DEP_3) | instskip(NEXT) | instid1(VALU_DEP_2)
	v_lshl_add_u32 v5, v7, 23, 0x37800000
	v_lshlrev_b32_e32 v3, 21, v3
	s_delay_alu instid0(VALU_DEP_1) | instskip(NEXT) | instid1(VALU_DEP_1)
	v_or3_b32 v1, v1, v5, v3
	v_trunc_f32_e32 v1, v1
	s_delay_alu instid0(VALU_DEP_1) | instskip(SKIP_1) | instid1(VALU_DEP_2)
	v_mul_f32_e64 v3, 0x2f800000, |v1|
	v_ashrrev_i32_e32 v10, 31, v1
	v_floor_f32_e32 v3, v3
	s_delay_alu instid0(VALU_DEP_2) | instskip(NEXT) | instid1(VALU_DEP_2)
	v_mov_b32_e32 v11, v10
	v_fma_f32 v5, 0xcf800000, v3, |v1|
	v_cvt_u32_f32_e32 v1, v3
	s_delay_alu instid0(VALU_DEP_2) | instskip(NEXT) | instid1(VALU_DEP_2)
	v_cvt_u32_f32_e32 v3, v5
	v_xor_b32_e32 v19, v1, v10
	s_delay_alu instid0(VALU_DEP_2) | instskip(NEXT) | instid1(VALU_DEP_1)
	v_xor_b32_e32 v18, v3, v10
	v_sub_nc_u64_e32 v[10:11], v[18:19], v[10:11]
.LBB63_1313:
	s_or_b32 exec_lo, exec_lo, s9
	s_mov_b32 s9, 0
	s_branch .LBB63_1319
.LBB63_1314:
	s_mov_b32 s9, -1
                                        ; implicit-def: $vgpr10_vgpr11
	s_branch .LBB63_1325
.LBB63_1315:
	s_and_not1_saveexec_b32 s10, s10
	s_cbranch_execz .LBB63_1301
.LBB63_1316:
	v_cmp_ne_u16_e32 vcc_lo, 0, v1
	s_and_not1_b32 s13, s13, exec_lo
	s_and_b32 s14, vcc_lo, exec_lo
	s_delay_alu instid0(SALU_CYCLE_1)
	s_or_b32 s13, s13, s14
	s_or_b32 exec_lo, exec_lo, s10
	v_mov_b64_e32 v[10:11], 0
	s_and_saveexec_b32 s10, s13
	s_cbranch_execnz .LBB63_1302
	s_branch .LBB63_1303
.LBB63_1317:
	s_mov_b32 s9, -1
                                        ; implicit-def: $vgpr10_vgpr11
	s_branch .LBB63_1322
.LBB63_1318:
	s_mov_b32 s9, -1
                                        ; implicit-def: $vgpr10_vgpr11
.LBB63_1319:
	s_delay_alu instid0(SALU_CYCLE_1)
	s_and_b32 vcc_lo, exec_lo, s9
	s_cbranch_vccz .LBB63_1321
; %bb.1320:
	global_load_u8 v1, v[16:17], off
	s_wait_loadcnt 0x0
	v_lshlrev_b32_e32 v1, 24, v1
	s_delay_alu instid0(VALU_DEP_1) | instskip(NEXT) | instid1(VALU_DEP_1)
	v_and_b32_e32 v3, 0x7f000000, v1
	v_clz_i32_u32_e32 v5, v3
	v_cmp_ne_u32_e32 vcc_lo, 0, v3
	v_add_nc_u32_e32 v10, 0x1000000, v3
	s_delay_alu instid0(VALU_DEP_3) | instskip(NEXT) | instid1(VALU_DEP_1)
	v_min_u32_e32 v5, 32, v5
	v_sub_nc_u32_e64 v5, v5, 4 clamp
	s_delay_alu instid0(VALU_DEP_1) | instskip(NEXT) | instid1(VALU_DEP_1)
	v_dual_lshlrev_b32 v7, v5, v3 :: v_dual_lshlrev_b32 v5, 23, v5
	v_lshrrev_b32_e32 v7, 4, v7
	s_delay_alu instid0(VALU_DEP_1) | instskip(NEXT) | instid1(VALU_DEP_1)
	v_dual_sub_nc_u32 v5, v7, v5 :: v_dual_ashrrev_i32 v7, 8, v10
	v_add_nc_u32_e32 v5, 0x3c000000, v5
	s_delay_alu instid0(VALU_DEP_1) | instskip(NEXT) | instid1(VALU_DEP_1)
	v_and_or_b32 v5, 0x7f800000, v7, v5
	v_cndmask_b32_e32 v3, 0, v5, vcc_lo
	s_delay_alu instid0(VALU_DEP_1) | instskip(NEXT) | instid1(VALU_DEP_1)
	v_and_or_b32 v1, 0x80000000, v1, v3
	v_trunc_f32_e32 v1, v1
	s_delay_alu instid0(VALU_DEP_1) | instskip(SKIP_1) | instid1(VALU_DEP_2)
	v_mul_f32_e64 v3, 0x2f800000, |v1|
	v_ashrrev_i32_e32 v10, 31, v1
	v_floor_f32_e32 v3, v3
	s_delay_alu instid0(VALU_DEP_1) | instskip(SKIP_1) | instid1(VALU_DEP_4)
	v_fma_f32 v5, 0xcf800000, v3, |v1|
	v_cvt_u32_f32_e32 v1, v3
	v_mov_b32_e32 v11, v10
	s_delay_alu instid0(VALU_DEP_3) | instskip(NEXT) | instid1(VALU_DEP_3)
	v_cvt_u32_f32_e32 v3, v5
	v_xor_b32_e32 v19, v1, v10
	s_delay_alu instid0(VALU_DEP_2) | instskip(NEXT) | instid1(VALU_DEP_1)
	v_xor_b32_e32 v18, v3, v10
	v_sub_nc_u64_e32 v[10:11], v[18:19], v[10:11]
.LBB63_1321:
	s_mov_b32 s9, 0
.LBB63_1322:
	s_delay_alu instid0(SALU_CYCLE_1)
	s_and_not1_b32 vcc_lo, exec_lo, s9
	s_cbranch_vccnz .LBB63_1324
; %bb.1323:
	global_load_u8 v1, v[16:17], off
	s_wait_loadcnt 0x0
	v_lshlrev_b32_e32 v3, 25, v1
	v_lshlrev_b16 v1, 8, v1
	s_delay_alu instid0(VALU_DEP_1) | instskip(SKIP_1) | instid1(VALU_DEP_2)
	v_and_or_b32 v7, 0x7f00, v1, 0.5
	v_bfe_i32 v1, v1, 0, 16
	v_add_f32_e32 v7, -0.5, v7
	v_lshrrev_b32_e32 v5, 4, v3
	v_cmp_gt_u32_e32 vcc_lo, 0x8000000, v3
	s_delay_alu instid0(VALU_DEP_2) | instskip(NEXT) | instid1(VALU_DEP_1)
	v_or_b32_e32 v5, 0x70000000, v5
	v_mul_f32_e32 v5, 0x7800000, v5
	s_delay_alu instid0(VALU_DEP_1) | instskip(NEXT) | instid1(VALU_DEP_1)
	v_cndmask_b32_e32 v3, v5, v7, vcc_lo
	v_and_or_b32 v1, 0x80000000, v1, v3
	s_delay_alu instid0(VALU_DEP_1) | instskip(NEXT) | instid1(VALU_DEP_1)
	v_trunc_f32_e32 v1, v1
	v_mul_f32_e64 v3, 0x2f800000, |v1|
	v_ashrrev_i32_e32 v10, 31, v1
	s_delay_alu instid0(VALU_DEP_2) | instskip(NEXT) | instid1(VALU_DEP_2)
	v_floor_f32_e32 v3, v3
	v_mov_b32_e32 v11, v10
	s_delay_alu instid0(VALU_DEP_2) | instskip(SKIP_1) | instid1(VALU_DEP_2)
	v_fma_f32 v5, 0xcf800000, v3, |v1|
	v_cvt_u32_f32_e32 v1, v3
	v_cvt_u32_f32_e32 v3, v5
	s_delay_alu instid0(VALU_DEP_2) | instskip(NEXT) | instid1(VALU_DEP_2)
	v_xor_b32_e32 v19, v1, v10
	v_xor_b32_e32 v18, v3, v10
	s_delay_alu instid0(VALU_DEP_1)
	v_sub_nc_u64_e32 v[10:11], v[18:19], v[10:11]
.LBB63_1324:
	s_mov_b32 s9, 0
	s_mov_b32 s10, -1
.LBB63_1325:
	s_and_not1_b32 vcc_lo, exec_lo, s9
	s_mov_b32 s9, 0
	s_cbranch_vccnz .LBB63_1336
; %bb.1326:
	s_cmp_gt_i32 s0, 14
	s_cbranch_scc0 .LBB63_1329
; %bb.1327:
	s_cmp_eq_u32 s0, 15
	s_cbranch_scc0 .LBB63_1332
; %bb.1328:
	global_load_u16 v1, v[16:17], off
	s_mov_b32 s8, 0
	s_mov_b32 s10, -1
	s_wait_loadcnt 0x0
	v_lshlrev_b32_e32 v1, 16, v1
	s_delay_alu instid0(VALU_DEP_1) | instskip(NEXT) | instid1(VALU_DEP_1)
	v_trunc_f32_e32 v1, v1
	v_mul_f32_e64 v3, 0x2f800000, |v1|
	v_ashrrev_i32_e32 v10, 31, v1
	s_delay_alu instid0(VALU_DEP_2) | instskip(NEXT) | instid1(VALU_DEP_2)
	v_floor_f32_e32 v3, v3
	v_mov_b32_e32 v11, v10
	s_delay_alu instid0(VALU_DEP_2) | instskip(SKIP_1) | instid1(VALU_DEP_2)
	v_fma_f32 v5, 0xcf800000, v3, |v1|
	v_cvt_u32_f32_e32 v1, v3
	v_cvt_u32_f32_e32 v3, v5
	s_delay_alu instid0(VALU_DEP_2) | instskip(NEXT) | instid1(VALU_DEP_2)
	v_xor_b32_e32 v19, v1, v10
	v_xor_b32_e32 v18, v3, v10
	s_delay_alu instid0(VALU_DEP_1)
	v_sub_nc_u64_e32 v[10:11], v[18:19], v[10:11]
	s_branch .LBB63_1334
.LBB63_1329:
	s_mov_b32 s9, -1
	s_branch .LBB63_1333
.LBB63_1330:
	s_and_not1_saveexec_b32 s9, s9
	s_cbranch_execz .LBB63_1311
.LBB63_1331:
	v_cmp_ne_u16_e32 vcc_lo, 0, v1
	s_and_not1_b32 s10, s10, exec_lo
	s_and_b32 s13, vcc_lo, exec_lo
	s_delay_alu instid0(SALU_CYCLE_1)
	s_or_b32 s10, s10, s13
	s_or_b32 exec_lo, exec_lo, s9
	v_mov_b64_e32 v[10:11], 0
	s_and_saveexec_b32 s9, s10
	s_cbranch_execnz .LBB63_1312
	s_branch .LBB63_1313
.LBB63_1332:
	s_mov_b32 s8, -1
.LBB63_1333:
                                        ; implicit-def: $vgpr10_vgpr11
.LBB63_1334:
	s_and_b32 vcc_lo, exec_lo, s9
	s_mov_b32 s9, 0
	s_cbranch_vccz .LBB63_1336
; %bb.1335:
	s_cmp_lg_u32 s0, 11
	s_mov_b32 s9, -1
	s_cselect_b32 s8, -1, 0
.LBB63_1336:
	s_delay_alu instid0(SALU_CYCLE_1)
	s_and_b32 vcc_lo, exec_lo, s8
	s_cbranch_vccnz .LBB63_1399
; %bb.1337:
	s_and_not1_b32 vcc_lo, exec_lo, s9
	s_cbranch_vccnz .LBB63_1339
.LBB63_1338:
	global_load_u8 v1, v[16:17], off
	s_mov_b32 s8, 0
	s_mov_b32 s10, -1
	s_wait_loadcnt 0x1
	v_mov_b32_e32 v11, s8
	s_wait_loadcnt 0x0
	v_cmp_ne_u16_e32 vcc_lo, 0, v1
	v_cndmask_b32_e64 v10, 0, 1, vcc_lo
.LBB63_1339:
	s_branch .LBB63_1269
.LBB63_1340:
	s_cmp_lt_i32 s0, 5
	s_cbranch_scc1 .LBB63_1345
; %bb.1341:
	s_cmp_lt_i32 s0, 8
	s_cbranch_scc1 .LBB63_1346
; %bb.1342:
	;; [unrolled: 3-line block ×3, first 2 shown]
	s_cmp_gt_i32 s0, 9
	s_cbranch_scc0 .LBB63_1348
; %bb.1344:
	s_wait_loadcnt 0x0
	global_load_b64 v[10:11], v[16:17], off
	s_mov_b32 s8, 0
	s_wait_loadcnt 0x0
	v_trunc_f64_e32 v[10:11], v[10:11]
	s_delay_alu instid0(VALU_DEP_1) | instskip(NEXT) | instid1(VALU_DEP_1)
	v_ldexp_f64 v[18:19], v[10:11], 0xffffffe0
	v_floor_f64_e32 v[18:19], v[18:19]
	s_delay_alu instid0(VALU_DEP_1) | instskip(SKIP_1) | instid1(VALU_DEP_2)
	v_fmamk_f64 v[20:21], v[18:19], 0xc1f00000, v[10:11]
	v_cvt_i32_f64_e32 v11, v[18:19]
	v_cvt_u32_f64_e32 v10, v[20:21]
	s_branch .LBB63_1349
.LBB63_1345:
                                        ; implicit-def: $vgpr10_vgpr11
	s_branch .LBB63_1367
.LBB63_1346:
	s_mov_b32 s8, -1
                                        ; implicit-def: $vgpr10_vgpr11
	s_branch .LBB63_1355
.LBB63_1347:
	s_mov_b32 s8, -1
                                        ; implicit-def: $vgpr10_vgpr11
	s_branch .LBB63_1352
.LBB63_1348:
	s_mov_b32 s8, -1
                                        ; implicit-def: $vgpr10_vgpr11
.LBB63_1349:
	s_delay_alu instid0(SALU_CYCLE_1)
	s_and_not1_b32 vcc_lo, exec_lo, s8
	s_cbranch_vccnz .LBB63_1351
; %bb.1350:
	global_load_b32 v1, v[16:17], off
	s_wait_loadcnt 0x0
	v_trunc_f32_e32 v1, v1
	s_delay_alu instid0(VALU_DEP_1) | instskip(SKIP_1) | instid1(VALU_DEP_2)
	v_mul_f32_e64 v3, 0x2f800000, |v1|
	v_ashrrev_i32_e32 v10, 31, v1
	v_floor_f32_e32 v3, v3
	s_delay_alu instid0(VALU_DEP_1) | instskip(SKIP_1) | instid1(VALU_DEP_4)
	v_fma_f32 v5, 0xcf800000, v3, |v1|
	v_cvt_u32_f32_e32 v1, v3
	v_mov_b32_e32 v11, v10
	s_delay_alu instid0(VALU_DEP_3) | instskip(NEXT) | instid1(VALU_DEP_3)
	v_cvt_u32_f32_e32 v3, v5
	v_xor_b32_e32 v19, v1, v10
	s_delay_alu instid0(VALU_DEP_2) | instskip(NEXT) | instid1(VALU_DEP_1)
	v_xor_b32_e32 v18, v3, v10
	v_sub_nc_u64_e32 v[10:11], v[18:19], v[10:11]
.LBB63_1351:
	s_mov_b32 s8, 0
.LBB63_1352:
	s_delay_alu instid0(SALU_CYCLE_1)
	s_and_not1_b32 vcc_lo, exec_lo, s8
	s_cbranch_vccnz .LBB63_1354
; %bb.1353:
	global_load_b32 v1, v[16:17], off
	s_wait_loadcnt 0x0
	v_cvt_f32_f16_e32 v1, v1
	s_delay_alu instid0(VALU_DEP_1) | instskip(NEXT) | instid1(VALU_DEP_1)
	v_cvt_i32_f32_e32 v10, v1
	v_ashrrev_i32_e32 v11, 31, v10
.LBB63_1354:
	s_mov_b32 s8, 0
.LBB63_1355:
	s_delay_alu instid0(SALU_CYCLE_1)
	s_and_not1_b32 vcc_lo, exec_lo, s8
	s_cbranch_vccnz .LBB63_1366
; %bb.1356:
	s_cmp_lt_i32 s0, 6
	s_cbranch_scc1 .LBB63_1359
; %bb.1357:
	s_cmp_gt_i32 s0, 6
	s_cbranch_scc0 .LBB63_1360
; %bb.1358:
	s_wait_loadcnt 0x0
	global_load_b64 v[10:11], v[16:17], off
	s_mov_b32 s8, 0
	s_wait_loadcnt 0x0
	v_trunc_f64_e32 v[10:11], v[10:11]
	s_delay_alu instid0(VALU_DEP_1) | instskip(NEXT) | instid1(VALU_DEP_1)
	v_ldexp_f64 v[18:19], v[10:11], 0xffffffe0
	v_floor_f64_e32 v[18:19], v[18:19]
	s_delay_alu instid0(VALU_DEP_1) | instskip(SKIP_1) | instid1(VALU_DEP_2)
	v_fmamk_f64 v[20:21], v[18:19], 0xc1f00000, v[10:11]
	v_cvt_i32_f64_e32 v11, v[18:19]
	v_cvt_u32_f64_e32 v10, v[20:21]
	s_branch .LBB63_1361
.LBB63_1359:
	s_mov_b32 s8, -1
                                        ; implicit-def: $vgpr10_vgpr11
	s_branch .LBB63_1364
.LBB63_1360:
	s_mov_b32 s8, -1
                                        ; implicit-def: $vgpr10_vgpr11
.LBB63_1361:
	s_delay_alu instid0(SALU_CYCLE_1)
	s_and_not1_b32 vcc_lo, exec_lo, s8
	s_cbranch_vccnz .LBB63_1363
; %bb.1362:
	global_load_b32 v1, v[16:17], off
	s_wait_loadcnt 0x0
	v_trunc_f32_e32 v1, v1
	s_delay_alu instid0(VALU_DEP_1) | instskip(SKIP_1) | instid1(VALU_DEP_2)
	v_mul_f32_e64 v3, 0x2f800000, |v1|
	v_ashrrev_i32_e32 v10, 31, v1
	v_floor_f32_e32 v3, v3
	s_delay_alu instid0(VALU_DEP_1) | instskip(SKIP_1) | instid1(VALU_DEP_4)
	v_fma_f32 v5, 0xcf800000, v3, |v1|
	v_cvt_u32_f32_e32 v1, v3
	v_mov_b32_e32 v11, v10
	s_delay_alu instid0(VALU_DEP_3) | instskip(NEXT) | instid1(VALU_DEP_3)
	v_cvt_u32_f32_e32 v3, v5
	v_xor_b32_e32 v19, v1, v10
	s_delay_alu instid0(VALU_DEP_2) | instskip(NEXT) | instid1(VALU_DEP_1)
	v_xor_b32_e32 v18, v3, v10
	v_sub_nc_u64_e32 v[10:11], v[18:19], v[10:11]
.LBB63_1363:
	s_mov_b32 s8, 0
.LBB63_1364:
	s_delay_alu instid0(SALU_CYCLE_1)
	s_and_not1_b32 vcc_lo, exec_lo, s8
	s_cbranch_vccnz .LBB63_1366
; %bb.1365:
	global_load_u16 v1, v[16:17], off
	s_wait_loadcnt 0x0
	v_cvt_f32_f16_e32 v1, v1
	s_delay_alu instid0(VALU_DEP_1) | instskip(NEXT) | instid1(VALU_DEP_1)
	v_cvt_i32_f32_e32 v10, v1
	v_ashrrev_i32_e32 v11, 31, v10
.LBB63_1366:
	s_cbranch_execnz .LBB63_1386
.LBB63_1367:
	s_cmp_lt_i32 s0, 2
	s_cbranch_scc1 .LBB63_1371
; %bb.1368:
	s_cmp_lt_i32 s0, 3
	s_cbranch_scc1 .LBB63_1372
; %bb.1369:
	s_cmp_gt_i32 s0, 3
	s_cbranch_scc0 .LBB63_1373
; %bb.1370:
	s_wait_loadcnt 0x0
	global_load_b64 v[10:11], v[16:17], off
	s_mov_b32 s8, 0
	s_branch .LBB63_1374
.LBB63_1371:
	s_mov_b32 s8, -1
                                        ; implicit-def: $vgpr10_vgpr11
	s_branch .LBB63_1380
.LBB63_1372:
	s_mov_b32 s8, -1
                                        ; implicit-def: $vgpr10_vgpr11
	s_branch .LBB63_1377
.LBB63_1373:
	s_mov_b32 s8, -1
                                        ; implicit-def: $vgpr10_vgpr11
.LBB63_1374:
	s_delay_alu instid0(SALU_CYCLE_1)
	s_and_not1_b32 vcc_lo, exec_lo, s8
	s_cbranch_vccnz .LBB63_1376
; %bb.1375:
	s_wait_loadcnt 0x0
	global_load_b32 v10, v[16:17], off
	s_wait_loadcnt 0x0
	v_ashrrev_i32_e32 v11, 31, v10
.LBB63_1376:
	s_mov_b32 s8, 0
.LBB63_1377:
	s_delay_alu instid0(SALU_CYCLE_1)
	s_and_not1_b32 vcc_lo, exec_lo, s8
	s_cbranch_vccnz .LBB63_1379
; %bb.1378:
	global_load_u16 v1, v[16:17], off
	s_wait_loadcnt 0x0
	v_bfe_i32 v10, v1, 0, 16
	s_delay_alu instid0(VALU_DEP_1)
	v_ashrrev_i32_e32 v11, 31, v10
.LBB63_1379:
	s_mov_b32 s8, 0
.LBB63_1380:
	s_delay_alu instid0(SALU_CYCLE_1)
	s_and_not1_b32 vcc_lo, exec_lo, s8
	s_cbranch_vccnz .LBB63_1386
; %bb.1381:
	s_cmp_gt_i32 s0, 0
	s_mov_b32 s8, 0
	s_cbranch_scc0 .LBB63_1383
; %bb.1382:
	global_load_i8 v1, v[16:17], off
	s_wait_loadcnt 0x0
	v_bfe_i32 v10, v1, 0, 16
	s_delay_alu instid0(VALU_DEP_1)
	v_ashrrev_i32_e32 v11, 31, v10
	s_branch .LBB63_1384
.LBB63_1383:
	s_mov_b32 s8, -1
                                        ; implicit-def: $vgpr10_vgpr11
.LBB63_1384:
	s_delay_alu instid0(SALU_CYCLE_1)
	s_and_not1_b32 vcc_lo, exec_lo, s8
	s_cbranch_vccnz .LBB63_1386
; %bb.1385:
	global_load_u8 v1, v[16:17], off
	s_mov_b32 s8, 0
	s_wait_loadcnt 0x1
	v_mov_b32_e32 v11, s8
	s_wait_loadcnt 0x0
	v_and_b32_e32 v10, 0xffff, v1
.LBB63_1386:
.LBB63_1387:
	v_mov_b32_e32 v13, 0
	s_cmp_lt_i32 s0, 11
	s_wait_xcnt 0x0
	s_delay_alu instid0(VALU_DEP_1)
	v_add_nc_u64_e32 v[16:17], s[6:7], v[12:13]
	s_cbranch_scc1 .LBB63_1394
; %bb.1388:
	s_cmp_gt_i32 s0, 25
	s_mov_b32 s9, 0
	s_cbranch_scc0 .LBB63_1396
; %bb.1389:
	s_cmp_gt_i32 s0, 28
	s_cbranch_scc0 .LBB63_1397
; %bb.1390:
	s_cmp_gt_i32 s0, 43
	;; [unrolled: 3-line block ×3, first 2 shown]
	s_cbranch_scc0 .LBB63_1400
; %bb.1392:
	s_cmp_eq_u32 s0, 46
	s_mov_b32 s13, 0
	s_cbranch_scc0 .LBB63_1401
; %bb.1393:
	global_load_b32 v1, v[16:17], off
	s_mov_b32 s8, 0
	s_mov_b32 s10, -1
	s_wait_loadcnt 0x0
	v_lshlrev_b32_e32 v1, 16, v1
	s_delay_alu instid0(VALU_DEP_1) | instskip(NEXT) | instid1(VALU_DEP_1)
	v_trunc_f32_e32 v1, v1
	v_mul_f32_e64 v3, 0x2f800000, |v1|
	v_ashrrev_i32_e32 v12, 31, v1
	s_delay_alu instid0(VALU_DEP_2) | instskip(NEXT) | instid1(VALU_DEP_2)
	v_floor_f32_e32 v3, v3
	v_mov_b32_e32 v13, v12
	s_delay_alu instid0(VALU_DEP_2) | instskip(SKIP_1) | instid1(VALU_DEP_2)
	v_fma_f32 v5, 0xcf800000, v3, |v1|
	v_cvt_u32_f32_e32 v1, v3
	v_cvt_u32_f32_e32 v3, v5
	s_delay_alu instid0(VALU_DEP_2) | instskip(NEXT) | instid1(VALU_DEP_2)
	v_xor_b32_e32 v19, v1, v12
	v_xor_b32_e32 v18, v3, v12
	s_delay_alu instid0(VALU_DEP_1)
	v_sub_nc_u64_e32 v[12:13], v[18:19], v[12:13]
	s_branch .LBB63_1403
.LBB63_1394:
	s_mov_b32 s10, 0
                                        ; implicit-def: $vgpr12_vgpr13
	s_cbranch_execnz .LBB63_1465
.LBB63_1395:
	s_and_not1_b32 vcc_lo, exec_lo, s10
	s_cbranch_vccnz .LBB63_2072
	s_branch .LBB63_1513
.LBB63_1396:
	s_mov_b32 s13, -1
	s_mov_b32 s10, 0
	s_mov_b32 s8, 0
                                        ; implicit-def: $vgpr12_vgpr13
	s_branch .LBB63_1430
.LBB63_1397:
	s_mov_b32 s13, -1
	s_mov_b32 s10, 0
	s_mov_b32 s8, 0
                                        ; implicit-def: $vgpr12_vgpr13
	s_branch .LBB63_1413
.LBB63_1398:
	s_mov_b32 s13, -1
	s_mov_b32 s10, 0
	s_mov_b32 s8, 0
                                        ; implicit-def: $vgpr12_vgpr13
	s_branch .LBB63_1408
.LBB63_1399:
	s_or_b32 s1, s1, exec_lo
	s_trap 2
	s_cbranch_execz .LBB63_1338
	s_branch .LBB63_1339
.LBB63_1400:
	s_mov_b32 s13, -1
	s_mov_b32 s10, 0
	s_mov_b32 s8, 0
	s_branch .LBB63_1402
.LBB63_1401:
	s_mov_b32 s8, -1
	s_mov_b32 s10, 0
.LBB63_1402:
                                        ; implicit-def: $vgpr12_vgpr13
.LBB63_1403:
	s_and_b32 vcc_lo, exec_lo, s13
	s_cbranch_vccz .LBB63_1407
; %bb.1404:
	s_cmp_eq_u32 s0, 44
	s_cbranch_scc0 .LBB63_1406
; %bb.1405:
	global_load_u8 v1, v[16:17], off
	s_mov_b32 s8, 0
	s_mov_b32 s10, -1
	s_wait_loadcnt 0x0
	v_lshlrev_b32_e32 v3, 23, v1
	v_cmp_ne_u32_e32 vcc_lo, 0, v1
	s_delay_alu instid0(VALU_DEP_2) | instskip(NEXT) | instid1(VALU_DEP_1)
	v_trunc_f32_e32 v3, v3
	v_mul_f32_e64 v5, 0x2f800000, |v3|
	v_ashrrev_i32_e32 v12, 31, v3
	s_delay_alu instid0(VALU_DEP_2) | instskip(NEXT) | instid1(VALU_DEP_2)
	v_floor_f32_e32 v5, v5
	v_mov_b32_e32 v13, v12
	s_delay_alu instid0(VALU_DEP_2) | instskip(SKIP_1) | instid1(VALU_DEP_2)
	v_fma_f32 v7, 0xcf800000, v5, |v3|
	v_cvt_u32_f32_e32 v3, v5
	v_cvt_u32_f32_e32 v5, v7
	s_delay_alu instid0(VALU_DEP_2) | instskip(NEXT) | instid1(VALU_DEP_2)
	v_xor_b32_e32 v19, v3, v12
	v_xor_b32_e32 v18, v5, v12
	s_delay_alu instid0(VALU_DEP_1) | instskip(NEXT) | instid1(VALU_DEP_1)
	v_sub_nc_u64_e32 v[12:13], v[18:19], v[12:13]
	v_dual_cndmask_b32 v13, 0, v13 :: v_dual_cndmask_b32 v12, 0, v12
	s_branch .LBB63_1407
.LBB63_1406:
	s_mov_b32 s8, -1
                                        ; implicit-def: $vgpr12_vgpr13
.LBB63_1407:
	s_mov_b32 s13, 0
.LBB63_1408:
	s_delay_alu instid0(SALU_CYCLE_1)
	s_and_b32 vcc_lo, exec_lo, s13
	s_cbranch_vccz .LBB63_1412
; %bb.1409:
	s_cmp_eq_u32 s0, 29
	s_cbranch_scc0 .LBB63_1411
; %bb.1410:
	global_load_b64 v[12:13], v[16:17], off
	s_mov_b32 s8, 0
	s_mov_b32 s10, -1
	s_branch .LBB63_1412
.LBB63_1411:
	s_mov_b32 s8, -1
                                        ; implicit-def: $vgpr12_vgpr13
.LBB63_1412:
	s_mov_b32 s13, 0
.LBB63_1413:
	s_delay_alu instid0(SALU_CYCLE_1)
	s_and_b32 vcc_lo, exec_lo, s13
	s_cbranch_vccz .LBB63_1429
; %bb.1414:
	s_cmp_lt_i32 s0, 27
	s_cbranch_scc1 .LBB63_1417
; %bb.1415:
	s_cmp_gt_i32 s0, 27
	s_cbranch_scc0 .LBB63_1418
; %bb.1416:
	s_wait_loadcnt 0x0
	global_load_b32 v12, v[16:17], off
	v_mov_b32_e32 v13, 0
	s_mov_b32 s10, 0
	s_branch .LBB63_1419
.LBB63_1417:
	s_mov_b32 s10, -1
                                        ; implicit-def: $vgpr12_vgpr13
	s_branch .LBB63_1422
.LBB63_1418:
	s_mov_b32 s10, -1
                                        ; implicit-def: $vgpr12_vgpr13
.LBB63_1419:
	s_delay_alu instid0(SALU_CYCLE_1)
	s_and_not1_b32 vcc_lo, exec_lo, s10
	s_cbranch_vccnz .LBB63_1421
; %bb.1420:
	global_load_u16 v1, v[16:17], off
	s_mov_b32 s10, 0
	s_wait_loadcnt 0x1
	v_mov_b32_e32 v13, s10
	s_wait_loadcnt 0x0
	v_and_b32_e32 v12, 0xffff, v1
.LBB63_1421:
	s_mov_b32 s10, 0
.LBB63_1422:
	s_delay_alu instid0(SALU_CYCLE_1)
	s_and_not1_b32 vcc_lo, exec_lo, s10
	s_cbranch_vccnz .LBB63_1428
; %bb.1423:
	global_load_u8 v1, v[16:17], off
	s_mov_b32 s13, 0
	s_mov_b32 s10, exec_lo
	s_wait_loadcnt 0x0
	v_cmpx_lt_i16_e32 0x7f, v1
	s_xor_b32 s10, exec_lo, s10
	s_cbranch_execz .LBB63_1440
; %bb.1424:
	v_cmp_ne_u16_e32 vcc_lo, 0x80, v1
	s_and_b32 s13, vcc_lo, exec_lo
	s_and_not1_saveexec_b32 s10, s10
	s_cbranch_execnz .LBB63_1441
.LBB63_1425:
	s_or_b32 exec_lo, exec_lo, s10
	v_mov_b64_e32 v[12:13], 0
	s_and_saveexec_b32 s10, s13
	s_cbranch_execz .LBB63_1427
.LBB63_1426:
	v_and_b32_e32 v3, 0xffff, v1
	s_delay_alu instid0(VALU_DEP_1) | instskip(SKIP_1) | instid1(VALU_DEP_2)
	v_dual_lshlrev_b32 v1, 24, v1 :: v_dual_bitop2_b32 v5, 7, v3 bitop3:0x40
	v_bfe_u32 v13, v3, 3, 4
	v_and_b32_e32 v1, 0x80000000, v1
	s_delay_alu instid0(VALU_DEP_3) | instskip(NEXT) | instid1(VALU_DEP_3)
	v_clz_i32_u32_e32 v7, v5
	v_cmp_eq_u32_e32 vcc_lo, 0, v13
	s_delay_alu instid0(VALU_DEP_2) | instskip(NEXT) | instid1(VALU_DEP_1)
	v_min_u32_e32 v7, 32, v7
	v_subrev_nc_u32_e32 v12, 28, v7
	v_sub_nc_u32_e32 v7, 29, v7
	s_delay_alu instid0(VALU_DEP_2) | instskip(NEXT) | instid1(VALU_DEP_2)
	v_lshlrev_b32_e32 v3, v12, v3
	v_cndmask_b32_e32 v7, v13, v7, vcc_lo
	s_delay_alu instid0(VALU_DEP_2) | instskip(NEXT) | instid1(VALU_DEP_1)
	v_and_b32_e32 v3, 7, v3
	v_cndmask_b32_e32 v3, v5, v3, vcc_lo
	s_delay_alu instid0(VALU_DEP_3) | instskip(NEXT) | instid1(VALU_DEP_2)
	v_lshl_add_u32 v5, v7, 23, 0x3b800000
	v_lshlrev_b32_e32 v3, 20, v3
	s_delay_alu instid0(VALU_DEP_1) | instskip(NEXT) | instid1(VALU_DEP_1)
	v_or3_b32 v1, v1, v5, v3
	v_trunc_f32_e32 v1, v1
	s_delay_alu instid0(VALU_DEP_1) | instskip(SKIP_1) | instid1(VALU_DEP_2)
	v_mul_f32_e64 v3, 0x2f800000, |v1|
	v_ashrrev_i32_e32 v12, 31, v1
	v_floor_f32_e32 v3, v3
	s_delay_alu instid0(VALU_DEP_2) | instskip(NEXT) | instid1(VALU_DEP_2)
	v_mov_b32_e32 v13, v12
	v_fma_f32 v5, 0xcf800000, v3, |v1|
	v_cvt_u32_f32_e32 v1, v3
	s_delay_alu instid0(VALU_DEP_2) | instskip(NEXT) | instid1(VALU_DEP_2)
	v_cvt_u32_f32_e32 v3, v5
	v_xor_b32_e32 v19, v1, v12
	s_delay_alu instid0(VALU_DEP_2) | instskip(NEXT) | instid1(VALU_DEP_1)
	v_xor_b32_e32 v18, v3, v12
	v_sub_nc_u64_e32 v[12:13], v[18:19], v[12:13]
.LBB63_1427:
	s_or_b32 exec_lo, exec_lo, s10
.LBB63_1428:
	s_mov_b32 s10, -1
.LBB63_1429:
	s_mov_b32 s13, 0
.LBB63_1430:
	s_delay_alu instid0(SALU_CYCLE_1)
	s_and_b32 vcc_lo, exec_lo, s13
	s_cbranch_vccz .LBB63_1461
; %bb.1431:
	s_cmp_gt_i32 s0, 22
	s_cbranch_scc0 .LBB63_1439
; %bb.1432:
	s_cmp_lt_i32 s0, 24
	s_cbranch_scc1 .LBB63_1442
; %bb.1433:
	s_cmp_gt_i32 s0, 24
	s_cbranch_scc0 .LBB63_1443
; %bb.1434:
	global_load_u8 v1, v[16:17], off
	s_mov_b32 s10, 0
	s_mov_b32 s9, exec_lo
	s_wait_loadcnt 0x0
	v_cmpx_lt_i16_e32 0x7f, v1
	s_xor_b32 s9, exec_lo, s9
	s_cbranch_execz .LBB63_1455
; %bb.1435:
	v_cmp_ne_u16_e32 vcc_lo, 0x80, v1
	s_and_b32 s10, vcc_lo, exec_lo
	s_and_not1_saveexec_b32 s9, s9
	s_cbranch_execnz .LBB63_1456
.LBB63_1436:
	s_or_b32 exec_lo, exec_lo, s9
	v_mov_b64_e32 v[12:13], 0
	s_and_saveexec_b32 s9, s10
	s_cbranch_execz .LBB63_1438
.LBB63_1437:
	v_and_b32_e32 v3, 0xffff, v1
	s_delay_alu instid0(VALU_DEP_1) | instskip(SKIP_1) | instid1(VALU_DEP_2)
	v_dual_lshlrev_b32 v1, 24, v1 :: v_dual_bitop2_b32 v5, 3, v3 bitop3:0x40
	v_bfe_u32 v13, v3, 2, 5
	v_and_b32_e32 v1, 0x80000000, v1
	s_delay_alu instid0(VALU_DEP_3) | instskip(NEXT) | instid1(VALU_DEP_3)
	v_clz_i32_u32_e32 v7, v5
	v_cmp_eq_u32_e32 vcc_lo, 0, v13
	s_delay_alu instid0(VALU_DEP_2) | instskip(NEXT) | instid1(VALU_DEP_1)
	v_min_u32_e32 v7, 32, v7
	v_subrev_nc_u32_e32 v12, 29, v7
	v_sub_nc_u32_e32 v7, 30, v7
	s_delay_alu instid0(VALU_DEP_2) | instskip(NEXT) | instid1(VALU_DEP_2)
	v_lshlrev_b32_e32 v3, v12, v3
	v_cndmask_b32_e32 v7, v13, v7, vcc_lo
	s_delay_alu instid0(VALU_DEP_2) | instskip(NEXT) | instid1(VALU_DEP_1)
	v_and_b32_e32 v3, 3, v3
	v_cndmask_b32_e32 v3, v5, v3, vcc_lo
	s_delay_alu instid0(VALU_DEP_3) | instskip(NEXT) | instid1(VALU_DEP_2)
	v_lshl_add_u32 v5, v7, 23, 0x37800000
	v_lshlrev_b32_e32 v3, 21, v3
	s_delay_alu instid0(VALU_DEP_1) | instskip(NEXT) | instid1(VALU_DEP_1)
	v_or3_b32 v1, v1, v5, v3
	v_trunc_f32_e32 v1, v1
	s_delay_alu instid0(VALU_DEP_1) | instskip(SKIP_1) | instid1(VALU_DEP_2)
	v_mul_f32_e64 v3, 0x2f800000, |v1|
	v_ashrrev_i32_e32 v12, 31, v1
	v_floor_f32_e32 v3, v3
	s_delay_alu instid0(VALU_DEP_2) | instskip(NEXT) | instid1(VALU_DEP_2)
	v_mov_b32_e32 v13, v12
	v_fma_f32 v5, 0xcf800000, v3, |v1|
	v_cvt_u32_f32_e32 v1, v3
	s_delay_alu instid0(VALU_DEP_2) | instskip(NEXT) | instid1(VALU_DEP_2)
	v_cvt_u32_f32_e32 v3, v5
	v_xor_b32_e32 v19, v1, v12
	s_delay_alu instid0(VALU_DEP_2) | instskip(NEXT) | instid1(VALU_DEP_1)
	v_xor_b32_e32 v18, v3, v12
	v_sub_nc_u64_e32 v[12:13], v[18:19], v[12:13]
.LBB63_1438:
	s_or_b32 exec_lo, exec_lo, s9
	s_mov_b32 s9, 0
	s_branch .LBB63_1444
.LBB63_1439:
	s_mov_b32 s9, -1
                                        ; implicit-def: $vgpr12_vgpr13
	s_branch .LBB63_1450
.LBB63_1440:
	s_and_not1_saveexec_b32 s10, s10
	s_cbranch_execz .LBB63_1425
.LBB63_1441:
	v_cmp_ne_u16_e32 vcc_lo, 0, v1
	s_and_not1_b32 s13, s13, exec_lo
	s_and_b32 s14, vcc_lo, exec_lo
	s_delay_alu instid0(SALU_CYCLE_1)
	s_or_b32 s13, s13, s14
	s_or_b32 exec_lo, exec_lo, s10
	v_mov_b64_e32 v[12:13], 0
	s_and_saveexec_b32 s10, s13
	s_cbranch_execnz .LBB63_1426
	s_branch .LBB63_1427
.LBB63_1442:
	s_mov_b32 s9, -1
                                        ; implicit-def: $vgpr12_vgpr13
	s_branch .LBB63_1447
.LBB63_1443:
	s_mov_b32 s9, -1
                                        ; implicit-def: $vgpr12_vgpr13
.LBB63_1444:
	s_delay_alu instid0(SALU_CYCLE_1)
	s_and_b32 vcc_lo, exec_lo, s9
	s_cbranch_vccz .LBB63_1446
; %bb.1445:
	global_load_u8 v1, v[16:17], off
	s_wait_loadcnt 0x0
	v_lshlrev_b32_e32 v1, 24, v1
	s_delay_alu instid0(VALU_DEP_1) | instskip(NEXT) | instid1(VALU_DEP_1)
	v_and_b32_e32 v3, 0x7f000000, v1
	v_clz_i32_u32_e32 v5, v3
	v_cmp_ne_u32_e32 vcc_lo, 0, v3
	v_add_nc_u32_e32 v12, 0x1000000, v3
	s_delay_alu instid0(VALU_DEP_3) | instskip(NEXT) | instid1(VALU_DEP_1)
	v_min_u32_e32 v5, 32, v5
	v_sub_nc_u32_e64 v5, v5, 4 clamp
	s_delay_alu instid0(VALU_DEP_1) | instskip(NEXT) | instid1(VALU_DEP_1)
	v_dual_lshlrev_b32 v7, v5, v3 :: v_dual_lshlrev_b32 v5, 23, v5
	v_lshrrev_b32_e32 v7, 4, v7
	s_delay_alu instid0(VALU_DEP_1) | instskip(NEXT) | instid1(VALU_DEP_1)
	v_dual_sub_nc_u32 v5, v7, v5 :: v_dual_ashrrev_i32 v7, 8, v12
	v_add_nc_u32_e32 v5, 0x3c000000, v5
	s_delay_alu instid0(VALU_DEP_1) | instskip(NEXT) | instid1(VALU_DEP_1)
	v_and_or_b32 v5, 0x7f800000, v7, v5
	v_cndmask_b32_e32 v3, 0, v5, vcc_lo
	s_delay_alu instid0(VALU_DEP_1) | instskip(NEXT) | instid1(VALU_DEP_1)
	v_and_or_b32 v1, 0x80000000, v1, v3
	v_trunc_f32_e32 v1, v1
	s_delay_alu instid0(VALU_DEP_1) | instskip(SKIP_1) | instid1(VALU_DEP_2)
	v_mul_f32_e64 v3, 0x2f800000, |v1|
	v_ashrrev_i32_e32 v12, 31, v1
	v_floor_f32_e32 v3, v3
	s_delay_alu instid0(VALU_DEP_1) | instskip(SKIP_1) | instid1(VALU_DEP_4)
	v_fma_f32 v5, 0xcf800000, v3, |v1|
	v_cvt_u32_f32_e32 v1, v3
	v_mov_b32_e32 v13, v12
	s_delay_alu instid0(VALU_DEP_3) | instskip(NEXT) | instid1(VALU_DEP_3)
	v_cvt_u32_f32_e32 v3, v5
	v_xor_b32_e32 v19, v1, v12
	s_delay_alu instid0(VALU_DEP_2) | instskip(NEXT) | instid1(VALU_DEP_1)
	v_xor_b32_e32 v18, v3, v12
	v_sub_nc_u64_e32 v[12:13], v[18:19], v[12:13]
.LBB63_1446:
	s_mov_b32 s9, 0
.LBB63_1447:
	s_delay_alu instid0(SALU_CYCLE_1)
	s_and_not1_b32 vcc_lo, exec_lo, s9
	s_cbranch_vccnz .LBB63_1449
; %bb.1448:
	global_load_u8 v1, v[16:17], off
	s_wait_loadcnt 0x0
	v_lshlrev_b32_e32 v3, 25, v1
	v_lshlrev_b16 v1, 8, v1
	s_delay_alu instid0(VALU_DEP_1) | instskip(SKIP_1) | instid1(VALU_DEP_2)
	v_and_or_b32 v7, 0x7f00, v1, 0.5
	v_bfe_i32 v1, v1, 0, 16
	v_add_f32_e32 v7, -0.5, v7
	v_lshrrev_b32_e32 v5, 4, v3
	v_cmp_gt_u32_e32 vcc_lo, 0x8000000, v3
	s_delay_alu instid0(VALU_DEP_2) | instskip(NEXT) | instid1(VALU_DEP_1)
	v_or_b32_e32 v5, 0x70000000, v5
	v_mul_f32_e32 v5, 0x7800000, v5
	s_delay_alu instid0(VALU_DEP_1) | instskip(NEXT) | instid1(VALU_DEP_1)
	v_cndmask_b32_e32 v3, v5, v7, vcc_lo
	v_and_or_b32 v1, 0x80000000, v1, v3
	s_delay_alu instid0(VALU_DEP_1) | instskip(NEXT) | instid1(VALU_DEP_1)
	v_trunc_f32_e32 v1, v1
	v_mul_f32_e64 v3, 0x2f800000, |v1|
	v_ashrrev_i32_e32 v12, 31, v1
	s_delay_alu instid0(VALU_DEP_2) | instskip(NEXT) | instid1(VALU_DEP_2)
	v_floor_f32_e32 v3, v3
	v_mov_b32_e32 v13, v12
	s_delay_alu instid0(VALU_DEP_2) | instskip(SKIP_1) | instid1(VALU_DEP_2)
	v_fma_f32 v5, 0xcf800000, v3, |v1|
	v_cvt_u32_f32_e32 v1, v3
	v_cvt_u32_f32_e32 v3, v5
	s_delay_alu instid0(VALU_DEP_2) | instskip(NEXT) | instid1(VALU_DEP_2)
	v_xor_b32_e32 v19, v1, v12
	v_xor_b32_e32 v18, v3, v12
	s_delay_alu instid0(VALU_DEP_1)
	v_sub_nc_u64_e32 v[12:13], v[18:19], v[12:13]
.LBB63_1449:
	s_mov_b32 s9, 0
	s_mov_b32 s10, -1
.LBB63_1450:
	s_and_not1_b32 vcc_lo, exec_lo, s9
	s_mov_b32 s9, 0
	s_cbranch_vccnz .LBB63_1461
; %bb.1451:
	s_cmp_gt_i32 s0, 14
	s_cbranch_scc0 .LBB63_1454
; %bb.1452:
	s_cmp_eq_u32 s0, 15
	s_cbranch_scc0 .LBB63_1457
; %bb.1453:
	global_load_u16 v1, v[16:17], off
	s_mov_b32 s8, 0
	s_mov_b32 s10, -1
	s_wait_loadcnt 0x0
	v_lshlrev_b32_e32 v1, 16, v1
	s_delay_alu instid0(VALU_DEP_1) | instskip(NEXT) | instid1(VALU_DEP_1)
	v_trunc_f32_e32 v1, v1
	v_mul_f32_e64 v3, 0x2f800000, |v1|
	v_ashrrev_i32_e32 v12, 31, v1
	s_delay_alu instid0(VALU_DEP_2) | instskip(NEXT) | instid1(VALU_DEP_2)
	v_floor_f32_e32 v3, v3
	v_mov_b32_e32 v13, v12
	s_delay_alu instid0(VALU_DEP_2) | instskip(SKIP_1) | instid1(VALU_DEP_2)
	v_fma_f32 v5, 0xcf800000, v3, |v1|
	v_cvt_u32_f32_e32 v1, v3
	v_cvt_u32_f32_e32 v3, v5
	s_delay_alu instid0(VALU_DEP_2) | instskip(NEXT) | instid1(VALU_DEP_2)
	v_xor_b32_e32 v19, v1, v12
	v_xor_b32_e32 v18, v3, v12
	s_delay_alu instid0(VALU_DEP_1)
	v_sub_nc_u64_e32 v[12:13], v[18:19], v[12:13]
	s_branch .LBB63_1459
.LBB63_1454:
	s_mov_b32 s9, -1
	s_branch .LBB63_1458
.LBB63_1455:
	s_and_not1_saveexec_b32 s9, s9
	s_cbranch_execz .LBB63_1436
.LBB63_1456:
	v_cmp_ne_u16_e32 vcc_lo, 0, v1
	s_and_not1_b32 s10, s10, exec_lo
	s_and_b32 s13, vcc_lo, exec_lo
	s_delay_alu instid0(SALU_CYCLE_1)
	s_or_b32 s10, s10, s13
	s_or_b32 exec_lo, exec_lo, s9
	v_mov_b64_e32 v[12:13], 0
	s_and_saveexec_b32 s9, s10
	s_cbranch_execnz .LBB63_1437
	s_branch .LBB63_1438
.LBB63_1457:
	s_mov_b32 s8, -1
.LBB63_1458:
                                        ; implicit-def: $vgpr12_vgpr13
.LBB63_1459:
	s_and_b32 vcc_lo, exec_lo, s9
	s_mov_b32 s9, 0
	s_cbranch_vccz .LBB63_1461
; %bb.1460:
	s_cmp_lg_u32 s0, 11
	s_mov_b32 s9, -1
	s_cselect_b32 s8, -1, 0
.LBB63_1461:
	s_delay_alu instid0(SALU_CYCLE_1)
	s_and_b32 vcc_lo, exec_lo, s8
	s_cbranch_vccnz .LBB63_1524
; %bb.1462:
	s_and_not1_b32 vcc_lo, exec_lo, s9
	s_cbranch_vccnz .LBB63_1464
.LBB63_1463:
	global_load_u8 v1, v[16:17], off
	s_mov_b32 s8, 0
	s_mov_b32 s10, -1
	s_wait_loadcnt 0x1
	v_mov_b32_e32 v13, s8
	s_wait_loadcnt 0x0
	v_cmp_ne_u16_e32 vcc_lo, 0, v1
	v_cndmask_b32_e64 v12, 0, 1, vcc_lo
.LBB63_1464:
	s_branch .LBB63_1395
.LBB63_1465:
	s_cmp_lt_i32 s0, 5
	s_cbranch_scc1 .LBB63_1470
; %bb.1466:
	s_cmp_lt_i32 s0, 8
	s_cbranch_scc1 .LBB63_1471
; %bb.1467:
	;; [unrolled: 3-line block ×3, first 2 shown]
	s_cmp_gt_i32 s0, 9
	s_cbranch_scc0 .LBB63_1473
; %bb.1469:
	s_wait_loadcnt 0x0
	global_load_b64 v[12:13], v[16:17], off
	s_mov_b32 s8, 0
	s_wait_loadcnt 0x0
	v_trunc_f64_e32 v[12:13], v[12:13]
	s_delay_alu instid0(VALU_DEP_1) | instskip(NEXT) | instid1(VALU_DEP_1)
	v_ldexp_f64 v[18:19], v[12:13], 0xffffffe0
	v_floor_f64_e32 v[18:19], v[18:19]
	s_delay_alu instid0(VALU_DEP_1) | instskip(SKIP_1) | instid1(VALU_DEP_2)
	v_fmamk_f64 v[20:21], v[18:19], 0xc1f00000, v[12:13]
	v_cvt_i32_f64_e32 v13, v[18:19]
	v_cvt_u32_f64_e32 v12, v[20:21]
	s_branch .LBB63_1474
.LBB63_1470:
	s_mov_b32 s8, -1
                                        ; implicit-def: $vgpr12_vgpr13
	s_branch .LBB63_1492
.LBB63_1471:
	s_mov_b32 s8, -1
                                        ; implicit-def: $vgpr12_vgpr13
	s_branch .LBB63_1480
.LBB63_1472:
	s_mov_b32 s8, -1
                                        ; implicit-def: $vgpr12_vgpr13
	s_branch .LBB63_1477
.LBB63_1473:
	s_mov_b32 s8, -1
                                        ; implicit-def: $vgpr12_vgpr13
.LBB63_1474:
	s_delay_alu instid0(SALU_CYCLE_1)
	s_and_not1_b32 vcc_lo, exec_lo, s8
	s_cbranch_vccnz .LBB63_1476
; %bb.1475:
	global_load_b32 v1, v[16:17], off
	s_wait_loadcnt 0x0
	v_trunc_f32_e32 v1, v1
	s_delay_alu instid0(VALU_DEP_1) | instskip(SKIP_1) | instid1(VALU_DEP_2)
	v_mul_f32_e64 v3, 0x2f800000, |v1|
	v_ashrrev_i32_e32 v12, 31, v1
	v_floor_f32_e32 v3, v3
	s_delay_alu instid0(VALU_DEP_1) | instskip(SKIP_1) | instid1(VALU_DEP_4)
	v_fma_f32 v5, 0xcf800000, v3, |v1|
	v_cvt_u32_f32_e32 v1, v3
	v_mov_b32_e32 v13, v12
	s_delay_alu instid0(VALU_DEP_3) | instskip(NEXT) | instid1(VALU_DEP_3)
	v_cvt_u32_f32_e32 v3, v5
	v_xor_b32_e32 v19, v1, v12
	s_delay_alu instid0(VALU_DEP_2) | instskip(NEXT) | instid1(VALU_DEP_1)
	v_xor_b32_e32 v18, v3, v12
	v_sub_nc_u64_e32 v[12:13], v[18:19], v[12:13]
.LBB63_1476:
	s_mov_b32 s8, 0
.LBB63_1477:
	s_delay_alu instid0(SALU_CYCLE_1)
	s_and_not1_b32 vcc_lo, exec_lo, s8
	s_cbranch_vccnz .LBB63_1479
; %bb.1478:
	global_load_b32 v1, v[16:17], off
	s_wait_loadcnt 0x0
	v_cvt_f32_f16_e32 v1, v1
	s_delay_alu instid0(VALU_DEP_1) | instskip(NEXT) | instid1(VALU_DEP_1)
	v_cvt_i32_f32_e32 v12, v1
	v_ashrrev_i32_e32 v13, 31, v12
.LBB63_1479:
	s_mov_b32 s8, 0
.LBB63_1480:
	s_delay_alu instid0(SALU_CYCLE_1)
	s_and_not1_b32 vcc_lo, exec_lo, s8
	s_cbranch_vccnz .LBB63_1491
; %bb.1481:
	s_cmp_lt_i32 s0, 6
	s_cbranch_scc1 .LBB63_1484
; %bb.1482:
	s_cmp_gt_i32 s0, 6
	s_cbranch_scc0 .LBB63_1485
; %bb.1483:
	s_wait_loadcnt 0x0
	global_load_b64 v[12:13], v[16:17], off
	s_mov_b32 s8, 0
	s_wait_loadcnt 0x0
	v_trunc_f64_e32 v[12:13], v[12:13]
	s_delay_alu instid0(VALU_DEP_1) | instskip(NEXT) | instid1(VALU_DEP_1)
	v_ldexp_f64 v[18:19], v[12:13], 0xffffffe0
	v_floor_f64_e32 v[18:19], v[18:19]
	s_delay_alu instid0(VALU_DEP_1) | instskip(SKIP_1) | instid1(VALU_DEP_2)
	v_fmamk_f64 v[20:21], v[18:19], 0xc1f00000, v[12:13]
	v_cvt_i32_f64_e32 v13, v[18:19]
	v_cvt_u32_f64_e32 v12, v[20:21]
	s_branch .LBB63_1486
.LBB63_1484:
	s_mov_b32 s8, -1
                                        ; implicit-def: $vgpr12_vgpr13
	s_branch .LBB63_1489
.LBB63_1485:
	s_mov_b32 s8, -1
                                        ; implicit-def: $vgpr12_vgpr13
.LBB63_1486:
	s_delay_alu instid0(SALU_CYCLE_1)
	s_and_not1_b32 vcc_lo, exec_lo, s8
	s_cbranch_vccnz .LBB63_1488
; %bb.1487:
	global_load_b32 v1, v[16:17], off
	s_wait_loadcnt 0x0
	v_trunc_f32_e32 v1, v1
	s_delay_alu instid0(VALU_DEP_1) | instskip(SKIP_1) | instid1(VALU_DEP_2)
	v_mul_f32_e64 v3, 0x2f800000, |v1|
	v_ashrrev_i32_e32 v12, 31, v1
	v_floor_f32_e32 v3, v3
	s_delay_alu instid0(VALU_DEP_1) | instskip(SKIP_1) | instid1(VALU_DEP_4)
	v_fma_f32 v5, 0xcf800000, v3, |v1|
	v_cvt_u32_f32_e32 v1, v3
	v_mov_b32_e32 v13, v12
	s_delay_alu instid0(VALU_DEP_3) | instskip(NEXT) | instid1(VALU_DEP_3)
	v_cvt_u32_f32_e32 v3, v5
	v_xor_b32_e32 v19, v1, v12
	s_delay_alu instid0(VALU_DEP_2) | instskip(NEXT) | instid1(VALU_DEP_1)
	v_xor_b32_e32 v18, v3, v12
	v_sub_nc_u64_e32 v[12:13], v[18:19], v[12:13]
.LBB63_1488:
	s_mov_b32 s8, 0
.LBB63_1489:
	s_delay_alu instid0(SALU_CYCLE_1)
	s_and_not1_b32 vcc_lo, exec_lo, s8
	s_cbranch_vccnz .LBB63_1491
; %bb.1490:
	global_load_u16 v1, v[16:17], off
	s_wait_loadcnt 0x0
	v_cvt_f32_f16_e32 v1, v1
	s_delay_alu instid0(VALU_DEP_1) | instskip(NEXT) | instid1(VALU_DEP_1)
	v_cvt_i32_f32_e32 v12, v1
	v_ashrrev_i32_e32 v13, 31, v12
.LBB63_1491:
	s_mov_b32 s8, 0
.LBB63_1492:
	s_delay_alu instid0(SALU_CYCLE_1)
	s_and_not1_b32 vcc_lo, exec_lo, s8
	s_cbranch_vccnz .LBB63_1512
; %bb.1493:
	s_cmp_lt_i32 s0, 2
	s_cbranch_scc1 .LBB63_1497
; %bb.1494:
	s_cmp_lt_i32 s0, 3
	s_cbranch_scc1 .LBB63_1498
; %bb.1495:
	s_cmp_gt_i32 s0, 3
	s_cbranch_scc0 .LBB63_1499
; %bb.1496:
	s_wait_loadcnt 0x0
	global_load_b64 v[12:13], v[16:17], off
	s_mov_b32 s8, 0
	s_branch .LBB63_1500
.LBB63_1497:
	s_mov_b32 s8, -1
                                        ; implicit-def: $vgpr12_vgpr13
	s_branch .LBB63_1506
.LBB63_1498:
	s_mov_b32 s8, -1
                                        ; implicit-def: $vgpr12_vgpr13
	s_branch .LBB63_1503
.LBB63_1499:
	s_mov_b32 s8, -1
                                        ; implicit-def: $vgpr12_vgpr13
.LBB63_1500:
	s_delay_alu instid0(SALU_CYCLE_1)
	s_and_not1_b32 vcc_lo, exec_lo, s8
	s_cbranch_vccnz .LBB63_1502
; %bb.1501:
	s_wait_loadcnt 0x0
	global_load_b32 v12, v[16:17], off
	s_wait_loadcnt 0x0
	v_ashrrev_i32_e32 v13, 31, v12
.LBB63_1502:
	s_mov_b32 s8, 0
.LBB63_1503:
	s_delay_alu instid0(SALU_CYCLE_1)
	s_and_not1_b32 vcc_lo, exec_lo, s8
	s_cbranch_vccnz .LBB63_1505
; %bb.1504:
	global_load_u16 v1, v[16:17], off
	s_wait_loadcnt 0x0
	v_bfe_i32 v12, v1, 0, 16
	s_delay_alu instid0(VALU_DEP_1)
	v_ashrrev_i32_e32 v13, 31, v12
.LBB63_1505:
	s_mov_b32 s8, 0
.LBB63_1506:
	s_delay_alu instid0(SALU_CYCLE_1)
	s_and_not1_b32 vcc_lo, exec_lo, s8
	s_cbranch_vccnz .LBB63_1512
; %bb.1507:
	s_cmp_gt_i32 s0, 0
	s_mov_b32 s8, 0
	s_cbranch_scc0 .LBB63_1509
; %bb.1508:
	global_load_i8 v1, v[16:17], off
	s_wait_loadcnt 0x0
	v_bfe_i32 v12, v1, 0, 16
	s_delay_alu instid0(VALU_DEP_1)
	v_ashrrev_i32_e32 v13, 31, v12
	s_branch .LBB63_1510
.LBB63_1509:
	s_mov_b32 s8, -1
                                        ; implicit-def: $vgpr12_vgpr13
.LBB63_1510:
	s_delay_alu instid0(SALU_CYCLE_1)
	s_and_not1_b32 vcc_lo, exec_lo, s8
	s_cbranch_vccnz .LBB63_1512
; %bb.1511:
	global_load_u8 v1, v[16:17], off
	s_mov_b32 s8, 0
	s_wait_loadcnt 0x1
	v_mov_b32_e32 v13, s8
	s_wait_loadcnt 0x0
	v_and_b32_e32 v12, 0xffff, v1
.LBB63_1512:
.LBB63_1513:
	v_mov_b32_e32 v15, 0
	s_cmp_lt_i32 s0, 11
	s_wait_xcnt 0x0
	s_delay_alu instid0(VALU_DEP_1)
	v_add_nc_u64_e32 v[16:17], s[6:7], v[14:15]
	s_cbranch_scc1 .LBB63_1520
; %bb.1514:
	s_cmp_gt_i32 s0, 25
	s_mov_b32 s7, 0
	s_cbranch_scc0 .LBB63_1521
; %bb.1515:
	s_cmp_gt_i32 s0, 28
	s_cbranch_scc0 .LBB63_1522
; %bb.1516:
	s_cmp_gt_i32 s0, 43
	;; [unrolled: 3-line block ×3, first 2 shown]
	s_cbranch_scc0 .LBB63_1525
; %bb.1518:
	s_cmp_eq_u32 s0, 46
	s_mov_b32 s9, 0
	s_cbranch_scc0 .LBB63_1526
; %bb.1519:
	global_load_b32 v1, v[16:17], off
	s_mov_b32 s6, 0
	s_mov_b32 s8, -1
	s_wait_loadcnt 0x0
	v_lshlrev_b32_e32 v1, 16, v1
	s_delay_alu instid0(VALU_DEP_1) | instskip(NEXT) | instid1(VALU_DEP_1)
	v_trunc_f32_e32 v1, v1
	v_mul_f32_e64 v3, 0x2f800000, |v1|
	v_ashrrev_i32_e32 v14, 31, v1
	s_delay_alu instid0(VALU_DEP_2) | instskip(NEXT) | instid1(VALU_DEP_2)
	v_floor_f32_e32 v3, v3
	v_mov_b32_e32 v15, v14
	s_delay_alu instid0(VALU_DEP_2) | instskip(SKIP_1) | instid1(VALU_DEP_2)
	v_fma_f32 v5, 0xcf800000, v3, |v1|
	v_cvt_u32_f32_e32 v1, v3
	v_cvt_u32_f32_e32 v3, v5
	s_delay_alu instid0(VALU_DEP_2) | instskip(NEXT) | instid1(VALU_DEP_2)
	v_xor_b32_e32 v19, v1, v14
	v_xor_b32_e32 v18, v3, v14
	s_delay_alu instid0(VALU_DEP_1)
	v_sub_nc_u64_e32 v[14:15], v[18:19], v[14:15]
	s_branch .LBB63_1528
.LBB63_1520:
	s_mov_b32 s6, -1
	s_mov_b32 s8, 0
                                        ; implicit-def: $vgpr14_vgpr15
	s_branch .LBB63_1590
.LBB63_1521:
	s_mov_b32 s9, -1
	s_mov_b32 s8, 0
	s_mov_b32 s6, 0
                                        ; implicit-def: $vgpr14_vgpr15
	s_branch .LBB63_1555
.LBB63_1522:
	s_mov_b32 s9, -1
	s_mov_b32 s8, 0
	s_mov_b32 s6, 0
                                        ; implicit-def: $vgpr14_vgpr15
	s_branch .LBB63_1538
.LBB63_1523:
	s_mov_b32 s9, -1
	s_mov_b32 s8, 0
	s_mov_b32 s6, 0
                                        ; implicit-def: $vgpr14_vgpr15
	s_branch .LBB63_1533
.LBB63_1524:
	s_or_b32 s1, s1, exec_lo
	s_trap 2
	s_cbranch_execz .LBB63_1463
	s_branch .LBB63_1464
.LBB63_1525:
	s_mov_b32 s9, -1
	s_mov_b32 s8, 0
	s_mov_b32 s6, 0
	s_branch .LBB63_1527
.LBB63_1526:
	s_mov_b32 s6, -1
	s_mov_b32 s8, 0
.LBB63_1527:
                                        ; implicit-def: $vgpr14_vgpr15
.LBB63_1528:
	s_and_b32 vcc_lo, exec_lo, s9
	s_cbranch_vccz .LBB63_1532
; %bb.1529:
	s_cmp_eq_u32 s0, 44
	s_cbranch_scc0 .LBB63_1531
; %bb.1530:
	global_load_u8 v1, v[16:17], off
	s_mov_b32 s6, 0
	s_mov_b32 s8, -1
	s_wait_loadcnt 0x0
	v_lshlrev_b32_e32 v3, 23, v1
	v_cmp_ne_u32_e32 vcc_lo, 0, v1
	s_delay_alu instid0(VALU_DEP_2) | instskip(NEXT) | instid1(VALU_DEP_1)
	v_trunc_f32_e32 v3, v3
	v_mul_f32_e64 v5, 0x2f800000, |v3|
	v_ashrrev_i32_e32 v14, 31, v3
	s_delay_alu instid0(VALU_DEP_2) | instskip(NEXT) | instid1(VALU_DEP_2)
	v_floor_f32_e32 v5, v5
	v_mov_b32_e32 v15, v14
	s_delay_alu instid0(VALU_DEP_2) | instskip(SKIP_1) | instid1(VALU_DEP_2)
	v_fma_f32 v7, 0xcf800000, v5, |v3|
	v_cvt_u32_f32_e32 v3, v5
	v_cvt_u32_f32_e32 v5, v7
	s_delay_alu instid0(VALU_DEP_2) | instskip(NEXT) | instid1(VALU_DEP_2)
	v_xor_b32_e32 v19, v3, v14
	v_xor_b32_e32 v18, v5, v14
	s_delay_alu instid0(VALU_DEP_1) | instskip(NEXT) | instid1(VALU_DEP_1)
	v_sub_nc_u64_e32 v[14:15], v[18:19], v[14:15]
	v_dual_cndmask_b32 v15, 0, v15 :: v_dual_cndmask_b32 v14, 0, v14
	s_branch .LBB63_1532
.LBB63_1531:
	s_mov_b32 s6, -1
                                        ; implicit-def: $vgpr14_vgpr15
.LBB63_1532:
	s_mov_b32 s9, 0
.LBB63_1533:
	s_delay_alu instid0(SALU_CYCLE_1)
	s_and_b32 vcc_lo, exec_lo, s9
	s_cbranch_vccz .LBB63_1537
; %bb.1534:
	s_cmp_eq_u32 s0, 29
	s_cbranch_scc0 .LBB63_1536
; %bb.1535:
	global_load_b64 v[14:15], v[16:17], off
	s_mov_b32 s6, 0
	s_mov_b32 s8, -1
	s_branch .LBB63_1537
.LBB63_1536:
	s_mov_b32 s6, -1
                                        ; implicit-def: $vgpr14_vgpr15
.LBB63_1537:
	s_mov_b32 s9, 0
.LBB63_1538:
	s_delay_alu instid0(SALU_CYCLE_1)
	s_and_b32 vcc_lo, exec_lo, s9
	s_cbranch_vccz .LBB63_1554
; %bb.1539:
	s_cmp_lt_i32 s0, 27
	s_cbranch_scc1 .LBB63_1542
; %bb.1540:
	s_cmp_gt_i32 s0, 27
	s_cbranch_scc0 .LBB63_1543
; %bb.1541:
	s_wait_loadcnt 0x0
	global_load_b32 v14, v[16:17], off
	v_mov_b32_e32 v15, 0
	s_mov_b32 s8, 0
	s_branch .LBB63_1544
.LBB63_1542:
	s_mov_b32 s8, -1
                                        ; implicit-def: $vgpr14_vgpr15
	s_branch .LBB63_1547
.LBB63_1543:
	s_mov_b32 s8, -1
                                        ; implicit-def: $vgpr14_vgpr15
.LBB63_1544:
	s_delay_alu instid0(SALU_CYCLE_1)
	s_and_not1_b32 vcc_lo, exec_lo, s8
	s_cbranch_vccnz .LBB63_1546
; %bb.1545:
	global_load_u16 v1, v[16:17], off
	s_mov_b32 s8, 0
	s_wait_loadcnt 0x1
	v_mov_b32_e32 v15, s8
	s_wait_loadcnt 0x0
	v_and_b32_e32 v14, 0xffff, v1
.LBB63_1546:
	s_mov_b32 s8, 0
.LBB63_1547:
	s_delay_alu instid0(SALU_CYCLE_1)
	s_and_not1_b32 vcc_lo, exec_lo, s8
	s_cbranch_vccnz .LBB63_1553
; %bb.1548:
	global_load_u8 v1, v[16:17], off
	s_mov_b32 s9, 0
	s_mov_b32 s8, exec_lo
	s_wait_loadcnt 0x0
	v_cmpx_lt_i16_e32 0x7f, v1
	s_xor_b32 s8, exec_lo, s8
	s_cbranch_execz .LBB63_1565
; %bb.1549:
	v_cmp_ne_u16_e32 vcc_lo, 0x80, v1
	s_and_b32 s9, vcc_lo, exec_lo
	s_and_not1_saveexec_b32 s8, s8
	s_cbranch_execnz .LBB63_1566
.LBB63_1550:
	s_or_b32 exec_lo, exec_lo, s8
	v_mov_b64_e32 v[14:15], 0
	s_and_saveexec_b32 s8, s9
	s_cbranch_execz .LBB63_1552
.LBB63_1551:
	v_and_b32_e32 v3, 0xffff, v1
	s_delay_alu instid0(VALU_DEP_1) | instskip(SKIP_1) | instid1(VALU_DEP_2)
	v_dual_lshlrev_b32 v1, 24, v1 :: v_dual_bitop2_b32 v5, 7, v3 bitop3:0x40
	v_bfe_u32 v15, v3, 3, 4
	v_and_b32_e32 v1, 0x80000000, v1
	s_delay_alu instid0(VALU_DEP_3) | instskip(NEXT) | instid1(VALU_DEP_3)
	v_clz_i32_u32_e32 v7, v5
	v_cmp_eq_u32_e32 vcc_lo, 0, v15
	s_delay_alu instid0(VALU_DEP_2) | instskip(NEXT) | instid1(VALU_DEP_1)
	v_min_u32_e32 v7, 32, v7
	v_subrev_nc_u32_e32 v14, 28, v7
	v_sub_nc_u32_e32 v7, 29, v7
	s_delay_alu instid0(VALU_DEP_2) | instskip(NEXT) | instid1(VALU_DEP_2)
	v_lshlrev_b32_e32 v3, v14, v3
	v_cndmask_b32_e32 v7, v15, v7, vcc_lo
	s_delay_alu instid0(VALU_DEP_2) | instskip(NEXT) | instid1(VALU_DEP_1)
	v_and_b32_e32 v3, 7, v3
	v_cndmask_b32_e32 v3, v5, v3, vcc_lo
	s_delay_alu instid0(VALU_DEP_3) | instskip(NEXT) | instid1(VALU_DEP_2)
	v_lshl_add_u32 v5, v7, 23, 0x3b800000
	v_lshlrev_b32_e32 v3, 20, v3
	s_delay_alu instid0(VALU_DEP_1) | instskip(NEXT) | instid1(VALU_DEP_1)
	v_or3_b32 v1, v1, v5, v3
	v_trunc_f32_e32 v1, v1
	s_delay_alu instid0(VALU_DEP_1) | instskip(SKIP_1) | instid1(VALU_DEP_2)
	v_mul_f32_e64 v3, 0x2f800000, |v1|
	v_ashrrev_i32_e32 v14, 31, v1
	v_floor_f32_e32 v3, v3
	s_delay_alu instid0(VALU_DEP_2) | instskip(NEXT) | instid1(VALU_DEP_2)
	v_mov_b32_e32 v15, v14
	v_fma_f32 v5, 0xcf800000, v3, |v1|
	v_cvt_u32_f32_e32 v1, v3
	s_delay_alu instid0(VALU_DEP_2) | instskip(NEXT) | instid1(VALU_DEP_2)
	v_cvt_u32_f32_e32 v3, v5
	v_xor_b32_e32 v19, v1, v14
	s_delay_alu instid0(VALU_DEP_2) | instskip(NEXT) | instid1(VALU_DEP_1)
	v_xor_b32_e32 v18, v3, v14
	v_sub_nc_u64_e32 v[14:15], v[18:19], v[14:15]
.LBB63_1552:
	s_or_b32 exec_lo, exec_lo, s8
.LBB63_1553:
	s_mov_b32 s8, -1
.LBB63_1554:
	s_mov_b32 s9, 0
.LBB63_1555:
	s_delay_alu instid0(SALU_CYCLE_1)
	s_and_b32 vcc_lo, exec_lo, s9
	s_cbranch_vccz .LBB63_1586
; %bb.1556:
	s_cmp_gt_i32 s0, 22
	s_cbranch_scc0 .LBB63_1564
; %bb.1557:
	s_cmp_lt_i32 s0, 24
	s_cbranch_scc1 .LBB63_1567
; %bb.1558:
	s_cmp_gt_i32 s0, 24
	s_cbranch_scc0 .LBB63_1568
; %bb.1559:
	global_load_u8 v1, v[16:17], off
	s_mov_b32 s8, 0
	s_mov_b32 s7, exec_lo
	s_wait_loadcnt 0x0
	v_cmpx_lt_i16_e32 0x7f, v1
	s_xor_b32 s7, exec_lo, s7
	s_cbranch_execz .LBB63_1580
; %bb.1560:
	v_cmp_ne_u16_e32 vcc_lo, 0x80, v1
	s_and_b32 s8, vcc_lo, exec_lo
	s_and_not1_saveexec_b32 s7, s7
	s_cbranch_execnz .LBB63_1581
.LBB63_1561:
	s_or_b32 exec_lo, exec_lo, s7
	v_mov_b64_e32 v[14:15], 0
	s_and_saveexec_b32 s7, s8
	s_cbranch_execz .LBB63_1563
.LBB63_1562:
	v_and_b32_e32 v3, 0xffff, v1
	s_delay_alu instid0(VALU_DEP_1) | instskip(SKIP_1) | instid1(VALU_DEP_2)
	v_dual_lshlrev_b32 v1, 24, v1 :: v_dual_bitop2_b32 v5, 3, v3 bitop3:0x40
	v_bfe_u32 v15, v3, 2, 5
	v_and_b32_e32 v1, 0x80000000, v1
	s_delay_alu instid0(VALU_DEP_3) | instskip(NEXT) | instid1(VALU_DEP_3)
	v_clz_i32_u32_e32 v7, v5
	v_cmp_eq_u32_e32 vcc_lo, 0, v15
	s_delay_alu instid0(VALU_DEP_2) | instskip(NEXT) | instid1(VALU_DEP_1)
	v_min_u32_e32 v7, 32, v7
	v_subrev_nc_u32_e32 v14, 29, v7
	v_sub_nc_u32_e32 v7, 30, v7
	s_delay_alu instid0(VALU_DEP_2) | instskip(NEXT) | instid1(VALU_DEP_2)
	v_lshlrev_b32_e32 v3, v14, v3
	v_cndmask_b32_e32 v7, v15, v7, vcc_lo
	s_delay_alu instid0(VALU_DEP_2) | instskip(NEXT) | instid1(VALU_DEP_1)
	v_and_b32_e32 v3, 3, v3
	v_cndmask_b32_e32 v3, v5, v3, vcc_lo
	s_delay_alu instid0(VALU_DEP_3) | instskip(NEXT) | instid1(VALU_DEP_2)
	v_lshl_add_u32 v5, v7, 23, 0x37800000
	v_lshlrev_b32_e32 v3, 21, v3
	s_delay_alu instid0(VALU_DEP_1) | instskip(NEXT) | instid1(VALU_DEP_1)
	v_or3_b32 v1, v1, v5, v3
	v_trunc_f32_e32 v1, v1
	s_delay_alu instid0(VALU_DEP_1) | instskip(SKIP_1) | instid1(VALU_DEP_2)
	v_mul_f32_e64 v3, 0x2f800000, |v1|
	v_ashrrev_i32_e32 v14, 31, v1
	v_floor_f32_e32 v3, v3
	s_delay_alu instid0(VALU_DEP_2) | instskip(NEXT) | instid1(VALU_DEP_2)
	v_mov_b32_e32 v15, v14
	v_fma_f32 v5, 0xcf800000, v3, |v1|
	v_cvt_u32_f32_e32 v1, v3
	s_delay_alu instid0(VALU_DEP_2) | instskip(NEXT) | instid1(VALU_DEP_2)
	v_cvt_u32_f32_e32 v3, v5
	v_xor_b32_e32 v19, v1, v14
	s_delay_alu instid0(VALU_DEP_2) | instskip(NEXT) | instid1(VALU_DEP_1)
	v_xor_b32_e32 v18, v3, v14
	v_sub_nc_u64_e32 v[14:15], v[18:19], v[14:15]
.LBB63_1563:
	s_or_b32 exec_lo, exec_lo, s7
	s_mov_b32 s7, 0
	s_branch .LBB63_1569
.LBB63_1564:
	s_mov_b32 s7, -1
                                        ; implicit-def: $vgpr14_vgpr15
	s_branch .LBB63_1575
.LBB63_1565:
	s_and_not1_saveexec_b32 s8, s8
	s_cbranch_execz .LBB63_1550
.LBB63_1566:
	v_cmp_ne_u16_e32 vcc_lo, 0, v1
	s_and_not1_b32 s9, s9, exec_lo
	s_and_b32 s10, vcc_lo, exec_lo
	s_delay_alu instid0(SALU_CYCLE_1)
	s_or_b32 s9, s9, s10
	s_or_b32 exec_lo, exec_lo, s8
	v_mov_b64_e32 v[14:15], 0
	s_and_saveexec_b32 s8, s9
	s_cbranch_execnz .LBB63_1551
	s_branch .LBB63_1552
.LBB63_1567:
	s_mov_b32 s7, -1
                                        ; implicit-def: $vgpr14_vgpr15
	s_branch .LBB63_1572
.LBB63_1568:
	s_mov_b32 s7, -1
                                        ; implicit-def: $vgpr14_vgpr15
.LBB63_1569:
	s_delay_alu instid0(SALU_CYCLE_1)
	s_and_b32 vcc_lo, exec_lo, s7
	s_cbranch_vccz .LBB63_1571
; %bb.1570:
	global_load_u8 v1, v[16:17], off
	s_wait_loadcnt 0x0
	v_lshlrev_b32_e32 v1, 24, v1
	s_delay_alu instid0(VALU_DEP_1) | instskip(NEXT) | instid1(VALU_DEP_1)
	v_and_b32_e32 v3, 0x7f000000, v1
	v_clz_i32_u32_e32 v5, v3
	v_cmp_ne_u32_e32 vcc_lo, 0, v3
	v_add_nc_u32_e32 v14, 0x1000000, v3
	s_delay_alu instid0(VALU_DEP_3) | instskip(NEXT) | instid1(VALU_DEP_1)
	v_min_u32_e32 v5, 32, v5
	v_sub_nc_u32_e64 v5, v5, 4 clamp
	s_delay_alu instid0(VALU_DEP_1) | instskip(NEXT) | instid1(VALU_DEP_1)
	v_dual_lshlrev_b32 v7, v5, v3 :: v_dual_lshlrev_b32 v5, 23, v5
	v_lshrrev_b32_e32 v7, 4, v7
	s_delay_alu instid0(VALU_DEP_1) | instskip(NEXT) | instid1(VALU_DEP_1)
	v_dual_sub_nc_u32 v5, v7, v5 :: v_dual_ashrrev_i32 v7, 8, v14
	v_add_nc_u32_e32 v5, 0x3c000000, v5
	s_delay_alu instid0(VALU_DEP_1) | instskip(NEXT) | instid1(VALU_DEP_1)
	v_and_or_b32 v5, 0x7f800000, v7, v5
	v_cndmask_b32_e32 v3, 0, v5, vcc_lo
	s_delay_alu instid0(VALU_DEP_1) | instskip(NEXT) | instid1(VALU_DEP_1)
	v_and_or_b32 v1, 0x80000000, v1, v3
	v_trunc_f32_e32 v1, v1
	s_delay_alu instid0(VALU_DEP_1) | instskip(SKIP_1) | instid1(VALU_DEP_2)
	v_mul_f32_e64 v3, 0x2f800000, |v1|
	v_ashrrev_i32_e32 v14, 31, v1
	v_floor_f32_e32 v3, v3
	s_delay_alu instid0(VALU_DEP_1) | instskip(SKIP_1) | instid1(VALU_DEP_4)
	v_fma_f32 v5, 0xcf800000, v3, |v1|
	v_cvt_u32_f32_e32 v1, v3
	v_mov_b32_e32 v15, v14
	s_delay_alu instid0(VALU_DEP_3) | instskip(NEXT) | instid1(VALU_DEP_3)
	v_cvt_u32_f32_e32 v3, v5
	v_xor_b32_e32 v19, v1, v14
	s_delay_alu instid0(VALU_DEP_2) | instskip(NEXT) | instid1(VALU_DEP_1)
	v_xor_b32_e32 v18, v3, v14
	v_sub_nc_u64_e32 v[14:15], v[18:19], v[14:15]
.LBB63_1571:
	s_mov_b32 s7, 0
.LBB63_1572:
	s_delay_alu instid0(SALU_CYCLE_1)
	s_and_not1_b32 vcc_lo, exec_lo, s7
	s_cbranch_vccnz .LBB63_1574
; %bb.1573:
	global_load_u8 v1, v[16:17], off
	s_wait_loadcnt 0x0
	v_lshlrev_b32_e32 v3, 25, v1
	v_lshlrev_b16 v1, 8, v1
	s_delay_alu instid0(VALU_DEP_1) | instskip(SKIP_1) | instid1(VALU_DEP_2)
	v_and_or_b32 v7, 0x7f00, v1, 0.5
	v_bfe_i32 v1, v1, 0, 16
	v_add_f32_e32 v7, -0.5, v7
	v_lshrrev_b32_e32 v5, 4, v3
	v_cmp_gt_u32_e32 vcc_lo, 0x8000000, v3
	s_delay_alu instid0(VALU_DEP_2) | instskip(NEXT) | instid1(VALU_DEP_1)
	v_or_b32_e32 v5, 0x70000000, v5
	v_mul_f32_e32 v5, 0x7800000, v5
	s_delay_alu instid0(VALU_DEP_1) | instskip(NEXT) | instid1(VALU_DEP_1)
	v_cndmask_b32_e32 v3, v5, v7, vcc_lo
	v_and_or_b32 v1, 0x80000000, v1, v3
	s_delay_alu instid0(VALU_DEP_1) | instskip(NEXT) | instid1(VALU_DEP_1)
	v_trunc_f32_e32 v1, v1
	v_mul_f32_e64 v3, 0x2f800000, |v1|
	v_ashrrev_i32_e32 v14, 31, v1
	s_delay_alu instid0(VALU_DEP_2) | instskip(NEXT) | instid1(VALU_DEP_2)
	v_floor_f32_e32 v3, v3
	v_mov_b32_e32 v15, v14
	s_delay_alu instid0(VALU_DEP_2) | instskip(SKIP_1) | instid1(VALU_DEP_2)
	v_fma_f32 v5, 0xcf800000, v3, |v1|
	v_cvt_u32_f32_e32 v1, v3
	v_cvt_u32_f32_e32 v3, v5
	s_delay_alu instid0(VALU_DEP_2) | instskip(NEXT) | instid1(VALU_DEP_2)
	v_xor_b32_e32 v19, v1, v14
	v_xor_b32_e32 v18, v3, v14
	s_delay_alu instid0(VALU_DEP_1)
	v_sub_nc_u64_e32 v[14:15], v[18:19], v[14:15]
.LBB63_1574:
	s_mov_b32 s7, 0
	s_mov_b32 s8, -1
.LBB63_1575:
	s_and_not1_b32 vcc_lo, exec_lo, s7
	s_mov_b32 s7, 0
	s_cbranch_vccnz .LBB63_1586
; %bb.1576:
	s_cmp_gt_i32 s0, 14
	s_cbranch_scc0 .LBB63_1579
; %bb.1577:
	s_cmp_eq_u32 s0, 15
	s_cbranch_scc0 .LBB63_1582
; %bb.1578:
	global_load_u16 v1, v[16:17], off
	s_mov_b32 s6, 0
	s_mov_b32 s8, -1
	s_wait_loadcnt 0x0
	v_lshlrev_b32_e32 v1, 16, v1
	s_delay_alu instid0(VALU_DEP_1) | instskip(NEXT) | instid1(VALU_DEP_1)
	v_trunc_f32_e32 v1, v1
	v_mul_f32_e64 v3, 0x2f800000, |v1|
	v_ashrrev_i32_e32 v14, 31, v1
	s_delay_alu instid0(VALU_DEP_2) | instskip(NEXT) | instid1(VALU_DEP_2)
	v_floor_f32_e32 v3, v3
	v_mov_b32_e32 v15, v14
	s_delay_alu instid0(VALU_DEP_2) | instskip(SKIP_1) | instid1(VALU_DEP_2)
	v_fma_f32 v5, 0xcf800000, v3, |v1|
	v_cvt_u32_f32_e32 v1, v3
	v_cvt_u32_f32_e32 v3, v5
	s_delay_alu instid0(VALU_DEP_2) | instskip(NEXT) | instid1(VALU_DEP_2)
	v_xor_b32_e32 v19, v1, v14
	v_xor_b32_e32 v18, v3, v14
	s_delay_alu instid0(VALU_DEP_1)
	v_sub_nc_u64_e32 v[14:15], v[18:19], v[14:15]
	s_branch .LBB63_1584
.LBB63_1579:
	s_mov_b32 s7, -1
	s_branch .LBB63_1583
.LBB63_1580:
	s_and_not1_saveexec_b32 s7, s7
	s_cbranch_execz .LBB63_1561
.LBB63_1581:
	v_cmp_ne_u16_e32 vcc_lo, 0, v1
	s_and_not1_b32 s8, s8, exec_lo
	s_and_b32 s9, vcc_lo, exec_lo
	s_delay_alu instid0(SALU_CYCLE_1)
	s_or_b32 s8, s8, s9
	s_or_b32 exec_lo, exec_lo, s7
	v_mov_b64_e32 v[14:15], 0
	s_and_saveexec_b32 s7, s8
	s_cbranch_execnz .LBB63_1562
	s_branch .LBB63_1563
.LBB63_1582:
	s_mov_b32 s6, -1
.LBB63_1583:
                                        ; implicit-def: $vgpr14_vgpr15
.LBB63_1584:
	s_and_b32 vcc_lo, exec_lo, s7
	s_mov_b32 s7, 0
	s_cbranch_vccz .LBB63_1586
; %bb.1585:
	s_cmp_lg_u32 s0, 11
	s_mov_b32 s7, -1
	s_cselect_b32 s6, -1, 0
.LBB63_1586:
	s_delay_alu instid0(SALU_CYCLE_1)
	s_and_b32 vcc_lo, exec_lo, s6
	s_cbranch_vccnz .LBB63_2118
; %bb.1587:
	s_and_not1_b32 vcc_lo, exec_lo, s7
	s_cbranch_vccnz .LBB63_1589
.LBB63_1588:
	global_load_u8 v1, v[16:17], off
	s_mov_b32 s6, 0
	s_mov_b32 s8, -1
	s_wait_loadcnt 0x1
	v_mov_b32_e32 v15, s6
	s_wait_loadcnt 0x0
	v_cmp_ne_u16_e32 vcc_lo, 0, v1
	v_cndmask_b32_e64 v14, 0, 1, vcc_lo
.LBB63_1589:
	s_mov_b32 s6, 0
.LBB63_1590:
	s_delay_alu instid0(SALU_CYCLE_1)
	s_and_b32 vcc_lo, exec_lo, s6
	s_cbranch_vccz .LBB63_1639
; %bb.1591:
	s_cmp_lt_i32 s0, 5
	s_cbranch_scc1 .LBB63_1596
; %bb.1592:
	s_cmp_lt_i32 s0, 8
	s_cbranch_scc1 .LBB63_1597
	;; [unrolled: 3-line block ×3, first 2 shown]
; %bb.1594:
	s_cmp_gt_i32 s0, 9
	s_cbranch_scc0 .LBB63_1599
; %bb.1595:
	s_wait_loadcnt 0x0
	global_load_b64 v[14:15], v[16:17], off
	s_mov_b32 s6, 0
	s_wait_loadcnt 0x0
	v_trunc_f64_e32 v[14:15], v[14:15]
	s_delay_alu instid0(VALU_DEP_1) | instskip(NEXT) | instid1(VALU_DEP_1)
	v_ldexp_f64 v[18:19], v[14:15], 0xffffffe0
	v_floor_f64_e32 v[18:19], v[18:19]
	s_delay_alu instid0(VALU_DEP_1) | instskip(SKIP_1) | instid1(VALU_DEP_2)
	v_fmamk_f64 v[20:21], v[18:19], 0xc1f00000, v[14:15]
	v_cvt_i32_f64_e32 v15, v[18:19]
	v_cvt_u32_f64_e32 v14, v[20:21]
	s_branch .LBB63_1600
.LBB63_1596:
	s_mov_b32 s6, -1
                                        ; implicit-def: $vgpr14_vgpr15
	s_branch .LBB63_1618
.LBB63_1597:
	s_mov_b32 s6, -1
                                        ; implicit-def: $vgpr14_vgpr15
	s_branch .LBB63_1606
.LBB63_1598:
	s_mov_b32 s6, -1
                                        ; implicit-def: $vgpr14_vgpr15
	s_branch .LBB63_1603
.LBB63_1599:
	s_mov_b32 s6, -1
                                        ; implicit-def: $vgpr14_vgpr15
.LBB63_1600:
	s_delay_alu instid0(SALU_CYCLE_1)
	s_and_not1_b32 vcc_lo, exec_lo, s6
	s_cbranch_vccnz .LBB63_1602
; %bb.1601:
	global_load_b32 v1, v[16:17], off
	s_wait_loadcnt 0x0
	v_trunc_f32_e32 v1, v1
	s_delay_alu instid0(VALU_DEP_1) | instskip(SKIP_1) | instid1(VALU_DEP_2)
	v_mul_f32_e64 v3, 0x2f800000, |v1|
	v_ashrrev_i32_e32 v14, 31, v1
	v_floor_f32_e32 v3, v3
	s_delay_alu instid0(VALU_DEP_1) | instskip(SKIP_1) | instid1(VALU_DEP_4)
	v_fma_f32 v5, 0xcf800000, v3, |v1|
	v_cvt_u32_f32_e32 v1, v3
	v_mov_b32_e32 v15, v14
	s_delay_alu instid0(VALU_DEP_3) | instskip(NEXT) | instid1(VALU_DEP_3)
	v_cvt_u32_f32_e32 v3, v5
	v_xor_b32_e32 v19, v1, v14
	s_delay_alu instid0(VALU_DEP_2) | instskip(NEXT) | instid1(VALU_DEP_1)
	v_xor_b32_e32 v18, v3, v14
	v_sub_nc_u64_e32 v[14:15], v[18:19], v[14:15]
.LBB63_1602:
	s_mov_b32 s6, 0
.LBB63_1603:
	s_delay_alu instid0(SALU_CYCLE_1)
	s_and_not1_b32 vcc_lo, exec_lo, s6
	s_cbranch_vccnz .LBB63_1605
; %bb.1604:
	global_load_b32 v1, v[16:17], off
	s_wait_loadcnt 0x0
	v_cvt_f32_f16_e32 v1, v1
	s_delay_alu instid0(VALU_DEP_1) | instskip(NEXT) | instid1(VALU_DEP_1)
	v_cvt_i32_f32_e32 v14, v1
	v_ashrrev_i32_e32 v15, 31, v14
.LBB63_1605:
	s_mov_b32 s6, 0
.LBB63_1606:
	s_delay_alu instid0(SALU_CYCLE_1)
	s_and_not1_b32 vcc_lo, exec_lo, s6
	s_cbranch_vccnz .LBB63_1617
; %bb.1607:
	s_cmp_lt_i32 s0, 6
	s_cbranch_scc1 .LBB63_1610
; %bb.1608:
	s_cmp_gt_i32 s0, 6
	s_cbranch_scc0 .LBB63_1611
; %bb.1609:
	s_wait_loadcnt 0x0
	global_load_b64 v[14:15], v[16:17], off
	s_mov_b32 s6, 0
	s_wait_loadcnt 0x0
	v_trunc_f64_e32 v[14:15], v[14:15]
	s_delay_alu instid0(VALU_DEP_1) | instskip(NEXT) | instid1(VALU_DEP_1)
	v_ldexp_f64 v[18:19], v[14:15], 0xffffffe0
	v_floor_f64_e32 v[18:19], v[18:19]
	s_delay_alu instid0(VALU_DEP_1) | instskip(SKIP_1) | instid1(VALU_DEP_2)
	v_fmamk_f64 v[20:21], v[18:19], 0xc1f00000, v[14:15]
	v_cvt_i32_f64_e32 v15, v[18:19]
	v_cvt_u32_f64_e32 v14, v[20:21]
	s_branch .LBB63_1612
.LBB63_1610:
	s_mov_b32 s6, -1
                                        ; implicit-def: $vgpr14_vgpr15
	s_branch .LBB63_1615
.LBB63_1611:
	s_mov_b32 s6, -1
                                        ; implicit-def: $vgpr14_vgpr15
.LBB63_1612:
	s_delay_alu instid0(SALU_CYCLE_1)
	s_and_not1_b32 vcc_lo, exec_lo, s6
	s_cbranch_vccnz .LBB63_1614
; %bb.1613:
	global_load_b32 v1, v[16:17], off
	s_wait_loadcnt 0x0
	v_trunc_f32_e32 v1, v1
	s_delay_alu instid0(VALU_DEP_1) | instskip(SKIP_1) | instid1(VALU_DEP_2)
	v_mul_f32_e64 v3, 0x2f800000, |v1|
	v_ashrrev_i32_e32 v14, 31, v1
	v_floor_f32_e32 v3, v3
	s_delay_alu instid0(VALU_DEP_1) | instskip(SKIP_1) | instid1(VALU_DEP_4)
	v_fma_f32 v5, 0xcf800000, v3, |v1|
	v_cvt_u32_f32_e32 v1, v3
	v_mov_b32_e32 v15, v14
	s_delay_alu instid0(VALU_DEP_3) | instskip(NEXT) | instid1(VALU_DEP_3)
	v_cvt_u32_f32_e32 v3, v5
	v_xor_b32_e32 v19, v1, v14
	s_delay_alu instid0(VALU_DEP_2) | instskip(NEXT) | instid1(VALU_DEP_1)
	v_xor_b32_e32 v18, v3, v14
	v_sub_nc_u64_e32 v[14:15], v[18:19], v[14:15]
.LBB63_1614:
	s_mov_b32 s6, 0
.LBB63_1615:
	s_delay_alu instid0(SALU_CYCLE_1)
	s_and_not1_b32 vcc_lo, exec_lo, s6
	s_cbranch_vccnz .LBB63_1617
; %bb.1616:
	global_load_u16 v1, v[16:17], off
	s_wait_loadcnt 0x0
	v_cvt_f32_f16_e32 v1, v1
	s_delay_alu instid0(VALU_DEP_1) | instskip(NEXT) | instid1(VALU_DEP_1)
	v_cvt_i32_f32_e32 v14, v1
	v_ashrrev_i32_e32 v15, 31, v14
.LBB63_1617:
	s_mov_b32 s6, 0
.LBB63_1618:
	s_delay_alu instid0(SALU_CYCLE_1)
	s_and_not1_b32 vcc_lo, exec_lo, s6
	s_cbranch_vccnz .LBB63_1638
; %bb.1619:
	s_cmp_lt_i32 s0, 2
	s_cbranch_scc1 .LBB63_1623
; %bb.1620:
	s_cmp_lt_i32 s0, 3
	s_cbranch_scc1 .LBB63_1624
; %bb.1621:
	s_cmp_gt_i32 s0, 3
	s_cbranch_scc0 .LBB63_1625
; %bb.1622:
	s_wait_loadcnt 0x0
	global_load_b64 v[14:15], v[16:17], off
	s_mov_b32 s6, 0
	s_branch .LBB63_1626
.LBB63_1623:
	s_mov_b32 s6, -1
                                        ; implicit-def: $vgpr14_vgpr15
	s_branch .LBB63_1632
.LBB63_1624:
	s_mov_b32 s6, -1
                                        ; implicit-def: $vgpr14_vgpr15
	s_branch .LBB63_1629
.LBB63_1625:
	s_mov_b32 s6, -1
                                        ; implicit-def: $vgpr14_vgpr15
.LBB63_1626:
	s_delay_alu instid0(SALU_CYCLE_1)
	s_and_not1_b32 vcc_lo, exec_lo, s6
	s_cbranch_vccnz .LBB63_1628
; %bb.1627:
	s_wait_loadcnt 0x0
	global_load_b32 v14, v[16:17], off
	s_wait_loadcnt 0x0
	v_ashrrev_i32_e32 v15, 31, v14
.LBB63_1628:
	s_mov_b32 s6, 0
.LBB63_1629:
	s_delay_alu instid0(SALU_CYCLE_1)
	s_and_not1_b32 vcc_lo, exec_lo, s6
	s_cbranch_vccnz .LBB63_1631
; %bb.1630:
	global_load_u16 v1, v[16:17], off
	s_wait_loadcnt 0x0
	v_bfe_i32 v14, v1, 0, 16
	s_delay_alu instid0(VALU_DEP_1)
	v_ashrrev_i32_e32 v15, 31, v14
.LBB63_1631:
	s_mov_b32 s6, 0
.LBB63_1632:
	s_delay_alu instid0(SALU_CYCLE_1)
	s_and_not1_b32 vcc_lo, exec_lo, s6
	s_cbranch_vccnz .LBB63_1638
; %bb.1633:
	s_cmp_gt_i32 s0, 0
	s_mov_b32 s0, 0
	s_cbranch_scc0 .LBB63_1635
; %bb.1634:
	global_load_i8 v1, v[16:17], off
	s_wait_loadcnt 0x0
	v_bfe_i32 v14, v1, 0, 16
	s_delay_alu instid0(VALU_DEP_1)
	v_ashrrev_i32_e32 v15, 31, v14
	s_branch .LBB63_1636
.LBB63_1635:
	s_mov_b32 s0, -1
                                        ; implicit-def: $vgpr14_vgpr15
.LBB63_1636:
	s_delay_alu instid0(SALU_CYCLE_1)
	s_and_not1_b32 vcc_lo, exec_lo, s0
	s_cbranch_vccnz .LBB63_1638
; %bb.1637:
	global_load_u8 v1, v[16:17], off
	s_mov_b32 s0, 0
	s_wait_loadcnt 0x1
	v_mov_b32_e32 v15, s0
	s_wait_loadcnt 0x0
	v_and_b32_e32 v14, 0xffff, v1
.LBB63_1638:
	s_mov_b32 s8, -1
.LBB63_1639:
	s_delay_alu instid0(SALU_CYCLE_1)
	s_and_not1_b32 vcc_lo, exec_lo, s8
	s_cbranch_vccnz .LBB63_2072
; %bb.1640:
	s_clause 0x1
	s_load_b96 s[8:10], s[2:3], 0x160
	s_load_b32 s0, s[2:3], 0x158
	v_mov_b32_e32 v7, 0
	s_mov_b32 s13, 0
	s_delay_alu instid0(VALU_DEP_1)
	v_add_nc_u64_e32 v[6:7], s[4:5], v[6:7]
	s_wait_loadcnt 0x0
	s_wait_kmcnt 0x0
	v_cmp_ne_u64_e32 vcc_lo, s[8:9], v[8:9]
	s_cmp_eq_u32 s0, 0
	s_mov_b32 s0, -1
	s_cselect_b32 s2, -1, 0
	s_and_b32 s6, s10, 0xff
	s_xor_b32 s3, s2, vcc_lo
	s_cmp_lt_i32 s6, 11
	s_cbranch_scc1 .LBB63_1719
; %bb.1641:
	s_and_b32 s7, 0xffff, s6
	s_mov_b32 s14, -1
	s_mov_b32 s10, 0
	s_cmp_gt_i32 s7, 25
	s_mov_b32 s0, 0
	s_cbranch_scc0 .LBB63_1674
; %bb.1642:
	s_cmp_gt_i32 s7, 28
	s_cbranch_scc0 .LBB63_1657
; %bb.1643:
	s_cmp_gt_i32 s7, 43
	;; [unrolled: 3-line block ×3, first 2 shown]
	s_cbranch_scc0 .LBB63_1647
; %bb.1645:
	s_mov_b32 s0, -1
	s_mov_b32 s14, 0
	s_cmp_eq_u32 s7, 46
	s_cbranch_scc0 .LBB63_1647
; %bb.1646:
	v_cndmask_b32_e64 v1, 0, 1.0, s3
	s_mov_b32 s0, 0
	s_mov_b32 s13, -1
	s_delay_alu instid0(VALU_DEP_1) | instskip(NEXT) | instid1(VALU_DEP_1)
	v_bfe_u32 v3, v1, 16, 1
	v_add3_u32 v1, v1, v3, 0x7fff
	s_delay_alu instid0(VALU_DEP_1)
	v_lshrrev_b32_e32 v1, 16, v1
	global_store_b32 v[6:7], v1, off
.LBB63_1647:
	s_and_b32 vcc_lo, exec_lo, s14
	s_cbranch_vccz .LBB63_1652
; %bb.1648:
	s_cmp_eq_u32 s7, 44
	s_mov_b32 s0, -1
	s_cbranch_scc0 .LBB63_1652
; %bb.1649:
	v_cndmask_b32_e64 v5, 0, 1.0, s3
	v_mov_b32_e32 v3, 0xff
	s_mov_b32 s13, exec_lo
	s_wait_xcnt 0x0
	s_delay_alu instid0(VALU_DEP_2) | instskip(NEXT) | instid1(VALU_DEP_1)
	v_lshrrev_b32_e32 v1, 23, v5
	v_cmpx_ne_u32_e32 0xff, v1
; %bb.1650:
	v_and_b32_e32 v3, 0x400000, v5
	v_and_or_b32 v5, 0x3fffff, v5, v1
	s_delay_alu instid0(VALU_DEP_2) | instskip(NEXT) | instid1(VALU_DEP_2)
	v_cmp_ne_u32_e32 vcc_lo, 0, v3
	v_cmp_ne_u32_e64 s0, 0, v5
	s_and_b32 s0, vcc_lo, s0
	s_delay_alu instid0(SALU_CYCLE_1) | instskip(NEXT) | instid1(VALU_DEP_1)
	v_cndmask_b32_e64 v3, 0, 1, s0
	v_add_nc_u32_e32 v3, v1, v3
; %bb.1651:
	s_or_b32 exec_lo, exec_lo, s13
	s_mov_b32 s0, 0
	s_mov_b32 s13, -1
	global_store_b8 v[6:7], v3, off
.LBB63_1652:
	s_mov_b32 s14, 0
.LBB63_1653:
	s_delay_alu instid0(SALU_CYCLE_1)
	s_and_b32 vcc_lo, exec_lo, s14
	s_cbranch_vccz .LBB63_1656
; %bb.1654:
	s_cmp_eq_u32 s7, 29
	s_mov_b32 s0, -1
	s_cbranch_scc0 .LBB63_1656
; %bb.1655:
	s_mov_b32 s0, 0
	v_cndmask_b32_e64 v8, 0, 1, s3
	v_mov_b32_e32 v9, s0
	s_mov_b32 s13, -1
	global_store_b64 v[6:7], v[8:9], off
.LBB63_1656:
	s_mov_b32 s14, 0
.LBB63_1657:
	s_delay_alu instid0(SALU_CYCLE_1)
	s_and_b32 vcc_lo, exec_lo, s14
	s_cbranch_vccz .LBB63_1673
; %bb.1658:
	s_cmp_lt_i32 s7, 27
	s_mov_b32 s13, -1
	s_cbranch_scc1 .LBB63_1664
; %bb.1659:
	s_cmp_gt_i32 s7, 27
	s_cbranch_scc0 .LBB63_1661
; %bb.1660:
	s_wait_xcnt 0x0
	v_cndmask_b32_e64 v1, 0, 1, s3
	s_mov_b32 s13, 0
	global_store_b32 v[6:7], v1, off
.LBB63_1661:
	s_and_not1_b32 vcc_lo, exec_lo, s13
	s_cbranch_vccnz .LBB63_1663
; %bb.1662:
	s_wait_xcnt 0x0
	v_cndmask_b32_e64 v1, 0, 1, s3
	global_store_b16 v[6:7], v1, off
.LBB63_1663:
	s_mov_b32 s13, 0
.LBB63_1664:
	s_delay_alu instid0(SALU_CYCLE_1)
	s_and_not1_b32 vcc_lo, exec_lo, s13
	s_cbranch_vccnz .LBB63_1672
; %bb.1665:
	s_wait_xcnt 0x0
	v_cndmask_b32_e64 v3, 0, 1.0, s3
	v_mov_b32_e32 v5, 0x80
	s_mov_b32 s13, exec_lo
	s_delay_alu instid0(VALU_DEP_2)
	v_cmpx_gt_u32_e32 0x43800000, v3
	s_cbranch_execz .LBB63_1671
; %bb.1666:
	s_mov_b32 s14, 0
	s_mov_b32 s15, exec_lo
                                        ; implicit-def: $vgpr1
	v_cmpx_lt_u32_e32 0x3bffffff, v3
	s_xor_b32 s15, exec_lo, s15
	s_cbranch_execz .LBB63_2119
; %bb.1667:
	v_bfe_u32 v1, v3, 20, 1
	s_mov_b32 s14, exec_lo
	s_delay_alu instid0(VALU_DEP_1) | instskip(NEXT) | instid1(VALU_DEP_1)
	v_add3_u32 v1, v3, v1, 0x487ffff
                                        ; implicit-def: $vgpr3
	v_lshrrev_b32_e32 v1, 20, v1
	s_and_not1_saveexec_b32 s15, s15
	s_cbranch_execnz .LBB63_2120
.LBB63_1668:
	s_or_b32 exec_lo, exec_lo, s15
	v_mov_b32_e32 v5, 0
	s_and_saveexec_b32 s15, s14
.LBB63_1669:
	v_mov_b32_e32 v5, v1
.LBB63_1670:
	s_or_b32 exec_lo, exec_lo, s15
.LBB63_1671:
	s_delay_alu instid0(SALU_CYCLE_1)
	s_or_b32 exec_lo, exec_lo, s13
	global_store_b8 v[6:7], v5, off
.LBB63_1672:
	s_mov_b32 s13, -1
.LBB63_1673:
	s_mov_b32 s14, 0
.LBB63_1674:
	s_delay_alu instid0(SALU_CYCLE_1)
	s_and_b32 vcc_lo, exec_lo, s14
	s_cbranch_vccz .LBB63_1714
; %bb.1675:
	s_cmp_gt_i32 s7, 22
	s_mov_b32 s10, -1
	s_cbranch_scc0 .LBB63_1707
; %bb.1676:
	s_cmp_lt_i32 s7, 24
	s_cbranch_scc1 .LBB63_1696
; %bb.1677:
	s_cmp_gt_i32 s7, 24
	s_cbranch_scc0 .LBB63_1685
; %bb.1678:
	s_wait_xcnt 0x0
	v_cndmask_b32_e64 v3, 0, 1.0, s3
	v_mov_b32_e32 v5, 0x80
	s_mov_b32 s10, exec_lo
	s_delay_alu instid0(VALU_DEP_2)
	v_cmpx_gt_u32_e32 0x47800000, v3
	s_cbranch_execz .LBB63_1684
; %bb.1679:
	s_mov_b32 s13, 0
	s_mov_b32 s14, exec_lo
                                        ; implicit-def: $vgpr1
	v_cmpx_lt_u32_e32 0x37ffffff, v3
	s_xor_b32 s14, exec_lo, s14
	s_cbranch_execz .LBB63_2122
; %bb.1680:
	v_bfe_u32 v1, v3, 21, 1
	s_mov_b32 s13, exec_lo
	s_delay_alu instid0(VALU_DEP_1) | instskip(NEXT) | instid1(VALU_DEP_1)
	v_add3_u32 v1, v3, v1, 0x88fffff
                                        ; implicit-def: $vgpr3
	v_lshrrev_b32_e32 v1, 21, v1
	s_and_not1_saveexec_b32 s14, s14
	s_cbranch_execnz .LBB63_2123
.LBB63_1681:
	s_or_b32 exec_lo, exec_lo, s14
	v_mov_b32_e32 v5, 0
	s_and_saveexec_b32 s14, s13
.LBB63_1682:
	v_mov_b32_e32 v5, v1
.LBB63_1683:
	s_or_b32 exec_lo, exec_lo, s14
.LBB63_1684:
	s_delay_alu instid0(SALU_CYCLE_1)
	s_or_b32 exec_lo, exec_lo, s10
	s_mov_b32 s10, 0
	global_store_b8 v[6:7], v5, off
.LBB63_1685:
	s_and_b32 vcc_lo, exec_lo, s10
	s_cbranch_vccz .LBB63_1695
; %bb.1686:
	s_wait_xcnt 0x0
	v_cndmask_b32_e64 v3, 0, 1.0, s3
	s_mov_b32 s10, exec_lo
                                        ; implicit-def: $vgpr1
	s_delay_alu instid0(VALU_DEP_1)
	v_cmpx_gt_u32_e32 0x43f00000, v3
	s_xor_b32 s10, exec_lo, s10
	s_cbranch_execz .LBB63_1692
; %bb.1687:
	s_mov_b32 s13, exec_lo
                                        ; implicit-def: $vgpr1
	v_cmpx_lt_u32_e32 0x3c7fffff, v3
	s_xor_b32 s13, exec_lo, s13
; %bb.1688:
	v_bfe_u32 v1, v3, 20, 1
	s_delay_alu instid0(VALU_DEP_1) | instskip(NEXT) | instid1(VALU_DEP_1)
	v_add3_u32 v1, v3, v1, 0x407ffff
	v_and_b32_e32 v3, 0xff00000, v1
	v_lshrrev_b32_e32 v1, 20, v1
	s_delay_alu instid0(VALU_DEP_2) | instskip(NEXT) | instid1(VALU_DEP_2)
	v_cmp_ne_u32_e32 vcc_lo, 0x7f00000, v3
                                        ; implicit-def: $vgpr3
	v_cndmask_b32_e32 v1, 0x7e, v1, vcc_lo
; %bb.1689:
	s_and_not1_saveexec_b32 s13, s13
; %bb.1690:
	v_add_f32_e32 v1, 0x46800000, v3
; %bb.1691:
	s_or_b32 exec_lo, exec_lo, s13
                                        ; implicit-def: $vgpr3
.LBB63_1692:
	s_and_not1_saveexec_b32 s10, s10
; %bb.1693:
	v_mov_b32_e32 v1, 0x7f
	v_cmp_lt_u32_e32 vcc_lo, 0x7f800000, v3
	s_delay_alu instid0(VALU_DEP_2)
	v_cndmask_b32_e32 v1, 0x7e, v1, vcc_lo
; %bb.1694:
	s_or_b32 exec_lo, exec_lo, s10
	global_store_b8 v[6:7], v1, off
.LBB63_1695:
	s_mov_b32 s10, 0
.LBB63_1696:
	s_delay_alu instid0(SALU_CYCLE_1)
	s_and_not1_b32 vcc_lo, exec_lo, s10
	s_cbranch_vccnz .LBB63_1706
; %bb.1697:
	s_wait_xcnt 0x0
	v_cndmask_b32_e64 v3, 0, 1.0, s3
	s_mov_b32 s10, exec_lo
                                        ; implicit-def: $vgpr1
	s_delay_alu instid0(VALU_DEP_1)
	v_cmpx_gt_u32_e32 0x47800000, v3
	s_xor_b32 s10, exec_lo, s10
	s_cbranch_execz .LBB63_1703
; %bb.1698:
	s_mov_b32 s13, exec_lo
                                        ; implicit-def: $vgpr1
	v_cmpx_lt_u32_e32 0x387fffff, v3
	s_xor_b32 s13, exec_lo, s13
; %bb.1699:
	v_bfe_u32 v1, v3, 21, 1
	s_delay_alu instid0(VALU_DEP_1) | instskip(NEXT) | instid1(VALU_DEP_1)
	v_add3_u32 v1, v3, v1, 0x80fffff
                                        ; implicit-def: $vgpr3
	v_lshrrev_b32_e32 v1, 21, v1
; %bb.1700:
	s_and_not1_saveexec_b32 s13, s13
; %bb.1701:
	v_add_f32_e32 v1, 0x43000000, v3
; %bb.1702:
	s_or_b32 exec_lo, exec_lo, s13
                                        ; implicit-def: $vgpr3
.LBB63_1703:
	s_and_not1_saveexec_b32 s10, s10
; %bb.1704:
	v_mov_b32_e32 v1, 0x7f
	v_cmp_lt_u32_e32 vcc_lo, 0x7f800000, v3
	s_delay_alu instid0(VALU_DEP_2)
	v_cndmask_b32_e32 v1, 0x7c, v1, vcc_lo
; %bb.1705:
	s_or_b32 exec_lo, exec_lo, s10
	global_store_b8 v[6:7], v1, off
.LBB63_1706:
	s_mov_b32 s10, 0
	s_mov_b32 s13, -1
.LBB63_1707:
	s_and_not1_b32 vcc_lo, exec_lo, s10
	s_mov_b32 s10, 0
	s_cbranch_vccnz .LBB63_1714
; %bb.1708:
	s_cmp_gt_i32 s7, 14
	s_mov_b32 s10, -1
	s_cbranch_scc0 .LBB63_1712
; %bb.1709:
	s_cmp_eq_u32 s7, 15
	s_mov_b32 s0, -1
	s_cbranch_scc0 .LBB63_1711
; %bb.1710:
	s_wait_xcnt 0x0
	v_cndmask_b32_e64 v1, 0, 1.0, s3
	s_mov_b32 s0, 0
	s_mov_b32 s13, -1
	s_delay_alu instid0(VALU_DEP_1) | instskip(NEXT) | instid1(VALU_DEP_1)
	v_bfe_u32 v3, v1, 16, 1
	v_add3_u32 v1, v1, v3, 0x7fff
	global_store_d16_hi_b16 v[6:7], v1, off
.LBB63_1711:
	s_mov_b32 s10, 0
.LBB63_1712:
	s_delay_alu instid0(SALU_CYCLE_1)
	s_and_b32 vcc_lo, exec_lo, s10
	s_mov_b32 s10, 0
	s_cbranch_vccz .LBB63_1714
; %bb.1713:
	s_cmp_lg_u32 s7, 11
	s_mov_b32 s10, -1
	s_cselect_b32 s0, -1, 0
.LBB63_1714:
	s_delay_alu instid0(SALU_CYCLE_1)
	s_and_b32 vcc_lo, exec_lo, s0
	s_cbranch_vccnz .LBB63_2121
; %bb.1715:
	s_and_not1_b32 vcc_lo, exec_lo, s10
	s_cbranch_vccnz .LBB63_1717
.LBB63_1716:
	s_wait_xcnt 0x0
	v_cndmask_b32_e64 v1, 0, 1, s3
	s_mov_b32 s13, -1
	global_store_b8 v[6:7], v1, off
.LBB63_1717:
.LBB63_1718:
	s_and_not1_b32 vcc_lo, exec_lo, s13
	s_cbranch_vccnz .LBB63_2072
	s_branch .LBB63_1758
.LBB63_1719:
	s_and_b32 vcc_lo, exec_lo, s0
	s_cbranch_vccz .LBB63_1718
; %bb.1720:
	s_and_b32 s0, 0xffff, s6
	s_mov_b32 s7, -1
	s_cmp_lt_i32 s0, 5
	s_cbranch_scc1 .LBB63_1741
; %bb.1721:
	s_cmp_lt_i32 s0, 8
	s_cbranch_scc1 .LBB63_1731
; %bb.1722:
	;; [unrolled: 3-line block ×3, first 2 shown]
	s_cmp_gt_i32 s0, 9
	s_cbranch_scc0 .LBB63_1725
; %bb.1724:
	s_wait_xcnt 0x0
	v_cndmask_b32_e64 v1, 0, 1, s3
	v_mov_b32_e32 v18, 0
	s_mov_b32 s7, 0
	s_delay_alu instid0(VALU_DEP_2) | instskip(NEXT) | instid1(VALU_DEP_2)
	v_cvt_f64_u32_e32 v[16:17], v1
	v_mov_b32_e32 v19, v18
	global_store_b128 v[6:7], v[16:19], off
.LBB63_1725:
	s_and_not1_b32 vcc_lo, exec_lo, s7
	s_cbranch_vccnz .LBB63_1727
; %bb.1726:
	s_wait_xcnt 0x0
	v_cndmask_b32_e64 v8, 0, 1.0, s3
	v_mov_b32_e32 v9, 0
	global_store_b64 v[6:7], v[8:9], off
.LBB63_1727:
	s_mov_b32 s7, 0
.LBB63_1728:
	s_delay_alu instid0(SALU_CYCLE_1)
	s_and_not1_b32 vcc_lo, exec_lo, s7
	s_cbranch_vccnz .LBB63_1730
; %bb.1729:
	s_wait_xcnt 0x0
	v_cndmask_b32_e64 v1, 0, 1.0, s3
	s_delay_alu instid0(VALU_DEP_1) | instskip(NEXT) | instid1(VALU_DEP_1)
	v_cvt_f16_f32_e32 v1, v1
	v_and_b32_e32 v1, 0xffff, v1
	global_store_b32 v[6:7], v1, off
.LBB63_1730:
	s_mov_b32 s7, 0
.LBB63_1731:
	s_delay_alu instid0(SALU_CYCLE_1)
	s_and_not1_b32 vcc_lo, exec_lo, s7
	s_cbranch_vccnz .LBB63_1740
; %bb.1732:
	s_cmp_lt_i32 s0, 6
	s_mov_b32 s7, -1
	s_cbranch_scc1 .LBB63_1738
; %bb.1733:
	s_cmp_gt_i32 s0, 6
	s_cbranch_scc0 .LBB63_1735
; %bb.1734:
	s_wait_xcnt 0x0
	v_cndmask_b32_e64 v1, 0, 1, s3
	s_mov_b32 s7, 0
	s_delay_alu instid0(VALU_DEP_1)
	v_cvt_f64_u32_e32 v[8:9], v1
	global_store_b64 v[6:7], v[8:9], off
.LBB63_1735:
	s_and_not1_b32 vcc_lo, exec_lo, s7
	s_cbranch_vccnz .LBB63_1737
; %bb.1736:
	s_wait_xcnt 0x0
	v_cndmask_b32_e64 v1, 0, 1.0, s3
	global_store_b32 v[6:7], v1, off
.LBB63_1737:
	s_mov_b32 s7, 0
.LBB63_1738:
	s_delay_alu instid0(SALU_CYCLE_1)
	s_and_not1_b32 vcc_lo, exec_lo, s7
	s_cbranch_vccnz .LBB63_1740
; %bb.1739:
	s_wait_xcnt 0x0
	v_cndmask_b32_e64 v1, 0, 1.0, s3
	s_delay_alu instid0(VALU_DEP_1)
	v_cvt_f16_f32_e32 v1, v1
	global_store_b16 v[6:7], v1, off
.LBB63_1740:
	s_mov_b32 s7, 0
.LBB63_1741:
	s_delay_alu instid0(SALU_CYCLE_1)
	s_and_not1_b32 vcc_lo, exec_lo, s7
	s_cbranch_vccnz .LBB63_1757
; %bb.1742:
	s_cmp_lt_i32 s0, 2
	s_mov_b32 s7, -1
	s_cbranch_scc1 .LBB63_1752
; %bb.1743:
	s_cmp_lt_i32 s0, 3
	s_cbranch_scc1 .LBB63_1749
; %bb.1744:
	s_cmp_gt_i32 s0, 3
	s_cbranch_scc0 .LBB63_1746
; %bb.1745:
	s_mov_b32 s7, 0
	s_wait_xcnt 0x0
	v_cndmask_b32_e64 v8, 0, 1, s3
	v_mov_b32_e32 v9, s7
	global_store_b64 v[6:7], v[8:9], off
.LBB63_1746:
	s_and_not1_b32 vcc_lo, exec_lo, s7
	s_cbranch_vccnz .LBB63_1748
; %bb.1747:
	s_wait_xcnt 0x0
	v_cndmask_b32_e64 v1, 0, 1, s3
	global_store_b32 v[6:7], v1, off
.LBB63_1748:
	s_mov_b32 s7, 0
.LBB63_1749:
	s_delay_alu instid0(SALU_CYCLE_1)
	s_and_not1_b32 vcc_lo, exec_lo, s7
	s_cbranch_vccnz .LBB63_1751
; %bb.1750:
	s_wait_xcnt 0x0
	v_cndmask_b32_e64 v1, 0, 1, s3
	global_store_b16 v[6:7], v1, off
.LBB63_1751:
	s_mov_b32 s7, 0
.LBB63_1752:
	s_delay_alu instid0(SALU_CYCLE_1)
	s_and_not1_b32 vcc_lo, exec_lo, s7
	s_cbranch_vccnz .LBB63_1757
; %bb.1753:
	s_wait_xcnt 0x0
	v_cndmask_b32_e64 v1, 0, 1, s3
	s_cmp_gt_i32 s0, 0
	s_mov_b32 s0, -1
	s_cbranch_scc0 .LBB63_1755
; %bb.1754:
	s_mov_b32 s0, 0
	global_store_b8 v[6:7], v1, off
.LBB63_1755:
	s_and_not1_b32 vcc_lo, exec_lo, s0
	s_cbranch_vccnz .LBB63_1757
; %bb.1756:
	global_store_b8 v[6:7], v1, off
.LBB63_1757:
.LBB63_1758:
	s_wait_xcnt 0x0
	v_mov_b32_e32 v5, 0
	v_cmp_ne_u64_e32 vcc_lo, s[8:9], v[10:11]
	s_and_b32 s3, 0xffff, s6
	s_delay_alu instid0(VALU_DEP_2)
	v_add_nc_u64_e32 v[4:5], s[4:5], v[4:5]
	s_xor_b32 s7, s2, vcc_lo
	s_cmp_lt_i32 s3, 11
	s_cbranch_scc1 .LBB63_1836
; %bb.1759:
	s_mov_b32 s14, -1
	s_mov_b32 s10, 0
	s_cmp_gt_i32 s3, 25
	s_mov_b32 s13, 0
	s_mov_b32 s0, 0
	s_cbranch_scc0 .LBB63_1792
; %bb.1760:
	s_cmp_gt_i32 s3, 28
	s_cbranch_scc0 .LBB63_1775
; %bb.1761:
	s_cmp_gt_i32 s3, 43
	;; [unrolled: 3-line block ×3, first 2 shown]
	s_cbranch_scc0 .LBB63_1765
; %bb.1763:
	s_mov_b32 s0, -1
	s_mov_b32 s14, 0
	s_cmp_eq_u32 s3, 46
	s_cbranch_scc0 .LBB63_1765
; %bb.1764:
	v_cndmask_b32_e64 v1, 0, 1.0, s7
	s_mov_b32 s0, 0
	s_mov_b32 s13, -1
	s_delay_alu instid0(VALU_DEP_1) | instskip(NEXT) | instid1(VALU_DEP_1)
	v_bfe_u32 v3, v1, 16, 1
	v_add3_u32 v1, v1, v3, 0x7fff
	s_delay_alu instid0(VALU_DEP_1)
	v_lshrrev_b32_e32 v1, 16, v1
	global_store_b32 v[4:5], v1, off
.LBB63_1765:
	s_and_b32 vcc_lo, exec_lo, s14
	s_cbranch_vccz .LBB63_1770
; %bb.1766:
	s_cmp_eq_u32 s3, 44
	s_mov_b32 s0, -1
	s_cbranch_scc0 .LBB63_1770
; %bb.1767:
	v_cndmask_b32_e64 v6, 0, 1.0, s7
	v_mov_b32_e32 v3, 0xff
	s_mov_b32 s13, exec_lo
	s_wait_xcnt 0x0
	s_delay_alu instid0(VALU_DEP_2) | instskip(NEXT) | instid1(VALU_DEP_1)
	v_lshrrev_b32_e32 v1, 23, v6
	v_cmpx_ne_u32_e32 0xff, v1
; %bb.1768:
	v_and_b32_e32 v3, 0x400000, v6
	v_and_or_b32 v6, 0x3fffff, v6, v1
	s_delay_alu instid0(VALU_DEP_2) | instskip(NEXT) | instid1(VALU_DEP_2)
	v_cmp_ne_u32_e32 vcc_lo, 0, v3
	v_cmp_ne_u32_e64 s0, 0, v6
	s_and_b32 s0, vcc_lo, s0
	s_delay_alu instid0(SALU_CYCLE_1) | instskip(NEXT) | instid1(VALU_DEP_1)
	v_cndmask_b32_e64 v3, 0, 1, s0
	v_add_nc_u32_e32 v3, v1, v3
; %bb.1769:
	s_or_b32 exec_lo, exec_lo, s13
	s_mov_b32 s0, 0
	s_mov_b32 s13, -1
	global_store_b8 v[4:5], v3, off
.LBB63_1770:
	s_mov_b32 s14, 0
.LBB63_1771:
	s_delay_alu instid0(SALU_CYCLE_1)
	s_and_b32 vcc_lo, exec_lo, s14
	s_cbranch_vccz .LBB63_1774
; %bb.1772:
	s_cmp_eq_u32 s3, 29
	s_mov_b32 s0, -1
	s_cbranch_scc0 .LBB63_1774
; %bb.1773:
	s_mov_b32 s0, 0
	v_cndmask_b32_e64 v6, 0, 1, s7
	v_mov_b32_e32 v7, s0
	s_mov_b32 s13, -1
	global_store_b64 v[4:5], v[6:7], off
.LBB63_1774:
	s_mov_b32 s14, 0
.LBB63_1775:
	s_delay_alu instid0(SALU_CYCLE_1)
	s_and_b32 vcc_lo, exec_lo, s14
	s_cbranch_vccz .LBB63_1791
; %bb.1776:
	s_cmp_lt_i32 s3, 27
	s_mov_b32 s13, -1
	s_cbranch_scc1 .LBB63_1782
; %bb.1777:
	s_cmp_gt_i32 s3, 27
	s_cbranch_scc0 .LBB63_1779
; %bb.1778:
	s_wait_xcnt 0x0
	v_cndmask_b32_e64 v1, 0, 1, s7
	s_mov_b32 s13, 0
	global_store_b32 v[4:5], v1, off
.LBB63_1779:
	s_and_not1_b32 vcc_lo, exec_lo, s13
	s_cbranch_vccnz .LBB63_1781
; %bb.1780:
	s_wait_xcnt 0x0
	v_cndmask_b32_e64 v1, 0, 1, s7
	global_store_b16 v[4:5], v1, off
.LBB63_1781:
	s_mov_b32 s13, 0
.LBB63_1782:
	s_delay_alu instid0(SALU_CYCLE_1)
	s_and_not1_b32 vcc_lo, exec_lo, s13
	s_cbranch_vccnz .LBB63_1790
; %bb.1783:
	s_wait_xcnt 0x0
	v_cndmask_b32_e64 v3, 0, 1.0, s7
	v_mov_b32_e32 v6, 0x80
	s_mov_b32 s13, exec_lo
	s_delay_alu instid0(VALU_DEP_2)
	v_cmpx_gt_u32_e32 0x43800000, v3
	s_cbranch_execz .LBB63_1789
; %bb.1784:
	s_mov_b32 s14, 0
	s_mov_b32 s15, exec_lo
                                        ; implicit-def: $vgpr1
	v_cmpx_lt_u32_e32 0x3bffffff, v3
	s_xor_b32 s15, exec_lo, s15
	s_cbranch_execz .LBB63_2124
; %bb.1785:
	v_bfe_u32 v1, v3, 20, 1
	s_mov_b32 s14, exec_lo
	s_delay_alu instid0(VALU_DEP_1) | instskip(NEXT) | instid1(VALU_DEP_1)
	v_add3_u32 v1, v3, v1, 0x487ffff
                                        ; implicit-def: $vgpr3
	v_lshrrev_b32_e32 v1, 20, v1
	s_and_not1_saveexec_b32 s15, s15
	s_cbranch_execnz .LBB63_2125
.LBB63_1786:
	s_or_b32 exec_lo, exec_lo, s15
	v_mov_b32_e32 v6, 0
	s_and_saveexec_b32 s15, s14
.LBB63_1787:
	v_mov_b32_e32 v6, v1
.LBB63_1788:
	s_or_b32 exec_lo, exec_lo, s15
.LBB63_1789:
	s_delay_alu instid0(SALU_CYCLE_1)
	s_or_b32 exec_lo, exec_lo, s13
	global_store_b8 v[4:5], v6, off
.LBB63_1790:
	s_mov_b32 s13, -1
.LBB63_1791:
	s_mov_b32 s14, 0
.LBB63_1792:
	s_delay_alu instid0(SALU_CYCLE_1)
	s_and_b32 vcc_lo, exec_lo, s14
	s_cbranch_vccz .LBB63_1832
; %bb.1793:
	s_cmp_gt_i32 s3, 22
	s_mov_b32 s10, -1
	s_cbranch_scc0 .LBB63_1825
; %bb.1794:
	s_cmp_lt_i32 s3, 24
	s_cbranch_scc1 .LBB63_1814
; %bb.1795:
	s_cmp_gt_i32 s3, 24
	s_cbranch_scc0 .LBB63_1803
; %bb.1796:
	s_wait_xcnt 0x0
	v_cndmask_b32_e64 v3, 0, 1.0, s7
	v_mov_b32_e32 v6, 0x80
	s_mov_b32 s10, exec_lo
	s_delay_alu instid0(VALU_DEP_2)
	v_cmpx_gt_u32_e32 0x47800000, v3
	s_cbranch_execz .LBB63_1802
; %bb.1797:
	s_mov_b32 s13, 0
	s_mov_b32 s14, exec_lo
                                        ; implicit-def: $vgpr1
	v_cmpx_lt_u32_e32 0x37ffffff, v3
	s_xor_b32 s14, exec_lo, s14
	s_cbranch_execz .LBB63_2127
; %bb.1798:
	v_bfe_u32 v1, v3, 21, 1
	s_mov_b32 s13, exec_lo
	s_delay_alu instid0(VALU_DEP_1) | instskip(NEXT) | instid1(VALU_DEP_1)
	v_add3_u32 v1, v3, v1, 0x88fffff
                                        ; implicit-def: $vgpr3
	v_lshrrev_b32_e32 v1, 21, v1
	s_and_not1_saveexec_b32 s14, s14
	s_cbranch_execnz .LBB63_2128
.LBB63_1799:
	s_or_b32 exec_lo, exec_lo, s14
	v_mov_b32_e32 v6, 0
	s_and_saveexec_b32 s14, s13
.LBB63_1800:
	v_mov_b32_e32 v6, v1
.LBB63_1801:
	s_or_b32 exec_lo, exec_lo, s14
.LBB63_1802:
	s_delay_alu instid0(SALU_CYCLE_1)
	s_or_b32 exec_lo, exec_lo, s10
	s_mov_b32 s10, 0
	global_store_b8 v[4:5], v6, off
.LBB63_1803:
	s_and_b32 vcc_lo, exec_lo, s10
	s_cbranch_vccz .LBB63_1813
; %bb.1804:
	s_wait_xcnt 0x0
	v_cndmask_b32_e64 v3, 0, 1.0, s7
	s_mov_b32 s10, exec_lo
                                        ; implicit-def: $vgpr1
	s_delay_alu instid0(VALU_DEP_1)
	v_cmpx_gt_u32_e32 0x43f00000, v3
	s_xor_b32 s10, exec_lo, s10
	s_cbranch_execz .LBB63_1810
; %bb.1805:
	s_mov_b32 s13, exec_lo
                                        ; implicit-def: $vgpr1
	v_cmpx_lt_u32_e32 0x3c7fffff, v3
	s_xor_b32 s13, exec_lo, s13
; %bb.1806:
	v_bfe_u32 v1, v3, 20, 1
	s_delay_alu instid0(VALU_DEP_1) | instskip(NEXT) | instid1(VALU_DEP_1)
	v_add3_u32 v1, v3, v1, 0x407ffff
	v_and_b32_e32 v3, 0xff00000, v1
	v_lshrrev_b32_e32 v1, 20, v1
	s_delay_alu instid0(VALU_DEP_2) | instskip(NEXT) | instid1(VALU_DEP_2)
	v_cmp_ne_u32_e32 vcc_lo, 0x7f00000, v3
                                        ; implicit-def: $vgpr3
	v_cndmask_b32_e32 v1, 0x7e, v1, vcc_lo
; %bb.1807:
	s_and_not1_saveexec_b32 s13, s13
; %bb.1808:
	v_add_f32_e32 v1, 0x46800000, v3
; %bb.1809:
	s_or_b32 exec_lo, exec_lo, s13
                                        ; implicit-def: $vgpr3
.LBB63_1810:
	s_and_not1_saveexec_b32 s10, s10
; %bb.1811:
	v_mov_b32_e32 v1, 0x7f
	v_cmp_lt_u32_e32 vcc_lo, 0x7f800000, v3
	s_delay_alu instid0(VALU_DEP_2)
	v_cndmask_b32_e32 v1, 0x7e, v1, vcc_lo
; %bb.1812:
	s_or_b32 exec_lo, exec_lo, s10
	global_store_b8 v[4:5], v1, off
.LBB63_1813:
	s_mov_b32 s10, 0
.LBB63_1814:
	s_delay_alu instid0(SALU_CYCLE_1)
	s_and_not1_b32 vcc_lo, exec_lo, s10
	s_cbranch_vccnz .LBB63_1824
; %bb.1815:
	s_wait_xcnt 0x0
	v_cndmask_b32_e64 v3, 0, 1.0, s7
	s_mov_b32 s10, exec_lo
                                        ; implicit-def: $vgpr1
	s_delay_alu instid0(VALU_DEP_1)
	v_cmpx_gt_u32_e32 0x47800000, v3
	s_xor_b32 s10, exec_lo, s10
	s_cbranch_execz .LBB63_1821
; %bb.1816:
	s_mov_b32 s13, exec_lo
                                        ; implicit-def: $vgpr1
	v_cmpx_lt_u32_e32 0x387fffff, v3
	s_xor_b32 s13, exec_lo, s13
; %bb.1817:
	v_bfe_u32 v1, v3, 21, 1
	s_delay_alu instid0(VALU_DEP_1) | instskip(NEXT) | instid1(VALU_DEP_1)
	v_add3_u32 v1, v3, v1, 0x80fffff
                                        ; implicit-def: $vgpr3
	v_lshrrev_b32_e32 v1, 21, v1
; %bb.1818:
	s_and_not1_saveexec_b32 s13, s13
; %bb.1819:
	v_add_f32_e32 v1, 0x43000000, v3
; %bb.1820:
	s_or_b32 exec_lo, exec_lo, s13
                                        ; implicit-def: $vgpr3
.LBB63_1821:
	s_and_not1_saveexec_b32 s10, s10
; %bb.1822:
	v_mov_b32_e32 v1, 0x7f
	v_cmp_lt_u32_e32 vcc_lo, 0x7f800000, v3
	s_delay_alu instid0(VALU_DEP_2)
	v_cndmask_b32_e32 v1, 0x7c, v1, vcc_lo
; %bb.1823:
	s_or_b32 exec_lo, exec_lo, s10
	global_store_b8 v[4:5], v1, off
.LBB63_1824:
	s_mov_b32 s10, 0
	s_mov_b32 s13, -1
.LBB63_1825:
	s_and_not1_b32 vcc_lo, exec_lo, s10
	s_mov_b32 s10, 0
	s_cbranch_vccnz .LBB63_1832
; %bb.1826:
	s_cmp_gt_i32 s3, 14
	s_mov_b32 s10, -1
	s_cbranch_scc0 .LBB63_1830
; %bb.1827:
	s_cmp_eq_u32 s3, 15
	s_mov_b32 s0, -1
	s_cbranch_scc0 .LBB63_1829
; %bb.1828:
	s_wait_xcnt 0x0
	v_cndmask_b32_e64 v1, 0, 1.0, s7
	s_mov_b32 s0, 0
	s_mov_b32 s13, -1
	s_delay_alu instid0(VALU_DEP_1) | instskip(NEXT) | instid1(VALU_DEP_1)
	v_bfe_u32 v3, v1, 16, 1
	v_add3_u32 v1, v1, v3, 0x7fff
	global_store_d16_hi_b16 v[4:5], v1, off
.LBB63_1829:
	s_mov_b32 s10, 0
.LBB63_1830:
	s_delay_alu instid0(SALU_CYCLE_1)
	s_and_b32 vcc_lo, exec_lo, s10
	s_mov_b32 s10, 0
	s_cbranch_vccz .LBB63_1832
; %bb.1831:
	s_cmp_lg_u32 s3, 11
	s_mov_b32 s10, -1
	s_cselect_b32 s0, -1, 0
.LBB63_1832:
	s_delay_alu instid0(SALU_CYCLE_1)
	s_and_b32 vcc_lo, exec_lo, s0
	s_cbranch_vccnz .LBB63_2126
; %bb.1833:
	s_and_not1_b32 vcc_lo, exec_lo, s10
	s_cbranch_vccnz .LBB63_1835
.LBB63_1834:
	s_wait_xcnt 0x0
	v_cndmask_b32_e64 v1, 0, 1, s7
	s_mov_b32 s13, -1
	global_store_b8 v[4:5], v1, off
.LBB63_1835:
	s_mov_b32 s0, 0
	s_branch .LBB63_1837
.LBB63_1836:
	s_mov_b32 s0, -1
	s_mov_b32 s13, 0
.LBB63_1837:
	s_and_b32 vcc_lo, exec_lo, s0
	s_cbranch_vccz .LBB63_1876
; %bb.1838:
	s_cmp_lt_i32 s3, 5
	s_mov_b32 s0, -1
	s_cbranch_scc1 .LBB63_1859
; %bb.1839:
	s_cmp_lt_i32 s3, 8
	s_cbranch_scc1 .LBB63_1849
; %bb.1840:
	s_cmp_lt_i32 s3, 9
	s_cbranch_scc1 .LBB63_1846
; %bb.1841:
	s_cmp_gt_i32 s3, 9
	s_cbranch_scc0 .LBB63_1843
; %bb.1842:
	s_wait_xcnt 0x0
	v_cndmask_b32_e64 v1, 0, 1, s7
	v_mov_b32_e32 v8, 0
	s_mov_b32 s0, 0
	s_delay_alu instid0(VALU_DEP_2) | instskip(NEXT) | instid1(VALU_DEP_2)
	v_cvt_f64_u32_e32 v[6:7], v1
	v_mov_b32_e32 v9, v8
	global_store_b128 v[4:5], v[6:9], off
.LBB63_1843:
	s_and_not1_b32 vcc_lo, exec_lo, s0
	s_cbranch_vccnz .LBB63_1845
; %bb.1844:
	s_wait_xcnt 0x0
	v_cndmask_b32_e64 v6, 0, 1.0, s7
	v_mov_b32_e32 v7, 0
	global_store_b64 v[4:5], v[6:7], off
.LBB63_1845:
	s_mov_b32 s0, 0
.LBB63_1846:
	s_delay_alu instid0(SALU_CYCLE_1)
	s_and_not1_b32 vcc_lo, exec_lo, s0
	s_cbranch_vccnz .LBB63_1848
; %bb.1847:
	s_wait_xcnt 0x0
	v_cndmask_b32_e64 v1, 0, 1.0, s7
	s_delay_alu instid0(VALU_DEP_1) | instskip(NEXT) | instid1(VALU_DEP_1)
	v_cvt_f16_f32_e32 v1, v1
	v_and_b32_e32 v1, 0xffff, v1
	global_store_b32 v[4:5], v1, off
.LBB63_1848:
	s_mov_b32 s0, 0
.LBB63_1849:
	s_delay_alu instid0(SALU_CYCLE_1)
	s_and_not1_b32 vcc_lo, exec_lo, s0
	s_cbranch_vccnz .LBB63_1858
; %bb.1850:
	s_cmp_lt_i32 s3, 6
	s_mov_b32 s0, -1
	s_cbranch_scc1 .LBB63_1856
; %bb.1851:
	s_cmp_gt_i32 s3, 6
	s_cbranch_scc0 .LBB63_1853
; %bb.1852:
	s_wait_xcnt 0x0
	v_cndmask_b32_e64 v1, 0, 1, s7
	s_mov_b32 s0, 0
	s_delay_alu instid0(VALU_DEP_1)
	v_cvt_f64_u32_e32 v[6:7], v1
	global_store_b64 v[4:5], v[6:7], off
.LBB63_1853:
	s_and_not1_b32 vcc_lo, exec_lo, s0
	s_cbranch_vccnz .LBB63_1855
; %bb.1854:
	s_wait_xcnt 0x0
	v_cndmask_b32_e64 v1, 0, 1.0, s7
	global_store_b32 v[4:5], v1, off
.LBB63_1855:
	s_mov_b32 s0, 0
.LBB63_1856:
	s_delay_alu instid0(SALU_CYCLE_1)
	s_and_not1_b32 vcc_lo, exec_lo, s0
	s_cbranch_vccnz .LBB63_1858
; %bb.1857:
	s_wait_xcnt 0x0
	v_cndmask_b32_e64 v1, 0, 1.0, s7
	s_delay_alu instid0(VALU_DEP_1)
	v_cvt_f16_f32_e32 v1, v1
	global_store_b16 v[4:5], v1, off
.LBB63_1858:
	s_mov_b32 s0, 0
.LBB63_1859:
	s_delay_alu instid0(SALU_CYCLE_1)
	s_and_not1_b32 vcc_lo, exec_lo, s0
	s_cbranch_vccnz .LBB63_1875
; %bb.1860:
	s_cmp_lt_i32 s3, 2
	s_mov_b32 s0, -1
	s_cbranch_scc1 .LBB63_1870
; %bb.1861:
	s_cmp_lt_i32 s3, 3
	s_cbranch_scc1 .LBB63_1867
; %bb.1862:
	s_cmp_gt_i32 s3, 3
	s_cbranch_scc0 .LBB63_1864
; %bb.1863:
	s_mov_b32 s0, 0
	s_wait_xcnt 0x0
	v_cndmask_b32_e64 v6, 0, 1, s7
	v_mov_b32_e32 v7, s0
	global_store_b64 v[4:5], v[6:7], off
.LBB63_1864:
	s_and_not1_b32 vcc_lo, exec_lo, s0
	s_cbranch_vccnz .LBB63_1866
; %bb.1865:
	s_wait_xcnt 0x0
	v_cndmask_b32_e64 v1, 0, 1, s7
	global_store_b32 v[4:5], v1, off
.LBB63_1866:
	s_mov_b32 s0, 0
.LBB63_1867:
	s_delay_alu instid0(SALU_CYCLE_1)
	s_and_not1_b32 vcc_lo, exec_lo, s0
	s_cbranch_vccnz .LBB63_1869
; %bb.1868:
	s_wait_xcnt 0x0
	v_cndmask_b32_e64 v1, 0, 1, s7
	global_store_b16 v[4:5], v1, off
.LBB63_1869:
	s_mov_b32 s0, 0
.LBB63_1870:
	s_delay_alu instid0(SALU_CYCLE_1)
	s_and_not1_b32 vcc_lo, exec_lo, s0
	s_cbranch_vccnz .LBB63_1875
; %bb.1871:
	s_wait_xcnt 0x0
	v_cndmask_b32_e64 v1, 0, 1, s7
	s_cmp_gt_i32 s3, 0
	s_mov_b32 s0, -1
	s_cbranch_scc0 .LBB63_1873
; %bb.1872:
	s_mov_b32 s0, 0
	global_store_b8 v[4:5], v1, off
.LBB63_1873:
	s_and_not1_b32 vcc_lo, exec_lo, s0
	s_cbranch_vccnz .LBB63_1875
; %bb.1874:
	global_store_b8 v[4:5], v1, off
.LBB63_1875:
	s_mov_b32 s13, -1
.LBB63_1876:
	s_delay_alu instid0(SALU_CYCLE_1)
	s_and_not1_b32 vcc_lo, exec_lo, s13
	s_cbranch_vccnz .LBB63_2072
; %bb.1877:
	s_wait_xcnt 0x0
	v_mov_b32_e32 v3, 0
	v_cmp_ne_u64_e32 vcc_lo, s[8:9], v[12:13]
	s_delay_alu instid0(VALU_DEP_2)
	v_add_nc_u64_e32 v[2:3], s[4:5], v[2:3]
	s_xor_b32 s7, s2, vcc_lo
	s_cmp_lt_i32 s3, 11
	s_cbranch_scc1 .LBB63_1955
; %bb.1878:
	s_mov_b32 s14, -1
	s_mov_b32 s10, 0
	s_cmp_gt_i32 s3, 25
	s_mov_b32 s13, 0
	s_mov_b32 s0, 0
	s_cbranch_scc0 .LBB63_1911
; %bb.1879:
	s_cmp_gt_i32 s3, 28
	s_cbranch_scc0 .LBB63_1894
; %bb.1880:
	s_cmp_gt_i32 s3, 43
	;; [unrolled: 3-line block ×3, first 2 shown]
	s_cbranch_scc0 .LBB63_1884
; %bb.1882:
	s_mov_b32 s0, -1
	s_mov_b32 s14, 0
	s_cmp_eq_u32 s3, 46
	s_cbranch_scc0 .LBB63_1884
; %bb.1883:
	v_cndmask_b32_e64 v1, 0, 1.0, s7
	s_mov_b32 s0, 0
	s_mov_b32 s13, -1
	s_delay_alu instid0(VALU_DEP_1) | instskip(NEXT) | instid1(VALU_DEP_1)
	v_bfe_u32 v4, v1, 16, 1
	v_add3_u32 v1, v1, v4, 0x7fff
	s_delay_alu instid0(VALU_DEP_1)
	v_lshrrev_b32_e32 v1, 16, v1
	global_store_b32 v[2:3], v1, off
.LBB63_1884:
	s_and_b32 vcc_lo, exec_lo, s14
	s_cbranch_vccz .LBB63_1889
; %bb.1885:
	s_cmp_eq_u32 s3, 44
	s_mov_b32 s0, -1
	s_cbranch_scc0 .LBB63_1889
; %bb.1886:
	v_cndmask_b32_e64 v5, 0, 1.0, s7
	s_mov_b32 s13, exec_lo
	s_wait_xcnt 0x0
	s_delay_alu instid0(VALU_DEP_1) | instskip(NEXT) | instid1(VALU_DEP_1)
	v_dual_mov_b32 v4, 0xff :: v_dual_lshrrev_b32 v1, 23, v5
	v_cmpx_ne_u32_e32 0xff, v1
; %bb.1887:
	v_and_b32_e32 v4, 0x400000, v5
	v_and_or_b32 v5, 0x3fffff, v5, v1
	s_delay_alu instid0(VALU_DEP_2) | instskip(NEXT) | instid1(VALU_DEP_2)
	v_cmp_ne_u32_e32 vcc_lo, 0, v4
	v_cmp_ne_u32_e64 s0, 0, v5
	s_and_b32 s0, vcc_lo, s0
	s_delay_alu instid0(SALU_CYCLE_1) | instskip(NEXT) | instid1(VALU_DEP_1)
	v_cndmask_b32_e64 v4, 0, 1, s0
	v_add_nc_u32_e32 v4, v1, v4
; %bb.1888:
	s_or_b32 exec_lo, exec_lo, s13
	s_mov_b32 s0, 0
	s_mov_b32 s13, -1
	global_store_b8 v[2:3], v4, off
.LBB63_1889:
	s_mov_b32 s14, 0
.LBB63_1890:
	s_delay_alu instid0(SALU_CYCLE_1)
	s_and_b32 vcc_lo, exec_lo, s14
	s_cbranch_vccz .LBB63_1893
; %bb.1891:
	s_cmp_eq_u32 s3, 29
	s_mov_b32 s0, -1
	s_cbranch_scc0 .LBB63_1893
; %bb.1892:
	s_mov_b32 s0, 0
	s_wait_xcnt 0x0
	v_cndmask_b32_e64 v4, 0, 1, s7
	v_mov_b32_e32 v5, s0
	s_mov_b32 s13, -1
	global_store_b64 v[2:3], v[4:5], off
.LBB63_1893:
	s_mov_b32 s14, 0
.LBB63_1894:
	s_delay_alu instid0(SALU_CYCLE_1)
	s_and_b32 vcc_lo, exec_lo, s14
	s_cbranch_vccz .LBB63_1910
; %bb.1895:
	s_cmp_lt_i32 s3, 27
	s_mov_b32 s13, -1
	s_cbranch_scc1 .LBB63_1901
; %bb.1896:
	s_cmp_gt_i32 s3, 27
	s_cbranch_scc0 .LBB63_1898
; %bb.1897:
	s_wait_xcnt 0x0
	v_cndmask_b32_e64 v1, 0, 1, s7
	s_mov_b32 s13, 0
	global_store_b32 v[2:3], v1, off
.LBB63_1898:
	s_and_not1_b32 vcc_lo, exec_lo, s13
	s_cbranch_vccnz .LBB63_1900
; %bb.1899:
	s_wait_xcnt 0x0
	v_cndmask_b32_e64 v1, 0, 1, s7
	global_store_b16 v[2:3], v1, off
.LBB63_1900:
	s_mov_b32 s13, 0
.LBB63_1901:
	s_delay_alu instid0(SALU_CYCLE_1)
	s_and_not1_b32 vcc_lo, exec_lo, s13
	s_cbranch_vccnz .LBB63_1909
; %bb.1902:
	s_wait_xcnt 0x0
	v_cndmask_b32_e64 v4, 0, 1.0, s7
	v_mov_b32_e32 v5, 0x80
	s_mov_b32 s13, exec_lo
	s_delay_alu instid0(VALU_DEP_2)
	v_cmpx_gt_u32_e32 0x43800000, v4
	s_cbranch_execz .LBB63_1908
; %bb.1903:
	s_mov_b32 s14, 0
	s_mov_b32 s15, exec_lo
                                        ; implicit-def: $vgpr1
	v_cmpx_lt_u32_e32 0x3bffffff, v4
	s_xor_b32 s15, exec_lo, s15
	s_cbranch_execz .LBB63_2129
; %bb.1904:
	v_bfe_u32 v1, v4, 20, 1
	s_mov_b32 s14, exec_lo
	s_delay_alu instid0(VALU_DEP_1) | instskip(NEXT) | instid1(VALU_DEP_1)
	v_add3_u32 v1, v4, v1, 0x487ffff
                                        ; implicit-def: $vgpr4
	v_lshrrev_b32_e32 v1, 20, v1
	s_and_not1_saveexec_b32 s15, s15
	s_cbranch_execnz .LBB63_2130
.LBB63_1905:
	s_or_b32 exec_lo, exec_lo, s15
	v_mov_b32_e32 v5, 0
	s_and_saveexec_b32 s15, s14
.LBB63_1906:
	v_mov_b32_e32 v5, v1
.LBB63_1907:
	s_or_b32 exec_lo, exec_lo, s15
.LBB63_1908:
	s_delay_alu instid0(SALU_CYCLE_1)
	s_or_b32 exec_lo, exec_lo, s13
	global_store_b8 v[2:3], v5, off
.LBB63_1909:
	s_mov_b32 s13, -1
.LBB63_1910:
	s_mov_b32 s14, 0
.LBB63_1911:
	s_delay_alu instid0(SALU_CYCLE_1)
	s_and_b32 vcc_lo, exec_lo, s14
	s_cbranch_vccz .LBB63_1951
; %bb.1912:
	s_cmp_gt_i32 s3, 22
	s_mov_b32 s10, -1
	s_cbranch_scc0 .LBB63_1944
; %bb.1913:
	s_cmp_lt_i32 s3, 24
	s_cbranch_scc1 .LBB63_1933
; %bb.1914:
	s_cmp_gt_i32 s3, 24
	s_cbranch_scc0 .LBB63_1922
; %bb.1915:
	s_wait_xcnt 0x0
	v_cndmask_b32_e64 v4, 0, 1.0, s7
	v_mov_b32_e32 v5, 0x80
	s_mov_b32 s10, exec_lo
	s_delay_alu instid0(VALU_DEP_2)
	v_cmpx_gt_u32_e32 0x47800000, v4
	s_cbranch_execz .LBB63_1921
; %bb.1916:
	s_mov_b32 s13, 0
	s_mov_b32 s14, exec_lo
                                        ; implicit-def: $vgpr1
	v_cmpx_lt_u32_e32 0x37ffffff, v4
	s_xor_b32 s14, exec_lo, s14
	s_cbranch_execz .LBB63_2132
; %bb.1917:
	v_bfe_u32 v1, v4, 21, 1
	s_mov_b32 s13, exec_lo
	s_delay_alu instid0(VALU_DEP_1) | instskip(NEXT) | instid1(VALU_DEP_1)
	v_add3_u32 v1, v4, v1, 0x88fffff
                                        ; implicit-def: $vgpr4
	v_lshrrev_b32_e32 v1, 21, v1
	s_and_not1_saveexec_b32 s14, s14
	s_cbranch_execnz .LBB63_2133
.LBB63_1918:
	s_or_b32 exec_lo, exec_lo, s14
	v_mov_b32_e32 v5, 0
	s_and_saveexec_b32 s14, s13
.LBB63_1919:
	v_mov_b32_e32 v5, v1
.LBB63_1920:
	s_or_b32 exec_lo, exec_lo, s14
.LBB63_1921:
	s_delay_alu instid0(SALU_CYCLE_1)
	s_or_b32 exec_lo, exec_lo, s10
	s_mov_b32 s10, 0
	global_store_b8 v[2:3], v5, off
.LBB63_1922:
	s_and_b32 vcc_lo, exec_lo, s10
	s_cbranch_vccz .LBB63_1932
; %bb.1923:
	s_wait_xcnt 0x0
	v_cndmask_b32_e64 v4, 0, 1.0, s7
	s_mov_b32 s10, exec_lo
                                        ; implicit-def: $vgpr1
	s_delay_alu instid0(VALU_DEP_1)
	v_cmpx_gt_u32_e32 0x43f00000, v4
	s_xor_b32 s10, exec_lo, s10
	s_cbranch_execz .LBB63_1929
; %bb.1924:
	s_mov_b32 s13, exec_lo
                                        ; implicit-def: $vgpr1
	v_cmpx_lt_u32_e32 0x3c7fffff, v4
	s_xor_b32 s13, exec_lo, s13
; %bb.1925:
	v_bfe_u32 v1, v4, 20, 1
	s_delay_alu instid0(VALU_DEP_1) | instskip(NEXT) | instid1(VALU_DEP_1)
	v_add3_u32 v1, v4, v1, 0x407ffff
	v_and_b32_e32 v4, 0xff00000, v1
	v_lshrrev_b32_e32 v1, 20, v1
	s_delay_alu instid0(VALU_DEP_2) | instskip(NEXT) | instid1(VALU_DEP_2)
	v_cmp_ne_u32_e32 vcc_lo, 0x7f00000, v4
                                        ; implicit-def: $vgpr4
	v_cndmask_b32_e32 v1, 0x7e, v1, vcc_lo
; %bb.1926:
	s_and_not1_saveexec_b32 s13, s13
; %bb.1927:
	v_add_f32_e32 v1, 0x46800000, v4
; %bb.1928:
	s_or_b32 exec_lo, exec_lo, s13
                                        ; implicit-def: $vgpr4
.LBB63_1929:
	s_and_not1_saveexec_b32 s10, s10
; %bb.1930:
	v_mov_b32_e32 v1, 0x7f
	v_cmp_lt_u32_e32 vcc_lo, 0x7f800000, v4
	s_delay_alu instid0(VALU_DEP_2)
	v_cndmask_b32_e32 v1, 0x7e, v1, vcc_lo
; %bb.1931:
	s_or_b32 exec_lo, exec_lo, s10
	global_store_b8 v[2:3], v1, off
.LBB63_1932:
	s_mov_b32 s10, 0
.LBB63_1933:
	s_delay_alu instid0(SALU_CYCLE_1)
	s_and_not1_b32 vcc_lo, exec_lo, s10
	s_cbranch_vccnz .LBB63_1943
; %bb.1934:
	s_wait_xcnt 0x0
	v_cndmask_b32_e64 v4, 0, 1.0, s7
	s_mov_b32 s10, exec_lo
                                        ; implicit-def: $vgpr1
	s_delay_alu instid0(VALU_DEP_1)
	v_cmpx_gt_u32_e32 0x47800000, v4
	s_xor_b32 s10, exec_lo, s10
	s_cbranch_execz .LBB63_1940
; %bb.1935:
	s_mov_b32 s13, exec_lo
                                        ; implicit-def: $vgpr1
	v_cmpx_lt_u32_e32 0x387fffff, v4
	s_xor_b32 s13, exec_lo, s13
; %bb.1936:
	v_bfe_u32 v1, v4, 21, 1
	s_delay_alu instid0(VALU_DEP_1) | instskip(NEXT) | instid1(VALU_DEP_1)
	v_add3_u32 v1, v4, v1, 0x80fffff
                                        ; implicit-def: $vgpr4
	v_lshrrev_b32_e32 v1, 21, v1
; %bb.1937:
	s_and_not1_saveexec_b32 s13, s13
; %bb.1938:
	v_add_f32_e32 v1, 0x43000000, v4
; %bb.1939:
	s_or_b32 exec_lo, exec_lo, s13
                                        ; implicit-def: $vgpr4
.LBB63_1940:
	s_and_not1_saveexec_b32 s10, s10
; %bb.1941:
	v_mov_b32_e32 v1, 0x7f
	v_cmp_lt_u32_e32 vcc_lo, 0x7f800000, v4
	s_delay_alu instid0(VALU_DEP_2)
	v_cndmask_b32_e32 v1, 0x7c, v1, vcc_lo
; %bb.1942:
	s_or_b32 exec_lo, exec_lo, s10
	global_store_b8 v[2:3], v1, off
.LBB63_1943:
	s_mov_b32 s10, 0
	s_mov_b32 s13, -1
.LBB63_1944:
	s_and_not1_b32 vcc_lo, exec_lo, s10
	s_mov_b32 s10, 0
	s_cbranch_vccnz .LBB63_1951
; %bb.1945:
	s_cmp_gt_i32 s3, 14
	s_mov_b32 s10, -1
	s_cbranch_scc0 .LBB63_1949
; %bb.1946:
	s_cmp_eq_u32 s3, 15
	s_mov_b32 s0, -1
	s_cbranch_scc0 .LBB63_1948
; %bb.1947:
	s_wait_xcnt 0x0
	v_cndmask_b32_e64 v1, 0, 1.0, s7
	s_mov_b32 s0, 0
	s_mov_b32 s13, -1
	s_delay_alu instid0(VALU_DEP_1) | instskip(NEXT) | instid1(VALU_DEP_1)
	v_bfe_u32 v4, v1, 16, 1
	v_add3_u32 v1, v1, v4, 0x7fff
	global_store_d16_hi_b16 v[2:3], v1, off
.LBB63_1948:
	s_mov_b32 s10, 0
.LBB63_1949:
	s_delay_alu instid0(SALU_CYCLE_1)
	s_and_b32 vcc_lo, exec_lo, s10
	s_mov_b32 s10, 0
	s_cbranch_vccz .LBB63_1951
; %bb.1950:
	s_cmp_lg_u32 s3, 11
	s_mov_b32 s10, -1
	s_cselect_b32 s0, -1, 0
.LBB63_1951:
	s_delay_alu instid0(SALU_CYCLE_1)
	s_and_b32 vcc_lo, exec_lo, s0
	s_cbranch_vccnz .LBB63_2131
; %bb.1952:
	s_and_not1_b32 vcc_lo, exec_lo, s10
	s_cbranch_vccnz .LBB63_1954
.LBB63_1953:
	s_wait_xcnt 0x0
	v_cndmask_b32_e64 v1, 0, 1, s7
	s_mov_b32 s13, -1
	global_store_b8 v[2:3], v1, off
.LBB63_1954:
	s_mov_b32 s0, 0
	s_branch .LBB63_1956
.LBB63_1955:
	s_mov_b32 s0, -1
	s_mov_b32 s13, 0
.LBB63_1956:
	s_and_b32 vcc_lo, exec_lo, s0
	s_cbranch_vccz .LBB63_1995
; %bb.1957:
	s_cmp_lt_i32 s3, 5
	s_mov_b32 s0, -1
	s_cbranch_scc1 .LBB63_1978
; %bb.1958:
	s_cmp_lt_i32 s3, 8
	s_cbranch_scc1 .LBB63_1968
; %bb.1959:
	s_cmp_lt_i32 s3, 9
	s_cbranch_scc1 .LBB63_1965
; %bb.1960:
	s_cmp_gt_i32 s3, 9
	s_cbranch_scc0 .LBB63_1962
; %bb.1961:
	s_wait_xcnt 0x0
	v_cndmask_b32_e64 v1, 0, 1, s7
	v_mov_b32_e32 v6, 0
	s_mov_b32 s0, 0
	s_delay_alu instid0(VALU_DEP_2) | instskip(NEXT) | instid1(VALU_DEP_2)
	v_cvt_f64_u32_e32 v[4:5], v1
	v_mov_b32_e32 v7, v6
	global_store_b128 v[2:3], v[4:7], off
.LBB63_1962:
	s_and_not1_b32 vcc_lo, exec_lo, s0
	s_cbranch_vccnz .LBB63_1964
; %bb.1963:
	s_wait_xcnt 0x0
	v_cndmask_b32_e64 v4, 0, 1.0, s7
	v_mov_b32_e32 v5, 0
	global_store_b64 v[2:3], v[4:5], off
.LBB63_1964:
	s_mov_b32 s0, 0
.LBB63_1965:
	s_delay_alu instid0(SALU_CYCLE_1)
	s_and_not1_b32 vcc_lo, exec_lo, s0
	s_cbranch_vccnz .LBB63_1967
; %bb.1966:
	s_wait_xcnt 0x0
	v_cndmask_b32_e64 v1, 0, 1.0, s7
	s_delay_alu instid0(VALU_DEP_1) | instskip(NEXT) | instid1(VALU_DEP_1)
	v_cvt_f16_f32_e32 v1, v1
	v_and_b32_e32 v1, 0xffff, v1
	global_store_b32 v[2:3], v1, off
.LBB63_1967:
	s_mov_b32 s0, 0
.LBB63_1968:
	s_delay_alu instid0(SALU_CYCLE_1)
	s_and_not1_b32 vcc_lo, exec_lo, s0
	s_cbranch_vccnz .LBB63_1977
; %bb.1969:
	s_cmp_lt_i32 s3, 6
	s_mov_b32 s0, -1
	s_cbranch_scc1 .LBB63_1975
; %bb.1970:
	s_cmp_gt_i32 s3, 6
	s_cbranch_scc0 .LBB63_1972
; %bb.1971:
	s_wait_xcnt 0x0
	v_cndmask_b32_e64 v1, 0, 1, s7
	s_mov_b32 s0, 0
	s_delay_alu instid0(VALU_DEP_1)
	v_cvt_f64_u32_e32 v[4:5], v1
	global_store_b64 v[2:3], v[4:5], off
.LBB63_1972:
	s_and_not1_b32 vcc_lo, exec_lo, s0
	s_cbranch_vccnz .LBB63_1974
; %bb.1973:
	s_wait_xcnt 0x0
	v_cndmask_b32_e64 v1, 0, 1.0, s7
	global_store_b32 v[2:3], v1, off
.LBB63_1974:
	s_mov_b32 s0, 0
.LBB63_1975:
	s_delay_alu instid0(SALU_CYCLE_1)
	s_and_not1_b32 vcc_lo, exec_lo, s0
	s_cbranch_vccnz .LBB63_1977
; %bb.1976:
	s_wait_xcnt 0x0
	v_cndmask_b32_e64 v1, 0, 1.0, s7
	s_delay_alu instid0(VALU_DEP_1)
	v_cvt_f16_f32_e32 v1, v1
	global_store_b16 v[2:3], v1, off
.LBB63_1977:
	s_mov_b32 s0, 0
.LBB63_1978:
	s_delay_alu instid0(SALU_CYCLE_1)
	s_and_not1_b32 vcc_lo, exec_lo, s0
	s_cbranch_vccnz .LBB63_1994
; %bb.1979:
	s_cmp_lt_i32 s3, 2
	s_mov_b32 s0, -1
	s_cbranch_scc1 .LBB63_1989
; %bb.1980:
	s_cmp_lt_i32 s3, 3
	s_cbranch_scc1 .LBB63_1986
; %bb.1981:
	s_cmp_gt_i32 s3, 3
	s_cbranch_scc0 .LBB63_1983
; %bb.1982:
	s_mov_b32 s0, 0
	s_wait_xcnt 0x0
	v_cndmask_b32_e64 v4, 0, 1, s7
	v_mov_b32_e32 v5, s0
	global_store_b64 v[2:3], v[4:5], off
.LBB63_1983:
	s_and_not1_b32 vcc_lo, exec_lo, s0
	s_cbranch_vccnz .LBB63_1985
; %bb.1984:
	s_wait_xcnt 0x0
	v_cndmask_b32_e64 v1, 0, 1, s7
	global_store_b32 v[2:3], v1, off
.LBB63_1985:
	s_mov_b32 s0, 0
.LBB63_1986:
	s_delay_alu instid0(SALU_CYCLE_1)
	s_and_not1_b32 vcc_lo, exec_lo, s0
	s_cbranch_vccnz .LBB63_1988
; %bb.1987:
	s_wait_xcnt 0x0
	v_cndmask_b32_e64 v1, 0, 1, s7
	global_store_b16 v[2:3], v1, off
.LBB63_1988:
	s_mov_b32 s0, 0
.LBB63_1989:
	s_delay_alu instid0(SALU_CYCLE_1)
	s_and_not1_b32 vcc_lo, exec_lo, s0
	s_cbranch_vccnz .LBB63_1994
; %bb.1990:
	s_cmp_gt_i32 s3, 0
	s_mov_b32 s0, -1
	s_cbranch_scc0 .LBB63_1992
; %bb.1991:
	s_wait_xcnt 0x0
	v_cndmask_b32_e64 v1, 0, 1, s7
	s_mov_b32 s0, 0
	global_store_b8 v[2:3], v1, off
.LBB63_1992:
	s_and_not1_b32 vcc_lo, exec_lo, s0
	s_cbranch_vccnz .LBB63_1994
; %bb.1993:
	s_wait_xcnt 0x0
	v_cndmask_b32_e64 v1, 0, 1, s7
	global_store_b8 v[2:3], v1, off
.LBB63_1994:
	s_mov_b32 s13, -1
.LBB63_1995:
	s_delay_alu instid0(SALU_CYCLE_1)
	s_and_not1_b32 vcc_lo, exec_lo, s13
	s_cbranch_vccnz .LBB63_2072
; %bb.1996:
	s_wait_xcnt 0x0
	v_mov_b32_e32 v1, 0
	v_cmp_ne_u64_e32 vcc_lo, s[8:9], v[14:15]
	s_delay_alu instid0(VALU_DEP_2)
	v_add_nc_u64_e32 v[2:3], s[4:5], v[0:1]
	s_xor_b32 s4, s2, vcc_lo
	s_cmp_lt_i32 s3, 11
	s_cbranch_scc1 .LBB63_2117
; %bb.1997:
	s_mov_b32 s5, -1
	s_mov_b32 s2, 0
	s_cmp_gt_i32 s3, 25
	s_mov_b32 s0, 0
	s_cbranch_scc0 .LBB63_2030
; %bb.1998:
	s_cmp_gt_i32 s3, 28
	s_cbranch_scc0 .LBB63_2014
; %bb.1999:
	s_cmp_gt_i32 s3, 43
	;; [unrolled: 3-line block ×3, first 2 shown]
	s_cbranch_scc0 .LBB63_2004
; %bb.2001:
	s_cmp_eq_u32 s3, 46
	s_mov_b32 s0, -1
	s_cbranch_scc0 .LBB63_2003
; %bb.2002:
	v_cndmask_b32_e64 v0, 0, 1.0, s4
	s_mov_b32 s0, 0
	s_delay_alu instid0(VALU_DEP_1) | instskip(NEXT) | instid1(VALU_DEP_1)
	v_bfe_u32 v1, v0, 16, 1
	v_add3_u32 v0, v0, v1, 0x7fff
	s_delay_alu instid0(VALU_DEP_1)
	v_lshrrev_b32_e32 v0, 16, v0
	global_store_b32 v[2:3], v0, off
.LBB63_2003:
	s_mov_b32 s5, 0
.LBB63_2004:
	s_delay_alu instid0(SALU_CYCLE_1)
	s_and_b32 vcc_lo, exec_lo, s5
	s_cbranch_vccz .LBB63_2009
; %bb.2005:
	s_cmp_eq_u32 s3, 44
	s_mov_b32 s0, -1
	s_cbranch_scc0 .LBB63_2009
; %bb.2006:
	v_cndmask_b32_e64 v4, 0, 1.0, s4
	s_mov_b32 s5, exec_lo
	s_wait_xcnt 0x0
	s_delay_alu instid0(VALU_DEP_1) | instskip(NEXT) | instid1(VALU_DEP_1)
	v_dual_mov_b32 v1, 0xff :: v_dual_lshrrev_b32 v0, 23, v4
	v_cmpx_ne_u32_e32 0xff, v0
; %bb.2007:
	v_and_b32_e32 v1, 0x400000, v4
	v_and_or_b32 v4, 0x3fffff, v4, v0
	s_delay_alu instid0(VALU_DEP_2) | instskip(NEXT) | instid1(VALU_DEP_2)
	v_cmp_ne_u32_e32 vcc_lo, 0, v1
	v_cmp_ne_u32_e64 s0, 0, v4
	s_and_b32 s0, vcc_lo, s0
	s_delay_alu instid0(SALU_CYCLE_1) | instskip(NEXT) | instid1(VALU_DEP_1)
	v_cndmask_b32_e64 v1, 0, 1, s0
	v_add_nc_u32_e32 v1, v0, v1
; %bb.2008:
	s_or_b32 exec_lo, exec_lo, s5
	s_mov_b32 s0, 0
	global_store_b8 v[2:3], v1, off
.LBB63_2009:
	s_mov_b32 s5, 0
.LBB63_2010:
	s_delay_alu instid0(SALU_CYCLE_1)
	s_and_b32 vcc_lo, exec_lo, s5
	s_cbranch_vccz .LBB63_2013
; %bb.2011:
	s_cmp_eq_u32 s3, 29
	s_mov_b32 s0, -1
	s_cbranch_scc0 .LBB63_2013
; %bb.2012:
	s_mov_b32 s0, 0
	s_wait_xcnt 0x0
	v_cndmask_b32_e64 v0, 0, 1, s4
	v_mov_b32_e32 v1, s0
	global_store_b64 v[2:3], v[0:1], off
.LBB63_2013:
	s_mov_b32 s5, 0
.LBB63_2014:
	s_delay_alu instid0(SALU_CYCLE_1)
	s_and_b32 vcc_lo, exec_lo, s5
	s_cbranch_vccz .LBB63_2029
; %bb.2015:
	s_cmp_lt_i32 s3, 27
	s_mov_b32 s5, -1
	s_cbranch_scc1 .LBB63_2021
; %bb.2016:
	s_cmp_gt_i32 s3, 27
	s_cbranch_scc0 .LBB63_2018
; %bb.2017:
	s_wait_xcnt 0x0
	v_cndmask_b32_e64 v0, 0, 1, s4
	s_mov_b32 s5, 0
	global_store_b32 v[2:3], v0, off
.LBB63_2018:
	s_and_not1_b32 vcc_lo, exec_lo, s5
	s_cbranch_vccnz .LBB63_2020
; %bb.2019:
	s_wait_xcnt 0x0
	v_cndmask_b32_e64 v0, 0, 1, s4
	global_store_b16 v[2:3], v0, off
.LBB63_2020:
	s_mov_b32 s5, 0
.LBB63_2021:
	s_delay_alu instid0(SALU_CYCLE_1)
	s_and_not1_b32 vcc_lo, exec_lo, s5
	s_cbranch_vccnz .LBB63_2029
; %bb.2022:
	s_wait_xcnt 0x0
	v_cndmask_b32_e64 v1, 0, 1.0, s4
	v_mov_b32_e32 v4, 0x80
	s_mov_b32 s5, exec_lo
	s_delay_alu instid0(VALU_DEP_2)
	v_cmpx_gt_u32_e32 0x43800000, v1
	s_cbranch_execz .LBB63_2028
; %bb.2023:
	s_mov_b32 s7, 0
	s_mov_b32 s8, exec_lo
                                        ; implicit-def: $vgpr0
	v_cmpx_lt_u32_e32 0x3bffffff, v1
	s_xor_b32 s8, exec_lo, s8
	s_cbranch_execz .LBB63_2134
; %bb.2024:
	v_bfe_u32 v0, v1, 20, 1
	s_mov_b32 s7, exec_lo
	s_delay_alu instid0(VALU_DEP_1) | instskip(NEXT) | instid1(VALU_DEP_1)
	v_add3_u32 v0, v1, v0, 0x487ffff
                                        ; implicit-def: $vgpr1
	v_lshrrev_b32_e32 v0, 20, v0
	s_and_not1_saveexec_b32 s8, s8
	s_cbranch_execnz .LBB63_2135
.LBB63_2025:
	s_or_b32 exec_lo, exec_lo, s8
	v_mov_b32_e32 v4, 0
	s_and_saveexec_b32 s8, s7
.LBB63_2026:
	v_mov_b32_e32 v4, v0
.LBB63_2027:
	s_or_b32 exec_lo, exec_lo, s8
.LBB63_2028:
	s_delay_alu instid0(SALU_CYCLE_1)
	s_or_b32 exec_lo, exec_lo, s5
	global_store_b8 v[2:3], v4, off
.LBB63_2029:
	s_mov_b32 s5, 0
.LBB63_2030:
	s_delay_alu instid0(SALU_CYCLE_1)
	s_and_b32 vcc_lo, exec_lo, s5
	s_cbranch_vccz .LBB63_2070
; %bb.2031:
	s_cmp_gt_i32 s3, 22
	s_mov_b32 s2, -1
	s_cbranch_scc0 .LBB63_2063
; %bb.2032:
	s_cmp_lt_i32 s3, 24
	s_cbranch_scc1 .LBB63_2052
; %bb.2033:
	s_cmp_gt_i32 s3, 24
	s_cbranch_scc0 .LBB63_2041
; %bb.2034:
	s_wait_xcnt 0x0
	v_cndmask_b32_e64 v1, 0, 1.0, s4
	v_mov_b32_e32 v4, 0x80
	s_mov_b32 s2, exec_lo
	s_delay_alu instid0(VALU_DEP_2)
	v_cmpx_gt_u32_e32 0x47800000, v1
	s_cbranch_execz .LBB63_2040
; %bb.2035:
	s_mov_b32 s5, 0
	s_mov_b32 s7, exec_lo
                                        ; implicit-def: $vgpr0
	v_cmpx_lt_u32_e32 0x37ffffff, v1
	s_xor_b32 s7, exec_lo, s7
	s_cbranch_execz .LBB63_2137
; %bb.2036:
	v_bfe_u32 v0, v1, 21, 1
	s_mov_b32 s5, exec_lo
	s_delay_alu instid0(VALU_DEP_1) | instskip(NEXT) | instid1(VALU_DEP_1)
	v_add3_u32 v0, v1, v0, 0x88fffff
                                        ; implicit-def: $vgpr1
	v_lshrrev_b32_e32 v0, 21, v0
	s_and_not1_saveexec_b32 s7, s7
	s_cbranch_execnz .LBB63_2138
.LBB63_2037:
	s_or_b32 exec_lo, exec_lo, s7
	v_mov_b32_e32 v4, 0
	s_and_saveexec_b32 s7, s5
.LBB63_2038:
	v_mov_b32_e32 v4, v0
.LBB63_2039:
	s_or_b32 exec_lo, exec_lo, s7
.LBB63_2040:
	s_delay_alu instid0(SALU_CYCLE_1)
	s_or_b32 exec_lo, exec_lo, s2
	s_mov_b32 s2, 0
	global_store_b8 v[2:3], v4, off
.LBB63_2041:
	s_and_b32 vcc_lo, exec_lo, s2
	s_cbranch_vccz .LBB63_2051
; %bb.2042:
	s_wait_xcnt 0x0
	v_cndmask_b32_e64 v1, 0, 1.0, s4
	s_mov_b32 s2, exec_lo
                                        ; implicit-def: $vgpr0
	s_delay_alu instid0(VALU_DEP_1)
	v_cmpx_gt_u32_e32 0x43f00000, v1
	s_xor_b32 s2, exec_lo, s2
	s_cbranch_execz .LBB63_2048
; %bb.2043:
	s_mov_b32 s5, exec_lo
                                        ; implicit-def: $vgpr0
	v_cmpx_lt_u32_e32 0x3c7fffff, v1
	s_xor_b32 s5, exec_lo, s5
; %bb.2044:
	v_bfe_u32 v0, v1, 20, 1
	s_delay_alu instid0(VALU_DEP_1) | instskip(NEXT) | instid1(VALU_DEP_1)
	v_add3_u32 v0, v1, v0, 0x407ffff
	v_and_b32_e32 v1, 0xff00000, v0
	v_lshrrev_b32_e32 v0, 20, v0
	s_delay_alu instid0(VALU_DEP_2) | instskip(NEXT) | instid1(VALU_DEP_2)
	v_cmp_ne_u32_e32 vcc_lo, 0x7f00000, v1
                                        ; implicit-def: $vgpr1
	v_cndmask_b32_e32 v0, 0x7e, v0, vcc_lo
; %bb.2045:
	s_and_not1_saveexec_b32 s5, s5
; %bb.2046:
	v_add_f32_e32 v0, 0x46800000, v1
; %bb.2047:
	s_or_b32 exec_lo, exec_lo, s5
                                        ; implicit-def: $vgpr1
.LBB63_2048:
	s_and_not1_saveexec_b32 s2, s2
; %bb.2049:
	v_mov_b32_e32 v0, 0x7f
	v_cmp_lt_u32_e32 vcc_lo, 0x7f800000, v1
	s_delay_alu instid0(VALU_DEP_2)
	v_cndmask_b32_e32 v0, 0x7e, v0, vcc_lo
; %bb.2050:
	s_or_b32 exec_lo, exec_lo, s2
	global_store_b8 v[2:3], v0, off
.LBB63_2051:
	s_mov_b32 s2, 0
.LBB63_2052:
	s_delay_alu instid0(SALU_CYCLE_1)
	s_and_not1_b32 vcc_lo, exec_lo, s2
	s_cbranch_vccnz .LBB63_2062
; %bb.2053:
	s_wait_xcnt 0x0
	v_cndmask_b32_e64 v1, 0, 1.0, s4
	s_mov_b32 s2, exec_lo
                                        ; implicit-def: $vgpr0
	s_delay_alu instid0(VALU_DEP_1)
	v_cmpx_gt_u32_e32 0x47800000, v1
	s_xor_b32 s2, exec_lo, s2
	s_cbranch_execz .LBB63_2059
; %bb.2054:
	s_mov_b32 s5, exec_lo
                                        ; implicit-def: $vgpr0
	v_cmpx_lt_u32_e32 0x387fffff, v1
	s_xor_b32 s5, exec_lo, s5
; %bb.2055:
	v_bfe_u32 v0, v1, 21, 1
	s_delay_alu instid0(VALU_DEP_1) | instskip(NEXT) | instid1(VALU_DEP_1)
	v_add3_u32 v0, v1, v0, 0x80fffff
                                        ; implicit-def: $vgpr1
	v_lshrrev_b32_e32 v0, 21, v0
; %bb.2056:
	s_and_not1_saveexec_b32 s5, s5
; %bb.2057:
	v_add_f32_e32 v0, 0x43000000, v1
; %bb.2058:
	s_or_b32 exec_lo, exec_lo, s5
                                        ; implicit-def: $vgpr1
.LBB63_2059:
	s_and_not1_saveexec_b32 s2, s2
; %bb.2060:
	v_mov_b32_e32 v0, 0x7f
	v_cmp_lt_u32_e32 vcc_lo, 0x7f800000, v1
	s_delay_alu instid0(VALU_DEP_2)
	v_cndmask_b32_e32 v0, 0x7c, v0, vcc_lo
; %bb.2061:
	s_or_b32 exec_lo, exec_lo, s2
	global_store_b8 v[2:3], v0, off
.LBB63_2062:
	s_mov_b32 s2, 0
.LBB63_2063:
	s_delay_alu instid0(SALU_CYCLE_1)
	s_and_not1_b32 vcc_lo, exec_lo, s2
	s_mov_b32 s2, 0
	s_cbranch_vccnz .LBB63_2070
; %bb.2064:
	s_cmp_gt_i32 s3, 14
	s_mov_b32 s2, -1
	s_cbranch_scc0 .LBB63_2068
; %bb.2065:
	s_cmp_eq_u32 s3, 15
	s_mov_b32 s0, -1
	s_cbranch_scc0 .LBB63_2067
; %bb.2066:
	s_wait_xcnt 0x0
	v_cndmask_b32_e64 v0, 0, 1.0, s4
	s_mov_b32 s0, 0
	s_delay_alu instid0(VALU_DEP_1) | instskip(NEXT) | instid1(VALU_DEP_1)
	v_bfe_u32 v1, v0, 16, 1
	v_add3_u32 v0, v0, v1, 0x7fff
	global_store_d16_hi_b16 v[2:3], v0, off
.LBB63_2067:
	s_mov_b32 s2, 0
.LBB63_2068:
	s_delay_alu instid0(SALU_CYCLE_1)
	s_and_b32 vcc_lo, exec_lo, s2
	s_mov_b32 s2, 0
	s_cbranch_vccz .LBB63_2070
; %bb.2069:
	s_cmp_lg_u32 s3, 11
	s_mov_b32 s2, -1
	s_cselect_b32 s0, -1, 0
.LBB63_2070:
	s_delay_alu instid0(SALU_CYCLE_1)
	s_and_b32 vcc_lo, exec_lo, s0
	s_cbranch_vccnz .LBB63_2136
.LBB63_2071:
	s_mov_b32 s0, 0
	s_branch .LBB63_2073
.LBB63_2072:
	s_mov_b32 s0, 0
	s_wait_xcnt 0x0
	s_mov_b32 s2, 0
                                        ; implicit-def: $sgpr4
                                        ; implicit-def: $vgpr2_vgpr3
                                        ; implicit-def: $sgpr6
.LBB63_2073:
	s_and_not1_b32 s3, s11, exec_lo
	s_and_b32 s1, s1, exec_lo
	s_and_b32 s0, s0, exec_lo
	;; [unrolled: 1-line block ×3, first 2 shown]
	s_or_b32 s11, s3, s1
.LBB63_2074:
	s_wait_xcnt 0x0
	s_or_b32 exec_lo, exec_lo, s12
	s_and_saveexec_b32 s1, s11
	s_cbranch_execz .LBB63_2077
; %bb.2075:
	; divergent unreachable
	s_or_b32 exec_lo, exec_lo, s1
	s_and_saveexec_b32 s1, s34
	s_delay_alu instid0(SALU_CYCLE_1)
	s_xor_b32 s1, exec_lo, s1
	s_cbranch_execnz .LBB63_2078
.LBB63_2076:
	s_or_b32 exec_lo, exec_lo, s1
	s_and_saveexec_b32 s1, s0
	s_cbranch_execnz .LBB63_2079
	s_branch .LBB63_2116
.LBB63_2077:
	s_or_b32 exec_lo, exec_lo, s1
	s_and_saveexec_b32 s1, s34
	s_delay_alu instid0(SALU_CYCLE_1)
	s_xor_b32 s1, exec_lo, s1
	s_cbranch_execz .LBB63_2076
.LBB63_2078:
	v_cndmask_b32_e64 v0, 0, 1, s4
	global_store_b8 v[2:3], v0, off
	s_wait_xcnt 0x0
	s_or_b32 exec_lo, exec_lo, s1
	s_and_saveexec_b32 s1, s0
	s_cbranch_execz .LBB63_2116
.LBB63_2079:
	s_sext_i32_i16 s1, s6
	s_mov_b32 s0, -1
	s_cmp_lt_i32 s1, 5
	s_cbranch_scc1 .LBB63_2100
; %bb.2080:
	s_cmp_lt_i32 s1, 8
	s_cbranch_scc1 .LBB63_2090
; %bb.2081:
	;; [unrolled: 3-line block ×3, first 2 shown]
	s_cmp_gt_i32 s1, 9
	s_cbranch_scc0 .LBB63_2084
; %bb.2083:
	v_cndmask_b32_e64 v0, 0, 1, s4
	s_wait_loadcnt 0x0
	v_mov_b32_e32 v6, 0
	s_mov_b32 s0, 0
	s_delay_alu instid0(VALU_DEP_2) | instskip(NEXT) | instid1(VALU_DEP_2)
	v_cvt_f64_u32_e32 v[4:5], v0
	v_mov_b32_e32 v7, v6
	global_store_b128 v[2:3], v[4:7], off
.LBB63_2084:
	s_and_not1_b32 vcc_lo, exec_lo, s0
	s_cbranch_vccnz .LBB63_2086
; %bb.2085:
	v_cndmask_b32_e64 v0, 0, 1.0, s4
	v_mov_b32_e32 v1, 0
	global_store_b64 v[2:3], v[0:1], off
.LBB63_2086:
	s_mov_b32 s0, 0
.LBB63_2087:
	s_delay_alu instid0(SALU_CYCLE_1)
	s_and_not1_b32 vcc_lo, exec_lo, s0
	s_cbranch_vccnz .LBB63_2089
; %bb.2088:
	s_wait_xcnt 0x0
	v_cndmask_b32_e64 v0, 0, 1.0, s4
	s_delay_alu instid0(VALU_DEP_1) | instskip(NEXT) | instid1(VALU_DEP_1)
	v_cvt_f16_f32_e32 v0, v0
	v_and_b32_e32 v0, 0xffff, v0
	global_store_b32 v[2:3], v0, off
.LBB63_2089:
	s_mov_b32 s0, 0
.LBB63_2090:
	s_delay_alu instid0(SALU_CYCLE_1)
	s_and_not1_b32 vcc_lo, exec_lo, s0
	s_cbranch_vccnz .LBB63_2099
; %bb.2091:
	s_sext_i32_i16 s1, s6
	s_mov_b32 s0, -1
	s_cmp_lt_i32 s1, 6
	s_cbranch_scc1 .LBB63_2097
; %bb.2092:
	s_cmp_gt_i32 s1, 6
	s_cbranch_scc0 .LBB63_2094
; %bb.2093:
	s_wait_xcnt 0x0
	v_cndmask_b32_e64 v0, 0, 1, s4
	s_mov_b32 s0, 0
	s_delay_alu instid0(VALU_DEP_1)
	v_cvt_f64_u32_e32 v[0:1], v0
	global_store_b64 v[2:3], v[0:1], off
.LBB63_2094:
	s_and_not1_b32 vcc_lo, exec_lo, s0
	s_cbranch_vccnz .LBB63_2096
; %bb.2095:
	s_wait_xcnt 0x0
	v_cndmask_b32_e64 v0, 0, 1.0, s4
	global_store_b32 v[2:3], v0, off
.LBB63_2096:
	s_mov_b32 s0, 0
.LBB63_2097:
	s_delay_alu instid0(SALU_CYCLE_1)
	s_and_not1_b32 vcc_lo, exec_lo, s0
	s_cbranch_vccnz .LBB63_2099
; %bb.2098:
	s_wait_xcnt 0x0
	v_cndmask_b32_e64 v0, 0, 1.0, s4
	s_delay_alu instid0(VALU_DEP_1)
	v_cvt_f16_f32_e32 v0, v0
	global_store_b16 v[2:3], v0, off
.LBB63_2099:
	s_mov_b32 s0, 0
.LBB63_2100:
	s_delay_alu instid0(SALU_CYCLE_1)
	s_and_not1_b32 vcc_lo, exec_lo, s0
	s_cbranch_vccnz .LBB63_2116
; %bb.2101:
	s_sext_i32_i16 s1, s6
	s_mov_b32 s0, -1
	s_cmp_lt_i32 s1, 2
	s_cbranch_scc1 .LBB63_2111
; %bb.2102:
	s_cmp_lt_i32 s1, 3
	s_cbranch_scc1 .LBB63_2108
; %bb.2103:
	s_cmp_gt_i32 s1, 3
	s_cbranch_scc0 .LBB63_2105
; %bb.2104:
	s_mov_b32 s0, 0
	s_wait_xcnt 0x0
	v_cndmask_b32_e64 v0, 0, 1, s4
	v_mov_b32_e32 v1, s0
	global_store_b64 v[2:3], v[0:1], off
.LBB63_2105:
	s_and_not1_b32 vcc_lo, exec_lo, s0
	s_cbranch_vccnz .LBB63_2107
; %bb.2106:
	s_wait_xcnt 0x0
	v_cndmask_b32_e64 v0, 0, 1, s4
	global_store_b32 v[2:3], v0, off
.LBB63_2107:
	s_mov_b32 s0, 0
.LBB63_2108:
	s_delay_alu instid0(SALU_CYCLE_1)
	s_and_not1_b32 vcc_lo, exec_lo, s0
	s_cbranch_vccnz .LBB63_2110
; %bb.2109:
	s_wait_xcnt 0x0
	v_cndmask_b32_e64 v0, 0, 1, s4
	global_store_b16 v[2:3], v0, off
.LBB63_2110:
	s_mov_b32 s0, 0
.LBB63_2111:
	s_delay_alu instid0(SALU_CYCLE_1)
	s_and_not1_b32 vcc_lo, exec_lo, s0
	s_cbranch_vccnz .LBB63_2116
; %bb.2112:
	s_sext_i32_i16 s0, s6
	s_delay_alu instid0(SALU_CYCLE_1)
	s_cmp_gt_i32 s0, 0
	s_mov_b32 s0, -1
	s_cbranch_scc0 .LBB63_2114
; %bb.2113:
	s_wait_xcnt 0x0
	v_cndmask_b32_e64 v0, 0, 1, s4
	s_mov_b32 s0, 0
	global_store_b8 v[2:3], v0, off
.LBB63_2114:
	s_and_not1_b32 vcc_lo, exec_lo, s0
	s_cbranch_vccnz .LBB63_2116
; %bb.2115:
	s_wait_xcnt 0x0
	v_cndmask_b32_e64 v0, 0, 1, s4
	global_store_b8 v[2:3], v0, off
	s_endpgm
.LBB63_2116:
	s_endpgm
.LBB63_2117:
	s_mov_b32 s2, 0
	s_mov_b32 s0, -1
	s_branch .LBB63_2073
.LBB63_2118:
	s_or_b32 s1, s1, exec_lo
	s_trap 2
	s_cbranch_execz .LBB63_1588
	s_branch .LBB63_1589
.LBB63_2119:
	s_and_not1_saveexec_b32 s15, s15
	s_cbranch_execz .LBB63_1668
.LBB63_2120:
	v_add_f32_e32 v1, 0x46000000, v3
	s_and_not1_b32 s14, s14, exec_lo
	s_delay_alu instid0(VALU_DEP_1) | instskip(NEXT) | instid1(VALU_DEP_1)
	v_and_b32_e32 v1, 0xff, v1
	v_cmp_ne_u32_e32 vcc_lo, 0, v1
	s_and_b32 s16, vcc_lo, exec_lo
	s_delay_alu instid0(SALU_CYCLE_1)
	s_or_b32 s14, s14, s16
	s_or_b32 exec_lo, exec_lo, s15
	v_mov_b32_e32 v5, 0
	s_and_saveexec_b32 s15, s14
	s_cbranch_execnz .LBB63_1669
	s_branch .LBB63_1670
.LBB63_2121:
	s_or_b32 s1, s1, exec_lo
	s_trap 2
	s_cbranch_execz .LBB63_1716
	s_branch .LBB63_1717
.LBB63_2122:
	s_and_not1_saveexec_b32 s14, s14
	s_cbranch_execz .LBB63_1681
.LBB63_2123:
	v_add_f32_e32 v1, 0x42800000, v3
	s_and_not1_b32 s13, s13, exec_lo
	s_delay_alu instid0(VALU_DEP_1) | instskip(NEXT) | instid1(VALU_DEP_1)
	v_and_b32_e32 v1, 0xff, v1
	v_cmp_ne_u32_e32 vcc_lo, 0, v1
	s_and_b32 s15, vcc_lo, exec_lo
	s_delay_alu instid0(SALU_CYCLE_1)
	s_or_b32 s13, s13, s15
	s_or_b32 exec_lo, exec_lo, s14
	v_mov_b32_e32 v5, 0
	s_and_saveexec_b32 s14, s13
	s_cbranch_execnz .LBB63_1682
	s_branch .LBB63_1683
.LBB63_2124:
	s_and_not1_saveexec_b32 s15, s15
	s_cbranch_execz .LBB63_1786
.LBB63_2125:
	v_add_f32_e32 v1, 0x46000000, v3
	s_and_not1_b32 s14, s14, exec_lo
	s_delay_alu instid0(VALU_DEP_1) | instskip(NEXT) | instid1(VALU_DEP_1)
	v_and_b32_e32 v1, 0xff, v1
	v_cmp_ne_u32_e32 vcc_lo, 0, v1
	s_and_b32 s16, vcc_lo, exec_lo
	s_delay_alu instid0(SALU_CYCLE_1)
	s_or_b32 s14, s14, s16
	s_or_b32 exec_lo, exec_lo, s15
	v_mov_b32_e32 v6, 0
	s_and_saveexec_b32 s15, s14
	s_cbranch_execnz .LBB63_1787
	s_branch .LBB63_1788
.LBB63_2126:
	s_or_b32 s1, s1, exec_lo
	s_trap 2
	s_cbranch_execz .LBB63_1834
	s_branch .LBB63_1835
.LBB63_2127:
	s_and_not1_saveexec_b32 s14, s14
	s_cbranch_execz .LBB63_1799
.LBB63_2128:
	v_add_f32_e32 v1, 0x42800000, v3
	s_and_not1_b32 s13, s13, exec_lo
	s_delay_alu instid0(VALU_DEP_1) | instskip(NEXT) | instid1(VALU_DEP_1)
	v_and_b32_e32 v1, 0xff, v1
	v_cmp_ne_u32_e32 vcc_lo, 0, v1
	s_and_b32 s15, vcc_lo, exec_lo
	s_delay_alu instid0(SALU_CYCLE_1)
	s_or_b32 s13, s13, s15
	s_or_b32 exec_lo, exec_lo, s14
	v_mov_b32_e32 v6, 0
	s_and_saveexec_b32 s14, s13
	s_cbranch_execnz .LBB63_1800
	s_branch .LBB63_1801
.LBB63_2129:
	s_and_not1_saveexec_b32 s15, s15
	s_cbranch_execz .LBB63_1905
.LBB63_2130:
	v_add_f32_e32 v1, 0x46000000, v4
	s_and_not1_b32 s14, s14, exec_lo
	s_delay_alu instid0(VALU_DEP_1) | instskip(NEXT) | instid1(VALU_DEP_1)
	v_and_b32_e32 v1, 0xff, v1
	v_cmp_ne_u32_e32 vcc_lo, 0, v1
	s_and_b32 s16, vcc_lo, exec_lo
	s_delay_alu instid0(SALU_CYCLE_1)
	s_or_b32 s14, s14, s16
	s_or_b32 exec_lo, exec_lo, s15
	v_mov_b32_e32 v5, 0
	s_and_saveexec_b32 s15, s14
	s_cbranch_execnz .LBB63_1906
	s_branch .LBB63_1907
.LBB63_2131:
	s_or_b32 s1, s1, exec_lo
	s_trap 2
	s_cbranch_execz .LBB63_1953
	s_branch .LBB63_1954
.LBB63_2132:
	s_and_not1_saveexec_b32 s14, s14
	s_cbranch_execz .LBB63_1918
.LBB63_2133:
	v_add_f32_e32 v1, 0x42800000, v4
	s_and_not1_b32 s13, s13, exec_lo
	s_delay_alu instid0(VALU_DEP_1) | instskip(NEXT) | instid1(VALU_DEP_1)
	v_and_b32_e32 v1, 0xff, v1
	v_cmp_ne_u32_e32 vcc_lo, 0, v1
	s_and_b32 s15, vcc_lo, exec_lo
	s_delay_alu instid0(SALU_CYCLE_1)
	s_or_b32 s13, s13, s15
	s_or_b32 exec_lo, exec_lo, s14
	v_mov_b32_e32 v5, 0
	s_and_saveexec_b32 s14, s13
	s_cbranch_execnz .LBB63_1919
	s_branch .LBB63_1920
.LBB63_2134:
	s_and_not1_saveexec_b32 s8, s8
	s_cbranch_execz .LBB63_2025
.LBB63_2135:
	v_add_f32_e32 v0, 0x46000000, v1
	s_and_not1_b32 s7, s7, exec_lo
	s_delay_alu instid0(VALU_DEP_1) | instskip(NEXT) | instid1(VALU_DEP_1)
	v_and_b32_e32 v0, 0xff, v0
	v_cmp_ne_u32_e32 vcc_lo, 0, v0
	s_and_b32 s9, vcc_lo, exec_lo
	s_delay_alu instid0(SALU_CYCLE_1)
	s_or_b32 s7, s7, s9
	s_or_b32 exec_lo, exec_lo, s8
	v_mov_b32_e32 v4, 0
	s_and_saveexec_b32 s8, s7
	s_cbranch_execnz .LBB63_2026
	s_branch .LBB63_2027
.LBB63_2136:
	s_mov_b32 s2, 0
	s_or_b32 s1, s1, exec_lo
	s_trap 2
	s_branch .LBB63_2071
.LBB63_2137:
	s_and_not1_saveexec_b32 s7, s7
	s_cbranch_execz .LBB63_2037
.LBB63_2138:
	v_add_f32_e32 v0, 0x42800000, v1
	s_and_not1_b32 s5, s5, exec_lo
	s_delay_alu instid0(VALU_DEP_1) | instskip(NEXT) | instid1(VALU_DEP_1)
	v_and_b32_e32 v0, 0xff, v0
	v_cmp_ne_u32_e32 vcc_lo, 0, v0
	s_and_b32 s8, vcc_lo, exec_lo
	s_delay_alu instid0(SALU_CYCLE_1)
	s_or_b32 s5, s5, s8
	s_or_b32 exec_lo, exec_lo, s7
	v_mov_b32_e32 v4, 0
	s_and_saveexec_b32 s7, s5
	s_cbranch_execnz .LBB63_2038
	s_branch .LBB63_2039
	.section	.rodata,"a",@progbits
	.p2align	6, 0x0
	.amdhsa_kernel _ZN2at6native32elementwise_kernel_manual_unrollILi128ELi4EZNS0_15gpu_kernel_implINS0_13AUnaryFunctorIllbNS0_12_GLOBAL__N_116CompareEqFunctorIlEEEEEEvRNS_18TensorIteratorBaseERKT_EUlibE0_EEviT1_
		.amdhsa_group_segment_fixed_size 0
		.amdhsa_private_segment_fixed_size 0
		.amdhsa_kernarg_size 376
		.amdhsa_user_sgpr_count 2
		.amdhsa_user_sgpr_dispatch_ptr 0
		.amdhsa_user_sgpr_queue_ptr 0
		.amdhsa_user_sgpr_kernarg_segment_ptr 1
		.amdhsa_user_sgpr_dispatch_id 0
		.amdhsa_user_sgpr_kernarg_preload_length 0
		.amdhsa_user_sgpr_kernarg_preload_offset 0
		.amdhsa_user_sgpr_private_segment_size 0
		.amdhsa_wavefront_size32 1
		.amdhsa_uses_dynamic_stack 0
		.amdhsa_enable_private_segment 0
		.amdhsa_system_sgpr_workgroup_id_x 1
		.amdhsa_system_sgpr_workgroup_id_y 0
		.amdhsa_system_sgpr_workgroup_id_z 0
		.amdhsa_system_sgpr_workgroup_info 0
		.amdhsa_system_vgpr_workitem_id 0
		.amdhsa_next_free_vgpr 22
		.amdhsa_next_free_sgpr 72
		.amdhsa_named_barrier_count 0
		.amdhsa_reserve_vcc 1
		.amdhsa_float_round_mode_32 0
		.amdhsa_float_round_mode_16_64 0
		.amdhsa_float_denorm_mode_32 3
		.amdhsa_float_denorm_mode_16_64 3
		.amdhsa_fp16_overflow 0
		.amdhsa_memory_ordered 1
		.amdhsa_forward_progress 1
		.amdhsa_inst_pref_size 255
		.amdhsa_round_robin_scheduling 0
		.amdhsa_exception_fp_ieee_invalid_op 0
		.amdhsa_exception_fp_denorm_src 0
		.amdhsa_exception_fp_ieee_div_zero 0
		.amdhsa_exception_fp_ieee_overflow 0
		.amdhsa_exception_fp_ieee_underflow 0
		.amdhsa_exception_fp_ieee_inexact 0
		.amdhsa_exception_int_div_zero 0
	.end_amdhsa_kernel
	.section	.text._ZN2at6native32elementwise_kernel_manual_unrollILi128ELi4EZNS0_15gpu_kernel_implINS0_13AUnaryFunctorIllbNS0_12_GLOBAL__N_116CompareEqFunctorIlEEEEEEvRNS_18TensorIteratorBaseERKT_EUlibE0_EEviT1_,"axG",@progbits,_ZN2at6native32elementwise_kernel_manual_unrollILi128ELi4EZNS0_15gpu_kernel_implINS0_13AUnaryFunctorIllbNS0_12_GLOBAL__N_116CompareEqFunctorIlEEEEEEvRNS_18TensorIteratorBaseERKT_EUlibE0_EEviT1_,comdat
.Lfunc_end63:
	.size	_ZN2at6native32elementwise_kernel_manual_unrollILi128ELi4EZNS0_15gpu_kernel_implINS0_13AUnaryFunctorIllbNS0_12_GLOBAL__N_116CompareEqFunctorIlEEEEEEvRNS_18TensorIteratorBaseERKT_EUlibE0_EEviT1_, .Lfunc_end63-_ZN2at6native32elementwise_kernel_manual_unrollILi128ELi4EZNS0_15gpu_kernel_implINS0_13AUnaryFunctorIllbNS0_12_GLOBAL__N_116CompareEqFunctorIlEEEEEEvRNS_18TensorIteratorBaseERKT_EUlibE0_EEviT1_
                                        ; -- End function
	.set _ZN2at6native32elementwise_kernel_manual_unrollILi128ELi4EZNS0_15gpu_kernel_implINS0_13AUnaryFunctorIllbNS0_12_GLOBAL__N_116CompareEqFunctorIlEEEEEEvRNS_18TensorIteratorBaseERKT_EUlibE0_EEviT1_.num_vgpr, 22
	.set _ZN2at6native32elementwise_kernel_manual_unrollILi128ELi4EZNS0_15gpu_kernel_implINS0_13AUnaryFunctorIllbNS0_12_GLOBAL__N_116CompareEqFunctorIlEEEEEEvRNS_18TensorIteratorBaseERKT_EUlibE0_EEviT1_.num_agpr, 0
	.set _ZN2at6native32elementwise_kernel_manual_unrollILi128ELi4EZNS0_15gpu_kernel_implINS0_13AUnaryFunctorIllbNS0_12_GLOBAL__N_116CompareEqFunctorIlEEEEEEvRNS_18TensorIteratorBaseERKT_EUlibE0_EEviT1_.numbered_sgpr, 72
	.set _ZN2at6native32elementwise_kernel_manual_unrollILi128ELi4EZNS0_15gpu_kernel_implINS0_13AUnaryFunctorIllbNS0_12_GLOBAL__N_116CompareEqFunctorIlEEEEEEvRNS_18TensorIteratorBaseERKT_EUlibE0_EEviT1_.num_named_barrier, 0
	.set _ZN2at6native32elementwise_kernel_manual_unrollILi128ELi4EZNS0_15gpu_kernel_implINS0_13AUnaryFunctorIllbNS0_12_GLOBAL__N_116CompareEqFunctorIlEEEEEEvRNS_18TensorIteratorBaseERKT_EUlibE0_EEviT1_.private_seg_size, 0
	.set _ZN2at6native32elementwise_kernel_manual_unrollILi128ELi4EZNS0_15gpu_kernel_implINS0_13AUnaryFunctorIllbNS0_12_GLOBAL__N_116CompareEqFunctorIlEEEEEEvRNS_18TensorIteratorBaseERKT_EUlibE0_EEviT1_.uses_vcc, 1
	.set _ZN2at6native32elementwise_kernel_manual_unrollILi128ELi4EZNS0_15gpu_kernel_implINS0_13AUnaryFunctorIllbNS0_12_GLOBAL__N_116CompareEqFunctorIlEEEEEEvRNS_18TensorIteratorBaseERKT_EUlibE0_EEviT1_.uses_flat_scratch, 0
	.set _ZN2at6native32elementwise_kernel_manual_unrollILi128ELi4EZNS0_15gpu_kernel_implINS0_13AUnaryFunctorIllbNS0_12_GLOBAL__N_116CompareEqFunctorIlEEEEEEvRNS_18TensorIteratorBaseERKT_EUlibE0_EEviT1_.has_dyn_sized_stack, 0
	.set _ZN2at6native32elementwise_kernel_manual_unrollILi128ELi4EZNS0_15gpu_kernel_implINS0_13AUnaryFunctorIllbNS0_12_GLOBAL__N_116CompareEqFunctorIlEEEEEEvRNS_18TensorIteratorBaseERKT_EUlibE0_EEviT1_.has_recursion, 0
	.set _ZN2at6native32elementwise_kernel_manual_unrollILi128ELi4EZNS0_15gpu_kernel_implINS0_13AUnaryFunctorIllbNS0_12_GLOBAL__N_116CompareEqFunctorIlEEEEEEvRNS_18TensorIteratorBaseERKT_EUlibE0_EEviT1_.has_indirect_call, 0
	.section	.AMDGPU.csdata,"",@progbits
; Kernel info:
; codeLenInByte = 46832
; TotalNumSgprs: 74
; NumVgprs: 22
; ScratchSize: 0
; MemoryBound: 1
; FloatMode: 240
; IeeeMode: 1
; LDSByteSize: 0 bytes/workgroup (compile time only)
; SGPRBlocks: 0
; VGPRBlocks: 1
; NumSGPRsForWavesPerEU: 74
; NumVGPRsForWavesPerEU: 22
; NamedBarCnt: 0
; Occupancy: 16
; WaveLimiterHint : 1
; COMPUTE_PGM_RSRC2:SCRATCH_EN: 0
; COMPUTE_PGM_RSRC2:USER_SGPR: 2
; COMPUTE_PGM_RSRC2:TRAP_HANDLER: 0
; COMPUTE_PGM_RSRC2:TGID_X_EN: 1
; COMPUTE_PGM_RSRC2:TGID_Y_EN: 0
; COMPUTE_PGM_RSRC2:TGID_Z_EN: 0
; COMPUTE_PGM_RSRC2:TIDIG_COMP_CNT: 0
	.section	.text._ZN2at6native29vectorized_elementwise_kernelILi16ENS0_13BinaryFunctorIssbNS0_12_GLOBAL__N_116CompareEqFunctorIsEEEESt5arrayIPcLm3EEEEviT0_T1_,"axG",@progbits,_ZN2at6native29vectorized_elementwise_kernelILi16ENS0_13BinaryFunctorIssbNS0_12_GLOBAL__N_116CompareEqFunctorIsEEEESt5arrayIPcLm3EEEEviT0_T1_,comdat
	.globl	_ZN2at6native29vectorized_elementwise_kernelILi16ENS0_13BinaryFunctorIssbNS0_12_GLOBAL__N_116CompareEqFunctorIsEEEESt5arrayIPcLm3EEEEviT0_T1_ ; -- Begin function _ZN2at6native29vectorized_elementwise_kernelILi16ENS0_13BinaryFunctorIssbNS0_12_GLOBAL__N_116CompareEqFunctorIsEEEESt5arrayIPcLm3EEEEviT0_T1_
	.p2align	8
	.type	_ZN2at6native29vectorized_elementwise_kernelILi16ENS0_13BinaryFunctorIssbNS0_12_GLOBAL__N_116CompareEqFunctorIsEEEESt5arrayIPcLm3EEEEviT0_T1_,@function
_ZN2at6native29vectorized_elementwise_kernelILi16ENS0_13BinaryFunctorIssbNS0_12_GLOBAL__N_116CompareEqFunctorIsEEEESt5arrayIPcLm3EEEEviT0_T1_: ; @_ZN2at6native29vectorized_elementwise_kernelILi16ENS0_13BinaryFunctorIssbNS0_12_GLOBAL__N_116CompareEqFunctorIsEEEESt5arrayIPcLm3EEEEviT0_T1_
; %bb.0:
	s_clause 0x2
	s_load_b64 s[10:11], s[0:1], 0x0
	s_load_b128 s[12:15], s[0:1], 0x8
	s_load_b64 s[18:19], s[0:1], 0x18
	s_wait_xcnt 0x0
	s_bfe_u32 s0, ttmp6, 0x4000c
	s_and_b32 s1, ttmp6, 15
	s_add_co_i32 s0, s0, 1
	s_getreg_b32 s2, hwreg(HW_REG_IB_STS2, 6, 4)
	s_mul_i32 s0, ttmp9, s0
	s_delay_alu instid0(SALU_CYCLE_1) | instskip(SKIP_2) | instid1(SALU_CYCLE_1)
	s_add_co_i32 s1, s1, s0
	s_cmp_eq_u32 s2, 0
	s_cselect_b32 s0, ttmp9, s1
	s_lshl_b32 s16, s0, 12
	s_mov_b32 s0, -1
	s_wait_kmcnt 0x0
	s_sub_co_i32 s20, s10, s16
	s_delay_alu instid0(SALU_CYCLE_1)
	s_cmp_gt_i32 s20, 0xfff
	s_cbranch_scc0 .LBB64_2
; %bb.1:
	s_ashr_i32 s17, s16, 31
	v_lshlrev_b32_e32 v1, 5, v0
	s_lshl_b64 s[0:1], s[16:17], 1
	s_cmp_eq_u32 s11, 0
	s_add_nc_u64 s[2:3], s[18:19], s[0:1]
	s_add_nc_u64 s[0:1], s[14:15], s[0:1]
	s_clause 0x3
	global_load_b128 v[2:5], v1, s[2:3]
	global_load_b128 v[6:9], v1, s[0:1]
	global_load_b128 v[10:13], v1, s[2:3] offset:16
	global_load_b128 v[14:17], v1, s[0:1] offset:16
	s_cselect_b32 s21, -1, 0
	s_wait_loadcnt 0x3
	s_wait_xcnt 0x0
	v_lshrrev_b32_e32 v1, 16, v4
	s_wait_loadcnt 0x2
	v_lshrrev_b32_e32 v18, 16, v8
	v_cmp_ne_u16_e32 vcc_lo, v8, v4
	s_wait_loadcnt 0x0
	v_cmp_ne_u16_e64 s3, v16, v12
	v_lshrrev_b32_e32 v4, 16, v5
	v_lshrrev_b32_e32 v8, 16, v9
	v_cmp_ne_u16_e64 s0, v9, v5
	v_lshrrev_b32_e32 v5, 16, v2
	v_lshrrev_b32_e32 v9, 16, v6
	;; [unrolled: 3-line block ×3, first 2 shown]
	v_cmp_ne_u16_e64 s2, v7, v3
	v_lshrrev_b32_e32 v3, 16, v12
	v_dual_lshrrev_b32 v7, 16, v16 :: v_dual_lshrrev_b32 v12, 16, v13
	v_cmp_ne_u16_e64 s4, v17, v13
	v_cmp_ne_u16_e64 s5, v14, v10
	s_xor_b32 s3, s21, s3
	v_cmp_ne_u16_e64 s6, v15, v11
	s_xor_b32 s22, s21, vcc_lo
	v_cmp_ne_u16_e32 vcc_lo, v7, v3
	v_cndmask_b32_e64 v3, 0, 1, s3
	s_xor_b32 s3, s21, s4
	v_cmp_ne_u16_e64 s7, v18, v1
	v_cmp_ne_u16_e64 s10, v6, v2
	v_cndmask_b32_e64 v6, 0, 1, s3
	s_xor_b32 s3, s21, s5
	v_cmp_ne_u16_e64 s8, v8, v4
	v_cndmask_b32_e64 v7, 0, 1, s3
	s_xor_b32 s3, s21, s6
	;; [unrolled: 3-line block ×3, first 2 shown]
	s_xor_b32 s0, s21, s0
	v_cndmask_b32_e64 v9, 0, 1, s3
	v_dual_lshrrev_b32 v16, 16, v17 :: v_dual_lshrrev_b32 v13, 16, v10
	v_cndmask_b32_e64 v2, 0, 1, s0
	s_xor_b32 s0, s21, s1
	v_dual_lshrrev_b32 v17, 16, v14 :: v_dual_lshrrev_b32 v10, 16, v11
	v_cndmask_b32_e64 v1, 0, 1, s22
	v_cndmask_b32_e64 v4, 0, 1, s0
	s_xor_b32 s0, s21, s2
	v_lshlrev_b16 v9, 8, v9
	v_lshrrev_b32_e32 v14, 16, v15
	v_cndmask_b32_e64 v5, 0, 1, s0
	v_cmp_ne_u16_e64 s0, v16, v12
	s_xor_b32 s3, s21, s8
	v_cmp_ne_u16_e64 s1, v17, v13
	v_or_b32_e32 v1, v1, v9
	v_cmp_ne_u16_e64 s2, v14, v10
	v_cndmask_b32_e64 v10, 0, 1, s3
	s_xor_b32 s3, s21, s9
	s_xor_b32 s0, s21, s0
	v_cndmask_b32_e64 v11, 0, 1, s3
	s_xor_b32 s3, s21, s10
	v_cndmask_b32_e64 v14, 0, 1, s0
	v_cndmask_b32_e64 v12, 0, 1, s3
	s_xor_b32 s0, s21, s1
	s_xor_b32 s3, s21, vcc_lo
	v_cndmask_b32_e64 v15, 0, 1, s0
	s_xor_b32 s0, s21, s2
	v_cndmask_b32_e64 v13, 0, 1, s3
	v_cndmask_b32_e64 v16, 0, 1, s0
	v_lshlrev_b16 v12, 8, v12
	v_lshlrev_b16 v14, 8, v14
	;; [unrolled: 1-line block ×7, first 2 shown]
	v_or_b32_e32 v6, v6, v14
	v_or_b32_e32 v5, v5, v12
	v_and_b32_e32 v1, 0xffff, v1
	v_or_b32_e32 v7, v7, v15
	v_or_b32_e32 v8, v8, v16
	v_dual_lshlrev_b32 v6, 16, v6 :: v_dual_bitop2_b32 v3, v3, v13 bitop3:0x54
	v_dual_lshlrev_b32 v5, 16, v5 :: v_dual_bitop2_b32 v2, v2, v10 bitop3:0x54
	v_or_b32_e32 v4, v4, v11
	v_and_b32_e32 v7, 0xffff, v7
	s_delay_alu instid0(VALU_DEP_3) | instskip(SKIP_1) | instid1(VALU_DEP_4)
	v_dual_lshlrev_b32 v8, 16, v8 :: v_dual_lshlrev_b32 v2, 16, v2
	v_and_b32_e32 v9, 0xffff, v3
	v_and_b32_e32 v4, 0xffff, v4
	s_add_nc_u64 s[2:3], s[12:13], s[16:17]
	s_mov_b32 s0, 0
	v_or_b32_e32 v3, v1, v2
	s_delay_alu instid0(VALU_DEP_2)
	v_or_b32_e32 v2, v4, v5
	v_or_b32_e32 v5, v9, v6
	;; [unrolled: 1-line block ×3, first 2 shown]
	global_store_b128 v0, v[2:5], s[2:3] scale_offset
.LBB64_2:
	s_and_not1_b32 vcc_lo, exec_lo, s0
	s_cbranch_vccnz .LBB64_52
; %bb.3:
	v_cmp_gt_i32_e32 vcc_lo, s20, v0
	s_wait_xcnt 0x0
	v_dual_mov_b32 v3, v0 :: v_dual_bitop2_b32 v1, s16, v0 bitop3:0x54
	v_or_b32_e32 v2, 0x100, v0
	s_mov_b32 s1, 0
	s_mov_b32 s2, 0
	s_and_saveexec_b32 s3, vcc_lo
	s_cbranch_execz .LBB64_5
; %bb.4:
	s_clause 0x1
	global_load_u16 v3, v1, s[14:15] scale_offset
	global_load_u16 v4, v1, s[18:19] scale_offset
	s_wait_loadcnt 0x0
	v_cmp_ne_u16_e64 s0, v3, v4
	v_or_b32_e32 v3, 0x100, v0
	s_and_b32 s2, s0, exec_lo
.LBB64_5:
	s_wait_xcnt 0x0
	s_or_b32 exec_lo, exec_lo, s3
	s_delay_alu instid0(SALU_CYCLE_1)
	s_mov_b32 s3, exec_lo
	v_cmpx_gt_i32_e64 s20, v3
	s_cbranch_execz .LBB64_7
; %bb.6:
	v_add_nc_u32_e32 v4, s16, v3
	v_add_nc_u32_e32 v3, 0x100, v3
	s_clause 0x1
	global_load_u16 v5, v4, s[14:15] scale_offset
	global_load_u16 v6, v4, s[18:19] scale_offset
	s_wait_loadcnt 0x0
	v_cmp_ne_u16_e64 s0, v5, v6
	s_and_b32 s1, s0, exec_lo
.LBB64_7:
	s_wait_xcnt 0x0
	s_or_b32 exec_lo, exec_lo, s3
	s_mov_b32 s3, 0
	s_mov_b32 s5, 0
	s_mov_b32 s4, exec_lo
	v_cmpx_gt_i32_e64 s20, v3
	s_cbranch_execz .LBB64_9
; %bb.8:
	v_add_nc_u32_e32 v4, s16, v3
	v_add_nc_u32_e32 v3, 0x100, v3
	s_clause 0x1
	global_load_u16 v5, v4, s[14:15] scale_offset
	global_load_u16 v6, v4, s[18:19] scale_offset
	s_wait_loadcnt 0x0
	v_cmp_ne_u16_e64 s0, v5, v6
	s_and_b32 s5, s0, exec_lo
.LBB64_9:
	s_wait_xcnt 0x0
	s_or_b32 exec_lo, exec_lo, s4
	s_delay_alu instid0(SALU_CYCLE_1)
	s_mov_b32 s4, exec_lo
	v_cmpx_gt_i32_e64 s20, v3
	s_cbranch_execz .LBB64_11
; %bb.10:
	v_add_nc_u32_e32 v4, s16, v3
	v_add_nc_u32_e32 v3, 0x100, v3
	s_clause 0x1
	global_load_u16 v5, v4, s[14:15] scale_offset
	global_load_u16 v6, v4, s[18:19] scale_offset
	s_wait_loadcnt 0x0
	v_cmp_ne_u16_e64 s0, v5, v6
	s_and_b32 s3, s0, exec_lo
.LBB64_11:
	s_wait_xcnt 0x0
	s_or_b32 exec_lo, exec_lo, s4
	s_mov_b32 s4, 0
	s_mov_b32 s7, 0
	s_mov_b32 s6, exec_lo
	v_cmpx_gt_i32_e64 s20, v3
	s_cbranch_execz .LBB64_13
; %bb.12:
	v_add_nc_u32_e32 v4, s16, v3
	v_add_nc_u32_e32 v3, 0x100, v3
	s_clause 0x1
	global_load_u16 v5, v4, s[14:15] scale_offset
	global_load_u16 v6, v4, s[18:19] scale_offset
	s_wait_loadcnt 0x0
	v_cmp_ne_u16_e64 s0, v5, v6
	s_and_b32 s7, s0, exec_lo
.LBB64_13:
	;; [unrolled: 33-line block ×7, first 2 shown]
	s_wait_xcnt 0x0
	s_or_b32 exec_lo, exec_lo, s26
	s_delay_alu instid0(SALU_CYCLE_1)
	s_mov_b32 s26, exec_lo
	v_cmpx_gt_i32_e64 s20, v3
	s_cbranch_execz .LBB64_35
; %bb.34:
	v_add_nc_u32_e32 v3, s16, v3
	s_clause 0x1
	global_load_u16 v4, v3, s[14:15] scale_offset
	global_load_u16 v5, v3, s[18:19] scale_offset
	s_wait_loadcnt 0x0
	v_cmp_ne_u16_e64 s0, v4, v5
	s_and_b32 s23, s0, exec_lo
.LBB64_35:
	s_wait_xcnt 0x0
	s_or_b32 exec_lo, exec_lo, s26
	s_cmp_eq_u32 s11, 0
	s_cselect_b32 s0, -1, 0
	s_and_saveexec_b32 s11, vcc_lo
	s_cbranch_execnz .LBB64_53
; %bb.36:
	s_or_b32 exec_lo, exec_lo, s11
	s_delay_alu instid0(SALU_CYCLE_1)
	s_mov_b32 s2, exec_lo
	v_cmpx_gt_i32_e64 s20, v0
	s_cbranch_execnz .LBB64_54
.LBB64_37:
	s_or_b32 exec_lo, exec_lo, s2
	s_delay_alu instid0(SALU_CYCLE_1)
	s_mov_b32 s1, exec_lo
	v_cmpx_gt_i32_e64 s20, v0
	s_cbranch_execnz .LBB64_55
.LBB64_38:
	s_or_b32 exec_lo, exec_lo, s1
	s_delay_alu instid0(SALU_CYCLE_1)
	s_mov_b32 s1, exec_lo
	v_cmpx_gt_i32_e64 s20, v0
	s_cbranch_execnz .LBB64_56
.LBB64_39:
	s_or_b32 exec_lo, exec_lo, s1
	s_delay_alu instid0(SALU_CYCLE_1)
	s_mov_b32 s1, exec_lo
	v_cmpx_gt_i32_e64 s20, v0
	s_cbranch_execnz .LBB64_57
.LBB64_40:
	s_or_b32 exec_lo, exec_lo, s1
	s_delay_alu instid0(SALU_CYCLE_1)
	s_mov_b32 s1, exec_lo
	v_cmpx_gt_i32_e64 s20, v0
	s_cbranch_execnz .LBB64_58
.LBB64_41:
	s_or_b32 exec_lo, exec_lo, s1
	s_delay_alu instid0(SALU_CYCLE_1)
	s_mov_b32 s1, exec_lo
	v_cmpx_gt_i32_e64 s20, v0
	s_cbranch_execnz .LBB64_59
.LBB64_42:
	s_or_b32 exec_lo, exec_lo, s1
	s_delay_alu instid0(SALU_CYCLE_1)
	s_mov_b32 s1, exec_lo
	v_cmpx_gt_i32_e64 s20, v0
	s_cbranch_execnz .LBB64_60
.LBB64_43:
	s_or_b32 exec_lo, exec_lo, s1
	s_delay_alu instid0(SALU_CYCLE_1)
	s_mov_b32 s1, exec_lo
	v_cmpx_gt_i32_e64 s20, v0
	s_cbranch_execnz .LBB64_61
.LBB64_44:
	s_or_b32 exec_lo, exec_lo, s1
	s_delay_alu instid0(SALU_CYCLE_1)
	s_mov_b32 s1, exec_lo
	v_cmpx_gt_i32_e64 s20, v0
	s_cbranch_execnz .LBB64_62
.LBB64_45:
	s_or_b32 exec_lo, exec_lo, s1
	s_delay_alu instid0(SALU_CYCLE_1)
	s_mov_b32 s1, exec_lo
	v_cmpx_gt_i32_e64 s20, v0
	s_cbranch_execnz .LBB64_63
.LBB64_46:
	s_or_b32 exec_lo, exec_lo, s1
	s_delay_alu instid0(SALU_CYCLE_1)
	s_mov_b32 s1, exec_lo
	v_cmpx_gt_i32_e64 s20, v0
	s_cbranch_execnz .LBB64_64
.LBB64_47:
	s_or_b32 exec_lo, exec_lo, s1
	s_delay_alu instid0(SALU_CYCLE_1)
	s_mov_b32 s1, exec_lo
	v_cmpx_gt_i32_e64 s20, v0
	s_cbranch_execnz .LBB64_65
.LBB64_48:
	s_or_b32 exec_lo, exec_lo, s1
	s_delay_alu instid0(SALU_CYCLE_1)
	s_mov_b32 s1, exec_lo
	v_cmpx_gt_i32_e64 s20, v0
	s_cbranch_execnz .LBB64_66
.LBB64_49:
	s_or_b32 exec_lo, exec_lo, s1
	s_delay_alu instid0(SALU_CYCLE_1)
	s_mov_b32 s1, exec_lo
	v_cmpx_gt_i32_e64 s20, v0
	s_cbranch_execnz .LBB64_67
.LBB64_50:
	s_or_b32 exec_lo, exec_lo, s1
	s_delay_alu instid0(SALU_CYCLE_1)
	s_mov_b32 s1, exec_lo
	v_cmpx_gt_i32_e64 s20, v0
	s_cbranch_execz .LBB64_52
.LBB64_51:
	s_xor_b32 s0, s0, s23
	v_add_nc_u32_e32 v0, s16, v0
	v_cndmask_b32_e64 v1, 0, 1, s0
	global_store_b8 v0, v1, s[12:13]
.LBB64_52:
	s_endpgm
.LBB64_53:
	s_xor_b32 s2, s0, s2
	v_mov_b32_e32 v0, v2
	v_cndmask_b32_e64 v3, 0, 1, s2
	global_store_b8 v1, v3, s[12:13]
	s_wait_xcnt 0x0
	s_or_b32 exec_lo, exec_lo, s11
	s_delay_alu instid0(SALU_CYCLE_1)
	s_mov_b32 s2, exec_lo
	v_cmpx_gt_i32_e64 s20, v0
	s_cbranch_execz .LBB64_37
.LBB64_54:
	s_xor_b32 s1, s0, s1
	v_add_nc_u32_e32 v2, s16, v0
	v_cndmask_b32_e64 v1, 0, 1, s1
	v_add_nc_u32_e32 v0, 0x100, v0
	global_store_b8 v2, v1, s[12:13]
	s_wait_xcnt 0x0
	s_or_b32 exec_lo, exec_lo, s2
	s_delay_alu instid0(SALU_CYCLE_1)
	s_mov_b32 s1, exec_lo
	v_cmpx_gt_i32_e64 s20, v0
	s_cbranch_execz .LBB64_38
.LBB64_55:
	s_xor_b32 s2, s0, s5
	v_add_nc_u32_e32 v2, s16, v0
	v_cndmask_b32_e64 v1, 0, 1, s2
	v_add_nc_u32_e32 v0, 0x100, v0
	global_store_b8 v2, v1, s[12:13]
	s_wait_xcnt 0x0
	s_or_b32 exec_lo, exec_lo, s1
	s_delay_alu instid0(SALU_CYCLE_1)
	s_mov_b32 s1, exec_lo
	v_cmpx_gt_i32_e64 s20, v0
	s_cbranch_execz .LBB64_39
.LBB64_56:
	s_xor_b32 s2, s0, s3
	v_add_nc_u32_e32 v2, s16, v0
	v_cndmask_b32_e64 v1, 0, 1, s2
	v_add_nc_u32_e32 v0, 0x100, v0
	global_store_b8 v2, v1, s[12:13]
	s_wait_xcnt 0x0
	s_or_b32 exec_lo, exec_lo, s1
	s_delay_alu instid0(SALU_CYCLE_1)
	s_mov_b32 s1, exec_lo
	v_cmpx_gt_i32_e64 s20, v0
	s_cbranch_execz .LBB64_40
.LBB64_57:
	s_xor_b32 s2, s0, s7
	v_add_nc_u32_e32 v2, s16, v0
	v_cndmask_b32_e64 v1, 0, 1, s2
	v_add_nc_u32_e32 v0, 0x100, v0
	global_store_b8 v2, v1, s[12:13]
	s_wait_xcnt 0x0
	s_or_b32 exec_lo, exec_lo, s1
	s_delay_alu instid0(SALU_CYCLE_1)
	s_mov_b32 s1, exec_lo
	v_cmpx_gt_i32_e64 s20, v0
	s_cbranch_execz .LBB64_41
.LBB64_58:
	s_xor_b32 s2, s0, s4
	v_add_nc_u32_e32 v2, s16, v0
	v_cndmask_b32_e64 v1, 0, 1, s2
	v_add_nc_u32_e32 v0, 0x100, v0
	global_store_b8 v2, v1, s[12:13]
	s_wait_xcnt 0x0
	s_or_b32 exec_lo, exec_lo, s1
	s_delay_alu instid0(SALU_CYCLE_1)
	s_mov_b32 s1, exec_lo
	v_cmpx_gt_i32_e64 s20, v0
	s_cbranch_execz .LBB64_42
.LBB64_59:
	s_xor_b32 s2, s0, s9
	v_add_nc_u32_e32 v2, s16, v0
	v_cndmask_b32_e64 v1, 0, 1, s2
	v_add_nc_u32_e32 v0, 0x100, v0
	global_store_b8 v2, v1, s[12:13]
	s_wait_xcnt 0x0
	s_or_b32 exec_lo, exec_lo, s1
	s_delay_alu instid0(SALU_CYCLE_1)
	s_mov_b32 s1, exec_lo
	v_cmpx_gt_i32_e64 s20, v0
	s_cbranch_execz .LBB64_43
.LBB64_60:
	s_xor_b32 s2, s0, s6
	v_add_nc_u32_e32 v2, s16, v0
	v_cndmask_b32_e64 v1, 0, 1, s2
	v_add_nc_u32_e32 v0, 0x100, v0
	global_store_b8 v2, v1, s[12:13]
	s_wait_xcnt 0x0
	s_or_b32 exec_lo, exec_lo, s1
	s_delay_alu instid0(SALU_CYCLE_1)
	s_mov_b32 s1, exec_lo
	v_cmpx_gt_i32_e64 s20, v0
	s_cbranch_execz .LBB64_44
.LBB64_61:
	s_xor_b32 s2, s0, s17
	v_add_nc_u32_e32 v2, s16, v0
	v_cndmask_b32_e64 v1, 0, 1, s2
	v_add_nc_u32_e32 v0, 0x100, v0
	global_store_b8 v2, v1, s[12:13]
	s_wait_xcnt 0x0
	s_or_b32 exec_lo, exec_lo, s1
	s_delay_alu instid0(SALU_CYCLE_1)
	s_mov_b32 s1, exec_lo
	v_cmpx_gt_i32_e64 s20, v0
	s_cbranch_execz .LBB64_45
.LBB64_62:
	s_xor_b32 s2, s0, s8
	v_add_nc_u32_e32 v2, s16, v0
	v_cndmask_b32_e64 v1, 0, 1, s2
	v_add_nc_u32_e32 v0, 0x100, v0
	global_store_b8 v2, v1, s[12:13]
	s_wait_xcnt 0x0
	s_or_b32 exec_lo, exec_lo, s1
	s_delay_alu instid0(SALU_CYCLE_1)
	s_mov_b32 s1, exec_lo
	v_cmpx_gt_i32_e64 s20, v0
	s_cbranch_execz .LBB64_46
.LBB64_63:
	s_xor_b32 s2, s0, s22
	v_add_nc_u32_e32 v2, s16, v0
	v_cndmask_b32_e64 v1, 0, 1, s2
	v_add_nc_u32_e32 v0, 0x100, v0
	global_store_b8 v2, v1, s[12:13]
	s_wait_xcnt 0x0
	s_or_b32 exec_lo, exec_lo, s1
	s_delay_alu instid0(SALU_CYCLE_1)
	s_mov_b32 s1, exec_lo
	v_cmpx_gt_i32_e64 s20, v0
	s_cbranch_execz .LBB64_47
.LBB64_64:
	s_xor_b32 s2, s0, s10
	v_add_nc_u32_e32 v2, s16, v0
	v_cndmask_b32_e64 v1, 0, 1, s2
	v_add_nc_u32_e32 v0, 0x100, v0
	global_store_b8 v2, v1, s[12:13]
	s_wait_xcnt 0x0
	s_or_b32 exec_lo, exec_lo, s1
	s_delay_alu instid0(SALU_CYCLE_1)
	s_mov_b32 s1, exec_lo
	v_cmpx_gt_i32_e64 s20, v0
	s_cbranch_execz .LBB64_48
.LBB64_65:
	s_xor_b32 s2, s0, s24
	v_add_nc_u32_e32 v2, s16, v0
	v_cndmask_b32_e64 v1, 0, 1, s2
	v_add_nc_u32_e32 v0, 0x100, v0
	global_store_b8 v2, v1, s[12:13]
	s_wait_xcnt 0x0
	s_or_b32 exec_lo, exec_lo, s1
	s_delay_alu instid0(SALU_CYCLE_1)
	s_mov_b32 s1, exec_lo
	v_cmpx_gt_i32_e64 s20, v0
	s_cbranch_execz .LBB64_49
.LBB64_66:
	s_xor_b32 s2, s0, s21
	v_add_nc_u32_e32 v2, s16, v0
	v_cndmask_b32_e64 v1, 0, 1, s2
	v_add_nc_u32_e32 v0, 0x100, v0
	global_store_b8 v2, v1, s[12:13]
	s_wait_xcnt 0x0
	s_or_b32 exec_lo, exec_lo, s1
	s_delay_alu instid0(SALU_CYCLE_1)
	s_mov_b32 s1, exec_lo
	v_cmpx_gt_i32_e64 s20, v0
	s_cbranch_execz .LBB64_50
.LBB64_67:
	s_xor_b32 s2, s0, s25
	v_add_nc_u32_e32 v2, s16, v0
	v_cndmask_b32_e64 v1, 0, 1, s2
	v_add_nc_u32_e32 v0, 0x100, v0
	global_store_b8 v2, v1, s[12:13]
	s_wait_xcnt 0x0
	s_or_b32 exec_lo, exec_lo, s1
	s_delay_alu instid0(SALU_CYCLE_1)
	s_mov_b32 s1, exec_lo
	v_cmpx_gt_i32_e64 s20, v0
	s_cbranch_execnz .LBB64_51
	s_branch .LBB64_52
	.section	.rodata,"a",@progbits
	.p2align	6, 0x0
	.amdhsa_kernel _ZN2at6native29vectorized_elementwise_kernelILi16ENS0_13BinaryFunctorIssbNS0_12_GLOBAL__N_116CompareEqFunctorIsEEEESt5arrayIPcLm3EEEEviT0_T1_
		.amdhsa_group_segment_fixed_size 0
		.amdhsa_private_segment_fixed_size 0
		.amdhsa_kernarg_size 32
		.amdhsa_user_sgpr_count 2
		.amdhsa_user_sgpr_dispatch_ptr 0
		.amdhsa_user_sgpr_queue_ptr 0
		.amdhsa_user_sgpr_kernarg_segment_ptr 1
		.amdhsa_user_sgpr_dispatch_id 0
		.amdhsa_user_sgpr_kernarg_preload_length 0
		.amdhsa_user_sgpr_kernarg_preload_offset 0
		.amdhsa_user_sgpr_private_segment_size 0
		.amdhsa_wavefront_size32 1
		.amdhsa_uses_dynamic_stack 0
		.amdhsa_enable_private_segment 0
		.amdhsa_system_sgpr_workgroup_id_x 1
		.amdhsa_system_sgpr_workgroup_id_y 0
		.amdhsa_system_sgpr_workgroup_id_z 0
		.amdhsa_system_sgpr_workgroup_info 0
		.amdhsa_system_vgpr_workitem_id 0
		.amdhsa_next_free_vgpr 19
		.amdhsa_next_free_sgpr 27
		.amdhsa_named_barrier_count 0
		.amdhsa_reserve_vcc 1
		.amdhsa_float_round_mode_32 0
		.amdhsa_float_round_mode_16_64 0
		.amdhsa_float_denorm_mode_32 3
		.amdhsa_float_denorm_mode_16_64 3
		.amdhsa_fp16_overflow 0
		.amdhsa_memory_ordered 1
		.amdhsa_forward_progress 1
		.amdhsa_inst_pref_size 28
		.amdhsa_round_robin_scheduling 0
		.amdhsa_exception_fp_ieee_invalid_op 0
		.amdhsa_exception_fp_denorm_src 0
		.amdhsa_exception_fp_ieee_div_zero 0
		.amdhsa_exception_fp_ieee_overflow 0
		.amdhsa_exception_fp_ieee_underflow 0
		.amdhsa_exception_fp_ieee_inexact 0
		.amdhsa_exception_int_div_zero 0
	.end_amdhsa_kernel
	.section	.text._ZN2at6native29vectorized_elementwise_kernelILi16ENS0_13BinaryFunctorIssbNS0_12_GLOBAL__N_116CompareEqFunctorIsEEEESt5arrayIPcLm3EEEEviT0_T1_,"axG",@progbits,_ZN2at6native29vectorized_elementwise_kernelILi16ENS0_13BinaryFunctorIssbNS0_12_GLOBAL__N_116CompareEqFunctorIsEEEESt5arrayIPcLm3EEEEviT0_T1_,comdat
.Lfunc_end64:
	.size	_ZN2at6native29vectorized_elementwise_kernelILi16ENS0_13BinaryFunctorIssbNS0_12_GLOBAL__N_116CompareEqFunctorIsEEEESt5arrayIPcLm3EEEEviT0_T1_, .Lfunc_end64-_ZN2at6native29vectorized_elementwise_kernelILi16ENS0_13BinaryFunctorIssbNS0_12_GLOBAL__N_116CompareEqFunctorIsEEEESt5arrayIPcLm3EEEEviT0_T1_
                                        ; -- End function
	.set _ZN2at6native29vectorized_elementwise_kernelILi16ENS0_13BinaryFunctorIssbNS0_12_GLOBAL__N_116CompareEqFunctorIsEEEESt5arrayIPcLm3EEEEviT0_T1_.num_vgpr, 19
	.set _ZN2at6native29vectorized_elementwise_kernelILi16ENS0_13BinaryFunctorIssbNS0_12_GLOBAL__N_116CompareEqFunctorIsEEEESt5arrayIPcLm3EEEEviT0_T1_.num_agpr, 0
	.set _ZN2at6native29vectorized_elementwise_kernelILi16ENS0_13BinaryFunctorIssbNS0_12_GLOBAL__N_116CompareEqFunctorIsEEEESt5arrayIPcLm3EEEEviT0_T1_.numbered_sgpr, 27
	.set _ZN2at6native29vectorized_elementwise_kernelILi16ENS0_13BinaryFunctorIssbNS0_12_GLOBAL__N_116CompareEqFunctorIsEEEESt5arrayIPcLm3EEEEviT0_T1_.num_named_barrier, 0
	.set _ZN2at6native29vectorized_elementwise_kernelILi16ENS0_13BinaryFunctorIssbNS0_12_GLOBAL__N_116CompareEqFunctorIsEEEESt5arrayIPcLm3EEEEviT0_T1_.private_seg_size, 0
	.set _ZN2at6native29vectorized_elementwise_kernelILi16ENS0_13BinaryFunctorIssbNS0_12_GLOBAL__N_116CompareEqFunctorIsEEEESt5arrayIPcLm3EEEEviT0_T1_.uses_vcc, 1
	.set _ZN2at6native29vectorized_elementwise_kernelILi16ENS0_13BinaryFunctorIssbNS0_12_GLOBAL__N_116CompareEqFunctorIsEEEESt5arrayIPcLm3EEEEviT0_T1_.uses_flat_scratch, 0
	.set _ZN2at6native29vectorized_elementwise_kernelILi16ENS0_13BinaryFunctorIssbNS0_12_GLOBAL__N_116CompareEqFunctorIsEEEESt5arrayIPcLm3EEEEviT0_T1_.has_dyn_sized_stack, 0
	.set _ZN2at6native29vectorized_elementwise_kernelILi16ENS0_13BinaryFunctorIssbNS0_12_GLOBAL__N_116CompareEqFunctorIsEEEESt5arrayIPcLm3EEEEviT0_T1_.has_recursion, 0
	.set _ZN2at6native29vectorized_elementwise_kernelILi16ENS0_13BinaryFunctorIssbNS0_12_GLOBAL__N_116CompareEqFunctorIsEEEESt5arrayIPcLm3EEEEviT0_T1_.has_indirect_call, 0
	.section	.AMDGPU.csdata,"",@progbits
; Kernel info:
; codeLenInByte = 3544
; TotalNumSgprs: 29
; NumVgprs: 19
; ScratchSize: 0
; MemoryBound: 0
; FloatMode: 240
; IeeeMode: 1
; LDSByteSize: 0 bytes/workgroup (compile time only)
; SGPRBlocks: 0
; VGPRBlocks: 1
; NumSGPRsForWavesPerEU: 29
; NumVGPRsForWavesPerEU: 19
; NamedBarCnt: 0
; Occupancy: 16
; WaveLimiterHint : 0
; COMPUTE_PGM_RSRC2:SCRATCH_EN: 0
; COMPUTE_PGM_RSRC2:USER_SGPR: 2
; COMPUTE_PGM_RSRC2:TRAP_HANDLER: 0
; COMPUTE_PGM_RSRC2:TGID_X_EN: 1
; COMPUTE_PGM_RSRC2:TGID_Y_EN: 0
; COMPUTE_PGM_RSRC2:TGID_Z_EN: 0
; COMPUTE_PGM_RSRC2:TIDIG_COMP_CNT: 0
	.section	.text._ZN2at6native29vectorized_elementwise_kernelILi8ENS0_13BinaryFunctorIssbNS0_12_GLOBAL__N_116CompareEqFunctorIsEEEESt5arrayIPcLm3EEEEviT0_T1_,"axG",@progbits,_ZN2at6native29vectorized_elementwise_kernelILi8ENS0_13BinaryFunctorIssbNS0_12_GLOBAL__N_116CompareEqFunctorIsEEEESt5arrayIPcLm3EEEEviT0_T1_,comdat
	.globl	_ZN2at6native29vectorized_elementwise_kernelILi8ENS0_13BinaryFunctorIssbNS0_12_GLOBAL__N_116CompareEqFunctorIsEEEESt5arrayIPcLm3EEEEviT0_T1_ ; -- Begin function _ZN2at6native29vectorized_elementwise_kernelILi8ENS0_13BinaryFunctorIssbNS0_12_GLOBAL__N_116CompareEqFunctorIsEEEESt5arrayIPcLm3EEEEviT0_T1_
	.p2align	8
	.type	_ZN2at6native29vectorized_elementwise_kernelILi8ENS0_13BinaryFunctorIssbNS0_12_GLOBAL__N_116CompareEqFunctorIsEEEESt5arrayIPcLm3EEEEviT0_T1_,@function
_ZN2at6native29vectorized_elementwise_kernelILi8ENS0_13BinaryFunctorIssbNS0_12_GLOBAL__N_116CompareEqFunctorIsEEEESt5arrayIPcLm3EEEEviT0_T1_: ; @_ZN2at6native29vectorized_elementwise_kernelILi8ENS0_13BinaryFunctorIssbNS0_12_GLOBAL__N_116CompareEqFunctorIsEEEESt5arrayIPcLm3EEEEviT0_T1_
; %bb.0:
	s_clause 0x2
	s_load_b64 s[6:7], s[0:1], 0x0
	s_load_b128 s[8:11], s[0:1], 0x8
	s_load_b64 s[14:15], s[0:1], 0x18
	s_wait_xcnt 0x0
	s_bfe_u32 s0, ttmp6, 0x4000c
	s_and_b32 s1, ttmp6, 15
	s_add_co_i32 s0, s0, 1
	s_getreg_b32 s2, hwreg(HW_REG_IB_STS2, 6, 4)
	s_mul_i32 s0, ttmp9, s0
	s_delay_alu instid0(SALU_CYCLE_1) | instskip(SKIP_2) | instid1(SALU_CYCLE_1)
	s_add_co_i32 s1, s1, s0
	s_cmp_eq_u32 s2, 0
	s_cselect_b32 s0, ttmp9, s1
	s_lshl_b32 s12, s0, 12
	s_mov_b32 s0, -1
	s_wait_kmcnt 0x0
	s_sub_co_i32 s16, s6, s12
	s_delay_alu instid0(SALU_CYCLE_1)
	s_cmp_gt_i32 s16, 0xfff
	s_cbranch_scc0 .LBB65_2
; %bb.1:
	s_ashr_i32 s13, s12, 31
	v_or3_b32 v1, 0, 0, 0
	s_lshl_b64 s[0:1], s[12:13], 1
	s_cmp_eq_u32 s7, 0
	s_add_nc_u64 s[2:3], s[10:11], s[0:1]
	s_add_nc_u64 s[0:1], s[14:15], s[0:1]
	s_clause 0x3
	global_load_b128 v[2:5], v0, s[2:3] scale_offset
	global_load_b128 v[6:9], v0, s[2:3] offset:4096 scale_offset
	global_load_b128 v[10:13], v0, s[0:1] scale_offset
	global_load_b128 v[14:17], v0, s[0:1] offset:4096 scale_offset
	s_cselect_b32 s17, -1, 0
	s_wait_loadcnt 0x3
	v_dual_lshrrev_b32 v18, 16, v2 :: v_dual_lshrrev_b32 v19, 16, v3
	s_wait_loadcnt 0x1
	s_wait_xcnt 0x0
	v_cmp_ne_u16_e64 s0, v3, v11
	v_dual_lshrrev_b32 v26, 16, v10 :: v_dual_lshrrev_b32 v27, 16, v11
	s_wait_loadcnt 0x0
	v_cmp_ne_u16_e64 s3, v6, v14
	v_cmp_ne_u16_e32 vcc_lo, v2, v10
	v_dual_lshrrev_b32 v22, 16, v6 :: v_dual_lshrrev_b32 v23, 16, v7
	v_dual_lshrrev_b32 v30, 16, v14 :: v_dual_lshrrev_b32 v31, 16, v15
	v_cmp_ne_u16_e64 s1, v4, v12
	s_xor_b32 s0, s17, s0
	v_dual_lshrrev_b32 v20, 16, v4 :: v_dual_lshrrev_b32 v21, 16, v5
	v_dual_lshrrev_b32 v28, 16, v12 :: v_dual_lshrrev_b32 v29, 16, v13
	v_cmp_ne_u16_e64 s4, v7, v15
	v_cndmask_b32_e64 v3, 0, 0x10000, s0
	v_cmp_ne_u16_e64 s0, v19, v27
	s_xor_b32 s3, s17, s3
	s_xor_b32 s18, s17, vcc_lo
	v_cmp_ne_u16_e32 vcc_lo, v18, v26
	v_cndmask_b32_e64 v6, 0, 1, s3
	v_cmp_ne_u16_e64 s3, v22, v30
	v_cmp_ne_u16_e64 s2, v5, v13
	s_xor_b32 s1, s17, s1
	v_cmp_ne_u16_e64 s5, v8, v16
	v_cndmask_b32_e64 v4, 0, 1, s1
	v_cmp_ne_u16_e64 s1, v20, v28
	s_xor_b32 s4, s17, s4
	s_xor_b32 s0, s17, s0
	v_cndmask_b32_e64 v2, 0, 1, s18
	s_xor_b32 s18, s17, vcc_lo
	v_dual_lshrrev_b32 v24, 16, v8 :: v_dual_lshrrev_b32 v25, 16, v9
	v_dual_lshrrev_b32 v32, 16, v16 :: v_dual_lshrrev_b32 v33, 16, v17
	v_cndmask_b32_e64 v7, 0, 0x10000, s4
	v_cmp_ne_u16_e64 s4, v23, v31
	v_cndmask_b32_e64 v11, 0, 0x1000000, s0
	s_xor_b32 s0, s17, s3
	s_xor_b32 s2, s17, s2
	v_cndmask_b32_e64 v10, 0, 0x100, s18
	v_cndmask_b32_e64 v12, 0, 0x100, s0
	v_cmp_ne_u16_e64 s6, v9, v17
	v_cndmask_b32_e64 v5, 0, 0x10000, s2
	v_cmp_ne_u16_e64 s2, v21, v29
	s_xor_b32 s5, s17, s5
	s_xor_b32 s0, s17, s1
	v_cndmask_b32_e64 v8, 0, 1, s5
	v_cmp_ne_u16_e64 s5, v24, v32
	v_cndmask_b32_e64 v13, 0, 0x100, s0
	s_xor_b32 s0, s17, s4
	v_or_b32_e32 v2, v10, v2
	v_cndmask_b32_e64 v14, 0, 0x1000000, s0
	v_or_b32_e32 v6, v12, v6
	s_xor_b32 s6, s17, s6
	s_xor_b32 s0, s17, s2
	v_cndmask_b32_e64 v9, 0, 0x10000, s6
	v_cmp_ne_u16_e64 s6, v25, v33
	v_cndmask_b32_e64 v10, 0, 0x1000000, s0
	s_xor_b32 s0, s17, s5
	v_or3_b32 v2, v2, v3, v11
	v_cndmask_b32_e64 v12, 0, 0x100, s0
	v_or3_b32 v3, v6, v7, v14
	s_xor_b32 s0, s17, s6
	v_or3_b32 v4, v1, v4, v13
	v_or3_b32 v2, v2, 0, 0
	v_cndmask_b32_e64 v6, 0, 0x1000000, s0
	v_or3_b32 v1, v1, v8, v12
	v_or3_b32 v7, v3, 0, 0
	v_or3_b32 v3, v4, v5, v10
	v_or3_b32 v2, v2, 0, 0
	s_add_nc_u64 s[2:3], s[8:9], s[12:13]
	v_or3_b32 v5, v1, v9, v6
	v_or3_b32 v4, v7, 0, 0
	s_mov_b32 s0, 0
	s_clause 0x1
	global_store_b64 v0, v[2:3], s[2:3] scale_offset
	global_store_b64 v0, v[4:5], s[2:3] offset:2048 scale_offset
.LBB65_2:
	s_and_not1_b32 vcc_lo, exec_lo, s0
	s_cbranch_vccnz .LBB65_52
; %bb.3:
	v_cmp_gt_i32_e32 vcc_lo, s16, v0
	s_wait_xcnt 0x1
	v_dual_mov_b32 v3, v0 :: v_dual_bitop2_b32 v1, s12, v0 bitop3:0x54
	v_or_b32_e32 v2, 0x100, v0
	s_mov_b32 s1, 0
	s_wait_xcnt 0x0
	s_mov_b32 s2, 0
	s_and_saveexec_b32 s3, vcc_lo
	s_cbranch_execz .LBB65_5
; %bb.4:
	s_clause 0x1
	global_load_u16 v3, v1, s[10:11] scale_offset
	global_load_u16 v4, v1, s[14:15] scale_offset
	s_wait_loadcnt 0x0
	v_cmp_ne_u16_e64 s0, v3, v4
	v_or_b32_e32 v3, 0x100, v0
	s_and_b32 s2, s0, exec_lo
.LBB65_5:
	s_wait_xcnt 0x0
	s_or_b32 exec_lo, exec_lo, s3
	s_delay_alu instid0(SALU_CYCLE_1)
	s_mov_b32 s3, exec_lo
	v_cmpx_gt_i32_e64 s16, v3
	s_cbranch_execz .LBB65_7
; %bb.6:
	v_add_nc_u32_e32 v4, s12, v3
	v_add_nc_u32_e32 v3, 0x100, v3
	s_clause 0x1
	global_load_u16 v5, v4, s[10:11] scale_offset
	global_load_u16 v6, v4, s[14:15] scale_offset
	s_wait_loadcnt 0x0
	v_cmp_ne_u16_e64 s0, v5, v6
	s_and_b32 s1, s0, exec_lo
.LBB65_7:
	s_wait_xcnt 0x0
	s_or_b32 exec_lo, exec_lo, s3
	s_mov_b32 s3, 0
	s_mov_b32 s5, 0
	s_mov_b32 s4, exec_lo
	v_cmpx_gt_i32_e64 s16, v3
	s_cbranch_execz .LBB65_9
; %bb.8:
	v_add_nc_u32_e32 v4, s12, v3
	v_add_nc_u32_e32 v3, 0x100, v3
	s_clause 0x1
	global_load_u16 v5, v4, s[10:11] scale_offset
	global_load_u16 v6, v4, s[14:15] scale_offset
	s_wait_loadcnt 0x0
	v_cmp_ne_u16_e64 s0, v5, v6
	s_and_b32 s5, s0, exec_lo
.LBB65_9:
	s_wait_xcnt 0x0
	s_or_b32 exec_lo, exec_lo, s4
	s_delay_alu instid0(SALU_CYCLE_1)
	s_mov_b32 s4, exec_lo
	v_cmpx_gt_i32_e64 s16, v3
	s_cbranch_execz .LBB65_11
; %bb.10:
	v_add_nc_u32_e32 v4, s12, v3
	v_add_nc_u32_e32 v3, 0x100, v3
	s_clause 0x1
	global_load_u16 v5, v4, s[10:11] scale_offset
	global_load_u16 v6, v4, s[14:15] scale_offset
	s_wait_loadcnt 0x0
	v_cmp_ne_u16_e64 s0, v5, v6
	s_and_b32 s3, s0, exec_lo
.LBB65_11:
	s_wait_xcnt 0x0
	s_or_b32 exec_lo, exec_lo, s4
	s_mov_b32 s4, 0
	s_mov_b32 s13, 0
	s_mov_b32 s6, exec_lo
	v_cmpx_gt_i32_e64 s16, v3
	s_cbranch_execz .LBB65_13
; %bb.12:
	v_add_nc_u32_e32 v4, s12, v3
	v_add_nc_u32_e32 v3, 0x100, v3
	s_clause 0x1
	global_load_u16 v5, v4, s[10:11] scale_offset
	global_load_u16 v6, v4, s[14:15] scale_offset
	s_wait_loadcnt 0x0
	v_cmp_ne_u16_e64 s0, v5, v6
	s_and_b32 s13, s0, exec_lo
.LBB65_13:
	;; [unrolled: 33-line block ×7, first 2 shown]
	s_wait_xcnt 0x0
	s_or_b32 exec_lo, exec_lo, s26
	s_delay_alu instid0(SALU_CYCLE_1)
	s_mov_b32 s26, exec_lo
	v_cmpx_gt_i32_e64 s16, v3
	s_cbranch_execz .LBB65_35
; %bb.34:
	v_add_nc_u32_e32 v3, s12, v3
	s_clause 0x1
	global_load_u16 v4, v3, s[10:11] scale_offset
	global_load_u16 v5, v3, s[14:15] scale_offset
	s_wait_loadcnt 0x0
	v_cmp_ne_u16_e64 s0, v4, v5
	s_and_b32 s23, s0, exec_lo
.LBB65_35:
	s_wait_xcnt 0x0
	s_or_b32 exec_lo, exec_lo, s26
	s_cmp_eq_u32 s7, 0
	s_cselect_b32 s0, -1, 0
	s_and_saveexec_b32 s7, vcc_lo
	s_cbranch_execnz .LBB65_53
; %bb.36:
	s_or_b32 exec_lo, exec_lo, s7
	s_delay_alu instid0(SALU_CYCLE_1)
	s_mov_b32 s2, exec_lo
	v_cmpx_gt_i32_e64 s16, v0
	s_cbranch_execnz .LBB65_54
.LBB65_37:
	s_or_b32 exec_lo, exec_lo, s2
	s_delay_alu instid0(SALU_CYCLE_1)
	s_mov_b32 s1, exec_lo
	v_cmpx_gt_i32_e64 s16, v0
	s_cbranch_execnz .LBB65_55
.LBB65_38:
	s_or_b32 exec_lo, exec_lo, s1
	s_delay_alu instid0(SALU_CYCLE_1)
	s_mov_b32 s1, exec_lo
	v_cmpx_gt_i32_e64 s16, v0
	s_cbranch_execnz .LBB65_56
.LBB65_39:
	s_or_b32 exec_lo, exec_lo, s1
	s_delay_alu instid0(SALU_CYCLE_1)
	s_mov_b32 s1, exec_lo
	v_cmpx_gt_i32_e64 s16, v0
	s_cbranch_execnz .LBB65_57
.LBB65_40:
	s_or_b32 exec_lo, exec_lo, s1
	s_delay_alu instid0(SALU_CYCLE_1)
	s_mov_b32 s1, exec_lo
	v_cmpx_gt_i32_e64 s16, v0
	s_cbranch_execnz .LBB65_58
.LBB65_41:
	s_or_b32 exec_lo, exec_lo, s1
	s_delay_alu instid0(SALU_CYCLE_1)
	s_mov_b32 s1, exec_lo
	v_cmpx_gt_i32_e64 s16, v0
	s_cbranch_execnz .LBB65_59
.LBB65_42:
	s_or_b32 exec_lo, exec_lo, s1
	s_delay_alu instid0(SALU_CYCLE_1)
	s_mov_b32 s1, exec_lo
	v_cmpx_gt_i32_e64 s16, v0
	s_cbranch_execnz .LBB65_60
.LBB65_43:
	s_or_b32 exec_lo, exec_lo, s1
	s_delay_alu instid0(SALU_CYCLE_1)
	s_mov_b32 s1, exec_lo
	v_cmpx_gt_i32_e64 s16, v0
	s_cbranch_execnz .LBB65_61
.LBB65_44:
	s_or_b32 exec_lo, exec_lo, s1
	s_delay_alu instid0(SALU_CYCLE_1)
	s_mov_b32 s1, exec_lo
	v_cmpx_gt_i32_e64 s16, v0
	s_cbranch_execnz .LBB65_62
.LBB65_45:
	s_or_b32 exec_lo, exec_lo, s1
	s_delay_alu instid0(SALU_CYCLE_1)
	s_mov_b32 s1, exec_lo
	v_cmpx_gt_i32_e64 s16, v0
	s_cbranch_execnz .LBB65_63
.LBB65_46:
	s_or_b32 exec_lo, exec_lo, s1
	s_delay_alu instid0(SALU_CYCLE_1)
	s_mov_b32 s1, exec_lo
	v_cmpx_gt_i32_e64 s16, v0
	s_cbranch_execnz .LBB65_64
.LBB65_47:
	s_or_b32 exec_lo, exec_lo, s1
	s_delay_alu instid0(SALU_CYCLE_1)
	s_mov_b32 s1, exec_lo
	v_cmpx_gt_i32_e64 s16, v0
	s_cbranch_execnz .LBB65_65
.LBB65_48:
	s_or_b32 exec_lo, exec_lo, s1
	s_delay_alu instid0(SALU_CYCLE_1)
	s_mov_b32 s1, exec_lo
	v_cmpx_gt_i32_e64 s16, v0
	s_cbranch_execnz .LBB65_66
.LBB65_49:
	s_or_b32 exec_lo, exec_lo, s1
	s_delay_alu instid0(SALU_CYCLE_1)
	s_mov_b32 s1, exec_lo
	v_cmpx_gt_i32_e64 s16, v0
	s_cbranch_execnz .LBB65_67
.LBB65_50:
	s_or_b32 exec_lo, exec_lo, s1
	s_delay_alu instid0(SALU_CYCLE_1)
	s_mov_b32 s1, exec_lo
	v_cmpx_gt_i32_e64 s16, v0
	s_cbranch_execz .LBB65_52
.LBB65_51:
	s_xor_b32 s0, s0, s23
	v_add_nc_u32_e32 v0, s12, v0
	v_cndmask_b32_e64 v1, 0, 1, s0
	global_store_b8 v0, v1, s[8:9]
.LBB65_52:
	s_endpgm
.LBB65_53:
	s_xor_b32 s2, s0, s2
	v_mov_b32_e32 v0, v2
	v_cndmask_b32_e64 v3, 0, 1, s2
	global_store_b8 v1, v3, s[8:9]
	s_wait_xcnt 0x0
	s_or_b32 exec_lo, exec_lo, s7
	s_delay_alu instid0(SALU_CYCLE_1)
	s_mov_b32 s2, exec_lo
	v_cmpx_gt_i32_e64 s16, v0
	s_cbranch_execz .LBB65_37
.LBB65_54:
	s_xor_b32 s1, s0, s1
	v_add_nc_u32_e32 v2, s12, v0
	v_cndmask_b32_e64 v1, 0, 1, s1
	v_add_nc_u32_e32 v0, 0x100, v0
	global_store_b8 v2, v1, s[8:9]
	s_wait_xcnt 0x0
	s_or_b32 exec_lo, exec_lo, s2
	s_delay_alu instid0(SALU_CYCLE_1)
	s_mov_b32 s1, exec_lo
	v_cmpx_gt_i32_e64 s16, v0
	s_cbranch_execz .LBB65_38
.LBB65_55:
	s_xor_b32 s2, s0, s5
	v_add_nc_u32_e32 v2, s12, v0
	v_cndmask_b32_e64 v1, 0, 1, s2
	v_add_nc_u32_e32 v0, 0x100, v0
	global_store_b8 v2, v1, s[8:9]
	s_wait_xcnt 0x0
	s_or_b32 exec_lo, exec_lo, s1
	s_delay_alu instid0(SALU_CYCLE_1)
	s_mov_b32 s1, exec_lo
	v_cmpx_gt_i32_e64 s16, v0
	s_cbranch_execz .LBB65_39
.LBB65_56:
	s_xor_b32 s2, s0, s3
	v_add_nc_u32_e32 v2, s12, v0
	v_cndmask_b32_e64 v1, 0, 1, s2
	v_add_nc_u32_e32 v0, 0x100, v0
	global_store_b8 v2, v1, s[8:9]
	s_wait_xcnt 0x0
	s_or_b32 exec_lo, exec_lo, s1
	s_delay_alu instid0(SALU_CYCLE_1)
	s_mov_b32 s1, exec_lo
	v_cmpx_gt_i32_e64 s16, v0
	s_cbranch_execz .LBB65_40
.LBB65_57:
	s_xor_b32 s2, s0, s13
	v_add_nc_u32_e32 v2, s12, v0
	v_cndmask_b32_e64 v1, 0, 1, s2
	v_add_nc_u32_e32 v0, 0x100, v0
	global_store_b8 v2, v1, s[8:9]
	s_wait_xcnt 0x0
	s_or_b32 exec_lo, exec_lo, s1
	s_delay_alu instid0(SALU_CYCLE_1)
	s_mov_b32 s1, exec_lo
	v_cmpx_gt_i32_e64 s16, v0
	s_cbranch_execz .LBB65_41
.LBB65_58:
	s_xor_b32 s2, s0, s4
	v_add_nc_u32_e32 v2, s12, v0
	v_cndmask_b32_e64 v1, 0, 1, s2
	v_add_nc_u32_e32 v0, 0x100, v0
	global_store_b8 v2, v1, s[8:9]
	s_wait_xcnt 0x0
	s_or_b32 exec_lo, exec_lo, s1
	s_delay_alu instid0(SALU_CYCLE_1)
	s_mov_b32 s1, exec_lo
	v_cmpx_gt_i32_e64 s16, v0
	s_cbranch_execz .LBB65_42
.LBB65_59:
	s_xor_b32 s2, s0, s18
	v_add_nc_u32_e32 v2, s12, v0
	v_cndmask_b32_e64 v1, 0, 1, s2
	v_add_nc_u32_e32 v0, 0x100, v0
	global_store_b8 v2, v1, s[8:9]
	s_wait_xcnt 0x0
	s_or_b32 exec_lo, exec_lo, s1
	s_delay_alu instid0(SALU_CYCLE_1)
	s_mov_b32 s1, exec_lo
	v_cmpx_gt_i32_e64 s16, v0
	s_cbranch_execz .LBB65_43
.LBB65_60:
	s_xor_b32 s2, s0, s6
	v_add_nc_u32_e32 v2, s12, v0
	v_cndmask_b32_e64 v1, 0, 1, s2
	v_add_nc_u32_e32 v0, 0x100, v0
	global_store_b8 v2, v1, s[8:9]
	s_wait_xcnt 0x0
	s_or_b32 exec_lo, exec_lo, s1
	s_delay_alu instid0(SALU_CYCLE_1)
	s_mov_b32 s1, exec_lo
	v_cmpx_gt_i32_e64 s16, v0
	s_cbranch_execz .LBB65_44
.LBB65_61:
	s_xor_b32 s2, s0, s20
	v_add_nc_u32_e32 v2, s12, v0
	v_cndmask_b32_e64 v1, 0, 1, s2
	v_add_nc_u32_e32 v0, 0x100, v0
	global_store_b8 v2, v1, s[8:9]
	s_wait_xcnt 0x0
	s_or_b32 exec_lo, exec_lo, s1
	s_delay_alu instid0(SALU_CYCLE_1)
	s_mov_b32 s1, exec_lo
	v_cmpx_gt_i32_e64 s16, v0
	s_cbranch_execz .LBB65_45
.LBB65_62:
	s_xor_b32 s2, s0, s17
	v_add_nc_u32_e32 v2, s12, v0
	v_cndmask_b32_e64 v1, 0, 1, s2
	v_add_nc_u32_e32 v0, 0x100, v0
	global_store_b8 v2, v1, s[8:9]
	s_wait_xcnt 0x0
	s_or_b32 exec_lo, exec_lo, s1
	s_delay_alu instid0(SALU_CYCLE_1)
	s_mov_b32 s1, exec_lo
	v_cmpx_gt_i32_e64 s16, v0
	s_cbranch_execz .LBB65_46
.LBB65_63:
	s_xor_b32 s2, s0, s22
	v_add_nc_u32_e32 v2, s12, v0
	v_cndmask_b32_e64 v1, 0, 1, s2
	v_add_nc_u32_e32 v0, 0x100, v0
	global_store_b8 v2, v1, s[8:9]
	s_wait_xcnt 0x0
	s_or_b32 exec_lo, exec_lo, s1
	s_delay_alu instid0(SALU_CYCLE_1)
	s_mov_b32 s1, exec_lo
	v_cmpx_gt_i32_e64 s16, v0
	s_cbranch_execz .LBB65_47
.LBB65_64:
	s_xor_b32 s2, s0, s19
	v_add_nc_u32_e32 v2, s12, v0
	v_cndmask_b32_e64 v1, 0, 1, s2
	v_add_nc_u32_e32 v0, 0x100, v0
	global_store_b8 v2, v1, s[8:9]
	s_wait_xcnt 0x0
	s_or_b32 exec_lo, exec_lo, s1
	s_delay_alu instid0(SALU_CYCLE_1)
	s_mov_b32 s1, exec_lo
	v_cmpx_gt_i32_e64 s16, v0
	s_cbranch_execz .LBB65_48
.LBB65_65:
	s_xor_b32 s2, s0, s24
	v_add_nc_u32_e32 v2, s12, v0
	v_cndmask_b32_e64 v1, 0, 1, s2
	v_add_nc_u32_e32 v0, 0x100, v0
	global_store_b8 v2, v1, s[8:9]
	s_wait_xcnt 0x0
	s_or_b32 exec_lo, exec_lo, s1
	s_delay_alu instid0(SALU_CYCLE_1)
	s_mov_b32 s1, exec_lo
	v_cmpx_gt_i32_e64 s16, v0
	s_cbranch_execz .LBB65_49
.LBB65_66:
	s_xor_b32 s2, s0, s21
	v_add_nc_u32_e32 v2, s12, v0
	v_cndmask_b32_e64 v1, 0, 1, s2
	v_add_nc_u32_e32 v0, 0x100, v0
	global_store_b8 v2, v1, s[8:9]
	s_wait_xcnt 0x0
	s_or_b32 exec_lo, exec_lo, s1
	s_delay_alu instid0(SALU_CYCLE_1)
	s_mov_b32 s1, exec_lo
	v_cmpx_gt_i32_e64 s16, v0
	s_cbranch_execz .LBB65_50
.LBB65_67:
	s_xor_b32 s2, s0, s25
	v_add_nc_u32_e32 v2, s12, v0
	v_cndmask_b32_e64 v1, 0, 1, s2
	v_add_nc_u32_e32 v0, 0x100, v0
	global_store_b8 v2, v1, s[8:9]
	s_wait_xcnt 0x0
	s_or_b32 exec_lo, exec_lo, s1
	s_delay_alu instid0(SALU_CYCLE_1)
	s_mov_b32 s1, exec_lo
	v_cmpx_gt_i32_e64 s16, v0
	s_cbranch_execnz .LBB65_51
	s_branch .LBB65_52
	.section	.rodata,"a",@progbits
	.p2align	6, 0x0
	.amdhsa_kernel _ZN2at6native29vectorized_elementwise_kernelILi8ENS0_13BinaryFunctorIssbNS0_12_GLOBAL__N_116CompareEqFunctorIsEEEESt5arrayIPcLm3EEEEviT0_T1_
		.amdhsa_group_segment_fixed_size 0
		.amdhsa_private_segment_fixed_size 0
		.amdhsa_kernarg_size 32
		.amdhsa_user_sgpr_count 2
		.amdhsa_user_sgpr_dispatch_ptr 0
		.amdhsa_user_sgpr_queue_ptr 0
		.amdhsa_user_sgpr_kernarg_segment_ptr 1
		.amdhsa_user_sgpr_dispatch_id 0
		.amdhsa_user_sgpr_kernarg_preload_length 0
		.amdhsa_user_sgpr_kernarg_preload_offset 0
		.amdhsa_user_sgpr_private_segment_size 0
		.amdhsa_wavefront_size32 1
		.amdhsa_uses_dynamic_stack 0
		.amdhsa_enable_private_segment 0
		.amdhsa_system_sgpr_workgroup_id_x 1
		.amdhsa_system_sgpr_workgroup_id_y 0
		.amdhsa_system_sgpr_workgroup_id_z 0
		.amdhsa_system_sgpr_workgroup_info 0
		.amdhsa_system_vgpr_workitem_id 0
		.amdhsa_next_free_vgpr 34
		.amdhsa_next_free_sgpr 27
		.amdhsa_named_barrier_count 0
		.amdhsa_reserve_vcc 1
		.amdhsa_float_round_mode_32 0
		.amdhsa_float_round_mode_16_64 0
		.amdhsa_float_denorm_mode_32 3
		.amdhsa_float_denorm_mode_16_64 3
		.amdhsa_fp16_overflow 0
		.amdhsa_memory_ordered 1
		.amdhsa_forward_progress 1
		.amdhsa_inst_pref_size 28
		.amdhsa_round_robin_scheduling 0
		.amdhsa_exception_fp_ieee_invalid_op 0
		.amdhsa_exception_fp_denorm_src 0
		.amdhsa_exception_fp_ieee_div_zero 0
		.amdhsa_exception_fp_ieee_overflow 0
		.amdhsa_exception_fp_ieee_underflow 0
		.amdhsa_exception_fp_ieee_inexact 0
		.amdhsa_exception_int_div_zero 0
	.end_amdhsa_kernel
	.section	.text._ZN2at6native29vectorized_elementwise_kernelILi8ENS0_13BinaryFunctorIssbNS0_12_GLOBAL__N_116CompareEqFunctorIsEEEESt5arrayIPcLm3EEEEviT0_T1_,"axG",@progbits,_ZN2at6native29vectorized_elementwise_kernelILi8ENS0_13BinaryFunctorIssbNS0_12_GLOBAL__N_116CompareEqFunctorIsEEEESt5arrayIPcLm3EEEEviT0_T1_,comdat
.Lfunc_end65:
	.size	_ZN2at6native29vectorized_elementwise_kernelILi8ENS0_13BinaryFunctorIssbNS0_12_GLOBAL__N_116CompareEqFunctorIsEEEESt5arrayIPcLm3EEEEviT0_T1_, .Lfunc_end65-_ZN2at6native29vectorized_elementwise_kernelILi8ENS0_13BinaryFunctorIssbNS0_12_GLOBAL__N_116CompareEqFunctorIsEEEESt5arrayIPcLm3EEEEviT0_T1_
                                        ; -- End function
	.set _ZN2at6native29vectorized_elementwise_kernelILi8ENS0_13BinaryFunctorIssbNS0_12_GLOBAL__N_116CompareEqFunctorIsEEEESt5arrayIPcLm3EEEEviT0_T1_.num_vgpr, 34
	.set _ZN2at6native29vectorized_elementwise_kernelILi8ENS0_13BinaryFunctorIssbNS0_12_GLOBAL__N_116CompareEqFunctorIsEEEESt5arrayIPcLm3EEEEviT0_T1_.num_agpr, 0
	.set _ZN2at6native29vectorized_elementwise_kernelILi8ENS0_13BinaryFunctorIssbNS0_12_GLOBAL__N_116CompareEqFunctorIsEEEESt5arrayIPcLm3EEEEviT0_T1_.numbered_sgpr, 27
	.set _ZN2at6native29vectorized_elementwise_kernelILi8ENS0_13BinaryFunctorIssbNS0_12_GLOBAL__N_116CompareEqFunctorIsEEEESt5arrayIPcLm3EEEEviT0_T1_.num_named_barrier, 0
	.set _ZN2at6native29vectorized_elementwise_kernelILi8ENS0_13BinaryFunctorIssbNS0_12_GLOBAL__N_116CompareEqFunctorIsEEEESt5arrayIPcLm3EEEEviT0_T1_.private_seg_size, 0
	.set _ZN2at6native29vectorized_elementwise_kernelILi8ENS0_13BinaryFunctorIssbNS0_12_GLOBAL__N_116CompareEqFunctorIsEEEESt5arrayIPcLm3EEEEviT0_T1_.uses_vcc, 1
	.set _ZN2at6native29vectorized_elementwise_kernelILi8ENS0_13BinaryFunctorIssbNS0_12_GLOBAL__N_116CompareEqFunctorIsEEEESt5arrayIPcLm3EEEEviT0_T1_.uses_flat_scratch, 0
	.set _ZN2at6native29vectorized_elementwise_kernelILi8ENS0_13BinaryFunctorIssbNS0_12_GLOBAL__N_116CompareEqFunctorIsEEEESt5arrayIPcLm3EEEEviT0_T1_.has_dyn_sized_stack, 0
	.set _ZN2at6native29vectorized_elementwise_kernelILi8ENS0_13BinaryFunctorIssbNS0_12_GLOBAL__N_116CompareEqFunctorIsEEEESt5arrayIPcLm3EEEEviT0_T1_.has_recursion, 0
	.set _ZN2at6native29vectorized_elementwise_kernelILi8ENS0_13BinaryFunctorIssbNS0_12_GLOBAL__N_116CompareEqFunctorIsEEEESt5arrayIPcLm3EEEEviT0_T1_.has_indirect_call, 0
	.section	.AMDGPU.csdata,"",@progbits
; Kernel info:
; codeLenInByte = 3544
; TotalNumSgprs: 29
; NumVgprs: 34
; ScratchSize: 0
; MemoryBound: 0
; FloatMode: 240
; IeeeMode: 1
; LDSByteSize: 0 bytes/workgroup (compile time only)
; SGPRBlocks: 0
; VGPRBlocks: 2
; NumSGPRsForWavesPerEU: 29
; NumVGPRsForWavesPerEU: 34
; NamedBarCnt: 0
; Occupancy: 16
; WaveLimiterHint : 1
; COMPUTE_PGM_RSRC2:SCRATCH_EN: 0
; COMPUTE_PGM_RSRC2:USER_SGPR: 2
; COMPUTE_PGM_RSRC2:TRAP_HANDLER: 0
; COMPUTE_PGM_RSRC2:TGID_X_EN: 1
; COMPUTE_PGM_RSRC2:TGID_Y_EN: 0
; COMPUTE_PGM_RSRC2:TGID_Z_EN: 0
; COMPUTE_PGM_RSRC2:TIDIG_COMP_CNT: 0
	.section	.text._ZN2at6native29vectorized_elementwise_kernelILi4ENS0_13BinaryFunctorIssbNS0_12_GLOBAL__N_116CompareEqFunctorIsEEEESt5arrayIPcLm3EEEEviT0_T1_,"axG",@progbits,_ZN2at6native29vectorized_elementwise_kernelILi4ENS0_13BinaryFunctorIssbNS0_12_GLOBAL__N_116CompareEqFunctorIsEEEESt5arrayIPcLm3EEEEviT0_T1_,comdat
	.globl	_ZN2at6native29vectorized_elementwise_kernelILi4ENS0_13BinaryFunctorIssbNS0_12_GLOBAL__N_116CompareEqFunctorIsEEEESt5arrayIPcLm3EEEEviT0_T1_ ; -- Begin function _ZN2at6native29vectorized_elementwise_kernelILi4ENS0_13BinaryFunctorIssbNS0_12_GLOBAL__N_116CompareEqFunctorIsEEEESt5arrayIPcLm3EEEEviT0_T1_
	.p2align	8
	.type	_ZN2at6native29vectorized_elementwise_kernelILi4ENS0_13BinaryFunctorIssbNS0_12_GLOBAL__N_116CompareEqFunctorIsEEEESt5arrayIPcLm3EEEEviT0_T1_,@function
_ZN2at6native29vectorized_elementwise_kernelILi4ENS0_13BinaryFunctorIssbNS0_12_GLOBAL__N_116CompareEqFunctorIsEEEESt5arrayIPcLm3EEEEviT0_T1_: ; @_ZN2at6native29vectorized_elementwise_kernelILi4ENS0_13BinaryFunctorIssbNS0_12_GLOBAL__N_116CompareEqFunctorIsEEEESt5arrayIPcLm3EEEEviT0_T1_
; %bb.0:
	s_clause 0x2
	s_load_b64 s[6:7], s[0:1], 0x0
	s_load_b128 s[8:11], s[0:1], 0x8
	s_load_b64 s[14:15], s[0:1], 0x18
	s_wait_xcnt 0x0
	s_bfe_u32 s0, ttmp6, 0x4000c
	s_and_b32 s1, ttmp6, 15
	s_add_co_i32 s0, s0, 1
	s_getreg_b32 s2, hwreg(HW_REG_IB_STS2, 6, 4)
	s_mul_i32 s0, ttmp9, s0
	s_delay_alu instid0(SALU_CYCLE_1) | instskip(SKIP_2) | instid1(SALU_CYCLE_1)
	s_add_co_i32 s1, s1, s0
	s_cmp_eq_u32 s2, 0
	s_cselect_b32 s0, ttmp9, s1
	s_lshl_b32 s12, s0, 12
	s_mov_b32 s0, -1
	s_wait_kmcnt 0x0
	s_sub_co_i32 s16, s6, s12
	s_delay_alu instid0(SALU_CYCLE_1)
	s_cmp_gt_i32 s16, 0xfff
	s_cbranch_scc0 .LBB66_2
; %bb.1:
	s_ashr_i32 s13, s12, 31
	s_delay_alu instid0(SALU_CYCLE_1)
	s_lshl_b64 s[0:1], s[12:13], 1
	s_cmp_eq_u32 s7, 0
	s_add_nc_u64 s[2:3], s[14:15], s[0:1]
	s_add_nc_u64 s[0:1], s[10:11], s[0:1]
	s_clause 0x7
	global_load_b64 v[2:3], v0, s[2:3] scale_offset
	global_load_b64 v[4:5], v0, s[0:1] scale_offset
	global_load_b64 v[6:7], v0, s[0:1] offset:2048 scale_offset
	global_load_b64 v[8:9], v0, s[2:3] offset:2048 scale_offset
	;; [unrolled: 1-line block ×6, first 2 shown]
	s_cselect_b32 s17, -1, 0
	s_wait_loadcnt 0x6
	s_wait_xcnt 0x1
	v_cmp_ne_u16_e64 s0, v5, v3
	v_cmp_ne_u16_e32 vcc_lo, v4, v2
	v_xor_b32_e32 v1, v2, v4
	v_xor_b32_e32 v2, v3, v5
	s_wait_loadcnt 0x4
	v_cmp_ne_u16_e64 s1, v6, v8
	v_xor_b32_e32 v3, v8, v6
	s_wait_xcnt 0x0
	v_cmp_ne_u16_e64 s2, v7, v9
	s_xor_b32 s0, s17, s0
	v_xor_b32_e32 v4, v9, v7
	s_wait_loadcnt 0x2
	v_cmp_ne_u16_e64 s3, v12, v10
	s_xor_b32 s18, s17, vcc_lo
	v_cmp_lt_u32_e32 vcc_lo, 0xffff, v1
	v_cndmask_b32_e64 v1, 0, 0x10000, s0
	v_cmp_lt_u32_e64 s0, 0xffff, v2
	s_xor_b32 s1, s17, s1
	v_xor_b32_e32 v5, v10, v12
	v_cmp_ne_u16_e64 s4, v13, v11
	v_cndmask_b32_e64 v2, 0, 1, s1
	v_cmp_lt_u32_e64 s1, 0xffff, v3
	s_xor_b32 s2, s17, s2
	v_xor_b32_e32 v6, v11, v13
	s_wait_loadcnt 0x0
	v_cmp_ne_u16_e64 s5, v14, v16
	v_cndmask_b32_e64 v3, 0, 0x10000, s2
	v_cmp_lt_u32_e64 s2, 0xffff, v4
	s_xor_b32 s3, s17, s3
	v_xor_b32_e32 v7, v16, v14
	s_xor_b32 s0, s17, s0
	v_cndmask_b32_e64 v4, 0, 1, s3
	v_cmp_lt_u32_e64 s3, 0xffff, v5
	s_xor_b32 s4, s17, s4
	v_cmp_ne_u16_e64 s6, v15, v17
	v_cndmask_b32_e64 v10, 0, 0x1000000, s0
	s_xor_b32 s0, s17, s1
	v_cndmask_b32_e64 v5, 0, 0x10000, s4
	v_cmp_lt_u32_e64 s4, 0xffff, v6
	s_xor_b32 s5, s17, s5
	v_xor_b32_e32 v8, v17, v15
	v_cndmask_b32_e64 v11, 0, 0x100, s0
	s_xor_b32 s0, s17, s2
	v_cndmask_b32_e64 v6, 0, 1, s5
	v_cmp_lt_u32_e64 s5, 0xffff, v7
	v_cndmask_b32_e64 v12, 0, 0x1000000, s0
	s_xor_b32 s0, s17, s3
	v_cndmask_b32_e64 v9, 0, 1, s18
	s_xor_b32 s6, s17, s6
	s_xor_b32 s18, s17, vcc_lo
	v_cndmask_b32_e64 v13, 0, 0x100, s0
	s_xor_b32 s0, s17, s4
	v_cndmask_b32_e64 v7, 0, 0x10000, s6
	v_cmp_lt_u32_e64 s6, 0xffff, v8
	v_cndmask_b32_e64 v8, 0, 0x100, s18
	v_cndmask_b32_e64 v14, 0, 0x1000000, s0
	s_xor_b32 s0, s17, s5
	v_or_b32_e32 v2, v11, v2
	v_cndmask_b32_e64 v15, 0, 0x100, s0
	v_or_b32_e32 v8, v8, v9
	s_xor_b32 s0, s17, s6
	v_or_b32_e32 v4, v13, v4
	v_cndmask_b32_e64 v16, 0, 0x1000000, s0
	v_or_b32_e32 v6, v15, v6
	v_or3_b32 v1, v8, v1, v10
	v_or3_b32 v2, v2, v3, v12
	;; [unrolled: 1-line block ×3, first 2 shown]
	s_add_nc_u64 s[2:3], s[8:9], s[12:13]
	v_or3_b32 v4, v6, v7, v16
	s_mov_b32 s0, 0
	s_clause 0x3
	global_store_b32 v0, v1, s[2:3] scale_offset
	global_store_b32 v0, v2, s[2:3] offset:1024 scale_offset
	global_store_b32 v0, v3, s[2:3] offset:2048 scale_offset
	;; [unrolled: 1-line block ×3, first 2 shown]
.LBB66_2:
	s_and_not1_b32 vcc_lo, exec_lo, s0
	s_cbranch_vccnz .LBB66_52
; %bb.3:
	v_cmp_gt_i32_e32 vcc_lo, s16, v0
	s_wait_xcnt 0x1
	v_dual_mov_b32 v3, v0 :: v_dual_bitop2_b32 v1, s12, v0 bitop3:0x54
	v_or_b32_e32 v2, 0x100, v0
	s_mov_b32 s1, 0
	s_wait_xcnt 0x0
	s_mov_b32 s2, 0
	s_and_saveexec_b32 s3, vcc_lo
	s_cbranch_execz .LBB66_5
; %bb.4:
	s_clause 0x1
	global_load_u16 v3, v1, s[10:11] scale_offset
	global_load_u16 v4, v1, s[14:15] scale_offset
	s_wait_loadcnt 0x0
	v_cmp_ne_u16_e64 s0, v3, v4
	v_or_b32_e32 v3, 0x100, v0
	s_and_b32 s2, s0, exec_lo
.LBB66_5:
	s_wait_xcnt 0x0
	s_or_b32 exec_lo, exec_lo, s3
	s_delay_alu instid0(SALU_CYCLE_1)
	s_mov_b32 s3, exec_lo
	v_cmpx_gt_i32_e64 s16, v3
	s_cbranch_execz .LBB66_7
; %bb.6:
	v_add_nc_u32_e32 v4, s12, v3
	v_add_nc_u32_e32 v3, 0x100, v3
	s_clause 0x1
	global_load_u16 v5, v4, s[10:11] scale_offset
	global_load_u16 v6, v4, s[14:15] scale_offset
	s_wait_loadcnt 0x0
	v_cmp_ne_u16_e64 s0, v5, v6
	s_and_b32 s1, s0, exec_lo
.LBB66_7:
	s_wait_xcnt 0x0
	s_or_b32 exec_lo, exec_lo, s3
	s_mov_b32 s3, 0
	s_mov_b32 s5, 0
	s_mov_b32 s4, exec_lo
	v_cmpx_gt_i32_e64 s16, v3
	s_cbranch_execz .LBB66_9
; %bb.8:
	v_add_nc_u32_e32 v4, s12, v3
	v_add_nc_u32_e32 v3, 0x100, v3
	s_clause 0x1
	global_load_u16 v5, v4, s[10:11] scale_offset
	global_load_u16 v6, v4, s[14:15] scale_offset
	s_wait_loadcnt 0x0
	v_cmp_ne_u16_e64 s0, v5, v6
	s_and_b32 s5, s0, exec_lo
.LBB66_9:
	s_wait_xcnt 0x0
	s_or_b32 exec_lo, exec_lo, s4
	s_delay_alu instid0(SALU_CYCLE_1)
	s_mov_b32 s4, exec_lo
	v_cmpx_gt_i32_e64 s16, v3
	s_cbranch_execz .LBB66_11
; %bb.10:
	v_add_nc_u32_e32 v4, s12, v3
	v_add_nc_u32_e32 v3, 0x100, v3
	s_clause 0x1
	global_load_u16 v5, v4, s[10:11] scale_offset
	global_load_u16 v6, v4, s[14:15] scale_offset
	s_wait_loadcnt 0x0
	v_cmp_ne_u16_e64 s0, v5, v6
	s_and_b32 s3, s0, exec_lo
.LBB66_11:
	s_wait_xcnt 0x0
	s_or_b32 exec_lo, exec_lo, s4
	s_mov_b32 s4, 0
	s_mov_b32 s13, 0
	s_mov_b32 s6, exec_lo
	v_cmpx_gt_i32_e64 s16, v3
	s_cbranch_execz .LBB66_13
; %bb.12:
	v_add_nc_u32_e32 v4, s12, v3
	v_add_nc_u32_e32 v3, 0x100, v3
	s_clause 0x1
	global_load_u16 v5, v4, s[10:11] scale_offset
	global_load_u16 v6, v4, s[14:15] scale_offset
	s_wait_loadcnt 0x0
	v_cmp_ne_u16_e64 s0, v5, v6
	s_and_b32 s13, s0, exec_lo
.LBB66_13:
	s_wait_xcnt 0x0
	s_or_b32 exec_lo, exec_lo, s6
	s_delay_alu instid0(SALU_CYCLE_1)
	s_mov_b32 s6, exec_lo
	v_cmpx_gt_i32_e64 s16, v3
	s_cbranch_execz .LBB66_15
; %bb.14:
	v_add_nc_u32_e32 v4, s12, v3
	v_add_nc_u32_e32 v3, 0x100, v3
	s_clause 0x1
	global_load_u16 v5, v4, s[10:11] scale_offset
	global_load_u16 v6, v4, s[14:15] scale_offset
	s_wait_loadcnt 0x0
	v_cmp_ne_u16_e64 s0, v5, v6
	s_and_b32 s4, s0, exec_lo
.LBB66_15:
	s_wait_xcnt 0x0
	s_or_b32 exec_lo, exec_lo, s6
	s_mov_b32 s6, 0
	s_mov_b32 s18, 0
	s_mov_b32 s17, exec_lo
	v_cmpx_gt_i32_e64 s16, v3
	s_cbranch_execz .LBB66_17
; %bb.16:
	v_add_nc_u32_e32 v4, s12, v3
	v_add_nc_u32_e32 v3, 0x100, v3
	s_clause 0x1
	global_load_u16 v5, v4, s[10:11] scale_offset
	global_load_u16 v6, v4, s[14:15] scale_offset
	s_wait_loadcnt 0x0
	v_cmp_ne_u16_e64 s0, v5, v6
	s_and_b32 s18, s0, exec_lo
.LBB66_17:
	s_wait_xcnt 0x0
	s_or_b32 exec_lo, exec_lo, s17
	s_delay_alu instid0(SALU_CYCLE_1)
	s_mov_b32 s17, exec_lo
	v_cmpx_gt_i32_e64 s16, v3
	s_cbranch_execz .LBB66_19
; %bb.18:
	v_add_nc_u32_e32 v4, s12, v3
	v_add_nc_u32_e32 v3, 0x100, v3
	s_clause 0x1
	global_load_u16 v5, v4, s[10:11] scale_offset
	global_load_u16 v6, v4, s[14:15] scale_offset
	s_wait_loadcnt 0x0
	v_cmp_ne_u16_e64 s0, v5, v6
	s_and_b32 s6, s0, exec_lo
.LBB66_19:
	s_wait_xcnt 0x0
	s_or_b32 exec_lo, exec_lo, s17
	s_mov_b32 s17, 0
	s_mov_b32 s20, 0
	s_mov_b32 s19, exec_lo
	v_cmpx_gt_i32_e64 s16, v3
	s_cbranch_execz .LBB66_21
; %bb.20:
	v_add_nc_u32_e32 v4, s12, v3
	v_add_nc_u32_e32 v3, 0x100, v3
	s_clause 0x1
	global_load_u16 v5, v4, s[10:11] scale_offset
	global_load_u16 v6, v4, s[14:15] scale_offset
	s_wait_loadcnt 0x0
	v_cmp_ne_u16_e64 s0, v5, v6
	s_and_b32 s20, s0, exec_lo
.LBB66_21:
	s_wait_xcnt 0x0
	s_or_b32 exec_lo, exec_lo, s19
	s_delay_alu instid0(SALU_CYCLE_1)
	s_mov_b32 s19, exec_lo
	v_cmpx_gt_i32_e64 s16, v3
	s_cbranch_execz .LBB66_23
; %bb.22:
	v_add_nc_u32_e32 v4, s12, v3
	v_add_nc_u32_e32 v3, 0x100, v3
	s_clause 0x1
	global_load_u16 v5, v4, s[10:11] scale_offset
	global_load_u16 v6, v4, s[14:15] scale_offset
	s_wait_loadcnt 0x0
	v_cmp_ne_u16_e64 s0, v5, v6
	s_and_b32 s17, s0, exec_lo
.LBB66_23:
	s_wait_xcnt 0x0
	s_or_b32 exec_lo, exec_lo, s19
	s_mov_b32 s19, 0
	s_mov_b32 s22, 0
	s_mov_b32 s21, exec_lo
	v_cmpx_gt_i32_e64 s16, v3
	s_cbranch_execz .LBB66_25
; %bb.24:
	v_add_nc_u32_e32 v4, s12, v3
	v_add_nc_u32_e32 v3, 0x100, v3
	s_clause 0x1
	global_load_u16 v5, v4, s[10:11] scale_offset
	global_load_u16 v6, v4, s[14:15] scale_offset
	s_wait_loadcnt 0x0
	v_cmp_ne_u16_e64 s0, v5, v6
	s_and_b32 s22, s0, exec_lo
.LBB66_25:
	s_wait_xcnt 0x0
	s_or_b32 exec_lo, exec_lo, s21
	s_delay_alu instid0(SALU_CYCLE_1)
	s_mov_b32 s21, exec_lo
	v_cmpx_gt_i32_e64 s16, v3
	s_cbranch_execz .LBB66_27
; %bb.26:
	v_add_nc_u32_e32 v4, s12, v3
	v_add_nc_u32_e32 v3, 0x100, v3
	s_clause 0x1
	global_load_u16 v5, v4, s[10:11] scale_offset
	global_load_u16 v6, v4, s[14:15] scale_offset
	s_wait_loadcnt 0x0
	v_cmp_ne_u16_e64 s0, v5, v6
	s_and_b32 s19, s0, exec_lo
.LBB66_27:
	s_wait_xcnt 0x0
	s_or_b32 exec_lo, exec_lo, s21
	s_mov_b32 s21, 0
	s_mov_b32 s24, 0
	s_mov_b32 s23, exec_lo
	v_cmpx_gt_i32_e64 s16, v3
	s_cbranch_execz .LBB66_29
; %bb.28:
	v_add_nc_u32_e32 v4, s12, v3
	v_add_nc_u32_e32 v3, 0x100, v3
	s_clause 0x1
	global_load_u16 v5, v4, s[10:11] scale_offset
	global_load_u16 v6, v4, s[14:15] scale_offset
	s_wait_loadcnt 0x0
	v_cmp_ne_u16_e64 s0, v5, v6
	s_and_b32 s24, s0, exec_lo
.LBB66_29:
	s_wait_xcnt 0x0
	s_or_b32 exec_lo, exec_lo, s23
	s_delay_alu instid0(SALU_CYCLE_1)
	s_mov_b32 s23, exec_lo
	v_cmpx_gt_i32_e64 s16, v3
	s_cbranch_execz .LBB66_31
; %bb.30:
	v_add_nc_u32_e32 v4, s12, v3
	v_add_nc_u32_e32 v3, 0x100, v3
	s_clause 0x1
	global_load_u16 v5, v4, s[10:11] scale_offset
	global_load_u16 v6, v4, s[14:15] scale_offset
	s_wait_loadcnt 0x0
	v_cmp_ne_u16_e64 s0, v5, v6
	s_and_b32 s21, s0, exec_lo
.LBB66_31:
	s_wait_xcnt 0x0
	s_or_b32 exec_lo, exec_lo, s23
	s_mov_b32 s23, 0
	s_mov_b32 s25, 0
	s_mov_b32 s26, exec_lo
	v_cmpx_gt_i32_e64 s16, v3
	s_cbranch_execz .LBB66_33
; %bb.32:
	v_add_nc_u32_e32 v4, s12, v3
	v_add_nc_u32_e32 v3, 0x100, v3
	s_clause 0x1
	global_load_u16 v5, v4, s[10:11] scale_offset
	global_load_u16 v6, v4, s[14:15] scale_offset
	s_wait_loadcnt 0x0
	v_cmp_ne_u16_e64 s0, v5, v6
	s_and_b32 s25, s0, exec_lo
.LBB66_33:
	s_wait_xcnt 0x0
	s_or_b32 exec_lo, exec_lo, s26
	s_delay_alu instid0(SALU_CYCLE_1)
	s_mov_b32 s26, exec_lo
	v_cmpx_gt_i32_e64 s16, v3
	s_cbranch_execz .LBB66_35
; %bb.34:
	v_add_nc_u32_e32 v3, s12, v3
	s_clause 0x1
	global_load_u16 v4, v3, s[10:11] scale_offset
	global_load_u16 v5, v3, s[14:15] scale_offset
	s_wait_loadcnt 0x0
	v_cmp_ne_u16_e64 s0, v4, v5
	s_and_b32 s23, s0, exec_lo
.LBB66_35:
	s_wait_xcnt 0x0
	s_or_b32 exec_lo, exec_lo, s26
	s_cmp_eq_u32 s7, 0
	s_cselect_b32 s0, -1, 0
	s_and_saveexec_b32 s7, vcc_lo
	s_cbranch_execnz .LBB66_53
; %bb.36:
	s_or_b32 exec_lo, exec_lo, s7
	s_delay_alu instid0(SALU_CYCLE_1)
	s_mov_b32 s2, exec_lo
	v_cmpx_gt_i32_e64 s16, v0
	s_cbranch_execnz .LBB66_54
.LBB66_37:
	s_or_b32 exec_lo, exec_lo, s2
	s_delay_alu instid0(SALU_CYCLE_1)
	s_mov_b32 s1, exec_lo
	v_cmpx_gt_i32_e64 s16, v0
	s_cbranch_execnz .LBB66_55
.LBB66_38:
	s_or_b32 exec_lo, exec_lo, s1
	s_delay_alu instid0(SALU_CYCLE_1)
	s_mov_b32 s1, exec_lo
	v_cmpx_gt_i32_e64 s16, v0
	s_cbranch_execnz .LBB66_56
.LBB66_39:
	s_or_b32 exec_lo, exec_lo, s1
	s_delay_alu instid0(SALU_CYCLE_1)
	s_mov_b32 s1, exec_lo
	v_cmpx_gt_i32_e64 s16, v0
	s_cbranch_execnz .LBB66_57
.LBB66_40:
	s_or_b32 exec_lo, exec_lo, s1
	s_delay_alu instid0(SALU_CYCLE_1)
	s_mov_b32 s1, exec_lo
	v_cmpx_gt_i32_e64 s16, v0
	s_cbranch_execnz .LBB66_58
.LBB66_41:
	s_or_b32 exec_lo, exec_lo, s1
	s_delay_alu instid0(SALU_CYCLE_1)
	s_mov_b32 s1, exec_lo
	v_cmpx_gt_i32_e64 s16, v0
	s_cbranch_execnz .LBB66_59
.LBB66_42:
	s_or_b32 exec_lo, exec_lo, s1
	s_delay_alu instid0(SALU_CYCLE_1)
	s_mov_b32 s1, exec_lo
	v_cmpx_gt_i32_e64 s16, v0
	s_cbranch_execnz .LBB66_60
.LBB66_43:
	s_or_b32 exec_lo, exec_lo, s1
	s_delay_alu instid0(SALU_CYCLE_1)
	s_mov_b32 s1, exec_lo
	v_cmpx_gt_i32_e64 s16, v0
	s_cbranch_execnz .LBB66_61
.LBB66_44:
	s_or_b32 exec_lo, exec_lo, s1
	s_delay_alu instid0(SALU_CYCLE_1)
	s_mov_b32 s1, exec_lo
	v_cmpx_gt_i32_e64 s16, v0
	s_cbranch_execnz .LBB66_62
.LBB66_45:
	s_or_b32 exec_lo, exec_lo, s1
	s_delay_alu instid0(SALU_CYCLE_1)
	s_mov_b32 s1, exec_lo
	v_cmpx_gt_i32_e64 s16, v0
	s_cbranch_execnz .LBB66_63
.LBB66_46:
	s_or_b32 exec_lo, exec_lo, s1
	s_delay_alu instid0(SALU_CYCLE_1)
	s_mov_b32 s1, exec_lo
	v_cmpx_gt_i32_e64 s16, v0
	s_cbranch_execnz .LBB66_64
.LBB66_47:
	s_or_b32 exec_lo, exec_lo, s1
	s_delay_alu instid0(SALU_CYCLE_1)
	s_mov_b32 s1, exec_lo
	v_cmpx_gt_i32_e64 s16, v0
	s_cbranch_execnz .LBB66_65
.LBB66_48:
	s_or_b32 exec_lo, exec_lo, s1
	s_delay_alu instid0(SALU_CYCLE_1)
	s_mov_b32 s1, exec_lo
	v_cmpx_gt_i32_e64 s16, v0
	s_cbranch_execnz .LBB66_66
.LBB66_49:
	s_or_b32 exec_lo, exec_lo, s1
	s_delay_alu instid0(SALU_CYCLE_1)
	s_mov_b32 s1, exec_lo
	v_cmpx_gt_i32_e64 s16, v0
	s_cbranch_execnz .LBB66_67
.LBB66_50:
	s_or_b32 exec_lo, exec_lo, s1
	s_delay_alu instid0(SALU_CYCLE_1)
	s_mov_b32 s1, exec_lo
	v_cmpx_gt_i32_e64 s16, v0
	s_cbranch_execz .LBB66_52
.LBB66_51:
	s_xor_b32 s0, s0, s23
	v_add_nc_u32_e32 v0, s12, v0
	v_cndmask_b32_e64 v1, 0, 1, s0
	global_store_b8 v0, v1, s[8:9]
.LBB66_52:
	s_endpgm
.LBB66_53:
	s_xor_b32 s2, s0, s2
	v_mov_b32_e32 v0, v2
	v_cndmask_b32_e64 v3, 0, 1, s2
	global_store_b8 v1, v3, s[8:9]
	s_wait_xcnt 0x0
	s_or_b32 exec_lo, exec_lo, s7
	s_delay_alu instid0(SALU_CYCLE_1)
	s_mov_b32 s2, exec_lo
	v_cmpx_gt_i32_e64 s16, v0
	s_cbranch_execz .LBB66_37
.LBB66_54:
	s_xor_b32 s1, s0, s1
	v_add_nc_u32_e32 v2, s12, v0
	v_cndmask_b32_e64 v1, 0, 1, s1
	v_add_nc_u32_e32 v0, 0x100, v0
	global_store_b8 v2, v1, s[8:9]
	s_wait_xcnt 0x0
	s_or_b32 exec_lo, exec_lo, s2
	s_delay_alu instid0(SALU_CYCLE_1)
	s_mov_b32 s1, exec_lo
	v_cmpx_gt_i32_e64 s16, v0
	s_cbranch_execz .LBB66_38
.LBB66_55:
	s_xor_b32 s2, s0, s5
	v_add_nc_u32_e32 v2, s12, v0
	v_cndmask_b32_e64 v1, 0, 1, s2
	v_add_nc_u32_e32 v0, 0x100, v0
	global_store_b8 v2, v1, s[8:9]
	s_wait_xcnt 0x0
	s_or_b32 exec_lo, exec_lo, s1
	s_delay_alu instid0(SALU_CYCLE_1)
	s_mov_b32 s1, exec_lo
	v_cmpx_gt_i32_e64 s16, v0
	s_cbranch_execz .LBB66_39
.LBB66_56:
	s_xor_b32 s2, s0, s3
	v_add_nc_u32_e32 v2, s12, v0
	v_cndmask_b32_e64 v1, 0, 1, s2
	v_add_nc_u32_e32 v0, 0x100, v0
	global_store_b8 v2, v1, s[8:9]
	s_wait_xcnt 0x0
	s_or_b32 exec_lo, exec_lo, s1
	s_delay_alu instid0(SALU_CYCLE_1)
	s_mov_b32 s1, exec_lo
	v_cmpx_gt_i32_e64 s16, v0
	s_cbranch_execz .LBB66_40
.LBB66_57:
	s_xor_b32 s2, s0, s13
	v_add_nc_u32_e32 v2, s12, v0
	v_cndmask_b32_e64 v1, 0, 1, s2
	v_add_nc_u32_e32 v0, 0x100, v0
	global_store_b8 v2, v1, s[8:9]
	s_wait_xcnt 0x0
	s_or_b32 exec_lo, exec_lo, s1
	s_delay_alu instid0(SALU_CYCLE_1)
	s_mov_b32 s1, exec_lo
	v_cmpx_gt_i32_e64 s16, v0
	s_cbranch_execz .LBB66_41
.LBB66_58:
	s_xor_b32 s2, s0, s4
	v_add_nc_u32_e32 v2, s12, v0
	v_cndmask_b32_e64 v1, 0, 1, s2
	v_add_nc_u32_e32 v0, 0x100, v0
	global_store_b8 v2, v1, s[8:9]
	s_wait_xcnt 0x0
	s_or_b32 exec_lo, exec_lo, s1
	s_delay_alu instid0(SALU_CYCLE_1)
	s_mov_b32 s1, exec_lo
	v_cmpx_gt_i32_e64 s16, v0
	s_cbranch_execz .LBB66_42
.LBB66_59:
	s_xor_b32 s2, s0, s18
	v_add_nc_u32_e32 v2, s12, v0
	v_cndmask_b32_e64 v1, 0, 1, s2
	v_add_nc_u32_e32 v0, 0x100, v0
	global_store_b8 v2, v1, s[8:9]
	s_wait_xcnt 0x0
	s_or_b32 exec_lo, exec_lo, s1
	s_delay_alu instid0(SALU_CYCLE_1)
	s_mov_b32 s1, exec_lo
	v_cmpx_gt_i32_e64 s16, v0
	s_cbranch_execz .LBB66_43
.LBB66_60:
	s_xor_b32 s2, s0, s6
	v_add_nc_u32_e32 v2, s12, v0
	v_cndmask_b32_e64 v1, 0, 1, s2
	v_add_nc_u32_e32 v0, 0x100, v0
	global_store_b8 v2, v1, s[8:9]
	s_wait_xcnt 0x0
	s_or_b32 exec_lo, exec_lo, s1
	s_delay_alu instid0(SALU_CYCLE_1)
	s_mov_b32 s1, exec_lo
	v_cmpx_gt_i32_e64 s16, v0
	s_cbranch_execz .LBB66_44
.LBB66_61:
	s_xor_b32 s2, s0, s20
	v_add_nc_u32_e32 v2, s12, v0
	v_cndmask_b32_e64 v1, 0, 1, s2
	v_add_nc_u32_e32 v0, 0x100, v0
	global_store_b8 v2, v1, s[8:9]
	s_wait_xcnt 0x0
	s_or_b32 exec_lo, exec_lo, s1
	s_delay_alu instid0(SALU_CYCLE_1)
	s_mov_b32 s1, exec_lo
	v_cmpx_gt_i32_e64 s16, v0
	s_cbranch_execz .LBB66_45
.LBB66_62:
	s_xor_b32 s2, s0, s17
	v_add_nc_u32_e32 v2, s12, v0
	v_cndmask_b32_e64 v1, 0, 1, s2
	v_add_nc_u32_e32 v0, 0x100, v0
	global_store_b8 v2, v1, s[8:9]
	s_wait_xcnt 0x0
	s_or_b32 exec_lo, exec_lo, s1
	s_delay_alu instid0(SALU_CYCLE_1)
	s_mov_b32 s1, exec_lo
	v_cmpx_gt_i32_e64 s16, v0
	s_cbranch_execz .LBB66_46
.LBB66_63:
	s_xor_b32 s2, s0, s22
	v_add_nc_u32_e32 v2, s12, v0
	v_cndmask_b32_e64 v1, 0, 1, s2
	v_add_nc_u32_e32 v0, 0x100, v0
	global_store_b8 v2, v1, s[8:9]
	s_wait_xcnt 0x0
	s_or_b32 exec_lo, exec_lo, s1
	s_delay_alu instid0(SALU_CYCLE_1)
	s_mov_b32 s1, exec_lo
	v_cmpx_gt_i32_e64 s16, v0
	s_cbranch_execz .LBB66_47
.LBB66_64:
	s_xor_b32 s2, s0, s19
	v_add_nc_u32_e32 v2, s12, v0
	v_cndmask_b32_e64 v1, 0, 1, s2
	v_add_nc_u32_e32 v0, 0x100, v0
	global_store_b8 v2, v1, s[8:9]
	s_wait_xcnt 0x0
	s_or_b32 exec_lo, exec_lo, s1
	s_delay_alu instid0(SALU_CYCLE_1)
	s_mov_b32 s1, exec_lo
	v_cmpx_gt_i32_e64 s16, v0
	s_cbranch_execz .LBB66_48
.LBB66_65:
	s_xor_b32 s2, s0, s24
	v_add_nc_u32_e32 v2, s12, v0
	v_cndmask_b32_e64 v1, 0, 1, s2
	v_add_nc_u32_e32 v0, 0x100, v0
	global_store_b8 v2, v1, s[8:9]
	s_wait_xcnt 0x0
	s_or_b32 exec_lo, exec_lo, s1
	s_delay_alu instid0(SALU_CYCLE_1)
	s_mov_b32 s1, exec_lo
	v_cmpx_gt_i32_e64 s16, v0
	s_cbranch_execz .LBB66_49
.LBB66_66:
	s_xor_b32 s2, s0, s21
	v_add_nc_u32_e32 v2, s12, v0
	v_cndmask_b32_e64 v1, 0, 1, s2
	v_add_nc_u32_e32 v0, 0x100, v0
	global_store_b8 v2, v1, s[8:9]
	s_wait_xcnt 0x0
	s_or_b32 exec_lo, exec_lo, s1
	s_delay_alu instid0(SALU_CYCLE_1)
	s_mov_b32 s1, exec_lo
	v_cmpx_gt_i32_e64 s16, v0
	s_cbranch_execz .LBB66_50
.LBB66_67:
	s_xor_b32 s2, s0, s25
	v_add_nc_u32_e32 v2, s12, v0
	v_cndmask_b32_e64 v1, 0, 1, s2
	v_add_nc_u32_e32 v0, 0x100, v0
	global_store_b8 v2, v1, s[8:9]
	s_wait_xcnt 0x0
	s_or_b32 exec_lo, exec_lo, s1
	s_delay_alu instid0(SALU_CYCLE_1)
	s_mov_b32 s1, exec_lo
	v_cmpx_gt_i32_e64 s16, v0
	s_cbranch_execnz .LBB66_51
	s_branch .LBB66_52
	.section	.rodata,"a",@progbits
	.p2align	6, 0x0
	.amdhsa_kernel _ZN2at6native29vectorized_elementwise_kernelILi4ENS0_13BinaryFunctorIssbNS0_12_GLOBAL__N_116CompareEqFunctorIsEEEESt5arrayIPcLm3EEEEviT0_T1_
		.amdhsa_group_segment_fixed_size 0
		.amdhsa_private_segment_fixed_size 0
		.amdhsa_kernarg_size 32
		.amdhsa_user_sgpr_count 2
		.amdhsa_user_sgpr_dispatch_ptr 0
		.amdhsa_user_sgpr_queue_ptr 0
		.amdhsa_user_sgpr_kernarg_segment_ptr 1
		.amdhsa_user_sgpr_dispatch_id 0
		.amdhsa_user_sgpr_kernarg_preload_length 0
		.amdhsa_user_sgpr_kernarg_preload_offset 0
		.amdhsa_user_sgpr_private_segment_size 0
		.amdhsa_wavefront_size32 1
		.amdhsa_uses_dynamic_stack 0
		.amdhsa_enable_private_segment 0
		.amdhsa_system_sgpr_workgroup_id_x 1
		.amdhsa_system_sgpr_workgroup_id_y 0
		.amdhsa_system_sgpr_workgroup_id_z 0
		.amdhsa_system_sgpr_workgroup_info 0
		.amdhsa_system_vgpr_workitem_id 0
		.amdhsa_next_free_vgpr 18
		.amdhsa_next_free_sgpr 27
		.amdhsa_named_barrier_count 0
		.amdhsa_reserve_vcc 1
		.amdhsa_float_round_mode_32 0
		.amdhsa_float_round_mode_16_64 0
		.amdhsa_float_denorm_mode_32 3
		.amdhsa_float_denorm_mode_16_64 3
		.amdhsa_fp16_overflow 0
		.amdhsa_memory_ordered 1
		.amdhsa_forward_progress 1
		.amdhsa_inst_pref_size 28
		.amdhsa_round_robin_scheduling 0
		.amdhsa_exception_fp_ieee_invalid_op 0
		.amdhsa_exception_fp_denorm_src 0
		.amdhsa_exception_fp_ieee_div_zero 0
		.amdhsa_exception_fp_ieee_overflow 0
		.amdhsa_exception_fp_ieee_underflow 0
		.amdhsa_exception_fp_ieee_inexact 0
		.amdhsa_exception_int_div_zero 0
	.end_amdhsa_kernel
	.section	.text._ZN2at6native29vectorized_elementwise_kernelILi4ENS0_13BinaryFunctorIssbNS0_12_GLOBAL__N_116CompareEqFunctorIsEEEESt5arrayIPcLm3EEEEviT0_T1_,"axG",@progbits,_ZN2at6native29vectorized_elementwise_kernelILi4ENS0_13BinaryFunctorIssbNS0_12_GLOBAL__N_116CompareEqFunctorIsEEEESt5arrayIPcLm3EEEEviT0_T1_,comdat
.Lfunc_end66:
	.size	_ZN2at6native29vectorized_elementwise_kernelILi4ENS0_13BinaryFunctorIssbNS0_12_GLOBAL__N_116CompareEqFunctorIsEEEESt5arrayIPcLm3EEEEviT0_T1_, .Lfunc_end66-_ZN2at6native29vectorized_elementwise_kernelILi4ENS0_13BinaryFunctorIssbNS0_12_GLOBAL__N_116CompareEqFunctorIsEEEESt5arrayIPcLm3EEEEviT0_T1_
                                        ; -- End function
	.set _ZN2at6native29vectorized_elementwise_kernelILi4ENS0_13BinaryFunctorIssbNS0_12_GLOBAL__N_116CompareEqFunctorIsEEEESt5arrayIPcLm3EEEEviT0_T1_.num_vgpr, 18
	.set _ZN2at6native29vectorized_elementwise_kernelILi4ENS0_13BinaryFunctorIssbNS0_12_GLOBAL__N_116CompareEqFunctorIsEEEESt5arrayIPcLm3EEEEviT0_T1_.num_agpr, 0
	.set _ZN2at6native29vectorized_elementwise_kernelILi4ENS0_13BinaryFunctorIssbNS0_12_GLOBAL__N_116CompareEqFunctorIsEEEESt5arrayIPcLm3EEEEviT0_T1_.numbered_sgpr, 27
	.set _ZN2at6native29vectorized_elementwise_kernelILi4ENS0_13BinaryFunctorIssbNS0_12_GLOBAL__N_116CompareEqFunctorIsEEEESt5arrayIPcLm3EEEEviT0_T1_.num_named_barrier, 0
	.set _ZN2at6native29vectorized_elementwise_kernelILi4ENS0_13BinaryFunctorIssbNS0_12_GLOBAL__N_116CompareEqFunctorIsEEEESt5arrayIPcLm3EEEEviT0_T1_.private_seg_size, 0
	.set _ZN2at6native29vectorized_elementwise_kernelILi4ENS0_13BinaryFunctorIssbNS0_12_GLOBAL__N_116CompareEqFunctorIsEEEESt5arrayIPcLm3EEEEviT0_T1_.uses_vcc, 1
	.set _ZN2at6native29vectorized_elementwise_kernelILi4ENS0_13BinaryFunctorIssbNS0_12_GLOBAL__N_116CompareEqFunctorIsEEEESt5arrayIPcLm3EEEEviT0_T1_.uses_flat_scratch, 0
	.set _ZN2at6native29vectorized_elementwise_kernelILi4ENS0_13BinaryFunctorIssbNS0_12_GLOBAL__N_116CompareEqFunctorIsEEEESt5arrayIPcLm3EEEEviT0_T1_.has_dyn_sized_stack, 0
	.set _ZN2at6native29vectorized_elementwise_kernelILi4ENS0_13BinaryFunctorIssbNS0_12_GLOBAL__N_116CompareEqFunctorIsEEEESt5arrayIPcLm3EEEEviT0_T1_.has_recursion, 0
	.set _ZN2at6native29vectorized_elementwise_kernelILi4ENS0_13BinaryFunctorIssbNS0_12_GLOBAL__N_116CompareEqFunctorIsEEEESt5arrayIPcLm3EEEEviT0_T1_.has_indirect_call, 0
	.section	.AMDGPU.csdata,"",@progbits
; Kernel info:
; codeLenInByte = 3548
; TotalNumSgprs: 29
; NumVgprs: 18
; ScratchSize: 0
; MemoryBound: 0
; FloatMode: 240
; IeeeMode: 1
; LDSByteSize: 0 bytes/workgroup (compile time only)
; SGPRBlocks: 0
; VGPRBlocks: 1
; NumSGPRsForWavesPerEU: 29
; NumVGPRsForWavesPerEU: 18
; NamedBarCnt: 0
; Occupancy: 16
; WaveLimiterHint : 1
; COMPUTE_PGM_RSRC2:SCRATCH_EN: 0
; COMPUTE_PGM_RSRC2:USER_SGPR: 2
; COMPUTE_PGM_RSRC2:TRAP_HANDLER: 0
; COMPUTE_PGM_RSRC2:TGID_X_EN: 1
; COMPUTE_PGM_RSRC2:TGID_Y_EN: 0
; COMPUTE_PGM_RSRC2:TGID_Z_EN: 0
; COMPUTE_PGM_RSRC2:TIDIG_COMP_CNT: 0
	.section	.text._ZN2at6native29vectorized_elementwise_kernelILi2ENS0_13BinaryFunctorIssbNS0_12_GLOBAL__N_116CompareEqFunctorIsEEEESt5arrayIPcLm3EEEEviT0_T1_,"axG",@progbits,_ZN2at6native29vectorized_elementwise_kernelILi2ENS0_13BinaryFunctorIssbNS0_12_GLOBAL__N_116CompareEqFunctorIsEEEESt5arrayIPcLm3EEEEviT0_T1_,comdat
	.globl	_ZN2at6native29vectorized_elementwise_kernelILi2ENS0_13BinaryFunctorIssbNS0_12_GLOBAL__N_116CompareEqFunctorIsEEEESt5arrayIPcLm3EEEEviT0_T1_ ; -- Begin function _ZN2at6native29vectorized_elementwise_kernelILi2ENS0_13BinaryFunctorIssbNS0_12_GLOBAL__N_116CompareEqFunctorIsEEEESt5arrayIPcLm3EEEEviT0_T1_
	.p2align	8
	.type	_ZN2at6native29vectorized_elementwise_kernelILi2ENS0_13BinaryFunctorIssbNS0_12_GLOBAL__N_116CompareEqFunctorIsEEEESt5arrayIPcLm3EEEEviT0_T1_,@function
_ZN2at6native29vectorized_elementwise_kernelILi2ENS0_13BinaryFunctorIssbNS0_12_GLOBAL__N_116CompareEqFunctorIsEEEESt5arrayIPcLm3EEEEviT0_T1_: ; @_ZN2at6native29vectorized_elementwise_kernelILi2ENS0_13BinaryFunctorIssbNS0_12_GLOBAL__N_116CompareEqFunctorIsEEEESt5arrayIPcLm3EEEEviT0_T1_
; %bb.0:
	s_clause 0x2
	s_load_b64 s[6:7], s[0:1], 0x0
	s_load_b128 s[8:11], s[0:1], 0x8
	s_load_b64 s[14:15], s[0:1], 0x18
	s_wait_xcnt 0x0
	s_bfe_u32 s0, ttmp6, 0x4000c
	s_and_b32 s1, ttmp6, 15
	s_add_co_i32 s0, s0, 1
	s_getreg_b32 s2, hwreg(HW_REG_IB_STS2, 6, 4)
	s_mul_i32 s0, ttmp9, s0
	s_mov_b32 s17, -1
	s_add_co_i32 s1, s1, s0
	s_cmp_eq_u32 s2, 0
	s_cselect_b32 s0, ttmp9, s1
	s_delay_alu instid0(SALU_CYCLE_1) | instskip(SKIP_2) | instid1(SALU_CYCLE_1)
	s_lshl_b32 s12, s0, 12
	s_wait_kmcnt 0x0
	s_sub_co_i32 s16, s6, s12
	s_cmp_gt_i32 s16, 0xfff
	s_cbranch_scc0 .LBB67_2
; %bb.1:
	s_ashr_i32 s13, s12, 31
	s_mov_b32 s17, 0
	s_lshl_b64 s[0:1], s[12:13], 1
	s_cmp_eq_u32 s7, 0
	s_add_nc_u64 s[2:3], s[14:15], s[0:1]
	s_add_nc_u64 s[0:1], s[10:11], s[0:1]
	s_clause 0xf
	global_load_b32 v1, v0, s[2:3] scale_offset
	global_load_b32 v2, v0, s[0:1] scale_offset
	global_load_b32 v3, v0, s[0:1] offset:1024 scale_offset
	global_load_b32 v4, v0, s[2:3] offset:1024 scale_offset
	;; [unrolled: 1-line block ×13, first 2 shown]
	; meta instruction
	global_load_b32 v16, v0, s[2:3] offset:7168 scale_offset
	s_add_nc_u64 s[18:19], s[8:9], s[12:13]
	s_cselect_b32 s13, -1, 0
	s_wait_loadcnt 0xe
	v_cmp_ne_u16_e32 vcc_lo, v2, v1
	v_xor_b32_e32 v1, v1, v2
	s_wait_loadcnt 0xc
	s_wait_xcnt 0x1
	v_cmp_ne_u16_e64 s0, v3, v4
	v_xor_b32_e32 v2, v4, v3
	s_wait_loadcnt 0xa
	v_cmp_ne_u16_e64 s1, v6, v5
	v_xor_b32_e32 v3, v5, v6
	s_wait_loadcnt 0x8
	s_wait_xcnt 0x0
	v_cmp_ne_u16_e64 s2, v7, v8
	s_xor_b32 s0, s13, s0
	v_xor_b32_e32 v4, v8, v7
	s_wait_loadcnt 0x6
	v_cmp_ne_u16_e64 s3, v10, v9
	s_xor_b32 s20, s13, vcc_lo
	v_cmp_lt_u32_e32 vcc_lo, 0xffff, v1
	v_cndmask_b32_e64 v1, 0, 1, s0
	v_cmp_lt_u32_e64 s0, 0xffff, v2
	s_xor_b32 s1, s13, s1
	v_xor_b32_e32 v5, v9, v10
	s_wait_loadcnt 0x4
	v_cmp_ne_u16_e64 s4, v11, v12
	v_cndmask_b32_e64 v2, 0, 1, s1
	v_cmp_lt_u32_e64 s1, 0xffff, v3
	s_xor_b32 s2, s13, s2
	v_xor_b32_e32 v6, v12, v11
	s_wait_loadcnt 0x2
	v_cmp_ne_u16_e64 s5, v14, v13
	;; [unrolled: 6-line block ×3, first 2 shown]
	s_xor_b32 s0, s13, s0
	v_cndmask_b32_e64 v4, 0, 1, s3
	v_cmp_lt_u32_e64 s3, 0xffff, v5
	s_xor_b32 s4, s13, s4
	v_xor_b32_e32 v8, v16, v15
	v_cndmask_b32_e64 v10, 0, 0x100, s0
	s_xor_b32 s0, s13, s1
	v_cndmask_b32_e64 v5, 0, 1, s4
	v_cmp_lt_u32_e64 s4, 0xffff, v6
	s_xor_b32 s5, s13, s5
	v_cndmask_b32_e64 v11, 0, 0x100, s0
	s_xor_b32 s0, s13, s2
	v_cndmask_b32_e64 v6, 0, 1, s5
	v_cmp_lt_u32_e64 s5, 0xffff, v7
	s_xor_b32 s6, s13, s6
	v_cndmask_b32_e64 v12, 0, 0x100, s0
	s_xor_b32 s0, s13, s3
	v_cndmask_b32_e64 v9, 0, 1, s20
	v_cndmask_b32_e64 v7, 0, 1, s6
	v_cmp_lt_u32_e64 s6, 0xffff, v8
	s_xor_b32 s20, s13, vcc_lo
	v_cndmask_b32_e64 v13, 0, 0x100, s0
	s_xor_b32 s0, s13, s4
	v_cndmask_b32_e64 v8, 0, 0x100, s20
	v_cndmask_b32_e64 v14, 0, 0x100, s0
	s_xor_b32 s0, s13, s5
	v_or_b32_e32 v1, v10, v1
	v_cndmask_b32_e64 v15, 0, 0x100, s0
	s_xor_b32 s0, s13, s6
	v_or_b32_e32 v8, v8, v9
	v_cndmask_b32_e64 v16, 0, 0x100, s0
	v_or_b32_e32 v2, v11, v2
	v_or_b32_e32 v3, v12, v3
	;; [unrolled: 1-line block ×6, first 2 shown]
	s_clause 0x7
	global_store_b16 v0, v8, s[18:19] scale_offset
	global_store_b16 v0, v1, s[18:19] offset:512 scale_offset
	global_store_b16 v0, v2, s[18:19] offset:1024 scale_offset
	;; [unrolled: 1-line block ×7, first 2 shown]
.LBB67_2:
	s_and_not1_b32 vcc_lo, exec_lo, s17
	s_cbranch_vccnz .LBB67_52
; %bb.3:
	v_cmp_gt_i32_e32 vcc_lo, s16, v0
	s_wait_xcnt 0x4
	v_dual_mov_b32 v3, v0 :: v_dual_bitop2_b32 v1, s12, v0 bitop3:0x54
	v_or_b32_e32 v2, 0x100, v0
	s_mov_b32 s1, 0
	s_mov_b32 s2, 0
	s_wait_xcnt 0x0
	s_and_saveexec_b32 s3, vcc_lo
	s_cbranch_execz .LBB67_5
; %bb.4:
	s_clause 0x1
	global_load_u16 v3, v1, s[10:11] scale_offset
	global_load_u16 v4, v1, s[14:15] scale_offset
	s_wait_loadcnt 0x0
	v_cmp_ne_u16_e64 s0, v3, v4
	v_or_b32_e32 v3, 0x100, v0
	s_and_b32 s2, s0, exec_lo
.LBB67_5:
	s_wait_xcnt 0x0
	s_or_b32 exec_lo, exec_lo, s3
	s_delay_alu instid0(SALU_CYCLE_1)
	s_mov_b32 s3, exec_lo
	v_cmpx_gt_i32_e64 s16, v3
	s_cbranch_execz .LBB67_7
; %bb.6:
	v_add_nc_u32_e32 v4, s12, v3
	v_add_nc_u32_e32 v3, 0x100, v3
	s_clause 0x1
	global_load_u16 v5, v4, s[10:11] scale_offset
	global_load_u16 v6, v4, s[14:15] scale_offset
	s_wait_loadcnt 0x0
	v_cmp_ne_u16_e64 s0, v5, v6
	s_and_b32 s1, s0, exec_lo
.LBB67_7:
	s_wait_xcnt 0x0
	s_or_b32 exec_lo, exec_lo, s3
	s_mov_b32 s3, 0
	s_mov_b32 s5, 0
	s_mov_b32 s4, exec_lo
	v_cmpx_gt_i32_e64 s16, v3
	s_cbranch_execz .LBB67_9
; %bb.8:
	v_add_nc_u32_e32 v4, s12, v3
	v_add_nc_u32_e32 v3, 0x100, v3
	s_clause 0x1
	global_load_u16 v5, v4, s[10:11] scale_offset
	global_load_u16 v6, v4, s[14:15] scale_offset
	s_wait_loadcnt 0x0
	v_cmp_ne_u16_e64 s0, v5, v6
	s_and_b32 s5, s0, exec_lo
.LBB67_9:
	s_wait_xcnt 0x0
	s_or_b32 exec_lo, exec_lo, s4
	s_delay_alu instid0(SALU_CYCLE_1)
	s_mov_b32 s4, exec_lo
	v_cmpx_gt_i32_e64 s16, v3
	s_cbranch_execz .LBB67_11
; %bb.10:
	v_add_nc_u32_e32 v4, s12, v3
	v_add_nc_u32_e32 v3, 0x100, v3
	s_clause 0x1
	global_load_u16 v5, v4, s[10:11] scale_offset
	global_load_u16 v6, v4, s[14:15] scale_offset
	s_wait_loadcnt 0x0
	v_cmp_ne_u16_e64 s0, v5, v6
	s_and_b32 s3, s0, exec_lo
.LBB67_11:
	s_wait_xcnt 0x0
	s_or_b32 exec_lo, exec_lo, s4
	s_mov_b32 s4, 0
	s_mov_b32 s13, 0
	s_mov_b32 s6, exec_lo
	v_cmpx_gt_i32_e64 s16, v3
	s_cbranch_execz .LBB67_13
; %bb.12:
	v_add_nc_u32_e32 v4, s12, v3
	v_add_nc_u32_e32 v3, 0x100, v3
	s_clause 0x1
	global_load_u16 v5, v4, s[10:11] scale_offset
	global_load_u16 v6, v4, s[14:15] scale_offset
	s_wait_loadcnt 0x0
	v_cmp_ne_u16_e64 s0, v5, v6
	s_and_b32 s13, s0, exec_lo
.LBB67_13:
	;; [unrolled: 33-line block ×7, first 2 shown]
	s_wait_xcnt 0x0
	s_or_b32 exec_lo, exec_lo, s26
	s_delay_alu instid0(SALU_CYCLE_1)
	s_mov_b32 s26, exec_lo
	v_cmpx_gt_i32_e64 s16, v3
	s_cbranch_execz .LBB67_35
; %bb.34:
	v_add_nc_u32_e32 v3, s12, v3
	s_clause 0x1
	global_load_u16 v4, v3, s[10:11] scale_offset
	global_load_u16 v5, v3, s[14:15] scale_offset
	s_wait_loadcnt 0x0
	v_cmp_ne_u16_e64 s0, v4, v5
	s_and_b32 s23, s0, exec_lo
.LBB67_35:
	s_wait_xcnt 0x0
	s_or_b32 exec_lo, exec_lo, s26
	s_cmp_eq_u32 s7, 0
	s_cselect_b32 s0, -1, 0
	s_and_saveexec_b32 s7, vcc_lo
	s_cbranch_execnz .LBB67_53
; %bb.36:
	s_or_b32 exec_lo, exec_lo, s7
	s_delay_alu instid0(SALU_CYCLE_1)
	s_mov_b32 s2, exec_lo
	v_cmpx_gt_i32_e64 s16, v0
	s_cbranch_execnz .LBB67_54
.LBB67_37:
	s_or_b32 exec_lo, exec_lo, s2
	s_delay_alu instid0(SALU_CYCLE_1)
	s_mov_b32 s1, exec_lo
	v_cmpx_gt_i32_e64 s16, v0
	s_cbranch_execnz .LBB67_55
.LBB67_38:
	s_or_b32 exec_lo, exec_lo, s1
	s_delay_alu instid0(SALU_CYCLE_1)
	s_mov_b32 s1, exec_lo
	v_cmpx_gt_i32_e64 s16, v0
	s_cbranch_execnz .LBB67_56
.LBB67_39:
	s_or_b32 exec_lo, exec_lo, s1
	s_delay_alu instid0(SALU_CYCLE_1)
	s_mov_b32 s1, exec_lo
	v_cmpx_gt_i32_e64 s16, v0
	s_cbranch_execnz .LBB67_57
.LBB67_40:
	s_or_b32 exec_lo, exec_lo, s1
	s_delay_alu instid0(SALU_CYCLE_1)
	s_mov_b32 s1, exec_lo
	v_cmpx_gt_i32_e64 s16, v0
	s_cbranch_execnz .LBB67_58
.LBB67_41:
	s_or_b32 exec_lo, exec_lo, s1
	s_delay_alu instid0(SALU_CYCLE_1)
	s_mov_b32 s1, exec_lo
	v_cmpx_gt_i32_e64 s16, v0
	s_cbranch_execnz .LBB67_59
.LBB67_42:
	s_or_b32 exec_lo, exec_lo, s1
	s_delay_alu instid0(SALU_CYCLE_1)
	s_mov_b32 s1, exec_lo
	v_cmpx_gt_i32_e64 s16, v0
	s_cbranch_execnz .LBB67_60
.LBB67_43:
	s_or_b32 exec_lo, exec_lo, s1
	s_delay_alu instid0(SALU_CYCLE_1)
	s_mov_b32 s1, exec_lo
	v_cmpx_gt_i32_e64 s16, v0
	s_cbranch_execnz .LBB67_61
.LBB67_44:
	s_or_b32 exec_lo, exec_lo, s1
	s_delay_alu instid0(SALU_CYCLE_1)
	s_mov_b32 s1, exec_lo
	v_cmpx_gt_i32_e64 s16, v0
	s_cbranch_execnz .LBB67_62
.LBB67_45:
	s_or_b32 exec_lo, exec_lo, s1
	s_delay_alu instid0(SALU_CYCLE_1)
	s_mov_b32 s1, exec_lo
	v_cmpx_gt_i32_e64 s16, v0
	s_cbranch_execnz .LBB67_63
.LBB67_46:
	s_or_b32 exec_lo, exec_lo, s1
	s_delay_alu instid0(SALU_CYCLE_1)
	s_mov_b32 s1, exec_lo
	v_cmpx_gt_i32_e64 s16, v0
	s_cbranch_execnz .LBB67_64
.LBB67_47:
	s_or_b32 exec_lo, exec_lo, s1
	s_delay_alu instid0(SALU_CYCLE_1)
	s_mov_b32 s1, exec_lo
	v_cmpx_gt_i32_e64 s16, v0
	s_cbranch_execnz .LBB67_65
.LBB67_48:
	s_or_b32 exec_lo, exec_lo, s1
	s_delay_alu instid0(SALU_CYCLE_1)
	s_mov_b32 s1, exec_lo
	v_cmpx_gt_i32_e64 s16, v0
	s_cbranch_execnz .LBB67_66
.LBB67_49:
	s_or_b32 exec_lo, exec_lo, s1
	s_delay_alu instid0(SALU_CYCLE_1)
	s_mov_b32 s1, exec_lo
	v_cmpx_gt_i32_e64 s16, v0
	s_cbranch_execnz .LBB67_67
.LBB67_50:
	s_or_b32 exec_lo, exec_lo, s1
	s_delay_alu instid0(SALU_CYCLE_1)
	s_mov_b32 s1, exec_lo
	v_cmpx_gt_i32_e64 s16, v0
	s_cbranch_execz .LBB67_52
.LBB67_51:
	s_xor_b32 s0, s0, s23
	v_add_nc_u32_e32 v0, s12, v0
	v_cndmask_b32_e64 v1, 0, 1, s0
	global_store_b8 v0, v1, s[8:9]
.LBB67_52:
	s_endpgm
.LBB67_53:
	s_xor_b32 s2, s0, s2
	v_mov_b32_e32 v0, v2
	v_cndmask_b32_e64 v3, 0, 1, s2
	global_store_b8 v1, v3, s[8:9]
	s_wait_xcnt 0x0
	s_or_b32 exec_lo, exec_lo, s7
	s_delay_alu instid0(SALU_CYCLE_1)
	s_mov_b32 s2, exec_lo
	v_cmpx_gt_i32_e64 s16, v0
	s_cbranch_execz .LBB67_37
.LBB67_54:
	s_xor_b32 s1, s0, s1
	v_add_nc_u32_e32 v2, s12, v0
	v_cndmask_b32_e64 v1, 0, 1, s1
	v_add_nc_u32_e32 v0, 0x100, v0
	global_store_b8 v2, v1, s[8:9]
	s_wait_xcnt 0x0
	s_or_b32 exec_lo, exec_lo, s2
	s_delay_alu instid0(SALU_CYCLE_1)
	s_mov_b32 s1, exec_lo
	v_cmpx_gt_i32_e64 s16, v0
	s_cbranch_execz .LBB67_38
.LBB67_55:
	s_xor_b32 s2, s0, s5
	v_add_nc_u32_e32 v2, s12, v0
	v_cndmask_b32_e64 v1, 0, 1, s2
	v_add_nc_u32_e32 v0, 0x100, v0
	global_store_b8 v2, v1, s[8:9]
	s_wait_xcnt 0x0
	s_or_b32 exec_lo, exec_lo, s1
	s_delay_alu instid0(SALU_CYCLE_1)
	s_mov_b32 s1, exec_lo
	v_cmpx_gt_i32_e64 s16, v0
	s_cbranch_execz .LBB67_39
.LBB67_56:
	s_xor_b32 s2, s0, s3
	v_add_nc_u32_e32 v2, s12, v0
	v_cndmask_b32_e64 v1, 0, 1, s2
	v_add_nc_u32_e32 v0, 0x100, v0
	global_store_b8 v2, v1, s[8:9]
	s_wait_xcnt 0x0
	s_or_b32 exec_lo, exec_lo, s1
	s_delay_alu instid0(SALU_CYCLE_1)
	s_mov_b32 s1, exec_lo
	v_cmpx_gt_i32_e64 s16, v0
	s_cbranch_execz .LBB67_40
.LBB67_57:
	s_xor_b32 s2, s0, s13
	v_add_nc_u32_e32 v2, s12, v0
	v_cndmask_b32_e64 v1, 0, 1, s2
	v_add_nc_u32_e32 v0, 0x100, v0
	global_store_b8 v2, v1, s[8:9]
	s_wait_xcnt 0x0
	s_or_b32 exec_lo, exec_lo, s1
	s_delay_alu instid0(SALU_CYCLE_1)
	s_mov_b32 s1, exec_lo
	v_cmpx_gt_i32_e64 s16, v0
	s_cbranch_execz .LBB67_41
.LBB67_58:
	s_xor_b32 s2, s0, s4
	v_add_nc_u32_e32 v2, s12, v0
	v_cndmask_b32_e64 v1, 0, 1, s2
	v_add_nc_u32_e32 v0, 0x100, v0
	global_store_b8 v2, v1, s[8:9]
	s_wait_xcnt 0x0
	s_or_b32 exec_lo, exec_lo, s1
	s_delay_alu instid0(SALU_CYCLE_1)
	s_mov_b32 s1, exec_lo
	v_cmpx_gt_i32_e64 s16, v0
	s_cbranch_execz .LBB67_42
.LBB67_59:
	s_xor_b32 s2, s0, s18
	v_add_nc_u32_e32 v2, s12, v0
	v_cndmask_b32_e64 v1, 0, 1, s2
	v_add_nc_u32_e32 v0, 0x100, v0
	global_store_b8 v2, v1, s[8:9]
	s_wait_xcnt 0x0
	s_or_b32 exec_lo, exec_lo, s1
	s_delay_alu instid0(SALU_CYCLE_1)
	s_mov_b32 s1, exec_lo
	v_cmpx_gt_i32_e64 s16, v0
	s_cbranch_execz .LBB67_43
.LBB67_60:
	s_xor_b32 s2, s0, s6
	v_add_nc_u32_e32 v2, s12, v0
	v_cndmask_b32_e64 v1, 0, 1, s2
	v_add_nc_u32_e32 v0, 0x100, v0
	global_store_b8 v2, v1, s[8:9]
	s_wait_xcnt 0x0
	s_or_b32 exec_lo, exec_lo, s1
	s_delay_alu instid0(SALU_CYCLE_1)
	s_mov_b32 s1, exec_lo
	v_cmpx_gt_i32_e64 s16, v0
	s_cbranch_execz .LBB67_44
.LBB67_61:
	s_xor_b32 s2, s0, s20
	v_add_nc_u32_e32 v2, s12, v0
	v_cndmask_b32_e64 v1, 0, 1, s2
	v_add_nc_u32_e32 v0, 0x100, v0
	global_store_b8 v2, v1, s[8:9]
	s_wait_xcnt 0x0
	s_or_b32 exec_lo, exec_lo, s1
	s_delay_alu instid0(SALU_CYCLE_1)
	s_mov_b32 s1, exec_lo
	v_cmpx_gt_i32_e64 s16, v0
	s_cbranch_execz .LBB67_45
.LBB67_62:
	s_xor_b32 s2, s0, s17
	v_add_nc_u32_e32 v2, s12, v0
	v_cndmask_b32_e64 v1, 0, 1, s2
	v_add_nc_u32_e32 v0, 0x100, v0
	global_store_b8 v2, v1, s[8:9]
	s_wait_xcnt 0x0
	s_or_b32 exec_lo, exec_lo, s1
	s_delay_alu instid0(SALU_CYCLE_1)
	s_mov_b32 s1, exec_lo
	v_cmpx_gt_i32_e64 s16, v0
	s_cbranch_execz .LBB67_46
.LBB67_63:
	s_xor_b32 s2, s0, s22
	v_add_nc_u32_e32 v2, s12, v0
	v_cndmask_b32_e64 v1, 0, 1, s2
	v_add_nc_u32_e32 v0, 0x100, v0
	global_store_b8 v2, v1, s[8:9]
	s_wait_xcnt 0x0
	s_or_b32 exec_lo, exec_lo, s1
	s_delay_alu instid0(SALU_CYCLE_1)
	s_mov_b32 s1, exec_lo
	v_cmpx_gt_i32_e64 s16, v0
	s_cbranch_execz .LBB67_47
.LBB67_64:
	s_xor_b32 s2, s0, s19
	v_add_nc_u32_e32 v2, s12, v0
	v_cndmask_b32_e64 v1, 0, 1, s2
	v_add_nc_u32_e32 v0, 0x100, v0
	global_store_b8 v2, v1, s[8:9]
	s_wait_xcnt 0x0
	s_or_b32 exec_lo, exec_lo, s1
	s_delay_alu instid0(SALU_CYCLE_1)
	s_mov_b32 s1, exec_lo
	v_cmpx_gt_i32_e64 s16, v0
	s_cbranch_execz .LBB67_48
.LBB67_65:
	s_xor_b32 s2, s0, s24
	v_add_nc_u32_e32 v2, s12, v0
	v_cndmask_b32_e64 v1, 0, 1, s2
	v_add_nc_u32_e32 v0, 0x100, v0
	global_store_b8 v2, v1, s[8:9]
	s_wait_xcnt 0x0
	s_or_b32 exec_lo, exec_lo, s1
	s_delay_alu instid0(SALU_CYCLE_1)
	s_mov_b32 s1, exec_lo
	v_cmpx_gt_i32_e64 s16, v0
	s_cbranch_execz .LBB67_49
.LBB67_66:
	s_xor_b32 s2, s0, s21
	v_add_nc_u32_e32 v2, s12, v0
	v_cndmask_b32_e64 v1, 0, 1, s2
	v_add_nc_u32_e32 v0, 0x100, v0
	global_store_b8 v2, v1, s[8:9]
	s_wait_xcnt 0x0
	s_or_b32 exec_lo, exec_lo, s1
	s_delay_alu instid0(SALU_CYCLE_1)
	s_mov_b32 s1, exec_lo
	v_cmpx_gt_i32_e64 s16, v0
	s_cbranch_execz .LBB67_50
.LBB67_67:
	s_xor_b32 s2, s0, s25
	v_add_nc_u32_e32 v2, s12, v0
	v_cndmask_b32_e64 v1, 0, 1, s2
	v_add_nc_u32_e32 v0, 0x100, v0
	global_store_b8 v2, v1, s[8:9]
	s_wait_xcnt 0x0
	s_or_b32 exec_lo, exec_lo, s1
	s_delay_alu instid0(SALU_CYCLE_1)
	s_mov_b32 s1, exec_lo
	v_cmpx_gt_i32_e64 s16, v0
	s_cbranch_execnz .LBB67_51
	s_branch .LBB67_52
	.section	.rodata,"a",@progbits
	.p2align	6, 0x0
	.amdhsa_kernel _ZN2at6native29vectorized_elementwise_kernelILi2ENS0_13BinaryFunctorIssbNS0_12_GLOBAL__N_116CompareEqFunctorIsEEEESt5arrayIPcLm3EEEEviT0_T1_
		.amdhsa_group_segment_fixed_size 0
		.amdhsa_private_segment_fixed_size 0
		.amdhsa_kernarg_size 32
		.amdhsa_user_sgpr_count 2
		.amdhsa_user_sgpr_dispatch_ptr 0
		.amdhsa_user_sgpr_queue_ptr 0
		.amdhsa_user_sgpr_kernarg_segment_ptr 1
		.amdhsa_user_sgpr_dispatch_id 0
		.amdhsa_user_sgpr_kernarg_preload_length 0
		.amdhsa_user_sgpr_kernarg_preload_offset 0
		.amdhsa_user_sgpr_private_segment_size 0
		.amdhsa_wavefront_size32 1
		.amdhsa_uses_dynamic_stack 0
		.amdhsa_enable_private_segment 0
		.amdhsa_system_sgpr_workgroup_id_x 1
		.amdhsa_system_sgpr_workgroup_id_y 0
		.amdhsa_system_sgpr_workgroup_id_z 0
		.amdhsa_system_sgpr_workgroup_info 0
		.amdhsa_system_vgpr_workitem_id 0
		.amdhsa_next_free_vgpr 17
		.amdhsa_next_free_sgpr 27
		.amdhsa_named_barrier_count 0
		.amdhsa_reserve_vcc 1
		.amdhsa_float_round_mode_32 0
		.amdhsa_float_round_mode_16_64 0
		.amdhsa_float_denorm_mode_32 3
		.amdhsa_float_denorm_mode_16_64 3
		.amdhsa_fp16_overflow 0
		.amdhsa_memory_ordered 1
		.amdhsa_forward_progress 1
		.amdhsa_inst_pref_size 29
		.amdhsa_round_robin_scheduling 0
		.amdhsa_exception_fp_ieee_invalid_op 0
		.amdhsa_exception_fp_denorm_src 0
		.amdhsa_exception_fp_ieee_div_zero 0
		.amdhsa_exception_fp_ieee_overflow 0
		.amdhsa_exception_fp_ieee_underflow 0
		.amdhsa_exception_fp_ieee_inexact 0
		.amdhsa_exception_int_div_zero 0
	.end_amdhsa_kernel
	.section	.text._ZN2at6native29vectorized_elementwise_kernelILi2ENS0_13BinaryFunctorIssbNS0_12_GLOBAL__N_116CompareEqFunctorIsEEEESt5arrayIPcLm3EEEEviT0_T1_,"axG",@progbits,_ZN2at6native29vectorized_elementwise_kernelILi2ENS0_13BinaryFunctorIssbNS0_12_GLOBAL__N_116CompareEqFunctorIsEEEESt5arrayIPcLm3EEEEviT0_T1_,comdat
.Lfunc_end67:
	.size	_ZN2at6native29vectorized_elementwise_kernelILi2ENS0_13BinaryFunctorIssbNS0_12_GLOBAL__N_116CompareEqFunctorIsEEEESt5arrayIPcLm3EEEEviT0_T1_, .Lfunc_end67-_ZN2at6native29vectorized_elementwise_kernelILi2ENS0_13BinaryFunctorIssbNS0_12_GLOBAL__N_116CompareEqFunctorIsEEEESt5arrayIPcLm3EEEEviT0_T1_
                                        ; -- End function
	.set _ZN2at6native29vectorized_elementwise_kernelILi2ENS0_13BinaryFunctorIssbNS0_12_GLOBAL__N_116CompareEqFunctorIsEEEESt5arrayIPcLm3EEEEviT0_T1_.num_vgpr, 17
	.set _ZN2at6native29vectorized_elementwise_kernelILi2ENS0_13BinaryFunctorIssbNS0_12_GLOBAL__N_116CompareEqFunctorIsEEEESt5arrayIPcLm3EEEEviT0_T1_.num_agpr, 0
	.set _ZN2at6native29vectorized_elementwise_kernelILi2ENS0_13BinaryFunctorIssbNS0_12_GLOBAL__N_116CompareEqFunctorIsEEEESt5arrayIPcLm3EEEEviT0_T1_.numbered_sgpr, 27
	.set _ZN2at6native29vectorized_elementwise_kernelILi2ENS0_13BinaryFunctorIssbNS0_12_GLOBAL__N_116CompareEqFunctorIsEEEESt5arrayIPcLm3EEEEviT0_T1_.num_named_barrier, 0
	.set _ZN2at6native29vectorized_elementwise_kernelILi2ENS0_13BinaryFunctorIssbNS0_12_GLOBAL__N_116CompareEqFunctorIsEEEESt5arrayIPcLm3EEEEviT0_T1_.private_seg_size, 0
	.set _ZN2at6native29vectorized_elementwise_kernelILi2ENS0_13BinaryFunctorIssbNS0_12_GLOBAL__N_116CompareEqFunctorIsEEEESt5arrayIPcLm3EEEEviT0_T1_.uses_vcc, 1
	.set _ZN2at6native29vectorized_elementwise_kernelILi2ENS0_13BinaryFunctorIssbNS0_12_GLOBAL__N_116CompareEqFunctorIsEEEESt5arrayIPcLm3EEEEviT0_T1_.uses_flat_scratch, 0
	.set _ZN2at6native29vectorized_elementwise_kernelILi2ENS0_13BinaryFunctorIssbNS0_12_GLOBAL__N_116CompareEqFunctorIsEEEESt5arrayIPcLm3EEEEviT0_T1_.has_dyn_sized_stack, 0
	.set _ZN2at6native29vectorized_elementwise_kernelILi2ENS0_13BinaryFunctorIssbNS0_12_GLOBAL__N_116CompareEqFunctorIsEEEESt5arrayIPcLm3EEEEviT0_T1_.has_recursion, 0
	.set _ZN2at6native29vectorized_elementwise_kernelILi2ENS0_13BinaryFunctorIssbNS0_12_GLOBAL__N_116CompareEqFunctorIsEEEESt5arrayIPcLm3EEEEviT0_T1_.has_indirect_call, 0
	.section	.AMDGPU.csdata,"",@progbits
; Kernel info:
; codeLenInByte = 3668
; TotalNumSgprs: 29
; NumVgprs: 17
; ScratchSize: 0
; MemoryBound: 0
; FloatMode: 240
; IeeeMode: 1
; LDSByteSize: 0 bytes/workgroup (compile time only)
; SGPRBlocks: 0
; VGPRBlocks: 1
; NumSGPRsForWavesPerEU: 29
; NumVGPRsForWavesPerEU: 17
; NamedBarCnt: 0
; Occupancy: 16
; WaveLimiterHint : 1
; COMPUTE_PGM_RSRC2:SCRATCH_EN: 0
; COMPUTE_PGM_RSRC2:USER_SGPR: 2
; COMPUTE_PGM_RSRC2:TRAP_HANDLER: 0
; COMPUTE_PGM_RSRC2:TGID_X_EN: 1
; COMPUTE_PGM_RSRC2:TGID_Y_EN: 0
; COMPUTE_PGM_RSRC2:TGID_Z_EN: 0
; COMPUTE_PGM_RSRC2:TIDIG_COMP_CNT: 0
	.section	.text._ZN2at6native27unrolled_elementwise_kernelINS0_13BinaryFunctorIssbNS0_12_GLOBAL__N_116CompareEqFunctorIsEEEESt5arrayIPcLm3EELi4E23TrivialOffsetCalculatorILi2EjESA_ILi1EjENS0_6memory15LoadWithoutCastENSD_16StoreWithoutCastEEEviT_T0_T2_T3_T4_T5_,"axG",@progbits,_ZN2at6native27unrolled_elementwise_kernelINS0_13BinaryFunctorIssbNS0_12_GLOBAL__N_116CompareEqFunctorIsEEEESt5arrayIPcLm3EELi4E23TrivialOffsetCalculatorILi2EjESA_ILi1EjENS0_6memory15LoadWithoutCastENSD_16StoreWithoutCastEEEviT_T0_T2_T3_T4_T5_,comdat
	.globl	_ZN2at6native27unrolled_elementwise_kernelINS0_13BinaryFunctorIssbNS0_12_GLOBAL__N_116CompareEqFunctorIsEEEESt5arrayIPcLm3EELi4E23TrivialOffsetCalculatorILi2EjESA_ILi1EjENS0_6memory15LoadWithoutCastENSD_16StoreWithoutCastEEEviT_T0_T2_T3_T4_T5_ ; -- Begin function _ZN2at6native27unrolled_elementwise_kernelINS0_13BinaryFunctorIssbNS0_12_GLOBAL__N_116CompareEqFunctorIsEEEESt5arrayIPcLm3EELi4E23TrivialOffsetCalculatorILi2EjESA_ILi1EjENS0_6memory15LoadWithoutCastENSD_16StoreWithoutCastEEEviT_T0_T2_T3_T4_T5_
	.p2align	8
	.type	_ZN2at6native27unrolled_elementwise_kernelINS0_13BinaryFunctorIssbNS0_12_GLOBAL__N_116CompareEqFunctorIsEEEESt5arrayIPcLm3EELi4E23TrivialOffsetCalculatorILi2EjESA_ILi1EjENS0_6memory15LoadWithoutCastENSD_16StoreWithoutCastEEEviT_T0_T2_T3_T4_T5_,@function
_ZN2at6native27unrolled_elementwise_kernelINS0_13BinaryFunctorIssbNS0_12_GLOBAL__N_116CompareEqFunctorIsEEEESt5arrayIPcLm3EELi4E23TrivialOffsetCalculatorILi2EjESA_ILi1EjENS0_6memory15LoadWithoutCastENSD_16StoreWithoutCastEEEviT_T0_T2_T3_T4_T5_: ; @_ZN2at6native27unrolled_elementwise_kernelINS0_13BinaryFunctorIssbNS0_12_GLOBAL__N_116CompareEqFunctorIsEEEESt5arrayIPcLm3EELi4E23TrivialOffsetCalculatorILi2EjESA_ILi1EjENS0_6memory15LoadWithoutCastENSD_16StoreWithoutCastEEEviT_T0_T2_T3_T4_T5_
; %bb.0:
	s_load_b64 s[2:3], s[0:1], 0x0
	s_bfe_u32 s10, ttmp6, 0x4000c
	s_clause 0x1
	s_load_b128 s[4:7], s[0:1], 0x8
	s_load_b64 s[8:9], s[0:1], 0x18
	s_add_co_i32 s10, s10, 1
	s_wait_xcnt 0x0
	s_and_b32 s0, ttmp6, 15
	s_mul_i32 s1, ttmp9, s10
	s_getreg_b32 s10, hwreg(HW_REG_IB_STS2, 6, 4)
	s_add_co_i32 s0, s0, s1
	s_cmp_eq_u32 s10, 0
	v_or_b32_e32 v1, 0x100, v0
	s_cselect_b32 s0, ttmp9, s0
	s_mov_b32 s10, 0
	s_lshl_b32 s1, s0, 10
	s_delay_alu instid0(SALU_CYCLE_1) | instskip(SKIP_3) | instid1(SALU_CYCLE_1)
	v_dual_mov_b32 v3, v0 :: v_dual_bitop2_b32 v2, s1, v0 bitop3:0x54
	s_mov_b32 s11, 0
	s_wait_kmcnt 0x0
	s_sub_co_i32 s2, s2, s1
	v_cmp_gt_i32_e32 vcc_lo, s2, v0
	s_and_saveexec_b32 s12, vcc_lo
	s_cbranch_execz .LBB68_2
; %bb.1:
	s_clause 0x1
	global_load_u16 v3, v2, s[6:7] scale_offset
	global_load_u16 v4, v2, s[8:9] scale_offset
	s_wait_loadcnt 0x0
	v_cmp_ne_u16_e64 s0, v3, v4
	v_or_b32_e32 v3, 0x100, v0
	s_and_b32 s11, s0, exec_lo
.LBB68_2:
	s_or_b32 exec_lo, exec_lo, s12
	s_delay_alu instid0(SALU_CYCLE_1) | instskip(NEXT) | instid1(VALU_DEP_1)
	s_mov_b32 s12, exec_lo
	v_cmpx_gt_i32_e64 s2, v3
	s_cbranch_execz .LBB68_4
; %bb.3:
	v_add_nc_u32_e32 v4, s1, v3
	v_add_nc_u32_e32 v3, 0x100, v3
	s_clause 0x1
	global_load_u16 v5, v4, s[6:7] scale_offset
	global_load_u16 v6, v4, s[8:9] scale_offset
	s_wait_loadcnt 0x0
	v_cmp_ne_u16_e64 s0, v5, v6
	s_and_b32 s10, s0, exec_lo
.LBB68_4:
	s_or_b32 exec_lo, exec_lo, s12
	s_mov_b32 s12, 0
	s_mov_b32 s13, 0
	s_mov_b32 s14, exec_lo
	v_cmpx_gt_i32_e64 s2, v3
	s_cbranch_execz .LBB68_6
; %bb.5:
	v_add_nc_u32_e32 v4, s1, v3
	v_add_nc_u32_e32 v3, 0x100, v3
	s_clause 0x1
	global_load_u16 v5, v4, s[6:7] scale_offset
	global_load_u16 v6, v4, s[8:9] scale_offset
	s_wait_loadcnt 0x0
	v_cmp_ne_u16_e64 s0, v5, v6
	s_and_b32 s13, s0, exec_lo
.LBB68_6:
	s_or_b32 exec_lo, exec_lo, s14
	s_delay_alu instid0(SALU_CYCLE_1)
	s_mov_b32 s14, exec_lo
	v_cmpx_gt_i32_e64 s2, v3
	s_cbranch_execz .LBB68_8
; %bb.7:
	v_add_nc_u32_e32 v3, s1, v3
	s_clause 0x1
	global_load_u16 v4, v3, s[6:7] scale_offset
	global_load_u16 v5, v3, s[8:9] scale_offset
	s_wait_loadcnt 0x0
	v_cmp_ne_u16_e64 s0, v4, v5
	s_and_b32 s12, s0, exec_lo
.LBB68_8:
	s_or_b32 exec_lo, exec_lo, s14
	s_cmp_eq_u32 s3, 0
	s_cselect_b32 s3, -1, 0
	s_delay_alu instid0(SALU_CYCLE_1) | instskip(NEXT) | instid1(SALU_CYCLE_1)
	s_xor_b32 s0, s3, s11
	v_cndmask_b32_e64 v3, 0, 1, s0
	s_xor_b32 s0, s3, s10
	s_delay_alu instid0(SALU_CYCLE_1) | instskip(SKIP_1) | instid1(SALU_CYCLE_1)
	v_cndmask_b32_e64 v4, 0, 1, s0
	s_xor_b32 s0, s3, s13
	v_cndmask_b32_e64 v5, 0, 1, s0
	v_cndmask_b32_e32 v3, 0, v3, vcc_lo
	s_delay_alu instid0(VALU_DEP_3) | instskip(SKIP_1) | instid1(VALU_DEP_2)
	v_lshlrev_b16 v4, 8, v4
	v_cmp_gt_i32_e64 s0, s2, v1
	v_dual_lshlrev_b32 v5, 16, v5 :: v_dual_bitop2_b32 v4, v3, v4 bitop3:0x54
	s_delay_alu instid0(VALU_DEP_1) | instskip(NEXT) | instid1(VALU_DEP_1)
	v_and_b32_e32 v4, 0xffff, v4
	v_cndmask_b32_e64 v3, v3, v4, s0
	v_or_b32_e32 v4, 0x200, v0
	s_delay_alu instid0(VALU_DEP_2) | instskip(NEXT) | instid1(VALU_DEP_2)
	v_or_b32_e32 v5, v3, v5
	v_cmp_gt_i32_e64 s0, s2, v4
	s_delay_alu instid0(VALU_DEP_1) | instskip(SKIP_1) | instid1(SALU_CYCLE_1)
	v_cndmask_b32_e64 v3, v3, v5, s0
	s_xor_b32 s0, s3, s12
	v_cndmask_b32_e64 v4, 0, 1, s0
	s_delay_alu instid0(VALU_DEP_2) | instskip(NEXT) | instid1(VALU_DEP_2)
	v_lshrrev_b32_e32 v5, 16, v3
	v_lshlrev_b16 v4, 8, v4
	s_delay_alu instid0(VALU_DEP_1) | instskip(SKIP_1) | instid1(VALU_DEP_2)
	v_bitop3_b16 v4, v5, v4, 0xff bitop3:0xec
	v_or_b32_e32 v5, 0x300, v0
	v_lshlrev_b32_e32 v4, 16, v4
	s_delay_alu instid0(VALU_DEP_2) | instskip(NEXT) | instid1(VALU_DEP_2)
	v_cmp_gt_i32_e64 s0, s2, v5
	v_and_or_b32 v4, 0xffff, v3, v4
	s_delay_alu instid0(VALU_DEP_1)
	v_cndmask_b32_e64 v3, v3, v4, s0
	s_and_saveexec_b32 s0, vcc_lo
	s_cbranch_execnz .LBB68_13
; %bb.9:
	s_or_b32 exec_lo, exec_lo, s0
	s_delay_alu instid0(SALU_CYCLE_1)
	s_mov_b32 s0, exec_lo
	v_cmpx_gt_i32_e64 s2, v0
	s_cbranch_execnz .LBB68_14
.LBB68_10:
	s_or_b32 exec_lo, exec_lo, s0
	s_delay_alu instid0(SALU_CYCLE_1)
	s_mov_b32 s0, exec_lo
	v_cmpx_gt_i32_e64 s2, v0
	s_cbranch_execnz .LBB68_15
.LBB68_11:
	s_or_b32 exec_lo, exec_lo, s0
	s_delay_alu instid0(SALU_CYCLE_1)
	s_mov_b32 s0, exec_lo
	v_cmpx_gt_i32_e64 s2, v0
	s_cbranch_execnz .LBB68_16
.LBB68_12:
	s_endpgm
.LBB68_13:
	v_mov_b32_e32 v0, v1
	global_store_b8 v2, v3, s[4:5]
	s_wait_xcnt 0x0
	s_or_b32 exec_lo, exec_lo, s0
	s_delay_alu instid0(SALU_CYCLE_1)
	s_mov_b32 s0, exec_lo
	v_cmpx_gt_i32_e64 s2, v0
	s_cbranch_execz .LBB68_10
.LBB68_14:
	v_add_nc_u32_e32 v1, 0x100, v0
	v_dual_add_nc_u32 v2, s1, v0 :: v_dual_lshrrev_b32 v4, 8, v3
	s_delay_alu instid0(VALU_DEP_2) | instskip(SKIP_3) | instid1(SALU_CYCLE_1)
	v_mov_b32_e32 v0, v1
	global_store_b8 v2, v4, s[4:5]
	s_wait_xcnt 0x0
	s_or_b32 exec_lo, exec_lo, s0
	s_mov_b32 s0, exec_lo
	v_cmpx_gt_i32_e64 s2, v0
	s_cbranch_execz .LBB68_11
.LBB68_15:
	v_add_nc_u32_e32 v1, 0x100, v0
	s_delay_alu instid0(VALU_DEP_1) | instskip(SKIP_3) | instid1(SALU_CYCLE_1)
	v_dual_add_nc_u32 v2, s1, v0 :: v_dual_mov_b32 v0, v1
	global_store_d16_hi_b8 v2, v3, s[4:5]
	s_wait_xcnt 0x0
	s_or_b32 exec_lo, exec_lo, s0
	s_mov_b32 s0, exec_lo
	v_cmpx_gt_i32_e64 s2, v0
	s_cbranch_execz .LBB68_12
.LBB68_16:
	v_dual_add_nc_u32 v0, s1, v0 :: v_dual_lshrrev_b32 v1, 24, v3
	global_store_b8 v0, v1, s[4:5]
	s_endpgm
	.section	.rodata,"a",@progbits
	.p2align	6, 0x0
	.amdhsa_kernel _ZN2at6native27unrolled_elementwise_kernelINS0_13BinaryFunctorIssbNS0_12_GLOBAL__N_116CompareEqFunctorIsEEEESt5arrayIPcLm3EELi4E23TrivialOffsetCalculatorILi2EjESA_ILi1EjENS0_6memory15LoadWithoutCastENSD_16StoreWithoutCastEEEviT_T0_T2_T3_T4_T5_
		.amdhsa_group_segment_fixed_size 0
		.amdhsa_private_segment_fixed_size 0
		.amdhsa_kernarg_size 36
		.amdhsa_user_sgpr_count 2
		.amdhsa_user_sgpr_dispatch_ptr 0
		.amdhsa_user_sgpr_queue_ptr 0
		.amdhsa_user_sgpr_kernarg_segment_ptr 1
		.amdhsa_user_sgpr_dispatch_id 0
		.amdhsa_user_sgpr_kernarg_preload_length 0
		.amdhsa_user_sgpr_kernarg_preload_offset 0
		.amdhsa_user_sgpr_private_segment_size 0
		.amdhsa_wavefront_size32 1
		.amdhsa_uses_dynamic_stack 0
		.amdhsa_enable_private_segment 0
		.amdhsa_system_sgpr_workgroup_id_x 1
		.amdhsa_system_sgpr_workgroup_id_y 0
		.amdhsa_system_sgpr_workgroup_id_z 0
		.amdhsa_system_sgpr_workgroup_info 0
		.amdhsa_system_vgpr_workitem_id 0
		.amdhsa_next_free_vgpr 7
		.amdhsa_next_free_sgpr 15
		.amdhsa_named_barrier_count 0
		.amdhsa_reserve_vcc 1
		.amdhsa_float_round_mode_32 0
		.amdhsa_float_round_mode_16_64 0
		.amdhsa_float_denorm_mode_32 3
		.amdhsa_float_denorm_mode_16_64 3
		.amdhsa_fp16_overflow 0
		.amdhsa_memory_ordered 1
		.amdhsa_forward_progress 1
		.amdhsa_inst_pref_size 8
		.amdhsa_round_robin_scheduling 0
		.amdhsa_exception_fp_ieee_invalid_op 0
		.amdhsa_exception_fp_denorm_src 0
		.amdhsa_exception_fp_ieee_div_zero 0
		.amdhsa_exception_fp_ieee_overflow 0
		.amdhsa_exception_fp_ieee_underflow 0
		.amdhsa_exception_fp_ieee_inexact 0
		.amdhsa_exception_int_div_zero 0
	.end_amdhsa_kernel
	.section	.text._ZN2at6native27unrolled_elementwise_kernelINS0_13BinaryFunctorIssbNS0_12_GLOBAL__N_116CompareEqFunctorIsEEEESt5arrayIPcLm3EELi4E23TrivialOffsetCalculatorILi2EjESA_ILi1EjENS0_6memory15LoadWithoutCastENSD_16StoreWithoutCastEEEviT_T0_T2_T3_T4_T5_,"axG",@progbits,_ZN2at6native27unrolled_elementwise_kernelINS0_13BinaryFunctorIssbNS0_12_GLOBAL__N_116CompareEqFunctorIsEEEESt5arrayIPcLm3EELi4E23TrivialOffsetCalculatorILi2EjESA_ILi1EjENS0_6memory15LoadWithoutCastENSD_16StoreWithoutCastEEEviT_T0_T2_T3_T4_T5_,comdat
.Lfunc_end68:
	.size	_ZN2at6native27unrolled_elementwise_kernelINS0_13BinaryFunctorIssbNS0_12_GLOBAL__N_116CompareEqFunctorIsEEEESt5arrayIPcLm3EELi4E23TrivialOffsetCalculatorILi2EjESA_ILi1EjENS0_6memory15LoadWithoutCastENSD_16StoreWithoutCastEEEviT_T0_T2_T3_T4_T5_, .Lfunc_end68-_ZN2at6native27unrolled_elementwise_kernelINS0_13BinaryFunctorIssbNS0_12_GLOBAL__N_116CompareEqFunctorIsEEEESt5arrayIPcLm3EELi4E23TrivialOffsetCalculatorILi2EjESA_ILi1EjENS0_6memory15LoadWithoutCastENSD_16StoreWithoutCastEEEviT_T0_T2_T3_T4_T5_
                                        ; -- End function
	.set _ZN2at6native27unrolled_elementwise_kernelINS0_13BinaryFunctorIssbNS0_12_GLOBAL__N_116CompareEqFunctorIsEEEESt5arrayIPcLm3EELi4E23TrivialOffsetCalculatorILi2EjESA_ILi1EjENS0_6memory15LoadWithoutCastENSD_16StoreWithoutCastEEEviT_T0_T2_T3_T4_T5_.num_vgpr, 7
	.set _ZN2at6native27unrolled_elementwise_kernelINS0_13BinaryFunctorIssbNS0_12_GLOBAL__N_116CompareEqFunctorIsEEEESt5arrayIPcLm3EELi4E23TrivialOffsetCalculatorILi2EjESA_ILi1EjENS0_6memory15LoadWithoutCastENSD_16StoreWithoutCastEEEviT_T0_T2_T3_T4_T5_.num_agpr, 0
	.set _ZN2at6native27unrolled_elementwise_kernelINS0_13BinaryFunctorIssbNS0_12_GLOBAL__N_116CompareEqFunctorIsEEEESt5arrayIPcLm3EELi4E23TrivialOffsetCalculatorILi2EjESA_ILi1EjENS0_6memory15LoadWithoutCastENSD_16StoreWithoutCastEEEviT_T0_T2_T3_T4_T5_.numbered_sgpr, 15
	.set _ZN2at6native27unrolled_elementwise_kernelINS0_13BinaryFunctorIssbNS0_12_GLOBAL__N_116CompareEqFunctorIsEEEESt5arrayIPcLm3EELi4E23TrivialOffsetCalculatorILi2EjESA_ILi1EjENS0_6memory15LoadWithoutCastENSD_16StoreWithoutCastEEEviT_T0_T2_T3_T4_T5_.num_named_barrier, 0
	.set _ZN2at6native27unrolled_elementwise_kernelINS0_13BinaryFunctorIssbNS0_12_GLOBAL__N_116CompareEqFunctorIsEEEESt5arrayIPcLm3EELi4E23TrivialOffsetCalculatorILi2EjESA_ILi1EjENS0_6memory15LoadWithoutCastENSD_16StoreWithoutCastEEEviT_T0_T2_T3_T4_T5_.private_seg_size, 0
	.set _ZN2at6native27unrolled_elementwise_kernelINS0_13BinaryFunctorIssbNS0_12_GLOBAL__N_116CompareEqFunctorIsEEEESt5arrayIPcLm3EELi4E23TrivialOffsetCalculatorILi2EjESA_ILi1EjENS0_6memory15LoadWithoutCastENSD_16StoreWithoutCastEEEviT_T0_T2_T3_T4_T5_.uses_vcc, 1
	.set _ZN2at6native27unrolled_elementwise_kernelINS0_13BinaryFunctorIssbNS0_12_GLOBAL__N_116CompareEqFunctorIsEEEESt5arrayIPcLm3EELi4E23TrivialOffsetCalculatorILi2EjESA_ILi1EjENS0_6memory15LoadWithoutCastENSD_16StoreWithoutCastEEEviT_T0_T2_T3_T4_T5_.uses_flat_scratch, 0
	.set _ZN2at6native27unrolled_elementwise_kernelINS0_13BinaryFunctorIssbNS0_12_GLOBAL__N_116CompareEqFunctorIsEEEESt5arrayIPcLm3EELi4E23TrivialOffsetCalculatorILi2EjESA_ILi1EjENS0_6memory15LoadWithoutCastENSD_16StoreWithoutCastEEEviT_T0_T2_T3_T4_T5_.has_dyn_sized_stack, 0
	.set _ZN2at6native27unrolled_elementwise_kernelINS0_13BinaryFunctorIssbNS0_12_GLOBAL__N_116CompareEqFunctorIsEEEESt5arrayIPcLm3EELi4E23TrivialOffsetCalculatorILi2EjESA_ILi1EjENS0_6memory15LoadWithoutCastENSD_16StoreWithoutCastEEEviT_T0_T2_T3_T4_T5_.has_recursion, 0
	.set _ZN2at6native27unrolled_elementwise_kernelINS0_13BinaryFunctorIssbNS0_12_GLOBAL__N_116CompareEqFunctorIsEEEESt5arrayIPcLm3EELi4E23TrivialOffsetCalculatorILi2EjESA_ILi1EjENS0_6memory15LoadWithoutCastENSD_16StoreWithoutCastEEEviT_T0_T2_T3_T4_T5_.has_indirect_call, 0
	.section	.AMDGPU.csdata,"",@progbits
; Kernel info:
; codeLenInByte = 932
; TotalNumSgprs: 17
; NumVgprs: 7
; ScratchSize: 0
; MemoryBound: 0
; FloatMode: 240
; IeeeMode: 1
; LDSByteSize: 0 bytes/workgroup (compile time only)
; SGPRBlocks: 0
; VGPRBlocks: 0
; NumSGPRsForWavesPerEU: 17
; NumVGPRsForWavesPerEU: 7
; NamedBarCnt: 0
; Occupancy: 16
; WaveLimiterHint : 0
; COMPUTE_PGM_RSRC2:SCRATCH_EN: 0
; COMPUTE_PGM_RSRC2:USER_SGPR: 2
; COMPUTE_PGM_RSRC2:TRAP_HANDLER: 0
; COMPUTE_PGM_RSRC2:TGID_X_EN: 1
; COMPUTE_PGM_RSRC2:TGID_Y_EN: 0
; COMPUTE_PGM_RSRC2:TGID_Z_EN: 0
; COMPUTE_PGM_RSRC2:TIDIG_COMP_CNT: 0
	.section	.text._ZN2at6native32elementwise_kernel_manual_unrollILi128ELi8EZNS0_22gpu_kernel_impl_nocastINS0_13BinaryFunctorIssbNS0_12_GLOBAL__N_116CompareEqFunctorIsEEEEEEvRNS_18TensorIteratorBaseERKT_EUlibE_EEviT1_,"axG",@progbits,_ZN2at6native32elementwise_kernel_manual_unrollILi128ELi8EZNS0_22gpu_kernel_impl_nocastINS0_13BinaryFunctorIssbNS0_12_GLOBAL__N_116CompareEqFunctorIsEEEEEEvRNS_18TensorIteratorBaseERKT_EUlibE_EEviT1_,comdat
	.globl	_ZN2at6native32elementwise_kernel_manual_unrollILi128ELi8EZNS0_22gpu_kernel_impl_nocastINS0_13BinaryFunctorIssbNS0_12_GLOBAL__N_116CompareEqFunctorIsEEEEEEvRNS_18TensorIteratorBaseERKT_EUlibE_EEviT1_ ; -- Begin function _ZN2at6native32elementwise_kernel_manual_unrollILi128ELi8EZNS0_22gpu_kernel_impl_nocastINS0_13BinaryFunctorIssbNS0_12_GLOBAL__N_116CompareEqFunctorIsEEEEEEvRNS_18TensorIteratorBaseERKT_EUlibE_EEviT1_
	.p2align	8
	.type	_ZN2at6native32elementwise_kernel_manual_unrollILi128ELi8EZNS0_22gpu_kernel_impl_nocastINS0_13BinaryFunctorIssbNS0_12_GLOBAL__N_116CompareEqFunctorIsEEEEEEvRNS_18TensorIteratorBaseERKT_EUlibE_EEviT1_,@function
_ZN2at6native32elementwise_kernel_manual_unrollILi128ELi8EZNS0_22gpu_kernel_impl_nocastINS0_13BinaryFunctorIssbNS0_12_GLOBAL__N_116CompareEqFunctorIsEEEEEEvRNS_18TensorIteratorBaseERKT_EUlibE_EEviT1_: ; @_ZN2at6native32elementwise_kernel_manual_unrollILi128ELi8EZNS0_22gpu_kernel_impl_nocastINS0_13BinaryFunctorIssbNS0_12_GLOBAL__N_116CompareEqFunctorIsEEEEEEvRNS_18TensorIteratorBaseERKT_EUlibE_EEviT1_
; %bb.0:
	s_clause 0x1
	s_load_b32 s26, s[0:1], 0x8
	s_load_b32 s33, s[0:1], 0x0
	s_bfe_u32 s2, ttmp6, 0x4000c
	s_and_b32 s3, ttmp6, 15
	s_add_co_i32 s2, s2, 1
	s_getreg_b32 s4, hwreg(HW_REG_IB_STS2, 6, 4)
	s_mul_i32 s2, ttmp9, s2
	s_add_nc_u64 s[16:17], s[0:1], 8
	s_add_co_i32 s3, s3, s2
	s_cmp_eq_u32 s4, 0
	s_mov_b32 s21, 0
	s_cselect_b32 s2, ttmp9, s3
	s_wait_xcnt 0x0
	s_mov_b32 s0, exec_lo
	v_lshl_or_b32 v0, s2, 10, v0
	s_delay_alu instid0(VALU_DEP_1) | instskip(SKIP_2) | instid1(SALU_CYCLE_1)
	v_or_b32_e32 v4, 0x380, v0
	s_wait_kmcnt 0x0
	s_add_co_i32 s27, s26, -1
	s_cmp_gt_u32 s27, 1
	s_cselect_b32 s28, -1, 0
	v_cmpx_le_i32_e64 s33, v4
	s_xor_b32 s29, exec_lo, s0
	s_cbranch_execz .LBB69_106
; %bb.1:
	s_clause 0x5
	s_load_b128 s[4:7], s[16:17], 0x4
	s_load_b64 s[18:19], s[16:17], 0x14
	s_load_b96 s[12:14], s[16:17], 0x198
	s_load_b128 s[8:11], s[16:17], 0xc4
	s_load_b64 s[22:23], s[16:17], 0xd4
	s_load_b128 s[0:3], s[16:17], 0x188
	s_cmp_lg_u32 s26, 0
	s_mov_b32 s25, s21
	s_cselect_b32 s34, -1, 0
	s_min_u32 s31, s27, 15
	s_cmp_gt_u32 s26, 1
	s_cselect_b32 s30, -1, 0
	s_wait_kmcnt 0x0
	s_mov_b32 s20, s5
	s_mov_b32 s24, s18
	s_cmp_eq_u32 s14, 0
	s_mov_b32 s18, exec_lo
	s_cselect_b32 s5, -1, 0
	v_cmpx_gt_i32_e64 s33, v0
	s_cbranch_execnz .LBB69_9
; %bb.2:
	s_or_b32 exec_lo, exec_lo, s18
	s_delay_alu instid0(SALU_CYCLE_1)
	s_mov_b32 s18, exec_lo
	v_cmpx_gt_i32_e64 s33, v0
	s_cbranch_execnz .LBB69_21
.LBB69_3:
	s_or_b32 exec_lo, exec_lo, s18
	s_delay_alu instid0(SALU_CYCLE_1)
	s_mov_b32 s18, exec_lo
	v_cmpx_gt_i32_e64 s33, v0
	s_cbranch_execnz .LBB69_33
.LBB69_4:
	s_or_b32 exec_lo, exec_lo, s18
	s_delay_alu instid0(SALU_CYCLE_1)
	s_mov_b32 s18, exec_lo
	v_cmpx_gt_i32_e64 s33, v0
	s_cbranch_execnz .LBB69_45
.LBB69_5:
	s_or_b32 exec_lo, exec_lo, s18
	s_delay_alu instid0(SALU_CYCLE_1)
	s_mov_b32 s18, exec_lo
	v_cmpx_gt_i32_e64 s33, v0
	s_cbranch_execnz .LBB69_57
.LBB69_6:
	s_or_b32 exec_lo, exec_lo, s18
	s_delay_alu instid0(SALU_CYCLE_1)
	s_mov_b32 s18, exec_lo
	v_cmpx_gt_i32_e64 s33, v0
	s_cbranch_execnz .LBB69_69
.LBB69_7:
	s_or_b32 exec_lo, exec_lo, s18
	s_delay_alu instid0(SALU_CYCLE_1)
	s_mov_b32 s18, exec_lo
	v_cmpx_gt_i32_e64 s33, v0
	s_cbranch_execnz .LBB69_81
.LBB69_8:
	s_or_b32 exec_lo, exec_lo, s18
	s_delay_alu instid0(SALU_CYCLE_1)
	s_mov_b32 s18, exec_lo
	v_cmpx_gt_i32_e64 s33, v0
	s_cbranch_execnz .LBB69_93
	s_branch .LBB69_105
.LBB69_9:
	s_and_not1_b32 vcc_lo, exec_lo, s28
	s_cbranch_vccnz .LBB69_15
; %bb.10:
	s_and_not1_b32 vcc_lo, exec_lo, s34
	s_cbranch_vccnz .LBB69_16
; %bb.11:
	v_dual_mov_b32 v4, 0 :: v_dual_mov_b32 v1, v0
	v_dual_mov_b32 v6, 0 :: v_dual_mov_b32 v5, 0
	s_add_co_i32 s35, s31, 1
	s_mov_b64 s[14:15], 0xffffffffffffffe8
	s_and_b32 s35, s35, 30
	s_add_nc_u64 s[14:15], s[16:17], s[14:15]
.LBB69_12:                              ; =>This Inner Loop Header: Depth=1
	s_clause 0x1
	s_load_b128 s[36:39], s[14:15], 0x1c
	s_load_b64 s[44:45], s[14:15], 0x2c
	s_add_co_i32 s35, s35, -2
	s_delay_alu instid0(SALU_CYCLE_1) | instskip(SKIP_2) | instid1(VALU_DEP_1)
	s_cmp_lg_u32 s35, 0
	s_wait_kmcnt 0x0
	v_mul_hi_u32 v2, s37, v1
	v_add_nc_u32_e32 v2, v1, v2
	s_delay_alu instid0(VALU_DEP_1) | instskip(NEXT) | instid1(VALU_DEP_1)
	v_lshrrev_b32_e32 v2, s38, v2
	v_mul_hi_u32 v3, s44, v2
	v_mul_lo_u32 v7, v2, s36
	s_clause 0x1
	s_load_b128 s[40:43], s[14:15], 0xdc
	s_load_b64 s[36:37], s[14:15], 0xec
	s_wait_xcnt 0x0
	s_add_nc_u64 s[14:15], s[14:15], 24
	s_delay_alu instid0(VALU_DEP_2) | instskip(NEXT) | instid1(VALU_DEP_2)
	v_add_nc_u32_e32 v3, v2, v3
	v_sub_nc_u32_e32 v7, v1, v7
	s_delay_alu instid0(VALU_DEP_2) | instskip(SKIP_1) | instid1(VALU_DEP_2)
	v_lshrrev_b32_e32 v1, s45, v3
	s_wait_kmcnt 0x0
	v_mad_u32 v4, v7, s40, v4
	s_delay_alu instid0(VALU_DEP_2) | instskip(SKIP_2) | instid1(VALU_DEP_3)
	v_mul_lo_u32 v3, v1, s39
	v_mad_u32 v5, v7, s42, v5
	v_mad_u32 v6, v7, s41, v6
	v_sub_nc_u32_e32 v2, v2, v3
	s_delay_alu instid0(VALU_DEP_1) | instskip(NEXT) | instid1(VALU_DEP_4)
	v_mad_u32 v4, v2, s43, v4
	v_mad_u32 v5, v2, s37, v5
	s_delay_alu instid0(VALU_DEP_4)
	v_mad_u32 v6, v2, s36, v6
	s_cbranch_scc1 .LBB69_12
; %bb.13:
	s_bitcmp1_b32 s31, 0
	s_cselect_b32 s35, -1, 0
	s_delay_alu instid0(SALU_CYCLE_1)
	s_and_b32 vcc_lo, exec_lo, s35
	s_cbranch_vccnz .LBB69_17
; %bb.14:
	s_clause 0x1
	s_load_b96 s[36:38], s[14:15], 0x1c
	s_load_b96 s[40:42], s[14:15], 0xdc
	s_wait_xcnt 0x0
	s_wait_kmcnt 0x0
	v_mul_hi_u32 v2, s37, v1
	s_delay_alu instid0(VALU_DEP_1) | instskip(NEXT) | instid1(VALU_DEP_1)
	v_add_nc_u32_e32 v2, v1, v2
	v_lshrrev_b32_e32 v2, s38, v2
	s_delay_alu instid0(VALU_DEP_1) | instskip(NEXT) | instid1(VALU_DEP_1)
	v_mul_lo_u32 v2, v2, s36
	v_sub_nc_u32_e32 v1, v1, v2
	s_delay_alu instid0(VALU_DEP_1)
	v_mad_u32 v4, v1, s40, v4
	v_mad_u32 v6, v1, s41, v6
	;; [unrolled: 1-line block ×3, first 2 shown]
	s_cbranch_execz .LBB69_18
	s_branch .LBB69_20
.LBB69_15:
                                        ; implicit-def: $vgpr5
                                        ; implicit-def: $vgpr6
                                        ; implicit-def: $vgpr4
	s_branch .LBB69_18
.LBB69_16:
	v_dual_mov_b32 v5, 0 :: v_dual_mov_b32 v6, 0
	v_mov_b32_e32 v4, 0
.LBB69_17:
	s_cbranch_execnz .LBB69_20
.LBB69_18:
	v_mov_b32_e32 v1, 0
	s_and_not1_b32 vcc_lo, exec_lo, s30
	s_delay_alu instid0(VALU_DEP_1) | instskip(NEXT) | instid1(VALU_DEP_1)
	v_mul_u64_e32 v[2:3], s[20:21], v[0:1]
	v_add_nc_u32_e32 v2, v0, v3
	s_delay_alu instid0(VALU_DEP_1) | instskip(NEXT) | instid1(VALU_DEP_1)
	v_lshrrev_b32_e32 v2, s6, v2
	v_mul_lo_u32 v3, v2, s4
	s_delay_alu instid0(VALU_DEP_1) | instskip(NEXT) | instid1(VALU_DEP_1)
	v_sub_nc_u32_e32 v3, v0, v3
	v_mul_lo_u32 v4, v3, s8
	v_mul_lo_u32 v5, v3, s10
	;; [unrolled: 1-line block ×3, first 2 shown]
	s_cbranch_vccnz .LBB69_20
; %bb.19:
	v_mov_b32_e32 v3, v1
	s_delay_alu instid0(VALU_DEP_1) | instskip(NEXT) | instid1(VALU_DEP_1)
	v_mul_u64_e32 v[8:9], s[24:25], v[2:3]
	v_add_nc_u32_e32 v1, v2, v9
	s_delay_alu instid0(VALU_DEP_1) | instskip(NEXT) | instid1(VALU_DEP_1)
	v_lshrrev_b32_e32 v1, s19, v1
	v_mul_lo_u32 v1, v1, s7
	s_delay_alu instid0(VALU_DEP_1) | instskip(NEXT) | instid1(VALU_DEP_1)
	v_sub_nc_u32_e32 v1, v2, v1
	v_mad_u32 v4, v1, s11, v4
	v_mad_u32 v6, v1, s22, v6
	v_mad_u32 v5, v1, s23, v5
.LBB69_20:
	global_load_u16 v1, v6, s[2:3]
	global_load_u16 v2, v5, s[12:13]
	v_add_nc_u32_e32 v0, 0x80, v0
	s_wait_loadcnt 0x0
	v_cmp_ne_u16_e32 vcc_lo, v1, v2
	s_xor_b32 s14, s5, vcc_lo
	s_delay_alu instid0(SALU_CYCLE_1) | instskip(SKIP_3) | instid1(SALU_CYCLE_1)
	v_cndmask_b32_e64 v1, 0, 1, s14
	global_store_b8 v4, v1, s[0:1]
	s_wait_xcnt 0x0
	s_or_b32 exec_lo, exec_lo, s18
	s_mov_b32 s18, exec_lo
	v_cmpx_gt_i32_e64 s33, v0
	s_cbranch_execz .LBB69_3
.LBB69_21:
	s_and_not1_b32 vcc_lo, exec_lo, s28
	s_cbranch_vccnz .LBB69_27
; %bb.22:
	s_and_not1_b32 vcc_lo, exec_lo, s34
	s_cbranch_vccnz .LBB69_28
; %bb.23:
	v_dual_mov_b32 v4, 0 :: v_dual_mov_b32 v1, v0
	v_dual_mov_b32 v6, 0 :: v_dual_mov_b32 v5, 0
	s_add_co_i32 s35, s31, 1
	s_mov_b64 s[14:15], 0xffffffffffffffe8
	s_and_b32 s35, s35, 30
	s_add_nc_u64 s[14:15], s[16:17], s[14:15]
.LBB69_24:                              ; =>This Inner Loop Header: Depth=1
	s_clause 0x1
	s_load_b128 s[36:39], s[14:15], 0x1c
	s_load_b64 s[44:45], s[14:15], 0x2c
	s_add_co_i32 s35, s35, -2
	s_delay_alu instid0(SALU_CYCLE_1) | instskip(SKIP_2) | instid1(VALU_DEP_1)
	s_cmp_eq_u32 s35, 0
	s_wait_kmcnt 0x0
	v_mul_hi_u32 v2, s37, v1
	v_add_nc_u32_e32 v2, v1, v2
	s_delay_alu instid0(VALU_DEP_1) | instskip(NEXT) | instid1(VALU_DEP_1)
	v_lshrrev_b32_e32 v2, s38, v2
	v_mul_hi_u32 v3, s44, v2
	v_mul_lo_u32 v7, v2, s36
	s_clause 0x1
	s_load_b128 s[40:43], s[14:15], 0xdc
	s_load_b64 s[36:37], s[14:15], 0xec
	s_wait_xcnt 0x0
	s_add_nc_u64 s[14:15], s[14:15], 24
	s_delay_alu instid0(VALU_DEP_2) | instskip(NEXT) | instid1(VALU_DEP_2)
	v_add_nc_u32_e32 v3, v2, v3
	v_sub_nc_u32_e32 v7, v1, v7
	s_delay_alu instid0(VALU_DEP_2) | instskip(SKIP_1) | instid1(VALU_DEP_2)
	v_lshrrev_b32_e32 v1, s45, v3
	s_wait_kmcnt 0x0
	v_mad_u32 v4, v7, s40, v4
	s_delay_alu instid0(VALU_DEP_2) | instskip(SKIP_2) | instid1(VALU_DEP_3)
	v_mul_lo_u32 v3, v1, s39
	v_mad_u32 v5, v7, s42, v5
	v_mad_u32 v6, v7, s41, v6
	v_sub_nc_u32_e32 v2, v2, v3
	s_delay_alu instid0(VALU_DEP_1) | instskip(NEXT) | instid1(VALU_DEP_4)
	v_mad_u32 v4, v2, s43, v4
	v_mad_u32 v5, v2, s37, v5
	s_delay_alu instid0(VALU_DEP_4)
	v_mad_u32 v6, v2, s36, v6
	s_cbranch_scc0 .LBB69_24
; %bb.25:
	s_bitcmp1_b32 s31, 0
	s_cselect_b32 s35, -1, 0
	s_delay_alu instid0(SALU_CYCLE_1)
	s_and_b32 vcc_lo, exec_lo, s35
	s_cbranch_vccnz .LBB69_29
; %bb.26:
	s_clause 0x1
	s_load_b96 s[36:38], s[14:15], 0x1c
	s_load_b96 s[40:42], s[14:15], 0xdc
	s_wait_kmcnt 0x0
	v_mul_hi_u32 v2, s37, v1
	s_delay_alu instid0(VALU_DEP_1) | instskip(NEXT) | instid1(VALU_DEP_1)
	v_add_nc_u32_e32 v2, v1, v2
	v_lshrrev_b32_e32 v2, s38, v2
	s_delay_alu instid0(VALU_DEP_1) | instskip(NEXT) | instid1(VALU_DEP_1)
	v_mul_lo_u32 v2, v2, s36
	v_sub_nc_u32_e32 v1, v1, v2
	s_delay_alu instid0(VALU_DEP_1)
	v_mad_u32 v4, v1, s40, v4
	v_mad_u32 v6, v1, s41, v6
	;; [unrolled: 1-line block ×3, first 2 shown]
	s_branch .LBB69_29
.LBB69_27:
                                        ; implicit-def: $vgpr5
                                        ; implicit-def: $vgpr6
                                        ; implicit-def: $vgpr4
	s_branch .LBB69_30
.LBB69_28:
	v_dual_mov_b32 v5, 0 :: v_dual_mov_b32 v6, 0
	v_mov_b32_e32 v4, 0
.LBB69_29:
	s_cbranch_execnz .LBB69_32
.LBB69_30:
	v_mov_b32_e32 v1, 0
	s_and_not1_b32 vcc_lo, exec_lo, s30
	s_delay_alu instid0(VALU_DEP_1) | instskip(NEXT) | instid1(VALU_DEP_1)
	v_mul_u64_e32 v[2:3], s[20:21], v[0:1]
	v_add_nc_u32_e32 v2, v0, v3
	s_delay_alu instid0(VALU_DEP_1) | instskip(NEXT) | instid1(VALU_DEP_1)
	v_lshrrev_b32_e32 v2, s6, v2
	v_mul_lo_u32 v3, v2, s4
	s_delay_alu instid0(VALU_DEP_1) | instskip(NEXT) | instid1(VALU_DEP_1)
	v_sub_nc_u32_e32 v3, v0, v3
	v_mul_lo_u32 v4, v3, s8
	v_mul_lo_u32 v5, v3, s10
	;; [unrolled: 1-line block ×3, first 2 shown]
	s_cbranch_vccnz .LBB69_32
; %bb.31:
	v_mov_b32_e32 v3, v1
	s_delay_alu instid0(VALU_DEP_1) | instskip(NEXT) | instid1(VALU_DEP_1)
	v_mul_u64_e32 v[8:9], s[24:25], v[2:3]
	v_add_nc_u32_e32 v1, v2, v9
	s_delay_alu instid0(VALU_DEP_1) | instskip(NEXT) | instid1(VALU_DEP_1)
	v_lshrrev_b32_e32 v1, s19, v1
	v_mul_lo_u32 v1, v1, s7
	s_delay_alu instid0(VALU_DEP_1) | instskip(NEXT) | instid1(VALU_DEP_1)
	v_sub_nc_u32_e32 v1, v2, v1
	v_mad_u32 v4, v1, s11, v4
	v_mad_u32 v6, v1, s22, v6
	;; [unrolled: 1-line block ×3, first 2 shown]
.LBB69_32:
	global_load_u16 v1, v6, s[2:3]
	global_load_u16 v2, v5, s[12:13]
	v_add_nc_u32_e32 v0, 0x80, v0
	s_wait_loadcnt 0x0
	v_cmp_ne_u16_e32 vcc_lo, v1, v2
	s_xor_b32 s14, s5, vcc_lo
	s_delay_alu instid0(SALU_CYCLE_1) | instskip(SKIP_3) | instid1(SALU_CYCLE_1)
	v_cndmask_b32_e64 v1, 0, 1, s14
	global_store_b8 v4, v1, s[0:1]
	s_wait_xcnt 0x0
	s_or_b32 exec_lo, exec_lo, s18
	s_mov_b32 s18, exec_lo
	v_cmpx_gt_i32_e64 s33, v0
	s_cbranch_execz .LBB69_4
.LBB69_33:
	s_and_not1_b32 vcc_lo, exec_lo, s28
	s_cbranch_vccnz .LBB69_39
; %bb.34:
	s_and_not1_b32 vcc_lo, exec_lo, s34
	s_cbranch_vccnz .LBB69_40
; %bb.35:
	v_dual_mov_b32 v4, 0 :: v_dual_mov_b32 v1, v0
	v_dual_mov_b32 v6, 0 :: v_dual_mov_b32 v5, 0
	s_add_co_i32 s35, s31, 1
	s_mov_b64 s[14:15], 0xffffffffffffffe8
	s_and_b32 s35, s35, 30
	s_add_nc_u64 s[14:15], s[16:17], s[14:15]
.LBB69_36:                              ; =>This Inner Loop Header: Depth=1
	s_clause 0x1
	s_load_b128 s[36:39], s[14:15], 0x1c
	s_load_b64 s[44:45], s[14:15], 0x2c
	s_add_co_i32 s35, s35, -2
	s_delay_alu instid0(SALU_CYCLE_1) | instskip(SKIP_2) | instid1(VALU_DEP_1)
	s_cmp_eq_u32 s35, 0
	s_wait_kmcnt 0x0
	v_mul_hi_u32 v2, s37, v1
	v_add_nc_u32_e32 v2, v1, v2
	s_delay_alu instid0(VALU_DEP_1) | instskip(NEXT) | instid1(VALU_DEP_1)
	v_lshrrev_b32_e32 v2, s38, v2
	v_mul_hi_u32 v3, s44, v2
	v_mul_lo_u32 v7, v2, s36
	s_clause 0x1
	s_load_b128 s[40:43], s[14:15], 0xdc
	s_load_b64 s[36:37], s[14:15], 0xec
	s_wait_xcnt 0x0
	s_add_nc_u64 s[14:15], s[14:15], 24
	s_delay_alu instid0(VALU_DEP_2) | instskip(NEXT) | instid1(VALU_DEP_2)
	v_add_nc_u32_e32 v3, v2, v3
	v_sub_nc_u32_e32 v7, v1, v7
	s_delay_alu instid0(VALU_DEP_2) | instskip(SKIP_1) | instid1(VALU_DEP_2)
	v_lshrrev_b32_e32 v1, s45, v3
	s_wait_kmcnt 0x0
	v_mad_u32 v4, v7, s40, v4
	s_delay_alu instid0(VALU_DEP_2) | instskip(SKIP_2) | instid1(VALU_DEP_3)
	v_mul_lo_u32 v3, v1, s39
	v_mad_u32 v5, v7, s42, v5
	v_mad_u32 v6, v7, s41, v6
	v_sub_nc_u32_e32 v2, v2, v3
	s_delay_alu instid0(VALU_DEP_1) | instskip(NEXT) | instid1(VALU_DEP_4)
	v_mad_u32 v4, v2, s43, v4
	v_mad_u32 v5, v2, s37, v5
	s_delay_alu instid0(VALU_DEP_4)
	v_mad_u32 v6, v2, s36, v6
	s_cbranch_scc0 .LBB69_36
; %bb.37:
	s_bitcmp1_b32 s31, 0
	s_cselect_b32 s35, -1, 0
	s_delay_alu instid0(SALU_CYCLE_1)
	s_and_b32 vcc_lo, exec_lo, s35
	s_cbranch_vccnz .LBB69_41
; %bb.38:
	s_clause 0x1
	s_load_b96 s[36:38], s[14:15], 0x1c
	s_load_b96 s[40:42], s[14:15], 0xdc
	s_wait_kmcnt 0x0
	v_mul_hi_u32 v2, s37, v1
	s_delay_alu instid0(VALU_DEP_1) | instskip(NEXT) | instid1(VALU_DEP_1)
	v_add_nc_u32_e32 v2, v1, v2
	v_lshrrev_b32_e32 v2, s38, v2
	s_delay_alu instid0(VALU_DEP_1) | instskip(NEXT) | instid1(VALU_DEP_1)
	v_mul_lo_u32 v2, v2, s36
	v_sub_nc_u32_e32 v1, v1, v2
	s_delay_alu instid0(VALU_DEP_1)
	v_mad_u32 v4, v1, s40, v4
	v_mad_u32 v6, v1, s41, v6
	;; [unrolled: 1-line block ×3, first 2 shown]
	s_branch .LBB69_41
.LBB69_39:
                                        ; implicit-def: $vgpr5
                                        ; implicit-def: $vgpr6
                                        ; implicit-def: $vgpr4
	s_branch .LBB69_42
.LBB69_40:
	v_dual_mov_b32 v5, 0 :: v_dual_mov_b32 v6, 0
	v_mov_b32_e32 v4, 0
.LBB69_41:
	s_cbranch_execnz .LBB69_44
.LBB69_42:
	v_mov_b32_e32 v1, 0
	s_and_not1_b32 vcc_lo, exec_lo, s30
	s_delay_alu instid0(VALU_DEP_1) | instskip(NEXT) | instid1(VALU_DEP_1)
	v_mul_u64_e32 v[2:3], s[20:21], v[0:1]
	v_add_nc_u32_e32 v2, v0, v3
	s_delay_alu instid0(VALU_DEP_1) | instskip(NEXT) | instid1(VALU_DEP_1)
	v_lshrrev_b32_e32 v2, s6, v2
	v_mul_lo_u32 v3, v2, s4
	s_delay_alu instid0(VALU_DEP_1) | instskip(NEXT) | instid1(VALU_DEP_1)
	v_sub_nc_u32_e32 v3, v0, v3
	v_mul_lo_u32 v4, v3, s8
	v_mul_lo_u32 v5, v3, s10
	;; [unrolled: 1-line block ×3, first 2 shown]
	s_cbranch_vccnz .LBB69_44
; %bb.43:
	v_mov_b32_e32 v3, v1
	s_delay_alu instid0(VALU_DEP_1) | instskip(NEXT) | instid1(VALU_DEP_1)
	v_mul_u64_e32 v[8:9], s[24:25], v[2:3]
	v_add_nc_u32_e32 v1, v2, v9
	s_delay_alu instid0(VALU_DEP_1) | instskip(NEXT) | instid1(VALU_DEP_1)
	v_lshrrev_b32_e32 v1, s19, v1
	v_mul_lo_u32 v1, v1, s7
	s_delay_alu instid0(VALU_DEP_1) | instskip(NEXT) | instid1(VALU_DEP_1)
	v_sub_nc_u32_e32 v1, v2, v1
	v_mad_u32 v4, v1, s11, v4
	v_mad_u32 v6, v1, s22, v6
	;; [unrolled: 1-line block ×3, first 2 shown]
.LBB69_44:
	global_load_u16 v1, v6, s[2:3]
	global_load_u16 v2, v5, s[12:13]
	v_add_nc_u32_e32 v0, 0x80, v0
	s_wait_loadcnt 0x0
	v_cmp_ne_u16_e32 vcc_lo, v1, v2
	s_xor_b32 s14, s5, vcc_lo
	s_delay_alu instid0(SALU_CYCLE_1) | instskip(SKIP_3) | instid1(SALU_CYCLE_1)
	v_cndmask_b32_e64 v1, 0, 1, s14
	global_store_b8 v4, v1, s[0:1]
	s_wait_xcnt 0x0
	s_or_b32 exec_lo, exec_lo, s18
	s_mov_b32 s18, exec_lo
	v_cmpx_gt_i32_e64 s33, v0
	s_cbranch_execz .LBB69_5
.LBB69_45:
	s_and_not1_b32 vcc_lo, exec_lo, s28
	s_cbranch_vccnz .LBB69_51
; %bb.46:
	s_and_not1_b32 vcc_lo, exec_lo, s34
	s_cbranch_vccnz .LBB69_52
; %bb.47:
	v_dual_mov_b32 v4, 0 :: v_dual_mov_b32 v1, v0
	v_dual_mov_b32 v6, 0 :: v_dual_mov_b32 v5, 0
	s_add_co_i32 s35, s31, 1
	s_mov_b64 s[14:15], 0xffffffffffffffe8
	s_and_b32 s35, s35, 30
	s_add_nc_u64 s[14:15], s[16:17], s[14:15]
.LBB69_48:                              ; =>This Inner Loop Header: Depth=1
	s_clause 0x1
	s_load_b128 s[36:39], s[14:15], 0x1c
	s_load_b64 s[44:45], s[14:15], 0x2c
	s_add_co_i32 s35, s35, -2
	s_delay_alu instid0(SALU_CYCLE_1) | instskip(SKIP_2) | instid1(VALU_DEP_1)
	s_cmp_eq_u32 s35, 0
	s_wait_kmcnt 0x0
	v_mul_hi_u32 v2, s37, v1
	v_add_nc_u32_e32 v2, v1, v2
	s_delay_alu instid0(VALU_DEP_1) | instskip(NEXT) | instid1(VALU_DEP_1)
	v_lshrrev_b32_e32 v2, s38, v2
	v_mul_hi_u32 v3, s44, v2
	v_mul_lo_u32 v7, v2, s36
	s_clause 0x1
	s_load_b128 s[40:43], s[14:15], 0xdc
	s_load_b64 s[36:37], s[14:15], 0xec
	s_wait_xcnt 0x0
	s_add_nc_u64 s[14:15], s[14:15], 24
	s_delay_alu instid0(VALU_DEP_2) | instskip(NEXT) | instid1(VALU_DEP_2)
	v_add_nc_u32_e32 v3, v2, v3
	v_sub_nc_u32_e32 v7, v1, v7
	s_delay_alu instid0(VALU_DEP_2) | instskip(SKIP_1) | instid1(VALU_DEP_2)
	v_lshrrev_b32_e32 v1, s45, v3
	s_wait_kmcnt 0x0
	v_mad_u32 v4, v7, s40, v4
	s_delay_alu instid0(VALU_DEP_2) | instskip(SKIP_2) | instid1(VALU_DEP_3)
	v_mul_lo_u32 v3, v1, s39
	v_mad_u32 v5, v7, s42, v5
	v_mad_u32 v6, v7, s41, v6
	v_sub_nc_u32_e32 v2, v2, v3
	s_delay_alu instid0(VALU_DEP_1) | instskip(NEXT) | instid1(VALU_DEP_4)
	v_mad_u32 v4, v2, s43, v4
	v_mad_u32 v5, v2, s37, v5
	s_delay_alu instid0(VALU_DEP_4)
	v_mad_u32 v6, v2, s36, v6
	s_cbranch_scc0 .LBB69_48
; %bb.49:
	s_bitcmp1_b32 s31, 0
	s_cselect_b32 s35, -1, 0
	s_delay_alu instid0(SALU_CYCLE_1)
	s_and_b32 vcc_lo, exec_lo, s35
	s_cbranch_vccnz .LBB69_53
; %bb.50:
	s_clause 0x1
	s_load_b96 s[36:38], s[14:15], 0x1c
	s_load_b96 s[40:42], s[14:15], 0xdc
	s_wait_kmcnt 0x0
	v_mul_hi_u32 v2, s37, v1
	s_delay_alu instid0(VALU_DEP_1) | instskip(NEXT) | instid1(VALU_DEP_1)
	v_add_nc_u32_e32 v2, v1, v2
	v_lshrrev_b32_e32 v2, s38, v2
	s_delay_alu instid0(VALU_DEP_1) | instskip(NEXT) | instid1(VALU_DEP_1)
	v_mul_lo_u32 v2, v2, s36
	v_sub_nc_u32_e32 v1, v1, v2
	s_delay_alu instid0(VALU_DEP_1)
	v_mad_u32 v4, v1, s40, v4
	v_mad_u32 v6, v1, s41, v6
	;; [unrolled: 1-line block ×3, first 2 shown]
	s_branch .LBB69_53
.LBB69_51:
                                        ; implicit-def: $vgpr5
                                        ; implicit-def: $vgpr6
                                        ; implicit-def: $vgpr4
	s_branch .LBB69_54
.LBB69_52:
	v_dual_mov_b32 v5, 0 :: v_dual_mov_b32 v6, 0
	v_mov_b32_e32 v4, 0
.LBB69_53:
	s_cbranch_execnz .LBB69_56
.LBB69_54:
	v_mov_b32_e32 v1, 0
	s_and_not1_b32 vcc_lo, exec_lo, s30
	s_delay_alu instid0(VALU_DEP_1) | instskip(NEXT) | instid1(VALU_DEP_1)
	v_mul_u64_e32 v[2:3], s[20:21], v[0:1]
	v_add_nc_u32_e32 v2, v0, v3
	s_delay_alu instid0(VALU_DEP_1) | instskip(NEXT) | instid1(VALU_DEP_1)
	v_lshrrev_b32_e32 v2, s6, v2
	v_mul_lo_u32 v3, v2, s4
	s_delay_alu instid0(VALU_DEP_1) | instskip(NEXT) | instid1(VALU_DEP_1)
	v_sub_nc_u32_e32 v3, v0, v3
	v_mul_lo_u32 v4, v3, s8
	v_mul_lo_u32 v5, v3, s10
	;; [unrolled: 1-line block ×3, first 2 shown]
	s_cbranch_vccnz .LBB69_56
; %bb.55:
	v_mov_b32_e32 v3, v1
	s_delay_alu instid0(VALU_DEP_1) | instskip(NEXT) | instid1(VALU_DEP_1)
	v_mul_u64_e32 v[8:9], s[24:25], v[2:3]
	v_add_nc_u32_e32 v1, v2, v9
	s_delay_alu instid0(VALU_DEP_1) | instskip(NEXT) | instid1(VALU_DEP_1)
	v_lshrrev_b32_e32 v1, s19, v1
	v_mul_lo_u32 v1, v1, s7
	s_delay_alu instid0(VALU_DEP_1) | instskip(NEXT) | instid1(VALU_DEP_1)
	v_sub_nc_u32_e32 v1, v2, v1
	v_mad_u32 v4, v1, s11, v4
	v_mad_u32 v6, v1, s22, v6
	;; [unrolled: 1-line block ×3, first 2 shown]
.LBB69_56:
	global_load_u16 v1, v6, s[2:3]
	global_load_u16 v2, v5, s[12:13]
	v_add_nc_u32_e32 v0, 0x80, v0
	s_wait_loadcnt 0x0
	v_cmp_ne_u16_e32 vcc_lo, v1, v2
	s_xor_b32 s14, s5, vcc_lo
	s_delay_alu instid0(SALU_CYCLE_1) | instskip(SKIP_3) | instid1(SALU_CYCLE_1)
	v_cndmask_b32_e64 v1, 0, 1, s14
	global_store_b8 v4, v1, s[0:1]
	s_wait_xcnt 0x0
	s_or_b32 exec_lo, exec_lo, s18
	s_mov_b32 s18, exec_lo
	v_cmpx_gt_i32_e64 s33, v0
	s_cbranch_execz .LBB69_6
.LBB69_57:
	s_and_not1_b32 vcc_lo, exec_lo, s28
	s_cbranch_vccnz .LBB69_63
; %bb.58:
	s_and_not1_b32 vcc_lo, exec_lo, s34
	s_cbranch_vccnz .LBB69_64
; %bb.59:
	v_dual_mov_b32 v4, 0 :: v_dual_mov_b32 v1, v0
	v_dual_mov_b32 v6, 0 :: v_dual_mov_b32 v5, 0
	s_add_co_i32 s35, s31, 1
	s_mov_b64 s[14:15], 0xffffffffffffffe8
	s_and_b32 s35, s35, 30
	s_add_nc_u64 s[14:15], s[16:17], s[14:15]
.LBB69_60:                              ; =>This Inner Loop Header: Depth=1
	s_clause 0x1
	s_load_b128 s[36:39], s[14:15], 0x1c
	s_load_b64 s[44:45], s[14:15], 0x2c
	s_add_co_i32 s35, s35, -2
	s_delay_alu instid0(SALU_CYCLE_1) | instskip(SKIP_2) | instid1(VALU_DEP_1)
	s_cmp_eq_u32 s35, 0
	s_wait_kmcnt 0x0
	v_mul_hi_u32 v2, s37, v1
	v_add_nc_u32_e32 v2, v1, v2
	s_delay_alu instid0(VALU_DEP_1) | instskip(NEXT) | instid1(VALU_DEP_1)
	v_lshrrev_b32_e32 v2, s38, v2
	v_mul_hi_u32 v3, s44, v2
	v_mul_lo_u32 v7, v2, s36
	s_clause 0x1
	s_load_b128 s[40:43], s[14:15], 0xdc
	s_load_b64 s[36:37], s[14:15], 0xec
	s_wait_xcnt 0x0
	s_add_nc_u64 s[14:15], s[14:15], 24
	s_delay_alu instid0(VALU_DEP_2) | instskip(NEXT) | instid1(VALU_DEP_2)
	v_add_nc_u32_e32 v3, v2, v3
	v_sub_nc_u32_e32 v7, v1, v7
	s_delay_alu instid0(VALU_DEP_2) | instskip(SKIP_1) | instid1(VALU_DEP_2)
	v_lshrrev_b32_e32 v1, s45, v3
	s_wait_kmcnt 0x0
	v_mad_u32 v4, v7, s40, v4
	s_delay_alu instid0(VALU_DEP_2) | instskip(SKIP_2) | instid1(VALU_DEP_3)
	v_mul_lo_u32 v3, v1, s39
	v_mad_u32 v5, v7, s42, v5
	v_mad_u32 v6, v7, s41, v6
	v_sub_nc_u32_e32 v2, v2, v3
	s_delay_alu instid0(VALU_DEP_1) | instskip(NEXT) | instid1(VALU_DEP_4)
	v_mad_u32 v4, v2, s43, v4
	v_mad_u32 v5, v2, s37, v5
	s_delay_alu instid0(VALU_DEP_4)
	v_mad_u32 v6, v2, s36, v6
	s_cbranch_scc0 .LBB69_60
; %bb.61:
	s_bitcmp1_b32 s31, 0
	s_cselect_b32 s35, -1, 0
	s_delay_alu instid0(SALU_CYCLE_1)
	s_and_b32 vcc_lo, exec_lo, s35
	s_cbranch_vccnz .LBB69_65
; %bb.62:
	s_clause 0x1
	s_load_b96 s[36:38], s[14:15], 0x1c
	s_load_b96 s[40:42], s[14:15], 0xdc
	s_wait_kmcnt 0x0
	v_mul_hi_u32 v2, s37, v1
	s_delay_alu instid0(VALU_DEP_1) | instskip(NEXT) | instid1(VALU_DEP_1)
	v_add_nc_u32_e32 v2, v1, v2
	v_lshrrev_b32_e32 v2, s38, v2
	s_delay_alu instid0(VALU_DEP_1) | instskip(NEXT) | instid1(VALU_DEP_1)
	v_mul_lo_u32 v2, v2, s36
	v_sub_nc_u32_e32 v1, v1, v2
	s_delay_alu instid0(VALU_DEP_1)
	v_mad_u32 v4, v1, s40, v4
	v_mad_u32 v6, v1, s41, v6
	v_mad_u32 v5, v1, s42, v5
	s_branch .LBB69_65
.LBB69_63:
                                        ; implicit-def: $vgpr5
                                        ; implicit-def: $vgpr6
                                        ; implicit-def: $vgpr4
	s_branch .LBB69_66
.LBB69_64:
	v_dual_mov_b32 v5, 0 :: v_dual_mov_b32 v6, 0
	v_mov_b32_e32 v4, 0
.LBB69_65:
	s_cbranch_execnz .LBB69_68
.LBB69_66:
	v_mov_b32_e32 v1, 0
	s_and_not1_b32 vcc_lo, exec_lo, s30
	s_delay_alu instid0(VALU_DEP_1) | instskip(NEXT) | instid1(VALU_DEP_1)
	v_mul_u64_e32 v[2:3], s[20:21], v[0:1]
	v_add_nc_u32_e32 v2, v0, v3
	s_delay_alu instid0(VALU_DEP_1) | instskip(NEXT) | instid1(VALU_DEP_1)
	v_lshrrev_b32_e32 v2, s6, v2
	v_mul_lo_u32 v3, v2, s4
	s_delay_alu instid0(VALU_DEP_1) | instskip(NEXT) | instid1(VALU_DEP_1)
	v_sub_nc_u32_e32 v3, v0, v3
	v_mul_lo_u32 v4, v3, s8
	v_mul_lo_u32 v5, v3, s10
	;; [unrolled: 1-line block ×3, first 2 shown]
	s_cbranch_vccnz .LBB69_68
; %bb.67:
	v_mov_b32_e32 v3, v1
	s_delay_alu instid0(VALU_DEP_1) | instskip(NEXT) | instid1(VALU_DEP_1)
	v_mul_u64_e32 v[8:9], s[24:25], v[2:3]
	v_add_nc_u32_e32 v1, v2, v9
	s_delay_alu instid0(VALU_DEP_1) | instskip(NEXT) | instid1(VALU_DEP_1)
	v_lshrrev_b32_e32 v1, s19, v1
	v_mul_lo_u32 v1, v1, s7
	s_delay_alu instid0(VALU_DEP_1) | instskip(NEXT) | instid1(VALU_DEP_1)
	v_sub_nc_u32_e32 v1, v2, v1
	v_mad_u32 v4, v1, s11, v4
	v_mad_u32 v6, v1, s22, v6
	;; [unrolled: 1-line block ×3, first 2 shown]
.LBB69_68:
	global_load_u16 v1, v6, s[2:3]
	global_load_u16 v2, v5, s[12:13]
	v_add_nc_u32_e32 v0, 0x80, v0
	s_wait_loadcnt 0x0
	v_cmp_ne_u16_e32 vcc_lo, v1, v2
	s_xor_b32 s14, s5, vcc_lo
	s_delay_alu instid0(SALU_CYCLE_1) | instskip(SKIP_3) | instid1(SALU_CYCLE_1)
	v_cndmask_b32_e64 v1, 0, 1, s14
	global_store_b8 v4, v1, s[0:1]
	s_wait_xcnt 0x0
	s_or_b32 exec_lo, exec_lo, s18
	s_mov_b32 s18, exec_lo
	v_cmpx_gt_i32_e64 s33, v0
	s_cbranch_execz .LBB69_7
.LBB69_69:
	s_and_not1_b32 vcc_lo, exec_lo, s28
	s_cbranch_vccnz .LBB69_75
; %bb.70:
	s_and_not1_b32 vcc_lo, exec_lo, s34
	s_cbranch_vccnz .LBB69_76
; %bb.71:
	v_dual_mov_b32 v4, 0 :: v_dual_mov_b32 v1, v0
	v_dual_mov_b32 v6, 0 :: v_dual_mov_b32 v5, 0
	s_add_co_i32 s35, s31, 1
	s_mov_b64 s[14:15], 0xffffffffffffffe8
	s_and_b32 s35, s35, 30
	s_add_nc_u64 s[14:15], s[16:17], s[14:15]
.LBB69_72:                              ; =>This Inner Loop Header: Depth=1
	s_clause 0x1
	s_load_b128 s[36:39], s[14:15], 0x1c
	s_load_b64 s[44:45], s[14:15], 0x2c
	s_add_co_i32 s35, s35, -2
	s_delay_alu instid0(SALU_CYCLE_1) | instskip(SKIP_2) | instid1(VALU_DEP_1)
	s_cmp_eq_u32 s35, 0
	s_wait_kmcnt 0x0
	v_mul_hi_u32 v2, s37, v1
	v_add_nc_u32_e32 v2, v1, v2
	s_delay_alu instid0(VALU_DEP_1) | instskip(NEXT) | instid1(VALU_DEP_1)
	v_lshrrev_b32_e32 v2, s38, v2
	v_mul_hi_u32 v3, s44, v2
	v_mul_lo_u32 v7, v2, s36
	s_clause 0x1
	s_load_b128 s[40:43], s[14:15], 0xdc
	s_load_b64 s[36:37], s[14:15], 0xec
	s_wait_xcnt 0x0
	s_add_nc_u64 s[14:15], s[14:15], 24
	s_delay_alu instid0(VALU_DEP_2) | instskip(NEXT) | instid1(VALU_DEP_2)
	v_add_nc_u32_e32 v3, v2, v3
	v_sub_nc_u32_e32 v7, v1, v7
	s_delay_alu instid0(VALU_DEP_2) | instskip(SKIP_1) | instid1(VALU_DEP_2)
	v_lshrrev_b32_e32 v1, s45, v3
	s_wait_kmcnt 0x0
	v_mad_u32 v4, v7, s40, v4
	s_delay_alu instid0(VALU_DEP_2) | instskip(SKIP_2) | instid1(VALU_DEP_3)
	v_mul_lo_u32 v3, v1, s39
	v_mad_u32 v5, v7, s42, v5
	v_mad_u32 v6, v7, s41, v6
	v_sub_nc_u32_e32 v2, v2, v3
	s_delay_alu instid0(VALU_DEP_1) | instskip(NEXT) | instid1(VALU_DEP_4)
	v_mad_u32 v4, v2, s43, v4
	v_mad_u32 v5, v2, s37, v5
	s_delay_alu instid0(VALU_DEP_4)
	v_mad_u32 v6, v2, s36, v6
	s_cbranch_scc0 .LBB69_72
; %bb.73:
	s_bitcmp1_b32 s31, 0
	s_cselect_b32 s35, -1, 0
	s_delay_alu instid0(SALU_CYCLE_1)
	s_and_b32 vcc_lo, exec_lo, s35
	s_cbranch_vccnz .LBB69_77
; %bb.74:
	s_clause 0x1
	s_load_b96 s[36:38], s[14:15], 0x1c
	s_load_b96 s[40:42], s[14:15], 0xdc
	s_wait_kmcnt 0x0
	v_mul_hi_u32 v2, s37, v1
	s_delay_alu instid0(VALU_DEP_1) | instskip(NEXT) | instid1(VALU_DEP_1)
	v_add_nc_u32_e32 v2, v1, v2
	v_lshrrev_b32_e32 v2, s38, v2
	s_delay_alu instid0(VALU_DEP_1) | instskip(NEXT) | instid1(VALU_DEP_1)
	v_mul_lo_u32 v2, v2, s36
	v_sub_nc_u32_e32 v1, v1, v2
	s_delay_alu instid0(VALU_DEP_1)
	v_mad_u32 v4, v1, s40, v4
	v_mad_u32 v6, v1, s41, v6
	;; [unrolled: 1-line block ×3, first 2 shown]
	s_branch .LBB69_77
.LBB69_75:
                                        ; implicit-def: $vgpr5
                                        ; implicit-def: $vgpr6
                                        ; implicit-def: $vgpr4
	s_branch .LBB69_78
.LBB69_76:
	v_dual_mov_b32 v5, 0 :: v_dual_mov_b32 v6, 0
	v_mov_b32_e32 v4, 0
.LBB69_77:
	s_cbranch_execnz .LBB69_80
.LBB69_78:
	v_mov_b32_e32 v1, 0
	s_and_not1_b32 vcc_lo, exec_lo, s30
	s_delay_alu instid0(VALU_DEP_1) | instskip(NEXT) | instid1(VALU_DEP_1)
	v_mul_u64_e32 v[2:3], s[20:21], v[0:1]
	v_add_nc_u32_e32 v2, v0, v3
	s_delay_alu instid0(VALU_DEP_1) | instskip(NEXT) | instid1(VALU_DEP_1)
	v_lshrrev_b32_e32 v2, s6, v2
	v_mul_lo_u32 v3, v2, s4
	s_delay_alu instid0(VALU_DEP_1) | instskip(NEXT) | instid1(VALU_DEP_1)
	v_sub_nc_u32_e32 v3, v0, v3
	v_mul_lo_u32 v4, v3, s8
	v_mul_lo_u32 v5, v3, s10
	;; [unrolled: 1-line block ×3, first 2 shown]
	s_cbranch_vccnz .LBB69_80
; %bb.79:
	v_mov_b32_e32 v3, v1
	s_delay_alu instid0(VALU_DEP_1) | instskip(NEXT) | instid1(VALU_DEP_1)
	v_mul_u64_e32 v[8:9], s[24:25], v[2:3]
	v_add_nc_u32_e32 v1, v2, v9
	s_delay_alu instid0(VALU_DEP_1) | instskip(NEXT) | instid1(VALU_DEP_1)
	v_lshrrev_b32_e32 v1, s19, v1
	v_mul_lo_u32 v1, v1, s7
	s_delay_alu instid0(VALU_DEP_1) | instskip(NEXT) | instid1(VALU_DEP_1)
	v_sub_nc_u32_e32 v1, v2, v1
	v_mad_u32 v4, v1, s11, v4
	v_mad_u32 v6, v1, s22, v6
	;; [unrolled: 1-line block ×3, first 2 shown]
.LBB69_80:
	global_load_u16 v1, v6, s[2:3]
	global_load_u16 v2, v5, s[12:13]
	v_add_nc_u32_e32 v0, 0x80, v0
	s_wait_loadcnt 0x0
	v_cmp_ne_u16_e32 vcc_lo, v1, v2
	s_xor_b32 s14, s5, vcc_lo
	s_delay_alu instid0(SALU_CYCLE_1) | instskip(SKIP_3) | instid1(SALU_CYCLE_1)
	v_cndmask_b32_e64 v1, 0, 1, s14
	global_store_b8 v4, v1, s[0:1]
	s_wait_xcnt 0x0
	s_or_b32 exec_lo, exec_lo, s18
	s_mov_b32 s18, exec_lo
	v_cmpx_gt_i32_e64 s33, v0
	s_cbranch_execz .LBB69_8
.LBB69_81:
	s_and_not1_b32 vcc_lo, exec_lo, s28
	s_cbranch_vccnz .LBB69_87
; %bb.82:
	s_and_not1_b32 vcc_lo, exec_lo, s34
	s_cbranch_vccnz .LBB69_88
; %bb.83:
	v_dual_mov_b32 v4, 0 :: v_dual_mov_b32 v1, v0
	v_dual_mov_b32 v6, 0 :: v_dual_mov_b32 v5, 0
	s_add_co_i32 s35, s31, 1
	s_mov_b64 s[14:15], 0xffffffffffffffe8
	s_and_b32 s35, s35, 30
	s_add_nc_u64 s[14:15], s[16:17], s[14:15]
.LBB69_84:                              ; =>This Inner Loop Header: Depth=1
	s_clause 0x1
	s_load_b128 s[36:39], s[14:15], 0x1c
	s_load_b64 s[44:45], s[14:15], 0x2c
	s_add_co_i32 s35, s35, -2
	s_delay_alu instid0(SALU_CYCLE_1) | instskip(SKIP_2) | instid1(VALU_DEP_1)
	s_cmp_eq_u32 s35, 0
	s_wait_kmcnt 0x0
	v_mul_hi_u32 v2, s37, v1
	v_add_nc_u32_e32 v2, v1, v2
	s_delay_alu instid0(VALU_DEP_1) | instskip(NEXT) | instid1(VALU_DEP_1)
	v_lshrrev_b32_e32 v2, s38, v2
	v_mul_hi_u32 v3, s44, v2
	v_mul_lo_u32 v7, v2, s36
	s_clause 0x1
	s_load_b128 s[40:43], s[14:15], 0xdc
	s_load_b64 s[36:37], s[14:15], 0xec
	s_wait_xcnt 0x0
	s_add_nc_u64 s[14:15], s[14:15], 24
	s_delay_alu instid0(VALU_DEP_2) | instskip(NEXT) | instid1(VALU_DEP_2)
	v_add_nc_u32_e32 v3, v2, v3
	v_sub_nc_u32_e32 v7, v1, v7
	s_delay_alu instid0(VALU_DEP_2) | instskip(SKIP_1) | instid1(VALU_DEP_2)
	v_lshrrev_b32_e32 v1, s45, v3
	s_wait_kmcnt 0x0
	v_mad_u32 v4, v7, s40, v4
	s_delay_alu instid0(VALU_DEP_2) | instskip(SKIP_2) | instid1(VALU_DEP_3)
	v_mul_lo_u32 v3, v1, s39
	v_mad_u32 v5, v7, s42, v5
	v_mad_u32 v6, v7, s41, v6
	v_sub_nc_u32_e32 v2, v2, v3
	s_delay_alu instid0(VALU_DEP_1) | instskip(NEXT) | instid1(VALU_DEP_4)
	v_mad_u32 v4, v2, s43, v4
	v_mad_u32 v5, v2, s37, v5
	s_delay_alu instid0(VALU_DEP_4)
	v_mad_u32 v6, v2, s36, v6
	s_cbranch_scc0 .LBB69_84
; %bb.85:
	s_bitcmp1_b32 s31, 0
	s_cselect_b32 s35, -1, 0
	s_delay_alu instid0(SALU_CYCLE_1)
	s_and_b32 vcc_lo, exec_lo, s35
	s_cbranch_vccnz .LBB69_89
; %bb.86:
	s_clause 0x1
	s_load_b96 s[36:38], s[14:15], 0x1c
	s_load_b96 s[40:42], s[14:15], 0xdc
	s_wait_kmcnt 0x0
	v_mul_hi_u32 v2, s37, v1
	s_delay_alu instid0(VALU_DEP_1) | instskip(NEXT) | instid1(VALU_DEP_1)
	v_add_nc_u32_e32 v2, v1, v2
	v_lshrrev_b32_e32 v2, s38, v2
	s_delay_alu instid0(VALU_DEP_1) | instskip(NEXT) | instid1(VALU_DEP_1)
	v_mul_lo_u32 v2, v2, s36
	v_sub_nc_u32_e32 v1, v1, v2
	s_delay_alu instid0(VALU_DEP_1)
	v_mad_u32 v4, v1, s40, v4
	v_mad_u32 v6, v1, s41, v6
	;; [unrolled: 1-line block ×3, first 2 shown]
	s_branch .LBB69_89
.LBB69_87:
                                        ; implicit-def: $vgpr5
                                        ; implicit-def: $vgpr6
                                        ; implicit-def: $vgpr4
	s_branch .LBB69_90
.LBB69_88:
	v_dual_mov_b32 v5, 0 :: v_dual_mov_b32 v6, 0
	v_mov_b32_e32 v4, 0
.LBB69_89:
	s_cbranch_execnz .LBB69_92
.LBB69_90:
	v_mov_b32_e32 v1, 0
	s_and_not1_b32 vcc_lo, exec_lo, s30
	s_delay_alu instid0(VALU_DEP_1) | instskip(NEXT) | instid1(VALU_DEP_1)
	v_mul_u64_e32 v[2:3], s[20:21], v[0:1]
	v_add_nc_u32_e32 v2, v0, v3
	s_delay_alu instid0(VALU_DEP_1) | instskip(NEXT) | instid1(VALU_DEP_1)
	v_lshrrev_b32_e32 v2, s6, v2
	v_mul_lo_u32 v3, v2, s4
	s_delay_alu instid0(VALU_DEP_1) | instskip(NEXT) | instid1(VALU_DEP_1)
	v_sub_nc_u32_e32 v3, v0, v3
	v_mul_lo_u32 v4, v3, s8
	v_mul_lo_u32 v5, v3, s10
	;; [unrolled: 1-line block ×3, first 2 shown]
	s_cbranch_vccnz .LBB69_92
; %bb.91:
	v_mov_b32_e32 v3, v1
	s_delay_alu instid0(VALU_DEP_1) | instskip(NEXT) | instid1(VALU_DEP_1)
	v_mul_u64_e32 v[8:9], s[24:25], v[2:3]
	v_add_nc_u32_e32 v1, v2, v9
	s_delay_alu instid0(VALU_DEP_1) | instskip(NEXT) | instid1(VALU_DEP_1)
	v_lshrrev_b32_e32 v1, s19, v1
	v_mul_lo_u32 v1, v1, s7
	s_delay_alu instid0(VALU_DEP_1) | instskip(NEXT) | instid1(VALU_DEP_1)
	v_sub_nc_u32_e32 v1, v2, v1
	v_mad_u32 v4, v1, s11, v4
	v_mad_u32 v6, v1, s22, v6
	;; [unrolled: 1-line block ×3, first 2 shown]
.LBB69_92:
	global_load_u16 v1, v6, s[2:3]
	global_load_u16 v2, v5, s[12:13]
	v_add_nc_u32_e32 v0, 0x80, v0
	s_wait_loadcnt 0x0
	v_cmp_ne_u16_e32 vcc_lo, v1, v2
	s_xor_b32 s14, s5, vcc_lo
	s_delay_alu instid0(SALU_CYCLE_1) | instskip(SKIP_3) | instid1(SALU_CYCLE_1)
	v_cndmask_b32_e64 v1, 0, 1, s14
	global_store_b8 v4, v1, s[0:1]
	s_wait_xcnt 0x0
	s_or_b32 exec_lo, exec_lo, s18
	s_mov_b32 s18, exec_lo
	v_cmpx_gt_i32_e64 s33, v0
	s_cbranch_execz .LBB69_105
.LBB69_93:
	s_and_not1_b32 vcc_lo, exec_lo, s28
	s_cbranch_vccnz .LBB69_99
; %bb.94:
	s_and_not1_b32 vcc_lo, exec_lo, s34
	s_cbranch_vccnz .LBB69_100
; %bb.95:
	v_dual_mov_b32 v4, 0 :: v_dual_mov_b32 v1, v0
	v_dual_mov_b32 v6, 0 :: v_dual_mov_b32 v5, 0
	s_add_co_i32 s33, s31, 1
	s_mov_b64 s[14:15], 0xffffffffffffffe8
	s_and_b32 s33, s33, 30
	s_add_nc_u64 s[14:15], s[16:17], s[14:15]
.LBB69_96:                              ; =>This Inner Loop Header: Depth=1
	s_clause 0x1
	s_load_b128 s[36:39], s[14:15], 0x1c
	s_load_b64 s[34:35], s[14:15], 0x2c
	s_add_co_i32 s33, s33, -2
	s_delay_alu instid0(SALU_CYCLE_1) | instskip(SKIP_2) | instid1(VALU_DEP_1)
	s_cmp_eq_u32 s33, 0
	s_wait_kmcnt 0x0
	v_mul_hi_u32 v2, s37, v1
	v_add_nc_u32_e32 v2, v1, v2
	s_delay_alu instid0(VALU_DEP_1) | instskip(NEXT) | instid1(VALU_DEP_1)
	v_lshrrev_b32_e32 v2, s38, v2
	v_mul_hi_u32 v3, s34, v2
	v_mul_lo_u32 v7, v2, s36
	s_clause 0x1
	s_load_b128 s[40:43], s[14:15], 0xdc
	s_load_b64 s[36:37], s[14:15], 0xec
	s_wait_xcnt 0x0
	s_add_nc_u64 s[14:15], s[14:15], 24
	s_delay_alu instid0(VALU_DEP_2) | instskip(NEXT) | instid1(VALU_DEP_2)
	v_add_nc_u32_e32 v3, v2, v3
	v_sub_nc_u32_e32 v7, v1, v7
	s_delay_alu instid0(VALU_DEP_2) | instskip(SKIP_1) | instid1(VALU_DEP_2)
	v_lshrrev_b32_e32 v1, s35, v3
	s_wait_kmcnt 0x0
	v_mad_u32 v4, v7, s40, v4
	s_delay_alu instid0(VALU_DEP_2) | instskip(SKIP_2) | instid1(VALU_DEP_3)
	v_mul_lo_u32 v3, v1, s39
	v_mad_u32 v5, v7, s42, v5
	v_mad_u32 v6, v7, s41, v6
	v_sub_nc_u32_e32 v2, v2, v3
	s_delay_alu instid0(VALU_DEP_1) | instskip(NEXT) | instid1(VALU_DEP_4)
	v_mad_u32 v4, v2, s43, v4
	v_mad_u32 v5, v2, s37, v5
	s_delay_alu instid0(VALU_DEP_4)
	v_mad_u32 v6, v2, s36, v6
	s_cbranch_scc0 .LBB69_96
; %bb.97:
	s_bitcmp1_b32 s31, 0
	s_cselect_b32 s31, -1, 0
	s_delay_alu instid0(SALU_CYCLE_1)
	s_and_b32 vcc_lo, exec_lo, s31
	s_cbranch_vccnz .LBB69_101
; %bb.98:
	s_clause 0x1
	s_load_b96 s[36:38], s[14:15], 0x1c
	s_load_b96 s[40:42], s[14:15], 0xdc
	s_wait_kmcnt 0x0
	v_mul_hi_u32 v2, s37, v1
	s_delay_alu instid0(VALU_DEP_1) | instskip(NEXT) | instid1(VALU_DEP_1)
	v_add_nc_u32_e32 v2, v1, v2
	v_lshrrev_b32_e32 v2, s38, v2
	s_delay_alu instid0(VALU_DEP_1) | instskip(NEXT) | instid1(VALU_DEP_1)
	v_mul_lo_u32 v2, v2, s36
	v_sub_nc_u32_e32 v1, v1, v2
	s_delay_alu instid0(VALU_DEP_1)
	v_mad_u32 v4, v1, s40, v4
	v_mad_u32 v6, v1, s41, v6
	;; [unrolled: 1-line block ×3, first 2 shown]
	s_branch .LBB69_101
.LBB69_99:
                                        ; implicit-def: $vgpr5
                                        ; implicit-def: $vgpr6
                                        ; implicit-def: $vgpr4
	s_branch .LBB69_102
.LBB69_100:
	v_dual_mov_b32 v5, 0 :: v_dual_mov_b32 v6, 0
	v_mov_b32_e32 v4, 0
.LBB69_101:
	s_cbranch_execnz .LBB69_104
.LBB69_102:
	v_mov_b32_e32 v1, 0
	s_and_not1_b32 vcc_lo, exec_lo, s30
	s_delay_alu instid0(VALU_DEP_1) | instskip(NEXT) | instid1(VALU_DEP_1)
	v_mul_u64_e32 v[2:3], s[20:21], v[0:1]
	v_add_nc_u32_e32 v2, v0, v3
	s_delay_alu instid0(VALU_DEP_1) | instskip(NEXT) | instid1(VALU_DEP_1)
	v_lshrrev_b32_e32 v2, s6, v2
	v_mul_lo_u32 v3, v2, s4
	s_delay_alu instid0(VALU_DEP_1) | instskip(NEXT) | instid1(VALU_DEP_1)
	v_sub_nc_u32_e32 v0, v0, v3
	v_mul_lo_u32 v4, v0, s8
	v_mul_lo_u32 v5, v0, s10
	;; [unrolled: 1-line block ×3, first 2 shown]
	s_cbranch_vccnz .LBB69_104
; %bb.103:
	v_mov_b32_e32 v3, v1
	s_delay_alu instid0(VALU_DEP_1) | instskip(NEXT) | instid1(VALU_DEP_1)
	v_mul_u64_e32 v[0:1], s[24:25], v[2:3]
	v_add_nc_u32_e32 v0, v2, v1
	s_delay_alu instid0(VALU_DEP_1) | instskip(NEXT) | instid1(VALU_DEP_1)
	v_lshrrev_b32_e32 v0, s19, v0
	v_mul_lo_u32 v0, v0, s7
	s_delay_alu instid0(VALU_DEP_1) | instskip(NEXT) | instid1(VALU_DEP_1)
	v_sub_nc_u32_e32 v0, v2, v0
	v_mad_u32 v4, v0, s11, v4
	v_mad_u32 v6, v0, s22, v6
	;; [unrolled: 1-line block ×3, first 2 shown]
.LBB69_104:
	global_load_u16 v0, v6, s[2:3]
	global_load_u16 v1, v5, s[12:13]
	s_wait_loadcnt 0x0
	v_cmp_ne_u16_e32 vcc_lo, v0, v1
	s_wait_xcnt 0x1
	s_xor_b32 s2, s5, vcc_lo
	s_delay_alu instid0(SALU_CYCLE_1)
	v_cndmask_b32_e64 v0, 0, 1, s2
	global_store_b8 v4, v0, s[0:1]
.LBB69_105:
	s_wait_xcnt 0x0
	s_or_b32 exec_lo, exec_lo, s18
                                        ; implicit-def: $vgpr4
                                        ; implicit-def: $vgpr0
.LBB69_106:
	s_and_not1_saveexec_b32 s0, s29
	s_cbranch_execz .LBB69_113
; %bb.107:
	v_cndmask_b32_e64 v8, 0, 1, s28
	s_and_not1_b32 vcc_lo, exec_lo, s28
	s_cbranch_vccnz .LBB69_114
; %bb.108:
	s_cmp_lg_u32 s26, 0
	s_mov_b32 s2, 0
	s_cbranch_scc0 .LBB69_118
; %bb.109:
	s_min_u32 s3, s27, 15
	v_dual_mov_b32 v1, 0 :: v_dual_mov_b32 v5, v0
	v_dual_mov_b32 v3, 0 :: v_dual_mov_b32 v2, 0
	s_add_co_i32 s4, s3, 1
	s_mov_b64 s[0:1], 0xffffffffffffffe8
	s_and_b32 s4, s4, 30
	s_add_nc_u64 s[0:1], s[16:17], s[0:1]
.LBB69_110:                             ; =>This Inner Loop Header: Depth=1
	s_clause 0x1
	s_load_b128 s[8:11], s[0:1], 0x1c
	s_load_b64 s[6:7], s[0:1], 0x2c
	s_add_co_i32 s4, s4, -2
	s_delay_alu instid0(SALU_CYCLE_1) | instskip(SKIP_2) | instid1(VALU_DEP_1)
	s_cmp_lg_u32 s4, 0
	s_wait_kmcnt 0x0
	v_mul_hi_u32 v6, s9, v5
	v_add_nc_u32_e32 v6, v5, v6
	s_delay_alu instid0(VALU_DEP_1) | instskip(NEXT) | instid1(VALU_DEP_1)
	v_lshrrev_b32_e32 v6, s10, v6
	v_mul_hi_u32 v7, s6, v6
	v_mul_lo_u32 v9, v6, s8
	s_clause 0x1
	s_load_b128 s[12:15], s[0:1], 0xdc
	s_load_b64 s[8:9], s[0:1], 0xec
	s_wait_xcnt 0x0
	s_add_nc_u64 s[0:1], s[0:1], 24
	s_delay_alu instid0(VALU_DEP_1) | instskip(NEXT) | instid1(VALU_DEP_1)
	v_dual_add_nc_u32 v7, v6, v7 :: v_dual_sub_nc_u32 v9, v5, v9
	v_lshrrev_b32_e32 v5, s7, v7
	s_wait_kmcnt 0x0
	s_delay_alu instid0(VALU_DEP_2) | instskip(NEXT) | instid1(VALU_DEP_2)
	v_mad_u32 v1, v9, s12, v1
	v_mul_lo_u32 v7, v5, s11
	v_mad_u32 v2, v9, s14, v2
	v_mad_u32 v3, v9, s13, v3
	s_delay_alu instid0(VALU_DEP_3) | instskip(NEXT) | instid1(VALU_DEP_1)
	v_sub_nc_u32_e32 v6, v6, v7
	v_mad_u32 v1, v6, s15, v1
	s_delay_alu instid0(VALU_DEP_4) | instskip(NEXT) | instid1(VALU_DEP_4)
	v_mad_u32 v2, v6, s9, v2
	v_mad_u32 v3, v6, s8, v3
	s_cbranch_scc1 .LBB69_110
; %bb.111:
	s_bitcmp1_b32 s3, 0
	s_cselect_b32 s3, -1, 0
	s_delay_alu instid0(SALU_CYCLE_1)
	s_and_b32 vcc_lo, exec_lo, s3
	s_cbranch_vccnz .LBB69_115
; %bb.112:
	s_clause 0x1
	s_load_b96 s[4:6], s[0:1], 0x1c
	s_load_b96 s[8:10], s[0:1], 0xdc
	s_wait_kmcnt 0x0
	v_mul_hi_u32 v6, s5, v5
	s_delay_alu instid0(VALU_DEP_1) | instskip(NEXT) | instid1(VALU_DEP_1)
	v_add_nc_u32_e32 v6, v5, v6
	v_lshrrev_b32_e32 v6, s6, v6
	s_delay_alu instid0(VALU_DEP_1) | instskip(NEXT) | instid1(VALU_DEP_1)
	v_mul_lo_u32 v6, v6, s4
	v_sub_nc_u32_e32 v5, v5, v6
	s_delay_alu instid0(VALU_DEP_1)
	v_mad_u32 v1, v5, s8, v1
	v_mad_u32 v3, v5, s9, v3
	;; [unrolled: 1-line block ×3, first 2 shown]
	s_and_not1_b32 vcc_lo, exec_lo, s2
	s_cbranch_vccz .LBB69_116
	s_branch .LBB69_119
.LBB69_113:
	s_endpgm
.LBB69_114:
	s_mov_b32 s2, -1
                                        ; implicit-def: $vgpr2
                                        ; implicit-def: $vgpr3
                                        ; implicit-def: $vgpr1
.LBB69_115:
	s_delay_alu instid0(SALU_CYCLE_1)
	s_and_not1_b32 vcc_lo, exec_lo, s2
	s_cbranch_vccnz .LBB69_119
.LBB69_116:
	s_clause 0x1
	s_load_b96 s[0:2], s[16:17], 0x4
	s_load_b96 s[4:6], s[16:17], 0xc4
	s_cmp_lt_u32 s26, 2
	s_wait_kmcnt 0x0
	v_mul_hi_u32 v1, s1, v0
	s_delay_alu instid0(VALU_DEP_1) | instskip(NEXT) | instid1(VALU_DEP_1)
	v_add_nc_u32_e32 v1, v0, v1
	v_lshrrev_b32_e32 v5, s2, v1
	s_delay_alu instid0(VALU_DEP_1) | instskip(NEXT) | instid1(VALU_DEP_1)
	v_mul_lo_u32 v1, v5, s0
	v_sub_nc_u32_e32 v3, v0, v1
	s_delay_alu instid0(VALU_DEP_1)
	v_mul_lo_u32 v1, v3, s4
	v_mul_lo_u32 v2, v3, s6
	;; [unrolled: 1-line block ×3, first 2 shown]
	s_cbranch_scc1 .LBB69_119
; %bb.117:
	s_clause 0x1
	s_load_b96 s[0:2], s[16:17], 0x10
	s_load_b96 s[4:6], s[16:17], 0xd0
	s_wait_kmcnt 0x0
	v_mul_hi_u32 v6, s1, v5
	s_delay_alu instid0(VALU_DEP_1) | instskip(NEXT) | instid1(VALU_DEP_1)
	v_add_nc_u32_e32 v6, v5, v6
	v_lshrrev_b32_e32 v6, s2, v6
	s_delay_alu instid0(VALU_DEP_1) | instskip(NEXT) | instid1(VALU_DEP_1)
	v_mul_lo_u32 v6, v6, s0
	v_sub_nc_u32_e32 v5, v5, v6
	s_delay_alu instid0(VALU_DEP_1)
	v_mad_u32 v1, v5, s4, v1
	v_mad_u32 v3, v5, s5, v3
	;; [unrolled: 1-line block ×3, first 2 shown]
	s_branch .LBB69_119
.LBB69_118:
	v_dual_mov_b32 v2, 0 :: v_dual_mov_b32 v3, 0
	v_mov_b32_e32 v1, 0
	s_and_not1_b32 vcc_lo, exec_lo, s2
	s_cbranch_vccz .LBB69_116
.LBB69_119:
	v_cmp_ne_u32_e32 vcc_lo, 1, v8
	v_add_nc_u32_e32 v9, 0x80, v0
	s_cbranch_vccnz .LBB69_125
; %bb.120:
	s_cmp_lg_u32 s26, 0
	s_mov_b32 s2, 0
	s_cbranch_scc0 .LBB69_129
; %bb.121:
	s_min_u32 s3, s27, 15
	v_dual_mov_b32 v5, 0 :: v_dual_mov_b32 v10, v9
	v_dual_mov_b32 v6, 0 :: v_dual_mov_b32 v7, 0
	s_add_co_i32 s4, s3, 1
	s_mov_b64 s[0:1], 0xffffffffffffffe8
	s_and_b32 s4, s4, 30
	s_add_nc_u64 s[0:1], s[16:17], s[0:1]
.LBB69_122:                             ; =>This Inner Loop Header: Depth=1
	s_clause 0x1
	s_load_b128 s[8:11], s[0:1], 0x1c
	s_load_b64 s[6:7], s[0:1], 0x2c
	s_add_co_i32 s4, s4, -2
	s_delay_alu instid0(SALU_CYCLE_1) | instskip(SKIP_2) | instid1(VALU_DEP_1)
	s_cmp_lg_u32 s4, 0
	s_wait_kmcnt 0x0
	v_mul_hi_u32 v11, s9, v10
	v_add_nc_u32_e32 v11, v10, v11
	s_delay_alu instid0(VALU_DEP_1) | instskip(NEXT) | instid1(VALU_DEP_1)
	v_lshrrev_b32_e32 v11, s10, v11
	v_mul_hi_u32 v12, s6, v11
	v_mul_lo_u32 v13, v11, s8
	s_clause 0x1
	s_load_b128 s[12:15], s[0:1], 0xdc
	s_load_b64 s[8:9], s[0:1], 0xec
	s_wait_xcnt 0x0
	s_add_nc_u64 s[0:1], s[0:1], 24
	s_delay_alu instid0(VALU_DEP_1) | instskip(NEXT) | instid1(VALU_DEP_1)
	v_dual_add_nc_u32 v12, v11, v12 :: v_dual_sub_nc_u32 v13, v10, v13
	v_lshrrev_b32_e32 v10, s7, v12
	s_wait_kmcnt 0x0
	s_delay_alu instid0(VALU_DEP_2) | instskip(NEXT) | instid1(VALU_DEP_2)
	v_mad_u32 v5, v13, s12, v5
	v_mul_lo_u32 v12, v10, s11
	v_mad_u32 v7, v13, s14, v7
	v_mad_u32 v6, v13, s13, v6
	s_delay_alu instid0(VALU_DEP_3) | instskip(NEXT) | instid1(VALU_DEP_1)
	v_sub_nc_u32_e32 v11, v11, v12
	v_mad_u32 v5, v11, s15, v5
	s_delay_alu instid0(VALU_DEP_4) | instskip(NEXT) | instid1(VALU_DEP_4)
	v_mad_u32 v7, v11, s9, v7
	v_mad_u32 v6, v11, s8, v6
	s_cbranch_scc1 .LBB69_122
; %bb.123:
	s_bitcmp1_b32 s3, 0
	s_cselect_b32 s3, -1, 0
	s_delay_alu instid0(SALU_CYCLE_1)
	s_and_b32 vcc_lo, exec_lo, s3
	s_cbranch_vccnz .LBB69_126
; %bb.124:
	s_clause 0x1
	s_load_b96 s[4:6], s[0:1], 0x1c
	s_load_b96 s[8:10], s[0:1], 0xdc
	s_wait_kmcnt 0x0
	v_mul_hi_u32 v11, s5, v10
	s_delay_alu instid0(VALU_DEP_1) | instskip(NEXT) | instid1(VALU_DEP_1)
	v_add_nc_u32_e32 v11, v10, v11
	v_lshrrev_b32_e32 v11, s6, v11
	s_delay_alu instid0(VALU_DEP_1) | instskip(NEXT) | instid1(VALU_DEP_1)
	v_mul_lo_u32 v11, v11, s4
	v_sub_nc_u32_e32 v10, v10, v11
	s_delay_alu instid0(VALU_DEP_1)
	v_mad_u32 v5, v10, s8, v5
	v_mad_u32 v6, v10, s9, v6
	;; [unrolled: 1-line block ×3, first 2 shown]
	s_and_not1_b32 vcc_lo, exec_lo, s2
	s_cbranch_vccz .LBB69_127
	s_branch .LBB69_130
.LBB69_125:
	s_mov_b32 s2, -1
                                        ; implicit-def: $vgpr7
                                        ; implicit-def: $vgpr6
                                        ; implicit-def: $vgpr5
.LBB69_126:
	s_delay_alu instid0(SALU_CYCLE_1)
	s_and_not1_b32 vcc_lo, exec_lo, s2
	s_cbranch_vccnz .LBB69_130
.LBB69_127:
	s_clause 0x1
	s_load_b96 s[0:2], s[16:17], 0x4
	s_load_b96 s[4:6], s[16:17], 0xc4
	s_cmp_lt_u32 s26, 2
	s_wait_kmcnt 0x0
	v_mul_hi_u32 v5, s1, v9
	s_delay_alu instid0(VALU_DEP_1) | instskip(NEXT) | instid1(VALU_DEP_1)
	v_add_nc_u32_e32 v5, v9, v5
	v_lshrrev_b32_e32 v10, s2, v5
	s_delay_alu instid0(VALU_DEP_1) | instskip(NEXT) | instid1(VALU_DEP_1)
	v_mul_lo_u32 v5, v10, s0
	v_sub_nc_u32_e32 v6, v9, v5
	s_delay_alu instid0(VALU_DEP_1)
	v_mul_lo_u32 v5, v6, s4
	v_mul_lo_u32 v7, v6, s6
	;; [unrolled: 1-line block ×3, first 2 shown]
	s_cbranch_scc1 .LBB69_130
; %bb.128:
	s_clause 0x1
	s_load_b96 s[0:2], s[16:17], 0x10
	s_load_b96 s[4:6], s[16:17], 0xd0
	s_wait_kmcnt 0x0
	v_mul_hi_u32 v9, s1, v10
	s_delay_alu instid0(VALU_DEP_1) | instskip(NEXT) | instid1(VALU_DEP_1)
	v_add_nc_u32_e32 v9, v10, v9
	v_lshrrev_b32_e32 v9, s2, v9
	s_delay_alu instid0(VALU_DEP_1) | instskip(NEXT) | instid1(VALU_DEP_1)
	v_mul_lo_u32 v9, v9, s0
	v_sub_nc_u32_e32 v9, v10, v9
	s_delay_alu instid0(VALU_DEP_1)
	v_mad_u32 v5, v9, s4, v5
	v_mad_u32 v6, v9, s5, v6
	;; [unrolled: 1-line block ×3, first 2 shown]
	s_branch .LBB69_130
.LBB69_129:
	v_dual_mov_b32 v7, 0 :: v_dual_mov_b32 v6, 0
	v_mov_b32_e32 v5, 0
	s_and_not1_b32 vcc_lo, exec_lo, s2
	s_cbranch_vccz .LBB69_127
.LBB69_130:
	v_cmp_ne_u32_e32 vcc_lo, 1, v8
	v_add_nc_u32_e32 v12, 0x100, v0
	s_cbranch_vccnz .LBB69_136
; %bb.131:
	s_cmp_lg_u32 s26, 0
	s_mov_b32 s2, 0
	s_cbranch_scc0 .LBB69_140
; %bb.132:
	s_min_u32 s3, s27, 15
	v_dual_mov_b32 v9, 0 :: v_dual_mov_b32 v13, v12
	v_dual_mov_b32 v11, 0 :: v_dual_mov_b32 v10, 0
	s_add_co_i32 s4, s3, 1
	s_mov_b64 s[0:1], 0xffffffffffffffe8
	s_and_b32 s4, s4, 30
	s_add_nc_u64 s[0:1], s[16:17], s[0:1]
.LBB69_133:                             ; =>This Inner Loop Header: Depth=1
	s_clause 0x1
	s_load_b128 s[8:11], s[0:1], 0x1c
	s_load_b64 s[6:7], s[0:1], 0x2c
	s_add_co_i32 s4, s4, -2
	s_delay_alu instid0(SALU_CYCLE_1) | instskip(SKIP_2) | instid1(VALU_DEP_1)
	s_cmp_lg_u32 s4, 0
	s_wait_kmcnt 0x0
	v_mul_hi_u32 v14, s9, v13
	v_add_nc_u32_e32 v14, v13, v14
	s_delay_alu instid0(VALU_DEP_1) | instskip(NEXT) | instid1(VALU_DEP_1)
	v_lshrrev_b32_e32 v14, s10, v14
	v_mul_hi_u32 v15, s6, v14
	v_mul_lo_u32 v16, v14, s8
	s_clause 0x1
	s_load_b128 s[12:15], s[0:1], 0xdc
	s_load_b64 s[8:9], s[0:1], 0xec
	s_wait_xcnt 0x0
	s_add_nc_u64 s[0:1], s[0:1], 24
	s_delay_alu instid0(VALU_DEP_1) | instskip(NEXT) | instid1(VALU_DEP_1)
	v_dual_add_nc_u32 v15, v14, v15 :: v_dual_sub_nc_u32 v16, v13, v16
	v_lshrrev_b32_e32 v13, s7, v15
	s_wait_kmcnt 0x0
	s_delay_alu instid0(VALU_DEP_2) | instskip(NEXT) | instid1(VALU_DEP_2)
	v_mad_u32 v9, v16, s12, v9
	v_mul_lo_u32 v15, v13, s11
	v_mad_u32 v10, v16, s14, v10
	v_mad_u32 v11, v16, s13, v11
	s_delay_alu instid0(VALU_DEP_3) | instskip(NEXT) | instid1(VALU_DEP_1)
	v_sub_nc_u32_e32 v14, v14, v15
	v_mad_u32 v9, v14, s15, v9
	s_delay_alu instid0(VALU_DEP_4) | instskip(NEXT) | instid1(VALU_DEP_4)
	v_mad_u32 v10, v14, s9, v10
	v_mad_u32 v11, v14, s8, v11
	s_cbranch_scc1 .LBB69_133
; %bb.134:
	s_bitcmp1_b32 s3, 0
	s_cselect_b32 s3, -1, 0
	s_delay_alu instid0(SALU_CYCLE_1)
	s_and_b32 vcc_lo, exec_lo, s3
	s_cbranch_vccnz .LBB69_137
; %bb.135:
	s_clause 0x1
	s_load_b96 s[4:6], s[0:1], 0x1c
	s_load_b96 s[8:10], s[0:1], 0xdc
	s_wait_kmcnt 0x0
	v_mul_hi_u32 v14, s5, v13
	s_delay_alu instid0(VALU_DEP_1) | instskip(NEXT) | instid1(VALU_DEP_1)
	v_add_nc_u32_e32 v14, v13, v14
	v_lshrrev_b32_e32 v14, s6, v14
	s_delay_alu instid0(VALU_DEP_1) | instskip(NEXT) | instid1(VALU_DEP_1)
	v_mul_lo_u32 v14, v14, s4
	v_sub_nc_u32_e32 v13, v13, v14
	s_delay_alu instid0(VALU_DEP_1)
	v_mad_u32 v9, v13, s8, v9
	v_mad_u32 v11, v13, s9, v11
	;; [unrolled: 1-line block ×3, first 2 shown]
	s_and_not1_b32 vcc_lo, exec_lo, s2
	s_cbranch_vccz .LBB69_138
	s_branch .LBB69_141
.LBB69_136:
	s_mov_b32 s2, -1
                                        ; implicit-def: $vgpr10
                                        ; implicit-def: $vgpr11
                                        ; implicit-def: $vgpr9
.LBB69_137:
	s_delay_alu instid0(SALU_CYCLE_1)
	s_and_not1_b32 vcc_lo, exec_lo, s2
	s_cbranch_vccnz .LBB69_141
.LBB69_138:
	s_clause 0x1
	s_load_b96 s[0:2], s[16:17], 0x4
	s_load_b96 s[4:6], s[16:17], 0xc4
	s_cmp_lt_u32 s26, 2
	s_wait_kmcnt 0x0
	v_mul_hi_u32 v9, s1, v12
	s_delay_alu instid0(VALU_DEP_1) | instskip(NEXT) | instid1(VALU_DEP_1)
	v_add_nc_u32_e32 v9, v12, v9
	v_lshrrev_b32_e32 v13, s2, v9
	s_delay_alu instid0(VALU_DEP_1) | instskip(NEXT) | instid1(VALU_DEP_1)
	v_mul_lo_u32 v9, v13, s0
	v_sub_nc_u32_e32 v11, v12, v9
	s_delay_alu instid0(VALU_DEP_1)
	v_mul_lo_u32 v9, v11, s4
	v_mul_lo_u32 v10, v11, s6
	;; [unrolled: 1-line block ×3, first 2 shown]
	s_cbranch_scc1 .LBB69_141
; %bb.139:
	s_clause 0x1
	s_load_b96 s[0:2], s[16:17], 0x10
	s_load_b96 s[4:6], s[16:17], 0xd0
	s_wait_kmcnt 0x0
	v_mul_hi_u32 v12, s1, v13
	s_delay_alu instid0(VALU_DEP_1) | instskip(NEXT) | instid1(VALU_DEP_1)
	v_add_nc_u32_e32 v12, v13, v12
	v_lshrrev_b32_e32 v12, s2, v12
	s_delay_alu instid0(VALU_DEP_1) | instskip(NEXT) | instid1(VALU_DEP_1)
	v_mul_lo_u32 v12, v12, s0
	v_sub_nc_u32_e32 v12, v13, v12
	s_delay_alu instid0(VALU_DEP_1)
	v_mad_u32 v9, v12, s4, v9
	v_mad_u32 v11, v12, s5, v11
	;; [unrolled: 1-line block ×3, first 2 shown]
	s_branch .LBB69_141
.LBB69_140:
	v_dual_mov_b32 v10, 0 :: v_dual_mov_b32 v11, 0
	v_mov_b32_e32 v9, 0
	s_and_not1_b32 vcc_lo, exec_lo, s2
	s_cbranch_vccz .LBB69_138
.LBB69_141:
	v_cmp_ne_u32_e32 vcc_lo, 1, v8
	v_add_nc_u32_e32 v15, 0x180, v0
	s_cbranch_vccnz .LBB69_147
; %bb.142:
	s_cmp_lg_u32 s26, 0
	s_mov_b32 s2, 0
	s_cbranch_scc0 .LBB69_151
; %bb.143:
	s_min_u32 s3, s27, 15
	v_dual_mov_b32 v12, 0 :: v_dual_mov_b32 v16, v15
	v_dual_mov_b32 v14, 0 :: v_dual_mov_b32 v13, 0
	s_add_co_i32 s4, s3, 1
	s_mov_b64 s[0:1], 0xffffffffffffffe8
	s_and_b32 s4, s4, 30
	s_add_nc_u64 s[0:1], s[16:17], s[0:1]
.LBB69_144:                             ; =>This Inner Loop Header: Depth=1
	s_clause 0x1
	s_load_b128 s[8:11], s[0:1], 0x1c
	s_load_b64 s[6:7], s[0:1], 0x2c
	s_add_co_i32 s4, s4, -2
	s_delay_alu instid0(SALU_CYCLE_1) | instskip(SKIP_2) | instid1(VALU_DEP_1)
	s_cmp_lg_u32 s4, 0
	s_wait_kmcnt 0x0
	v_mul_hi_u32 v17, s9, v16
	v_add_nc_u32_e32 v17, v16, v17
	s_delay_alu instid0(VALU_DEP_1) | instskip(NEXT) | instid1(VALU_DEP_1)
	v_lshrrev_b32_e32 v17, s10, v17
	v_mul_hi_u32 v18, s6, v17
	v_mul_lo_u32 v19, v17, s8
	s_clause 0x1
	s_load_b128 s[12:15], s[0:1], 0xdc
	s_load_b64 s[8:9], s[0:1], 0xec
	s_wait_xcnt 0x0
	s_add_nc_u64 s[0:1], s[0:1], 24
	s_delay_alu instid0(VALU_DEP_1) | instskip(NEXT) | instid1(VALU_DEP_1)
	v_dual_add_nc_u32 v18, v17, v18 :: v_dual_sub_nc_u32 v19, v16, v19
	v_lshrrev_b32_e32 v16, s7, v18
	s_wait_kmcnt 0x0
	s_delay_alu instid0(VALU_DEP_2) | instskip(NEXT) | instid1(VALU_DEP_2)
	v_mad_u32 v12, v19, s12, v12
	v_mul_lo_u32 v18, v16, s11
	v_mad_u32 v13, v19, s14, v13
	v_mad_u32 v14, v19, s13, v14
	s_delay_alu instid0(VALU_DEP_3) | instskip(NEXT) | instid1(VALU_DEP_1)
	v_sub_nc_u32_e32 v17, v17, v18
	v_mad_u32 v12, v17, s15, v12
	s_delay_alu instid0(VALU_DEP_4) | instskip(NEXT) | instid1(VALU_DEP_4)
	v_mad_u32 v13, v17, s9, v13
	v_mad_u32 v14, v17, s8, v14
	s_cbranch_scc1 .LBB69_144
; %bb.145:
	s_bitcmp1_b32 s3, 0
	s_cselect_b32 s3, -1, 0
	s_delay_alu instid0(SALU_CYCLE_1)
	s_and_b32 vcc_lo, exec_lo, s3
	s_cbranch_vccnz .LBB69_148
; %bb.146:
	s_clause 0x1
	s_load_b96 s[4:6], s[0:1], 0x1c
	s_load_b96 s[8:10], s[0:1], 0xdc
	s_wait_kmcnt 0x0
	v_mul_hi_u32 v17, s5, v16
	s_delay_alu instid0(VALU_DEP_1) | instskip(NEXT) | instid1(VALU_DEP_1)
	v_add_nc_u32_e32 v17, v16, v17
	v_lshrrev_b32_e32 v17, s6, v17
	s_delay_alu instid0(VALU_DEP_1) | instskip(NEXT) | instid1(VALU_DEP_1)
	v_mul_lo_u32 v17, v17, s4
	v_sub_nc_u32_e32 v16, v16, v17
	s_delay_alu instid0(VALU_DEP_1)
	v_mad_u32 v12, v16, s8, v12
	v_mad_u32 v14, v16, s9, v14
	v_mad_u32 v13, v16, s10, v13
	s_and_not1_b32 vcc_lo, exec_lo, s2
	s_cbranch_vccz .LBB69_149
	s_branch .LBB69_152
.LBB69_147:
	s_mov_b32 s2, -1
                                        ; implicit-def: $vgpr13
                                        ; implicit-def: $vgpr14
                                        ; implicit-def: $vgpr12
.LBB69_148:
	s_delay_alu instid0(SALU_CYCLE_1)
	s_and_not1_b32 vcc_lo, exec_lo, s2
	s_cbranch_vccnz .LBB69_152
.LBB69_149:
	s_clause 0x1
	s_load_b96 s[0:2], s[16:17], 0x4
	s_load_b96 s[4:6], s[16:17], 0xc4
	s_cmp_lt_u32 s26, 2
	s_wait_kmcnt 0x0
	v_mul_hi_u32 v12, s1, v15
	s_delay_alu instid0(VALU_DEP_1) | instskip(NEXT) | instid1(VALU_DEP_1)
	v_add_nc_u32_e32 v12, v15, v12
	v_lshrrev_b32_e32 v16, s2, v12
	s_delay_alu instid0(VALU_DEP_1) | instskip(NEXT) | instid1(VALU_DEP_1)
	v_mul_lo_u32 v12, v16, s0
	v_sub_nc_u32_e32 v14, v15, v12
	s_delay_alu instid0(VALU_DEP_1)
	v_mul_lo_u32 v12, v14, s4
	v_mul_lo_u32 v13, v14, s6
	;; [unrolled: 1-line block ×3, first 2 shown]
	s_cbranch_scc1 .LBB69_152
; %bb.150:
	s_clause 0x1
	s_load_b96 s[0:2], s[16:17], 0x10
	s_load_b96 s[4:6], s[16:17], 0xd0
	s_wait_kmcnt 0x0
	v_mul_hi_u32 v15, s1, v16
	s_delay_alu instid0(VALU_DEP_1) | instskip(NEXT) | instid1(VALU_DEP_1)
	v_add_nc_u32_e32 v15, v16, v15
	v_lshrrev_b32_e32 v15, s2, v15
	s_delay_alu instid0(VALU_DEP_1) | instskip(NEXT) | instid1(VALU_DEP_1)
	v_mul_lo_u32 v15, v15, s0
	v_sub_nc_u32_e32 v15, v16, v15
	s_delay_alu instid0(VALU_DEP_1)
	v_mad_u32 v12, v15, s4, v12
	v_mad_u32 v14, v15, s5, v14
	;; [unrolled: 1-line block ×3, first 2 shown]
	s_branch .LBB69_152
.LBB69_151:
	v_dual_mov_b32 v13, 0 :: v_dual_mov_b32 v14, 0
	v_mov_b32_e32 v12, 0
	s_and_not1_b32 vcc_lo, exec_lo, s2
	s_cbranch_vccz .LBB69_149
.LBB69_152:
	v_cmp_ne_u32_e32 vcc_lo, 1, v8
	v_add_nc_u32_e32 v18, 0x200, v0
	s_cbranch_vccnz .LBB69_158
; %bb.153:
	s_cmp_lg_u32 s26, 0
	s_mov_b32 s2, 0
	s_cbranch_scc0 .LBB69_162
; %bb.154:
	s_min_u32 s3, s27, 15
	v_dual_mov_b32 v15, 0 :: v_dual_mov_b32 v19, v18
	v_dual_mov_b32 v16, 0 :: v_dual_mov_b32 v17, 0
	s_add_co_i32 s4, s3, 1
	s_mov_b64 s[0:1], 0xffffffffffffffe8
	s_and_b32 s4, s4, 30
	s_add_nc_u64 s[0:1], s[16:17], s[0:1]
.LBB69_155:                             ; =>This Inner Loop Header: Depth=1
	s_clause 0x1
	s_load_b128 s[8:11], s[0:1], 0x1c
	s_load_b64 s[6:7], s[0:1], 0x2c
	s_add_co_i32 s4, s4, -2
	s_delay_alu instid0(SALU_CYCLE_1) | instskip(SKIP_2) | instid1(VALU_DEP_1)
	s_cmp_lg_u32 s4, 0
	s_wait_kmcnt 0x0
	v_mul_hi_u32 v20, s9, v19
	v_add_nc_u32_e32 v20, v19, v20
	s_delay_alu instid0(VALU_DEP_1) | instskip(NEXT) | instid1(VALU_DEP_1)
	v_lshrrev_b32_e32 v20, s10, v20
	v_mul_hi_u32 v21, s6, v20
	v_mul_lo_u32 v22, v20, s8
	s_clause 0x1
	s_load_b128 s[12:15], s[0:1], 0xdc
	s_load_b64 s[8:9], s[0:1], 0xec
	s_wait_xcnt 0x0
	s_add_nc_u64 s[0:1], s[0:1], 24
	s_delay_alu instid0(VALU_DEP_1) | instskip(NEXT) | instid1(VALU_DEP_1)
	v_dual_add_nc_u32 v21, v20, v21 :: v_dual_sub_nc_u32 v22, v19, v22
	v_lshrrev_b32_e32 v19, s7, v21
	s_wait_kmcnt 0x0
	s_delay_alu instid0(VALU_DEP_2) | instskip(NEXT) | instid1(VALU_DEP_2)
	v_mad_u32 v15, v22, s12, v15
	v_mul_lo_u32 v21, v19, s11
	v_mad_u32 v17, v22, s14, v17
	v_mad_u32 v16, v22, s13, v16
	s_delay_alu instid0(VALU_DEP_3) | instskip(NEXT) | instid1(VALU_DEP_1)
	v_sub_nc_u32_e32 v20, v20, v21
	v_mad_u32 v15, v20, s15, v15
	s_delay_alu instid0(VALU_DEP_4) | instskip(NEXT) | instid1(VALU_DEP_4)
	v_mad_u32 v17, v20, s9, v17
	v_mad_u32 v16, v20, s8, v16
	s_cbranch_scc1 .LBB69_155
; %bb.156:
	s_bitcmp1_b32 s3, 0
	s_cselect_b32 s3, -1, 0
	s_delay_alu instid0(SALU_CYCLE_1)
	s_and_b32 vcc_lo, exec_lo, s3
	s_cbranch_vccnz .LBB69_159
; %bb.157:
	s_clause 0x1
	s_load_b96 s[4:6], s[0:1], 0x1c
	s_load_b96 s[8:10], s[0:1], 0xdc
	s_wait_kmcnt 0x0
	v_mul_hi_u32 v20, s5, v19
	s_delay_alu instid0(VALU_DEP_1) | instskip(NEXT) | instid1(VALU_DEP_1)
	v_add_nc_u32_e32 v20, v19, v20
	v_lshrrev_b32_e32 v20, s6, v20
	s_delay_alu instid0(VALU_DEP_1) | instskip(NEXT) | instid1(VALU_DEP_1)
	v_mul_lo_u32 v20, v20, s4
	v_sub_nc_u32_e32 v19, v19, v20
	s_delay_alu instid0(VALU_DEP_1)
	v_mad_u32 v15, v19, s8, v15
	v_mad_u32 v16, v19, s9, v16
	;; [unrolled: 1-line block ×3, first 2 shown]
	s_and_not1_b32 vcc_lo, exec_lo, s2
	s_cbranch_vccz .LBB69_160
	s_branch .LBB69_163
.LBB69_158:
	s_mov_b32 s2, -1
                                        ; implicit-def: $vgpr17
                                        ; implicit-def: $vgpr16
                                        ; implicit-def: $vgpr15
.LBB69_159:
	s_delay_alu instid0(SALU_CYCLE_1)
	s_and_not1_b32 vcc_lo, exec_lo, s2
	s_cbranch_vccnz .LBB69_163
.LBB69_160:
	s_clause 0x1
	s_load_b96 s[0:2], s[16:17], 0x4
	s_load_b96 s[4:6], s[16:17], 0xc4
	s_cmp_lt_u32 s26, 2
	s_wait_kmcnt 0x0
	v_mul_hi_u32 v15, s1, v18
	s_delay_alu instid0(VALU_DEP_1) | instskip(NEXT) | instid1(VALU_DEP_1)
	v_add_nc_u32_e32 v15, v18, v15
	v_lshrrev_b32_e32 v19, s2, v15
	s_delay_alu instid0(VALU_DEP_1) | instskip(NEXT) | instid1(VALU_DEP_1)
	v_mul_lo_u32 v15, v19, s0
	v_sub_nc_u32_e32 v16, v18, v15
	s_delay_alu instid0(VALU_DEP_1)
	v_mul_lo_u32 v15, v16, s4
	v_mul_lo_u32 v17, v16, s6
	;; [unrolled: 1-line block ×3, first 2 shown]
	s_cbranch_scc1 .LBB69_163
; %bb.161:
	s_clause 0x1
	s_load_b96 s[0:2], s[16:17], 0x10
	s_load_b96 s[4:6], s[16:17], 0xd0
	s_wait_kmcnt 0x0
	v_mul_hi_u32 v18, s1, v19
	s_delay_alu instid0(VALU_DEP_1) | instskip(NEXT) | instid1(VALU_DEP_1)
	v_add_nc_u32_e32 v18, v19, v18
	v_lshrrev_b32_e32 v18, s2, v18
	s_delay_alu instid0(VALU_DEP_1) | instskip(NEXT) | instid1(VALU_DEP_1)
	v_mul_lo_u32 v18, v18, s0
	v_sub_nc_u32_e32 v18, v19, v18
	s_delay_alu instid0(VALU_DEP_1)
	v_mad_u32 v15, v18, s4, v15
	v_mad_u32 v16, v18, s5, v16
	;; [unrolled: 1-line block ×3, first 2 shown]
	s_branch .LBB69_163
.LBB69_162:
	v_dual_mov_b32 v17, 0 :: v_dual_mov_b32 v16, 0
	v_mov_b32_e32 v15, 0
	s_and_not1_b32 vcc_lo, exec_lo, s2
	s_cbranch_vccz .LBB69_160
.LBB69_163:
	v_cmp_ne_u32_e32 vcc_lo, 1, v8
	v_add_nc_u32_e32 v21, 0x280, v0
	s_cbranch_vccnz .LBB69_169
; %bb.164:
	s_cmp_lg_u32 s26, 0
	s_mov_b32 s2, 0
	s_cbranch_scc0 .LBB69_173
; %bb.165:
	s_min_u32 s3, s27, 15
	v_dual_mov_b32 v18, 0 :: v_dual_mov_b32 v22, v21
	v_dual_mov_b32 v19, 0 :: v_dual_mov_b32 v20, 0
	s_add_co_i32 s4, s3, 1
	s_mov_b64 s[0:1], 0xffffffffffffffe8
	s_and_b32 s4, s4, 30
	s_add_nc_u64 s[0:1], s[16:17], s[0:1]
.LBB69_166:                             ; =>This Inner Loop Header: Depth=1
	s_clause 0x1
	s_load_b128 s[8:11], s[0:1], 0x1c
	s_load_b64 s[6:7], s[0:1], 0x2c
	s_add_co_i32 s4, s4, -2
	s_delay_alu instid0(SALU_CYCLE_1) | instskip(SKIP_2) | instid1(VALU_DEP_1)
	s_cmp_lg_u32 s4, 0
	s_wait_kmcnt 0x0
	v_mul_hi_u32 v23, s9, v22
	v_add_nc_u32_e32 v23, v22, v23
	s_delay_alu instid0(VALU_DEP_1) | instskip(NEXT) | instid1(VALU_DEP_1)
	v_lshrrev_b32_e32 v23, s10, v23
	v_mul_hi_u32 v24, s6, v23
	v_mul_lo_u32 v25, v23, s8
	s_clause 0x1
	s_load_b128 s[12:15], s[0:1], 0xdc
	s_load_b64 s[8:9], s[0:1], 0xec
	s_wait_xcnt 0x0
	s_add_nc_u64 s[0:1], s[0:1], 24
	s_delay_alu instid0(VALU_DEP_1) | instskip(NEXT) | instid1(VALU_DEP_1)
	v_dual_add_nc_u32 v24, v23, v24 :: v_dual_sub_nc_u32 v25, v22, v25
	v_lshrrev_b32_e32 v22, s7, v24
	s_wait_kmcnt 0x0
	s_delay_alu instid0(VALU_DEP_2) | instskip(NEXT) | instid1(VALU_DEP_2)
	v_mad_u32 v18, v25, s12, v18
	v_mul_lo_u32 v24, v22, s11
	v_mad_u32 v20, v25, s14, v20
	v_mad_u32 v19, v25, s13, v19
	s_delay_alu instid0(VALU_DEP_3) | instskip(NEXT) | instid1(VALU_DEP_1)
	v_sub_nc_u32_e32 v23, v23, v24
	v_mad_u32 v18, v23, s15, v18
	s_delay_alu instid0(VALU_DEP_4) | instskip(NEXT) | instid1(VALU_DEP_4)
	v_mad_u32 v20, v23, s9, v20
	v_mad_u32 v19, v23, s8, v19
	s_cbranch_scc1 .LBB69_166
; %bb.167:
	s_bitcmp1_b32 s3, 0
	s_cselect_b32 s3, -1, 0
	s_delay_alu instid0(SALU_CYCLE_1)
	s_and_b32 vcc_lo, exec_lo, s3
	s_cbranch_vccnz .LBB69_170
; %bb.168:
	s_clause 0x1
	s_load_b96 s[4:6], s[0:1], 0x1c
	s_load_b96 s[8:10], s[0:1], 0xdc
	s_wait_kmcnt 0x0
	v_mul_hi_u32 v23, s5, v22
	s_delay_alu instid0(VALU_DEP_1) | instskip(NEXT) | instid1(VALU_DEP_1)
	v_add_nc_u32_e32 v23, v22, v23
	v_lshrrev_b32_e32 v23, s6, v23
	s_delay_alu instid0(VALU_DEP_1) | instskip(NEXT) | instid1(VALU_DEP_1)
	v_mul_lo_u32 v23, v23, s4
	v_sub_nc_u32_e32 v22, v22, v23
	s_delay_alu instid0(VALU_DEP_1)
	v_mad_u32 v18, v22, s8, v18
	v_mad_u32 v19, v22, s9, v19
	v_mad_u32 v20, v22, s10, v20
	s_and_not1_b32 vcc_lo, exec_lo, s2
	s_cbranch_vccz .LBB69_171
	s_branch .LBB69_174
.LBB69_169:
	s_mov_b32 s2, -1
                                        ; implicit-def: $vgpr20
                                        ; implicit-def: $vgpr19
                                        ; implicit-def: $vgpr18
.LBB69_170:
	s_delay_alu instid0(SALU_CYCLE_1)
	s_and_not1_b32 vcc_lo, exec_lo, s2
	s_cbranch_vccnz .LBB69_174
.LBB69_171:
	s_clause 0x1
	s_load_b96 s[0:2], s[16:17], 0x4
	s_load_b96 s[4:6], s[16:17], 0xc4
	s_cmp_lt_u32 s26, 2
	s_wait_kmcnt 0x0
	v_mul_hi_u32 v18, s1, v21
	s_delay_alu instid0(VALU_DEP_1) | instskip(NEXT) | instid1(VALU_DEP_1)
	v_add_nc_u32_e32 v18, v21, v18
	v_lshrrev_b32_e32 v22, s2, v18
	s_delay_alu instid0(VALU_DEP_1) | instskip(NEXT) | instid1(VALU_DEP_1)
	v_mul_lo_u32 v18, v22, s0
	v_sub_nc_u32_e32 v19, v21, v18
	s_delay_alu instid0(VALU_DEP_1)
	v_mul_lo_u32 v18, v19, s4
	v_mul_lo_u32 v20, v19, s6
	;; [unrolled: 1-line block ×3, first 2 shown]
	s_cbranch_scc1 .LBB69_174
; %bb.172:
	s_clause 0x1
	s_load_b96 s[0:2], s[16:17], 0x10
	s_load_b96 s[4:6], s[16:17], 0xd0
	s_wait_kmcnt 0x0
	v_mul_hi_u32 v21, s1, v22
	s_delay_alu instid0(VALU_DEP_1) | instskip(NEXT) | instid1(VALU_DEP_1)
	v_add_nc_u32_e32 v21, v22, v21
	v_lshrrev_b32_e32 v21, s2, v21
	s_delay_alu instid0(VALU_DEP_1) | instskip(NEXT) | instid1(VALU_DEP_1)
	v_mul_lo_u32 v21, v21, s0
	v_sub_nc_u32_e32 v21, v22, v21
	s_delay_alu instid0(VALU_DEP_1)
	v_mad_u32 v18, v21, s4, v18
	v_mad_u32 v19, v21, s5, v19
	;; [unrolled: 1-line block ×3, first 2 shown]
	s_branch .LBB69_174
.LBB69_173:
	v_dual_mov_b32 v20, 0 :: v_dual_mov_b32 v19, 0
	v_mov_b32_e32 v18, 0
	s_and_not1_b32 vcc_lo, exec_lo, s2
	s_cbranch_vccz .LBB69_171
.LBB69_174:
	v_cmp_ne_u32_e32 vcc_lo, 1, v8
	v_add_nc_u32_e32 v23, 0x300, v0
	s_cbranch_vccnz .LBB69_180
; %bb.175:
	s_cmp_lg_u32 s26, 0
	s_mov_b32 s2, 0
	s_cbranch_scc0 .LBB69_184
; %bb.176:
	s_min_u32 s3, s27, 15
	v_dual_mov_b32 v0, 0 :: v_dual_mov_b32 v24, v23
	v_dual_mov_b32 v22, 0 :: v_dual_mov_b32 v21, 0
	s_add_co_i32 s4, s3, 1
	s_mov_b64 s[0:1], 0xffffffffffffffe8
	s_and_b32 s4, s4, 30
	s_add_nc_u64 s[0:1], s[16:17], s[0:1]
.LBB69_177:                             ; =>This Inner Loop Header: Depth=1
	s_clause 0x1
	s_load_b128 s[8:11], s[0:1], 0x1c
	s_load_b64 s[6:7], s[0:1], 0x2c
	s_add_co_i32 s4, s4, -2
	s_delay_alu instid0(SALU_CYCLE_1) | instskip(SKIP_2) | instid1(VALU_DEP_1)
	s_cmp_lg_u32 s4, 0
	s_wait_kmcnt 0x0
	v_mul_hi_u32 v25, s9, v24
	v_add_nc_u32_e32 v25, v24, v25
	s_delay_alu instid0(VALU_DEP_1) | instskip(NEXT) | instid1(VALU_DEP_1)
	v_lshrrev_b32_e32 v25, s10, v25
	v_mul_hi_u32 v26, s6, v25
	v_mul_lo_u32 v27, v25, s8
	s_clause 0x1
	s_load_b128 s[12:15], s[0:1], 0xdc
	s_load_b64 s[8:9], s[0:1], 0xec
	s_wait_xcnt 0x0
	s_add_nc_u64 s[0:1], s[0:1], 24
	s_delay_alu instid0(VALU_DEP_1) | instskip(NEXT) | instid1(VALU_DEP_1)
	v_dual_add_nc_u32 v26, v25, v26 :: v_dual_sub_nc_u32 v27, v24, v27
	v_lshrrev_b32_e32 v24, s7, v26
	s_wait_kmcnt 0x0
	s_delay_alu instid0(VALU_DEP_2) | instskip(NEXT) | instid1(VALU_DEP_2)
	v_mad_u32 v0, v27, s12, v0
	v_mul_lo_u32 v26, v24, s11
	v_mad_u32 v21, v27, s14, v21
	v_mad_u32 v22, v27, s13, v22
	s_delay_alu instid0(VALU_DEP_3) | instskip(NEXT) | instid1(VALU_DEP_1)
	v_sub_nc_u32_e32 v25, v25, v26
	v_mad_u32 v0, v25, s15, v0
	s_delay_alu instid0(VALU_DEP_4) | instskip(NEXT) | instid1(VALU_DEP_4)
	v_mad_u32 v21, v25, s9, v21
	v_mad_u32 v22, v25, s8, v22
	s_cbranch_scc1 .LBB69_177
; %bb.178:
	s_bitcmp1_b32 s3, 0
	s_cselect_b32 s3, -1, 0
	s_delay_alu instid0(SALU_CYCLE_1)
	s_and_b32 vcc_lo, exec_lo, s3
	s_cbranch_vccnz .LBB69_181
; %bb.179:
	s_clause 0x1
	s_load_b96 s[4:6], s[0:1], 0x1c
	s_load_b96 s[8:10], s[0:1], 0xdc
	s_wait_kmcnt 0x0
	v_mul_hi_u32 v25, s5, v24
	s_delay_alu instid0(VALU_DEP_1) | instskip(NEXT) | instid1(VALU_DEP_1)
	v_add_nc_u32_e32 v25, v24, v25
	v_lshrrev_b32_e32 v25, s6, v25
	s_delay_alu instid0(VALU_DEP_1) | instskip(NEXT) | instid1(VALU_DEP_1)
	v_mul_lo_u32 v25, v25, s4
	v_sub_nc_u32_e32 v24, v24, v25
	s_delay_alu instid0(VALU_DEP_1)
	v_mad_u32 v0, v24, s8, v0
	v_mad_u32 v22, v24, s9, v22
	;; [unrolled: 1-line block ×3, first 2 shown]
	s_and_not1_b32 vcc_lo, exec_lo, s2
	s_cbranch_vccz .LBB69_182
	s_branch .LBB69_185
.LBB69_180:
	s_mov_b32 s2, -1
                                        ; implicit-def: $vgpr21
                                        ; implicit-def: $vgpr22
                                        ; implicit-def: $vgpr0
.LBB69_181:
	s_delay_alu instid0(SALU_CYCLE_1)
	s_and_not1_b32 vcc_lo, exec_lo, s2
	s_cbranch_vccnz .LBB69_185
.LBB69_182:
	s_clause 0x1
	s_load_b96 s[0:2], s[16:17], 0x4
	s_load_b96 s[4:6], s[16:17], 0xc4
	s_cmp_lt_u32 s26, 2
	s_wait_kmcnt 0x0
	v_mul_hi_u32 v0, s1, v23
	s_delay_alu instid0(VALU_DEP_1) | instskip(NEXT) | instid1(VALU_DEP_1)
	v_add_nc_u32_e32 v0, v23, v0
	v_lshrrev_b32_e32 v24, s2, v0
	s_delay_alu instid0(VALU_DEP_1) | instskip(NEXT) | instid1(VALU_DEP_1)
	v_mul_lo_u32 v0, v24, s0
	v_sub_nc_u32_e32 v22, v23, v0
	s_delay_alu instid0(VALU_DEP_1)
	v_mul_lo_u32 v0, v22, s4
	v_mul_lo_u32 v21, v22, s6
	;; [unrolled: 1-line block ×3, first 2 shown]
	s_cbranch_scc1 .LBB69_185
; %bb.183:
	s_clause 0x1
	s_load_b96 s[0:2], s[16:17], 0x10
	s_load_b96 s[4:6], s[16:17], 0xd0
	s_wait_kmcnt 0x0
	v_mul_hi_u32 v23, s1, v24
	s_delay_alu instid0(VALU_DEP_1) | instskip(NEXT) | instid1(VALU_DEP_1)
	v_add_nc_u32_e32 v23, v24, v23
	v_lshrrev_b32_e32 v23, s2, v23
	s_delay_alu instid0(VALU_DEP_1) | instskip(NEXT) | instid1(VALU_DEP_1)
	v_mul_lo_u32 v23, v23, s0
	v_sub_nc_u32_e32 v23, v24, v23
	s_delay_alu instid0(VALU_DEP_1)
	v_mad_u32 v0, v23, s4, v0
	v_mad_u32 v22, v23, s5, v22
	;; [unrolled: 1-line block ×3, first 2 shown]
	s_branch .LBB69_185
.LBB69_184:
	v_dual_mov_b32 v21, 0 :: v_dual_mov_b32 v22, 0
	v_mov_b32_e32 v0, 0
	s_and_not1_b32 vcc_lo, exec_lo, s2
	s_cbranch_vccz .LBB69_182
.LBB69_185:
	v_cmp_ne_u32_e32 vcc_lo, 1, v8
	s_cbranch_vccnz .LBB69_191
; %bb.186:
	s_cmp_lg_u32 s26, 0
	s_mov_b32 s2, 0
	s_cbranch_scc0 .LBB69_195
; %bb.187:
	s_min_u32 s3, s27, 15
	v_dual_mov_b32 v8, 0 :: v_dual_mov_b32 v25, v4
	v_dual_mov_b32 v24, 0 :: v_dual_mov_b32 v23, 0
	s_add_co_i32 s4, s3, 1
	s_mov_b64 s[0:1], 0xffffffffffffffe8
	s_and_b32 s4, s4, 30
	s_add_nc_u64 s[0:1], s[16:17], s[0:1]
.LBB69_188:                             ; =>This Inner Loop Header: Depth=1
	s_clause 0x1
	s_load_b128 s[8:11], s[0:1], 0x1c
	s_load_b64 s[6:7], s[0:1], 0x2c
	s_add_co_i32 s4, s4, -2
	s_delay_alu instid0(SALU_CYCLE_1) | instskip(SKIP_2) | instid1(VALU_DEP_1)
	s_cmp_lg_u32 s4, 0
	s_wait_kmcnt 0x0
	v_mul_hi_u32 v26, s9, v25
	v_add_nc_u32_e32 v26, v25, v26
	s_delay_alu instid0(VALU_DEP_1) | instskip(NEXT) | instid1(VALU_DEP_1)
	v_lshrrev_b32_e32 v26, s10, v26
	v_mul_hi_u32 v27, s6, v26
	v_mul_lo_u32 v28, v26, s8
	s_clause 0x1
	s_load_b128 s[12:15], s[0:1], 0xdc
	s_load_b64 s[8:9], s[0:1], 0xec
	s_wait_xcnt 0x0
	s_add_nc_u64 s[0:1], s[0:1], 24
	s_delay_alu instid0(VALU_DEP_1) | instskip(NEXT) | instid1(VALU_DEP_1)
	v_dual_add_nc_u32 v27, v26, v27 :: v_dual_sub_nc_u32 v28, v25, v28
	v_lshrrev_b32_e32 v25, s7, v27
	s_wait_kmcnt 0x0
	s_delay_alu instid0(VALU_DEP_2) | instskip(NEXT) | instid1(VALU_DEP_2)
	v_mad_u32 v8, v28, s12, v8
	v_mul_lo_u32 v27, v25, s11
	v_mad_u32 v23, v28, s14, v23
	v_mad_u32 v24, v28, s13, v24
	s_delay_alu instid0(VALU_DEP_3) | instskip(NEXT) | instid1(VALU_DEP_1)
	v_sub_nc_u32_e32 v26, v26, v27
	v_mad_u32 v8, v26, s15, v8
	s_delay_alu instid0(VALU_DEP_4) | instskip(NEXT) | instid1(VALU_DEP_4)
	v_mad_u32 v23, v26, s9, v23
	v_mad_u32 v24, v26, s8, v24
	s_cbranch_scc1 .LBB69_188
; %bb.189:
	s_bitcmp1_b32 s3, 0
	s_cselect_b32 s3, -1, 0
	s_delay_alu instid0(SALU_CYCLE_1)
	s_and_b32 vcc_lo, exec_lo, s3
	s_cbranch_vccnz .LBB69_192
; %bb.190:
	s_clause 0x1
	s_load_b96 s[4:6], s[0:1], 0x1c
	s_load_b96 s[8:10], s[0:1], 0xdc
	s_wait_kmcnt 0x0
	v_mul_hi_u32 v26, s5, v25
	s_delay_alu instid0(VALU_DEP_1) | instskip(NEXT) | instid1(VALU_DEP_1)
	v_add_nc_u32_e32 v26, v25, v26
	v_lshrrev_b32_e32 v26, s6, v26
	s_delay_alu instid0(VALU_DEP_1) | instskip(NEXT) | instid1(VALU_DEP_1)
	v_mul_lo_u32 v26, v26, s4
	v_sub_nc_u32_e32 v25, v25, v26
	s_delay_alu instid0(VALU_DEP_1)
	v_mad_u32 v8, v25, s8, v8
	v_mad_u32 v24, v25, s9, v24
	;; [unrolled: 1-line block ×3, first 2 shown]
	s_and_not1_b32 vcc_lo, exec_lo, s2
	s_cbranch_vccz .LBB69_193
	s_branch .LBB69_196
.LBB69_191:
	s_mov_b32 s2, -1
                                        ; implicit-def: $vgpr23
                                        ; implicit-def: $vgpr24
                                        ; implicit-def: $vgpr8
.LBB69_192:
	s_delay_alu instid0(SALU_CYCLE_1)
	s_and_not1_b32 vcc_lo, exec_lo, s2
	s_cbranch_vccnz .LBB69_196
.LBB69_193:
	s_clause 0x1
	s_load_b96 s[0:2], s[16:17], 0x4
	s_load_b96 s[4:6], s[16:17], 0xc4
	s_cmp_lt_u32 s26, 2
	s_wait_kmcnt 0x0
	v_mul_hi_u32 v8, s1, v4
	s_delay_alu instid0(VALU_DEP_1) | instskip(NEXT) | instid1(VALU_DEP_1)
	v_add_nc_u32_e32 v8, v4, v8
	v_lshrrev_b32_e32 v25, s2, v8
	s_delay_alu instid0(VALU_DEP_1) | instskip(NEXT) | instid1(VALU_DEP_1)
	v_mul_lo_u32 v8, v25, s0
	v_sub_nc_u32_e32 v4, v4, v8
	s_delay_alu instid0(VALU_DEP_1)
	v_mul_lo_u32 v8, v4, s4
	v_mul_lo_u32 v23, v4, s6
	v_mul_lo_u32 v24, v4, s5
	s_cbranch_scc1 .LBB69_196
; %bb.194:
	s_clause 0x1
	s_load_b96 s[0:2], s[16:17], 0x10
	s_load_b96 s[4:6], s[16:17], 0xd0
	s_wait_kmcnt 0x0
	v_mul_hi_u32 v4, s1, v25
	s_delay_alu instid0(VALU_DEP_1) | instskip(NEXT) | instid1(VALU_DEP_1)
	v_add_nc_u32_e32 v4, v25, v4
	v_lshrrev_b32_e32 v4, s2, v4
	s_delay_alu instid0(VALU_DEP_1) | instskip(NEXT) | instid1(VALU_DEP_1)
	v_mul_lo_u32 v4, v4, s0
	v_sub_nc_u32_e32 v4, v25, v4
	s_delay_alu instid0(VALU_DEP_1)
	v_mad_u32 v8, v4, s4, v8
	v_mad_u32 v24, v4, s5, v24
	;; [unrolled: 1-line block ×3, first 2 shown]
	s_branch .LBB69_196
.LBB69_195:
	v_dual_mov_b32 v23, 0 :: v_dual_mov_b32 v24, 0
	v_mov_b32_e32 v8, 0
	s_and_not1_b32 vcc_lo, exec_lo, s2
	s_cbranch_vccz .LBB69_193
.LBB69_196:
	s_clause 0x1
	s_load_b128 s[8:11], s[16:17], 0x188
	s_load_b96 s[0:2], s[16:17], 0x198
	s_wait_kmcnt 0x0
	global_load_u16 v4, v3, s[10:11]
	global_load_u16 v25, v2, s[0:1]
	;; [unrolled: 1-line block ×15, first 2 shown]
                                        ; kill: killed $vgpr17
                                        ; kill: killed $vgpr11
                                        ; kill: killed $vgpr22
                                        ; kill: killed $vgpr7
                                        ; kill: killed $vgpr20
                                        ; kill: killed $vgpr14
                                        ; kill: killed $vgpr24
                                        ; kill: killed $vgpr10
                                        ; kill: killed $vgpr3
                                        ; kill: killed $vgpr21
                                        ; kill: killed $vgpr16
                                        ; kill: killed $vgpr13
                                        ; kill: killed $vgpr6
                                        ; kill: killed $sgpr10_sgpr11
                                        ; kill: killed $vgpr19
                                        ; kill: killed $vgpr2
	global_load_u16 v2, v23, s[0:1]
	s_cmp_eq_u32 s2, 0
	s_cselect_b32 s7, -1, 0
	s_wait_loadcnt 0xe
	v_cmp_ne_u16_e32 vcc_lo, v4, v25
	s_wait_loadcnt 0xc
	s_wait_xcnt 0x0
	v_cmp_ne_u16_e64 s0, v26, v27
	s_wait_loadcnt 0xa
	v_cmp_ne_u16_e64 s1, v28, v29
	s_xor_b32 s10, s7, vcc_lo
	s_wait_loadcnt 0x8
	v_cmp_ne_u16_e64 s2, v30, v31
	s_xor_b32 s0, s7, s0
	s_wait_loadcnt 0x6
	v_cmp_ne_u16_e64 s3, v32, v33
	v_cndmask_b32_e64 v3, 0, 1, s0
	s_xor_b32 s0, s7, s1
	s_wait_loadcnt 0x4
	v_cmp_ne_u16_e64 s4, v34, v35
	v_cndmask_b32_e64 v4, 0, 1, s0
	;; [unrolled: 4-line block ×3, first 2 shown]
	s_xor_b32 s0, s7, s3
	s_delay_alu instid0(SALU_CYCLE_1) | instskip(SKIP_1) | instid1(SALU_CYCLE_1)
	v_cndmask_b32_e64 v7, 0, 1, s0
	s_xor_b32 s0, s7, s4
	v_cndmask_b32_e64 v10, 0, 1, s0
	s_xor_b32 s0, s7, s5
	s_delay_alu instid0(SALU_CYCLE_1) | instskip(SKIP_4) | instid1(SALU_CYCLE_1)
	v_cndmask_b32_e64 v11, 0, 1, s0
	s_wait_loadcnt 0x0
	v_cmp_ne_u16_e64 s6, v38, v2
	v_cndmask_b32_e64 v2, 0, 1, s10
	s_xor_b32 s0, s7, s6
	v_cndmask_b32_e64 v13, 0, 1, s0
	s_clause 0x7
	global_store_b8 v1, v2, s[8:9]
	global_store_b8 v5, v3, s[8:9]
	;; [unrolled: 1-line block ×8, first 2 shown]
	s_endpgm
	.section	.rodata,"a",@progbits
	.p2align	6, 0x0
	.amdhsa_kernel _ZN2at6native32elementwise_kernel_manual_unrollILi128ELi8EZNS0_22gpu_kernel_impl_nocastINS0_13BinaryFunctorIssbNS0_12_GLOBAL__N_116CompareEqFunctorIsEEEEEEvRNS_18TensorIteratorBaseERKT_EUlibE_EEviT1_
		.amdhsa_group_segment_fixed_size 0
		.amdhsa_private_segment_fixed_size 0
		.amdhsa_kernarg_size 432
		.amdhsa_user_sgpr_count 2
		.amdhsa_user_sgpr_dispatch_ptr 0
		.amdhsa_user_sgpr_queue_ptr 0
		.amdhsa_user_sgpr_kernarg_segment_ptr 1
		.amdhsa_user_sgpr_dispatch_id 0
		.amdhsa_user_sgpr_kernarg_preload_length 0
		.amdhsa_user_sgpr_kernarg_preload_offset 0
		.amdhsa_user_sgpr_private_segment_size 0
		.amdhsa_wavefront_size32 1
		.amdhsa_uses_dynamic_stack 0
		.amdhsa_enable_private_segment 0
		.amdhsa_system_sgpr_workgroup_id_x 1
		.amdhsa_system_sgpr_workgroup_id_y 0
		.amdhsa_system_sgpr_workgroup_id_z 0
		.amdhsa_system_sgpr_workgroup_info 0
		.amdhsa_system_vgpr_workitem_id 0
		.amdhsa_next_free_vgpr 39
		.amdhsa_next_free_sgpr 46
		.amdhsa_named_barrier_count 0
		.amdhsa_reserve_vcc 1
		.amdhsa_float_round_mode_32 0
		.amdhsa_float_round_mode_16_64 0
		.amdhsa_float_denorm_mode_32 3
		.amdhsa_float_denorm_mode_16_64 3
		.amdhsa_fp16_overflow 0
		.amdhsa_memory_ordered 1
		.amdhsa_forward_progress 1
		.amdhsa_inst_pref_size 84
		.amdhsa_round_robin_scheduling 0
		.amdhsa_exception_fp_ieee_invalid_op 0
		.amdhsa_exception_fp_denorm_src 0
		.amdhsa_exception_fp_ieee_div_zero 0
		.amdhsa_exception_fp_ieee_overflow 0
		.amdhsa_exception_fp_ieee_underflow 0
		.amdhsa_exception_fp_ieee_inexact 0
		.amdhsa_exception_int_div_zero 0
	.end_amdhsa_kernel
	.section	.text._ZN2at6native32elementwise_kernel_manual_unrollILi128ELi8EZNS0_22gpu_kernel_impl_nocastINS0_13BinaryFunctorIssbNS0_12_GLOBAL__N_116CompareEqFunctorIsEEEEEEvRNS_18TensorIteratorBaseERKT_EUlibE_EEviT1_,"axG",@progbits,_ZN2at6native32elementwise_kernel_manual_unrollILi128ELi8EZNS0_22gpu_kernel_impl_nocastINS0_13BinaryFunctorIssbNS0_12_GLOBAL__N_116CompareEqFunctorIsEEEEEEvRNS_18TensorIteratorBaseERKT_EUlibE_EEviT1_,comdat
.Lfunc_end69:
	.size	_ZN2at6native32elementwise_kernel_manual_unrollILi128ELi8EZNS0_22gpu_kernel_impl_nocastINS0_13BinaryFunctorIssbNS0_12_GLOBAL__N_116CompareEqFunctorIsEEEEEEvRNS_18TensorIteratorBaseERKT_EUlibE_EEviT1_, .Lfunc_end69-_ZN2at6native32elementwise_kernel_manual_unrollILi128ELi8EZNS0_22gpu_kernel_impl_nocastINS0_13BinaryFunctorIssbNS0_12_GLOBAL__N_116CompareEqFunctorIsEEEEEEvRNS_18TensorIteratorBaseERKT_EUlibE_EEviT1_
                                        ; -- End function
	.set _ZN2at6native32elementwise_kernel_manual_unrollILi128ELi8EZNS0_22gpu_kernel_impl_nocastINS0_13BinaryFunctorIssbNS0_12_GLOBAL__N_116CompareEqFunctorIsEEEEEEvRNS_18TensorIteratorBaseERKT_EUlibE_EEviT1_.num_vgpr, 39
	.set _ZN2at6native32elementwise_kernel_manual_unrollILi128ELi8EZNS0_22gpu_kernel_impl_nocastINS0_13BinaryFunctorIssbNS0_12_GLOBAL__N_116CompareEqFunctorIsEEEEEEvRNS_18TensorIteratorBaseERKT_EUlibE_EEviT1_.num_agpr, 0
	.set _ZN2at6native32elementwise_kernel_manual_unrollILi128ELi8EZNS0_22gpu_kernel_impl_nocastINS0_13BinaryFunctorIssbNS0_12_GLOBAL__N_116CompareEqFunctorIsEEEEEEvRNS_18TensorIteratorBaseERKT_EUlibE_EEviT1_.numbered_sgpr, 46
	.set _ZN2at6native32elementwise_kernel_manual_unrollILi128ELi8EZNS0_22gpu_kernel_impl_nocastINS0_13BinaryFunctorIssbNS0_12_GLOBAL__N_116CompareEqFunctorIsEEEEEEvRNS_18TensorIteratorBaseERKT_EUlibE_EEviT1_.num_named_barrier, 0
	.set _ZN2at6native32elementwise_kernel_manual_unrollILi128ELi8EZNS0_22gpu_kernel_impl_nocastINS0_13BinaryFunctorIssbNS0_12_GLOBAL__N_116CompareEqFunctorIsEEEEEEvRNS_18TensorIteratorBaseERKT_EUlibE_EEviT1_.private_seg_size, 0
	.set _ZN2at6native32elementwise_kernel_manual_unrollILi128ELi8EZNS0_22gpu_kernel_impl_nocastINS0_13BinaryFunctorIssbNS0_12_GLOBAL__N_116CompareEqFunctorIsEEEEEEvRNS_18TensorIteratorBaseERKT_EUlibE_EEviT1_.uses_vcc, 1
	.set _ZN2at6native32elementwise_kernel_manual_unrollILi128ELi8EZNS0_22gpu_kernel_impl_nocastINS0_13BinaryFunctorIssbNS0_12_GLOBAL__N_116CompareEqFunctorIsEEEEEEvRNS_18TensorIteratorBaseERKT_EUlibE_EEviT1_.uses_flat_scratch, 0
	.set _ZN2at6native32elementwise_kernel_manual_unrollILi128ELi8EZNS0_22gpu_kernel_impl_nocastINS0_13BinaryFunctorIssbNS0_12_GLOBAL__N_116CompareEqFunctorIsEEEEEEvRNS_18TensorIteratorBaseERKT_EUlibE_EEviT1_.has_dyn_sized_stack, 0
	.set _ZN2at6native32elementwise_kernel_manual_unrollILi128ELi8EZNS0_22gpu_kernel_impl_nocastINS0_13BinaryFunctorIssbNS0_12_GLOBAL__N_116CompareEqFunctorIsEEEEEEvRNS_18TensorIteratorBaseERKT_EUlibE_EEviT1_.has_recursion, 0
	.set _ZN2at6native32elementwise_kernel_manual_unrollILi128ELi8EZNS0_22gpu_kernel_impl_nocastINS0_13BinaryFunctorIssbNS0_12_GLOBAL__N_116CompareEqFunctorIsEEEEEEvRNS_18TensorIteratorBaseERKT_EUlibE_EEviT1_.has_indirect_call, 0
	.section	.AMDGPU.csdata,"",@progbits
; Kernel info:
; codeLenInByte = 10744
; TotalNumSgprs: 48
; NumVgprs: 39
; ScratchSize: 0
; MemoryBound: 0
; FloatMode: 240
; IeeeMode: 1
; LDSByteSize: 0 bytes/workgroup (compile time only)
; SGPRBlocks: 0
; VGPRBlocks: 2
; NumSGPRsForWavesPerEU: 48
; NumVGPRsForWavesPerEU: 39
; NamedBarCnt: 0
; Occupancy: 16
; WaveLimiterHint : 1
; COMPUTE_PGM_RSRC2:SCRATCH_EN: 0
; COMPUTE_PGM_RSRC2:USER_SGPR: 2
; COMPUTE_PGM_RSRC2:TRAP_HANDLER: 0
; COMPUTE_PGM_RSRC2:TGID_X_EN: 1
; COMPUTE_PGM_RSRC2:TGID_Y_EN: 0
; COMPUTE_PGM_RSRC2:TGID_Z_EN: 0
; COMPUTE_PGM_RSRC2:TIDIG_COMP_CNT: 0
	.section	.text._ZN2at6native32elementwise_kernel_manual_unrollILi128ELi4EZNS0_15gpu_kernel_implINS0_13BinaryFunctorIssbNS0_12_GLOBAL__N_116CompareEqFunctorIsEEEEEEvRNS_18TensorIteratorBaseERKT_EUlibE_EEviT1_,"axG",@progbits,_ZN2at6native32elementwise_kernel_manual_unrollILi128ELi4EZNS0_15gpu_kernel_implINS0_13BinaryFunctorIssbNS0_12_GLOBAL__N_116CompareEqFunctorIsEEEEEEvRNS_18TensorIteratorBaseERKT_EUlibE_EEviT1_,comdat
	.globl	_ZN2at6native32elementwise_kernel_manual_unrollILi128ELi4EZNS0_15gpu_kernel_implINS0_13BinaryFunctorIssbNS0_12_GLOBAL__N_116CompareEqFunctorIsEEEEEEvRNS_18TensorIteratorBaseERKT_EUlibE_EEviT1_ ; -- Begin function _ZN2at6native32elementwise_kernel_manual_unrollILi128ELi4EZNS0_15gpu_kernel_implINS0_13BinaryFunctorIssbNS0_12_GLOBAL__N_116CompareEqFunctorIsEEEEEEvRNS_18TensorIteratorBaseERKT_EUlibE_EEviT1_
	.p2align	8
	.type	_ZN2at6native32elementwise_kernel_manual_unrollILi128ELi4EZNS0_15gpu_kernel_implINS0_13BinaryFunctorIssbNS0_12_GLOBAL__N_116CompareEqFunctorIsEEEEEEvRNS_18TensorIteratorBaseERKT_EUlibE_EEviT1_,@function
_ZN2at6native32elementwise_kernel_manual_unrollILi128ELi4EZNS0_15gpu_kernel_implINS0_13BinaryFunctorIssbNS0_12_GLOBAL__N_116CompareEqFunctorIsEEEEEEvRNS_18TensorIteratorBaseERKT_EUlibE_EEviT1_: ; @_ZN2at6native32elementwise_kernel_manual_unrollILi128ELi4EZNS0_15gpu_kernel_implINS0_13BinaryFunctorIssbNS0_12_GLOBAL__N_116CompareEqFunctorIsEEEEEEvRNS_18TensorIteratorBaseERKT_EUlibE_EEviT1_
; %bb.0:
	s_load_b32 s12, s[0:1], 0x30
	s_bfe_u32 s2, ttmp6, 0x4000c
	s_clause 0x1
	s_load_b32 s17, s[0:1], 0x0
	s_load_b128 s[4:7], s[0:1], 0x8
	s_add_co_i32 s14, s2, 1
	s_clause 0x1
	s_load_b64 s[2:3], s[0:1], 0x18
	s_load_b128 s[8:11], s[0:1], 0x20
	s_and_b32 s13, ttmp6, 15
	s_wait_xcnt 0x0
	s_mul_i32 s0, ttmp9, s14
	s_getreg_b32 s15, hwreg(HW_REG_IB_STS2, 6, 4)
	s_add_co_i32 s13, s13, s0
	s_mov_b32 s16, 0
	s_wait_kmcnt 0x0
	s_lshr_b32 s14, s12, 8
	s_lshr_b32 s1, s12, 16
	s_cmp_eq_u32 s15, 0
	s_cselect_b32 s0, ttmp9, s13
	s_mov_b32 s13, 0
	v_lshl_or_b32 v18, s0, 9, v0
	s_mov_b32 s0, exec_lo
	s_delay_alu instid0(VALU_DEP_1) | instskip(NEXT) | instid1(VALU_DEP_1)
	v_or_b32_e32 v0, 0x180, v18
	v_cmpx_le_i32_e64 s17, v0
	s_xor_b32 s15, exec_lo, s0
	s_cbranch_execz .LBB70_1515
; %bb.1:
	s_cmp_eq_u32 s11, 0
	s_mov_b32 s22, 0
	s_cselect_b32 s16, -1, 0
	s_mov_b32 s25, -1
	s_mov_b32 s20, 0
	s_mov_b32 s19, 0
	;; [unrolled: 1-line block ×3, first 2 shown]
	s_mov_b32 s21, exec_lo
	v_cmpx_gt_i32_e64 s17, v18
	s_cbranch_execz .LBB70_374
; %bb.2:
	v_mul_lo_u32 v0, v18, s9
	s_and_b32 s0, s14, 0xff
	s_delay_alu instid0(SALU_CYCLE_1) | instskip(NEXT) | instid1(VALU_DEP_1)
	s_cmp_lt_i32 s0, 11
	v_ashrrev_i32_e32 v1, 31, v0
	s_delay_alu instid0(VALU_DEP_1)
	v_add_nc_u64_e32 v[2:3], s[6:7], v[0:1]
	s_cbranch_scc1 .LBB70_9
; %bb.3:
	s_and_b32 s18, 0xffff, s0
	s_delay_alu instid0(SALU_CYCLE_1)
	s_cmp_gt_i32 s18, 25
	s_cbranch_scc0 .LBB70_18
; %bb.4:
	s_cmp_gt_i32 s18, 28
	s_cbranch_scc0 .LBB70_28
; %bb.5:
	;; [unrolled: 3-line block ×4, first 2 shown]
	s_cmp_eq_u32 s18, 46
	s_mov_b32 s23, 0
	s_cbranch_scc0 .LBB70_37
; %bb.8:
	global_load_b32 v0, v[2:3], off
	s_mov_b32 s19, -1
	s_wait_loadcnt 0x0
	v_lshlrev_b32_e32 v0, 16, v0
	s_delay_alu instid0(VALU_DEP_1)
	v_cvt_i32_f32_e32 v0, v0
	s_branch .LBB70_39
.LBB70_9:
                                        ; implicit-def: $vgpr0
	s_cbranch_execnz .LBB70_101
.LBB70_10:
	s_and_not1_b32 vcc_lo, exec_lo, s19
	s_cbranch_vccnz .LBB70_148
.LBB70_11:
	s_wait_xcnt 0x0
	v_mul_lo_u32 v2, v18, s10
	s_and_b32 s0, s1, 0xff
	s_delay_alu instid0(SALU_CYCLE_1) | instskip(NEXT) | instid1(VALU_DEP_1)
	s_cmp_lt_i32 s0, 11
	v_ashrrev_i32_e32 v3, 31, v2
	s_delay_alu instid0(VALU_DEP_1)
	v_add_nc_u64_e32 v[2:3], s[2:3], v[2:3]
	s_cbranch_scc1 .LBB70_19
; %bb.12:
	s_and_b32 s18, 0xffff, s0
	s_delay_alu instid0(SALU_CYCLE_1)
	s_cmp_gt_i32 s18, 25
	s_cbranch_scc0 .LBB70_29
; %bb.13:
	s_cmp_gt_i32 s18, 28
	s_cbranch_scc0 .LBB70_32
; %bb.14:
	;; [unrolled: 3-line block ×4, first 2 shown]
	s_cmp_eq_u32 s18, 46
	s_mov_b32 s24, 0
	s_cbranch_scc0 .LBB70_149
; %bb.17:
	s_wait_loadcnt 0x0
	global_load_b32 v1, v[2:3], off
	s_mov_b32 s23, -1
	s_mov_b32 s19, 0
	s_wait_loadcnt 0x0
	v_lshlrev_b32_e32 v1, 16, v1
	s_delay_alu instid0(VALU_DEP_1)
	v_cvt_i32_f32_e32 v4, v1
	s_branch .LBB70_151
.LBB70_18:
                                        ; implicit-def: $vgpr0
	s_cbranch_execnz .LBB70_68
	s_branch .LBB70_100
.LBB70_19:
	s_mov_b32 s19, 0
	s_mov_b32 s23, 0
                                        ; implicit-def: $vgpr4
	s_cbranch_execnz .LBB70_323
.LBB70_20:
	s_and_not1_b32 vcc_lo, exec_lo, s23
	s_cbranch_vccnz .LBB70_371
.LBB70_21:
	s_wait_xcnt 0x0
	v_mul_lo_u32 v2, v18, s8
	s_wait_loadcnt 0x0
	s_delay_alu instid0(VALU_DEP_2) | instskip(SKIP_3) | instid1(VALU_DEP_2)
	v_cmp_ne_u16_e32 vcc_lo, v0, v4
	s_and_b32 s23, s12, 0xff
	s_xor_b32 s18, s16, vcc_lo
	s_cmp_lt_i32 s23, 11
	v_ashrrev_i32_e32 v3, 31, v2
	s_delay_alu instid0(VALU_DEP_1)
	v_add_nc_u64_e32 v[0:1], s[4:5], v[2:3]
	s_cbranch_scc1 .LBB70_30
; %bb.22:
	s_and_b32 s24, 0xffff, s23
	s_delay_alu instid0(SALU_CYCLE_1)
	s_cmp_gt_i32 s24, 25
	s_cbranch_scc0 .LBB70_33
; %bb.23:
	s_cmp_gt_i32 s24, 28
	s_cbranch_scc0 .LBB70_36
; %bb.24:
	;; [unrolled: 3-line block ×4, first 2 shown]
	s_mov_b32 s26, 0
	s_mov_b32 s0, -1
	s_cmp_eq_u32 s24, 46
	s_mov_b32 s25, 0
	s_cbranch_scc0 .LBB70_155
; %bb.27:
	v_cndmask_b32_e64 v2, 0, 1.0, s18
	s_mov_b32 s25, -1
	s_mov_b32 s0, 0
	s_delay_alu instid0(VALU_DEP_1) | instskip(NEXT) | instid1(VALU_DEP_1)
	v_bfe_u32 v3, v2, 16, 1
	v_add3_u32 v2, v2, v3, 0x7fff
	s_delay_alu instid0(VALU_DEP_1)
	v_lshrrev_b32_e32 v2, 16, v2
	global_store_b32 v[0:1], v2, off
	s_branch .LBB70_155
.LBB70_28:
	s_mov_b32 s23, -1
                                        ; implicit-def: $vgpr0
	s_branch .LBB70_51
.LBB70_29:
	s_mov_b32 s24, -1
	s_mov_b32 s19, 0
	s_mov_b32 s23, 0
                                        ; implicit-def: $vgpr4
	s_branch .LBB70_289
.LBB70_30:
	s_mov_b32 s24, -1
	s_mov_b32 s0, 0
	s_mov_b32 s25, 0
	s_branch .LBB70_224
.LBB70_31:
	s_mov_b32 s23, -1
                                        ; implicit-def: $vgpr0
	s_branch .LBB70_46
.LBB70_32:
	s_mov_b32 s24, -1
	s_mov_b32 s19, 0
	s_mov_b32 s23, 0
                                        ; implicit-def: $vgpr4
	s_branch .LBB70_272
.LBB70_33:
	s_mov_b32 s26, -1
	s_mov_b32 s0, 0
	s_mov_b32 s25, 0
	s_branch .LBB70_182
.LBB70_34:
	s_mov_b32 s23, -1
	s_branch .LBB70_38
.LBB70_35:
	s_mov_b32 s24, -1
	s_mov_b32 s19, 0
	s_mov_b32 s23, 0
                                        ; implicit-def: $vgpr4
	s_branch .LBB70_267
.LBB70_36:
	s_mov_b32 s26, -1
	s_mov_b32 s0, 0
	s_mov_b32 s25, 0
	s_branch .LBB70_165
.LBB70_37:
	s_mov_b32 s20, -1
.LBB70_38:
                                        ; implicit-def: $vgpr0
.LBB70_39:
	s_and_b32 vcc_lo, exec_lo, s23
	s_cbranch_vccz .LBB70_45
; %bb.40:
	s_cmp_eq_u32 s18, 44
	s_cbranch_scc0 .LBB70_44
; %bb.41:
	global_load_u8 v0, v[2:3], off
	s_mov_b32 s20, 0
	s_mov_b32 s19, -1
	s_wait_loadcnt 0x0
	v_lshlrev_b32_e32 v1, 23, v0
	v_cmp_ne_u32_e32 vcc_lo, 0, v0
	s_delay_alu instid0(VALU_DEP_2) | instskip(NEXT) | instid1(VALU_DEP_1)
	v_cvt_i32_f32_e32 v1, v1
	v_cndmask_b32_e32 v0, 0, v1, vcc_lo
	s_branch .LBB70_45
.LBB70_42:
	s_mov_b32 s24, -1
	s_mov_b32 s19, 0
	s_branch .LBB70_150
.LBB70_43:
	s_mov_b32 s26, -1
	s_mov_b32 s0, 0
	s_mov_b32 s25, 0
	s_branch .LBB70_161
.LBB70_44:
	s_mov_b32 s20, -1
                                        ; implicit-def: $vgpr0
.LBB70_45:
	s_mov_b32 s23, 0
.LBB70_46:
	s_delay_alu instid0(SALU_CYCLE_1)
	s_and_b32 vcc_lo, exec_lo, s23
	s_cbranch_vccz .LBB70_50
; %bb.47:
	s_cmp_eq_u32 s18, 29
	s_cbranch_scc0 .LBB70_49
; %bb.48:
	global_load_b64 v[0:1], v[2:3], off
	s_mov_b32 s19, -1
	s_mov_b32 s20, 0
	s_branch .LBB70_50
.LBB70_49:
	s_mov_b32 s20, -1
                                        ; implicit-def: $vgpr0
.LBB70_50:
	s_mov_b32 s23, 0
.LBB70_51:
	s_delay_alu instid0(SALU_CYCLE_1)
	s_and_b32 vcc_lo, exec_lo, s23
	s_cbranch_vccz .LBB70_67
; %bb.52:
	s_cmp_lt_i32 s18, 27
	s_cbranch_scc1 .LBB70_55
; %bb.53:
	s_cmp_gt_i32 s18, 27
	s_cbranch_scc0 .LBB70_56
; %bb.54:
	s_wait_loadcnt 0x0
	global_load_b32 v0, v[2:3], off
	s_mov_b32 s19, 0
	s_branch .LBB70_57
.LBB70_55:
	s_mov_b32 s19, -1
                                        ; implicit-def: $vgpr0
	s_branch .LBB70_60
.LBB70_56:
	s_mov_b32 s19, -1
                                        ; implicit-def: $vgpr0
.LBB70_57:
	s_delay_alu instid0(SALU_CYCLE_1)
	s_and_not1_b32 vcc_lo, exec_lo, s19
	s_cbranch_vccnz .LBB70_59
; %bb.58:
	s_wait_loadcnt 0x0
	global_load_u16 v0, v[2:3], off
.LBB70_59:
	s_mov_b32 s19, 0
.LBB70_60:
	s_delay_alu instid0(SALU_CYCLE_1)
	s_and_not1_b32 vcc_lo, exec_lo, s19
	s_cbranch_vccnz .LBB70_66
; %bb.61:
	s_wait_loadcnt 0x0
	global_load_u8 v1, v[2:3], off
	s_mov_b32 s23, 0
	s_mov_b32 s19, exec_lo
	s_wait_loadcnt 0x0
	v_cmpx_lt_i16_e32 0x7f, v1
	s_xor_b32 s19, exec_lo, s19
	s_cbranch_execz .LBB70_77
; %bb.62:
	v_cmp_ne_u16_e32 vcc_lo, 0x80, v1
	s_and_b32 s23, vcc_lo, exec_lo
	s_and_not1_saveexec_b32 s19, s19
	s_cbranch_execnz .LBB70_78
.LBB70_63:
	s_or_b32 exec_lo, exec_lo, s19
	v_mov_b32_e32 v0, 0
	s_and_saveexec_b32 s19, s23
	s_cbranch_execz .LBB70_65
.LBB70_64:
	v_and_b32_e32 v0, 0xffff, v1
	s_delay_alu instid0(VALU_DEP_1) | instskip(SKIP_1) | instid1(VALU_DEP_2)
	v_and_b32_e32 v4, 7, v0
	v_bfe_u32 v7, v0, 3, 4
	v_clz_i32_u32_e32 v5, v4
	s_delay_alu instid0(VALU_DEP_2) | instskip(NEXT) | instid1(VALU_DEP_2)
	v_cmp_eq_u32_e32 vcc_lo, 0, v7
	v_min_u32_e32 v5, 32, v5
	s_delay_alu instid0(VALU_DEP_1) | instskip(NEXT) | instid1(VALU_DEP_1)
	v_subrev_nc_u32_e32 v6, 28, v5
	v_dual_lshlrev_b32 v0, v6, v0 :: v_dual_sub_nc_u32 v5, 29, v5
	s_delay_alu instid0(VALU_DEP_1) | instskip(NEXT) | instid1(VALU_DEP_1)
	v_dual_lshlrev_b32 v1, 24, v1 :: v_dual_bitop2_b32 v0, 7, v0 bitop3:0x40
	v_dual_cndmask_b32 v0, v4, v0 :: v_dual_cndmask_b32 v5, v7, v5
	s_delay_alu instid0(VALU_DEP_2) | instskip(NEXT) | instid1(VALU_DEP_2)
	v_and_b32_e32 v1, 0x80000000, v1
	v_lshlrev_b32_e32 v0, 20, v0
	s_delay_alu instid0(VALU_DEP_3) | instskip(NEXT) | instid1(VALU_DEP_1)
	v_lshl_add_u32 v4, v5, 23, 0x3b800000
	v_or3_b32 v0, v1, v4, v0
	s_delay_alu instid0(VALU_DEP_1)
	v_cvt_i32_f32_e32 v0, v0
.LBB70_65:
	s_or_b32 exec_lo, exec_lo, s19
.LBB70_66:
	s_mov_b32 s19, -1
.LBB70_67:
	s_branch .LBB70_100
.LBB70_68:
	s_cmp_gt_i32 s18, 22
	s_cbranch_scc0 .LBB70_76
; %bb.69:
	s_cmp_lt_i32 s18, 24
	s_cbranch_scc1 .LBB70_79
; %bb.70:
	s_cmp_gt_i32 s18, 24
	s_cbranch_scc0 .LBB70_80
; %bb.71:
	s_wait_loadcnt 0x0
	global_load_u8 v1, v[2:3], off
	s_mov_b32 s23, 0
	s_mov_b32 s19, exec_lo
	s_wait_loadcnt 0x0
	v_cmpx_lt_i16_e32 0x7f, v1
	s_xor_b32 s19, exec_lo, s19
	s_cbranch_execz .LBB70_92
; %bb.72:
	v_cmp_ne_u16_e32 vcc_lo, 0x80, v1
	s_and_b32 s23, vcc_lo, exec_lo
	s_and_not1_saveexec_b32 s19, s19
	s_cbranch_execnz .LBB70_93
.LBB70_73:
	s_or_b32 exec_lo, exec_lo, s19
	v_mov_b32_e32 v0, 0
	s_and_saveexec_b32 s19, s23
	s_cbranch_execz .LBB70_75
.LBB70_74:
	v_and_b32_e32 v0, 0xffff, v1
	s_delay_alu instid0(VALU_DEP_1) | instskip(SKIP_1) | instid1(VALU_DEP_2)
	v_and_b32_e32 v4, 3, v0
	v_bfe_u32 v7, v0, 2, 5
	v_clz_i32_u32_e32 v5, v4
	s_delay_alu instid0(VALU_DEP_2) | instskip(NEXT) | instid1(VALU_DEP_2)
	v_cmp_eq_u32_e32 vcc_lo, 0, v7
	v_min_u32_e32 v5, 32, v5
	s_delay_alu instid0(VALU_DEP_1) | instskip(NEXT) | instid1(VALU_DEP_1)
	v_subrev_nc_u32_e32 v6, 29, v5
	v_dual_lshlrev_b32 v0, v6, v0 :: v_dual_sub_nc_u32 v5, 30, v5
	s_delay_alu instid0(VALU_DEP_1) | instskip(NEXT) | instid1(VALU_DEP_1)
	v_dual_lshlrev_b32 v1, 24, v1 :: v_dual_bitop2_b32 v0, 3, v0 bitop3:0x40
	v_dual_cndmask_b32 v0, v4, v0 :: v_dual_cndmask_b32 v5, v7, v5
	s_delay_alu instid0(VALU_DEP_2) | instskip(NEXT) | instid1(VALU_DEP_2)
	v_and_b32_e32 v1, 0x80000000, v1
	v_lshlrev_b32_e32 v0, 21, v0
	s_delay_alu instid0(VALU_DEP_3) | instskip(NEXT) | instid1(VALU_DEP_1)
	v_lshl_add_u32 v4, v5, 23, 0x37800000
	v_or3_b32 v0, v1, v4, v0
	s_delay_alu instid0(VALU_DEP_1)
	v_cvt_i32_f32_e32 v0, v0
.LBB70_75:
	s_or_b32 exec_lo, exec_lo, s19
	s_mov_b32 s19, 0
	s_branch .LBB70_81
.LBB70_76:
	s_mov_b32 s23, -1
                                        ; implicit-def: $vgpr0
	s_branch .LBB70_87
.LBB70_77:
	s_and_not1_saveexec_b32 s19, s19
	s_cbranch_execz .LBB70_63
.LBB70_78:
	v_cmp_ne_u16_e32 vcc_lo, 0, v1
	s_and_not1_b32 s23, s23, exec_lo
	s_and_b32 s24, vcc_lo, exec_lo
	s_delay_alu instid0(SALU_CYCLE_1)
	s_or_b32 s23, s23, s24
	s_or_b32 exec_lo, exec_lo, s19
	v_mov_b32_e32 v0, 0
	s_and_saveexec_b32 s19, s23
	s_cbranch_execnz .LBB70_64
	s_branch .LBB70_65
.LBB70_79:
	s_mov_b32 s19, -1
                                        ; implicit-def: $vgpr0
	s_branch .LBB70_84
.LBB70_80:
	s_mov_b32 s19, -1
                                        ; implicit-def: $vgpr0
.LBB70_81:
	s_delay_alu instid0(SALU_CYCLE_1)
	s_and_b32 vcc_lo, exec_lo, s19
	s_cbranch_vccz .LBB70_83
; %bb.82:
	s_wait_loadcnt 0x0
	global_load_u8 v0, v[2:3], off
	s_wait_loadcnt 0x0
	v_lshlrev_b32_e32 v0, 24, v0
	s_delay_alu instid0(VALU_DEP_1) | instskip(NEXT) | instid1(VALU_DEP_1)
	v_and_b32_e32 v1, 0x7f000000, v0
	v_clz_i32_u32_e32 v4, v1
	v_cmp_ne_u32_e32 vcc_lo, 0, v1
	v_add_nc_u32_e32 v6, 0x1000000, v1
	s_delay_alu instid0(VALU_DEP_3) | instskip(NEXT) | instid1(VALU_DEP_1)
	v_min_u32_e32 v4, 32, v4
	v_sub_nc_u32_e64 v4, v4, 4 clamp
	s_delay_alu instid0(VALU_DEP_1) | instskip(NEXT) | instid1(VALU_DEP_1)
	v_dual_lshlrev_b32 v5, v4, v1 :: v_dual_lshlrev_b32 v4, 23, v4
	v_lshrrev_b32_e32 v5, 4, v5
	s_delay_alu instid0(VALU_DEP_1) | instskip(NEXT) | instid1(VALU_DEP_1)
	v_dual_sub_nc_u32 v4, v5, v4 :: v_dual_ashrrev_i32 v5, 8, v6
	v_add_nc_u32_e32 v4, 0x3c000000, v4
	s_delay_alu instid0(VALU_DEP_1) | instskip(NEXT) | instid1(VALU_DEP_1)
	v_and_or_b32 v4, 0x7f800000, v5, v4
	v_cndmask_b32_e32 v1, 0, v4, vcc_lo
	s_delay_alu instid0(VALU_DEP_1) | instskip(NEXT) | instid1(VALU_DEP_1)
	v_and_or_b32 v0, 0x80000000, v0, v1
	v_cvt_i32_f32_e32 v0, v0
.LBB70_83:
	s_mov_b32 s19, 0
.LBB70_84:
	s_delay_alu instid0(SALU_CYCLE_1)
	s_and_not1_b32 vcc_lo, exec_lo, s19
	s_cbranch_vccnz .LBB70_86
; %bb.85:
	s_wait_loadcnt 0x0
	global_load_u8 v0, v[2:3], off
	s_wait_loadcnt 0x0
	v_lshlrev_b32_e32 v1, 25, v0
	v_lshlrev_b16 v0, 8, v0
	s_delay_alu instid0(VALU_DEP_1) | instskip(SKIP_1) | instid1(VALU_DEP_2)
	v_and_or_b32 v5, 0x7f00, v0, 0.5
	v_bfe_i32 v0, v0, 0, 16
	v_add_f32_e32 v5, -0.5, v5
	v_lshrrev_b32_e32 v4, 4, v1
	v_cmp_gt_u32_e32 vcc_lo, 0x8000000, v1
	s_delay_alu instid0(VALU_DEP_2) | instskip(NEXT) | instid1(VALU_DEP_1)
	v_or_b32_e32 v4, 0x70000000, v4
	v_mul_f32_e32 v4, 0x7800000, v4
	s_delay_alu instid0(VALU_DEP_1) | instskip(NEXT) | instid1(VALU_DEP_1)
	v_cndmask_b32_e32 v1, v4, v5, vcc_lo
	v_and_or_b32 v0, 0x80000000, v0, v1
	s_delay_alu instid0(VALU_DEP_1)
	v_cvt_i32_f32_e32 v0, v0
.LBB70_86:
	s_mov_b32 s23, 0
	s_mov_b32 s19, -1
.LBB70_87:
	s_and_not1_b32 vcc_lo, exec_lo, s23
	s_cbranch_vccnz .LBB70_100
; %bb.88:
	s_cmp_gt_i32 s18, 14
	s_cbranch_scc0 .LBB70_91
; %bb.89:
	s_cmp_eq_u32 s18, 15
	s_cbranch_scc0 .LBB70_94
; %bb.90:
	s_wait_loadcnt 0x0
	global_load_u16 v0, v[2:3], off
	s_mov_b32 s19, -1
	s_mov_b32 s20, 0
	s_wait_loadcnt 0x0
	v_lshlrev_b32_e32 v0, 16, v0
	s_delay_alu instid0(VALU_DEP_1)
	v_cvt_i32_f32_e32 v0, v0
	s_branch .LBB70_95
.LBB70_91:
	s_mov_b32 s23, -1
                                        ; implicit-def: $vgpr0
	s_branch .LBB70_96
.LBB70_92:
	s_and_not1_saveexec_b32 s19, s19
	s_cbranch_execz .LBB70_73
.LBB70_93:
	v_cmp_ne_u16_e32 vcc_lo, 0, v1
	s_and_not1_b32 s23, s23, exec_lo
	s_and_b32 s24, vcc_lo, exec_lo
	s_delay_alu instid0(SALU_CYCLE_1)
	s_or_b32 s23, s23, s24
	s_or_b32 exec_lo, exec_lo, s19
	v_mov_b32_e32 v0, 0
	s_and_saveexec_b32 s19, s23
	s_cbranch_execnz .LBB70_74
	s_branch .LBB70_75
.LBB70_94:
	s_mov_b32 s20, -1
                                        ; implicit-def: $vgpr0
.LBB70_95:
	s_mov_b32 s23, 0
.LBB70_96:
	s_delay_alu instid0(SALU_CYCLE_1)
	s_and_b32 vcc_lo, exec_lo, s23
	s_cbranch_vccz .LBB70_100
; %bb.97:
	s_cmp_eq_u32 s18, 11
	s_cbranch_scc0 .LBB70_99
; %bb.98:
	s_wait_loadcnt 0x0
	global_load_u8 v0, v[2:3], off
	s_mov_b32 s20, 0
	s_mov_b32 s19, -1
	s_wait_loadcnt 0x0
	v_cmp_ne_u16_e32 vcc_lo, 0, v0
	v_cndmask_b32_e64 v0, 0, 1, vcc_lo
	s_branch .LBB70_100
.LBB70_99:
	s_mov_b32 s20, -1
                                        ; implicit-def: $vgpr0
.LBB70_100:
	s_branch .LBB70_10
.LBB70_101:
	s_and_b32 s0, 0xffff, s0
	s_delay_alu instid0(SALU_CYCLE_1)
	s_cmp_lt_i32 s0, 5
	s_cbranch_scc1 .LBB70_106
; %bb.102:
	s_cmp_lt_i32 s0, 8
	s_cbranch_scc1 .LBB70_107
; %bb.103:
	;; [unrolled: 3-line block ×3, first 2 shown]
	s_cmp_gt_i32 s0, 9
	s_cbranch_scc0 .LBB70_109
; %bb.105:
	s_wait_loadcnt 0x0
	global_load_b64 v[0:1], v[2:3], off
	s_mov_b32 s18, 0
	s_wait_loadcnt 0x0
	v_cvt_i32_f64_e32 v0, v[0:1]
	s_branch .LBB70_110
.LBB70_106:
                                        ; implicit-def: $vgpr0
	s_branch .LBB70_128
.LBB70_107:
	s_mov_b32 s18, -1
                                        ; implicit-def: $vgpr0
	s_branch .LBB70_116
.LBB70_108:
	s_mov_b32 s18, -1
                                        ; implicit-def: $vgpr0
	s_branch .LBB70_113
.LBB70_109:
	s_mov_b32 s18, -1
                                        ; implicit-def: $vgpr0
.LBB70_110:
	s_delay_alu instid0(SALU_CYCLE_1)
	s_and_not1_b32 vcc_lo, exec_lo, s18
	s_cbranch_vccnz .LBB70_112
; %bb.111:
	s_wait_loadcnt 0x0
	global_load_b32 v0, v[2:3], off
	s_wait_loadcnt 0x0
	v_cvt_i32_f32_e32 v0, v0
.LBB70_112:
	s_mov_b32 s18, 0
.LBB70_113:
	s_delay_alu instid0(SALU_CYCLE_1)
	s_and_not1_b32 vcc_lo, exec_lo, s18
	s_cbranch_vccnz .LBB70_115
; %bb.114:
	s_wait_loadcnt 0x0
	global_load_b32 v0, v[2:3], off
	s_wait_loadcnt 0x0
	v_cvt_i16_f16_e32 v0, v0
.LBB70_115:
	s_mov_b32 s18, 0
.LBB70_116:
	s_delay_alu instid0(SALU_CYCLE_1)
	s_and_not1_b32 vcc_lo, exec_lo, s18
	s_cbranch_vccnz .LBB70_127
; %bb.117:
	s_cmp_lt_i32 s0, 6
	s_cbranch_scc1 .LBB70_120
; %bb.118:
	s_cmp_gt_i32 s0, 6
	s_cbranch_scc0 .LBB70_121
; %bb.119:
	s_wait_loadcnt 0x0
	global_load_b64 v[0:1], v[2:3], off
	s_mov_b32 s18, 0
	s_wait_loadcnt 0x0
	v_cvt_i32_f64_e32 v0, v[0:1]
	s_branch .LBB70_122
.LBB70_120:
	s_mov_b32 s18, -1
                                        ; implicit-def: $vgpr0
	s_branch .LBB70_125
.LBB70_121:
	s_mov_b32 s18, -1
                                        ; implicit-def: $vgpr0
.LBB70_122:
	s_delay_alu instid0(SALU_CYCLE_1)
	s_and_not1_b32 vcc_lo, exec_lo, s18
	s_cbranch_vccnz .LBB70_124
; %bb.123:
	s_wait_loadcnt 0x0
	global_load_b32 v0, v[2:3], off
	s_wait_loadcnt 0x0
	v_cvt_i32_f32_e32 v0, v0
.LBB70_124:
	s_mov_b32 s18, 0
.LBB70_125:
	s_delay_alu instid0(SALU_CYCLE_1)
	s_and_not1_b32 vcc_lo, exec_lo, s18
	s_cbranch_vccnz .LBB70_127
; %bb.126:
	s_wait_loadcnt 0x0
	global_load_u16 v0, v[2:3], off
	s_wait_loadcnt 0x0
	v_cvt_i16_f16_e32 v0, v0
.LBB70_127:
	s_cbranch_execnz .LBB70_147
.LBB70_128:
	s_cmp_lt_i32 s0, 2
	s_cbranch_scc1 .LBB70_132
; %bb.129:
	s_cmp_lt_i32 s0, 3
	s_cbranch_scc1 .LBB70_133
; %bb.130:
	s_cmp_gt_i32 s0, 3
	s_cbranch_scc0 .LBB70_134
; %bb.131:
	s_wait_loadcnt 0x0
	global_load_b64 v[0:1], v[2:3], off
	s_mov_b32 s18, 0
	s_branch .LBB70_135
.LBB70_132:
	s_mov_b32 s18, -1
                                        ; implicit-def: $vgpr0
	s_branch .LBB70_141
.LBB70_133:
	s_mov_b32 s18, -1
                                        ; implicit-def: $vgpr0
	s_branch .LBB70_138
.LBB70_134:
	s_mov_b32 s18, -1
                                        ; implicit-def: $vgpr0
.LBB70_135:
	s_delay_alu instid0(SALU_CYCLE_1)
	s_and_not1_b32 vcc_lo, exec_lo, s18
	s_cbranch_vccnz .LBB70_137
; %bb.136:
	s_wait_loadcnt 0x0
	global_load_b32 v0, v[2:3], off
.LBB70_137:
	s_mov_b32 s18, 0
.LBB70_138:
	s_delay_alu instid0(SALU_CYCLE_1)
	s_and_not1_b32 vcc_lo, exec_lo, s18
	s_cbranch_vccnz .LBB70_140
; %bb.139:
	s_wait_loadcnt 0x0
	global_load_u16 v0, v[2:3], off
.LBB70_140:
	s_mov_b32 s18, 0
.LBB70_141:
	s_delay_alu instid0(SALU_CYCLE_1)
	s_and_not1_b32 vcc_lo, exec_lo, s18
	s_cbranch_vccnz .LBB70_147
; %bb.142:
	s_cmp_gt_i32 s0, 0
	s_mov_b32 s0, 0
	s_cbranch_scc0 .LBB70_144
; %bb.143:
	s_wait_loadcnt 0x0
	global_load_i8 v0, v[2:3], off
	s_branch .LBB70_145
.LBB70_144:
	s_mov_b32 s0, -1
                                        ; implicit-def: $vgpr0
.LBB70_145:
	s_delay_alu instid0(SALU_CYCLE_1)
	s_and_not1_b32 vcc_lo, exec_lo, s0
	s_cbranch_vccnz .LBB70_147
; %bb.146:
	s_wait_loadcnt 0x0
	global_load_u8 v0, v[2:3], off
.LBB70_147:
	s_branch .LBB70_11
.LBB70_148:
	s_mov_b32 s0, 0
	s_mov_b32 s19, 0
	s_branch .LBB70_372
.LBB70_149:
	s_mov_b32 s19, -1
.LBB70_150:
	s_mov_b32 s23, 0
                                        ; implicit-def: $vgpr4
.LBB70_151:
	s_and_b32 vcc_lo, exec_lo, s24
	s_cbranch_vccz .LBB70_266
; %bb.152:
	s_cmp_eq_u32 s18, 44
	s_cbranch_scc0 .LBB70_265
; %bb.153:
	s_wait_loadcnt 0x0
	global_load_u8 v1, v[2:3], off
	s_mov_b32 s19, 0
	s_mov_b32 s23, -1
	s_wait_loadcnt 0x0
	v_lshlrev_b32_e32 v4, 23, v1
	v_cmp_ne_u32_e32 vcc_lo, 0, v1
	s_delay_alu instid0(VALU_DEP_2) | instskip(NEXT) | instid1(VALU_DEP_1)
	v_cvt_i32_f32_e32 v4, v4
	v_cndmask_b32_e32 v4, 0, v4, vcc_lo
	s_branch .LBB70_266
.LBB70_154:
	s_mov_b32 s26, -1
	s_mov_b32 s0, 0
	s_mov_b32 s25, 0
.LBB70_155:
	s_and_b32 vcc_lo, exec_lo, s26
	s_cbranch_vccz .LBB70_160
; %bb.156:
	s_cmp_eq_u32 s24, 44
	s_mov_b32 s0, -1
	s_cbranch_scc0 .LBB70_160
; %bb.157:
	v_cndmask_b32_e64 v4, 0, 1.0, s18
	s_mov_b32 s25, exec_lo
	s_wait_xcnt 0x0
	s_delay_alu instid0(VALU_DEP_1) | instskip(NEXT) | instid1(VALU_DEP_1)
	v_dual_mov_b32 v3, 0xff :: v_dual_lshrrev_b32 v2, 23, v4
	v_cmpx_ne_u32_e32 0xff, v2
; %bb.158:
	v_and_b32_e32 v3, 0x400000, v4
	v_and_or_b32 v4, 0x3fffff, v4, v2
	s_delay_alu instid0(VALU_DEP_2) | instskip(NEXT) | instid1(VALU_DEP_2)
	v_cmp_ne_u32_e32 vcc_lo, 0, v3
	v_cmp_ne_u32_e64 s0, 0, v4
	s_and_b32 s0, vcc_lo, s0
	s_delay_alu instid0(SALU_CYCLE_1) | instskip(NEXT) | instid1(VALU_DEP_1)
	v_cndmask_b32_e64 v3, 0, 1, s0
	v_add_nc_u32_e32 v3, v2, v3
; %bb.159:
	s_or_b32 exec_lo, exec_lo, s25
	s_mov_b32 s25, -1
	s_mov_b32 s0, 0
	global_store_b8 v[0:1], v3, off
.LBB70_160:
	s_mov_b32 s26, 0
.LBB70_161:
	s_delay_alu instid0(SALU_CYCLE_1)
	s_and_b32 vcc_lo, exec_lo, s26
	s_cbranch_vccz .LBB70_164
; %bb.162:
	s_cmp_eq_u32 s24, 29
	s_mov_b32 s0, -1
	s_cbranch_scc0 .LBB70_164
; %bb.163:
	s_mov_b32 s0, 0
	s_wait_xcnt 0x0
	v_cndmask_b32_e64 v2, 0, 1, s18
	v_mov_b32_e32 v3, s0
	s_mov_b32 s25, -1
	s_mov_b32 s26, 0
	global_store_b64 v[0:1], v[2:3], off
	s_branch .LBB70_165
.LBB70_164:
	s_mov_b32 s26, 0
.LBB70_165:
	s_delay_alu instid0(SALU_CYCLE_1)
	s_and_b32 vcc_lo, exec_lo, s26
	s_cbranch_vccz .LBB70_181
; %bb.166:
	s_cmp_lt_i32 s24, 27
	s_mov_b32 s25, -1
	s_cbranch_scc1 .LBB70_172
; %bb.167:
	s_cmp_gt_i32 s24, 27
	s_cbranch_scc0 .LBB70_169
; %bb.168:
	s_wait_xcnt 0x0
	v_cndmask_b32_e64 v2, 0, 1, s18
	s_mov_b32 s25, 0
	global_store_b32 v[0:1], v2, off
.LBB70_169:
	s_and_not1_b32 vcc_lo, exec_lo, s25
	s_cbranch_vccnz .LBB70_171
; %bb.170:
	s_wait_xcnt 0x0
	v_cndmask_b32_e64 v2, 0, 1, s18
	global_store_b16 v[0:1], v2, off
.LBB70_171:
	s_mov_b32 s25, 0
.LBB70_172:
	s_delay_alu instid0(SALU_CYCLE_1)
	s_and_not1_b32 vcc_lo, exec_lo, s25
	s_cbranch_vccnz .LBB70_180
; %bb.173:
	s_wait_xcnt 0x0
	v_cndmask_b32_e64 v3, 0, 1.0, s18
	v_mov_b32_e32 v4, 0x80
	s_mov_b32 s25, exec_lo
	s_delay_alu instid0(VALU_DEP_2)
	v_cmpx_gt_u32_e32 0x43800000, v3
	s_cbranch_execz .LBB70_179
; %bb.174:
	s_mov_b32 s26, 0
	s_mov_b32 s27, exec_lo
                                        ; implicit-def: $vgpr2
	v_cmpx_lt_u32_e32 0x3bffffff, v3
	s_xor_b32 s27, exec_lo, s27
	s_cbranch_execz .LBB70_403
; %bb.175:
	v_bfe_u32 v2, v3, 20, 1
	s_mov_b32 s26, exec_lo
	s_delay_alu instid0(VALU_DEP_1) | instskip(NEXT) | instid1(VALU_DEP_1)
	v_add3_u32 v2, v3, v2, 0x487ffff
                                        ; implicit-def: $vgpr3
	v_lshrrev_b32_e32 v2, 20, v2
	s_and_not1_saveexec_b32 s27, s27
	s_cbranch_execnz .LBB70_404
.LBB70_176:
	s_or_b32 exec_lo, exec_lo, s27
	v_mov_b32_e32 v4, 0
	s_and_saveexec_b32 s27, s26
.LBB70_177:
	v_mov_b32_e32 v4, v2
.LBB70_178:
	s_or_b32 exec_lo, exec_lo, s27
.LBB70_179:
	s_delay_alu instid0(SALU_CYCLE_1)
	s_or_b32 exec_lo, exec_lo, s25
	global_store_b8 v[0:1], v4, off
.LBB70_180:
	s_mov_b32 s25, -1
.LBB70_181:
	s_mov_b32 s26, 0
.LBB70_182:
	s_delay_alu instid0(SALU_CYCLE_1)
	s_and_b32 vcc_lo, exec_lo, s26
	s_cbranch_vccz .LBB70_223
; %bb.183:
	s_cmp_gt_i32 s24, 22
	s_mov_b32 s26, -1
	s_cbranch_scc0 .LBB70_215
; %bb.184:
	s_cmp_lt_i32 s24, 24
	s_mov_b32 s25, -1
	s_cbranch_scc1 .LBB70_204
; %bb.185:
	s_cmp_gt_i32 s24, 24
	s_cbranch_scc0 .LBB70_193
; %bb.186:
	s_wait_xcnt 0x0
	v_cndmask_b32_e64 v3, 0, 1.0, s18
	v_mov_b32_e32 v4, 0x80
	s_mov_b32 s25, exec_lo
	s_delay_alu instid0(VALU_DEP_2)
	v_cmpx_gt_u32_e32 0x47800000, v3
	s_cbranch_execz .LBB70_192
; %bb.187:
	s_mov_b32 s26, 0
	s_mov_b32 s27, exec_lo
                                        ; implicit-def: $vgpr2
	v_cmpx_lt_u32_e32 0x37ffffff, v3
	s_xor_b32 s27, exec_lo, s27
	s_cbranch_execz .LBB70_518
; %bb.188:
	v_bfe_u32 v2, v3, 21, 1
	s_mov_b32 s26, exec_lo
	s_delay_alu instid0(VALU_DEP_1) | instskip(NEXT) | instid1(VALU_DEP_1)
	v_add3_u32 v2, v3, v2, 0x88fffff
                                        ; implicit-def: $vgpr3
	v_lshrrev_b32_e32 v2, 21, v2
	s_and_not1_saveexec_b32 s27, s27
	s_cbranch_execnz .LBB70_519
.LBB70_189:
	s_or_b32 exec_lo, exec_lo, s27
	v_mov_b32_e32 v4, 0
	s_and_saveexec_b32 s27, s26
.LBB70_190:
	v_mov_b32_e32 v4, v2
.LBB70_191:
	s_or_b32 exec_lo, exec_lo, s27
.LBB70_192:
	s_delay_alu instid0(SALU_CYCLE_1)
	s_or_b32 exec_lo, exec_lo, s25
	s_mov_b32 s25, 0
	global_store_b8 v[0:1], v4, off
.LBB70_193:
	s_and_b32 vcc_lo, exec_lo, s25
	s_cbranch_vccz .LBB70_203
; %bb.194:
	s_wait_xcnt 0x0
	v_cndmask_b32_e64 v3, 0, 1.0, s18
	s_mov_b32 s25, exec_lo
                                        ; implicit-def: $vgpr2
	s_delay_alu instid0(VALU_DEP_1)
	v_cmpx_gt_u32_e32 0x43f00000, v3
	s_xor_b32 s25, exec_lo, s25
	s_cbranch_execz .LBB70_200
; %bb.195:
	s_mov_b32 s26, exec_lo
                                        ; implicit-def: $vgpr2
	v_cmpx_lt_u32_e32 0x3c7fffff, v3
	s_xor_b32 s26, exec_lo, s26
; %bb.196:
	v_bfe_u32 v2, v3, 20, 1
	s_delay_alu instid0(VALU_DEP_1) | instskip(NEXT) | instid1(VALU_DEP_1)
	v_add3_u32 v2, v3, v2, 0x407ffff
	v_and_b32_e32 v3, 0xff00000, v2
	v_lshrrev_b32_e32 v2, 20, v2
	s_delay_alu instid0(VALU_DEP_2) | instskip(NEXT) | instid1(VALU_DEP_2)
	v_cmp_ne_u32_e32 vcc_lo, 0x7f00000, v3
                                        ; implicit-def: $vgpr3
	v_cndmask_b32_e32 v2, 0x7e, v2, vcc_lo
; %bb.197:
	s_and_not1_saveexec_b32 s26, s26
; %bb.198:
	v_add_f32_e32 v2, 0x46800000, v3
; %bb.199:
	s_or_b32 exec_lo, exec_lo, s26
                                        ; implicit-def: $vgpr3
.LBB70_200:
	s_and_not1_saveexec_b32 s25, s25
; %bb.201:
	v_mov_b32_e32 v2, 0x7f
	v_cmp_lt_u32_e32 vcc_lo, 0x7f800000, v3
	s_delay_alu instid0(VALU_DEP_2)
	v_cndmask_b32_e32 v2, 0x7e, v2, vcc_lo
; %bb.202:
	s_or_b32 exec_lo, exec_lo, s25
	global_store_b8 v[0:1], v2, off
.LBB70_203:
	s_mov_b32 s25, 0
.LBB70_204:
	s_delay_alu instid0(SALU_CYCLE_1)
	s_and_not1_b32 vcc_lo, exec_lo, s25
	s_cbranch_vccnz .LBB70_214
; %bb.205:
	s_wait_xcnt 0x0
	v_cndmask_b32_e64 v3, 0, 1.0, s18
	s_mov_b32 s25, exec_lo
                                        ; implicit-def: $vgpr2
	s_delay_alu instid0(VALU_DEP_1)
	v_cmpx_gt_u32_e32 0x47800000, v3
	s_xor_b32 s25, exec_lo, s25
	s_cbranch_execz .LBB70_211
; %bb.206:
	s_mov_b32 s26, exec_lo
                                        ; implicit-def: $vgpr2
	v_cmpx_lt_u32_e32 0x387fffff, v3
	s_xor_b32 s26, exec_lo, s26
; %bb.207:
	v_bfe_u32 v2, v3, 21, 1
	s_delay_alu instid0(VALU_DEP_1) | instskip(NEXT) | instid1(VALU_DEP_1)
	v_add3_u32 v2, v3, v2, 0x80fffff
                                        ; implicit-def: $vgpr3
	v_lshrrev_b32_e32 v2, 21, v2
; %bb.208:
	s_and_not1_saveexec_b32 s26, s26
; %bb.209:
	v_add_f32_e32 v2, 0x43000000, v3
; %bb.210:
	s_or_b32 exec_lo, exec_lo, s26
                                        ; implicit-def: $vgpr3
.LBB70_211:
	s_and_not1_saveexec_b32 s25, s25
; %bb.212:
	v_mov_b32_e32 v2, 0x7f
	v_cmp_lt_u32_e32 vcc_lo, 0x7f800000, v3
	s_delay_alu instid0(VALU_DEP_2)
	v_cndmask_b32_e32 v2, 0x7c, v2, vcc_lo
; %bb.213:
	s_or_b32 exec_lo, exec_lo, s25
	global_store_b8 v[0:1], v2, off
.LBB70_214:
	s_mov_b32 s26, 0
	s_mov_b32 s25, -1
.LBB70_215:
	s_and_not1_b32 vcc_lo, exec_lo, s26
	s_cbranch_vccnz .LBB70_223
; %bb.216:
	s_cmp_gt_i32 s24, 14
	s_mov_b32 s26, -1
	s_cbranch_scc0 .LBB70_220
; %bb.217:
	s_cmp_eq_u32 s24, 15
	s_mov_b32 s0, -1
	s_cbranch_scc0 .LBB70_219
; %bb.218:
	s_wait_xcnt 0x0
	v_cndmask_b32_e64 v2, 0, 1.0, s18
	s_mov_b32 s25, -1
	s_mov_b32 s0, 0
	s_delay_alu instid0(VALU_DEP_1) | instskip(NEXT) | instid1(VALU_DEP_1)
	v_bfe_u32 v3, v2, 16, 1
	v_add3_u32 v2, v2, v3, 0x7fff
	global_store_d16_hi_b16 v[0:1], v2, off
.LBB70_219:
	s_mov_b32 s26, 0
.LBB70_220:
	s_delay_alu instid0(SALU_CYCLE_1)
	s_and_b32 vcc_lo, exec_lo, s26
	s_cbranch_vccz .LBB70_223
; %bb.221:
	s_cmp_eq_u32 s24, 11
	s_mov_b32 s0, -1
	s_cbranch_scc0 .LBB70_223
; %bb.222:
	s_wait_xcnt 0x0
	v_cndmask_b32_e64 v2, 0, 1, s18
	s_mov_b32 s25, -1
	s_mov_b32 s0, 0
	global_store_b8 v[0:1], v2, off
.LBB70_223:
	s_mov_b32 s24, 0
.LBB70_224:
	s_delay_alu instid0(SALU_CYCLE_1)
	s_and_b32 vcc_lo, exec_lo, s24
	s_cbranch_vccz .LBB70_263
; %bb.225:
	s_and_b32 s23, 0xffff, s23
	s_mov_b32 s24, -1
	s_cmp_lt_i32 s23, 5
	s_cbranch_scc1 .LBB70_246
; %bb.226:
	s_cmp_lt_i32 s23, 8
	s_cbranch_scc1 .LBB70_236
; %bb.227:
	;; [unrolled: 3-line block ×3, first 2 shown]
	s_cmp_gt_i32 s23, 9
	s_cbranch_scc0 .LBB70_230
; %bb.229:
	s_wait_xcnt 0x0
	v_cndmask_b32_e64 v2, 0, 1, s18
	v_mov_b32_e32 v4, 0
	s_mov_b32 s24, 0
	s_delay_alu instid0(VALU_DEP_2) | instskip(NEXT) | instid1(VALU_DEP_2)
	v_cvt_f64_u32_e32 v[2:3], v2
	v_mov_b32_e32 v5, v4
	global_store_b128 v[0:1], v[2:5], off
.LBB70_230:
	s_and_not1_b32 vcc_lo, exec_lo, s24
	s_cbranch_vccnz .LBB70_232
; %bb.231:
	s_wait_xcnt 0x0
	v_cndmask_b32_e64 v2, 0, 1.0, s18
	v_mov_b32_e32 v3, 0
	global_store_b64 v[0:1], v[2:3], off
.LBB70_232:
	s_mov_b32 s24, 0
.LBB70_233:
	s_delay_alu instid0(SALU_CYCLE_1)
	s_and_not1_b32 vcc_lo, exec_lo, s24
	s_cbranch_vccnz .LBB70_235
; %bb.234:
	s_wait_xcnt 0x0
	v_cndmask_b32_e64 v2, 0, 1.0, s18
	s_delay_alu instid0(VALU_DEP_1) | instskip(NEXT) | instid1(VALU_DEP_1)
	v_cvt_f16_f32_e32 v2, v2
	v_and_b32_e32 v2, 0xffff, v2
	global_store_b32 v[0:1], v2, off
.LBB70_235:
	s_mov_b32 s24, 0
.LBB70_236:
	s_delay_alu instid0(SALU_CYCLE_1)
	s_and_not1_b32 vcc_lo, exec_lo, s24
	s_cbranch_vccnz .LBB70_245
; %bb.237:
	s_cmp_lt_i32 s23, 6
	s_mov_b32 s24, -1
	s_cbranch_scc1 .LBB70_243
; %bb.238:
	s_cmp_gt_i32 s23, 6
	s_cbranch_scc0 .LBB70_240
; %bb.239:
	s_wait_xcnt 0x0
	v_cndmask_b32_e64 v2, 0, 1, s18
	s_mov_b32 s24, 0
	s_delay_alu instid0(VALU_DEP_1)
	v_cvt_f64_u32_e32 v[2:3], v2
	global_store_b64 v[0:1], v[2:3], off
.LBB70_240:
	s_and_not1_b32 vcc_lo, exec_lo, s24
	s_cbranch_vccnz .LBB70_242
; %bb.241:
	s_wait_xcnt 0x0
	v_cndmask_b32_e64 v2, 0, 1.0, s18
	global_store_b32 v[0:1], v2, off
.LBB70_242:
	s_mov_b32 s24, 0
.LBB70_243:
	s_delay_alu instid0(SALU_CYCLE_1)
	s_and_not1_b32 vcc_lo, exec_lo, s24
	s_cbranch_vccnz .LBB70_245
; %bb.244:
	s_wait_xcnt 0x0
	v_cndmask_b32_e64 v2, 0, 1.0, s18
	s_delay_alu instid0(VALU_DEP_1)
	v_cvt_f16_f32_e32 v2, v2
	global_store_b16 v[0:1], v2, off
.LBB70_245:
	s_mov_b32 s24, 0
.LBB70_246:
	s_delay_alu instid0(SALU_CYCLE_1)
	s_and_not1_b32 vcc_lo, exec_lo, s24
	s_cbranch_vccnz .LBB70_262
; %bb.247:
	s_cmp_lt_i32 s23, 2
	s_mov_b32 s24, -1
	s_cbranch_scc1 .LBB70_257
; %bb.248:
	s_cmp_lt_i32 s23, 3
	s_cbranch_scc1 .LBB70_254
; %bb.249:
	s_cmp_gt_i32 s23, 3
	s_cbranch_scc0 .LBB70_251
; %bb.250:
	s_mov_b32 s24, 0
	s_wait_xcnt 0x0
	v_cndmask_b32_e64 v2, 0, 1, s18
	v_mov_b32_e32 v3, s24
	global_store_b64 v[0:1], v[2:3], off
.LBB70_251:
	s_and_not1_b32 vcc_lo, exec_lo, s24
	s_cbranch_vccnz .LBB70_253
; %bb.252:
	s_wait_xcnt 0x0
	v_cndmask_b32_e64 v2, 0, 1, s18
	global_store_b32 v[0:1], v2, off
.LBB70_253:
	s_mov_b32 s24, 0
.LBB70_254:
	s_delay_alu instid0(SALU_CYCLE_1)
	s_and_not1_b32 vcc_lo, exec_lo, s24
	s_cbranch_vccnz .LBB70_256
; %bb.255:
	s_wait_xcnt 0x0
	v_cndmask_b32_e64 v2, 0, 1, s18
	global_store_b16 v[0:1], v2, off
.LBB70_256:
	s_mov_b32 s24, 0
.LBB70_257:
	s_delay_alu instid0(SALU_CYCLE_1)
	s_and_not1_b32 vcc_lo, exec_lo, s24
	s_cbranch_vccnz .LBB70_262
; %bb.258:
	s_wait_xcnt 0x0
	v_cndmask_b32_e64 v2, 0, 1, s18
	s_cmp_gt_i32 s23, 0
	s_mov_b32 s18, -1
	s_cbranch_scc0 .LBB70_260
; %bb.259:
	s_mov_b32 s18, 0
	global_store_b8 v[0:1], v2, off
.LBB70_260:
	s_and_not1_b32 vcc_lo, exec_lo, s18
	s_cbranch_vccnz .LBB70_262
; %bb.261:
	global_store_b8 v[0:1], v2, off
.LBB70_262:
	s_mov_b32 s25, -1
.LBB70_263:
	s_delay_alu instid0(SALU_CYCLE_1)
	s_and_not1_b32 vcc_lo, exec_lo, s25
	s_cbranch_vccnz .LBB70_372
; %bb.264:
	v_add_nc_u32_e32 v18, 0x80, v18
	s_mov_b32 s23, -1
	s_branch .LBB70_373
.LBB70_265:
	s_mov_b32 s19, -1
                                        ; implicit-def: $vgpr4
.LBB70_266:
	s_mov_b32 s24, 0
.LBB70_267:
	s_delay_alu instid0(SALU_CYCLE_1)
	s_and_b32 vcc_lo, exec_lo, s24
	s_cbranch_vccz .LBB70_271
; %bb.268:
	s_cmp_eq_u32 s18, 29
	s_cbranch_scc0 .LBB70_270
; %bb.269:
	global_load_b64 v[4:5], v[2:3], off
	s_mov_b32 s23, -1
	s_mov_b32 s19, 0
	s_branch .LBB70_271
.LBB70_270:
	s_mov_b32 s19, -1
                                        ; implicit-def: $vgpr4
.LBB70_271:
	s_mov_b32 s24, 0
.LBB70_272:
	s_delay_alu instid0(SALU_CYCLE_1)
	s_and_b32 vcc_lo, exec_lo, s24
	s_cbranch_vccz .LBB70_288
; %bb.273:
	s_cmp_lt_i32 s18, 27
	s_cbranch_scc1 .LBB70_276
; %bb.274:
	s_cmp_gt_i32 s18, 27
	s_cbranch_scc0 .LBB70_277
; %bb.275:
	s_wait_loadcnt 0x0
	global_load_b32 v4, v[2:3], off
	s_mov_b32 s23, 0
	s_branch .LBB70_278
.LBB70_276:
	s_mov_b32 s23, -1
                                        ; implicit-def: $vgpr4
	s_branch .LBB70_281
.LBB70_277:
	s_mov_b32 s23, -1
                                        ; implicit-def: $vgpr4
.LBB70_278:
	s_delay_alu instid0(SALU_CYCLE_1)
	s_and_not1_b32 vcc_lo, exec_lo, s23
	s_cbranch_vccnz .LBB70_280
; %bb.279:
	s_wait_loadcnt 0x0
	global_load_u16 v4, v[2:3], off
.LBB70_280:
	s_mov_b32 s23, 0
.LBB70_281:
	s_delay_alu instid0(SALU_CYCLE_1)
	s_and_not1_b32 vcc_lo, exec_lo, s23
	s_cbranch_vccnz .LBB70_287
; %bb.282:
	s_wait_loadcnt 0x0
	global_load_u8 v1, v[2:3], off
	s_mov_b32 s24, 0
	s_mov_b32 s23, exec_lo
	s_wait_loadcnt 0x0
	v_cmpx_lt_i16_e32 0x7f, v1
	s_xor_b32 s23, exec_lo, s23
	s_cbranch_execz .LBB70_299
; %bb.283:
	v_cmp_ne_u16_e32 vcc_lo, 0x80, v1
	s_and_b32 s24, vcc_lo, exec_lo
	s_and_not1_saveexec_b32 s23, s23
	s_cbranch_execnz .LBB70_300
.LBB70_284:
	s_or_b32 exec_lo, exec_lo, s23
	v_mov_b32_e32 v4, 0
	s_and_saveexec_b32 s23, s24
	s_cbranch_execz .LBB70_286
.LBB70_285:
	v_and_b32_e32 v4, 0xffff, v1
	s_delay_alu instid0(VALU_DEP_1) | instskip(SKIP_1) | instid1(VALU_DEP_2)
	v_and_b32_e32 v5, 7, v4
	v_bfe_u32 v8, v4, 3, 4
	v_clz_i32_u32_e32 v6, v5
	s_delay_alu instid0(VALU_DEP_2) | instskip(NEXT) | instid1(VALU_DEP_2)
	v_cmp_eq_u32_e32 vcc_lo, 0, v8
	v_min_u32_e32 v6, 32, v6
	s_delay_alu instid0(VALU_DEP_1) | instskip(NEXT) | instid1(VALU_DEP_1)
	v_subrev_nc_u32_e32 v7, 28, v6
	v_dual_lshlrev_b32 v4, v7, v4 :: v_dual_sub_nc_u32 v6, 29, v6
	s_delay_alu instid0(VALU_DEP_1) | instskip(NEXT) | instid1(VALU_DEP_1)
	v_dual_lshlrev_b32 v1, 24, v1 :: v_dual_bitop2_b32 v4, 7, v4 bitop3:0x40
	v_dual_cndmask_b32 v6, v8, v6, vcc_lo :: v_dual_cndmask_b32 v4, v5, v4, vcc_lo
	s_delay_alu instid0(VALU_DEP_2) | instskip(NEXT) | instid1(VALU_DEP_2)
	v_and_b32_e32 v1, 0x80000000, v1
	v_lshl_add_u32 v5, v6, 23, 0x3b800000
	s_delay_alu instid0(VALU_DEP_3) | instskip(NEXT) | instid1(VALU_DEP_1)
	v_lshlrev_b32_e32 v4, 20, v4
	v_or3_b32 v1, v1, v5, v4
	s_delay_alu instid0(VALU_DEP_1)
	v_cvt_i32_f32_e32 v4, v1
.LBB70_286:
	s_or_b32 exec_lo, exec_lo, s23
.LBB70_287:
	s_mov_b32 s23, -1
.LBB70_288:
	s_mov_b32 s24, 0
.LBB70_289:
	s_delay_alu instid0(SALU_CYCLE_1)
	s_and_b32 vcc_lo, exec_lo, s24
	s_cbranch_vccz .LBB70_322
; %bb.290:
	s_cmp_gt_i32 s18, 22
	s_cbranch_scc0 .LBB70_298
; %bb.291:
	s_cmp_lt_i32 s18, 24
	s_cbranch_scc1 .LBB70_301
; %bb.292:
	s_cmp_gt_i32 s18, 24
	s_cbranch_scc0 .LBB70_302
; %bb.293:
	s_wait_loadcnt 0x0
	global_load_u8 v1, v[2:3], off
	s_mov_b32 s24, 0
	s_mov_b32 s23, exec_lo
	s_wait_loadcnt 0x0
	v_cmpx_lt_i16_e32 0x7f, v1
	s_xor_b32 s23, exec_lo, s23
	s_cbranch_execz .LBB70_314
; %bb.294:
	v_cmp_ne_u16_e32 vcc_lo, 0x80, v1
	s_and_b32 s24, vcc_lo, exec_lo
	s_and_not1_saveexec_b32 s23, s23
	s_cbranch_execnz .LBB70_315
.LBB70_295:
	s_or_b32 exec_lo, exec_lo, s23
	v_mov_b32_e32 v4, 0
	s_and_saveexec_b32 s23, s24
	s_cbranch_execz .LBB70_297
.LBB70_296:
	v_and_b32_e32 v4, 0xffff, v1
	s_delay_alu instid0(VALU_DEP_1) | instskip(SKIP_1) | instid1(VALU_DEP_2)
	v_and_b32_e32 v5, 3, v4
	v_bfe_u32 v8, v4, 2, 5
	v_clz_i32_u32_e32 v6, v5
	s_delay_alu instid0(VALU_DEP_2) | instskip(NEXT) | instid1(VALU_DEP_2)
	v_cmp_eq_u32_e32 vcc_lo, 0, v8
	v_min_u32_e32 v6, 32, v6
	s_delay_alu instid0(VALU_DEP_1) | instskip(NEXT) | instid1(VALU_DEP_1)
	v_subrev_nc_u32_e32 v7, 29, v6
	v_dual_lshlrev_b32 v4, v7, v4 :: v_dual_sub_nc_u32 v6, 30, v6
	s_delay_alu instid0(VALU_DEP_1) | instskip(NEXT) | instid1(VALU_DEP_1)
	v_dual_lshlrev_b32 v1, 24, v1 :: v_dual_bitop2_b32 v4, 3, v4 bitop3:0x40
	v_dual_cndmask_b32 v6, v8, v6, vcc_lo :: v_dual_cndmask_b32 v4, v5, v4, vcc_lo
	s_delay_alu instid0(VALU_DEP_2) | instskip(NEXT) | instid1(VALU_DEP_2)
	v_and_b32_e32 v1, 0x80000000, v1
	v_lshl_add_u32 v5, v6, 23, 0x37800000
	s_delay_alu instid0(VALU_DEP_3) | instskip(NEXT) | instid1(VALU_DEP_1)
	v_lshlrev_b32_e32 v4, 21, v4
	v_or3_b32 v1, v1, v5, v4
	s_delay_alu instid0(VALU_DEP_1)
	v_cvt_i32_f32_e32 v4, v1
.LBB70_297:
	s_or_b32 exec_lo, exec_lo, s23
	s_mov_b32 s23, 0
	s_branch .LBB70_303
.LBB70_298:
	s_mov_b32 s24, -1
                                        ; implicit-def: $vgpr4
	s_branch .LBB70_309
.LBB70_299:
	s_and_not1_saveexec_b32 s23, s23
	s_cbranch_execz .LBB70_284
.LBB70_300:
	v_cmp_ne_u16_e32 vcc_lo, 0, v1
	s_and_not1_b32 s24, s24, exec_lo
	s_and_b32 s25, vcc_lo, exec_lo
	s_delay_alu instid0(SALU_CYCLE_1)
	s_or_b32 s24, s24, s25
	s_or_b32 exec_lo, exec_lo, s23
	v_mov_b32_e32 v4, 0
	s_and_saveexec_b32 s23, s24
	s_cbranch_execnz .LBB70_285
	s_branch .LBB70_286
.LBB70_301:
	s_mov_b32 s23, -1
                                        ; implicit-def: $vgpr4
	s_branch .LBB70_306
.LBB70_302:
	s_mov_b32 s23, -1
                                        ; implicit-def: $vgpr4
.LBB70_303:
	s_delay_alu instid0(SALU_CYCLE_1)
	s_and_b32 vcc_lo, exec_lo, s23
	s_cbranch_vccz .LBB70_305
; %bb.304:
	s_wait_loadcnt 0x0
	global_load_u8 v1, v[2:3], off
	s_wait_loadcnt 0x0
	v_lshlrev_b32_e32 v1, 24, v1
	s_delay_alu instid0(VALU_DEP_1) | instskip(NEXT) | instid1(VALU_DEP_1)
	v_and_b32_e32 v4, 0x7f000000, v1
	v_clz_i32_u32_e32 v5, v4
	v_cmp_ne_u32_e32 vcc_lo, 0, v4
	v_add_nc_u32_e32 v7, 0x1000000, v4
	s_delay_alu instid0(VALU_DEP_3) | instskip(NEXT) | instid1(VALU_DEP_1)
	v_min_u32_e32 v5, 32, v5
	v_sub_nc_u32_e64 v5, v5, 4 clamp
	s_delay_alu instid0(VALU_DEP_1) | instskip(NEXT) | instid1(VALU_DEP_1)
	v_dual_lshlrev_b32 v6, v5, v4 :: v_dual_lshlrev_b32 v5, 23, v5
	v_lshrrev_b32_e32 v6, 4, v6
	s_delay_alu instid0(VALU_DEP_1) | instskip(NEXT) | instid1(VALU_DEP_1)
	v_dual_sub_nc_u32 v5, v6, v5 :: v_dual_ashrrev_i32 v6, 8, v7
	v_add_nc_u32_e32 v5, 0x3c000000, v5
	s_delay_alu instid0(VALU_DEP_1) | instskip(NEXT) | instid1(VALU_DEP_1)
	v_and_or_b32 v5, 0x7f800000, v6, v5
	v_cndmask_b32_e32 v4, 0, v5, vcc_lo
	s_delay_alu instid0(VALU_DEP_1) | instskip(NEXT) | instid1(VALU_DEP_1)
	v_and_or_b32 v1, 0x80000000, v1, v4
	v_cvt_i32_f32_e32 v4, v1
.LBB70_305:
	s_mov_b32 s23, 0
.LBB70_306:
	s_delay_alu instid0(SALU_CYCLE_1)
	s_and_not1_b32 vcc_lo, exec_lo, s23
	s_cbranch_vccnz .LBB70_308
; %bb.307:
	s_wait_loadcnt 0x0
	global_load_u8 v1, v[2:3], off
	s_wait_loadcnt 0x0
	v_lshlrev_b32_e32 v4, 25, v1
	v_lshlrev_b16 v1, 8, v1
	s_delay_alu instid0(VALU_DEP_1) | instskip(SKIP_1) | instid1(VALU_DEP_2)
	v_and_or_b32 v6, 0x7f00, v1, 0.5
	v_bfe_i32 v1, v1, 0, 16
	v_dual_add_f32 v6, -0.5, v6 :: v_dual_lshrrev_b32 v5, 4, v4
	v_cmp_gt_u32_e32 vcc_lo, 0x8000000, v4
	s_delay_alu instid0(VALU_DEP_2) | instskip(NEXT) | instid1(VALU_DEP_1)
	v_or_b32_e32 v5, 0x70000000, v5
	v_mul_f32_e32 v5, 0x7800000, v5
	s_delay_alu instid0(VALU_DEP_1) | instskip(NEXT) | instid1(VALU_DEP_1)
	v_cndmask_b32_e32 v4, v5, v6, vcc_lo
	v_and_or_b32 v1, 0x80000000, v1, v4
	s_delay_alu instid0(VALU_DEP_1)
	v_cvt_i32_f32_e32 v4, v1
.LBB70_308:
	s_mov_b32 s24, 0
	s_mov_b32 s23, -1
.LBB70_309:
	s_and_not1_b32 vcc_lo, exec_lo, s24
	s_cbranch_vccnz .LBB70_322
; %bb.310:
	s_cmp_gt_i32 s18, 14
	s_cbranch_scc0 .LBB70_313
; %bb.311:
	s_cmp_eq_u32 s18, 15
	s_cbranch_scc0 .LBB70_316
; %bb.312:
	s_wait_loadcnt 0x0
	global_load_u16 v1, v[2:3], off
	s_mov_b32 s23, -1
	s_mov_b32 s19, 0
	s_wait_loadcnt 0x0
	v_lshlrev_b32_e32 v1, 16, v1
	s_delay_alu instid0(VALU_DEP_1)
	v_cvt_i32_f32_e32 v4, v1
	s_branch .LBB70_317
.LBB70_313:
	s_mov_b32 s24, -1
                                        ; implicit-def: $vgpr4
	s_branch .LBB70_318
.LBB70_314:
	s_and_not1_saveexec_b32 s23, s23
	s_cbranch_execz .LBB70_295
.LBB70_315:
	v_cmp_ne_u16_e32 vcc_lo, 0, v1
	s_and_not1_b32 s24, s24, exec_lo
	s_and_b32 s25, vcc_lo, exec_lo
	s_delay_alu instid0(SALU_CYCLE_1)
	s_or_b32 s24, s24, s25
	s_or_b32 exec_lo, exec_lo, s23
	v_mov_b32_e32 v4, 0
	s_and_saveexec_b32 s23, s24
	s_cbranch_execnz .LBB70_296
	s_branch .LBB70_297
.LBB70_316:
	s_mov_b32 s19, -1
                                        ; implicit-def: $vgpr4
.LBB70_317:
	s_mov_b32 s24, 0
.LBB70_318:
	s_delay_alu instid0(SALU_CYCLE_1)
	s_and_b32 vcc_lo, exec_lo, s24
	s_cbranch_vccz .LBB70_322
; %bb.319:
	s_cmp_eq_u32 s18, 11
	s_cbranch_scc0 .LBB70_321
; %bb.320:
	s_wait_loadcnt 0x0
	global_load_u8 v1, v[2:3], off
	s_mov_b32 s19, 0
	s_mov_b32 s23, -1
	s_wait_loadcnt 0x0
	v_cmp_ne_u16_e32 vcc_lo, 0, v1
	v_cndmask_b32_e64 v4, 0, 1, vcc_lo
	s_branch .LBB70_322
.LBB70_321:
	s_mov_b32 s19, -1
                                        ; implicit-def: $vgpr4
.LBB70_322:
	s_branch .LBB70_20
.LBB70_323:
	s_and_b32 s0, 0xffff, s0
	s_delay_alu instid0(SALU_CYCLE_1)
	s_cmp_lt_i32 s0, 5
	s_cbranch_scc1 .LBB70_328
; %bb.324:
	s_cmp_lt_i32 s0, 8
	s_cbranch_scc1 .LBB70_329
; %bb.325:
	;; [unrolled: 3-line block ×3, first 2 shown]
	s_cmp_gt_i32 s0, 9
	s_cbranch_scc0 .LBB70_331
; %bb.327:
	s_wait_loadcnt 0x0
	global_load_b64 v[4:5], v[2:3], off
	s_mov_b32 s18, 0
	s_wait_loadcnt 0x0
	v_cvt_i32_f64_e32 v4, v[4:5]
	s_branch .LBB70_332
.LBB70_328:
	s_mov_b32 s18, -1
                                        ; implicit-def: $vgpr4
	s_branch .LBB70_350
.LBB70_329:
	s_mov_b32 s18, -1
                                        ; implicit-def: $vgpr4
	s_branch .LBB70_338
.LBB70_330:
	s_mov_b32 s18, -1
                                        ; implicit-def: $vgpr4
	s_branch .LBB70_335
.LBB70_331:
	s_mov_b32 s18, -1
                                        ; implicit-def: $vgpr4
.LBB70_332:
	s_delay_alu instid0(SALU_CYCLE_1)
	s_and_not1_b32 vcc_lo, exec_lo, s18
	s_cbranch_vccnz .LBB70_334
; %bb.333:
	s_wait_loadcnt 0x0
	global_load_b32 v1, v[2:3], off
	s_wait_loadcnt 0x0
	v_cvt_i32_f32_e32 v4, v1
.LBB70_334:
	s_mov_b32 s18, 0
.LBB70_335:
	s_delay_alu instid0(SALU_CYCLE_1)
	s_and_not1_b32 vcc_lo, exec_lo, s18
	s_cbranch_vccnz .LBB70_337
; %bb.336:
	s_wait_loadcnt 0x0
	global_load_b32 v1, v[2:3], off
	s_wait_loadcnt 0x0
	v_cvt_i16_f16_e32 v4, v1
.LBB70_337:
	s_mov_b32 s18, 0
.LBB70_338:
	s_delay_alu instid0(SALU_CYCLE_1)
	s_and_not1_b32 vcc_lo, exec_lo, s18
	s_cbranch_vccnz .LBB70_349
; %bb.339:
	s_cmp_lt_i32 s0, 6
	s_cbranch_scc1 .LBB70_342
; %bb.340:
	s_cmp_gt_i32 s0, 6
	s_cbranch_scc0 .LBB70_343
; %bb.341:
	s_wait_loadcnt 0x0
	global_load_b64 v[4:5], v[2:3], off
	s_mov_b32 s18, 0
	s_wait_loadcnt 0x0
	v_cvt_i32_f64_e32 v4, v[4:5]
	s_branch .LBB70_344
.LBB70_342:
	s_mov_b32 s18, -1
                                        ; implicit-def: $vgpr4
	s_branch .LBB70_347
.LBB70_343:
	s_mov_b32 s18, -1
                                        ; implicit-def: $vgpr4
.LBB70_344:
	s_delay_alu instid0(SALU_CYCLE_1)
	s_and_not1_b32 vcc_lo, exec_lo, s18
	s_cbranch_vccnz .LBB70_346
; %bb.345:
	s_wait_loadcnt 0x0
	global_load_b32 v1, v[2:3], off
	s_wait_loadcnt 0x0
	v_cvt_i32_f32_e32 v4, v1
.LBB70_346:
	s_mov_b32 s18, 0
.LBB70_347:
	s_delay_alu instid0(SALU_CYCLE_1)
	s_and_not1_b32 vcc_lo, exec_lo, s18
	s_cbranch_vccnz .LBB70_349
; %bb.348:
	s_wait_loadcnt 0x0
	global_load_u16 v1, v[2:3], off
	s_wait_loadcnt 0x0
	v_cvt_i16_f16_e32 v4, v1
.LBB70_349:
	s_mov_b32 s18, 0
.LBB70_350:
	s_delay_alu instid0(SALU_CYCLE_1)
	s_and_not1_b32 vcc_lo, exec_lo, s18
	s_cbranch_vccnz .LBB70_370
; %bb.351:
	s_cmp_lt_i32 s0, 2
	s_cbranch_scc1 .LBB70_355
; %bb.352:
	s_cmp_lt_i32 s0, 3
	s_cbranch_scc1 .LBB70_356
; %bb.353:
	s_cmp_gt_i32 s0, 3
	s_cbranch_scc0 .LBB70_357
; %bb.354:
	s_wait_loadcnt 0x0
	global_load_b64 v[4:5], v[2:3], off
	s_mov_b32 s18, 0
	s_branch .LBB70_358
.LBB70_355:
	s_mov_b32 s18, -1
                                        ; implicit-def: $vgpr4
	s_branch .LBB70_364
.LBB70_356:
	s_mov_b32 s18, -1
                                        ; implicit-def: $vgpr4
	s_branch .LBB70_361
.LBB70_357:
	s_mov_b32 s18, -1
                                        ; implicit-def: $vgpr4
.LBB70_358:
	s_delay_alu instid0(SALU_CYCLE_1)
	s_and_not1_b32 vcc_lo, exec_lo, s18
	s_cbranch_vccnz .LBB70_360
; %bb.359:
	s_wait_loadcnt 0x0
	global_load_b32 v4, v[2:3], off
.LBB70_360:
	s_mov_b32 s18, 0
.LBB70_361:
	s_delay_alu instid0(SALU_CYCLE_1)
	s_and_not1_b32 vcc_lo, exec_lo, s18
	s_cbranch_vccnz .LBB70_363
; %bb.362:
	s_wait_loadcnt 0x0
	global_load_u16 v4, v[2:3], off
.LBB70_363:
	s_mov_b32 s18, 0
.LBB70_364:
	s_delay_alu instid0(SALU_CYCLE_1)
	s_and_not1_b32 vcc_lo, exec_lo, s18
	s_cbranch_vccnz .LBB70_370
; %bb.365:
	s_cmp_gt_i32 s0, 0
	s_mov_b32 s0, 0
	s_cbranch_scc0 .LBB70_367
; %bb.366:
	s_wait_loadcnt 0x0
	global_load_i8 v4, v[2:3], off
	s_branch .LBB70_368
.LBB70_367:
	s_mov_b32 s0, -1
                                        ; implicit-def: $vgpr4
.LBB70_368:
	s_delay_alu instid0(SALU_CYCLE_1)
	s_and_not1_b32 vcc_lo, exec_lo, s0
	s_cbranch_vccnz .LBB70_370
; %bb.369:
	s_wait_loadcnt 0x0
	global_load_u8 v4, v[2:3], off
.LBB70_370:
	s_branch .LBB70_21
.LBB70_371:
	s_mov_b32 s0, 0
.LBB70_372:
	s_mov_b32 s23, 0
                                        ; implicit-def: $vgpr18
.LBB70_373:
	s_and_b32 s18, s0, exec_lo
	s_and_b32 s19, s19, exec_lo
	s_and_b32 s20, s20, exec_lo
	s_or_not1_b32 s25, s23, exec_lo
.LBB70_374:
	s_wait_xcnt 0x0
	s_or_b32 exec_lo, exec_lo, s21
	s_mov_b32 s24, 0
	s_mov_b32 s23, 0
                                        ; implicit-def: $sgpr0
                                        ; implicit-def: $vgpr2_vgpr3
                                        ; implicit-def: $vgpr0
	s_and_saveexec_b32 s21, s25
	s_cbranch_execz .LBB70_383
; %bb.375:
	s_mov_b32 s27, -1
	s_mov_b32 s22, s20
	s_mov_b32 s24, s19
	s_mov_b32 s23, s18
	s_mov_b32 s25, exec_lo
	v_cmpx_gt_i32_e64 s17, v18
	s_cbranch_execz .LBB70_759
; %bb.376:
	s_wait_loadcnt 0x0
	v_mul_lo_u32 v0, v18, s9
	s_and_b32 s0, s14, 0xff
	s_delay_alu instid0(SALU_CYCLE_1) | instskip(NEXT) | instid1(VALU_DEP_1)
	s_cmp_lt_i32 s0, 11
	v_ashrrev_i32_e32 v1, 31, v0
	s_delay_alu instid0(VALU_DEP_1)
	v_add_nc_u64_e32 v[2:3], s[6:7], v[0:1]
	s_cbranch_scc1 .LBB70_386
; %bb.377:
	s_and_b32 s23, 0xffff, s0
	s_delay_alu instid0(SALU_CYCLE_1)
	s_cmp_gt_i32 s23, 25
	s_cbranch_scc0 .LBB70_395
; %bb.378:
	s_cmp_gt_i32 s23, 28
	s_cbranch_scc0 .LBB70_397
; %bb.379:
	;; [unrolled: 3-line block ×4, first 2 shown]
	s_cmp_eq_u32 s23, 46
	s_mov_b32 s26, 0
	s_cbranch_scc0 .LBB70_405
; %bb.382:
	global_load_b32 v0, v[2:3], off
	s_mov_b32 s24, -1
	s_mov_b32 s22, 0
	s_wait_loadcnt 0x0
	v_lshlrev_b32_e32 v0, 16, v0
	s_delay_alu instid0(VALU_DEP_1)
	v_cvt_i32_f32_e32 v0, v0
	s_branch .LBB70_407
.LBB70_383:
	s_or_b32 exec_lo, exec_lo, s21
	s_mov_b32 s17, 0
	s_and_saveexec_b32 s21, s20
	s_cbranch_execnz .LBB70_1223
.LBB70_384:
	s_or_b32 exec_lo, exec_lo, s21
	s_and_saveexec_b32 s20, s22
	s_delay_alu instid0(SALU_CYCLE_1)
	s_xor_b32 s20, exec_lo, s20
	s_cbranch_execz .LBB70_1224
.LBB70_385:
	s_wait_loadcnt 0x0
	global_load_u8 v0, v[2:3], off
	s_or_b32 s23, s23, exec_lo
	s_wait_loadcnt 0x0
	v_cmp_ne_u16_e32 vcc_lo, 0, v0
	v_cndmask_b32_e64 v0, 0, 1, vcc_lo
	s_wait_xcnt 0x0
	s_or_b32 exec_lo, exec_lo, s20
	s_and_saveexec_b32 s20, s24
	s_cbranch_execz .LBB70_1270
	s_branch .LBB70_1225
.LBB70_386:
	s_mov_b32 s24, 0
	s_mov_b32 s22, s20
                                        ; implicit-def: $vgpr0
	s_cbranch_execnz .LBB70_469
.LBB70_387:
	s_and_not1_b32 vcc_lo, exec_lo, s24
	s_cbranch_vccnz .LBB70_517
.LBB70_388:
	s_wait_xcnt 0x0
	v_mul_lo_u32 v2, v18, s10
	s_and_b32 s0, s1, 0xff
	s_delay_alu instid0(SALU_CYCLE_1) | instskip(NEXT) | instid1(VALU_DEP_1)
	s_cmp_lt_i32 s0, 11
	v_ashrrev_i32_e32 v3, 31, v2
	s_delay_alu instid0(VALU_DEP_1)
	v_add_nc_u64_e32 v[2:3], s[2:3], v[2:3]
	s_cbranch_scc1 .LBB70_396
; %bb.389:
	s_and_b32 s23, 0xffff, s0
	s_delay_alu instid0(SALU_CYCLE_1)
	s_cmp_gt_i32 s23, 25
	s_cbranch_scc0 .LBB70_398
; %bb.390:
	s_cmp_gt_i32 s23, 28
	s_cbranch_scc0 .LBB70_400
; %bb.391:
	s_cmp_gt_i32 s23, 43
	s_cbranch_scc0 .LBB70_402
; %bb.392:
	s_cmp_gt_i32 s23, 45
	s_cbranch_scc0 .LBB70_410
; %bb.393:
	s_cmp_eq_u32 s23, 46
	s_mov_b32 s27, 0
	s_cbranch_scc0 .LBB70_520
; %bb.394:
	s_wait_loadcnt 0x0
	global_load_b32 v1, v[2:3], off
	s_mov_b32 s26, -1
	s_mov_b32 s24, 0
	s_wait_loadcnt 0x0
	v_lshlrev_b32_e32 v1, 16, v1
	s_delay_alu instid0(VALU_DEP_1)
	v_cvt_i32_f32_e32 v4, v1
	s_branch .LBB70_522
.LBB70_395:
	s_mov_b32 s26, -1
	s_mov_b32 s24, 0
	s_mov_b32 s22, s20
                                        ; implicit-def: $vgpr0
	s_branch .LBB70_435
.LBB70_396:
	s_mov_b32 s23, -1
	s_mov_b32 s26, 0
	s_mov_b32 s24, s19
                                        ; implicit-def: $vgpr4
	s_branch .LBB70_583
.LBB70_397:
	s_mov_b32 s26, -1
	s_mov_b32 s24, 0
	s_mov_b32 s22, s20
                                        ; implicit-def: $vgpr0
	s_branch .LBB70_418
.LBB70_398:
	s_mov_b32 s27, -1
	s_mov_b32 s26, 0
	s_mov_b32 s24, s19
                                        ; implicit-def: $vgpr4
	s_branch .LBB70_549
.LBB70_399:
	s_mov_b32 s26, -1
	s_mov_b32 s24, 0
	s_mov_b32 s22, s20
                                        ; implicit-def: $vgpr0
	s_branch .LBB70_413
.LBB70_400:
	s_mov_b32 s27, -1
	s_mov_b32 s26, 0
	s_mov_b32 s24, s19
                                        ; implicit-def: $vgpr4
	s_branch .LBB70_532
.LBB70_401:
	s_mov_b32 s26, -1
	s_mov_b32 s24, 0
	s_mov_b32 s22, s20
	s_branch .LBB70_406
.LBB70_402:
	s_mov_b32 s27, -1
	s_mov_b32 s26, 0
	s_mov_b32 s24, s19
                                        ; implicit-def: $vgpr4
	s_branch .LBB70_527
.LBB70_403:
	s_and_not1_saveexec_b32 s27, s27
	s_cbranch_execz .LBB70_176
.LBB70_404:
	v_add_f32_e32 v2, 0x46000000, v3
	s_and_not1_b32 s26, s26, exec_lo
	s_delay_alu instid0(VALU_DEP_1) | instskip(NEXT) | instid1(VALU_DEP_1)
	v_and_b32_e32 v2, 0xff, v2
	v_cmp_ne_u32_e32 vcc_lo, 0, v2
	s_and_b32 s28, vcc_lo, exec_lo
	s_delay_alu instid0(SALU_CYCLE_1)
	s_or_b32 s26, s26, s28
	s_or_b32 exec_lo, exec_lo, s27
	v_mov_b32_e32 v4, 0
	s_and_saveexec_b32 s27, s26
	s_cbranch_execnz .LBB70_177
	s_branch .LBB70_178
.LBB70_405:
	s_mov_b32 s22, -1
	s_mov_b32 s24, 0
.LBB70_406:
                                        ; implicit-def: $vgpr0
.LBB70_407:
	s_and_b32 vcc_lo, exec_lo, s26
	s_cbranch_vccz .LBB70_412
; %bb.408:
	s_cmp_eq_u32 s23, 44
	s_cbranch_scc0 .LBB70_411
; %bb.409:
	global_load_u8 v0, v[2:3], off
	s_mov_b32 s22, 0
	s_mov_b32 s24, -1
	s_wait_loadcnt 0x0
	v_lshlrev_b32_e32 v1, 23, v0
	v_cmp_ne_u32_e32 vcc_lo, 0, v0
	s_delay_alu instid0(VALU_DEP_2) | instskip(NEXT) | instid1(VALU_DEP_1)
	v_cvt_i32_f32_e32 v1, v1
	v_cndmask_b32_e32 v0, 0, v1, vcc_lo
	s_branch .LBB70_412
.LBB70_410:
	s_mov_b32 s27, -1
	s_mov_b32 s26, 0
	s_mov_b32 s24, s19
	s_branch .LBB70_521
.LBB70_411:
	s_mov_b32 s22, -1
                                        ; implicit-def: $vgpr0
.LBB70_412:
	s_mov_b32 s26, 0
.LBB70_413:
	s_delay_alu instid0(SALU_CYCLE_1)
	s_and_b32 vcc_lo, exec_lo, s26
	s_cbranch_vccz .LBB70_417
; %bb.414:
	s_cmp_eq_u32 s23, 29
	s_cbranch_scc0 .LBB70_416
; %bb.415:
	global_load_b64 v[0:1], v[2:3], off
	s_mov_b32 s24, -1
	s_mov_b32 s22, 0
	s_branch .LBB70_417
.LBB70_416:
	s_mov_b32 s22, -1
                                        ; implicit-def: $vgpr0
.LBB70_417:
	s_mov_b32 s26, 0
.LBB70_418:
	s_delay_alu instid0(SALU_CYCLE_1)
	s_and_b32 vcc_lo, exec_lo, s26
	s_cbranch_vccz .LBB70_434
; %bb.419:
	s_cmp_lt_i32 s23, 27
	s_cbranch_scc1 .LBB70_422
; %bb.420:
	s_cmp_gt_i32 s23, 27
	s_cbranch_scc0 .LBB70_423
; %bb.421:
	s_wait_loadcnt 0x0
	global_load_b32 v0, v[2:3], off
	s_mov_b32 s24, 0
	s_branch .LBB70_424
.LBB70_422:
	s_mov_b32 s24, -1
                                        ; implicit-def: $vgpr0
	s_branch .LBB70_427
.LBB70_423:
	s_mov_b32 s24, -1
                                        ; implicit-def: $vgpr0
.LBB70_424:
	s_delay_alu instid0(SALU_CYCLE_1)
	s_and_not1_b32 vcc_lo, exec_lo, s24
	s_cbranch_vccnz .LBB70_426
; %bb.425:
	s_wait_loadcnt 0x0
	global_load_u16 v0, v[2:3], off
.LBB70_426:
	s_mov_b32 s24, 0
.LBB70_427:
	s_delay_alu instid0(SALU_CYCLE_1)
	s_and_not1_b32 vcc_lo, exec_lo, s24
	s_cbranch_vccnz .LBB70_433
; %bb.428:
	s_wait_loadcnt 0x0
	global_load_u8 v1, v[2:3], off
	s_mov_b32 s26, 0
	s_mov_b32 s24, exec_lo
	s_wait_loadcnt 0x0
	v_cmpx_lt_i16_e32 0x7f, v1
	s_xor_b32 s24, exec_lo, s24
	s_cbranch_execz .LBB70_445
; %bb.429:
	v_cmp_ne_u16_e32 vcc_lo, 0x80, v1
	s_and_b32 s26, vcc_lo, exec_lo
	s_and_not1_saveexec_b32 s24, s24
	s_cbranch_execnz .LBB70_446
.LBB70_430:
	s_or_b32 exec_lo, exec_lo, s24
	v_mov_b32_e32 v0, 0
	s_and_saveexec_b32 s24, s26
	s_cbranch_execz .LBB70_432
.LBB70_431:
	v_and_b32_e32 v0, 0xffff, v1
	s_delay_alu instid0(VALU_DEP_1) | instskip(SKIP_1) | instid1(VALU_DEP_2)
	v_and_b32_e32 v4, 7, v0
	v_bfe_u32 v7, v0, 3, 4
	v_clz_i32_u32_e32 v5, v4
	s_delay_alu instid0(VALU_DEP_2) | instskip(NEXT) | instid1(VALU_DEP_2)
	v_cmp_eq_u32_e32 vcc_lo, 0, v7
	v_min_u32_e32 v5, 32, v5
	s_delay_alu instid0(VALU_DEP_1) | instskip(NEXT) | instid1(VALU_DEP_1)
	v_subrev_nc_u32_e32 v6, 28, v5
	v_dual_lshlrev_b32 v0, v6, v0 :: v_dual_sub_nc_u32 v5, 29, v5
	s_delay_alu instid0(VALU_DEP_1) | instskip(NEXT) | instid1(VALU_DEP_1)
	v_dual_lshlrev_b32 v1, 24, v1 :: v_dual_bitop2_b32 v0, 7, v0 bitop3:0x40
	v_dual_cndmask_b32 v0, v4, v0 :: v_dual_cndmask_b32 v5, v7, v5
	s_delay_alu instid0(VALU_DEP_2) | instskip(NEXT) | instid1(VALU_DEP_2)
	v_and_b32_e32 v1, 0x80000000, v1
	v_lshlrev_b32_e32 v0, 20, v0
	s_delay_alu instid0(VALU_DEP_3) | instskip(NEXT) | instid1(VALU_DEP_1)
	v_lshl_add_u32 v4, v5, 23, 0x3b800000
	v_or3_b32 v0, v1, v4, v0
	s_delay_alu instid0(VALU_DEP_1)
	v_cvt_i32_f32_e32 v0, v0
.LBB70_432:
	s_or_b32 exec_lo, exec_lo, s24
.LBB70_433:
	s_mov_b32 s24, -1
.LBB70_434:
	s_mov_b32 s26, 0
.LBB70_435:
	s_delay_alu instid0(SALU_CYCLE_1)
	s_and_b32 vcc_lo, exec_lo, s26
	s_cbranch_vccz .LBB70_468
; %bb.436:
	s_cmp_gt_i32 s23, 22
	s_cbranch_scc0 .LBB70_444
; %bb.437:
	s_cmp_lt_i32 s23, 24
	s_cbranch_scc1 .LBB70_447
; %bb.438:
	s_cmp_gt_i32 s23, 24
	s_cbranch_scc0 .LBB70_448
; %bb.439:
	s_wait_loadcnt 0x0
	global_load_u8 v1, v[2:3], off
	s_mov_b32 s26, 0
	s_mov_b32 s24, exec_lo
	s_wait_loadcnt 0x0
	v_cmpx_lt_i16_e32 0x7f, v1
	s_xor_b32 s24, exec_lo, s24
	s_cbranch_execz .LBB70_460
; %bb.440:
	v_cmp_ne_u16_e32 vcc_lo, 0x80, v1
	s_and_b32 s26, vcc_lo, exec_lo
	s_and_not1_saveexec_b32 s24, s24
	s_cbranch_execnz .LBB70_461
.LBB70_441:
	s_or_b32 exec_lo, exec_lo, s24
	v_mov_b32_e32 v0, 0
	s_and_saveexec_b32 s24, s26
	s_cbranch_execz .LBB70_443
.LBB70_442:
	v_and_b32_e32 v0, 0xffff, v1
	s_delay_alu instid0(VALU_DEP_1) | instskip(SKIP_1) | instid1(VALU_DEP_2)
	v_and_b32_e32 v4, 3, v0
	v_bfe_u32 v7, v0, 2, 5
	v_clz_i32_u32_e32 v5, v4
	s_delay_alu instid0(VALU_DEP_2) | instskip(NEXT) | instid1(VALU_DEP_2)
	v_cmp_eq_u32_e32 vcc_lo, 0, v7
	v_min_u32_e32 v5, 32, v5
	s_delay_alu instid0(VALU_DEP_1) | instskip(NEXT) | instid1(VALU_DEP_1)
	v_subrev_nc_u32_e32 v6, 29, v5
	v_dual_lshlrev_b32 v0, v6, v0 :: v_dual_sub_nc_u32 v5, 30, v5
	s_delay_alu instid0(VALU_DEP_1) | instskip(NEXT) | instid1(VALU_DEP_1)
	v_dual_lshlrev_b32 v1, 24, v1 :: v_dual_bitop2_b32 v0, 3, v0 bitop3:0x40
	v_dual_cndmask_b32 v0, v4, v0 :: v_dual_cndmask_b32 v5, v7, v5
	s_delay_alu instid0(VALU_DEP_2) | instskip(NEXT) | instid1(VALU_DEP_2)
	v_and_b32_e32 v1, 0x80000000, v1
	v_lshlrev_b32_e32 v0, 21, v0
	s_delay_alu instid0(VALU_DEP_3) | instskip(NEXT) | instid1(VALU_DEP_1)
	v_lshl_add_u32 v4, v5, 23, 0x37800000
	v_or3_b32 v0, v1, v4, v0
	s_delay_alu instid0(VALU_DEP_1)
	v_cvt_i32_f32_e32 v0, v0
.LBB70_443:
	s_or_b32 exec_lo, exec_lo, s24
	s_mov_b32 s24, 0
	s_branch .LBB70_449
.LBB70_444:
	s_mov_b32 s26, -1
                                        ; implicit-def: $vgpr0
	s_branch .LBB70_455
.LBB70_445:
	s_and_not1_saveexec_b32 s24, s24
	s_cbranch_execz .LBB70_430
.LBB70_446:
	v_cmp_ne_u16_e32 vcc_lo, 0, v1
	s_and_not1_b32 s26, s26, exec_lo
	s_and_b32 s27, vcc_lo, exec_lo
	s_delay_alu instid0(SALU_CYCLE_1)
	s_or_b32 s26, s26, s27
	s_or_b32 exec_lo, exec_lo, s24
	v_mov_b32_e32 v0, 0
	s_and_saveexec_b32 s24, s26
	s_cbranch_execnz .LBB70_431
	s_branch .LBB70_432
.LBB70_447:
	s_mov_b32 s24, -1
                                        ; implicit-def: $vgpr0
	s_branch .LBB70_452
.LBB70_448:
	s_mov_b32 s24, -1
                                        ; implicit-def: $vgpr0
.LBB70_449:
	s_delay_alu instid0(SALU_CYCLE_1)
	s_and_b32 vcc_lo, exec_lo, s24
	s_cbranch_vccz .LBB70_451
; %bb.450:
	s_wait_loadcnt 0x0
	global_load_u8 v0, v[2:3], off
	s_wait_loadcnt 0x0
	v_lshlrev_b32_e32 v0, 24, v0
	s_delay_alu instid0(VALU_DEP_1) | instskip(NEXT) | instid1(VALU_DEP_1)
	v_and_b32_e32 v1, 0x7f000000, v0
	v_clz_i32_u32_e32 v4, v1
	v_cmp_ne_u32_e32 vcc_lo, 0, v1
	v_add_nc_u32_e32 v6, 0x1000000, v1
	s_delay_alu instid0(VALU_DEP_3) | instskip(NEXT) | instid1(VALU_DEP_1)
	v_min_u32_e32 v4, 32, v4
	v_sub_nc_u32_e64 v4, v4, 4 clamp
	s_delay_alu instid0(VALU_DEP_1) | instskip(NEXT) | instid1(VALU_DEP_1)
	v_dual_lshlrev_b32 v5, v4, v1 :: v_dual_lshlrev_b32 v4, 23, v4
	v_lshrrev_b32_e32 v5, 4, v5
	s_delay_alu instid0(VALU_DEP_1) | instskip(NEXT) | instid1(VALU_DEP_1)
	v_dual_sub_nc_u32 v4, v5, v4 :: v_dual_ashrrev_i32 v5, 8, v6
	v_add_nc_u32_e32 v4, 0x3c000000, v4
	s_delay_alu instid0(VALU_DEP_1) | instskip(NEXT) | instid1(VALU_DEP_1)
	v_and_or_b32 v4, 0x7f800000, v5, v4
	v_cndmask_b32_e32 v1, 0, v4, vcc_lo
	s_delay_alu instid0(VALU_DEP_1) | instskip(NEXT) | instid1(VALU_DEP_1)
	v_and_or_b32 v0, 0x80000000, v0, v1
	v_cvt_i32_f32_e32 v0, v0
.LBB70_451:
	s_mov_b32 s24, 0
.LBB70_452:
	s_delay_alu instid0(SALU_CYCLE_1)
	s_and_not1_b32 vcc_lo, exec_lo, s24
	s_cbranch_vccnz .LBB70_454
; %bb.453:
	s_wait_loadcnt 0x0
	global_load_u8 v0, v[2:3], off
	s_wait_loadcnt 0x0
	v_lshlrev_b32_e32 v1, 25, v0
	v_lshlrev_b16 v0, 8, v0
	s_delay_alu instid0(VALU_DEP_1) | instskip(SKIP_1) | instid1(VALU_DEP_2)
	v_and_or_b32 v5, 0x7f00, v0, 0.5
	v_bfe_i32 v0, v0, 0, 16
	v_add_f32_e32 v5, -0.5, v5
	v_lshrrev_b32_e32 v4, 4, v1
	v_cmp_gt_u32_e32 vcc_lo, 0x8000000, v1
	s_delay_alu instid0(VALU_DEP_2) | instskip(NEXT) | instid1(VALU_DEP_1)
	v_or_b32_e32 v4, 0x70000000, v4
	v_mul_f32_e32 v4, 0x7800000, v4
	s_delay_alu instid0(VALU_DEP_1) | instskip(NEXT) | instid1(VALU_DEP_1)
	v_cndmask_b32_e32 v1, v4, v5, vcc_lo
	v_and_or_b32 v0, 0x80000000, v0, v1
	s_delay_alu instid0(VALU_DEP_1)
	v_cvt_i32_f32_e32 v0, v0
.LBB70_454:
	s_mov_b32 s26, 0
	s_mov_b32 s24, -1
.LBB70_455:
	s_and_not1_b32 vcc_lo, exec_lo, s26
	s_cbranch_vccnz .LBB70_468
; %bb.456:
	s_cmp_gt_i32 s23, 14
	s_cbranch_scc0 .LBB70_459
; %bb.457:
	s_cmp_eq_u32 s23, 15
	s_cbranch_scc0 .LBB70_462
; %bb.458:
	s_wait_loadcnt 0x0
	global_load_u16 v0, v[2:3], off
	s_mov_b32 s24, -1
	s_mov_b32 s22, 0
	s_wait_loadcnt 0x0
	v_lshlrev_b32_e32 v0, 16, v0
	s_delay_alu instid0(VALU_DEP_1)
	v_cvt_i32_f32_e32 v0, v0
	s_branch .LBB70_463
.LBB70_459:
	s_mov_b32 s26, -1
                                        ; implicit-def: $vgpr0
	s_branch .LBB70_464
.LBB70_460:
	s_and_not1_saveexec_b32 s24, s24
	s_cbranch_execz .LBB70_441
.LBB70_461:
	v_cmp_ne_u16_e32 vcc_lo, 0, v1
	s_and_not1_b32 s26, s26, exec_lo
	s_and_b32 s27, vcc_lo, exec_lo
	s_delay_alu instid0(SALU_CYCLE_1)
	s_or_b32 s26, s26, s27
	s_or_b32 exec_lo, exec_lo, s24
	v_mov_b32_e32 v0, 0
	s_and_saveexec_b32 s24, s26
	s_cbranch_execnz .LBB70_442
	s_branch .LBB70_443
.LBB70_462:
	s_mov_b32 s22, -1
                                        ; implicit-def: $vgpr0
.LBB70_463:
	s_mov_b32 s26, 0
.LBB70_464:
	s_delay_alu instid0(SALU_CYCLE_1)
	s_and_b32 vcc_lo, exec_lo, s26
	s_cbranch_vccz .LBB70_468
; %bb.465:
	s_cmp_eq_u32 s23, 11
	s_cbranch_scc0 .LBB70_467
; %bb.466:
	s_wait_loadcnt 0x0
	global_load_u8 v0, v[2:3], off
	s_mov_b32 s22, 0
	s_mov_b32 s24, -1
	s_wait_loadcnt 0x0
	v_cmp_ne_u16_e32 vcc_lo, 0, v0
	v_cndmask_b32_e64 v0, 0, 1, vcc_lo
	s_branch .LBB70_468
.LBB70_467:
	s_mov_b32 s22, -1
                                        ; implicit-def: $vgpr0
.LBB70_468:
	s_branch .LBB70_387
.LBB70_469:
	s_and_b32 s0, 0xffff, s0
	s_delay_alu instid0(SALU_CYCLE_1)
	s_cmp_lt_i32 s0, 5
	s_cbranch_scc1 .LBB70_474
; %bb.470:
	s_cmp_lt_i32 s0, 8
	s_cbranch_scc1 .LBB70_475
; %bb.471:
	;; [unrolled: 3-line block ×3, first 2 shown]
	s_cmp_gt_i32 s0, 9
	s_cbranch_scc0 .LBB70_477
; %bb.473:
	s_wait_loadcnt 0x0
	global_load_b64 v[0:1], v[2:3], off
	s_mov_b32 s23, 0
	s_wait_loadcnt 0x0
	v_cvt_i32_f64_e32 v0, v[0:1]
	s_branch .LBB70_478
.LBB70_474:
	s_mov_b32 s23, -1
                                        ; implicit-def: $vgpr0
	s_branch .LBB70_496
.LBB70_475:
	s_mov_b32 s23, -1
                                        ; implicit-def: $vgpr0
	s_branch .LBB70_484
.LBB70_476:
	s_mov_b32 s23, -1
                                        ; implicit-def: $vgpr0
	s_branch .LBB70_481
.LBB70_477:
	s_mov_b32 s23, -1
                                        ; implicit-def: $vgpr0
.LBB70_478:
	s_delay_alu instid0(SALU_CYCLE_1)
	s_and_not1_b32 vcc_lo, exec_lo, s23
	s_cbranch_vccnz .LBB70_480
; %bb.479:
	s_wait_loadcnt 0x0
	global_load_b32 v0, v[2:3], off
	s_wait_loadcnt 0x0
	v_cvt_i32_f32_e32 v0, v0
.LBB70_480:
	s_mov_b32 s23, 0
.LBB70_481:
	s_delay_alu instid0(SALU_CYCLE_1)
	s_and_not1_b32 vcc_lo, exec_lo, s23
	s_cbranch_vccnz .LBB70_483
; %bb.482:
	s_wait_loadcnt 0x0
	global_load_b32 v0, v[2:3], off
	s_wait_loadcnt 0x0
	v_cvt_i16_f16_e32 v0, v0
.LBB70_483:
	s_mov_b32 s23, 0
.LBB70_484:
	s_delay_alu instid0(SALU_CYCLE_1)
	s_and_not1_b32 vcc_lo, exec_lo, s23
	s_cbranch_vccnz .LBB70_495
; %bb.485:
	s_cmp_lt_i32 s0, 6
	s_cbranch_scc1 .LBB70_488
; %bb.486:
	s_cmp_gt_i32 s0, 6
	s_cbranch_scc0 .LBB70_489
; %bb.487:
	s_wait_loadcnt 0x0
	global_load_b64 v[0:1], v[2:3], off
	s_mov_b32 s23, 0
	s_wait_loadcnt 0x0
	v_cvt_i32_f64_e32 v0, v[0:1]
	s_branch .LBB70_490
.LBB70_488:
	s_mov_b32 s23, -1
                                        ; implicit-def: $vgpr0
	s_branch .LBB70_493
.LBB70_489:
	s_mov_b32 s23, -1
                                        ; implicit-def: $vgpr0
.LBB70_490:
	s_delay_alu instid0(SALU_CYCLE_1)
	s_and_not1_b32 vcc_lo, exec_lo, s23
	s_cbranch_vccnz .LBB70_492
; %bb.491:
	s_wait_loadcnt 0x0
	global_load_b32 v0, v[2:3], off
	s_wait_loadcnt 0x0
	v_cvt_i32_f32_e32 v0, v0
.LBB70_492:
	s_mov_b32 s23, 0
.LBB70_493:
	s_delay_alu instid0(SALU_CYCLE_1)
	s_and_not1_b32 vcc_lo, exec_lo, s23
	s_cbranch_vccnz .LBB70_495
; %bb.494:
	s_wait_loadcnt 0x0
	global_load_u16 v0, v[2:3], off
	s_wait_loadcnt 0x0
	v_cvt_i16_f16_e32 v0, v0
.LBB70_495:
	s_mov_b32 s23, 0
.LBB70_496:
	s_delay_alu instid0(SALU_CYCLE_1)
	s_and_not1_b32 vcc_lo, exec_lo, s23
	s_cbranch_vccnz .LBB70_516
; %bb.497:
	s_cmp_lt_i32 s0, 2
	s_cbranch_scc1 .LBB70_501
; %bb.498:
	s_cmp_lt_i32 s0, 3
	s_cbranch_scc1 .LBB70_502
; %bb.499:
	s_cmp_gt_i32 s0, 3
	s_cbranch_scc0 .LBB70_503
; %bb.500:
	s_wait_loadcnt 0x0
	global_load_b64 v[0:1], v[2:3], off
	s_mov_b32 s23, 0
	s_branch .LBB70_504
.LBB70_501:
	s_mov_b32 s23, -1
                                        ; implicit-def: $vgpr0
	s_branch .LBB70_510
.LBB70_502:
	s_mov_b32 s23, -1
                                        ; implicit-def: $vgpr0
	s_branch .LBB70_507
.LBB70_503:
	s_mov_b32 s23, -1
                                        ; implicit-def: $vgpr0
.LBB70_504:
	s_delay_alu instid0(SALU_CYCLE_1)
	s_and_not1_b32 vcc_lo, exec_lo, s23
	s_cbranch_vccnz .LBB70_506
; %bb.505:
	s_wait_loadcnt 0x0
	global_load_b32 v0, v[2:3], off
.LBB70_506:
	s_mov_b32 s23, 0
.LBB70_507:
	s_delay_alu instid0(SALU_CYCLE_1)
	s_and_not1_b32 vcc_lo, exec_lo, s23
	s_cbranch_vccnz .LBB70_509
; %bb.508:
	s_wait_loadcnt 0x0
	global_load_u16 v0, v[2:3], off
.LBB70_509:
	s_mov_b32 s23, 0
.LBB70_510:
	s_delay_alu instid0(SALU_CYCLE_1)
	s_and_not1_b32 vcc_lo, exec_lo, s23
	s_cbranch_vccnz .LBB70_516
; %bb.511:
	s_cmp_gt_i32 s0, 0
	s_mov_b32 s0, 0
	s_cbranch_scc0 .LBB70_513
; %bb.512:
	s_wait_loadcnt 0x0
	global_load_i8 v0, v[2:3], off
	s_branch .LBB70_514
.LBB70_513:
	s_mov_b32 s0, -1
                                        ; implicit-def: $vgpr0
.LBB70_514:
	s_delay_alu instid0(SALU_CYCLE_1)
	s_and_not1_b32 vcc_lo, exec_lo, s0
	s_cbranch_vccnz .LBB70_516
; %bb.515:
	s_wait_loadcnt 0x0
	global_load_u8 v0, v[2:3], off
.LBB70_516:
	s_branch .LBB70_388
.LBB70_517:
	s_mov_b32 s26, 0
	s_mov_b32 s0, s18
	;; [unrolled: 1-line block ×3, first 2 shown]
	s_branch .LBB70_757
.LBB70_518:
	s_and_not1_saveexec_b32 s27, s27
	s_cbranch_execz .LBB70_189
.LBB70_519:
	v_add_f32_e32 v2, 0x42800000, v3
	s_and_not1_b32 s26, s26, exec_lo
	s_delay_alu instid0(VALU_DEP_1) | instskip(NEXT) | instid1(VALU_DEP_1)
	v_and_b32_e32 v2, 0xff, v2
	v_cmp_ne_u32_e32 vcc_lo, 0, v2
	s_and_b32 s28, vcc_lo, exec_lo
	s_delay_alu instid0(SALU_CYCLE_1)
	s_or_b32 s26, s26, s28
	s_or_b32 exec_lo, exec_lo, s27
	v_mov_b32_e32 v4, 0
	s_and_saveexec_b32 s27, s26
	s_cbranch_execnz .LBB70_190
	s_branch .LBB70_191
.LBB70_520:
	s_mov_b32 s24, -1
	s_mov_b32 s26, 0
.LBB70_521:
                                        ; implicit-def: $vgpr4
.LBB70_522:
	s_and_b32 vcc_lo, exec_lo, s27
	s_cbranch_vccz .LBB70_526
; %bb.523:
	s_cmp_eq_u32 s23, 44
	s_cbranch_scc0 .LBB70_525
; %bb.524:
	s_wait_loadcnt 0x0
	global_load_u8 v1, v[2:3], off
	s_mov_b32 s24, 0
	s_mov_b32 s26, -1
	s_wait_loadcnt 0x0
	v_lshlrev_b32_e32 v4, 23, v1
	v_cmp_ne_u32_e32 vcc_lo, 0, v1
	s_delay_alu instid0(VALU_DEP_2) | instskip(NEXT) | instid1(VALU_DEP_1)
	v_cvt_i32_f32_e32 v4, v4
	v_cndmask_b32_e32 v4, 0, v4, vcc_lo
	s_branch .LBB70_526
.LBB70_525:
	s_mov_b32 s24, -1
                                        ; implicit-def: $vgpr4
.LBB70_526:
	s_mov_b32 s27, 0
.LBB70_527:
	s_delay_alu instid0(SALU_CYCLE_1)
	s_and_b32 vcc_lo, exec_lo, s27
	s_cbranch_vccz .LBB70_531
; %bb.528:
	s_cmp_eq_u32 s23, 29
	s_cbranch_scc0 .LBB70_530
; %bb.529:
	global_load_b64 v[4:5], v[2:3], off
	s_mov_b32 s26, -1
	s_mov_b32 s24, 0
	s_branch .LBB70_531
.LBB70_530:
	s_mov_b32 s24, -1
                                        ; implicit-def: $vgpr4
.LBB70_531:
	s_mov_b32 s27, 0
.LBB70_532:
	s_delay_alu instid0(SALU_CYCLE_1)
	s_and_b32 vcc_lo, exec_lo, s27
	s_cbranch_vccz .LBB70_548
; %bb.533:
	s_cmp_lt_i32 s23, 27
	s_cbranch_scc1 .LBB70_536
; %bb.534:
	s_cmp_gt_i32 s23, 27
	s_cbranch_scc0 .LBB70_537
; %bb.535:
	s_wait_loadcnt 0x0
	global_load_b32 v4, v[2:3], off
	s_mov_b32 s26, 0
	s_branch .LBB70_538
.LBB70_536:
	s_mov_b32 s26, -1
                                        ; implicit-def: $vgpr4
	s_branch .LBB70_541
.LBB70_537:
	s_mov_b32 s26, -1
                                        ; implicit-def: $vgpr4
.LBB70_538:
	s_delay_alu instid0(SALU_CYCLE_1)
	s_and_not1_b32 vcc_lo, exec_lo, s26
	s_cbranch_vccnz .LBB70_540
; %bb.539:
	s_wait_loadcnt 0x0
	global_load_u16 v4, v[2:3], off
.LBB70_540:
	s_mov_b32 s26, 0
.LBB70_541:
	s_delay_alu instid0(SALU_CYCLE_1)
	s_and_not1_b32 vcc_lo, exec_lo, s26
	s_cbranch_vccnz .LBB70_547
; %bb.542:
	s_wait_loadcnt 0x0
	global_load_u8 v1, v[2:3], off
	s_mov_b32 s27, 0
	s_mov_b32 s26, exec_lo
	s_wait_loadcnt 0x0
	v_cmpx_lt_i16_e32 0x7f, v1
	s_xor_b32 s26, exec_lo, s26
	s_cbranch_execz .LBB70_559
; %bb.543:
	v_cmp_ne_u16_e32 vcc_lo, 0x80, v1
	s_and_b32 s27, vcc_lo, exec_lo
	s_and_not1_saveexec_b32 s26, s26
	s_cbranch_execnz .LBB70_560
.LBB70_544:
	s_or_b32 exec_lo, exec_lo, s26
	v_mov_b32_e32 v4, 0
	s_and_saveexec_b32 s26, s27
	s_cbranch_execz .LBB70_546
.LBB70_545:
	v_and_b32_e32 v4, 0xffff, v1
	s_delay_alu instid0(VALU_DEP_1) | instskip(SKIP_1) | instid1(VALU_DEP_2)
	v_and_b32_e32 v5, 7, v4
	v_bfe_u32 v8, v4, 3, 4
	v_clz_i32_u32_e32 v6, v5
	s_delay_alu instid0(VALU_DEP_2) | instskip(NEXT) | instid1(VALU_DEP_2)
	v_cmp_eq_u32_e32 vcc_lo, 0, v8
	v_min_u32_e32 v6, 32, v6
	s_delay_alu instid0(VALU_DEP_1) | instskip(NEXT) | instid1(VALU_DEP_1)
	v_subrev_nc_u32_e32 v7, 28, v6
	v_dual_lshlrev_b32 v4, v7, v4 :: v_dual_sub_nc_u32 v6, 29, v6
	s_delay_alu instid0(VALU_DEP_1) | instskip(NEXT) | instid1(VALU_DEP_1)
	v_dual_lshlrev_b32 v1, 24, v1 :: v_dual_bitop2_b32 v4, 7, v4 bitop3:0x40
	v_dual_cndmask_b32 v6, v8, v6, vcc_lo :: v_dual_cndmask_b32 v4, v5, v4, vcc_lo
	s_delay_alu instid0(VALU_DEP_2) | instskip(NEXT) | instid1(VALU_DEP_2)
	v_and_b32_e32 v1, 0x80000000, v1
	v_lshl_add_u32 v5, v6, 23, 0x3b800000
	s_delay_alu instid0(VALU_DEP_3) | instskip(NEXT) | instid1(VALU_DEP_1)
	v_lshlrev_b32_e32 v4, 20, v4
	v_or3_b32 v1, v1, v5, v4
	s_delay_alu instid0(VALU_DEP_1)
	v_cvt_i32_f32_e32 v4, v1
.LBB70_546:
	s_or_b32 exec_lo, exec_lo, s26
.LBB70_547:
	s_mov_b32 s26, -1
.LBB70_548:
	s_mov_b32 s27, 0
.LBB70_549:
	s_delay_alu instid0(SALU_CYCLE_1)
	s_and_b32 vcc_lo, exec_lo, s27
	s_cbranch_vccz .LBB70_582
; %bb.550:
	s_cmp_gt_i32 s23, 22
	s_cbranch_scc0 .LBB70_558
; %bb.551:
	s_cmp_lt_i32 s23, 24
	s_cbranch_scc1 .LBB70_561
; %bb.552:
	s_cmp_gt_i32 s23, 24
	s_cbranch_scc0 .LBB70_562
; %bb.553:
	s_wait_loadcnt 0x0
	global_load_u8 v1, v[2:3], off
	s_mov_b32 s27, 0
	s_mov_b32 s26, exec_lo
	s_wait_loadcnt 0x0
	v_cmpx_lt_i16_e32 0x7f, v1
	s_xor_b32 s26, exec_lo, s26
	s_cbranch_execz .LBB70_574
; %bb.554:
	v_cmp_ne_u16_e32 vcc_lo, 0x80, v1
	s_and_b32 s27, vcc_lo, exec_lo
	s_and_not1_saveexec_b32 s26, s26
	s_cbranch_execnz .LBB70_575
.LBB70_555:
	s_or_b32 exec_lo, exec_lo, s26
	v_mov_b32_e32 v4, 0
	s_and_saveexec_b32 s26, s27
	s_cbranch_execz .LBB70_557
.LBB70_556:
	v_and_b32_e32 v4, 0xffff, v1
	s_delay_alu instid0(VALU_DEP_1) | instskip(SKIP_1) | instid1(VALU_DEP_2)
	v_and_b32_e32 v5, 3, v4
	v_bfe_u32 v8, v4, 2, 5
	v_clz_i32_u32_e32 v6, v5
	s_delay_alu instid0(VALU_DEP_2) | instskip(NEXT) | instid1(VALU_DEP_2)
	v_cmp_eq_u32_e32 vcc_lo, 0, v8
	v_min_u32_e32 v6, 32, v6
	s_delay_alu instid0(VALU_DEP_1) | instskip(NEXT) | instid1(VALU_DEP_1)
	v_subrev_nc_u32_e32 v7, 29, v6
	v_dual_lshlrev_b32 v4, v7, v4 :: v_dual_sub_nc_u32 v6, 30, v6
	s_delay_alu instid0(VALU_DEP_1) | instskip(NEXT) | instid1(VALU_DEP_1)
	v_dual_lshlrev_b32 v1, 24, v1 :: v_dual_bitop2_b32 v4, 3, v4 bitop3:0x40
	v_dual_cndmask_b32 v6, v8, v6, vcc_lo :: v_dual_cndmask_b32 v4, v5, v4, vcc_lo
	s_delay_alu instid0(VALU_DEP_2) | instskip(NEXT) | instid1(VALU_DEP_2)
	v_and_b32_e32 v1, 0x80000000, v1
	v_lshl_add_u32 v5, v6, 23, 0x37800000
	s_delay_alu instid0(VALU_DEP_3) | instskip(NEXT) | instid1(VALU_DEP_1)
	v_lshlrev_b32_e32 v4, 21, v4
	v_or3_b32 v1, v1, v5, v4
	s_delay_alu instid0(VALU_DEP_1)
	v_cvt_i32_f32_e32 v4, v1
.LBB70_557:
	s_or_b32 exec_lo, exec_lo, s26
	s_mov_b32 s26, 0
	s_branch .LBB70_563
.LBB70_558:
	s_mov_b32 s27, -1
                                        ; implicit-def: $vgpr4
	s_branch .LBB70_569
.LBB70_559:
	s_and_not1_saveexec_b32 s26, s26
	s_cbranch_execz .LBB70_544
.LBB70_560:
	v_cmp_ne_u16_e32 vcc_lo, 0, v1
	s_and_not1_b32 s27, s27, exec_lo
	s_and_b32 s28, vcc_lo, exec_lo
	s_delay_alu instid0(SALU_CYCLE_1)
	s_or_b32 s27, s27, s28
	s_or_b32 exec_lo, exec_lo, s26
	v_mov_b32_e32 v4, 0
	s_and_saveexec_b32 s26, s27
	s_cbranch_execnz .LBB70_545
	s_branch .LBB70_546
.LBB70_561:
	s_mov_b32 s26, -1
                                        ; implicit-def: $vgpr4
	s_branch .LBB70_566
.LBB70_562:
	s_mov_b32 s26, -1
                                        ; implicit-def: $vgpr4
.LBB70_563:
	s_delay_alu instid0(SALU_CYCLE_1)
	s_and_b32 vcc_lo, exec_lo, s26
	s_cbranch_vccz .LBB70_565
; %bb.564:
	s_wait_loadcnt 0x0
	global_load_u8 v1, v[2:3], off
	s_wait_loadcnt 0x0
	v_lshlrev_b32_e32 v1, 24, v1
	s_delay_alu instid0(VALU_DEP_1) | instskip(NEXT) | instid1(VALU_DEP_1)
	v_and_b32_e32 v4, 0x7f000000, v1
	v_clz_i32_u32_e32 v5, v4
	v_cmp_ne_u32_e32 vcc_lo, 0, v4
	v_add_nc_u32_e32 v7, 0x1000000, v4
	s_delay_alu instid0(VALU_DEP_3) | instskip(NEXT) | instid1(VALU_DEP_1)
	v_min_u32_e32 v5, 32, v5
	v_sub_nc_u32_e64 v5, v5, 4 clamp
	s_delay_alu instid0(VALU_DEP_1) | instskip(NEXT) | instid1(VALU_DEP_1)
	v_dual_lshlrev_b32 v6, v5, v4 :: v_dual_lshlrev_b32 v5, 23, v5
	v_lshrrev_b32_e32 v6, 4, v6
	s_delay_alu instid0(VALU_DEP_1) | instskip(NEXT) | instid1(VALU_DEP_1)
	v_dual_sub_nc_u32 v5, v6, v5 :: v_dual_ashrrev_i32 v6, 8, v7
	v_add_nc_u32_e32 v5, 0x3c000000, v5
	s_delay_alu instid0(VALU_DEP_1) | instskip(NEXT) | instid1(VALU_DEP_1)
	v_and_or_b32 v5, 0x7f800000, v6, v5
	v_cndmask_b32_e32 v4, 0, v5, vcc_lo
	s_delay_alu instid0(VALU_DEP_1) | instskip(NEXT) | instid1(VALU_DEP_1)
	v_and_or_b32 v1, 0x80000000, v1, v4
	v_cvt_i32_f32_e32 v4, v1
.LBB70_565:
	s_mov_b32 s26, 0
.LBB70_566:
	s_delay_alu instid0(SALU_CYCLE_1)
	s_and_not1_b32 vcc_lo, exec_lo, s26
	s_cbranch_vccnz .LBB70_568
; %bb.567:
	s_wait_loadcnt 0x0
	global_load_u8 v1, v[2:3], off
	s_wait_loadcnt 0x0
	v_lshlrev_b32_e32 v4, 25, v1
	v_lshlrev_b16 v1, 8, v1
	s_delay_alu instid0(VALU_DEP_1) | instskip(SKIP_1) | instid1(VALU_DEP_2)
	v_and_or_b32 v6, 0x7f00, v1, 0.5
	v_bfe_i32 v1, v1, 0, 16
	v_dual_add_f32 v6, -0.5, v6 :: v_dual_lshrrev_b32 v5, 4, v4
	v_cmp_gt_u32_e32 vcc_lo, 0x8000000, v4
	s_delay_alu instid0(VALU_DEP_2) | instskip(NEXT) | instid1(VALU_DEP_1)
	v_or_b32_e32 v5, 0x70000000, v5
	v_mul_f32_e32 v5, 0x7800000, v5
	s_delay_alu instid0(VALU_DEP_1) | instskip(NEXT) | instid1(VALU_DEP_1)
	v_cndmask_b32_e32 v4, v5, v6, vcc_lo
	v_and_or_b32 v1, 0x80000000, v1, v4
	s_delay_alu instid0(VALU_DEP_1)
	v_cvt_i32_f32_e32 v4, v1
.LBB70_568:
	s_mov_b32 s27, 0
	s_mov_b32 s26, -1
.LBB70_569:
	s_and_not1_b32 vcc_lo, exec_lo, s27
	s_cbranch_vccnz .LBB70_582
; %bb.570:
	s_cmp_gt_i32 s23, 14
	s_cbranch_scc0 .LBB70_573
; %bb.571:
	s_cmp_eq_u32 s23, 15
	s_cbranch_scc0 .LBB70_576
; %bb.572:
	s_wait_loadcnt 0x0
	global_load_u16 v1, v[2:3], off
	s_mov_b32 s26, -1
	s_mov_b32 s24, 0
	s_wait_loadcnt 0x0
	v_lshlrev_b32_e32 v1, 16, v1
	s_delay_alu instid0(VALU_DEP_1)
	v_cvt_i32_f32_e32 v4, v1
	s_branch .LBB70_577
.LBB70_573:
	s_mov_b32 s27, -1
                                        ; implicit-def: $vgpr4
	s_branch .LBB70_578
.LBB70_574:
	s_and_not1_saveexec_b32 s26, s26
	s_cbranch_execz .LBB70_555
.LBB70_575:
	v_cmp_ne_u16_e32 vcc_lo, 0, v1
	s_and_not1_b32 s27, s27, exec_lo
	s_and_b32 s28, vcc_lo, exec_lo
	s_delay_alu instid0(SALU_CYCLE_1)
	s_or_b32 s27, s27, s28
	s_or_b32 exec_lo, exec_lo, s26
	v_mov_b32_e32 v4, 0
	s_and_saveexec_b32 s26, s27
	s_cbranch_execnz .LBB70_556
	s_branch .LBB70_557
.LBB70_576:
	s_mov_b32 s24, -1
                                        ; implicit-def: $vgpr4
.LBB70_577:
	s_mov_b32 s27, 0
.LBB70_578:
	s_delay_alu instid0(SALU_CYCLE_1)
	s_and_b32 vcc_lo, exec_lo, s27
	s_cbranch_vccz .LBB70_582
; %bb.579:
	s_cmp_eq_u32 s23, 11
	s_cbranch_scc0 .LBB70_581
; %bb.580:
	s_wait_loadcnt 0x0
	global_load_u8 v1, v[2:3], off
	s_mov_b32 s24, 0
	s_mov_b32 s26, -1
	s_wait_loadcnt 0x0
	v_cmp_ne_u16_e32 vcc_lo, 0, v1
	v_cndmask_b32_e64 v4, 0, 1, vcc_lo
	s_branch .LBB70_582
.LBB70_581:
	s_mov_b32 s24, -1
                                        ; implicit-def: $vgpr4
.LBB70_582:
	s_mov_b32 s23, 0
.LBB70_583:
	s_delay_alu instid0(SALU_CYCLE_1)
	s_and_b32 vcc_lo, exec_lo, s23
	s_cbranch_vccz .LBB70_632
; %bb.584:
	s_and_b32 s0, 0xffff, s0
	s_delay_alu instid0(SALU_CYCLE_1)
	s_cmp_lt_i32 s0, 5
	s_cbranch_scc1 .LBB70_589
; %bb.585:
	s_cmp_lt_i32 s0, 8
	s_cbranch_scc1 .LBB70_590
; %bb.586:
	;; [unrolled: 3-line block ×3, first 2 shown]
	s_cmp_gt_i32 s0, 9
	s_cbranch_scc0 .LBB70_592
; %bb.588:
	s_wait_loadcnt 0x0
	global_load_b64 v[4:5], v[2:3], off
	s_mov_b32 s23, 0
	s_wait_loadcnt 0x0
	v_cvt_i32_f64_e32 v4, v[4:5]
	s_branch .LBB70_593
.LBB70_589:
	s_mov_b32 s23, -1
                                        ; implicit-def: $vgpr4
	s_branch .LBB70_611
.LBB70_590:
	s_mov_b32 s23, -1
                                        ; implicit-def: $vgpr4
	s_branch .LBB70_599
.LBB70_591:
	s_mov_b32 s23, -1
                                        ; implicit-def: $vgpr4
	s_branch .LBB70_596
.LBB70_592:
	s_mov_b32 s23, -1
                                        ; implicit-def: $vgpr4
.LBB70_593:
	s_delay_alu instid0(SALU_CYCLE_1)
	s_and_not1_b32 vcc_lo, exec_lo, s23
	s_cbranch_vccnz .LBB70_595
; %bb.594:
	s_wait_loadcnt 0x0
	global_load_b32 v1, v[2:3], off
	s_wait_loadcnt 0x0
	v_cvt_i32_f32_e32 v4, v1
.LBB70_595:
	s_mov_b32 s23, 0
.LBB70_596:
	s_delay_alu instid0(SALU_CYCLE_1)
	s_and_not1_b32 vcc_lo, exec_lo, s23
	s_cbranch_vccnz .LBB70_598
; %bb.597:
	s_wait_loadcnt 0x0
	global_load_b32 v1, v[2:3], off
	s_wait_loadcnt 0x0
	v_cvt_i16_f16_e32 v4, v1
.LBB70_598:
	s_mov_b32 s23, 0
.LBB70_599:
	s_delay_alu instid0(SALU_CYCLE_1)
	s_and_not1_b32 vcc_lo, exec_lo, s23
	s_cbranch_vccnz .LBB70_610
; %bb.600:
	s_cmp_lt_i32 s0, 6
	s_cbranch_scc1 .LBB70_603
; %bb.601:
	s_cmp_gt_i32 s0, 6
	s_cbranch_scc0 .LBB70_604
; %bb.602:
	s_wait_loadcnt 0x0
	global_load_b64 v[4:5], v[2:3], off
	s_mov_b32 s23, 0
	s_wait_loadcnt 0x0
	v_cvt_i32_f64_e32 v4, v[4:5]
	s_branch .LBB70_605
.LBB70_603:
	s_mov_b32 s23, -1
                                        ; implicit-def: $vgpr4
	s_branch .LBB70_608
.LBB70_604:
	s_mov_b32 s23, -1
                                        ; implicit-def: $vgpr4
.LBB70_605:
	s_delay_alu instid0(SALU_CYCLE_1)
	s_and_not1_b32 vcc_lo, exec_lo, s23
	s_cbranch_vccnz .LBB70_607
; %bb.606:
	s_wait_loadcnt 0x0
	global_load_b32 v1, v[2:3], off
	s_wait_loadcnt 0x0
	v_cvt_i32_f32_e32 v4, v1
.LBB70_607:
	s_mov_b32 s23, 0
.LBB70_608:
	s_delay_alu instid0(SALU_CYCLE_1)
	s_and_not1_b32 vcc_lo, exec_lo, s23
	s_cbranch_vccnz .LBB70_610
; %bb.609:
	s_wait_loadcnt 0x0
	global_load_u16 v1, v[2:3], off
	s_wait_loadcnt 0x0
	v_cvt_i16_f16_e32 v4, v1
.LBB70_610:
	s_mov_b32 s23, 0
.LBB70_611:
	s_delay_alu instid0(SALU_CYCLE_1)
	s_and_not1_b32 vcc_lo, exec_lo, s23
	s_cbranch_vccnz .LBB70_631
; %bb.612:
	s_cmp_lt_i32 s0, 2
	s_cbranch_scc1 .LBB70_616
; %bb.613:
	s_cmp_lt_i32 s0, 3
	s_cbranch_scc1 .LBB70_617
; %bb.614:
	s_cmp_gt_i32 s0, 3
	s_cbranch_scc0 .LBB70_618
; %bb.615:
	s_wait_loadcnt 0x0
	global_load_b64 v[4:5], v[2:3], off
	s_mov_b32 s23, 0
	s_branch .LBB70_619
.LBB70_616:
	s_mov_b32 s23, -1
                                        ; implicit-def: $vgpr4
	s_branch .LBB70_625
.LBB70_617:
	s_mov_b32 s23, -1
                                        ; implicit-def: $vgpr4
	s_branch .LBB70_622
.LBB70_618:
	s_mov_b32 s23, -1
                                        ; implicit-def: $vgpr4
.LBB70_619:
	s_delay_alu instid0(SALU_CYCLE_1)
	s_and_not1_b32 vcc_lo, exec_lo, s23
	s_cbranch_vccnz .LBB70_621
; %bb.620:
	s_wait_loadcnt 0x0
	global_load_b32 v4, v[2:3], off
.LBB70_621:
	s_mov_b32 s23, 0
.LBB70_622:
	s_delay_alu instid0(SALU_CYCLE_1)
	s_and_not1_b32 vcc_lo, exec_lo, s23
	s_cbranch_vccnz .LBB70_624
; %bb.623:
	s_wait_loadcnt 0x0
	global_load_u16 v4, v[2:3], off
.LBB70_624:
	s_mov_b32 s23, 0
.LBB70_625:
	s_delay_alu instid0(SALU_CYCLE_1)
	s_and_not1_b32 vcc_lo, exec_lo, s23
	s_cbranch_vccnz .LBB70_631
; %bb.626:
	s_cmp_gt_i32 s0, 0
	s_mov_b32 s0, 0
	s_cbranch_scc0 .LBB70_628
; %bb.627:
	s_wait_loadcnt 0x0
	global_load_i8 v4, v[2:3], off
	s_branch .LBB70_629
.LBB70_628:
	s_mov_b32 s0, -1
                                        ; implicit-def: $vgpr4
.LBB70_629:
	s_delay_alu instid0(SALU_CYCLE_1)
	s_and_not1_b32 vcc_lo, exec_lo, s0
	s_cbranch_vccnz .LBB70_631
; %bb.630:
	s_wait_loadcnt 0x0
	global_load_u8 v4, v[2:3], off
.LBB70_631:
	s_mov_b32 s26, -1
.LBB70_632:
	s_delay_alu instid0(SALU_CYCLE_1)
	s_and_not1_b32 vcc_lo, exec_lo, s26
	s_cbranch_vccnz .LBB70_640
; %bb.633:
	s_wait_xcnt 0x0
	v_mul_lo_u32 v2, v18, s8
	s_wait_loadcnt 0x0
	s_delay_alu instid0(VALU_DEP_2) | instskip(SKIP_3) | instid1(VALU_DEP_2)
	v_cmp_ne_u16_e32 vcc_lo, v0, v4
	s_and_b32 s26, s12, 0xff
	s_xor_b32 s23, s16, vcc_lo
	s_cmp_lt_i32 s26, 11
	v_ashrrev_i32_e32 v3, 31, v2
	s_delay_alu instid0(VALU_DEP_1)
	v_add_nc_u64_e32 v[0:1], s[4:5], v[2:3]
	s_cbranch_scc1 .LBB70_641
; %bb.634:
	s_and_b32 s27, 0xffff, s26
	s_delay_alu instid0(SALU_CYCLE_1)
	s_cmp_gt_i32 s27, 25
	s_cbranch_scc0 .LBB70_642
; %bb.635:
	s_cmp_gt_i32 s27, 28
	s_cbranch_scc0 .LBB70_643
; %bb.636:
	;; [unrolled: 3-line block ×4, first 2 shown]
	s_mov_b32 s29, 0
	s_mov_b32 s0, -1
	s_cmp_eq_u32 s27, 46
	s_mov_b32 s28, 0
	s_cbranch_scc0 .LBB70_646
; %bb.639:
	v_cndmask_b32_e64 v2, 0, 1.0, s23
	s_mov_b32 s28, -1
	s_mov_b32 s0, 0
	s_delay_alu instid0(VALU_DEP_1) | instskip(NEXT) | instid1(VALU_DEP_1)
	v_bfe_u32 v3, v2, 16, 1
	v_add3_u32 v2, v2, v3, 0x7fff
	s_delay_alu instid0(VALU_DEP_1)
	v_lshrrev_b32_e32 v2, 16, v2
	global_store_b32 v[0:1], v2, off
	s_branch .LBB70_646
.LBB70_640:
	s_mov_b32 s26, 0
	s_mov_b32 s0, s18
	s_branch .LBB70_757
.LBB70_641:
	s_mov_b32 s27, -1
	s_mov_b32 s28, 0
	s_mov_b32 s0, s18
	s_branch .LBB70_715
.LBB70_642:
	s_mov_b32 s29, -1
	s_mov_b32 s28, 0
	s_mov_b32 s0, s18
	s_branch .LBB70_673
.LBB70_643:
	s_mov_b32 s29, -1
	s_mov_b32 s28, 0
	s_mov_b32 s0, s18
	s_branch .LBB70_656
.LBB70_644:
	s_mov_b32 s29, -1
	s_mov_b32 s28, 0
	s_mov_b32 s0, s18
	s_branch .LBB70_652
.LBB70_645:
	s_mov_b32 s29, -1
	s_mov_b32 s28, 0
	s_mov_b32 s0, s18
.LBB70_646:
	s_and_b32 vcc_lo, exec_lo, s29
	s_cbranch_vccz .LBB70_651
; %bb.647:
	s_cmp_eq_u32 s27, 44
	s_mov_b32 s0, -1
	s_cbranch_scc0 .LBB70_651
; %bb.648:
	v_cndmask_b32_e64 v4, 0, 1.0, s23
	s_mov_b32 s28, exec_lo
	s_wait_xcnt 0x0
	s_delay_alu instid0(VALU_DEP_1) | instskip(NEXT) | instid1(VALU_DEP_1)
	v_dual_mov_b32 v3, 0xff :: v_dual_lshrrev_b32 v2, 23, v4
	v_cmpx_ne_u32_e32 0xff, v2
; %bb.649:
	v_and_b32_e32 v3, 0x400000, v4
	v_and_or_b32 v4, 0x3fffff, v4, v2
	s_delay_alu instid0(VALU_DEP_2) | instskip(NEXT) | instid1(VALU_DEP_2)
	v_cmp_ne_u32_e32 vcc_lo, 0, v3
	v_cmp_ne_u32_e64 s0, 0, v4
	s_and_b32 s0, vcc_lo, s0
	s_delay_alu instid0(SALU_CYCLE_1) | instskip(NEXT) | instid1(VALU_DEP_1)
	v_cndmask_b32_e64 v3, 0, 1, s0
	v_add_nc_u32_e32 v3, v2, v3
; %bb.650:
	s_or_b32 exec_lo, exec_lo, s28
	s_mov_b32 s28, -1
	s_mov_b32 s0, 0
	global_store_b8 v[0:1], v3, off
.LBB70_651:
	s_mov_b32 s29, 0
.LBB70_652:
	s_delay_alu instid0(SALU_CYCLE_1)
	s_and_b32 vcc_lo, exec_lo, s29
	s_cbranch_vccz .LBB70_655
; %bb.653:
	s_cmp_eq_u32 s27, 29
	s_mov_b32 s0, -1
	s_cbranch_scc0 .LBB70_655
; %bb.654:
	s_mov_b32 s0, 0
	s_wait_xcnt 0x0
	v_cndmask_b32_e64 v2, 0, 1, s23
	v_mov_b32_e32 v3, s0
	s_mov_b32 s28, -1
	s_mov_b32 s29, 0
	global_store_b64 v[0:1], v[2:3], off
	s_branch .LBB70_656
.LBB70_655:
	s_mov_b32 s29, 0
.LBB70_656:
	s_delay_alu instid0(SALU_CYCLE_1)
	s_and_b32 vcc_lo, exec_lo, s29
	s_cbranch_vccz .LBB70_672
; %bb.657:
	s_cmp_lt_i32 s27, 27
	s_mov_b32 s28, -1
	s_cbranch_scc1 .LBB70_663
; %bb.658:
	s_cmp_gt_i32 s27, 27
	s_cbranch_scc0 .LBB70_660
; %bb.659:
	s_wait_xcnt 0x0
	v_cndmask_b32_e64 v2, 0, 1, s23
	s_mov_b32 s28, 0
	global_store_b32 v[0:1], v2, off
.LBB70_660:
	s_and_not1_b32 vcc_lo, exec_lo, s28
	s_cbranch_vccnz .LBB70_662
; %bb.661:
	s_wait_xcnt 0x0
	v_cndmask_b32_e64 v2, 0, 1, s23
	global_store_b16 v[0:1], v2, off
.LBB70_662:
	s_mov_b32 s28, 0
.LBB70_663:
	s_delay_alu instid0(SALU_CYCLE_1)
	s_and_not1_b32 vcc_lo, exec_lo, s28
	s_cbranch_vccnz .LBB70_671
; %bb.664:
	s_wait_xcnt 0x0
	v_cndmask_b32_e64 v3, 0, 1.0, s23
	v_mov_b32_e32 v4, 0x80
	s_mov_b32 s28, exec_lo
	s_delay_alu instid0(VALU_DEP_2)
	v_cmpx_gt_u32_e32 0x43800000, v3
	s_cbranch_execz .LBB70_670
; %bb.665:
	s_mov_b32 s29, 0
	s_mov_b32 s30, exec_lo
                                        ; implicit-def: $vgpr2
	v_cmpx_lt_u32_e32 0x3bffffff, v3
	s_xor_b32 s30, exec_lo, s30
	s_cbranch_execz .LBB70_773
; %bb.666:
	v_bfe_u32 v2, v3, 20, 1
	s_mov_b32 s29, exec_lo
	s_delay_alu instid0(VALU_DEP_1) | instskip(NEXT) | instid1(VALU_DEP_1)
	v_add3_u32 v2, v3, v2, 0x487ffff
                                        ; implicit-def: $vgpr3
	v_lshrrev_b32_e32 v2, 20, v2
	s_and_not1_saveexec_b32 s30, s30
	s_cbranch_execnz .LBB70_774
.LBB70_667:
	s_or_b32 exec_lo, exec_lo, s30
	v_mov_b32_e32 v4, 0
	s_and_saveexec_b32 s30, s29
.LBB70_668:
	v_mov_b32_e32 v4, v2
.LBB70_669:
	s_or_b32 exec_lo, exec_lo, s30
.LBB70_670:
	s_delay_alu instid0(SALU_CYCLE_1)
	s_or_b32 exec_lo, exec_lo, s28
	global_store_b8 v[0:1], v4, off
.LBB70_671:
	s_mov_b32 s28, -1
.LBB70_672:
	s_mov_b32 s29, 0
.LBB70_673:
	s_delay_alu instid0(SALU_CYCLE_1)
	s_and_b32 vcc_lo, exec_lo, s29
	s_cbranch_vccz .LBB70_714
; %bb.674:
	s_cmp_gt_i32 s27, 22
	s_mov_b32 s29, -1
	s_cbranch_scc0 .LBB70_706
; %bb.675:
	s_cmp_lt_i32 s27, 24
	s_mov_b32 s28, -1
	s_cbranch_scc1 .LBB70_695
; %bb.676:
	s_cmp_gt_i32 s27, 24
	s_cbranch_scc0 .LBB70_684
; %bb.677:
	s_wait_xcnt 0x0
	v_cndmask_b32_e64 v3, 0, 1.0, s23
	v_mov_b32_e32 v4, 0x80
	s_mov_b32 s28, exec_lo
	s_delay_alu instid0(VALU_DEP_2)
	v_cmpx_gt_u32_e32 0x47800000, v3
	s_cbranch_execz .LBB70_683
; %bb.678:
	s_mov_b32 s29, 0
	s_mov_b32 s30, exec_lo
                                        ; implicit-def: $vgpr2
	v_cmpx_lt_u32_e32 0x37ffffff, v3
	s_xor_b32 s30, exec_lo, s30
	s_cbranch_execz .LBB70_901
; %bb.679:
	v_bfe_u32 v2, v3, 21, 1
	s_mov_b32 s29, exec_lo
	s_delay_alu instid0(VALU_DEP_1) | instskip(NEXT) | instid1(VALU_DEP_1)
	v_add3_u32 v2, v3, v2, 0x88fffff
                                        ; implicit-def: $vgpr3
	v_lshrrev_b32_e32 v2, 21, v2
	s_and_not1_saveexec_b32 s30, s30
	s_cbranch_execnz .LBB70_902
.LBB70_680:
	s_or_b32 exec_lo, exec_lo, s30
	v_mov_b32_e32 v4, 0
	s_and_saveexec_b32 s30, s29
.LBB70_681:
	v_mov_b32_e32 v4, v2
.LBB70_682:
	s_or_b32 exec_lo, exec_lo, s30
.LBB70_683:
	s_delay_alu instid0(SALU_CYCLE_1)
	s_or_b32 exec_lo, exec_lo, s28
	s_mov_b32 s28, 0
	global_store_b8 v[0:1], v4, off
.LBB70_684:
	s_and_b32 vcc_lo, exec_lo, s28
	s_cbranch_vccz .LBB70_694
; %bb.685:
	s_wait_xcnt 0x0
	v_cndmask_b32_e64 v3, 0, 1.0, s23
	s_mov_b32 s28, exec_lo
                                        ; implicit-def: $vgpr2
	s_delay_alu instid0(VALU_DEP_1)
	v_cmpx_gt_u32_e32 0x43f00000, v3
	s_xor_b32 s28, exec_lo, s28
	s_cbranch_execz .LBB70_691
; %bb.686:
	s_mov_b32 s29, exec_lo
                                        ; implicit-def: $vgpr2
	v_cmpx_lt_u32_e32 0x3c7fffff, v3
	s_xor_b32 s29, exec_lo, s29
; %bb.687:
	v_bfe_u32 v2, v3, 20, 1
	s_delay_alu instid0(VALU_DEP_1) | instskip(NEXT) | instid1(VALU_DEP_1)
	v_add3_u32 v2, v3, v2, 0x407ffff
	v_and_b32_e32 v3, 0xff00000, v2
	v_lshrrev_b32_e32 v2, 20, v2
	s_delay_alu instid0(VALU_DEP_2) | instskip(NEXT) | instid1(VALU_DEP_2)
	v_cmp_ne_u32_e32 vcc_lo, 0x7f00000, v3
                                        ; implicit-def: $vgpr3
	v_cndmask_b32_e32 v2, 0x7e, v2, vcc_lo
; %bb.688:
	s_and_not1_saveexec_b32 s29, s29
; %bb.689:
	v_add_f32_e32 v2, 0x46800000, v3
; %bb.690:
	s_or_b32 exec_lo, exec_lo, s29
                                        ; implicit-def: $vgpr3
.LBB70_691:
	s_and_not1_saveexec_b32 s28, s28
; %bb.692:
	v_mov_b32_e32 v2, 0x7f
	v_cmp_lt_u32_e32 vcc_lo, 0x7f800000, v3
	s_delay_alu instid0(VALU_DEP_2)
	v_cndmask_b32_e32 v2, 0x7e, v2, vcc_lo
; %bb.693:
	s_or_b32 exec_lo, exec_lo, s28
	global_store_b8 v[0:1], v2, off
.LBB70_694:
	s_mov_b32 s28, 0
.LBB70_695:
	s_delay_alu instid0(SALU_CYCLE_1)
	s_and_not1_b32 vcc_lo, exec_lo, s28
	s_cbranch_vccnz .LBB70_705
; %bb.696:
	s_wait_xcnt 0x0
	v_cndmask_b32_e64 v3, 0, 1.0, s23
	s_mov_b32 s28, exec_lo
                                        ; implicit-def: $vgpr2
	s_delay_alu instid0(VALU_DEP_1)
	v_cmpx_gt_u32_e32 0x47800000, v3
	s_xor_b32 s28, exec_lo, s28
	s_cbranch_execz .LBB70_702
; %bb.697:
	s_mov_b32 s29, exec_lo
                                        ; implicit-def: $vgpr2
	v_cmpx_lt_u32_e32 0x387fffff, v3
	s_xor_b32 s29, exec_lo, s29
; %bb.698:
	v_bfe_u32 v2, v3, 21, 1
	s_delay_alu instid0(VALU_DEP_1) | instskip(NEXT) | instid1(VALU_DEP_1)
	v_add3_u32 v2, v3, v2, 0x80fffff
                                        ; implicit-def: $vgpr3
	v_lshrrev_b32_e32 v2, 21, v2
; %bb.699:
	s_and_not1_saveexec_b32 s29, s29
; %bb.700:
	v_add_f32_e32 v2, 0x43000000, v3
; %bb.701:
	s_or_b32 exec_lo, exec_lo, s29
                                        ; implicit-def: $vgpr3
.LBB70_702:
	s_and_not1_saveexec_b32 s28, s28
; %bb.703:
	v_mov_b32_e32 v2, 0x7f
	v_cmp_lt_u32_e32 vcc_lo, 0x7f800000, v3
	s_delay_alu instid0(VALU_DEP_2)
	v_cndmask_b32_e32 v2, 0x7c, v2, vcc_lo
; %bb.704:
	s_or_b32 exec_lo, exec_lo, s28
	global_store_b8 v[0:1], v2, off
.LBB70_705:
	s_mov_b32 s29, 0
	s_mov_b32 s28, -1
.LBB70_706:
	s_and_not1_b32 vcc_lo, exec_lo, s29
	s_cbranch_vccnz .LBB70_714
; %bb.707:
	s_cmp_gt_i32 s27, 14
	s_mov_b32 s29, -1
	s_cbranch_scc0 .LBB70_711
; %bb.708:
	s_cmp_eq_u32 s27, 15
	s_mov_b32 s0, -1
	s_cbranch_scc0 .LBB70_710
; %bb.709:
	s_wait_xcnt 0x0
	v_cndmask_b32_e64 v2, 0, 1.0, s23
	s_mov_b32 s28, -1
	s_mov_b32 s0, 0
	s_delay_alu instid0(VALU_DEP_1) | instskip(NEXT) | instid1(VALU_DEP_1)
	v_bfe_u32 v3, v2, 16, 1
	v_add3_u32 v2, v2, v3, 0x7fff
	global_store_d16_hi_b16 v[0:1], v2, off
.LBB70_710:
	s_mov_b32 s29, 0
.LBB70_711:
	s_delay_alu instid0(SALU_CYCLE_1)
	s_and_b32 vcc_lo, exec_lo, s29
	s_cbranch_vccz .LBB70_714
; %bb.712:
	s_cmp_eq_u32 s27, 11
	s_mov_b32 s0, -1
	s_cbranch_scc0 .LBB70_714
; %bb.713:
	s_wait_xcnt 0x0
	v_cndmask_b32_e64 v2, 0, 1, s23
	s_mov_b32 s28, -1
	s_mov_b32 s0, 0
	global_store_b8 v[0:1], v2, off
.LBB70_714:
	s_mov_b32 s27, 0
.LBB70_715:
	s_delay_alu instid0(SALU_CYCLE_1)
	s_and_b32 vcc_lo, exec_lo, s27
	s_cbranch_vccz .LBB70_754
; %bb.716:
	s_and_b32 s26, 0xffff, s26
	s_mov_b32 s27, -1
	s_cmp_lt_i32 s26, 5
	s_cbranch_scc1 .LBB70_737
; %bb.717:
	s_cmp_lt_i32 s26, 8
	s_cbranch_scc1 .LBB70_727
; %bb.718:
	;; [unrolled: 3-line block ×3, first 2 shown]
	s_cmp_gt_i32 s26, 9
	s_cbranch_scc0 .LBB70_721
; %bb.720:
	s_wait_xcnt 0x0
	v_cndmask_b32_e64 v2, 0, 1, s23
	v_mov_b32_e32 v4, 0
	s_mov_b32 s27, 0
	s_delay_alu instid0(VALU_DEP_2) | instskip(NEXT) | instid1(VALU_DEP_2)
	v_cvt_f64_u32_e32 v[2:3], v2
	v_mov_b32_e32 v5, v4
	global_store_b128 v[0:1], v[2:5], off
.LBB70_721:
	s_and_not1_b32 vcc_lo, exec_lo, s27
	s_cbranch_vccnz .LBB70_723
; %bb.722:
	s_wait_xcnt 0x0
	v_cndmask_b32_e64 v2, 0, 1.0, s23
	v_mov_b32_e32 v3, 0
	global_store_b64 v[0:1], v[2:3], off
.LBB70_723:
	s_mov_b32 s27, 0
.LBB70_724:
	s_delay_alu instid0(SALU_CYCLE_1)
	s_and_not1_b32 vcc_lo, exec_lo, s27
	s_cbranch_vccnz .LBB70_726
; %bb.725:
	s_wait_xcnt 0x0
	v_cndmask_b32_e64 v2, 0, 1.0, s23
	s_delay_alu instid0(VALU_DEP_1) | instskip(NEXT) | instid1(VALU_DEP_1)
	v_cvt_f16_f32_e32 v2, v2
	v_and_b32_e32 v2, 0xffff, v2
	global_store_b32 v[0:1], v2, off
.LBB70_726:
	s_mov_b32 s27, 0
.LBB70_727:
	s_delay_alu instid0(SALU_CYCLE_1)
	s_and_not1_b32 vcc_lo, exec_lo, s27
	s_cbranch_vccnz .LBB70_736
; %bb.728:
	s_cmp_lt_i32 s26, 6
	s_mov_b32 s27, -1
	s_cbranch_scc1 .LBB70_734
; %bb.729:
	s_cmp_gt_i32 s26, 6
	s_cbranch_scc0 .LBB70_731
; %bb.730:
	s_wait_xcnt 0x0
	v_cndmask_b32_e64 v2, 0, 1, s23
	s_mov_b32 s27, 0
	s_delay_alu instid0(VALU_DEP_1)
	v_cvt_f64_u32_e32 v[2:3], v2
	global_store_b64 v[0:1], v[2:3], off
.LBB70_731:
	s_and_not1_b32 vcc_lo, exec_lo, s27
	s_cbranch_vccnz .LBB70_733
; %bb.732:
	s_wait_xcnt 0x0
	v_cndmask_b32_e64 v2, 0, 1.0, s23
	global_store_b32 v[0:1], v2, off
.LBB70_733:
	s_mov_b32 s27, 0
.LBB70_734:
	s_delay_alu instid0(SALU_CYCLE_1)
	s_and_not1_b32 vcc_lo, exec_lo, s27
	s_cbranch_vccnz .LBB70_736
; %bb.735:
	s_wait_xcnt 0x0
	v_cndmask_b32_e64 v2, 0, 1.0, s23
	s_delay_alu instid0(VALU_DEP_1)
	v_cvt_f16_f32_e32 v2, v2
	global_store_b16 v[0:1], v2, off
.LBB70_736:
	s_mov_b32 s27, 0
.LBB70_737:
	s_delay_alu instid0(SALU_CYCLE_1)
	s_and_not1_b32 vcc_lo, exec_lo, s27
	s_cbranch_vccnz .LBB70_753
; %bb.738:
	s_cmp_lt_i32 s26, 2
	s_mov_b32 s27, -1
	s_cbranch_scc1 .LBB70_748
; %bb.739:
	s_cmp_lt_i32 s26, 3
	s_cbranch_scc1 .LBB70_745
; %bb.740:
	s_cmp_gt_i32 s26, 3
	s_cbranch_scc0 .LBB70_742
; %bb.741:
	s_mov_b32 s27, 0
	s_wait_xcnt 0x0
	v_cndmask_b32_e64 v2, 0, 1, s23
	v_mov_b32_e32 v3, s27
	global_store_b64 v[0:1], v[2:3], off
.LBB70_742:
	s_and_not1_b32 vcc_lo, exec_lo, s27
	s_cbranch_vccnz .LBB70_744
; %bb.743:
	s_wait_xcnt 0x0
	v_cndmask_b32_e64 v2, 0, 1, s23
	global_store_b32 v[0:1], v2, off
.LBB70_744:
	s_mov_b32 s27, 0
.LBB70_745:
	s_delay_alu instid0(SALU_CYCLE_1)
	s_and_not1_b32 vcc_lo, exec_lo, s27
	s_cbranch_vccnz .LBB70_747
; %bb.746:
	s_wait_xcnt 0x0
	v_cndmask_b32_e64 v2, 0, 1, s23
	global_store_b16 v[0:1], v2, off
.LBB70_747:
	s_mov_b32 s27, 0
.LBB70_748:
	s_delay_alu instid0(SALU_CYCLE_1)
	s_and_not1_b32 vcc_lo, exec_lo, s27
	s_cbranch_vccnz .LBB70_753
; %bb.749:
	s_wait_xcnt 0x0
	v_cndmask_b32_e64 v2, 0, 1, s23
	s_cmp_gt_i32 s26, 0
	s_mov_b32 s23, -1
	s_cbranch_scc0 .LBB70_751
; %bb.750:
	s_mov_b32 s23, 0
	global_store_b8 v[0:1], v2, off
.LBB70_751:
	s_and_not1_b32 vcc_lo, exec_lo, s23
	s_cbranch_vccnz .LBB70_753
; %bb.752:
	global_store_b8 v[0:1], v2, off
.LBB70_753:
	s_mov_b32 s28, -1
.LBB70_754:
	s_delay_alu instid0(SALU_CYCLE_1)
	s_and_not1_b32 vcc_lo, exec_lo, s28
	s_cbranch_vccnz .LBB70_756
; %bb.755:
	v_add_nc_u32_e32 v18, 0x80, v18
	s_mov_b32 s26, -1
	s_branch .LBB70_758
.LBB70_756:
	s_mov_b32 s26, 0
.LBB70_757:
                                        ; implicit-def: $vgpr18
.LBB70_758:
	s_and_not1_b32 s23, s18, exec_lo
	s_and_b32 s0, s0, exec_lo
	s_and_b32 s24, s24, exec_lo
	s_or_b32 s23, s23, s0
	s_and_not1_b32 s0, s19, exec_lo
	s_and_not1_b32 s27, s20, exec_lo
	s_and_b32 s22, s22, exec_lo
	s_or_b32 s24, s0, s24
	s_or_b32 s22, s27, s22
	s_or_not1_b32 s27, s26, exec_lo
.LBB70_759:
	s_wait_xcnt 0x0
	s_or_b32 exec_lo, exec_lo, s25
	s_mov_b32 s26, 0
	s_mov_b32 s28, 0
	;; [unrolled: 1-line block ×3, first 2 shown]
                                        ; implicit-def: $sgpr0
                                        ; implicit-def: $vgpr2_vgpr3
                                        ; implicit-def: $vgpr0
	s_and_saveexec_b32 s25, s27
	s_cbranch_execz .LBB70_1222
; %bb.760:
	s_mov_b32 s34, -1
	s_mov_b32 s27, s22
	s_mov_b32 s28, s24
	;; [unrolled: 1-line block ×3, first 2 shown]
	s_mov_b32 s26, exec_lo
	v_cmpx_gt_i32_e64 s17, v18
	s_cbranch_execz .LBB70_1142
; %bb.761:
	s_wait_loadcnt 0x0
	v_mul_lo_u32 v0, v18, s9
	s_and_b32 s0, s14, 0xff
	s_delay_alu instid0(SALU_CYCLE_1) | instskip(NEXT) | instid1(VALU_DEP_1)
	s_cmp_lt_i32 s0, 11
	v_ashrrev_i32_e32 v1, 31, v0
	s_delay_alu instid0(VALU_DEP_1)
	v_add_nc_u64_e32 v[2:3], s[6:7], v[0:1]
	s_cbranch_scc1 .LBB70_768
; %bb.762:
	s_and_b32 s28, 0xffff, s0
	s_delay_alu instid0(SALU_CYCLE_1)
	s_cmp_gt_i32 s28, 25
	s_cbranch_scc0 .LBB70_769
; %bb.763:
	s_cmp_gt_i32 s28, 28
	s_cbranch_scc0 .LBB70_770
; %bb.764:
	;; [unrolled: 3-line block ×4, first 2 shown]
	s_cmp_eq_u32 s28, 46
	s_mov_b32 s30, 0
	s_cbranch_scc0 .LBB70_775
; %bb.767:
	global_load_b32 v0, v[2:3], off
	s_mov_b32 s29, -1
	s_mov_b32 s27, 0
	s_wait_loadcnt 0x0
	v_lshlrev_b32_e32 v0, 16, v0
	s_delay_alu instid0(VALU_DEP_1)
	v_cvt_i32_f32_e32 v0, v0
	s_branch .LBB70_777
.LBB70_768:
	s_mov_b32 s28, -1
	s_mov_b32 s29, 0
	s_mov_b32 s27, s22
                                        ; implicit-def: $vgpr0
	s_branch .LBB70_838
.LBB70_769:
	s_mov_b32 s30, -1
	s_mov_b32 s29, 0
	s_mov_b32 s27, s22
                                        ; implicit-def: $vgpr0
	s_branch .LBB70_804
.LBB70_770:
	s_mov_b32 s30, -1
	s_mov_b32 s29, 0
	s_mov_b32 s27, s22
                                        ; implicit-def: $vgpr0
	s_branch .LBB70_787
.LBB70_771:
	s_mov_b32 s30, -1
	s_mov_b32 s29, 0
	s_mov_b32 s27, s22
                                        ; implicit-def: $vgpr0
	s_branch .LBB70_782
.LBB70_772:
	s_mov_b32 s30, -1
	s_mov_b32 s29, 0
	s_mov_b32 s27, s22
	s_branch .LBB70_776
.LBB70_773:
	s_and_not1_saveexec_b32 s30, s30
	s_cbranch_execz .LBB70_667
.LBB70_774:
	v_add_f32_e32 v2, 0x46000000, v3
	s_and_not1_b32 s29, s29, exec_lo
	s_delay_alu instid0(VALU_DEP_1) | instskip(NEXT) | instid1(VALU_DEP_1)
	v_and_b32_e32 v2, 0xff, v2
	v_cmp_ne_u32_e32 vcc_lo, 0, v2
	s_and_b32 s31, vcc_lo, exec_lo
	s_delay_alu instid0(SALU_CYCLE_1)
	s_or_b32 s29, s29, s31
	s_or_b32 exec_lo, exec_lo, s30
	v_mov_b32_e32 v4, 0
	s_and_saveexec_b32 s30, s29
	s_cbranch_execnz .LBB70_668
	s_branch .LBB70_669
.LBB70_775:
	s_mov_b32 s27, -1
	s_mov_b32 s29, 0
.LBB70_776:
                                        ; implicit-def: $vgpr0
.LBB70_777:
	s_and_b32 vcc_lo, exec_lo, s30
	s_cbranch_vccz .LBB70_781
; %bb.778:
	s_cmp_eq_u32 s28, 44
	s_cbranch_scc0 .LBB70_780
; %bb.779:
	global_load_u8 v0, v[2:3], off
	s_mov_b32 s27, 0
	s_mov_b32 s29, -1
	s_wait_loadcnt 0x0
	v_lshlrev_b32_e32 v1, 23, v0
	v_cmp_ne_u32_e32 vcc_lo, 0, v0
	s_delay_alu instid0(VALU_DEP_2) | instskip(NEXT) | instid1(VALU_DEP_1)
	v_cvt_i32_f32_e32 v1, v1
	v_cndmask_b32_e32 v0, 0, v1, vcc_lo
	s_branch .LBB70_781
.LBB70_780:
	s_mov_b32 s27, -1
                                        ; implicit-def: $vgpr0
.LBB70_781:
	s_mov_b32 s30, 0
.LBB70_782:
	s_delay_alu instid0(SALU_CYCLE_1)
	s_and_b32 vcc_lo, exec_lo, s30
	s_cbranch_vccz .LBB70_786
; %bb.783:
	s_cmp_eq_u32 s28, 29
	s_cbranch_scc0 .LBB70_785
; %bb.784:
	global_load_b64 v[0:1], v[2:3], off
	s_mov_b32 s29, -1
	s_mov_b32 s27, 0
	s_branch .LBB70_786
.LBB70_785:
	s_mov_b32 s27, -1
                                        ; implicit-def: $vgpr0
.LBB70_786:
	s_mov_b32 s30, 0
.LBB70_787:
	s_delay_alu instid0(SALU_CYCLE_1)
	s_and_b32 vcc_lo, exec_lo, s30
	s_cbranch_vccz .LBB70_803
; %bb.788:
	s_cmp_lt_i32 s28, 27
	s_cbranch_scc1 .LBB70_791
; %bb.789:
	s_cmp_gt_i32 s28, 27
	s_cbranch_scc0 .LBB70_792
; %bb.790:
	s_wait_loadcnt 0x0
	global_load_b32 v0, v[2:3], off
	s_mov_b32 s29, 0
	s_branch .LBB70_793
.LBB70_791:
	s_mov_b32 s29, -1
                                        ; implicit-def: $vgpr0
	s_branch .LBB70_796
.LBB70_792:
	s_mov_b32 s29, -1
                                        ; implicit-def: $vgpr0
.LBB70_793:
	s_delay_alu instid0(SALU_CYCLE_1)
	s_and_not1_b32 vcc_lo, exec_lo, s29
	s_cbranch_vccnz .LBB70_795
; %bb.794:
	s_wait_loadcnt 0x0
	global_load_u16 v0, v[2:3], off
.LBB70_795:
	s_mov_b32 s29, 0
.LBB70_796:
	s_delay_alu instid0(SALU_CYCLE_1)
	s_and_not1_b32 vcc_lo, exec_lo, s29
	s_cbranch_vccnz .LBB70_802
; %bb.797:
	s_wait_loadcnt 0x0
	global_load_u8 v1, v[2:3], off
	s_mov_b32 s30, 0
	s_mov_b32 s29, exec_lo
	s_wait_loadcnt 0x0
	v_cmpx_lt_i16_e32 0x7f, v1
	s_xor_b32 s29, exec_lo, s29
	s_cbranch_execz .LBB70_814
; %bb.798:
	v_cmp_ne_u16_e32 vcc_lo, 0x80, v1
	s_and_b32 s30, vcc_lo, exec_lo
	s_and_not1_saveexec_b32 s29, s29
	s_cbranch_execnz .LBB70_815
.LBB70_799:
	s_or_b32 exec_lo, exec_lo, s29
	v_mov_b32_e32 v0, 0
	s_and_saveexec_b32 s29, s30
	s_cbranch_execz .LBB70_801
.LBB70_800:
	v_and_b32_e32 v0, 0xffff, v1
	s_delay_alu instid0(VALU_DEP_1) | instskip(SKIP_1) | instid1(VALU_DEP_2)
	v_and_b32_e32 v4, 7, v0
	v_bfe_u32 v7, v0, 3, 4
	v_clz_i32_u32_e32 v5, v4
	s_delay_alu instid0(VALU_DEP_2) | instskip(NEXT) | instid1(VALU_DEP_2)
	v_cmp_eq_u32_e32 vcc_lo, 0, v7
	v_min_u32_e32 v5, 32, v5
	s_delay_alu instid0(VALU_DEP_1) | instskip(NEXT) | instid1(VALU_DEP_1)
	v_subrev_nc_u32_e32 v6, 28, v5
	v_dual_lshlrev_b32 v0, v6, v0 :: v_dual_sub_nc_u32 v5, 29, v5
	s_delay_alu instid0(VALU_DEP_1) | instskip(NEXT) | instid1(VALU_DEP_1)
	v_dual_lshlrev_b32 v1, 24, v1 :: v_dual_bitop2_b32 v0, 7, v0 bitop3:0x40
	v_dual_cndmask_b32 v0, v4, v0 :: v_dual_cndmask_b32 v5, v7, v5
	s_delay_alu instid0(VALU_DEP_2) | instskip(NEXT) | instid1(VALU_DEP_2)
	v_and_b32_e32 v1, 0x80000000, v1
	v_lshlrev_b32_e32 v0, 20, v0
	s_delay_alu instid0(VALU_DEP_3) | instskip(NEXT) | instid1(VALU_DEP_1)
	v_lshl_add_u32 v4, v5, 23, 0x3b800000
	v_or3_b32 v0, v1, v4, v0
	s_delay_alu instid0(VALU_DEP_1)
	v_cvt_i32_f32_e32 v0, v0
.LBB70_801:
	s_or_b32 exec_lo, exec_lo, s29
.LBB70_802:
	s_mov_b32 s29, -1
.LBB70_803:
	s_mov_b32 s30, 0
.LBB70_804:
	s_delay_alu instid0(SALU_CYCLE_1)
	s_and_b32 vcc_lo, exec_lo, s30
	s_cbranch_vccz .LBB70_837
; %bb.805:
	s_cmp_gt_i32 s28, 22
	s_cbranch_scc0 .LBB70_813
; %bb.806:
	s_cmp_lt_i32 s28, 24
	s_cbranch_scc1 .LBB70_816
; %bb.807:
	s_cmp_gt_i32 s28, 24
	s_cbranch_scc0 .LBB70_817
; %bb.808:
	s_wait_loadcnt 0x0
	global_load_u8 v1, v[2:3], off
	s_mov_b32 s30, 0
	s_mov_b32 s29, exec_lo
	s_wait_loadcnt 0x0
	v_cmpx_lt_i16_e32 0x7f, v1
	s_xor_b32 s29, exec_lo, s29
	s_cbranch_execz .LBB70_829
; %bb.809:
	v_cmp_ne_u16_e32 vcc_lo, 0x80, v1
	s_and_b32 s30, vcc_lo, exec_lo
	s_and_not1_saveexec_b32 s29, s29
	s_cbranch_execnz .LBB70_830
.LBB70_810:
	s_or_b32 exec_lo, exec_lo, s29
	v_mov_b32_e32 v0, 0
	s_and_saveexec_b32 s29, s30
	s_cbranch_execz .LBB70_812
.LBB70_811:
	v_and_b32_e32 v0, 0xffff, v1
	s_delay_alu instid0(VALU_DEP_1) | instskip(SKIP_1) | instid1(VALU_DEP_2)
	v_and_b32_e32 v4, 3, v0
	v_bfe_u32 v7, v0, 2, 5
	v_clz_i32_u32_e32 v5, v4
	s_delay_alu instid0(VALU_DEP_2) | instskip(NEXT) | instid1(VALU_DEP_2)
	v_cmp_eq_u32_e32 vcc_lo, 0, v7
	v_min_u32_e32 v5, 32, v5
	s_delay_alu instid0(VALU_DEP_1) | instskip(NEXT) | instid1(VALU_DEP_1)
	v_subrev_nc_u32_e32 v6, 29, v5
	v_dual_lshlrev_b32 v0, v6, v0 :: v_dual_sub_nc_u32 v5, 30, v5
	s_delay_alu instid0(VALU_DEP_1) | instskip(NEXT) | instid1(VALU_DEP_1)
	v_dual_lshlrev_b32 v1, 24, v1 :: v_dual_bitop2_b32 v0, 3, v0 bitop3:0x40
	v_dual_cndmask_b32 v0, v4, v0 :: v_dual_cndmask_b32 v5, v7, v5
	s_delay_alu instid0(VALU_DEP_2) | instskip(NEXT) | instid1(VALU_DEP_2)
	v_and_b32_e32 v1, 0x80000000, v1
	v_lshlrev_b32_e32 v0, 21, v0
	s_delay_alu instid0(VALU_DEP_3) | instskip(NEXT) | instid1(VALU_DEP_1)
	v_lshl_add_u32 v4, v5, 23, 0x37800000
	v_or3_b32 v0, v1, v4, v0
	s_delay_alu instid0(VALU_DEP_1)
	v_cvt_i32_f32_e32 v0, v0
.LBB70_812:
	s_or_b32 exec_lo, exec_lo, s29
	s_mov_b32 s29, 0
	s_branch .LBB70_818
.LBB70_813:
	s_mov_b32 s30, -1
                                        ; implicit-def: $vgpr0
	s_branch .LBB70_824
.LBB70_814:
	s_and_not1_saveexec_b32 s29, s29
	s_cbranch_execz .LBB70_799
.LBB70_815:
	v_cmp_ne_u16_e32 vcc_lo, 0, v1
	s_and_not1_b32 s30, s30, exec_lo
	s_and_b32 s31, vcc_lo, exec_lo
	s_delay_alu instid0(SALU_CYCLE_1)
	s_or_b32 s30, s30, s31
	s_or_b32 exec_lo, exec_lo, s29
	v_mov_b32_e32 v0, 0
	s_and_saveexec_b32 s29, s30
	s_cbranch_execnz .LBB70_800
	s_branch .LBB70_801
.LBB70_816:
	s_mov_b32 s29, -1
                                        ; implicit-def: $vgpr0
	s_branch .LBB70_821
.LBB70_817:
	s_mov_b32 s29, -1
                                        ; implicit-def: $vgpr0
.LBB70_818:
	s_delay_alu instid0(SALU_CYCLE_1)
	s_and_b32 vcc_lo, exec_lo, s29
	s_cbranch_vccz .LBB70_820
; %bb.819:
	s_wait_loadcnt 0x0
	global_load_u8 v0, v[2:3], off
	s_wait_loadcnt 0x0
	v_lshlrev_b32_e32 v0, 24, v0
	s_delay_alu instid0(VALU_DEP_1) | instskip(NEXT) | instid1(VALU_DEP_1)
	v_and_b32_e32 v1, 0x7f000000, v0
	v_clz_i32_u32_e32 v4, v1
	v_cmp_ne_u32_e32 vcc_lo, 0, v1
	v_add_nc_u32_e32 v6, 0x1000000, v1
	s_delay_alu instid0(VALU_DEP_3) | instskip(NEXT) | instid1(VALU_DEP_1)
	v_min_u32_e32 v4, 32, v4
	v_sub_nc_u32_e64 v4, v4, 4 clamp
	s_delay_alu instid0(VALU_DEP_1) | instskip(NEXT) | instid1(VALU_DEP_1)
	v_dual_lshlrev_b32 v5, v4, v1 :: v_dual_lshlrev_b32 v4, 23, v4
	v_lshrrev_b32_e32 v5, 4, v5
	s_delay_alu instid0(VALU_DEP_1) | instskip(NEXT) | instid1(VALU_DEP_1)
	v_dual_sub_nc_u32 v4, v5, v4 :: v_dual_ashrrev_i32 v5, 8, v6
	v_add_nc_u32_e32 v4, 0x3c000000, v4
	s_delay_alu instid0(VALU_DEP_1) | instskip(NEXT) | instid1(VALU_DEP_1)
	v_and_or_b32 v4, 0x7f800000, v5, v4
	v_cndmask_b32_e32 v1, 0, v4, vcc_lo
	s_delay_alu instid0(VALU_DEP_1) | instskip(NEXT) | instid1(VALU_DEP_1)
	v_and_or_b32 v0, 0x80000000, v0, v1
	v_cvt_i32_f32_e32 v0, v0
.LBB70_820:
	s_mov_b32 s29, 0
.LBB70_821:
	s_delay_alu instid0(SALU_CYCLE_1)
	s_and_not1_b32 vcc_lo, exec_lo, s29
	s_cbranch_vccnz .LBB70_823
; %bb.822:
	s_wait_loadcnt 0x0
	global_load_u8 v0, v[2:3], off
	s_wait_loadcnt 0x0
	v_lshlrev_b32_e32 v1, 25, v0
	v_lshlrev_b16 v0, 8, v0
	s_delay_alu instid0(VALU_DEP_1) | instskip(SKIP_1) | instid1(VALU_DEP_2)
	v_and_or_b32 v5, 0x7f00, v0, 0.5
	v_bfe_i32 v0, v0, 0, 16
	v_add_f32_e32 v5, -0.5, v5
	v_lshrrev_b32_e32 v4, 4, v1
	v_cmp_gt_u32_e32 vcc_lo, 0x8000000, v1
	s_delay_alu instid0(VALU_DEP_2) | instskip(NEXT) | instid1(VALU_DEP_1)
	v_or_b32_e32 v4, 0x70000000, v4
	v_mul_f32_e32 v4, 0x7800000, v4
	s_delay_alu instid0(VALU_DEP_1) | instskip(NEXT) | instid1(VALU_DEP_1)
	v_cndmask_b32_e32 v1, v4, v5, vcc_lo
	v_and_or_b32 v0, 0x80000000, v0, v1
	s_delay_alu instid0(VALU_DEP_1)
	v_cvt_i32_f32_e32 v0, v0
.LBB70_823:
	s_mov_b32 s30, 0
	s_mov_b32 s29, -1
.LBB70_824:
	s_and_not1_b32 vcc_lo, exec_lo, s30
	s_cbranch_vccnz .LBB70_837
; %bb.825:
	s_cmp_gt_i32 s28, 14
	s_cbranch_scc0 .LBB70_828
; %bb.826:
	s_cmp_eq_u32 s28, 15
	s_cbranch_scc0 .LBB70_831
; %bb.827:
	s_wait_loadcnt 0x0
	global_load_u16 v0, v[2:3], off
	s_mov_b32 s29, -1
	s_mov_b32 s27, 0
	s_wait_loadcnt 0x0
	v_lshlrev_b32_e32 v0, 16, v0
	s_delay_alu instid0(VALU_DEP_1)
	v_cvt_i32_f32_e32 v0, v0
	s_branch .LBB70_832
.LBB70_828:
	s_mov_b32 s30, -1
                                        ; implicit-def: $vgpr0
	s_branch .LBB70_833
.LBB70_829:
	s_and_not1_saveexec_b32 s29, s29
	s_cbranch_execz .LBB70_810
.LBB70_830:
	v_cmp_ne_u16_e32 vcc_lo, 0, v1
	s_and_not1_b32 s30, s30, exec_lo
	s_and_b32 s31, vcc_lo, exec_lo
	s_delay_alu instid0(SALU_CYCLE_1)
	s_or_b32 s30, s30, s31
	s_or_b32 exec_lo, exec_lo, s29
	v_mov_b32_e32 v0, 0
	s_and_saveexec_b32 s29, s30
	s_cbranch_execnz .LBB70_811
	s_branch .LBB70_812
.LBB70_831:
	s_mov_b32 s27, -1
                                        ; implicit-def: $vgpr0
.LBB70_832:
	s_mov_b32 s30, 0
.LBB70_833:
	s_delay_alu instid0(SALU_CYCLE_1)
	s_and_b32 vcc_lo, exec_lo, s30
	s_cbranch_vccz .LBB70_837
; %bb.834:
	s_cmp_eq_u32 s28, 11
	s_cbranch_scc0 .LBB70_836
; %bb.835:
	s_wait_loadcnt 0x0
	global_load_u8 v0, v[2:3], off
	s_mov_b32 s27, 0
	s_mov_b32 s29, -1
	s_wait_loadcnt 0x0
	v_cmp_ne_u16_e32 vcc_lo, 0, v0
	v_cndmask_b32_e64 v0, 0, 1, vcc_lo
	s_branch .LBB70_837
.LBB70_836:
	s_mov_b32 s27, -1
                                        ; implicit-def: $vgpr0
.LBB70_837:
	s_mov_b32 s28, 0
.LBB70_838:
	s_delay_alu instid0(SALU_CYCLE_1)
	s_and_b32 vcc_lo, exec_lo, s28
	s_cbranch_vccz .LBB70_887
; %bb.839:
	s_and_b32 s0, 0xffff, s0
	s_delay_alu instid0(SALU_CYCLE_1)
	s_cmp_lt_i32 s0, 5
	s_cbranch_scc1 .LBB70_844
; %bb.840:
	s_cmp_lt_i32 s0, 8
	s_cbranch_scc1 .LBB70_845
; %bb.841:
	;; [unrolled: 3-line block ×3, first 2 shown]
	s_cmp_gt_i32 s0, 9
	s_cbranch_scc0 .LBB70_847
; %bb.843:
	s_wait_loadcnt 0x0
	global_load_b64 v[0:1], v[2:3], off
	s_mov_b32 s28, 0
	s_wait_loadcnt 0x0
	v_cvt_i32_f64_e32 v0, v[0:1]
	s_branch .LBB70_848
.LBB70_844:
	s_mov_b32 s28, -1
                                        ; implicit-def: $vgpr0
	s_branch .LBB70_866
.LBB70_845:
	s_mov_b32 s28, -1
                                        ; implicit-def: $vgpr0
	s_branch .LBB70_854
.LBB70_846:
	s_mov_b32 s28, -1
                                        ; implicit-def: $vgpr0
	s_branch .LBB70_851
.LBB70_847:
	s_mov_b32 s28, -1
                                        ; implicit-def: $vgpr0
.LBB70_848:
	s_delay_alu instid0(SALU_CYCLE_1)
	s_and_not1_b32 vcc_lo, exec_lo, s28
	s_cbranch_vccnz .LBB70_850
; %bb.849:
	s_wait_loadcnt 0x0
	global_load_b32 v0, v[2:3], off
	s_wait_loadcnt 0x0
	v_cvt_i32_f32_e32 v0, v0
.LBB70_850:
	s_mov_b32 s28, 0
.LBB70_851:
	s_delay_alu instid0(SALU_CYCLE_1)
	s_and_not1_b32 vcc_lo, exec_lo, s28
	s_cbranch_vccnz .LBB70_853
; %bb.852:
	s_wait_loadcnt 0x0
	global_load_b32 v0, v[2:3], off
	s_wait_loadcnt 0x0
	v_cvt_i16_f16_e32 v0, v0
.LBB70_853:
	s_mov_b32 s28, 0
.LBB70_854:
	s_delay_alu instid0(SALU_CYCLE_1)
	s_and_not1_b32 vcc_lo, exec_lo, s28
	s_cbranch_vccnz .LBB70_865
; %bb.855:
	s_cmp_lt_i32 s0, 6
	s_cbranch_scc1 .LBB70_858
; %bb.856:
	s_cmp_gt_i32 s0, 6
	s_cbranch_scc0 .LBB70_859
; %bb.857:
	s_wait_loadcnt 0x0
	global_load_b64 v[0:1], v[2:3], off
	s_mov_b32 s28, 0
	s_wait_loadcnt 0x0
	v_cvt_i32_f64_e32 v0, v[0:1]
	s_branch .LBB70_860
.LBB70_858:
	s_mov_b32 s28, -1
                                        ; implicit-def: $vgpr0
	s_branch .LBB70_863
.LBB70_859:
	s_mov_b32 s28, -1
                                        ; implicit-def: $vgpr0
.LBB70_860:
	s_delay_alu instid0(SALU_CYCLE_1)
	s_and_not1_b32 vcc_lo, exec_lo, s28
	s_cbranch_vccnz .LBB70_862
; %bb.861:
	s_wait_loadcnt 0x0
	global_load_b32 v0, v[2:3], off
	s_wait_loadcnt 0x0
	v_cvt_i32_f32_e32 v0, v0
.LBB70_862:
	s_mov_b32 s28, 0
.LBB70_863:
	s_delay_alu instid0(SALU_CYCLE_1)
	s_and_not1_b32 vcc_lo, exec_lo, s28
	s_cbranch_vccnz .LBB70_865
; %bb.864:
	s_wait_loadcnt 0x0
	global_load_u16 v0, v[2:3], off
	s_wait_loadcnt 0x0
	v_cvt_i16_f16_e32 v0, v0
.LBB70_865:
	s_mov_b32 s28, 0
.LBB70_866:
	s_delay_alu instid0(SALU_CYCLE_1)
	s_and_not1_b32 vcc_lo, exec_lo, s28
	s_cbranch_vccnz .LBB70_886
; %bb.867:
	s_cmp_lt_i32 s0, 2
	s_cbranch_scc1 .LBB70_871
; %bb.868:
	s_cmp_lt_i32 s0, 3
	s_cbranch_scc1 .LBB70_872
; %bb.869:
	s_cmp_gt_i32 s0, 3
	s_cbranch_scc0 .LBB70_873
; %bb.870:
	s_wait_loadcnt 0x0
	global_load_b64 v[0:1], v[2:3], off
	s_mov_b32 s28, 0
	s_branch .LBB70_874
.LBB70_871:
	s_mov_b32 s28, -1
                                        ; implicit-def: $vgpr0
	s_branch .LBB70_880
.LBB70_872:
	s_mov_b32 s28, -1
                                        ; implicit-def: $vgpr0
	s_branch .LBB70_877
.LBB70_873:
	s_mov_b32 s28, -1
                                        ; implicit-def: $vgpr0
.LBB70_874:
	s_delay_alu instid0(SALU_CYCLE_1)
	s_and_not1_b32 vcc_lo, exec_lo, s28
	s_cbranch_vccnz .LBB70_876
; %bb.875:
	s_wait_loadcnt 0x0
	global_load_b32 v0, v[2:3], off
.LBB70_876:
	s_mov_b32 s28, 0
.LBB70_877:
	s_delay_alu instid0(SALU_CYCLE_1)
	s_and_not1_b32 vcc_lo, exec_lo, s28
	s_cbranch_vccnz .LBB70_879
; %bb.878:
	s_wait_loadcnt 0x0
	global_load_u16 v0, v[2:3], off
.LBB70_879:
	s_mov_b32 s28, 0
.LBB70_880:
	s_delay_alu instid0(SALU_CYCLE_1)
	s_and_not1_b32 vcc_lo, exec_lo, s28
	s_cbranch_vccnz .LBB70_886
; %bb.881:
	s_cmp_gt_i32 s0, 0
	s_mov_b32 s0, 0
	s_cbranch_scc0 .LBB70_883
; %bb.882:
	s_wait_loadcnt 0x0
	global_load_i8 v0, v[2:3], off
	s_branch .LBB70_884
.LBB70_883:
	s_mov_b32 s0, -1
                                        ; implicit-def: $vgpr0
.LBB70_884:
	s_delay_alu instid0(SALU_CYCLE_1)
	s_and_not1_b32 vcc_lo, exec_lo, s0
	s_cbranch_vccnz .LBB70_886
; %bb.885:
	s_wait_loadcnt 0x0
	global_load_u8 v0, v[2:3], off
.LBB70_886:
	s_mov_b32 s29, -1
.LBB70_887:
	s_delay_alu instid0(SALU_CYCLE_1)
	s_and_not1_b32 vcc_lo, exec_lo, s29
	s_cbranch_vccnz .LBB70_895
; %bb.888:
	s_wait_xcnt 0x0
	v_mul_lo_u32 v2, v18, s10
	s_and_b32 s0, s1, 0xff
	s_delay_alu instid0(SALU_CYCLE_1) | instskip(NEXT) | instid1(VALU_DEP_1)
	s_cmp_lt_i32 s0, 11
	v_ashrrev_i32_e32 v3, 31, v2
	s_delay_alu instid0(VALU_DEP_1)
	v_add_nc_u64_e32 v[2:3], s[2:3], v[2:3]
	s_cbranch_scc1 .LBB70_896
; %bb.889:
	s_and_b32 s29, 0xffff, s0
	s_delay_alu instid0(SALU_CYCLE_1)
	s_cmp_gt_i32 s29, 25
	s_cbranch_scc0 .LBB70_897
; %bb.890:
	s_cmp_gt_i32 s29, 28
	s_cbranch_scc0 .LBB70_898
; %bb.891:
	;; [unrolled: 3-line block ×4, first 2 shown]
	s_cmp_eq_u32 s29, 46
	s_mov_b32 s31, 0
	s_cbranch_scc0 .LBB70_903
; %bb.894:
	s_wait_loadcnt 0x0
	global_load_b32 v1, v[2:3], off
	s_mov_b32 s30, -1
	s_mov_b32 s28, 0
	s_wait_loadcnt 0x0
	v_lshlrev_b32_e32 v1, 16, v1
	s_delay_alu instid0(VALU_DEP_1)
	v_cvt_i32_f32_e32 v4, v1
	s_branch .LBB70_905
.LBB70_895:
	s_mov_b32 s30, 0
	s_mov_b32 s0, s23
	;; [unrolled: 1-line block ×3, first 2 shown]
	s_branch .LBB70_1140
.LBB70_896:
	s_mov_b32 s29, -1
	s_mov_b32 s30, 0
	s_mov_b32 s28, s24
                                        ; implicit-def: $vgpr4
	s_branch .LBB70_966
.LBB70_897:
	s_mov_b32 s31, -1
	s_mov_b32 s30, 0
	s_mov_b32 s28, s24
                                        ; implicit-def: $vgpr4
	s_branch .LBB70_932
.LBB70_898:
	s_mov_b32 s31, -1
	s_mov_b32 s30, 0
	s_mov_b32 s28, s24
                                        ; implicit-def: $vgpr4
	s_branch .LBB70_915
.LBB70_899:
	s_mov_b32 s31, -1
	s_mov_b32 s30, 0
	s_mov_b32 s28, s24
                                        ; implicit-def: $vgpr4
	s_branch .LBB70_910
.LBB70_900:
	s_mov_b32 s31, -1
	s_mov_b32 s30, 0
	s_mov_b32 s28, s24
	s_branch .LBB70_904
.LBB70_901:
	s_and_not1_saveexec_b32 s30, s30
	s_cbranch_execz .LBB70_680
.LBB70_902:
	v_add_f32_e32 v2, 0x42800000, v3
	s_and_not1_b32 s29, s29, exec_lo
	s_delay_alu instid0(VALU_DEP_1) | instskip(NEXT) | instid1(VALU_DEP_1)
	v_and_b32_e32 v2, 0xff, v2
	v_cmp_ne_u32_e32 vcc_lo, 0, v2
	s_and_b32 s31, vcc_lo, exec_lo
	s_delay_alu instid0(SALU_CYCLE_1)
	s_or_b32 s29, s29, s31
	s_or_b32 exec_lo, exec_lo, s30
	v_mov_b32_e32 v4, 0
	s_and_saveexec_b32 s30, s29
	s_cbranch_execnz .LBB70_681
	s_branch .LBB70_682
.LBB70_903:
	s_mov_b32 s28, -1
	s_mov_b32 s30, 0
.LBB70_904:
                                        ; implicit-def: $vgpr4
.LBB70_905:
	s_and_b32 vcc_lo, exec_lo, s31
	s_cbranch_vccz .LBB70_909
; %bb.906:
	s_cmp_eq_u32 s29, 44
	s_cbranch_scc0 .LBB70_908
; %bb.907:
	s_wait_loadcnt 0x0
	global_load_u8 v1, v[2:3], off
	s_mov_b32 s28, 0
	s_mov_b32 s30, -1
	s_wait_loadcnt 0x0
	v_lshlrev_b32_e32 v4, 23, v1
	v_cmp_ne_u32_e32 vcc_lo, 0, v1
	s_delay_alu instid0(VALU_DEP_2) | instskip(NEXT) | instid1(VALU_DEP_1)
	v_cvt_i32_f32_e32 v4, v4
	v_cndmask_b32_e32 v4, 0, v4, vcc_lo
	s_branch .LBB70_909
.LBB70_908:
	s_mov_b32 s28, -1
                                        ; implicit-def: $vgpr4
.LBB70_909:
	s_mov_b32 s31, 0
.LBB70_910:
	s_delay_alu instid0(SALU_CYCLE_1)
	s_and_b32 vcc_lo, exec_lo, s31
	s_cbranch_vccz .LBB70_914
; %bb.911:
	s_cmp_eq_u32 s29, 29
	s_cbranch_scc0 .LBB70_913
; %bb.912:
	global_load_b64 v[4:5], v[2:3], off
	s_mov_b32 s30, -1
	s_mov_b32 s28, 0
	s_branch .LBB70_914
.LBB70_913:
	s_mov_b32 s28, -1
                                        ; implicit-def: $vgpr4
.LBB70_914:
	s_mov_b32 s31, 0
.LBB70_915:
	s_delay_alu instid0(SALU_CYCLE_1)
	s_and_b32 vcc_lo, exec_lo, s31
	s_cbranch_vccz .LBB70_931
; %bb.916:
	s_cmp_lt_i32 s29, 27
	s_cbranch_scc1 .LBB70_919
; %bb.917:
	s_cmp_gt_i32 s29, 27
	s_cbranch_scc0 .LBB70_920
; %bb.918:
	s_wait_loadcnt 0x0
	global_load_b32 v4, v[2:3], off
	s_mov_b32 s30, 0
	s_branch .LBB70_921
.LBB70_919:
	s_mov_b32 s30, -1
                                        ; implicit-def: $vgpr4
	s_branch .LBB70_924
.LBB70_920:
	s_mov_b32 s30, -1
                                        ; implicit-def: $vgpr4
.LBB70_921:
	s_delay_alu instid0(SALU_CYCLE_1)
	s_and_not1_b32 vcc_lo, exec_lo, s30
	s_cbranch_vccnz .LBB70_923
; %bb.922:
	s_wait_loadcnt 0x0
	global_load_u16 v4, v[2:3], off
.LBB70_923:
	s_mov_b32 s30, 0
.LBB70_924:
	s_delay_alu instid0(SALU_CYCLE_1)
	s_and_not1_b32 vcc_lo, exec_lo, s30
	s_cbranch_vccnz .LBB70_930
; %bb.925:
	s_wait_loadcnt 0x0
	global_load_u8 v1, v[2:3], off
	s_mov_b32 s31, 0
	s_mov_b32 s30, exec_lo
	s_wait_loadcnt 0x0
	v_cmpx_lt_i16_e32 0x7f, v1
	s_xor_b32 s30, exec_lo, s30
	s_cbranch_execz .LBB70_942
; %bb.926:
	v_cmp_ne_u16_e32 vcc_lo, 0x80, v1
	s_and_b32 s31, vcc_lo, exec_lo
	s_and_not1_saveexec_b32 s30, s30
	s_cbranch_execnz .LBB70_943
.LBB70_927:
	s_or_b32 exec_lo, exec_lo, s30
	v_mov_b32_e32 v4, 0
	s_and_saveexec_b32 s30, s31
	s_cbranch_execz .LBB70_929
.LBB70_928:
	v_and_b32_e32 v4, 0xffff, v1
	s_delay_alu instid0(VALU_DEP_1) | instskip(SKIP_1) | instid1(VALU_DEP_2)
	v_and_b32_e32 v5, 7, v4
	v_bfe_u32 v8, v4, 3, 4
	v_clz_i32_u32_e32 v6, v5
	s_delay_alu instid0(VALU_DEP_2) | instskip(NEXT) | instid1(VALU_DEP_2)
	v_cmp_eq_u32_e32 vcc_lo, 0, v8
	v_min_u32_e32 v6, 32, v6
	s_delay_alu instid0(VALU_DEP_1) | instskip(NEXT) | instid1(VALU_DEP_1)
	v_subrev_nc_u32_e32 v7, 28, v6
	v_dual_lshlrev_b32 v4, v7, v4 :: v_dual_sub_nc_u32 v6, 29, v6
	s_delay_alu instid0(VALU_DEP_1) | instskip(NEXT) | instid1(VALU_DEP_1)
	v_dual_lshlrev_b32 v1, 24, v1 :: v_dual_bitop2_b32 v4, 7, v4 bitop3:0x40
	v_dual_cndmask_b32 v6, v8, v6, vcc_lo :: v_dual_cndmask_b32 v4, v5, v4, vcc_lo
	s_delay_alu instid0(VALU_DEP_2) | instskip(NEXT) | instid1(VALU_DEP_2)
	v_and_b32_e32 v1, 0x80000000, v1
	v_lshl_add_u32 v5, v6, 23, 0x3b800000
	s_delay_alu instid0(VALU_DEP_3) | instskip(NEXT) | instid1(VALU_DEP_1)
	v_lshlrev_b32_e32 v4, 20, v4
	v_or3_b32 v1, v1, v5, v4
	s_delay_alu instid0(VALU_DEP_1)
	v_cvt_i32_f32_e32 v4, v1
.LBB70_929:
	s_or_b32 exec_lo, exec_lo, s30
.LBB70_930:
	s_mov_b32 s30, -1
.LBB70_931:
	s_mov_b32 s31, 0
.LBB70_932:
	s_delay_alu instid0(SALU_CYCLE_1)
	s_and_b32 vcc_lo, exec_lo, s31
	s_cbranch_vccz .LBB70_965
; %bb.933:
	s_cmp_gt_i32 s29, 22
	s_cbranch_scc0 .LBB70_941
; %bb.934:
	s_cmp_lt_i32 s29, 24
	s_cbranch_scc1 .LBB70_944
; %bb.935:
	s_cmp_gt_i32 s29, 24
	s_cbranch_scc0 .LBB70_945
; %bb.936:
	s_wait_loadcnt 0x0
	global_load_u8 v1, v[2:3], off
	s_mov_b32 s31, 0
	s_mov_b32 s30, exec_lo
	s_wait_loadcnt 0x0
	v_cmpx_lt_i16_e32 0x7f, v1
	s_xor_b32 s30, exec_lo, s30
	s_cbranch_execz .LBB70_957
; %bb.937:
	v_cmp_ne_u16_e32 vcc_lo, 0x80, v1
	s_and_b32 s31, vcc_lo, exec_lo
	s_and_not1_saveexec_b32 s30, s30
	s_cbranch_execnz .LBB70_958
.LBB70_938:
	s_or_b32 exec_lo, exec_lo, s30
	v_mov_b32_e32 v4, 0
	s_and_saveexec_b32 s30, s31
	s_cbranch_execz .LBB70_940
.LBB70_939:
	v_and_b32_e32 v4, 0xffff, v1
	s_delay_alu instid0(VALU_DEP_1) | instskip(SKIP_1) | instid1(VALU_DEP_2)
	v_and_b32_e32 v5, 3, v4
	v_bfe_u32 v8, v4, 2, 5
	v_clz_i32_u32_e32 v6, v5
	s_delay_alu instid0(VALU_DEP_2) | instskip(NEXT) | instid1(VALU_DEP_2)
	v_cmp_eq_u32_e32 vcc_lo, 0, v8
	v_min_u32_e32 v6, 32, v6
	s_delay_alu instid0(VALU_DEP_1) | instskip(NEXT) | instid1(VALU_DEP_1)
	v_subrev_nc_u32_e32 v7, 29, v6
	v_dual_lshlrev_b32 v4, v7, v4 :: v_dual_sub_nc_u32 v6, 30, v6
	s_delay_alu instid0(VALU_DEP_1) | instskip(NEXT) | instid1(VALU_DEP_1)
	v_dual_lshlrev_b32 v1, 24, v1 :: v_dual_bitop2_b32 v4, 3, v4 bitop3:0x40
	v_dual_cndmask_b32 v6, v8, v6, vcc_lo :: v_dual_cndmask_b32 v4, v5, v4, vcc_lo
	s_delay_alu instid0(VALU_DEP_2) | instskip(NEXT) | instid1(VALU_DEP_2)
	v_and_b32_e32 v1, 0x80000000, v1
	v_lshl_add_u32 v5, v6, 23, 0x37800000
	s_delay_alu instid0(VALU_DEP_3) | instskip(NEXT) | instid1(VALU_DEP_1)
	v_lshlrev_b32_e32 v4, 21, v4
	v_or3_b32 v1, v1, v5, v4
	s_delay_alu instid0(VALU_DEP_1)
	v_cvt_i32_f32_e32 v4, v1
.LBB70_940:
	s_or_b32 exec_lo, exec_lo, s30
	s_mov_b32 s30, 0
	s_branch .LBB70_946
.LBB70_941:
	s_mov_b32 s31, -1
                                        ; implicit-def: $vgpr4
	s_branch .LBB70_952
.LBB70_942:
	s_and_not1_saveexec_b32 s30, s30
	s_cbranch_execz .LBB70_927
.LBB70_943:
	v_cmp_ne_u16_e32 vcc_lo, 0, v1
	s_and_not1_b32 s31, s31, exec_lo
	s_and_b32 s33, vcc_lo, exec_lo
	s_delay_alu instid0(SALU_CYCLE_1)
	s_or_b32 s31, s31, s33
	s_or_b32 exec_lo, exec_lo, s30
	v_mov_b32_e32 v4, 0
	s_and_saveexec_b32 s30, s31
	s_cbranch_execnz .LBB70_928
	s_branch .LBB70_929
.LBB70_944:
	s_mov_b32 s30, -1
                                        ; implicit-def: $vgpr4
	s_branch .LBB70_949
.LBB70_945:
	s_mov_b32 s30, -1
                                        ; implicit-def: $vgpr4
.LBB70_946:
	s_delay_alu instid0(SALU_CYCLE_1)
	s_and_b32 vcc_lo, exec_lo, s30
	s_cbranch_vccz .LBB70_948
; %bb.947:
	s_wait_loadcnt 0x0
	global_load_u8 v1, v[2:3], off
	s_wait_loadcnt 0x0
	v_lshlrev_b32_e32 v1, 24, v1
	s_delay_alu instid0(VALU_DEP_1) | instskip(NEXT) | instid1(VALU_DEP_1)
	v_and_b32_e32 v4, 0x7f000000, v1
	v_clz_i32_u32_e32 v5, v4
	v_cmp_ne_u32_e32 vcc_lo, 0, v4
	v_add_nc_u32_e32 v7, 0x1000000, v4
	s_delay_alu instid0(VALU_DEP_3) | instskip(NEXT) | instid1(VALU_DEP_1)
	v_min_u32_e32 v5, 32, v5
	v_sub_nc_u32_e64 v5, v5, 4 clamp
	s_delay_alu instid0(VALU_DEP_1) | instskip(NEXT) | instid1(VALU_DEP_1)
	v_dual_lshlrev_b32 v6, v5, v4 :: v_dual_lshlrev_b32 v5, 23, v5
	v_lshrrev_b32_e32 v6, 4, v6
	s_delay_alu instid0(VALU_DEP_1) | instskip(NEXT) | instid1(VALU_DEP_1)
	v_dual_sub_nc_u32 v5, v6, v5 :: v_dual_ashrrev_i32 v6, 8, v7
	v_add_nc_u32_e32 v5, 0x3c000000, v5
	s_delay_alu instid0(VALU_DEP_1) | instskip(NEXT) | instid1(VALU_DEP_1)
	v_and_or_b32 v5, 0x7f800000, v6, v5
	v_cndmask_b32_e32 v4, 0, v5, vcc_lo
	s_delay_alu instid0(VALU_DEP_1) | instskip(NEXT) | instid1(VALU_DEP_1)
	v_and_or_b32 v1, 0x80000000, v1, v4
	v_cvt_i32_f32_e32 v4, v1
.LBB70_948:
	s_mov_b32 s30, 0
.LBB70_949:
	s_delay_alu instid0(SALU_CYCLE_1)
	s_and_not1_b32 vcc_lo, exec_lo, s30
	s_cbranch_vccnz .LBB70_951
; %bb.950:
	s_wait_loadcnt 0x0
	global_load_u8 v1, v[2:3], off
	s_wait_loadcnt 0x0
	v_lshlrev_b32_e32 v4, 25, v1
	v_lshlrev_b16 v1, 8, v1
	s_delay_alu instid0(VALU_DEP_1) | instskip(SKIP_1) | instid1(VALU_DEP_2)
	v_and_or_b32 v6, 0x7f00, v1, 0.5
	v_bfe_i32 v1, v1, 0, 16
	v_dual_add_f32 v6, -0.5, v6 :: v_dual_lshrrev_b32 v5, 4, v4
	v_cmp_gt_u32_e32 vcc_lo, 0x8000000, v4
	s_delay_alu instid0(VALU_DEP_2) | instskip(NEXT) | instid1(VALU_DEP_1)
	v_or_b32_e32 v5, 0x70000000, v5
	v_mul_f32_e32 v5, 0x7800000, v5
	s_delay_alu instid0(VALU_DEP_1) | instskip(NEXT) | instid1(VALU_DEP_1)
	v_cndmask_b32_e32 v4, v5, v6, vcc_lo
	v_and_or_b32 v1, 0x80000000, v1, v4
	s_delay_alu instid0(VALU_DEP_1)
	v_cvt_i32_f32_e32 v4, v1
.LBB70_951:
	s_mov_b32 s31, 0
	s_mov_b32 s30, -1
.LBB70_952:
	s_and_not1_b32 vcc_lo, exec_lo, s31
	s_cbranch_vccnz .LBB70_965
; %bb.953:
	s_cmp_gt_i32 s29, 14
	s_cbranch_scc0 .LBB70_956
; %bb.954:
	s_cmp_eq_u32 s29, 15
	s_cbranch_scc0 .LBB70_959
; %bb.955:
	s_wait_loadcnt 0x0
	global_load_u16 v1, v[2:3], off
	s_mov_b32 s30, -1
	s_mov_b32 s28, 0
	s_wait_loadcnt 0x0
	v_lshlrev_b32_e32 v1, 16, v1
	s_delay_alu instid0(VALU_DEP_1)
	v_cvt_i32_f32_e32 v4, v1
	s_branch .LBB70_960
.LBB70_956:
	s_mov_b32 s31, -1
                                        ; implicit-def: $vgpr4
	s_branch .LBB70_961
.LBB70_957:
	s_and_not1_saveexec_b32 s30, s30
	s_cbranch_execz .LBB70_938
.LBB70_958:
	v_cmp_ne_u16_e32 vcc_lo, 0, v1
	s_and_not1_b32 s31, s31, exec_lo
	s_and_b32 s33, vcc_lo, exec_lo
	s_delay_alu instid0(SALU_CYCLE_1)
	s_or_b32 s31, s31, s33
	s_or_b32 exec_lo, exec_lo, s30
	v_mov_b32_e32 v4, 0
	s_and_saveexec_b32 s30, s31
	s_cbranch_execnz .LBB70_939
	s_branch .LBB70_940
.LBB70_959:
	s_mov_b32 s28, -1
                                        ; implicit-def: $vgpr4
.LBB70_960:
	s_mov_b32 s31, 0
.LBB70_961:
	s_delay_alu instid0(SALU_CYCLE_1)
	s_and_b32 vcc_lo, exec_lo, s31
	s_cbranch_vccz .LBB70_965
; %bb.962:
	s_cmp_eq_u32 s29, 11
	s_cbranch_scc0 .LBB70_964
; %bb.963:
	s_wait_loadcnt 0x0
	global_load_u8 v1, v[2:3], off
	s_mov_b32 s28, 0
	s_mov_b32 s30, -1
	s_wait_loadcnt 0x0
	v_cmp_ne_u16_e32 vcc_lo, 0, v1
	v_cndmask_b32_e64 v4, 0, 1, vcc_lo
	s_branch .LBB70_965
.LBB70_964:
	s_mov_b32 s28, -1
                                        ; implicit-def: $vgpr4
.LBB70_965:
	s_mov_b32 s29, 0
.LBB70_966:
	s_delay_alu instid0(SALU_CYCLE_1)
	s_and_b32 vcc_lo, exec_lo, s29
	s_cbranch_vccz .LBB70_1015
; %bb.967:
	s_and_b32 s0, 0xffff, s0
	s_delay_alu instid0(SALU_CYCLE_1)
	s_cmp_lt_i32 s0, 5
	s_cbranch_scc1 .LBB70_972
; %bb.968:
	s_cmp_lt_i32 s0, 8
	s_cbranch_scc1 .LBB70_973
; %bb.969:
	;; [unrolled: 3-line block ×3, first 2 shown]
	s_cmp_gt_i32 s0, 9
	s_cbranch_scc0 .LBB70_975
; %bb.971:
	s_wait_loadcnt 0x0
	global_load_b64 v[4:5], v[2:3], off
	s_mov_b32 s29, 0
	s_wait_loadcnt 0x0
	v_cvt_i32_f64_e32 v4, v[4:5]
	s_branch .LBB70_976
.LBB70_972:
	s_mov_b32 s29, -1
                                        ; implicit-def: $vgpr4
	s_branch .LBB70_994
.LBB70_973:
	s_mov_b32 s29, -1
                                        ; implicit-def: $vgpr4
	s_branch .LBB70_982
.LBB70_974:
	s_mov_b32 s29, -1
                                        ; implicit-def: $vgpr4
	s_branch .LBB70_979
.LBB70_975:
	s_mov_b32 s29, -1
                                        ; implicit-def: $vgpr4
.LBB70_976:
	s_delay_alu instid0(SALU_CYCLE_1)
	s_and_not1_b32 vcc_lo, exec_lo, s29
	s_cbranch_vccnz .LBB70_978
; %bb.977:
	s_wait_loadcnt 0x0
	global_load_b32 v1, v[2:3], off
	s_wait_loadcnt 0x0
	v_cvt_i32_f32_e32 v4, v1
.LBB70_978:
	s_mov_b32 s29, 0
.LBB70_979:
	s_delay_alu instid0(SALU_CYCLE_1)
	s_and_not1_b32 vcc_lo, exec_lo, s29
	s_cbranch_vccnz .LBB70_981
; %bb.980:
	s_wait_loadcnt 0x0
	global_load_b32 v1, v[2:3], off
	s_wait_loadcnt 0x0
	v_cvt_i16_f16_e32 v4, v1
.LBB70_981:
	s_mov_b32 s29, 0
.LBB70_982:
	s_delay_alu instid0(SALU_CYCLE_1)
	s_and_not1_b32 vcc_lo, exec_lo, s29
	s_cbranch_vccnz .LBB70_993
; %bb.983:
	s_cmp_lt_i32 s0, 6
	s_cbranch_scc1 .LBB70_986
; %bb.984:
	s_cmp_gt_i32 s0, 6
	s_cbranch_scc0 .LBB70_987
; %bb.985:
	s_wait_loadcnt 0x0
	global_load_b64 v[4:5], v[2:3], off
	s_mov_b32 s29, 0
	s_wait_loadcnt 0x0
	v_cvt_i32_f64_e32 v4, v[4:5]
	s_branch .LBB70_988
.LBB70_986:
	s_mov_b32 s29, -1
                                        ; implicit-def: $vgpr4
	s_branch .LBB70_991
.LBB70_987:
	s_mov_b32 s29, -1
                                        ; implicit-def: $vgpr4
.LBB70_988:
	s_delay_alu instid0(SALU_CYCLE_1)
	s_and_not1_b32 vcc_lo, exec_lo, s29
	s_cbranch_vccnz .LBB70_990
; %bb.989:
	s_wait_loadcnt 0x0
	global_load_b32 v1, v[2:3], off
	s_wait_loadcnt 0x0
	v_cvt_i32_f32_e32 v4, v1
.LBB70_990:
	s_mov_b32 s29, 0
.LBB70_991:
	s_delay_alu instid0(SALU_CYCLE_1)
	s_and_not1_b32 vcc_lo, exec_lo, s29
	s_cbranch_vccnz .LBB70_993
; %bb.992:
	s_wait_loadcnt 0x0
	global_load_u16 v1, v[2:3], off
	s_wait_loadcnt 0x0
	v_cvt_i16_f16_e32 v4, v1
.LBB70_993:
	s_mov_b32 s29, 0
.LBB70_994:
	s_delay_alu instid0(SALU_CYCLE_1)
	s_and_not1_b32 vcc_lo, exec_lo, s29
	s_cbranch_vccnz .LBB70_1014
; %bb.995:
	s_cmp_lt_i32 s0, 2
	s_cbranch_scc1 .LBB70_999
; %bb.996:
	s_cmp_lt_i32 s0, 3
	s_cbranch_scc1 .LBB70_1000
; %bb.997:
	s_cmp_gt_i32 s0, 3
	s_cbranch_scc0 .LBB70_1001
; %bb.998:
	s_wait_loadcnt 0x0
	global_load_b64 v[4:5], v[2:3], off
	s_mov_b32 s29, 0
	s_branch .LBB70_1002
.LBB70_999:
	s_mov_b32 s29, -1
                                        ; implicit-def: $vgpr4
	s_branch .LBB70_1008
.LBB70_1000:
	s_mov_b32 s29, -1
                                        ; implicit-def: $vgpr4
	s_branch .LBB70_1005
.LBB70_1001:
	s_mov_b32 s29, -1
                                        ; implicit-def: $vgpr4
.LBB70_1002:
	s_delay_alu instid0(SALU_CYCLE_1)
	s_and_not1_b32 vcc_lo, exec_lo, s29
	s_cbranch_vccnz .LBB70_1004
; %bb.1003:
	s_wait_loadcnt 0x0
	global_load_b32 v4, v[2:3], off
.LBB70_1004:
	s_mov_b32 s29, 0
.LBB70_1005:
	s_delay_alu instid0(SALU_CYCLE_1)
	s_and_not1_b32 vcc_lo, exec_lo, s29
	s_cbranch_vccnz .LBB70_1007
; %bb.1006:
	s_wait_loadcnt 0x0
	global_load_u16 v4, v[2:3], off
.LBB70_1007:
	s_mov_b32 s29, 0
.LBB70_1008:
	s_delay_alu instid0(SALU_CYCLE_1)
	s_and_not1_b32 vcc_lo, exec_lo, s29
	s_cbranch_vccnz .LBB70_1014
; %bb.1009:
	s_cmp_gt_i32 s0, 0
	s_mov_b32 s0, 0
	s_cbranch_scc0 .LBB70_1011
; %bb.1010:
	s_wait_loadcnt 0x0
	global_load_i8 v4, v[2:3], off
	s_branch .LBB70_1012
.LBB70_1011:
	s_mov_b32 s0, -1
                                        ; implicit-def: $vgpr4
.LBB70_1012:
	s_delay_alu instid0(SALU_CYCLE_1)
	s_and_not1_b32 vcc_lo, exec_lo, s0
	s_cbranch_vccnz .LBB70_1014
; %bb.1013:
	s_wait_loadcnt 0x0
	global_load_u8 v4, v[2:3], off
.LBB70_1014:
	s_mov_b32 s30, -1
.LBB70_1015:
	s_delay_alu instid0(SALU_CYCLE_1)
	s_and_not1_b32 vcc_lo, exec_lo, s30
	s_cbranch_vccnz .LBB70_1023
; %bb.1016:
	s_wait_xcnt 0x0
	v_mul_lo_u32 v2, v18, s8
	s_wait_loadcnt 0x0
	s_delay_alu instid0(VALU_DEP_2) | instskip(SKIP_3) | instid1(VALU_DEP_2)
	v_cmp_ne_u16_e32 vcc_lo, v0, v4
	s_and_b32 s30, s12, 0xff
	s_xor_b32 s29, s16, vcc_lo
	s_cmp_lt_i32 s30, 11
	v_ashrrev_i32_e32 v3, 31, v2
	s_delay_alu instid0(VALU_DEP_1)
	v_add_nc_u64_e32 v[0:1], s[4:5], v[2:3]
	s_cbranch_scc1 .LBB70_1024
; %bb.1017:
	s_and_b32 s31, 0xffff, s30
	s_delay_alu instid0(SALU_CYCLE_1)
	s_cmp_gt_i32 s31, 25
	s_cbranch_scc0 .LBB70_1025
; %bb.1018:
	s_cmp_gt_i32 s31, 28
	s_cbranch_scc0 .LBB70_1026
; %bb.1019:
	;; [unrolled: 3-line block ×4, first 2 shown]
	s_mov_b32 s34, 0
	s_mov_b32 s0, -1
	s_cmp_eq_u32 s31, 46
	s_mov_b32 s33, 0
	s_cbranch_scc0 .LBB70_1029
; %bb.1022:
	v_cndmask_b32_e64 v2, 0, 1.0, s29
	s_mov_b32 s33, -1
	s_mov_b32 s0, 0
	s_delay_alu instid0(VALU_DEP_1) | instskip(NEXT) | instid1(VALU_DEP_1)
	v_bfe_u32 v3, v2, 16, 1
	v_add3_u32 v2, v2, v3, 0x7fff
	s_delay_alu instid0(VALU_DEP_1)
	v_lshrrev_b32_e32 v2, 16, v2
	global_store_b32 v[0:1], v2, off
	s_branch .LBB70_1029
.LBB70_1023:
	s_mov_b32 s30, 0
	s_mov_b32 s0, s23
	s_branch .LBB70_1140
.LBB70_1024:
	s_mov_b32 s31, -1
	s_mov_b32 s33, 0
	s_mov_b32 s0, s23
	s_branch .LBB70_1098
.LBB70_1025:
	s_mov_b32 s33, 0
	s_mov_b32 s0, s23
	s_branch .LBB70_1056
.LBB70_1026:
	s_mov_b32 s33, 0
	s_mov_b32 s0, s23
	s_branch .LBB70_1039
.LBB70_1027:
	s_mov_b32 s33, 0
	s_mov_b32 s0, s23
	s_branch .LBB70_1035
.LBB70_1028:
	s_mov_b32 s33, 0
	s_mov_b32 s0, s23
.LBB70_1029:
	s_and_b32 vcc_lo, exec_lo, s34
	s_cbranch_vccz .LBB70_1034
; %bb.1030:
	s_cmp_eq_u32 s31, 44
	s_mov_b32 s0, -1
	s_cbranch_scc0 .LBB70_1034
; %bb.1031:
	v_cndmask_b32_e64 v4, 0, 1.0, s29
	s_mov_b32 s33, exec_lo
	s_wait_xcnt 0x0
	s_delay_alu instid0(VALU_DEP_1) | instskip(NEXT) | instid1(VALU_DEP_1)
	v_dual_mov_b32 v3, 0xff :: v_dual_lshrrev_b32 v2, 23, v4
	v_cmpx_ne_u32_e32 0xff, v2
; %bb.1032:
	v_and_b32_e32 v3, 0x400000, v4
	v_and_or_b32 v4, 0x3fffff, v4, v2
	s_delay_alu instid0(VALU_DEP_2) | instskip(NEXT) | instid1(VALU_DEP_2)
	v_cmp_ne_u32_e32 vcc_lo, 0, v3
	v_cmp_ne_u32_e64 s0, 0, v4
	s_and_b32 s0, vcc_lo, s0
	s_delay_alu instid0(SALU_CYCLE_1) | instskip(NEXT) | instid1(VALU_DEP_1)
	v_cndmask_b32_e64 v3, 0, 1, s0
	v_add_nc_u32_e32 v3, v2, v3
; %bb.1033:
	s_or_b32 exec_lo, exec_lo, s33
	s_mov_b32 s33, -1
	s_mov_b32 s0, 0
	global_store_b8 v[0:1], v3, off
.LBB70_1034:
	s_mov_b32 s34, 0
.LBB70_1035:
	s_delay_alu instid0(SALU_CYCLE_1)
	s_and_b32 vcc_lo, exec_lo, s34
	s_cbranch_vccz .LBB70_1038
; %bb.1036:
	s_cmp_eq_u32 s31, 29
	s_mov_b32 s0, -1
	s_cbranch_scc0 .LBB70_1038
; %bb.1037:
	s_mov_b32 s0, 0
	s_wait_xcnt 0x0
	v_cndmask_b32_e64 v2, 0, 1, s29
	v_mov_b32_e32 v3, s0
	s_mov_b32 s33, -1
	s_mov_b32 s34, 0
	global_store_b64 v[0:1], v[2:3], off
	s_branch .LBB70_1039
.LBB70_1038:
	s_mov_b32 s34, 0
.LBB70_1039:
	s_delay_alu instid0(SALU_CYCLE_1)
	s_and_b32 vcc_lo, exec_lo, s34
	s_cbranch_vccz .LBB70_1055
; %bb.1040:
	s_cmp_lt_i32 s31, 27
	s_mov_b32 s33, -1
	s_cbranch_scc1 .LBB70_1046
; %bb.1041:
	s_cmp_gt_i32 s31, 27
	s_cbranch_scc0 .LBB70_1043
; %bb.1042:
	s_wait_xcnt 0x0
	v_cndmask_b32_e64 v2, 0, 1, s29
	s_mov_b32 s33, 0
	global_store_b32 v[0:1], v2, off
.LBB70_1043:
	s_and_not1_b32 vcc_lo, exec_lo, s33
	s_cbranch_vccnz .LBB70_1045
; %bb.1044:
	s_wait_xcnt 0x0
	v_cndmask_b32_e64 v2, 0, 1, s29
	global_store_b16 v[0:1], v2, off
.LBB70_1045:
	s_mov_b32 s33, 0
.LBB70_1046:
	s_delay_alu instid0(SALU_CYCLE_1)
	s_and_not1_b32 vcc_lo, exec_lo, s33
	s_cbranch_vccnz .LBB70_1054
; %bb.1047:
	s_wait_xcnt 0x0
	v_cndmask_b32_e64 v3, 0, 1.0, s29
	v_mov_b32_e32 v4, 0x80
	s_mov_b32 s33, exec_lo
	s_delay_alu instid0(VALU_DEP_2)
	v_cmpx_gt_u32_e32 0x43800000, v3
	s_cbranch_execz .LBB70_1053
; %bb.1048:
	s_mov_b32 s34, 0
	s_mov_b32 s35, exec_lo
                                        ; implicit-def: $vgpr2
	v_cmpx_lt_u32_e32 0x3bffffff, v3
	s_xor_b32 s35, exec_lo, s35
	s_cbranch_execz .LBB70_1156
; %bb.1049:
	v_bfe_u32 v2, v3, 20, 1
	s_mov_b32 s34, exec_lo
	s_delay_alu instid0(VALU_DEP_1) | instskip(NEXT) | instid1(VALU_DEP_1)
	v_add3_u32 v2, v3, v2, 0x487ffff
                                        ; implicit-def: $vgpr3
	v_lshrrev_b32_e32 v2, 20, v2
	s_and_not1_saveexec_b32 s35, s35
	s_cbranch_execnz .LBB70_1157
.LBB70_1050:
	s_or_b32 exec_lo, exec_lo, s35
	v_mov_b32_e32 v4, 0
	s_and_saveexec_b32 s35, s34
.LBB70_1051:
	v_mov_b32_e32 v4, v2
.LBB70_1052:
	s_or_b32 exec_lo, exec_lo, s35
.LBB70_1053:
	s_delay_alu instid0(SALU_CYCLE_1)
	s_or_b32 exec_lo, exec_lo, s33
	global_store_b8 v[0:1], v4, off
.LBB70_1054:
	s_mov_b32 s33, -1
.LBB70_1055:
	s_mov_b32 s34, 0
.LBB70_1056:
	s_delay_alu instid0(SALU_CYCLE_1)
	s_and_b32 vcc_lo, exec_lo, s34
	s_cbranch_vccz .LBB70_1097
; %bb.1057:
	s_cmp_gt_i32 s31, 22
	s_mov_b32 s34, -1
	s_cbranch_scc0 .LBB70_1089
; %bb.1058:
	s_cmp_lt_i32 s31, 24
	s_mov_b32 s33, -1
	s_cbranch_scc1 .LBB70_1078
; %bb.1059:
	s_cmp_gt_i32 s31, 24
	s_cbranch_scc0 .LBB70_1067
; %bb.1060:
	s_wait_xcnt 0x0
	v_cndmask_b32_e64 v3, 0, 1.0, s29
	v_mov_b32_e32 v4, 0x80
	s_mov_b32 s33, exec_lo
	s_delay_alu instid0(VALU_DEP_2)
	v_cmpx_gt_u32_e32 0x47800000, v3
	s_cbranch_execz .LBB70_1066
; %bb.1061:
	s_mov_b32 s34, 0
	s_mov_b32 s35, exec_lo
                                        ; implicit-def: $vgpr2
	v_cmpx_lt_u32_e32 0x37ffffff, v3
	s_xor_b32 s35, exec_lo, s35
	s_cbranch_execz .LBB70_2155
; %bb.1062:
	v_bfe_u32 v2, v3, 21, 1
	s_mov_b32 s34, exec_lo
	s_delay_alu instid0(VALU_DEP_1) | instskip(NEXT) | instid1(VALU_DEP_1)
	v_add3_u32 v2, v3, v2, 0x88fffff
                                        ; implicit-def: $vgpr3
	v_lshrrev_b32_e32 v2, 21, v2
	s_and_not1_saveexec_b32 s35, s35
	s_cbranch_execnz .LBB70_2156
.LBB70_1063:
	s_or_b32 exec_lo, exec_lo, s35
	v_mov_b32_e32 v4, 0
	s_and_saveexec_b32 s35, s34
.LBB70_1064:
	v_mov_b32_e32 v4, v2
.LBB70_1065:
	s_or_b32 exec_lo, exec_lo, s35
.LBB70_1066:
	s_delay_alu instid0(SALU_CYCLE_1)
	s_or_b32 exec_lo, exec_lo, s33
	s_mov_b32 s33, 0
	global_store_b8 v[0:1], v4, off
.LBB70_1067:
	s_and_b32 vcc_lo, exec_lo, s33
	s_cbranch_vccz .LBB70_1077
; %bb.1068:
	s_wait_xcnt 0x0
	v_cndmask_b32_e64 v3, 0, 1.0, s29
	s_mov_b32 s33, exec_lo
                                        ; implicit-def: $vgpr2
	s_delay_alu instid0(VALU_DEP_1)
	v_cmpx_gt_u32_e32 0x43f00000, v3
	s_xor_b32 s33, exec_lo, s33
	s_cbranch_execz .LBB70_1074
; %bb.1069:
	s_mov_b32 s34, exec_lo
                                        ; implicit-def: $vgpr2
	v_cmpx_lt_u32_e32 0x3c7fffff, v3
	s_xor_b32 s34, exec_lo, s34
; %bb.1070:
	v_bfe_u32 v2, v3, 20, 1
	s_delay_alu instid0(VALU_DEP_1) | instskip(NEXT) | instid1(VALU_DEP_1)
	v_add3_u32 v2, v3, v2, 0x407ffff
	v_and_b32_e32 v3, 0xff00000, v2
	v_lshrrev_b32_e32 v2, 20, v2
	s_delay_alu instid0(VALU_DEP_2) | instskip(NEXT) | instid1(VALU_DEP_2)
	v_cmp_ne_u32_e32 vcc_lo, 0x7f00000, v3
                                        ; implicit-def: $vgpr3
	v_cndmask_b32_e32 v2, 0x7e, v2, vcc_lo
; %bb.1071:
	s_and_not1_saveexec_b32 s34, s34
; %bb.1072:
	v_add_f32_e32 v2, 0x46800000, v3
; %bb.1073:
	s_or_b32 exec_lo, exec_lo, s34
                                        ; implicit-def: $vgpr3
.LBB70_1074:
	s_and_not1_saveexec_b32 s33, s33
; %bb.1075:
	v_mov_b32_e32 v2, 0x7f
	v_cmp_lt_u32_e32 vcc_lo, 0x7f800000, v3
	s_delay_alu instid0(VALU_DEP_2)
	v_cndmask_b32_e32 v2, 0x7e, v2, vcc_lo
; %bb.1076:
	s_or_b32 exec_lo, exec_lo, s33
	global_store_b8 v[0:1], v2, off
.LBB70_1077:
	s_mov_b32 s33, 0
.LBB70_1078:
	s_delay_alu instid0(SALU_CYCLE_1)
	s_and_not1_b32 vcc_lo, exec_lo, s33
	s_cbranch_vccnz .LBB70_1088
; %bb.1079:
	s_wait_xcnt 0x0
	v_cndmask_b32_e64 v3, 0, 1.0, s29
	s_mov_b32 s33, exec_lo
                                        ; implicit-def: $vgpr2
	s_delay_alu instid0(VALU_DEP_1)
	v_cmpx_gt_u32_e32 0x47800000, v3
	s_xor_b32 s33, exec_lo, s33
	s_cbranch_execz .LBB70_1085
; %bb.1080:
	s_mov_b32 s34, exec_lo
                                        ; implicit-def: $vgpr2
	v_cmpx_lt_u32_e32 0x387fffff, v3
	s_xor_b32 s34, exec_lo, s34
; %bb.1081:
	v_bfe_u32 v2, v3, 21, 1
	s_delay_alu instid0(VALU_DEP_1) | instskip(NEXT) | instid1(VALU_DEP_1)
	v_add3_u32 v2, v3, v2, 0x80fffff
                                        ; implicit-def: $vgpr3
	v_lshrrev_b32_e32 v2, 21, v2
; %bb.1082:
	s_and_not1_saveexec_b32 s34, s34
; %bb.1083:
	v_add_f32_e32 v2, 0x43000000, v3
; %bb.1084:
	s_or_b32 exec_lo, exec_lo, s34
                                        ; implicit-def: $vgpr3
.LBB70_1085:
	s_and_not1_saveexec_b32 s33, s33
; %bb.1086:
	v_mov_b32_e32 v2, 0x7f
	v_cmp_lt_u32_e32 vcc_lo, 0x7f800000, v3
	s_delay_alu instid0(VALU_DEP_2)
	v_cndmask_b32_e32 v2, 0x7c, v2, vcc_lo
; %bb.1087:
	s_or_b32 exec_lo, exec_lo, s33
	global_store_b8 v[0:1], v2, off
.LBB70_1088:
	s_mov_b32 s34, 0
	s_mov_b32 s33, -1
.LBB70_1089:
	s_and_not1_b32 vcc_lo, exec_lo, s34
	s_cbranch_vccnz .LBB70_1097
; %bb.1090:
	s_cmp_gt_i32 s31, 14
	s_mov_b32 s34, -1
	s_cbranch_scc0 .LBB70_1094
; %bb.1091:
	s_cmp_eq_u32 s31, 15
	s_mov_b32 s0, -1
	s_cbranch_scc0 .LBB70_1093
; %bb.1092:
	s_wait_xcnt 0x0
	v_cndmask_b32_e64 v2, 0, 1.0, s29
	s_mov_b32 s33, -1
	s_mov_b32 s0, 0
	s_delay_alu instid0(VALU_DEP_1) | instskip(NEXT) | instid1(VALU_DEP_1)
	v_bfe_u32 v3, v2, 16, 1
	v_add3_u32 v2, v2, v3, 0x7fff
	global_store_d16_hi_b16 v[0:1], v2, off
.LBB70_1093:
	s_mov_b32 s34, 0
.LBB70_1094:
	s_delay_alu instid0(SALU_CYCLE_1)
	s_and_b32 vcc_lo, exec_lo, s34
	s_cbranch_vccz .LBB70_1097
; %bb.1095:
	s_cmp_eq_u32 s31, 11
	s_mov_b32 s0, -1
	s_cbranch_scc0 .LBB70_1097
; %bb.1096:
	s_wait_xcnt 0x0
	v_cndmask_b32_e64 v2, 0, 1, s29
	s_mov_b32 s33, -1
	s_mov_b32 s0, 0
	global_store_b8 v[0:1], v2, off
.LBB70_1097:
	s_mov_b32 s31, 0
.LBB70_1098:
	s_delay_alu instid0(SALU_CYCLE_1)
	s_and_b32 vcc_lo, exec_lo, s31
	s_cbranch_vccz .LBB70_1137
; %bb.1099:
	s_and_b32 s30, 0xffff, s30
	s_mov_b32 s31, -1
	s_cmp_lt_i32 s30, 5
	s_cbranch_scc1 .LBB70_1120
; %bb.1100:
	s_cmp_lt_i32 s30, 8
	s_cbranch_scc1 .LBB70_1110
; %bb.1101:
	;; [unrolled: 3-line block ×3, first 2 shown]
	s_cmp_gt_i32 s30, 9
	s_cbranch_scc0 .LBB70_1104
; %bb.1103:
	s_wait_xcnt 0x0
	v_cndmask_b32_e64 v2, 0, 1, s29
	v_mov_b32_e32 v4, 0
	s_mov_b32 s31, 0
	s_delay_alu instid0(VALU_DEP_2) | instskip(NEXT) | instid1(VALU_DEP_2)
	v_cvt_f64_u32_e32 v[2:3], v2
	v_mov_b32_e32 v5, v4
	global_store_b128 v[0:1], v[2:5], off
.LBB70_1104:
	s_and_not1_b32 vcc_lo, exec_lo, s31
	s_cbranch_vccnz .LBB70_1106
; %bb.1105:
	s_wait_xcnt 0x0
	v_cndmask_b32_e64 v2, 0, 1.0, s29
	v_mov_b32_e32 v3, 0
	global_store_b64 v[0:1], v[2:3], off
.LBB70_1106:
	s_mov_b32 s31, 0
.LBB70_1107:
	s_delay_alu instid0(SALU_CYCLE_1)
	s_and_not1_b32 vcc_lo, exec_lo, s31
	s_cbranch_vccnz .LBB70_1109
; %bb.1108:
	s_wait_xcnt 0x0
	v_cndmask_b32_e64 v2, 0, 1.0, s29
	s_delay_alu instid0(VALU_DEP_1) | instskip(NEXT) | instid1(VALU_DEP_1)
	v_cvt_f16_f32_e32 v2, v2
	v_and_b32_e32 v2, 0xffff, v2
	global_store_b32 v[0:1], v2, off
.LBB70_1109:
	s_mov_b32 s31, 0
.LBB70_1110:
	s_delay_alu instid0(SALU_CYCLE_1)
	s_and_not1_b32 vcc_lo, exec_lo, s31
	s_cbranch_vccnz .LBB70_1119
; %bb.1111:
	s_cmp_lt_i32 s30, 6
	s_mov_b32 s31, -1
	s_cbranch_scc1 .LBB70_1117
; %bb.1112:
	s_cmp_gt_i32 s30, 6
	s_cbranch_scc0 .LBB70_1114
; %bb.1113:
	s_wait_xcnt 0x0
	v_cndmask_b32_e64 v2, 0, 1, s29
	s_mov_b32 s31, 0
	s_delay_alu instid0(VALU_DEP_1)
	v_cvt_f64_u32_e32 v[2:3], v2
	global_store_b64 v[0:1], v[2:3], off
.LBB70_1114:
	s_and_not1_b32 vcc_lo, exec_lo, s31
	s_cbranch_vccnz .LBB70_1116
; %bb.1115:
	s_wait_xcnt 0x0
	v_cndmask_b32_e64 v2, 0, 1.0, s29
	global_store_b32 v[0:1], v2, off
.LBB70_1116:
	s_mov_b32 s31, 0
.LBB70_1117:
	s_delay_alu instid0(SALU_CYCLE_1)
	s_and_not1_b32 vcc_lo, exec_lo, s31
	s_cbranch_vccnz .LBB70_1119
; %bb.1118:
	s_wait_xcnt 0x0
	v_cndmask_b32_e64 v2, 0, 1.0, s29
	s_delay_alu instid0(VALU_DEP_1)
	v_cvt_f16_f32_e32 v2, v2
	global_store_b16 v[0:1], v2, off
.LBB70_1119:
	s_mov_b32 s31, 0
.LBB70_1120:
	s_delay_alu instid0(SALU_CYCLE_1)
	s_and_not1_b32 vcc_lo, exec_lo, s31
	s_cbranch_vccnz .LBB70_1136
; %bb.1121:
	s_cmp_lt_i32 s30, 2
	s_mov_b32 s31, -1
	s_cbranch_scc1 .LBB70_1131
; %bb.1122:
	s_cmp_lt_i32 s30, 3
	s_cbranch_scc1 .LBB70_1128
; %bb.1123:
	s_cmp_gt_i32 s30, 3
	s_cbranch_scc0 .LBB70_1125
; %bb.1124:
	s_mov_b32 s31, 0
	s_wait_xcnt 0x0
	v_cndmask_b32_e64 v2, 0, 1, s29
	v_mov_b32_e32 v3, s31
	global_store_b64 v[0:1], v[2:3], off
.LBB70_1125:
	s_and_not1_b32 vcc_lo, exec_lo, s31
	s_cbranch_vccnz .LBB70_1127
; %bb.1126:
	s_wait_xcnt 0x0
	v_cndmask_b32_e64 v2, 0, 1, s29
	global_store_b32 v[0:1], v2, off
.LBB70_1127:
	s_mov_b32 s31, 0
.LBB70_1128:
	s_delay_alu instid0(SALU_CYCLE_1)
	s_and_not1_b32 vcc_lo, exec_lo, s31
	s_cbranch_vccnz .LBB70_1130
; %bb.1129:
	s_wait_xcnt 0x0
	v_cndmask_b32_e64 v2, 0, 1, s29
	global_store_b16 v[0:1], v2, off
.LBB70_1130:
	s_mov_b32 s31, 0
.LBB70_1131:
	s_delay_alu instid0(SALU_CYCLE_1)
	s_and_not1_b32 vcc_lo, exec_lo, s31
	s_cbranch_vccnz .LBB70_1136
; %bb.1132:
	s_wait_xcnt 0x0
	v_cndmask_b32_e64 v2, 0, 1, s29
	s_cmp_gt_i32 s30, 0
	s_mov_b32 s29, -1
	s_cbranch_scc0 .LBB70_1134
; %bb.1133:
	s_mov_b32 s29, 0
	global_store_b8 v[0:1], v2, off
.LBB70_1134:
	s_and_not1_b32 vcc_lo, exec_lo, s29
	s_cbranch_vccnz .LBB70_1136
; %bb.1135:
	global_store_b8 v[0:1], v2, off
.LBB70_1136:
	s_mov_b32 s33, -1
.LBB70_1137:
	s_delay_alu instid0(SALU_CYCLE_1)
	s_and_not1_b32 vcc_lo, exec_lo, s33
	s_cbranch_vccnz .LBB70_1139
; %bb.1138:
	v_add_nc_u32_e32 v18, 0x80, v18
	s_mov_b32 s30, -1
	s_branch .LBB70_1141
.LBB70_1139:
	s_mov_b32 s30, 0
.LBB70_1140:
                                        ; implicit-def: $vgpr18
.LBB70_1141:
	s_and_not1_b32 s29, s23, exec_lo
	s_and_b32 s0, s0, exec_lo
	s_and_b32 s28, s28, exec_lo
	s_or_b32 s29, s29, s0
	s_and_not1_b32 s0, s24, exec_lo
	s_and_not1_b32 s31, s22, exec_lo
	s_and_b32 s27, s27, exec_lo
	s_or_b32 s28, s0, s28
	s_or_b32 s27, s31, s27
	s_or_not1_b32 s34, s30, exec_lo
.LBB70_1142:
	s_wait_xcnt 0x0
	s_or_b32 exec_lo, exec_lo, s26
	s_mov_b32 s30, 0
	s_mov_b32 s31, 0
	;; [unrolled: 1-line block ×3, first 2 shown]
                                        ; implicit-def: $sgpr0
                                        ; implicit-def: $vgpr2_vgpr3
                                        ; implicit-def: $vgpr0
	s_and_saveexec_b32 s26, s34
	s_cbranch_execz .LBB70_1221
; %bb.1143:
	v_cmp_gt_i32_e32 vcc_lo, s17, v18
	s_mov_b32 s35, s27
	s_mov_b32 s34, 0
	;; [unrolled: 1-line block ×3, first 2 shown]
                                        ; implicit-def: $sgpr0
                                        ; implicit-def: $vgpr2_vgpr3
                                        ; implicit-def: $vgpr0
	s_and_saveexec_b32 s17, vcc_lo
	s_cbranch_execz .LBB70_1220
; %bb.1144:
	s_wait_loadcnt 0x0
	v_mul_lo_u32 v0, v18, s9
	s_and_b32 s0, s14, 0xff
	s_delay_alu instid0(SALU_CYCLE_1) | instskip(NEXT) | instid1(VALU_DEP_1)
	s_cmp_lt_i32 s0, 11
	v_ashrrev_i32_e32 v1, 31, v0
	s_delay_alu instid0(VALU_DEP_1)
	v_add_nc_u64_e32 v[2:3], s[6:7], v[0:1]
	s_cbranch_scc1 .LBB70_1151
; %bb.1145:
	s_and_b32 s30, 0xffff, s0
	s_delay_alu instid0(SALU_CYCLE_1)
	s_cmp_gt_i32 s30, 25
	s_cbranch_scc0 .LBB70_1152
; %bb.1146:
	s_cmp_gt_i32 s30, 28
	s_cbranch_scc0 .LBB70_1153
; %bb.1147:
	;; [unrolled: 3-line block ×4, first 2 shown]
	s_cmp_eq_u32 s30, 46
	s_mov_b32 s35, 0
	s_cbranch_scc0 .LBB70_1158
; %bb.1150:
	global_load_b32 v0, v[2:3], off
	s_mov_b32 s34, -1
	s_wait_loadcnt 0x0
	v_lshlrev_b32_e32 v0, 16, v0
	s_delay_alu instid0(VALU_DEP_1)
	v_cvt_i32_f32_e32 v0, v0
	s_branch .LBB70_1160
.LBB70_1151:
	s_mov_b32 s30, -1
	s_mov_b32 s31, s27
                                        ; implicit-def: $vgpr0
	s_branch .LBB70_1219
.LBB70_1152:
	s_mov_b32 s35, -1
	s_mov_b32 s31, s27
                                        ; implicit-def: $vgpr0
	s_branch .LBB70_1187
.LBB70_1153:
	s_mov_b32 s35, -1
	s_mov_b32 s31, s27
                                        ; implicit-def: $vgpr0
	s_branch .LBB70_1170
.LBB70_1154:
	s_mov_b32 s35, -1
	s_mov_b32 s31, s27
                                        ; implicit-def: $vgpr0
	s_branch .LBB70_1165
.LBB70_1155:
	s_mov_b32 s35, -1
	s_mov_b32 s31, s27
	s_branch .LBB70_1159
.LBB70_1156:
	s_and_not1_saveexec_b32 s35, s35
	s_cbranch_execz .LBB70_1050
.LBB70_1157:
	v_add_f32_e32 v2, 0x46000000, v3
	s_and_not1_b32 s34, s34, exec_lo
	s_delay_alu instid0(VALU_DEP_1) | instskip(NEXT) | instid1(VALU_DEP_1)
	v_and_b32_e32 v2, 0xff, v2
	v_cmp_ne_u32_e32 vcc_lo, 0, v2
	s_and_b32 s36, vcc_lo, exec_lo
	s_delay_alu instid0(SALU_CYCLE_1)
	s_or_b32 s34, s34, s36
	s_or_b32 exec_lo, exec_lo, s35
	v_mov_b32_e32 v4, 0
	s_and_saveexec_b32 s35, s34
	s_cbranch_execnz .LBB70_1051
	s_branch .LBB70_1052
.LBB70_1158:
	s_mov_b32 s31, -1
.LBB70_1159:
                                        ; implicit-def: $vgpr0
.LBB70_1160:
	s_and_b32 vcc_lo, exec_lo, s35
	s_cbranch_vccz .LBB70_1164
; %bb.1161:
	s_cmp_eq_u32 s30, 44
	s_cbranch_scc0 .LBB70_1163
; %bb.1162:
	global_load_u8 v0, v[2:3], off
	s_mov_b32 s31, 0
	s_mov_b32 s34, -1
	s_wait_loadcnt 0x0
	v_lshlrev_b32_e32 v1, 23, v0
	v_cmp_ne_u32_e32 vcc_lo, 0, v0
	s_delay_alu instid0(VALU_DEP_2) | instskip(NEXT) | instid1(VALU_DEP_1)
	v_cvt_i32_f32_e32 v1, v1
	v_cndmask_b32_e32 v0, 0, v1, vcc_lo
	s_branch .LBB70_1164
.LBB70_1163:
	s_mov_b32 s31, -1
                                        ; implicit-def: $vgpr0
.LBB70_1164:
	s_mov_b32 s35, 0
.LBB70_1165:
	s_delay_alu instid0(SALU_CYCLE_1)
	s_and_b32 vcc_lo, exec_lo, s35
	s_cbranch_vccz .LBB70_1169
; %bb.1166:
	s_cmp_eq_u32 s30, 29
	s_cbranch_scc0 .LBB70_1168
; %bb.1167:
	global_load_b64 v[0:1], v[2:3], off
	s_mov_b32 s31, 0
	s_mov_b32 s34, -1
	s_branch .LBB70_1169
.LBB70_1168:
	s_mov_b32 s31, -1
                                        ; implicit-def: $vgpr0
.LBB70_1169:
	s_mov_b32 s35, 0
.LBB70_1170:
	s_delay_alu instid0(SALU_CYCLE_1)
	s_and_b32 vcc_lo, exec_lo, s35
	s_cbranch_vccz .LBB70_1186
; %bb.1171:
	s_cmp_lt_i32 s30, 27
	s_cbranch_scc1 .LBB70_1174
; %bb.1172:
	s_cmp_gt_i32 s30, 27
	s_cbranch_scc0 .LBB70_1175
; %bb.1173:
	s_wait_loadcnt 0x0
	global_load_b32 v0, v[2:3], off
	s_mov_b32 s34, 0
	s_branch .LBB70_1176
.LBB70_1174:
	s_mov_b32 s34, -1
                                        ; implicit-def: $vgpr0
	s_branch .LBB70_1179
.LBB70_1175:
	s_mov_b32 s34, -1
                                        ; implicit-def: $vgpr0
.LBB70_1176:
	s_delay_alu instid0(SALU_CYCLE_1)
	s_and_not1_b32 vcc_lo, exec_lo, s34
	s_cbranch_vccnz .LBB70_1178
; %bb.1177:
	s_wait_loadcnt 0x0
	global_load_u16 v0, v[2:3], off
.LBB70_1178:
	s_mov_b32 s34, 0
.LBB70_1179:
	s_delay_alu instid0(SALU_CYCLE_1)
	s_and_not1_b32 vcc_lo, exec_lo, s34
	s_cbranch_vccnz .LBB70_1185
; %bb.1180:
	s_wait_loadcnt 0x0
	global_load_u8 v1, v[2:3], off
	s_mov_b32 s35, 0
	s_mov_b32 s34, exec_lo
	s_wait_loadcnt 0x0
	v_cmpx_lt_i16_e32 0x7f, v1
	s_xor_b32 s34, exec_lo, s34
	s_cbranch_execz .LBB70_1197
; %bb.1181:
	v_cmp_ne_u16_e32 vcc_lo, 0x80, v1
	s_and_b32 s35, vcc_lo, exec_lo
	s_and_not1_saveexec_b32 s34, s34
	s_cbranch_execnz .LBB70_1198
.LBB70_1182:
	s_or_b32 exec_lo, exec_lo, s34
	v_mov_b32_e32 v0, 0
	s_and_saveexec_b32 s34, s35
	s_cbranch_execz .LBB70_1184
.LBB70_1183:
	v_and_b32_e32 v0, 0xffff, v1
	s_delay_alu instid0(VALU_DEP_1) | instskip(SKIP_1) | instid1(VALU_DEP_2)
	v_and_b32_e32 v4, 7, v0
	v_bfe_u32 v7, v0, 3, 4
	v_clz_i32_u32_e32 v5, v4
	s_delay_alu instid0(VALU_DEP_2) | instskip(NEXT) | instid1(VALU_DEP_2)
	v_cmp_eq_u32_e32 vcc_lo, 0, v7
	v_min_u32_e32 v5, 32, v5
	s_delay_alu instid0(VALU_DEP_1) | instskip(NEXT) | instid1(VALU_DEP_1)
	v_subrev_nc_u32_e32 v6, 28, v5
	v_dual_lshlrev_b32 v0, v6, v0 :: v_dual_sub_nc_u32 v5, 29, v5
	s_delay_alu instid0(VALU_DEP_1) | instskip(NEXT) | instid1(VALU_DEP_1)
	v_dual_lshlrev_b32 v1, 24, v1 :: v_dual_bitop2_b32 v0, 7, v0 bitop3:0x40
	v_dual_cndmask_b32 v0, v4, v0 :: v_dual_cndmask_b32 v5, v7, v5
	s_delay_alu instid0(VALU_DEP_2) | instskip(NEXT) | instid1(VALU_DEP_2)
	v_and_b32_e32 v1, 0x80000000, v1
	v_lshlrev_b32_e32 v0, 20, v0
	s_delay_alu instid0(VALU_DEP_3) | instskip(NEXT) | instid1(VALU_DEP_1)
	v_lshl_add_u32 v4, v5, 23, 0x3b800000
	v_or3_b32 v0, v1, v4, v0
	s_delay_alu instid0(VALU_DEP_1)
	v_cvt_i32_f32_e32 v0, v0
.LBB70_1184:
	s_or_b32 exec_lo, exec_lo, s34
.LBB70_1185:
	s_mov_b32 s34, -1
.LBB70_1186:
	s_mov_b32 s35, 0
.LBB70_1187:
	s_delay_alu instid0(SALU_CYCLE_1)
	s_and_b32 vcc_lo, exec_lo, s35
	s_cbranch_vccz .LBB70_1218
; %bb.1188:
	s_cmp_gt_i32 s30, 22
	s_cbranch_scc0 .LBB70_1196
; %bb.1189:
	s_cmp_lt_i32 s30, 24
	s_cbranch_scc1 .LBB70_1199
; %bb.1190:
	s_cmp_gt_i32 s30, 24
	s_cbranch_scc0 .LBB70_1200
; %bb.1191:
	s_wait_loadcnt 0x0
	global_load_u8 v1, v[2:3], off
	s_mov_b32 s34, 0
	s_mov_b32 s33, exec_lo
	s_wait_loadcnt 0x0
	v_cmpx_lt_i16_e32 0x7f, v1
	s_xor_b32 s33, exec_lo, s33
	s_cbranch_execz .LBB70_1212
; %bb.1192:
	v_cmp_ne_u16_e32 vcc_lo, 0x80, v1
	s_and_b32 s34, vcc_lo, exec_lo
	s_and_not1_saveexec_b32 s33, s33
	s_cbranch_execnz .LBB70_1213
.LBB70_1193:
	s_or_b32 exec_lo, exec_lo, s33
	v_mov_b32_e32 v0, 0
	s_and_saveexec_b32 s33, s34
	s_cbranch_execz .LBB70_1195
.LBB70_1194:
	v_and_b32_e32 v0, 0xffff, v1
	s_delay_alu instid0(VALU_DEP_1) | instskip(SKIP_1) | instid1(VALU_DEP_2)
	v_and_b32_e32 v4, 3, v0
	v_bfe_u32 v7, v0, 2, 5
	v_clz_i32_u32_e32 v5, v4
	s_delay_alu instid0(VALU_DEP_2) | instskip(NEXT) | instid1(VALU_DEP_2)
	v_cmp_eq_u32_e32 vcc_lo, 0, v7
	v_min_u32_e32 v5, 32, v5
	s_delay_alu instid0(VALU_DEP_1) | instskip(NEXT) | instid1(VALU_DEP_1)
	v_subrev_nc_u32_e32 v6, 29, v5
	v_dual_lshlrev_b32 v0, v6, v0 :: v_dual_sub_nc_u32 v5, 30, v5
	s_delay_alu instid0(VALU_DEP_1) | instskip(NEXT) | instid1(VALU_DEP_1)
	v_dual_lshlrev_b32 v1, 24, v1 :: v_dual_bitop2_b32 v0, 3, v0 bitop3:0x40
	v_dual_cndmask_b32 v0, v4, v0 :: v_dual_cndmask_b32 v5, v7, v5
	s_delay_alu instid0(VALU_DEP_2) | instskip(NEXT) | instid1(VALU_DEP_2)
	v_and_b32_e32 v1, 0x80000000, v1
	v_lshlrev_b32_e32 v0, 21, v0
	s_delay_alu instid0(VALU_DEP_3) | instskip(NEXT) | instid1(VALU_DEP_1)
	v_lshl_add_u32 v4, v5, 23, 0x37800000
	v_or3_b32 v0, v1, v4, v0
	s_delay_alu instid0(VALU_DEP_1)
	v_cvt_i32_f32_e32 v0, v0
.LBB70_1195:
	s_or_b32 exec_lo, exec_lo, s33
	s_mov_b32 s33, 0
	s_branch .LBB70_1201
.LBB70_1196:
	s_mov_b32 s33, -1
                                        ; implicit-def: $vgpr0
	s_branch .LBB70_1207
.LBB70_1197:
	s_and_not1_saveexec_b32 s34, s34
	s_cbranch_execz .LBB70_1182
.LBB70_1198:
	v_cmp_ne_u16_e32 vcc_lo, 0, v1
	s_and_not1_b32 s35, s35, exec_lo
	s_and_b32 s36, vcc_lo, exec_lo
	s_delay_alu instid0(SALU_CYCLE_1)
	s_or_b32 s35, s35, s36
	s_or_b32 exec_lo, exec_lo, s34
	v_mov_b32_e32 v0, 0
	s_and_saveexec_b32 s34, s35
	s_cbranch_execnz .LBB70_1183
	s_branch .LBB70_1184
.LBB70_1199:
	s_mov_b32 s33, -1
                                        ; implicit-def: $vgpr0
	s_branch .LBB70_1204
.LBB70_1200:
	s_mov_b32 s33, -1
                                        ; implicit-def: $vgpr0
.LBB70_1201:
	s_delay_alu instid0(SALU_CYCLE_1)
	s_and_b32 vcc_lo, exec_lo, s33
	s_cbranch_vccz .LBB70_1203
; %bb.1202:
	s_wait_loadcnt 0x0
	global_load_u8 v0, v[2:3], off
	s_wait_loadcnt 0x0
	v_lshlrev_b32_e32 v0, 24, v0
	s_delay_alu instid0(VALU_DEP_1) | instskip(NEXT) | instid1(VALU_DEP_1)
	v_and_b32_e32 v1, 0x7f000000, v0
	v_clz_i32_u32_e32 v4, v1
	v_cmp_ne_u32_e32 vcc_lo, 0, v1
	v_add_nc_u32_e32 v6, 0x1000000, v1
	s_delay_alu instid0(VALU_DEP_3) | instskip(NEXT) | instid1(VALU_DEP_1)
	v_min_u32_e32 v4, 32, v4
	v_sub_nc_u32_e64 v4, v4, 4 clamp
	s_delay_alu instid0(VALU_DEP_1) | instskip(NEXT) | instid1(VALU_DEP_1)
	v_dual_lshlrev_b32 v5, v4, v1 :: v_dual_lshlrev_b32 v4, 23, v4
	v_lshrrev_b32_e32 v5, 4, v5
	s_delay_alu instid0(VALU_DEP_1) | instskip(NEXT) | instid1(VALU_DEP_1)
	v_dual_sub_nc_u32 v4, v5, v4 :: v_dual_ashrrev_i32 v5, 8, v6
	v_add_nc_u32_e32 v4, 0x3c000000, v4
	s_delay_alu instid0(VALU_DEP_1) | instskip(NEXT) | instid1(VALU_DEP_1)
	v_and_or_b32 v4, 0x7f800000, v5, v4
	v_cndmask_b32_e32 v1, 0, v4, vcc_lo
	s_delay_alu instid0(VALU_DEP_1) | instskip(NEXT) | instid1(VALU_DEP_1)
	v_and_or_b32 v0, 0x80000000, v0, v1
	v_cvt_i32_f32_e32 v0, v0
.LBB70_1203:
	s_mov_b32 s33, 0
.LBB70_1204:
	s_delay_alu instid0(SALU_CYCLE_1)
	s_and_not1_b32 vcc_lo, exec_lo, s33
	s_cbranch_vccnz .LBB70_1206
; %bb.1205:
	s_wait_loadcnt 0x0
	global_load_u8 v0, v[2:3], off
	s_wait_loadcnt 0x0
	v_lshlrev_b32_e32 v1, 25, v0
	v_lshlrev_b16 v0, 8, v0
	s_delay_alu instid0(VALU_DEP_1) | instskip(SKIP_1) | instid1(VALU_DEP_2)
	v_and_or_b32 v5, 0x7f00, v0, 0.5
	v_bfe_i32 v0, v0, 0, 16
	v_add_f32_e32 v5, -0.5, v5
	v_lshrrev_b32_e32 v4, 4, v1
	v_cmp_gt_u32_e32 vcc_lo, 0x8000000, v1
	s_delay_alu instid0(VALU_DEP_2) | instskip(NEXT) | instid1(VALU_DEP_1)
	v_or_b32_e32 v4, 0x70000000, v4
	v_mul_f32_e32 v4, 0x7800000, v4
	s_delay_alu instid0(VALU_DEP_1) | instskip(NEXT) | instid1(VALU_DEP_1)
	v_cndmask_b32_e32 v1, v4, v5, vcc_lo
	v_and_or_b32 v0, 0x80000000, v0, v1
	s_delay_alu instid0(VALU_DEP_1)
	v_cvt_i32_f32_e32 v0, v0
.LBB70_1206:
	s_mov_b32 s33, 0
	s_mov_b32 s34, -1
.LBB70_1207:
	s_and_not1_b32 vcc_lo, exec_lo, s33
	s_mov_b32 s33, 0
	s_cbranch_vccnz .LBB70_1218
; %bb.1208:
	s_cmp_gt_i32 s30, 14
	s_cbranch_scc0 .LBB70_1211
; %bb.1209:
	s_cmp_eq_u32 s30, 15
	s_cbranch_scc0 .LBB70_1214
; %bb.1210:
	s_wait_loadcnt 0x0
	global_load_u16 v0, v[2:3], off
	s_mov_b32 s31, 0
	s_mov_b32 s34, -1
	s_wait_loadcnt 0x0
	v_lshlrev_b32_e32 v0, 16, v0
	s_delay_alu instid0(VALU_DEP_1)
	v_cvt_i32_f32_e32 v0, v0
	s_branch .LBB70_1216
.LBB70_1211:
	s_mov_b32 s33, -1
	s_branch .LBB70_1215
.LBB70_1212:
	s_and_not1_saveexec_b32 s33, s33
	s_cbranch_execz .LBB70_1193
.LBB70_1213:
	v_cmp_ne_u16_e32 vcc_lo, 0, v1
	s_and_not1_b32 s34, s34, exec_lo
	s_and_b32 s35, vcc_lo, exec_lo
	s_delay_alu instid0(SALU_CYCLE_1)
	s_or_b32 s34, s34, s35
	s_or_b32 exec_lo, exec_lo, s33
	v_mov_b32_e32 v0, 0
	s_and_saveexec_b32 s33, s34
	s_cbranch_execnz .LBB70_1194
	s_branch .LBB70_1195
.LBB70_1214:
	s_mov_b32 s31, -1
.LBB70_1215:
                                        ; implicit-def: $vgpr0
.LBB70_1216:
	s_and_b32 vcc_lo, exec_lo, s33
	s_mov_b32 s33, 0
	s_cbranch_vccz .LBB70_1218
; %bb.1217:
	s_cmp_lg_u32 s30, 11
	s_mov_b32 s33, -1
	s_cselect_b32 s30, -1, 0
	s_and_not1_b32 s31, s31, exec_lo
	s_and_b32 s30, s30, exec_lo
	s_delay_alu instid0(SALU_CYCLE_1)
	s_or_b32 s31, s31, s30
.LBB70_1218:
	s_mov_b32 s30, 0
.LBB70_1219:
	s_and_not1_b32 s35, s27, exec_lo
	s_and_b32 s31, s31, exec_lo
	s_and_b32 s36, s34, exec_lo
	;; [unrolled: 1-line block ×4, first 2 shown]
	s_or_b32 s35, s35, s31
.LBB70_1220:
	s_wait_xcnt 0x0
	s_or_b32 exec_lo, exec_lo, s17
	s_delay_alu instid0(SALU_CYCLE_1)
	s_and_not1_b32 s17, s27, exec_lo
	s_and_b32 s27, s35, exec_lo
	s_and_b32 s33, s36, exec_lo
	;; [unrolled: 1-line block ×4, first 2 shown]
	s_or_b32 s27, s17, s27
.LBB70_1221:
	s_or_b32 exec_lo, exec_lo, s26
	s_delay_alu instid0(SALU_CYCLE_1)
	s_and_not1_b32 s17, s23, exec_lo
	s_and_b32 s23, s29, exec_lo
	s_and_not1_b32 s24, s24, exec_lo
	s_and_b32 s26, s28, exec_lo
	s_or_b32 s23, s17, s23
	s_and_not1_b32 s17, s22, exec_lo
	s_and_b32 s22, s27, exec_lo
	s_or_b32 s24, s24, s26
	s_and_b32 s29, s33, exec_lo
	s_and_b32 s28, s31, exec_lo
	;; [unrolled: 1-line block ×3, first 2 shown]
	s_or_b32 s22, s17, s22
.LBB70_1222:
	s_or_b32 exec_lo, exec_lo, s25
	s_delay_alu instid0(SALU_CYCLE_1)
	s_and_not1_b32 s17, s18, exec_lo
	s_and_b32 s18, s23, exec_lo
	s_and_not1_b32 s19, s19, exec_lo
	s_and_b32 s23, s24, exec_lo
	s_or_b32 s18, s17, s18
	s_and_not1_b32 s17, s20, exec_lo
	s_and_b32 s20, s22, exec_lo
	s_or_b32 s19, s19, s23
	s_and_b32 s23, s29, exec_lo
	s_and_b32 s24, s28, exec_lo
	s_and_b32 s22, s26, exec_lo
	s_or_b32 s20, s17, s20
	s_or_b32 exec_lo, exec_lo, s21
	s_mov_b32 s17, 0
	s_and_saveexec_b32 s21, s20
	s_cbranch_execz .LBB70_384
.LBB70_1223:
	s_mov_b32 s17, exec_lo
	s_and_not1_b32 s22, s22, exec_lo
	s_trap 2
	s_or_b32 exec_lo, exec_lo, s21
	s_and_saveexec_b32 s20, s22
	s_delay_alu instid0(SALU_CYCLE_1)
	s_xor_b32 s20, exec_lo, s20
	s_cbranch_execnz .LBB70_385
.LBB70_1224:
	s_or_b32 exec_lo, exec_lo, s20
	s_and_saveexec_b32 s20, s24
	s_cbranch_execz .LBB70_1270
.LBB70_1225:
	s_sext_i32_i16 s21, s0
	s_delay_alu instid0(SALU_CYCLE_1)
	s_cmp_lt_i32 s21, 5
	s_cbranch_scc1 .LBB70_1230
; %bb.1226:
	s_cmp_lt_i32 s21, 8
	s_cbranch_scc1 .LBB70_1231
; %bb.1227:
	;; [unrolled: 3-line block ×3, first 2 shown]
	s_cmp_gt_i32 s21, 9
	s_cbranch_scc0 .LBB70_1233
; %bb.1229:
	s_wait_loadcnt 0x0
	global_load_b64 v[0:1], v[2:3], off
	s_mov_b32 s21, 0
	s_wait_loadcnt 0x0
	v_cvt_i32_f64_e32 v0, v[0:1]
	s_branch .LBB70_1234
.LBB70_1230:
                                        ; implicit-def: $vgpr0
	s_branch .LBB70_1251
.LBB70_1231:
                                        ; implicit-def: $vgpr0
	s_branch .LBB70_1240
.LBB70_1232:
	s_mov_b32 s21, -1
                                        ; implicit-def: $vgpr0
	s_branch .LBB70_1237
.LBB70_1233:
	s_mov_b32 s21, -1
                                        ; implicit-def: $vgpr0
.LBB70_1234:
	s_delay_alu instid0(SALU_CYCLE_1)
	s_and_not1_b32 vcc_lo, exec_lo, s21
	s_cbranch_vccnz .LBB70_1236
; %bb.1235:
	s_wait_loadcnt 0x0
	global_load_b32 v0, v[2:3], off
	s_wait_loadcnt 0x0
	v_cvt_i32_f32_e32 v0, v0
.LBB70_1236:
	s_mov_b32 s21, 0
.LBB70_1237:
	s_delay_alu instid0(SALU_CYCLE_1)
	s_and_not1_b32 vcc_lo, exec_lo, s21
	s_cbranch_vccnz .LBB70_1239
; %bb.1238:
	s_wait_loadcnt 0x0
	global_load_b32 v0, v[2:3], off
	s_wait_loadcnt 0x0
	v_cvt_i16_f16_e32 v0, v0
.LBB70_1239:
	s_cbranch_execnz .LBB70_1250
.LBB70_1240:
	s_sext_i32_i16 s21, s0
	s_delay_alu instid0(SALU_CYCLE_1)
	s_cmp_lt_i32 s21, 6
	s_cbranch_scc1 .LBB70_1243
; %bb.1241:
	s_cmp_gt_i32 s21, 6
	s_cbranch_scc0 .LBB70_1244
; %bb.1242:
	s_wait_loadcnt 0x0
	global_load_b64 v[0:1], v[2:3], off
	s_mov_b32 s21, 0
	s_wait_loadcnt 0x0
	v_cvt_i32_f64_e32 v0, v[0:1]
	s_branch .LBB70_1245
.LBB70_1243:
	s_mov_b32 s21, -1
                                        ; implicit-def: $vgpr0
	s_branch .LBB70_1248
.LBB70_1244:
	s_mov_b32 s21, -1
                                        ; implicit-def: $vgpr0
.LBB70_1245:
	s_delay_alu instid0(SALU_CYCLE_1)
	s_and_not1_b32 vcc_lo, exec_lo, s21
	s_cbranch_vccnz .LBB70_1247
; %bb.1246:
	s_wait_loadcnt 0x0
	global_load_b32 v0, v[2:3], off
	s_wait_loadcnt 0x0
	v_cvt_i32_f32_e32 v0, v0
.LBB70_1247:
	s_mov_b32 s21, 0
.LBB70_1248:
	s_delay_alu instid0(SALU_CYCLE_1)
	s_and_not1_b32 vcc_lo, exec_lo, s21
	s_cbranch_vccnz .LBB70_1250
; %bb.1249:
	s_wait_loadcnt 0x0
	global_load_u16 v0, v[2:3], off
	s_wait_loadcnt 0x0
	v_cvt_i16_f16_e32 v0, v0
.LBB70_1250:
	s_cbranch_execnz .LBB70_1269
.LBB70_1251:
	s_sext_i32_i16 s21, s0
	s_delay_alu instid0(SALU_CYCLE_1)
	s_cmp_lt_i32 s21, 2
	s_cbranch_scc1 .LBB70_1255
; %bb.1252:
	s_cmp_lt_i32 s21, 3
	s_cbranch_scc1 .LBB70_1256
; %bb.1253:
	s_cmp_gt_i32 s21, 3
	s_cbranch_scc0 .LBB70_1257
; %bb.1254:
	s_wait_loadcnt 0x0
	global_load_b64 v[0:1], v[2:3], off
	s_mov_b32 s21, 0
	s_branch .LBB70_1258
.LBB70_1255:
                                        ; implicit-def: $vgpr0
	s_branch .LBB70_1264
.LBB70_1256:
	s_mov_b32 s21, -1
                                        ; implicit-def: $vgpr0
	s_branch .LBB70_1261
.LBB70_1257:
	s_mov_b32 s21, -1
                                        ; implicit-def: $vgpr0
.LBB70_1258:
	s_delay_alu instid0(SALU_CYCLE_1)
	s_and_not1_b32 vcc_lo, exec_lo, s21
	s_cbranch_vccnz .LBB70_1260
; %bb.1259:
	s_wait_loadcnt 0x0
	global_load_b32 v0, v[2:3], off
.LBB70_1260:
	s_mov_b32 s21, 0
.LBB70_1261:
	s_delay_alu instid0(SALU_CYCLE_1)
	s_and_not1_b32 vcc_lo, exec_lo, s21
	s_cbranch_vccnz .LBB70_1263
; %bb.1262:
	s_wait_loadcnt 0x0
	global_load_u16 v0, v[2:3], off
.LBB70_1263:
	s_cbranch_execnz .LBB70_1269
.LBB70_1264:
	s_sext_i32_i16 s0, s0
	s_delay_alu instid0(SALU_CYCLE_1)
	s_cmp_gt_i32 s0, 0
	s_mov_b32 s0, 0
	s_cbranch_scc0 .LBB70_1266
; %bb.1265:
	s_wait_loadcnt 0x0
	global_load_i8 v0, v[2:3], off
	s_branch .LBB70_1267
.LBB70_1266:
	s_mov_b32 s0, -1
                                        ; implicit-def: $vgpr0
.LBB70_1267:
	s_delay_alu instid0(SALU_CYCLE_1)
	s_and_not1_b32 vcc_lo, exec_lo, s0
	s_cbranch_vccnz .LBB70_1269
; %bb.1268:
	s_wait_loadcnt 0x0
	global_load_u8 v0, v[2:3], off
.LBB70_1269:
	s_or_b32 s23, s23, exec_lo
.LBB70_1270:
	s_wait_xcnt 0x0
	s_or_b32 exec_lo, exec_lo, s20
	s_mov_b32 s22, 0
	s_mov_b32 s21, 0
	;; [unrolled: 1-line block ×3, first 2 shown]
                                        ; implicit-def: $sgpr0
                                        ; implicit-def: $vgpr2_vgpr3
                                        ; implicit-def: $vgpr4
	s_and_saveexec_b32 s20, s23
	s_cbranch_execz .LBB70_1278
; %bb.1271:
	v_mul_lo_u32 v2, v18, s10
	s_and_b32 s0, s1, 0xff
	s_delay_alu instid0(SALU_CYCLE_1) | instskip(NEXT) | instid1(VALU_DEP_1)
	s_cmp_lt_i32 s0, 11
	v_ashrrev_i32_e32 v3, 31, v2
	s_delay_alu instid0(VALU_DEP_1)
	v_add_nc_u64_e32 v[2:3], s[2:3], v[2:3]
	s_cbranch_scc1 .LBB70_1281
; %bb.1272:
	s_and_b32 s21, 0xffff, s0
	s_mov_b32 s23, 0
	s_cmp_gt_i32 s21, 25
	s_cbranch_scc0 .LBB70_1282
; %bb.1273:
	s_cmp_gt_i32 s21, 28
	s_cbranch_scc0 .LBB70_1283
; %bb.1274:
	;; [unrolled: 3-line block ×4, first 2 shown]
	s_cmp_eq_u32 s21, 46
	s_mov_b32 s25, 0
	s_cbranch_scc0 .LBB70_1286
; %bb.1277:
	s_wait_loadcnt 0x0
	global_load_b32 v1, v[2:3], off
	s_mov_b32 s24, -1
	s_wait_loadcnt 0x0
	v_lshlrev_b32_e32 v1, 16, v1
	s_delay_alu instid0(VALU_DEP_1)
	v_cvt_i32_f32_e32 v4, v1
	s_branch .LBB70_1288
.LBB70_1278:
	s_or_b32 exec_lo, exec_lo, s20
	s_and_saveexec_b32 s20, s19
	s_cbranch_execnz .LBB70_1347
.LBB70_1279:
	s_or_b32 exec_lo, exec_lo, s20
	s_and_saveexec_b32 s19, s22
	s_delay_alu instid0(SALU_CYCLE_1)
	s_xor_b32 s19, exec_lo, s19
	s_cbranch_execz .LBB70_1348
.LBB70_1280:
	s_wait_loadcnt 0x0
	global_load_u8 v1, v[2:3], off
	s_or_b32 s24, s24, exec_lo
	s_wait_loadcnt 0x0
	v_cmp_ne_u16_e32 vcc_lo, 0, v1
	v_cndmask_b32_e64 v4, 0, 1, vcc_lo
	s_wait_xcnt 0x0
	s_or_b32 exec_lo, exec_lo, s19
	s_and_saveexec_b32 s19, s21
	s_cbranch_execz .LBB70_1394
	s_branch .LBB70_1349
.LBB70_1281:
	s_mov_b32 s21, -1
	s_mov_b32 s23, 0
	s_mov_b32 s22, s19
                                        ; implicit-def: $vgpr4
	s_branch .LBB70_1346
.LBB70_1282:
	s_mov_b32 s22, s19
                                        ; implicit-def: $vgpr4
	s_cbranch_execnz .LBB70_1315
	s_branch .LBB70_1345
.LBB70_1283:
	s_mov_b32 s25, -1
	s_mov_b32 s22, s19
                                        ; implicit-def: $vgpr4
	s_branch .LBB70_1298
.LBB70_1284:
	s_mov_b32 s25, -1
	s_mov_b32 s22, s19
                                        ; implicit-def: $vgpr4
	s_branch .LBB70_1293
.LBB70_1285:
	s_mov_b32 s25, -1
	s_mov_b32 s22, s19
	s_branch .LBB70_1287
.LBB70_1286:
	s_mov_b32 s22, -1
.LBB70_1287:
                                        ; implicit-def: $vgpr4
.LBB70_1288:
	s_and_b32 vcc_lo, exec_lo, s25
	s_cbranch_vccz .LBB70_1292
; %bb.1289:
	s_cmp_eq_u32 s21, 44
	s_cbranch_scc0 .LBB70_1291
; %bb.1290:
	s_wait_loadcnt 0x0
	global_load_u8 v1, v[2:3], off
	s_mov_b32 s22, 0
	s_mov_b32 s24, -1
	s_wait_loadcnt 0x0
	v_lshlrev_b32_e32 v4, 23, v1
	v_cmp_ne_u32_e32 vcc_lo, 0, v1
	s_delay_alu instid0(VALU_DEP_2) | instskip(NEXT) | instid1(VALU_DEP_1)
	v_cvt_i32_f32_e32 v4, v4
	v_cndmask_b32_e32 v4, 0, v4, vcc_lo
	s_branch .LBB70_1292
.LBB70_1291:
	s_mov_b32 s22, -1
                                        ; implicit-def: $vgpr4
.LBB70_1292:
	s_mov_b32 s25, 0
.LBB70_1293:
	s_delay_alu instid0(SALU_CYCLE_1)
	s_and_b32 vcc_lo, exec_lo, s25
	s_cbranch_vccz .LBB70_1297
; %bb.1294:
	s_cmp_eq_u32 s21, 29
	s_cbranch_scc0 .LBB70_1296
; %bb.1295:
	s_wait_loadcnt 0x0
	global_load_b64 v[4:5], v[2:3], off
	s_mov_b32 s22, 0
	s_mov_b32 s24, -1
	s_branch .LBB70_1297
.LBB70_1296:
	s_mov_b32 s22, -1
                                        ; implicit-def: $vgpr4
.LBB70_1297:
	s_mov_b32 s25, 0
.LBB70_1298:
	s_delay_alu instid0(SALU_CYCLE_1)
	s_and_b32 vcc_lo, exec_lo, s25
	s_cbranch_vccz .LBB70_1314
; %bb.1299:
	s_cmp_lt_i32 s21, 27
	s_cbranch_scc1 .LBB70_1302
; %bb.1300:
	s_cmp_gt_i32 s21, 27
	s_cbranch_scc0 .LBB70_1303
; %bb.1301:
	s_wait_loadcnt 0x0
	global_load_b32 v4, v[2:3], off
	s_mov_b32 s24, 0
	s_branch .LBB70_1304
.LBB70_1302:
	s_mov_b32 s24, -1
                                        ; implicit-def: $vgpr4
	s_branch .LBB70_1307
.LBB70_1303:
	s_mov_b32 s24, -1
                                        ; implicit-def: $vgpr4
.LBB70_1304:
	s_delay_alu instid0(SALU_CYCLE_1)
	s_and_not1_b32 vcc_lo, exec_lo, s24
	s_cbranch_vccnz .LBB70_1306
; %bb.1305:
	s_wait_loadcnt 0x0
	global_load_u16 v4, v[2:3], off
.LBB70_1306:
	s_mov_b32 s24, 0
.LBB70_1307:
	s_delay_alu instid0(SALU_CYCLE_1)
	s_and_not1_b32 vcc_lo, exec_lo, s24
	s_cbranch_vccnz .LBB70_1313
; %bb.1308:
	s_wait_loadcnt 0x0
	global_load_u8 v1, v[2:3], off
	s_mov_b32 s25, 0
	s_mov_b32 s24, exec_lo
	s_wait_loadcnt 0x0
	v_cmpx_lt_i16_e32 0x7f, v1
	s_xor_b32 s24, exec_lo, s24
	s_cbranch_execz .LBB70_1324
; %bb.1309:
	v_cmp_ne_u16_e32 vcc_lo, 0x80, v1
	s_and_b32 s25, vcc_lo, exec_lo
	s_and_not1_saveexec_b32 s24, s24
	s_cbranch_execnz .LBB70_1325
.LBB70_1310:
	s_or_b32 exec_lo, exec_lo, s24
	v_mov_b32_e32 v4, 0
	s_and_saveexec_b32 s24, s25
	s_cbranch_execz .LBB70_1312
.LBB70_1311:
	v_and_b32_e32 v4, 0xffff, v1
	s_delay_alu instid0(VALU_DEP_1) | instskip(SKIP_1) | instid1(VALU_DEP_2)
	v_and_b32_e32 v5, 7, v4
	v_bfe_u32 v8, v4, 3, 4
	v_clz_i32_u32_e32 v6, v5
	s_delay_alu instid0(VALU_DEP_2) | instskip(NEXT) | instid1(VALU_DEP_2)
	v_cmp_eq_u32_e32 vcc_lo, 0, v8
	v_min_u32_e32 v6, 32, v6
	s_delay_alu instid0(VALU_DEP_1) | instskip(NEXT) | instid1(VALU_DEP_1)
	v_subrev_nc_u32_e32 v7, 28, v6
	v_dual_lshlrev_b32 v4, v7, v4 :: v_dual_sub_nc_u32 v6, 29, v6
	s_delay_alu instid0(VALU_DEP_1) | instskip(NEXT) | instid1(VALU_DEP_1)
	v_dual_lshlrev_b32 v1, 24, v1 :: v_dual_bitop2_b32 v4, 7, v4 bitop3:0x40
	v_dual_cndmask_b32 v6, v8, v6, vcc_lo :: v_dual_cndmask_b32 v4, v5, v4, vcc_lo
	s_delay_alu instid0(VALU_DEP_2) | instskip(NEXT) | instid1(VALU_DEP_2)
	v_and_b32_e32 v1, 0x80000000, v1
	v_lshl_add_u32 v5, v6, 23, 0x3b800000
	s_delay_alu instid0(VALU_DEP_3) | instskip(NEXT) | instid1(VALU_DEP_1)
	v_lshlrev_b32_e32 v4, 20, v4
	v_or3_b32 v1, v1, v5, v4
	s_delay_alu instid0(VALU_DEP_1)
	v_cvt_i32_f32_e32 v4, v1
.LBB70_1312:
	s_or_b32 exec_lo, exec_lo, s24
.LBB70_1313:
	s_mov_b32 s24, -1
.LBB70_1314:
	s_branch .LBB70_1345
.LBB70_1315:
	s_cmp_gt_i32 s21, 22
	s_cbranch_scc0 .LBB70_1323
; %bb.1316:
	s_cmp_lt_i32 s21, 24
	s_cbranch_scc1 .LBB70_1326
; %bb.1317:
	s_cmp_gt_i32 s21, 24
	s_cbranch_scc0 .LBB70_1327
; %bb.1318:
	s_wait_loadcnt 0x0
	global_load_u8 v1, v[2:3], off
	s_mov_b32 s24, 0
	s_mov_b32 s23, exec_lo
	s_wait_loadcnt 0x0
	v_cmpx_lt_i16_e32 0x7f, v1
	s_xor_b32 s23, exec_lo, s23
	s_cbranch_execz .LBB70_1339
; %bb.1319:
	v_cmp_ne_u16_e32 vcc_lo, 0x80, v1
	s_and_b32 s24, vcc_lo, exec_lo
	s_and_not1_saveexec_b32 s23, s23
	s_cbranch_execnz .LBB70_1340
.LBB70_1320:
	s_or_b32 exec_lo, exec_lo, s23
	v_mov_b32_e32 v4, 0
	s_and_saveexec_b32 s23, s24
	s_cbranch_execz .LBB70_1322
.LBB70_1321:
	v_and_b32_e32 v4, 0xffff, v1
	s_delay_alu instid0(VALU_DEP_1) | instskip(SKIP_1) | instid1(VALU_DEP_2)
	v_and_b32_e32 v5, 3, v4
	v_bfe_u32 v8, v4, 2, 5
	v_clz_i32_u32_e32 v6, v5
	s_delay_alu instid0(VALU_DEP_2) | instskip(NEXT) | instid1(VALU_DEP_2)
	v_cmp_eq_u32_e32 vcc_lo, 0, v8
	v_min_u32_e32 v6, 32, v6
	s_delay_alu instid0(VALU_DEP_1) | instskip(NEXT) | instid1(VALU_DEP_1)
	v_subrev_nc_u32_e32 v7, 29, v6
	v_dual_lshlrev_b32 v4, v7, v4 :: v_dual_sub_nc_u32 v6, 30, v6
	s_delay_alu instid0(VALU_DEP_1) | instskip(NEXT) | instid1(VALU_DEP_1)
	v_dual_lshlrev_b32 v1, 24, v1 :: v_dual_bitop2_b32 v4, 3, v4 bitop3:0x40
	v_dual_cndmask_b32 v6, v8, v6, vcc_lo :: v_dual_cndmask_b32 v4, v5, v4, vcc_lo
	s_delay_alu instid0(VALU_DEP_2) | instskip(NEXT) | instid1(VALU_DEP_2)
	v_and_b32_e32 v1, 0x80000000, v1
	v_lshl_add_u32 v5, v6, 23, 0x37800000
	s_delay_alu instid0(VALU_DEP_3) | instskip(NEXT) | instid1(VALU_DEP_1)
	v_lshlrev_b32_e32 v4, 21, v4
	v_or3_b32 v1, v1, v5, v4
	s_delay_alu instid0(VALU_DEP_1)
	v_cvt_i32_f32_e32 v4, v1
.LBB70_1322:
	s_or_b32 exec_lo, exec_lo, s23
	s_mov_b32 s23, 0
	s_branch .LBB70_1328
.LBB70_1323:
	s_mov_b32 s23, -1
                                        ; implicit-def: $vgpr4
	s_branch .LBB70_1334
.LBB70_1324:
	s_and_not1_saveexec_b32 s24, s24
	s_cbranch_execz .LBB70_1310
.LBB70_1325:
	v_cmp_ne_u16_e32 vcc_lo, 0, v1
	s_and_not1_b32 s25, s25, exec_lo
	s_and_b32 s26, vcc_lo, exec_lo
	s_delay_alu instid0(SALU_CYCLE_1)
	s_or_b32 s25, s25, s26
	s_or_b32 exec_lo, exec_lo, s24
	v_mov_b32_e32 v4, 0
	s_and_saveexec_b32 s24, s25
	s_cbranch_execnz .LBB70_1311
	s_branch .LBB70_1312
.LBB70_1326:
	s_mov_b32 s23, -1
                                        ; implicit-def: $vgpr4
	s_branch .LBB70_1331
.LBB70_1327:
	s_mov_b32 s23, -1
                                        ; implicit-def: $vgpr4
.LBB70_1328:
	s_delay_alu instid0(SALU_CYCLE_1)
	s_and_b32 vcc_lo, exec_lo, s23
	s_cbranch_vccz .LBB70_1330
; %bb.1329:
	s_wait_loadcnt 0x0
	global_load_u8 v1, v[2:3], off
	s_wait_loadcnt 0x0
	v_lshlrev_b32_e32 v1, 24, v1
	s_delay_alu instid0(VALU_DEP_1) | instskip(NEXT) | instid1(VALU_DEP_1)
	v_and_b32_e32 v4, 0x7f000000, v1
	v_clz_i32_u32_e32 v5, v4
	v_cmp_ne_u32_e32 vcc_lo, 0, v4
	v_add_nc_u32_e32 v7, 0x1000000, v4
	s_delay_alu instid0(VALU_DEP_3) | instskip(NEXT) | instid1(VALU_DEP_1)
	v_min_u32_e32 v5, 32, v5
	v_sub_nc_u32_e64 v5, v5, 4 clamp
	s_delay_alu instid0(VALU_DEP_1) | instskip(NEXT) | instid1(VALU_DEP_1)
	v_dual_lshlrev_b32 v6, v5, v4 :: v_dual_lshlrev_b32 v5, 23, v5
	v_lshrrev_b32_e32 v6, 4, v6
	s_delay_alu instid0(VALU_DEP_1) | instskip(NEXT) | instid1(VALU_DEP_1)
	v_dual_sub_nc_u32 v5, v6, v5 :: v_dual_ashrrev_i32 v6, 8, v7
	v_add_nc_u32_e32 v5, 0x3c000000, v5
	s_delay_alu instid0(VALU_DEP_1) | instskip(NEXT) | instid1(VALU_DEP_1)
	v_and_or_b32 v5, 0x7f800000, v6, v5
	v_cndmask_b32_e32 v4, 0, v5, vcc_lo
	s_delay_alu instid0(VALU_DEP_1) | instskip(NEXT) | instid1(VALU_DEP_1)
	v_and_or_b32 v1, 0x80000000, v1, v4
	v_cvt_i32_f32_e32 v4, v1
.LBB70_1330:
	s_mov_b32 s23, 0
.LBB70_1331:
	s_delay_alu instid0(SALU_CYCLE_1)
	s_and_not1_b32 vcc_lo, exec_lo, s23
	s_cbranch_vccnz .LBB70_1333
; %bb.1332:
	s_wait_loadcnt 0x0
	global_load_u8 v1, v[2:3], off
	s_wait_loadcnt 0x0
	v_lshlrev_b32_e32 v4, 25, v1
	v_lshlrev_b16 v1, 8, v1
	s_delay_alu instid0(VALU_DEP_1) | instskip(SKIP_1) | instid1(VALU_DEP_2)
	v_and_or_b32 v6, 0x7f00, v1, 0.5
	v_bfe_i32 v1, v1, 0, 16
	v_dual_add_f32 v6, -0.5, v6 :: v_dual_lshrrev_b32 v5, 4, v4
	v_cmp_gt_u32_e32 vcc_lo, 0x8000000, v4
	s_delay_alu instid0(VALU_DEP_2) | instskip(NEXT) | instid1(VALU_DEP_1)
	v_or_b32_e32 v5, 0x70000000, v5
	v_mul_f32_e32 v5, 0x7800000, v5
	s_delay_alu instid0(VALU_DEP_1) | instskip(NEXT) | instid1(VALU_DEP_1)
	v_cndmask_b32_e32 v4, v5, v6, vcc_lo
	v_and_or_b32 v1, 0x80000000, v1, v4
	s_delay_alu instid0(VALU_DEP_1)
	v_cvt_i32_f32_e32 v4, v1
.LBB70_1333:
	s_mov_b32 s23, 0
	s_mov_b32 s24, -1
.LBB70_1334:
	s_and_not1_b32 vcc_lo, exec_lo, s23
	s_mov_b32 s23, 0
	s_cbranch_vccnz .LBB70_1345
; %bb.1335:
	s_cmp_gt_i32 s21, 14
	s_cbranch_scc0 .LBB70_1338
; %bb.1336:
	s_cmp_eq_u32 s21, 15
	s_cbranch_scc0 .LBB70_1341
; %bb.1337:
	s_wait_loadcnt 0x0
	global_load_u16 v1, v[2:3], off
	s_mov_b32 s22, 0
	s_mov_b32 s24, -1
	s_wait_loadcnt 0x0
	v_lshlrev_b32_e32 v1, 16, v1
	s_delay_alu instid0(VALU_DEP_1)
	v_cvt_i32_f32_e32 v4, v1
	s_branch .LBB70_1343
.LBB70_1338:
	s_mov_b32 s23, -1
	s_branch .LBB70_1342
.LBB70_1339:
	s_and_not1_saveexec_b32 s23, s23
	s_cbranch_execz .LBB70_1320
.LBB70_1340:
	v_cmp_ne_u16_e32 vcc_lo, 0, v1
	s_and_not1_b32 s24, s24, exec_lo
	s_and_b32 s25, vcc_lo, exec_lo
	s_delay_alu instid0(SALU_CYCLE_1)
	s_or_b32 s24, s24, s25
	s_or_b32 exec_lo, exec_lo, s23
	v_mov_b32_e32 v4, 0
	s_and_saveexec_b32 s23, s24
	s_cbranch_execnz .LBB70_1321
	s_branch .LBB70_1322
.LBB70_1341:
	s_mov_b32 s22, -1
.LBB70_1342:
                                        ; implicit-def: $vgpr4
.LBB70_1343:
	s_and_b32 vcc_lo, exec_lo, s23
	s_mov_b32 s23, 0
	s_cbranch_vccz .LBB70_1345
; %bb.1344:
	s_cmp_lg_u32 s21, 11
	s_mov_b32 s23, -1
	s_cselect_b32 s21, -1, 0
	s_and_not1_b32 s22, s22, exec_lo
	s_and_b32 s21, s21, exec_lo
	s_delay_alu instid0(SALU_CYCLE_1)
	s_or_b32 s22, s22, s21
.LBB70_1345:
	s_mov_b32 s21, 0
.LBB70_1346:
	s_and_not1_b32 s19, s19, exec_lo
	s_and_b32 s25, s22, exec_lo
	s_and_b32 s24, s24, exec_lo
	;; [unrolled: 1-line block ×4, first 2 shown]
	s_or_b32 s19, s19, s25
	s_wait_xcnt 0x0
	s_or_b32 exec_lo, exec_lo, s20
	s_and_saveexec_b32 s20, s19
	s_cbranch_execz .LBB70_1279
.LBB70_1347:
	s_or_b32 s17, s17, exec_lo
	s_and_not1_b32 s22, s22, exec_lo
	s_trap 2
	s_or_b32 exec_lo, exec_lo, s20
	s_and_saveexec_b32 s19, s22
	s_delay_alu instid0(SALU_CYCLE_1)
	s_xor_b32 s19, exec_lo, s19
	s_cbranch_execnz .LBB70_1280
.LBB70_1348:
	s_or_b32 exec_lo, exec_lo, s19
	s_and_saveexec_b32 s19, s21
	s_cbranch_execz .LBB70_1394
.LBB70_1349:
	s_sext_i32_i16 s20, s0
	s_delay_alu instid0(SALU_CYCLE_1)
	s_cmp_lt_i32 s20, 5
	s_cbranch_scc1 .LBB70_1354
; %bb.1350:
	s_cmp_lt_i32 s20, 8
	s_cbranch_scc1 .LBB70_1355
; %bb.1351:
	;; [unrolled: 3-line block ×3, first 2 shown]
	s_cmp_gt_i32 s20, 9
	s_cbranch_scc0 .LBB70_1357
; %bb.1353:
	s_wait_loadcnt 0x0
	global_load_b64 v[4:5], v[2:3], off
	s_mov_b32 s20, 0
	s_wait_loadcnt 0x0
	v_cvt_i32_f64_e32 v4, v[4:5]
	s_branch .LBB70_1358
.LBB70_1354:
                                        ; implicit-def: $vgpr4
	s_branch .LBB70_1375
.LBB70_1355:
                                        ; implicit-def: $vgpr4
	s_branch .LBB70_1364
.LBB70_1356:
	s_mov_b32 s20, -1
                                        ; implicit-def: $vgpr4
	s_branch .LBB70_1361
.LBB70_1357:
	s_mov_b32 s20, -1
                                        ; implicit-def: $vgpr4
.LBB70_1358:
	s_delay_alu instid0(SALU_CYCLE_1)
	s_and_not1_b32 vcc_lo, exec_lo, s20
	s_cbranch_vccnz .LBB70_1360
; %bb.1359:
	s_wait_loadcnt 0x0
	global_load_b32 v1, v[2:3], off
	s_wait_loadcnt 0x0
	v_cvt_i32_f32_e32 v4, v1
.LBB70_1360:
	s_mov_b32 s20, 0
.LBB70_1361:
	s_delay_alu instid0(SALU_CYCLE_1)
	s_and_not1_b32 vcc_lo, exec_lo, s20
	s_cbranch_vccnz .LBB70_1363
; %bb.1362:
	s_wait_loadcnt 0x0
	global_load_b32 v1, v[2:3], off
	s_wait_loadcnt 0x0
	v_cvt_i16_f16_e32 v4, v1
.LBB70_1363:
	s_cbranch_execnz .LBB70_1374
.LBB70_1364:
	s_sext_i32_i16 s20, s0
	s_delay_alu instid0(SALU_CYCLE_1)
	s_cmp_lt_i32 s20, 6
	s_cbranch_scc1 .LBB70_1367
; %bb.1365:
	s_cmp_gt_i32 s20, 6
	s_cbranch_scc0 .LBB70_1368
; %bb.1366:
	s_wait_loadcnt 0x0
	global_load_b64 v[4:5], v[2:3], off
	s_mov_b32 s20, 0
	s_wait_loadcnt 0x0
	v_cvt_i32_f64_e32 v4, v[4:5]
	s_branch .LBB70_1369
.LBB70_1367:
	s_mov_b32 s20, -1
                                        ; implicit-def: $vgpr4
	s_branch .LBB70_1372
.LBB70_1368:
	s_mov_b32 s20, -1
                                        ; implicit-def: $vgpr4
.LBB70_1369:
	s_delay_alu instid0(SALU_CYCLE_1)
	s_and_not1_b32 vcc_lo, exec_lo, s20
	s_cbranch_vccnz .LBB70_1371
; %bb.1370:
	s_wait_loadcnt 0x0
	global_load_b32 v1, v[2:3], off
	s_wait_loadcnt 0x0
	v_cvt_i32_f32_e32 v4, v1
.LBB70_1371:
	s_mov_b32 s20, 0
.LBB70_1372:
	s_delay_alu instid0(SALU_CYCLE_1)
	s_and_not1_b32 vcc_lo, exec_lo, s20
	s_cbranch_vccnz .LBB70_1374
; %bb.1373:
	s_wait_loadcnt 0x0
	global_load_u16 v1, v[2:3], off
	s_wait_loadcnt 0x0
	v_cvt_i16_f16_e32 v4, v1
.LBB70_1374:
	s_cbranch_execnz .LBB70_1393
.LBB70_1375:
	s_sext_i32_i16 s20, s0
	s_delay_alu instid0(SALU_CYCLE_1)
	s_cmp_lt_i32 s20, 2
	s_cbranch_scc1 .LBB70_1379
; %bb.1376:
	s_cmp_lt_i32 s20, 3
	s_cbranch_scc1 .LBB70_1380
; %bb.1377:
	s_cmp_gt_i32 s20, 3
	s_cbranch_scc0 .LBB70_1381
; %bb.1378:
	s_wait_loadcnt 0x0
	global_load_b64 v[4:5], v[2:3], off
	s_mov_b32 s20, 0
	s_branch .LBB70_1382
.LBB70_1379:
                                        ; implicit-def: $vgpr4
	s_branch .LBB70_1388
.LBB70_1380:
	s_mov_b32 s20, -1
                                        ; implicit-def: $vgpr4
	s_branch .LBB70_1385
.LBB70_1381:
	s_mov_b32 s20, -1
                                        ; implicit-def: $vgpr4
.LBB70_1382:
	s_delay_alu instid0(SALU_CYCLE_1)
	s_and_not1_b32 vcc_lo, exec_lo, s20
	s_cbranch_vccnz .LBB70_1384
; %bb.1383:
	s_wait_loadcnt 0x0
	global_load_b32 v4, v[2:3], off
.LBB70_1384:
	s_mov_b32 s20, 0
.LBB70_1385:
	s_delay_alu instid0(SALU_CYCLE_1)
	s_and_not1_b32 vcc_lo, exec_lo, s20
	s_cbranch_vccnz .LBB70_1387
; %bb.1386:
	s_wait_loadcnt 0x0
	global_load_u16 v4, v[2:3], off
.LBB70_1387:
	s_cbranch_execnz .LBB70_1393
.LBB70_1388:
	s_sext_i32_i16 s0, s0
	s_delay_alu instid0(SALU_CYCLE_1)
	s_cmp_gt_i32 s0, 0
	s_mov_b32 s0, 0
	s_cbranch_scc0 .LBB70_1390
; %bb.1389:
	s_wait_loadcnt 0x0
	global_load_i8 v4, v[2:3], off
	s_branch .LBB70_1391
.LBB70_1390:
	s_mov_b32 s0, -1
                                        ; implicit-def: $vgpr4
.LBB70_1391:
	s_delay_alu instid0(SALU_CYCLE_1)
	s_and_not1_b32 vcc_lo, exec_lo, s0
	s_cbranch_vccnz .LBB70_1393
; %bb.1392:
	s_wait_loadcnt 0x0
	global_load_u8 v4, v[2:3], off
.LBB70_1393:
	s_or_b32 s24, s24, exec_lo
.LBB70_1394:
	s_wait_xcnt 0x0
	s_or_b32 exec_lo, exec_lo, s19
	s_mov_b32 s0, 0
	s_mov_b32 s22, 0
                                        ; implicit-def: $sgpr19
                                        ; implicit-def: $sgpr20
                                        ; implicit-def: $vgpr2_vgpr3
	s_and_saveexec_b32 s21, s24
	s_cbranch_execz .LBB70_1402
; %bb.1395:
	v_mul_lo_u32 v2, v18, s8
	s_wait_loadcnt 0x0
	s_delay_alu instid0(VALU_DEP_2) | instskip(SKIP_3) | instid1(VALU_DEP_2)
	v_cmp_ne_u16_e32 vcc_lo, v0, v4
	s_and_b32 s20, s12, 0xff
	s_xor_b32 s19, s16, vcc_lo
	s_cmp_lt_i32 s20, 11
	v_ashrrev_i32_e32 v3, 31, v2
	s_delay_alu instid0(VALU_DEP_1)
	v_add_nc_u64_e32 v[2:3], s[4:5], v[2:3]
	s_cbranch_scc1 .LBB70_1405
; %bb.1396:
	s_and_b32 s16, 0xffff, s20
	s_mov_b32 s22, -1
	s_cmp_gt_i32 s16, 25
	s_mov_b32 s0, s18
	s_cbranch_scc0 .LBB70_1433
; %bb.1397:
	s_cmp_gt_i32 s16, 28
	s_mov_b32 s0, s18
	s_cbranch_scc0 .LBB70_1417
; %bb.1398:
	;; [unrolled: 4-line block ×4, first 2 shown]
	s_cmp_eq_u32 s16, 46
	s_mov_b32 s0, -1
	s_cbranch_scc0 .LBB70_1406
; %bb.1401:
	v_cndmask_b32_e64 v0, 0, 1.0, s19
	s_mov_b32 s0, 0
	s_mov_b32 s22, 0
	s_delay_alu instid0(VALU_DEP_1) | instskip(NEXT) | instid1(VALU_DEP_1)
	v_bfe_u32 v1, v0, 16, 1
	v_add3_u32 v0, v0, v1, 0x7fff
	s_delay_alu instid0(VALU_DEP_1)
	v_lshrrev_b32_e32 v0, 16, v0
	global_store_b32 v[2:3], v0, off
	s_branch .LBB70_1407
.LBB70_1402:
	s_or_b32 exec_lo, exec_lo, s21
	s_and_saveexec_b32 s16, s18
	s_cbranch_execnz .LBB70_1475
.LBB70_1403:
	s_or_b32 exec_lo, exec_lo, s16
	s_and_saveexec_b32 s16, s0
	s_delay_alu instid0(SALU_CYCLE_1)
	s_xor_b32 s0, exec_lo, s16
	s_cbranch_execz .LBB70_1476
.LBB70_1404:
	s_wait_loadcnt 0x0
	v_cndmask_b32_e64 v0, 0, 1, s19
	global_store_b8 v[2:3], v0, off
	s_wait_xcnt 0x0
	s_or_b32 exec_lo, exec_lo, s0
	s_and_saveexec_b32 s0, s22
	s_delay_alu instid0(SALU_CYCLE_1)
	s_xor_b32 s0, exec_lo, s0
	s_cbranch_execz .LBB70_1514
	s_branch .LBB70_1477
.LBB70_1405:
	s_mov_b32 s23, 0
	s_mov_b32 s22, -1
	s_mov_b32 s0, s18
	s_branch .LBB70_1474
.LBB70_1406:
	s_mov_b32 s22, 0
.LBB70_1407:
	s_delay_alu instid0(SALU_CYCLE_1)
	s_and_b32 vcc_lo, exec_lo, s22
	s_cbranch_vccz .LBB70_1412
; %bb.1408:
	s_cmp_eq_u32 s16, 44
	s_mov_b32 s0, -1
	s_cbranch_scc0 .LBB70_1412
; %bb.1409:
	v_cndmask_b32_e64 v4, 0, 1.0, s19
	s_mov_b32 s22, exec_lo
	s_wait_xcnt 0x0
	s_delay_alu instid0(VALU_DEP_1) | instskip(NEXT) | instid1(VALU_DEP_1)
	v_dual_mov_b32 v1, 0xff :: v_dual_lshrrev_b32 v0, 23, v4
	v_cmpx_ne_u32_e32 0xff, v0
; %bb.1410:
	v_and_b32_e32 v1, 0x400000, v4
	v_and_or_b32 v4, 0x3fffff, v4, v0
	s_delay_alu instid0(VALU_DEP_2) | instskip(NEXT) | instid1(VALU_DEP_2)
	v_cmp_ne_u32_e32 vcc_lo, 0, v1
	v_cmp_ne_u32_e64 s0, 0, v4
	s_and_b32 s0, vcc_lo, s0
	s_delay_alu instid0(SALU_CYCLE_1) | instskip(NEXT) | instid1(VALU_DEP_1)
	v_cndmask_b32_e64 v1, 0, 1, s0
	v_add_nc_u32_e32 v1, v0, v1
; %bb.1411:
	s_or_b32 exec_lo, exec_lo, s22
	s_mov_b32 s0, 0
	global_store_b8 v[2:3], v1, off
.LBB70_1412:
	s_mov_b32 s22, 0
.LBB70_1413:
	s_delay_alu instid0(SALU_CYCLE_1)
	s_and_b32 vcc_lo, exec_lo, s22
	s_cbranch_vccz .LBB70_1416
; %bb.1414:
	s_cmp_eq_u32 s16, 29
	s_mov_b32 s0, -1
	s_cbranch_scc0 .LBB70_1416
; %bb.1415:
	s_mov_b32 s0, 0
	s_wait_xcnt 0x0
	v_cndmask_b32_e64 v0, 0, 1, s19
	v_mov_b32_e32 v1, s0
	s_mov_b32 s22, 0
	global_store_b64 v[2:3], v[0:1], off
	s_branch .LBB70_1417
.LBB70_1416:
	s_mov_b32 s22, 0
.LBB70_1417:
	s_delay_alu instid0(SALU_CYCLE_1)
	s_and_b32 vcc_lo, exec_lo, s22
	s_cbranch_vccz .LBB70_1432
; %bb.1418:
	s_cmp_lt_i32 s16, 27
	s_mov_b32 s22, -1
	s_cbranch_scc1 .LBB70_1424
; %bb.1419:
	s_wait_xcnt 0x0
	v_cndmask_b32_e64 v0, 0, 1, s19
	s_cmp_gt_i32 s16, 27
	s_cbranch_scc0 .LBB70_1421
; %bb.1420:
	s_mov_b32 s22, 0
	global_store_b32 v[2:3], v0, off
.LBB70_1421:
	s_and_not1_b32 vcc_lo, exec_lo, s22
	s_cbranch_vccnz .LBB70_1423
; %bb.1422:
	global_store_b16 v[2:3], v0, off
.LBB70_1423:
	s_mov_b32 s22, 0
.LBB70_1424:
	s_delay_alu instid0(SALU_CYCLE_1)
	s_and_not1_b32 vcc_lo, exec_lo, s22
	s_cbranch_vccnz .LBB70_1432
; %bb.1425:
	s_wait_xcnt 0x0
	v_cndmask_b32_e64 v1, 0, 1.0, s19
	v_mov_b32_e32 v4, 0x80
	s_mov_b32 s22, exec_lo
	s_delay_alu instid0(VALU_DEP_2)
	v_cmpx_gt_u32_e32 0x43800000, v1
	s_cbranch_execz .LBB70_1431
; %bb.1426:
	s_mov_b32 s23, 0
	s_mov_b32 s24, exec_lo
                                        ; implicit-def: $vgpr0
	v_cmpx_lt_u32_e32 0x3bffffff, v1
	s_xor_b32 s24, exec_lo, s24
	s_cbranch_execz .LBB70_1529
; %bb.1427:
	v_bfe_u32 v0, v1, 20, 1
	s_mov_b32 s23, exec_lo
	s_delay_alu instid0(VALU_DEP_1) | instskip(NEXT) | instid1(VALU_DEP_1)
	v_add3_u32 v0, v1, v0, 0x487ffff
                                        ; implicit-def: $vgpr1
	v_lshrrev_b32_e32 v0, 20, v0
	s_and_not1_saveexec_b32 s24, s24
	s_cbranch_execnz .LBB70_1530
.LBB70_1428:
	s_or_b32 exec_lo, exec_lo, s24
	v_mov_b32_e32 v4, 0
	s_and_saveexec_b32 s24, s23
.LBB70_1429:
	v_mov_b32_e32 v4, v0
.LBB70_1430:
	s_or_b32 exec_lo, exec_lo, s24
.LBB70_1431:
	s_delay_alu instid0(SALU_CYCLE_1)
	s_or_b32 exec_lo, exec_lo, s22
	global_store_b8 v[2:3], v4, off
.LBB70_1432:
	s_mov_b32 s22, 0
.LBB70_1433:
	s_delay_alu instid0(SALU_CYCLE_1)
	s_and_b32 vcc_lo, exec_lo, s22
	s_mov_b32 s22, 0
	s_cbranch_vccz .LBB70_1473
; %bb.1434:
	s_cmp_gt_i32 s16, 22
	s_mov_b32 s23, -1
	s_cbranch_scc0 .LBB70_1466
; %bb.1435:
	s_cmp_lt_i32 s16, 24
	s_cbranch_scc1 .LBB70_1455
; %bb.1436:
	s_cmp_gt_i32 s16, 24
	s_cbranch_scc0 .LBB70_1444
; %bb.1437:
	s_wait_xcnt 0x0
	v_cndmask_b32_e64 v1, 0, 1.0, s19
	v_mov_b32_e32 v4, 0x80
	s_mov_b32 s23, exec_lo
	s_delay_alu instid0(VALU_DEP_2)
	v_cmpx_gt_u32_e32 0x47800000, v1
	s_cbranch_execz .LBB70_1443
; %bb.1438:
	s_mov_b32 s24, 0
	s_mov_b32 s25, exec_lo
                                        ; implicit-def: $vgpr0
	v_cmpx_lt_u32_e32 0x37ffffff, v1
	s_xor_b32 s25, exec_lo, s25
	s_cbranch_execz .LBB70_1650
; %bb.1439:
	v_bfe_u32 v0, v1, 21, 1
	s_mov_b32 s24, exec_lo
	s_delay_alu instid0(VALU_DEP_1) | instskip(NEXT) | instid1(VALU_DEP_1)
	v_add3_u32 v0, v1, v0, 0x88fffff
                                        ; implicit-def: $vgpr1
	v_lshrrev_b32_e32 v0, 21, v0
	s_and_not1_saveexec_b32 s25, s25
	s_cbranch_execnz .LBB70_1651
.LBB70_1440:
	s_or_b32 exec_lo, exec_lo, s25
	v_mov_b32_e32 v4, 0
	s_and_saveexec_b32 s25, s24
.LBB70_1441:
	v_mov_b32_e32 v4, v0
.LBB70_1442:
	s_or_b32 exec_lo, exec_lo, s25
.LBB70_1443:
	s_delay_alu instid0(SALU_CYCLE_1)
	s_or_b32 exec_lo, exec_lo, s23
	s_mov_b32 s23, 0
	global_store_b8 v[2:3], v4, off
.LBB70_1444:
	s_and_b32 vcc_lo, exec_lo, s23
	s_cbranch_vccz .LBB70_1454
; %bb.1445:
	s_wait_xcnt 0x0
	v_cndmask_b32_e64 v1, 0, 1.0, s19
	s_mov_b32 s23, exec_lo
                                        ; implicit-def: $vgpr0
	s_delay_alu instid0(VALU_DEP_1)
	v_cmpx_gt_u32_e32 0x43f00000, v1
	s_xor_b32 s23, exec_lo, s23
	s_cbranch_execz .LBB70_1451
; %bb.1446:
	s_mov_b32 s24, exec_lo
                                        ; implicit-def: $vgpr0
	v_cmpx_lt_u32_e32 0x3c7fffff, v1
	s_xor_b32 s24, exec_lo, s24
; %bb.1447:
	v_bfe_u32 v0, v1, 20, 1
	s_delay_alu instid0(VALU_DEP_1) | instskip(NEXT) | instid1(VALU_DEP_1)
	v_add3_u32 v0, v1, v0, 0x407ffff
	v_and_b32_e32 v1, 0xff00000, v0
	v_lshrrev_b32_e32 v0, 20, v0
	s_delay_alu instid0(VALU_DEP_2) | instskip(NEXT) | instid1(VALU_DEP_2)
	v_cmp_ne_u32_e32 vcc_lo, 0x7f00000, v1
                                        ; implicit-def: $vgpr1
	v_cndmask_b32_e32 v0, 0x7e, v0, vcc_lo
; %bb.1448:
	s_and_not1_saveexec_b32 s24, s24
; %bb.1449:
	v_add_f32_e32 v0, 0x46800000, v1
; %bb.1450:
	s_or_b32 exec_lo, exec_lo, s24
                                        ; implicit-def: $vgpr1
.LBB70_1451:
	s_and_not1_saveexec_b32 s23, s23
; %bb.1452:
	v_mov_b32_e32 v0, 0x7f
	v_cmp_lt_u32_e32 vcc_lo, 0x7f800000, v1
	s_delay_alu instid0(VALU_DEP_2)
	v_cndmask_b32_e32 v0, 0x7e, v0, vcc_lo
; %bb.1453:
	s_or_b32 exec_lo, exec_lo, s23
	global_store_b8 v[2:3], v0, off
.LBB70_1454:
	s_mov_b32 s23, 0
.LBB70_1455:
	s_delay_alu instid0(SALU_CYCLE_1)
	s_and_not1_b32 vcc_lo, exec_lo, s23
	s_cbranch_vccnz .LBB70_1465
; %bb.1456:
	s_wait_xcnt 0x0
	v_cndmask_b32_e64 v1, 0, 1.0, s19
	s_mov_b32 s23, exec_lo
                                        ; implicit-def: $vgpr0
	s_delay_alu instid0(VALU_DEP_1)
	v_cmpx_gt_u32_e32 0x47800000, v1
	s_xor_b32 s23, exec_lo, s23
	s_cbranch_execz .LBB70_1462
; %bb.1457:
	s_mov_b32 s24, exec_lo
                                        ; implicit-def: $vgpr0
	v_cmpx_lt_u32_e32 0x387fffff, v1
	s_xor_b32 s24, exec_lo, s24
; %bb.1458:
	v_bfe_u32 v0, v1, 21, 1
	s_delay_alu instid0(VALU_DEP_1) | instskip(NEXT) | instid1(VALU_DEP_1)
	v_add3_u32 v0, v1, v0, 0x80fffff
                                        ; implicit-def: $vgpr1
	v_lshrrev_b32_e32 v0, 21, v0
; %bb.1459:
	s_and_not1_saveexec_b32 s24, s24
; %bb.1460:
	v_add_f32_e32 v0, 0x43000000, v1
; %bb.1461:
	s_or_b32 exec_lo, exec_lo, s24
                                        ; implicit-def: $vgpr1
.LBB70_1462:
	s_and_not1_saveexec_b32 s23, s23
; %bb.1463:
	v_mov_b32_e32 v0, 0x7f
	v_cmp_lt_u32_e32 vcc_lo, 0x7f800000, v1
	s_delay_alu instid0(VALU_DEP_2)
	v_cndmask_b32_e32 v0, 0x7c, v0, vcc_lo
; %bb.1464:
	s_or_b32 exec_lo, exec_lo, s23
	global_store_b8 v[2:3], v0, off
.LBB70_1465:
	s_mov_b32 s23, 0
.LBB70_1466:
	s_delay_alu instid0(SALU_CYCLE_1)
	s_and_not1_b32 vcc_lo, exec_lo, s23
	s_mov_b32 s23, 0
	s_cbranch_vccnz .LBB70_1474
; %bb.1467:
	s_cmp_gt_i32 s16, 14
	s_mov_b32 s23, -1
	s_cbranch_scc0 .LBB70_1471
; %bb.1468:
	s_cmp_eq_u32 s16, 15
	s_mov_b32 s0, -1
	s_cbranch_scc0 .LBB70_1470
; %bb.1469:
	s_wait_xcnt 0x0
	v_cndmask_b32_e64 v0, 0, 1.0, s19
	s_mov_b32 s0, 0
	s_delay_alu instid0(VALU_DEP_1) | instskip(NEXT) | instid1(VALU_DEP_1)
	v_bfe_u32 v1, v0, 16, 1
	v_add3_u32 v0, v0, v1, 0x7fff
	global_store_d16_hi_b16 v[2:3], v0, off
.LBB70_1470:
	s_mov_b32 s23, 0
.LBB70_1471:
	s_delay_alu instid0(SALU_CYCLE_1)
	s_and_b32 vcc_lo, exec_lo, s23
	s_mov_b32 s23, 0
	s_cbranch_vccz .LBB70_1474
; %bb.1472:
	s_cmp_lg_u32 s16, 11
	s_mov_b32 s23, -1
	s_cselect_b32 s16, -1, 0
	s_and_not1_b32 s0, s0, exec_lo
	s_and_b32 s16, s16, exec_lo
	s_delay_alu instid0(SALU_CYCLE_1)
	s_or_b32 s0, s0, s16
	s_branch .LBB70_1474
.LBB70_1473:
	s_mov_b32 s23, 0
.LBB70_1474:
	s_and_not1_b32 s16, s18, exec_lo
	s_and_b32 s18, s0, exec_lo
	s_and_b32 s22, s22, exec_lo
	;; [unrolled: 1-line block ×3, first 2 shown]
	s_or_b32 s18, s16, s18
	s_wait_xcnt 0x0
	s_or_b32 exec_lo, exec_lo, s21
	s_and_saveexec_b32 s16, s18
	s_cbranch_execz .LBB70_1403
.LBB70_1475:
	s_or_b32 s17, s17, exec_lo
	s_and_not1_b32 s0, s0, exec_lo
	s_trap 2
	s_or_b32 exec_lo, exec_lo, s16
	s_and_saveexec_b32 s16, s0
	s_delay_alu instid0(SALU_CYCLE_1)
	s_xor_b32 s0, exec_lo, s16
	s_cbranch_execnz .LBB70_1404
.LBB70_1476:
	s_or_b32 exec_lo, exec_lo, s0
	s_and_saveexec_b32 s0, s22
	s_delay_alu instid0(SALU_CYCLE_1)
	s_xor_b32 s0, exec_lo, s0
	s_cbranch_execz .LBB70_1514
.LBB70_1477:
	s_sext_i32_i16 s18, s20
	s_mov_b32 s16, -1
	s_cmp_lt_i32 s18, 5
	s_cbranch_scc1 .LBB70_1498
; %bb.1478:
	s_cmp_lt_i32 s18, 8
	s_cbranch_scc1 .LBB70_1488
; %bb.1479:
	;; [unrolled: 3-line block ×3, first 2 shown]
	s_cmp_gt_i32 s18, 9
	s_cbranch_scc0 .LBB70_1482
; %bb.1481:
	s_wait_loadcnt 0x0
	v_cndmask_b32_e64 v0, 0, 1, s19
	v_mov_b32_e32 v6, 0
	s_mov_b32 s16, 0
	s_delay_alu instid0(VALU_DEP_2) | instskip(NEXT) | instid1(VALU_DEP_2)
	v_cvt_f64_u32_e32 v[4:5], v0
	v_mov_b32_e32 v7, v6
	global_store_b128 v[2:3], v[4:7], off
.LBB70_1482:
	s_and_not1_b32 vcc_lo, exec_lo, s16
	s_cbranch_vccnz .LBB70_1484
; %bb.1483:
	s_wait_loadcnt 0x0
	v_cndmask_b32_e64 v0, 0, 1.0, s19
	v_mov_b32_e32 v1, 0
	global_store_b64 v[2:3], v[0:1], off
.LBB70_1484:
	s_mov_b32 s16, 0
.LBB70_1485:
	s_delay_alu instid0(SALU_CYCLE_1)
	s_and_not1_b32 vcc_lo, exec_lo, s16
	s_cbranch_vccnz .LBB70_1487
; %bb.1486:
	s_wait_loadcnt 0x0
	v_cndmask_b32_e64 v0, 0, 1.0, s19
	s_delay_alu instid0(VALU_DEP_1) | instskip(NEXT) | instid1(VALU_DEP_1)
	v_cvt_f16_f32_e32 v0, v0
	v_and_b32_e32 v0, 0xffff, v0
	global_store_b32 v[2:3], v0, off
.LBB70_1487:
	s_mov_b32 s16, 0
.LBB70_1488:
	s_delay_alu instid0(SALU_CYCLE_1)
	s_and_not1_b32 vcc_lo, exec_lo, s16
	s_cbranch_vccnz .LBB70_1497
; %bb.1489:
	s_sext_i32_i16 s18, s20
	s_mov_b32 s16, -1
	s_cmp_lt_i32 s18, 6
	s_cbranch_scc1 .LBB70_1495
; %bb.1490:
	s_cmp_gt_i32 s18, 6
	s_cbranch_scc0 .LBB70_1492
; %bb.1491:
	s_wait_loadcnt 0x0
	v_cndmask_b32_e64 v0, 0, 1, s19
	s_mov_b32 s16, 0
	s_delay_alu instid0(VALU_DEP_1)
	v_cvt_f64_u32_e32 v[0:1], v0
	global_store_b64 v[2:3], v[0:1], off
.LBB70_1492:
	s_and_not1_b32 vcc_lo, exec_lo, s16
	s_cbranch_vccnz .LBB70_1494
; %bb.1493:
	s_wait_loadcnt 0x0
	v_cndmask_b32_e64 v0, 0, 1.0, s19
	global_store_b32 v[2:3], v0, off
.LBB70_1494:
	s_mov_b32 s16, 0
.LBB70_1495:
	s_delay_alu instid0(SALU_CYCLE_1)
	s_and_not1_b32 vcc_lo, exec_lo, s16
	s_cbranch_vccnz .LBB70_1497
; %bb.1496:
	s_wait_loadcnt 0x0
	v_cndmask_b32_e64 v0, 0, 1.0, s19
	s_delay_alu instid0(VALU_DEP_1)
	v_cvt_f16_f32_e32 v0, v0
	global_store_b16 v[2:3], v0, off
.LBB70_1497:
	s_mov_b32 s16, 0
.LBB70_1498:
	s_delay_alu instid0(SALU_CYCLE_1)
	s_and_not1_b32 vcc_lo, exec_lo, s16
	s_cbranch_vccnz .LBB70_1514
; %bb.1499:
	s_sext_i32_i16 s18, s20
	s_mov_b32 s16, -1
	s_cmp_lt_i32 s18, 2
	s_cbranch_scc1 .LBB70_1509
; %bb.1500:
	s_cmp_lt_i32 s18, 3
	s_cbranch_scc1 .LBB70_1506
; %bb.1501:
	s_cmp_gt_i32 s18, 3
	s_cbranch_scc0 .LBB70_1503
; %bb.1502:
	s_mov_b32 s16, 0
	s_wait_loadcnt 0x0
	v_cndmask_b32_e64 v0, 0, 1, s19
	v_mov_b32_e32 v1, s16
	global_store_b64 v[2:3], v[0:1], off
.LBB70_1503:
	s_and_not1_b32 vcc_lo, exec_lo, s16
	s_cbranch_vccnz .LBB70_1505
; %bb.1504:
	s_wait_loadcnt 0x0
	v_cndmask_b32_e64 v0, 0, 1, s19
	global_store_b32 v[2:3], v0, off
.LBB70_1505:
	s_mov_b32 s16, 0
.LBB70_1506:
	s_delay_alu instid0(SALU_CYCLE_1)
	s_and_not1_b32 vcc_lo, exec_lo, s16
	s_cbranch_vccnz .LBB70_1508
; %bb.1507:
	s_wait_loadcnt 0x0
	v_cndmask_b32_e64 v0, 0, 1, s19
	global_store_b16 v[2:3], v0, off
.LBB70_1508:
	s_mov_b32 s16, 0
.LBB70_1509:
	s_delay_alu instid0(SALU_CYCLE_1)
	s_and_not1_b32 vcc_lo, exec_lo, s16
	s_cbranch_vccnz .LBB70_1514
; %bb.1510:
	s_wait_loadcnt 0x0
	v_cndmask_b32_e64 v0, 0, 1, s19
	s_sext_i32_i16 s16, s20
	s_delay_alu instid0(SALU_CYCLE_1)
	s_cmp_gt_i32 s16, 0
	s_mov_b32 s16, -1
	s_cbranch_scc0 .LBB70_1512
; %bb.1511:
	s_mov_b32 s16, 0
	global_store_b8 v[2:3], v0, off
.LBB70_1512:
	s_and_not1_b32 vcc_lo, exec_lo, s16
	s_cbranch_vccnz .LBB70_1514
; %bb.1513:
	global_store_b8 v[2:3], v0, off
.LBB70_1514:
	s_wait_xcnt 0x0
	s_or_b32 exec_lo, exec_lo, s0
	s_delay_alu instid0(SALU_CYCLE_1)
	s_and_b32 s16, s17, exec_lo
                                        ; implicit-def: $vgpr18
.LBB70_1515:
	s_or_saveexec_b32 s15, s15
	s_mov_b32 s0, 0
                                        ; implicit-def: $sgpr18
                                        ; implicit-def: $sgpr17
                                        ; implicit-def: $vgpr0_vgpr1
	s_xor_b32 exec_lo, exec_lo, s15
	s_cbranch_execz .LBB70_2959
; %bb.1516:
	v_mul_lo_u32 v2, s9, v18
	s_and_b32 s0, s14, 0xff
	s_delay_alu instid0(SALU_CYCLE_1) | instskip(NEXT) | instid1(VALU_DEP_1)
	s_cmp_lt_i32 s0, 11
	v_ashrrev_i32_e32 v3, 31, v2
	s_wait_loadcnt 0x0
	s_delay_alu instid0(VALU_DEP_1)
	v_add_nc_u64_e32 v[4:5], s[6:7], v[2:3]
	s_cbranch_scc1 .LBB70_1523
; %bb.1517:
	s_and_b32 s13, 0xffff, s0
	s_mov_b32 s17, 0
	s_cmp_gt_i32 s13, 25
	s_cbranch_scc0 .LBB70_1525
; %bb.1518:
	s_cmp_gt_i32 s13, 28
	s_cbranch_scc0 .LBB70_1526
; %bb.1519:
	s_cmp_gt_i32 s13, 43
	s_cbranch_scc0 .LBB70_1527
; %bb.1520:
	s_cmp_gt_i32 s13, 45
	s_cbranch_scc0 .LBB70_1528
; %bb.1521:
	s_cmp_eq_u32 s13, 46
	s_mov_b32 s19, 0
	s_cbranch_scc0 .LBB70_1531
; %bb.1522:
	global_load_b32 v0, v[4:5], off
	s_mov_b32 s14, 0
	s_mov_b32 s18, -1
	s_wait_loadcnt 0x0
	v_lshlrev_b32_e32 v0, 16, v0
	s_delay_alu instid0(VALU_DEP_1)
	v_cvt_i32_f32_e32 v0, v0
	s_branch .LBB70_1533
.LBB70_1523:
	s_mov_b32 s18, 0
	s_mov_b32 s13, s16
                                        ; implicit-def: $vgpr0
	s_cbranch_execnz .LBB70_1591
.LBB70_1524:
	s_and_not1_b32 vcc_lo, exec_lo, s18
	s_cbranch_vccz .LBB70_1636
	s_branch .LBB70_2957
.LBB70_1525:
	s_mov_b32 s18, 0
	s_mov_b32 s14, 0
                                        ; implicit-def: $vgpr0
	s_cbranch_execnz .LBB70_1558
	s_branch .LBB70_1587
.LBB70_1526:
	s_mov_b32 s18, 0
	s_mov_b32 s14, 0
                                        ; implicit-def: $vgpr0
	s_cbranch_execz .LBB70_1557
	s_branch .LBB70_1542
.LBB70_1527:
	s_mov_b32 s18, 0
	s_mov_b32 s14, 0
                                        ; implicit-def: $vgpr0
	s_cbranch_execnz .LBB70_1538
	s_branch .LBB70_1541
.LBB70_1528:
	s_mov_b32 s19, -1
	s_mov_b32 s18, 0
	s_mov_b32 s14, 0
	s_branch .LBB70_1532
.LBB70_1529:
	s_and_not1_saveexec_b32 s24, s24
	s_cbranch_execz .LBB70_1428
.LBB70_1530:
	v_add_f32_e32 v0, 0x46000000, v1
	s_and_not1_b32 s23, s23, exec_lo
	s_delay_alu instid0(VALU_DEP_1) | instskip(NEXT) | instid1(VALU_DEP_1)
	v_and_b32_e32 v0, 0xff, v0
	v_cmp_ne_u32_e32 vcc_lo, 0, v0
	s_and_b32 s25, vcc_lo, exec_lo
	s_delay_alu instid0(SALU_CYCLE_1)
	s_or_b32 s23, s23, s25
	s_or_b32 exec_lo, exec_lo, s24
	v_mov_b32_e32 v4, 0
	s_and_saveexec_b32 s24, s23
	s_cbranch_execnz .LBB70_1429
	s_branch .LBB70_1430
.LBB70_1531:
	s_mov_b32 s14, -1
	s_mov_b32 s18, 0
.LBB70_1532:
                                        ; implicit-def: $vgpr0
.LBB70_1533:
	s_and_b32 vcc_lo, exec_lo, s19
	s_cbranch_vccz .LBB70_1536
; %bb.1534:
	s_cmp_eq_u32 s13, 44
	s_cbranch_scc0 .LBB70_1537
; %bb.1535:
	global_load_u8 v0, v[4:5], off
	s_mov_b32 s14, 0
	s_mov_b32 s18, -1
	s_wait_loadcnt 0x0
	v_lshlrev_b32_e32 v1, 23, v0
	v_cmp_ne_u32_e32 vcc_lo, 0, v0
	s_delay_alu instid0(VALU_DEP_2) | instskip(NEXT) | instid1(VALU_DEP_1)
	v_cvt_i32_f32_e32 v1, v1
	v_cndmask_b32_e32 v0, 0, v1, vcc_lo
.LBB70_1536:
	s_branch .LBB70_1541
.LBB70_1537:
	s_mov_b32 s14, -1
                                        ; implicit-def: $vgpr0
	s_branch .LBB70_1541
.LBB70_1538:
	s_cmp_eq_u32 s13, 29
	s_cbranch_scc0 .LBB70_1540
; %bb.1539:
	global_load_b64 v[0:1], v[4:5], off
	s_mov_b32 s14, 0
	s_mov_b32 s18, -1
	s_branch .LBB70_1541
.LBB70_1540:
	s_mov_b32 s14, -1
                                        ; implicit-def: $vgpr0
.LBB70_1541:
	s_branch .LBB70_1557
.LBB70_1542:
	s_cmp_lt_i32 s13, 27
	s_cbranch_scc1 .LBB70_1545
; %bb.1543:
	s_cmp_gt_i32 s13, 27
	s_cbranch_scc0 .LBB70_1546
; %bb.1544:
	s_wait_loadcnt 0x0
	global_load_b32 v0, v[4:5], off
	s_mov_b32 s18, 0
	s_branch .LBB70_1547
.LBB70_1545:
	s_mov_b32 s18, -1
                                        ; implicit-def: $vgpr0
	s_branch .LBB70_1550
.LBB70_1546:
	s_mov_b32 s18, -1
                                        ; implicit-def: $vgpr0
.LBB70_1547:
	s_delay_alu instid0(SALU_CYCLE_1)
	s_and_not1_b32 vcc_lo, exec_lo, s18
	s_cbranch_vccnz .LBB70_1549
; %bb.1548:
	s_wait_loadcnt 0x0
	global_load_u16 v0, v[4:5], off
.LBB70_1549:
	s_mov_b32 s18, 0
.LBB70_1550:
	s_delay_alu instid0(SALU_CYCLE_1)
	s_and_not1_b32 vcc_lo, exec_lo, s18
	s_cbranch_vccnz .LBB70_1556
; %bb.1551:
	s_wait_loadcnt 0x0
	global_load_u8 v1, v[4:5], off
	s_mov_b32 s19, 0
	s_mov_b32 s18, exec_lo
	s_wait_loadcnt 0x0
	v_cmpx_lt_i16_e32 0x7f, v1
	s_xor_b32 s18, exec_lo, s18
	s_cbranch_execz .LBB70_1567
; %bb.1552:
	v_cmp_ne_u16_e32 vcc_lo, 0x80, v1
	s_and_b32 s19, vcc_lo, exec_lo
	s_and_not1_saveexec_b32 s18, s18
	s_cbranch_execnz .LBB70_1568
.LBB70_1553:
	s_or_b32 exec_lo, exec_lo, s18
	v_mov_b32_e32 v0, 0
	s_and_saveexec_b32 s18, s19
	s_cbranch_execz .LBB70_1555
.LBB70_1554:
	v_and_b32_e32 v0, 0xffff, v1
	s_delay_alu instid0(VALU_DEP_1) | instskip(SKIP_1) | instid1(VALU_DEP_2)
	v_and_b32_e32 v3, 7, v0
	v_bfe_u32 v8, v0, 3, 4
	v_clz_i32_u32_e32 v6, v3
	s_delay_alu instid0(VALU_DEP_2) | instskip(NEXT) | instid1(VALU_DEP_2)
	v_cmp_eq_u32_e32 vcc_lo, 0, v8
	v_min_u32_e32 v6, 32, v6
	s_delay_alu instid0(VALU_DEP_1) | instskip(NEXT) | instid1(VALU_DEP_1)
	v_subrev_nc_u32_e32 v7, 28, v6
	v_dual_lshlrev_b32 v0, v7, v0 :: v_dual_sub_nc_u32 v6, 29, v6
	s_delay_alu instid0(VALU_DEP_1) | instskip(NEXT) | instid1(VALU_DEP_1)
	v_dual_lshlrev_b32 v1, 24, v1 :: v_dual_bitop2_b32 v0, 7, v0 bitop3:0x40
	v_dual_cndmask_b32 v6, v8, v6, vcc_lo :: v_dual_cndmask_b32 v0, v3, v0, vcc_lo
	s_delay_alu instid0(VALU_DEP_2) | instskip(NEXT) | instid1(VALU_DEP_2)
	v_and_b32_e32 v1, 0x80000000, v1
	v_lshl_add_u32 v3, v6, 23, 0x3b800000
	s_delay_alu instid0(VALU_DEP_3) | instskip(NEXT) | instid1(VALU_DEP_1)
	v_lshlrev_b32_e32 v0, 20, v0
	v_or3_b32 v0, v1, v3, v0
	s_delay_alu instid0(VALU_DEP_1)
	v_cvt_i32_f32_e32 v0, v0
.LBB70_1555:
	s_or_b32 exec_lo, exec_lo, s18
.LBB70_1556:
	s_mov_b32 s18, -1
.LBB70_1557:
	s_branch .LBB70_1587
.LBB70_1558:
	s_cmp_gt_i32 s13, 22
	s_cbranch_scc0 .LBB70_1566
; %bb.1559:
	s_cmp_lt_i32 s13, 24
	s_cbranch_scc1 .LBB70_1569
; %bb.1560:
	s_cmp_gt_i32 s13, 24
	s_cbranch_scc0 .LBB70_1570
; %bb.1561:
	s_wait_loadcnt 0x0
	global_load_u8 v1, v[4:5], off
	s_mov_b32 s18, 0
	s_mov_b32 s17, exec_lo
	s_wait_loadcnt 0x0
	v_cmpx_lt_i16_e32 0x7f, v1
	s_xor_b32 s17, exec_lo, s17
	s_cbranch_execz .LBB70_1581
; %bb.1562:
	v_cmp_ne_u16_e32 vcc_lo, 0x80, v1
	s_and_b32 s18, vcc_lo, exec_lo
	s_and_not1_saveexec_b32 s17, s17
	s_cbranch_execnz .LBB70_1582
.LBB70_1563:
	s_or_b32 exec_lo, exec_lo, s17
	v_mov_b32_e32 v0, 0
	s_and_saveexec_b32 s17, s18
	s_cbranch_execz .LBB70_1565
.LBB70_1564:
	v_and_b32_e32 v0, 0xffff, v1
	s_delay_alu instid0(VALU_DEP_1) | instskip(SKIP_1) | instid1(VALU_DEP_2)
	v_and_b32_e32 v3, 3, v0
	v_bfe_u32 v8, v0, 2, 5
	v_clz_i32_u32_e32 v6, v3
	s_delay_alu instid0(VALU_DEP_2) | instskip(NEXT) | instid1(VALU_DEP_2)
	v_cmp_eq_u32_e32 vcc_lo, 0, v8
	v_min_u32_e32 v6, 32, v6
	s_delay_alu instid0(VALU_DEP_1) | instskip(NEXT) | instid1(VALU_DEP_1)
	v_subrev_nc_u32_e32 v7, 29, v6
	v_dual_lshlrev_b32 v0, v7, v0 :: v_dual_sub_nc_u32 v6, 30, v6
	s_delay_alu instid0(VALU_DEP_1) | instskip(NEXT) | instid1(VALU_DEP_1)
	v_dual_lshlrev_b32 v1, 24, v1 :: v_dual_bitop2_b32 v0, 3, v0 bitop3:0x40
	v_dual_cndmask_b32 v6, v8, v6, vcc_lo :: v_dual_cndmask_b32 v0, v3, v0, vcc_lo
	s_delay_alu instid0(VALU_DEP_2) | instskip(NEXT) | instid1(VALU_DEP_2)
	v_and_b32_e32 v1, 0x80000000, v1
	v_lshl_add_u32 v3, v6, 23, 0x37800000
	s_delay_alu instid0(VALU_DEP_3) | instskip(NEXT) | instid1(VALU_DEP_1)
	v_lshlrev_b32_e32 v0, 21, v0
	v_or3_b32 v0, v1, v3, v0
	s_delay_alu instid0(VALU_DEP_1)
	v_cvt_i32_f32_e32 v0, v0
.LBB70_1565:
	s_or_b32 exec_lo, exec_lo, s17
	s_mov_b32 s17, 0
	s_branch .LBB70_1571
.LBB70_1566:
                                        ; implicit-def: $vgpr0
	s_mov_b32 s17, 0
	s_branch .LBB70_1577
.LBB70_1567:
	s_and_not1_saveexec_b32 s18, s18
	s_cbranch_execz .LBB70_1553
.LBB70_1568:
	v_cmp_ne_u16_e32 vcc_lo, 0, v1
	s_and_not1_b32 s19, s19, exec_lo
	s_and_b32 s20, vcc_lo, exec_lo
	s_delay_alu instid0(SALU_CYCLE_1)
	s_or_b32 s19, s19, s20
	s_or_b32 exec_lo, exec_lo, s18
	v_mov_b32_e32 v0, 0
	s_and_saveexec_b32 s18, s19
	s_cbranch_execnz .LBB70_1554
	s_branch .LBB70_1555
.LBB70_1569:
	s_mov_b32 s17, -1
                                        ; implicit-def: $vgpr0
	s_branch .LBB70_1574
.LBB70_1570:
	s_mov_b32 s17, -1
                                        ; implicit-def: $vgpr0
.LBB70_1571:
	s_delay_alu instid0(SALU_CYCLE_1)
	s_and_b32 vcc_lo, exec_lo, s17
	s_cbranch_vccz .LBB70_1573
; %bb.1572:
	s_wait_loadcnt 0x0
	global_load_u8 v0, v[4:5], off
	s_wait_loadcnt 0x0
	v_lshlrev_b32_e32 v0, 24, v0
	s_delay_alu instid0(VALU_DEP_1) | instskip(NEXT) | instid1(VALU_DEP_1)
	v_and_b32_e32 v1, 0x7f000000, v0
	v_clz_i32_u32_e32 v3, v1
	v_add_nc_u32_e32 v7, 0x1000000, v1
	v_cmp_ne_u32_e32 vcc_lo, 0, v1
	s_delay_alu instid0(VALU_DEP_3) | instskip(NEXT) | instid1(VALU_DEP_1)
	v_min_u32_e32 v3, 32, v3
	v_sub_nc_u32_e64 v3, v3, 4 clamp
	s_delay_alu instid0(VALU_DEP_1) | instskip(NEXT) | instid1(VALU_DEP_1)
	v_dual_lshlrev_b32 v6, v3, v1 :: v_dual_lshlrev_b32 v3, 23, v3
	v_lshrrev_b32_e32 v6, 4, v6
	s_delay_alu instid0(VALU_DEP_1) | instskip(SKIP_1) | instid1(VALU_DEP_2)
	v_sub_nc_u32_e32 v3, v6, v3
	v_ashrrev_i32_e32 v6, 8, v7
	v_add_nc_u32_e32 v3, 0x3c000000, v3
	s_delay_alu instid0(VALU_DEP_1) | instskip(NEXT) | instid1(VALU_DEP_1)
	v_and_or_b32 v3, 0x7f800000, v6, v3
	v_cndmask_b32_e32 v1, 0, v3, vcc_lo
	s_delay_alu instid0(VALU_DEP_1) | instskip(NEXT) | instid1(VALU_DEP_1)
	v_and_or_b32 v0, 0x80000000, v0, v1
	v_cvt_i32_f32_e32 v0, v0
.LBB70_1573:
	s_mov_b32 s17, 0
.LBB70_1574:
	s_delay_alu instid0(SALU_CYCLE_1)
	s_and_not1_b32 vcc_lo, exec_lo, s17
	s_cbranch_vccnz .LBB70_1576
; %bb.1575:
	s_wait_loadcnt 0x0
	global_load_u8 v0, v[4:5], off
	s_wait_loadcnt 0x0
	v_lshlrev_b32_e32 v1, 25, v0
	v_lshlrev_b16 v0, 8, v0
	s_delay_alu instid0(VALU_DEP_1) | instskip(SKIP_1) | instid1(VALU_DEP_2)
	v_and_or_b32 v6, 0x7f00, v0, 0.5
	v_bfe_i32 v0, v0, 0, 16
	v_dual_add_f32 v6, -0.5, v6 :: v_dual_lshrrev_b32 v3, 4, v1
	v_cmp_gt_u32_e32 vcc_lo, 0x8000000, v1
	s_delay_alu instid0(VALU_DEP_2) | instskip(NEXT) | instid1(VALU_DEP_1)
	v_or_b32_e32 v3, 0x70000000, v3
	v_mul_f32_e32 v3, 0x7800000, v3
	s_delay_alu instid0(VALU_DEP_1) | instskip(NEXT) | instid1(VALU_DEP_1)
	v_cndmask_b32_e32 v1, v3, v6, vcc_lo
	v_and_or_b32 v0, 0x80000000, v0, v1
	s_delay_alu instid0(VALU_DEP_1)
	v_cvt_i32_f32_e32 v0, v0
.LBB70_1576:
	s_mov_b32 s18, -1
	s_mov_b32 s17, 0
	s_cbranch_execnz .LBB70_1587
.LBB70_1577:
	s_cmp_gt_i32 s13, 14
	s_cbranch_scc0 .LBB70_1580
; %bb.1578:
	s_cmp_eq_u32 s13, 15
	s_cbranch_scc0 .LBB70_1583
; %bb.1579:
	s_wait_loadcnt 0x0
	global_load_u16 v0, v[4:5], off
	s_mov_b32 s14, 0
	s_mov_b32 s18, -1
	s_wait_loadcnt 0x0
	v_lshlrev_b32_e32 v0, 16, v0
	s_delay_alu instid0(VALU_DEP_1)
	v_cvt_i32_f32_e32 v0, v0
	s_branch .LBB70_1585
.LBB70_1580:
	s_mov_b32 s17, -1
	s_branch .LBB70_1584
.LBB70_1581:
	s_and_not1_saveexec_b32 s17, s17
	s_cbranch_execz .LBB70_1563
.LBB70_1582:
	v_cmp_ne_u16_e32 vcc_lo, 0, v1
	s_and_not1_b32 s18, s18, exec_lo
	s_and_b32 s19, vcc_lo, exec_lo
	s_delay_alu instid0(SALU_CYCLE_1)
	s_or_b32 s18, s18, s19
	s_or_b32 exec_lo, exec_lo, s17
	v_mov_b32_e32 v0, 0
	s_and_saveexec_b32 s17, s18
	s_cbranch_execnz .LBB70_1564
	s_branch .LBB70_1565
.LBB70_1583:
	s_mov_b32 s14, -1
.LBB70_1584:
                                        ; implicit-def: $vgpr0
.LBB70_1585:
	s_and_b32 vcc_lo, exec_lo, s17
	s_mov_b32 s17, 0
	s_cbranch_vccz .LBB70_1587
; %bb.1586:
	s_cmp_lg_u32 s13, 11
	s_mov_b32 s17, -1
	s_cselect_b32 s14, -1, 0
.LBB70_1587:
	s_delay_alu instid0(SALU_CYCLE_1)
	s_and_b32 vcc_lo, exec_lo, s14
	s_mov_b32 s13, s16
	s_cbranch_vccnz .LBB70_1648
; %bb.1588:
	s_and_not1_b32 vcc_lo, exec_lo, s17
	s_cbranch_vccnz .LBB70_1590
.LBB70_1589:
	s_wait_loadcnt 0x0
	global_load_u8 v0, v[4:5], off
	s_mov_b32 s18, -1
	s_wait_loadcnt 0x0
	v_cmp_ne_u16_e32 vcc_lo, 0, v0
	v_cndmask_b32_e64 v0, 0, 1, vcc_lo
.LBB70_1590:
	s_branch .LBB70_1524
.LBB70_1591:
	s_and_b32 s14, 0xffff, s0
	s_delay_alu instid0(SALU_CYCLE_1)
	s_cmp_lt_i32 s14, 5
	s_cbranch_scc1 .LBB70_1596
; %bb.1592:
	s_cmp_lt_i32 s14, 8
	s_cbranch_scc1 .LBB70_1597
; %bb.1593:
	;; [unrolled: 3-line block ×3, first 2 shown]
	s_cmp_gt_i32 s14, 9
	s_cbranch_scc0 .LBB70_1599
; %bb.1595:
	s_wait_loadcnt 0x0
	global_load_b64 v[0:1], v[4:5], off
	s_mov_b32 s17, 0
	s_wait_loadcnt 0x0
	v_cvt_i32_f64_e32 v0, v[0:1]
	s_branch .LBB70_1600
.LBB70_1596:
                                        ; implicit-def: $vgpr0
	s_branch .LBB70_1617
.LBB70_1597:
                                        ; implicit-def: $vgpr0
	s_branch .LBB70_1606
.LBB70_1598:
	s_mov_b32 s17, -1
                                        ; implicit-def: $vgpr0
	s_branch .LBB70_1603
.LBB70_1599:
	s_mov_b32 s17, -1
                                        ; implicit-def: $vgpr0
.LBB70_1600:
	s_delay_alu instid0(SALU_CYCLE_1)
	s_and_not1_b32 vcc_lo, exec_lo, s17
	s_cbranch_vccnz .LBB70_1602
; %bb.1601:
	s_wait_loadcnt 0x0
	global_load_b32 v0, v[4:5], off
	s_wait_loadcnt 0x0
	v_cvt_i32_f32_e32 v0, v0
.LBB70_1602:
	s_mov_b32 s17, 0
.LBB70_1603:
	s_delay_alu instid0(SALU_CYCLE_1)
	s_and_not1_b32 vcc_lo, exec_lo, s17
	s_cbranch_vccnz .LBB70_1605
; %bb.1604:
	s_wait_loadcnt 0x0
	global_load_b32 v0, v[4:5], off
	s_wait_loadcnt 0x0
	v_cvt_i16_f16_e32 v0, v0
.LBB70_1605:
	s_cbranch_execnz .LBB70_1616
.LBB70_1606:
	s_cmp_lt_i32 s14, 6
	s_cbranch_scc1 .LBB70_1609
; %bb.1607:
	s_cmp_gt_i32 s14, 6
	s_cbranch_scc0 .LBB70_1610
; %bb.1608:
	s_wait_loadcnt 0x0
	global_load_b64 v[0:1], v[4:5], off
	s_mov_b32 s17, 0
	s_wait_loadcnt 0x0
	v_cvt_i32_f64_e32 v0, v[0:1]
	s_branch .LBB70_1611
.LBB70_1609:
	s_mov_b32 s17, -1
                                        ; implicit-def: $vgpr0
	s_branch .LBB70_1614
.LBB70_1610:
	s_mov_b32 s17, -1
                                        ; implicit-def: $vgpr0
.LBB70_1611:
	s_delay_alu instid0(SALU_CYCLE_1)
	s_and_not1_b32 vcc_lo, exec_lo, s17
	s_cbranch_vccnz .LBB70_1613
; %bb.1612:
	s_wait_loadcnt 0x0
	global_load_b32 v0, v[4:5], off
	s_wait_loadcnt 0x0
	v_cvt_i32_f32_e32 v0, v0
.LBB70_1613:
	s_mov_b32 s17, 0
.LBB70_1614:
	s_delay_alu instid0(SALU_CYCLE_1)
	s_and_not1_b32 vcc_lo, exec_lo, s17
	s_cbranch_vccnz .LBB70_1616
; %bb.1615:
	s_wait_loadcnt 0x0
	global_load_u16 v0, v[4:5], off
	s_wait_loadcnt 0x0
	v_cvt_i16_f16_e32 v0, v0
.LBB70_1616:
	s_cbranch_execnz .LBB70_1635
.LBB70_1617:
	s_cmp_lt_i32 s14, 2
	s_cbranch_scc1 .LBB70_1621
; %bb.1618:
	s_cmp_lt_i32 s14, 3
	s_cbranch_scc1 .LBB70_1622
; %bb.1619:
	s_cmp_gt_i32 s14, 3
	s_cbranch_scc0 .LBB70_1623
; %bb.1620:
	s_wait_loadcnt 0x0
	global_load_b64 v[0:1], v[4:5], off
	s_mov_b32 s17, 0
	s_branch .LBB70_1624
.LBB70_1621:
                                        ; implicit-def: $vgpr0
	s_branch .LBB70_1630
.LBB70_1622:
	s_mov_b32 s17, -1
                                        ; implicit-def: $vgpr0
	s_branch .LBB70_1627
.LBB70_1623:
	s_mov_b32 s17, -1
                                        ; implicit-def: $vgpr0
.LBB70_1624:
	s_delay_alu instid0(SALU_CYCLE_1)
	s_and_not1_b32 vcc_lo, exec_lo, s17
	s_cbranch_vccnz .LBB70_1626
; %bb.1625:
	s_wait_loadcnt 0x0
	global_load_b32 v0, v[4:5], off
.LBB70_1626:
	s_mov_b32 s17, 0
.LBB70_1627:
	s_delay_alu instid0(SALU_CYCLE_1)
	s_and_not1_b32 vcc_lo, exec_lo, s17
	s_cbranch_vccnz .LBB70_1629
; %bb.1628:
	s_wait_loadcnt 0x0
	global_load_u16 v0, v[4:5], off
.LBB70_1629:
	s_cbranch_execnz .LBB70_1635
.LBB70_1630:
	s_cmp_gt_i32 s14, 0
	s_mov_b32 s14, 0
	s_cbranch_scc0 .LBB70_1632
; %bb.1631:
	s_wait_loadcnt 0x0
	global_load_i8 v0, v[4:5], off
	s_branch .LBB70_1633
.LBB70_1632:
	s_mov_b32 s14, -1
                                        ; implicit-def: $vgpr0
.LBB70_1633:
	s_delay_alu instid0(SALU_CYCLE_1)
	s_and_not1_b32 vcc_lo, exec_lo, s14
	s_cbranch_vccnz .LBB70_1635
; %bb.1634:
	s_wait_loadcnt 0x0
	global_load_u8 v0, v[4:5], off
.LBB70_1635:
.LBB70_1636:
	v_mul_lo_u32 v6, s10, v18
	s_and_b32 s1, s1, 0xff
	s_delay_alu instid0(SALU_CYCLE_1) | instskip(NEXT) | instid1(VALU_DEP_1)
	s_cmp_lt_i32 s1, 11
	v_ashrrev_i32_e32 v7, 31, v6
	s_delay_alu instid0(VALU_DEP_1)
	v_add_nc_u64_e32 v[8:9], s[2:3], v[6:7]
	s_cbranch_scc1 .LBB70_1643
; %bb.1637:
	s_and_b32 s14, 0xffff, s1
	s_mov_b32 s18, 0
	s_cmp_gt_i32 s14, 25
	s_cbranch_scc0 .LBB70_1645
; %bb.1638:
	s_cmp_gt_i32 s14, 28
	s_cbranch_scc0 .LBB70_1646
; %bb.1639:
	;; [unrolled: 3-line block ×4, first 2 shown]
	s_cmp_eq_u32 s14, 46
	s_mov_b32 s20, 0
	s_cbranch_scc0 .LBB70_1652
; %bb.1642:
	s_wait_loadcnt 0x0
	global_load_b32 v1, v[8:9], off
	s_mov_b32 s17, 0
	s_mov_b32 s19, -1
	s_wait_loadcnt 0x0
	v_lshlrev_b32_e32 v1, 16, v1
	s_wait_xcnt 0x1
	s_delay_alu instid0(VALU_DEP_1)
	v_cvt_i32_f32_e32 v4, v1
	s_branch .LBB70_1654
.LBB70_1643:
	s_mov_b32 s19, 0
                                        ; implicit-def: $vgpr4
	s_cbranch_execnz .LBB70_1715
.LBB70_1644:
	s_and_not1_b32 vcc_lo, exec_lo, s19
	s_cbranch_vccnz .LBB70_2957
	s_branch .LBB70_1762
.LBB70_1645:
	s_mov_b32 s19, 0
	s_mov_b32 s17, 0
                                        ; implicit-def: $vgpr4
	s_cbranch_execnz .LBB70_1681
	s_branch .LBB70_1711
.LBB70_1646:
	s_mov_b32 s20, -1
	s_mov_b32 s19, 0
	s_mov_b32 s17, 0
                                        ; implicit-def: $vgpr4
	s_branch .LBB70_1664
.LBB70_1647:
	s_mov_b32 s20, -1
	s_mov_b32 s19, 0
	s_mov_b32 s17, 0
                                        ; implicit-def: $vgpr4
	s_branch .LBB70_1659
.LBB70_1648:
	s_or_b32 s13, s16, exec_lo
	s_trap 2
	s_cbranch_execz .LBB70_1589
	s_branch .LBB70_1590
.LBB70_1649:
	s_mov_b32 s20, -1
	s_mov_b32 s19, 0
	s_mov_b32 s17, 0
	s_branch .LBB70_1653
.LBB70_1650:
	s_and_not1_saveexec_b32 s25, s25
	s_cbranch_execz .LBB70_1440
.LBB70_1651:
	v_add_f32_e32 v0, 0x42800000, v1
	s_and_not1_b32 s24, s24, exec_lo
	s_delay_alu instid0(VALU_DEP_1) | instskip(NEXT) | instid1(VALU_DEP_1)
	v_and_b32_e32 v0, 0xff, v0
	v_cmp_ne_u32_e32 vcc_lo, 0, v0
	s_and_b32 s26, vcc_lo, exec_lo
	s_delay_alu instid0(SALU_CYCLE_1)
	s_or_b32 s24, s24, s26
	s_or_b32 exec_lo, exec_lo, s25
	v_mov_b32_e32 v4, 0
	s_and_saveexec_b32 s25, s24
	s_cbranch_execnz .LBB70_1441
	s_branch .LBB70_1442
.LBB70_1652:
	s_mov_b32 s17, -1
	s_mov_b32 s19, 0
.LBB70_1653:
                                        ; implicit-def: $vgpr4
.LBB70_1654:
	s_and_b32 vcc_lo, exec_lo, s20
	s_cbranch_vccz .LBB70_1658
; %bb.1655:
	s_cmp_eq_u32 s14, 44
	s_cbranch_scc0 .LBB70_1657
; %bb.1656:
	s_wait_loadcnt 0x0
	global_load_u8 v1, v[8:9], off
	s_mov_b32 s17, 0
	s_mov_b32 s19, -1
	s_wait_loadcnt 0x0
	v_lshlrev_b32_e32 v3, 23, v1
	v_cmp_ne_u32_e32 vcc_lo, 0, v1
	s_delay_alu instid0(VALU_DEP_2) | instskip(SKIP_1) | instid1(VALU_DEP_1)
	v_cvt_i32_f32_e32 v3, v3
	s_wait_xcnt 0x1
	v_cndmask_b32_e32 v4, 0, v3, vcc_lo
	s_branch .LBB70_1658
.LBB70_1657:
	s_mov_b32 s17, -1
                                        ; implicit-def: $vgpr4
.LBB70_1658:
	s_mov_b32 s20, 0
.LBB70_1659:
	s_delay_alu instid0(SALU_CYCLE_1)
	s_and_b32 vcc_lo, exec_lo, s20
	s_cbranch_vccz .LBB70_1663
; %bb.1660:
	s_cmp_eq_u32 s14, 29
	s_cbranch_scc0 .LBB70_1662
; %bb.1661:
	global_load_b64 v[4:5], v[8:9], off
	s_mov_b32 s17, 0
	s_mov_b32 s19, -1
	s_branch .LBB70_1663
.LBB70_1662:
	s_mov_b32 s17, -1
                                        ; implicit-def: $vgpr4
.LBB70_1663:
	s_mov_b32 s20, 0
.LBB70_1664:
	s_delay_alu instid0(SALU_CYCLE_1)
	s_and_b32 vcc_lo, exec_lo, s20
	s_cbranch_vccz .LBB70_1680
; %bb.1665:
	s_cmp_lt_i32 s14, 27
	s_cbranch_scc1 .LBB70_1668
; %bb.1666:
	s_cmp_gt_i32 s14, 27
	s_cbranch_scc0 .LBB70_1669
; %bb.1667:
	s_wait_loadcnt 0x0
	global_load_b32 v4, v[8:9], off
	s_mov_b32 s19, 0
	s_branch .LBB70_1670
.LBB70_1668:
	s_mov_b32 s19, -1
                                        ; implicit-def: $vgpr4
	s_branch .LBB70_1673
.LBB70_1669:
	s_mov_b32 s19, -1
                                        ; implicit-def: $vgpr4
.LBB70_1670:
	s_delay_alu instid0(SALU_CYCLE_1)
	s_and_not1_b32 vcc_lo, exec_lo, s19
	s_cbranch_vccnz .LBB70_1672
; %bb.1671:
	s_wait_loadcnt 0x0
	global_load_u16 v4, v[8:9], off
.LBB70_1672:
	s_mov_b32 s19, 0
.LBB70_1673:
	s_delay_alu instid0(SALU_CYCLE_1)
	s_and_not1_b32 vcc_lo, exec_lo, s19
	s_cbranch_vccnz .LBB70_1679
; %bb.1674:
	s_wait_loadcnt 0x0
	global_load_u8 v1, v[8:9], off
	s_mov_b32 s20, 0
	s_mov_b32 s19, exec_lo
	s_wait_loadcnt 0x0
	v_cmpx_lt_i16_e32 0x7f, v1
	s_xor_b32 s19, exec_lo, s19
	s_cbranch_execz .LBB70_1690
; %bb.1675:
	v_cmp_ne_u16_e32 vcc_lo, 0x80, v1
	s_and_b32 s20, vcc_lo, exec_lo
	s_and_not1_saveexec_b32 s19, s19
	s_cbranch_execnz .LBB70_1691
.LBB70_1676:
	s_or_b32 exec_lo, exec_lo, s19
	v_mov_b32_e32 v4, 0
	s_and_saveexec_b32 s19, s20
	s_cbranch_execz .LBB70_1678
.LBB70_1677:
	v_and_b32_e32 v3, 0xffff, v1
	s_delay_alu instid0(VALU_DEP_1) | instskip(SKIP_1) | instid1(VALU_DEP_2)
	v_and_b32_e32 v4, 7, v3
	v_bfe_u32 v10, v3, 3, 4
	v_clz_i32_u32_e32 v5, v4
	s_delay_alu instid0(VALU_DEP_2) | instskip(NEXT) | instid1(VALU_DEP_2)
	v_cmp_eq_u32_e32 vcc_lo, 0, v10
	v_min_u32_e32 v5, 32, v5
	s_delay_alu instid0(VALU_DEP_1) | instskip(NEXT) | instid1(VALU_DEP_1)
	v_subrev_nc_u32_e32 v7, 28, v5
	v_dual_lshlrev_b32 v3, v7, v3 :: v_dual_sub_nc_u32 v5, 29, v5
	s_delay_alu instid0(VALU_DEP_1) | instskip(NEXT) | instid1(VALU_DEP_1)
	v_dual_lshlrev_b32 v1, 24, v1 :: v_dual_bitop2_b32 v3, 7, v3 bitop3:0x40
	v_dual_cndmask_b32 v3, v4, v3, vcc_lo :: v_dual_cndmask_b32 v5, v10, v5, vcc_lo
	s_delay_alu instid0(VALU_DEP_2) | instskip(NEXT) | instid1(VALU_DEP_2)
	v_and_b32_e32 v1, 0x80000000, v1
	v_lshlrev_b32_e32 v3, 20, v3
	s_delay_alu instid0(VALU_DEP_3) | instskip(NEXT) | instid1(VALU_DEP_1)
	v_lshl_add_u32 v4, v5, 23, 0x3b800000
	v_or3_b32 v1, v1, v4, v3
	s_delay_alu instid0(VALU_DEP_1)
	v_cvt_i32_f32_e32 v4, v1
.LBB70_1678:
	s_or_b32 exec_lo, exec_lo, s19
.LBB70_1679:
	s_mov_b32 s19, -1
.LBB70_1680:
	s_branch .LBB70_1711
.LBB70_1681:
	s_cmp_gt_i32 s14, 22
	s_cbranch_scc0 .LBB70_1689
; %bb.1682:
	s_cmp_lt_i32 s14, 24
	s_cbranch_scc1 .LBB70_1692
; %bb.1683:
	s_cmp_gt_i32 s14, 24
	s_cbranch_scc0 .LBB70_1693
; %bb.1684:
	s_wait_loadcnt 0x0
	global_load_u8 v1, v[8:9], off
	s_mov_b32 s19, 0
	s_mov_b32 s18, exec_lo
	s_wait_loadcnt 0x0
	v_cmpx_lt_i16_e32 0x7f, v1
	s_xor_b32 s18, exec_lo, s18
	s_cbranch_execz .LBB70_1705
; %bb.1685:
	v_cmp_ne_u16_e32 vcc_lo, 0x80, v1
	s_and_b32 s19, vcc_lo, exec_lo
	s_and_not1_saveexec_b32 s18, s18
	s_cbranch_execnz .LBB70_1706
.LBB70_1686:
	s_or_b32 exec_lo, exec_lo, s18
	v_mov_b32_e32 v4, 0
	s_and_saveexec_b32 s18, s19
	s_cbranch_execz .LBB70_1688
.LBB70_1687:
	v_and_b32_e32 v3, 0xffff, v1
	s_delay_alu instid0(VALU_DEP_1) | instskip(SKIP_1) | instid1(VALU_DEP_2)
	v_and_b32_e32 v4, 3, v3
	v_bfe_u32 v10, v3, 2, 5
	v_clz_i32_u32_e32 v5, v4
	s_delay_alu instid0(VALU_DEP_2) | instskip(NEXT) | instid1(VALU_DEP_2)
	v_cmp_eq_u32_e32 vcc_lo, 0, v10
	v_min_u32_e32 v5, 32, v5
	s_delay_alu instid0(VALU_DEP_1) | instskip(NEXT) | instid1(VALU_DEP_1)
	v_subrev_nc_u32_e32 v7, 29, v5
	v_dual_lshlrev_b32 v3, v7, v3 :: v_dual_sub_nc_u32 v5, 30, v5
	s_delay_alu instid0(VALU_DEP_1) | instskip(NEXT) | instid1(VALU_DEP_1)
	v_dual_lshlrev_b32 v1, 24, v1 :: v_dual_bitop2_b32 v3, 3, v3 bitop3:0x40
	v_dual_cndmask_b32 v3, v4, v3, vcc_lo :: v_dual_cndmask_b32 v5, v10, v5, vcc_lo
	s_delay_alu instid0(VALU_DEP_2) | instskip(NEXT) | instid1(VALU_DEP_2)
	v_and_b32_e32 v1, 0x80000000, v1
	v_lshlrev_b32_e32 v3, 21, v3
	s_delay_alu instid0(VALU_DEP_3) | instskip(NEXT) | instid1(VALU_DEP_1)
	v_lshl_add_u32 v4, v5, 23, 0x37800000
	v_or3_b32 v1, v1, v4, v3
	s_delay_alu instid0(VALU_DEP_1)
	v_cvt_i32_f32_e32 v4, v1
.LBB70_1688:
	s_or_b32 exec_lo, exec_lo, s18
	s_mov_b32 s18, 0
	s_branch .LBB70_1694
.LBB70_1689:
	s_mov_b32 s18, -1
                                        ; implicit-def: $vgpr4
	s_branch .LBB70_1700
.LBB70_1690:
	s_and_not1_saveexec_b32 s19, s19
	s_cbranch_execz .LBB70_1676
.LBB70_1691:
	v_cmp_ne_u16_e32 vcc_lo, 0, v1
	s_and_not1_b32 s20, s20, exec_lo
	s_and_b32 s21, vcc_lo, exec_lo
	s_delay_alu instid0(SALU_CYCLE_1)
	s_or_b32 s20, s20, s21
	s_or_b32 exec_lo, exec_lo, s19
	v_mov_b32_e32 v4, 0
	s_and_saveexec_b32 s19, s20
	s_cbranch_execnz .LBB70_1677
	s_branch .LBB70_1678
.LBB70_1692:
	s_mov_b32 s18, -1
                                        ; implicit-def: $vgpr4
	s_branch .LBB70_1697
.LBB70_1693:
	s_mov_b32 s18, -1
                                        ; implicit-def: $vgpr4
.LBB70_1694:
	s_delay_alu instid0(SALU_CYCLE_1)
	s_and_b32 vcc_lo, exec_lo, s18
	s_cbranch_vccz .LBB70_1696
; %bb.1695:
	s_wait_loadcnt 0x0
	global_load_u8 v1, v[8:9], off
	s_wait_loadcnt 0x0
	v_lshlrev_b32_e32 v1, 24, v1
	s_delay_alu instid0(VALU_DEP_1) | instskip(SKIP_1) | instid1(VALU_DEP_1)
	v_and_b32_e32 v3, 0x7f000000, v1
	s_wait_xcnt 0x1
	v_clz_i32_u32_e32 v4, v3
	v_add_nc_u32_e32 v7, 0x1000000, v3
	v_cmp_ne_u32_e32 vcc_lo, 0, v3
	s_delay_alu instid0(VALU_DEP_3) | instskip(NEXT) | instid1(VALU_DEP_1)
	v_min_u32_e32 v4, 32, v4
	v_sub_nc_u32_e64 v4, v4, 4 clamp
	s_delay_alu instid0(VALU_DEP_1) | instskip(NEXT) | instid1(VALU_DEP_1)
	v_dual_lshlrev_b32 v5, v4, v3 :: v_dual_lshlrev_b32 v4, 23, v4
	v_lshrrev_b32_e32 v5, 4, v5
	s_delay_alu instid0(VALU_DEP_1) | instskip(NEXT) | instid1(VALU_DEP_1)
	v_dual_sub_nc_u32 v4, v5, v4 :: v_dual_ashrrev_i32 v5, 8, v7
	v_add_nc_u32_e32 v4, 0x3c000000, v4
	s_delay_alu instid0(VALU_DEP_1) | instskip(NEXT) | instid1(VALU_DEP_1)
	v_and_or_b32 v4, 0x7f800000, v5, v4
	v_cndmask_b32_e32 v3, 0, v4, vcc_lo
	s_delay_alu instid0(VALU_DEP_1) | instskip(NEXT) | instid1(VALU_DEP_1)
	v_and_or_b32 v1, 0x80000000, v1, v3
	v_cvt_i32_f32_e32 v4, v1
.LBB70_1696:
	s_mov_b32 s18, 0
.LBB70_1697:
	s_delay_alu instid0(SALU_CYCLE_1)
	s_and_not1_b32 vcc_lo, exec_lo, s18
	s_cbranch_vccnz .LBB70_1699
; %bb.1698:
	s_wait_loadcnt 0x0
	global_load_u8 v1, v[8:9], off
	s_wait_loadcnt 0x0
	v_lshlrev_b32_e32 v3, 25, v1
	v_lshlrev_b16 v1, 8, v1
	s_wait_xcnt 0x1
	s_delay_alu instid0(VALU_DEP_1) | instskip(NEXT) | instid1(VALU_DEP_3)
	v_and_or_b32 v5, 0x7f00, v1, 0.5
	v_lshrrev_b32_e32 v4, 4, v3
	v_bfe_i32 v1, v1, 0, 16
	s_delay_alu instid0(VALU_DEP_3) | instskip(NEXT) | instid1(VALU_DEP_3)
	v_add_f32_e32 v5, -0.5, v5
	v_or_b32_e32 v4, 0x70000000, v4
	s_delay_alu instid0(VALU_DEP_1) | instskip(SKIP_1) | instid1(VALU_DEP_2)
	v_mul_f32_e32 v4, 0x7800000, v4
	v_cmp_gt_u32_e32 vcc_lo, 0x8000000, v3
	v_cndmask_b32_e32 v3, v4, v5, vcc_lo
	s_delay_alu instid0(VALU_DEP_1) | instskip(NEXT) | instid1(VALU_DEP_1)
	v_and_or_b32 v1, 0x80000000, v1, v3
	v_cvt_i32_f32_e32 v4, v1
.LBB70_1699:
	s_mov_b32 s18, 0
	s_mov_b32 s19, -1
.LBB70_1700:
	s_and_not1_b32 vcc_lo, exec_lo, s18
	s_mov_b32 s18, 0
	s_cbranch_vccnz .LBB70_1711
; %bb.1701:
	s_cmp_gt_i32 s14, 14
	s_cbranch_scc0 .LBB70_1704
; %bb.1702:
	s_cmp_eq_u32 s14, 15
	s_cbranch_scc0 .LBB70_1707
; %bb.1703:
	s_wait_loadcnt 0x0
	global_load_u16 v1, v[8:9], off
	s_mov_b32 s17, 0
	s_mov_b32 s19, -1
	s_wait_loadcnt 0x0
	v_lshlrev_b32_e32 v1, 16, v1
	s_wait_xcnt 0x1
	s_delay_alu instid0(VALU_DEP_1)
	v_cvt_i32_f32_e32 v4, v1
	s_branch .LBB70_1709
.LBB70_1704:
	s_mov_b32 s18, -1
	s_branch .LBB70_1708
.LBB70_1705:
	s_and_not1_saveexec_b32 s18, s18
	s_cbranch_execz .LBB70_1686
.LBB70_1706:
	v_cmp_ne_u16_e32 vcc_lo, 0, v1
	s_and_not1_b32 s19, s19, exec_lo
	s_and_b32 s20, vcc_lo, exec_lo
	s_delay_alu instid0(SALU_CYCLE_1)
	s_or_b32 s19, s19, s20
	s_or_b32 exec_lo, exec_lo, s18
	v_mov_b32_e32 v4, 0
	s_and_saveexec_b32 s18, s19
	s_cbranch_execnz .LBB70_1687
	s_branch .LBB70_1688
.LBB70_1707:
	s_mov_b32 s17, -1
.LBB70_1708:
                                        ; implicit-def: $vgpr4
.LBB70_1709:
	s_and_b32 vcc_lo, exec_lo, s18
	s_mov_b32 s18, 0
	s_cbranch_vccz .LBB70_1711
; %bb.1710:
	s_cmp_lg_u32 s14, 11
	s_mov_b32 s18, -1
	s_cselect_b32 s17, -1, 0
.LBB70_1711:
	s_delay_alu instid0(SALU_CYCLE_1)
	s_and_b32 vcc_lo, exec_lo, s17
	s_cbranch_vccnz .LBB70_1774
; %bb.1712:
	s_and_not1_b32 vcc_lo, exec_lo, s18
	s_cbranch_vccnz .LBB70_1714
.LBB70_1713:
	s_wait_loadcnt 0x0
	global_load_u8 v1, v[8:9], off
	s_mov_b32 s19, -1
	s_wait_loadcnt 0x0
	v_cmp_ne_u16_e32 vcc_lo, 0, v1
	s_wait_xcnt 0x1
	v_cndmask_b32_e64 v4, 0, 1, vcc_lo
.LBB70_1714:
	s_branch .LBB70_1644
.LBB70_1715:
	s_and_b32 s14, 0xffff, s1
	s_delay_alu instid0(SALU_CYCLE_1)
	s_cmp_lt_i32 s14, 5
	s_cbranch_scc1 .LBB70_1720
; %bb.1716:
	s_cmp_lt_i32 s14, 8
	s_cbranch_scc1 .LBB70_1721
; %bb.1717:
	;; [unrolled: 3-line block ×3, first 2 shown]
	s_cmp_gt_i32 s14, 9
	s_cbranch_scc0 .LBB70_1723
; %bb.1719:
	s_wait_loadcnt 0x0
	global_load_b64 v[4:5], v[8:9], off
	s_mov_b32 s17, 0
	s_wait_loadcnt 0x0
	v_cvt_i32_f64_e32 v4, v[4:5]
	s_branch .LBB70_1724
.LBB70_1720:
                                        ; implicit-def: $vgpr4
	s_branch .LBB70_1742
.LBB70_1721:
	s_mov_b32 s17, -1
                                        ; implicit-def: $vgpr4
	s_branch .LBB70_1730
.LBB70_1722:
	s_mov_b32 s17, -1
                                        ; implicit-def: $vgpr4
	s_branch .LBB70_1727
.LBB70_1723:
	s_mov_b32 s17, -1
                                        ; implicit-def: $vgpr4
.LBB70_1724:
	s_delay_alu instid0(SALU_CYCLE_1)
	s_and_not1_b32 vcc_lo, exec_lo, s17
	s_cbranch_vccnz .LBB70_1726
; %bb.1725:
	s_wait_loadcnt 0x0
	global_load_b32 v1, v[8:9], off
	s_wait_loadcnt 0x0
	s_wait_xcnt 0x1
	v_cvt_i32_f32_e32 v4, v1
.LBB70_1726:
	s_mov_b32 s17, 0
.LBB70_1727:
	s_delay_alu instid0(SALU_CYCLE_1)
	s_and_not1_b32 vcc_lo, exec_lo, s17
	s_cbranch_vccnz .LBB70_1729
; %bb.1728:
	s_wait_loadcnt 0x0
	global_load_b32 v1, v[8:9], off
	s_wait_loadcnt 0x0
	s_wait_xcnt 0x1
	v_cvt_i16_f16_e32 v4, v1
.LBB70_1729:
	s_mov_b32 s17, 0
.LBB70_1730:
	s_delay_alu instid0(SALU_CYCLE_1)
	s_and_not1_b32 vcc_lo, exec_lo, s17
	s_cbranch_vccnz .LBB70_1741
; %bb.1731:
	s_cmp_lt_i32 s14, 6
	s_cbranch_scc1 .LBB70_1734
; %bb.1732:
	s_cmp_gt_i32 s14, 6
	s_cbranch_scc0 .LBB70_1735
; %bb.1733:
	s_wait_loadcnt 0x0
	global_load_b64 v[4:5], v[8:9], off
	s_mov_b32 s17, 0
	s_wait_loadcnt 0x0
	v_cvt_i32_f64_e32 v4, v[4:5]
	s_branch .LBB70_1736
.LBB70_1734:
	s_mov_b32 s17, -1
                                        ; implicit-def: $vgpr4
	s_branch .LBB70_1739
.LBB70_1735:
	s_mov_b32 s17, -1
                                        ; implicit-def: $vgpr4
.LBB70_1736:
	s_delay_alu instid0(SALU_CYCLE_1)
	s_and_not1_b32 vcc_lo, exec_lo, s17
	s_cbranch_vccnz .LBB70_1738
; %bb.1737:
	s_wait_loadcnt 0x0
	global_load_b32 v1, v[8:9], off
	s_wait_loadcnt 0x0
	s_wait_xcnt 0x1
	v_cvt_i32_f32_e32 v4, v1
.LBB70_1738:
	s_mov_b32 s17, 0
.LBB70_1739:
	s_delay_alu instid0(SALU_CYCLE_1)
	s_and_not1_b32 vcc_lo, exec_lo, s17
	s_cbranch_vccnz .LBB70_1741
; %bb.1740:
	s_wait_loadcnt 0x0
	global_load_u16 v1, v[8:9], off
	s_wait_loadcnt 0x0
	s_wait_xcnt 0x1
	v_cvt_i16_f16_e32 v4, v1
.LBB70_1741:
	s_cbranch_execnz .LBB70_1761
.LBB70_1742:
	s_cmp_lt_i32 s14, 2
	s_cbranch_scc1 .LBB70_1746
; %bb.1743:
	s_cmp_lt_i32 s14, 3
	s_cbranch_scc1 .LBB70_1747
; %bb.1744:
	s_cmp_gt_i32 s14, 3
	s_cbranch_scc0 .LBB70_1748
; %bb.1745:
	s_wait_loadcnt 0x0
	global_load_b64 v[4:5], v[8:9], off
	s_mov_b32 s17, 0
	s_branch .LBB70_1749
.LBB70_1746:
	s_mov_b32 s17, -1
                                        ; implicit-def: $vgpr4
	s_branch .LBB70_1755
.LBB70_1747:
	s_mov_b32 s17, -1
                                        ; implicit-def: $vgpr4
	s_branch .LBB70_1752
.LBB70_1748:
	s_mov_b32 s17, -1
                                        ; implicit-def: $vgpr4
.LBB70_1749:
	s_delay_alu instid0(SALU_CYCLE_1)
	s_and_not1_b32 vcc_lo, exec_lo, s17
	s_cbranch_vccnz .LBB70_1751
; %bb.1750:
	s_wait_loadcnt 0x0
	global_load_b32 v4, v[8:9], off
.LBB70_1751:
	s_mov_b32 s17, 0
.LBB70_1752:
	s_delay_alu instid0(SALU_CYCLE_1)
	s_and_not1_b32 vcc_lo, exec_lo, s17
	s_cbranch_vccnz .LBB70_1754
; %bb.1753:
	s_wait_loadcnt 0x0
	global_load_u16 v4, v[8:9], off
.LBB70_1754:
	s_mov_b32 s17, 0
.LBB70_1755:
	s_delay_alu instid0(SALU_CYCLE_1)
	s_and_not1_b32 vcc_lo, exec_lo, s17
	s_cbranch_vccnz .LBB70_1761
; %bb.1756:
	s_cmp_gt_i32 s14, 0
	s_mov_b32 s14, 0
	s_cbranch_scc0 .LBB70_1758
; %bb.1757:
	s_wait_loadcnt 0x0
	global_load_i8 v4, v[8:9], off
	s_branch .LBB70_1759
.LBB70_1758:
	s_mov_b32 s14, -1
                                        ; implicit-def: $vgpr4
.LBB70_1759:
	s_delay_alu instid0(SALU_CYCLE_1)
	s_and_not1_b32 vcc_lo, exec_lo, s14
	s_cbranch_vccnz .LBB70_1761
; %bb.1760:
	s_wait_loadcnt 0x0
	global_load_u8 v4, v[8:9], off
.LBB70_1761:
.LBB70_1762:
	s_lshl_b32 s9, s9, 7
	s_cmp_lt_i32 s0, 11
	v_add_nc_u32_e32 v10, s9, v2
	s_delay_alu instid0(VALU_DEP_1) | instskip(SKIP_1) | instid1(VALU_DEP_1)
	v_ashrrev_i32_e32 v11, 31, v10
	s_wait_xcnt 0x0
	v_add_nc_u64_e32 v[8:9], s[6:7], v[10:11]
	s_cbranch_scc1 .LBB70_1769
; %bb.1763:
	s_and_b32 s14, 0xffff, s0
	s_mov_b32 s18, 0
	s_cmp_gt_i32 s14, 25
	s_cbranch_scc0 .LBB70_1771
; %bb.1764:
	s_cmp_gt_i32 s14, 28
	s_cbranch_scc0 .LBB70_1772
; %bb.1765:
	;; [unrolled: 3-line block ×4, first 2 shown]
	s_cmp_eq_u32 s14, 46
	s_mov_b32 s20, 0
	s_cbranch_scc0 .LBB70_1776
; %bb.1768:
	s_wait_loadcnt 0x0
	global_load_b32 v1, v[8:9], off
	s_mov_b32 s17, 0
	s_mov_b32 s19, -1
	s_wait_loadcnt 0x0
	v_lshlrev_b32_e32 v1, 16, v1
	s_delay_alu instid0(VALU_DEP_1)
	v_cvt_i32_f32_e32 v2, v1
	s_branch .LBB70_1778
.LBB70_1769:
	s_mov_b32 s19, 0
                                        ; implicit-def: $vgpr2
	s_cbranch_execnz .LBB70_1840
.LBB70_1770:
	s_and_not1_b32 vcc_lo, exec_lo, s19
	s_cbranch_vccnz .LBB70_2957
	s_branch .LBB70_1888
.LBB70_1771:
	s_mov_b32 s20, -1
	s_mov_b32 s19, 0
	s_mov_b32 s17, 0
                                        ; implicit-def: $vgpr2
	s_branch .LBB70_1805
.LBB70_1772:
	s_mov_b32 s20, -1
	s_mov_b32 s19, 0
	s_mov_b32 s17, 0
                                        ; implicit-def: $vgpr2
	s_branch .LBB70_1788
.LBB70_1773:
	s_mov_b32 s20, -1
	s_mov_b32 s19, 0
	s_mov_b32 s17, 0
                                        ; implicit-def: $vgpr2
	s_branch .LBB70_1783
.LBB70_1774:
	s_or_b32 s13, s13, exec_lo
	s_trap 2
	s_cbranch_execz .LBB70_1713
	s_branch .LBB70_1714
.LBB70_1775:
	s_mov_b32 s20, -1
	s_mov_b32 s19, 0
	s_mov_b32 s17, 0
	s_branch .LBB70_1777
.LBB70_1776:
	s_mov_b32 s17, -1
	s_mov_b32 s19, 0
.LBB70_1777:
                                        ; implicit-def: $vgpr2
.LBB70_1778:
	s_and_b32 vcc_lo, exec_lo, s20
	s_cbranch_vccz .LBB70_1782
; %bb.1779:
	s_cmp_eq_u32 s14, 44
	s_cbranch_scc0 .LBB70_1781
; %bb.1780:
	s_wait_loadcnt 0x0
	global_load_u8 v1, v[8:9], off
	s_mov_b32 s17, 0
	s_mov_b32 s19, -1
	s_wait_loadcnt 0x0
	v_lshlrev_b32_e32 v2, 23, v1
	v_cmp_ne_u32_e32 vcc_lo, 0, v1
	s_delay_alu instid0(VALU_DEP_2) | instskip(NEXT) | instid1(VALU_DEP_1)
	v_cvt_i32_f32_e32 v2, v2
	v_cndmask_b32_e32 v2, 0, v2, vcc_lo
	s_branch .LBB70_1782
.LBB70_1781:
	s_mov_b32 s17, -1
                                        ; implicit-def: $vgpr2
.LBB70_1782:
	s_mov_b32 s20, 0
.LBB70_1783:
	s_delay_alu instid0(SALU_CYCLE_1)
	s_and_b32 vcc_lo, exec_lo, s20
	s_cbranch_vccz .LBB70_1787
; %bb.1784:
	s_cmp_eq_u32 s14, 29
	s_cbranch_scc0 .LBB70_1786
; %bb.1785:
	global_load_b64 v[2:3], v[8:9], off
	s_mov_b32 s17, 0
	s_mov_b32 s19, -1
	s_branch .LBB70_1787
.LBB70_1786:
	s_mov_b32 s17, -1
                                        ; implicit-def: $vgpr2
.LBB70_1787:
	s_mov_b32 s20, 0
.LBB70_1788:
	s_delay_alu instid0(SALU_CYCLE_1)
	s_and_b32 vcc_lo, exec_lo, s20
	s_cbranch_vccz .LBB70_1804
; %bb.1789:
	s_cmp_lt_i32 s14, 27
	s_cbranch_scc1 .LBB70_1792
; %bb.1790:
	s_cmp_gt_i32 s14, 27
	s_cbranch_scc0 .LBB70_1793
; %bb.1791:
	s_wait_loadcnt 0x0
	global_load_b32 v2, v[8:9], off
	s_mov_b32 s19, 0
	s_branch .LBB70_1794
.LBB70_1792:
	s_mov_b32 s19, -1
                                        ; implicit-def: $vgpr2
	s_branch .LBB70_1797
.LBB70_1793:
	s_mov_b32 s19, -1
                                        ; implicit-def: $vgpr2
.LBB70_1794:
	s_delay_alu instid0(SALU_CYCLE_1)
	s_and_not1_b32 vcc_lo, exec_lo, s19
	s_cbranch_vccnz .LBB70_1796
; %bb.1795:
	s_wait_loadcnt 0x0
	global_load_u16 v2, v[8:9], off
.LBB70_1796:
	s_mov_b32 s19, 0
.LBB70_1797:
	s_delay_alu instid0(SALU_CYCLE_1)
	s_and_not1_b32 vcc_lo, exec_lo, s19
	s_cbranch_vccnz .LBB70_1803
; %bb.1798:
	s_wait_loadcnt 0x0
	global_load_u8 v1, v[8:9], off
	s_mov_b32 s20, 0
	s_mov_b32 s19, exec_lo
	s_wait_loadcnt 0x0
	v_cmpx_lt_i16_e32 0x7f, v1
	s_xor_b32 s19, exec_lo, s19
	s_cbranch_execz .LBB70_1815
; %bb.1799:
	v_cmp_ne_u16_e32 vcc_lo, 0x80, v1
	s_and_b32 s20, vcc_lo, exec_lo
	s_and_not1_saveexec_b32 s19, s19
	s_cbranch_execnz .LBB70_1816
.LBB70_1800:
	s_or_b32 exec_lo, exec_lo, s19
	v_mov_b32_e32 v2, 0
	s_and_saveexec_b32 s19, s20
	s_cbranch_execz .LBB70_1802
.LBB70_1801:
	v_and_b32_e32 v2, 0xffff, v1
	s_delay_alu instid0(VALU_DEP_1) | instskip(SKIP_1) | instid1(VALU_DEP_2)
	v_and_b32_e32 v3, 7, v2
	v_bfe_u32 v11, v2, 3, 4
	v_clz_i32_u32_e32 v5, v3
	s_delay_alu instid0(VALU_DEP_2) | instskip(NEXT) | instid1(VALU_DEP_2)
	v_cmp_eq_u32_e32 vcc_lo, 0, v11
	v_min_u32_e32 v5, 32, v5
	s_delay_alu instid0(VALU_DEP_1) | instskip(NEXT) | instid1(VALU_DEP_1)
	v_subrev_nc_u32_e32 v7, 28, v5
	v_dual_lshlrev_b32 v2, v7, v2 :: v_dual_sub_nc_u32 v5, 29, v5
	s_delay_alu instid0(VALU_DEP_1) | instskip(NEXT) | instid1(VALU_DEP_1)
	v_dual_lshlrev_b32 v1, 24, v1 :: v_dual_bitop2_b32 v2, 7, v2 bitop3:0x40
	v_cndmask_b32_e32 v2, v3, v2, vcc_lo
	s_delay_alu instid0(VALU_DEP_3) | instskip(NEXT) | instid1(VALU_DEP_3)
	v_cndmask_b32_e32 v5, v11, v5, vcc_lo
	v_and_b32_e32 v1, 0x80000000, v1
	s_delay_alu instid0(VALU_DEP_3) | instskip(NEXT) | instid1(VALU_DEP_3)
	v_lshlrev_b32_e32 v2, 20, v2
	v_lshl_add_u32 v3, v5, 23, 0x3b800000
	s_delay_alu instid0(VALU_DEP_1) | instskip(NEXT) | instid1(VALU_DEP_1)
	v_or3_b32 v1, v1, v3, v2
	v_cvt_i32_f32_e32 v2, v1
.LBB70_1802:
	s_or_b32 exec_lo, exec_lo, s19
.LBB70_1803:
	s_mov_b32 s19, -1
.LBB70_1804:
	s_mov_b32 s20, 0
.LBB70_1805:
	s_delay_alu instid0(SALU_CYCLE_1)
	s_and_b32 vcc_lo, exec_lo, s20
	s_cbranch_vccz .LBB70_1836
; %bb.1806:
	s_cmp_gt_i32 s14, 22
	s_cbranch_scc0 .LBB70_1814
; %bb.1807:
	s_cmp_lt_i32 s14, 24
	s_cbranch_scc1 .LBB70_1817
; %bb.1808:
	s_cmp_gt_i32 s14, 24
	s_cbranch_scc0 .LBB70_1818
; %bb.1809:
	s_wait_loadcnt 0x0
	global_load_u8 v1, v[8:9], off
	s_mov_b32 s19, 0
	s_mov_b32 s18, exec_lo
	s_wait_loadcnt 0x0
	v_cmpx_lt_i16_e32 0x7f, v1
	s_xor_b32 s18, exec_lo, s18
	s_cbranch_execz .LBB70_1830
; %bb.1810:
	v_cmp_ne_u16_e32 vcc_lo, 0x80, v1
	s_and_b32 s19, vcc_lo, exec_lo
	s_and_not1_saveexec_b32 s18, s18
	s_cbranch_execnz .LBB70_1831
.LBB70_1811:
	s_or_b32 exec_lo, exec_lo, s18
	v_mov_b32_e32 v2, 0
	s_and_saveexec_b32 s18, s19
	s_cbranch_execz .LBB70_1813
.LBB70_1812:
	v_and_b32_e32 v2, 0xffff, v1
	s_delay_alu instid0(VALU_DEP_1) | instskip(SKIP_1) | instid1(VALU_DEP_2)
	v_and_b32_e32 v3, 3, v2
	v_bfe_u32 v11, v2, 2, 5
	v_clz_i32_u32_e32 v5, v3
	s_delay_alu instid0(VALU_DEP_2) | instskip(NEXT) | instid1(VALU_DEP_2)
	v_cmp_eq_u32_e32 vcc_lo, 0, v11
	v_min_u32_e32 v5, 32, v5
	s_delay_alu instid0(VALU_DEP_1) | instskip(NEXT) | instid1(VALU_DEP_1)
	v_subrev_nc_u32_e32 v7, 29, v5
	v_dual_lshlrev_b32 v2, v7, v2 :: v_dual_sub_nc_u32 v5, 30, v5
	s_delay_alu instid0(VALU_DEP_1) | instskip(NEXT) | instid1(VALU_DEP_1)
	v_dual_lshlrev_b32 v1, 24, v1 :: v_dual_bitop2_b32 v2, 3, v2 bitop3:0x40
	v_cndmask_b32_e32 v2, v3, v2, vcc_lo
	s_delay_alu instid0(VALU_DEP_3) | instskip(NEXT) | instid1(VALU_DEP_3)
	v_cndmask_b32_e32 v5, v11, v5, vcc_lo
	v_and_b32_e32 v1, 0x80000000, v1
	s_delay_alu instid0(VALU_DEP_3) | instskip(NEXT) | instid1(VALU_DEP_3)
	v_lshlrev_b32_e32 v2, 21, v2
	v_lshl_add_u32 v3, v5, 23, 0x37800000
	s_delay_alu instid0(VALU_DEP_1) | instskip(NEXT) | instid1(VALU_DEP_1)
	v_or3_b32 v1, v1, v3, v2
	v_cvt_i32_f32_e32 v2, v1
.LBB70_1813:
	s_or_b32 exec_lo, exec_lo, s18
	s_mov_b32 s18, 0
	s_branch .LBB70_1819
.LBB70_1814:
	s_mov_b32 s18, -1
                                        ; implicit-def: $vgpr2
	s_branch .LBB70_1825
.LBB70_1815:
	s_and_not1_saveexec_b32 s19, s19
	s_cbranch_execz .LBB70_1800
.LBB70_1816:
	v_cmp_ne_u16_e32 vcc_lo, 0, v1
	s_and_not1_b32 s20, s20, exec_lo
	s_and_b32 s21, vcc_lo, exec_lo
	s_delay_alu instid0(SALU_CYCLE_1)
	s_or_b32 s20, s20, s21
	s_or_b32 exec_lo, exec_lo, s19
	v_mov_b32_e32 v2, 0
	s_and_saveexec_b32 s19, s20
	s_cbranch_execnz .LBB70_1801
	s_branch .LBB70_1802
.LBB70_1817:
	s_mov_b32 s18, -1
                                        ; implicit-def: $vgpr2
	s_branch .LBB70_1822
.LBB70_1818:
	s_mov_b32 s18, -1
                                        ; implicit-def: $vgpr2
.LBB70_1819:
	s_delay_alu instid0(SALU_CYCLE_1)
	s_and_b32 vcc_lo, exec_lo, s18
	s_cbranch_vccz .LBB70_1821
; %bb.1820:
	s_wait_loadcnt 0x0
	global_load_u8 v1, v[8:9], off
	s_wait_loadcnt 0x0
	v_lshlrev_b32_e32 v1, 24, v1
	s_delay_alu instid0(VALU_DEP_1) | instskip(NEXT) | instid1(VALU_DEP_1)
	v_and_b32_e32 v2, 0x7f000000, v1
	v_clz_i32_u32_e32 v3, v2
	v_cmp_ne_u32_e32 vcc_lo, 0, v2
	v_add_nc_u32_e32 v7, 0x1000000, v2
	s_delay_alu instid0(VALU_DEP_3) | instskip(NEXT) | instid1(VALU_DEP_1)
	v_min_u32_e32 v3, 32, v3
	v_sub_nc_u32_e64 v3, v3, 4 clamp
	s_delay_alu instid0(VALU_DEP_1) | instskip(NEXT) | instid1(VALU_DEP_1)
	v_dual_lshlrev_b32 v5, v3, v2 :: v_dual_lshlrev_b32 v3, 23, v3
	v_lshrrev_b32_e32 v5, 4, v5
	s_delay_alu instid0(VALU_DEP_1) | instskip(SKIP_1) | instid1(VALU_DEP_2)
	v_sub_nc_u32_e32 v3, v5, v3
	v_ashrrev_i32_e32 v5, 8, v7
	v_add_nc_u32_e32 v3, 0x3c000000, v3
	s_delay_alu instid0(VALU_DEP_1) | instskip(NEXT) | instid1(VALU_DEP_1)
	v_and_or_b32 v3, 0x7f800000, v5, v3
	v_cndmask_b32_e32 v2, 0, v3, vcc_lo
	s_delay_alu instid0(VALU_DEP_1) | instskip(NEXT) | instid1(VALU_DEP_1)
	v_and_or_b32 v1, 0x80000000, v1, v2
	v_cvt_i32_f32_e32 v2, v1
.LBB70_1821:
	s_mov_b32 s18, 0
.LBB70_1822:
	s_delay_alu instid0(SALU_CYCLE_1)
	s_and_not1_b32 vcc_lo, exec_lo, s18
	s_cbranch_vccnz .LBB70_1824
; %bb.1823:
	s_wait_loadcnt 0x0
	global_load_u8 v1, v[8:9], off
	s_wait_loadcnt 0x0
	v_lshlrev_b32_e32 v2, 25, v1
	v_lshlrev_b16 v1, 8, v1
	s_delay_alu instid0(VALU_DEP_1) | instskip(NEXT) | instid1(VALU_DEP_3)
	v_and_or_b32 v5, 0x7f00, v1, 0.5
	v_lshrrev_b32_e32 v3, 4, v2
	v_bfe_i32 v1, v1, 0, 16
	s_delay_alu instid0(VALU_DEP_3) | instskip(NEXT) | instid1(VALU_DEP_3)
	v_add_f32_e32 v5, -0.5, v5
	v_or_b32_e32 v3, 0x70000000, v3
	s_delay_alu instid0(VALU_DEP_1) | instskip(SKIP_1) | instid1(VALU_DEP_2)
	v_mul_f32_e32 v3, 0x7800000, v3
	v_cmp_gt_u32_e32 vcc_lo, 0x8000000, v2
	v_cndmask_b32_e32 v2, v3, v5, vcc_lo
	s_delay_alu instid0(VALU_DEP_1) | instskip(NEXT) | instid1(VALU_DEP_1)
	v_and_or_b32 v1, 0x80000000, v1, v2
	v_cvt_i32_f32_e32 v2, v1
.LBB70_1824:
	s_mov_b32 s18, 0
	s_mov_b32 s19, -1
.LBB70_1825:
	s_and_not1_b32 vcc_lo, exec_lo, s18
	s_mov_b32 s18, 0
	s_cbranch_vccnz .LBB70_1836
; %bb.1826:
	s_cmp_gt_i32 s14, 14
	s_cbranch_scc0 .LBB70_1829
; %bb.1827:
	s_cmp_eq_u32 s14, 15
	s_cbranch_scc0 .LBB70_1832
; %bb.1828:
	s_wait_loadcnt 0x0
	global_load_u16 v1, v[8:9], off
	s_mov_b32 s17, 0
	s_mov_b32 s19, -1
	s_wait_loadcnt 0x0
	v_lshlrev_b32_e32 v1, 16, v1
	s_delay_alu instid0(VALU_DEP_1)
	v_cvt_i32_f32_e32 v2, v1
	s_branch .LBB70_1834
.LBB70_1829:
	s_mov_b32 s18, -1
	s_branch .LBB70_1833
.LBB70_1830:
	s_and_not1_saveexec_b32 s18, s18
	s_cbranch_execz .LBB70_1811
.LBB70_1831:
	v_cmp_ne_u16_e32 vcc_lo, 0, v1
	s_and_not1_b32 s19, s19, exec_lo
	s_and_b32 s20, vcc_lo, exec_lo
	s_delay_alu instid0(SALU_CYCLE_1)
	s_or_b32 s19, s19, s20
	s_or_b32 exec_lo, exec_lo, s18
	v_mov_b32_e32 v2, 0
	s_and_saveexec_b32 s18, s19
	s_cbranch_execnz .LBB70_1812
	s_branch .LBB70_1813
.LBB70_1832:
	s_mov_b32 s17, -1
.LBB70_1833:
                                        ; implicit-def: $vgpr2
.LBB70_1834:
	s_and_b32 vcc_lo, exec_lo, s18
	s_mov_b32 s18, 0
	s_cbranch_vccz .LBB70_1836
; %bb.1835:
	s_cmp_lg_u32 s14, 11
	s_mov_b32 s18, -1
	s_cselect_b32 s17, -1, 0
.LBB70_1836:
	s_delay_alu instid0(SALU_CYCLE_1)
	s_and_b32 vcc_lo, exec_lo, s17
	s_cbranch_vccnz .LBB70_1899
; %bb.1837:
	s_and_not1_b32 vcc_lo, exec_lo, s18
	s_cbranch_vccnz .LBB70_1839
.LBB70_1838:
	s_wait_loadcnt 0x0
	global_load_u8 v1, v[8:9], off
	s_mov_b32 s19, -1
	s_wait_loadcnt 0x0
	v_cmp_ne_u16_e32 vcc_lo, 0, v1
	v_cndmask_b32_e64 v2, 0, 1, vcc_lo
.LBB70_1839:
	s_branch .LBB70_1770
.LBB70_1840:
	s_and_b32 s14, 0xffff, s0
	s_delay_alu instid0(SALU_CYCLE_1)
	s_cmp_lt_i32 s14, 5
	s_cbranch_scc1 .LBB70_1845
; %bb.1841:
	s_cmp_lt_i32 s14, 8
	s_cbranch_scc1 .LBB70_1846
; %bb.1842:
	;; [unrolled: 3-line block ×3, first 2 shown]
	s_cmp_gt_i32 s14, 9
	s_cbranch_scc0 .LBB70_1848
; %bb.1844:
	s_wait_loadcnt 0x0
	global_load_b64 v[2:3], v[8:9], off
	s_mov_b32 s17, 0
	s_wait_loadcnt 0x0
	v_cvt_i32_f64_e32 v2, v[2:3]
	s_branch .LBB70_1849
.LBB70_1845:
	s_mov_b32 s17, -1
                                        ; implicit-def: $vgpr2
	s_branch .LBB70_1867
.LBB70_1846:
	s_mov_b32 s17, -1
                                        ; implicit-def: $vgpr2
	s_branch .LBB70_1855
.LBB70_1847:
	s_mov_b32 s17, -1
                                        ; implicit-def: $vgpr2
	s_branch .LBB70_1852
.LBB70_1848:
	s_mov_b32 s17, -1
                                        ; implicit-def: $vgpr2
.LBB70_1849:
	s_delay_alu instid0(SALU_CYCLE_1)
	s_and_not1_b32 vcc_lo, exec_lo, s17
	s_cbranch_vccnz .LBB70_1851
; %bb.1850:
	s_wait_loadcnt 0x0
	global_load_b32 v1, v[8:9], off
	s_wait_loadcnt 0x0
	v_cvt_i32_f32_e32 v2, v1
.LBB70_1851:
	s_mov_b32 s17, 0
.LBB70_1852:
	s_delay_alu instid0(SALU_CYCLE_1)
	s_and_not1_b32 vcc_lo, exec_lo, s17
	s_cbranch_vccnz .LBB70_1854
; %bb.1853:
	s_wait_loadcnt 0x0
	global_load_b32 v1, v[8:9], off
	s_wait_loadcnt 0x0
	v_cvt_i16_f16_e32 v2, v1
.LBB70_1854:
	s_mov_b32 s17, 0
.LBB70_1855:
	s_delay_alu instid0(SALU_CYCLE_1)
	s_and_not1_b32 vcc_lo, exec_lo, s17
	s_cbranch_vccnz .LBB70_1866
; %bb.1856:
	s_cmp_lt_i32 s14, 6
	s_cbranch_scc1 .LBB70_1859
; %bb.1857:
	s_cmp_gt_i32 s14, 6
	s_cbranch_scc0 .LBB70_1860
; %bb.1858:
	s_wait_loadcnt 0x0
	global_load_b64 v[2:3], v[8:9], off
	s_mov_b32 s17, 0
	s_wait_loadcnt 0x0
	v_cvt_i32_f64_e32 v2, v[2:3]
	s_branch .LBB70_1861
.LBB70_1859:
	s_mov_b32 s17, -1
                                        ; implicit-def: $vgpr2
	s_branch .LBB70_1864
.LBB70_1860:
	s_mov_b32 s17, -1
                                        ; implicit-def: $vgpr2
.LBB70_1861:
	s_delay_alu instid0(SALU_CYCLE_1)
	s_and_not1_b32 vcc_lo, exec_lo, s17
	s_cbranch_vccnz .LBB70_1863
; %bb.1862:
	s_wait_loadcnt 0x0
	global_load_b32 v1, v[8:9], off
	s_wait_loadcnt 0x0
	v_cvt_i32_f32_e32 v2, v1
.LBB70_1863:
	s_mov_b32 s17, 0
.LBB70_1864:
	s_delay_alu instid0(SALU_CYCLE_1)
	s_and_not1_b32 vcc_lo, exec_lo, s17
	s_cbranch_vccnz .LBB70_1866
; %bb.1865:
	s_wait_loadcnt 0x0
	global_load_u16 v1, v[8:9], off
	s_wait_loadcnt 0x0
	v_cvt_i16_f16_e32 v2, v1
.LBB70_1866:
	s_mov_b32 s17, 0
.LBB70_1867:
	s_delay_alu instid0(SALU_CYCLE_1)
	s_and_not1_b32 vcc_lo, exec_lo, s17
	s_cbranch_vccnz .LBB70_1887
; %bb.1868:
	s_cmp_lt_i32 s14, 2
	s_cbranch_scc1 .LBB70_1872
; %bb.1869:
	s_cmp_lt_i32 s14, 3
	s_cbranch_scc1 .LBB70_1873
; %bb.1870:
	s_cmp_gt_i32 s14, 3
	s_cbranch_scc0 .LBB70_1874
; %bb.1871:
	s_wait_loadcnt 0x0
	global_load_b64 v[2:3], v[8:9], off
	s_mov_b32 s17, 0
	s_branch .LBB70_1875
.LBB70_1872:
	s_mov_b32 s17, -1
                                        ; implicit-def: $vgpr2
	s_branch .LBB70_1881
.LBB70_1873:
	s_mov_b32 s17, -1
                                        ; implicit-def: $vgpr2
	s_branch .LBB70_1878
.LBB70_1874:
	s_mov_b32 s17, -1
                                        ; implicit-def: $vgpr2
.LBB70_1875:
	s_delay_alu instid0(SALU_CYCLE_1)
	s_and_not1_b32 vcc_lo, exec_lo, s17
	s_cbranch_vccnz .LBB70_1877
; %bb.1876:
	s_wait_loadcnt 0x0
	global_load_b32 v2, v[8:9], off
.LBB70_1877:
	s_mov_b32 s17, 0
.LBB70_1878:
	s_delay_alu instid0(SALU_CYCLE_1)
	s_and_not1_b32 vcc_lo, exec_lo, s17
	s_cbranch_vccnz .LBB70_1880
; %bb.1879:
	s_wait_loadcnt 0x0
	global_load_u16 v2, v[8:9], off
.LBB70_1880:
	s_mov_b32 s17, 0
.LBB70_1881:
	s_delay_alu instid0(SALU_CYCLE_1)
	s_and_not1_b32 vcc_lo, exec_lo, s17
	s_cbranch_vccnz .LBB70_1887
; %bb.1882:
	s_cmp_gt_i32 s14, 0
	s_mov_b32 s14, 0
	s_cbranch_scc0 .LBB70_1884
; %bb.1883:
	s_wait_loadcnt 0x0
	global_load_i8 v2, v[8:9], off
	s_branch .LBB70_1885
.LBB70_1884:
	s_mov_b32 s14, -1
                                        ; implicit-def: $vgpr2
.LBB70_1885:
	s_delay_alu instid0(SALU_CYCLE_1)
	s_and_not1_b32 vcc_lo, exec_lo, s14
	s_cbranch_vccnz .LBB70_1887
; %bb.1886:
	s_wait_loadcnt 0x0
	global_load_u8 v2, v[8:9], off
.LBB70_1887:
.LBB70_1888:
	s_lshl_b32 s10, s10, 7
	s_cmp_lt_i32 s1, 11
	v_add_nc_u32_e32 v12, s10, v6
	s_delay_alu instid0(VALU_DEP_1) | instskip(NEXT) | instid1(VALU_DEP_1)
	v_ashrrev_i32_e32 v13, 31, v12
	v_add_nc_u64_e32 v[6:7], s[2:3], v[12:13]
	s_cbranch_scc1 .LBB70_1895
; %bb.1889:
	s_and_b32 s14, 0xffff, s1
	s_mov_b32 s18, 0
	s_cmp_gt_i32 s14, 25
	s_cbranch_scc0 .LBB70_1896
; %bb.1890:
	s_cmp_gt_i32 s14, 28
	s_cbranch_scc0 .LBB70_1897
; %bb.1891:
	;; [unrolled: 3-line block ×4, first 2 shown]
	s_cmp_eq_u32 s14, 46
	s_mov_b32 s20, 0
	s_cbranch_scc0 .LBB70_1901
; %bb.1894:
	s_wait_loadcnt 0x0
	global_load_b32 v1, v[6:7], off
	s_mov_b32 s17, 0
	s_mov_b32 s19, -1
	s_wait_loadcnt 0x0
	v_lshlrev_b32_e32 v1, 16, v1
	s_wait_xcnt 0x1
	s_delay_alu instid0(VALU_DEP_1)
	v_cvt_i32_f32_e32 v8, v1
	s_branch .LBB70_1903
.LBB70_1895:
	s_mov_b32 s14, -1
	s_mov_b32 s19, 0
                                        ; implicit-def: $vgpr8
	s_branch .LBB70_1965
.LBB70_1896:
	s_mov_b32 s20, -1
	s_mov_b32 s19, 0
	s_mov_b32 s17, 0
                                        ; implicit-def: $vgpr8
	s_branch .LBB70_1930
.LBB70_1897:
	s_mov_b32 s20, -1
	s_mov_b32 s19, 0
	s_mov_b32 s17, 0
                                        ; implicit-def: $vgpr8
	s_branch .LBB70_1913
.LBB70_1898:
	s_mov_b32 s20, -1
	s_mov_b32 s19, 0
	s_mov_b32 s17, 0
                                        ; implicit-def: $vgpr8
	s_branch .LBB70_1908
.LBB70_1899:
	s_or_b32 s13, s13, exec_lo
	s_trap 2
	s_cbranch_execz .LBB70_1838
	s_branch .LBB70_1839
.LBB70_1900:
	s_mov_b32 s20, -1
	s_mov_b32 s19, 0
	s_mov_b32 s17, 0
	s_branch .LBB70_1902
.LBB70_1901:
	s_mov_b32 s17, -1
	s_mov_b32 s19, 0
.LBB70_1902:
                                        ; implicit-def: $vgpr8
.LBB70_1903:
	s_and_b32 vcc_lo, exec_lo, s20
	s_cbranch_vccz .LBB70_1907
; %bb.1904:
	s_cmp_eq_u32 s14, 44
	s_cbranch_scc0 .LBB70_1906
; %bb.1905:
	s_wait_loadcnt 0x0
	global_load_u8 v1, v[6:7], off
	s_mov_b32 s17, 0
	s_mov_b32 s19, -1
	s_wait_loadcnt 0x0
	v_lshlrev_b32_e32 v3, 23, v1
	v_cmp_ne_u32_e32 vcc_lo, 0, v1
	s_delay_alu instid0(VALU_DEP_2) | instskip(SKIP_1) | instid1(VALU_DEP_1)
	v_cvt_i32_f32_e32 v3, v3
	s_wait_xcnt 0x1
	v_cndmask_b32_e32 v8, 0, v3, vcc_lo
	s_branch .LBB70_1907
.LBB70_1906:
	s_mov_b32 s17, -1
                                        ; implicit-def: $vgpr8
.LBB70_1907:
	s_mov_b32 s20, 0
.LBB70_1908:
	s_delay_alu instid0(SALU_CYCLE_1)
	s_and_b32 vcc_lo, exec_lo, s20
	s_cbranch_vccz .LBB70_1912
; %bb.1909:
	s_cmp_eq_u32 s14, 29
	s_cbranch_scc0 .LBB70_1911
; %bb.1910:
	global_load_b64 v[8:9], v[6:7], off
	s_mov_b32 s17, 0
	s_mov_b32 s19, -1
	s_branch .LBB70_1912
.LBB70_1911:
	s_mov_b32 s17, -1
                                        ; implicit-def: $vgpr8
.LBB70_1912:
	s_mov_b32 s20, 0
.LBB70_1913:
	s_delay_alu instid0(SALU_CYCLE_1)
	s_and_b32 vcc_lo, exec_lo, s20
	s_cbranch_vccz .LBB70_1929
; %bb.1914:
	s_cmp_lt_i32 s14, 27
	s_cbranch_scc1 .LBB70_1917
; %bb.1915:
	s_cmp_gt_i32 s14, 27
	s_cbranch_scc0 .LBB70_1918
; %bb.1916:
	s_wait_loadcnt 0x0
	global_load_b32 v8, v[6:7], off
	s_mov_b32 s19, 0
	s_branch .LBB70_1919
.LBB70_1917:
	s_mov_b32 s19, -1
                                        ; implicit-def: $vgpr8
	s_branch .LBB70_1922
.LBB70_1918:
	s_mov_b32 s19, -1
                                        ; implicit-def: $vgpr8
.LBB70_1919:
	s_delay_alu instid0(SALU_CYCLE_1)
	s_and_not1_b32 vcc_lo, exec_lo, s19
	s_cbranch_vccnz .LBB70_1921
; %bb.1920:
	s_wait_loadcnt 0x0
	global_load_u16 v8, v[6:7], off
.LBB70_1921:
	s_mov_b32 s19, 0
.LBB70_1922:
	s_delay_alu instid0(SALU_CYCLE_1)
	s_and_not1_b32 vcc_lo, exec_lo, s19
	s_cbranch_vccnz .LBB70_1928
; %bb.1923:
	s_wait_loadcnt 0x0
	global_load_u8 v1, v[6:7], off
	s_mov_b32 s20, 0
	s_mov_b32 s19, exec_lo
	s_wait_loadcnt 0x0
	v_cmpx_lt_i16_e32 0x7f, v1
	s_xor_b32 s19, exec_lo, s19
	s_cbranch_execz .LBB70_1940
; %bb.1924:
	v_cmp_ne_u16_e32 vcc_lo, 0x80, v1
	s_and_b32 s20, vcc_lo, exec_lo
	s_and_not1_saveexec_b32 s19, s19
	s_cbranch_execnz .LBB70_1941
.LBB70_1925:
	s_or_b32 exec_lo, exec_lo, s19
	v_mov_b32_e32 v8, 0
	s_and_saveexec_b32 s19, s20
	s_cbranch_execz .LBB70_1927
.LBB70_1926:
	v_and_b32_e32 v3, 0xffff, v1
	s_delay_alu instid0(VALU_DEP_1) | instskip(SKIP_1) | instid1(VALU_DEP_2)
	v_and_b32_e32 v5, 7, v3
	v_bfe_u32 v11, v3, 3, 4
	v_clz_i32_u32_e32 v8, v5
	s_delay_alu instid0(VALU_DEP_2) | instskip(NEXT) | instid1(VALU_DEP_2)
	v_cmp_eq_u32_e32 vcc_lo, 0, v11
	v_min_u32_e32 v8, 32, v8
	s_delay_alu instid0(VALU_DEP_1) | instskip(NEXT) | instid1(VALU_DEP_1)
	v_subrev_nc_u32_e32 v9, 28, v8
	v_dual_lshlrev_b32 v3, v9, v3 :: v_dual_sub_nc_u32 v8, 29, v8
	s_delay_alu instid0(VALU_DEP_1) | instskip(NEXT) | instid1(VALU_DEP_1)
	v_dual_lshlrev_b32 v1, 24, v1 :: v_dual_bitop2_b32 v3, 7, v3 bitop3:0x40
	v_dual_cndmask_b32 v8, v11, v8 :: v_dual_cndmask_b32 v3, v5, v3
	s_delay_alu instid0(VALU_DEP_2) | instskip(NEXT) | instid1(VALU_DEP_2)
	v_and_b32_e32 v1, 0x80000000, v1
	v_lshl_add_u32 v5, v8, 23, 0x3b800000
	s_delay_alu instid0(VALU_DEP_3) | instskip(NEXT) | instid1(VALU_DEP_1)
	v_lshlrev_b32_e32 v3, 20, v3
	v_or3_b32 v1, v1, v5, v3
	s_delay_alu instid0(VALU_DEP_1)
	v_cvt_i32_f32_e32 v8, v1
.LBB70_1927:
	s_or_b32 exec_lo, exec_lo, s19
.LBB70_1928:
	s_mov_b32 s19, -1
.LBB70_1929:
	s_mov_b32 s20, 0
.LBB70_1930:
	s_delay_alu instid0(SALU_CYCLE_1)
	s_and_b32 vcc_lo, exec_lo, s20
	s_cbranch_vccz .LBB70_1961
; %bb.1931:
	s_cmp_gt_i32 s14, 22
	s_cbranch_scc0 .LBB70_1939
; %bb.1932:
	s_cmp_lt_i32 s14, 24
	s_cbranch_scc1 .LBB70_1942
; %bb.1933:
	s_cmp_gt_i32 s14, 24
	s_cbranch_scc0 .LBB70_1943
; %bb.1934:
	s_wait_loadcnt 0x0
	global_load_u8 v1, v[6:7], off
	s_mov_b32 s19, 0
	s_mov_b32 s18, exec_lo
	s_wait_loadcnt 0x0
	v_cmpx_lt_i16_e32 0x7f, v1
	s_xor_b32 s18, exec_lo, s18
	s_cbranch_execz .LBB70_1955
; %bb.1935:
	v_cmp_ne_u16_e32 vcc_lo, 0x80, v1
	s_and_b32 s19, vcc_lo, exec_lo
	s_and_not1_saveexec_b32 s18, s18
	s_cbranch_execnz .LBB70_1956
.LBB70_1936:
	s_or_b32 exec_lo, exec_lo, s18
	v_mov_b32_e32 v8, 0
	s_and_saveexec_b32 s18, s19
	s_cbranch_execz .LBB70_1938
.LBB70_1937:
	v_and_b32_e32 v3, 0xffff, v1
	s_delay_alu instid0(VALU_DEP_1) | instskip(SKIP_1) | instid1(VALU_DEP_2)
	v_and_b32_e32 v5, 3, v3
	v_bfe_u32 v11, v3, 2, 5
	v_clz_i32_u32_e32 v8, v5
	s_delay_alu instid0(VALU_DEP_2) | instskip(NEXT) | instid1(VALU_DEP_2)
	v_cmp_eq_u32_e32 vcc_lo, 0, v11
	v_min_u32_e32 v8, 32, v8
	s_delay_alu instid0(VALU_DEP_1) | instskip(NEXT) | instid1(VALU_DEP_1)
	v_subrev_nc_u32_e32 v9, 29, v8
	v_dual_lshlrev_b32 v3, v9, v3 :: v_dual_sub_nc_u32 v8, 30, v8
	s_delay_alu instid0(VALU_DEP_1) | instskip(NEXT) | instid1(VALU_DEP_1)
	v_dual_lshlrev_b32 v1, 24, v1 :: v_dual_bitop2_b32 v3, 3, v3 bitop3:0x40
	v_dual_cndmask_b32 v8, v11, v8 :: v_dual_cndmask_b32 v3, v5, v3
	s_delay_alu instid0(VALU_DEP_2) | instskip(NEXT) | instid1(VALU_DEP_2)
	v_and_b32_e32 v1, 0x80000000, v1
	v_lshl_add_u32 v5, v8, 23, 0x37800000
	s_delay_alu instid0(VALU_DEP_3) | instskip(NEXT) | instid1(VALU_DEP_1)
	v_lshlrev_b32_e32 v3, 21, v3
	v_or3_b32 v1, v1, v5, v3
	s_delay_alu instid0(VALU_DEP_1)
	v_cvt_i32_f32_e32 v8, v1
.LBB70_1938:
	s_or_b32 exec_lo, exec_lo, s18
	s_mov_b32 s18, 0
	s_branch .LBB70_1944
.LBB70_1939:
	s_mov_b32 s18, -1
                                        ; implicit-def: $vgpr8
	s_branch .LBB70_1950
.LBB70_1940:
	s_and_not1_saveexec_b32 s19, s19
	s_cbranch_execz .LBB70_1925
.LBB70_1941:
	v_cmp_ne_u16_e32 vcc_lo, 0, v1
	s_and_not1_b32 s20, s20, exec_lo
	s_and_b32 s21, vcc_lo, exec_lo
	s_delay_alu instid0(SALU_CYCLE_1)
	s_or_b32 s20, s20, s21
	s_or_b32 exec_lo, exec_lo, s19
	v_mov_b32_e32 v8, 0
	s_and_saveexec_b32 s19, s20
	s_cbranch_execnz .LBB70_1926
	s_branch .LBB70_1927
.LBB70_1942:
	s_mov_b32 s18, -1
                                        ; implicit-def: $vgpr8
	s_branch .LBB70_1947
.LBB70_1943:
	s_mov_b32 s18, -1
                                        ; implicit-def: $vgpr8
.LBB70_1944:
	s_delay_alu instid0(SALU_CYCLE_1)
	s_and_b32 vcc_lo, exec_lo, s18
	s_cbranch_vccz .LBB70_1946
; %bb.1945:
	s_wait_loadcnt 0x0
	global_load_u8 v1, v[6:7], off
	s_wait_loadcnt 0x0
	v_lshlrev_b32_e32 v1, 24, v1
	s_delay_alu instid0(VALU_DEP_1) | instskip(NEXT) | instid1(VALU_DEP_1)
	v_and_b32_e32 v3, 0x7f000000, v1
	v_clz_i32_u32_e32 v5, v3
	s_wait_xcnt 0x1
	v_add_nc_u32_e32 v9, 0x1000000, v3
	v_cmp_ne_u32_e32 vcc_lo, 0, v3
	s_delay_alu instid0(VALU_DEP_3) | instskip(NEXT) | instid1(VALU_DEP_1)
	v_min_u32_e32 v5, 32, v5
	v_sub_nc_u32_e64 v5, v5, 4 clamp
	s_delay_alu instid0(VALU_DEP_1) | instskip(NEXT) | instid1(VALU_DEP_1)
	v_dual_lshlrev_b32 v8, v5, v3 :: v_dual_lshlrev_b32 v5, 23, v5
	v_lshrrev_b32_e32 v8, 4, v8
	s_delay_alu instid0(VALU_DEP_1) | instskip(SKIP_1) | instid1(VALU_DEP_2)
	v_sub_nc_u32_e32 v5, v8, v5
	v_ashrrev_i32_e32 v8, 8, v9
	v_add_nc_u32_e32 v5, 0x3c000000, v5
	s_delay_alu instid0(VALU_DEP_1) | instskip(NEXT) | instid1(VALU_DEP_1)
	v_and_or_b32 v5, 0x7f800000, v8, v5
	v_cndmask_b32_e32 v3, 0, v5, vcc_lo
	s_delay_alu instid0(VALU_DEP_1) | instskip(NEXT) | instid1(VALU_DEP_1)
	v_and_or_b32 v1, 0x80000000, v1, v3
	v_cvt_i32_f32_e32 v8, v1
.LBB70_1946:
	s_mov_b32 s18, 0
.LBB70_1947:
	s_delay_alu instid0(SALU_CYCLE_1)
	s_and_not1_b32 vcc_lo, exec_lo, s18
	s_cbranch_vccnz .LBB70_1949
; %bb.1948:
	s_wait_loadcnt 0x0
	global_load_u8 v1, v[6:7], off
	s_wait_loadcnt 0x0
	v_lshlrev_b32_e32 v3, 25, v1
	v_lshlrev_b16 v1, 8, v1
	s_wait_xcnt 0x1
	s_delay_alu instid0(VALU_DEP_1) | instskip(SKIP_1) | instid1(VALU_DEP_2)
	v_and_or_b32 v8, 0x7f00, v1, 0.5
	v_bfe_i32 v1, v1, 0, 16
	v_dual_add_f32 v8, -0.5, v8 :: v_dual_lshrrev_b32 v5, 4, v3
	v_cmp_gt_u32_e32 vcc_lo, 0x8000000, v3
	s_delay_alu instid0(VALU_DEP_2) | instskip(NEXT) | instid1(VALU_DEP_1)
	v_or_b32_e32 v5, 0x70000000, v5
	v_mul_f32_e32 v5, 0x7800000, v5
	s_delay_alu instid0(VALU_DEP_1) | instskip(NEXT) | instid1(VALU_DEP_1)
	v_cndmask_b32_e32 v3, v5, v8, vcc_lo
	v_and_or_b32 v1, 0x80000000, v1, v3
	s_delay_alu instid0(VALU_DEP_1)
	v_cvt_i32_f32_e32 v8, v1
.LBB70_1949:
	s_mov_b32 s18, 0
	s_mov_b32 s19, -1
.LBB70_1950:
	s_and_not1_b32 vcc_lo, exec_lo, s18
	s_mov_b32 s18, 0
	s_cbranch_vccnz .LBB70_1961
; %bb.1951:
	s_cmp_gt_i32 s14, 14
	s_cbranch_scc0 .LBB70_1954
; %bb.1952:
	s_cmp_eq_u32 s14, 15
	s_cbranch_scc0 .LBB70_1957
; %bb.1953:
	s_wait_loadcnt 0x0
	global_load_u16 v1, v[6:7], off
	s_mov_b32 s17, 0
	s_mov_b32 s19, -1
	s_wait_loadcnt 0x0
	v_lshlrev_b32_e32 v1, 16, v1
	s_wait_xcnt 0x1
	s_delay_alu instid0(VALU_DEP_1)
	v_cvt_i32_f32_e32 v8, v1
	s_branch .LBB70_1959
.LBB70_1954:
	s_mov_b32 s18, -1
	s_branch .LBB70_1958
.LBB70_1955:
	s_and_not1_saveexec_b32 s18, s18
	s_cbranch_execz .LBB70_1936
.LBB70_1956:
	v_cmp_ne_u16_e32 vcc_lo, 0, v1
	s_and_not1_b32 s19, s19, exec_lo
	s_and_b32 s20, vcc_lo, exec_lo
	s_delay_alu instid0(SALU_CYCLE_1)
	s_or_b32 s19, s19, s20
	s_or_b32 exec_lo, exec_lo, s18
	v_mov_b32_e32 v8, 0
	s_and_saveexec_b32 s18, s19
	s_cbranch_execnz .LBB70_1937
	s_branch .LBB70_1938
.LBB70_1957:
	s_mov_b32 s17, -1
.LBB70_1958:
                                        ; implicit-def: $vgpr8
.LBB70_1959:
	s_and_b32 vcc_lo, exec_lo, s18
	s_mov_b32 s18, 0
	s_cbranch_vccz .LBB70_1961
; %bb.1960:
	s_cmp_lg_u32 s14, 11
	s_mov_b32 s18, -1
	s_cselect_b32 s17, -1, 0
.LBB70_1961:
	s_delay_alu instid0(SALU_CYCLE_1)
	s_and_b32 vcc_lo, exec_lo, s17
	s_cbranch_vccnz .LBB70_2026
; %bb.1962:
	s_and_not1_b32 vcc_lo, exec_lo, s18
	s_cbranch_vccnz .LBB70_1964
.LBB70_1963:
	s_wait_loadcnt 0x0
	global_load_u8 v1, v[6:7], off
	s_mov_b32 s19, -1
	s_wait_loadcnt 0x0
	v_cmp_ne_u16_e32 vcc_lo, 0, v1
	s_wait_xcnt 0x1
	v_cndmask_b32_e64 v8, 0, 1, vcc_lo
.LBB70_1964:
	s_mov_b32 s14, 0
.LBB70_1965:
	s_delay_alu instid0(SALU_CYCLE_1)
	s_and_b32 vcc_lo, exec_lo, s14
	s_cbranch_vccz .LBB70_2014
; %bb.1966:
	s_and_b32 s14, 0xffff, s1
	s_delay_alu instid0(SALU_CYCLE_1)
	s_cmp_lt_i32 s14, 5
	s_cbranch_scc1 .LBB70_1971
; %bb.1967:
	s_cmp_lt_i32 s14, 8
	s_cbranch_scc1 .LBB70_1972
; %bb.1968:
	s_cmp_lt_i32 s14, 9
	s_cbranch_scc1 .LBB70_1973
; %bb.1969:
	s_cmp_gt_i32 s14, 9
	s_cbranch_scc0 .LBB70_1974
; %bb.1970:
	s_wait_loadcnt 0x0
	global_load_b64 v[8:9], v[6:7], off
	s_mov_b32 s17, 0
	s_wait_loadcnt 0x0
	v_cvt_i32_f64_e32 v8, v[8:9]
	s_branch .LBB70_1975
.LBB70_1971:
	s_mov_b32 s17, -1
                                        ; implicit-def: $vgpr8
	s_branch .LBB70_1993
.LBB70_1972:
	s_mov_b32 s17, -1
                                        ; implicit-def: $vgpr8
	s_branch .LBB70_1981
.LBB70_1973:
	s_mov_b32 s17, -1
                                        ; implicit-def: $vgpr8
	s_branch .LBB70_1978
.LBB70_1974:
	s_mov_b32 s17, -1
                                        ; implicit-def: $vgpr8
.LBB70_1975:
	s_delay_alu instid0(SALU_CYCLE_1)
	s_and_not1_b32 vcc_lo, exec_lo, s17
	s_cbranch_vccnz .LBB70_1977
; %bb.1976:
	s_wait_loadcnt 0x0
	global_load_b32 v1, v[6:7], off
	s_wait_loadcnt 0x0
	s_wait_xcnt 0x1
	v_cvt_i32_f32_e32 v8, v1
.LBB70_1977:
	s_mov_b32 s17, 0
.LBB70_1978:
	s_delay_alu instid0(SALU_CYCLE_1)
	s_and_not1_b32 vcc_lo, exec_lo, s17
	s_cbranch_vccnz .LBB70_1980
; %bb.1979:
	s_wait_loadcnt 0x0
	global_load_b32 v1, v[6:7], off
	s_wait_loadcnt 0x0
	s_wait_xcnt 0x1
	v_cvt_i16_f16_e32 v8, v1
.LBB70_1980:
	s_mov_b32 s17, 0
.LBB70_1981:
	s_delay_alu instid0(SALU_CYCLE_1)
	s_and_not1_b32 vcc_lo, exec_lo, s17
	s_cbranch_vccnz .LBB70_1992
; %bb.1982:
	s_cmp_lt_i32 s14, 6
	s_cbranch_scc1 .LBB70_1985
; %bb.1983:
	s_cmp_gt_i32 s14, 6
	s_cbranch_scc0 .LBB70_1986
; %bb.1984:
	s_wait_loadcnt 0x0
	global_load_b64 v[8:9], v[6:7], off
	s_mov_b32 s17, 0
	s_wait_loadcnt 0x0
	v_cvt_i32_f64_e32 v8, v[8:9]
	s_branch .LBB70_1987
.LBB70_1985:
	s_mov_b32 s17, -1
                                        ; implicit-def: $vgpr8
	s_branch .LBB70_1990
.LBB70_1986:
	s_mov_b32 s17, -1
                                        ; implicit-def: $vgpr8
.LBB70_1987:
	s_delay_alu instid0(SALU_CYCLE_1)
	s_and_not1_b32 vcc_lo, exec_lo, s17
	s_cbranch_vccnz .LBB70_1989
; %bb.1988:
	s_wait_loadcnt 0x0
	global_load_b32 v1, v[6:7], off
	s_wait_loadcnt 0x0
	s_wait_xcnt 0x1
	v_cvt_i32_f32_e32 v8, v1
.LBB70_1989:
	s_mov_b32 s17, 0
.LBB70_1990:
	s_delay_alu instid0(SALU_CYCLE_1)
	s_and_not1_b32 vcc_lo, exec_lo, s17
	s_cbranch_vccnz .LBB70_1992
; %bb.1991:
	s_wait_loadcnt 0x0
	global_load_u16 v1, v[6:7], off
	s_wait_loadcnt 0x0
	s_wait_xcnt 0x1
	v_cvt_i16_f16_e32 v8, v1
.LBB70_1992:
	s_mov_b32 s17, 0
.LBB70_1993:
	s_delay_alu instid0(SALU_CYCLE_1)
	s_and_not1_b32 vcc_lo, exec_lo, s17
	s_cbranch_vccnz .LBB70_2013
; %bb.1994:
	s_cmp_lt_i32 s14, 2
	s_cbranch_scc1 .LBB70_1998
; %bb.1995:
	s_cmp_lt_i32 s14, 3
	s_cbranch_scc1 .LBB70_1999
; %bb.1996:
	s_cmp_gt_i32 s14, 3
	s_cbranch_scc0 .LBB70_2000
; %bb.1997:
	s_wait_loadcnt 0x0
	global_load_b64 v[8:9], v[6:7], off
	s_mov_b32 s17, 0
	s_branch .LBB70_2001
.LBB70_1998:
	s_mov_b32 s17, -1
                                        ; implicit-def: $vgpr8
	s_branch .LBB70_2007
.LBB70_1999:
	s_mov_b32 s17, -1
                                        ; implicit-def: $vgpr8
	s_branch .LBB70_2004
.LBB70_2000:
	s_mov_b32 s17, -1
                                        ; implicit-def: $vgpr8
.LBB70_2001:
	s_delay_alu instid0(SALU_CYCLE_1)
	s_and_not1_b32 vcc_lo, exec_lo, s17
	s_cbranch_vccnz .LBB70_2003
; %bb.2002:
	s_wait_loadcnt 0x0
	global_load_b32 v8, v[6:7], off
.LBB70_2003:
	s_mov_b32 s17, 0
.LBB70_2004:
	s_delay_alu instid0(SALU_CYCLE_1)
	s_and_not1_b32 vcc_lo, exec_lo, s17
	s_cbranch_vccnz .LBB70_2006
; %bb.2005:
	s_wait_loadcnt 0x0
	global_load_u16 v8, v[6:7], off
.LBB70_2006:
	s_mov_b32 s17, 0
.LBB70_2007:
	s_delay_alu instid0(SALU_CYCLE_1)
	s_and_not1_b32 vcc_lo, exec_lo, s17
	s_cbranch_vccnz .LBB70_2013
; %bb.2008:
	s_cmp_gt_i32 s14, 0
	s_mov_b32 s14, 0
	s_cbranch_scc0 .LBB70_2010
; %bb.2009:
	s_wait_loadcnt 0x0
	global_load_i8 v8, v[6:7], off
	s_branch .LBB70_2011
.LBB70_2010:
	s_mov_b32 s14, -1
                                        ; implicit-def: $vgpr8
.LBB70_2011:
	s_delay_alu instid0(SALU_CYCLE_1)
	s_and_not1_b32 vcc_lo, exec_lo, s14
	s_cbranch_vccnz .LBB70_2013
; %bb.2012:
	s_wait_loadcnt 0x0
	global_load_u8 v8, v[6:7], off
.LBB70_2013:
	s_mov_b32 s19, -1
.LBB70_2014:
	s_delay_alu instid0(SALU_CYCLE_1)
	s_and_not1_b32 vcc_lo, exec_lo, s19
	s_cbranch_vccnz .LBB70_2957
; %bb.2015:
	v_add_nc_u32_e32 v10, s9, v10
	s_cmp_lt_i32 s0, 11
	s_delay_alu instid0(VALU_DEP_1) | instskip(NEXT) | instid1(VALU_DEP_1)
	v_ashrrev_i32_e32 v11, 31, v10
	v_add_nc_u64_e32 v[14:15], s[6:7], v[10:11]
	s_cbranch_scc1 .LBB70_2022
; %bb.2016:
	s_and_b32 s14, 0xffff, s0
	s_mov_b32 s18, 0
	s_cmp_gt_i32 s14, 25
	s_cbranch_scc0 .LBB70_2023
; %bb.2017:
	s_cmp_gt_i32 s14, 28
	s_cbranch_scc0 .LBB70_2024
; %bb.2018:
	s_cmp_gt_i32 s14, 43
	s_cbranch_scc0 .LBB70_2025
; %bb.2019:
	s_cmp_gt_i32 s14, 45
	s_cbranch_scc0 .LBB70_2027
; %bb.2020:
	s_cmp_eq_u32 s14, 46
	s_mov_b32 s20, 0
	s_cbranch_scc0 .LBB70_2028
; %bb.2021:
	s_wait_loadcnt 0x0
	global_load_b32 v1, v[14:15], off
	s_mov_b32 s17, 0
	s_mov_b32 s19, -1
	s_wait_loadcnt 0x0
	v_lshlrev_b32_e32 v1, 16, v1
	s_wait_xcnt 0x1
	s_delay_alu instid0(VALU_DEP_1)
	v_cvt_i32_f32_e32 v6, v1
	s_branch .LBB70_2030
.LBB70_2022:
	s_mov_b32 s14, -1
	s_mov_b32 s19, 0
                                        ; implicit-def: $vgpr6
	s_branch .LBB70_2092
.LBB70_2023:
	s_mov_b32 s20, -1
	s_mov_b32 s19, 0
	s_mov_b32 s17, 0
                                        ; implicit-def: $vgpr6
	s_branch .LBB70_2057
.LBB70_2024:
	s_mov_b32 s20, -1
	s_mov_b32 s19, 0
	s_mov_b32 s17, 0
                                        ; implicit-def: $vgpr6
	s_branch .LBB70_2040
.LBB70_2025:
	s_mov_b32 s20, -1
	s_mov_b32 s19, 0
	s_mov_b32 s17, 0
                                        ; implicit-def: $vgpr6
	s_branch .LBB70_2035
.LBB70_2026:
	s_or_b32 s13, s13, exec_lo
	s_trap 2
	s_cbranch_execz .LBB70_1963
	s_branch .LBB70_1964
.LBB70_2027:
	s_mov_b32 s20, -1
	s_mov_b32 s19, 0
	s_mov_b32 s17, 0
	s_branch .LBB70_2029
.LBB70_2028:
	s_mov_b32 s17, -1
	s_mov_b32 s19, 0
.LBB70_2029:
                                        ; implicit-def: $vgpr6
.LBB70_2030:
	s_and_b32 vcc_lo, exec_lo, s20
	s_cbranch_vccz .LBB70_2034
; %bb.2031:
	s_cmp_eq_u32 s14, 44
	s_cbranch_scc0 .LBB70_2033
; %bb.2032:
	s_wait_loadcnt 0x0
	global_load_u8 v1, v[14:15], off
	s_mov_b32 s17, 0
	s_mov_b32 s19, -1
	s_wait_loadcnt 0x0
	v_lshlrev_b32_e32 v3, 23, v1
	v_cmp_ne_u32_e32 vcc_lo, 0, v1
	s_delay_alu instid0(VALU_DEP_2) | instskip(SKIP_1) | instid1(VALU_DEP_1)
	v_cvt_i32_f32_e32 v3, v3
	s_wait_xcnt 0x1
	v_cndmask_b32_e32 v6, 0, v3, vcc_lo
	s_branch .LBB70_2034
.LBB70_2033:
	s_mov_b32 s17, -1
                                        ; implicit-def: $vgpr6
.LBB70_2034:
	s_mov_b32 s20, 0
.LBB70_2035:
	s_delay_alu instid0(SALU_CYCLE_1)
	s_and_b32 vcc_lo, exec_lo, s20
	s_cbranch_vccz .LBB70_2039
; %bb.2036:
	s_cmp_eq_u32 s14, 29
	s_cbranch_scc0 .LBB70_2038
; %bb.2037:
	global_load_b64 v[6:7], v[14:15], off
	s_mov_b32 s17, 0
	s_mov_b32 s19, -1
	s_branch .LBB70_2039
.LBB70_2038:
	s_mov_b32 s17, -1
                                        ; implicit-def: $vgpr6
.LBB70_2039:
	s_mov_b32 s20, 0
.LBB70_2040:
	s_delay_alu instid0(SALU_CYCLE_1)
	s_and_b32 vcc_lo, exec_lo, s20
	s_cbranch_vccz .LBB70_2056
; %bb.2041:
	s_cmp_lt_i32 s14, 27
	s_cbranch_scc1 .LBB70_2044
; %bb.2042:
	s_cmp_gt_i32 s14, 27
	s_cbranch_scc0 .LBB70_2045
; %bb.2043:
	s_wait_loadcnt 0x0
	global_load_b32 v6, v[14:15], off
	s_mov_b32 s19, 0
	s_branch .LBB70_2046
.LBB70_2044:
	s_mov_b32 s19, -1
                                        ; implicit-def: $vgpr6
	s_branch .LBB70_2049
.LBB70_2045:
	s_mov_b32 s19, -1
                                        ; implicit-def: $vgpr6
.LBB70_2046:
	s_delay_alu instid0(SALU_CYCLE_1)
	s_and_not1_b32 vcc_lo, exec_lo, s19
	s_cbranch_vccnz .LBB70_2048
; %bb.2047:
	s_wait_loadcnt 0x0
	global_load_u16 v6, v[14:15], off
.LBB70_2048:
	s_mov_b32 s19, 0
.LBB70_2049:
	s_delay_alu instid0(SALU_CYCLE_1)
	s_and_not1_b32 vcc_lo, exec_lo, s19
	s_cbranch_vccnz .LBB70_2055
; %bb.2050:
	s_wait_loadcnt 0x0
	global_load_u8 v1, v[14:15], off
	s_mov_b32 s20, 0
	s_mov_b32 s19, exec_lo
	s_wait_loadcnt 0x0
	v_cmpx_lt_i16_e32 0x7f, v1
	s_xor_b32 s19, exec_lo, s19
	s_cbranch_execz .LBB70_2067
; %bb.2051:
	v_cmp_ne_u16_e32 vcc_lo, 0x80, v1
	s_and_b32 s20, vcc_lo, exec_lo
	s_and_not1_saveexec_b32 s19, s19
	s_cbranch_execnz .LBB70_2068
.LBB70_2052:
	s_or_b32 exec_lo, exec_lo, s19
	v_mov_b32_e32 v6, 0
	s_and_saveexec_b32 s19, s20
	s_cbranch_execz .LBB70_2054
.LBB70_2053:
	v_and_b32_e32 v3, 0xffff, v1
	s_delay_alu instid0(VALU_DEP_1) | instskip(SKIP_1) | instid1(VALU_DEP_2)
	v_and_b32_e32 v5, 7, v3
	v_bfe_u32 v9, v3, 3, 4
	v_clz_i32_u32_e32 v6, v5
	s_delay_alu instid0(VALU_DEP_2) | instskip(NEXT) | instid1(VALU_DEP_2)
	v_cmp_eq_u32_e32 vcc_lo, 0, v9
	v_min_u32_e32 v6, 32, v6
	s_delay_alu instid0(VALU_DEP_1) | instskip(NEXT) | instid1(VALU_DEP_1)
	v_subrev_nc_u32_e32 v7, 28, v6
	v_dual_lshlrev_b32 v3, v7, v3 :: v_dual_sub_nc_u32 v6, 29, v6
	s_delay_alu instid0(VALU_DEP_1) | instskip(NEXT) | instid1(VALU_DEP_2)
	v_dual_lshlrev_b32 v1, 24, v1 :: v_dual_bitop2_b32 v3, 7, v3 bitop3:0x40
	v_cndmask_b32_e32 v6, v9, v6, vcc_lo
	s_delay_alu instid0(VALU_DEP_2) | instskip(NEXT) | instid1(VALU_DEP_3)
	v_cndmask_b32_e32 v3, v5, v3, vcc_lo
	v_and_b32_e32 v1, 0x80000000, v1
	s_delay_alu instid0(VALU_DEP_3) | instskip(NEXT) | instid1(VALU_DEP_3)
	v_lshl_add_u32 v5, v6, 23, 0x3b800000
	v_lshlrev_b32_e32 v3, 20, v3
	s_delay_alu instid0(VALU_DEP_1) | instskip(NEXT) | instid1(VALU_DEP_1)
	v_or3_b32 v1, v1, v5, v3
	v_cvt_i32_f32_e32 v6, v1
.LBB70_2054:
	s_or_b32 exec_lo, exec_lo, s19
.LBB70_2055:
	s_mov_b32 s19, -1
.LBB70_2056:
	s_mov_b32 s20, 0
.LBB70_2057:
	s_delay_alu instid0(SALU_CYCLE_1)
	s_and_b32 vcc_lo, exec_lo, s20
	s_cbranch_vccz .LBB70_2088
; %bb.2058:
	s_cmp_gt_i32 s14, 22
	s_cbranch_scc0 .LBB70_2066
; %bb.2059:
	s_cmp_lt_i32 s14, 24
	s_cbranch_scc1 .LBB70_2069
; %bb.2060:
	s_cmp_gt_i32 s14, 24
	s_cbranch_scc0 .LBB70_2070
; %bb.2061:
	s_wait_loadcnt 0x0
	global_load_u8 v1, v[14:15], off
	s_mov_b32 s19, 0
	s_mov_b32 s18, exec_lo
	s_wait_loadcnt 0x0
	v_cmpx_lt_i16_e32 0x7f, v1
	s_xor_b32 s18, exec_lo, s18
	s_cbranch_execz .LBB70_2082
; %bb.2062:
	v_cmp_ne_u16_e32 vcc_lo, 0x80, v1
	s_and_b32 s19, vcc_lo, exec_lo
	s_and_not1_saveexec_b32 s18, s18
	s_cbranch_execnz .LBB70_2083
.LBB70_2063:
	s_or_b32 exec_lo, exec_lo, s18
	v_mov_b32_e32 v6, 0
	s_and_saveexec_b32 s18, s19
	s_cbranch_execz .LBB70_2065
.LBB70_2064:
	v_and_b32_e32 v3, 0xffff, v1
	s_delay_alu instid0(VALU_DEP_1) | instskip(SKIP_1) | instid1(VALU_DEP_2)
	v_and_b32_e32 v5, 3, v3
	v_bfe_u32 v9, v3, 2, 5
	v_clz_i32_u32_e32 v6, v5
	s_delay_alu instid0(VALU_DEP_2) | instskip(NEXT) | instid1(VALU_DEP_2)
	v_cmp_eq_u32_e32 vcc_lo, 0, v9
	v_min_u32_e32 v6, 32, v6
	s_delay_alu instid0(VALU_DEP_1) | instskip(NEXT) | instid1(VALU_DEP_1)
	v_subrev_nc_u32_e32 v7, 29, v6
	v_dual_lshlrev_b32 v3, v7, v3 :: v_dual_sub_nc_u32 v6, 30, v6
	s_delay_alu instid0(VALU_DEP_1) | instskip(NEXT) | instid1(VALU_DEP_2)
	v_dual_lshlrev_b32 v1, 24, v1 :: v_dual_bitop2_b32 v3, 3, v3 bitop3:0x40
	v_cndmask_b32_e32 v6, v9, v6, vcc_lo
	s_delay_alu instid0(VALU_DEP_2) | instskip(NEXT) | instid1(VALU_DEP_3)
	v_cndmask_b32_e32 v3, v5, v3, vcc_lo
	v_and_b32_e32 v1, 0x80000000, v1
	s_delay_alu instid0(VALU_DEP_3) | instskip(NEXT) | instid1(VALU_DEP_3)
	v_lshl_add_u32 v5, v6, 23, 0x37800000
	v_lshlrev_b32_e32 v3, 21, v3
	s_delay_alu instid0(VALU_DEP_1) | instskip(NEXT) | instid1(VALU_DEP_1)
	v_or3_b32 v1, v1, v5, v3
	v_cvt_i32_f32_e32 v6, v1
.LBB70_2065:
	s_or_b32 exec_lo, exec_lo, s18
	s_mov_b32 s18, 0
	s_branch .LBB70_2071
.LBB70_2066:
	s_mov_b32 s18, -1
                                        ; implicit-def: $vgpr6
	s_branch .LBB70_2077
.LBB70_2067:
	s_and_not1_saveexec_b32 s19, s19
	s_cbranch_execz .LBB70_2052
.LBB70_2068:
	v_cmp_ne_u16_e32 vcc_lo, 0, v1
	s_and_not1_b32 s20, s20, exec_lo
	s_and_b32 s21, vcc_lo, exec_lo
	s_delay_alu instid0(SALU_CYCLE_1)
	s_or_b32 s20, s20, s21
	s_or_b32 exec_lo, exec_lo, s19
	v_mov_b32_e32 v6, 0
	s_and_saveexec_b32 s19, s20
	s_cbranch_execnz .LBB70_2053
	s_branch .LBB70_2054
.LBB70_2069:
	s_mov_b32 s18, -1
                                        ; implicit-def: $vgpr6
	s_branch .LBB70_2074
.LBB70_2070:
	s_mov_b32 s18, -1
                                        ; implicit-def: $vgpr6
.LBB70_2071:
	s_delay_alu instid0(SALU_CYCLE_1)
	s_and_b32 vcc_lo, exec_lo, s18
	s_cbranch_vccz .LBB70_2073
; %bb.2072:
	s_wait_loadcnt 0x0
	global_load_u8 v1, v[14:15], off
	s_wait_loadcnt 0x0
	v_lshlrev_b32_e32 v1, 24, v1
	s_delay_alu instid0(VALU_DEP_1) | instskip(NEXT) | instid1(VALU_DEP_1)
	v_and_b32_e32 v3, 0x7f000000, v1
	v_clz_i32_u32_e32 v5, v3
	s_wait_xcnt 0x1
	v_add_nc_u32_e32 v7, 0x1000000, v3
	v_cmp_ne_u32_e32 vcc_lo, 0, v3
	s_delay_alu instid0(VALU_DEP_3) | instskip(NEXT) | instid1(VALU_DEP_1)
	v_min_u32_e32 v5, 32, v5
	v_sub_nc_u32_e64 v5, v5, 4 clamp
	s_delay_alu instid0(VALU_DEP_1) | instskip(NEXT) | instid1(VALU_DEP_1)
	v_dual_lshlrev_b32 v6, v5, v3 :: v_dual_lshlrev_b32 v5, 23, v5
	v_lshrrev_b32_e32 v6, 4, v6
	s_delay_alu instid0(VALU_DEP_1) | instskip(NEXT) | instid1(VALU_DEP_1)
	v_dual_sub_nc_u32 v5, v6, v5 :: v_dual_ashrrev_i32 v6, 8, v7
	v_add_nc_u32_e32 v5, 0x3c000000, v5
	s_delay_alu instid0(VALU_DEP_1) | instskip(NEXT) | instid1(VALU_DEP_1)
	v_and_or_b32 v5, 0x7f800000, v6, v5
	v_cndmask_b32_e32 v3, 0, v5, vcc_lo
	s_delay_alu instid0(VALU_DEP_1) | instskip(NEXT) | instid1(VALU_DEP_1)
	v_and_or_b32 v1, 0x80000000, v1, v3
	v_cvt_i32_f32_e32 v6, v1
.LBB70_2073:
	s_mov_b32 s18, 0
.LBB70_2074:
	s_delay_alu instid0(SALU_CYCLE_1)
	s_and_not1_b32 vcc_lo, exec_lo, s18
	s_cbranch_vccnz .LBB70_2076
; %bb.2075:
	s_wait_loadcnt 0x0
	global_load_u8 v1, v[14:15], off
	s_wait_loadcnt 0x0
	v_lshlrev_b32_e32 v3, 25, v1
	v_lshlrev_b16 v1, 8, v1
	s_wait_xcnt 0x1
	s_delay_alu instid0(VALU_DEP_1) | instskip(SKIP_1) | instid1(VALU_DEP_2)
	v_and_or_b32 v6, 0x7f00, v1, 0.5
	v_bfe_i32 v1, v1, 0, 16
	v_dual_add_f32 v6, -0.5, v6 :: v_dual_lshrrev_b32 v5, 4, v3
	v_cmp_gt_u32_e32 vcc_lo, 0x8000000, v3
	s_delay_alu instid0(VALU_DEP_2) | instskip(NEXT) | instid1(VALU_DEP_1)
	v_or_b32_e32 v5, 0x70000000, v5
	v_mul_f32_e32 v5, 0x7800000, v5
	s_delay_alu instid0(VALU_DEP_1) | instskip(NEXT) | instid1(VALU_DEP_1)
	v_cndmask_b32_e32 v3, v5, v6, vcc_lo
	v_and_or_b32 v1, 0x80000000, v1, v3
	s_delay_alu instid0(VALU_DEP_1)
	v_cvt_i32_f32_e32 v6, v1
.LBB70_2076:
	s_mov_b32 s18, 0
	s_mov_b32 s19, -1
.LBB70_2077:
	s_and_not1_b32 vcc_lo, exec_lo, s18
	s_mov_b32 s18, 0
	s_cbranch_vccnz .LBB70_2088
; %bb.2078:
	s_cmp_gt_i32 s14, 14
	s_cbranch_scc0 .LBB70_2081
; %bb.2079:
	s_cmp_eq_u32 s14, 15
	s_cbranch_scc0 .LBB70_2084
; %bb.2080:
	s_wait_loadcnt 0x0
	global_load_u16 v1, v[14:15], off
	s_mov_b32 s17, 0
	s_mov_b32 s19, -1
	s_wait_loadcnt 0x0
	v_lshlrev_b32_e32 v1, 16, v1
	s_wait_xcnt 0x1
	s_delay_alu instid0(VALU_DEP_1)
	v_cvt_i32_f32_e32 v6, v1
	s_branch .LBB70_2086
.LBB70_2081:
	s_mov_b32 s18, -1
	s_branch .LBB70_2085
.LBB70_2082:
	s_and_not1_saveexec_b32 s18, s18
	s_cbranch_execz .LBB70_2063
.LBB70_2083:
	v_cmp_ne_u16_e32 vcc_lo, 0, v1
	s_and_not1_b32 s19, s19, exec_lo
	s_and_b32 s20, vcc_lo, exec_lo
	s_delay_alu instid0(SALU_CYCLE_1)
	s_or_b32 s19, s19, s20
	s_or_b32 exec_lo, exec_lo, s18
	v_mov_b32_e32 v6, 0
	s_and_saveexec_b32 s18, s19
	s_cbranch_execnz .LBB70_2064
	s_branch .LBB70_2065
.LBB70_2084:
	s_mov_b32 s17, -1
.LBB70_2085:
                                        ; implicit-def: $vgpr6
.LBB70_2086:
	s_and_b32 vcc_lo, exec_lo, s18
	s_mov_b32 s18, 0
	s_cbranch_vccz .LBB70_2088
; %bb.2087:
	s_cmp_lg_u32 s14, 11
	s_mov_b32 s18, -1
	s_cselect_b32 s17, -1, 0
.LBB70_2088:
	s_delay_alu instid0(SALU_CYCLE_1)
	s_and_b32 vcc_lo, exec_lo, s17
	s_cbranch_vccnz .LBB70_2153
; %bb.2089:
	s_and_not1_b32 vcc_lo, exec_lo, s18
	s_cbranch_vccnz .LBB70_2091
.LBB70_2090:
	s_wait_loadcnt 0x0
	global_load_u8 v1, v[14:15], off
	s_mov_b32 s19, -1
	s_wait_loadcnt 0x0
	v_cmp_ne_u16_e32 vcc_lo, 0, v1
	s_wait_xcnt 0x1
	v_cndmask_b32_e64 v6, 0, 1, vcc_lo
.LBB70_2091:
	s_mov_b32 s14, 0
.LBB70_2092:
	s_delay_alu instid0(SALU_CYCLE_1)
	s_and_b32 vcc_lo, exec_lo, s14
	s_cbranch_vccz .LBB70_2141
; %bb.2093:
	s_and_b32 s14, 0xffff, s0
	s_delay_alu instid0(SALU_CYCLE_1)
	s_cmp_lt_i32 s14, 5
	s_cbranch_scc1 .LBB70_2098
; %bb.2094:
	s_cmp_lt_i32 s14, 8
	s_cbranch_scc1 .LBB70_2099
; %bb.2095:
	;; [unrolled: 3-line block ×3, first 2 shown]
	s_cmp_gt_i32 s14, 9
	s_cbranch_scc0 .LBB70_2101
; %bb.2097:
	s_wait_loadcnt 0x0
	global_load_b64 v[6:7], v[14:15], off
	s_mov_b32 s17, 0
	s_wait_loadcnt 0x0
	v_cvt_i32_f64_e32 v6, v[6:7]
	s_branch .LBB70_2102
.LBB70_2098:
	s_mov_b32 s17, -1
                                        ; implicit-def: $vgpr6
	s_branch .LBB70_2120
.LBB70_2099:
	s_mov_b32 s17, -1
                                        ; implicit-def: $vgpr6
	s_branch .LBB70_2108
.LBB70_2100:
	s_mov_b32 s17, -1
                                        ; implicit-def: $vgpr6
	s_branch .LBB70_2105
.LBB70_2101:
	s_mov_b32 s17, -1
                                        ; implicit-def: $vgpr6
.LBB70_2102:
	s_delay_alu instid0(SALU_CYCLE_1)
	s_and_not1_b32 vcc_lo, exec_lo, s17
	s_cbranch_vccnz .LBB70_2104
; %bb.2103:
	s_wait_loadcnt 0x0
	global_load_b32 v1, v[14:15], off
	s_wait_loadcnt 0x0
	s_wait_xcnt 0x1
	v_cvt_i32_f32_e32 v6, v1
.LBB70_2104:
	s_mov_b32 s17, 0
.LBB70_2105:
	s_delay_alu instid0(SALU_CYCLE_1)
	s_and_not1_b32 vcc_lo, exec_lo, s17
	s_cbranch_vccnz .LBB70_2107
; %bb.2106:
	s_wait_loadcnt 0x0
	global_load_b32 v1, v[14:15], off
	s_wait_loadcnt 0x0
	s_wait_xcnt 0x1
	v_cvt_i16_f16_e32 v6, v1
.LBB70_2107:
	s_mov_b32 s17, 0
.LBB70_2108:
	s_delay_alu instid0(SALU_CYCLE_1)
	s_and_not1_b32 vcc_lo, exec_lo, s17
	s_cbranch_vccnz .LBB70_2119
; %bb.2109:
	s_cmp_lt_i32 s14, 6
	s_cbranch_scc1 .LBB70_2112
; %bb.2110:
	s_cmp_gt_i32 s14, 6
	s_cbranch_scc0 .LBB70_2113
; %bb.2111:
	s_wait_loadcnt 0x0
	global_load_b64 v[6:7], v[14:15], off
	s_mov_b32 s17, 0
	s_wait_loadcnt 0x0
	v_cvt_i32_f64_e32 v6, v[6:7]
	s_branch .LBB70_2114
.LBB70_2112:
	s_mov_b32 s17, -1
                                        ; implicit-def: $vgpr6
	s_branch .LBB70_2117
.LBB70_2113:
	s_mov_b32 s17, -1
                                        ; implicit-def: $vgpr6
.LBB70_2114:
	s_delay_alu instid0(SALU_CYCLE_1)
	s_and_not1_b32 vcc_lo, exec_lo, s17
	s_cbranch_vccnz .LBB70_2116
; %bb.2115:
	s_wait_loadcnt 0x0
	global_load_b32 v1, v[14:15], off
	s_wait_loadcnt 0x0
	s_wait_xcnt 0x1
	v_cvt_i32_f32_e32 v6, v1
.LBB70_2116:
	s_mov_b32 s17, 0
.LBB70_2117:
	s_delay_alu instid0(SALU_CYCLE_1)
	s_and_not1_b32 vcc_lo, exec_lo, s17
	s_cbranch_vccnz .LBB70_2119
; %bb.2118:
	s_wait_loadcnt 0x0
	global_load_u16 v1, v[14:15], off
	s_wait_loadcnt 0x0
	s_wait_xcnt 0x1
	v_cvt_i16_f16_e32 v6, v1
.LBB70_2119:
	s_mov_b32 s17, 0
.LBB70_2120:
	s_delay_alu instid0(SALU_CYCLE_1)
	s_and_not1_b32 vcc_lo, exec_lo, s17
	s_cbranch_vccnz .LBB70_2140
; %bb.2121:
	s_cmp_lt_i32 s14, 2
	s_cbranch_scc1 .LBB70_2125
; %bb.2122:
	s_cmp_lt_i32 s14, 3
	s_cbranch_scc1 .LBB70_2126
; %bb.2123:
	s_cmp_gt_i32 s14, 3
	s_cbranch_scc0 .LBB70_2127
; %bb.2124:
	s_wait_loadcnt 0x0
	global_load_b64 v[6:7], v[14:15], off
	s_mov_b32 s17, 0
	s_branch .LBB70_2128
.LBB70_2125:
	s_mov_b32 s17, -1
                                        ; implicit-def: $vgpr6
	s_branch .LBB70_2134
.LBB70_2126:
	s_mov_b32 s17, -1
                                        ; implicit-def: $vgpr6
	s_branch .LBB70_2131
.LBB70_2127:
	s_mov_b32 s17, -1
                                        ; implicit-def: $vgpr6
.LBB70_2128:
	s_delay_alu instid0(SALU_CYCLE_1)
	s_and_not1_b32 vcc_lo, exec_lo, s17
	s_cbranch_vccnz .LBB70_2130
; %bb.2129:
	s_wait_loadcnt 0x0
	global_load_b32 v6, v[14:15], off
.LBB70_2130:
	s_mov_b32 s17, 0
.LBB70_2131:
	s_delay_alu instid0(SALU_CYCLE_1)
	s_and_not1_b32 vcc_lo, exec_lo, s17
	s_cbranch_vccnz .LBB70_2133
; %bb.2132:
	s_wait_loadcnt 0x0
	global_load_u16 v6, v[14:15], off
.LBB70_2133:
	s_mov_b32 s17, 0
.LBB70_2134:
	s_delay_alu instid0(SALU_CYCLE_1)
	s_and_not1_b32 vcc_lo, exec_lo, s17
	s_cbranch_vccnz .LBB70_2140
; %bb.2135:
	s_cmp_gt_i32 s14, 0
	s_mov_b32 s14, 0
	s_cbranch_scc0 .LBB70_2137
; %bb.2136:
	s_wait_loadcnt 0x0
	global_load_i8 v6, v[14:15], off
	s_branch .LBB70_2138
.LBB70_2137:
	s_mov_b32 s14, -1
                                        ; implicit-def: $vgpr6
.LBB70_2138:
	s_delay_alu instid0(SALU_CYCLE_1)
	s_and_not1_b32 vcc_lo, exec_lo, s14
	s_cbranch_vccnz .LBB70_2140
; %bb.2139:
	s_wait_loadcnt 0x0
	global_load_u8 v6, v[14:15], off
.LBB70_2140:
	s_mov_b32 s19, -1
.LBB70_2141:
	s_delay_alu instid0(SALU_CYCLE_1)
	s_and_not1_b32 vcc_lo, exec_lo, s19
	s_cbranch_vccnz .LBB70_2957
; %bb.2142:
	s_wait_xcnt 0x0
	v_add_nc_u32_e32 v14, s10, v12
	s_cmp_lt_i32 s1, 11
	s_delay_alu instid0(VALU_DEP_1) | instskip(NEXT) | instid1(VALU_DEP_1)
	v_ashrrev_i32_e32 v15, 31, v14
	v_add_nc_u64_e32 v[16:17], s[2:3], v[14:15]
	s_cbranch_scc1 .LBB70_2149
; %bb.2143:
	s_and_b32 s14, 0xffff, s1
	s_mov_b32 s18, 0
	s_cmp_gt_i32 s14, 25
	s_cbranch_scc0 .LBB70_2150
; %bb.2144:
	s_cmp_gt_i32 s14, 28
	s_cbranch_scc0 .LBB70_2151
; %bb.2145:
	;; [unrolled: 3-line block ×4, first 2 shown]
	s_cmp_eq_u32 s14, 46
	s_mov_b32 s20, 0
	s_cbranch_scc0 .LBB70_2157
; %bb.2148:
	s_wait_loadcnt 0x0
	global_load_b32 v1, v[16:17], off
	s_mov_b32 s17, 0
	s_mov_b32 s19, -1
	s_wait_loadcnt 0x0
	v_lshlrev_b32_e32 v1, 16, v1
	s_delay_alu instid0(VALU_DEP_1)
	v_cvt_i32_f32_e32 v12, v1
	s_branch .LBB70_2159
.LBB70_2149:
	s_mov_b32 s14, -1
	s_mov_b32 s19, 0
                                        ; implicit-def: $vgpr12
	s_branch .LBB70_2221
.LBB70_2150:
	s_mov_b32 s20, -1
	s_mov_b32 s19, 0
	s_mov_b32 s17, 0
                                        ; implicit-def: $vgpr12
	s_branch .LBB70_2186
.LBB70_2151:
	s_mov_b32 s20, -1
	s_mov_b32 s19, 0
	s_mov_b32 s17, 0
                                        ; implicit-def: $vgpr12
	s_branch .LBB70_2169
.LBB70_2152:
	s_mov_b32 s20, -1
	s_mov_b32 s19, 0
	s_mov_b32 s17, 0
                                        ; implicit-def: $vgpr12
	s_branch .LBB70_2164
.LBB70_2153:
	s_or_b32 s13, s13, exec_lo
	s_trap 2
	s_cbranch_execz .LBB70_2090
	s_branch .LBB70_2091
.LBB70_2154:
	s_mov_b32 s20, -1
	s_mov_b32 s19, 0
	s_mov_b32 s17, 0
	s_branch .LBB70_2158
.LBB70_2155:
	s_and_not1_saveexec_b32 s35, s35
	s_cbranch_execz .LBB70_1063
.LBB70_2156:
	v_add_f32_e32 v2, 0x42800000, v3
	s_and_not1_b32 s34, s34, exec_lo
	s_delay_alu instid0(VALU_DEP_1) | instskip(NEXT) | instid1(VALU_DEP_1)
	v_and_b32_e32 v2, 0xff, v2
	v_cmp_ne_u32_e32 vcc_lo, 0, v2
	s_and_b32 s36, vcc_lo, exec_lo
	s_delay_alu instid0(SALU_CYCLE_1)
	s_or_b32 s34, s34, s36
	s_or_b32 exec_lo, exec_lo, s35
	v_mov_b32_e32 v4, 0
	s_and_saveexec_b32 s35, s34
	s_cbranch_execnz .LBB70_1064
	s_branch .LBB70_1065
.LBB70_2157:
	s_mov_b32 s17, -1
	s_mov_b32 s19, 0
.LBB70_2158:
                                        ; implicit-def: $vgpr12
.LBB70_2159:
	s_and_b32 vcc_lo, exec_lo, s20
	s_cbranch_vccz .LBB70_2163
; %bb.2160:
	s_cmp_eq_u32 s14, 44
	s_cbranch_scc0 .LBB70_2162
; %bb.2161:
	s_wait_loadcnt 0x0
	global_load_u8 v1, v[16:17], off
	s_mov_b32 s17, 0
	s_mov_b32 s19, -1
	s_wait_loadcnt 0x0
	v_lshlrev_b32_e32 v3, 23, v1
	v_cmp_ne_u32_e32 vcc_lo, 0, v1
	s_delay_alu instid0(VALU_DEP_2) | instskip(NEXT) | instid1(VALU_DEP_1)
	v_cvt_i32_f32_e32 v3, v3
	v_cndmask_b32_e32 v12, 0, v3, vcc_lo
	s_branch .LBB70_2163
.LBB70_2162:
	s_mov_b32 s17, -1
                                        ; implicit-def: $vgpr12
.LBB70_2163:
	s_mov_b32 s20, 0
.LBB70_2164:
	s_delay_alu instid0(SALU_CYCLE_1)
	s_and_b32 vcc_lo, exec_lo, s20
	s_cbranch_vccz .LBB70_2168
; %bb.2165:
	s_cmp_eq_u32 s14, 29
	s_cbranch_scc0 .LBB70_2167
; %bb.2166:
	global_load_b64 v[12:13], v[16:17], off
	s_mov_b32 s17, 0
	s_mov_b32 s19, -1
	s_branch .LBB70_2168
.LBB70_2167:
	s_mov_b32 s17, -1
                                        ; implicit-def: $vgpr12
.LBB70_2168:
	s_mov_b32 s20, 0
.LBB70_2169:
	s_delay_alu instid0(SALU_CYCLE_1)
	s_and_b32 vcc_lo, exec_lo, s20
	s_cbranch_vccz .LBB70_2185
; %bb.2170:
	s_cmp_lt_i32 s14, 27
	s_cbranch_scc1 .LBB70_2173
; %bb.2171:
	s_cmp_gt_i32 s14, 27
	s_cbranch_scc0 .LBB70_2174
; %bb.2172:
	s_wait_loadcnt 0x0
	global_load_b32 v12, v[16:17], off
	s_mov_b32 s19, 0
	s_branch .LBB70_2175
.LBB70_2173:
	s_mov_b32 s19, -1
                                        ; implicit-def: $vgpr12
	s_branch .LBB70_2178
.LBB70_2174:
	s_mov_b32 s19, -1
                                        ; implicit-def: $vgpr12
.LBB70_2175:
	s_delay_alu instid0(SALU_CYCLE_1)
	s_and_not1_b32 vcc_lo, exec_lo, s19
	s_cbranch_vccnz .LBB70_2177
; %bb.2176:
	s_wait_loadcnt 0x0
	global_load_u16 v12, v[16:17], off
.LBB70_2177:
	s_mov_b32 s19, 0
.LBB70_2178:
	s_delay_alu instid0(SALU_CYCLE_1)
	s_and_not1_b32 vcc_lo, exec_lo, s19
	s_cbranch_vccnz .LBB70_2184
; %bb.2179:
	s_wait_loadcnt 0x0
	global_load_u8 v1, v[16:17], off
	s_mov_b32 s20, 0
	s_mov_b32 s19, exec_lo
	s_wait_loadcnt 0x0
	v_cmpx_lt_i16_e32 0x7f, v1
	s_xor_b32 s19, exec_lo, s19
	s_cbranch_execz .LBB70_2196
; %bb.2180:
	v_cmp_ne_u16_e32 vcc_lo, 0x80, v1
	s_and_b32 s20, vcc_lo, exec_lo
	s_and_not1_saveexec_b32 s19, s19
	s_cbranch_execnz .LBB70_2197
.LBB70_2181:
	s_or_b32 exec_lo, exec_lo, s19
	v_mov_b32_e32 v12, 0
	s_and_saveexec_b32 s19, s20
	s_cbranch_execz .LBB70_2183
.LBB70_2182:
	v_and_b32_e32 v3, 0xffff, v1
	s_delay_alu instid0(VALU_DEP_1) | instskip(SKIP_1) | instid1(VALU_DEP_2)
	v_dual_lshlrev_b32 v1, 24, v1 :: v_dual_bitop2_b32 v5, 7, v3 bitop3:0x40
	v_bfe_u32 v11, v3, 3, 4
	v_and_b32_e32 v1, 0x80000000, v1
	s_delay_alu instid0(VALU_DEP_3) | instskip(NEXT) | instid1(VALU_DEP_3)
	v_clz_i32_u32_e32 v7, v5
	v_cmp_eq_u32_e32 vcc_lo, 0, v11
	s_delay_alu instid0(VALU_DEP_2) | instskip(NEXT) | instid1(VALU_DEP_1)
	v_min_u32_e32 v7, 32, v7
	v_subrev_nc_u32_e32 v9, 28, v7
	v_sub_nc_u32_e32 v7, 29, v7
	s_delay_alu instid0(VALU_DEP_2) | instskip(NEXT) | instid1(VALU_DEP_2)
	v_lshlrev_b32_e32 v3, v9, v3
	v_cndmask_b32_e32 v7, v11, v7, vcc_lo
	s_delay_alu instid0(VALU_DEP_2) | instskip(NEXT) | instid1(VALU_DEP_1)
	v_and_b32_e32 v3, 7, v3
	v_cndmask_b32_e32 v3, v5, v3, vcc_lo
	s_delay_alu instid0(VALU_DEP_3) | instskip(NEXT) | instid1(VALU_DEP_2)
	v_lshl_add_u32 v5, v7, 23, 0x3b800000
	v_lshlrev_b32_e32 v3, 20, v3
	s_delay_alu instid0(VALU_DEP_1) | instskip(NEXT) | instid1(VALU_DEP_1)
	v_or3_b32 v1, v1, v5, v3
	v_cvt_i32_f32_e32 v12, v1
.LBB70_2183:
	s_or_b32 exec_lo, exec_lo, s19
.LBB70_2184:
	s_mov_b32 s19, -1
.LBB70_2185:
	s_mov_b32 s20, 0
.LBB70_2186:
	s_delay_alu instid0(SALU_CYCLE_1)
	s_and_b32 vcc_lo, exec_lo, s20
	s_cbranch_vccz .LBB70_2217
; %bb.2187:
	s_cmp_gt_i32 s14, 22
	s_cbranch_scc0 .LBB70_2195
; %bb.2188:
	s_cmp_lt_i32 s14, 24
	s_cbranch_scc1 .LBB70_2198
; %bb.2189:
	s_cmp_gt_i32 s14, 24
	s_cbranch_scc0 .LBB70_2199
; %bb.2190:
	s_wait_loadcnt 0x0
	global_load_u8 v1, v[16:17], off
	s_mov_b32 s19, 0
	s_mov_b32 s18, exec_lo
	s_wait_loadcnt 0x0
	v_cmpx_lt_i16_e32 0x7f, v1
	s_xor_b32 s18, exec_lo, s18
	s_cbranch_execz .LBB70_2211
; %bb.2191:
	v_cmp_ne_u16_e32 vcc_lo, 0x80, v1
	s_and_b32 s19, vcc_lo, exec_lo
	s_and_not1_saveexec_b32 s18, s18
	s_cbranch_execnz .LBB70_2212
.LBB70_2192:
	s_or_b32 exec_lo, exec_lo, s18
	v_mov_b32_e32 v12, 0
	s_and_saveexec_b32 s18, s19
	s_cbranch_execz .LBB70_2194
.LBB70_2193:
	v_and_b32_e32 v3, 0xffff, v1
	s_delay_alu instid0(VALU_DEP_1) | instskip(SKIP_1) | instid1(VALU_DEP_2)
	v_dual_lshlrev_b32 v1, 24, v1 :: v_dual_bitop2_b32 v5, 3, v3 bitop3:0x40
	v_bfe_u32 v11, v3, 2, 5
	v_and_b32_e32 v1, 0x80000000, v1
	s_delay_alu instid0(VALU_DEP_3) | instskip(NEXT) | instid1(VALU_DEP_3)
	v_clz_i32_u32_e32 v7, v5
	v_cmp_eq_u32_e32 vcc_lo, 0, v11
	s_delay_alu instid0(VALU_DEP_2) | instskip(NEXT) | instid1(VALU_DEP_1)
	v_min_u32_e32 v7, 32, v7
	v_subrev_nc_u32_e32 v9, 29, v7
	v_sub_nc_u32_e32 v7, 30, v7
	s_delay_alu instid0(VALU_DEP_2) | instskip(NEXT) | instid1(VALU_DEP_2)
	v_lshlrev_b32_e32 v3, v9, v3
	v_cndmask_b32_e32 v7, v11, v7, vcc_lo
	s_delay_alu instid0(VALU_DEP_2) | instskip(NEXT) | instid1(VALU_DEP_1)
	v_and_b32_e32 v3, 3, v3
	v_cndmask_b32_e32 v3, v5, v3, vcc_lo
	s_delay_alu instid0(VALU_DEP_3) | instskip(NEXT) | instid1(VALU_DEP_2)
	v_lshl_add_u32 v5, v7, 23, 0x37800000
	v_lshlrev_b32_e32 v3, 21, v3
	s_delay_alu instid0(VALU_DEP_1) | instskip(NEXT) | instid1(VALU_DEP_1)
	v_or3_b32 v1, v1, v5, v3
	v_cvt_i32_f32_e32 v12, v1
.LBB70_2194:
	s_or_b32 exec_lo, exec_lo, s18
	s_mov_b32 s18, 0
	s_branch .LBB70_2200
.LBB70_2195:
	s_mov_b32 s18, -1
                                        ; implicit-def: $vgpr12
	s_branch .LBB70_2206
.LBB70_2196:
	s_and_not1_saveexec_b32 s19, s19
	s_cbranch_execz .LBB70_2181
.LBB70_2197:
	v_cmp_ne_u16_e32 vcc_lo, 0, v1
	s_and_not1_b32 s20, s20, exec_lo
	s_and_b32 s21, vcc_lo, exec_lo
	s_delay_alu instid0(SALU_CYCLE_1)
	s_or_b32 s20, s20, s21
	s_or_b32 exec_lo, exec_lo, s19
	v_mov_b32_e32 v12, 0
	s_and_saveexec_b32 s19, s20
	s_cbranch_execnz .LBB70_2182
	s_branch .LBB70_2183
.LBB70_2198:
	s_mov_b32 s18, -1
                                        ; implicit-def: $vgpr12
	s_branch .LBB70_2203
.LBB70_2199:
	s_mov_b32 s18, -1
                                        ; implicit-def: $vgpr12
.LBB70_2200:
	s_delay_alu instid0(SALU_CYCLE_1)
	s_and_b32 vcc_lo, exec_lo, s18
	s_cbranch_vccz .LBB70_2202
; %bb.2201:
	s_wait_loadcnt 0x0
	global_load_u8 v1, v[16:17], off
	s_wait_loadcnt 0x0
	v_lshlrev_b32_e32 v1, 24, v1
	s_delay_alu instid0(VALU_DEP_1) | instskip(NEXT) | instid1(VALU_DEP_1)
	v_and_b32_e32 v3, 0x7f000000, v1
	v_clz_i32_u32_e32 v5, v3
	v_add_nc_u32_e32 v9, 0x1000000, v3
	v_cmp_ne_u32_e32 vcc_lo, 0, v3
	s_delay_alu instid0(VALU_DEP_3) | instskip(NEXT) | instid1(VALU_DEP_1)
	v_min_u32_e32 v5, 32, v5
	v_sub_nc_u32_e64 v5, v5, 4 clamp
	s_delay_alu instid0(VALU_DEP_1) | instskip(NEXT) | instid1(VALU_DEP_1)
	v_dual_lshlrev_b32 v7, v5, v3 :: v_dual_lshlrev_b32 v5, 23, v5
	v_lshrrev_b32_e32 v7, 4, v7
	s_delay_alu instid0(VALU_DEP_1) | instskip(SKIP_1) | instid1(VALU_DEP_2)
	v_sub_nc_u32_e32 v5, v7, v5
	v_ashrrev_i32_e32 v7, 8, v9
	v_add_nc_u32_e32 v5, 0x3c000000, v5
	s_delay_alu instid0(VALU_DEP_1) | instskip(NEXT) | instid1(VALU_DEP_1)
	v_and_or_b32 v5, 0x7f800000, v7, v5
	v_cndmask_b32_e32 v3, 0, v5, vcc_lo
	s_delay_alu instid0(VALU_DEP_1) | instskip(NEXT) | instid1(VALU_DEP_1)
	v_and_or_b32 v1, 0x80000000, v1, v3
	v_cvt_i32_f32_e32 v12, v1
.LBB70_2202:
	s_mov_b32 s18, 0
.LBB70_2203:
	s_delay_alu instid0(SALU_CYCLE_1)
	s_and_not1_b32 vcc_lo, exec_lo, s18
	s_cbranch_vccnz .LBB70_2205
; %bb.2204:
	s_wait_loadcnt 0x0
	global_load_u8 v1, v[16:17], off
	s_wait_loadcnt 0x0
	v_lshlrev_b32_e32 v3, 25, v1
	v_lshlrev_b16 v1, 8, v1
	s_delay_alu instid0(VALU_DEP_1) | instskip(SKIP_1) | instid1(VALU_DEP_2)
	v_and_or_b32 v7, 0x7f00, v1, 0.5
	v_bfe_i32 v1, v1, 0, 16
	v_add_f32_e32 v7, -0.5, v7
	v_lshrrev_b32_e32 v5, 4, v3
	v_cmp_gt_u32_e32 vcc_lo, 0x8000000, v3
	s_delay_alu instid0(VALU_DEP_2) | instskip(NEXT) | instid1(VALU_DEP_1)
	v_or_b32_e32 v5, 0x70000000, v5
	v_mul_f32_e32 v5, 0x7800000, v5
	s_delay_alu instid0(VALU_DEP_1) | instskip(NEXT) | instid1(VALU_DEP_1)
	v_cndmask_b32_e32 v3, v5, v7, vcc_lo
	v_and_or_b32 v1, 0x80000000, v1, v3
	s_delay_alu instid0(VALU_DEP_1)
	v_cvt_i32_f32_e32 v12, v1
.LBB70_2205:
	s_mov_b32 s18, 0
	s_mov_b32 s19, -1
.LBB70_2206:
	s_and_not1_b32 vcc_lo, exec_lo, s18
	s_mov_b32 s18, 0
	s_cbranch_vccnz .LBB70_2217
; %bb.2207:
	s_cmp_gt_i32 s14, 14
	s_cbranch_scc0 .LBB70_2210
; %bb.2208:
	s_cmp_eq_u32 s14, 15
	s_cbranch_scc0 .LBB70_2213
; %bb.2209:
	s_wait_loadcnt 0x0
	global_load_u16 v1, v[16:17], off
	s_mov_b32 s17, 0
	s_mov_b32 s19, -1
	s_wait_loadcnt 0x0
	v_lshlrev_b32_e32 v1, 16, v1
	s_delay_alu instid0(VALU_DEP_1)
	v_cvt_i32_f32_e32 v12, v1
	s_branch .LBB70_2215
.LBB70_2210:
	s_mov_b32 s18, -1
	s_branch .LBB70_2214
.LBB70_2211:
	s_and_not1_saveexec_b32 s18, s18
	s_cbranch_execz .LBB70_2192
.LBB70_2212:
	v_cmp_ne_u16_e32 vcc_lo, 0, v1
	s_and_not1_b32 s19, s19, exec_lo
	s_and_b32 s20, vcc_lo, exec_lo
	s_delay_alu instid0(SALU_CYCLE_1)
	s_or_b32 s19, s19, s20
	s_or_b32 exec_lo, exec_lo, s18
	v_mov_b32_e32 v12, 0
	s_and_saveexec_b32 s18, s19
	s_cbranch_execnz .LBB70_2193
	s_branch .LBB70_2194
.LBB70_2213:
	s_mov_b32 s17, -1
.LBB70_2214:
                                        ; implicit-def: $vgpr12
.LBB70_2215:
	s_and_b32 vcc_lo, exec_lo, s18
	s_mov_b32 s18, 0
	s_cbranch_vccz .LBB70_2217
; %bb.2216:
	s_cmp_lg_u32 s14, 11
	s_mov_b32 s18, -1
	s_cselect_b32 s17, -1, 0
.LBB70_2217:
	s_delay_alu instid0(SALU_CYCLE_1)
	s_and_b32 vcc_lo, exec_lo, s17
	s_cbranch_vccnz .LBB70_2282
; %bb.2218:
	s_and_not1_b32 vcc_lo, exec_lo, s18
	s_cbranch_vccnz .LBB70_2220
.LBB70_2219:
	s_wait_loadcnt 0x0
	global_load_u8 v1, v[16:17], off
	s_mov_b32 s19, -1
	s_wait_loadcnt 0x0
	v_cmp_ne_u16_e32 vcc_lo, 0, v1
	v_cndmask_b32_e64 v12, 0, 1, vcc_lo
.LBB70_2220:
	s_mov_b32 s14, 0
.LBB70_2221:
	s_delay_alu instid0(SALU_CYCLE_1)
	s_and_b32 vcc_lo, exec_lo, s14
	s_cbranch_vccz .LBB70_2270
; %bb.2222:
	s_and_b32 s14, 0xffff, s1
	s_delay_alu instid0(SALU_CYCLE_1)
	s_cmp_lt_i32 s14, 5
	s_cbranch_scc1 .LBB70_2227
; %bb.2223:
	s_cmp_lt_i32 s14, 8
	s_cbranch_scc1 .LBB70_2228
; %bb.2224:
	;; [unrolled: 3-line block ×3, first 2 shown]
	s_cmp_gt_i32 s14, 9
	s_cbranch_scc0 .LBB70_2230
; %bb.2226:
	s_wait_loadcnt 0x0
	global_load_b64 v[12:13], v[16:17], off
	s_mov_b32 s17, 0
	s_wait_loadcnt 0x0
	v_cvt_i32_f64_e32 v12, v[12:13]
	s_branch .LBB70_2231
.LBB70_2227:
	s_mov_b32 s17, -1
                                        ; implicit-def: $vgpr12
	s_branch .LBB70_2249
.LBB70_2228:
	s_mov_b32 s17, -1
                                        ; implicit-def: $vgpr12
	s_branch .LBB70_2237
.LBB70_2229:
	s_mov_b32 s17, -1
                                        ; implicit-def: $vgpr12
	s_branch .LBB70_2234
.LBB70_2230:
	s_mov_b32 s17, -1
                                        ; implicit-def: $vgpr12
.LBB70_2231:
	s_delay_alu instid0(SALU_CYCLE_1)
	s_and_not1_b32 vcc_lo, exec_lo, s17
	s_cbranch_vccnz .LBB70_2233
; %bb.2232:
	s_wait_loadcnt 0x0
	global_load_b32 v1, v[16:17], off
	s_wait_loadcnt 0x0
	v_cvt_i32_f32_e32 v12, v1
.LBB70_2233:
	s_mov_b32 s17, 0
.LBB70_2234:
	s_delay_alu instid0(SALU_CYCLE_1)
	s_and_not1_b32 vcc_lo, exec_lo, s17
	s_cbranch_vccnz .LBB70_2236
; %bb.2235:
	s_wait_loadcnt 0x0
	global_load_b32 v1, v[16:17], off
	s_wait_loadcnt 0x0
	v_cvt_i16_f16_e32 v12, v1
.LBB70_2236:
	s_mov_b32 s17, 0
.LBB70_2237:
	s_delay_alu instid0(SALU_CYCLE_1)
	s_and_not1_b32 vcc_lo, exec_lo, s17
	s_cbranch_vccnz .LBB70_2248
; %bb.2238:
	s_cmp_lt_i32 s14, 6
	s_cbranch_scc1 .LBB70_2241
; %bb.2239:
	s_cmp_gt_i32 s14, 6
	s_cbranch_scc0 .LBB70_2242
; %bb.2240:
	s_wait_loadcnt 0x0
	global_load_b64 v[12:13], v[16:17], off
	s_mov_b32 s17, 0
	s_wait_loadcnt 0x0
	v_cvt_i32_f64_e32 v12, v[12:13]
	s_branch .LBB70_2243
.LBB70_2241:
	s_mov_b32 s17, -1
                                        ; implicit-def: $vgpr12
	s_branch .LBB70_2246
.LBB70_2242:
	s_mov_b32 s17, -1
                                        ; implicit-def: $vgpr12
.LBB70_2243:
	s_delay_alu instid0(SALU_CYCLE_1)
	s_and_not1_b32 vcc_lo, exec_lo, s17
	s_cbranch_vccnz .LBB70_2245
; %bb.2244:
	s_wait_loadcnt 0x0
	global_load_b32 v1, v[16:17], off
	s_wait_loadcnt 0x0
	v_cvt_i32_f32_e32 v12, v1
.LBB70_2245:
	s_mov_b32 s17, 0
.LBB70_2246:
	s_delay_alu instid0(SALU_CYCLE_1)
	s_and_not1_b32 vcc_lo, exec_lo, s17
	s_cbranch_vccnz .LBB70_2248
; %bb.2247:
	s_wait_loadcnt 0x0
	global_load_u16 v1, v[16:17], off
	s_wait_loadcnt 0x0
	v_cvt_i16_f16_e32 v12, v1
.LBB70_2248:
	s_mov_b32 s17, 0
.LBB70_2249:
	s_delay_alu instid0(SALU_CYCLE_1)
	s_and_not1_b32 vcc_lo, exec_lo, s17
	s_cbranch_vccnz .LBB70_2269
; %bb.2250:
	s_cmp_lt_i32 s14, 2
	s_cbranch_scc1 .LBB70_2254
; %bb.2251:
	s_cmp_lt_i32 s14, 3
	s_cbranch_scc1 .LBB70_2255
; %bb.2252:
	s_cmp_gt_i32 s14, 3
	s_cbranch_scc0 .LBB70_2256
; %bb.2253:
	s_wait_loadcnt 0x0
	global_load_b64 v[12:13], v[16:17], off
	s_mov_b32 s17, 0
	s_branch .LBB70_2257
.LBB70_2254:
	s_mov_b32 s17, -1
                                        ; implicit-def: $vgpr12
	s_branch .LBB70_2263
.LBB70_2255:
	s_mov_b32 s17, -1
                                        ; implicit-def: $vgpr12
	s_branch .LBB70_2260
.LBB70_2256:
	s_mov_b32 s17, -1
                                        ; implicit-def: $vgpr12
.LBB70_2257:
	s_delay_alu instid0(SALU_CYCLE_1)
	s_and_not1_b32 vcc_lo, exec_lo, s17
	s_cbranch_vccnz .LBB70_2259
; %bb.2258:
	s_wait_loadcnt 0x0
	global_load_b32 v12, v[16:17], off
.LBB70_2259:
	s_mov_b32 s17, 0
.LBB70_2260:
	s_delay_alu instid0(SALU_CYCLE_1)
	s_and_not1_b32 vcc_lo, exec_lo, s17
	s_cbranch_vccnz .LBB70_2262
; %bb.2261:
	s_wait_loadcnt 0x0
	global_load_u16 v12, v[16:17], off
.LBB70_2262:
	s_mov_b32 s17, 0
.LBB70_2263:
	s_delay_alu instid0(SALU_CYCLE_1)
	s_and_not1_b32 vcc_lo, exec_lo, s17
	s_cbranch_vccnz .LBB70_2269
; %bb.2264:
	s_cmp_gt_i32 s14, 0
	s_mov_b32 s14, 0
	s_cbranch_scc0 .LBB70_2266
; %bb.2265:
	s_wait_loadcnt 0x0
	global_load_i8 v12, v[16:17], off
	s_branch .LBB70_2267
.LBB70_2266:
	s_mov_b32 s14, -1
                                        ; implicit-def: $vgpr12
.LBB70_2267:
	s_delay_alu instid0(SALU_CYCLE_1)
	s_and_not1_b32 vcc_lo, exec_lo, s14
	s_cbranch_vccnz .LBB70_2269
; %bb.2268:
	s_wait_loadcnt 0x0
	global_load_u8 v12, v[16:17], off
.LBB70_2269:
	s_mov_b32 s19, -1
.LBB70_2270:
	s_delay_alu instid0(SALU_CYCLE_1)
	s_and_not1_b32 vcc_lo, exec_lo, s19
	s_cbranch_vccnz .LBB70_2957
; %bb.2271:
	v_add_nc_u32_e32 v10, s9, v10
	s_cmp_lt_i32 s0, 11
	s_delay_alu instid0(VALU_DEP_1) | instskip(SKIP_1) | instid1(VALU_DEP_1)
	v_ashrrev_i32_e32 v11, 31, v10
	s_wait_xcnt 0x0
	v_add_nc_u64_e32 v[16:17], s[6:7], v[10:11]
	s_cbranch_scc1 .LBB70_2278
; %bb.2272:
	s_and_b32 s6, 0xffff, s0
	s_mov_b32 s9, 0
	s_cmp_gt_i32 s6, 25
	s_cbranch_scc0 .LBB70_2279
; %bb.2273:
	s_cmp_gt_i32 s6, 28
	s_cbranch_scc0 .LBB70_2280
; %bb.2274:
	s_cmp_gt_i32 s6, 43
	s_cbranch_scc0 .LBB70_2281
; %bb.2275:
	s_cmp_gt_i32 s6, 45
	s_cbranch_scc0 .LBB70_2283
; %bb.2276:
	s_cmp_eq_u32 s6, 46
	s_mov_b32 s17, 0
	s_cbranch_scc0 .LBB70_2284
; %bb.2277:
	s_wait_loadcnt 0x0
	global_load_b32 v1, v[16:17], off
	s_mov_b32 s7, 0
	s_mov_b32 s14, -1
	s_wait_loadcnt 0x0
	v_lshlrev_b32_e32 v1, 16, v1
	s_delay_alu instid0(VALU_DEP_1)
	v_cvt_i32_f32_e32 v10, v1
	s_branch .LBB70_2286
.LBB70_2278:
	s_mov_b32 s6, -1
	s_mov_b32 s14, 0
                                        ; implicit-def: $vgpr10
	s_branch .LBB70_2348
.LBB70_2279:
	s_mov_b32 s17, -1
	s_mov_b32 s14, 0
	s_mov_b32 s7, 0
                                        ; implicit-def: $vgpr10
	s_branch .LBB70_2313
.LBB70_2280:
	s_mov_b32 s17, -1
	s_mov_b32 s14, 0
	s_mov_b32 s7, 0
                                        ; implicit-def: $vgpr10
	s_branch .LBB70_2296
.LBB70_2281:
	s_mov_b32 s17, -1
	s_mov_b32 s14, 0
	s_mov_b32 s7, 0
                                        ; implicit-def: $vgpr10
	s_branch .LBB70_2291
.LBB70_2282:
	s_or_b32 s13, s13, exec_lo
	s_trap 2
	s_cbranch_execz .LBB70_2219
	s_branch .LBB70_2220
.LBB70_2283:
	s_mov_b32 s17, -1
	s_mov_b32 s14, 0
	s_mov_b32 s7, 0
	s_branch .LBB70_2285
.LBB70_2284:
	s_mov_b32 s7, -1
	s_mov_b32 s14, 0
.LBB70_2285:
                                        ; implicit-def: $vgpr10
.LBB70_2286:
	s_and_b32 vcc_lo, exec_lo, s17
	s_cbranch_vccz .LBB70_2290
; %bb.2287:
	s_cmp_eq_u32 s6, 44
	s_cbranch_scc0 .LBB70_2289
; %bb.2288:
	s_wait_loadcnt 0x0
	global_load_u8 v1, v[16:17], off
	s_mov_b32 s7, 0
	s_mov_b32 s14, -1
	s_wait_loadcnt 0x0
	v_lshlrev_b32_e32 v3, 23, v1
	v_cmp_ne_u32_e32 vcc_lo, 0, v1
	s_delay_alu instid0(VALU_DEP_2) | instskip(NEXT) | instid1(VALU_DEP_1)
	v_cvt_i32_f32_e32 v3, v3
	v_cndmask_b32_e32 v10, 0, v3, vcc_lo
	s_branch .LBB70_2290
.LBB70_2289:
	s_mov_b32 s7, -1
                                        ; implicit-def: $vgpr10
.LBB70_2290:
	s_mov_b32 s17, 0
.LBB70_2291:
	s_delay_alu instid0(SALU_CYCLE_1)
	s_and_b32 vcc_lo, exec_lo, s17
	s_cbranch_vccz .LBB70_2295
; %bb.2292:
	s_cmp_eq_u32 s6, 29
	s_cbranch_scc0 .LBB70_2294
; %bb.2293:
	global_load_b64 v[10:11], v[16:17], off
	s_mov_b32 s7, 0
	s_mov_b32 s14, -1
	s_branch .LBB70_2295
.LBB70_2294:
	s_mov_b32 s7, -1
                                        ; implicit-def: $vgpr10
.LBB70_2295:
	s_mov_b32 s17, 0
.LBB70_2296:
	s_delay_alu instid0(SALU_CYCLE_1)
	s_and_b32 vcc_lo, exec_lo, s17
	s_cbranch_vccz .LBB70_2312
; %bb.2297:
	s_cmp_lt_i32 s6, 27
	s_cbranch_scc1 .LBB70_2300
; %bb.2298:
	s_cmp_gt_i32 s6, 27
	s_cbranch_scc0 .LBB70_2301
; %bb.2299:
	s_wait_loadcnt 0x0
	global_load_b32 v10, v[16:17], off
	s_mov_b32 s14, 0
	s_branch .LBB70_2302
.LBB70_2300:
	s_mov_b32 s14, -1
                                        ; implicit-def: $vgpr10
	s_branch .LBB70_2305
.LBB70_2301:
	s_mov_b32 s14, -1
                                        ; implicit-def: $vgpr10
.LBB70_2302:
	s_delay_alu instid0(SALU_CYCLE_1)
	s_and_not1_b32 vcc_lo, exec_lo, s14
	s_cbranch_vccnz .LBB70_2304
; %bb.2303:
	s_wait_loadcnt 0x0
	global_load_u16 v10, v[16:17], off
.LBB70_2304:
	s_mov_b32 s14, 0
.LBB70_2305:
	s_delay_alu instid0(SALU_CYCLE_1)
	s_and_not1_b32 vcc_lo, exec_lo, s14
	s_cbranch_vccnz .LBB70_2311
; %bb.2306:
	s_wait_loadcnt 0x0
	global_load_u8 v1, v[16:17], off
	s_mov_b32 s17, 0
	s_mov_b32 s14, exec_lo
	s_wait_loadcnt 0x0
	v_cmpx_lt_i16_e32 0x7f, v1
	s_xor_b32 s14, exec_lo, s14
	s_cbranch_execz .LBB70_2323
; %bb.2307:
	v_cmp_ne_u16_e32 vcc_lo, 0x80, v1
	s_and_b32 s17, vcc_lo, exec_lo
	s_and_not1_saveexec_b32 s14, s14
	s_cbranch_execnz .LBB70_2324
.LBB70_2308:
	s_or_b32 exec_lo, exec_lo, s14
	v_mov_b32_e32 v10, 0
	s_and_saveexec_b32 s14, s17
	s_cbranch_execz .LBB70_2310
.LBB70_2309:
	v_and_b32_e32 v3, 0xffff, v1
	s_delay_alu instid0(VALU_DEP_1) | instskip(SKIP_1) | instid1(VALU_DEP_2)
	v_dual_lshlrev_b32 v1, 24, v1 :: v_dual_bitop2_b32 v5, 7, v3 bitop3:0x40
	v_bfe_u32 v10, v3, 3, 4
	v_and_b32_e32 v1, 0x80000000, v1
	s_delay_alu instid0(VALU_DEP_3) | instskip(NEXT) | instid1(VALU_DEP_3)
	v_clz_i32_u32_e32 v7, v5
	v_cmp_eq_u32_e32 vcc_lo, 0, v10
	s_delay_alu instid0(VALU_DEP_2) | instskip(NEXT) | instid1(VALU_DEP_1)
	v_min_u32_e32 v7, 32, v7
	v_subrev_nc_u32_e32 v9, 28, v7
	v_sub_nc_u32_e32 v7, 29, v7
	s_delay_alu instid0(VALU_DEP_2) | instskip(NEXT) | instid1(VALU_DEP_2)
	v_lshlrev_b32_e32 v3, v9, v3
	v_cndmask_b32_e32 v7, v10, v7, vcc_lo
	s_delay_alu instid0(VALU_DEP_2) | instskip(NEXT) | instid1(VALU_DEP_1)
	v_and_b32_e32 v3, 7, v3
	v_cndmask_b32_e32 v3, v5, v3, vcc_lo
	s_delay_alu instid0(VALU_DEP_3) | instskip(NEXT) | instid1(VALU_DEP_2)
	v_lshl_add_u32 v5, v7, 23, 0x3b800000
	v_lshlrev_b32_e32 v3, 20, v3
	s_delay_alu instid0(VALU_DEP_1) | instskip(NEXT) | instid1(VALU_DEP_1)
	v_or3_b32 v1, v1, v5, v3
	v_cvt_i32_f32_e32 v10, v1
.LBB70_2310:
	s_or_b32 exec_lo, exec_lo, s14
.LBB70_2311:
	s_mov_b32 s14, -1
.LBB70_2312:
	s_mov_b32 s17, 0
.LBB70_2313:
	s_delay_alu instid0(SALU_CYCLE_1)
	s_and_b32 vcc_lo, exec_lo, s17
	s_cbranch_vccz .LBB70_2344
; %bb.2314:
	s_cmp_gt_i32 s6, 22
	s_cbranch_scc0 .LBB70_2322
; %bb.2315:
	s_cmp_lt_i32 s6, 24
	s_cbranch_scc1 .LBB70_2325
; %bb.2316:
	s_cmp_gt_i32 s6, 24
	s_cbranch_scc0 .LBB70_2326
; %bb.2317:
	s_wait_loadcnt 0x0
	global_load_u8 v1, v[16:17], off
	s_mov_b32 s14, 0
	s_mov_b32 s9, exec_lo
	s_wait_loadcnt 0x0
	v_cmpx_lt_i16_e32 0x7f, v1
	s_xor_b32 s9, exec_lo, s9
	s_cbranch_execz .LBB70_2338
; %bb.2318:
	v_cmp_ne_u16_e32 vcc_lo, 0x80, v1
	s_and_b32 s14, vcc_lo, exec_lo
	s_and_not1_saveexec_b32 s9, s9
	s_cbranch_execnz .LBB70_2339
.LBB70_2319:
	s_or_b32 exec_lo, exec_lo, s9
	v_mov_b32_e32 v10, 0
	s_and_saveexec_b32 s9, s14
	s_cbranch_execz .LBB70_2321
.LBB70_2320:
	v_and_b32_e32 v3, 0xffff, v1
	s_delay_alu instid0(VALU_DEP_1) | instskip(SKIP_1) | instid1(VALU_DEP_2)
	v_dual_lshlrev_b32 v1, 24, v1 :: v_dual_bitop2_b32 v5, 3, v3 bitop3:0x40
	v_bfe_u32 v10, v3, 2, 5
	v_and_b32_e32 v1, 0x80000000, v1
	s_delay_alu instid0(VALU_DEP_3) | instskip(NEXT) | instid1(VALU_DEP_3)
	v_clz_i32_u32_e32 v7, v5
	v_cmp_eq_u32_e32 vcc_lo, 0, v10
	s_delay_alu instid0(VALU_DEP_2) | instskip(NEXT) | instid1(VALU_DEP_1)
	v_min_u32_e32 v7, 32, v7
	v_subrev_nc_u32_e32 v9, 29, v7
	v_sub_nc_u32_e32 v7, 30, v7
	s_delay_alu instid0(VALU_DEP_2) | instskip(NEXT) | instid1(VALU_DEP_2)
	v_lshlrev_b32_e32 v3, v9, v3
	v_cndmask_b32_e32 v7, v10, v7, vcc_lo
	s_delay_alu instid0(VALU_DEP_2) | instskip(NEXT) | instid1(VALU_DEP_1)
	v_and_b32_e32 v3, 3, v3
	v_cndmask_b32_e32 v3, v5, v3, vcc_lo
	s_delay_alu instid0(VALU_DEP_3) | instskip(NEXT) | instid1(VALU_DEP_2)
	v_lshl_add_u32 v5, v7, 23, 0x37800000
	v_lshlrev_b32_e32 v3, 21, v3
	s_delay_alu instid0(VALU_DEP_1) | instskip(NEXT) | instid1(VALU_DEP_1)
	v_or3_b32 v1, v1, v5, v3
	v_cvt_i32_f32_e32 v10, v1
.LBB70_2321:
	s_or_b32 exec_lo, exec_lo, s9
	s_mov_b32 s9, 0
	s_branch .LBB70_2327
.LBB70_2322:
	s_mov_b32 s9, -1
                                        ; implicit-def: $vgpr10
	s_branch .LBB70_2333
.LBB70_2323:
	s_and_not1_saveexec_b32 s14, s14
	s_cbranch_execz .LBB70_2308
.LBB70_2324:
	v_cmp_ne_u16_e32 vcc_lo, 0, v1
	s_and_not1_b32 s17, s17, exec_lo
	s_and_b32 s18, vcc_lo, exec_lo
	s_delay_alu instid0(SALU_CYCLE_1)
	s_or_b32 s17, s17, s18
	s_or_b32 exec_lo, exec_lo, s14
	v_mov_b32_e32 v10, 0
	s_and_saveexec_b32 s14, s17
	s_cbranch_execnz .LBB70_2309
	s_branch .LBB70_2310
.LBB70_2325:
	s_mov_b32 s9, -1
                                        ; implicit-def: $vgpr10
	s_branch .LBB70_2330
.LBB70_2326:
	s_mov_b32 s9, -1
                                        ; implicit-def: $vgpr10
.LBB70_2327:
	s_delay_alu instid0(SALU_CYCLE_1)
	s_and_b32 vcc_lo, exec_lo, s9
	s_cbranch_vccz .LBB70_2329
; %bb.2328:
	s_wait_loadcnt 0x0
	global_load_u8 v1, v[16:17], off
	s_wait_loadcnt 0x0
	v_lshlrev_b32_e32 v1, 24, v1
	s_delay_alu instid0(VALU_DEP_1) | instskip(NEXT) | instid1(VALU_DEP_1)
	v_and_b32_e32 v3, 0x7f000000, v1
	v_clz_i32_u32_e32 v5, v3
	v_add_nc_u32_e32 v9, 0x1000000, v3
	v_cmp_ne_u32_e32 vcc_lo, 0, v3
	s_delay_alu instid0(VALU_DEP_3) | instskip(NEXT) | instid1(VALU_DEP_1)
	v_min_u32_e32 v5, 32, v5
	v_sub_nc_u32_e64 v5, v5, 4 clamp
	s_delay_alu instid0(VALU_DEP_1) | instskip(NEXT) | instid1(VALU_DEP_1)
	v_dual_lshlrev_b32 v7, v5, v3 :: v_dual_lshlrev_b32 v5, 23, v5
	v_lshrrev_b32_e32 v7, 4, v7
	s_delay_alu instid0(VALU_DEP_1) | instskip(SKIP_1) | instid1(VALU_DEP_2)
	v_sub_nc_u32_e32 v5, v7, v5
	v_ashrrev_i32_e32 v7, 8, v9
	v_add_nc_u32_e32 v5, 0x3c000000, v5
	s_delay_alu instid0(VALU_DEP_1) | instskip(NEXT) | instid1(VALU_DEP_1)
	v_and_or_b32 v5, 0x7f800000, v7, v5
	v_cndmask_b32_e32 v3, 0, v5, vcc_lo
	s_delay_alu instid0(VALU_DEP_1) | instskip(NEXT) | instid1(VALU_DEP_1)
	v_and_or_b32 v1, 0x80000000, v1, v3
	v_cvt_i32_f32_e32 v10, v1
.LBB70_2329:
	s_mov_b32 s9, 0
.LBB70_2330:
	s_delay_alu instid0(SALU_CYCLE_1)
	s_and_not1_b32 vcc_lo, exec_lo, s9
	s_cbranch_vccnz .LBB70_2332
; %bb.2331:
	s_wait_loadcnt 0x0
	global_load_u8 v1, v[16:17], off
	s_wait_loadcnt 0x0
	v_lshlrev_b32_e32 v3, 25, v1
	v_lshlrev_b16 v1, 8, v1
	s_delay_alu instid0(VALU_DEP_1) | instskip(SKIP_1) | instid1(VALU_DEP_2)
	v_and_or_b32 v7, 0x7f00, v1, 0.5
	v_bfe_i32 v1, v1, 0, 16
	v_add_f32_e32 v7, -0.5, v7
	v_lshrrev_b32_e32 v5, 4, v3
	v_cmp_gt_u32_e32 vcc_lo, 0x8000000, v3
	s_delay_alu instid0(VALU_DEP_2) | instskip(NEXT) | instid1(VALU_DEP_1)
	v_or_b32_e32 v5, 0x70000000, v5
	v_mul_f32_e32 v5, 0x7800000, v5
	s_delay_alu instid0(VALU_DEP_1) | instskip(NEXT) | instid1(VALU_DEP_1)
	v_cndmask_b32_e32 v3, v5, v7, vcc_lo
	v_and_or_b32 v1, 0x80000000, v1, v3
	s_delay_alu instid0(VALU_DEP_1)
	v_cvt_i32_f32_e32 v10, v1
.LBB70_2332:
	s_mov_b32 s9, 0
	s_mov_b32 s14, -1
.LBB70_2333:
	s_and_not1_b32 vcc_lo, exec_lo, s9
	s_mov_b32 s9, 0
	s_cbranch_vccnz .LBB70_2344
; %bb.2334:
	s_cmp_gt_i32 s6, 14
	s_cbranch_scc0 .LBB70_2337
; %bb.2335:
	s_cmp_eq_u32 s6, 15
	s_cbranch_scc0 .LBB70_2340
; %bb.2336:
	s_wait_loadcnt 0x0
	global_load_u16 v1, v[16:17], off
	s_mov_b32 s7, 0
	s_mov_b32 s14, -1
	s_wait_loadcnt 0x0
	v_lshlrev_b32_e32 v1, 16, v1
	s_delay_alu instid0(VALU_DEP_1)
	v_cvt_i32_f32_e32 v10, v1
	s_branch .LBB70_2342
.LBB70_2337:
	s_mov_b32 s9, -1
	s_branch .LBB70_2341
.LBB70_2338:
	s_and_not1_saveexec_b32 s9, s9
	s_cbranch_execz .LBB70_2319
.LBB70_2339:
	v_cmp_ne_u16_e32 vcc_lo, 0, v1
	s_and_not1_b32 s14, s14, exec_lo
	s_and_b32 s17, vcc_lo, exec_lo
	s_delay_alu instid0(SALU_CYCLE_1)
	s_or_b32 s14, s14, s17
	s_or_b32 exec_lo, exec_lo, s9
	v_mov_b32_e32 v10, 0
	s_and_saveexec_b32 s9, s14
	s_cbranch_execnz .LBB70_2320
	s_branch .LBB70_2321
.LBB70_2340:
	s_mov_b32 s7, -1
.LBB70_2341:
                                        ; implicit-def: $vgpr10
.LBB70_2342:
	s_and_b32 vcc_lo, exec_lo, s9
	s_mov_b32 s9, 0
	s_cbranch_vccz .LBB70_2344
; %bb.2343:
	s_cmp_lg_u32 s6, 11
	s_mov_b32 s9, -1
	s_cselect_b32 s7, -1, 0
.LBB70_2344:
	s_delay_alu instid0(SALU_CYCLE_1)
	s_and_b32 vcc_lo, exec_lo, s7
	s_cbranch_vccnz .LBB70_2409
; %bb.2345:
	s_and_not1_b32 vcc_lo, exec_lo, s9
	s_cbranch_vccnz .LBB70_2347
.LBB70_2346:
	s_wait_loadcnt 0x0
	global_load_u8 v1, v[16:17], off
	s_mov_b32 s14, -1
	s_wait_loadcnt 0x0
	v_cmp_ne_u16_e32 vcc_lo, 0, v1
	v_cndmask_b32_e64 v10, 0, 1, vcc_lo
.LBB70_2347:
	s_mov_b32 s6, 0
.LBB70_2348:
	s_delay_alu instid0(SALU_CYCLE_1)
	s_and_b32 vcc_lo, exec_lo, s6
	s_cbranch_vccz .LBB70_2397
; %bb.2349:
	s_and_b32 s0, 0xffff, s0
	s_delay_alu instid0(SALU_CYCLE_1)
	s_cmp_lt_i32 s0, 5
	s_cbranch_scc1 .LBB70_2354
; %bb.2350:
	s_cmp_lt_i32 s0, 8
	s_cbranch_scc1 .LBB70_2355
; %bb.2351:
	;; [unrolled: 3-line block ×3, first 2 shown]
	s_cmp_gt_i32 s0, 9
	s_cbranch_scc0 .LBB70_2357
; %bb.2353:
	s_wait_loadcnt 0x0
	global_load_b64 v[10:11], v[16:17], off
	s_mov_b32 s6, 0
	s_wait_loadcnt 0x0
	v_cvt_i32_f64_e32 v10, v[10:11]
	s_branch .LBB70_2358
.LBB70_2354:
	s_mov_b32 s6, -1
                                        ; implicit-def: $vgpr10
	s_branch .LBB70_2376
.LBB70_2355:
	s_mov_b32 s6, -1
                                        ; implicit-def: $vgpr10
	s_branch .LBB70_2364
.LBB70_2356:
	s_mov_b32 s6, -1
                                        ; implicit-def: $vgpr10
	s_branch .LBB70_2361
.LBB70_2357:
	s_mov_b32 s6, -1
                                        ; implicit-def: $vgpr10
.LBB70_2358:
	s_delay_alu instid0(SALU_CYCLE_1)
	s_and_not1_b32 vcc_lo, exec_lo, s6
	s_cbranch_vccnz .LBB70_2360
; %bb.2359:
	s_wait_loadcnt 0x0
	global_load_b32 v1, v[16:17], off
	s_wait_loadcnt 0x0
	v_cvt_i32_f32_e32 v10, v1
.LBB70_2360:
	s_mov_b32 s6, 0
.LBB70_2361:
	s_delay_alu instid0(SALU_CYCLE_1)
	s_and_not1_b32 vcc_lo, exec_lo, s6
	s_cbranch_vccnz .LBB70_2363
; %bb.2362:
	s_wait_loadcnt 0x0
	global_load_b32 v1, v[16:17], off
	s_wait_loadcnt 0x0
	v_cvt_i16_f16_e32 v10, v1
.LBB70_2363:
	s_mov_b32 s6, 0
.LBB70_2364:
	s_delay_alu instid0(SALU_CYCLE_1)
	s_and_not1_b32 vcc_lo, exec_lo, s6
	s_cbranch_vccnz .LBB70_2375
; %bb.2365:
	s_cmp_lt_i32 s0, 6
	s_cbranch_scc1 .LBB70_2368
; %bb.2366:
	s_cmp_gt_i32 s0, 6
	s_cbranch_scc0 .LBB70_2369
; %bb.2367:
	s_wait_loadcnt 0x0
	global_load_b64 v[10:11], v[16:17], off
	s_mov_b32 s6, 0
	s_wait_loadcnt 0x0
	v_cvt_i32_f64_e32 v10, v[10:11]
	s_branch .LBB70_2370
.LBB70_2368:
	s_mov_b32 s6, -1
                                        ; implicit-def: $vgpr10
	s_branch .LBB70_2373
.LBB70_2369:
	s_mov_b32 s6, -1
                                        ; implicit-def: $vgpr10
.LBB70_2370:
	s_delay_alu instid0(SALU_CYCLE_1)
	s_and_not1_b32 vcc_lo, exec_lo, s6
	s_cbranch_vccnz .LBB70_2372
; %bb.2371:
	s_wait_loadcnt 0x0
	global_load_b32 v1, v[16:17], off
	s_wait_loadcnt 0x0
	v_cvt_i32_f32_e32 v10, v1
.LBB70_2372:
	s_mov_b32 s6, 0
.LBB70_2373:
	s_delay_alu instid0(SALU_CYCLE_1)
	s_and_not1_b32 vcc_lo, exec_lo, s6
	s_cbranch_vccnz .LBB70_2375
; %bb.2374:
	s_wait_loadcnt 0x0
	global_load_u16 v1, v[16:17], off
	s_wait_loadcnt 0x0
	v_cvt_i16_f16_e32 v10, v1
.LBB70_2375:
	s_mov_b32 s6, 0
.LBB70_2376:
	s_delay_alu instid0(SALU_CYCLE_1)
	s_and_not1_b32 vcc_lo, exec_lo, s6
	s_cbranch_vccnz .LBB70_2396
; %bb.2377:
	s_cmp_lt_i32 s0, 2
	s_cbranch_scc1 .LBB70_2381
; %bb.2378:
	s_cmp_lt_i32 s0, 3
	s_cbranch_scc1 .LBB70_2382
; %bb.2379:
	s_cmp_gt_i32 s0, 3
	s_cbranch_scc0 .LBB70_2383
; %bb.2380:
	s_wait_loadcnt 0x0
	global_load_b64 v[10:11], v[16:17], off
	s_mov_b32 s6, 0
	s_branch .LBB70_2384
.LBB70_2381:
	s_mov_b32 s6, -1
                                        ; implicit-def: $vgpr10
	s_branch .LBB70_2390
.LBB70_2382:
	s_mov_b32 s6, -1
                                        ; implicit-def: $vgpr10
	s_branch .LBB70_2387
.LBB70_2383:
	s_mov_b32 s6, -1
                                        ; implicit-def: $vgpr10
.LBB70_2384:
	s_delay_alu instid0(SALU_CYCLE_1)
	s_and_not1_b32 vcc_lo, exec_lo, s6
	s_cbranch_vccnz .LBB70_2386
; %bb.2385:
	s_wait_loadcnt 0x0
	global_load_b32 v10, v[16:17], off
.LBB70_2386:
	s_mov_b32 s6, 0
.LBB70_2387:
	s_delay_alu instid0(SALU_CYCLE_1)
	s_and_not1_b32 vcc_lo, exec_lo, s6
	s_cbranch_vccnz .LBB70_2389
; %bb.2388:
	s_wait_loadcnt 0x0
	global_load_u16 v10, v[16:17], off
.LBB70_2389:
	s_mov_b32 s6, 0
.LBB70_2390:
	s_delay_alu instid0(SALU_CYCLE_1)
	s_and_not1_b32 vcc_lo, exec_lo, s6
	s_cbranch_vccnz .LBB70_2396
; %bb.2391:
	s_cmp_gt_i32 s0, 0
	s_mov_b32 s0, 0
	s_cbranch_scc0 .LBB70_2393
; %bb.2392:
	s_wait_loadcnt 0x0
	global_load_i8 v10, v[16:17], off
	s_branch .LBB70_2394
.LBB70_2393:
	s_mov_b32 s0, -1
                                        ; implicit-def: $vgpr10
.LBB70_2394:
	s_delay_alu instid0(SALU_CYCLE_1)
	s_and_not1_b32 vcc_lo, exec_lo, s0
	s_cbranch_vccnz .LBB70_2396
; %bb.2395:
	s_wait_loadcnt 0x0
	global_load_u8 v10, v[16:17], off
.LBB70_2396:
	s_mov_b32 s14, -1
.LBB70_2397:
	s_delay_alu instid0(SALU_CYCLE_1)
	s_and_not1_b32 vcc_lo, exec_lo, s14
	s_cbranch_vccnz .LBB70_2957
; %bb.2398:
	v_add_nc_u32_e32 v14, s10, v14
	s_cmp_lt_i32 s1, 11
	s_delay_alu instid0(VALU_DEP_1) | instskip(SKIP_1) | instid1(VALU_DEP_1)
	v_ashrrev_i32_e32 v15, 31, v14
	s_wait_xcnt 0x0
	v_add_nc_u64_e32 v[16:17], s[2:3], v[14:15]
	s_cbranch_scc1 .LBB70_2405
; %bb.2399:
	s_and_b32 s0, 0xffff, s1
	s_mov_b32 s3, 0
	s_cmp_gt_i32 s0, 25
	s_cbranch_scc0 .LBB70_2406
; %bb.2400:
	s_cmp_gt_i32 s0, 28
	s_cbranch_scc0 .LBB70_2407
; %bb.2401:
	;; [unrolled: 3-line block ×4, first 2 shown]
	s_cmp_eq_u32 s0, 46
	s_mov_b32 s7, 0
	s_cbranch_scc0 .LBB70_2411
; %bb.2404:
	s_wait_loadcnt 0x0
	global_load_b32 v1, v[16:17], off
	s_mov_b32 s2, 0
	s_mov_b32 s6, -1
	s_wait_loadcnt 0x0
	v_lshlrev_b32_e32 v1, 16, v1
	s_delay_alu instid0(VALU_DEP_1)
	v_cvt_i32_f32_e32 v14, v1
	s_branch .LBB70_2413
.LBB70_2405:
	s_mov_b32 s0, -1
	s_mov_b32 s6, 0
                                        ; implicit-def: $vgpr14
	s_branch .LBB70_2475
.LBB70_2406:
	s_mov_b32 s7, -1
	s_mov_b32 s6, 0
	s_mov_b32 s2, 0
                                        ; implicit-def: $vgpr14
	s_branch .LBB70_2440
.LBB70_2407:
	s_mov_b32 s7, -1
	s_mov_b32 s6, 0
	s_mov_b32 s2, 0
                                        ; implicit-def: $vgpr14
	s_branch .LBB70_2423
.LBB70_2408:
	s_mov_b32 s7, -1
	s_mov_b32 s6, 0
	s_mov_b32 s2, 0
                                        ; implicit-def: $vgpr14
	s_branch .LBB70_2418
.LBB70_2409:
	s_or_b32 s13, s13, exec_lo
	s_trap 2
	s_cbranch_execz .LBB70_2346
	s_branch .LBB70_2347
.LBB70_2410:
	s_mov_b32 s7, -1
	s_mov_b32 s6, 0
	s_mov_b32 s2, 0
	s_branch .LBB70_2412
.LBB70_2411:
	s_mov_b32 s2, -1
	s_mov_b32 s6, 0
.LBB70_2412:
                                        ; implicit-def: $vgpr14
.LBB70_2413:
	s_and_b32 vcc_lo, exec_lo, s7
	s_cbranch_vccz .LBB70_2417
; %bb.2414:
	s_cmp_eq_u32 s0, 44
	s_cbranch_scc0 .LBB70_2416
; %bb.2415:
	s_wait_loadcnt 0x0
	global_load_u8 v1, v[16:17], off
	s_mov_b32 s2, 0
	s_mov_b32 s6, -1
	s_wait_loadcnt 0x0
	v_lshlrev_b32_e32 v3, 23, v1
	v_cmp_ne_u32_e32 vcc_lo, 0, v1
	s_delay_alu instid0(VALU_DEP_2) | instskip(NEXT) | instid1(VALU_DEP_1)
	v_cvt_i32_f32_e32 v3, v3
	v_cndmask_b32_e32 v14, 0, v3, vcc_lo
	s_branch .LBB70_2417
.LBB70_2416:
	s_mov_b32 s2, -1
                                        ; implicit-def: $vgpr14
.LBB70_2417:
	s_mov_b32 s7, 0
.LBB70_2418:
	s_delay_alu instid0(SALU_CYCLE_1)
	s_and_b32 vcc_lo, exec_lo, s7
	s_cbranch_vccz .LBB70_2422
; %bb.2419:
	s_cmp_eq_u32 s0, 29
	s_cbranch_scc0 .LBB70_2421
; %bb.2420:
	global_load_b64 v[14:15], v[16:17], off
	s_mov_b32 s2, 0
	s_mov_b32 s6, -1
	s_branch .LBB70_2422
.LBB70_2421:
	s_mov_b32 s2, -1
                                        ; implicit-def: $vgpr14
.LBB70_2422:
	s_mov_b32 s7, 0
.LBB70_2423:
	s_delay_alu instid0(SALU_CYCLE_1)
	s_and_b32 vcc_lo, exec_lo, s7
	s_cbranch_vccz .LBB70_2439
; %bb.2424:
	s_cmp_lt_i32 s0, 27
	s_cbranch_scc1 .LBB70_2427
; %bb.2425:
	s_cmp_gt_i32 s0, 27
	s_cbranch_scc0 .LBB70_2428
; %bb.2426:
	s_wait_loadcnt 0x0
	global_load_b32 v14, v[16:17], off
	s_mov_b32 s6, 0
	s_branch .LBB70_2429
.LBB70_2427:
	s_mov_b32 s6, -1
                                        ; implicit-def: $vgpr14
	s_branch .LBB70_2432
.LBB70_2428:
	s_mov_b32 s6, -1
                                        ; implicit-def: $vgpr14
.LBB70_2429:
	s_delay_alu instid0(SALU_CYCLE_1)
	s_and_not1_b32 vcc_lo, exec_lo, s6
	s_cbranch_vccnz .LBB70_2431
; %bb.2430:
	s_wait_loadcnt 0x0
	global_load_u16 v14, v[16:17], off
.LBB70_2431:
	s_mov_b32 s6, 0
.LBB70_2432:
	s_delay_alu instid0(SALU_CYCLE_1)
	s_and_not1_b32 vcc_lo, exec_lo, s6
	s_cbranch_vccnz .LBB70_2438
; %bb.2433:
	s_wait_loadcnt 0x0
	global_load_u8 v1, v[16:17], off
	s_mov_b32 s7, 0
	s_mov_b32 s6, exec_lo
	s_wait_loadcnt 0x0
	v_cmpx_lt_i16_e32 0x7f, v1
	s_xor_b32 s6, exec_lo, s6
	s_cbranch_execz .LBB70_2450
; %bb.2434:
	v_cmp_ne_u16_e32 vcc_lo, 0x80, v1
	s_and_b32 s7, vcc_lo, exec_lo
	s_and_not1_saveexec_b32 s6, s6
	s_cbranch_execnz .LBB70_2451
.LBB70_2435:
	s_or_b32 exec_lo, exec_lo, s6
	v_mov_b32_e32 v14, 0
	s_and_saveexec_b32 s6, s7
	s_cbranch_execz .LBB70_2437
.LBB70_2436:
	v_and_b32_e32 v3, 0xffff, v1
	s_delay_alu instid0(VALU_DEP_1) | instskip(SKIP_1) | instid1(VALU_DEP_2)
	v_dual_lshlrev_b32 v1, 24, v1 :: v_dual_bitop2_b32 v5, 7, v3 bitop3:0x40
	v_bfe_u32 v11, v3, 3, 4
	v_and_b32_e32 v1, 0x80000000, v1
	s_delay_alu instid0(VALU_DEP_3) | instskip(NEXT) | instid1(VALU_DEP_3)
	v_clz_i32_u32_e32 v7, v5
	v_cmp_eq_u32_e32 vcc_lo, 0, v11
	s_delay_alu instid0(VALU_DEP_2) | instskip(NEXT) | instid1(VALU_DEP_1)
	v_min_u32_e32 v7, 32, v7
	v_subrev_nc_u32_e32 v9, 28, v7
	v_sub_nc_u32_e32 v7, 29, v7
	s_delay_alu instid0(VALU_DEP_2) | instskip(NEXT) | instid1(VALU_DEP_2)
	v_lshlrev_b32_e32 v3, v9, v3
	v_cndmask_b32_e32 v7, v11, v7, vcc_lo
	s_delay_alu instid0(VALU_DEP_2) | instskip(NEXT) | instid1(VALU_DEP_1)
	v_and_b32_e32 v3, 7, v3
	v_cndmask_b32_e32 v3, v5, v3, vcc_lo
	s_delay_alu instid0(VALU_DEP_3) | instskip(NEXT) | instid1(VALU_DEP_2)
	v_lshl_add_u32 v5, v7, 23, 0x3b800000
	v_lshlrev_b32_e32 v3, 20, v3
	s_delay_alu instid0(VALU_DEP_1) | instskip(NEXT) | instid1(VALU_DEP_1)
	v_or3_b32 v1, v1, v5, v3
	v_cvt_i32_f32_e32 v14, v1
.LBB70_2437:
	s_or_b32 exec_lo, exec_lo, s6
.LBB70_2438:
	s_mov_b32 s6, -1
.LBB70_2439:
	s_mov_b32 s7, 0
.LBB70_2440:
	s_delay_alu instid0(SALU_CYCLE_1)
	s_and_b32 vcc_lo, exec_lo, s7
	s_cbranch_vccz .LBB70_2471
; %bb.2441:
	s_cmp_gt_i32 s0, 22
	s_cbranch_scc0 .LBB70_2449
; %bb.2442:
	s_cmp_lt_i32 s0, 24
	s_cbranch_scc1 .LBB70_2452
; %bb.2443:
	s_cmp_gt_i32 s0, 24
	s_cbranch_scc0 .LBB70_2453
; %bb.2444:
	s_wait_loadcnt 0x0
	global_load_u8 v1, v[16:17], off
	s_mov_b32 s6, 0
	s_mov_b32 s3, exec_lo
	s_wait_loadcnt 0x0
	v_cmpx_lt_i16_e32 0x7f, v1
	s_xor_b32 s3, exec_lo, s3
	s_cbranch_execz .LBB70_2465
; %bb.2445:
	v_cmp_ne_u16_e32 vcc_lo, 0x80, v1
	s_and_b32 s6, vcc_lo, exec_lo
	s_and_not1_saveexec_b32 s3, s3
	s_cbranch_execnz .LBB70_2466
.LBB70_2446:
	s_or_b32 exec_lo, exec_lo, s3
	v_mov_b32_e32 v14, 0
	s_and_saveexec_b32 s3, s6
	s_cbranch_execz .LBB70_2448
.LBB70_2447:
	v_and_b32_e32 v3, 0xffff, v1
	s_delay_alu instid0(VALU_DEP_1) | instskip(SKIP_1) | instid1(VALU_DEP_2)
	v_dual_lshlrev_b32 v1, 24, v1 :: v_dual_bitop2_b32 v5, 3, v3 bitop3:0x40
	v_bfe_u32 v11, v3, 2, 5
	v_and_b32_e32 v1, 0x80000000, v1
	s_delay_alu instid0(VALU_DEP_3) | instskip(NEXT) | instid1(VALU_DEP_3)
	v_clz_i32_u32_e32 v7, v5
	v_cmp_eq_u32_e32 vcc_lo, 0, v11
	s_delay_alu instid0(VALU_DEP_2) | instskip(NEXT) | instid1(VALU_DEP_1)
	v_min_u32_e32 v7, 32, v7
	v_subrev_nc_u32_e32 v9, 29, v7
	v_sub_nc_u32_e32 v7, 30, v7
	s_delay_alu instid0(VALU_DEP_2) | instskip(NEXT) | instid1(VALU_DEP_2)
	v_lshlrev_b32_e32 v3, v9, v3
	v_cndmask_b32_e32 v7, v11, v7, vcc_lo
	s_delay_alu instid0(VALU_DEP_2) | instskip(NEXT) | instid1(VALU_DEP_1)
	v_and_b32_e32 v3, 3, v3
	v_cndmask_b32_e32 v3, v5, v3, vcc_lo
	s_delay_alu instid0(VALU_DEP_3) | instskip(NEXT) | instid1(VALU_DEP_2)
	v_lshl_add_u32 v5, v7, 23, 0x37800000
	v_lshlrev_b32_e32 v3, 21, v3
	s_delay_alu instid0(VALU_DEP_1) | instskip(NEXT) | instid1(VALU_DEP_1)
	v_or3_b32 v1, v1, v5, v3
	v_cvt_i32_f32_e32 v14, v1
.LBB70_2448:
	s_or_b32 exec_lo, exec_lo, s3
	s_mov_b32 s3, 0
	s_branch .LBB70_2454
.LBB70_2449:
	s_mov_b32 s3, -1
                                        ; implicit-def: $vgpr14
	s_branch .LBB70_2460
.LBB70_2450:
	s_and_not1_saveexec_b32 s6, s6
	s_cbranch_execz .LBB70_2435
.LBB70_2451:
	v_cmp_ne_u16_e32 vcc_lo, 0, v1
	s_and_not1_b32 s7, s7, exec_lo
	s_and_b32 s9, vcc_lo, exec_lo
	s_delay_alu instid0(SALU_CYCLE_1)
	s_or_b32 s7, s7, s9
	s_or_b32 exec_lo, exec_lo, s6
	v_mov_b32_e32 v14, 0
	s_and_saveexec_b32 s6, s7
	s_cbranch_execnz .LBB70_2436
	s_branch .LBB70_2437
.LBB70_2452:
	s_mov_b32 s3, -1
                                        ; implicit-def: $vgpr14
	s_branch .LBB70_2457
.LBB70_2453:
	s_mov_b32 s3, -1
                                        ; implicit-def: $vgpr14
.LBB70_2454:
	s_delay_alu instid0(SALU_CYCLE_1)
	s_and_b32 vcc_lo, exec_lo, s3
	s_cbranch_vccz .LBB70_2456
; %bb.2455:
	s_wait_loadcnt 0x0
	global_load_u8 v1, v[16:17], off
	s_wait_loadcnt 0x0
	v_lshlrev_b32_e32 v1, 24, v1
	s_delay_alu instid0(VALU_DEP_1) | instskip(NEXT) | instid1(VALU_DEP_1)
	v_and_b32_e32 v3, 0x7f000000, v1
	v_clz_i32_u32_e32 v5, v3
	v_add_nc_u32_e32 v9, 0x1000000, v3
	v_cmp_ne_u32_e32 vcc_lo, 0, v3
	s_delay_alu instid0(VALU_DEP_3) | instskip(NEXT) | instid1(VALU_DEP_1)
	v_min_u32_e32 v5, 32, v5
	v_sub_nc_u32_e64 v5, v5, 4 clamp
	s_delay_alu instid0(VALU_DEP_1) | instskip(NEXT) | instid1(VALU_DEP_1)
	v_dual_lshlrev_b32 v7, v5, v3 :: v_dual_lshlrev_b32 v5, 23, v5
	v_lshrrev_b32_e32 v7, 4, v7
	s_delay_alu instid0(VALU_DEP_1) | instskip(SKIP_1) | instid1(VALU_DEP_2)
	v_sub_nc_u32_e32 v5, v7, v5
	v_ashrrev_i32_e32 v7, 8, v9
	v_add_nc_u32_e32 v5, 0x3c000000, v5
	s_delay_alu instid0(VALU_DEP_1) | instskip(NEXT) | instid1(VALU_DEP_1)
	v_and_or_b32 v5, 0x7f800000, v7, v5
	v_cndmask_b32_e32 v3, 0, v5, vcc_lo
	s_delay_alu instid0(VALU_DEP_1) | instskip(NEXT) | instid1(VALU_DEP_1)
	v_and_or_b32 v1, 0x80000000, v1, v3
	v_cvt_i32_f32_e32 v14, v1
.LBB70_2456:
	s_mov_b32 s3, 0
.LBB70_2457:
	s_delay_alu instid0(SALU_CYCLE_1)
	s_and_not1_b32 vcc_lo, exec_lo, s3
	s_cbranch_vccnz .LBB70_2459
; %bb.2458:
	s_wait_loadcnt 0x0
	global_load_u8 v1, v[16:17], off
	s_wait_loadcnt 0x0
	v_lshlrev_b32_e32 v3, 25, v1
	v_lshlrev_b16 v1, 8, v1
	s_delay_alu instid0(VALU_DEP_1) | instskip(SKIP_1) | instid1(VALU_DEP_2)
	v_and_or_b32 v7, 0x7f00, v1, 0.5
	v_bfe_i32 v1, v1, 0, 16
	v_add_f32_e32 v7, -0.5, v7
	v_lshrrev_b32_e32 v5, 4, v3
	v_cmp_gt_u32_e32 vcc_lo, 0x8000000, v3
	s_delay_alu instid0(VALU_DEP_2) | instskip(NEXT) | instid1(VALU_DEP_1)
	v_or_b32_e32 v5, 0x70000000, v5
	v_mul_f32_e32 v5, 0x7800000, v5
	s_delay_alu instid0(VALU_DEP_1) | instskip(NEXT) | instid1(VALU_DEP_1)
	v_cndmask_b32_e32 v3, v5, v7, vcc_lo
	v_and_or_b32 v1, 0x80000000, v1, v3
	s_delay_alu instid0(VALU_DEP_1)
	v_cvt_i32_f32_e32 v14, v1
.LBB70_2459:
	s_mov_b32 s3, 0
	s_mov_b32 s6, -1
.LBB70_2460:
	s_and_not1_b32 vcc_lo, exec_lo, s3
	s_mov_b32 s3, 0
	s_cbranch_vccnz .LBB70_2471
; %bb.2461:
	s_cmp_gt_i32 s0, 14
	s_cbranch_scc0 .LBB70_2464
; %bb.2462:
	s_cmp_eq_u32 s0, 15
	s_cbranch_scc0 .LBB70_2467
; %bb.2463:
	s_wait_loadcnt 0x0
	global_load_u16 v1, v[16:17], off
	s_mov_b32 s2, 0
	s_mov_b32 s6, -1
	s_wait_loadcnt 0x0
	v_lshlrev_b32_e32 v1, 16, v1
	s_delay_alu instid0(VALU_DEP_1)
	v_cvt_i32_f32_e32 v14, v1
	s_branch .LBB70_2469
.LBB70_2464:
	s_mov_b32 s3, -1
	s_branch .LBB70_2468
.LBB70_2465:
	s_and_not1_saveexec_b32 s3, s3
	s_cbranch_execz .LBB70_2446
.LBB70_2466:
	v_cmp_ne_u16_e32 vcc_lo, 0, v1
	s_and_not1_b32 s6, s6, exec_lo
	s_and_b32 s7, vcc_lo, exec_lo
	s_delay_alu instid0(SALU_CYCLE_1)
	s_or_b32 s6, s6, s7
	s_or_b32 exec_lo, exec_lo, s3
	v_mov_b32_e32 v14, 0
	s_and_saveexec_b32 s3, s6
	s_cbranch_execnz .LBB70_2447
	s_branch .LBB70_2448
.LBB70_2467:
	s_mov_b32 s2, -1
.LBB70_2468:
                                        ; implicit-def: $vgpr14
.LBB70_2469:
	s_and_b32 vcc_lo, exec_lo, s3
	s_mov_b32 s3, 0
	s_cbranch_vccz .LBB70_2471
; %bb.2470:
	s_cmp_lg_u32 s0, 11
	s_mov_b32 s3, -1
	s_cselect_b32 s2, -1, 0
.LBB70_2471:
	s_delay_alu instid0(SALU_CYCLE_1)
	s_and_b32 vcc_lo, exec_lo, s2
	s_cbranch_vccnz .LBB70_3003
; %bb.2472:
	s_and_not1_b32 vcc_lo, exec_lo, s3
	s_cbranch_vccnz .LBB70_2474
.LBB70_2473:
	s_wait_loadcnt 0x0
	global_load_u8 v1, v[16:17], off
	s_mov_b32 s6, -1
	s_wait_loadcnt 0x0
	v_cmp_ne_u16_e32 vcc_lo, 0, v1
	v_cndmask_b32_e64 v14, 0, 1, vcc_lo
.LBB70_2474:
	s_mov_b32 s0, 0
.LBB70_2475:
	s_delay_alu instid0(SALU_CYCLE_1)
	s_and_b32 vcc_lo, exec_lo, s0
	s_cbranch_vccz .LBB70_2524
; %bb.2476:
	s_and_b32 s0, 0xffff, s1
	s_delay_alu instid0(SALU_CYCLE_1)
	s_cmp_lt_i32 s0, 5
	s_cbranch_scc1 .LBB70_2481
; %bb.2477:
	s_cmp_lt_i32 s0, 8
	s_cbranch_scc1 .LBB70_2482
; %bb.2478:
	;; [unrolled: 3-line block ×3, first 2 shown]
	s_cmp_gt_i32 s0, 9
	s_cbranch_scc0 .LBB70_2484
; %bb.2480:
	s_wait_loadcnt 0x0
	global_load_b64 v[14:15], v[16:17], off
	s_mov_b32 s1, 0
	s_wait_loadcnt 0x0
	v_cvt_i32_f64_e32 v14, v[14:15]
	s_branch .LBB70_2485
.LBB70_2481:
	s_mov_b32 s1, -1
                                        ; implicit-def: $vgpr14
	s_branch .LBB70_2503
.LBB70_2482:
	s_mov_b32 s1, -1
                                        ; implicit-def: $vgpr14
	s_branch .LBB70_2491
.LBB70_2483:
	s_mov_b32 s1, -1
                                        ; implicit-def: $vgpr14
	s_branch .LBB70_2488
.LBB70_2484:
	s_mov_b32 s1, -1
                                        ; implicit-def: $vgpr14
.LBB70_2485:
	s_delay_alu instid0(SALU_CYCLE_1)
	s_and_not1_b32 vcc_lo, exec_lo, s1
	s_cbranch_vccnz .LBB70_2487
; %bb.2486:
	s_wait_loadcnt 0x0
	global_load_b32 v1, v[16:17], off
	s_wait_loadcnt 0x0
	v_cvt_i32_f32_e32 v14, v1
.LBB70_2487:
	s_mov_b32 s1, 0
.LBB70_2488:
	s_delay_alu instid0(SALU_CYCLE_1)
	s_and_not1_b32 vcc_lo, exec_lo, s1
	s_cbranch_vccnz .LBB70_2490
; %bb.2489:
	s_wait_loadcnt 0x0
	global_load_b32 v1, v[16:17], off
	s_wait_loadcnt 0x0
	v_cvt_i16_f16_e32 v14, v1
.LBB70_2490:
	s_mov_b32 s1, 0
.LBB70_2491:
	s_delay_alu instid0(SALU_CYCLE_1)
	s_and_not1_b32 vcc_lo, exec_lo, s1
	s_cbranch_vccnz .LBB70_2502
; %bb.2492:
	s_cmp_lt_i32 s0, 6
	s_cbranch_scc1 .LBB70_2495
; %bb.2493:
	s_cmp_gt_i32 s0, 6
	s_cbranch_scc0 .LBB70_2496
; %bb.2494:
	s_wait_loadcnt 0x0
	global_load_b64 v[14:15], v[16:17], off
	s_mov_b32 s1, 0
	s_wait_loadcnt 0x0
	v_cvt_i32_f64_e32 v14, v[14:15]
	s_branch .LBB70_2497
.LBB70_2495:
	s_mov_b32 s1, -1
                                        ; implicit-def: $vgpr14
	s_branch .LBB70_2500
.LBB70_2496:
	s_mov_b32 s1, -1
                                        ; implicit-def: $vgpr14
.LBB70_2497:
	s_delay_alu instid0(SALU_CYCLE_1)
	s_and_not1_b32 vcc_lo, exec_lo, s1
	s_cbranch_vccnz .LBB70_2499
; %bb.2498:
	s_wait_loadcnt 0x0
	global_load_b32 v1, v[16:17], off
	s_wait_loadcnt 0x0
	v_cvt_i32_f32_e32 v14, v1
.LBB70_2499:
	s_mov_b32 s1, 0
.LBB70_2500:
	s_delay_alu instid0(SALU_CYCLE_1)
	s_and_not1_b32 vcc_lo, exec_lo, s1
	s_cbranch_vccnz .LBB70_2502
; %bb.2501:
	s_wait_loadcnt 0x0
	global_load_u16 v1, v[16:17], off
	s_wait_loadcnt 0x0
	v_cvt_i16_f16_e32 v14, v1
.LBB70_2502:
	s_mov_b32 s1, 0
.LBB70_2503:
	s_delay_alu instid0(SALU_CYCLE_1)
	s_and_not1_b32 vcc_lo, exec_lo, s1
	s_cbranch_vccnz .LBB70_2523
; %bb.2504:
	s_cmp_lt_i32 s0, 2
	s_cbranch_scc1 .LBB70_2508
; %bb.2505:
	s_cmp_lt_i32 s0, 3
	s_cbranch_scc1 .LBB70_2509
; %bb.2506:
	s_cmp_gt_i32 s0, 3
	s_cbranch_scc0 .LBB70_2510
; %bb.2507:
	s_wait_loadcnt 0x0
	global_load_b64 v[14:15], v[16:17], off
	s_mov_b32 s1, 0
	s_branch .LBB70_2511
.LBB70_2508:
	s_mov_b32 s1, -1
                                        ; implicit-def: $vgpr14
	s_branch .LBB70_2517
.LBB70_2509:
	s_mov_b32 s1, -1
                                        ; implicit-def: $vgpr14
	s_branch .LBB70_2514
.LBB70_2510:
	s_mov_b32 s1, -1
                                        ; implicit-def: $vgpr14
.LBB70_2511:
	s_delay_alu instid0(SALU_CYCLE_1)
	s_and_not1_b32 vcc_lo, exec_lo, s1
	s_cbranch_vccnz .LBB70_2513
; %bb.2512:
	s_wait_loadcnt 0x0
	global_load_b32 v14, v[16:17], off
.LBB70_2513:
	s_mov_b32 s1, 0
.LBB70_2514:
	s_delay_alu instid0(SALU_CYCLE_1)
	s_and_not1_b32 vcc_lo, exec_lo, s1
	s_cbranch_vccnz .LBB70_2516
; %bb.2515:
	s_wait_loadcnt 0x0
	global_load_u16 v14, v[16:17], off
.LBB70_2516:
	s_mov_b32 s1, 0
.LBB70_2517:
	s_delay_alu instid0(SALU_CYCLE_1)
	s_and_not1_b32 vcc_lo, exec_lo, s1
	s_cbranch_vccnz .LBB70_2523
; %bb.2518:
	s_cmp_gt_i32 s0, 0
	s_mov_b32 s0, 0
	s_cbranch_scc0 .LBB70_2520
; %bb.2519:
	s_wait_loadcnt 0x0
	global_load_i8 v14, v[16:17], off
	s_branch .LBB70_2521
.LBB70_2520:
	s_mov_b32 s0, -1
                                        ; implicit-def: $vgpr14
.LBB70_2521:
	s_delay_alu instid0(SALU_CYCLE_1)
	s_and_not1_b32 vcc_lo, exec_lo, s0
	s_cbranch_vccnz .LBB70_2523
; %bb.2522:
	s_wait_loadcnt 0x0
	global_load_u8 v14, v[16:17], off
.LBB70_2523:
	s_mov_b32 s6, -1
.LBB70_2524:
	s_delay_alu instid0(SALU_CYCLE_1)
	s_and_not1_b32 vcc_lo, exec_lo, s6
	s_cbranch_vccnz .LBB70_2957
; %bb.2525:
	s_wait_xcnt 0x0
	v_mul_lo_u32 v16, s8, v18
	s_wait_loadcnt 0x0
	v_cmp_ne_u16_e32 vcc_lo, v0, v4
	s_cmp_eq_u32 s11, 0
	s_mov_b32 s7, 0
	s_cselect_b32 s1, -1, 0
	s_and_b32 s17, s12, 0xff
	s_xor_b32 s2, s1, vcc_lo
	s_cmp_lt_i32 s17, 11
	s_mov_b32 s0, -1
	s_delay_alu instid0(VALU_DEP_2) | instskip(NEXT) | instid1(VALU_DEP_1)
	v_ashrrev_i32_e32 v17, 31, v16
	v_add_nc_u64_e32 v[0:1], s[4:5], v[16:17]
	s_cbranch_scc1 .LBB70_2604
; %bb.2526:
	s_and_b32 s3, 0xffff, s17
	s_mov_b32 s9, -1
	s_mov_b32 s6, 0
	s_cmp_gt_i32 s3, 25
	s_mov_b32 s0, 0
	s_cbranch_scc0 .LBB70_2559
; %bb.2527:
	s_cmp_gt_i32 s3, 28
	s_cbranch_scc0 .LBB70_2542
; %bb.2528:
	s_cmp_gt_i32 s3, 43
	;; [unrolled: 3-line block ×3, first 2 shown]
	s_cbranch_scc0 .LBB70_2532
; %bb.2530:
	s_mov_b32 s0, -1
	s_mov_b32 s9, 0
	s_cmp_eq_u32 s3, 46
	s_cbranch_scc0 .LBB70_2532
; %bb.2531:
	v_cndmask_b32_e64 v3, 0, 1.0, s2
	s_mov_b32 s0, 0
	s_mov_b32 s7, -1
	s_delay_alu instid0(VALU_DEP_1) | instskip(NEXT) | instid1(VALU_DEP_1)
	v_bfe_u32 v4, v3, 16, 1
	v_add3_u32 v3, v3, v4, 0x7fff
	s_delay_alu instid0(VALU_DEP_1)
	v_lshrrev_b32_e32 v3, 16, v3
	global_store_b32 v[0:1], v3, off
.LBB70_2532:
	s_and_b32 vcc_lo, exec_lo, s9
	s_cbranch_vccz .LBB70_2537
; %bb.2533:
	s_cmp_eq_u32 s3, 44
	s_mov_b32 s0, -1
	s_cbranch_scc0 .LBB70_2537
; %bb.2534:
	v_cndmask_b32_e64 v5, 0, 1.0, s2
	s_mov_b32 s7, exec_lo
	s_wait_xcnt 0x0
	s_delay_alu instid0(VALU_DEP_1) | instskip(NEXT) | instid1(VALU_DEP_1)
	v_dual_mov_b32 v4, 0xff :: v_dual_lshrrev_b32 v3, 23, v5
	v_cmpx_ne_u32_e32 0xff, v3
; %bb.2535:
	v_and_b32_e32 v4, 0x400000, v5
	v_and_or_b32 v5, 0x3fffff, v5, v3
	s_delay_alu instid0(VALU_DEP_2) | instskip(NEXT) | instid1(VALU_DEP_2)
	v_cmp_ne_u32_e32 vcc_lo, 0, v4
	v_cmp_ne_u32_e64 s0, 0, v5
	s_and_b32 s0, vcc_lo, s0
	s_delay_alu instid0(SALU_CYCLE_1) | instskip(NEXT) | instid1(VALU_DEP_1)
	v_cndmask_b32_e64 v4, 0, 1, s0
	v_add_nc_u32_e32 v4, v3, v4
; %bb.2536:
	s_or_b32 exec_lo, exec_lo, s7
	s_mov_b32 s0, 0
	s_mov_b32 s7, -1
	global_store_b8 v[0:1], v4, off
.LBB70_2537:
	s_mov_b32 s9, 0
.LBB70_2538:
	s_delay_alu instid0(SALU_CYCLE_1)
	s_and_b32 vcc_lo, exec_lo, s9
	s_cbranch_vccz .LBB70_2541
; %bb.2539:
	s_cmp_eq_u32 s3, 29
	s_mov_b32 s0, -1
	s_cbranch_scc0 .LBB70_2541
; %bb.2540:
	s_mov_b32 s0, 0
	s_wait_xcnt 0x0
	v_cndmask_b32_e64 v4, 0, 1, s2
	v_mov_b32_e32 v5, s0
	s_mov_b32 s7, -1
	global_store_b64 v[0:1], v[4:5], off
.LBB70_2541:
	s_mov_b32 s9, 0
.LBB70_2542:
	s_delay_alu instid0(SALU_CYCLE_1)
	s_and_b32 vcc_lo, exec_lo, s9
	s_cbranch_vccz .LBB70_2558
; %bb.2543:
	s_cmp_lt_i32 s3, 27
	s_mov_b32 s7, -1
	s_cbranch_scc1 .LBB70_2549
; %bb.2544:
	s_cmp_gt_i32 s3, 27
	s_cbranch_scc0 .LBB70_2546
; %bb.2545:
	s_wait_xcnt 0x0
	v_cndmask_b32_e64 v3, 0, 1, s2
	s_mov_b32 s7, 0
	global_store_b32 v[0:1], v3, off
.LBB70_2546:
	s_and_not1_b32 vcc_lo, exec_lo, s7
	s_cbranch_vccnz .LBB70_2548
; %bb.2547:
	s_wait_xcnt 0x0
	v_cndmask_b32_e64 v3, 0, 1, s2
	global_store_b16 v[0:1], v3, off
.LBB70_2548:
	s_mov_b32 s7, 0
.LBB70_2549:
	s_delay_alu instid0(SALU_CYCLE_1)
	s_and_not1_b32 vcc_lo, exec_lo, s7
	s_cbranch_vccnz .LBB70_2557
; %bb.2550:
	s_wait_xcnt 0x0
	v_cndmask_b32_e64 v4, 0, 1.0, s2
	v_mov_b32_e32 v5, 0x80
	s_mov_b32 s7, exec_lo
	s_delay_alu instid0(VALU_DEP_2)
	v_cmpx_gt_u32_e32 0x43800000, v4
	s_cbranch_execz .LBB70_2556
; %bb.2551:
	s_mov_b32 s9, 0
	s_mov_b32 s10, exec_lo
                                        ; implicit-def: $vgpr3
	v_cmpx_lt_u32_e32 0x3bffffff, v4
	s_xor_b32 s10, exec_lo, s10
	s_cbranch_execz .LBB70_3004
; %bb.2552:
	v_bfe_u32 v3, v4, 20, 1
	s_mov_b32 s9, exec_lo
	s_delay_alu instid0(VALU_DEP_1) | instskip(NEXT) | instid1(VALU_DEP_1)
	v_add3_u32 v3, v4, v3, 0x487ffff
                                        ; implicit-def: $vgpr4
	v_lshrrev_b32_e32 v3, 20, v3
	s_and_not1_saveexec_b32 s10, s10
	s_cbranch_execnz .LBB70_3005
.LBB70_2553:
	s_or_b32 exec_lo, exec_lo, s10
	v_mov_b32_e32 v5, 0
	s_and_saveexec_b32 s10, s9
.LBB70_2554:
	v_mov_b32_e32 v5, v3
.LBB70_2555:
	s_or_b32 exec_lo, exec_lo, s10
.LBB70_2556:
	s_delay_alu instid0(SALU_CYCLE_1)
	s_or_b32 exec_lo, exec_lo, s7
	global_store_b8 v[0:1], v5, off
.LBB70_2557:
	s_mov_b32 s7, -1
.LBB70_2558:
	s_mov_b32 s9, 0
.LBB70_2559:
	s_delay_alu instid0(SALU_CYCLE_1)
	s_and_b32 vcc_lo, exec_lo, s9
	s_cbranch_vccz .LBB70_2599
; %bb.2560:
	s_cmp_gt_i32 s3, 22
	s_mov_b32 s6, -1
	s_cbranch_scc0 .LBB70_2592
; %bb.2561:
	s_cmp_lt_i32 s3, 24
	s_cbranch_scc1 .LBB70_2581
; %bb.2562:
	s_cmp_gt_i32 s3, 24
	s_cbranch_scc0 .LBB70_2570
; %bb.2563:
	s_wait_xcnt 0x0
	v_cndmask_b32_e64 v4, 0, 1.0, s2
	v_mov_b32_e32 v5, 0x80
	s_mov_b32 s6, exec_lo
	s_delay_alu instid0(VALU_DEP_2)
	v_cmpx_gt_u32_e32 0x47800000, v4
	s_cbranch_execz .LBB70_2569
; %bb.2564:
	s_mov_b32 s7, 0
	s_mov_b32 s9, exec_lo
                                        ; implicit-def: $vgpr3
	v_cmpx_lt_u32_e32 0x37ffffff, v4
	s_xor_b32 s9, exec_lo, s9
	s_cbranch_execz .LBB70_3007
; %bb.2565:
	v_bfe_u32 v3, v4, 21, 1
	s_mov_b32 s7, exec_lo
	s_delay_alu instid0(VALU_DEP_1) | instskip(NEXT) | instid1(VALU_DEP_1)
	v_add3_u32 v3, v4, v3, 0x88fffff
                                        ; implicit-def: $vgpr4
	v_lshrrev_b32_e32 v3, 21, v3
	s_and_not1_saveexec_b32 s9, s9
	s_cbranch_execnz .LBB70_3008
.LBB70_2566:
	s_or_b32 exec_lo, exec_lo, s9
	v_mov_b32_e32 v5, 0
	s_and_saveexec_b32 s9, s7
.LBB70_2567:
	v_mov_b32_e32 v5, v3
.LBB70_2568:
	s_or_b32 exec_lo, exec_lo, s9
.LBB70_2569:
	s_delay_alu instid0(SALU_CYCLE_1)
	s_or_b32 exec_lo, exec_lo, s6
	s_mov_b32 s6, 0
	global_store_b8 v[0:1], v5, off
.LBB70_2570:
	s_and_b32 vcc_lo, exec_lo, s6
	s_cbranch_vccz .LBB70_2580
; %bb.2571:
	s_wait_xcnt 0x0
	v_cndmask_b32_e64 v4, 0, 1.0, s2
	s_mov_b32 s6, exec_lo
                                        ; implicit-def: $vgpr3
	s_delay_alu instid0(VALU_DEP_1)
	v_cmpx_gt_u32_e32 0x43f00000, v4
	s_xor_b32 s6, exec_lo, s6
	s_cbranch_execz .LBB70_2577
; %bb.2572:
	s_mov_b32 s7, exec_lo
                                        ; implicit-def: $vgpr3
	v_cmpx_lt_u32_e32 0x3c7fffff, v4
	s_xor_b32 s7, exec_lo, s7
; %bb.2573:
	v_bfe_u32 v3, v4, 20, 1
	s_delay_alu instid0(VALU_DEP_1) | instskip(NEXT) | instid1(VALU_DEP_1)
	v_add3_u32 v3, v4, v3, 0x407ffff
	v_and_b32_e32 v4, 0xff00000, v3
	v_lshrrev_b32_e32 v3, 20, v3
	s_delay_alu instid0(VALU_DEP_2) | instskip(NEXT) | instid1(VALU_DEP_2)
	v_cmp_ne_u32_e32 vcc_lo, 0x7f00000, v4
                                        ; implicit-def: $vgpr4
	v_cndmask_b32_e32 v3, 0x7e, v3, vcc_lo
; %bb.2574:
	s_and_not1_saveexec_b32 s7, s7
; %bb.2575:
	v_add_f32_e32 v3, 0x46800000, v4
; %bb.2576:
	s_or_b32 exec_lo, exec_lo, s7
                                        ; implicit-def: $vgpr4
.LBB70_2577:
	s_and_not1_saveexec_b32 s6, s6
; %bb.2578:
	v_mov_b32_e32 v3, 0x7f
	v_cmp_lt_u32_e32 vcc_lo, 0x7f800000, v4
	s_delay_alu instid0(VALU_DEP_2)
	v_cndmask_b32_e32 v3, 0x7e, v3, vcc_lo
; %bb.2579:
	s_or_b32 exec_lo, exec_lo, s6
	global_store_b8 v[0:1], v3, off
.LBB70_2580:
	s_mov_b32 s6, 0
.LBB70_2581:
	s_delay_alu instid0(SALU_CYCLE_1)
	s_and_not1_b32 vcc_lo, exec_lo, s6
	s_cbranch_vccnz .LBB70_2591
; %bb.2582:
	s_wait_xcnt 0x0
	v_cndmask_b32_e64 v4, 0, 1.0, s2
	s_mov_b32 s6, exec_lo
                                        ; implicit-def: $vgpr3
	s_delay_alu instid0(VALU_DEP_1)
	v_cmpx_gt_u32_e32 0x47800000, v4
	s_xor_b32 s6, exec_lo, s6
	s_cbranch_execz .LBB70_2588
; %bb.2583:
	s_mov_b32 s7, exec_lo
                                        ; implicit-def: $vgpr3
	v_cmpx_lt_u32_e32 0x387fffff, v4
	s_xor_b32 s7, exec_lo, s7
; %bb.2584:
	v_bfe_u32 v3, v4, 21, 1
	s_delay_alu instid0(VALU_DEP_1) | instskip(NEXT) | instid1(VALU_DEP_1)
	v_add3_u32 v3, v4, v3, 0x80fffff
                                        ; implicit-def: $vgpr4
	v_lshrrev_b32_e32 v3, 21, v3
; %bb.2585:
	s_and_not1_saveexec_b32 s7, s7
; %bb.2586:
	v_add_f32_e32 v3, 0x43000000, v4
; %bb.2587:
	s_or_b32 exec_lo, exec_lo, s7
                                        ; implicit-def: $vgpr4
.LBB70_2588:
	s_and_not1_saveexec_b32 s6, s6
; %bb.2589:
	v_mov_b32_e32 v3, 0x7f
	v_cmp_lt_u32_e32 vcc_lo, 0x7f800000, v4
	s_delay_alu instid0(VALU_DEP_2)
	v_cndmask_b32_e32 v3, 0x7c, v3, vcc_lo
; %bb.2590:
	s_or_b32 exec_lo, exec_lo, s6
	global_store_b8 v[0:1], v3, off
.LBB70_2591:
	s_mov_b32 s6, 0
	s_mov_b32 s7, -1
.LBB70_2592:
	s_and_not1_b32 vcc_lo, exec_lo, s6
	s_mov_b32 s6, 0
	s_cbranch_vccnz .LBB70_2599
; %bb.2593:
	s_cmp_gt_i32 s3, 14
	s_mov_b32 s6, -1
	s_cbranch_scc0 .LBB70_2597
; %bb.2594:
	s_cmp_eq_u32 s3, 15
	s_mov_b32 s0, -1
	s_cbranch_scc0 .LBB70_2596
; %bb.2595:
	s_wait_xcnt 0x0
	v_cndmask_b32_e64 v3, 0, 1.0, s2
	s_mov_b32 s0, 0
	s_mov_b32 s7, -1
	s_delay_alu instid0(VALU_DEP_1) | instskip(NEXT) | instid1(VALU_DEP_1)
	v_bfe_u32 v4, v3, 16, 1
	v_add3_u32 v3, v3, v4, 0x7fff
	global_store_d16_hi_b16 v[0:1], v3, off
.LBB70_2596:
	s_mov_b32 s6, 0
.LBB70_2597:
	s_delay_alu instid0(SALU_CYCLE_1)
	s_and_b32 vcc_lo, exec_lo, s6
	s_mov_b32 s6, 0
	s_cbranch_vccz .LBB70_2599
; %bb.2598:
	s_cmp_lg_u32 s3, 11
	s_mov_b32 s6, -1
	s_cselect_b32 s0, -1, 0
.LBB70_2599:
	s_delay_alu instid0(SALU_CYCLE_1)
	s_and_b32 vcc_lo, exec_lo, s0
	s_cbranch_vccnz .LBB70_3006
; %bb.2600:
	s_and_not1_b32 vcc_lo, exec_lo, s6
	s_cbranch_vccnz .LBB70_2602
.LBB70_2601:
	s_wait_xcnt 0x0
	v_cndmask_b32_e64 v3, 0, 1, s2
	s_mov_b32 s7, -1
	global_store_b8 v[0:1], v3, off
.LBB70_2602:
.LBB70_2603:
	s_and_not1_b32 vcc_lo, exec_lo, s7
	s_cbranch_vccnz .LBB70_2957
	s_branch .LBB70_2643
.LBB70_2604:
	s_and_b32 vcc_lo, exec_lo, s0
	s_cbranch_vccz .LBB70_2603
; %bb.2605:
	s_and_b32 s0, 0xffff, s17
	s_mov_b32 s3, -1
	s_cmp_lt_i32 s0, 5
	s_cbranch_scc1 .LBB70_2626
; %bb.2606:
	s_cmp_lt_i32 s0, 8
	s_cbranch_scc1 .LBB70_2616
; %bb.2607:
	;; [unrolled: 3-line block ×3, first 2 shown]
	s_cmp_gt_i32 s0, 9
	s_cbranch_scc0 .LBB70_2610
; %bb.2609:
	s_wait_xcnt 0x0
	v_cndmask_b32_e64 v3, 0, 1, s2
	v_mov_b32_e32 v20, 0
	s_mov_b32 s3, 0
	s_delay_alu instid0(VALU_DEP_2) | instskip(NEXT) | instid1(VALU_DEP_2)
	v_cvt_f64_u32_e32 v[18:19], v3
	v_mov_b32_e32 v21, v20
	global_store_b128 v[0:1], v[18:21], off
.LBB70_2610:
	s_and_not1_b32 vcc_lo, exec_lo, s3
	s_cbranch_vccnz .LBB70_2612
; %bb.2611:
	s_wait_xcnt 0x0
	v_cndmask_b32_e64 v4, 0, 1.0, s2
	v_mov_b32_e32 v5, 0
	global_store_b64 v[0:1], v[4:5], off
.LBB70_2612:
	s_mov_b32 s3, 0
.LBB70_2613:
	s_delay_alu instid0(SALU_CYCLE_1)
	s_and_not1_b32 vcc_lo, exec_lo, s3
	s_cbranch_vccnz .LBB70_2615
; %bb.2614:
	s_wait_xcnt 0x0
	v_cndmask_b32_e64 v3, 0, 1.0, s2
	s_delay_alu instid0(VALU_DEP_1) | instskip(NEXT) | instid1(VALU_DEP_1)
	v_cvt_f16_f32_e32 v3, v3
	v_and_b32_e32 v3, 0xffff, v3
	global_store_b32 v[0:1], v3, off
.LBB70_2615:
	s_mov_b32 s3, 0
.LBB70_2616:
	s_delay_alu instid0(SALU_CYCLE_1)
	s_and_not1_b32 vcc_lo, exec_lo, s3
	s_cbranch_vccnz .LBB70_2625
; %bb.2617:
	s_cmp_lt_i32 s0, 6
	s_mov_b32 s3, -1
	s_cbranch_scc1 .LBB70_2623
; %bb.2618:
	s_cmp_gt_i32 s0, 6
	s_cbranch_scc0 .LBB70_2620
; %bb.2619:
	s_wait_xcnt 0x0
	v_cndmask_b32_e64 v3, 0, 1, s2
	s_mov_b32 s3, 0
	s_delay_alu instid0(VALU_DEP_1)
	v_cvt_f64_u32_e32 v[4:5], v3
	global_store_b64 v[0:1], v[4:5], off
.LBB70_2620:
	s_and_not1_b32 vcc_lo, exec_lo, s3
	s_cbranch_vccnz .LBB70_2622
; %bb.2621:
	s_wait_xcnt 0x0
	v_cndmask_b32_e64 v3, 0, 1.0, s2
	global_store_b32 v[0:1], v3, off
.LBB70_2622:
	s_mov_b32 s3, 0
.LBB70_2623:
	s_delay_alu instid0(SALU_CYCLE_1)
	s_and_not1_b32 vcc_lo, exec_lo, s3
	s_cbranch_vccnz .LBB70_2625
; %bb.2624:
	s_wait_xcnt 0x0
	v_cndmask_b32_e64 v3, 0, 1.0, s2
	s_delay_alu instid0(VALU_DEP_1)
	v_cvt_f16_f32_e32 v3, v3
	global_store_b16 v[0:1], v3, off
.LBB70_2625:
	s_mov_b32 s3, 0
.LBB70_2626:
	s_delay_alu instid0(SALU_CYCLE_1)
	s_and_not1_b32 vcc_lo, exec_lo, s3
	s_cbranch_vccnz .LBB70_2642
; %bb.2627:
	s_cmp_lt_i32 s0, 2
	s_mov_b32 s3, -1
	s_cbranch_scc1 .LBB70_2637
; %bb.2628:
	s_cmp_lt_i32 s0, 3
	s_cbranch_scc1 .LBB70_2634
; %bb.2629:
	s_cmp_gt_i32 s0, 3
	s_cbranch_scc0 .LBB70_2631
; %bb.2630:
	s_mov_b32 s3, 0
	s_wait_xcnt 0x0
	v_cndmask_b32_e64 v4, 0, 1, s2
	v_mov_b32_e32 v5, s3
	global_store_b64 v[0:1], v[4:5], off
.LBB70_2631:
	s_and_not1_b32 vcc_lo, exec_lo, s3
	s_cbranch_vccnz .LBB70_2633
; %bb.2632:
	s_wait_xcnt 0x0
	v_cndmask_b32_e64 v3, 0, 1, s2
	global_store_b32 v[0:1], v3, off
.LBB70_2633:
	s_mov_b32 s3, 0
.LBB70_2634:
	s_delay_alu instid0(SALU_CYCLE_1)
	s_and_not1_b32 vcc_lo, exec_lo, s3
	s_cbranch_vccnz .LBB70_2636
; %bb.2635:
	s_wait_xcnt 0x0
	v_cndmask_b32_e64 v3, 0, 1, s2
	global_store_b16 v[0:1], v3, off
.LBB70_2636:
	s_mov_b32 s3, 0
.LBB70_2637:
	s_delay_alu instid0(SALU_CYCLE_1)
	s_and_not1_b32 vcc_lo, exec_lo, s3
	s_cbranch_vccnz .LBB70_2642
; %bb.2638:
	s_wait_xcnt 0x0
	v_cndmask_b32_e64 v3, 0, 1, s2
	s_cmp_gt_i32 s0, 0
	s_mov_b32 s0, -1
	s_cbranch_scc0 .LBB70_2640
; %bb.2639:
	s_mov_b32 s0, 0
	global_store_b8 v[0:1], v3, off
.LBB70_2640:
	s_and_not1_b32 vcc_lo, exec_lo, s0
	s_cbranch_vccnz .LBB70_2642
; %bb.2641:
	global_store_b8 v[0:1], v3, off
.LBB70_2642:
.LBB70_2643:
	s_lshl_b32 s2, s8, 7
	v_cmp_ne_u16_e32 vcc_lo, v2, v8
	s_wait_xcnt 0x0
	v_add_nc_u32_e32 v0, s2, v16
	s_xor_b32 s3, s1, vcc_lo
	s_delay_alu instid0(VALU_DEP_1) | instskip(SKIP_1) | instid1(VALU_DEP_1)
	v_ashrrev_i32_e32 v1, 31, v0
	s_cmp_lt_i32 s17, 11
	v_add_nc_u64_e32 v[2:3], s[4:5], v[0:1]
	s_cbranch_scc1 .LBB70_2721
; %bb.2644:
	s_and_b32 s6, 0xffff, s17
	s_mov_b32 s9, -1
	s_mov_b32 s7, 0
	s_cmp_gt_i32 s6, 25
	s_mov_b32 s8, 0
	s_mov_b32 s0, 0
	s_cbranch_scc0 .LBB70_2677
; %bb.2645:
	s_cmp_gt_i32 s6, 28
	s_cbranch_scc0 .LBB70_2660
; %bb.2646:
	s_cmp_gt_i32 s6, 43
	;; [unrolled: 3-line block ×3, first 2 shown]
	s_cbranch_scc0 .LBB70_2650
; %bb.2648:
	s_mov_b32 s0, -1
	s_mov_b32 s9, 0
	s_cmp_eq_u32 s6, 46
	s_cbranch_scc0 .LBB70_2650
; %bb.2649:
	v_cndmask_b32_e64 v1, 0, 1.0, s3
	s_mov_b32 s0, 0
	s_mov_b32 s8, -1
	s_delay_alu instid0(VALU_DEP_1) | instskip(NEXT) | instid1(VALU_DEP_1)
	v_bfe_u32 v4, v1, 16, 1
	v_add3_u32 v1, v1, v4, 0x7fff
	s_delay_alu instid0(VALU_DEP_1)
	v_lshrrev_b32_e32 v1, 16, v1
	global_store_b32 v[2:3], v1, off
.LBB70_2650:
	s_and_b32 vcc_lo, exec_lo, s9
	s_cbranch_vccz .LBB70_2655
; %bb.2651:
	s_cmp_eq_u32 s6, 44
	s_mov_b32 s0, -1
	s_cbranch_scc0 .LBB70_2655
; %bb.2652:
	v_cndmask_b32_e64 v5, 0, 1.0, s3
	s_mov_b32 s8, exec_lo
	s_wait_xcnt 0x0
	s_delay_alu instid0(VALU_DEP_1) | instskip(NEXT) | instid1(VALU_DEP_1)
	v_dual_mov_b32 v4, 0xff :: v_dual_lshrrev_b32 v1, 23, v5
	v_cmpx_ne_u32_e32 0xff, v1
; %bb.2653:
	v_and_b32_e32 v4, 0x400000, v5
	v_and_or_b32 v5, 0x3fffff, v5, v1
	s_delay_alu instid0(VALU_DEP_2) | instskip(NEXT) | instid1(VALU_DEP_2)
	v_cmp_ne_u32_e32 vcc_lo, 0, v4
	v_cmp_ne_u32_e64 s0, 0, v5
	s_and_b32 s0, vcc_lo, s0
	s_delay_alu instid0(SALU_CYCLE_1) | instskip(NEXT) | instid1(VALU_DEP_1)
	v_cndmask_b32_e64 v4, 0, 1, s0
	v_add_nc_u32_e32 v4, v1, v4
; %bb.2654:
	s_or_b32 exec_lo, exec_lo, s8
	s_mov_b32 s0, 0
	s_mov_b32 s8, -1
	global_store_b8 v[2:3], v4, off
.LBB70_2655:
	s_mov_b32 s9, 0
.LBB70_2656:
	s_delay_alu instid0(SALU_CYCLE_1)
	s_and_b32 vcc_lo, exec_lo, s9
	s_cbranch_vccz .LBB70_2659
; %bb.2657:
	s_cmp_eq_u32 s6, 29
	s_mov_b32 s0, -1
	s_cbranch_scc0 .LBB70_2659
; %bb.2658:
	s_mov_b32 s0, 0
	s_wait_xcnt 0x0
	v_cndmask_b32_e64 v4, 0, 1, s3
	v_mov_b32_e32 v5, s0
	s_mov_b32 s8, -1
	global_store_b64 v[2:3], v[4:5], off
.LBB70_2659:
	s_mov_b32 s9, 0
.LBB70_2660:
	s_delay_alu instid0(SALU_CYCLE_1)
	s_and_b32 vcc_lo, exec_lo, s9
	s_cbranch_vccz .LBB70_2676
; %bb.2661:
	s_cmp_lt_i32 s6, 27
	s_mov_b32 s8, -1
	s_cbranch_scc1 .LBB70_2667
; %bb.2662:
	s_cmp_gt_i32 s6, 27
	s_cbranch_scc0 .LBB70_2664
; %bb.2663:
	s_wait_xcnt 0x0
	v_cndmask_b32_e64 v1, 0, 1, s3
	s_mov_b32 s8, 0
	global_store_b32 v[2:3], v1, off
.LBB70_2664:
	s_and_not1_b32 vcc_lo, exec_lo, s8
	s_cbranch_vccnz .LBB70_2666
; %bb.2665:
	s_wait_xcnt 0x0
	v_cndmask_b32_e64 v1, 0, 1, s3
	global_store_b16 v[2:3], v1, off
.LBB70_2666:
	s_mov_b32 s8, 0
.LBB70_2667:
	s_delay_alu instid0(SALU_CYCLE_1)
	s_and_not1_b32 vcc_lo, exec_lo, s8
	s_cbranch_vccnz .LBB70_2675
; %bb.2668:
	s_wait_xcnt 0x0
	v_cndmask_b32_e64 v4, 0, 1.0, s3
	v_mov_b32_e32 v5, 0x80
	s_mov_b32 s8, exec_lo
	s_delay_alu instid0(VALU_DEP_2)
	v_cmpx_gt_u32_e32 0x43800000, v4
	s_cbranch_execz .LBB70_2674
; %bb.2669:
	s_mov_b32 s9, 0
	s_mov_b32 s10, exec_lo
                                        ; implicit-def: $vgpr1
	v_cmpx_lt_u32_e32 0x3bffffff, v4
	s_xor_b32 s10, exec_lo, s10
	s_cbranch_execz .LBB70_3009
; %bb.2670:
	v_bfe_u32 v1, v4, 20, 1
	s_mov_b32 s9, exec_lo
	s_delay_alu instid0(VALU_DEP_1) | instskip(NEXT) | instid1(VALU_DEP_1)
	v_add3_u32 v1, v4, v1, 0x487ffff
                                        ; implicit-def: $vgpr4
	v_lshrrev_b32_e32 v1, 20, v1
	s_and_not1_saveexec_b32 s10, s10
	s_cbranch_execnz .LBB70_3010
.LBB70_2671:
	s_or_b32 exec_lo, exec_lo, s10
	v_mov_b32_e32 v5, 0
	s_and_saveexec_b32 s10, s9
.LBB70_2672:
	v_mov_b32_e32 v5, v1
.LBB70_2673:
	s_or_b32 exec_lo, exec_lo, s10
.LBB70_2674:
	s_delay_alu instid0(SALU_CYCLE_1)
	s_or_b32 exec_lo, exec_lo, s8
	global_store_b8 v[2:3], v5, off
.LBB70_2675:
	s_mov_b32 s8, -1
.LBB70_2676:
	s_mov_b32 s9, 0
.LBB70_2677:
	s_delay_alu instid0(SALU_CYCLE_1)
	s_and_b32 vcc_lo, exec_lo, s9
	s_cbranch_vccz .LBB70_2717
; %bb.2678:
	s_cmp_gt_i32 s6, 22
	s_mov_b32 s7, -1
	s_cbranch_scc0 .LBB70_2710
; %bb.2679:
	s_cmp_lt_i32 s6, 24
	s_cbranch_scc1 .LBB70_2699
; %bb.2680:
	s_cmp_gt_i32 s6, 24
	s_cbranch_scc0 .LBB70_2688
; %bb.2681:
	s_wait_xcnt 0x0
	v_cndmask_b32_e64 v4, 0, 1.0, s3
	v_mov_b32_e32 v5, 0x80
	s_mov_b32 s7, exec_lo
	s_delay_alu instid0(VALU_DEP_2)
	v_cmpx_gt_u32_e32 0x47800000, v4
	s_cbranch_execz .LBB70_2687
; %bb.2682:
	s_mov_b32 s8, 0
	s_mov_b32 s9, exec_lo
                                        ; implicit-def: $vgpr1
	v_cmpx_lt_u32_e32 0x37ffffff, v4
	s_xor_b32 s9, exec_lo, s9
	s_cbranch_execz .LBB70_3012
; %bb.2683:
	v_bfe_u32 v1, v4, 21, 1
	s_mov_b32 s8, exec_lo
	s_delay_alu instid0(VALU_DEP_1) | instskip(NEXT) | instid1(VALU_DEP_1)
	v_add3_u32 v1, v4, v1, 0x88fffff
                                        ; implicit-def: $vgpr4
	v_lshrrev_b32_e32 v1, 21, v1
	s_and_not1_saveexec_b32 s9, s9
	s_cbranch_execnz .LBB70_3013
.LBB70_2684:
	s_or_b32 exec_lo, exec_lo, s9
	v_mov_b32_e32 v5, 0
	s_and_saveexec_b32 s9, s8
.LBB70_2685:
	v_mov_b32_e32 v5, v1
.LBB70_2686:
	s_or_b32 exec_lo, exec_lo, s9
.LBB70_2687:
	s_delay_alu instid0(SALU_CYCLE_1)
	s_or_b32 exec_lo, exec_lo, s7
	s_mov_b32 s7, 0
	global_store_b8 v[2:3], v5, off
.LBB70_2688:
	s_and_b32 vcc_lo, exec_lo, s7
	s_cbranch_vccz .LBB70_2698
; %bb.2689:
	s_wait_xcnt 0x0
	v_cndmask_b32_e64 v4, 0, 1.0, s3
	s_mov_b32 s7, exec_lo
                                        ; implicit-def: $vgpr1
	s_delay_alu instid0(VALU_DEP_1)
	v_cmpx_gt_u32_e32 0x43f00000, v4
	s_xor_b32 s7, exec_lo, s7
	s_cbranch_execz .LBB70_2695
; %bb.2690:
	s_mov_b32 s8, exec_lo
                                        ; implicit-def: $vgpr1
	v_cmpx_lt_u32_e32 0x3c7fffff, v4
	s_xor_b32 s8, exec_lo, s8
; %bb.2691:
	v_bfe_u32 v1, v4, 20, 1
	s_delay_alu instid0(VALU_DEP_1) | instskip(NEXT) | instid1(VALU_DEP_1)
	v_add3_u32 v1, v4, v1, 0x407ffff
	v_and_b32_e32 v4, 0xff00000, v1
	v_lshrrev_b32_e32 v1, 20, v1
	s_delay_alu instid0(VALU_DEP_2) | instskip(NEXT) | instid1(VALU_DEP_2)
	v_cmp_ne_u32_e32 vcc_lo, 0x7f00000, v4
                                        ; implicit-def: $vgpr4
	v_cndmask_b32_e32 v1, 0x7e, v1, vcc_lo
; %bb.2692:
	s_and_not1_saveexec_b32 s8, s8
; %bb.2693:
	v_add_f32_e32 v1, 0x46800000, v4
; %bb.2694:
	s_or_b32 exec_lo, exec_lo, s8
                                        ; implicit-def: $vgpr4
.LBB70_2695:
	s_and_not1_saveexec_b32 s7, s7
; %bb.2696:
	v_mov_b32_e32 v1, 0x7f
	v_cmp_lt_u32_e32 vcc_lo, 0x7f800000, v4
	s_delay_alu instid0(VALU_DEP_2)
	v_cndmask_b32_e32 v1, 0x7e, v1, vcc_lo
; %bb.2697:
	s_or_b32 exec_lo, exec_lo, s7
	global_store_b8 v[2:3], v1, off
.LBB70_2698:
	s_mov_b32 s7, 0
.LBB70_2699:
	s_delay_alu instid0(SALU_CYCLE_1)
	s_and_not1_b32 vcc_lo, exec_lo, s7
	s_cbranch_vccnz .LBB70_2709
; %bb.2700:
	s_wait_xcnt 0x0
	v_cndmask_b32_e64 v4, 0, 1.0, s3
	s_mov_b32 s7, exec_lo
                                        ; implicit-def: $vgpr1
	s_delay_alu instid0(VALU_DEP_1)
	v_cmpx_gt_u32_e32 0x47800000, v4
	s_xor_b32 s7, exec_lo, s7
	s_cbranch_execz .LBB70_2706
; %bb.2701:
	s_mov_b32 s8, exec_lo
                                        ; implicit-def: $vgpr1
	v_cmpx_lt_u32_e32 0x387fffff, v4
	s_xor_b32 s8, exec_lo, s8
; %bb.2702:
	v_bfe_u32 v1, v4, 21, 1
	s_delay_alu instid0(VALU_DEP_1) | instskip(NEXT) | instid1(VALU_DEP_1)
	v_add3_u32 v1, v4, v1, 0x80fffff
                                        ; implicit-def: $vgpr4
	v_lshrrev_b32_e32 v1, 21, v1
; %bb.2703:
	s_and_not1_saveexec_b32 s8, s8
; %bb.2704:
	v_add_f32_e32 v1, 0x43000000, v4
; %bb.2705:
	s_or_b32 exec_lo, exec_lo, s8
                                        ; implicit-def: $vgpr4
.LBB70_2706:
	s_and_not1_saveexec_b32 s7, s7
; %bb.2707:
	v_mov_b32_e32 v1, 0x7f
	v_cmp_lt_u32_e32 vcc_lo, 0x7f800000, v4
	s_delay_alu instid0(VALU_DEP_2)
	v_cndmask_b32_e32 v1, 0x7c, v1, vcc_lo
; %bb.2708:
	s_or_b32 exec_lo, exec_lo, s7
	global_store_b8 v[2:3], v1, off
.LBB70_2709:
	s_mov_b32 s7, 0
	s_mov_b32 s8, -1
.LBB70_2710:
	s_and_not1_b32 vcc_lo, exec_lo, s7
	s_mov_b32 s7, 0
	s_cbranch_vccnz .LBB70_2717
; %bb.2711:
	s_cmp_gt_i32 s6, 14
	s_mov_b32 s7, -1
	s_cbranch_scc0 .LBB70_2715
; %bb.2712:
	s_cmp_eq_u32 s6, 15
	s_mov_b32 s0, -1
	s_cbranch_scc0 .LBB70_2714
; %bb.2713:
	s_wait_xcnt 0x0
	v_cndmask_b32_e64 v1, 0, 1.0, s3
	s_mov_b32 s0, 0
	s_mov_b32 s8, -1
	s_delay_alu instid0(VALU_DEP_1) | instskip(NEXT) | instid1(VALU_DEP_1)
	v_bfe_u32 v4, v1, 16, 1
	v_add3_u32 v1, v1, v4, 0x7fff
	global_store_d16_hi_b16 v[2:3], v1, off
.LBB70_2714:
	s_mov_b32 s7, 0
.LBB70_2715:
	s_delay_alu instid0(SALU_CYCLE_1)
	s_and_b32 vcc_lo, exec_lo, s7
	s_mov_b32 s7, 0
	s_cbranch_vccz .LBB70_2717
; %bb.2716:
	s_cmp_lg_u32 s6, 11
	s_mov_b32 s7, -1
	s_cselect_b32 s0, -1, 0
.LBB70_2717:
	s_delay_alu instid0(SALU_CYCLE_1)
	s_and_b32 vcc_lo, exec_lo, s0
	s_cbranch_vccnz .LBB70_3011
; %bb.2718:
	s_and_not1_b32 vcc_lo, exec_lo, s7
	s_cbranch_vccnz .LBB70_2720
.LBB70_2719:
	s_wait_xcnt 0x0
	v_cndmask_b32_e64 v1, 0, 1, s3
	s_mov_b32 s8, -1
	global_store_b8 v[2:3], v1, off
.LBB70_2720:
	s_mov_b32 s0, 0
	s_branch .LBB70_2722
.LBB70_2721:
	s_mov_b32 s0, -1
	s_mov_b32 s8, 0
.LBB70_2722:
	s_and_b32 vcc_lo, exec_lo, s0
	s_cbranch_vccz .LBB70_2761
; %bb.2723:
	s_and_b32 s0, 0xffff, s17
	s_mov_b32 s6, -1
	s_cmp_lt_i32 s0, 5
	s_cbranch_scc1 .LBB70_2744
; %bb.2724:
	s_cmp_lt_i32 s0, 8
	s_cbranch_scc1 .LBB70_2734
; %bb.2725:
	;; [unrolled: 3-line block ×3, first 2 shown]
	s_cmp_gt_i32 s0, 9
	s_cbranch_scc0 .LBB70_2728
; %bb.2727:
	s_wait_xcnt 0x0
	v_cndmask_b32_e64 v1, 0, 1, s3
	v_mov_b32_e32 v18, 0
	s_mov_b32 s6, 0
	s_delay_alu instid0(VALU_DEP_2) | instskip(NEXT) | instid1(VALU_DEP_2)
	v_cvt_f64_u32_e32 v[16:17], v1
	v_mov_b32_e32 v19, v18
	global_store_b128 v[2:3], v[16:19], off
.LBB70_2728:
	s_and_not1_b32 vcc_lo, exec_lo, s6
	s_cbranch_vccnz .LBB70_2730
; %bb.2729:
	s_wait_xcnt 0x0
	v_cndmask_b32_e64 v4, 0, 1.0, s3
	v_mov_b32_e32 v5, 0
	global_store_b64 v[2:3], v[4:5], off
.LBB70_2730:
	s_mov_b32 s6, 0
.LBB70_2731:
	s_delay_alu instid0(SALU_CYCLE_1)
	s_and_not1_b32 vcc_lo, exec_lo, s6
	s_cbranch_vccnz .LBB70_2733
; %bb.2732:
	s_wait_xcnt 0x0
	v_cndmask_b32_e64 v1, 0, 1.0, s3
	s_delay_alu instid0(VALU_DEP_1) | instskip(NEXT) | instid1(VALU_DEP_1)
	v_cvt_f16_f32_e32 v1, v1
	v_and_b32_e32 v1, 0xffff, v1
	global_store_b32 v[2:3], v1, off
.LBB70_2733:
	s_mov_b32 s6, 0
.LBB70_2734:
	s_delay_alu instid0(SALU_CYCLE_1)
	s_and_not1_b32 vcc_lo, exec_lo, s6
	s_cbranch_vccnz .LBB70_2743
; %bb.2735:
	s_cmp_lt_i32 s0, 6
	s_mov_b32 s6, -1
	s_cbranch_scc1 .LBB70_2741
; %bb.2736:
	s_cmp_gt_i32 s0, 6
	s_cbranch_scc0 .LBB70_2738
; %bb.2737:
	s_wait_xcnt 0x0
	v_cndmask_b32_e64 v1, 0, 1, s3
	s_mov_b32 s6, 0
	s_delay_alu instid0(VALU_DEP_1)
	v_cvt_f64_u32_e32 v[4:5], v1
	global_store_b64 v[2:3], v[4:5], off
.LBB70_2738:
	s_and_not1_b32 vcc_lo, exec_lo, s6
	s_cbranch_vccnz .LBB70_2740
; %bb.2739:
	s_wait_xcnt 0x0
	v_cndmask_b32_e64 v1, 0, 1.0, s3
	global_store_b32 v[2:3], v1, off
.LBB70_2740:
	s_mov_b32 s6, 0
.LBB70_2741:
	s_delay_alu instid0(SALU_CYCLE_1)
	s_and_not1_b32 vcc_lo, exec_lo, s6
	s_cbranch_vccnz .LBB70_2743
; %bb.2742:
	s_wait_xcnt 0x0
	v_cndmask_b32_e64 v1, 0, 1.0, s3
	s_delay_alu instid0(VALU_DEP_1)
	v_cvt_f16_f32_e32 v1, v1
	global_store_b16 v[2:3], v1, off
.LBB70_2743:
	s_mov_b32 s6, 0
.LBB70_2744:
	s_delay_alu instid0(SALU_CYCLE_1)
	s_and_not1_b32 vcc_lo, exec_lo, s6
	s_cbranch_vccnz .LBB70_2760
; %bb.2745:
	s_cmp_lt_i32 s0, 2
	s_mov_b32 s6, -1
	s_cbranch_scc1 .LBB70_2755
; %bb.2746:
	s_cmp_lt_i32 s0, 3
	s_cbranch_scc1 .LBB70_2752
; %bb.2747:
	s_cmp_gt_i32 s0, 3
	s_cbranch_scc0 .LBB70_2749
; %bb.2748:
	s_mov_b32 s6, 0
	s_wait_xcnt 0x0
	v_cndmask_b32_e64 v4, 0, 1, s3
	v_mov_b32_e32 v5, s6
	global_store_b64 v[2:3], v[4:5], off
.LBB70_2749:
	s_and_not1_b32 vcc_lo, exec_lo, s6
	s_cbranch_vccnz .LBB70_2751
; %bb.2750:
	s_wait_xcnt 0x0
	v_cndmask_b32_e64 v1, 0, 1, s3
	global_store_b32 v[2:3], v1, off
.LBB70_2751:
	s_mov_b32 s6, 0
.LBB70_2752:
	s_delay_alu instid0(SALU_CYCLE_1)
	s_and_not1_b32 vcc_lo, exec_lo, s6
	s_cbranch_vccnz .LBB70_2754
; %bb.2753:
	s_wait_xcnt 0x0
	v_cndmask_b32_e64 v1, 0, 1, s3
	global_store_b16 v[2:3], v1, off
.LBB70_2754:
	s_mov_b32 s6, 0
.LBB70_2755:
	s_delay_alu instid0(SALU_CYCLE_1)
	s_and_not1_b32 vcc_lo, exec_lo, s6
	s_cbranch_vccnz .LBB70_2760
; %bb.2756:
	s_wait_xcnt 0x0
	v_cndmask_b32_e64 v1, 0, 1, s3
	s_cmp_gt_i32 s0, 0
	s_mov_b32 s0, -1
	s_cbranch_scc0 .LBB70_2758
; %bb.2757:
	s_mov_b32 s0, 0
	global_store_b8 v[2:3], v1, off
.LBB70_2758:
	s_and_not1_b32 vcc_lo, exec_lo, s0
	s_cbranch_vccnz .LBB70_2760
; %bb.2759:
	global_store_b8 v[2:3], v1, off
.LBB70_2760:
	s_mov_b32 s8, -1
.LBB70_2761:
	s_delay_alu instid0(SALU_CYCLE_1)
	s_and_not1_b32 vcc_lo, exec_lo, s8
	s_cbranch_vccnz .LBB70_2957
; %bb.2762:
	v_add_nc_u32_e32 v0, s2, v0
	v_cmp_ne_u16_e32 vcc_lo, v6, v12
	s_wait_xcnt 0x0
	s_delay_alu instid0(VALU_DEP_2) | instskip(SKIP_2) | instid1(VALU_DEP_1)
	v_ashrrev_i32_e32 v1, 31, v0
	s_xor_b32 s3, s1, vcc_lo
	s_cmp_lt_i32 s17, 11
	v_add_nc_u64_e32 v[2:3], s[4:5], v[0:1]
	s_cbranch_scc1 .LBB70_2840
; %bb.2763:
	s_and_b32 s6, 0xffff, s17
	s_mov_b32 s9, -1
	s_mov_b32 s7, 0
	s_cmp_gt_i32 s6, 25
	s_mov_b32 s8, 0
	s_mov_b32 s0, 0
	s_cbranch_scc0 .LBB70_2796
; %bb.2764:
	s_cmp_gt_i32 s6, 28
	s_cbranch_scc0 .LBB70_2779
; %bb.2765:
	s_cmp_gt_i32 s6, 43
	;; [unrolled: 3-line block ×3, first 2 shown]
	s_cbranch_scc0 .LBB70_2769
; %bb.2767:
	s_mov_b32 s0, -1
	s_mov_b32 s9, 0
	s_cmp_eq_u32 s6, 46
	s_cbranch_scc0 .LBB70_2769
; %bb.2768:
	v_cndmask_b32_e64 v1, 0, 1.0, s3
	s_mov_b32 s0, 0
	s_mov_b32 s8, -1
	s_delay_alu instid0(VALU_DEP_1) | instskip(NEXT) | instid1(VALU_DEP_1)
	v_bfe_u32 v4, v1, 16, 1
	v_add3_u32 v1, v1, v4, 0x7fff
	s_delay_alu instid0(VALU_DEP_1)
	v_lshrrev_b32_e32 v1, 16, v1
	global_store_b32 v[2:3], v1, off
.LBB70_2769:
	s_and_b32 vcc_lo, exec_lo, s9
	s_cbranch_vccz .LBB70_2774
; %bb.2770:
	s_cmp_eq_u32 s6, 44
	s_mov_b32 s0, -1
	s_cbranch_scc0 .LBB70_2774
; %bb.2771:
	v_cndmask_b32_e64 v5, 0, 1.0, s3
	s_mov_b32 s8, exec_lo
	s_wait_xcnt 0x0
	s_delay_alu instid0(VALU_DEP_1) | instskip(NEXT) | instid1(VALU_DEP_1)
	v_dual_mov_b32 v4, 0xff :: v_dual_lshrrev_b32 v1, 23, v5
	v_cmpx_ne_u32_e32 0xff, v1
; %bb.2772:
	v_and_b32_e32 v4, 0x400000, v5
	v_and_or_b32 v5, 0x3fffff, v5, v1
	s_delay_alu instid0(VALU_DEP_2) | instskip(NEXT) | instid1(VALU_DEP_2)
	v_cmp_ne_u32_e32 vcc_lo, 0, v4
	v_cmp_ne_u32_e64 s0, 0, v5
	s_and_b32 s0, vcc_lo, s0
	s_delay_alu instid0(SALU_CYCLE_1) | instskip(NEXT) | instid1(VALU_DEP_1)
	v_cndmask_b32_e64 v4, 0, 1, s0
	v_add_nc_u32_e32 v4, v1, v4
; %bb.2773:
	s_or_b32 exec_lo, exec_lo, s8
	s_mov_b32 s0, 0
	s_mov_b32 s8, -1
	global_store_b8 v[2:3], v4, off
.LBB70_2774:
	s_mov_b32 s9, 0
.LBB70_2775:
	s_delay_alu instid0(SALU_CYCLE_1)
	s_and_b32 vcc_lo, exec_lo, s9
	s_cbranch_vccz .LBB70_2778
; %bb.2776:
	s_cmp_eq_u32 s6, 29
	s_mov_b32 s0, -1
	s_cbranch_scc0 .LBB70_2778
; %bb.2777:
	s_mov_b32 s0, 0
	s_wait_xcnt 0x0
	v_cndmask_b32_e64 v4, 0, 1, s3
	v_mov_b32_e32 v5, s0
	s_mov_b32 s8, -1
	global_store_b64 v[2:3], v[4:5], off
.LBB70_2778:
	s_mov_b32 s9, 0
.LBB70_2779:
	s_delay_alu instid0(SALU_CYCLE_1)
	s_and_b32 vcc_lo, exec_lo, s9
	s_cbranch_vccz .LBB70_2795
; %bb.2780:
	s_cmp_lt_i32 s6, 27
	s_mov_b32 s8, -1
	s_cbranch_scc1 .LBB70_2786
; %bb.2781:
	s_cmp_gt_i32 s6, 27
	s_cbranch_scc0 .LBB70_2783
; %bb.2782:
	s_wait_xcnt 0x0
	v_cndmask_b32_e64 v1, 0, 1, s3
	s_mov_b32 s8, 0
	global_store_b32 v[2:3], v1, off
.LBB70_2783:
	s_and_not1_b32 vcc_lo, exec_lo, s8
	s_cbranch_vccnz .LBB70_2785
; %bb.2784:
	s_wait_xcnt 0x0
	v_cndmask_b32_e64 v1, 0, 1, s3
	global_store_b16 v[2:3], v1, off
.LBB70_2785:
	s_mov_b32 s8, 0
.LBB70_2786:
	s_delay_alu instid0(SALU_CYCLE_1)
	s_and_not1_b32 vcc_lo, exec_lo, s8
	s_cbranch_vccnz .LBB70_2794
; %bb.2787:
	s_wait_xcnt 0x0
	v_cndmask_b32_e64 v4, 0, 1.0, s3
	v_mov_b32_e32 v5, 0x80
	s_mov_b32 s8, exec_lo
	s_delay_alu instid0(VALU_DEP_2)
	v_cmpx_gt_u32_e32 0x43800000, v4
	s_cbranch_execz .LBB70_2793
; %bb.2788:
	s_mov_b32 s9, 0
	s_mov_b32 s10, exec_lo
                                        ; implicit-def: $vgpr1
	v_cmpx_lt_u32_e32 0x3bffffff, v4
	s_xor_b32 s10, exec_lo, s10
	s_cbranch_execz .LBB70_3014
; %bb.2789:
	v_bfe_u32 v1, v4, 20, 1
	s_mov_b32 s9, exec_lo
	s_delay_alu instid0(VALU_DEP_1) | instskip(NEXT) | instid1(VALU_DEP_1)
	v_add3_u32 v1, v4, v1, 0x487ffff
                                        ; implicit-def: $vgpr4
	v_lshrrev_b32_e32 v1, 20, v1
	s_and_not1_saveexec_b32 s10, s10
	s_cbranch_execnz .LBB70_3015
.LBB70_2790:
	s_or_b32 exec_lo, exec_lo, s10
	v_mov_b32_e32 v5, 0
	s_and_saveexec_b32 s10, s9
.LBB70_2791:
	v_mov_b32_e32 v5, v1
.LBB70_2792:
	s_or_b32 exec_lo, exec_lo, s10
.LBB70_2793:
	s_delay_alu instid0(SALU_CYCLE_1)
	s_or_b32 exec_lo, exec_lo, s8
	global_store_b8 v[2:3], v5, off
.LBB70_2794:
	s_mov_b32 s8, -1
.LBB70_2795:
	s_mov_b32 s9, 0
.LBB70_2796:
	s_delay_alu instid0(SALU_CYCLE_1)
	s_and_b32 vcc_lo, exec_lo, s9
	s_cbranch_vccz .LBB70_2836
; %bb.2797:
	s_cmp_gt_i32 s6, 22
	s_mov_b32 s7, -1
	s_cbranch_scc0 .LBB70_2829
; %bb.2798:
	s_cmp_lt_i32 s6, 24
	s_cbranch_scc1 .LBB70_2818
; %bb.2799:
	s_cmp_gt_i32 s6, 24
	s_cbranch_scc0 .LBB70_2807
; %bb.2800:
	s_wait_xcnt 0x0
	v_cndmask_b32_e64 v4, 0, 1.0, s3
	v_mov_b32_e32 v5, 0x80
	s_mov_b32 s7, exec_lo
	s_delay_alu instid0(VALU_DEP_2)
	v_cmpx_gt_u32_e32 0x47800000, v4
	s_cbranch_execz .LBB70_2806
; %bb.2801:
	s_mov_b32 s8, 0
	s_mov_b32 s9, exec_lo
                                        ; implicit-def: $vgpr1
	v_cmpx_lt_u32_e32 0x37ffffff, v4
	s_xor_b32 s9, exec_lo, s9
	s_cbranch_execz .LBB70_3017
; %bb.2802:
	v_bfe_u32 v1, v4, 21, 1
	s_mov_b32 s8, exec_lo
	s_delay_alu instid0(VALU_DEP_1) | instskip(NEXT) | instid1(VALU_DEP_1)
	v_add3_u32 v1, v4, v1, 0x88fffff
                                        ; implicit-def: $vgpr4
	v_lshrrev_b32_e32 v1, 21, v1
	s_and_not1_saveexec_b32 s9, s9
	s_cbranch_execnz .LBB70_3018
.LBB70_2803:
	s_or_b32 exec_lo, exec_lo, s9
	v_mov_b32_e32 v5, 0
	s_and_saveexec_b32 s9, s8
.LBB70_2804:
	v_mov_b32_e32 v5, v1
.LBB70_2805:
	s_or_b32 exec_lo, exec_lo, s9
.LBB70_2806:
	s_delay_alu instid0(SALU_CYCLE_1)
	s_or_b32 exec_lo, exec_lo, s7
	s_mov_b32 s7, 0
	global_store_b8 v[2:3], v5, off
.LBB70_2807:
	s_and_b32 vcc_lo, exec_lo, s7
	s_cbranch_vccz .LBB70_2817
; %bb.2808:
	s_wait_xcnt 0x0
	v_cndmask_b32_e64 v4, 0, 1.0, s3
	s_mov_b32 s7, exec_lo
                                        ; implicit-def: $vgpr1
	s_delay_alu instid0(VALU_DEP_1)
	v_cmpx_gt_u32_e32 0x43f00000, v4
	s_xor_b32 s7, exec_lo, s7
	s_cbranch_execz .LBB70_2814
; %bb.2809:
	s_mov_b32 s8, exec_lo
                                        ; implicit-def: $vgpr1
	v_cmpx_lt_u32_e32 0x3c7fffff, v4
	s_xor_b32 s8, exec_lo, s8
; %bb.2810:
	v_bfe_u32 v1, v4, 20, 1
	s_delay_alu instid0(VALU_DEP_1) | instskip(NEXT) | instid1(VALU_DEP_1)
	v_add3_u32 v1, v4, v1, 0x407ffff
	v_and_b32_e32 v4, 0xff00000, v1
	v_lshrrev_b32_e32 v1, 20, v1
	s_delay_alu instid0(VALU_DEP_2) | instskip(NEXT) | instid1(VALU_DEP_2)
	v_cmp_ne_u32_e32 vcc_lo, 0x7f00000, v4
                                        ; implicit-def: $vgpr4
	v_cndmask_b32_e32 v1, 0x7e, v1, vcc_lo
; %bb.2811:
	s_and_not1_saveexec_b32 s8, s8
; %bb.2812:
	v_add_f32_e32 v1, 0x46800000, v4
; %bb.2813:
	s_or_b32 exec_lo, exec_lo, s8
                                        ; implicit-def: $vgpr4
.LBB70_2814:
	s_and_not1_saveexec_b32 s7, s7
; %bb.2815:
	v_mov_b32_e32 v1, 0x7f
	v_cmp_lt_u32_e32 vcc_lo, 0x7f800000, v4
	s_delay_alu instid0(VALU_DEP_2)
	v_cndmask_b32_e32 v1, 0x7e, v1, vcc_lo
; %bb.2816:
	s_or_b32 exec_lo, exec_lo, s7
	global_store_b8 v[2:3], v1, off
.LBB70_2817:
	s_mov_b32 s7, 0
.LBB70_2818:
	s_delay_alu instid0(SALU_CYCLE_1)
	s_and_not1_b32 vcc_lo, exec_lo, s7
	s_cbranch_vccnz .LBB70_2828
; %bb.2819:
	s_wait_xcnt 0x0
	v_cndmask_b32_e64 v4, 0, 1.0, s3
	s_mov_b32 s7, exec_lo
                                        ; implicit-def: $vgpr1
	s_delay_alu instid0(VALU_DEP_1)
	v_cmpx_gt_u32_e32 0x47800000, v4
	s_xor_b32 s7, exec_lo, s7
	s_cbranch_execz .LBB70_2825
; %bb.2820:
	s_mov_b32 s8, exec_lo
                                        ; implicit-def: $vgpr1
	v_cmpx_lt_u32_e32 0x387fffff, v4
	s_xor_b32 s8, exec_lo, s8
; %bb.2821:
	v_bfe_u32 v1, v4, 21, 1
	s_delay_alu instid0(VALU_DEP_1) | instskip(NEXT) | instid1(VALU_DEP_1)
	v_add3_u32 v1, v4, v1, 0x80fffff
                                        ; implicit-def: $vgpr4
	v_lshrrev_b32_e32 v1, 21, v1
; %bb.2822:
	s_and_not1_saveexec_b32 s8, s8
; %bb.2823:
	v_add_f32_e32 v1, 0x43000000, v4
; %bb.2824:
	s_or_b32 exec_lo, exec_lo, s8
                                        ; implicit-def: $vgpr4
.LBB70_2825:
	s_and_not1_saveexec_b32 s7, s7
; %bb.2826:
	v_mov_b32_e32 v1, 0x7f
	v_cmp_lt_u32_e32 vcc_lo, 0x7f800000, v4
	s_delay_alu instid0(VALU_DEP_2)
	v_cndmask_b32_e32 v1, 0x7c, v1, vcc_lo
; %bb.2827:
	s_or_b32 exec_lo, exec_lo, s7
	global_store_b8 v[2:3], v1, off
.LBB70_2828:
	s_mov_b32 s7, 0
	s_mov_b32 s8, -1
.LBB70_2829:
	s_and_not1_b32 vcc_lo, exec_lo, s7
	s_mov_b32 s7, 0
	s_cbranch_vccnz .LBB70_2836
; %bb.2830:
	s_cmp_gt_i32 s6, 14
	s_mov_b32 s7, -1
	s_cbranch_scc0 .LBB70_2834
; %bb.2831:
	s_cmp_eq_u32 s6, 15
	s_mov_b32 s0, -1
	s_cbranch_scc0 .LBB70_2833
; %bb.2832:
	s_wait_xcnt 0x0
	v_cndmask_b32_e64 v1, 0, 1.0, s3
	s_mov_b32 s0, 0
	s_mov_b32 s8, -1
	s_delay_alu instid0(VALU_DEP_1) | instskip(NEXT) | instid1(VALU_DEP_1)
	v_bfe_u32 v4, v1, 16, 1
	v_add3_u32 v1, v1, v4, 0x7fff
	global_store_d16_hi_b16 v[2:3], v1, off
.LBB70_2833:
	s_mov_b32 s7, 0
.LBB70_2834:
	s_delay_alu instid0(SALU_CYCLE_1)
	s_and_b32 vcc_lo, exec_lo, s7
	s_mov_b32 s7, 0
	s_cbranch_vccz .LBB70_2836
; %bb.2835:
	s_cmp_lg_u32 s6, 11
	s_mov_b32 s7, -1
	s_cselect_b32 s0, -1, 0
.LBB70_2836:
	s_delay_alu instid0(SALU_CYCLE_1)
	s_and_b32 vcc_lo, exec_lo, s0
	s_cbranch_vccnz .LBB70_3016
; %bb.2837:
	s_and_not1_b32 vcc_lo, exec_lo, s7
	s_cbranch_vccnz .LBB70_2839
.LBB70_2838:
	s_wait_xcnt 0x0
	v_cndmask_b32_e64 v1, 0, 1, s3
	s_mov_b32 s8, -1
	global_store_b8 v[2:3], v1, off
.LBB70_2839:
	s_mov_b32 s0, 0
	s_branch .LBB70_2841
.LBB70_2840:
	s_mov_b32 s0, -1
	s_mov_b32 s8, 0
.LBB70_2841:
	s_and_b32 vcc_lo, exec_lo, s0
	s_cbranch_vccz .LBB70_2880
; %bb.2842:
	s_and_b32 s0, 0xffff, s17
	s_mov_b32 s6, -1
	s_cmp_lt_i32 s0, 5
	s_cbranch_scc1 .LBB70_2863
; %bb.2843:
	s_cmp_lt_i32 s0, 8
	s_cbranch_scc1 .LBB70_2853
; %bb.2844:
	;; [unrolled: 3-line block ×3, first 2 shown]
	s_cmp_gt_i32 s0, 9
	s_cbranch_scc0 .LBB70_2847
; %bb.2846:
	s_wait_xcnt 0x0
	v_cndmask_b32_e64 v1, 0, 1, s3
	v_mov_b32_e32 v6, 0
	s_mov_b32 s6, 0
	s_delay_alu instid0(VALU_DEP_2) | instskip(NEXT) | instid1(VALU_DEP_2)
	v_cvt_f64_u32_e32 v[4:5], v1
	v_mov_b32_e32 v7, v6
	global_store_b128 v[2:3], v[4:7], off
.LBB70_2847:
	s_and_not1_b32 vcc_lo, exec_lo, s6
	s_cbranch_vccnz .LBB70_2849
; %bb.2848:
	s_wait_xcnt 0x0
	v_cndmask_b32_e64 v4, 0, 1.0, s3
	v_mov_b32_e32 v5, 0
	global_store_b64 v[2:3], v[4:5], off
.LBB70_2849:
	s_mov_b32 s6, 0
.LBB70_2850:
	s_delay_alu instid0(SALU_CYCLE_1)
	s_and_not1_b32 vcc_lo, exec_lo, s6
	s_cbranch_vccnz .LBB70_2852
; %bb.2851:
	s_wait_xcnt 0x0
	v_cndmask_b32_e64 v1, 0, 1.0, s3
	s_delay_alu instid0(VALU_DEP_1) | instskip(NEXT) | instid1(VALU_DEP_1)
	v_cvt_f16_f32_e32 v1, v1
	v_and_b32_e32 v1, 0xffff, v1
	global_store_b32 v[2:3], v1, off
.LBB70_2852:
	s_mov_b32 s6, 0
.LBB70_2853:
	s_delay_alu instid0(SALU_CYCLE_1)
	s_and_not1_b32 vcc_lo, exec_lo, s6
	s_cbranch_vccnz .LBB70_2862
; %bb.2854:
	s_cmp_lt_i32 s0, 6
	s_mov_b32 s6, -1
	s_cbranch_scc1 .LBB70_2860
; %bb.2855:
	s_cmp_gt_i32 s0, 6
	s_cbranch_scc0 .LBB70_2857
; %bb.2856:
	s_wait_xcnt 0x0
	v_cndmask_b32_e64 v1, 0, 1, s3
	s_mov_b32 s6, 0
	s_delay_alu instid0(VALU_DEP_1)
	v_cvt_f64_u32_e32 v[4:5], v1
	global_store_b64 v[2:3], v[4:5], off
.LBB70_2857:
	s_and_not1_b32 vcc_lo, exec_lo, s6
	s_cbranch_vccnz .LBB70_2859
; %bb.2858:
	s_wait_xcnt 0x0
	v_cndmask_b32_e64 v1, 0, 1.0, s3
	global_store_b32 v[2:3], v1, off
.LBB70_2859:
	s_mov_b32 s6, 0
.LBB70_2860:
	s_delay_alu instid0(SALU_CYCLE_1)
	s_and_not1_b32 vcc_lo, exec_lo, s6
	s_cbranch_vccnz .LBB70_2862
; %bb.2861:
	s_wait_xcnt 0x0
	v_cndmask_b32_e64 v1, 0, 1.0, s3
	s_delay_alu instid0(VALU_DEP_1)
	v_cvt_f16_f32_e32 v1, v1
	global_store_b16 v[2:3], v1, off
.LBB70_2862:
	s_mov_b32 s6, 0
.LBB70_2863:
	s_delay_alu instid0(SALU_CYCLE_1)
	s_and_not1_b32 vcc_lo, exec_lo, s6
	s_cbranch_vccnz .LBB70_2879
; %bb.2864:
	s_cmp_lt_i32 s0, 2
	s_mov_b32 s6, -1
	s_cbranch_scc1 .LBB70_2874
; %bb.2865:
	s_cmp_lt_i32 s0, 3
	s_cbranch_scc1 .LBB70_2871
; %bb.2866:
	s_cmp_gt_i32 s0, 3
	s_cbranch_scc0 .LBB70_2868
; %bb.2867:
	s_mov_b32 s6, 0
	s_wait_xcnt 0x0
	v_cndmask_b32_e64 v4, 0, 1, s3
	v_mov_b32_e32 v5, s6
	global_store_b64 v[2:3], v[4:5], off
.LBB70_2868:
	s_and_not1_b32 vcc_lo, exec_lo, s6
	s_cbranch_vccnz .LBB70_2870
; %bb.2869:
	s_wait_xcnt 0x0
	v_cndmask_b32_e64 v1, 0, 1, s3
	global_store_b32 v[2:3], v1, off
.LBB70_2870:
	s_mov_b32 s6, 0
.LBB70_2871:
	s_delay_alu instid0(SALU_CYCLE_1)
	s_and_not1_b32 vcc_lo, exec_lo, s6
	s_cbranch_vccnz .LBB70_2873
; %bb.2872:
	s_wait_xcnt 0x0
	v_cndmask_b32_e64 v1, 0, 1, s3
	global_store_b16 v[2:3], v1, off
.LBB70_2873:
	s_mov_b32 s6, 0
.LBB70_2874:
	s_delay_alu instid0(SALU_CYCLE_1)
	s_and_not1_b32 vcc_lo, exec_lo, s6
	s_cbranch_vccnz .LBB70_2879
; %bb.2875:
	s_wait_xcnt 0x0
	v_cndmask_b32_e64 v1, 0, 1, s3
	s_cmp_gt_i32 s0, 0
	s_mov_b32 s0, -1
	s_cbranch_scc0 .LBB70_2877
; %bb.2876:
	s_mov_b32 s0, 0
	global_store_b8 v[2:3], v1, off
.LBB70_2877:
	s_and_not1_b32 vcc_lo, exec_lo, s0
	s_cbranch_vccnz .LBB70_2879
; %bb.2878:
	global_store_b8 v[2:3], v1, off
.LBB70_2879:
	s_mov_b32 s8, -1
.LBB70_2880:
	s_delay_alu instid0(SALU_CYCLE_1)
	s_and_not1_b32 vcc_lo, exec_lo, s8
	s_cbranch_vccnz .LBB70_2957
; %bb.2881:
	v_add_nc_u32_e32 v0, s2, v0
	v_cmp_ne_u16_e32 vcc_lo, v10, v14
	s_wait_xcnt 0x0
	s_delay_alu instid0(VALU_DEP_2) | instskip(SKIP_2) | instid1(VALU_DEP_1)
	v_ashrrev_i32_e32 v1, 31, v0
	s_xor_b32 s18, s1, vcc_lo
	s_cmp_lt_i32 s17, 11
	v_add_nc_u64_e32 v[0:1], s[4:5], v[0:1]
	s_cbranch_scc1 .LBB70_3002
; %bb.2882:
	s_and_b32 s1, 0xffff, s17
	s_mov_b32 s3, -1
	s_mov_b32 s2, 0
	s_cmp_gt_i32 s1, 25
	s_mov_b32 s0, 0
	s_cbranch_scc0 .LBB70_2915
; %bb.2883:
	s_cmp_gt_i32 s1, 28
	s_cbranch_scc0 .LBB70_2899
; %bb.2884:
	s_cmp_gt_i32 s1, 43
	;; [unrolled: 3-line block ×3, first 2 shown]
	s_cbranch_scc0 .LBB70_2889
; %bb.2886:
	s_cmp_eq_u32 s1, 46
	s_mov_b32 s0, -1
	s_cbranch_scc0 .LBB70_2888
; %bb.2887:
	v_cndmask_b32_e64 v2, 0, 1.0, s18
	s_mov_b32 s0, 0
	s_delay_alu instid0(VALU_DEP_1) | instskip(NEXT) | instid1(VALU_DEP_1)
	v_bfe_u32 v3, v2, 16, 1
	v_add3_u32 v2, v2, v3, 0x7fff
	s_delay_alu instid0(VALU_DEP_1)
	v_lshrrev_b32_e32 v2, 16, v2
	global_store_b32 v[0:1], v2, off
.LBB70_2888:
	s_mov_b32 s3, 0
.LBB70_2889:
	s_delay_alu instid0(SALU_CYCLE_1)
	s_and_b32 vcc_lo, exec_lo, s3
	s_cbranch_vccz .LBB70_2894
; %bb.2890:
	s_cmp_eq_u32 s1, 44
	s_mov_b32 s0, -1
	s_cbranch_scc0 .LBB70_2894
; %bb.2891:
	v_cndmask_b32_e64 v4, 0, 1.0, s18
	s_mov_b32 s3, exec_lo
	s_wait_xcnt 0x0
	s_delay_alu instid0(VALU_DEP_1) | instskip(NEXT) | instid1(VALU_DEP_1)
	v_dual_mov_b32 v3, 0xff :: v_dual_lshrrev_b32 v2, 23, v4
	v_cmpx_ne_u32_e32 0xff, v2
; %bb.2892:
	v_and_b32_e32 v3, 0x400000, v4
	v_and_or_b32 v4, 0x3fffff, v4, v2
	s_delay_alu instid0(VALU_DEP_2) | instskip(NEXT) | instid1(VALU_DEP_2)
	v_cmp_ne_u32_e32 vcc_lo, 0, v3
	v_cmp_ne_u32_e64 s0, 0, v4
	s_and_b32 s0, vcc_lo, s0
	s_delay_alu instid0(SALU_CYCLE_1) | instskip(NEXT) | instid1(VALU_DEP_1)
	v_cndmask_b32_e64 v3, 0, 1, s0
	v_add_nc_u32_e32 v3, v2, v3
; %bb.2893:
	s_or_b32 exec_lo, exec_lo, s3
	s_mov_b32 s0, 0
	global_store_b8 v[0:1], v3, off
.LBB70_2894:
	s_mov_b32 s3, 0
.LBB70_2895:
	s_delay_alu instid0(SALU_CYCLE_1)
	s_and_b32 vcc_lo, exec_lo, s3
	s_cbranch_vccz .LBB70_2898
; %bb.2896:
	s_cmp_eq_u32 s1, 29
	s_mov_b32 s0, -1
	s_cbranch_scc0 .LBB70_2898
; %bb.2897:
	s_mov_b32 s0, 0
	s_wait_xcnt 0x0
	v_cndmask_b32_e64 v2, 0, 1, s18
	v_mov_b32_e32 v3, s0
	global_store_b64 v[0:1], v[2:3], off
.LBB70_2898:
	s_mov_b32 s3, 0
.LBB70_2899:
	s_delay_alu instid0(SALU_CYCLE_1)
	s_and_b32 vcc_lo, exec_lo, s3
	s_cbranch_vccz .LBB70_2914
; %bb.2900:
	s_cmp_lt_i32 s1, 27
	s_mov_b32 s3, -1
	s_cbranch_scc1 .LBB70_2906
; %bb.2901:
	s_wait_xcnt 0x0
	v_cndmask_b32_e64 v2, 0, 1, s18
	s_cmp_gt_i32 s1, 27
	s_cbranch_scc0 .LBB70_2903
; %bb.2902:
	s_mov_b32 s3, 0
	global_store_b32 v[0:1], v2, off
.LBB70_2903:
	s_and_not1_b32 vcc_lo, exec_lo, s3
	s_cbranch_vccnz .LBB70_2905
; %bb.2904:
	global_store_b16 v[0:1], v2, off
.LBB70_2905:
	s_mov_b32 s3, 0
.LBB70_2906:
	s_delay_alu instid0(SALU_CYCLE_1)
	s_and_not1_b32 vcc_lo, exec_lo, s3
	s_cbranch_vccnz .LBB70_2914
; %bb.2907:
	s_wait_xcnt 0x0
	v_cndmask_b32_e64 v3, 0, 1.0, s18
	v_mov_b32_e32 v4, 0x80
	s_mov_b32 s3, exec_lo
	s_delay_alu instid0(VALU_DEP_2)
	v_cmpx_gt_u32_e32 0x43800000, v3
	s_cbranch_execz .LBB70_2913
; %bb.2908:
	s_mov_b32 s4, 0
	s_mov_b32 s5, exec_lo
                                        ; implicit-def: $vgpr2
	v_cmpx_lt_u32_e32 0x3bffffff, v3
	s_xor_b32 s5, exec_lo, s5
	s_cbranch_execz .LBB70_3019
; %bb.2909:
	v_bfe_u32 v2, v3, 20, 1
	s_mov_b32 s4, exec_lo
	s_delay_alu instid0(VALU_DEP_1) | instskip(NEXT) | instid1(VALU_DEP_1)
	v_add3_u32 v2, v3, v2, 0x487ffff
                                        ; implicit-def: $vgpr3
	v_lshrrev_b32_e32 v2, 20, v2
	s_and_not1_saveexec_b32 s5, s5
	s_cbranch_execnz .LBB70_3020
.LBB70_2910:
	s_or_b32 exec_lo, exec_lo, s5
	v_mov_b32_e32 v4, 0
	s_and_saveexec_b32 s5, s4
.LBB70_2911:
	v_mov_b32_e32 v4, v2
.LBB70_2912:
	s_or_b32 exec_lo, exec_lo, s5
.LBB70_2913:
	s_delay_alu instid0(SALU_CYCLE_1)
	s_or_b32 exec_lo, exec_lo, s3
	global_store_b8 v[0:1], v4, off
.LBB70_2914:
	s_mov_b32 s3, 0
.LBB70_2915:
	s_delay_alu instid0(SALU_CYCLE_1)
	s_and_b32 vcc_lo, exec_lo, s3
	s_cbranch_vccz .LBB70_2955
; %bb.2916:
	s_cmp_gt_i32 s1, 22
	s_mov_b32 s2, -1
	s_cbranch_scc0 .LBB70_2948
; %bb.2917:
	s_cmp_lt_i32 s1, 24
	s_cbranch_scc1 .LBB70_2937
; %bb.2918:
	s_cmp_gt_i32 s1, 24
	s_cbranch_scc0 .LBB70_2926
; %bb.2919:
	s_wait_xcnt 0x0
	v_cndmask_b32_e64 v3, 0, 1.0, s18
	v_mov_b32_e32 v4, 0x80
	s_mov_b32 s2, exec_lo
	s_delay_alu instid0(VALU_DEP_2)
	v_cmpx_gt_u32_e32 0x47800000, v3
	s_cbranch_execz .LBB70_2925
; %bb.2920:
	s_mov_b32 s3, 0
	s_mov_b32 s4, exec_lo
                                        ; implicit-def: $vgpr2
	v_cmpx_lt_u32_e32 0x37ffffff, v3
	s_xor_b32 s4, exec_lo, s4
	s_cbranch_execz .LBB70_3022
; %bb.2921:
	v_bfe_u32 v2, v3, 21, 1
	s_mov_b32 s3, exec_lo
	s_delay_alu instid0(VALU_DEP_1) | instskip(NEXT) | instid1(VALU_DEP_1)
	v_add3_u32 v2, v3, v2, 0x88fffff
                                        ; implicit-def: $vgpr3
	v_lshrrev_b32_e32 v2, 21, v2
	s_and_not1_saveexec_b32 s4, s4
	s_cbranch_execnz .LBB70_3023
.LBB70_2922:
	s_or_b32 exec_lo, exec_lo, s4
	v_mov_b32_e32 v4, 0
	s_and_saveexec_b32 s4, s3
.LBB70_2923:
	v_mov_b32_e32 v4, v2
.LBB70_2924:
	s_or_b32 exec_lo, exec_lo, s4
.LBB70_2925:
	s_delay_alu instid0(SALU_CYCLE_1)
	s_or_b32 exec_lo, exec_lo, s2
	s_mov_b32 s2, 0
	global_store_b8 v[0:1], v4, off
.LBB70_2926:
	s_and_b32 vcc_lo, exec_lo, s2
	s_cbranch_vccz .LBB70_2936
; %bb.2927:
	s_wait_xcnt 0x0
	v_cndmask_b32_e64 v3, 0, 1.0, s18
	s_mov_b32 s2, exec_lo
                                        ; implicit-def: $vgpr2
	s_delay_alu instid0(VALU_DEP_1)
	v_cmpx_gt_u32_e32 0x43f00000, v3
	s_xor_b32 s2, exec_lo, s2
	s_cbranch_execz .LBB70_2933
; %bb.2928:
	s_mov_b32 s3, exec_lo
                                        ; implicit-def: $vgpr2
	v_cmpx_lt_u32_e32 0x3c7fffff, v3
	s_xor_b32 s3, exec_lo, s3
; %bb.2929:
	v_bfe_u32 v2, v3, 20, 1
	s_delay_alu instid0(VALU_DEP_1) | instskip(NEXT) | instid1(VALU_DEP_1)
	v_add3_u32 v2, v3, v2, 0x407ffff
	v_and_b32_e32 v3, 0xff00000, v2
	v_lshrrev_b32_e32 v2, 20, v2
	s_delay_alu instid0(VALU_DEP_2) | instskip(NEXT) | instid1(VALU_DEP_2)
	v_cmp_ne_u32_e32 vcc_lo, 0x7f00000, v3
                                        ; implicit-def: $vgpr3
	v_cndmask_b32_e32 v2, 0x7e, v2, vcc_lo
; %bb.2930:
	s_and_not1_saveexec_b32 s3, s3
; %bb.2931:
	v_add_f32_e32 v2, 0x46800000, v3
; %bb.2932:
	s_or_b32 exec_lo, exec_lo, s3
                                        ; implicit-def: $vgpr3
.LBB70_2933:
	s_and_not1_saveexec_b32 s2, s2
; %bb.2934:
	v_mov_b32_e32 v2, 0x7f
	v_cmp_lt_u32_e32 vcc_lo, 0x7f800000, v3
	s_delay_alu instid0(VALU_DEP_2)
	v_cndmask_b32_e32 v2, 0x7e, v2, vcc_lo
; %bb.2935:
	s_or_b32 exec_lo, exec_lo, s2
	global_store_b8 v[0:1], v2, off
.LBB70_2936:
	s_mov_b32 s2, 0
.LBB70_2937:
	s_delay_alu instid0(SALU_CYCLE_1)
	s_and_not1_b32 vcc_lo, exec_lo, s2
	s_cbranch_vccnz .LBB70_2947
; %bb.2938:
	s_wait_xcnt 0x0
	v_cndmask_b32_e64 v3, 0, 1.0, s18
	s_mov_b32 s2, exec_lo
                                        ; implicit-def: $vgpr2
	s_delay_alu instid0(VALU_DEP_1)
	v_cmpx_gt_u32_e32 0x47800000, v3
	s_xor_b32 s2, exec_lo, s2
	s_cbranch_execz .LBB70_2944
; %bb.2939:
	s_mov_b32 s3, exec_lo
                                        ; implicit-def: $vgpr2
	v_cmpx_lt_u32_e32 0x387fffff, v3
	s_xor_b32 s3, exec_lo, s3
; %bb.2940:
	v_bfe_u32 v2, v3, 21, 1
	s_delay_alu instid0(VALU_DEP_1) | instskip(NEXT) | instid1(VALU_DEP_1)
	v_add3_u32 v2, v3, v2, 0x80fffff
                                        ; implicit-def: $vgpr3
	v_lshrrev_b32_e32 v2, 21, v2
; %bb.2941:
	s_and_not1_saveexec_b32 s3, s3
; %bb.2942:
	v_add_f32_e32 v2, 0x43000000, v3
; %bb.2943:
	s_or_b32 exec_lo, exec_lo, s3
                                        ; implicit-def: $vgpr3
.LBB70_2944:
	s_and_not1_saveexec_b32 s2, s2
; %bb.2945:
	v_mov_b32_e32 v2, 0x7f
	v_cmp_lt_u32_e32 vcc_lo, 0x7f800000, v3
	s_delay_alu instid0(VALU_DEP_2)
	v_cndmask_b32_e32 v2, 0x7c, v2, vcc_lo
; %bb.2946:
	s_or_b32 exec_lo, exec_lo, s2
	global_store_b8 v[0:1], v2, off
.LBB70_2947:
	s_mov_b32 s2, 0
.LBB70_2948:
	s_delay_alu instid0(SALU_CYCLE_1)
	s_and_not1_b32 vcc_lo, exec_lo, s2
	s_mov_b32 s2, 0
	s_cbranch_vccnz .LBB70_2955
; %bb.2949:
	s_cmp_gt_i32 s1, 14
	s_mov_b32 s2, -1
	s_cbranch_scc0 .LBB70_2953
; %bb.2950:
	s_cmp_eq_u32 s1, 15
	s_mov_b32 s0, -1
	s_cbranch_scc0 .LBB70_2952
; %bb.2951:
	s_wait_xcnt 0x0
	v_cndmask_b32_e64 v2, 0, 1.0, s18
	s_mov_b32 s0, 0
	s_delay_alu instid0(VALU_DEP_1) | instskip(NEXT) | instid1(VALU_DEP_1)
	v_bfe_u32 v3, v2, 16, 1
	v_add3_u32 v2, v2, v3, 0x7fff
	global_store_d16_hi_b16 v[0:1], v2, off
.LBB70_2952:
	s_mov_b32 s2, 0
.LBB70_2953:
	s_delay_alu instid0(SALU_CYCLE_1)
	s_and_b32 vcc_lo, exec_lo, s2
	s_mov_b32 s2, 0
	s_cbranch_vccz .LBB70_2955
; %bb.2954:
	s_cmp_lg_u32 s1, 11
	s_mov_b32 s2, -1
	s_cselect_b32 s0, -1, 0
.LBB70_2955:
	s_delay_alu instid0(SALU_CYCLE_1)
	s_and_b32 vcc_lo, exec_lo, s0
	s_cbranch_vccnz .LBB70_3021
.LBB70_2956:
	s_mov_b32 s0, 0
	s_branch .LBB70_2958
.LBB70_2957:
	s_mov_b32 s0, 0
	s_mov_b32 s2, 0
                                        ; implicit-def: $sgpr18
                                        ; implicit-def: $sgpr17
                                        ; implicit-def: $vgpr0_vgpr1
.LBB70_2958:
	s_and_not1_b32 s1, s16, exec_lo
	s_and_b32 s3, s13, exec_lo
	s_and_b32 s0, s0, exec_lo
	;; [unrolled: 1-line block ×3, first 2 shown]
	s_or_b32 s16, s1, s3
.LBB70_2959:
	s_wait_xcnt 0x0
	s_or_b32 exec_lo, exec_lo, s15
	s_and_saveexec_b32 s1, s16
	s_cbranch_execz .LBB70_2962
; %bb.2960:
	; divergent unreachable
	s_or_b32 exec_lo, exec_lo, s1
	s_and_saveexec_b32 s1, s13
	s_delay_alu instid0(SALU_CYCLE_1)
	s_xor_b32 s1, exec_lo, s1
	s_cbranch_execnz .LBB70_2963
.LBB70_2961:
	s_or_b32 exec_lo, exec_lo, s1
	s_and_saveexec_b32 s1, s0
	s_cbranch_execnz .LBB70_2964
	s_branch .LBB70_3001
.LBB70_2962:
	s_or_b32 exec_lo, exec_lo, s1
	s_and_saveexec_b32 s1, s13
	s_delay_alu instid0(SALU_CYCLE_1)
	s_xor_b32 s1, exec_lo, s1
	s_cbranch_execz .LBB70_2961
.LBB70_2963:
	s_wait_loadcnt 0x0
	v_cndmask_b32_e64 v2, 0, 1, s18
	global_store_b8 v[0:1], v2, off
	s_wait_xcnt 0x0
	s_or_b32 exec_lo, exec_lo, s1
	s_and_saveexec_b32 s1, s0
	s_cbranch_execz .LBB70_3001
.LBB70_2964:
	s_sext_i32_i16 s1, s17
	s_mov_b32 s0, -1
	s_cmp_lt_i32 s1, 5
	s_cbranch_scc1 .LBB70_2985
; %bb.2965:
	s_cmp_lt_i32 s1, 8
	s_cbranch_scc1 .LBB70_2975
; %bb.2966:
	;; [unrolled: 3-line block ×3, first 2 shown]
	s_cmp_gt_i32 s1, 9
	s_cbranch_scc0 .LBB70_2969
; %bb.2968:
	s_wait_loadcnt 0x0
	v_cndmask_b32_e64 v2, 0, 1, s18
	v_mov_b32_e32 v4, 0
	s_mov_b32 s0, 0
	s_delay_alu instid0(VALU_DEP_2) | instskip(NEXT) | instid1(VALU_DEP_2)
	v_cvt_f64_u32_e32 v[2:3], v2
	v_mov_b32_e32 v5, v4
	global_store_b128 v[0:1], v[2:5], off
.LBB70_2969:
	s_and_not1_b32 vcc_lo, exec_lo, s0
	s_cbranch_vccnz .LBB70_2971
; %bb.2970:
	s_wait_loadcnt 0x0
	v_cndmask_b32_e64 v2, 0, 1.0, s18
	v_mov_b32_e32 v3, 0
	global_store_b64 v[0:1], v[2:3], off
.LBB70_2971:
	s_mov_b32 s0, 0
.LBB70_2972:
	s_delay_alu instid0(SALU_CYCLE_1)
	s_and_not1_b32 vcc_lo, exec_lo, s0
	s_cbranch_vccnz .LBB70_2974
; %bb.2973:
	s_wait_loadcnt 0x0
	v_cndmask_b32_e64 v2, 0, 1.0, s18
	s_delay_alu instid0(VALU_DEP_1) | instskip(NEXT) | instid1(VALU_DEP_1)
	v_cvt_f16_f32_e32 v2, v2
	v_and_b32_e32 v2, 0xffff, v2
	global_store_b32 v[0:1], v2, off
.LBB70_2974:
	s_mov_b32 s0, 0
.LBB70_2975:
	s_delay_alu instid0(SALU_CYCLE_1)
	s_and_not1_b32 vcc_lo, exec_lo, s0
	s_cbranch_vccnz .LBB70_2984
; %bb.2976:
	s_sext_i32_i16 s1, s17
	s_mov_b32 s0, -1
	s_cmp_lt_i32 s1, 6
	s_cbranch_scc1 .LBB70_2982
; %bb.2977:
	s_cmp_gt_i32 s1, 6
	s_cbranch_scc0 .LBB70_2979
; %bb.2978:
	s_wait_loadcnt 0x0
	v_cndmask_b32_e64 v2, 0, 1, s18
	s_mov_b32 s0, 0
	s_delay_alu instid0(VALU_DEP_1)
	v_cvt_f64_u32_e32 v[2:3], v2
	global_store_b64 v[0:1], v[2:3], off
.LBB70_2979:
	s_and_not1_b32 vcc_lo, exec_lo, s0
	s_cbranch_vccnz .LBB70_2981
; %bb.2980:
	s_wait_loadcnt 0x0
	v_cndmask_b32_e64 v2, 0, 1.0, s18
	global_store_b32 v[0:1], v2, off
.LBB70_2981:
	s_mov_b32 s0, 0
.LBB70_2982:
	s_delay_alu instid0(SALU_CYCLE_1)
	s_and_not1_b32 vcc_lo, exec_lo, s0
	s_cbranch_vccnz .LBB70_2984
; %bb.2983:
	s_wait_loadcnt 0x0
	v_cndmask_b32_e64 v2, 0, 1.0, s18
	s_delay_alu instid0(VALU_DEP_1)
	v_cvt_f16_f32_e32 v2, v2
	global_store_b16 v[0:1], v2, off
.LBB70_2984:
	s_mov_b32 s0, 0
.LBB70_2985:
	s_delay_alu instid0(SALU_CYCLE_1)
	s_and_not1_b32 vcc_lo, exec_lo, s0
	s_cbranch_vccnz .LBB70_3001
; %bb.2986:
	s_sext_i32_i16 s1, s17
	s_mov_b32 s0, -1
	s_cmp_lt_i32 s1, 2
	s_cbranch_scc1 .LBB70_2996
; %bb.2987:
	s_cmp_lt_i32 s1, 3
	s_cbranch_scc1 .LBB70_2993
; %bb.2988:
	s_cmp_gt_i32 s1, 3
	s_cbranch_scc0 .LBB70_2990
; %bb.2989:
	s_mov_b32 s0, 0
	s_wait_loadcnt 0x0
	v_cndmask_b32_e64 v2, 0, 1, s18
	v_mov_b32_e32 v3, s0
	global_store_b64 v[0:1], v[2:3], off
.LBB70_2990:
	s_and_not1_b32 vcc_lo, exec_lo, s0
	s_cbranch_vccnz .LBB70_2992
; %bb.2991:
	s_wait_loadcnt 0x0
	v_cndmask_b32_e64 v2, 0, 1, s18
	global_store_b32 v[0:1], v2, off
.LBB70_2992:
	s_mov_b32 s0, 0
.LBB70_2993:
	s_delay_alu instid0(SALU_CYCLE_1)
	s_and_not1_b32 vcc_lo, exec_lo, s0
	s_cbranch_vccnz .LBB70_2995
; %bb.2994:
	s_wait_loadcnt 0x0
	v_cndmask_b32_e64 v2, 0, 1, s18
	global_store_b16 v[0:1], v2, off
.LBB70_2995:
	s_mov_b32 s0, 0
.LBB70_2996:
	s_delay_alu instid0(SALU_CYCLE_1)
	s_and_not1_b32 vcc_lo, exec_lo, s0
	s_cbranch_vccnz .LBB70_3001
; %bb.2997:
	s_wait_loadcnt 0x0
	v_cndmask_b32_e64 v2, 0, 1, s18
	s_sext_i32_i16 s0, s17
	s_delay_alu instid0(SALU_CYCLE_1)
	s_cmp_gt_i32 s0, 0
	s_mov_b32 s0, -1
	s_cbranch_scc0 .LBB70_2999
; %bb.2998:
	s_mov_b32 s0, 0
	global_store_b8 v[0:1], v2, off
.LBB70_2999:
	s_and_not1_b32 vcc_lo, exec_lo, s0
	s_cbranch_vccnz .LBB70_3001
; %bb.3000:
	global_store_b8 v[0:1], v2, off
	s_endpgm
.LBB70_3001:
	s_endpgm
.LBB70_3002:
	s_mov_b32 s2, 0
	s_mov_b32 s0, -1
	s_branch .LBB70_2958
.LBB70_3003:
	s_or_b32 s13, s13, exec_lo
	s_trap 2
	s_cbranch_execz .LBB70_2473
	s_branch .LBB70_2474
.LBB70_3004:
	s_and_not1_saveexec_b32 s10, s10
	s_cbranch_execz .LBB70_2553
.LBB70_3005:
	v_add_f32_e32 v3, 0x46000000, v4
	s_and_not1_b32 s9, s9, exec_lo
	s_delay_alu instid0(VALU_DEP_1) | instskip(NEXT) | instid1(VALU_DEP_1)
	v_and_b32_e32 v3, 0xff, v3
	v_cmp_ne_u32_e32 vcc_lo, 0, v3
	s_and_b32 s11, vcc_lo, exec_lo
	s_delay_alu instid0(SALU_CYCLE_1)
	s_or_b32 s9, s9, s11
	s_or_b32 exec_lo, exec_lo, s10
	v_mov_b32_e32 v5, 0
	s_and_saveexec_b32 s10, s9
	s_cbranch_execnz .LBB70_2554
	s_branch .LBB70_2555
.LBB70_3006:
	s_or_b32 s13, s13, exec_lo
	s_trap 2
	s_cbranch_execz .LBB70_2601
	s_branch .LBB70_2602
.LBB70_3007:
	s_and_not1_saveexec_b32 s9, s9
	s_cbranch_execz .LBB70_2566
.LBB70_3008:
	v_add_f32_e32 v3, 0x42800000, v4
	s_and_not1_b32 s7, s7, exec_lo
	s_delay_alu instid0(VALU_DEP_1) | instskip(NEXT) | instid1(VALU_DEP_1)
	v_and_b32_e32 v3, 0xff, v3
	v_cmp_ne_u32_e32 vcc_lo, 0, v3
	s_and_b32 s10, vcc_lo, exec_lo
	s_delay_alu instid0(SALU_CYCLE_1)
	s_or_b32 s7, s7, s10
	s_or_b32 exec_lo, exec_lo, s9
	v_mov_b32_e32 v5, 0
	s_and_saveexec_b32 s9, s7
	s_cbranch_execnz .LBB70_2567
	s_branch .LBB70_2568
.LBB70_3009:
	s_and_not1_saveexec_b32 s10, s10
	s_cbranch_execz .LBB70_2671
.LBB70_3010:
	v_add_f32_e32 v1, 0x46000000, v4
	s_and_not1_b32 s9, s9, exec_lo
	s_delay_alu instid0(VALU_DEP_1) | instskip(NEXT) | instid1(VALU_DEP_1)
	v_and_b32_e32 v1, 0xff, v1
	v_cmp_ne_u32_e32 vcc_lo, 0, v1
	s_and_b32 s11, vcc_lo, exec_lo
	s_delay_alu instid0(SALU_CYCLE_1)
	s_or_b32 s9, s9, s11
	s_or_b32 exec_lo, exec_lo, s10
	v_mov_b32_e32 v5, 0
	s_and_saveexec_b32 s10, s9
	s_cbranch_execnz .LBB70_2672
	s_branch .LBB70_2673
.LBB70_3011:
	s_or_b32 s13, s13, exec_lo
	s_trap 2
	s_cbranch_execz .LBB70_2719
	s_branch .LBB70_2720
.LBB70_3012:
	s_and_not1_saveexec_b32 s9, s9
	s_cbranch_execz .LBB70_2684
.LBB70_3013:
	v_add_f32_e32 v1, 0x42800000, v4
	s_and_not1_b32 s8, s8, exec_lo
	s_delay_alu instid0(VALU_DEP_1) | instskip(NEXT) | instid1(VALU_DEP_1)
	v_and_b32_e32 v1, 0xff, v1
	v_cmp_ne_u32_e32 vcc_lo, 0, v1
	s_and_b32 s10, vcc_lo, exec_lo
	s_delay_alu instid0(SALU_CYCLE_1)
	s_or_b32 s8, s8, s10
	s_or_b32 exec_lo, exec_lo, s9
	v_mov_b32_e32 v5, 0
	s_and_saveexec_b32 s9, s8
	s_cbranch_execnz .LBB70_2685
	s_branch .LBB70_2686
.LBB70_3014:
	s_and_not1_saveexec_b32 s10, s10
	s_cbranch_execz .LBB70_2790
.LBB70_3015:
	v_add_f32_e32 v1, 0x46000000, v4
	s_and_not1_b32 s9, s9, exec_lo
	s_delay_alu instid0(VALU_DEP_1) | instskip(NEXT) | instid1(VALU_DEP_1)
	v_and_b32_e32 v1, 0xff, v1
	v_cmp_ne_u32_e32 vcc_lo, 0, v1
	s_and_b32 s11, vcc_lo, exec_lo
	s_delay_alu instid0(SALU_CYCLE_1)
	s_or_b32 s9, s9, s11
	s_or_b32 exec_lo, exec_lo, s10
	v_mov_b32_e32 v5, 0
	s_and_saveexec_b32 s10, s9
	s_cbranch_execnz .LBB70_2791
	s_branch .LBB70_2792
.LBB70_3016:
	s_or_b32 s13, s13, exec_lo
	s_trap 2
	s_cbranch_execz .LBB70_2838
	s_branch .LBB70_2839
.LBB70_3017:
	s_and_not1_saveexec_b32 s9, s9
	s_cbranch_execz .LBB70_2803
.LBB70_3018:
	v_add_f32_e32 v1, 0x42800000, v4
	s_and_not1_b32 s8, s8, exec_lo
	s_delay_alu instid0(VALU_DEP_1) | instskip(NEXT) | instid1(VALU_DEP_1)
	v_and_b32_e32 v1, 0xff, v1
	v_cmp_ne_u32_e32 vcc_lo, 0, v1
	s_and_b32 s10, vcc_lo, exec_lo
	s_delay_alu instid0(SALU_CYCLE_1)
	s_or_b32 s8, s8, s10
	s_or_b32 exec_lo, exec_lo, s9
	v_mov_b32_e32 v5, 0
	s_and_saveexec_b32 s9, s8
	s_cbranch_execnz .LBB70_2804
	s_branch .LBB70_2805
.LBB70_3019:
	s_and_not1_saveexec_b32 s5, s5
	s_cbranch_execz .LBB70_2910
.LBB70_3020:
	v_add_f32_e32 v2, 0x46000000, v3
	s_and_not1_b32 s4, s4, exec_lo
	s_delay_alu instid0(VALU_DEP_1) | instskip(NEXT) | instid1(VALU_DEP_1)
	v_and_b32_e32 v2, 0xff, v2
	v_cmp_ne_u32_e32 vcc_lo, 0, v2
	s_and_b32 s6, vcc_lo, exec_lo
	s_delay_alu instid0(SALU_CYCLE_1)
	s_or_b32 s4, s4, s6
	s_or_b32 exec_lo, exec_lo, s5
	v_mov_b32_e32 v4, 0
	s_and_saveexec_b32 s5, s4
	s_cbranch_execnz .LBB70_2911
	s_branch .LBB70_2912
.LBB70_3021:
	s_mov_b32 s2, 0
	s_or_b32 s13, s13, exec_lo
	s_trap 2
	s_branch .LBB70_2956
.LBB70_3022:
	s_and_not1_saveexec_b32 s4, s4
	s_cbranch_execz .LBB70_2922
.LBB70_3023:
	v_add_f32_e32 v2, 0x42800000, v3
	s_and_not1_b32 s3, s3, exec_lo
	s_delay_alu instid0(VALU_DEP_1) | instskip(NEXT) | instid1(VALU_DEP_1)
	v_and_b32_e32 v2, 0xff, v2
	v_cmp_ne_u32_e32 vcc_lo, 0, v2
	s_and_b32 s5, vcc_lo, exec_lo
	s_delay_alu instid0(SALU_CYCLE_1)
	s_or_b32 s3, s3, s5
	s_or_b32 exec_lo, exec_lo, s4
	v_mov_b32_e32 v4, 0
	s_and_saveexec_b32 s4, s3
	s_cbranch_execnz .LBB70_2923
	s_branch .LBB70_2924
	.section	.rodata,"a",@progbits
	.p2align	6, 0x0
	.amdhsa_kernel _ZN2at6native32elementwise_kernel_manual_unrollILi128ELi4EZNS0_15gpu_kernel_implINS0_13BinaryFunctorIssbNS0_12_GLOBAL__N_116CompareEqFunctorIsEEEEEEvRNS_18TensorIteratorBaseERKT_EUlibE_EEviT1_
		.amdhsa_group_segment_fixed_size 0
		.amdhsa_private_segment_fixed_size 0
		.amdhsa_kernarg_size 56
		.amdhsa_user_sgpr_count 2
		.amdhsa_user_sgpr_dispatch_ptr 0
		.amdhsa_user_sgpr_queue_ptr 0
		.amdhsa_user_sgpr_kernarg_segment_ptr 1
		.amdhsa_user_sgpr_dispatch_id 0
		.amdhsa_user_sgpr_kernarg_preload_length 0
		.amdhsa_user_sgpr_kernarg_preload_offset 0
		.amdhsa_user_sgpr_private_segment_size 0
		.amdhsa_wavefront_size32 1
		.amdhsa_uses_dynamic_stack 0
		.amdhsa_enable_private_segment 0
		.amdhsa_system_sgpr_workgroup_id_x 1
		.amdhsa_system_sgpr_workgroup_id_y 0
		.amdhsa_system_sgpr_workgroup_id_z 0
		.amdhsa_system_sgpr_workgroup_info 0
		.amdhsa_system_vgpr_workitem_id 0
		.amdhsa_next_free_vgpr 22
		.amdhsa_next_free_sgpr 37
		.amdhsa_named_barrier_count 0
		.amdhsa_reserve_vcc 1
		.amdhsa_float_round_mode_32 0
		.amdhsa_float_round_mode_16_64 0
		.amdhsa_float_denorm_mode_32 3
		.amdhsa_float_denorm_mode_16_64 3
		.amdhsa_fp16_overflow 0
		.amdhsa_memory_ordered 1
		.amdhsa_forward_progress 1
		.amdhsa_inst_pref_size 255
		.amdhsa_round_robin_scheduling 0
		.amdhsa_exception_fp_ieee_invalid_op 0
		.amdhsa_exception_fp_denorm_src 0
		.amdhsa_exception_fp_ieee_div_zero 0
		.amdhsa_exception_fp_ieee_overflow 0
		.amdhsa_exception_fp_ieee_underflow 0
		.amdhsa_exception_fp_ieee_inexact 0
		.amdhsa_exception_int_div_zero 0
	.end_amdhsa_kernel
	.section	.text._ZN2at6native32elementwise_kernel_manual_unrollILi128ELi4EZNS0_15gpu_kernel_implINS0_13BinaryFunctorIssbNS0_12_GLOBAL__N_116CompareEqFunctorIsEEEEEEvRNS_18TensorIteratorBaseERKT_EUlibE_EEviT1_,"axG",@progbits,_ZN2at6native32elementwise_kernel_manual_unrollILi128ELi4EZNS0_15gpu_kernel_implINS0_13BinaryFunctorIssbNS0_12_GLOBAL__N_116CompareEqFunctorIsEEEEEEvRNS_18TensorIteratorBaseERKT_EUlibE_EEviT1_,comdat
.Lfunc_end70:
	.size	_ZN2at6native32elementwise_kernel_manual_unrollILi128ELi4EZNS0_15gpu_kernel_implINS0_13BinaryFunctorIssbNS0_12_GLOBAL__N_116CompareEqFunctorIsEEEEEEvRNS_18TensorIteratorBaseERKT_EUlibE_EEviT1_, .Lfunc_end70-_ZN2at6native32elementwise_kernel_manual_unrollILi128ELi4EZNS0_15gpu_kernel_implINS0_13BinaryFunctorIssbNS0_12_GLOBAL__N_116CompareEqFunctorIsEEEEEEvRNS_18TensorIteratorBaseERKT_EUlibE_EEviT1_
                                        ; -- End function
	.set _ZN2at6native32elementwise_kernel_manual_unrollILi128ELi4EZNS0_15gpu_kernel_implINS0_13BinaryFunctorIssbNS0_12_GLOBAL__N_116CompareEqFunctorIsEEEEEEvRNS_18TensorIteratorBaseERKT_EUlibE_EEviT1_.num_vgpr, 22
	.set _ZN2at6native32elementwise_kernel_manual_unrollILi128ELi4EZNS0_15gpu_kernel_implINS0_13BinaryFunctorIssbNS0_12_GLOBAL__N_116CompareEqFunctorIsEEEEEEvRNS_18TensorIteratorBaseERKT_EUlibE_EEviT1_.num_agpr, 0
	.set _ZN2at6native32elementwise_kernel_manual_unrollILi128ELi4EZNS0_15gpu_kernel_implINS0_13BinaryFunctorIssbNS0_12_GLOBAL__N_116CompareEqFunctorIsEEEEEEvRNS_18TensorIteratorBaseERKT_EUlibE_EEviT1_.numbered_sgpr, 37
	.set _ZN2at6native32elementwise_kernel_manual_unrollILi128ELi4EZNS0_15gpu_kernel_implINS0_13BinaryFunctorIssbNS0_12_GLOBAL__N_116CompareEqFunctorIsEEEEEEvRNS_18TensorIteratorBaseERKT_EUlibE_EEviT1_.num_named_barrier, 0
	.set _ZN2at6native32elementwise_kernel_manual_unrollILi128ELi4EZNS0_15gpu_kernel_implINS0_13BinaryFunctorIssbNS0_12_GLOBAL__N_116CompareEqFunctorIsEEEEEEvRNS_18TensorIteratorBaseERKT_EUlibE_EEviT1_.private_seg_size, 0
	.set _ZN2at6native32elementwise_kernel_manual_unrollILi128ELi4EZNS0_15gpu_kernel_implINS0_13BinaryFunctorIssbNS0_12_GLOBAL__N_116CompareEqFunctorIsEEEEEEvRNS_18TensorIteratorBaseERKT_EUlibE_EEviT1_.uses_vcc, 1
	.set _ZN2at6native32elementwise_kernel_manual_unrollILi128ELi4EZNS0_15gpu_kernel_implINS0_13BinaryFunctorIssbNS0_12_GLOBAL__N_116CompareEqFunctorIsEEEEEEvRNS_18TensorIteratorBaseERKT_EUlibE_EEviT1_.uses_flat_scratch, 0
	.set _ZN2at6native32elementwise_kernel_manual_unrollILi128ELi4EZNS0_15gpu_kernel_implINS0_13BinaryFunctorIssbNS0_12_GLOBAL__N_116CompareEqFunctorIsEEEEEEvRNS_18TensorIteratorBaseERKT_EUlibE_EEviT1_.has_dyn_sized_stack, 0
	.set _ZN2at6native32elementwise_kernel_manual_unrollILi128ELi4EZNS0_15gpu_kernel_implINS0_13BinaryFunctorIssbNS0_12_GLOBAL__N_116CompareEqFunctorIsEEEEEEvRNS_18TensorIteratorBaseERKT_EUlibE_EEviT1_.has_recursion, 0
	.set _ZN2at6native32elementwise_kernel_manual_unrollILi128ELi4EZNS0_15gpu_kernel_implINS0_13BinaryFunctorIssbNS0_12_GLOBAL__N_116CompareEqFunctorIsEEEEEEvRNS_18TensorIteratorBaseERKT_EUlibE_EEviT1_.has_indirect_call, 0
	.section	.AMDGPU.csdata,"",@progbits
; Kernel info:
; codeLenInByte = 51760
; TotalNumSgprs: 39
; NumVgprs: 22
; ScratchSize: 0
; MemoryBound: 1
; FloatMode: 240
; IeeeMode: 1
; LDSByteSize: 0 bytes/workgroup (compile time only)
; SGPRBlocks: 0
; VGPRBlocks: 1
; NumSGPRsForWavesPerEU: 39
; NumVGPRsForWavesPerEU: 22
; NamedBarCnt: 0
; Occupancy: 16
; WaveLimiterHint : 0
; COMPUTE_PGM_RSRC2:SCRATCH_EN: 0
; COMPUTE_PGM_RSRC2:USER_SGPR: 2
; COMPUTE_PGM_RSRC2:TRAP_HANDLER: 0
; COMPUTE_PGM_RSRC2:TGID_X_EN: 1
; COMPUTE_PGM_RSRC2:TGID_Y_EN: 0
; COMPUTE_PGM_RSRC2:TGID_Z_EN: 0
; COMPUTE_PGM_RSRC2:TIDIG_COMP_CNT: 0
	.section	.text._ZN2at6native32elementwise_kernel_manual_unrollILi128ELi4EZNS0_15gpu_kernel_implINS0_13BinaryFunctorIssbNS0_12_GLOBAL__N_116CompareEqFunctorIsEEEEEEvRNS_18TensorIteratorBaseERKT_EUlibE0_EEviT1_,"axG",@progbits,_ZN2at6native32elementwise_kernel_manual_unrollILi128ELi4EZNS0_15gpu_kernel_implINS0_13BinaryFunctorIssbNS0_12_GLOBAL__N_116CompareEqFunctorIsEEEEEEvRNS_18TensorIteratorBaseERKT_EUlibE0_EEviT1_,comdat
	.globl	_ZN2at6native32elementwise_kernel_manual_unrollILi128ELi4EZNS0_15gpu_kernel_implINS0_13BinaryFunctorIssbNS0_12_GLOBAL__N_116CompareEqFunctorIsEEEEEEvRNS_18TensorIteratorBaseERKT_EUlibE0_EEviT1_ ; -- Begin function _ZN2at6native32elementwise_kernel_manual_unrollILi128ELi4EZNS0_15gpu_kernel_implINS0_13BinaryFunctorIssbNS0_12_GLOBAL__N_116CompareEqFunctorIsEEEEEEvRNS_18TensorIteratorBaseERKT_EUlibE0_EEviT1_
	.p2align	8
	.type	_ZN2at6native32elementwise_kernel_manual_unrollILi128ELi4EZNS0_15gpu_kernel_implINS0_13BinaryFunctorIssbNS0_12_GLOBAL__N_116CompareEqFunctorIsEEEEEEvRNS_18TensorIteratorBaseERKT_EUlibE0_EEviT1_,@function
_ZN2at6native32elementwise_kernel_manual_unrollILi128ELi4EZNS0_15gpu_kernel_implINS0_13BinaryFunctorIssbNS0_12_GLOBAL__N_116CompareEqFunctorIsEEEEEEvRNS_18TensorIteratorBaseERKT_EUlibE0_EEviT1_: ; @_ZN2at6native32elementwise_kernel_manual_unrollILi128ELi4EZNS0_15gpu_kernel_implINS0_13BinaryFunctorIssbNS0_12_GLOBAL__N_116CompareEqFunctorIsEEEEEEvRNS_18TensorIteratorBaseERKT_EUlibE0_EEviT1_
; %bb.0:
	s_clause 0x1
	s_load_b32 s28, s[0:1], 0x8
	s_load_b32 s37, s[0:1], 0x0
	s_bfe_u32 s2, ttmp6, 0x4000c
	s_and_b32 s3, ttmp6, 15
	s_add_co_i32 s2, s2, 1
	s_getreg_b32 s4, hwreg(HW_REG_IB_STS2, 6, 4)
	s_mul_i32 s2, ttmp9, s2
	s_mov_b32 s30, 0
	s_add_co_i32 s3, s3, s2
	s_cmp_eq_u32 s4, 0
	s_mov_b32 s27, -1
	s_cselect_b32 s2, ttmp9, s3
	s_mov_b32 s8, 0
	v_lshl_or_b32 v0, s2, 9, v0
	s_add_nc_u64 s[2:3], s[0:1], 8
	s_wait_xcnt 0x0
	s_mov_b32 s0, exec_lo
	s_delay_alu instid0(VALU_DEP_1) | instskip(SKIP_2) | instid1(SALU_CYCLE_1)
	v_or_b32_e32 v1, 0x180, v0
	s_wait_kmcnt 0x0
	s_add_co_i32 s29, s28, -1
	s_cmp_gt_u32 s29, 1
	s_cselect_b32 s31, -1, 0
	v_cmpx_le_i32_e64 s37, v1
	s_xor_b32 s33, exec_lo, s0
	s_cbranch_execz .LBB71_1561
; %bb.1:
	s_clause 0x4
	s_load_b128 s[12:15], s[2:3], 0x4
	s_load_b256 s[4:11], s[2:3], 0x188
	s_load_b64 s[0:1], s[2:3], 0x14
	s_load_b128 s[16:19], s[2:3], 0xc4
	s_load_b64 s[22:23], s[2:3], 0xd4
	s_cmp_lg_u32 s28, 0
	s_mov_b32 s21, 0
	s_cselect_b32 s38, -1, 0
	s_min_u32 s36, s29, 15
	s_cmp_gt_u32 s28, 1
	s_mov_b32 s25, s21
	s_cselect_b32 s35, -1, 0
	s_mov_b32 s41, s21
	s_mov_b32 s40, s21
	;; [unrolled: 1-line block ×3, first 2 shown]
	s_mov_b32 s42, exec_lo
	s_wait_kmcnt 0x0
	s_mov_b32 s20, s13
	s_lshr_b32 s34, s11, 8
	s_lshr_b32 s13, s11, 16
	s_cmp_eq_u32 s10, 0
	s_mov_b32 s24, s0
	s_cselect_b32 s10, -1, 0
	v_cmpx_gt_i32_e64 s37, v0
	s_cbranch_execz .LBB71_385
; %bb.2:
	s_and_not1_b32 vcc_lo, exec_lo, s31
	s_cbranch_vccnz .LBB71_8
; %bb.3:
	s_and_not1_b32 vcc_lo, exec_lo, s38
	s_cbranch_vccnz .LBB71_9
; %bb.4:
	v_dual_mov_b32 v2, 0 :: v_dual_mov_b32 v1, v0
	v_dual_mov_b32 v4, 0 :: v_dual_mov_b32 v6, 0
	s_add_co_i32 s0, s36, 1
	s_mov_b64 s[26:27], 0xffffffffffffffe8
	s_and_b32 s0, s0, 30
	s_add_nc_u64 s[26:27], s[2:3], s[26:27]
.LBB71_5:                               ; =>This Inner Loop Header: Depth=1
	s_clause 0x1
	s_load_b128 s[44:47], s[26:27], 0x1c
	s_load_b64 s[40:41], s[26:27], 0x2c
	s_add_co_i32 s0, s0, -2
	s_delay_alu instid0(SALU_CYCLE_1) | instskip(SKIP_2) | instid1(VALU_DEP_1)
	s_cmp_lg_u32 s0, 0
	s_wait_kmcnt 0x0
	v_mul_hi_u32 v3, s45, v1
	v_add_nc_u32_e32 v3, v1, v3
	s_delay_alu instid0(VALU_DEP_1) | instskip(NEXT) | instid1(VALU_DEP_1)
	v_lshrrev_b32_e32 v3, s46, v3
	v_mul_hi_u32 v5, s40, v3
	v_mul_lo_u32 v7, v3, s44
	s_clause 0x1
	s_load_b128 s[48:51], s[26:27], 0xdc
	s_load_b64 s[44:45], s[26:27], 0xec
	s_wait_xcnt 0x0
	s_add_nc_u64 s[26:27], s[26:27], 24
	s_delay_alu instid0(VALU_DEP_1) | instskip(NEXT) | instid1(VALU_DEP_1)
	v_dual_add_nc_u32 v5, v3, v5 :: v_dual_sub_nc_u32 v7, v1, v7
	v_lshrrev_b32_e32 v1, s41, v5
	s_wait_kmcnt 0x0
	s_delay_alu instid0(VALU_DEP_2) | instskip(NEXT) | instid1(VALU_DEP_2)
	v_mad_u32 v2, v7, s48, v2
	v_mul_lo_u32 v5, v1, s47
	v_mad_u32 v6, v7, s50, v6
	v_mad_u32 v4, v7, s49, v4
	s_delay_alu instid0(VALU_DEP_3) | instskip(NEXT) | instid1(VALU_DEP_1)
	v_sub_nc_u32_e32 v3, v3, v5
	v_mad_u32 v2, v3, s51, v2
	s_delay_alu instid0(VALU_DEP_4) | instskip(NEXT) | instid1(VALU_DEP_4)
	v_mad_u32 v6, v3, s45, v6
	v_mad_u32 v4, v3, s44, v4
	s_cbranch_scc1 .LBB71_5
; %bb.6:
	s_bitcmp1_b32 s36, 0
	s_cselect_b32 s0, -1, 0
	s_delay_alu instid0(SALU_CYCLE_1)
	s_and_b32 vcc_lo, exec_lo, s0
	s_cbranch_vccnz .LBB71_10
; %bb.7:
	s_clause 0x1
	s_load_b96 s[44:46], s[26:27], 0x1c
	s_load_b96 s[48:50], s[26:27], 0xdc
	s_wait_kmcnt 0x0
	v_mul_hi_u32 v3, s45, v1
	s_delay_alu instid0(VALU_DEP_1) | instskip(NEXT) | instid1(VALU_DEP_1)
	v_add_nc_u32_e32 v3, v1, v3
	v_lshrrev_b32_e32 v3, s46, v3
	s_delay_alu instid0(VALU_DEP_1) | instskip(NEXT) | instid1(VALU_DEP_1)
	v_mul_lo_u32 v3, v3, s44
	v_sub_nc_u32_e32 v1, v1, v3
	s_delay_alu instid0(VALU_DEP_1)
	v_mad_u32 v2, v1, s48, v2
	v_mad_u32 v4, v1, s49, v4
	v_mad_u32 v6, v1, s50, v6
	s_cbranch_execz .LBB71_11
	s_branch .LBB71_13
.LBB71_8:
                                        ; implicit-def: $vgpr6
                                        ; implicit-def: $vgpr4
                                        ; implicit-def: $vgpr2
	s_branch .LBB71_11
.LBB71_9:
	v_dual_mov_b32 v6, 0 :: v_dual_mov_b32 v4, 0
	v_mov_b32_e32 v2, 0
.LBB71_10:
	s_cbranch_execnz .LBB71_13
.LBB71_11:
	v_mov_b32_e32 v1, 0
	s_and_not1_b32 vcc_lo, exec_lo, s35
	s_delay_alu instid0(VALU_DEP_1) | instskip(NEXT) | instid1(VALU_DEP_1)
	v_mul_u64_e32 v[2:3], s[20:21], v[0:1]
	v_add_nc_u32_e32 v2, v0, v3
	s_delay_alu instid0(VALU_DEP_1) | instskip(NEXT) | instid1(VALU_DEP_1)
	v_lshrrev_b32_e32 v8, s14, v2
	v_mul_lo_u32 v2, v8, s12
	s_delay_alu instid0(VALU_DEP_1) | instskip(NEXT) | instid1(VALU_DEP_1)
	v_sub_nc_u32_e32 v3, v0, v2
	v_mul_lo_u32 v2, v3, s16
	v_mul_lo_u32 v6, v3, s18
	;; [unrolled: 1-line block ×3, first 2 shown]
	s_cbranch_vccnz .LBB71_13
; %bb.12:
	v_mov_b32_e32 v9, v1
	s_delay_alu instid0(VALU_DEP_1) | instskip(NEXT) | instid1(VALU_DEP_1)
	v_mul_u64_e32 v[10:11], s[24:25], v[8:9]
	v_add_nc_u32_e32 v1, v8, v11
	s_delay_alu instid0(VALU_DEP_1) | instskip(NEXT) | instid1(VALU_DEP_1)
	v_lshrrev_b32_e32 v1, s1, v1
	v_mul_lo_u32 v1, v1, s15
	s_delay_alu instid0(VALU_DEP_1) | instskip(NEXT) | instid1(VALU_DEP_1)
	v_sub_nc_u32_e32 v1, v8, v1
	v_mad_u32 v2, v1, s19, v2
	v_mad_u32 v4, v1, s22, v4
	;; [unrolled: 1-line block ×3, first 2 shown]
.LBB71_13:
	v_mov_b32_e32 v5, 0
	s_and_b32 s0, s34, 0xff
	s_delay_alu instid0(SALU_CYCLE_1) | instskip(NEXT) | instid1(VALU_DEP_1)
	s_cmp_lt_i32 s0, 11
	v_add_nc_u64_e32 v[8:9], s[6:7], v[4:5]
	s_cbranch_scc1 .LBB71_20
; %bb.14:
	s_and_b32 s27, 0xffff, s0
	s_delay_alu instid0(SALU_CYCLE_1)
	s_cmp_gt_i32 s27, 25
	s_cbranch_scc0 .LBB71_29
; %bb.15:
	s_cmp_gt_i32 s27, 28
	s_cbranch_scc0 .LBB71_39
; %bb.16:
	s_cmp_gt_i32 s27, 43
	s_cbranch_scc0 .LBB71_42
; %bb.17:
	s_cmp_gt_i32 s27, 45
	s_cbranch_scc0 .LBB71_45
; %bb.18:
	s_cmp_eq_u32 s27, 46
	s_mov_b32 s40, 0
	s_cbranch_scc0 .LBB71_48
; %bb.19:
	global_load_b32 v1, v[8:9], off
	s_mov_b32 s39, -1
	s_mov_b32 s26, 0
	s_wait_loadcnt 0x0
	v_lshlrev_b32_e32 v1, 16, v1
	s_delay_alu instid0(VALU_DEP_1)
	v_cvt_i32_f32_e32 v4, v1
	s_branch .LBB71_50
.LBB71_20:
	s_mov_b32 s26, 0
	s_mov_b32 s39, 0
                                        ; implicit-def: $vgpr4
	s_cbranch_execnz .LBB71_112
.LBB71_21:
	s_and_not1_b32 vcc_lo, exec_lo, s39
	s_cbranch_vccnz .LBB71_159
.LBB71_22:
	v_mov_b32_e32 v7, 0
	s_and_b32 s0, s13, 0xff
	s_delay_alu instid0(SALU_CYCLE_1) | instskip(NEXT) | instid1(VALU_DEP_1)
	s_cmp_lt_i32 s0, 11
	v_add_nc_u64_e32 v[6:7], s[8:9], v[6:7]
	s_cbranch_scc1 .LBB71_30
; %bb.23:
	s_and_b32 s39, 0xffff, s0
	s_delay_alu instid0(SALU_CYCLE_1)
	s_cmp_gt_i32 s39, 25
	s_cbranch_scc0 .LBB71_40
; %bb.24:
	s_cmp_gt_i32 s39, 28
	s_cbranch_scc0 .LBB71_43
; %bb.25:
	;; [unrolled: 3-line block ×4, first 2 shown]
	s_cmp_eq_u32 s39, 46
	s_mov_b32 s41, 0
	s_cbranch_scc0 .LBB71_160
; %bb.28:
	global_load_b32 v1, v[6:7], off
	s_mov_b32 s40, -1
	s_mov_b32 s27, 0
	s_wait_loadcnt 0x0
	v_lshlrev_b32_e32 v1, 16, v1
	s_delay_alu instid0(VALU_DEP_1)
	v_cvt_i32_f32_e32 v8, v1
	s_branch .LBB71_162
.LBB71_29:
	s_mov_b32 s26, 0
	s_mov_b32 s39, 0
                                        ; implicit-def: $vgpr4
	s_cbranch_execnz .LBB71_79
	s_branch .LBB71_111
.LBB71_30:
	s_mov_b32 s27, 0
	s_mov_b32 s40, 0
                                        ; implicit-def: $vgpr8
	s_cbranch_execnz .LBB71_334
.LBB71_31:
	s_and_not1_b32 vcc_lo, exec_lo, s40
	s_cbranch_vccnz .LBB71_382
.LBB71_32:
	v_mov_b32_e32 v3, 0
	s_wait_loadcnt 0x0
	s_delay_alu instid0(VALU_DEP_2) | instskip(SKIP_1) | instid1(VALU_DEP_2)
	v_cmp_ne_u16_e32 vcc_lo, v4, v8
	s_and_b32 s40, s11, 0xff
	v_add_nc_u64_e32 v[2:3], s[4:5], v[2:3]
	s_xor_b32 s39, s10, vcc_lo
	s_cmp_lt_i32 s40, 11
	s_cbranch_scc1 .LBB71_41
; %bb.33:
	s_and_b32 s41, 0xffff, s40
	s_delay_alu instid0(SALU_CYCLE_1)
	s_cmp_gt_i32 s41, 25
	s_cbranch_scc0 .LBB71_44
; %bb.34:
	s_cmp_gt_i32 s41, 28
	s_cbranch_scc0 .LBB71_47
; %bb.35:
	;; [unrolled: 3-line block ×4, first 2 shown]
	s_mov_b32 s44, 0
	s_mov_b32 s0, -1
	s_cmp_eq_u32 s41, 46
	s_mov_b32 s43, 0
	s_cbranch_scc0 .LBB71_166
; %bb.38:
	v_cndmask_b32_e64 v1, 0, 1.0, s39
	s_mov_b32 s43, -1
	s_mov_b32 s0, 0
	s_delay_alu instid0(VALU_DEP_1) | instskip(NEXT) | instid1(VALU_DEP_1)
	v_bfe_u32 v4, v1, 16, 1
	v_add3_u32 v1, v1, v4, 0x7fff
	s_delay_alu instid0(VALU_DEP_1)
	v_lshrrev_b32_e32 v1, 16, v1
	global_store_b32 v[2:3], v1, off
	s_branch .LBB71_166
.LBB71_39:
	s_mov_b32 s40, -1
	s_mov_b32 s26, 0
	s_mov_b32 s39, 0
                                        ; implicit-def: $vgpr4
	s_branch .LBB71_62
.LBB71_40:
	s_mov_b32 s41, -1
	s_mov_b32 s27, 0
	s_mov_b32 s40, 0
                                        ; implicit-def: $vgpr8
	s_branch .LBB71_300
.LBB71_41:
	s_mov_b32 s41, -1
	s_mov_b32 s0, 0
	s_mov_b32 s43, 0
	s_branch .LBB71_235
.LBB71_42:
	s_mov_b32 s40, -1
	s_mov_b32 s26, 0
	s_mov_b32 s39, 0
                                        ; implicit-def: $vgpr4
	s_branch .LBB71_57
.LBB71_43:
	s_mov_b32 s41, -1
	s_mov_b32 s27, 0
	s_mov_b32 s40, 0
                                        ; implicit-def: $vgpr8
	s_branch .LBB71_283
.LBB71_44:
	s_mov_b32 s44, -1
	s_mov_b32 s0, 0
	s_mov_b32 s43, 0
	s_branch .LBB71_193
.LBB71_45:
	s_mov_b32 s40, -1
	s_mov_b32 s26, 0
	s_branch .LBB71_49
.LBB71_46:
	s_mov_b32 s41, -1
	s_mov_b32 s27, 0
	s_mov_b32 s40, 0
                                        ; implicit-def: $vgpr8
	s_branch .LBB71_278
.LBB71_47:
	s_mov_b32 s44, -1
	s_mov_b32 s0, 0
	s_mov_b32 s43, 0
	s_branch .LBB71_176
.LBB71_48:
	s_mov_b32 s26, -1
.LBB71_49:
	s_mov_b32 s39, 0
                                        ; implicit-def: $vgpr4
.LBB71_50:
	s_and_b32 vcc_lo, exec_lo, s40
	s_cbranch_vccz .LBB71_56
; %bb.51:
	s_cmp_eq_u32 s27, 44
	s_cbranch_scc0 .LBB71_55
; %bb.52:
	global_load_u8 v1, v[8:9], off
	s_mov_b32 s26, 0
	s_mov_b32 s39, -1
	s_wait_loadcnt 0x0
	v_lshlrev_b32_e32 v3, 23, v1
	v_cmp_ne_u32_e32 vcc_lo, 0, v1
	s_delay_alu instid0(VALU_DEP_2) | instskip(NEXT) | instid1(VALU_DEP_1)
	v_cvt_i32_f32_e32 v3, v3
	v_cndmask_b32_e32 v4, 0, v3, vcc_lo
	s_branch .LBB71_56
.LBB71_53:
	s_mov_b32 s41, -1
	s_mov_b32 s27, 0
	s_branch .LBB71_161
.LBB71_54:
	s_mov_b32 s44, -1
	s_mov_b32 s0, 0
	s_mov_b32 s43, 0
	s_branch .LBB71_172
.LBB71_55:
	s_mov_b32 s26, -1
                                        ; implicit-def: $vgpr4
.LBB71_56:
	s_mov_b32 s40, 0
.LBB71_57:
	s_delay_alu instid0(SALU_CYCLE_1)
	s_and_b32 vcc_lo, exec_lo, s40
	s_cbranch_vccz .LBB71_61
; %bb.58:
	s_cmp_eq_u32 s27, 29
	s_cbranch_scc0 .LBB71_60
; %bb.59:
	global_load_b64 v[4:5], v[8:9], off
	s_mov_b32 s39, -1
	s_mov_b32 s26, 0
	s_branch .LBB71_61
.LBB71_60:
	s_mov_b32 s26, -1
                                        ; implicit-def: $vgpr4
.LBB71_61:
	s_mov_b32 s40, 0
.LBB71_62:
	s_delay_alu instid0(SALU_CYCLE_1)
	s_and_b32 vcc_lo, exec_lo, s40
	s_cbranch_vccz .LBB71_78
; %bb.63:
	s_cmp_lt_i32 s27, 27
	s_cbranch_scc1 .LBB71_66
; %bb.64:
	s_cmp_gt_i32 s27, 27
	s_cbranch_scc0 .LBB71_67
; %bb.65:
	s_wait_loadcnt 0x0
	global_load_b32 v4, v[8:9], off
	s_mov_b32 s39, 0
	s_branch .LBB71_68
.LBB71_66:
	s_mov_b32 s39, -1
                                        ; implicit-def: $vgpr4
	s_branch .LBB71_71
.LBB71_67:
	s_mov_b32 s39, -1
                                        ; implicit-def: $vgpr4
.LBB71_68:
	s_delay_alu instid0(SALU_CYCLE_1)
	s_and_not1_b32 vcc_lo, exec_lo, s39
	s_cbranch_vccnz .LBB71_70
; %bb.69:
	s_wait_loadcnt 0x0
	global_load_u16 v4, v[8:9], off
.LBB71_70:
	s_mov_b32 s39, 0
.LBB71_71:
	s_delay_alu instid0(SALU_CYCLE_1)
	s_and_not1_b32 vcc_lo, exec_lo, s39
	s_cbranch_vccnz .LBB71_77
; %bb.72:
	global_load_u8 v1, v[8:9], off
	s_mov_b32 s40, 0
	s_mov_b32 s39, exec_lo
	s_wait_loadcnt 0x0
	v_cmpx_lt_i16_e32 0x7f, v1
	s_xor_b32 s39, exec_lo, s39
	s_cbranch_execz .LBB71_88
; %bb.73:
	v_cmp_ne_u16_e32 vcc_lo, 0x80, v1
	s_and_b32 s40, vcc_lo, exec_lo
	s_and_not1_saveexec_b32 s39, s39
	s_cbranch_execnz .LBB71_89
.LBB71_74:
	s_or_b32 exec_lo, exec_lo, s39
	v_mov_b32_e32 v4, 0
	s_and_saveexec_b32 s39, s40
	s_cbranch_execz .LBB71_76
.LBB71_75:
	v_and_b32_e32 v3, 0xffff, v1
	s_delay_alu instid0(VALU_DEP_1) | instskip(SKIP_1) | instid1(VALU_DEP_2)
	v_and_b32_e32 v4, 7, v3
	v_bfe_u32 v10, v3, 3, 4
	v_clz_i32_u32_e32 v5, v4
	s_delay_alu instid0(VALU_DEP_2) | instskip(NEXT) | instid1(VALU_DEP_2)
	v_cmp_eq_u32_e32 vcc_lo, 0, v10
	v_min_u32_e32 v5, 32, v5
	s_delay_alu instid0(VALU_DEP_1) | instskip(NEXT) | instid1(VALU_DEP_1)
	v_subrev_nc_u32_e32 v7, 28, v5
	v_dual_lshlrev_b32 v3, v7, v3 :: v_dual_sub_nc_u32 v5, 29, v5
	s_delay_alu instid0(VALU_DEP_1) | instskip(NEXT) | instid1(VALU_DEP_1)
	v_dual_lshlrev_b32 v1, 24, v1 :: v_dual_bitop2_b32 v3, 7, v3 bitop3:0x40
	v_dual_cndmask_b32 v3, v4, v3, vcc_lo :: v_dual_cndmask_b32 v5, v10, v5, vcc_lo
	s_delay_alu instid0(VALU_DEP_2) | instskip(NEXT) | instid1(VALU_DEP_2)
	v_and_b32_e32 v1, 0x80000000, v1
	v_lshlrev_b32_e32 v3, 20, v3
	s_delay_alu instid0(VALU_DEP_3) | instskip(NEXT) | instid1(VALU_DEP_1)
	v_lshl_add_u32 v4, v5, 23, 0x3b800000
	v_or3_b32 v1, v1, v4, v3
	s_delay_alu instid0(VALU_DEP_1)
	v_cvt_i32_f32_e32 v4, v1
.LBB71_76:
	s_or_b32 exec_lo, exec_lo, s39
.LBB71_77:
	s_mov_b32 s39, -1
.LBB71_78:
	s_branch .LBB71_111
.LBB71_79:
	s_cmp_gt_i32 s27, 22
	s_cbranch_scc0 .LBB71_87
; %bb.80:
	s_cmp_lt_i32 s27, 24
	s_cbranch_scc1 .LBB71_90
; %bb.81:
	s_cmp_gt_i32 s27, 24
	s_cbranch_scc0 .LBB71_91
; %bb.82:
	global_load_u8 v1, v[8:9], off
	s_mov_b32 s40, 0
	s_mov_b32 s39, exec_lo
	s_wait_loadcnt 0x0
	v_cmpx_lt_i16_e32 0x7f, v1
	s_xor_b32 s39, exec_lo, s39
	s_cbranch_execz .LBB71_103
; %bb.83:
	v_cmp_ne_u16_e32 vcc_lo, 0x80, v1
	s_and_b32 s40, vcc_lo, exec_lo
	s_and_not1_saveexec_b32 s39, s39
	s_cbranch_execnz .LBB71_104
.LBB71_84:
	s_or_b32 exec_lo, exec_lo, s39
	v_mov_b32_e32 v4, 0
	s_and_saveexec_b32 s39, s40
	s_cbranch_execz .LBB71_86
.LBB71_85:
	v_and_b32_e32 v3, 0xffff, v1
	s_delay_alu instid0(VALU_DEP_1) | instskip(SKIP_1) | instid1(VALU_DEP_2)
	v_and_b32_e32 v4, 3, v3
	v_bfe_u32 v10, v3, 2, 5
	v_clz_i32_u32_e32 v5, v4
	s_delay_alu instid0(VALU_DEP_2) | instskip(NEXT) | instid1(VALU_DEP_2)
	v_cmp_eq_u32_e32 vcc_lo, 0, v10
	v_min_u32_e32 v5, 32, v5
	s_delay_alu instid0(VALU_DEP_1) | instskip(NEXT) | instid1(VALU_DEP_1)
	v_subrev_nc_u32_e32 v7, 29, v5
	v_dual_lshlrev_b32 v3, v7, v3 :: v_dual_sub_nc_u32 v5, 30, v5
	s_delay_alu instid0(VALU_DEP_1) | instskip(NEXT) | instid1(VALU_DEP_1)
	v_dual_lshlrev_b32 v1, 24, v1 :: v_dual_bitop2_b32 v3, 3, v3 bitop3:0x40
	v_dual_cndmask_b32 v3, v4, v3, vcc_lo :: v_dual_cndmask_b32 v5, v10, v5, vcc_lo
	s_delay_alu instid0(VALU_DEP_2) | instskip(NEXT) | instid1(VALU_DEP_2)
	v_and_b32_e32 v1, 0x80000000, v1
	v_lshlrev_b32_e32 v3, 21, v3
	s_delay_alu instid0(VALU_DEP_3) | instskip(NEXT) | instid1(VALU_DEP_1)
	v_lshl_add_u32 v4, v5, 23, 0x37800000
	v_or3_b32 v1, v1, v4, v3
	s_delay_alu instid0(VALU_DEP_1)
	v_cvt_i32_f32_e32 v4, v1
.LBB71_86:
	s_or_b32 exec_lo, exec_lo, s39
	s_mov_b32 s39, 0
	s_branch .LBB71_92
.LBB71_87:
	s_mov_b32 s40, -1
                                        ; implicit-def: $vgpr4
	s_branch .LBB71_98
.LBB71_88:
	s_and_not1_saveexec_b32 s39, s39
	s_cbranch_execz .LBB71_74
.LBB71_89:
	v_cmp_ne_u16_e32 vcc_lo, 0, v1
	s_and_not1_b32 s40, s40, exec_lo
	s_and_b32 s41, vcc_lo, exec_lo
	s_delay_alu instid0(SALU_CYCLE_1)
	s_or_b32 s40, s40, s41
	s_or_b32 exec_lo, exec_lo, s39
	v_mov_b32_e32 v4, 0
	s_and_saveexec_b32 s39, s40
	s_cbranch_execnz .LBB71_75
	s_branch .LBB71_76
.LBB71_90:
	s_mov_b32 s39, -1
                                        ; implicit-def: $vgpr4
	s_branch .LBB71_95
.LBB71_91:
	s_mov_b32 s39, -1
                                        ; implicit-def: $vgpr4
.LBB71_92:
	s_delay_alu instid0(SALU_CYCLE_1)
	s_and_b32 vcc_lo, exec_lo, s39
	s_cbranch_vccz .LBB71_94
; %bb.93:
	global_load_u8 v1, v[8:9], off
	s_wait_loadcnt 0x0
	v_lshlrev_b32_e32 v1, 24, v1
	s_delay_alu instid0(VALU_DEP_1) | instskip(NEXT) | instid1(VALU_DEP_1)
	v_and_b32_e32 v3, 0x7f000000, v1
	v_clz_i32_u32_e32 v4, v3
	v_add_nc_u32_e32 v7, 0x1000000, v3
	v_cmp_ne_u32_e32 vcc_lo, 0, v3
	s_delay_alu instid0(VALU_DEP_3) | instskip(NEXT) | instid1(VALU_DEP_1)
	v_min_u32_e32 v4, 32, v4
	v_sub_nc_u32_e64 v4, v4, 4 clamp
	s_delay_alu instid0(VALU_DEP_1) | instskip(NEXT) | instid1(VALU_DEP_1)
	v_dual_lshlrev_b32 v5, v4, v3 :: v_dual_lshlrev_b32 v4, 23, v4
	v_lshrrev_b32_e32 v5, 4, v5
	s_delay_alu instid0(VALU_DEP_1) | instskip(NEXT) | instid1(VALU_DEP_1)
	v_dual_sub_nc_u32 v4, v5, v4 :: v_dual_ashrrev_i32 v5, 8, v7
	v_add_nc_u32_e32 v4, 0x3c000000, v4
	s_delay_alu instid0(VALU_DEP_1) | instskip(NEXT) | instid1(VALU_DEP_1)
	v_and_or_b32 v4, 0x7f800000, v5, v4
	v_cndmask_b32_e32 v3, 0, v4, vcc_lo
	s_delay_alu instid0(VALU_DEP_1) | instskip(NEXT) | instid1(VALU_DEP_1)
	v_and_or_b32 v1, 0x80000000, v1, v3
	v_cvt_i32_f32_e32 v4, v1
.LBB71_94:
	s_mov_b32 s39, 0
.LBB71_95:
	s_delay_alu instid0(SALU_CYCLE_1)
	s_and_not1_b32 vcc_lo, exec_lo, s39
	s_cbranch_vccnz .LBB71_97
; %bb.96:
	global_load_u8 v1, v[8:9], off
	s_wait_loadcnt 0x0
	v_lshlrev_b32_e32 v3, 25, v1
	v_lshlrev_b16 v1, 8, v1
	s_delay_alu instid0(VALU_DEP_1) | instskip(NEXT) | instid1(VALU_DEP_3)
	v_and_or_b32 v5, 0x7f00, v1, 0.5
	v_lshrrev_b32_e32 v4, 4, v3
	v_bfe_i32 v1, v1, 0, 16
	s_delay_alu instid0(VALU_DEP_3) | instskip(NEXT) | instid1(VALU_DEP_3)
	v_add_f32_e32 v5, -0.5, v5
	v_or_b32_e32 v4, 0x70000000, v4
	s_delay_alu instid0(VALU_DEP_1) | instskip(SKIP_1) | instid1(VALU_DEP_2)
	v_mul_f32_e32 v4, 0x7800000, v4
	v_cmp_gt_u32_e32 vcc_lo, 0x8000000, v3
	v_cndmask_b32_e32 v3, v4, v5, vcc_lo
	s_delay_alu instid0(VALU_DEP_1) | instskip(NEXT) | instid1(VALU_DEP_1)
	v_and_or_b32 v1, 0x80000000, v1, v3
	v_cvt_i32_f32_e32 v4, v1
.LBB71_97:
	s_mov_b32 s40, 0
	s_mov_b32 s39, -1
.LBB71_98:
	s_and_not1_b32 vcc_lo, exec_lo, s40
	s_cbranch_vccnz .LBB71_111
; %bb.99:
	s_cmp_gt_i32 s27, 14
	s_cbranch_scc0 .LBB71_102
; %bb.100:
	s_cmp_eq_u32 s27, 15
	s_cbranch_scc0 .LBB71_105
; %bb.101:
	global_load_u16 v1, v[8:9], off
	s_mov_b32 s39, -1
	s_mov_b32 s26, 0
	s_wait_loadcnt 0x0
	v_lshlrev_b32_e32 v1, 16, v1
	s_delay_alu instid0(VALU_DEP_1)
	v_cvt_i32_f32_e32 v4, v1
	s_branch .LBB71_106
.LBB71_102:
	s_mov_b32 s40, -1
                                        ; implicit-def: $vgpr4
	s_branch .LBB71_107
.LBB71_103:
	s_and_not1_saveexec_b32 s39, s39
	s_cbranch_execz .LBB71_84
.LBB71_104:
	v_cmp_ne_u16_e32 vcc_lo, 0, v1
	s_and_not1_b32 s40, s40, exec_lo
	s_and_b32 s41, vcc_lo, exec_lo
	s_delay_alu instid0(SALU_CYCLE_1)
	s_or_b32 s40, s40, s41
	s_or_b32 exec_lo, exec_lo, s39
	v_mov_b32_e32 v4, 0
	s_and_saveexec_b32 s39, s40
	s_cbranch_execnz .LBB71_85
	s_branch .LBB71_86
.LBB71_105:
	s_mov_b32 s26, -1
                                        ; implicit-def: $vgpr4
.LBB71_106:
	s_mov_b32 s40, 0
.LBB71_107:
	s_delay_alu instid0(SALU_CYCLE_1)
	s_and_b32 vcc_lo, exec_lo, s40
	s_cbranch_vccz .LBB71_111
; %bb.108:
	s_cmp_eq_u32 s27, 11
	s_cbranch_scc0 .LBB71_110
; %bb.109:
	global_load_u8 v1, v[8:9], off
	s_mov_b32 s26, 0
	s_mov_b32 s39, -1
	s_wait_loadcnt 0x0
	v_cmp_ne_u16_e32 vcc_lo, 0, v1
	v_cndmask_b32_e64 v4, 0, 1, vcc_lo
	s_branch .LBB71_111
.LBB71_110:
	s_mov_b32 s26, -1
                                        ; implicit-def: $vgpr4
.LBB71_111:
	s_branch .LBB71_21
.LBB71_112:
	s_and_b32 s0, 0xffff, s0
	s_delay_alu instid0(SALU_CYCLE_1)
	s_cmp_lt_i32 s0, 5
	s_cbranch_scc1 .LBB71_117
; %bb.113:
	s_cmp_lt_i32 s0, 8
	s_cbranch_scc1 .LBB71_118
; %bb.114:
	;; [unrolled: 3-line block ×3, first 2 shown]
	s_cmp_gt_i32 s0, 9
	s_cbranch_scc0 .LBB71_120
; %bb.116:
	s_wait_loadcnt 0x0
	global_load_b64 v[4:5], v[8:9], off
	s_mov_b32 s27, 0
	s_wait_loadcnt 0x0
	v_cvt_i32_f64_e32 v4, v[4:5]
	s_branch .LBB71_121
.LBB71_117:
                                        ; implicit-def: $vgpr4
	s_branch .LBB71_139
.LBB71_118:
	s_mov_b32 s27, -1
                                        ; implicit-def: $vgpr4
	s_branch .LBB71_127
.LBB71_119:
	s_mov_b32 s27, -1
                                        ; implicit-def: $vgpr4
	s_branch .LBB71_124
.LBB71_120:
	s_mov_b32 s27, -1
                                        ; implicit-def: $vgpr4
.LBB71_121:
	s_delay_alu instid0(SALU_CYCLE_1)
	s_and_not1_b32 vcc_lo, exec_lo, s27
	s_cbranch_vccnz .LBB71_123
; %bb.122:
	global_load_b32 v1, v[8:9], off
	s_wait_loadcnt 0x0
	v_cvt_i32_f32_e32 v4, v1
.LBB71_123:
	s_mov_b32 s27, 0
.LBB71_124:
	s_delay_alu instid0(SALU_CYCLE_1)
	s_and_not1_b32 vcc_lo, exec_lo, s27
	s_cbranch_vccnz .LBB71_126
; %bb.125:
	global_load_b32 v1, v[8:9], off
	s_wait_loadcnt 0x0
	v_cvt_i16_f16_e32 v4, v1
.LBB71_126:
	s_mov_b32 s27, 0
.LBB71_127:
	s_delay_alu instid0(SALU_CYCLE_1)
	s_and_not1_b32 vcc_lo, exec_lo, s27
	s_cbranch_vccnz .LBB71_138
; %bb.128:
	s_cmp_lt_i32 s0, 6
	s_cbranch_scc1 .LBB71_131
; %bb.129:
	s_cmp_gt_i32 s0, 6
	s_cbranch_scc0 .LBB71_132
; %bb.130:
	s_wait_loadcnt 0x0
	global_load_b64 v[4:5], v[8:9], off
	s_mov_b32 s27, 0
	s_wait_loadcnt 0x0
	v_cvt_i32_f64_e32 v4, v[4:5]
	s_branch .LBB71_133
.LBB71_131:
	s_mov_b32 s27, -1
                                        ; implicit-def: $vgpr4
	s_branch .LBB71_136
.LBB71_132:
	s_mov_b32 s27, -1
                                        ; implicit-def: $vgpr4
.LBB71_133:
	s_delay_alu instid0(SALU_CYCLE_1)
	s_and_not1_b32 vcc_lo, exec_lo, s27
	s_cbranch_vccnz .LBB71_135
; %bb.134:
	global_load_b32 v1, v[8:9], off
	s_wait_loadcnt 0x0
	v_cvt_i32_f32_e32 v4, v1
.LBB71_135:
	s_mov_b32 s27, 0
.LBB71_136:
	s_delay_alu instid0(SALU_CYCLE_1)
	s_and_not1_b32 vcc_lo, exec_lo, s27
	s_cbranch_vccnz .LBB71_138
; %bb.137:
	global_load_u16 v1, v[8:9], off
	s_wait_loadcnt 0x0
	v_cvt_i16_f16_e32 v4, v1
.LBB71_138:
	s_cbranch_execnz .LBB71_158
.LBB71_139:
	s_cmp_lt_i32 s0, 2
	s_cbranch_scc1 .LBB71_143
; %bb.140:
	s_cmp_lt_i32 s0, 3
	s_cbranch_scc1 .LBB71_144
; %bb.141:
	s_cmp_gt_i32 s0, 3
	s_cbranch_scc0 .LBB71_145
; %bb.142:
	s_wait_loadcnt 0x0
	global_load_b64 v[4:5], v[8:9], off
	s_mov_b32 s27, 0
	s_branch .LBB71_146
.LBB71_143:
	s_mov_b32 s27, -1
                                        ; implicit-def: $vgpr4
	s_branch .LBB71_152
.LBB71_144:
	s_mov_b32 s27, -1
                                        ; implicit-def: $vgpr4
	s_branch .LBB71_149
.LBB71_145:
	s_mov_b32 s27, -1
                                        ; implicit-def: $vgpr4
.LBB71_146:
	s_delay_alu instid0(SALU_CYCLE_1)
	s_and_not1_b32 vcc_lo, exec_lo, s27
	s_cbranch_vccnz .LBB71_148
; %bb.147:
	s_wait_loadcnt 0x0
	global_load_b32 v4, v[8:9], off
.LBB71_148:
	s_mov_b32 s27, 0
.LBB71_149:
	s_delay_alu instid0(SALU_CYCLE_1)
	s_and_not1_b32 vcc_lo, exec_lo, s27
	s_cbranch_vccnz .LBB71_151
; %bb.150:
	s_wait_loadcnt 0x0
	global_load_u16 v4, v[8:9], off
.LBB71_151:
	s_mov_b32 s27, 0
.LBB71_152:
	s_delay_alu instid0(SALU_CYCLE_1)
	s_and_not1_b32 vcc_lo, exec_lo, s27
	s_cbranch_vccnz .LBB71_158
; %bb.153:
	s_cmp_gt_i32 s0, 0
	s_mov_b32 s0, 0
	s_cbranch_scc0 .LBB71_155
; %bb.154:
	s_wait_loadcnt 0x0
	global_load_i8 v4, v[8:9], off
	s_branch .LBB71_156
.LBB71_155:
	s_mov_b32 s0, -1
                                        ; implicit-def: $vgpr4
.LBB71_156:
	s_delay_alu instid0(SALU_CYCLE_1)
	s_and_not1_b32 vcc_lo, exec_lo, s0
	s_cbranch_vccnz .LBB71_158
; %bb.157:
	s_wait_loadcnt 0x0
	global_load_u8 v4, v[8:9], off
.LBB71_158:
	s_branch .LBB71_22
.LBB71_159:
	s_mov_b32 s0, 0
	s_mov_b32 s27, 0
	s_branch .LBB71_383
.LBB71_160:
	s_mov_b32 s27, -1
.LBB71_161:
	s_mov_b32 s40, 0
                                        ; implicit-def: $vgpr8
.LBB71_162:
	s_and_b32 vcc_lo, exec_lo, s41
	s_cbranch_vccz .LBB71_277
; %bb.163:
	s_cmp_eq_u32 s39, 44
	s_cbranch_scc0 .LBB71_276
; %bb.164:
	global_load_u8 v1, v[6:7], off
	s_mov_b32 s27, 0
	s_mov_b32 s40, -1
	s_wait_loadcnt 0x0
	v_lshlrev_b32_e32 v3, 23, v1
	v_cmp_ne_u32_e32 vcc_lo, 0, v1
	s_delay_alu instid0(VALU_DEP_2) | instskip(NEXT) | instid1(VALU_DEP_1)
	v_cvt_i32_f32_e32 v3, v3
	v_cndmask_b32_e32 v8, 0, v3, vcc_lo
	s_branch .LBB71_277
.LBB71_165:
	s_mov_b32 s44, -1
	s_mov_b32 s0, 0
	s_mov_b32 s43, 0
.LBB71_166:
	s_and_b32 vcc_lo, exec_lo, s44
	s_cbranch_vccz .LBB71_171
; %bb.167:
	s_cmp_eq_u32 s41, 44
	s_mov_b32 s0, -1
	s_cbranch_scc0 .LBB71_171
; %bb.168:
	v_cndmask_b32_e64 v5, 0, 1.0, s39
	s_mov_b32 s43, exec_lo
	s_wait_xcnt 0x0
	s_delay_alu instid0(VALU_DEP_1) | instskip(NEXT) | instid1(VALU_DEP_1)
	v_dual_mov_b32 v4, 0xff :: v_dual_lshrrev_b32 v1, 23, v5
	v_cmpx_ne_u32_e32 0xff, v1
; %bb.169:
	v_and_b32_e32 v4, 0x400000, v5
	v_and_or_b32 v5, 0x3fffff, v5, v1
	s_delay_alu instid0(VALU_DEP_2) | instskip(NEXT) | instid1(VALU_DEP_2)
	v_cmp_ne_u32_e32 vcc_lo, 0, v4
	v_cmp_ne_u32_e64 s0, 0, v5
	s_and_b32 s0, vcc_lo, s0
	s_delay_alu instid0(SALU_CYCLE_1) | instskip(NEXT) | instid1(VALU_DEP_1)
	v_cndmask_b32_e64 v4, 0, 1, s0
	v_add_nc_u32_e32 v4, v1, v4
; %bb.170:
	s_or_b32 exec_lo, exec_lo, s43
	s_mov_b32 s43, -1
	s_mov_b32 s0, 0
	global_store_b8 v[2:3], v4, off
.LBB71_171:
	s_mov_b32 s44, 0
.LBB71_172:
	s_delay_alu instid0(SALU_CYCLE_1)
	s_and_b32 vcc_lo, exec_lo, s44
	s_cbranch_vccz .LBB71_175
; %bb.173:
	s_cmp_eq_u32 s41, 29
	s_mov_b32 s0, -1
	s_cbranch_scc0 .LBB71_175
; %bb.174:
	s_mov_b32 s0, 0
	s_wait_xcnt 0x0
	v_cndmask_b32_e64 v4, 0, 1, s39
	v_mov_b32_e32 v5, s0
	s_mov_b32 s43, -1
	s_mov_b32 s44, 0
	global_store_b64 v[2:3], v[4:5], off
	s_branch .LBB71_176
.LBB71_175:
	s_mov_b32 s44, 0
.LBB71_176:
	s_delay_alu instid0(SALU_CYCLE_1)
	s_and_b32 vcc_lo, exec_lo, s44
	s_cbranch_vccz .LBB71_192
; %bb.177:
	s_cmp_lt_i32 s41, 27
	s_mov_b32 s43, -1
	s_cbranch_scc1 .LBB71_183
; %bb.178:
	s_cmp_gt_i32 s41, 27
	s_cbranch_scc0 .LBB71_180
; %bb.179:
	s_wait_xcnt 0x0
	v_cndmask_b32_e64 v1, 0, 1, s39
	s_mov_b32 s43, 0
	global_store_b32 v[2:3], v1, off
.LBB71_180:
	s_and_not1_b32 vcc_lo, exec_lo, s43
	s_cbranch_vccnz .LBB71_182
; %bb.181:
	s_wait_xcnt 0x0
	v_cndmask_b32_e64 v1, 0, 1, s39
	global_store_b16 v[2:3], v1, off
.LBB71_182:
	s_mov_b32 s43, 0
.LBB71_183:
	s_delay_alu instid0(SALU_CYCLE_1)
	s_and_not1_b32 vcc_lo, exec_lo, s43
	s_cbranch_vccnz .LBB71_191
; %bb.184:
	s_wait_xcnt 0x0
	v_cndmask_b32_e64 v4, 0, 1.0, s39
	v_mov_b32_e32 v5, 0x80
	s_mov_b32 s43, exec_lo
	s_delay_alu instid0(VALU_DEP_2)
	v_cmpx_gt_u32_e32 0x43800000, v4
	s_cbranch_execz .LBB71_190
; %bb.185:
	s_mov_b32 s44, 0
	s_mov_b32 s45, exec_lo
                                        ; implicit-def: $vgpr1
	v_cmpx_lt_u32_e32 0x3bffffff, v4
	s_xor_b32 s45, exec_lo, s45
	s_cbranch_execz .LBB71_425
; %bb.186:
	v_bfe_u32 v1, v4, 20, 1
	s_mov_b32 s44, exec_lo
	s_delay_alu instid0(VALU_DEP_1) | instskip(NEXT) | instid1(VALU_DEP_1)
	v_add3_u32 v1, v4, v1, 0x487ffff
                                        ; implicit-def: $vgpr4
	v_lshrrev_b32_e32 v1, 20, v1
	s_and_not1_saveexec_b32 s45, s45
	s_cbranch_execnz .LBB71_426
.LBB71_187:
	s_or_b32 exec_lo, exec_lo, s45
	v_mov_b32_e32 v5, 0
	s_and_saveexec_b32 s45, s44
.LBB71_188:
	v_mov_b32_e32 v5, v1
.LBB71_189:
	s_or_b32 exec_lo, exec_lo, s45
.LBB71_190:
	s_delay_alu instid0(SALU_CYCLE_1)
	s_or_b32 exec_lo, exec_lo, s43
	global_store_b8 v[2:3], v5, off
.LBB71_191:
	s_mov_b32 s43, -1
.LBB71_192:
	s_mov_b32 s44, 0
.LBB71_193:
	s_delay_alu instid0(SALU_CYCLE_1)
	s_and_b32 vcc_lo, exec_lo, s44
	s_cbranch_vccz .LBB71_234
; %bb.194:
	s_cmp_gt_i32 s41, 22
	s_mov_b32 s44, -1
	s_cbranch_scc0 .LBB71_226
; %bb.195:
	s_cmp_lt_i32 s41, 24
	s_mov_b32 s43, -1
	s_cbranch_scc1 .LBB71_215
; %bb.196:
	s_cmp_gt_i32 s41, 24
	s_cbranch_scc0 .LBB71_204
; %bb.197:
	s_wait_xcnt 0x0
	v_cndmask_b32_e64 v4, 0, 1.0, s39
	v_mov_b32_e32 v5, 0x80
	s_mov_b32 s43, exec_lo
	s_delay_alu instid0(VALU_DEP_2)
	v_cmpx_gt_u32_e32 0x47800000, v4
	s_cbranch_execz .LBB71_203
; %bb.198:
	s_mov_b32 s44, 0
	s_mov_b32 s45, exec_lo
                                        ; implicit-def: $vgpr1
	v_cmpx_lt_u32_e32 0x37ffffff, v4
	s_xor_b32 s45, exec_lo, s45
	s_cbranch_execz .LBB71_540
; %bb.199:
	v_bfe_u32 v1, v4, 21, 1
	s_mov_b32 s44, exec_lo
	s_delay_alu instid0(VALU_DEP_1) | instskip(NEXT) | instid1(VALU_DEP_1)
	v_add3_u32 v1, v4, v1, 0x88fffff
                                        ; implicit-def: $vgpr4
	v_lshrrev_b32_e32 v1, 21, v1
	s_and_not1_saveexec_b32 s45, s45
	s_cbranch_execnz .LBB71_541
.LBB71_200:
	s_or_b32 exec_lo, exec_lo, s45
	v_mov_b32_e32 v5, 0
	s_and_saveexec_b32 s45, s44
.LBB71_201:
	v_mov_b32_e32 v5, v1
.LBB71_202:
	s_or_b32 exec_lo, exec_lo, s45
.LBB71_203:
	s_delay_alu instid0(SALU_CYCLE_1)
	s_or_b32 exec_lo, exec_lo, s43
	s_mov_b32 s43, 0
	global_store_b8 v[2:3], v5, off
.LBB71_204:
	s_and_b32 vcc_lo, exec_lo, s43
	s_cbranch_vccz .LBB71_214
; %bb.205:
	s_wait_xcnt 0x0
	v_cndmask_b32_e64 v4, 0, 1.0, s39
	s_mov_b32 s43, exec_lo
                                        ; implicit-def: $vgpr1
	s_delay_alu instid0(VALU_DEP_1)
	v_cmpx_gt_u32_e32 0x43f00000, v4
	s_xor_b32 s43, exec_lo, s43
	s_cbranch_execz .LBB71_211
; %bb.206:
	s_mov_b32 s44, exec_lo
                                        ; implicit-def: $vgpr1
	v_cmpx_lt_u32_e32 0x3c7fffff, v4
	s_xor_b32 s44, exec_lo, s44
; %bb.207:
	v_bfe_u32 v1, v4, 20, 1
	s_delay_alu instid0(VALU_DEP_1) | instskip(NEXT) | instid1(VALU_DEP_1)
	v_add3_u32 v1, v4, v1, 0x407ffff
	v_and_b32_e32 v4, 0xff00000, v1
	v_lshrrev_b32_e32 v1, 20, v1
	s_delay_alu instid0(VALU_DEP_2) | instskip(NEXT) | instid1(VALU_DEP_2)
	v_cmp_ne_u32_e32 vcc_lo, 0x7f00000, v4
                                        ; implicit-def: $vgpr4
	v_cndmask_b32_e32 v1, 0x7e, v1, vcc_lo
; %bb.208:
	s_and_not1_saveexec_b32 s44, s44
; %bb.209:
	v_add_f32_e32 v1, 0x46800000, v4
; %bb.210:
	s_or_b32 exec_lo, exec_lo, s44
                                        ; implicit-def: $vgpr4
.LBB71_211:
	s_and_not1_saveexec_b32 s43, s43
; %bb.212:
	v_mov_b32_e32 v1, 0x7f
	v_cmp_lt_u32_e32 vcc_lo, 0x7f800000, v4
	s_delay_alu instid0(VALU_DEP_2)
	v_cndmask_b32_e32 v1, 0x7e, v1, vcc_lo
; %bb.213:
	s_or_b32 exec_lo, exec_lo, s43
	global_store_b8 v[2:3], v1, off
.LBB71_214:
	s_mov_b32 s43, 0
.LBB71_215:
	s_delay_alu instid0(SALU_CYCLE_1)
	s_and_not1_b32 vcc_lo, exec_lo, s43
	s_cbranch_vccnz .LBB71_225
; %bb.216:
	s_wait_xcnt 0x0
	v_cndmask_b32_e64 v4, 0, 1.0, s39
	s_mov_b32 s43, exec_lo
                                        ; implicit-def: $vgpr1
	s_delay_alu instid0(VALU_DEP_1)
	v_cmpx_gt_u32_e32 0x47800000, v4
	s_xor_b32 s43, exec_lo, s43
	s_cbranch_execz .LBB71_222
; %bb.217:
	s_mov_b32 s44, exec_lo
                                        ; implicit-def: $vgpr1
	v_cmpx_lt_u32_e32 0x387fffff, v4
	s_xor_b32 s44, exec_lo, s44
; %bb.218:
	v_bfe_u32 v1, v4, 21, 1
	s_delay_alu instid0(VALU_DEP_1) | instskip(NEXT) | instid1(VALU_DEP_1)
	v_add3_u32 v1, v4, v1, 0x80fffff
                                        ; implicit-def: $vgpr4
	v_lshrrev_b32_e32 v1, 21, v1
; %bb.219:
	s_and_not1_saveexec_b32 s44, s44
; %bb.220:
	v_add_f32_e32 v1, 0x43000000, v4
; %bb.221:
	s_or_b32 exec_lo, exec_lo, s44
                                        ; implicit-def: $vgpr4
.LBB71_222:
	s_and_not1_saveexec_b32 s43, s43
; %bb.223:
	v_mov_b32_e32 v1, 0x7f
	v_cmp_lt_u32_e32 vcc_lo, 0x7f800000, v4
	s_delay_alu instid0(VALU_DEP_2)
	v_cndmask_b32_e32 v1, 0x7c, v1, vcc_lo
; %bb.224:
	s_or_b32 exec_lo, exec_lo, s43
	global_store_b8 v[2:3], v1, off
.LBB71_225:
	s_mov_b32 s44, 0
	s_mov_b32 s43, -1
.LBB71_226:
	s_and_not1_b32 vcc_lo, exec_lo, s44
	s_cbranch_vccnz .LBB71_234
; %bb.227:
	s_cmp_gt_i32 s41, 14
	s_mov_b32 s44, -1
	s_cbranch_scc0 .LBB71_231
; %bb.228:
	s_cmp_eq_u32 s41, 15
	s_mov_b32 s0, -1
	s_cbranch_scc0 .LBB71_230
; %bb.229:
	s_wait_xcnt 0x0
	v_cndmask_b32_e64 v1, 0, 1.0, s39
	s_mov_b32 s43, -1
	s_mov_b32 s0, 0
	s_delay_alu instid0(VALU_DEP_1) | instskip(NEXT) | instid1(VALU_DEP_1)
	v_bfe_u32 v4, v1, 16, 1
	v_add3_u32 v1, v1, v4, 0x7fff
	global_store_d16_hi_b16 v[2:3], v1, off
.LBB71_230:
	s_mov_b32 s44, 0
.LBB71_231:
	s_delay_alu instid0(SALU_CYCLE_1)
	s_and_b32 vcc_lo, exec_lo, s44
	s_cbranch_vccz .LBB71_234
; %bb.232:
	s_cmp_eq_u32 s41, 11
	s_mov_b32 s0, -1
	s_cbranch_scc0 .LBB71_234
; %bb.233:
	s_wait_xcnt 0x0
	v_cndmask_b32_e64 v1, 0, 1, s39
	s_mov_b32 s43, -1
	s_mov_b32 s0, 0
	global_store_b8 v[2:3], v1, off
.LBB71_234:
	s_mov_b32 s41, 0
.LBB71_235:
	s_delay_alu instid0(SALU_CYCLE_1)
	s_and_b32 vcc_lo, exec_lo, s41
	s_cbranch_vccz .LBB71_274
; %bb.236:
	s_and_b32 s40, 0xffff, s40
	s_mov_b32 s41, -1
	s_cmp_lt_i32 s40, 5
	s_cbranch_scc1 .LBB71_257
; %bb.237:
	s_cmp_lt_i32 s40, 8
	s_cbranch_scc1 .LBB71_247
; %bb.238:
	;; [unrolled: 3-line block ×3, first 2 shown]
	s_cmp_gt_i32 s40, 9
	s_cbranch_scc0 .LBB71_241
; %bb.240:
	s_wait_xcnt 0x0
	v_cndmask_b32_e64 v1, 0, 1, s39
	v_mov_b32_e32 v6, 0
	s_mov_b32 s41, 0
	s_delay_alu instid0(VALU_DEP_2) | instskip(NEXT) | instid1(VALU_DEP_2)
	v_cvt_f64_u32_e32 v[4:5], v1
	v_mov_b32_e32 v7, v6
	global_store_b128 v[2:3], v[4:7], off
.LBB71_241:
	s_and_not1_b32 vcc_lo, exec_lo, s41
	s_cbranch_vccnz .LBB71_243
; %bb.242:
	s_wait_xcnt 0x0
	v_cndmask_b32_e64 v4, 0, 1.0, s39
	v_mov_b32_e32 v5, 0
	global_store_b64 v[2:3], v[4:5], off
.LBB71_243:
	s_mov_b32 s41, 0
.LBB71_244:
	s_delay_alu instid0(SALU_CYCLE_1)
	s_and_not1_b32 vcc_lo, exec_lo, s41
	s_cbranch_vccnz .LBB71_246
; %bb.245:
	s_wait_xcnt 0x0
	v_cndmask_b32_e64 v1, 0, 1.0, s39
	s_delay_alu instid0(VALU_DEP_1) | instskip(NEXT) | instid1(VALU_DEP_1)
	v_cvt_f16_f32_e32 v1, v1
	v_and_b32_e32 v1, 0xffff, v1
	global_store_b32 v[2:3], v1, off
.LBB71_246:
	s_mov_b32 s41, 0
.LBB71_247:
	s_delay_alu instid0(SALU_CYCLE_1)
	s_and_not1_b32 vcc_lo, exec_lo, s41
	s_cbranch_vccnz .LBB71_256
; %bb.248:
	s_cmp_lt_i32 s40, 6
	s_mov_b32 s41, -1
	s_cbranch_scc1 .LBB71_254
; %bb.249:
	s_cmp_gt_i32 s40, 6
	s_cbranch_scc0 .LBB71_251
; %bb.250:
	s_wait_xcnt 0x0
	v_cndmask_b32_e64 v1, 0, 1, s39
	s_mov_b32 s41, 0
	s_delay_alu instid0(VALU_DEP_1)
	v_cvt_f64_u32_e32 v[4:5], v1
	global_store_b64 v[2:3], v[4:5], off
.LBB71_251:
	s_and_not1_b32 vcc_lo, exec_lo, s41
	s_cbranch_vccnz .LBB71_253
; %bb.252:
	s_wait_xcnt 0x0
	v_cndmask_b32_e64 v1, 0, 1.0, s39
	global_store_b32 v[2:3], v1, off
.LBB71_253:
	s_mov_b32 s41, 0
.LBB71_254:
	s_delay_alu instid0(SALU_CYCLE_1)
	s_and_not1_b32 vcc_lo, exec_lo, s41
	s_cbranch_vccnz .LBB71_256
; %bb.255:
	s_wait_xcnt 0x0
	v_cndmask_b32_e64 v1, 0, 1.0, s39
	s_delay_alu instid0(VALU_DEP_1)
	v_cvt_f16_f32_e32 v1, v1
	global_store_b16 v[2:3], v1, off
.LBB71_256:
	s_mov_b32 s41, 0
.LBB71_257:
	s_delay_alu instid0(SALU_CYCLE_1)
	s_and_not1_b32 vcc_lo, exec_lo, s41
	s_cbranch_vccnz .LBB71_273
; %bb.258:
	s_cmp_lt_i32 s40, 2
	s_mov_b32 s41, -1
	s_cbranch_scc1 .LBB71_268
; %bb.259:
	s_cmp_lt_i32 s40, 3
	s_cbranch_scc1 .LBB71_265
; %bb.260:
	s_cmp_gt_i32 s40, 3
	s_cbranch_scc0 .LBB71_262
; %bb.261:
	s_mov_b32 s41, 0
	s_wait_xcnt 0x0
	v_cndmask_b32_e64 v4, 0, 1, s39
	v_mov_b32_e32 v5, s41
	global_store_b64 v[2:3], v[4:5], off
.LBB71_262:
	s_and_not1_b32 vcc_lo, exec_lo, s41
	s_cbranch_vccnz .LBB71_264
; %bb.263:
	s_wait_xcnt 0x0
	v_cndmask_b32_e64 v1, 0, 1, s39
	global_store_b32 v[2:3], v1, off
.LBB71_264:
	s_mov_b32 s41, 0
.LBB71_265:
	s_delay_alu instid0(SALU_CYCLE_1)
	s_and_not1_b32 vcc_lo, exec_lo, s41
	s_cbranch_vccnz .LBB71_267
; %bb.266:
	s_wait_xcnt 0x0
	v_cndmask_b32_e64 v1, 0, 1, s39
	global_store_b16 v[2:3], v1, off
.LBB71_267:
	s_mov_b32 s41, 0
.LBB71_268:
	s_delay_alu instid0(SALU_CYCLE_1)
	s_and_not1_b32 vcc_lo, exec_lo, s41
	s_cbranch_vccnz .LBB71_273
; %bb.269:
	s_cmp_gt_i32 s40, 0
	s_mov_b32 s40, -1
	s_cbranch_scc0 .LBB71_271
; %bb.270:
	s_wait_xcnt 0x0
	v_cndmask_b32_e64 v1, 0, 1, s39
	s_mov_b32 s40, 0
	global_store_b8 v[2:3], v1, off
.LBB71_271:
	s_and_not1_b32 vcc_lo, exec_lo, s40
	s_cbranch_vccnz .LBB71_273
; %bb.272:
	s_wait_xcnt 0x0
	v_cndmask_b32_e64 v1, 0, 1, s39
	global_store_b8 v[2:3], v1, off
.LBB71_273:
	s_mov_b32 s43, -1
.LBB71_274:
	s_delay_alu instid0(SALU_CYCLE_1)
	s_and_not1_b32 vcc_lo, exec_lo, s43
	s_cbranch_vccnz .LBB71_383
; %bb.275:
	v_add_nc_u32_e32 v0, 0x80, v0
	s_mov_b32 s43, -1
	s_branch .LBB71_384
.LBB71_276:
	s_mov_b32 s27, -1
                                        ; implicit-def: $vgpr8
.LBB71_277:
	s_mov_b32 s41, 0
.LBB71_278:
	s_delay_alu instid0(SALU_CYCLE_1)
	s_and_b32 vcc_lo, exec_lo, s41
	s_cbranch_vccz .LBB71_282
; %bb.279:
	s_cmp_eq_u32 s39, 29
	s_cbranch_scc0 .LBB71_281
; %bb.280:
	global_load_b64 v[8:9], v[6:7], off
	s_mov_b32 s40, -1
	s_mov_b32 s27, 0
	s_branch .LBB71_282
.LBB71_281:
	s_mov_b32 s27, -1
                                        ; implicit-def: $vgpr8
.LBB71_282:
	s_mov_b32 s41, 0
.LBB71_283:
	s_delay_alu instid0(SALU_CYCLE_1)
	s_and_b32 vcc_lo, exec_lo, s41
	s_cbranch_vccz .LBB71_299
; %bb.284:
	s_cmp_lt_i32 s39, 27
	s_cbranch_scc1 .LBB71_287
; %bb.285:
	s_cmp_gt_i32 s39, 27
	s_cbranch_scc0 .LBB71_288
; %bb.286:
	s_wait_loadcnt 0x0
	global_load_b32 v8, v[6:7], off
	s_mov_b32 s40, 0
	s_branch .LBB71_289
.LBB71_287:
	s_mov_b32 s40, -1
                                        ; implicit-def: $vgpr8
	s_branch .LBB71_292
.LBB71_288:
	s_mov_b32 s40, -1
                                        ; implicit-def: $vgpr8
.LBB71_289:
	s_delay_alu instid0(SALU_CYCLE_1)
	s_and_not1_b32 vcc_lo, exec_lo, s40
	s_cbranch_vccnz .LBB71_291
; %bb.290:
	s_wait_loadcnt 0x0
	global_load_u16 v8, v[6:7], off
.LBB71_291:
	s_mov_b32 s40, 0
.LBB71_292:
	s_delay_alu instid0(SALU_CYCLE_1)
	s_and_not1_b32 vcc_lo, exec_lo, s40
	s_cbranch_vccnz .LBB71_298
; %bb.293:
	global_load_u8 v1, v[6:7], off
	s_mov_b32 s41, 0
	s_mov_b32 s40, exec_lo
	s_wait_loadcnt 0x0
	v_cmpx_lt_i16_e32 0x7f, v1
	s_xor_b32 s40, exec_lo, s40
	s_cbranch_execz .LBB71_310
; %bb.294:
	v_cmp_ne_u16_e32 vcc_lo, 0x80, v1
	s_and_b32 s41, vcc_lo, exec_lo
	s_and_not1_saveexec_b32 s40, s40
	s_cbranch_execnz .LBB71_311
.LBB71_295:
	s_or_b32 exec_lo, exec_lo, s40
	v_mov_b32_e32 v8, 0
	s_and_saveexec_b32 s40, s41
	s_cbranch_execz .LBB71_297
.LBB71_296:
	v_and_b32_e32 v3, 0xffff, v1
	s_delay_alu instid0(VALU_DEP_1) | instskip(SKIP_1) | instid1(VALU_DEP_2)
	v_and_b32_e32 v5, 7, v3
	v_bfe_u32 v10, v3, 3, 4
	v_clz_i32_u32_e32 v8, v5
	s_delay_alu instid0(VALU_DEP_2) | instskip(NEXT) | instid1(VALU_DEP_2)
	v_cmp_eq_u32_e32 vcc_lo, 0, v10
	v_min_u32_e32 v8, 32, v8
	s_delay_alu instid0(VALU_DEP_1) | instskip(NEXT) | instid1(VALU_DEP_1)
	v_subrev_nc_u32_e32 v9, 28, v8
	v_dual_lshlrev_b32 v3, v9, v3 :: v_dual_sub_nc_u32 v8, 29, v8
	s_delay_alu instid0(VALU_DEP_1) | instskip(NEXT) | instid1(VALU_DEP_1)
	v_dual_lshlrev_b32 v1, 24, v1 :: v_dual_bitop2_b32 v3, 7, v3 bitop3:0x40
	v_dual_cndmask_b32 v8, v10, v8 :: v_dual_cndmask_b32 v3, v5, v3
	s_delay_alu instid0(VALU_DEP_2) | instskip(NEXT) | instid1(VALU_DEP_2)
	v_and_b32_e32 v1, 0x80000000, v1
	v_lshl_add_u32 v5, v8, 23, 0x3b800000
	s_delay_alu instid0(VALU_DEP_3) | instskip(NEXT) | instid1(VALU_DEP_1)
	v_lshlrev_b32_e32 v3, 20, v3
	v_or3_b32 v1, v1, v5, v3
	s_delay_alu instid0(VALU_DEP_1)
	v_cvt_i32_f32_e32 v8, v1
.LBB71_297:
	s_or_b32 exec_lo, exec_lo, s40
.LBB71_298:
	s_mov_b32 s40, -1
.LBB71_299:
	s_mov_b32 s41, 0
.LBB71_300:
	s_delay_alu instid0(SALU_CYCLE_1)
	s_and_b32 vcc_lo, exec_lo, s41
	s_cbranch_vccz .LBB71_333
; %bb.301:
	s_cmp_gt_i32 s39, 22
	s_cbranch_scc0 .LBB71_309
; %bb.302:
	s_cmp_lt_i32 s39, 24
	s_cbranch_scc1 .LBB71_312
; %bb.303:
	s_cmp_gt_i32 s39, 24
	s_cbranch_scc0 .LBB71_313
; %bb.304:
	global_load_u8 v1, v[6:7], off
	s_mov_b32 s41, 0
	s_mov_b32 s40, exec_lo
	s_wait_loadcnt 0x0
	v_cmpx_lt_i16_e32 0x7f, v1
	s_xor_b32 s40, exec_lo, s40
	s_cbranch_execz .LBB71_325
; %bb.305:
	v_cmp_ne_u16_e32 vcc_lo, 0x80, v1
	s_and_b32 s41, vcc_lo, exec_lo
	s_and_not1_saveexec_b32 s40, s40
	s_cbranch_execnz .LBB71_326
.LBB71_306:
	s_or_b32 exec_lo, exec_lo, s40
	v_mov_b32_e32 v8, 0
	s_and_saveexec_b32 s40, s41
	s_cbranch_execz .LBB71_308
.LBB71_307:
	v_and_b32_e32 v3, 0xffff, v1
	s_delay_alu instid0(VALU_DEP_1) | instskip(SKIP_1) | instid1(VALU_DEP_2)
	v_and_b32_e32 v5, 3, v3
	v_bfe_u32 v10, v3, 2, 5
	v_clz_i32_u32_e32 v8, v5
	s_delay_alu instid0(VALU_DEP_2) | instskip(NEXT) | instid1(VALU_DEP_2)
	v_cmp_eq_u32_e32 vcc_lo, 0, v10
	v_min_u32_e32 v8, 32, v8
	s_delay_alu instid0(VALU_DEP_1) | instskip(NEXT) | instid1(VALU_DEP_1)
	v_subrev_nc_u32_e32 v9, 29, v8
	v_dual_lshlrev_b32 v3, v9, v3 :: v_dual_sub_nc_u32 v8, 30, v8
	s_delay_alu instid0(VALU_DEP_1) | instskip(NEXT) | instid1(VALU_DEP_1)
	v_dual_lshlrev_b32 v1, 24, v1 :: v_dual_bitop2_b32 v3, 3, v3 bitop3:0x40
	v_dual_cndmask_b32 v8, v10, v8 :: v_dual_cndmask_b32 v3, v5, v3
	s_delay_alu instid0(VALU_DEP_2) | instskip(NEXT) | instid1(VALU_DEP_2)
	v_and_b32_e32 v1, 0x80000000, v1
	v_lshl_add_u32 v5, v8, 23, 0x37800000
	s_delay_alu instid0(VALU_DEP_3) | instskip(NEXT) | instid1(VALU_DEP_1)
	v_lshlrev_b32_e32 v3, 21, v3
	v_or3_b32 v1, v1, v5, v3
	s_delay_alu instid0(VALU_DEP_1)
	v_cvt_i32_f32_e32 v8, v1
.LBB71_308:
	s_or_b32 exec_lo, exec_lo, s40
	s_mov_b32 s40, 0
	s_branch .LBB71_314
.LBB71_309:
	s_mov_b32 s41, -1
                                        ; implicit-def: $vgpr8
	s_branch .LBB71_320
.LBB71_310:
	s_and_not1_saveexec_b32 s40, s40
	s_cbranch_execz .LBB71_295
.LBB71_311:
	v_cmp_ne_u16_e32 vcc_lo, 0, v1
	s_and_not1_b32 s41, s41, exec_lo
	s_and_b32 s43, vcc_lo, exec_lo
	s_delay_alu instid0(SALU_CYCLE_1)
	s_or_b32 s41, s41, s43
	s_or_b32 exec_lo, exec_lo, s40
	v_mov_b32_e32 v8, 0
	s_and_saveexec_b32 s40, s41
	s_cbranch_execnz .LBB71_296
	s_branch .LBB71_297
.LBB71_312:
	s_mov_b32 s40, -1
                                        ; implicit-def: $vgpr8
	s_branch .LBB71_317
.LBB71_313:
	s_mov_b32 s40, -1
                                        ; implicit-def: $vgpr8
.LBB71_314:
	s_delay_alu instid0(SALU_CYCLE_1)
	s_and_b32 vcc_lo, exec_lo, s40
	s_cbranch_vccz .LBB71_316
; %bb.315:
	global_load_u8 v1, v[6:7], off
	s_wait_loadcnt 0x0
	v_lshlrev_b32_e32 v1, 24, v1
	s_delay_alu instid0(VALU_DEP_1) | instskip(NEXT) | instid1(VALU_DEP_1)
	v_and_b32_e32 v3, 0x7f000000, v1
	v_clz_i32_u32_e32 v5, v3
	v_add_nc_u32_e32 v9, 0x1000000, v3
	v_cmp_ne_u32_e32 vcc_lo, 0, v3
	s_delay_alu instid0(VALU_DEP_3) | instskip(NEXT) | instid1(VALU_DEP_1)
	v_min_u32_e32 v5, 32, v5
	v_sub_nc_u32_e64 v5, v5, 4 clamp
	s_delay_alu instid0(VALU_DEP_1) | instskip(NEXT) | instid1(VALU_DEP_1)
	v_dual_lshlrev_b32 v8, v5, v3 :: v_dual_lshlrev_b32 v5, 23, v5
	v_lshrrev_b32_e32 v8, 4, v8
	s_delay_alu instid0(VALU_DEP_1) | instskip(SKIP_1) | instid1(VALU_DEP_2)
	v_sub_nc_u32_e32 v5, v8, v5
	v_ashrrev_i32_e32 v8, 8, v9
	v_add_nc_u32_e32 v5, 0x3c000000, v5
	s_delay_alu instid0(VALU_DEP_1) | instskip(NEXT) | instid1(VALU_DEP_1)
	v_and_or_b32 v5, 0x7f800000, v8, v5
	v_cndmask_b32_e32 v3, 0, v5, vcc_lo
	s_delay_alu instid0(VALU_DEP_1) | instskip(NEXT) | instid1(VALU_DEP_1)
	v_and_or_b32 v1, 0x80000000, v1, v3
	v_cvt_i32_f32_e32 v8, v1
.LBB71_316:
	s_mov_b32 s40, 0
.LBB71_317:
	s_delay_alu instid0(SALU_CYCLE_1)
	s_and_not1_b32 vcc_lo, exec_lo, s40
	s_cbranch_vccnz .LBB71_319
; %bb.318:
	global_load_u8 v1, v[6:7], off
	s_wait_loadcnt 0x0
	v_lshlrev_b32_e32 v3, 25, v1
	v_lshlrev_b16 v1, 8, v1
	s_delay_alu instid0(VALU_DEP_1) | instskip(SKIP_1) | instid1(VALU_DEP_2)
	v_and_or_b32 v8, 0x7f00, v1, 0.5
	v_bfe_i32 v1, v1, 0, 16
	v_dual_add_f32 v8, -0.5, v8 :: v_dual_lshrrev_b32 v5, 4, v3
	v_cmp_gt_u32_e32 vcc_lo, 0x8000000, v3
	s_delay_alu instid0(VALU_DEP_2) | instskip(NEXT) | instid1(VALU_DEP_1)
	v_or_b32_e32 v5, 0x70000000, v5
	v_mul_f32_e32 v5, 0x7800000, v5
	s_delay_alu instid0(VALU_DEP_1) | instskip(NEXT) | instid1(VALU_DEP_1)
	v_cndmask_b32_e32 v3, v5, v8, vcc_lo
	v_and_or_b32 v1, 0x80000000, v1, v3
	s_delay_alu instid0(VALU_DEP_1)
	v_cvt_i32_f32_e32 v8, v1
.LBB71_319:
	s_mov_b32 s41, 0
	s_mov_b32 s40, -1
.LBB71_320:
	s_and_not1_b32 vcc_lo, exec_lo, s41
	s_cbranch_vccnz .LBB71_333
; %bb.321:
	s_cmp_gt_i32 s39, 14
	s_cbranch_scc0 .LBB71_324
; %bb.322:
	s_cmp_eq_u32 s39, 15
	s_cbranch_scc0 .LBB71_327
; %bb.323:
	global_load_u16 v1, v[6:7], off
	s_mov_b32 s40, -1
	s_mov_b32 s27, 0
	s_wait_loadcnt 0x0
	v_lshlrev_b32_e32 v1, 16, v1
	s_delay_alu instid0(VALU_DEP_1)
	v_cvt_i32_f32_e32 v8, v1
	s_branch .LBB71_328
.LBB71_324:
	s_mov_b32 s41, -1
                                        ; implicit-def: $vgpr8
	s_branch .LBB71_329
.LBB71_325:
	s_and_not1_saveexec_b32 s40, s40
	s_cbranch_execz .LBB71_306
.LBB71_326:
	v_cmp_ne_u16_e32 vcc_lo, 0, v1
	s_and_not1_b32 s41, s41, exec_lo
	s_and_b32 s43, vcc_lo, exec_lo
	s_delay_alu instid0(SALU_CYCLE_1)
	s_or_b32 s41, s41, s43
	s_or_b32 exec_lo, exec_lo, s40
	v_mov_b32_e32 v8, 0
	s_and_saveexec_b32 s40, s41
	s_cbranch_execnz .LBB71_307
	s_branch .LBB71_308
.LBB71_327:
	s_mov_b32 s27, -1
                                        ; implicit-def: $vgpr8
.LBB71_328:
	s_mov_b32 s41, 0
.LBB71_329:
	s_delay_alu instid0(SALU_CYCLE_1)
	s_and_b32 vcc_lo, exec_lo, s41
	s_cbranch_vccz .LBB71_333
; %bb.330:
	s_cmp_eq_u32 s39, 11
	s_cbranch_scc0 .LBB71_332
; %bb.331:
	global_load_u8 v1, v[6:7], off
	s_mov_b32 s27, 0
	s_mov_b32 s40, -1
	s_wait_loadcnt 0x0
	v_cmp_ne_u16_e32 vcc_lo, 0, v1
	v_cndmask_b32_e64 v8, 0, 1, vcc_lo
	s_branch .LBB71_333
.LBB71_332:
	s_mov_b32 s27, -1
                                        ; implicit-def: $vgpr8
.LBB71_333:
	s_branch .LBB71_31
.LBB71_334:
	s_and_b32 s0, 0xffff, s0
	s_delay_alu instid0(SALU_CYCLE_1)
	s_cmp_lt_i32 s0, 5
	s_cbranch_scc1 .LBB71_339
; %bb.335:
	s_cmp_lt_i32 s0, 8
	s_cbranch_scc1 .LBB71_340
; %bb.336:
	;; [unrolled: 3-line block ×3, first 2 shown]
	s_cmp_gt_i32 s0, 9
	s_cbranch_scc0 .LBB71_342
; %bb.338:
	s_wait_loadcnt 0x0
	global_load_b64 v[8:9], v[6:7], off
	s_mov_b32 s39, 0
	s_wait_loadcnt 0x0
	v_cvt_i32_f64_e32 v8, v[8:9]
	s_branch .LBB71_343
.LBB71_339:
	s_mov_b32 s39, -1
                                        ; implicit-def: $vgpr8
	s_branch .LBB71_361
.LBB71_340:
	s_mov_b32 s39, -1
                                        ; implicit-def: $vgpr8
	s_branch .LBB71_349
.LBB71_341:
	s_mov_b32 s39, -1
                                        ; implicit-def: $vgpr8
	s_branch .LBB71_346
.LBB71_342:
	s_mov_b32 s39, -1
                                        ; implicit-def: $vgpr8
.LBB71_343:
	s_delay_alu instid0(SALU_CYCLE_1)
	s_and_not1_b32 vcc_lo, exec_lo, s39
	s_cbranch_vccnz .LBB71_345
; %bb.344:
	global_load_b32 v1, v[6:7], off
	s_wait_loadcnt 0x0
	v_cvt_i32_f32_e32 v8, v1
.LBB71_345:
	s_mov_b32 s39, 0
.LBB71_346:
	s_delay_alu instid0(SALU_CYCLE_1)
	s_and_not1_b32 vcc_lo, exec_lo, s39
	s_cbranch_vccnz .LBB71_348
; %bb.347:
	global_load_b32 v1, v[6:7], off
	s_wait_loadcnt 0x0
	v_cvt_i16_f16_e32 v8, v1
.LBB71_348:
	s_mov_b32 s39, 0
.LBB71_349:
	s_delay_alu instid0(SALU_CYCLE_1)
	s_and_not1_b32 vcc_lo, exec_lo, s39
	s_cbranch_vccnz .LBB71_360
; %bb.350:
	s_cmp_lt_i32 s0, 6
	s_cbranch_scc1 .LBB71_353
; %bb.351:
	s_cmp_gt_i32 s0, 6
	s_cbranch_scc0 .LBB71_354
; %bb.352:
	s_wait_loadcnt 0x0
	global_load_b64 v[8:9], v[6:7], off
	s_mov_b32 s39, 0
	s_wait_loadcnt 0x0
	v_cvt_i32_f64_e32 v8, v[8:9]
	s_branch .LBB71_355
.LBB71_353:
	s_mov_b32 s39, -1
                                        ; implicit-def: $vgpr8
	s_branch .LBB71_358
.LBB71_354:
	s_mov_b32 s39, -1
                                        ; implicit-def: $vgpr8
.LBB71_355:
	s_delay_alu instid0(SALU_CYCLE_1)
	s_and_not1_b32 vcc_lo, exec_lo, s39
	s_cbranch_vccnz .LBB71_357
; %bb.356:
	global_load_b32 v1, v[6:7], off
	s_wait_loadcnt 0x0
	v_cvt_i32_f32_e32 v8, v1
.LBB71_357:
	s_mov_b32 s39, 0
.LBB71_358:
	s_delay_alu instid0(SALU_CYCLE_1)
	s_and_not1_b32 vcc_lo, exec_lo, s39
	s_cbranch_vccnz .LBB71_360
; %bb.359:
	global_load_u16 v1, v[6:7], off
	s_wait_loadcnt 0x0
	v_cvt_i16_f16_e32 v8, v1
.LBB71_360:
	s_mov_b32 s39, 0
.LBB71_361:
	s_delay_alu instid0(SALU_CYCLE_1)
	s_and_not1_b32 vcc_lo, exec_lo, s39
	s_cbranch_vccnz .LBB71_381
; %bb.362:
	s_cmp_lt_i32 s0, 2
	s_cbranch_scc1 .LBB71_366
; %bb.363:
	s_cmp_lt_i32 s0, 3
	s_cbranch_scc1 .LBB71_367
; %bb.364:
	s_cmp_gt_i32 s0, 3
	s_cbranch_scc0 .LBB71_368
; %bb.365:
	s_wait_loadcnt 0x0
	global_load_b64 v[8:9], v[6:7], off
	s_mov_b32 s39, 0
	s_branch .LBB71_369
.LBB71_366:
	s_mov_b32 s39, -1
                                        ; implicit-def: $vgpr8
	s_branch .LBB71_375
.LBB71_367:
	s_mov_b32 s39, -1
                                        ; implicit-def: $vgpr8
	s_branch .LBB71_372
.LBB71_368:
	s_mov_b32 s39, -1
                                        ; implicit-def: $vgpr8
.LBB71_369:
	s_delay_alu instid0(SALU_CYCLE_1)
	s_and_not1_b32 vcc_lo, exec_lo, s39
	s_cbranch_vccnz .LBB71_371
; %bb.370:
	s_wait_loadcnt 0x0
	global_load_b32 v8, v[6:7], off
.LBB71_371:
	s_mov_b32 s39, 0
.LBB71_372:
	s_delay_alu instid0(SALU_CYCLE_1)
	s_and_not1_b32 vcc_lo, exec_lo, s39
	s_cbranch_vccnz .LBB71_374
; %bb.373:
	s_wait_loadcnt 0x0
	global_load_u16 v8, v[6:7], off
.LBB71_374:
	s_mov_b32 s39, 0
.LBB71_375:
	s_delay_alu instid0(SALU_CYCLE_1)
	s_and_not1_b32 vcc_lo, exec_lo, s39
	s_cbranch_vccnz .LBB71_381
; %bb.376:
	s_cmp_gt_i32 s0, 0
	s_mov_b32 s0, 0
	s_cbranch_scc0 .LBB71_378
; %bb.377:
	s_wait_loadcnt 0x0
	global_load_i8 v8, v[6:7], off
	s_branch .LBB71_379
.LBB71_378:
	s_mov_b32 s0, -1
                                        ; implicit-def: $vgpr8
.LBB71_379:
	s_delay_alu instid0(SALU_CYCLE_1)
	s_and_not1_b32 vcc_lo, exec_lo, s0
	s_cbranch_vccnz .LBB71_381
; %bb.380:
	s_wait_loadcnt 0x0
	global_load_u8 v8, v[6:7], off
.LBB71_381:
	s_branch .LBB71_32
.LBB71_382:
	s_mov_b32 s0, 0
.LBB71_383:
	s_mov_b32 s43, 0
                                        ; implicit-def: $vgpr0
.LBB71_384:
	s_and_b32 s39, s0, exec_lo
	s_and_b32 s40, s27, exec_lo
	;; [unrolled: 1-line block ×3, first 2 shown]
	s_or_not1_b32 s27, s43, exec_lo
.LBB71_385:
	s_wait_xcnt 0x0
	s_or_b32 exec_lo, exec_lo, s42
	s_mov_b32 s44, 0
	s_mov_b32 s26, 0
                                        ; implicit-def: $sgpr0
                                        ; implicit-def: $vgpr8_vgpr9
                                        ; implicit-def: $vgpr6
                                        ; implicit-def: $vgpr2
                                        ; implicit-def: $vgpr4
	s_and_saveexec_b32 s42, s27
	s_cbranch_execz .LBB71_393
; %bb.386:
	s_mov_b32 s48, -1
	s_mov_b32 s43, s41
	s_mov_b32 s45, s40
	;; [unrolled: 1-line block ×3, first 2 shown]
	s_mov_b32 s46, exec_lo
	v_cmpx_gt_i32_e64 s37, v0
	s_cbranch_execz .LBB71_781
; %bb.387:
	s_and_not1_b32 vcc_lo, exec_lo, s31
	s_cbranch_vccnz .LBB71_396
; %bb.388:
	s_and_not1_b32 vcc_lo, exec_lo, s38
	s_cbranch_vccnz .LBB71_397
; %bb.389:
	v_dual_mov_b32 v2, 0 :: v_dual_mov_b32 v1, v0
	s_wait_loadcnt 0x0
	v_dual_mov_b32 v4, 0 :: v_dual_mov_b32 v6, 0
	s_add_co_i32 s0, s36, 1
	s_mov_b64 s[26:27], 0xffffffffffffffe8
	s_and_b32 s0, s0, 30
	s_add_nc_u64 s[26:27], s[2:3], s[26:27]
.LBB71_390:                             ; =>This Inner Loop Header: Depth=1
	s_clause 0x1
	s_load_b128 s[48:51], s[26:27], 0x1c
	s_load_b64 s[44:45], s[26:27], 0x2c
	s_add_co_i32 s0, s0, -2
	s_delay_alu instid0(SALU_CYCLE_1) | instskip(SKIP_2) | instid1(VALU_DEP_1)
	s_cmp_eq_u32 s0, 0
	s_wait_kmcnt 0x0
	v_mul_hi_u32 v3, s49, v1
	v_add_nc_u32_e32 v3, v1, v3
	s_delay_alu instid0(VALU_DEP_1) | instskip(NEXT) | instid1(VALU_DEP_1)
	v_lshrrev_b32_e32 v3, s50, v3
	v_mul_hi_u32 v5, s44, v3
	v_mul_lo_u32 v7, v3, s48
	s_clause 0x1
	s_load_b128 s[52:55], s[26:27], 0xdc
	s_load_b64 s[48:49], s[26:27], 0xec
	s_wait_xcnt 0x0
	s_add_nc_u64 s[26:27], s[26:27], 24
	s_delay_alu instid0(VALU_DEP_1) | instskip(NEXT) | instid1(VALU_DEP_1)
	v_dual_add_nc_u32 v5, v3, v5 :: v_dual_sub_nc_u32 v7, v1, v7
	v_lshrrev_b32_e32 v1, s45, v5
	s_wait_kmcnt 0x0
	s_delay_alu instid0(VALU_DEP_2) | instskip(NEXT) | instid1(VALU_DEP_2)
	v_mad_u32 v2, v7, s52, v2
	v_mul_lo_u32 v5, v1, s51
	v_mad_u32 v6, v7, s54, v6
	v_mad_u32 v4, v7, s53, v4
	s_delay_alu instid0(VALU_DEP_3) | instskip(NEXT) | instid1(VALU_DEP_1)
	v_sub_nc_u32_e32 v3, v3, v5
	v_mad_u32 v2, v3, s55, v2
	s_delay_alu instid0(VALU_DEP_4) | instskip(NEXT) | instid1(VALU_DEP_4)
	v_mad_u32 v6, v3, s49, v6
	v_mad_u32 v4, v3, s48, v4
	s_cbranch_scc0 .LBB71_390
; %bb.391:
	s_bitcmp1_b32 s36, 0
	s_cselect_b32 s0, -1, 0
	s_delay_alu instid0(SALU_CYCLE_1)
	s_and_b32 vcc_lo, exec_lo, s0
	s_cbranch_vccnz .LBB71_398
; %bb.392:
	s_clause 0x1
	s_load_b96 s[48:50], s[26:27], 0x1c
	s_load_b96 s[52:54], s[26:27], 0xdc
	s_wait_kmcnt 0x0
	v_mul_hi_u32 v3, s49, v1
	s_delay_alu instid0(VALU_DEP_1) | instskip(NEXT) | instid1(VALU_DEP_1)
	v_add_nc_u32_e32 v3, v1, v3
	v_lshrrev_b32_e32 v3, s50, v3
	s_delay_alu instid0(VALU_DEP_1) | instskip(NEXT) | instid1(VALU_DEP_1)
	v_mul_lo_u32 v3, v3, s48
	v_sub_nc_u32_e32 v1, v1, v3
	s_delay_alu instid0(VALU_DEP_1)
	v_mad_u32 v2, v1, s52, v2
	v_mad_u32 v4, v1, s53, v4
	;; [unrolled: 1-line block ×3, first 2 shown]
	s_branch .LBB71_398
.LBB71_393:
	s_or_b32 exec_lo, exec_lo, s42
	s_mov_b32 s1, 0
	s_and_saveexec_b32 s6, s41
	s_cbranch_execnz .LBB71_1269
.LBB71_394:
	s_or_b32 exec_lo, exec_lo, s6
	s_and_saveexec_b32 s6, s21
	s_delay_alu instid0(SALU_CYCLE_1)
	s_xor_b32 s6, exec_lo, s6
	s_cbranch_execz .LBB71_1270
.LBB71_395:
	s_wait_loadcnt 0x0
	global_load_u8 v0, v[8:9], off
	s_or_b32 s26, s26, exec_lo
	s_wait_loadcnt 0x0
	v_cmp_ne_u16_e32 vcc_lo, 0, v0
	v_cndmask_b32_e64 v4, 0, 1, vcc_lo
	s_wait_xcnt 0x0
	s_or_b32 exec_lo, exec_lo, s6
	s_and_saveexec_b32 s6, s44
	s_cbranch_execz .LBB71_1316
	s_branch .LBB71_1271
.LBB71_396:
                                        ; implicit-def: $vgpr6
                                        ; implicit-def: $vgpr4
                                        ; implicit-def: $vgpr2
	s_branch .LBB71_399
.LBB71_397:
	s_wait_loadcnt 0x0
	v_dual_mov_b32 v6, 0 :: v_dual_mov_b32 v4, 0
	v_mov_b32_e32 v2, 0
.LBB71_398:
	s_cbranch_execnz .LBB71_401
.LBB71_399:
	v_mov_b32_e32 v1, 0
	s_and_not1_b32 vcc_lo, exec_lo, s35
	s_delay_alu instid0(VALU_DEP_1) | instskip(NEXT) | instid1(VALU_DEP_1)
	v_mul_u64_e32 v[2:3], s[20:21], v[0:1]
	v_add_nc_u32_e32 v2, v0, v3
	s_wait_loadcnt 0x0
	s_delay_alu instid0(VALU_DEP_1) | instskip(NEXT) | instid1(VALU_DEP_1)
	v_lshrrev_b32_e32 v8, s14, v2
	v_mul_lo_u32 v2, v8, s12
	s_delay_alu instid0(VALU_DEP_1) | instskip(NEXT) | instid1(VALU_DEP_1)
	v_sub_nc_u32_e32 v3, v0, v2
	v_mul_lo_u32 v2, v3, s16
	v_mul_lo_u32 v6, v3, s18
	;; [unrolled: 1-line block ×3, first 2 shown]
	s_cbranch_vccnz .LBB71_401
; %bb.400:
	v_mov_b32_e32 v9, v1
	s_delay_alu instid0(VALU_DEP_1) | instskip(NEXT) | instid1(VALU_DEP_1)
	v_mul_u64_e32 v[10:11], s[24:25], v[8:9]
	v_add_nc_u32_e32 v1, v8, v11
	s_delay_alu instid0(VALU_DEP_1) | instskip(NEXT) | instid1(VALU_DEP_1)
	v_lshrrev_b32_e32 v1, s1, v1
	v_mul_lo_u32 v1, v1, s15
	s_delay_alu instid0(VALU_DEP_1) | instskip(NEXT) | instid1(VALU_DEP_1)
	v_sub_nc_u32_e32 v1, v8, v1
	v_mad_u32 v2, v1, s19, v2
	v_mad_u32 v4, v1, s22, v4
	;; [unrolled: 1-line block ×3, first 2 shown]
.LBB71_401:
	s_wait_loadcnt 0x0
	v_mov_b32_e32 v5, 0
	s_and_b32 s0, s34, 0xff
	s_delay_alu instid0(SALU_CYCLE_1) | instskip(NEXT) | instid1(VALU_DEP_1)
	s_cmp_lt_i32 s0, 11
	v_add_nc_u64_e32 v[8:9], s[6:7], v[4:5]
	s_cbranch_scc1 .LBB71_408
; %bb.402:
	s_and_b32 s27, 0xffff, s0
	s_delay_alu instid0(SALU_CYCLE_1)
	s_cmp_gt_i32 s27, 25
	s_cbranch_scc0 .LBB71_417
; %bb.403:
	s_cmp_gt_i32 s27, 28
	s_cbranch_scc0 .LBB71_419
; %bb.404:
	;; [unrolled: 3-line block ×4, first 2 shown]
	s_cmp_eq_u32 s27, 46
	s_mov_b32 s44, 0
	s_cbranch_scc0 .LBB71_427
; %bb.407:
	global_load_b32 v1, v[8:9], off
	s_mov_b32 s43, -1
	s_mov_b32 s26, 0
	s_wait_loadcnt 0x0
	v_lshlrev_b32_e32 v1, 16, v1
	s_delay_alu instid0(VALU_DEP_1)
	v_cvt_i32_f32_e32 v4, v1
	s_branch .LBB71_429
.LBB71_408:
	s_mov_b32 s43, 0
	s_mov_b32 s26, s41
                                        ; implicit-def: $vgpr4
	s_cbranch_execnz .LBB71_491
.LBB71_409:
	s_and_not1_b32 vcc_lo, exec_lo, s43
	s_cbranch_vccnz .LBB71_539
.LBB71_410:
	v_mov_b32_e32 v7, 0
	s_and_b32 s0, s13, 0xff
	s_delay_alu instid0(SALU_CYCLE_1) | instskip(NEXT) | instid1(VALU_DEP_1)
	s_cmp_lt_i32 s0, 11
	v_add_nc_u64_e32 v[6:7], s[8:9], v[6:7]
	s_cbranch_scc1 .LBB71_418
; %bb.411:
	s_and_b32 s43, 0xffff, s0
	s_delay_alu instid0(SALU_CYCLE_1)
	s_cmp_gt_i32 s43, 25
	s_cbranch_scc0 .LBB71_420
; %bb.412:
	s_cmp_gt_i32 s43, 28
	s_cbranch_scc0 .LBB71_422
; %bb.413:
	;; [unrolled: 3-line block ×4, first 2 shown]
	s_cmp_eq_u32 s43, 46
	s_mov_b32 s45, 0
	s_cbranch_scc0 .LBB71_542
; %bb.416:
	global_load_b32 v1, v[6:7], off
	s_mov_b32 s44, -1
	s_mov_b32 s27, 0
	s_wait_loadcnt 0x0
	v_lshlrev_b32_e32 v1, 16, v1
	s_wait_xcnt 0x1
	s_delay_alu instid0(VALU_DEP_1)
	v_cvt_i32_f32_e32 v8, v1
	s_branch .LBB71_544
.LBB71_417:
	s_mov_b32 s44, -1
	s_mov_b32 s43, 0
	s_mov_b32 s26, s41
                                        ; implicit-def: $vgpr4
	s_branch .LBB71_457
.LBB71_418:
	s_mov_b32 s43, -1
	s_mov_b32 s44, 0
	s_mov_b32 s27, s40
                                        ; implicit-def: $vgpr8
	s_branch .LBB71_605
.LBB71_419:
	s_mov_b32 s44, -1
	s_mov_b32 s43, 0
	s_mov_b32 s26, s41
                                        ; implicit-def: $vgpr4
	s_branch .LBB71_440
.LBB71_420:
	s_mov_b32 s45, -1
	s_mov_b32 s44, 0
	s_mov_b32 s27, s40
                                        ; implicit-def: $vgpr8
	s_branch .LBB71_571
.LBB71_421:
	s_mov_b32 s44, -1
	s_mov_b32 s43, 0
	s_mov_b32 s26, s41
                                        ; implicit-def: $vgpr4
	s_branch .LBB71_435
.LBB71_422:
	s_mov_b32 s45, -1
	s_mov_b32 s44, 0
	s_mov_b32 s27, s40
                                        ; implicit-def: $vgpr8
	s_branch .LBB71_554
.LBB71_423:
	s_mov_b32 s44, -1
	s_mov_b32 s43, 0
	s_mov_b32 s26, s41
	s_branch .LBB71_428
.LBB71_424:
	s_mov_b32 s45, -1
	s_mov_b32 s44, 0
	s_mov_b32 s27, s40
                                        ; implicit-def: $vgpr8
	s_branch .LBB71_549
.LBB71_425:
	s_and_not1_saveexec_b32 s45, s45
	s_cbranch_execz .LBB71_187
.LBB71_426:
	v_add_f32_e32 v1, 0x46000000, v4
	s_and_not1_b32 s44, s44, exec_lo
	s_delay_alu instid0(VALU_DEP_1) | instskip(NEXT) | instid1(VALU_DEP_1)
	v_and_b32_e32 v1, 0xff, v1
	v_cmp_ne_u32_e32 vcc_lo, 0, v1
	s_and_b32 s46, vcc_lo, exec_lo
	s_delay_alu instid0(SALU_CYCLE_1)
	s_or_b32 s44, s44, s46
	s_or_b32 exec_lo, exec_lo, s45
	v_mov_b32_e32 v5, 0
	s_and_saveexec_b32 s45, s44
	s_cbranch_execnz .LBB71_188
	s_branch .LBB71_189
.LBB71_427:
	s_mov_b32 s26, -1
	s_mov_b32 s43, 0
.LBB71_428:
                                        ; implicit-def: $vgpr4
.LBB71_429:
	s_and_b32 vcc_lo, exec_lo, s44
	s_cbranch_vccz .LBB71_434
; %bb.430:
	s_cmp_eq_u32 s27, 44
	s_cbranch_scc0 .LBB71_433
; %bb.431:
	global_load_u8 v1, v[8:9], off
	s_mov_b32 s26, 0
	s_mov_b32 s43, -1
	s_wait_loadcnt 0x0
	v_lshlrev_b32_e32 v3, 23, v1
	v_cmp_ne_u32_e32 vcc_lo, 0, v1
	s_delay_alu instid0(VALU_DEP_2) | instskip(NEXT) | instid1(VALU_DEP_1)
	v_cvt_i32_f32_e32 v3, v3
	v_cndmask_b32_e32 v4, 0, v3, vcc_lo
	s_branch .LBB71_434
.LBB71_432:
	s_mov_b32 s45, -1
	s_mov_b32 s44, 0
	s_mov_b32 s27, s40
	s_branch .LBB71_543
.LBB71_433:
	s_mov_b32 s26, -1
                                        ; implicit-def: $vgpr4
.LBB71_434:
	s_mov_b32 s44, 0
.LBB71_435:
	s_delay_alu instid0(SALU_CYCLE_1)
	s_and_b32 vcc_lo, exec_lo, s44
	s_cbranch_vccz .LBB71_439
; %bb.436:
	s_cmp_eq_u32 s27, 29
	s_cbranch_scc0 .LBB71_438
; %bb.437:
	global_load_b64 v[4:5], v[8:9], off
	s_mov_b32 s43, -1
	s_mov_b32 s26, 0
	s_branch .LBB71_439
.LBB71_438:
	s_mov_b32 s26, -1
                                        ; implicit-def: $vgpr4
.LBB71_439:
	s_mov_b32 s44, 0
.LBB71_440:
	s_delay_alu instid0(SALU_CYCLE_1)
	s_and_b32 vcc_lo, exec_lo, s44
	s_cbranch_vccz .LBB71_456
; %bb.441:
	s_cmp_lt_i32 s27, 27
	s_cbranch_scc1 .LBB71_444
; %bb.442:
	s_cmp_gt_i32 s27, 27
	s_cbranch_scc0 .LBB71_445
; %bb.443:
	s_wait_loadcnt 0x0
	global_load_b32 v4, v[8:9], off
	s_mov_b32 s43, 0
	s_branch .LBB71_446
.LBB71_444:
	s_mov_b32 s43, -1
                                        ; implicit-def: $vgpr4
	s_branch .LBB71_449
.LBB71_445:
	s_mov_b32 s43, -1
                                        ; implicit-def: $vgpr4
.LBB71_446:
	s_delay_alu instid0(SALU_CYCLE_1)
	s_and_not1_b32 vcc_lo, exec_lo, s43
	s_cbranch_vccnz .LBB71_448
; %bb.447:
	s_wait_loadcnt 0x0
	global_load_u16 v4, v[8:9], off
.LBB71_448:
	s_mov_b32 s43, 0
.LBB71_449:
	s_delay_alu instid0(SALU_CYCLE_1)
	s_and_not1_b32 vcc_lo, exec_lo, s43
	s_cbranch_vccnz .LBB71_455
; %bb.450:
	global_load_u8 v1, v[8:9], off
	s_mov_b32 s44, 0
	s_mov_b32 s43, exec_lo
	s_wait_loadcnt 0x0
	v_cmpx_lt_i16_e32 0x7f, v1
	s_xor_b32 s43, exec_lo, s43
	s_cbranch_execz .LBB71_467
; %bb.451:
	v_cmp_ne_u16_e32 vcc_lo, 0x80, v1
	s_and_b32 s44, vcc_lo, exec_lo
	s_and_not1_saveexec_b32 s43, s43
	s_cbranch_execnz .LBB71_468
.LBB71_452:
	s_or_b32 exec_lo, exec_lo, s43
	v_mov_b32_e32 v4, 0
	s_and_saveexec_b32 s43, s44
	s_cbranch_execz .LBB71_454
.LBB71_453:
	v_and_b32_e32 v3, 0xffff, v1
	s_delay_alu instid0(VALU_DEP_1) | instskip(SKIP_1) | instid1(VALU_DEP_2)
	v_and_b32_e32 v4, 7, v3
	v_bfe_u32 v10, v3, 3, 4
	v_clz_i32_u32_e32 v5, v4
	s_delay_alu instid0(VALU_DEP_2) | instskip(NEXT) | instid1(VALU_DEP_2)
	v_cmp_eq_u32_e32 vcc_lo, 0, v10
	v_min_u32_e32 v5, 32, v5
	s_delay_alu instid0(VALU_DEP_1) | instskip(NEXT) | instid1(VALU_DEP_1)
	v_subrev_nc_u32_e32 v7, 28, v5
	v_dual_lshlrev_b32 v3, v7, v3 :: v_dual_sub_nc_u32 v5, 29, v5
	s_delay_alu instid0(VALU_DEP_1) | instskip(NEXT) | instid1(VALU_DEP_1)
	v_dual_lshlrev_b32 v1, 24, v1 :: v_dual_bitop2_b32 v3, 7, v3 bitop3:0x40
	v_dual_cndmask_b32 v3, v4, v3, vcc_lo :: v_dual_cndmask_b32 v5, v10, v5, vcc_lo
	s_delay_alu instid0(VALU_DEP_2) | instskip(NEXT) | instid1(VALU_DEP_2)
	v_and_b32_e32 v1, 0x80000000, v1
	v_lshlrev_b32_e32 v3, 20, v3
	s_delay_alu instid0(VALU_DEP_3) | instskip(NEXT) | instid1(VALU_DEP_1)
	v_lshl_add_u32 v4, v5, 23, 0x3b800000
	v_or3_b32 v1, v1, v4, v3
	s_delay_alu instid0(VALU_DEP_1)
	v_cvt_i32_f32_e32 v4, v1
.LBB71_454:
	s_or_b32 exec_lo, exec_lo, s43
.LBB71_455:
	s_mov_b32 s43, -1
.LBB71_456:
	s_mov_b32 s44, 0
.LBB71_457:
	s_delay_alu instid0(SALU_CYCLE_1)
	s_and_b32 vcc_lo, exec_lo, s44
	s_cbranch_vccz .LBB71_490
; %bb.458:
	s_cmp_gt_i32 s27, 22
	s_cbranch_scc0 .LBB71_466
; %bb.459:
	s_cmp_lt_i32 s27, 24
	s_cbranch_scc1 .LBB71_469
; %bb.460:
	s_cmp_gt_i32 s27, 24
	s_cbranch_scc0 .LBB71_470
; %bb.461:
	global_load_u8 v1, v[8:9], off
	s_mov_b32 s44, 0
	s_mov_b32 s43, exec_lo
	s_wait_loadcnt 0x0
	v_cmpx_lt_i16_e32 0x7f, v1
	s_xor_b32 s43, exec_lo, s43
	s_cbranch_execz .LBB71_482
; %bb.462:
	v_cmp_ne_u16_e32 vcc_lo, 0x80, v1
	s_and_b32 s44, vcc_lo, exec_lo
	s_and_not1_saveexec_b32 s43, s43
	s_cbranch_execnz .LBB71_483
.LBB71_463:
	s_or_b32 exec_lo, exec_lo, s43
	v_mov_b32_e32 v4, 0
	s_and_saveexec_b32 s43, s44
	s_cbranch_execz .LBB71_465
.LBB71_464:
	v_and_b32_e32 v3, 0xffff, v1
	s_delay_alu instid0(VALU_DEP_1) | instskip(SKIP_1) | instid1(VALU_DEP_2)
	v_and_b32_e32 v4, 3, v3
	v_bfe_u32 v10, v3, 2, 5
	v_clz_i32_u32_e32 v5, v4
	s_delay_alu instid0(VALU_DEP_2) | instskip(NEXT) | instid1(VALU_DEP_2)
	v_cmp_eq_u32_e32 vcc_lo, 0, v10
	v_min_u32_e32 v5, 32, v5
	s_delay_alu instid0(VALU_DEP_1) | instskip(NEXT) | instid1(VALU_DEP_1)
	v_subrev_nc_u32_e32 v7, 29, v5
	v_dual_lshlrev_b32 v3, v7, v3 :: v_dual_sub_nc_u32 v5, 30, v5
	s_delay_alu instid0(VALU_DEP_1) | instskip(NEXT) | instid1(VALU_DEP_1)
	v_dual_lshlrev_b32 v1, 24, v1 :: v_dual_bitop2_b32 v3, 3, v3 bitop3:0x40
	v_dual_cndmask_b32 v3, v4, v3, vcc_lo :: v_dual_cndmask_b32 v5, v10, v5, vcc_lo
	s_delay_alu instid0(VALU_DEP_2) | instskip(NEXT) | instid1(VALU_DEP_2)
	v_and_b32_e32 v1, 0x80000000, v1
	v_lshlrev_b32_e32 v3, 21, v3
	s_delay_alu instid0(VALU_DEP_3) | instskip(NEXT) | instid1(VALU_DEP_1)
	v_lshl_add_u32 v4, v5, 23, 0x37800000
	v_or3_b32 v1, v1, v4, v3
	s_delay_alu instid0(VALU_DEP_1)
	v_cvt_i32_f32_e32 v4, v1
.LBB71_465:
	s_or_b32 exec_lo, exec_lo, s43
	s_mov_b32 s43, 0
	s_branch .LBB71_471
.LBB71_466:
	s_mov_b32 s44, -1
                                        ; implicit-def: $vgpr4
	s_branch .LBB71_477
.LBB71_467:
	s_and_not1_saveexec_b32 s43, s43
	s_cbranch_execz .LBB71_452
.LBB71_468:
	v_cmp_ne_u16_e32 vcc_lo, 0, v1
	s_and_not1_b32 s44, s44, exec_lo
	s_and_b32 s45, vcc_lo, exec_lo
	s_delay_alu instid0(SALU_CYCLE_1)
	s_or_b32 s44, s44, s45
	s_or_b32 exec_lo, exec_lo, s43
	v_mov_b32_e32 v4, 0
	s_and_saveexec_b32 s43, s44
	s_cbranch_execnz .LBB71_453
	s_branch .LBB71_454
.LBB71_469:
	s_mov_b32 s43, -1
                                        ; implicit-def: $vgpr4
	s_branch .LBB71_474
.LBB71_470:
	s_mov_b32 s43, -1
                                        ; implicit-def: $vgpr4
.LBB71_471:
	s_delay_alu instid0(SALU_CYCLE_1)
	s_and_b32 vcc_lo, exec_lo, s43
	s_cbranch_vccz .LBB71_473
; %bb.472:
	global_load_u8 v1, v[8:9], off
	s_wait_loadcnt 0x0
	v_lshlrev_b32_e32 v1, 24, v1
	s_delay_alu instid0(VALU_DEP_1) | instskip(NEXT) | instid1(VALU_DEP_1)
	v_and_b32_e32 v3, 0x7f000000, v1
	v_clz_i32_u32_e32 v4, v3
	v_add_nc_u32_e32 v7, 0x1000000, v3
	v_cmp_ne_u32_e32 vcc_lo, 0, v3
	s_delay_alu instid0(VALU_DEP_3) | instskip(NEXT) | instid1(VALU_DEP_1)
	v_min_u32_e32 v4, 32, v4
	v_sub_nc_u32_e64 v4, v4, 4 clamp
	s_delay_alu instid0(VALU_DEP_1) | instskip(NEXT) | instid1(VALU_DEP_1)
	v_dual_lshlrev_b32 v5, v4, v3 :: v_dual_lshlrev_b32 v4, 23, v4
	v_lshrrev_b32_e32 v5, 4, v5
	s_delay_alu instid0(VALU_DEP_1) | instskip(NEXT) | instid1(VALU_DEP_1)
	v_dual_sub_nc_u32 v4, v5, v4 :: v_dual_ashrrev_i32 v5, 8, v7
	v_add_nc_u32_e32 v4, 0x3c000000, v4
	s_delay_alu instid0(VALU_DEP_1) | instskip(NEXT) | instid1(VALU_DEP_1)
	v_and_or_b32 v4, 0x7f800000, v5, v4
	v_cndmask_b32_e32 v3, 0, v4, vcc_lo
	s_delay_alu instid0(VALU_DEP_1) | instskip(NEXT) | instid1(VALU_DEP_1)
	v_and_or_b32 v1, 0x80000000, v1, v3
	v_cvt_i32_f32_e32 v4, v1
.LBB71_473:
	s_mov_b32 s43, 0
.LBB71_474:
	s_delay_alu instid0(SALU_CYCLE_1)
	s_and_not1_b32 vcc_lo, exec_lo, s43
	s_cbranch_vccnz .LBB71_476
; %bb.475:
	global_load_u8 v1, v[8:9], off
	s_wait_loadcnt 0x0
	v_lshlrev_b32_e32 v3, 25, v1
	v_lshlrev_b16 v1, 8, v1
	s_delay_alu instid0(VALU_DEP_1) | instskip(NEXT) | instid1(VALU_DEP_3)
	v_and_or_b32 v5, 0x7f00, v1, 0.5
	v_lshrrev_b32_e32 v4, 4, v3
	v_bfe_i32 v1, v1, 0, 16
	s_delay_alu instid0(VALU_DEP_3) | instskip(NEXT) | instid1(VALU_DEP_3)
	v_add_f32_e32 v5, -0.5, v5
	v_or_b32_e32 v4, 0x70000000, v4
	s_delay_alu instid0(VALU_DEP_1) | instskip(SKIP_1) | instid1(VALU_DEP_2)
	v_mul_f32_e32 v4, 0x7800000, v4
	v_cmp_gt_u32_e32 vcc_lo, 0x8000000, v3
	v_cndmask_b32_e32 v3, v4, v5, vcc_lo
	s_delay_alu instid0(VALU_DEP_1) | instskip(NEXT) | instid1(VALU_DEP_1)
	v_and_or_b32 v1, 0x80000000, v1, v3
	v_cvt_i32_f32_e32 v4, v1
.LBB71_476:
	s_mov_b32 s44, 0
	s_mov_b32 s43, -1
.LBB71_477:
	s_and_not1_b32 vcc_lo, exec_lo, s44
	s_cbranch_vccnz .LBB71_490
; %bb.478:
	s_cmp_gt_i32 s27, 14
	s_cbranch_scc0 .LBB71_481
; %bb.479:
	s_cmp_eq_u32 s27, 15
	s_cbranch_scc0 .LBB71_484
; %bb.480:
	global_load_u16 v1, v[8:9], off
	s_mov_b32 s43, -1
	s_mov_b32 s26, 0
	s_wait_loadcnt 0x0
	v_lshlrev_b32_e32 v1, 16, v1
	s_delay_alu instid0(VALU_DEP_1)
	v_cvt_i32_f32_e32 v4, v1
	s_branch .LBB71_485
.LBB71_481:
	s_mov_b32 s44, -1
                                        ; implicit-def: $vgpr4
	s_branch .LBB71_486
.LBB71_482:
	s_and_not1_saveexec_b32 s43, s43
	s_cbranch_execz .LBB71_463
.LBB71_483:
	v_cmp_ne_u16_e32 vcc_lo, 0, v1
	s_and_not1_b32 s44, s44, exec_lo
	s_and_b32 s45, vcc_lo, exec_lo
	s_delay_alu instid0(SALU_CYCLE_1)
	s_or_b32 s44, s44, s45
	s_or_b32 exec_lo, exec_lo, s43
	v_mov_b32_e32 v4, 0
	s_and_saveexec_b32 s43, s44
	s_cbranch_execnz .LBB71_464
	s_branch .LBB71_465
.LBB71_484:
	s_mov_b32 s26, -1
                                        ; implicit-def: $vgpr4
.LBB71_485:
	s_mov_b32 s44, 0
.LBB71_486:
	s_delay_alu instid0(SALU_CYCLE_1)
	s_and_b32 vcc_lo, exec_lo, s44
	s_cbranch_vccz .LBB71_490
; %bb.487:
	s_cmp_eq_u32 s27, 11
	s_cbranch_scc0 .LBB71_489
; %bb.488:
	global_load_u8 v1, v[8:9], off
	s_mov_b32 s26, 0
	s_mov_b32 s43, -1
	s_wait_loadcnt 0x0
	v_cmp_ne_u16_e32 vcc_lo, 0, v1
	v_cndmask_b32_e64 v4, 0, 1, vcc_lo
	s_branch .LBB71_490
.LBB71_489:
	s_mov_b32 s26, -1
                                        ; implicit-def: $vgpr4
.LBB71_490:
	s_branch .LBB71_409
.LBB71_491:
	s_and_b32 s0, 0xffff, s0
	s_delay_alu instid0(SALU_CYCLE_1)
	s_cmp_lt_i32 s0, 5
	s_cbranch_scc1 .LBB71_496
; %bb.492:
	s_cmp_lt_i32 s0, 8
	s_cbranch_scc1 .LBB71_497
; %bb.493:
	;; [unrolled: 3-line block ×3, first 2 shown]
	s_cmp_gt_i32 s0, 9
	s_cbranch_scc0 .LBB71_499
; %bb.495:
	s_wait_loadcnt 0x0
	global_load_b64 v[4:5], v[8:9], off
	s_mov_b32 s27, 0
	s_wait_loadcnt 0x0
	v_cvt_i32_f64_e32 v4, v[4:5]
	s_branch .LBB71_500
.LBB71_496:
	s_mov_b32 s27, -1
                                        ; implicit-def: $vgpr4
	s_branch .LBB71_518
.LBB71_497:
	s_mov_b32 s27, -1
                                        ; implicit-def: $vgpr4
	s_branch .LBB71_506
.LBB71_498:
	s_mov_b32 s27, -1
                                        ; implicit-def: $vgpr4
	s_branch .LBB71_503
.LBB71_499:
	s_mov_b32 s27, -1
                                        ; implicit-def: $vgpr4
.LBB71_500:
	s_delay_alu instid0(SALU_CYCLE_1)
	s_and_not1_b32 vcc_lo, exec_lo, s27
	s_cbranch_vccnz .LBB71_502
; %bb.501:
	global_load_b32 v1, v[8:9], off
	s_wait_loadcnt 0x0
	v_cvt_i32_f32_e32 v4, v1
.LBB71_502:
	s_mov_b32 s27, 0
.LBB71_503:
	s_delay_alu instid0(SALU_CYCLE_1)
	s_and_not1_b32 vcc_lo, exec_lo, s27
	s_cbranch_vccnz .LBB71_505
; %bb.504:
	global_load_b32 v1, v[8:9], off
	s_wait_loadcnt 0x0
	v_cvt_i16_f16_e32 v4, v1
.LBB71_505:
	s_mov_b32 s27, 0
.LBB71_506:
	s_delay_alu instid0(SALU_CYCLE_1)
	s_and_not1_b32 vcc_lo, exec_lo, s27
	s_cbranch_vccnz .LBB71_517
; %bb.507:
	s_cmp_lt_i32 s0, 6
	s_cbranch_scc1 .LBB71_510
; %bb.508:
	s_cmp_gt_i32 s0, 6
	s_cbranch_scc0 .LBB71_511
; %bb.509:
	s_wait_loadcnt 0x0
	global_load_b64 v[4:5], v[8:9], off
	s_mov_b32 s27, 0
	s_wait_loadcnt 0x0
	v_cvt_i32_f64_e32 v4, v[4:5]
	s_branch .LBB71_512
.LBB71_510:
	s_mov_b32 s27, -1
                                        ; implicit-def: $vgpr4
	s_branch .LBB71_515
.LBB71_511:
	s_mov_b32 s27, -1
                                        ; implicit-def: $vgpr4
.LBB71_512:
	s_delay_alu instid0(SALU_CYCLE_1)
	s_and_not1_b32 vcc_lo, exec_lo, s27
	s_cbranch_vccnz .LBB71_514
; %bb.513:
	global_load_b32 v1, v[8:9], off
	s_wait_loadcnt 0x0
	v_cvt_i32_f32_e32 v4, v1
.LBB71_514:
	s_mov_b32 s27, 0
.LBB71_515:
	s_delay_alu instid0(SALU_CYCLE_1)
	s_and_not1_b32 vcc_lo, exec_lo, s27
	s_cbranch_vccnz .LBB71_517
; %bb.516:
	global_load_u16 v1, v[8:9], off
	s_wait_loadcnt 0x0
	v_cvt_i16_f16_e32 v4, v1
.LBB71_517:
	s_mov_b32 s27, 0
.LBB71_518:
	s_delay_alu instid0(SALU_CYCLE_1)
	s_and_not1_b32 vcc_lo, exec_lo, s27
	s_cbranch_vccnz .LBB71_538
; %bb.519:
	s_cmp_lt_i32 s0, 2
	s_cbranch_scc1 .LBB71_523
; %bb.520:
	s_cmp_lt_i32 s0, 3
	s_cbranch_scc1 .LBB71_524
; %bb.521:
	s_cmp_gt_i32 s0, 3
	s_cbranch_scc0 .LBB71_525
; %bb.522:
	s_wait_loadcnt 0x0
	global_load_b64 v[4:5], v[8:9], off
	s_mov_b32 s27, 0
	s_branch .LBB71_526
.LBB71_523:
	s_mov_b32 s27, -1
                                        ; implicit-def: $vgpr4
	s_branch .LBB71_532
.LBB71_524:
	s_mov_b32 s27, -1
                                        ; implicit-def: $vgpr4
	s_branch .LBB71_529
.LBB71_525:
	s_mov_b32 s27, -1
                                        ; implicit-def: $vgpr4
.LBB71_526:
	s_delay_alu instid0(SALU_CYCLE_1)
	s_and_not1_b32 vcc_lo, exec_lo, s27
	s_cbranch_vccnz .LBB71_528
; %bb.527:
	s_wait_loadcnt 0x0
	global_load_b32 v4, v[8:9], off
.LBB71_528:
	s_mov_b32 s27, 0
.LBB71_529:
	s_delay_alu instid0(SALU_CYCLE_1)
	s_and_not1_b32 vcc_lo, exec_lo, s27
	s_cbranch_vccnz .LBB71_531
; %bb.530:
	s_wait_loadcnt 0x0
	global_load_u16 v4, v[8:9], off
.LBB71_531:
	s_mov_b32 s27, 0
.LBB71_532:
	s_delay_alu instid0(SALU_CYCLE_1)
	s_and_not1_b32 vcc_lo, exec_lo, s27
	s_cbranch_vccnz .LBB71_538
; %bb.533:
	s_cmp_gt_i32 s0, 0
	s_mov_b32 s0, 0
	s_cbranch_scc0 .LBB71_535
; %bb.534:
	s_wait_loadcnt 0x0
	global_load_i8 v4, v[8:9], off
	s_branch .LBB71_536
.LBB71_535:
	s_mov_b32 s0, -1
                                        ; implicit-def: $vgpr4
.LBB71_536:
	s_delay_alu instid0(SALU_CYCLE_1)
	s_and_not1_b32 vcc_lo, exec_lo, s0
	s_cbranch_vccnz .LBB71_538
; %bb.537:
	s_wait_loadcnt 0x0
	global_load_u8 v4, v[8:9], off
.LBB71_538:
	s_branch .LBB71_410
.LBB71_539:
	s_mov_b32 s47, 0
	s_mov_b32 s0, s39
	;; [unrolled: 1-line block ×3, first 2 shown]
	s_branch .LBB71_779
.LBB71_540:
	s_and_not1_saveexec_b32 s45, s45
	s_cbranch_execz .LBB71_200
.LBB71_541:
	v_add_f32_e32 v1, 0x42800000, v4
	s_and_not1_b32 s44, s44, exec_lo
	s_delay_alu instid0(VALU_DEP_1) | instskip(NEXT) | instid1(VALU_DEP_1)
	v_and_b32_e32 v1, 0xff, v1
	v_cmp_ne_u32_e32 vcc_lo, 0, v1
	s_and_b32 s46, vcc_lo, exec_lo
	s_delay_alu instid0(SALU_CYCLE_1)
	s_or_b32 s44, s44, s46
	s_or_b32 exec_lo, exec_lo, s45
	v_mov_b32_e32 v5, 0
	s_and_saveexec_b32 s45, s44
	s_cbranch_execnz .LBB71_201
	s_branch .LBB71_202
.LBB71_542:
	s_mov_b32 s27, -1
	s_mov_b32 s44, 0
.LBB71_543:
                                        ; implicit-def: $vgpr8
.LBB71_544:
	s_and_b32 vcc_lo, exec_lo, s45
	s_cbranch_vccz .LBB71_548
; %bb.545:
	s_cmp_eq_u32 s43, 44
	s_cbranch_scc0 .LBB71_547
; %bb.546:
	global_load_u8 v1, v[6:7], off
	s_mov_b32 s27, 0
	s_mov_b32 s44, -1
	s_wait_loadcnt 0x0
	v_lshlrev_b32_e32 v3, 23, v1
	v_cmp_ne_u32_e32 vcc_lo, 0, v1
	s_delay_alu instid0(VALU_DEP_2) | instskip(SKIP_1) | instid1(VALU_DEP_1)
	v_cvt_i32_f32_e32 v3, v3
	s_wait_xcnt 0x1
	v_cndmask_b32_e32 v8, 0, v3, vcc_lo
	s_branch .LBB71_548
.LBB71_547:
	s_mov_b32 s27, -1
                                        ; implicit-def: $vgpr8
.LBB71_548:
	s_mov_b32 s45, 0
.LBB71_549:
	s_delay_alu instid0(SALU_CYCLE_1)
	s_and_b32 vcc_lo, exec_lo, s45
	s_cbranch_vccz .LBB71_553
; %bb.550:
	s_cmp_eq_u32 s43, 29
	s_cbranch_scc0 .LBB71_552
; %bb.551:
	global_load_b64 v[8:9], v[6:7], off
	s_mov_b32 s44, -1
	s_mov_b32 s27, 0
	s_branch .LBB71_553
.LBB71_552:
	s_mov_b32 s27, -1
                                        ; implicit-def: $vgpr8
.LBB71_553:
	s_mov_b32 s45, 0
.LBB71_554:
	s_delay_alu instid0(SALU_CYCLE_1)
	s_and_b32 vcc_lo, exec_lo, s45
	s_cbranch_vccz .LBB71_570
; %bb.555:
	s_cmp_lt_i32 s43, 27
	s_cbranch_scc1 .LBB71_558
; %bb.556:
	s_cmp_gt_i32 s43, 27
	s_cbranch_scc0 .LBB71_559
; %bb.557:
	s_wait_loadcnt 0x0
	global_load_b32 v8, v[6:7], off
	s_mov_b32 s44, 0
	s_branch .LBB71_560
.LBB71_558:
	s_mov_b32 s44, -1
                                        ; implicit-def: $vgpr8
	s_branch .LBB71_563
.LBB71_559:
	s_mov_b32 s44, -1
                                        ; implicit-def: $vgpr8
.LBB71_560:
	s_delay_alu instid0(SALU_CYCLE_1)
	s_and_not1_b32 vcc_lo, exec_lo, s44
	s_cbranch_vccnz .LBB71_562
; %bb.561:
	s_wait_loadcnt 0x0
	global_load_u16 v8, v[6:7], off
.LBB71_562:
	s_mov_b32 s44, 0
.LBB71_563:
	s_delay_alu instid0(SALU_CYCLE_1)
	s_and_not1_b32 vcc_lo, exec_lo, s44
	s_cbranch_vccnz .LBB71_569
; %bb.564:
	global_load_u8 v1, v[6:7], off
	s_mov_b32 s45, 0
	s_mov_b32 s44, exec_lo
	s_wait_loadcnt 0x0
	v_cmpx_lt_i16_e32 0x7f, v1
	s_xor_b32 s44, exec_lo, s44
	s_cbranch_execz .LBB71_581
; %bb.565:
	v_cmp_ne_u16_e32 vcc_lo, 0x80, v1
	s_and_b32 s45, vcc_lo, exec_lo
	s_and_not1_saveexec_b32 s44, s44
	s_cbranch_execnz .LBB71_582
.LBB71_566:
	s_or_b32 exec_lo, exec_lo, s44
	v_mov_b32_e32 v8, 0
	s_and_saveexec_b32 s44, s45
	s_cbranch_execz .LBB71_568
.LBB71_567:
	v_and_b32_e32 v3, 0xffff, v1
	s_delay_alu instid0(VALU_DEP_1) | instskip(SKIP_1) | instid1(VALU_DEP_2)
	v_and_b32_e32 v5, 7, v3
	v_bfe_u32 v10, v3, 3, 4
	v_clz_i32_u32_e32 v8, v5
	s_delay_alu instid0(VALU_DEP_2) | instskip(NEXT) | instid1(VALU_DEP_2)
	v_cmp_eq_u32_e32 vcc_lo, 0, v10
	v_min_u32_e32 v8, 32, v8
	s_delay_alu instid0(VALU_DEP_1) | instskip(NEXT) | instid1(VALU_DEP_1)
	v_subrev_nc_u32_e32 v9, 28, v8
	v_dual_lshlrev_b32 v3, v9, v3 :: v_dual_sub_nc_u32 v8, 29, v8
	s_delay_alu instid0(VALU_DEP_1) | instskip(NEXT) | instid1(VALU_DEP_1)
	v_dual_lshlrev_b32 v1, 24, v1 :: v_dual_bitop2_b32 v3, 7, v3 bitop3:0x40
	v_dual_cndmask_b32 v8, v10, v8 :: v_dual_cndmask_b32 v3, v5, v3
	s_delay_alu instid0(VALU_DEP_2) | instskip(NEXT) | instid1(VALU_DEP_2)
	v_and_b32_e32 v1, 0x80000000, v1
	v_lshl_add_u32 v5, v8, 23, 0x3b800000
	s_delay_alu instid0(VALU_DEP_3) | instskip(NEXT) | instid1(VALU_DEP_1)
	v_lshlrev_b32_e32 v3, 20, v3
	v_or3_b32 v1, v1, v5, v3
	s_delay_alu instid0(VALU_DEP_1)
	v_cvt_i32_f32_e32 v8, v1
.LBB71_568:
	s_or_b32 exec_lo, exec_lo, s44
.LBB71_569:
	s_mov_b32 s44, -1
.LBB71_570:
	s_mov_b32 s45, 0
.LBB71_571:
	s_delay_alu instid0(SALU_CYCLE_1)
	s_and_b32 vcc_lo, exec_lo, s45
	s_cbranch_vccz .LBB71_604
; %bb.572:
	s_cmp_gt_i32 s43, 22
	s_cbranch_scc0 .LBB71_580
; %bb.573:
	s_cmp_lt_i32 s43, 24
	s_cbranch_scc1 .LBB71_583
; %bb.574:
	s_cmp_gt_i32 s43, 24
	s_cbranch_scc0 .LBB71_584
; %bb.575:
	global_load_u8 v1, v[6:7], off
	s_mov_b32 s45, 0
	s_mov_b32 s44, exec_lo
	s_wait_loadcnt 0x0
	v_cmpx_lt_i16_e32 0x7f, v1
	s_xor_b32 s44, exec_lo, s44
	s_cbranch_execz .LBB71_596
; %bb.576:
	v_cmp_ne_u16_e32 vcc_lo, 0x80, v1
	s_and_b32 s45, vcc_lo, exec_lo
	s_and_not1_saveexec_b32 s44, s44
	s_cbranch_execnz .LBB71_597
.LBB71_577:
	s_or_b32 exec_lo, exec_lo, s44
	v_mov_b32_e32 v8, 0
	s_and_saveexec_b32 s44, s45
	s_cbranch_execz .LBB71_579
.LBB71_578:
	v_and_b32_e32 v3, 0xffff, v1
	s_delay_alu instid0(VALU_DEP_1) | instskip(SKIP_1) | instid1(VALU_DEP_2)
	v_and_b32_e32 v5, 3, v3
	v_bfe_u32 v10, v3, 2, 5
	v_clz_i32_u32_e32 v8, v5
	s_delay_alu instid0(VALU_DEP_2) | instskip(NEXT) | instid1(VALU_DEP_2)
	v_cmp_eq_u32_e32 vcc_lo, 0, v10
	v_min_u32_e32 v8, 32, v8
	s_delay_alu instid0(VALU_DEP_1) | instskip(NEXT) | instid1(VALU_DEP_1)
	v_subrev_nc_u32_e32 v9, 29, v8
	v_dual_lshlrev_b32 v3, v9, v3 :: v_dual_sub_nc_u32 v8, 30, v8
	s_delay_alu instid0(VALU_DEP_1) | instskip(NEXT) | instid1(VALU_DEP_1)
	v_dual_lshlrev_b32 v1, 24, v1 :: v_dual_bitop2_b32 v3, 3, v3 bitop3:0x40
	v_dual_cndmask_b32 v8, v10, v8 :: v_dual_cndmask_b32 v3, v5, v3
	s_delay_alu instid0(VALU_DEP_2) | instskip(NEXT) | instid1(VALU_DEP_2)
	v_and_b32_e32 v1, 0x80000000, v1
	v_lshl_add_u32 v5, v8, 23, 0x37800000
	s_delay_alu instid0(VALU_DEP_3) | instskip(NEXT) | instid1(VALU_DEP_1)
	v_lshlrev_b32_e32 v3, 21, v3
	v_or3_b32 v1, v1, v5, v3
	s_delay_alu instid0(VALU_DEP_1)
	v_cvt_i32_f32_e32 v8, v1
.LBB71_579:
	s_or_b32 exec_lo, exec_lo, s44
	s_mov_b32 s44, 0
	s_branch .LBB71_585
.LBB71_580:
	s_mov_b32 s45, -1
                                        ; implicit-def: $vgpr8
	s_branch .LBB71_591
.LBB71_581:
	s_and_not1_saveexec_b32 s44, s44
	s_cbranch_execz .LBB71_566
.LBB71_582:
	v_cmp_ne_u16_e32 vcc_lo, 0, v1
	s_and_not1_b32 s45, s45, exec_lo
	s_and_b32 s47, vcc_lo, exec_lo
	s_delay_alu instid0(SALU_CYCLE_1)
	s_or_b32 s45, s45, s47
	s_or_b32 exec_lo, exec_lo, s44
	v_mov_b32_e32 v8, 0
	s_and_saveexec_b32 s44, s45
	s_cbranch_execnz .LBB71_567
	s_branch .LBB71_568
.LBB71_583:
	s_mov_b32 s44, -1
                                        ; implicit-def: $vgpr8
	s_branch .LBB71_588
.LBB71_584:
	s_mov_b32 s44, -1
                                        ; implicit-def: $vgpr8
.LBB71_585:
	s_delay_alu instid0(SALU_CYCLE_1)
	s_and_b32 vcc_lo, exec_lo, s44
	s_cbranch_vccz .LBB71_587
; %bb.586:
	global_load_u8 v1, v[6:7], off
	s_wait_loadcnt 0x0
	v_lshlrev_b32_e32 v1, 24, v1
	s_delay_alu instid0(VALU_DEP_1) | instskip(NEXT) | instid1(VALU_DEP_1)
	v_and_b32_e32 v3, 0x7f000000, v1
	v_clz_i32_u32_e32 v5, v3
	s_wait_xcnt 0x1
	v_add_nc_u32_e32 v9, 0x1000000, v3
	v_cmp_ne_u32_e32 vcc_lo, 0, v3
	s_delay_alu instid0(VALU_DEP_3) | instskip(NEXT) | instid1(VALU_DEP_1)
	v_min_u32_e32 v5, 32, v5
	v_sub_nc_u32_e64 v5, v5, 4 clamp
	s_delay_alu instid0(VALU_DEP_1) | instskip(NEXT) | instid1(VALU_DEP_1)
	v_dual_lshlrev_b32 v8, v5, v3 :: v_dual_lshlrev_b32 v5, 23, v5
	v_lshrrev_b32_e32 v8, 4, v8
	s_delay_alu instid0(VALU_DEP_1) | instskip(SKIP_1) | instid1(VALU_DEP_2)
	v_sub_nc_u32_e32 v5, v8, v5
	v_ashrrev_i32_e32 v8, 8, v9
	v_add_nc_u32_e32 v5, 0x3c000000, v5
	s_delay_alu instid0(VALU_DEP_1) | instskip(NEXT) | instid1(VALU_DEP_1)
	v_and_or_b32 v5, 0x7f800000, v8, v5
	v_cndmask_b32_e32 v3, 0, v5, vcc_lo
	s_delay_alu instid0(VALU_DEP_1) | instskip(NEXT) | instid1(VALU_DEP_1)
	v_and_or_b32 v1, 0x80000000, v1, v3
	v_cvt_i32_f32_e32 v8, v1
.LBB71_587:
	s_mov_b32 s44, 0
.LBB71_588:
	s_delay_alu instid0(SALU_CYCLE_1)
	s_and_not1_b32 vcc_lo, exec_lo, s44
	s_cbranch_vccnz .LBB71_590
; %bb.589:
	global_load_u8 v1, v[6:7], off
	s_wait_loadcnt 0x0
	v_lshlrev_b32_e32 v3, 25, v1
	v_lshlrev_b16 v1, 8, v1
	s_wait_xcnt 0x1
	s_delay_alu instid0(VALU_DEP_1) | instskip(SKIP_1) | instid1(VALU_DEP_2)
	v_and_or_b32 v8, 0x7f00, v1, 0.5
	v_bfe_i32 v1, v1, 0, 16
	v_dual_add_f32 v8, -0.5, v8 :: v_dual_lshrrev_b32 v5, 4, v3
	v_cmp_gt_u32_e32 vcc_lo, 0x8000000, v3
	s_delay_alu instid0(VALU_DEP_2) | instskip(NEXT) | instid1(VALU_DEP_1)
	v_or_b32_e32 v5, 0x70000000, v5
	v_mul_f32_e32 v5, 0x7800000, v5
	s_delay_alu instid0(VALU_DEP_1) | instskip(NEXT) | instid1(VALU_DEP_1)
	v_cndmask_b32_e32 v3, v5, v8, vcc_lo
	v_and_or_b32 v1, 0x80000000, v1, v3
	s_delay_alu instid0(VALU_DEP_1)
	v_cvt_i32_f32_e32 v8, v1
.LBB71_590:
	s_mov_b32 s45, 0
	s_mov_b32 s44, -1
.LBB71_591:
	s_and_not1_b32 vcc_lo, exec_lo, s45
	s_cbranch_vccnz .LBB71_604
; %bb.592:
	s_cmp_gt_i32 s43, 14
	s_cbranch_scc0 .LBB71_595
; %bb.593:
	s_cmp_eq_u32 s43, 15
	s_cbranch_scc0 .LBB71_598
; %bb.594:
	global_load_u16 v1, v[6:7], off
	s_mov_b32 s44, -1
	s_mov_b32 s27, 0
	s_wait_loadcnt 0x0
	v_lshlrev_b32_e32 v1, 16, v1
	s_wait_xcnt 0x1
	s_delay_alu instid0(VALU_DEP_1)
	v_cvt_i32_f32_e32 v8, v1
	s_branch .LBB71_599
.LBB71_595:
	s_mov_b32 s45, -1
                                        ; implicit-def: $vgpr8
	s_branch .LBB71_600
.LBB71_596:
	s_and_not1_saveexec_b32 s44, s44
	s_cbranch_execz .LBB71_577
.LBB71_597:
	v_cmp_ne_u16_e32 vcc_lo, 0, v1
	s_and_not1_b32 s45, s45, exec_lo
	s_and_b32 s47, vcc_lo, exec_lo
	s_delay_alu instid0(SALU_CYCLE_1)
	s_or_b32 s45, s45, s47
	s_or_b32 exec_lo, exec_lo, s44
	v_mov_b32_e32 v8, 0
	s_and_saveexec_b32 s44, s45
	s_cbranch_execnz .LBB71_578
	s_branch .LBB71_579
.LBB71_598:
	s_mov_b32 s27, -1
                                        ; implicit-def: $vgpr8
.LBB71_599:
	s_mov_b32 s45, 0
.LBB71_600:
	s_delay_alu instid0(SALU_CYCLE_1)
	s_and_b32 vcc_lo, exec_lo, s45
	s_cbranch_vccz .LBB71_604
; %bb.601:
	s_cmp_eq_u32 s43, 11
	s_cbranch_scc0 .LBB71_603
; %bb.602:
	global_load_u8 v1, v[6:7], off
	s_mov_b32 s27, 0
	s_mov_b32 s44, -1
	s_wait_loadcnt 0x0
	v_cmp_ne_u16_e32 vcc_lo, 0, v1
	s_wait_xcnt 0x1
	v_cndmask_b32_e64 v8, 0, 1, vcc_lo
	s_branch .LBB71_604
.LBB71_603:
	s_mov_b32 s27, -1
                                        ; implicit-def: $vgpr8
.LBB71_604:
	s_mov_b32 s43, 0
.LBB71_605:
	s_delay_alu instid0(SALU_CYCLE_1)
	s_and_b32 vcc_lo, exec_lo, s43
	s_cbranch_vccz .LBB71_654
; %bb.606:
	s_and_b32 s0, 0xffff, s0
	s_delay_alu instid0(SALU_CYCLE_1)
	s_cmp_lt_i32 s0, 5
	s_cbranch_scc1 .LBB71_611
; %bb.607:
	s_cmp_lt_i32 s0, 8
	s_cbranch_scc1 .LBB71_612
; %bb.608:
	;; [unrolled: 3-line block ×3, first 2 shown]
	s_cmp_gt_i32 s0, 9
	s_cbranch_scc0 .LBB71_614
; %bb.610:
	s_wait_loadcnt 0x0
	global_load_b64 v[8:9], v[6:7], off
	s_mov_b32 s43, 0
	s_wait_loadcnt 0x0
	v_cvt_i32_f64_e32 v8, v[8:9]
	s_branch .LBB71_615
.LBB71_611:
	s_mov_b32 s43, -1
                                        ; implicit-def: $vgpr8
	s_branch .LBB71_633
.LBB71_612:
	s_mov_b32 s43, -1
                                        ; implicit-def: $vgpr8
	s_branch .LBB71_621
.LBB71_613:
	s_mov_b32 s43, -1
                                        ; implicit-def: $vgpr8
	s_branch .LBB71_618
.LBB71_614:
	s_mov_b32 s43, -1
                                        ; implicit-def: $vgpr8
.LBB71_615:
	s_delay_alu instid0(SALU_CYCLE_1)
	s_and_not1_b32 vcc_lo, exec_lo, s43
	s_cbranch_vccnz .LBB71_617
; %bb.616:
	global_load_b32 v1, v[6:7], off
	s_wait_loadcnt 0x0
	s_wait_xcnt 0x1
	v_cvt_i32_f32_e32 v8, v1
.LBB71_617:
	s_mov_b32 s43, 0
.LBB71_618:
	s_delay_alu instid0(SALU_CYCLE_1)
	s_and_not1_b32 vcc_lo, exec_lo, s43
	s_cbranch_vccnz .LBB71_620
; %bb.619:
	global_load_b32 v1, v[6:7], off
	s_wait_loadcnt 0x0
	s_wait_xcnt 0x1
	v_cvt_i16_f16_e32 v8, v1
.LBB71_620:
	s_mov_b32 s43, 0
.LBB71_621:
	s_delay_alu instid0(SALU_CYCLE_1)
	s_and_not1_b32 vcc_lo, exec_lo, s43
	s_cbranch_vccnz .LBB71_632
; %bb.622:
	s_cmp_lt_i32 s0, 6
	s_cbranch_scc1 .LBB71_625
; %bb.623:
	s_cmp_gt_i32 s0, 6
	s_cbranch_scc0 .LBB71_626
; %bb.624:
	s_wait_loadcnt 0x0
	global_load_b64 v[8:9], v[6:7], off
	s_mov_b32 s43, 0
	s_wait_loadcnt 0x0
	v_cvt_i32_f64_e32 v8, v[8:9]
	s_branch .LBB71_627
.LBB71_625:
	s_mov_b32 s43, -1
                                        ; implicit-def: $vgpr8
	s_branch .LBB71_630
.LBB71_626:
	s_mov_b32 s43, -1
                                        ; implicit-def: $vgpr8
.LBB71_627:
	s_delay_alu instid0(SALU_CYCLE_1)
	s_and_not1_b32 vcc_lo, exec_lo, s43
	s_cbranch_vccnz .LBB71_629
; %bb.628:
	global_load_b32 v1, v[6:7], off
	s_wait_loadcnt 0x0
	s_wait_xcnt 0x1
	v_cvt_i32_f32_e32 v8, v1
.LBB71_629:
	s_mov_b32 s43, 0
.LBB71_630:
	s_delay_alu instid0(SALU_CYCLE_1)
	s_and_not1_b32 vcc_lo, exec_lo, s43
	s_cbranch_vccnz .LBB71_632
; %bb.631:
	global_load_u16 v1, v[6:7], off
	s_wait_loadcnt 0x0
	s_wait_xcnt 0x1
	v_cvt_i16_f16_e32 v8, v1
.LBB71_632:
	s_mov_b32 s43, 0
.LBB71_633:
	s_delay_alu instid0(SALU_CYCLE_1)
	s_and_not1_b32 vcc_lo, exec_lo, s43
	s_cbranch_vccnz .LBB71_653
; %bb.634:
	s_cmp_lt_i32 s0, 2
	s_cbranch_scc1 .LBB71_638
; %bb.635:
	s_cmp_lt_i32 s0, 3
	s_cbranch_scc1 .LBB71_639
; %bb.636:
	s_cmp_gt_i32 s0, 3
	s_cbranch_scc0 .LBB71_640
; %bb.637:
	s_wait_loadcnt 0x0
	global_load_b64 v[8:9], v[6:7], off
	s_mov_b32 s43, 0
	s_branch .LBB71_641
.LBB71_638:
	s_mov_b32 s43, -1
                                        ; implicit-def: $vgpr8
	s_branch .LBB71_647
.LBB71_639:
	s_mov_b32 s43, -1
                                        ; implicit-def: $vgpr8
	s_branch .LBB71_644
.LBB71_640:
	s_mov_b32 s43, -1
                                        ; implicit-def: $vgpr8
.LBB71_641:
	s_delay_alu instid0(SALU_CYCLE_1)
	s_and_not1_b32 vcc_lo, exec_lo, s43
	s_cbranch_vccnz .LBB71_643
; %bb.642:
	s_wait_loadcnt 0x0
	global_load_b32 v8, v[6:7], off
.LBB71_643:
	s_mov_b32 s43, 0
.LBB71_644:
	s_delay_alu instid0(SALU_CYCLE_1)
	s_and_not1_b32 vcc_lo, exec_lo, s43
	s_cbranch_vccnz .LBB71_646
; %bb.645:
	s_wait_loadcnt 0x0
	global_load_u16 v8, v[6:7], off
.LBB71_646:
	s_mov_b32 s43, 0
.LBB71_647:
	s_delay_alu instid0(SALU_CYCLE_1)
	s_and_not1_b32 vcc_lo, exec_lo, s43
	s_cbranch_vccnz .LBB71_653
; %bb.648:
	s_cmp_gt_i32 s0, 0
	s_mov_b32 s0, 0
	s_cbranch_scc0 .LBB71_650
; %bb.649:
	s_wait_loadcnt 0x0
	global_load_i8 v8, v[6:7], off
	s_branch .LBB71_651
.LBB71_650:
	s_mov_b32 s0, -1
                                        ; implicit-def: $vgpr8
.LBB71_651:
	s_delay_alu instid0(SALU_CYCLE_1)
	s_and_not1_b32 vcc_lo, exec_lo, s0
	s_cbranch_vccnz .LBB71_653
; %bb.652:
	s_wait_loadcnt 0x0
	global_load_u8 v8, v[6:7], off
.LBB71_653:
	s_mov_b32 s44, -1
.LBB71_654:
	s_delay_alu instid0(SALU_CYCLE_1)
	s_and_not1_b32 vcc_lo, exec_lo, s44
	s_cbranch_vccnz .LBB71_662
; %bb.655:
	v_mov_b32_e32 v3, 0
	s_wait_loadcnt 0x0
	s_delay_alu instid0(VALU_DEP_2) | instskip(SKIP_1) | instid1(VALU_DEP_2)
	v_cmp_ne_u16_e32 vcc_lo, v4, v8
	s_and_b32 s44, s11, 0xff
	v_add_nc_u64_e32 v[2:3], s[4:5], v[2:3]
	s_xor_b32 s43, s10, vcc_lo
	s_cmp_lt_i32 s44, 11
	s_cbranch_scc1 .LBB71_663
; %bb.656:
	s_and_b32 s45, 0xffff, s44
	s_delay_alu instid0(SALU_CYCLE_1)
	s_cmp_gt_i32 s45, 25
	s_cbranch_scc0 .LBB71_664
; %bb.657:
	s_cmp_gt_i32 s45, 28
	s_cbranch_scc0 .LBB71_665
; %bb.658:
	;; [unrolled: 3-line block ×4, first 2 shown]
	s_mov_b32 s48, 0
	s_mov_b32 s0, -1
	s_cmp_eq_u32 s45, 46
	s_mov_b32 s47, 0
	s_cbranch_scc0 .LBB71_668
; %bb.661:
	v_cndmask_b32_e64 v1, 0, 1.0, s43
	s_mov_b32 s47, -1
	s_mov_b32 s0, 0
	s_delay_alu instid0(VALU_DEP_1) | instskip(NEXT) | instid1(VALU_DEP_1)
	v_bfe_u32 v4, v1, 16, 1
	v_add3_u32 v1, v1, v4, 0x7fff
	s_delay_alu instid0(VALU_DEP_1)
	v_lshrrev_b32_e32 v1, 16, v1
	global_store_b32 v[2:3], v1, off
	s_branch .LBB71_668
.LBB71_662:
	s_mov_b32 s47, 0
	s_mov_b32 s0, s39
	s_branch .LBB71_779
.LBB71_663:
	s_mov_b32 s45, -1
	s_mov_b32 s47, 0
	s_mov_b32 s0, s39
	s_branch .LBB71_737
.LBB71_664:
	s_mov_b32 s48, -1
	s_mov_b32 s47, 0
	s_mov_b32 s0, s39
	s_branch .LBB71_695
.LBB71_665:
	s_mov_b32 s48, -1
	s_mov_b32 s47, 0
	s_mov_b32 s0, s39
	s_branch .LBB71_678
.LBB71_666:
	s_mov_b32 s48, -1
	s_mov_b32 s47, 0
	s_mov_b32 s0, s39
	s_branch .LBB71_674
.LBB71_667:
	s_mov_b32 s48, -1
	s_mov_b32 s47, 0
	s_mov_b32 s0, s39
.LBB71_668:
	s_and_b32 vcc_lo, exec_lo, s48
	s_cbranch_vccz .LBB71_673
; %bb.669:
	s_cmp_eq_u32 s45, 44
	s_mov_b32 s0, -1
	s_cbranch_scc0 .LBB71_673
; %bb.670:
	v_cndmask_b32_e64 v5, 0, 1.0, s43
	s_mov_b32 s47, exec_lo
	s_wait_xcnt 0x0
	s_delay_alu instid0(VALU_DEP_1) | instskip(NEXT) | instid1(VALU_DEP_1)
	v_dual_mov_b32 v4, 0xff :: v_dual_lshrrev_b32 v1, 23, v5
	v_cmpx_ne_u32_e32 0xff, v1
; %bb.671:
	v_and_b32_e32 v4, 0x400000, v5
	v_and_or_b32 v5, 0x3fffff, v5, v1
	s_delay_alu instid0(VALU_DEP_2) | instskip(NEXT) | instid1(VALU_DEP_2)
	v_cmp_ne_u32_e32 vcc_lo, 0, v4
	v_cmp_ne_u32_e64 s0, 0, v5
	s_and_b32 s0, vcc_lo, s0
	s_delay_alu instid0(SALU_CYCLE_1) | instskip(NEXT) | instid1(VALU_DEP_1)
	v_cndmask_b32_e64 v4, 0, 1, s0
	v_add_nc_u32_e32 v4, v1, v4
; %bb.672:
	s_or_b32 exec_lo, exec_lo, s47
	s_mov_b32 s47, -1
	s_mov_b32 s0, 0
	global_store_b8 v[2:3], v4, off
.LBB71_673:
	s_mov_b32 s48, 0
.LBB71_674:
	s_delay_alu instid0(SALU_CYCLE_1)
	s_and_b32 vcc_lo, exec_lo, s48
	s_cbranch_vccz .LBB71_677
; %bb.675:
	s_cmp_eq_u32 s45, 29
	s_mov_b32 s0, -1
	s_cbranch_scc0 .LBB71_677
; %bb.676:
	s_mov_b32 s0, 0
	s_wait_xcnt 0x0
	v_cndmask_b32_e64 v4, 0, 1, s43
	v_mov_b32_e32 v5, s0
	s_mov_b32 s47, -1
	s_mov_b32 s48, 0
	global_store_b64 v[2:3], v[4:5], off
	s_branch .LBB71_678
.LBB71_677:
	s_mov_b32 s48, 0
.LBB71_678:
	s_delay_alu instid0(SALU_CYCLE_1)
	s_and_b32 vcc_lo, exec_lo, s48
	s_cbranch_vccz .LBB71_694
; %bb.679:
	s_cmp_lt_i32 s45, 27
	s_mov_b32 s47, -1
	s_cbranch_scc1 .LBB71_685
; %bb.680:
	s_cmp_gt_i32 s45, 27
	s_cbranch_scc0 .LBB71_682
; %bb.681:
	s_wait_xcnt 0x0
	v_cndmask_b32_e64 v1, 0, 1, s43
	s_mov_b32 s47, 0
	global_store_b32 v[2:3], v1, off
.LBB71_682:
	s_and_not1_b32 vcc_lo, exec_lo, s47
	s_cbranch_vccnz .LBB71_684
; %bb.683:
	s_wait_xcnt 0x0
	v_cndmask_b32_e64 v1, 0, 1, s43
	global_store_b16 v[2:3], v1, off
.LBB71_684:
	s_mov_b32 s47, 0
.LBB71_685:
	s_delay_alu instid0(SALU_CYCLE_1)
	s_and_not1_b32 vcc_lo, exec_lo, s47
	s_cbranch_vccnz .LBB71_693
; %bb.686:
	s_wait_xcnt 0x0
	v_cndmask_b32_e64 v4, 0, 1.0, s43
	v_mov_b32_e32 v5, 0x80
	s_mov_b32 s47, exec_lo
	s_delay_alu instid0(VALU_DEP_2)
	v_cmpx_gt_u32_e32 0x43800000, v4
	s_cbranch_execz .LBB71_692
; %bb.687:
	s_mov_b32 s48, 0
	s_mov_b32 s49, exec_lo
                                        ; implicit-def: $vgpr1
	v_cmpx_lt_u32_e32 0x3bffffff, v4
	s_xor_b32 s49, exec_lo, s49
	s_cbranch_execz .LBB71_807
; %bb.688:
	v_bfe_u32 v1, v4, 20, 1
	s_mov_b32 s48, exec_lo
	s_delay_alu instid0(VALU_DEP_1) | instskip(NEXT) | instid1(VALU_DEP_1)
	v_add3_u32 v1, v4, v1, 0x487ffff
                                        ; implicit-def: $vgpr4
	v_lshrrev_b32_e32 v1, 20, v1
	s_and_not1_saveexec_b32 s49, s49
	s_cbranch_execnz .LBB71_808
.LBB71_689:
	s_or_b32 exec_lo, exec_lo, s49
	v_mov_b32_e32 v5, 0
	s_and_saveexec_b32 s49, s48
.LBB71_690:
	v_mov_b32_e32 v5, v1
.LBB71_691:
	s_or_b32 exec_lo, exec_lo, s49
.LBB71_692:
	s_delay_alu instid0(SALU_CYCLE_1)
	s_or_b32 exec_lo, exec_lo, s47
	global_store_b8 v[2:3], v5, off
.LBB71_693:
	s_mov_b32 s47, -1
.LBB71_694:
	s_mov_b32 s48, 0
.LBB71_695:
	s_delay_alu instid0(SALU_CYCLE_1)
	s_and_b32 vcc_lo, exec_lo, s48
	s_cbranch_vccz .LBB71_736
; %bb.696:
	s_cmp_gt_i32 s45, 22
	s_mov_b32 s48, -1
	s_cbranch_scc0 .LBB71_728
; %bb.697:
	s_cmp_lt_i32 s45, 24
	s_mov_b32 s47, -1
	s_cbranch_scc1 .LBB71_717
; %bb.698:
	s_cmp_gt_i32 s45, 24
	s_cbranch_scc0 .LBB71_706
; %bb.699:
	s_wait_xcnt 0x0
	v_cndmask_b32_e64 v4, 0, 1.0, s43
	v_mov_b32_e32 v5, 0x80
	s_mov_b32 s47, exec_lo
	s_delay_alu instid0(VALU_DEP_2)
	v_cmpx_gt_u32_e32 0x47800000, v4
	s_cbranch_execz .LBB71_705
; %bb.700:
	s_mov_b32 s48, 0
	s_mov_b32 s49, exec_lo
                                        ; implicit-def: $vgpr1
	v_cmpx_lt_u32_e32 0x37ffffff, v4
	s_xor_b32 s49, exec_lo, s49
	s_cbranch_execz .LBB71_935
; %bb.701:
	v_bfe_u32 v1, v4, 21, 1
	s_mov_b32 s48, exec_lo
	s_delay_alu instid0(VALU_DEP_1) | instskip(NEXT) | instid1(VALU_DEP_1)
	v_add3_u32 v1, v4, v1, 0x88fffff
                                        ; implicit-def: $vgpr4
	v_lshrrev_b32_e32 v1, 21, v1
	s_and_not1_saveexec_b32 s49, s49
	s_cbranch_execnz .LBB71_936
.LBB71_702:
	s_or_b32 exec_lo, exec_lo, s49
	v_mov_b32_e32 v5, 0
	s_and_saveexec_b32 s49, s48
.LBB71_703:
	v_mov_b32_e32 v5, v1
.LBB71_704:
	s_or_b32 exec_lo, exec_lo, s49
.LBB71_705:
	s_delay_alu instid0(SALU_CYCLE_1)
	s_or_b32 exec_lo, exec_lo, s47
	s_mov_b32 s47, 0
	global_store_b8 v[2:3], v5, off
.LBB71_706:
	s_and_b32 vcc_lo, exec_lo, s47
	s_cbranch_vccz .LBB71_716
; %bb.707:
	s_wait_xcnt 0x0
	v_cndmask_b32_e64 v4, 0, 1.0, s43
	s_mov_b32 s47, exec_lo
                                        ; implicit-def: $vgpr1
	s_delay_alu instid0(VALU_DEP_1)
	v_cmpx_gt_u32_e32 0x43f00000, v4
	s_xor_b32 s47, exec_lo, s47
	s_cbranch_execz .LBB71_713
; %bb.708:
	s_mov_b32 s48, exec_lo
                                        ; implicit-def: $vgpr1
	v_cmpx_lt_u32_e32 0x3c7fffff, v4
	s_xor_b32 s48, exec_lo, s48
; %bb.709:
	v_bfe_u32 v1, v4, 20, 1
	s_delay_alu instid0(VALU_DEP_1) | instskip(NEXT) | instid1(VALU_DEP_1)
	v_add3_u32 v1, v4, v1, 0x407ffff
	v_and_b32_e32 v4, 0xff00000, v1
	v_lshrrev_b32_e32 v1, 20, v1
	s_delay_alu instid0(VALU_DEP_2) | instskip(NEXT) | instid1(VALU_DEP_2)
	v_cmp_ne_u32_e32 vcc_lo, 0x7f00000, v4
                                        ; implicit-def: $vgpr4
	v_cndmask_b32_e32 v1, 0x7e, v1, vcc_lo
; %bb.710:
	s_and_not1_saveexec_b32 s48, s48
; %bb.711:
	v_add_f32_e32 v1, 0x46800000, v4
; %bb.712:
	s_or_b32 exec_lo, exec_lo, s48
                                        ; implicit-def: $vgpr4
.LBB71_713:
	s_and_not1_saveexec_b32 s47, s47
; %bb.714:
	v_mov_b32_e32 v1, 0x7f
	v_cmp_lt_u32_e32 vcc_lo, 0x7f800000, v4
	s_delay_alu instid0(VALU_DEP_2)
	v_cndmask_b32_e32 v1, 0x7e, v1, vcc_lo
; %bb.715:
	s_or_b32 exec_lo, exec_lo, s47
	global_store_b8 v[2:3], v1, off
.LBB71_716:
	s_mov_b32 s47, 0
.LBB71_717:
	s_delay_alu instid0(SALU_CYCLE_1)
	s_and_not1_b32 vcc_lo, exec_lo, s47
	s_cbranch_vccnz .LBB71_727
; %bb.718:
	s_wait_xcnt 0x0
	v_cndmask_b32_e64 v4, 0, 1.0, s43
	s_mov_b32 s47, exec_lo
                                        ; implicit-def: $vgpr1
	s_delay_alu instid0(VALU_DEP_1)
	v_cmpx_gt_u32_e32 0x47800000, v4
	s_xor_b32 s47, exec_lo, s47
	s_cbranch_execz .LBB71_724
; %bb.719:
	s_mov_b32 s48, exec_lo
                                        ; implicit-def: $vgpr1
	v_cmpx_lt_u32_e32 0x387fffff, v4
	s_xor_b32 s48, exec_lo, s48
; %bb.720:
	v_bfe_u32 v1, v4, 21, 1
	s_delay_alu instid0(VALU_DEP_1) | instskip(NEXT) | instid1(VALU_DEP_1)
	v_add3_u32 v1, v4, v1, 0x80fffff
                                        ; implicit-def: $vgpr4
	v_lshrrev_b32_e32 v1, 21, v1
; %bb.721:
	s_and_not1_saveexec_b32 s48, s48
; %bb.722:
	v_add_f32_e32 v1, 0x43000000, v4
; %bb.723:
	s_or_b32 exec_lo, exec_lo, s48
                                        ; implicit-def: $vgpr4
.LBB71_724:
	s_and_not1_saveexec_b32 s47, s47
; %bb.725:
	v_mov_b32_e32 v1, 0x7f
	v_cmp_lt_u32_e32 vcc_lo, 0x7f800000, v4
	s_delay_alu instid0(VALU_DEP_2)
	v_cndmask_b32_e32 v1, 0x7c, v1, vcc_lo
; %bb.726:
	s_or_b32 exec_lo, exec_lo, s47
	global_store_b8 v[2:3], v1, off
.LBB71_727:
	s_mov_b32 s48, 0
	s_mov_b32 s47, -1
.LBB71_728:
	s_and_not1_b32 vcc_lo, exec_lo, s48
	s_cbranch_vccnz .LBB71_736
; %bb.729:
	s_cmp_gt_i32 s45, 14
	s_mov_b32 s48, -1
	s_cbranch_scc0 .LBB71_733
; %bb.730:
	s_cmp_eq_u32 s45, 15
	s_mov_b32 s0, -1
	s_cbranch_scc0 .LBB71_732
; %bb.731:
	s_wait_xcnt 0x0
	v_cndmask_b32_e64 v1, 0, 1.0, s43
	s_mov_b32 s47, -1
	s_mov_b32 s0, 0
	s_delay_alu instid0(VALU_DEP_1) | instskip(NEXT) | instid1(VALU_DEP_1)
	v_bfe_u32 v4, v1, 16, 1
	v_add3_u32 v1, v1, v4, 0x7fff
	global_store_d16_hi_b16 v[2:3], v1, off
.LBB71_732:
	s_mov_b32 s48, 0
.LBB71_733:
	s_delay_alu instid0(SALU_CYCLE_1)
	s_and_b32 vcc_lo, exec_lo, s48
	s_cbranch_vccz .LBB71_736
; %bb.734:
	s_cmp_eq_u32 s45, 11
	s_mov_b32 s0, -1
	s_cbranch_scc0 .LBB71_736
; %bb.735:
	s_wait_xcnt 0x0
	v_cndmask_b32_e64 v1, 0, 1, s43
	s_mov_b32 s47, -1
	s_mov_b32 s0, 0
	global_store_b8 v[2:3], v1, off
.LBB71_736:
	s_mov_b32 s45, 0
.LBB71_737:
	s_delay_alu instid0(SALU_CYCLE_1)
	s_and_b32 vcc_lo, exec_lo, s45
	s_cbranch_vccz .LBB71_776
; %bb.738:
	s_and_b32 s44, 0xffff, s44
	s_mov_b32 s45, -1
	s_cmp_lt_i32 s44, 5
	s_cbranch_scc1 .LBB71_759
; %bb.739:
	s_cmp_lt_i32 s44, 8
	s_cbranch_scc1 .LBB71_749
; %bb.740:
	;; [unrolled: 3-line block ×3, first 2 shown]
	s_cmp_gt_i32 s44, 9
	s_cbranch_scc0 .LBB71_743
; %bb.742:
	s_wait_xcnt 0x0
	v_cndmask_b32_e64 v1, 0, 1, s43
	v_mov_b32_e32 v6, 0
	s_mov_b32 s45, 0
	s_delay_alu instid0(VALU_DEP_2) | instskip(NEXT) | instid1(VALU_DEP_2)
	v_cvt_f64_u32_e32 v[4:5], v1
	v_mov_b32_e32 v7, v6
	global_store_b128 v[2:3], v[4:7], off
.LBB71_743:
	s_and_not1_b32 vcc_lo, exec_lo, s45
	s_cbranch_vccnz .LBB71_745
; %bb.744:
	s_wait_xcnt 0x0
	v_cndmask_b32_e64 v4, 0, 1.0, s43
	v_mov_b32_e32 v5, 0
	global_store_b64 v[2:3], v[4:5], off
.LBB71_745:
	s_mov_b32 s45, 0
.LBB71_746:
	s_delay_alu instid0(SALU_CYCLE_1)
	s_and_not1_b32 vcc_lo, exec_lo, s45
	s_cbranch_vccnz .LBB71_748
; %bb.747:
	s_wait_xcnt 0x0
	v_cndmask_b32_e64 v1, 0, 1.0, s43
	s_delay_alu instid0(VALU_DEP_1) | instskip(NEXT) | instid1(VALU_DEP_1)
	v_cvt_f16_f32_e32 v1, v1
	v_and_b32_e32 v1, 0xffff, v1
	global_store_b32 v[2:3], v1, off
.LBB71_748:
	s_mov_b32 s45, 0
.LBB71_749:
	s_delay_alu instid0(SALU_CYCLE_1)
	s_and_not1_b32 vcc_lo, exec_lo, s45
	s_cbranch_vccnz .LBB71_758
; %bb.750:
	s_cmp_lt_i32 s44, 6
	s_mov_b32 s45, -1
	s_cbranch_scc1 .LBB71_756
; %bb.751:
	s_cmp_gt_i32 s44, 6
	s_cbranch_scc0 .LBB71_753
; %bb.752:
	s_wait_xcnt 0x0
	v_cndmask_b32_e64 v1, 0, 1, s43
	s_mov_b32 s45, 0
	s_delay_alu instid0(VALU_DEP_1)
	v_cvt_f64_u32_e32 v[4:5], v1
	global_store_b64 v[2:3], v[4:5], off
.LBB71_753:
	s_and_not1_b32 vcc_lo, exec_lo, s45
	s_cbranch_vccnz .LBB71_755
; %bb.754:
	s_wait_xcnt 0x0
	v_cndmask_b32_e64 v1, 0, 1.0, s43
	global_store_b32 v[2:3], v1, off
.LBB71_755:
	s_mov_b32 s45, 0
.LBB71_756:
	s_delay_alu instid0(SALU_CYCLE_1)
	s_and_not1_b32 vcc_lo, exec_lo, s45
	s_cbranch_vccnz .LBB71_758
; %bb.757:
	s_wait_xcnt 0x0
	v_cndmask_b32_e64 v1, 0, 1.0, s43
	s_delay_alu instid0(VALU_DEP_1)
	v_cvt_f16_f32_e32 v1, v1
	global_store_b16 v[2:3], v1, off
.LBB71_758:
	s_mov_b32 s45, 0
.LBB71_759:
	s_delay_alu instid0(SALU_CYCLE_1)
	s_and_not1_b32 vcc_lo, exec_lo, s45
	s_cbranch_vccnz .LBB71_775
; %bb.760:
	s_cmp_lt_i32 s44, 2
	s_mov_b32 s45, -1
	s_cbranch_scc1 .LBB71_770
; %bb.761:
	s_cmp_lt_i32 s44, 3
	s_cbranch_scc1 .LBB71_767
; %bb.762:
	s_cmp_gt_i32 s44, 3
	s_cbranch_scc0 .LBB71_764
; %bb.763:
	s_mov_b32 s45, 0
	s_wait_xcnt 0x0
	v_cndmask_b32_e64 v4, 0, 1, s43
	v_mov_b32_e32 v5, s45
	global_store_b64 v[2:3], v[4:5], off
.LBB71_764:
	s_and_not1_b32 vcc_lo, exec_lo, s45
	s_cbranch_vccnz .LBB71_766
; %bb.765:
	s_wait_xcnt 0x0
	v_cndmask_b32_e64 v1, 0, 1, s43
	global_store_b32 v[2:3], v1, off
.LBB71_766:
	s_mov_b32 s45, 0
.LBB71_767:
	s_delay_alu instid0(SALU_CYCLE_1)
	s_and_not1_b32 vcc_lo, exec_lo, s45
	s_cbranch_vccnz .LBB71_769
; %bb.768:
	s_wait_xcnt 0x0
	v_cndmask_b32_e64 v1, 0, 1, s43
	global_store_b16 v[2:3], v1, off
.LBB71_769:
	s_mov_b32 s45, 0
.LBB71_770:
	s_delay_alu instid0(SALU_CYCLE_1)
	s_and_not1_b32 vcc_lo, exec_lo, s45
	s_cbranch_vccnz .LBB71_775
; %bb.771:
	s_wait_xcnt 0x0
	v_cndmask_b32_e64 v1, 0, 1, s43
	s_cmp_gt_i32 s44, 0
	s_mov_b32 s43, -1
	s_cbranch_scc0 .LBB71_773
; %bb.772:
	s_mov_b32 s43, 0
	global_store_b8 v[2:3], v1, off
.LBB71_773:
	s_and_not1_b32 vcc_lo, exec_lo, s43
	s_cbranch_vccnz .LBB71_775
; %bb.774:
	global_store_b8 v[2:3], v1, off
.LBB71_775:
	s_mov_b32 s47, -1
.LBB71_776:
	s_delay_alu instid0(SALU_CYCLE_1)
	s_and_not1_b32 vcc_lo, exec_lo, s47
	s_cbranch_vccnz .LBB71_778
; %bb.777:
	v_add_nc_u32_e32 v0, 0x80, v0
	s_mov_b32 s47, -1
	s_branch .LBB71_780
.LBB71_778:
	s_mov_b32 s47, 0
.LBB71_779:
                                        ; implicit-def: $vgpr0
.LBB71_780:
	s_and_not1_b32 s43, s39, exec_lo
	s_and_b32 s0, s0, exec_lo
	s_and_b32 s27, s27, exec_lo
	s_or_b32 s44, s43, s0
	s_and_not1_b32 s0, s40, exec_lo
	s_and_not1_b32 s43, s41, exec_lo
	s_and_b32 s26, s26, exec_lo
	s_or_b32 s45, s0, s27
	s_or_b32 s43, s43, s26
	s_or_not1_b32 s48, s47, exec_lo
.LBB71_781:
	s_wait_xcnt 0x0
	s_or_b32 exec_lo, exec_lo, s46
	s_mov_b32 s27, 0
	s_mov_b32 s47, 0
	;; [unrolled: 1-line block ×3, first 2 shown]
                                        ; implicit-def: $sgpr0
                                        ; implicit-def: $vgpr8_vgpr9
                                        ; implicit-def: $vgpr6
                                        ; implicit-def: $vgpr2
                                        ; implicit-def: $vgpr4
	s_and_saveexec_b32 s46, s48
	s_cbranch_execz .LBB71_1268
; %bb.782:
	s_mov_b32 s52, -1
	s_mov_b32 s48, s43
	s_mov_b32 s50, s45
	;; [unrolled: 1-line block ×3, first 2 shown]
	s_mov_b32 s47, exec_lo
	v_cmpx_gt_i32_e64 s37, v0
	s_cbranch_execz .LBB71_1176
; %bb.783:
	s_and_not1_b32 vcc_lo, exec_lo, s31
	s_cbranch_vccnz .LBB71_789
; %bb.784:
	s_and_not1_b32 vcc_lo, exec_lo, s38
	s_cbranch_vccnz .LBB71_790
; %bb.785:
	v_dual_mov_b32 v2, 0 :: v_dual_mov_b32 v1, v0
	s_wait_loadcnt 0x0
	v_dual_mov_b32 v4, 0 :: v_dual_mov_b32 v6, 0
	s_add_co_i32 s0, s36, 1
	s_mov_b64 s[26:27], 0xffffffffffffffe8
	s_and_b32 s0, s0, 30
	s_add_nc_u64 s[26:27], s[2:3], s[26:27]
.LBB71_786:                             ; =>This Inner Loop Header: Depth=1
	s_clause 0x1
	s_load_b128 s[48:51], s[26:27], 0x1c
	s_load_b64 s[56:57], s[26:27], 0x2c
	s_add_co_i32 s0, s0, -2
	s_delay_alu instid0(SALU_CYCLE_1) | instskip(SKIP_2) | instid1(VALU_DEP_1)
	s_cmp_eq_u32 s0, 0
	s_wait_kmcnt 0x0
	v_mul_hi_u32 v3, s49, v1
	v_add_nc_u32_e32 v3, v1, v3
	s_delay_alu instid0(VALU_DEP_1) | instskip(NEXT) | instid1(VALU_DEP_1)
	v_lshrrev_b32_e32 v3, s50, v3
	v_mul_hi_u32 v5, s56, v3
	v_mul_lo_u32 v7, v3, s48
	s_clause 0x1
	s_load_b128 s[52:55], s[26:27], 0xdc
	s_load_b64 s[48:49], s[26:27], 0xec
	s_wait_xcnt 0x0
	s_add_nc_u64 s[26:27], s[26:27], 24
	s_delay_alu instid0(VALU_DEP_1) | instskip(NEXT) | instid1(VALU_DEP_1)
	v_dual_add_nc_u32 v5, v3, v5 :: v_dual_sub_nc_u32 v7, v1, v7
	v_lshrrev_b32_e32 v1, s57, v5
	s_wait_kmcnt 0x0
	s_delay_alu instid0(VALU_DEP_2) | instskip(NEXT) | instid1(VALU_DEP_2)
	v_mad_u32 v2, v7, s52, v2
	v_mul_lo_u32 v5, v1, s51
	v_mad_u32 v6, v7, s54, v6
	v_mad_u32 v4, v7, s53, v4
	s_delay_alu instid0(VALU_DEP_3) | instskip(NEXT) | instid1(VALU_DEP_1)
	v_sub_nc_u32_e32 v3, v3, v5
	v_mad_u32 v2, v3, s55, v2
	s_delay_alu instid0(VALU_DEP_4) | instskip(NEXT) | instid1(VALU_DEP_4)
	v_mad_u32 v6, v3, s49, v6
	v_mad_u32 v4, v3, s48, v4
	s_cbranch_scc0 .LBB71_786
; %bb.787:
	s_bitcmp1_b32 s36, 0
	s_cselect_b32 s0, -1, 0
	s_delay_alu instid0(SALU_CYCLE_1)
	s_and_b32 vcc_lo, exec_lo, s0
	s_cbranch_vccnz .LBB71_791
; %bb.788:
	s_clause 0x1
	s_load_b96 s[48:50], s[26:27], 0x1c
	s_load_b96 s[52:54], s[26:27], 0xdc
	s_wait_kmcnt 0x0
	v_mul_hi_u32 v3, s49, v1
	s_delay_alu instid0(VALU_DEP_1) | instskip(NEXT) | instid1(VALU_DEP_1)
	v_add_nc_u32_e32 v3, v1, v3
	v_lshrrev_b32_e32 v3, s50, v3
	s_delay_alu instid0(VALU_DEP_1) | instskip(NEXT) | instid1(VALU_DEP_1)
	v_mul_lo_u32 v3, v3, s48
	v_sub_nc_u32_e32 v1, v1, v3
	s_delay_alu instid0(VALU_DEP_1)
	v_mad_u32 v2, v1, s52, v2
	v_mad_u32 v4, v1, s53, v4
	;; [unrolled: 1-line block ×3, first 2 shown]
	s_branch .LBB71_791
.LBB71_789:
	s_mov_b32 s0, -1
                                        ; implicit-def: $vgpr6
                                        ; implicit-def: $vgpr4
                                        ; implicit-def: $vgpr2
	s_branch .LBB71_792
.LBB71_790:
	s_wait_loadcnt 0x0
	v_dual_mov_b32 v6, 0 :: v_dual_mov_b32 v4, 0
	v_mov_b32_e32 v2, 0
.LBB71_791:
	s_mov_b32 s0, 0
.LBB71_792:
	s_delay_alu instid0(SALU_CYCLE_1)
	s_and_not1_b32 vcc_lo, exec_lo, s0
	s_cbranch_vccnz .LBB71_795
; %bb.793:
	v_mov_b32_e32 v1, 0
	s_and_not1_b32 vcc_lo, exec_lo, s35
	s_delay_alu instid0(VALU_DEP_1) | instskip(NEXT) | instid1(VALU_DEP_1)
	v_mul_u64_e32 v[2:3], s[20:21], v[0:1]
	v_add_nc_u32_e32 v2, v0, v3
	s_wait_loadcnt 0x0
	s_delay_alu instid0(VALU_DEP_1) | instskip(NEXT) | instid1(VALU_DEP_1)
	v_lshrrev_b32_e32 v8, s14, v2
	v_mul_lo_u32 v2, v8, s12
	s_delay_alu instid0(VALU_DEP_1) | instskip(NEXT) | instid1(VALU_DEP_1)
	v_sub_nc_u32_e32 v3, v0, v2
	v_mul_lo_u32 v2, v3, s16
	v_mul_lo_u32 v6, v3, s18
	v_mul_lo_u32 v4, v3, s17
	s_cbranch_vccnz .LBB71_795
; %bb.794:
	v_mov_b32_e32 v9, v1
	s_delay_alu instid0(VALU_DEP_1) | instskip(NEXT) | instid1(VALU_DEP_1)
	v_mul_u64_e32 v[10:11], s[24:25], v[8:9]
	v_add_nc_u32_e32 v1, v8, v11
	s_delay_alu instid0(VALU_DEP_1) | instskip(NEXT) | instid1(VALU_DEP_1)
	v_lshrrev_b32_e32 v1, s1, v1
	v_mul_lo_u32 v1, v1, s15
	s_delay_alu instid0(VALU_DEP_1) | instskip(NEXT) | instid1(VALU_DEP_1)
	v_sub_nc_u32_e32 v1, v8, v1
	v_mad_u32 v2, v1, s19, v2
	v_mad_u32 v4, v1, s22, v4
	;; [unrolled: 1-line block ×3, first 2 shown]
.LBB71_795:
	s_wait_loadcnt 0x0
	v_mov_b32_e32 v5, 0
	s_and_b32 s0, s34, 0xff
	s_delay_alu instid0(SALU_CYCLE_1) | instskip(NEXT) | instid1(VALU_DEP_1)
	s_cmp_lt_i32 s0, 11
	v_add_nc_u64_e32 v[8:9], s[6:7], v[4:5]
	s_cbranch_scc1 .LBB71_802
; %bb.796:
	s_and_b32 s27, 0xffff, s0
	s_delay_alu instid0(SALU_CYCLE_1)
	s_cmp_gt_i32 s27, 25
	s_cbranch_scc0 .LBB71_803
; %bb.797:
	s_cmp_gt_i32 s27, 28
	s_cbranch_scc0 .LBB71_804
; %bb.798:
	;; [unrolled: 3-line block ×4, first 2 shown]
	s_cmp_eq_u32 s27, 46
	s_mov_b32 s49, 0
	s_cbranch_scc0 .LBB71_809
; %bb.801:
	global_load_b32 v1, v[8:9], off
	s_mov_b32 s48, -1
	s_mov_b32 s26, 0
	s_wait_loadcnt 0x0
	v_lshlrev_b32_e32 v1, 16, v1
	s_delay_alu instid0(VALU_DEP_1)
	v_cvt_i32_f32_e32 v4, v1
	s_branch .LBB71_811
.LBB71_802:
	s_mov_b32 s27, -1
	s_mov_b32 s48, 0
	s_mov_b32 s26, s43
                                        ; implicit-def: $vgpr4
	s_branch .LBB71_872
.LBB71_803:
	s_mov_b32 s49, -1
	s_mov_b32 s48, 0
	s_mov_b32 s26, s43
                                        ; implicit-def: $vgpr4
	s_branch .LBB71_838
.LBB71_804:
	s_mov_b32 s49, -1
	s_mov_b32 s48, 0
	s_mov_b32 s26, s43
                                        ; implicit-def: $vgpr4
	s_branch .LBB71_821
.LBB71_805:
	s_mov_b32 s49, -1
	s_mov_b32 s48, 0
	s_mov_b32 s26, s43
                                        ; implicit-def: $vgpr4
	s_branch .LBB71_816
.LBB71_806:
	s_mov_b32 s49, -1
	s_mov_b32 s48, 0
	s_mov_b32 s26, s43
	s_branch .LBB71_810
.LBB71_807:
	s_and_not1_saveexec_b32 s49, s49
	s_cbranch_execz .LBB71_689
.LBB71_808:
	v_add_f32_e32 v1, 0x46000000, v4
	s_and_not1_b32 s48, s48, exec_lo
	s_delay_alu instid0(VALU_DEP_1) | instskip(NEXT) | instid1(VALU_DEP_1)
	v_and_b32_e32 v1, 0xff, v1
	v_cmp_ne_u32_e32 vcc_lo, 0, v1
	s_and_b32 s50, vcc_lo, exec_lo
	s_delay_alu instid0(SALU_CYCLE_1)
	s_or_b32 s48, s48, s50
	s_or_b32 exec_lo, exec_lo, s49
	v_mov_b32_e32 v5, 0
	s_and_saveexec_b32 s49, s48
	s_cbranch_execnz .LBB71_690
	s_branch .LBB71_691
.LBB71_809:
	s_mov_b32 s26, -1
	s_mov_b32 s48, 0
.LBB71_810:
                                        ; implicit-def: $vgpr4
.LBB71_811:
	s_and_b32 vcc_lo, exec_lo, s49
	s_cbranch_vccz .LBB71_815
; %bb.812:
	s_cmp_eq_u32 s27, 44
	s_cbranch_scc0 .LBB71_814
; %bb.813:
	global_load_u8 v1, v[8:9], off
	s_mov_b32 s26, 0
	s_mov_b32 s48, -1
	s_wait_loadcnt 0x0
	v_lshlrev_b32_e32 v3, 23, v1
	v_cmp_ne_u32_e32 vcc_lo, 0, v1
	s_delay_alu instid0(VALU_DEP_2) | instskip(NEXT) | instid1(VALU_DEP_1)
	v_cvt_i32_f32_e32 v3, v3
	v_cndmask_b32_e32 v4, 0, v3, vcc_lo
	s_branch .LBB71_815
.LBB71_814:
	s_mov_b32 s26, -1
                                        ; implicit-def: $vgpr4
.LBB71_815:
	s_mov_b32 s49, 0
.LBB71_816:
	s_delay_alu instid0(SALU_CYCLE_1)
	s_and_b32 vcc_lo, exec_lo, s49
	s_cbranch_vccz .LBB71_820
; %bb.817:
	s_cmp_eq_u32 s27, 29
	s_cbranch_scc0 .LBB71_819
; %bb.818:
	global_load_b64 v[4:5], v[8:9], off
	s_mov_b32 s48, -1
	s_mov_b32 s26, 0
	s_branch .LBB71_820
.LBB71_819:
	s_mov_b32 s26, -1
                                        ; implicit-def: $vgpr4
.LBB71_820:
	s_mov_b32 s49, 0
.LBB71_821:
	s_delay_alu instid0(SALU_CYCLE_1)
	s_and_b32 vcc_lo, exec_lo, s49
	s_cbranch_vccz .LBB71_837
; %bb.822:
	s_cmp_lt_i32 s27, 27
	s_cbranch_scc1 .LBB71_825
; %bb.823:
	s_cmp_gt_i32 s27, 27
	s_cbranch_scc0 .LBB71_826
; %bb.824:
	s_wait_loadcnt 0x0
	global_load_b32 v4, v[8:9], off
	s_mov_b32 s48, 0
	s_branch .LBB71_827
.LBB71_825:
	s_mov_b32 s48, -1
                                        ; implicit-def: $vgpr4
	s_branch .LBB71_830
.LBB71_826:
	s_mov_b32 s48, -1
                                        ; implicit-def: $vgpr4
.LBB71_827:
	s_delay_alu instid0(SALU_CYCLE_1)
	s_and_not1_b32 vcc_lo, exec_lo, s48
	s_cbranch_vccnz .LBB71_829
; %bb.828:
	s_wait_loadcnt 0x0
	global_load_u16 v4, v[8:9], off
.LBB71_829:
	s_mov_b32 s48, 0
.LBB71_830:
	s_delay_alu instid0(SALU_CYCLE_1)
	s_and_not1_b32 vcc_lo, exec_lo, s48
	s_cbranch_vccnz .LBB71_836
; %bb.831:
	global_load_u8 v1, v[8:9], off
	s_mov_b32 s49, 0
	s_mov_b32 s48, exec_lo
	s_wait_loadcnt 0x0
	v_cmpx_lt_i16_e32 0x7f, v1
	s_xor_b32 s48, exec_lo, s48
	s_cbranch_execz .LBB71_848
; %bb.832:
	v_cmp_ne_u16_e32 vcc_lo, 0x80, v1
	s_and_b32 s49, vcc_lo, exec_lo
	s_and_not1_saveexec_b32 s48, s48
	s_cbranch_execnz .LBB71_849
.LBB71_833:
	s_or_b32 exec_lo, exec_lo, s48
	v_mov_b32_e32 v4, 0
	s_and_saveexec_b32 s48, s49
	s_cbranch_execz .LBB71_835
.LBB71_834:
	v_and_b32_e32 v3, 0xffff, v1
	s_delay_alu instid0(VALU_DEP_1) | instskip(SKIP_1) | instid1(VALU_DEP_2)
	v_and_b32_e32 v4, 7, v3
	v_bfe_u32 v10, v3, 3, 4
	v_clz_i32_u32_e32 v5, v4
	s_delay_alu instid0(VALU_DEP_2) | instskip(NEXT) | instid1(VALU_DEP_2)
	v_cmp_eq_u32_e32 vcc_lo, 0, v10
	v_min_u32_e32 v5, 32, v5
	s_delay_alu instid0(VALU_DEP_1) | instskip(NEXT) | instid1(VALU_DEP_1)
	v_subrev_nc_u32_e32 v7, 28, v5
	v_dual_lshlrev_b32 v3, v7, v3 :: v_dual_sub_nc_u32 v5, 29, v5
	s_delay_alu instid0(VALU_DEP_1) | instskip(NEXT) | instid1(VALU_DEP_1)
	v_dual_lshlrev_b32 v1, 24, v1 :: v_dual_bitop2_b32 v3, 7, v3 bitop3:0x40
	v_dual_cndmask_b32 v3, v4, v3, vcc_lo :: v_dual_cndmask_b32 v5, v10, v5, vcc_lo
	s_delay_alu instid0(VALU_DEP_2) | instskip(NEXT) | instid1(VALU_DEP_2)
	v_and_b32_e32 v1, 0x80000000, v1
	v_lshlrev_b32_e32 v3, 20, v3
	s_delay_alu instid0(VALU_DEP_3) | instskip(NEXT) | instid1(VALU_DEP_1)
	v_lshl_add_u32 v4, v5, 23, 0x3b800000
	v_or3_b32 v1, v1, v4, v3
	s_delay_alu instid0(VALU_DEP_1)
	v_cvt_i32_f32_e32 v4, v1
.LBB71_835:
	s_or_b32 exec_lo, exec_lo, s48
.LBB71_836:
	s_mov_b32 s48, -1
.LBB71_837:
	s_mov_b32 s49, 0
.LBB71_838:
	s_delay_alu instid0(SALU_CYCLE_1)
	s_and_b32 vcc_lo, exec_lo, s49
	s_cbranch_vccz .LBB71_871
; %bb.839:
	s_cmp_gt_i32 s27, 22
	s_cbranch_scc0 .LBB71_847
; %bb.840:
	s_cmp_lt_i32 s27, 24
	s_cbranch_scc1 .LBB71_850
; %bb.841:
	s_cmp_gt_i32 s27, 24
	s_cbranch_scc0 .LBB71_851
; %bb.842:
	global_load_u8 v1, v[8:9], off
	s_mov_b32 s49, 0
	s_mov_b32 s48, exec_lo
	s_wait_loadcnt 0x0
	v_cmpx_lt_i16_e32 0x7f, v1
	s_xor_b32 s48, exec_lo, s48
	s_cbranch_execz .LBB71_863
; %bb.843:
	v_cmp_ne_u16_e32 vcc_lo, 0x80, v1
	s_and_b32 s49, vcc_lo, exec_lo
	s_and_not1_saveexec_b32 s48, s48
	s_cbranch_execnz .LBB71_864
.LBB71_844:
	s_or_b32 exec_lo, exec_lo, s48
	v_mov_b32_e32 v4, 0
	s_and_saveexec_b32 s48, s49
	s_cbranch_execz .LBB71_846
.LBB71_845:
	v_and_b32_e32 v3, 0xffff, v1
	s_delay_alu instid0(VALU_DEP_1) | instskip(SKIP_1) | instid1(VALU_DEP_2)
	v_and_b32_e32 v4, 3, v3
	v_bfe_u32 v10, v3, 2, 5
	v_clz_i32_u32_e32 v5, v4
	s_delay_alu instid0(VALU_DEP_2) | instskip(NEXT) | instid1(VALU_DEP_2)
	v_cmp_eq_u32_e32 vcc_lo, 0, v10
	v_min_u32_e32 v5, 32, v5
	s_delay_alu instid0(VALU_DEP_1) | instskip(NEXT) | instid1(VALU_DEP_1)
	v_subrev_nc_u32_e32 v7, 29, v5
	v_dual_lshlrev_b32 v3, v7, v3 :: v_dual_sub_nc_u32 v5, 30, v5
	s_delay_alu instid0(VALU_DEP_1) | instskip(NEXT) | instid1(VALU_DEP_1)
	v_dual_lshlrev_b32 v1, 24, v1 :: v_dual_bitop2_b32 v3, 3, v3 bitop3:0x40
	v_dual_cndmask_b32 v3, v4, v3, vcc_lo :: v_dual_cndmask_b32 v5, v10, v5, vcc_lo
	s_delay_alu instid0(VALU_DEP_2) | instskip(NEXT) | instid1(VALU_DEP_2)
	v_and_b32_e32 v1, 0x80000000, v1
	v_lshlrev_b32_e32 v3, 21, v3
	s_delay_alu instid0(VALU_DEP_3) | instskip(NEXT) | instid1(VALU_DEP_1)
	v_lshl_add_u32 v4, v5, 23, 0x37800000
	v_or3_b32 v1, v1, v4, v3
	s_delay_alu instid0(VALU_DEP_1)
	v_cvt_i32_f32_e32 v4, v1
.LBB71_846:
	s_or_b32 exec_lo, exec_lo, s48
	s_mov_b32 s48, 0
	s_branch .LBB71_852
.LBB71_847:
	s_mov_b32 s49, -1
                                        ; implicit-def: $vgpr4
	s_branch .LBB71_858
.LBB71_848:
	s_and_not1_saveexec_b32 s48, s48
	s_cbranch_execz .LBB71_833
.LBB71_849:
	v_cmp_ne_u16_e32 vcc_lo, 0, v1
	s_and_not1_b32 s49, s49, exec_lo
	s_and_b32 s50, vcc_lo, exec_lo
	s_delay_alu instid0(SALU_CYCLE_1)
	s_or_b32 s49, s49, s50
	s_or_b32 exec_lo, exec_lo, s48
	v_mov_b32_e32 v4, 0
	s_and_saveexec_b32 s48, s49
	s_cbranch_execnz .LBB71_834
	s_branch .LBB71_835
.LBB71_850:
	s_mov_b32 s48, -1
                                        ; implicit-def: $vgpr4
	s_branch .LBB71_855
.LBB71_851:
	s_mov_b32 s48, -1
                                        ; implicit-def: $vgpr4
.LBB71_852:
	s_delay_alu instid0(SALU_CYCLE_1)
	s_and_b32 vcc_lo, exec_lo, s48
	s_cbranch_vccz .LBB71_854
; %bb.853:
	global_load_u8 v1, v[8:9], off
	s_wait_loadcnt 0x0
	v_lshlrev_b32_e32 v1, 24, v1
	s_delay_alu instid0(VALU_DEP_1) | instskip(NEXT) | instid1(VALU_DEP_1)
	v_and_b32_e32 v3, 0x7f000000, v1
	v_clz_i32_u32_e32 v4, v3
	v_add_nc_u32_e32 v7, 0x1000000, v3
	v_cmp_ne_u32_e32 vcc_lo, 0, v3
	s_delay_alu instid0(VALU_DEP_3) | instskip(NEXT) | instid1(VALU_DEP_1)
	v_min_u32_e32 v4, 32, v4
	v_sub_nc_u32_e64 v4, v4, 4 clamp
	s_delay_alu instid0(VALU_DEP_1) | instskip(NEXT) | instid1(VALU_DEP_1)
	v_dual_lshlrev_b32 v5, v4, v3 :: v_dual_lshlrev_b32 v4, 23, v4
	v_lshrrev_b32_e32 v5, 4, v5
	s_delay_alu instid0(VALU_DEP_1) | instskip(NEXT) | instid1(VALU_DEP_1)
	v_dual_sub_nc_u32 v4, v5, v4 :: v_dual_ashrrev_i32 v5, 8, v7
	v_add_nc_u32_e32 v4, 0x3c000000, v4
	s_delay_alu instid0(VALU_DEP_1) | instskip(NEXT) | instid1(VALU_DEP_1)
	v_and_or_b32 v4, 0x7f800000, v5, v4
	v_cndmask_b32_e32 v3, 0, v4, vcc_lo
	s_delay_alu instid0(VALU_DEP_1) | instskip(NEXT) | instid1(VALU_DEP_1)
	v_and_or_b32 v1, 0x80000000, v1, v3
	v_cvt_i32_f32_e32 v4, v1
.LBB71_854:
	s_mov_b32 s48, 0
.LBB71_855:
	s_delay_alu instid0(SALU_CYCLE_1)
	s_and_not1_b32 vcc_lo, exec_lo, s48
	s_cbranch_vccnz .LBB71_857
; %bb.856:
	global_load_u8 v1, v[8:9], off
	s_wait_loadcnt 0x0
	v_lshlrev_b32_e32 v3, 25, v1
	v_lshlrev_b16 v1, 8, v1
	s_delay_alu instid0(VALU_DEP_1) | instskip(NEXT) | instid1(VALU_DEP_3)
	v_and_or_b32 v5, 0x7f00, v1, 0.5
	v_lshrrev_b32_e32 v4, 4, v3
	v_bfe_i32 v1, v1, 0, 16
	s_delay_alu instid0(VALU_DEP_3) | instskip(NEXT) | instid1(VALU_DEP_3)
	v_add_f32_e32 v5, -0.5, v5
	v_or_b32_e32 v4, 0x70000000, v4
	s_delay_alu instid0(VALU_DEP_1) | instskip(SKIP_1) | instid1(VALU_DEP_2)
	v_mul_f32_e32 v4, 0x7800000, v4
	v_cmp_gt_u32_e32 vcc_lo, 0x8000000, v3
	v_cndmask_b32_e32 v3, v4, v5, vcc_lo
	s_delay_alu instid0(VALU_DEP_1) | instskip(NEXT) | instid1(VALU_DEP_1)
	v_and_or_b32 v1, 0x80000000, v1, v3
	v_cvt_i32_f32_e32 v4, v1
.LBB71_857:
	s_mov_b32 s49, 0
	s_mov_b32 s48, -1
.LBB71_858:
	s_and_not1_b32 vcc_lo, exec_lo, s49
	s_cbranch_vccnz .LBB71_871
; %bb.859:
	s_cmp_gt_i32 s27, 14
	s_cbranch_scc0 .LBB71_862
; %bb.860:
	s_cmp_eq_u32 s27, 15
	s_cbranch_scc0 .LBB71_865
; %bb.861:
	global_load_u16 v1, v[8:9], off
	s_mov_b32 s48, -1
	s_mov_b32 s26, 0
	s_wait_loadcnt 0x0
	v_lshlrev_b32_e32 v1, 16, v1
	s_delay_alu instid0(VALU_DEP_1)
	v_cvt_i32_f32_e32 v4, v1
	s_branch .LBB71_866
.LBB71_862:
	s_mov_b32 s49, -1
                                        ; implicit-def: $vgpr4
	s_branch .LBB71_867
.LBB71_863:
	s_and_not1_saveexec_b32 s48, s48
	s_cbranch_execz .LBB71_844
.LBB71_864:
	v_cmp_ne_u16_e32 vcc_lo, 0, v1
	s_and_not1_b32 s49, s49, exec_lo
	s_and_b32 s50, vcc_lo, exec_lo
	s_delay_alu instid0(SALU_CYCLE_1)
	s_or_b32 s49, s49, s50
	s_or_b32 exec_lo, exec_lo, s48
	v_mov_b32_e32 v4, 0
	s_and_saveexec_b32 s48, s49
	s_cbranch_execnz .LBB71_845
	s_branch .LBB71_846
.LBB71_865:
	s_mov_b32 s26, -1
                                        ; implicit-def: $vgpr4
.LBB71_866:
	s_mov_b32 s49, 0
.LBB71_867:
	s_delay_alu instid0(SALU_CYCLE_1)
	s_and_b32 vcc_lo, exec_lo, s49
	s_cbranch_vccz .LBB71_871
; %bb.868:
	s_cmp_eq_u32 s27, 11
	s_cbranch_scc0 .LBB71_870
; %bb.869:
	global_load_u8 v1, v[8:9], off
	s_mov_b32 s26, 0
	s_mov_b32 s48, -1
	s_wait_loadcnt 0x0
	v_cmp_ne_u16_e32 vcc_lo, 0, v1
	v_cndmask_b32_e64 v4, 0, 1, vcc_lo
	s_branch .LBB71_871
.LBB71_870:
	s_mov_b32 s26, -1
                                        ; implicit-def: $vgpr4
.LBB71_871:
	s_mov_b32 s27, 0
.LBB71_872:
	s_delay_alu instid0(SALU_CYCLE_1)
	s_and_b32 vcc_lo, exec_lo, s27
	s_cbranch_vccz .LBB71_921
; %bb.873:
	s_and_b32 s0, 0xffff, s0
	s_delay_alu instid0(SALU_CYCLE_1)
	s_cmp_lt_i32 s0, 5
	s_cbranch_scc1 .LBB71_878
; %bb.874:
	s_cmp_lt_i32 s0, 8
	s_cbranch_scc1 .LBB71_879
; %bb.875:
	;; [unrolled: 3-line block ×3, first 2 shown]
	s_cmp_gt_i32 s0, 9
	s_cbranch_scc0 .LBB71_881
; %bb.877:
	s_wait_loadcnt 0x0
	global_load_b64 v[4:5], v[8:9], off
	s_mov_b32 s27, 0
	s_wait_loadcnt 0x0
	v_cvt_i32_f64_e32 v4, v[4:5]
	s_branch .LBB71_882
.LBB71_878:
	s_mov_b32 s27, -1
                                        ; implicit-def: $vgpr4
	s_branch .LBB71_900
.LBB71_879:
	s_mov_b32 s27, -1
                                        ; implicit-def: $vgpr4
	s_branch .LBB71_888
.LBB71_880:
	s_mov_b32 s27, -1
                                        ; implicit-def: $vgpr4
	s_branch .LBB71_885
.LBB71_881:
	s_mov_b32 s27, -1
                                        ; implicit-def: $vgpr4
.LBB71_882:
	s_delay_alu instid0(SALU_CYCLE_1)
	s_and_not1_b32 vcc_lo, exec_lo, s27
	s_cbranch_vccnz .LBB71_884
; %bb.883:
	global_load_b32 v1, v[8:9], off
	s_wait_loadcnt 0x0
	v_cvt_i32_f32_e32 v4, v1
.LBB71_884:
	s_mov_b32 s27, 0
.LBB71_885:
	s_delay_alu instid0(SALU_CYCLE_1)
	s_and_not1_b32 vcc_lo, exec_lo, s27
	s_cbranch_vccnz .LBB71_887
; %bb.886:
	global_load_b32 v1, v[8:9], off
	s_wait_loadcnt 0x0
	v_cvt_i16_f16_e32 v4, v1
.LBB71_887:
	s_mov_b32 s27, 0
.LBB71_888:
	s_delay_alu instid0(SALU_CYCLE_1)
	s_and_not1_b32 vcc_lo, exec_lo, s27
	s_cbranch_vccnz .LBB71_899
; %bb.889:
	s_cmp_lt_i32 s0, 6
	s_cbranch_scc1 .LBB71_892
; %bb.890:
	s_cmp_gt_i32 s0, 6
	s_cbranch_scc0 .LBB71_893
; %bb.891:
	s_wait_loadcnt 0x0
	global_load_b64 v[4:5], v[8:9], off
	s_mov_b32 s27, 0
	s_wait_loadcnt 0x0
	v_cvt_i32_f64_e32 v4, v[4:5]
	s_branch .LBB71_894
.LBB71_892:
	s_mov_b32 s27, -1
                                        ; implicit-def: $vgpr4
	s_branch .LBB71_897
.LBB71_893:
	s_mov_b32 s27, -1
                                        ; implicit-def: $vgpr4
.LBB71_894:
	s_delay_alu instid0(SALU_CYCLE_1)
	s_and_not1_b32 vcc_lo, exec_lo, s27
	s_cbranch_vccnz .LBB71_896
; %bb.895:
	global_load_b32 v1, v[8:9], off
	s_wait_loadcnt 0x0
	v_cvt_i32_f32_e32 v4, v1
.LBB71_896:
	s_mov_b32 s27, 0
.LBB71_897:
	s_delay_alu instid0(SALU_CYCLE_1)
	s_and_not1_b32 vcc_lo, exec_lo, s27
	s_cbranch_vccnz .LBB71_899
; %bb.898:
	global_load_u16 v1, v[8:9], off
	s_wait_loadcnt 0x0
	v_cvt_i16_f16_e32 v4, v1
.LBB71_899:
	s_mov_b32 s27, 0
.LBB71_900:
	s_delay_alu instid0(SALU_CYCLE_1)
	s_and_not1_b32 vcc_lo, exec_lo, s27
	s_cbranch_vccnz .LBB71_920
; %bb.901:
	s_cmp_lt_i32 s0, 2
	s_cbranch_scc1 .LBB71_905
; %bb.902:
	s_cmp_lt_i32 s0, 3
	s_cbranch_scc1 .LBB71_906
; %bb.903:
	s_cmp_gt_i32 s0, 3
	s_cbranch_scc0 .LBB71_907
; %bb.904:
	s_wait_loadcnt 0x0
	global_load_b64 v[4:5], v[8:9], off
	s_mov_b32 s27, 0
	s_branch .LBB71_908
.LBB71_905:
	s_mov_b32 s27, -1
                                        ; implicit-def: $vgpr4
	s_branch .LBB71_914
.LBB71_906:
	s_mov_b32 s27, -1
                                        ; implicit-def: $vgpr4
	s_branch .LBB71_911
.LBB71_907:
	s_mov_b32 s27, -1
                                        ; implicit-def: $vgpr4
.LBB71_908:
	s_delay_alu instid0(SALU_CYCLE_1)
	s_and_not1_b32 vcc_lo, exec_lo, s27
	s_cbranch_vccnz .LBB71_910
; %bb.909:
	s_wait_loadcnt 0x0
	global_load_b32 v4, v[8:9], off
.LBB71_910:
	s_mov_b32 s27, 0
.LBB71_911:
	s_delay_alu instid0(SALU_CYCLE_1)
	s_and_not1_b32 vcc_lo, exec_lo, s27
	s_cbranch_vccnz .LBB71_913
; %bb.912:
	s_wait_loadcnt 0x0
	global_load_u16 v4, v[8:9], off
.LBB71_913:
	s_mov_b32 s27, 0
.LBB71_914:
	s_delay_alu instid0(SALU_CYCLE_1)
	s_and_not1_b32 vcc_lo, exec_lo, s27
	s_cbranch_vccnz .LBB71_920
; %bb.915:
	s_cmp_gt_i32 s0, 0
	s_mov_b32 s0, 0
	s_cbranch_scc0 .LBB71_917
; %bb.916:
	s_wait_loadcnt 0x0
	global_load_i8 v4, v[8:9], off
	s_branch .LBB71_918
.LBB71_917:
	s_mov_b32 s0, -1
                                        ; implicit-def: $vgpr4
.LBB71_918:
	s_delay_alu instid0(SALU_CYCLE_1)
	s_and_not1_b32 vcc_lo, exec_lo, s0
	s_cbranch_vccnz .LBB71_920
; %bb.919:
	s_wait_loadcnt 0x0
	global_load_u8 v4, v[8:9], off
.LBB71_920:
	s_mov_b32 s48, -1
.LBB71_921:
	s_delay_alu instid0(SALU_CYCLE_1)
	s_and_not1_b32 vcc_lo, exec_lo, s48
	s_cbranch_vccnz .LBB71_929
; %bb.922:
	v_mov_b32_e32 v7, 0
	s_and_b32 s0, s13, 0xff
	s_delay_alu instid0(SALU_CYCLE_1) | instskip(NEXT) | instid1(VALU_DEP_1)
	s_cmp_lt_i32 s0, 11
	v_add_nc_u64_e32 v[6:7], s[8:9], v[6:7]
	s_cbranch_scc1 .LBB71_930
; %bb.923:
	s_and_b32 s48, 0xffff, s0
	s_delay_alu instid0(SALU_CYCLE_1)
	s_cmp_gt_i32 s48, 25
	s_cbranch_scc0 .LBB71_931
; %bb.924:
	s_cmp_gt_i32 s48, 28
	s_cbranch_scc0 .LBB71_932
; %bb.925:
	;; [unrolled: 3-line block ×4, first 2 shown]
	s_cmp_eq_u32 s48, 46
	s_mov_b32 s50, 0
	s_cbranch_scc0 .LBB71_937
; %bb.928:
	global_load_b32 v1, v[6:7], off
	s_mov_b32 s49, -1
	s_mov_b32 s27, 0
	s_wait_loadcnt 0x0
	v_lshlrev_b32_e32 v1, 16, v1
	s_wait_xcnt 0x1
	s_delay_alu instid0(VALU_DEP_1)
	v_cvt_i32_f32_e32 v8, v1
	s_branch .LBB71_939
.LBB71_929:
	s_mov_b32 s51, 0
	s_mov_b32 s0, s44
	;; [unrolled: 1-line block ×3, first 2 shown]
	s_branch .LBB71_1174
.LBB71_930:
	s_mov_b32 s48, -1
	s_mov_b32 s49, 0
	s_mov_b32 s27, s45
                                        ; implicit-def: $vgpr8
	s_branch .LBB71_1000
.LBB71_931:
	s_mov_b32 s50, -1
	s_mov_b32 s49, 0
	s_mov_b32 s27, s45
                                        ; implicit-def: $vgpr8
	s_branch .LBB71_966
.LBB71_932:
	s_mov_b32 s50, -1
	s_mov_b32 s49, 0
	s_mov_b32 s27, s45
                                        ; implicit-def: $vgpr8
	s_branch .LBB71_949
.LBB71_933:
	s_mov_b32 s50, -1
	s_mov_b32 s49, 0
	s_mov_b32 s27, s45
                                        ; implicit-def: $vgpr8
	s_branch .LBB71_944
.LBB71_934:
	s_mov_b32 s50, -1
	s_mov_b32 s49, 0
	s_mov_b32 s27, s45
	s_branch .LBB71_938
.LBB71_935:
	s_and_not1_saveexec_b32 s49, s49
	s_cbranch_execz .LBB71_702
.LBB71_936:
	v_add_f32_e32 v1, 0x42800000, v4
	s_and_not1_b32 s48, s48, exec_lo
	s_delay_alu instid0(VALU_DEP_1) | instskip(NEXT) | instid1(VALU_DEP_1)
	v_and_b32_e32 v1, 0xff, v1
	v_cmp_ne_u32_e32 vcc_lo, 0, v1
	s_and_b32 s50, vcc_lo, exec_lo
	s_delay_alu instid0(SALU_CYCLE_1)
	s_or_b32 s48, s48, s50
	s_or_b32 exec_lo, exec_lo, s49
	v_mov_b32_e32 v5, 0
	s_and_saveexec_b32 s49, s48
	s_cbranch_execnz .LBB71_703
	s_branch .LBB71_704
.LBB71_937:
	s_mov_b32 s27, -1
	s_mov_b32 s49, 0
.LBB71_938:
                                        ; implicit-def: $vgpr8
.LBB71_939:
	s_and_b32 vcc_lo, exec_lo, s50
	s_cbranch_vccz .LBB71_943
; %bb.940:
	s_cmp_eq_u32 s48, 44
	s_cbranch_scc0 .LBB71_942
; %bb.941:
	global_load_u8 v1, v[6:7], off
	s_mov_b32 s27, 0
	s_mov_b32 s49, -1
	s_wait_loadcnt 0x0
	v_lshlrev_b32_e32 v3, 23, v1
	v_cmp_ne_u32_e32 vcc_lo, 0, v1
	s_delay_alu instid0(VALU_DEP_2) | instskip(SKIP_1) | instid1(VALU_DEP_1)
	v_cvt_i32_f32_e32 v3, v3
	s_wait_xcnt 0x1
	v_cndmask_b32_e32 v8, 0, v3, vcc_lo
	s_branch .LBB71_943
.LBB71_942:
	s_mov_b32 s27, -1
                                        ; implicit-def: $vgpr8
.LBB71_943:
	s_mov_b32 s50, 0
.LBB71_944:
	s_delay_alu instid0(SALU_CYCLE_1)
	s_and_b32 vcc_lo, exec_lo, s50
	s_cbranch_vccz .LBB71_948
; %bb.945:
	s_cmp_eq_u32 s48, 29
	s_cbranch_scc0 .LBB71_947
; %bb.946:
	global_load_b64 v[8:9], v[6:7], off
	s_mov_b32 s49, -1
	s_mov_b32 s27, 0
	s_branch .LBB71_948
.LBB71_947:
	s_mov_b32 s27, -1
                                        ; implicit-def: $vgpr8
.LBB71_948:
	s_mov_b32 s50, 0
.LBB71_949:
	s_delay_alu instid0(SALU_CYCLE_1)
	s_and_b32 vcc_lo, exec_lo, s50
	s_cbranch_vccz .LBB71_965
; %bb.950:
	s_cmp_lt_i32 s48, 27
	s_cbranch_scc1 .LBB71_953
; %bb.951:
	s_cmp_gt_i32 s48, 27
	s_cbranch_scc0 .LBB71_954
; %bb.952:
	s_wait_loadcnt 0x0
	global_load_b32 v8, v[6:7], off
	s_mov_b32 s49, 0
	s_branch .LBB71_955
.LBB71_953:
	s_mov_b32 s49, -1
                                        ; implicit-def: $vgpr8
	s_branch .LBB71_958
.LBB71_954:
	s_mov_b32 s49, -1
                                        ; implicit-def: $vgpr8
.LBB71_955:
	s_delay_alu instid0(SALU_CYCLE_1)
	s_and_not1_b32 vcc_lo, exec_lo, s49
	s_cbranch_vccnz .LBB71_957
; %bb.956:
	s_wait_loadcnt 0x0
	global_load_u16 v8, v[6:7], off
.LBB71_957:
	s_mov_b32 s49, 0
.LBB71_958:
	s_delay_alu instid0(SALU_CYCLE_1)
	s_and_not1_b32 vcc_lo, exec_lo, s49
	s_cbranch_vccnz .LBB71_964
; %bb.959:
	global_load_u8 v1, v[6:7], off
	s_mov_b32 s50, 0
	s_mov_b32 s49, exec_lo
	s_wait_loadcnt 0x0
	v_cmpx_lt_i16_e32 0x7f, v1
	s_xor_b32 s49, exec_lo, s49
	s_cbranch_execz .LBB71_976
; %bb.960:
	v_cmp_ne_u16_e32 vcc_lo, 0x80, v1
	s_and_b32 s50, vcc_lo, exec_lo
	s_and_not1_saveexec_b32 s49, s49
	s_cbranch_execnz .LBB71_977
.LBB71_961:
	s_or_b32 exec_lo, exec_lo, s49
	v_mov_b32_e32 v8, 0
	s_and_saveexec_b32 s49, s50
	s_cbranch_execz .LBB71_963
.LBB71_962:
	v_and_b32_e32 v3, 0xffff, v1
	s_delay_alu instid0(VALU_DEP_1) | instskip(SKIP_1) | instid1(VALU_DEP_2)
	v_and_b32_e32 v5, 7, v3
	v_bfe_u32 v10, v3, 3, 4
	v_clz_i32_u32_e32 v8, v5
	s_delay_alu instid0(VALU_DEP_2) | instskip(NEXT) | instid1(VALU_DEP_2)
	v_cmp_eq_u32_e32 vcc_lo, 0, v10
	v_min_u32_e32 v8, 32, v8
	s_delay_alu instid0(VALU_DEP_1) | instskip(NEXT) | instid1(VALU_DEP_1)
	v_subrev_nc_u32_e32 v9, 28, v8
	v_dual_lshlrev_b32 v3, v9, v3 :: v_dual_sub_nc_u32 v8, 29, v8
	s_delay_alu instid0(VALU_DEP_1) | instskip(NEXT) | instid1(VALU_DEP_1)
	v_dual_lshlrev_b32 v1, 24, v1 :: v_dual_bitop2_b32 v3, 7, v3 bitop3:0x40
	v_dual_cndmask_b32 v8, v10, v8 :: v_dual_cndmask_b32 v3, v5, v3
	s_delay_alu instid0(VALU_DEP_2) | instskip(NEXT) | instid1(VALU_DEP_2)
	v_and_b32_e32 v1, 0x80000000, v1
	v_lshl_add_u32 v5, v8, 23, 0x3b800000
	s_delay_alu instid0(VALU_DEP_3) | instskip(NEXT) | instid1(VALU_DEP_1)
	v_lshlrev_b32_e32 v3, 20, v3
	v_or3_b32 v1, v1, v5, v3
	s_delay_alu instid0(VALU_DEP_1)
	v_cvt_i32_f32_e32 v8, v1
.LBB71_963:
	s_or_b32 exec_lo, exec_lo, s49
.LBB71_964:
	s_mov_b32 s49, -1
.LBB71_965:
	s_mov_b32 s50, 0
.LBB71_966:
	s_delay_alu instid0(SALU_CYCLE_1)
	s_and_b32 vcc_lo, exec_lo, s50
	s_cbranch_vccz .LBB71_999
; %bb.967:
	s_cmp_gt_i32 s48, 22
	s_cbranch_scc0 .LBB71_975
; %bb.968:
	s_cmp_lt_i32 s48, 24
	s_cbranch_scc1 .LBB71_978
; %bb.969:
	s_cmp_gt_i32 s48, 24
	s_cbranch_scc0 .LBB71_979
; %bb.970:
	global_load_u8 v1, v[6:7], off
	s_mov_b32 s50, 0
	s_mov_b32 s49, exec_lo
	s_wait_loadcnt 0x0
	v_cmpx_lt_i16_e32 0x7f, v1
	s_xor_b32 s49, exec_lo, s49
	s_cbranch_execz .LBB71_991
; %bb.971:
	v_cmp_ne_u16_e32 vcc_lo, 0x80, v1
	s_and_b32 s50, vcc_lo, exec_lo
	s_and_not1_saveexec_b32 s49, s49
	s_cbranch_execnz .LBB71_992
.LBB71_972:
	s_or_b32 exec_lo, exec_lo, s49
	v_mov_b32_e32 v8, 0
	s_and_saveexec_b32 s49, s50
	s_cbranch_execz .LBB71_974
.LBB71_973:
	v_and_b32_e32 v3, 0xffff, v1
	s_delay_alu instid0(VALU_DEP_1) | instskip(SKIP_1) | instid1(VALU_DEP_2)
	v_and_b32_e32 v5, 3, v3
	v_bfe_u32 v10, v3, 2, 5
	v_clz_i32_u32_e32 v8, v5
	s_delay_alu instid0(VALU_DEP_2) | instskip(NEXT) | instid1(VALU_DEP_2)
	v_cmp_eq_u32_e32 vcc_lo, 0, v10
	v_min_u32_e32 v8, 32, v8
	s_delay_alu instid0(VALU_DEP_1) | instskip(NEXT) | instid1(VALU_DEP_1)
	v_subrev_nc_u32_e32 v9, 29, v8
	v_dual_lshlrev_b32 v3, v9, v3 :: v_dual_sub_nc_u32 v8, 30, v8
	s_delay_alu instid0(VALU_DEP_1) | instskip(NEXT) | instid1(VALU_DEP_1)
	v_dual_lshlrev_b32 v1, 24, v1 :: v_dual_bitop2_b32 v3, 3, v3 bitop3:0x40
	v_dual_cndmask_b32 v8, v10, v8 :: v_dual_cndmask_b32 v3, v5, v3
	s_delay_alu instid0(VALU_DEP_2) | instskip(NEXT) | instid1(VALU_DEP_2)
	v_and_b32_e32 v1, 0x80000000, v1
	v_lshl_add_u32 v5, v8, 23, 0x37800000
	s_delay_alu instid0(VALU_DEP_3) | instskip(NEXT) | instid1(VALU_DEP_1)
	v_lshlrev_b32_e32 v3, 21, v3
	v_or3_b32 v1, v1, v5, v3
	s_delay_alu instid0(VALU_DEP_1)
	v_cvt_i32_f32_e32 v8, v1
.LBB71_974:
	s_or_b32 exec_lo, exec_lo, s49
	s_mov_b32 s49, 0
	s_branch .LBB71_980
.LBB71_975:
	s_mov_b32 s50, -1
                                        ; implicit-def: $vgpr8
	s_branch .LBB71_986
.LBB71_976:
	s_and_not1_saveexec_b32 s49, s49
	s_cbranch_execz .LBB71_961
.LBB71_977:
	v_cmp_ne_u16_e32 vcc_lo, 0, v1
	s_and_not1_b32 s50, s50, exec_lo
	s_and_b32 s51, vcc_lo, exec_lo
	s_delay_alu instid0(SALU_CYCLE_1)
	s_or_b32 s50, s50, s51
	s_or_b32 exec_lo, exec_lo, s49
	v_mov_b32_e32 v8, 0
	s_and_saveexec_b32 s49, s50
	s_cbranch_execnz .LBB71_962
	s_branch .LBB71_963
.LBB71_978:
	s_mov_b32 s49, -1
                                        ; implicit-def: $vgpr8
	s_branch .LBB71_983
.LBB71_979:
	s_mov_b32 s49, -1
                                        ; implicit-def: $vgpr8
.LBB71_980:
	s_delay_alu instid0(SALU_CYCLE_1)
	s_and_b32 vcc_lo, exec_lo, s49
	s_cbranch_vccz .LBB71_982
; %bb.981:
	global_load_u8 v1, v[6:7], off
	s_wait_loadcnt 0x0
	v_lshlrev_b32_e32 v1, 24, v1
	s_delay_alu instid0(VALU_DEP_1) | instskip(NEXT) | instid1(VALU_DEP_1)
	v_and_b32_e32 v3, 0x7f000000, v1
	v_clz_i32_u32_e32 v5, v3
	s_wait_xcnt 0x1
	v_add_nc_u32_e32 v9, 0x1000000, v3
	v_cmp_ne_u32_e32 vcc_lo, 0, v3
	s_delay_alu instid0(VALU_DEP_3) | instskip(NEXT) | instid1(VALU_DEP_1)
	v_min_u32_e32 v5, 32, v5
	v_sub_nc_u32_e64 v5, v5, 4 clamp
	s_delay_alu instid0(VALU_DEP_1) | instskip(NEXT) | instid1(VALU_DEP_1)
	v_dual_lshlrev_b32 v8, v5, v3 :: v_dual_lshlrev_b32 v5, 23, v5
	v_lshrrev_b32_e32 v8, 4, v8
	s_delay_alu instid0(VALU_DEP_1) | instskip(SKIP_1) | instid1(VALU_DEP_2)
	v_sub_nc_u32_e32 v5, v8, v5
	v_ashrrev_i32_e32 v8, 8, v9
	v_add_nc_u32_e32 v5, 0x3c000000, v5
	s_delay_alu instid0(VALU_DEP_1) | instskip(NEXT) | instid1(VALU_DEP_1)
	v_and_or_b32 v5, 0x7f800000, v8, v5
	v_cndmask_b32_e32 v3, 0, v5, vcc_lo
	s_delay_alu instid0(VALU_DEP_1) | instskip(NEXT) | instid1(VALU_DEP_1)
	v_and_or_b32 v1, 0x80000000, v1, v3
	v_cvt_i32_f32_e32 v8, v1
.LBB71_982:
	s_mov_b32 s49, 0
.LBB71_983:
	s_delay_alu instid0(SALU_CYCLE_1)
	s_and_not1_b32 vcc_lo, exec_lo, s49
	s_cbranch_vccnz .LBB71_985
; %bb.984:
	global_load_u8 v1, v[6:7], off
	s_wait_loadcnt 0x0
	v_lshlrev_b32_e32 v3, 25, v1
	v_lshlrev_b16 v1, 8, v1
	s_wait_xcnt 0x1
	s_delay_alu instid0(VALU_DEP_1) | instskip(SKIP_1) | instid1(VALU_DEP_2)
	v_and_or_b32 v8, 0x7f00, v1, 0.5
	v_bfe_i32 v1, v1, 0, 16
	v_dual_add_f32 v8, -0.5, v8 :: v_dual_lshrrev_b32 v5, 4, v3
	v_cmp_gt_u32_e32 vcc_lo, 0x8000000, v3
	s_delay_alu instid0(VALU_DEP_2) | instskip(NEXT) | instid1(VALU_DEP_1)
	v_or_b32_e32 v5, 0x70000000, v5
	v_mul_f32_e32 v5, 0x7800000, v5
	s_delay_alu instid0(VALU_DEP_1) | instskip(NEXT) | instid1(VALU_DEP_1)
	v_cndmask_b32_e32 v3, v5, v8, vcc_lo
	v_and_or_b32 v1, 0x80000000, v1, v3
	s_delay_alu instid0(VALU_DEP_1)
	v_cvt_i32_f32_e32 v8, v1
.LBB71_985:
	s_mov_b32 s50, 0
	s_mov_b32 s49, -1
.LBB71_986:
	s_and_not1_b32 vcc_lo, exec_lo, s50
	s_cbranch_vccnz .LBB71_999
; %bb.987:
	s_cmp_gt_i32 s48, 14
	s_cbranch_scc0 .LBB71_990
; %bb.988:
	s_cmp_eq_u32 s48, 15
	s_cbranch_scc0 .LBB71_993
; %bb.989:
	global_load_u16 v1, v[6:7], off
	s_mov_b32 s49, -1
	s_mov_b32 s27, 0
	s_wait_loadcnt 0x0
	v_lshlrev_b32_e32 v1, 16, v1
	s_wait_xcnt 0x1
	s_delay_alu instid0(VALU_DEP_1)
	v_cvt_i32_f32_e32 v8, v1
	s_branch .LBB71_994
.LBB71_990:
	s_mov_b32 s50, -1
                                        ; implicit-def: $vgpr8
	s_branch .LBB71_995
.LBB71_991:
	s_and_not1_saveexec_b32 s49, s49
	s_cbranch_execz .LBB71_972
.LBB71_992:
	v_cmp_ne_u16_e32 vcc_lo, 0, v1
	s_and_not1_b32 s50, s50, exec_lo
	s_and_b32 s51, vcc_lo, exec_lo
	s_delay_alu instid0(SALU_CYCLE_1)
	s_or_b32 s50, s50, s51
	s_or_b32 exec_lo, exec_lo, s49
	v_mov_b32_e32 v8, 0
	s_and_saveexec_b32 s49, s50
	s_cbranch_execnz .LBB71_973
	s_branch .LBB71_974
.LBB71_993:
	s_mov_b32 s27, -1
                                        ; implicit-def: $vgpr8
.LBB71_994:
	s_mov_b32 s50, 0
.LBB71_995:
	s_delay_alu instid0(SALU_CYCLE_1)
	s_and_b32 vcc_lo, exec_lo, s50
	s_cbranch_vccz .LBB71_999
; %bb.996:
	s_cmp_eq_u32 s48, 11
	s_cbranch_scc0 .LBB71_998
; %bb.997:
	global_load_u8 v1, v[6:7], off
	s_mov_b32 s27, 0
	s_mov_b32 s49, -1
	s_wait_loadcnt 0x0
	v_cmp_ne_u16_e32 vcc_lo, 0, v1
	s_wait_xcnt 0x1
	v_cndmask_b32_e64 v8, 0, 1, vcc_lo
	s_branch .LBB71_999
.LBB71_998:
	s_mov_b32 s27, -1
                                        ; implicit-def: $vgpr8
.LBB71_999:
	s_mov_b32 s48, 0
.LBB71_1000:
	s_delay_alu instid0(SALU_CYCLE_1)
	s_and_b32 vcc_lo, exec_lo, s48
	s_cbranch_vccz .LBB71_1049
; %bb.1001:
	s_and_b32 s0, 0xffff, s0
	s_delay_alu instid0(SALU_CYCLE_1)
	s_cmp_lt_i32 s0, 5
	s_cbranch_scc1 .LBB71_1006
; %bb.1002:
	s_cmp_lt_i32 s0, 8
	s_cbranch_scc1 .LBB71_1007
; %bb.1003:
	;; [unrolled: 3-line block ×3, first 2 shown]
	s_cmp_gt_i32 s0, 9
	s_cbranch_scc0 .LBB71_1009
; %bb.1005:
	s_wait_loadcnt 0x0
	global_load_b64 v[8:9], v[6:7], off
	s_mov_b32 s48, 0
	s_wait_loadcnt 0x0
	v_cvt_i32_f64_e32 v8, v[8:9]
	s_branch .LBB71_1010
.LBB71_1006:
	s_mov_b32 s48, -1
                                        ; implicit-def: $vgpr8
	s_branch .LBB71_1028
.LBB71_1007:
	s_mov_b32 s48, -1
                                        ; implicit-def: $vgpr8
	s_branch .LBB71_1016
.LBB71_1008:
	s_mov_b32 s48, -1
                                        ; implicit-def: $vgpr8
	s_branch .LBB71_1013
.LBB71_1009:
	s_mov_b32 s48, -1
                                        ; implicit-def: $vgpr8
.LBB71_1010:
	s_delay_alu instid0(SALU_CYCLE_1)
	s_and_not1_b32 vcc_lo, exec_lo, s48
	s_cbranch_vccnz .LBB71_1012
; %bb.1011:
	global_load_b32 v1, v[6:7], off
	s_wait_loadcnt 0x0
	s_wait_xcnt 0x1
	v_cvt_i32_f32_e32 v8, v1
.LBB71_1012:
	s_mov_b32 s48, 0
.LBB71_1013:
	s_delay_alu instid0(SALU_CYCLE_1)
	s_and_not1_b32 vcc_lo, exec_lo, s48
	s_cbranch_vccnz .LBB71_1015
; %bb.1014:
	global_load_b32 v1, v[6:7], off
	s_wait_loadcnt 0x0
	s_wait_xcnt 0x1
	v_cvt_i16_f16_e32 v8, v1
.LBB71_1015:
	s_mov_b32 s48, 0
.LBB71_1016:
	s_delay_alu instid0(SALU_CYCLE_1)
	s_and_not1_b32 vcc_lo, exec_lo, s48
	s_cbranch_vccnz .LBB71_1027
; %bb.1017:
	s_cmp_lt_i32 s0, 6
	s_cbranch_scc1 .LBB71_1020
; %bb.1018:
	s_cmp_gt_i32 s0, 6
	s_cbranch_scc0 .LBB71_1021
; %bb.1019:
	s_wait_loadcnt 0x0
	global_load_b64 v[8:9], v[6:7], off
	s_mov_b32 s48, 0
	s_wait_loadcnt 0x0
	v_cvt_i32_f64_e32 v8, v[8:9]
	s_branch .LBB71_1022
.LBB71_1020:
	s_mov_b32 s48, -1
                                        ; implicit-def: $vgpr8
	s_branch .LBB71_1025
.LBB71_1021:
	s_mov_b32 s48, -1
                                        ; implicit-def: $vgpr8
.LBB71_1022:
	s_delay_alu instid0(SALU_CYCLE_1)
	s_and_not1_b32 vcc_lo, exec_lo, s48
	s_cbranch_vccnz .LBB71_1024
; %bb.1023:
	global_load_b32 v1, v[6:7], off
	s_wait_loadcnt 0x0
	s_wait_xcnt 0x1
	v_cvt_i32_f32_e32 v8, v1
.LBB71_1024:
	s_mov_b32 s48, 0
.LBB71_1025:
	s_delay_alu instid0(SALU_CYCLE_1)
	s_and_not1_b32 vcc_lo, exec_lo, s48
	s_cbranch_vccnz .LBB71_1027
; %bb.1026:
	global_load_u16 v1, v[6:7], off
	s_wait_loadcnt 0x0
	s_wait_xcnt 0x1
	v_cvt_i16_f16_e32 v8, v1
.LBB71_1027:
	s_mov_b32 s48, 0
.LBB71_1028:
	s_delay_alu instid0(SALU_CYCLE_1)
	s_and_not1_b32 vcc_lo, exec_lo, s48
	s_cbranch_vccnz .LBB71_1048
; %bb.1029:
	s_cmp_lt_i32 s0, 2
	s_cbranch_scc1 .LBB71_1033
; %bb.1030:
	s_cmp_lt_i32 s0, 3
	s_cbranch_scc1 .LBB71_1034
; %bb.1031:
	s_cmp_gt_i32 s0, 3
	s_cbranch_scc0 .LBB71_1035
; %bb.1032:
	s_wait_loadcnt 0x0
	global_load_b64 v[8:9], v[6:7], off
	s_mov_b32 s48, 0
	s_branch .LBB71_1036
.LBB71_1033:
	s_mov_b32 s48, -1
                                        ; implicit-def: $vgpr8
	s_branch .LBB71_1042
.LBB71_1034:
	s_mov_b32 s48, -1
                                        ; implicit-def: $vgpr8
	s_branch .LBB71_1039
.LBB71_1035:
	s_mov_b32 s48, -1
                                        ; implicit-def: $vgpr8
.LBB71_1036:
	s_delay_alu instid0(SALU_CYCLE_1)
	s_and_not1_b32 vcc_lo, exec_lo, s48
	s_cbranch_vccnz .LBB71_1038
; %bb.1037:
	s_wait_loadcnt 0x0
	global_load_b32 v8, v[6:7], off
.LBB71_1038:
	s_mov_b32 s48, 0
.LBB71_1039:
	s_delay_alu instid0(SALU_CYCLE_1)
	s_and_not1_b32 vcc_lo, exec_lo, s48
	s_cbranch_vccnz .LBB71_1041
; %bb.1040:
	s_wait_loadcnt 0x0
	global_load_u16 v8, v[6:7], off
.LBB71_1041:
	s_mov_b32 s48, 0
.LBB71_1042:
	s_delay_alu instid0(SALU_CYCLE_1)
	s_and_not1_b32 vcc_lo, exec_lo, s48
	s_cbranch_vccnz .LBB71_1048
; %bb.1043:
	s_cmp_gt_i32 s0, 0
	s_mov_b32 s0, 0
	s_cbranch_scc0 .LBB71_1045
; %bb.1044:
	s_wait_loadcnt 0x0
	global_load_i8 v8, v[6:7], off
	s_branch .LBB71_1046
.LBB71_1045:
	s_mov_b32 s0, -1
                                        ; implicit-def: $vgpr8
.LBB71_1046:
	s_delay_alu instid0(SALU_CYCLE_1)
	s_and_not1_b32 vcc_lo, exec_lo, s0
	s_cbranch_vccnz .LBB71_1048
; %bb.1047:
	s_wait_loadcnt 0x0
	global_load_u8 v8, v[6:7], off
.LBB71_1048:
	s_mov_b32 s49, -1
.LBB71_1049:
	s_delay_alu instid0(SALU_CYCLE_1)
	s_and_not1_b32 vcc_lo, exec_lo, s49
	s_cbranch_vccnz .LBB71_1057
; %bb.1050:
	v_mov_b32_e32 v3, 0
	s_wait_loadcnt 0x0
	s_delay_alu instid0(VALU_DEP_2) | instskip(SKIP_1) | instid1(VALU_DEP_2)
	v_cmp_ne_u16_e32 vcc_lo, v4, v8
	s_and_b32 s49, s11, 0xff
	v_add_nc_u64_e32 v[2:3], s[4:5], v[2:3]
	s_xor_b32 s48, s10, vcc_lo
	s_cmp_lt_i32 s49, 11
	s_cbranch_scc1 .LBB71_1058
; %bb.1051:
	s_and_b32 s50, 0xffff, s49
	s_delay_alu instid0(SALU_CYCLE_1)
	s_cmp_gt_i32 s50, 25
	s_cbranch_scc0 .LBB71_1059
; %bb.1052:
	s_cmp_gt_i32 s50, 28
	s_cbranch_scc0 .LBB71_1060
; %bb.1053:
	;; [unrolled: 3-line block ×4, first 2 shown]
	s_mov_b32 s52, 0
	s_mov_b32 s0, -1
	s_cmp_eq_u32 s50, 46
	s_mov_b32 s51, 0
	s_cbranch_scc0 .LBB71_1063
; %bb.1056:
	v_cndmask_b32_e64 v1, 0, 1.0, s48
	s_mov_b32 s51, -1
	s_mov_b32 s0, 0
	s_delay_alu instid0(VALU_DEP_1) | instskip(NEXT) | instid1(VALU_DEP_1)
	v_bfe_u32 v4, v1, 16, 1
	v_add3_u32 v1, v1, v4, 0x7fff
	s_delay_alu instid0(VALU_DEP_1)
	v_lshrrev_b32_e32 v1, 16, v1
	global_store_b32 v[2:3], v1, off
	s_branch .LBB71_1063
.LBB71_1057:
	s_mov_b32 s51, 0
	s_mov_b32 s0, s44
	s_branch .LBB71_1174
.LBB71_1058:
	s_mov_b32 s50, -1
	s_mov_b32 s51, 0
	s_mov_b32 s0, s44
	s_branch .LBB71_1132
.LBB71_1059:
	s_mov_b32 s52, -1
	s_mov_b32 s51, 0
	s_mov_b32 s0, s44
	s_branch .LBB71_1090
.LBB71_1060:
	s_mov_b32 s52, -1
	s_mov_b32 s51, 0
	s_mov_b32 s0, s44
	s_branch .LBB71_1073
.LBB71_1061:
	s_mov_b32 s52, -1
	s_mov_b32 s51, 0
	s_mov_b32 s0, s44
	s_branch .LBB71_1069
.LBB71_1062:
	s_mov_b32 s52, -1
	s_mov_b32 s51, 0
	s_mov_b32 s0, s44
.LBB71_1063:
	s_and_b32 vcc_lo, exec_lo, s52
	s_cbranch_vccz .LBB71_1068
; %bb.1064:
	s_cmp_eq_u32 s50, 44
	s_mov_b32 s0, -1
	s_cbranch_scc0 .LBB71_1068
; %bb.1065:
	v_cndmask_b32_e64 v5, 0, 1.0, s48
	s_mov_b32 s51, exec_lo
	s_wait_xcnt 0x0
	s_delay_alu instid0(VALU_DEP_1) | instskip(NEXT) | instid1(VALU_DEP_1)
	v_dual_mov_b32 v4, 0xff :: v_dual_lshrrev_b32 v1, 23, v5
	v_cmpx_ne_u32_e32 0xff, v1
; %bb.1066:
	v_and_b32_e32 v4, 0x400000, v5
	v_and_or_b32 v5, 0x3fffff, v5, v1
	s_delay_alu instid0(VALU_DEP_2) | instskip(NEXT) | instid1(VALU_DEP_2)
	v_cmp_ne_u32_e32 vcc_lo, 0, v4
	v_cmp_ne_u32_e64 s0, 0, v5
	s_and_b32 s0, vcc_lo, s0
	s_delay_alu instid0(SALU_CYCLE_1) | instskip(NEXT) | instid1(VALU_DEP_1)
	v_cndmask_b32_e64 v4, 0, 1, s0
	v_add_nc_u32_e32 v4, v1, v4
; %bb.1067:
	s_or_b32 exec_lo, exec_lo, s51
	s_mov_b32 s51, -1
	s_mov_b32 s0, 0
	global_store_b8 v[2:3], v4, off
.LBB71_1068:
	s_mov_b32 s52, 0
.LBB71_1069:
	s_delay_alu instid0(SALU_CYCLE_1)
	s_and_b32 vcc_lo, exec_lo, s52
	s_cbranch_vccz .LBB71_1072
; %bb.1070:
	s_cmp_eq_u32 s50, 29
	s_mov_b32 s0, -1
	s_cbranch_scc0 .LBB71_1072
; %bb.1071:
	s_mov_b32 s0, 0
	s_wait_xcnt 0x0
	v_cndmask_b32_e64 v4, 0, 1, s48
	v_mov_b32_e32 v5, s0
	s_mov_b32 s51, -1
	s_mov_b32 s52, 0
	global_store_b64 v[2:3], v[4:5], off
	s_branch .LBB71_1073
.LBB71_1072:
	s_mov_b32 s52, 0
.LBB71_1073:
	s_delay_alu instid0(SALU_CYCLE_1)
	s_and_b32 vcc_lo, exec_lo, s52
	s_cbranch_vccz .LBB71_1089
; %bb.1074:
	s_cmp_lt_i32 s50, 27
	s_mov_b32 s51, -1
	s_cbranch_scc1 .LBB71_1080
; %bb.1075:
	s_cmp_gt_i32 s50, 27
	s_cbranch_scc0 .LBB71_1077
; %bb.1076:
	s_wait_xcnt 0x0
	v_cndmask_b32_e64 v1, 0, 1, s48
	s_mov_b32 s51, 0
	global_store_b32 v[2:3], v1, off
.LBB71_1077:
	s_and_not1_b32 vcc_lo, exec_lo, s51
	s_cbranch_vccnz .LBB71_1079
; %bb.1078:
	s_wait_xcnt 0x0
	v_cndmask_b32_e64 v1, 0, 1, s48
	global_store_b16 v[2:3], v1, off
.LBB71_1079:
	s_mov_b32 s51, 0
.LBB71_1080:
	s_delay_alu instid0(SALU_CYCLE_1)
	s_and_not1_b32 vcc_lo, exec_lo, s51
	s_cbranch_vccnz .LBB71_1088
; %bb.1081:
	s_wait_xcnt 0x0
	v_cndmask_b32_e64 v4, 0, 1.0, s48
	v_mov_b32_e32 v5, 0x80
	s_mov_b32 s51, exec_lo
	s_delay_alu instid0(VALU_DEP_2)
	v_cmpx_gt_u32_e32 0x43800000, v4
	s_cbranch_execz .LBB71_1087
; %bb.1082:
	s_mov_b32 s52, 0
	s_mov_b32 s53, exec_lo
                                        ; implicit-def: $vgpr1
	v_cmpx_lt_u32_e32 0x3bffffff, v4
	s_xor_b32 s53, exec_lo, s53
	s_cbranch_execz .LBB71_1202
; %bb.1083:
	v_bfe_u32 v1, v4, 20, 1
	s_mov_b32 s52, exec_lo
	s_delay_alu instid0(VALU_DEP_1) | instskip(NEXT) | instid1(VALU_DEP_1)
	v_add3_u32 v1, v4, v1, 0x487ffff
                                        ; implicit-def: $vgpr4
	v_lshrrev_b32_e32 v1, 20, v1
	s_and_not1_saveexec_b32 s53, s53
	s_cbranch_execnz .LBB71_1203
.LBB71_1084:
	s_or_b32 exec_lo, exec_lo, s53
	v_mov_b32_e32 v5, 0
	s_and_saveexec_b32 s53, s52
.LBB71_1085:
	v_mov_b32_e32 v5, v1
.LBB71_1086:
	s_or_b32 exec_lo, exec_lo, s53
.LBB71_1087:
	s_delay_alu instid0(SALU_CYCLE_1)
	s_or_b32 exec_lo, exec_lo, s51
	global_store_b8 v[2:3], v5, off
.LBB71_1088:
	s_mov_b32 s51, -1
.LBB71_1089:
	s_mov_b32 s52, 0
.LBB71_1090:
	s_delay_alu instid0(SALU_CYCLE_1)
	s_and_b32 vcc_lo, exec_lo, s52
	s_cbranch_vccz .LBB71_1131
; %bb.1091:
	s_cmp_gt_i32 s50, 22
	s_mov_b32 s52, -1
	s_cbranch_scc0 .LBB71_1123
; %bb.1092:
	s_cmp_lt_i32 s50, 24
	s_mov_b32 s51, -1
	s_cbranch_scc1 .LBB71_1112
; %bb.1093:
	s_cmp_gt_i32 s50, 24
	s_cbranch_scc0 .LBB71_1101
; %bb.1094:
	s_wait_xcnt 0x0
	v_cndmask_b32_e64 v4, 0, 1.0, s48
	v_mov_b32_e32 v5, 0x80
	s_mov_b32 s51, exec_lo
	s_delay_alu instid0(VALU_DEP_2)
	v_cmpx_gt_u32_e32 0x47800000, v4
	s_cbranch_execz .LBB71_1100
; %bb.1095:
	s_mov_b32 s52, 0
	s_mov_b32 s53, exec_lo
                                        ; implicit-def: $vgpr1
	v_cmpx_lt_u32_e32 0x37ffffff, v4
	s_xor_b32 s53, exec_lo, s53
	s_cbranch_execz .LBB71_2245
; %bb.1096:
	v_bfe_u32 v1, v4, 21, 1
	s_mov_b32 s52, exec_lo
	s_delay_alu instid0(VALU_DEP_1) | instskip(NEXT) | instid1(VALU_DEP_1)
	v_add3_u32 v1, v4, v1, 0x88fffff
                                        ; implicit-def: $vgpr4
	v_lshrrev_b32_e32 v1, 21, v1
	s_and_not1_saveexec_b32 s53, s53
	s_cbranch_execnz .LBB71_2246
.LBB71_1097:
	s_or_b32 exec_lo, exec_lo, s53
	v_mov_b32_e32 v5, 0
	s_and_saveexec_b32 s53, s52
.LBB71_1098:
	v_mov_b32_e32 v5, v1
.LBB71_1099:
	s_or_b32 exec_lo, exec_lo, s53
.LBB71_1100:
	s_delay_alu instid0(SALU_CYCLE_1)
	s_or_b32 exec_lo, exec_lo, s51
	s_mov_b32 s51, 0
	global_store_b8 v[2:3], v5, off
.LBB71_1101:
	s_and_b32 vcc_lo, exec_lo, s51
	s_cbranch_vccz .LBB71_1111
; %bb.1102:
	s_wait_xcnt 0x0
	v_cndmask_b32_e64 v4, 0, 1.0, s48
	s_mov_b32 s51, exec_lo
                                        ; implicit-def: $vgpr1
	s_delay_alu instid0(VALU_DEP_1)
	v_cmpx_gt_u32_e32 0x43f00000, v4
	s_xor_b32 s51, exec_lo, s51
	s_cbranch_execz .LBB71_1108
; %bb.1103:
	s_mov_b32 s52, exec_lo
                                        ; implicit-def: $vgpr1
	v_cmpx_lt_u32_e32 0x3c7fffff, v4
	s_xor_b32 s52, exec_lo, s52
; %bb.1104:
	v_bfe_u32 v1, v4, 20, 1
	s_delay_alu instid0(VALU_DEP_1) | instskip(NEXT) | instid1(VALU_DEP_1)
	v_add3_u32 v1, v4, v1, 0x407ffff
	v_and_b32_e32 v4, 0xff00000, v1
	v_lshrrev_b32_e32 v1, 20, v1
	s_delay_alu instid0(VALU_DEP_2) | instskip(NEXT) | instid1(VALU_DEP_2)
	v_cmp_ne_u32_e32 vcc_lo, 0x7f00000, v4
                                        ; implicit-def: $vgpr4
	v_cndmask_b32_e32 v1, 0x7e, v1, vcc_lo
; %bb.1105:
	s_and_not1_saveexec_b32 s52, s52
; %bb.1106:
	v_add_f32_e32 v1, 0x46800000, v4
; %bb.1107:
	s_or_b32 exec_lo, exec_lo, s52
                                        ; implicit-def: $vgpr4
.LBB71_1108:
	s_and_not1_saveexec_b32 s51, s51
; %bb.1109:
	v_mov_b32_e32 v1, 0x7f
	v_cmp_lt_u32_e32 vcc_lo, 0x7f800000, v4
	s_delay_alu instid0(VALU_DEP_2)
	v_cndmask_b32_e32 v1, 0x7e, v1, vcc_lo
; %bb.1110:
	s_or_b32 exec_lo, exec_lo, s51
	global_store_b8 v[2:3], v1, off
.LBB71_1111:
	s_mov_b32 s51, 0
.LBB71_1112:
	s_delay_alu instid0(SALU_CYCLE_1)
	s_and_not1_b32 vcc_lo, exec_lo, s51
	s_cbranch_vccnz .LBB71_1122
; %bb.1113:
	s_wait_xcnt 0x0
	v_cndmask_b32_e64 v4, 0, 1.0, s48
	s_mov_b32 s51, exec_lo
                                        ; implicit-def: $vgpr1
	s_delay_alu instid0(VALU_DEP_1)
	v_cmpx_gt_u32_e32 0x47800000, v4
	s_xor_b32 s51, exec_lo, s51
	s_cbranch_execz .LBB71_1119
; %bb.1114:
	s_mov_b32 s52, exec_lo
                                        ; implicit-def: $vgpr1
	v_cmpx_lt_u32_e32 0x387fffff, v4
	s_xor_b32 s52, exec_lo, s52
; %bb.1115:
	v_bfe_u32 v1, v4, 21, 1
	s_delay_alu instid0(VALU_DEP_1) | instskip(NEXT) | instid1(VALU_DEP_1)
	v_add3_u32 v1, v4, v1, 0x80fffff
                                        ; implicit-def: $vgpr4
	v_lshrrev_b32_e32 v1, 21, v1
; %bb.1116:
	s_and_not1_saveexec_b32 s52, s52
; %bb.1117:
	v_add_f32_e32 v1, 0x43000000, v4
; %bb.1118:
	s_or_b32 exec_lo, exec_lo, s52
                                        ; implicit-def: $vgpr4
.LBB71_1119:
	s_and_not1_saveexec_b32 s51, s51
; %bb.1120:
	v_mov_b32_e32 v1, 0x7f
	v_cmp_lt_u32_e32 vcc_lo, 0x7f800000, v4
	s_delay_alu instid0(VALU_DEP_2)
	v_cndmask_b32_e32 v1, 0x7c, v1, vcc_lo
; %bb.1121:
	s_or_b32 exec_lo, exec_lo, s51
	global_store_b8 v[2:3], v1, off
.LBB71_1122:
	s_mov_b32 s52, 0
	s_mov_b32 s51, -1
.LBB71_1123:
	s_and_not1_b32 vcc_lo, exec_lo, s52
	s_cbranch_vccnz .LBB71_1131
; %bb.1124:
	s_cmp_gt_i32 s50, 14
	s_mov_b32 s52, -1
	s_cbranch_scc0 .LBB71_1128
; %bb.1125:
	s_cmp_eq_u32 s50, 15
	s_mov_b32 s0, -1
	s_cbranch_scc0 .LBB71_1127
; %bb.1126:
	s_wait_xcnt 0x0
	v_cndmask_b32_e64 v1, 0, 1.0, s48
	s_mov_b32 s51, -1
	s_mov_b32 s0, 0
	s_delay_alu instid0(VALU_DEP_1) | instskip(NEXT) | instid1(VALU_DEP_1)
	v_bfe_u32 v4, v1, 16, 1
	v_add3_u32 v1, v1, v4, 0x7fff
	global_store_d16_hi_b16 v[2:3], v1, off
.LBB71_1127:
	s_mov_b32 s52, 0
.LBB71_1128:
	s_delay_alu instid0(SALU_CYCLE_1)
	s_and_b32 vcc_lo, exec_lo, s52
	s_cbranch_vccz .LBB71_1131
; %bb.1129:
	s_cmp_eq_u32 s50, 11
	s_mov_b32 s0, -1
	s_cbranch_scc0 .LBB71_1131
; %bb.1130:
	s_wait_xcnt 0x0
	v_cndmask_b32_e64 v1, 0, 1, s48
	s_mov_b32 s51, -1
	s_mov_b32 s0, 0
	global_store_b8 v[2:3], v1, off
.LBB71_1131:
	s_mov_b32 s50, 0
.LBB71_1132:
	s_delay_alu instid0(SALU_CYCLE_1)
	s_and_b32 vcc_lo, exec_lo, s50
	s_cbranch_vccz .LBB71_1171
; %bb.1133:
	s_and_b32 s49, 0xffff, s49
	s_mov_b32 s50, -1
	s_cmp_lt_i32 s49, 5
	s_cbranch_scc1 .LBB71_1154
; %bb.1134:
	s_cmp_lt_i32 s49, 8
	s_cbranch_scc1 .LBB71_1144
; %bb.1135:
	;; [unrolled: 3-line block ×3, first 2 shown]
	s_cmp_gt_i32 s49, 9
	s_cbranch_scc0 .LBB71_1138
; %bb.1137:
	s_wait_xcnt 0x0
	v_cndmask_b32_e64 v1, 0, 1, s48
	v_mov_b32_e32 v6, 0
	s_mov_b32 s50, 0
	s_delay_alu instid0(VALU_DEP_2) | instskip(NEXT) | instid1(VALU_DEP_2)
	v_cvt_f64_u32_e32 v[4:5], v1
	v_mov_b32_e32 v7, v6
	global_store_b128 v[2:3], v[4:7], off
.LBB71_1138:
	s_and_not1_b32 vcc_lo, exec_lo, s50
	s_cbranch_vccnz .LBB71_1140
; %bb.1139:
	s_wait_xcnt 0x0
	v_cndmask_b32_e64 v4, 0, 1.0, s48
	v_mov_b32_e32 v5, 0
	global_store_b64 v[2:3], v[4:5], off
.LBB71_1140:
	s_mov_b32 s50, 0
.LBB71_1141:
	s_delay_alu instid0(SALU_CYCLE_1)
	s_and_not1_b32 vcc_lo, exec_lo, s50
	s_cbranch_vccnz .LBB71_1143
; %bb.1142:
	s_wait_xcnt 0x0
	v_cndmask_b32_e64 v1, 0, 1.0, s48
	s_delay_alu instid0(VALU_DEP_1) | instskip(NEXT) | instid1(VALU_DEP_1)
	v_cvt_f16_f32_e32 v1, v1
	v_and_b32_e32 v1, 0xffff, v1
	global_store_b32 v[2:3], v1, off
.LBB71_1143:
	s_mov_b32 s50, 0
.LBB71_1144:
	s_delay_alu instid0(SALU_CYCLE_1)
	s_and_not1_b32 vcc_lo, exec_lo, s50
	s_cbranch_vccnz .LBB71_1153
; %bb.1145:
	s_cmp_lt_i32 s49, 6
	s_mov_b32 s50, -1
	s_cbranch_scc1 .LBB71_1151
; %bb.1146:
	s_cmp_gt_i32 s49, 6
	s_cbranch_scc0 .LBB71_1148
; %bb.1147:
	s_wait_xcnt 0x0
	v_cndmask_b32_e64 v1, 0, 1, s48
	s_mov_b32 s50, 0
	s_delay_alu instid0(VALU_DEP_1)
	v_cvt_f64_u32_e32 v[4:5], v1
	global_store_b64 v[2:3], v[4:5], off
.LBB71_1148:
	s_and_not1_b32 vcc_lo, exec_lo, s50
	s_cbranch_vccnz .LBB71_1150
; %bb.1149:
	s_wait_xcnt 0x0
	v_cndmask_b32_e64 v1, 0, 1.0, s48
	global_store_b32 v[2:3], v1, off
.LBB71_1150:
	s_mov_b32 s50, 0
.LBB71_1151:
	s_delay_alu instid0(SALU_CYCLE_1)
	s_and_not1_b32 vcc_lo, exec_lo, s50
	s_cbranch_vccnz .LBB71_1153
; %bb.1152:
	s_wait_xcnt 0x0
	v_cndmask_b32_e64 v1, 0, 1.0, s48
	s_delay_alu instid0(VALU_DEP_1)
	v_cvt_f16_f32_e32 v1, v1
	global_store_b16 v[2:3], v1, off
.LBB71_1153:
	s_mov_b32 s50, 0
.LBB71_1154:
	s_delay_alu instid0(SALU_CYCLE_1)
	s_and_not1_b32 vcc_lo, exec_lo, s50
	s_cbranch_vccnz .LBB71_1170
; %bb.1155:
	s_cmp_lt_i32 s49, 2
	s_mov_b32 s50, -1
	s_cbranch_scc1 .LBB71_1165
; %bb.1156:
	s_cmp_lt_i32 s49, 3
	s_cbranch_scc1 .LBB71_1162
; %bb.1157:
	s_cmp_gt_i32 s49, 3
	s_cbranch_scc0 .LBB71_1159
; %bb.1158:
	s_mov_b32 s50, 0
	s_wait_xcnt 0x0
	v_cndmask_b32_e64 v4, 0, 1, s48
	v_mov_b32_e32 v5, s50
	global_store_b64 v[2:3], v[4:5], off
.LBB71_1159:
	s_and_not1_b32 vcc_lo, exec_lo, s50
	s_cbranch_vccnz .LBB71_1161
; %bb.1160:
	s_wait_xcnt 0x0
	v_cndmask_b32_e64 v1, 0, 1, s48
	global_store_b32 v[2:3], v1, off
.LBB71_1161:
	s_mov_b32 s50, 0
.LBB71_1162:
	s_delay_alu instid0(SALU_CYCLE_1)
	s_and_not1_b32 vcc_lo, exec_lo, s50
	s_cbranch_vccnz .LBB71_1164
; %bb.1163:
	s_wait_xcnt 0x0
	v_cndmask_b32_e64 v1, 0, 1, s48
	global_store_b16 v[2:3], v1, off
.LBB71_1164:
	s_mov_b32 s50, 0
.LBB71_1165:
	s_delay_alu instid0(SALU_CYCLE_1)
	s_and_not1_b32 vcc_lo, exec_lo, s50
	s_cbranch_vccnz .LBB71_1170
; %bb.1166:
	s_wait_xcnt 0x0
	v_cndmask_b32_e64 v1, 0, 1, s48
	s_cmp_gt_i32 s49, 0
	s_mov_b32 s48, -1
	s_cbranch_scc0 .LBB71_1168
; %bb.1167:
	s_mov_b32 s48, 0
	global_store_b8 v[2:3], v1, off
.LBB71_1168:
	s_and_not1_b32 vcc_lo, exec_lo, s48
	s_cbranch_vccnz .LBB71_1170
; %bb.1169:
	global_store_b8 v[2:3], v1, off
.LBB71_1170:
	s_mov_b32 s51, -1
.LBB71_1171:
	s_delay_alu instid0(SALU_CYCLE_1)
	s_and_not1_b32 vcc_lo, exec_lo, s51
	s_cbranch_vccnz .LBB71_1173
; %bb.1172:
	v_add_nc_u32_e32 v0, 0x80, v0
	s_mov_b32 s51, -1
	s_branch .LBB71_1175
.LBB71_1173:
	s_mov_b32 s51, 0
.LBB71_1174:
                                        ; implicit-def: $vgpr0
.LBB71_1175:
	s_and_not1_b32 s48, s44, exec_lo
	s_and_b32 s0, s0, exec_lo
	s_and_b32 s27, s27, exec_lo
	s_or_b32 s49, s48, s0
	s_and_not1_b32 s0, s45, exec_lo
	s_and_not1_b32 s48, s43, exec_lo
	s_and_b32 s26, s26, exec_lo
	s_or_b32 s50, s0, s27
	s_or_b32 s48, s48, s26
	s_or_not1_b32 s52, s51, exec_lo
.LBB71_1176:
	s_wait_xcnt 0x0
	s_or_b32 exec_lo, exec_lo, s47
	s_mov_b32 s27, 0
	s_mov_b32 s51, 0
	;; [unrolled: 1-line block ×3, first 2 shown]
                                        ; implicit-def: $sgpr0
                                        ; implicit-def: $vgpr8_vgpr9
                                        ; implicit-def: $vgpr6
                                        ; implicit-def: $vgpr2
                                        ; implicit-def: $vgpr4
	s_and_saveexec_b32 s47, s52
	s_cbranch_execz .LBB71_1267
; %bb.1177:
	v_cmp_gt_i32_e32 vcc_lo, s37, v0
	s_mov_b32 s52, s48
                                        ; implicit-def: $sgpr0
                                        ; implicit-def: $vgpr8_vgpr9
                                        ; implicit-def: $vgpr6
                                        ; implicit-def: $vgpr2
                                        ; implicit-def: $vgpr4
	s_and_saveexec_b32 s37, vcc_lo
	s_cbranch_execz .LBB71_1266
; %bb.1178:
	s_and_not1_b32 vcc_lo, exec_lo, s31
	s_cbranch_vccnz .LBB71_1184
; %bb.1179:
	s_and_not1_b32 vcc_lo, exec_lo, s38
	s_cbranch_vccnz .LBB71_1185
; %bb.1180:
	v_dual_mov_b32 v2, 0 :: v_dual_mov_b32 v1, v0
	s_wait_loadcnt 0x0
	v_dual_mov_b32 v4, 0 :: v_dual_mov_b32 v6, 0
	s_add_co_i32 s0, s36, 1
	s_mov_b64 s[26:27], 0xffffffffffffffe8
	s_and_b32 s0, s0, 30
	s_add_nc_u64 s[26:27], s[2:3], s[26:27]
.LBB71_1181:                            ; =>This Inner Loop Header: Depth=1
	s_clause 0x1
	s_load_b128 s[52:55], s[26:27], 0x1c
	s_load_b64 s[60:61], s[26:27], 0x2c
	s_add_co_i32 s0, s0, -2
	s_delay_alu instid0(SALU_CYCLE_1) | instskip(SKIP_2) | instid1(VALU_DEP_1)
	s_cmp_eq_u32 s0, 0
	s_wait_kmcnt 0x0
	v_mul_hi_u32 v3, s53, v1
	v_add_nc_u32_e32 v3, v1, v3
	s_delay_alu instid0(VALU_DEP_1) | instskip(NEXT) | instid1(VALU_DEP_1)
	v_lshrrev_b32_e32 v3, s54, v3
	v_mul_hi_u32 v5, s60, v3
	v_mul_lo_u32 v7, v3, s52
	s_clause 0x1
	s_load_b128 s[56:59], s[26:27], 0xdc
	s_load_b64 s[52:53], s[26:27], 0xec
	s_wait_xcnt 0x0
	s_add_nc_u64 s[26:27], s[26:27], 24
	s_delay_alu instid0(VALU_DEP_1) | instskip(NEXT) | instid1(VALU_DEP_1)
	v_dual_add_nc_u32 v5, v3, v5 :: v_dual_sub_nc_u32 v7, v1, v7
	v_lshrrev_b32_e32 v1, s61, v5
	s_wait_kmcnt 0x0
	s_delay_alu instid0(VALU_DEP_2) | instskip(NEXT) | instid1(VALU_DEP_2)
	v_mad_u32 v2, v7, s56, v2
	v_mul_lo_u32 v5, v1, s55
	v_mad_u32 v6, v7, s58, v6
	v_mad_u32 v4, v7, s57, v4
	s_delay_alu instid0(VALU_DEP_3) | instskip(NEXT) | instid1(VALU_DEP_1)
	v_sub_nc_u32_e32 v3, v3, v5
	v_mad_u32 v2, v3, s59, v2
	s_delay_alu instid0(VALU_DEP_4) | instskip(NEXT) | instid1(VALU_DEP_4)
	v_mad_u32 v6, v3, s53, v6
	v_mad_u32 v4, v3, s52, v4
	s_cbranch_scc0 .LBB71_1181
; %bb.1182:
	s_bitcmp1_b32 s36, 0
	s_cselect_b32 s0, -1, 0
	s_delay_alu instid0(SALU_CYCLE_1)
	s_and_b32 vcc_lo, exec_lo, s0
	s_cbranch_vccnz .LBB71_1186
; %bb.1183:
	s_clause 0x1
	s_load_b96 s[52:54], s[26:27], 0x1c
	s_load_b96 s[56:58], s[26:27], 0xdc
	s_wait_kmcnt 0x0
	v_mul_hi_u32 v3, s53, v1
	s_delay_alu instid0(VALU_DEP_1) | instskip(NEXT) | instid1(VALU_DEP_1)
	v_add_nc_u32_e32 v3, v1, v3
	v_lshrrev_b32_e32 v3, s54, v3
	s_delay_alu instid0(VALU_DEP_1) | instskip(NEXT) | instid1(VALU_DEP_1)
	v_mul_lo_u32 v3, v3, s52
	v_sub_nc_u32_e32 v1, v1, v3
	s_delay_alu instid0(VALU_DEP_1)
	v_mad_u32 v2, v1, s56, v2
	v_mad_u32 v4, v1, s57, v4
	;; [unrolled: 1-line block ×3, first 2 shown]
	s_branch .LBB71_1186
.LBB71_1184:
	s_mov_b32 s0, -1
                                        ; implicit-def: $vgpr6
                                        ; implicit-def: $vgpr4
                                        ; implicit-def: $vgpr2
	s_branch .LBB71_1187
.LBB71_1185:
	s_wait_loadcnt 0x0
	v_dual_mov_b32 v6, 0 :: v_dual_mov_b32 v4, 0
	v_mov_b32_e32 v2, 0
.LBB71_1186:
	s_mov_b32 s0, 0
.LBB71_1187:
	s_delay_alu instid0(SALU_CYCLE_1)
	s_and_not1_b32 vcc_lo, exec_lo, s0
	s_cbranch_vccnz .LBB71_1190
; %bb.1188:
	v_mov_b32_e32 v1, 0
	s_and_not1_b32 vcc_lo, exec_lo, s35
	s_delay_alu instid0(VALU_DEP_1) | instskip(NEXT) | instid1(VALU_DEP_1)
	v_mul_u64_e32 v[2:3], s[20:21], v[0:1]
	v_add_nc_u32_e32 v2, v0, v3
	s_wait_loadcnt 0x0
	s_delay_alu instid0(VALU_DEP_1) | instskip(NEXT) | instid1(VALU_DEP_1)
	v_lshrrev_b32_e32 v8, s14, v2
	v_mul_lo_u32 v2, v8, s12
	s_delay_alu instid0(VALU_DEP_1) | instskip(NEXT) | instid1(VALU_DEP_1)
	v_sub_nc_u32_e32 v0, v0, v2
	v_mul_lo_u32 v2, v0, s16
	v_mul_lo_u32 v6, v0, s18
	;; [unrolled: 1-line block ×3, first 2 shown]
	s_cbranch_vccnz .LBB71_1190
; %bb.1189:
	v_mov_b32_e32 v9, v1
	s_delay_alu instid0(VALU_DEP_1) | instskip(NEXT) | instid1(VALU_DEP_1)
	v_mul_u64_e32 v[0:1], s[24:25], v[8:9]
	v_add_nc_u32_e32 v0, v8, v1
	s_delay_alu instid0(VALU_DEP_1) | instskip(NEXT) | instid1(VALU_DEP_1)
	v_lshrrev_b32_e32 v0, s1, v0
	v_mul_lo_u32 v0, v0, s15
	s_delay_alu instid0(VALU_DEP_1) | instskip(NEXT) | instid1(VALU_DEP_1)
	v_sub_nc_u32_e32 v0, v8, v0
	v_mad_u32 v2, v0, s19, v2
	v_mad_u32 v4, v0, s22, v4
	;; [unrolled: 1-line block ×3, first 2 shown]
.LBB71_1190:
	s_wait_loadcnt 0x0
	v_mov_b32_e32 v5, 0
	s_and_b32 s0, s34, 0xff
	s_delay_alu instid0(SALU_CYCLE_1) | instskip(NEXT) | instid1(VALU_DEP_1)
	s_cmp_lt_i32 s0, 11
	v_add_nc_u64_e32 v[8:9], s[6:7], v[4:5]
	s_cbranch_scc1 .LBB71_1197
; %bb.1191:
	s_and_b32 s1, 0xffff, s0
	s_mov_b32 s7, 0
	s_cmp_gt_i32 s1, 25
	s_cbranch_scc0 .LBB71_1198
; %bb.1192:
	s_cmp_gt_i32 s1, 28
	s_cbranch_scc0 .LBB71_1199
; %bb.1193:
	;; [unrolled: 3-line block ×4, first 2 shown]
	s_cmp_eq_u32 s1, 46
	s_mov_b32 s14, 0
	s_cbranch_scc0 .LBB71_1204
; %bb.1196:
	global_load_b32 v0, v[8:9], off
	s_mov_b32 s6, 0
	s_mov_b32 s12, -1
	s_wait_loadcnt 0x0
	v_lshlrev_b32_e32 v0, 16, v0
	s_delay_alu instid0(VALU_DEP_1)
	v_cvt_i32_f32_e32 v4, v0
	s_branch .LBB71_1206
.LBB71_1197:
	s_mov_b32 s1, -1
	s_mov_b32 s12, 0
	s_mov_b32 s7, 0
	;; [unrolled: 1-line block ×3, first 2 shown]
                                        ; implicit-def: $vgpr4
	s_branch .LBB71_1265
.LBB71_1198:
	s_mov_b32 s14, -1
	s_mov_b32 s12, 0
	s_mov_b32 s6, s48
                                        ; implicit-def: $vgpr4
	s_branch .LBB71_1233
.LBB71_1199:
	s_mov_b32 s14, -1
	s_mov_b32 s12, 0
	s_mov_b32 s6, s48
                                        ; implicit-def: $vgpr4
	s_branch .LBB71_1216
.LBB71_1200:
	s_mov_b32 s14, -1
	s_mov_b32 s12, 0
	s_mov_b32 s6, s48
                                        ; implicit-def: $vgpr4
	s_branch .LBB71_1211
.LBB71_1201:
	s_mov_b32 s14, -1
	s_mov_b32 s12, 0
	s_mov_b32 s6, s48
	s_branch .LBB71_1205
.LBB71_1202:
	s_and_not1_saveexec_b32 s53, s53
	s_cbranch_execz .LBB71_1084
.LBB71_1203:
	v_add_f32_e32 v1, 0x46000000, v4
	s_and_not1_b32 s52, s52, exec_lo
	s_delay_alu instid0(VALU_DEP_1) | instskip(NEXT) | instid1(VALU_DEP_1)
	v_and_b32_e32 v1, 0xff, v1
	v_cmp_ne_u32_e32 vcc_lo, 0, v1
	s_and_b32 s54, vcc_lo, exec_lo
	s_delay_alu instid0(SALU_CYCLE_1)
	s_or_b32 s52, s52, s54
	s_or_b32 exec_lo, exec_lo, s53
	v_mov_b32_e32 v5, 0
	s_and_saveexec_b32 s53, s52
	s_cbranch_execnz .LBB71_1085
	s_branch .LBB71_1086
.LBB71_1204:
	s_mov_b32 s6, -1
	s_mov_b32 s12, 0
.LBB71_1205:
                                        ; implicit-def: $vgpr4
.LBB71_1206:
	s_and_b32 vcc_lo, exec_lo, s14
	s_cbranch_vccz .LBB71_1210
; %bb.1207:
	s_cmp_eq_u32 s1, 44
	s_cbranch_scc0 .LBB71_1209
; %bb.1208:
	global_load_u8 v0, v[8:9], off
	s_mov_b32 s6, 0
	s_mov_b32 s12, -1
	s_wait_loadcnt 0x0
	v_lshlrev_b32_e32 v1, 23, v0
	v_cmp_ne_u32_e32 vcc_lo, 0, v0
	s_delay_alu instid0(VALU_DEP_2) | instskip(NEXT) | instid1(VALU_DEP_1)
	v_cvt_i32_f32_e32 v1, v1
	v_cndmask_b32_e32 v4, 0, v1, vcc_lo
	s_branch .LBB71_1210
.LBB71_1209:
	s_mov_b32 s6, -1
                                        ; implicit-def: $vgpr4
.LBB71_1210:
	s_mov_b32 s14, 0
.LBB71_1211:
	s_delay_alu instid0(SALU_CYCLE_1)
	s_and_b32 vcc_lo, exec_lo, s14
	s_cbranch_vccz .LBB71_1215
; %bb.1212:
	s_cmp_eq_u32 s1, 29
	s_cbranch_scc0 .LBB71_1214
; %bb.1213:
	global_load_b64 v[4:5], v[8:9], off
	s_mov_b32 s6, 0
	s_mov_b32 s12, -1
	s_branch .LBB71_1215
.LBB71_1214:
	s_mov_b32 s6, -1
                                        ; implicit-def: $vgpr4
.LBB71_1215:
	s_mov_b32 s14, 0
.LBB71_1216:
	s_delay_alu instid0(SALU_CYCLE_1)
	s_and_b32 vcc_lo, exec_lo, s14
	s_cbranch_vccz .LBB71_1232
; %bb.1217:
	s_cmp_lt_i32 s1, 27
	s_cbranch_scc1 .LBB71_1220
; %bb.1218:
	s_cmp_gt_i32 s1, 27
	s_cbranch_scc0 .LBB71_1221
; %bb.1219:
	s_wait_loadcnt 0x0
	global_load_b32 v4, v[8:9], off
	s_mov_b32 s12, 0
	s_branch .LBB71_1222
.LBB71_1220:
	s_mov_b32 s12, -1
                                        ; implicit-def: $vgpr4
	s_branch .LBB71_1225
.LBB71_1221:
	s_mov_b32 s12, -1
                                        ; implicit-def: $vgpr4
.LBB71_1222:
	s_delay_alu instid0(SALU_CYCLE_1)
	s_and_not1_b32 vcc_lo, exec_lo, s12
	s_cbranch_vccnz .LBB71_1224
; %bb.1223:
	s_wait_loadcnt 0x0
	global_load_u16 v4, v[8:9], off
.LBB71_1224:
	s_mov_b32 s12, 0
.LBB71_1225:
	s_delay_alu instid0(SALU_CYCLE_1)
	s_and_not1_b32 vcc_lo, exec_lo, s12
	s_cbranch_vccnz .LBB71_1231
; %bb.1226:
	global_load_u8 v0, v[8:9], off
	s_mov_b32 s14, 0
	s_mov_b32 s12, exec_lo
	s_wait_loadcnt 0x0
	v_cmpx_lt_i16_e32 0x7f, v0
	s_xor_b32 s12, exec_lo, s12
	s_cbranch_execz .LBB71_1243
; %bb.1227:
	v_cmp_ne_u16_e32 vcc_lo, 0x80, v0
	s_and_b32 s14, vcc_lo, exec_lo
	s_and_not1_saveexec_b32 s12, s12
	s_cbranch_execnz .LBB71_1244
.LBB71_1228:
	s_or_b32 exec_lo, exec_lo, s12
	v_mov_b32_e32 v4, 0
	s_and_saveexec_b32 s12, s14
	s_cbranch_execz .LBB71_1230
.LBB71_1229:
	v_and_b32_e32 v1, 0xffff, v0
	s_delay_alu instid0(VALU_DEP_1) | instskip(SKIP_1) | instid1(VALU_DEP_2)
	v_and_b32_e32 v3, 7, v1
	v_bfe_u32 v7, v1, 3, 4
	v_clz_i32_u32_e32 v4, v3
	s_delay_alu instid0(VALU_DEP_2) | instskip(NEXT) | instid1(VALU_DEP_2)
	v_cmp_eq_u32_e32 vcc_lo, 0, v7
	v_min_u32_e32 v4, 32, v4
	s_delay_alu instid0(VALU_DEP_1) | instskip(NEXT) | instid1(VALU_DEP_1)
	v_subrev_nc_u32_e32 v5, 28, v4
	v_dual_lshlrev_b32 v1, v5, v1 :: v_dual_sub_nc_u32 v4, 29, v4
	s_delay_alu instid0(VALU_DEP_1) | instskip(NEXT) | instid1(VALU_DEP_1)
	v_dual_lshlrev_b32 v0, 24, v0 :: v_dual_bitop2_b32 v1, 7, v1 bitop3:0x40
	v_cndmask_b32_e32 v1, v3, v1, vcc_lo
	s_delay_alu instid0(VALU_DEP_3) | instskip(NEXT) | instid1(VALU_DEP_3)
	v_cndmask_b32_e32 v4, v7, v4, vcc_lo
	v_and_b32_e32 v0, 0x80000000, v0
	s_delay_alu instid0(VALU_DEP_3) | instskip(NEXT) | instid1(VALU_DEP_3)
	v_lshlrev_b32_e32 v1, 20, v1
	v_lshl_add_u32 v3, v4, 23, 0x3b800000
	s_delay_alu instid0(VALU_DEP_1) | instskip(NEXT) | instid1(VALU_DEP_1)
	v_or3_b32 v0, v0, v3, v1
	v_cvt_i32_f32_e32 v4, v0
.LBB71_1230:
	s_or_b32 exec_lo, exec_lo, s12
.LBB71_1231:
	s_mov_b32 s12, -1
.LBB71_1232:
	s_mov_b32 s14, 0
.LBB71_1233:
	s_delay_alu instid0(SALU_CYCLE_1)
	s_and_b32 vcc_lo, exec_lo, s14
	s_cbranch_vccz .LBB71_1264
; %bb.1234:
	s_cmp_gt_i32 s1, 22
	s_cbranch_scc0 .LBB71_1242
; %bb.1235:
	s_cmp_lt_i32 s1, 24
	s_cbranch_scc1 .LBB71_1245
; %bb.1236:
	s_cmp_gt_i32 s1, 24
	s_cbranch_scc0 .LBB71_1246
; %bb.1237:
	global_load_u8 v0, v[8:9], off
	s_mov_b32 s12, 0
	s_mov_b32 s7, exec_lo
	s_wait_loadcnt 0x0
	v_cmpx_lt_i16_e32 0x7f, v0
	s_xor_b32 s7, exec_lo, s7
	s_cbranch_execz .LBB71_1258
; %bb.1238:
	v_cmp_ne_u16_e32 vcc_lo, 0x80, v0
	s_and_b32 s12, vcc_lo, exec_lo
	s_and_not1_saveexec_b32 s7, s7
	s_cbranch_execnz .LBB71_1259
.LBB71_1239:
	s_or_b32 exec_lo, exec_lo, s7
	v_mov_b32_e32 v4, 0
	s_and_saveexec_b32 s7, s12
	s_cbranch_execz .LBB71_1241
.LBB71_1240:
	v_and_b32_e32 v1, 0xffff, v0
	s_delay_alu instid0(VALU_DEP_1) | instskip(SKIP_1) | instid1(VALU_DEP_2)
	v_and_b32_e32 v3, 3, v1
	v_bfe_u32 v7, v1, 2, 5
	v_clz_i32_u32_e32 v4, v3
	s_delay_alu instid0(VALU_DEP_2) | instskip(NEXT) | instid1(VALU_DEP_2)
	v_cmp_eq_u32_e32 vcc_lo, 0, v7
	v_min_u32_e32 v4, 32, v4
	s_delay_alu instid0(VALU_DEP_1) | instskip(NEXT) | instid1(VALU_DEP_1)
	v_subrev_nc_u32_e32 v5, 29, v4
	v_dual_lshlrev_b32 v1, v5, v1 :: v_dual_sub_nc_u32 v4, 30, v4
	s_delay_alu instid0(VALU_DEP_1) | instskip(NEXT) | instid1(VALU_DEP_1)
	v_dual_lshlrev_b32 v0, 24, v0 :: v_dual_bitop2_b32 v1, 3, v1 bitop3:0x40
	v_cndmask_b32_e32 v1, v3, v1, vcc_lo
	s_delay_alu instid0(VALU_DEP_3) | instskip(NEXT) | instid1(VALU_DEP_3)
	v_cndmask_b32_e32 v4, v7, v4, vcc_lo
	v_and_b32_e32 v0, 0x80000000, v0
	s_delay_alu instid0(VALU_DEP_3) | instskip(NEXT) | instid1(VALU_DEP_3)
	v_lshlrev_b32_e32 v1, 21, v1
	v_lshl_add_u32 v3, v4, 23, 0x37800000
	s_delay_alu instid0(VALU_DEP_1) | instskip(NEXT) | instid1(VALU_DEP_1)
	v_or3_b32 v0, v0, v3, v1
	v_cvt_i32_f32_e32 v4, v0
.LBB71_1241:
	s_or_b32 exec_lo, exec_lo, s7
	s_mov_b32 s7, 0
	s_branch .LBB71_1247
.LBB71_1242:
	s_mov_b32 s7, -1
                                        ; implicit-def: $vgpr4
	s_branch .LBB71_1253
.LBB71_1243:
	s_and_not1_saveexec_b32 s12, s12
	s_cbranch_execz .LBB71_1228
.LBB71_1244:
	v_cmp_ne_u16_e32 vcc_lo, 0, v0
	s_and_not1_b32 s14, s14, exec_lo
	s_and_b32 s15, vcc_lo, exec_lo
	s_delay_alu instid0(SALU_CYCLE_1)
	s_or_b32 s14, s14, s15
	s_or_b32 exec_lo, exec_lo, s12
	v_mov_b32_e32 v4, 0
	s_and_saveexec_b32 s12, s14
	s_cbranch_execnz .LBB71_1229
	s_branch .LBB71_1230
.LBB71_1245:
	s_mov_b32 s7, -1
                                        ; implicit-def: $vgpr4
	s_branch .LBB71_1250
.LBB71_1246:
	s_mov_b32 s7, -1
                                        ; implicit-def: $vgpr4
.LBB71_1247:
	s_delay_alu instid0(SALU_CYCLE_1)
	s_and_b32 vcc_lo, exec_lo, s7
	s_cbranch_vccz .LBB71_1249
; %bb.1248:
	global_load_u8 v0, v[8:9], off
	s_wait_loadcnt 0x0
	v_lshlrev_b32_e32 v0, 24, v0
	s_delay_alu instid0(VALU_DEP_1) | instskip(NEXT) | instid1(VALU_DEP_1)
	v_and_b32_e32 v1, 0x7f000000, v0
	v_clz_i32_u32_e32 v3, v1
	v_add_nc_u32_e32 v5, 0x1000000, v1
	v_cmp_ne_u32_e32 vcc_lo, 0, v1
	s_delay_alu instid0(VALU_DEP_3) | instskip(NEXT) | instid1(VALU_DEP_1)
	v_min_u32_e32 v3, 32, v3
	v_sub_nc_u32_e64 v3, v3, 4 clamp
	s_delay_alu instid0(VALU_DEP_1) | instskip(NEXT) | instid1(VALU_DEP_1)
	v_dual_lshlrev_b32 v4, v3, v1 :: v_dual_lshlrev_b32 v3, 23, v3
	v_lshrrev_b32_e32 v4, 4, v4
	s_delay_alu instid0(VALU_DEP_1) | instskip(NEXT) | instid1(VALU_DEP_1)
	v_dual_sub_nc_u32 v3, v4, v3 :: v_dual_ashrrev_i32 v4, 8, v5
	v_add_nc_u32_e32 v3, 0x3c000000, v3
	s_delay_alu instid0(VALU_DEP_1) | instskip(NEXT) | instid1(VALU_DEP_1)
	v_and_or_b32 v3, 0x7f800000, v4, v3
	v_cndmask_b32_e32 v1, 0, v3, vcc_lo
	s_delay_alu instid0(VALU_DEP_1) | instskip(NEXT) | instid1(VALU_DEP_1)
	v_and_or_b32 v0, 0x80000000, v0, v1
	v_cvt_i32_f32_e32 v4, v0
.LBB71_1249:
	s_mov_b32 s7, 0
.LBB71_1250:
	s_delay_alu instid0(SALU_CYCLE_1)
	s_and_not1_b32 vcc_lo, exec_lo, s7
	s_cbranch_vccnz .LBB71_1252
; %bb.1251:
	global_load_u8 v0, v[8:9], off
	s_wait_loadcnt 0x0
	v_lshlrev_b32_e32 v1, 25, v0
	v_lshlrev_b16 v0, 8, v0
	s_delay_alu instid0(VALU_DEP_2) | instskip(NEXT) | instid1(VALU_DEP_2)
	v_cmp_gt_u32_e32 vcc_lo, 0x8000000, v1
	v_and_or_b32 v4, 0x7f00, v0, 0.5
	v_lshrrev_b32_e32 v3, 4, v1
	v_bfe_i32 v0, v0, 0, 16
	s_delay_alu instid0(VALU_DEP_3) | instskip(NEXT) | instid1(VALU_DEP_3)
	v_add_f32_e32 v4, -0.5, v4
	v_or_b32_e32 v3, 0x70000000, v3
	s_delay_alu instid0(VALU_DEP_1) | instskip(NEXT) | instid1(VALU_DEP_1)
	v_mul_f32_e32 v3, 0x7800000, v3
	v_cndmask_b32_e32 v1, v3, v4, vcc_lo
	s_delay_alu instid0(VALU_DEP_1) | instskip(NEXT) | instid1(VALU_DEP_1)
	v_and_or_b32 v0, 0x80000000, v0, v1
	v_cvt_i32_f32_e32 v4, v0
.LBB71_1252:
	s_mov_b32 s7, 0
	s_mov_b32 s12, -1
.LBB71_1253:
	s_and_not1_b32 vcc_lo, exec_lo, s7
	s_mov_b32 s7, 0
	s_cbranch_vccnz .LBB71_1264
; %bb.1254:
	s_cmp_gt_i32 s1, 14
	s_cbranch_scc0 .LBB71_1257
; %bb.1255:
	s_cmp_eq_u32 s1, 15
	s_cbranch_scc0 .LBB71_1260
; %bb.1256:
	global_load_u16 v0, v[8:9], off
	s_mov_b32 s6, 0
	s_mov_b32 s12, -1
	s_wait_loadcnt 0x0
	v_lshlrev_b32_e32 v0, 16, v0
	s_delay_alu instid0(VALU_DEP_1)
	v_cvt_i32_f32_e32 v4, v0
	s_branch .LBB71_1262
.LBB71_1257:
	s_mov_b32 s7, -1
	s_branch .LBB71_1261
.LBB71_1258:
	s_and_not1_saveexec_b32 s7, s7
	s_cbranch_execz .LBB71_1239
.LBB71_1259:
	v_cmp_ne_u16_e32 vcc_lo, 0, v0
	s_and_not1_b32 s12, s12, exec_lo
	s_and_b32 s14, vcc_lo, exec_lo
	s_delay_alu instid0(SALU_CYCLE_1)
	s_or_b32 s12, s12, s14
	s_or_b32 exec_lo, exec_lo, s7
	v_mov_b32_e32 v4, 0
	s_and_saveexec_b32 s7, s12
	s_cbranch_execnz .LBB71_1240
	s_branch .LBB71_1241
.LBB71_1260:
	s_mov_b32 s6, -1
.LBB71_1261:
                                        ; implicit-def: $vgpr4
.LBB71_1262:
	s_and_b32 vcc_lo, exec_lo, s7
	s_mov_b32 s7, 0
	s_cbranch_vccz .LBB71_1264
; %bb.1263:
	s_cmp_lg_u32 s1, 11
	s_mov_b32 s7, -1
	s_cselect_b32 s1, -1, 0
	s_and_not1_b32 s6, s6, exec_lo
	s_and_b32 s1, s1, exec_lo
	s_delay_alu instid0(SALU_CYCLE_1)
	s_or_b32 s6, s6, s1
.LBB71_1264:
	s_mov_b32 s1, 0
.LBB71_1265:
	s_delay_alu instid0(SALU_CYCLE_1)
	s_and_b32 s51, s1, exec_lo
	s_and_not1_b32 s1, s48, exec_lo
	s_and_b32 s6, s6, exec_lo
	s_and_b32 s26, s12, exec_lo
	;; [unrolled: 1-line block ×3, first 2 shown]
	s_or_b32 s52, s1, s6
.LBB71_1266:
	s_wait_xcnt 0x0
	s_or_b32 exec_lo, exec_lo, s37
	s_delay_alu instid0(SALU_CYCLE_1)
	s_and_not1_b32 s1, s48, exec_lo
	s_and_b32 s6, s52, exec_lo
	s_and_b32 s26, s26, exec_lo
	;; [unrolled: 1-line block ×4, first 2 shown]
	s_or_b32 s48, s1, s6
.LBB71_1267:
	s_or_b32 exec_lo, exec_lo, s47
	s_delay_alu instid0(SALU_CYCLE_1)
	s_and_not1_b32 s1, s44, exec_lo
	s_and_b32 s6, s49, exec_lo
	s_and_not1_b32 s7, s45, exec_lo
	s_and_b32 s12, s50, exec_lo
	s_or_b32 s44, s1, s6
	s_and_not1_b32 s1, s43, exec_lo
	s_and_b32 s6, s48, exec_lo
	s_or_b32 s45, s7, s12
	s_and_b32 s26, s26, exec_lo
	s_and_b32 s47, s51, exec_lo
	;; [unrolled: 1-line block ×3, first 2 shown]
	s_or_b32 s43, s1, s6
.LBB71_1268:
	s_or_b32 exec_lo, exec_lo, s46
	s_delay_alu instid0(SALU_CYCLE_1)
	s_and_not1_b32 s1, s39, exec_lo
	s_and_b32 s6, s44, exec_lo
	s_and_not1_b32 s7, s40, exec_lo
	s_and_b32 s12, s45, exec_lo
	s_or_b32 s39, s1, s6
	s_and_not1_b32 s1, s41, exec_lo
	s_and_b32 s6, s43, exec_lo
	s_or_b32 s40, s7, s12
	s_and_b32 s26, s26, exec_lo
	s_and_b32 s44, s47, exec_lo
	;; [unrolled: 1-line block ×3, first 2 shown]
	s_or_b32 s41, s1, s6
	s_or_b32 exec_lo, exec_lo, s42
	s_mov_b32 s1, 0
	s_and_saveexec_b32 s6, s41
	s_cbranch_execz .LBB71_394
.LBB71_1269:
	s_mov_b32 s1, exec_lo
	s_and_not1_b32 s21, s21, exec_lo
	s_trap 2
	s_or_b32 exec_lo, exec_lo, s6
	s_and_saveexec_b32 s6, s21
	s_delay_alu instid0(SALU_CYCLE_1)
	s_xor_b32 s6, exec_lo, s6
	s_cbranch_execnz .LBB71_395
.LBB71_1270:
	s_or_b32 exec_lo, exec_lo, s6
	s_and_saveexec_b32 s6, s44
	s_cbranch_execz .LBB71_1316
.LBB71_1271:
	s_sext_i32_i16 s7, s0
	s_delay_alu instid0(SALU_CYCLE_1)
	s_cmp_lt_i32 s7, 5
	s_cbranch_scc1 .LBB71_1276
; %bb.1272:
	s_cmp_lt_i32 s7, 8
	s_cbranch_scc1 .LBB71_1277
; %bb.1273:
	;; [unrolled: 3-line block ×3, first 2 shown]
	s_cmp_gt_i32 s7, 9
	s_cbranch_scc0 .LBB71_1279
; %bb.1275:
	s_wait_loadcnt 0x0
	global_load_b64 v[0:1], v[8:9], off
	s_mov_b32 s7, 0
	s_wait_loadcnt 0x0
	v_cvt_i32_f64_e32 v4, v[0:1]
	s_branch .LBB71_1280
.LBB71_1276:
                                        ; implicit-def: $vgpr4
	s_branch .LBB71_1297
.LBB71_1277:
                                        ; implicit-def: $vgpr4
	s_branch .LBB71_1286
.LBB71_1278:
	s_mov_b32 s7, -1
                                        ; implicit-def: $vgpr4
	s_branch .LBB71_1283
.LBB71_1279:
	s_mov_b32 s7, -1
                                        ; implicit-def: $vgpr4
.LBB71_1280:
	s_delay_alu instid0(SALU_CYCLE_1)
	s_and_not1_b32 vcc_lo, exec_lo, s7
	s_cbranch_vccnz .LBB71_1282
; %bb.1281:
	s_wait_loadcnt 0x0
	global_load_b32 v0, v[8:9], off
	s_wait_loadcnt 0x0
	v_cvt_i32_f32_e32 v4, v0
.LBB71_1282:
	s_mov_b32 s7, 0
.LBB71_1283:
	s_delay_alu instid0(SALU_CYCLE_1)
	s_and_not1_b32 vcc_lo, exec_lo, s7
	s_cbranch_vccnz .LBB71_1285
; %bb.1284:
	s_wait_loadcnt 0x0
	global_load_b32 v0, v[8:9], off
	s_wait_loadcnt 0x0
	v_cvt_i16_f16_e32 v4, v0
.LBB71_1285:
	s_cbranch_execnz .LBB71_1296
.LBB71_1286:
	s_sext_i32_i16 s7, s0
	s_delay_alu instid0(SALU_CYCLE_1)
	s_cmp_lt_i32 s7, 6
	s_cbranch_scc1 .LBB71_1289
; %bb.1287:
	s_cmp_gt_i32 s7, 6
	s_cbranch_scc0 .LBB71_1290
; %bb.1288:
	s_wait_loadcnt 0x0
	global_load_b64 v[0:1], v[8:9], off
	s_mov_b32 s7, 0
	s_wait_loadcnt 0x0
	v_cvt_i32_f64_e32 v4, v[0:1]
	s_branch .LBB71_1291
.LBB71_1289:
	s_mov_b32 s7, -1
                                        ; implicit-def: $vgpr4
	s_branch .LBB71_1294
.LBB71_1290:
	s_mov_b32 s7, -1
                                        ; implicit-def: $vgpr4
.LBB71_1291:
	s_delay_alu instid0(SALU_CYCLE_1)
	s_and_not1_b32 vcc_lo, exec_lo, s7
	s_cbranch_vccnz .LBB71_1293
; %bb.1292:
	s_wait_loadcnt 0x0
	global_load_b32 v0, v[8:9], off
	s_wait_loadcnt 0x0
	v_cvt_i32_f32_e32 v4, v0
.LBB71_1293:
	s_mov_b32 s7, 0
.LBB71_1294:
	s_delay_alu instid0(SALU_CYCLE_1)
	s_and_not1_b32 vcc_lo, exec_lo, s7
	s_cbranch_vccnz .LBB71_1296
; %bb.1295:
	s_wait_loadcnt 0x0
	global_load_u16 v0, v[8:9], off
	s_wait_loadcnt 0x0
	v_cvt_i16_f16_e32 v4, v0
.LBB71_1296:
	s_cbranch_execnz .LBB71_1315
.LBB71_1297:
	s_sext_i32_i16 s7, s0
	s_delay_alu instid0(SALU_CYCLE_1)
	s_cmp_lt_i32 s7, 2
	s_cbranch_scc1 .LBB71_1301
; %bb.1298:
	s_cmp_lt_i32 s7, 3
	s_cbranch_scc1 .LBB71_1302
; %bb.1299:
	s_cmp_gt_i32 s7, 3
	s_cbranch_scc0 .LBB71_1303
; %bb.1300:
	s_wait_loadcnt 0x0
	global_load_b64 v[4:5], v[8:9], off
	s_mov_b32 s7, 0
	s_branch .LBB71_1304
.LBB71_1301:
                                        ; implicit-def: $vgpr4
	s_branch .LBB71_1310
.LBB71_1302:
	s_mov_b32 s7, -1
                                        ; implicit-def: $vgpr4
	s_branch .LBB71_1307
.LBB71_1303:
	s_mov_b32 s7, -1
                                        ; implicit-def: $vgpr4
.LBB71_1304:
	s_delay_alu instid0(SALU_CYCLE_1)
	s_and_not1_b32 vcc_lo, exec_lo, s7
	s_cbranch_vccnz .LBB71_1306
; %bb.1305:
	s_wait_loadcnt 0x0
	global_load_b32 v4, v[8:9], off
.LBB71_1306:
	s_mov_b32 s7, 0
.LBB71_1307:
	s_delay_alu instid0(SALU_CYCLE_1)
	s_and_not1_b32 vcc_lo, exec_lo, s7
	s_cbranch_vccnz .LBB71_1309
; %bb.1308:
	s_wait_loadcnt 0x0
	global_load_u16 v4, v[8:9], off
.LBB71_1309:
	s_cbranch_execnz .LBB71_1315
.LBB71_1310:
	s_sext_i32_i16 s0, s0
	s_delay_alu instid0(SALU_CYCLE_1)
	s_cmp_gt_i32 s0, 0
	s_mov_b32 s0, 0
	s_cbranch_scc0 .LBB71_1312
; %bb.1311:
	s_wait_loadcnt 0x0
	global_load_i8 v4, v[8:9], off
	s_branch .LBB71_1313
.LBB71_1312:
	s_mov_b32 s0, -1
                                        ; implicit-def: $vgpr4
.LBB71_1313:
	s_delay_alu instid0(SALU_CYCLE_1)
	s_and_not1_b32 vcc_lo, exec_lo, s0
	s_cbranch_vccnz .LBB71_1315
; %bb.1314:
	s_wait_loadcnt 0x0
	global_load_u8 v4, v[8:9], off
.LBB71_1315:
	s_or_b32 s26, s26, exec_lo
.LBB71_1316:
	s_wait_xcnt 0x0
	s_or_b32 exec_lo, exec_lo, s6
	s_mov_b32 s14, 0
	s_mov_b32 s7, 0
	;; [unrolled: 1-line block ×3, first 2 shown]
                                        ; implicit-def: $sgpr0
                                        ; implicit-def: $vgpr0_vgpr1
                                        ; implicit-def: $vgpr8
	s_and_saveexec_b32 s6, s26
	s_cbranch_execz .LBB71_1324
; %bb.1317:
	v_mov_b32_e32 v7, 0
	s_and_b32 s0, s13, 0xff
	s_delay_alu instid0(SALU_CYCLE_1) | instskip(NEXT) | instid1(VALU_DEP_1)
	s_cmp_lt_i32 s0, 11
	v_add_nc_u64_e32 v[0:1], s[8:9], v[6:7]
	s_cbranch_scc1 .LBB71_1327
; %bb.1318:
	s_and_b32 s7, 0xffff, s0
	s_mov_b32 s9, 0
	s_cmp_gt_i32 s7, 25
	s_cbranch_scc0 .LBB71_1328
; %bb.1319:
	s_cmp_gt_i32 s7, 28
	s_cbranch_scc0 .LBB71_1329
; %bb.1320:
	;; [unrolled: 3-line block ×4, first 2 shown]
	s_cmp_eq_u32 s7, 46
	s_mov_b32 s13, 0
	s_cbranch_scc0 .LBB71_1332
; %bb.1323:
	global_load_b32 v3, v[0:1], off
	s_mov_b32 s8, 0
	s_mov_b32 s12, -1
	s_wait_loadcnt 0x0
	v_lshlrev_b32_e32 v3, 16, v3
	s_delay_alu instid0(VALU_DEP_1)
	v_cvt_i32_f32_e32 v8, v3
	s_branch .LBB71_1334
.LBB71_1324:
	s_or_b32 exec_lo, exec_lo, s6
	s_and_saveexec_b32 s6, s40
	s_cbranch_execnz .LBB71_1393
.LBB71_1325:
	s_or_b32 exec_lo, exec_lo, s6
	s_and_saveexec_b32 s6, s14
	s_delay_alu instid0(SALU_CYCLE_1)
	s_xor_b32 s6, exec_lo, s6
	s_cbranch_execz .LBB71_1394
.LBB71_1326:
	global_load_u8 v3, v[0:1], off
	s_or_b32 s12, s12, exec_lo
	s_wait_loadcnt 0x0
	v_cmp_ne_u16_e32 vcc_lo, 0, v3
	v_cndmask_b32_e64 v8, 0, 1, vcc_lo
	s_wait_xcnt 0x0
	s_or_b32 exec_lo, exec_lo, s6
	s_and_saveexec_b32 s6, s7
	s_cbranch_execz .LBB71_1440
	s_branch .LBB71_1395
.LBB71_1327:
	s_mov_b32 s7, -1
	s_mov_b32 s9, 0
	s_mov_b32 s8, s40
                                        ; implicit-def: $vgpr8
	s_branch .LBB71_1392
.LBB71_1328:
	s_mov_b32 s8, s40
                                        ; implicit-def: $vgpr8
	s_cbranch_execnz .LBB71_1361
	s_branch .LBB71_1391
.LBB71_1329:
	s_mov_b32 s13, -1
	s_mov_b32 s8, s40
                                        ; implicit-def: $vgpr8
	s_branch .LBB71_1344
.LBB71_1330:
	s_mov_b32 s13, -1
	s_mov_b32 s8, s40
                                        ; implicit-def: $vgpr8
	s_branch .LBB71_1339
.LBB71_1331:
	s_mov_b32 s13, -1
	s_mov_b32 s8, s40
	s_branch .LBB71_1333
.LBB71_1332:
	s_mov_b32 s8, -1
.LBB71_1333:
                                        ; implicit-def: $vgpr8
.LBB71_1334:
	s_and_b32 vcc_lo, exec_lo, s13
	s_cbranch_vccz .LBB71_1338
; %bb.1335:
	s_cmp_eq_u32 s7, 44
	s_cbranch_scc0 .LBB71_1337
; %bb.1336:
	global_load_u8 v3, v[0:1], off
	s_mov_b32 s8, 0
	s_mov_b32 s12, -1
	s_wait_loadcnt 0x0
	v_lshlrev_b32_e32 v5, 23, v3
	v_cmp_ne_u32_e32 vcc_lo, 0, v3
	s_delay_alu instid0(VALU_DEP_2) | instskip(NEXT) | instid1(VALU_DEP_1)
	v_cvt_i32_f32_e32 v5, v5
	v_cndmask_b32_e32 v8, 0, v5, vcc_lo
	s_branch .LBB71_1338
.LBB71_1337:
	s_mov_b32 s8, -1
                                        ; implicit-def: $vgpr8
.LBB71_1338:
	s_mov_b32 s13, 0
.LBB71_1339:
	s_delay_alu instid0(SALU_CYCLE_1)
	s_and_b32 vcc_lo, exec_lo, s13
	s_cbranch_vccz .LBB71_1343
; %bb.1340:
	s_cmp_eq_u32 s7, 29
	s_cbranch_scc0 .LBB71_1342
; %bb.1341:
	s_wait_loadcnt 0x0
	global_load_b64 v[8:9], v[0:1], off
	s_mov_b32 s8, 0
	s_mov_b32 s12, -1
	s_branch .LBB71_1343
.LBB71_1342:
	s_mov_b32 s8, -1
                                        ; implicit-def: $vgpr8
.LBB71_1343:
	s_mov_b32 s13, 0
.LBB71_1344:
	s_delay_alu instid0(SALU_CYCLE_1)
	s_and_b32 vcc_lo, exec_lo, s13
	s_cbranch_vccz .LBB71_1360
; %bb.1345:
	s_cmp_lt_i32 s7, 27
	s_cbranch_scc1 .LBB71_1348
; %bb.1346:
	s_cmp_gt_i32 s7, 27
	s_cbranch_scc0 .LBB71_1349
; %bb.1347:
	s_wait_loadcnt 0x0
	global_load_b32 v8, v[0:1], off
	s_mov_b32 s12, 0
	s_branch .LBB71_1350
.LBB71_1348:
	s_mov_b32 s12, -1
                                        ; implicit-def: $vgpr8
	s_branch .LBB71_1353
.LBB71_1349:
	s_mov_b32 s12, -1
                                        ; implicit-def: $vgpr8
.LBB71_1350:
	s_delay_alu instid0(SALU_CYCLE_1)
	s_and_not1_b32 vcc_lo, exec_lo, s12
	s_cbranch_vccnz .LBB71_1352
; %bb.1351:
	s_wait_loadcnt 0x0
	global_load_u16 v8, v[0:1], off
.LBB71_1352:
	s_mov_b32 s12, 0
.LBB71_1353:
	s_delay_alu instid0(SALU_CYCLE_1)
	s_and_not1_b32 vcc_lo, exec_lo, s12
	s_cbranch_vccnz .LBB71_1359
; %bb.1354:
	global_load_u8 v3, v[0:1], off
	s_mov_b32 s13, 0
	s_mov_b32 s12, exec_lo
	s_wait_loadcnt 0x0
	v_cmpx_lt_i16_e32 0x7f, v3
	s_xor_b32 s12, exec_lo, s12
	s_cbranch_execz .LBB71_1370
; %bb.1355:
	v_cmp_ne_u16_e32 vcc_lo, 0x80, v3
	s_and_b32 s13, vcc_lo, exec_lo
	s_and_not1_saveexec_b32 s12, s12
	s_cbranch_execnz .LBB71_1371
.LBB71_1356:
	s_or_b32 exec_lo, exec_lo, s12
	v_mov_b32_e32 v8, 0
	s_and_saveexec_b32 s12, s13
	s_cbranch_execz .LBB71_1358
.LBB71_1357:
	v_and_b32_e32 v5, 0xffff, v3
	s_delay_alu instid0(VALU_DEP_1) | instskip(SKIP_1) | instid1(VALU_DEP_2)
	v_and_b32_e32 v6, 7, v5
	v_bfe_u32 v9, v5, 3, 4
	v_clz_i32_u32_e32 v7, v6
	s_delay_alu instid0(VALU_DEP_2) | instskip(NEXT) | instid1(VALU_DEP_2)
	v_cmp_eq_u32_e32 vcc_lo, 0, v9
	v_min_u32_e32 v7, 32, v7
	s_delay_alu instid0(VALU_DEP_1) | instskip(NEXT) | instid1(VALU_DEP_1)
	v_subrev_nc_u32_e32 v8, 28, v7
	v_dual_lshlrev_b32 v5, v8, v5 :: v_dual_sub_nc_u32 v7, 29, v7
	s_delay_alu instid0(VALU_DEP_1) | instskip(NEXT) | instid1(VALU_DEP_1)
	v_dual_lshlrev_b32 v3, 24, v3 :: v_dual_bitop2_b32 v5, 7, v5 bitop3:0x40
	v_dual_cndmask_b32 v5, v6, v5, vcc_lo :: v_dual_cndmask_b32 v7, v9, v7, vcc_lo
	s_delay_alu instid0(VALU_DEP_2) | instskip(NEXT) | instid1(VALU_DEP_2)
	v_and_b32_e32 v3, 0x80000000, v3
	v_lshlrev_b32_e32 v5, 20, v5
	s_delay_alu instid0(VALU_DEP_3) | instskip(NEXT) | instid1(VALU_DEP_1)
	v_lshl_add_u32 v6, v7, 23, 0x3b800000
	v_or3_b32 v3, v3, v6, v5
	s_delay_alu instid0(VALU_DEP_1)
	v_cvt_i32_f32_e32 v8, v3
.LBB71_1358:
	s_or_b32 exec_lo, exec_lo, s12
.LBB71_1359:
	s_mov_b32 s12, -1
.LBB71_1360:
	s_branch .LBB71_1391
.LBB71_1361:
	s_cmp_gt_i32 s7, 22
	s_cbranch_scc0 .LBB71_1369
; %bb.1362:
	s_cmp_lt_i32 s7, 24
	s_cbranch_scc1 .LBB71_1372
; %bb.1363:
	s_cmp_gt_i32 s7, 24
	s_cbranch_scc0 .LBB71_1373
; %bb.1364:
	global_load_u8 v3, v[0:1], off
	s_mov_b32 s12, 0
	s_mov_b32 s9, exec_lo
	s_wait_loadcnt 0x0
	v_cmpx_lt_i16_e32 0x7f, v3
	s_xor_b32 s9, exec_lo, s9
	s_cbranch_execz .LBB71_1385
; %bb.1365:
	v_cmp_ne_u16_e32 vcc_lo, 0x80, v3
	s_and_b32 s12, vcc_lo, exec_lo
	s_and_not1_saveexec_b32 s9, s9
	s_cbranch_execnz .LBB71_1386
.LBB71_1366:
	s_or_b32 exec_lo, exec_lo, s9
	v_mov_b32_e32 v8, 0
	s_and_saveexec_b32 s9, s12
	s_cbranch_execz .LBB71_1368
.LBB71_1367:
	v_and_b32_e32 v5, 0xffff, v3
	s_delay_alu instid0(VALU_DEP_1) | instskip(SKIP_1) | instid1(VALU_DEP_2)
	v_and_b32_e32 v6, 3, v5
	v_bfe_u32 v9, v5, 2, 5
	v_clz_i32_u32_e32 v7, v6
	s_delay_alu instid0(VALU_DEP_2) | instskip(NEXT) | instid1(VALU_DEP_2)
	v_cmp_eq_u32_e32 vcc_lo, 0, v9
	v_min_u32_e32 v7, 32, v7
	s_delay_alu instid0(VALU_DEP_1) | instskip(NEXT) | instid1(VALU_DEP_1)
	v_subrev_nc_u32_e32 v8, 29, v7
	v_dual_lshlrev_b32 v5, v8, v5 :: v_dual_sub_nc_u32 v7, 30, v7
	s_delay_alu instid0(VALU_DEP_1) | instskip(NEXT) | instid1(VALU_DEP_1)
	v_dual_lshlrev_b32 v3, 24, v3 :: v_dual_bitop2_b32 v5, 3, v5 bitop3:0x40
	v_dual_cndmask_b32 v5, v6, v5, vcc_lo :: v_dual_cndmask_b32 v7, v9, v7, vcc_lo
	s_delay_alu instid0(VALU_DEP_2) | instskip(NEXT) | instid1(VALU_DEP_2)
	v_and_b32_e32 v3, 0x80000000, v3
	v_lshlrev_b32_e32 v5, 21, v5
	s_delay_alu instid0(VALU_DEP_3) | instskip(NEXT) | instid1(VALU_DEP_1)
	v_lshl_add_u32 v6, v7, 23, 0x37800000
	v_or3_b32 v3, v3, v6, v5
	s_delay_alu instid0(VALU_DEP_1)
	v_cvt_i32_f32_e32 v8, v3
.LBB71_1368:
	s_or_b32 exec_lo, exec_lo, s9
	s_mov_b32 s9, 0
	s_branch .LBB71_1374
.LBB71_1369:
	s_mov_b32 s9, -1
                                        ; implicit-def: $vgpr8
	s_branch .LBB71_1380
.LBB71_1370:
	s_and_not1_saveexec_b32 s12, s12
	s_cbranch_execz .LBB71_1356
.LBB71_1371:
	v_cmp_ne_u16_e32 vcc_lo, 0, v3
	s_and_not1_b32 s13, s13, exec_lo
	s_and_b32 s14, vcc_lo, exec_lo
	s_delay_alu instid0(SALU_CYCLE_1)
	s_or_b32 s13, s13, s14
	s_or_b32 exec_lo, exec_lo, s12
	v_mov_b32_e32 v8, 0
	s_and_saveexec_b32 s12, s13
	s_cbranch_execnz .LBB71_1357
	s_branch .LBB71_1358
.LBB71_1372:
	s_mov_b32 s9, -1
                                        ; implicit-def: $vgpr8
	s_branch .LBB71_1377
.LBB71_1373:
	s_mov_b32 s9, -1
                                        ; implicit-def: $vgpr8
.LBB71_1374:
	s_delay_alu instid0(SALU_CYCLE_1)
	s_and_b32 vcc_lo, exec_lo, s9
	s_cbranch_vccz .LBB71_1376
; %bb.1375:
	global_load_u8 v3, v[0:1], off
	s_wait_loadcnt 0x0
	v_lshlrev_b32_e32 v3, 24, v3
	s_delay_alu instid0(VALU_DEP_1) | instskip(NEXT) | instid1(VALU_DEP_1)
	v_and_b32_e32 v5, 0x7f000000, v3
	v_clz_i32_u32_e32 v6, v5
	v_cmp_ne_u32_e32 vcc_lo, 0, v5
	v_add_nc_u32_e32 v8, 0x1000000, v5
	s_delay_alu instid0(VALU_DEP_3) | instskip(NEXT) | instid1(VALU_DEP_1)
	v_min_u32_e32 v6, 32, v6
	v_sub_nc_u32_e64 v6, v6, 4 clamp
	s_delay_alu instid0(VALU_DEP_1) | instskip(NEXT) | instid1(VALU_DEP_1)
	v_dual_lshlrev_b32 v7, v6, v5 :: v_dual_lshlrev_b32 v6, 23, v6
	v_lshrrev_b32_e32 v7, 4, v7
	s_delay_alu instid0(VALU_DEP_1) | instskip(NEXT) | instid1(VALU_DEP_1)
	v_dual_sub_nc_u32 v6, v7, v6 :: v_dual_ashrrev_i32 v7, 8, v8
	v_add_nc_u32_e32 v6, 0x3c000000, v6
	s_delay_alu instid0(VALU_DEP_1) | instskip(NEXT) | instid1(VALU_DEP_1)
	v_and_or_b32 v6, 0x7f800000, v7, v6
	v_cndmask_b32_e32 v5, 0, v6, vcc_lo
	s_delay_alu instid0(VALU_DEP_1) | instskip(NEXT) | instid1(VALU_DEP_1)
	v_and_or_b32 v3, 0x80000000, v3, v5
	v_cvt_i32_f32_e32 v8, v3
.LBB71_1376:
	s_mov_b32 s9, 0
.LBB71_1377:
	s_delay_alu instid0(SALU_CYCLE_1)
	s_and_not1_b32 vcc_lo, exec_lo, s9
	s_cbranch_vccnz .LBB71_1379
; %bb.1378:
	global_load_u8 v3, v[0:1], off
	s_wait_loadcnt 0x0
	v_lshlrev_b32_e32 v5, 25, v3
	v_lshlrev_b16 v3, 8, v3
	s_delay_alu instid0(VALU_DEP_1) | instskip(NEXT) | instid1(VALU_DEP_3)
	v_and_or_b32 v7, 0x7f00, v3, 0.5
	v_lshrrev_b32_e32 v6, 4, v5
	v_bfe_i32 v3, v3, 0, 16
	s_delay_alu instid0(VALU_DEP_3) | instskip(NEXT) | instid1(VALU_DEP_3)
	v_add_f32_e32 v7, -0.5, v7
	v_or_b32_e32 v6, 0x70000000, v6
	s_delay_alu instid0(VALU_DEP_1) | instskip(SKIP_1) | instid1(VALU_DEP_2)
	v_mul_f32_e32 v6, 0x7800000, v6
	v_cmp_gt_u32_e32 vcc_lo, 0x8000000, v5
	v_cndmask_b32_e32 v5, v6, v7, vcc_lo
	s_delay_alu instid0(VALU_DEP_1) | instskip(NEXT) | instid1(VALU_DEP_1)
	v_and_or_b32 v3, 0x80000000, v3, v5
	v_cvt_i32_f32_e32 v8, v3
.LBB71_1379:
	s_mov_b32 s9, 0
	s_mov_b32 s12, -1
.LBB71_1380:
	s_and_not1_b32 vcc_lo, exec_lo, s9
	s_mov_b32 s9, 0
	s_cbranch_vccnz .LBB71_1391
; %bb.1381:
	s_cmp_gt_i32 s7, 14
	s_cbranch_scc0 .LBB71_1384
; %bb.1382:
	s_cmp_eq_u32 s7, 15
	s_cbranch_scc0 .LBB71_1387
; %bb.1383:
	global_load_u16 v3, v[0:1], off
	s_mov_b32 s8, 0
	s_mov_b32 s12, -1
	s_wait_loadcnt 0x0
	v_lshlrev_b32_e32 v3, 16, v3
	s_delay_alu instid0(VALU_DEP_1)
	v_cvt_i32_f32_e32 v8, v3
	s_branch .LBB71_1389
.LBB71_1384:
	s_mov_b32 s9, -1
	s_branch .LBB71_1388
.LBB71_1385:
	s_and_not1_saveexec_b32 s9, s9
	s_cbranch_execz .LBB71_1366
.LBB71_1386:
	v_cmp_ne_u16_e32 vcc_lo, 0, v3
	s_and_not1_b32 s12, s12, exec_lo
	s_and_b32 s13, vcc_lo, exec_lo
	s_delay_alu instid0(SALU_CYCLE_1)
	s_or_b32 s12, s12, s13
	s_or_b32 exec_lo, exec_lo, s9
	v_mov_b32_e32 v8, 0
	s_and_saveexec_b32 s9, s12
	s_cbranch_execnz .LBB71_1367
	s_branch .LBB71_1368
.LBB71_1387:
	s_mov_b32 s8, -1
.LBB71_1388:
                                        ; implicit-def: $vgpr8
.LBB71_1389:
	s_and_b32 vcc_lo, exec_lo, s9
	s_mov_b32 s9, 0
	s_cbranch_vccz .LBB71_1391
; %bb.1390:
	s_cmp_lg_u32 s7, 11
	s_mov_b32 s9, -1
	s_cselect_b32 s7, -1, 0
	s_and_not1_b32 s8, s8, exec_lo
	s_and_b32 s7, s7, exec_lo
	s_delay_alu instid0(SALU_CYCLE_1)
	s_or_b32 s8, s8, s7
.LBB71_1391:
	s_mov_b32 s7, 0
.LBB71_1392:
	s_and_not1_b32 s13, s40, exec_lo
	s_and_b32 s8, s8, exec_lo
	s_and_b32 s12, s12, exec_lo
	;; [unrolled: 1-line block ×4, first 2 shown]
	s_or_b32 s40, s13, s8
	s_wait_xcnt 0x0
	s_or_b32 exec_lo, exec_lo, s6
	s_and_saveexec_b32 s6, s40
	s_cbranch_execz .LBB71_1325
.LBB71_1393:
	s_or_b32 s1, s1, exec_lo
	s_and_not1_b32 s14, s14, exec_lo
	s_trap 2
	s_or_b32 exec_lo, exec_lo, s6
	s_and_saveexec_b32 s6, s14
	s_delay_alu instid0(SALU_CYCLE_1)
	s_xor_b32 s6, exec_lo, s6
	s_cbranch_execnz .LBB71_1326
.LBB71_1394:
	s_or_b32 exec_lo, exec_lo, s6
	s_and_saveexec_b32 s6, s7
	s_cbranch_execz .LBB71_1440
.LBB71_1395:
	s_sext_i32_i16 s7, s0
	s_delay_alu instid0(SALU_CYCLE_1)
	s_cmp_lt_i32 s7, 5
	s_cbranch_scc1 .LBB71_1400
; %bb.1396:
	s_cmp_lt_i32 s7, 8
	s_cbranch_scc1 .LBB71_1401
; %bb.1397:
	s_cmp_lt_i32 s7, 9
	s_cbranch_scc1 .LBB71_1402
; %bb.1398:
	s_cmp_gt_i32 s7, 9
	s_cbranch_scc0 .LBB71_1403
; %bb.1399:
	global_load_b64 v[6:7], v[0:1], off
	s_mov_b32 s7, 0
	s_wait_loadcnt 0x0
	v_cvt_i32_f64_e32 v8, v[6:7]
	s_branch .LBB71_1404
.LBB71_1400:
                                        ; implicit-def: $vgpr8
	s_branch .LBB71_1421
.LBB71_1401:
                                        ; implicit-def: $vgpr8
	s_branch .LBB71_1410
.LBB71_1402:
	s_mov_b32 s7, -1
                                        ; implicit-def: $vgpr8
	s_branch .LBB71_1407
.LBB71_1403:
	s_mov_b32 s7, -1
                                        ; implicit-def: $vgpr8
.LBB71_1404:
	s_delay_alu instid0(SALU_CYCLE_1)
	s_and_not1_b32 vcc_lo, exec_lo, s7
	s_cbranch_vccnz .LBB71_1406
; %bb.1405:
	global_load_b32 v3, v[0:1], off
	s_wait_loadcnt 0x0
	v_cvt_i32_f32_e32 v8, v3
.LBB71_1406:
	s_mov_b32 s7, 0
.LBB71_1407:
	s_delay_alu instid0(SALU_CYCLE_1)
	s_and_not1_b32 vcc_lo, exec_lo, s7
	s_cbranch_vccnz .LBB71_1409
; %bb.1408:
	global_load_b32 v3, v[0:1], off
	s_wait_loadcnt 0x0
	v_cvt_i16_f16_e32 v8, v3
.LBB71_1409:
	s_cbranch_execnz .LBB71_1420
.LBB71_1410:
	s_sext_i32_i16 s7, s0
	s_delay_alu instid0(SALU_CYCLE_1)
	s_cmp_lt_i32 s7, 6
	s_cbranch_scc1 .LBB71_1413
; %bb.1411:
	s_cmp_gt_i32 s7, 6
	s_cbranch_scc0 .LBB71_1414
; %bb.1412:
	global_load_b64 v[6:7], v[0:1], off
	s_mov_b32 s7, 0
	s_wait_loadcnt 0x0
	v_cvt_i32_f64_e32 v8, v[6:7]
	s_branch .LBB71_1415
.LBB71_1413:
	s_mov_b32 s7, -1
                                        ; implicit-def: $vgpr8
	s_branch .LBB71_1418
.LBB71_1414:
	s_mov_b32 s7, -1
                                        ; implicit-def: $vgpr8
.LBB71_1415:
	s_delay_alu instid0(SALU_CYCLE_1)
	s_and_not1_b32 vcc_lo, exec_lo, s7
	s_cbranch_vccnz .LBB71_1417
; %bb.1416:
	global_load_b32 v3, v[0:1], off
	s_wait_loadcnt 0x0
	v_cvt_i32_f32_e32 v8, v3
.LBB71_1417:
	s_mov_b32 s7, 0
.LBB71_1418:
	s_delay_alu instid0(SALU_CYCLE_1)
	s_and_not1_b32 vcc_lo, exec_lo, s7
	s_cbranch_vccnz .LBB71_1420
; %bb.1419:
	global_load_u16 v3, v[0:1], off
	s_wait_loadcnt 0x0
	v_cvt_i16_f16_e32 v8, v3
.LBB71_1420:
	s_cbranch_execnz .LBB71_1439
.LBB71_1421:
	s_sext_i32_i16 s7, s0
	s_delay_alu instid0(SALU_CYCLE_1)
	s_cmp_lt_i32 s7, 2
	s_cbranch_scc1 .LBB71_1425
; %bb.1422:
	s_cmp_lt_i32 s7, 3
	s_cbranch_scc1 .LBB71_1426
; %bb.1423:
	s_cmp_gt_i32 s7, 3
	s_cbranch_scc0 .LBB71_1427
; %bb.1424:
	s_wait_loadcnt 0x0
	global_load_b64 v[8:9], v[0:1], off
	s_mov_b32 s7, 0
	s_branch .LBB71_1428
.LBB71_1425:
                                        ; implicit-def: $vgpr8
	s_branch .LBB71_1434
.LBB71_1426:
	s_mov_b32 s7, -1
                                        ; implicit-def: $vgpr8
	s_branch .LBB71_1431
.LBB71_1427:
	s_mov_b32 s7, -1
                                        ; implicit-def: $vgpr8
.LBB71_1428:
	s_delay_alu instid0(SALU_CYCLE_1)
	s_and_not1_b32 vcc_lo, exec_lo, s7
	s_cbranch_vccnz .LBB71_1430
; %bb.1429:
	s_wait_loadcnt 0x0
	global_load_b32 v8, v[0:1], off
.LBB71_1430:
	s_mov_b32 s7, 0
.LBB71_1431:
	s_delay_alu instid0(SALU_CYCLE_1)
	s_and_not1_b32 vcc_lo, exec_lo, s7
	s_cbranch_vccnz .LBB71_1433
; %bb.1432:
	s_wait_loadcnt 0x0
	global_load_u16 v8, v[0:1], off
.LBB71_1433:
	s_cbranch_execnz .LBB71_1439
.LBB71_1434:
	s_sext_i32_i16 s0, s0
	s_delay_alu instid0(SALU_CYCLE_1)
	s_cmp_gt_i32 s0, 0
	s_mov_b32 s0, 0
	s_cbranch_scc0 .LBB71_1436
; %bb.1435:
	s_wait_loadcnt 0x0
	global_load_i8 v8, v[0:1], off
	s_branch .LBB71_1437
.LBB71_1436:
	s_mov_b32 s0, -1
                                        ; implicit-def: $vgpr8
.LBB71_1437:
	s_delay_alu instid0(SALU_CYCLE_1)
	s_and_not1_b32 vcc_lo, exec_lo, s0
	s_cbranch_vccnz .LBB71_1439
; %bb.1438:
	s_wait_loadcnt 0x0
	global_load_u8 v8, v[0:1], off
.LBB71_1439:
	s_or_b32 s12, s12, exec_lo
.LBB71_1440:
	s_wait_xcnt 0x0
	s_or_b32 exec_lo, exec_lo, s6
	s_mov_b32 s0, 0
	s_mov_b32 s9, 0
                                        ; implicit-def: $sgpr6
                                        ; implicit-def: $sgpr7
                                        ; implicit-def: $vgpr0_vgpr1
	s_and_saveexec_b32 s8, s12
	s_cbranch_execz .LBB71_1448
; %bb.1441:
	v_mov_b32_e32 v3, 0
	s_wait_loadcnt 0x0
	s_delay_alu instid0(VALU_DEP_2) | instskip(SKIP_1) | instid1(VALU_DEP_2)
	v_cmp_ne_u16_e32 vcc_lo, v4, v8
	s_and_b32 s7, s11, 0xff
	v_add_nc_u64_e32 v[0:1], s[4:5], v[2:3]
	s_xor_b32 s6, s10, vcc_lo
	s_cmp_lt_i32 s7, 11
	s_cbranch_scc1 .LBB71_1451
; %bb.1442:
	s_and_b32 s4, 0xffff, s7
	s_mov_b32 s5, -1
	s_cmp_gt_i32 s4, 25
	s_mov_b32 s0, s39
	s_cbranch_scc0 .LBB71_1479
; %bb.1443:
	s_cmp_gt_i32 s4, 28
	s_mov_b32 s0, s39
	s_cbranch_scc0 .LBB71_1463
; %bb.1444:
	;; [unrolled: 4-line block ×4, first 2 shown]
	s_cmp_eq_u32 s4, 46
	s_mov_b32 s0, -1
	s_cbranch_scc0 .LBB71_1452
; %bb.1447:
	v_cndmask_b32_e64 v2, 0, 1.0, s6
	s_mov_b32 s0, 0
	s_mov_b32 s5, 0
	s_delay_alu instid0(VALU_DEP_1) | instskip(NEXT) | instid1(VALU_DEP_1)
	v_bfe_u32 v3, v2, 16, 1
	v_add3_u32 v2, v2, v3, 0x7fff
	s_delay_alu instid0(VALU_DEP_1)
	v_lshrrev_b32_e32 v2, 16, v2
	global_store_b32 v[0:1], v2, off
	s_branch .LBB71_1453
.LBB71_1448:
	s_or_b32 exec_lo, exec_lo, s8
	s_and_saveexec_b32 s4, s39
	s_cbranch_execnz .LBB71_1521
.LBB71_1449:
	s_or_b32 exec_lo, exec_lo, s4
	s_and_saveexec_b32 s4, s0
	s_delay_alu instid0(SALU_CYCLE_1)
	s_xor_b32 s0, exec_lo, s4
	s_cbranch_execz .LBB71_1522
.LBB71_1450:
	v_cndmask_b32_e64 v2, 0, 1, s6
	global_store_b8 v[0:1], v2, off
	s_wait_xcnt 0x0
	s_or_b32 exec_lo, exec_lo, s0
	s_and_saveexec_b32 s0, s9
	s_delay_alu instid0(SALU_CYCLE_1)
	s_xor_b32 s0, exec_lo, s0
	s_cbranch_execz .LBB71_1560
	s_branch .LBB71_1523
.LBB71_1451:
	s_mov_b32 s10, 0
	s_mov_b32 s5, -1
	s_mov_b32 s0, s39
	s_branch .LBB71_1520
.LBB71_1452:
	s_mov_b32 s5, 0
.LBB71_1453:
	s_delay_alu instid0(SALU_CYCLE_1)
	s_and_b32 vcc_lo, exec_lo, s5
	s_cbranch_vccz .LBB71_1458
; %bb.1454:
	s_cmp_eq_u32 s4, 44
	s_mov_b32 s0, -1
	s_cbranch_scc0 .LBB71_1458
; %bb.1455:
	v_cndmask_b32_e64 v4, 0, 1.0, s6
	s_mov_b32 s5, exec_lo
	s_wait_xcnt 0x0
	s_delay_alu instid0(VALU_DEP_1) | instskip(NEXT) | instid1(VALU_DEP_1)
	v_dual_mov_b32 v3, 0xff :: v_dual_lshrrev_b32 v2, 23, v4
	v_cmpx_ne_u32_e32 0xff, v2
; %bb.1456:
	v_and_b32_e32 v3, 0x400000, v4
	v_and_or_b32 v4, 0x3fffff, v4, v2
	s_delay_alu instid0(VALU_DEP_2) | instskip(NEXT) | instid1(VALU_DEP_2)
	v_cmp_ne_u32_e32 vcc_lo, 0, v3
	v_cmp_ne_u32_e64 s0, 0, v4
	s_and_b32 s0, vcc_lo, s0
	s_delay_alu instid0(SALU_CYCLE_1) | instskip(NEXT) | instid1(VALU_DEP_1)
	v_cndmask_b32_e64 v3, 0, 1, s0
	v_add_nc_u32_e32 v3, v2, v3
; %bb.1457:
	s_or_b32 exec_lo, exec_lo, s5
	s_mov_b32 s0, 0
	global_store_b8 v[0:1], v3, off
.LBB71_1458:
	s_mov_b32 s5, 0
.LBB71_1459:
	s_delay_alu instid0(SALU_CYCLE_1)
	s_and_b32 vcc_lo, exec_lo, s5
	s_cbranch_vccz .LBB71_1462
; %bb.1460:
	s_cmp_eq_u32 s4, 29
	s_mov_b32 s0, -1
	s_cbranch_scc0 .LBB71_1462
; %bb.1461:
	s_mov_b32 s0, 0
	s_wait_xcnt 0x0
	v_cndmask_b32_e64 v2, 0, 1, s6
	v_mov_b32_e32 v3, s0
	s_mov_b32 s5, 0
	global_store_b64 v[0:1], v[2:3], off
	s_branch .LBB71_1463
.LBB71_1462:
	s_mov_b32 s5, 0
.LBB71_1463:
	s_delay_alu instid0(SALU_CYCLE_1)
	s_and_b32 vcc_lo, exec_lo, s5
	s_cbranch_vccz .LBB71_1478
; %bb.1464:
	s_cmp_lt_i32 s4, 27
	s_mov_b32 s5, -1
	s_cbranch_scc1 .LBB71_1470
; %bb.1465:
	s_cmp_gt_i32 s4, 27
	s_cbranch_scc0 .LBB71_1467
; %bb.1466:
	s_wait_xcnt 0x0
	v_cndmask_b32_e64 v2, 0, 1, s6
	s_mov_b32 s5, 0
	global_store_b32 v[0:1], v2, off
.LBB71_1467:
	s_and_not1_b32 vcc_lo, exec_lo, s5
	s_cbranch_vccnz .LBB71_1469
; %bb.1468:
	s_wait_xcnt 0x0
	v_cndmask_b32_e64 v2, 0, 1, s6
	global_store_b16 v[0:1], v2, off
.LBB71_1469:
	s_mov_b32 s5, 0
.LBB71_1470:
	s_delay_alu instid0(SALU_CYCLE_1)
	s_and_not1_b32 vcc_lo, exec_lo, s5
	s_cbranch_vccnz .LBB71_1478
; %bb.1471:
	s_wait_xcnt 0x0
	v_cndmask_b32_e64 v3, 0, 1.0, s6
	v_mov_b32_e32 v4, 0x80
	s_mov_b32 s5, exec_lo
	s_delay_alu instid0(VALU_DEP_2)
	v_cmpx_gt_u32_e32 0x43800000, v3
	s_cbranch_execz .LBB71_1477
; %bb.1472:
	s_mov_b32 s10, exec_lo
                                        ; implicit-def: $vgpr2
	v_cmpx_lt_u32_e32 0x3bffffff, v3
	s_xor_b32 s10, exec_lo, s10
	s_cbranch_execz .LBB71_1619
; %bb.1473:
	v_bfe_u32 v2, v3, 20, 1
	s_mov_b32 s9, exec_lo
	s_delay_alu instid0(VALU_DEP_1) | instskip(NEXT) | instid1(VALU_DEP_1)
	v_add3_u32 v2, v3, v2, 0x487ffff
                                        ; implicit-def: $vgpr3
	v_lshrrev_b32_e32 v2, 20, v2
	s_and_not1_saveexec_b32 s10, s10
	s_cbranch_execnz .LBB71_1620
.LBB71_1474:
	s_or_b32 exec_lo, exec_lo, s10
	v_mov_b32_e32 v4, 0
	s_and_saveexec_b32 s10, s9
.LBB71_1475:
	v_mov_b32_e32 v4, v2
.LBB71_1476:
	s_or_b32 exec_lo, exec_lo, s10
.LBB71_1477:
	s_delay_alu instid0(SALU_CYCLE_1)
	s_or_b32 exec_lo, exec_lo, s5
	global_store_b8 v[0:1], v4, off
.LBB71_1478:
	s_mov_b32 s5, 0
.LBB71_1479:
	s_delay_alu instid0(SALU_CYCLE_1)
	s_and_b32 vcc_lo, exec_lo, s5
	s_mov_b32 s5, 0
	s_cbranch_vccz .LBB71_1519
; %bb.1480:
	s_cmp_gt_i32 s4, 22
	s_mov_b32 s9, -1
	s_cbranch_scc0 .LBB71_1512
; %bb.1481:
	s_cmp_lt_i32 s4, 24
	s_cbranch_scc1 .LBB71_1501
; %bb.1482:
	s_cmp_gt_i32 s4, 24
	s_cbranch_scc0 .LBB71_1490
; %bb.1483:
	s_wait_xcnt 0x0
	v_cndmask_b32_e64 v3, 0, 1.0, s6
	v_mov_b32_e32 v4, 0x80
	s_mov_b32 s9, exec_lo
	s_delay_alu instid0(VALU_DEP_2)
	v_cmpx_gt_u32_e32 0x47800000, v3
	s_cbranch_execz .LBB71_1489
; %bb.1484:
	s_mov_b32 s10, 0
	s_mov_b32 s11, exec_lo
                                        ; implicit-def: $vgpr2
	v_cmpx_lt_u32_e32 0x37ffffff, v3
	s_xor_b32 s11, exec_lo, s11
	s_cbranch_execz .LBB71_1740
; %bb.1485:
	v_bfe_u32 v2, v3, 21, 1
	s_mov_b32 s10, exec_lo
	s_delay_alu instid0(VALU_DEP_1) | instskip(NEXT) | instid1(VALU_DEP_1)
	v_add3_u32 v2, v3, v2, 0x88fffff
                                        ; implicit-def: $vgpr3
	v_lshrrev_b32_e32 v2, 21, v2
	s_and_not1_saveexec_b32 s11, s11
	s_cbranch_execnz .LBB71_1741
.LBB71_1486:
	s_or_b32 exec_lo, exec_lo, s11
	v_mov_b32_e32 v4, 0
	s_and_saveexec_b32 s11, s10
.LBB71_1487:
	v_mov_b32_e32 v4, v2
.LBB71_1488:
	s_or_b32 exec_lo, exec_lo, s11
.LBB71_1489:
	s_delay_alu instid0(SALU_CYCLE_1)
	s_or_b32 exec_lo, exec_lo, s9
	s_mov_b32 s9, 0
	global_store_b8 v[0:1], v4, off
.LBB71_1490:
	s_and_b32 vcc_lo, exec_lo, s9
	s_cbranch_vccz .LBB71_1500
; %bb.1491:
	s_wait_xcnt 0x0
	v_cndmask_b32_e64 v3, 0, 1.0, s6
	s_mov_b32 s9, exec_lo
                                        ; implicit-def: $vgpr2
	s_delay_alu instid0(VALU_DEP_1)
	v_cmpx_gt_u32_e32 0x43f00000, v3
	s_xor_b32 s9, exec_lo, s9
	s_cbranch_execz .LBB71_1497
; %bb.1492:
	s_mov_b32 s10, exec_lo
                                        ; implicit-def: $vgpr2
	v_cmpx_lt_u32_e32 0x3c7fffff, v3
	s_xor_b32 s10, exec_lo, s10
; %bb.1493:
	v_bfe_u32 v2, v3, 20, 1
	s_delay_alu instid0(VALU_DEP_1) | instskip(NEXT) | instid1(VALU_DEP_1)
	v_add3_u32 v2, v3, v2, 0x407ffff
	v_and_b32_e32 v3, 0xff00000, v2
	v_lshrrev_b32_e32 v2, 20, v2
	s_delay_alu instid0(VALU_DEP_2) | instskip(NEXT) | instid1(VALU_DEP_2)
	v_cmp_ne_u32_e32 vcc_lo, 0x7f00000, v3
                                        ; implicit-def: $vgpr3
	v_cndmask_b32_e32 v2, 0x7e, v2, vcc_lo
; %bb.1494:
	s_and_not1_saveexec_b32 s10, s10
; %bb.1495:
	v_add_f32_e32 v2, 0x46800000, v3
; %bb.1496:
	s_or_b32 exec_lo, exec_lo, s10
                                        ; implicit-def: $vgpr3
.LBB71_1497:
	s_and_not1_saveexec_b32 s9, s9
; %bb.1498:
	v_mov_b32_e32 v2, 0x7f
	v_cmp_lt_u32_e32 vcc_lo, 0x7f800000, v3
	s_delay_alu instid0(VALU_DEP_2)
	v_cndmask_b32_e32 v2, 0x7e, v2, vcc_lo
; %bb.1499:
	s_or_b32 exec_lo, exec_lo, s9
	global_store_b8 v[0:1], v2, off
.LBB71_1500:
	s_mov_b32 s9, 0
.LBB71_1501:
	s_delay_alu instid0(SALU_CYCLE_1)
	s_and_not1_b32 vcc_lo, exec_lo, s9
	s_cbranch_vccnz .LBB71_1511
; %bb.1502:
	s_wait_xcnt 0x0
	v_cndmask_b32_e64 v3, 0, 1.0, s6
	s_mov_b32 s9, exec_lo
                                        ; implicit-def: $vgpr2
	s_delay_alu instid0(VALU_DEP_1)
	v_cmpx_gt_u32_e32 0x47800000, v3
	s_xor_b32 s9, exec_lo, s9
	s_cbranch_execz .LBB71_1508
; %bb.1503:
	s_mov_b32 s10, exec_lo
                                        ; implicit-def: $vgpr2
	v_cmpx_lt_u32_e32 0x387fffff, v3
	s_xor_b32 s10, exec_lo, s10
; %bb.1504:
	v_bfe_u32 v2, v3, 21, 1
	s_delay_alu instid0(VALU_DEP_1) | instskip(NEXT) | instid1(VALU_DEP_1)
	v_add3_u32 v2, v3, v2, 0x80fffff
                                        ; implicit-def: $vgpr3
	v_lshrrev_b32_e32 v2, 21, v2
; %bb.1505:
	s_and_not1_saveexec_b32 s10, s10
; %bb.1506:
	v_add_f32_e32 v2, 0x43000000, v3
; %bb.1507:
	s_or_b32 exec_lo, exec_lo, s10
                                        ; implicit-def: $vgpr3
.LBB71_1508:
	s_and_not1_saveexec_b32 s9, s9
; %bb.1509:
	v_mov_b32_e32 v2, 0x7f
	v_cmp_lt_u32_e32 vcc_lo, 0x7f800000, v3
	s_delay_alu instid0(VALU_DEP_2)
	v_cndmask_b32_e32 v2, 0x7c, v2, vcc_lo
; %bb.1510:
	s_or_b32 exec_lo, exec_lo, s9
	global_store_b8 v[0:1], v2, off
.LBB71_1511:
	s_mov_b32 s9, 0
.LBB71_1512:
	s_delay_alu instid0(SALU_CYCLE_1)
	s_and_not1_b32 vcc_lo, exec_lo, s9
	s_mov_b32 s10, 0
	s_cbranch_vccnz .LBB71_1520
; %bb.1513:
	s_cmp_gt_i32 s4, 14
	s_mov_b32 s9, -1
	s_cbranch_scc0 .LBB71_1517
; %bb.1514:
	s_cmp_eq_u32 s4, 15
	s_mov_b32 s0, -1
	s_cbranch_scc0 .LBB71_1516
; %bb.1515:
	s_wait_xcnt 0x0
	v_cndmask_b32_e64 v2, 0, 1.0, s6
	s_mov_b32 s0, 0
	s_delay_alu instid0(VALU_DEP_1) | instskip(NEXT) | instid1(VALU_DEP_1)
	v_bfe_u32 v3, v2, 16, 1
	v_add3_u32 v2, v2, v3, 0x7fff
	global_store_d16_hi_b16 v[0:1], v2, off
.LBB71_1516:
	s_mov_b32 s9, 0
.LBB71_1517:
	s_delay_alu instid0(SALU_CYCLE_1)
	s_and_b32 vcc_lo, exec_lo, s9
	s_cbranch_vccz .LBB71_1520
; %bb.1518:
	s_cmp_lg_u32 s4, 11
	s_mov_b32 s10, -1
	s_cselect_b32 s4, -1, 0
	s_and_not1_b32 s0, s0, exec_lo
	s_and_b32 s4, s4, exec_lo
	s_delay_alu instid0(SALU_CYCLE_1)
	s_or_b32 s0, s0, s4
	s_branch .LBB71_1520
.LBB71_1519:
	s_mov_b32 s10, 0
.LBB71_1520:
	s_and_b32 s9, s5, exec_lo
	s_and_not1_b32 s4, s39, exec_lo
	s_and_b32 s5, s0, exec_lo
	s_and_b32 s0, s10, exec_lo
	s_or_b32 s39, s4, s5
	s_wait_xcnt 0x0
	s_or_b32 exec_lo, exec_lo, s8
	s_and_saveexec_b32 s4, s39
	s_cbranch_execz .LBB71_1449
.LBB71_1521:
	s_or_b32 s1, s1, exec_lo
	s_and_not1_b32 s0, s0, exec_lo
	s_trap 2
	s_or_b32 exec_lo, exec_lo, s4
	s_and_saveexec_b32 s4, s0
	s_delay_alu instid0(SALU_CYCLE_1)
	s_xor_b32 s0, exec_lo, s4
	s_cbranch_execnz .LBB71_1450
.LBB71_1522:
	s_or_b32 exec_lo, exec_lo, s0
	s_and_saveexec_b32 s0, s9
	s_delay_alu instid0(SALU_CYCLE_1)
	s_xor_b32 s0, exec_lo, s0
	s_cbranch_execz .LBB71_1560
.LBB71_1523:
	s_sext_i32_i16 s5, s7
	s_mov_b32 s4, -1
	s_cmp_lt_i32 s5, 5
	s_cbranch_scc1 .LBB71_1544
; %bb.1524:
	s_cmp_lt_i32 s5, 8
	s_cbranch_scc1 .LBB71_1534
; %bb.1525:
	;; [unrolled: 3-line block ×3, first 2 shown]
	s_cmp_gt_i32 s5, 9
	s_cbranch_scc0 .LBB71_1528
; %bb.1527:
	v_cndmask_b32_e64 v2, 0, 1, s6
	s_wait_loadcnt 0x0
	v_mov_b32_e32 v4, 0
	s_mov_b32 s4, 0
	s_delay_alu instid0(VALU_DEP_2) | instskip(NEXT) | instid1(VALU_DEP_2)
	v_cvt_f64_u32_e32 v[2:3], v2
	v_mov_b32_e32 v5, v4
	global_store_b128 v[0:1], v[2:5], off
.LBB71_1528:
	s_and_not1_b32 vcc_lo, exec_lo, s4
	s_cbranch_vccnz .LBB71_1530
; %bb.1529:
	s_wait_xcnt 0x0
	v_cndmask_b32_e64 v2, 0, 1.0, s6
	v_mov_b32_e32 v3, 0
	global_store_b64 v[0:1], v[2:3], off
.LBB71_1530:
	s_mov_b32 s4, 0
.LBB71_1531:
	s_delay_alu instid0(SALU_CYCLE_1)
	s_and_not1_b32 vcc_lo, exec_lo, s4
	s_cbranch_vccnz .LBB71_1533
; %bb.1532:
	s_wait_xcnt 0x0
	v_cndmask_b32_e64 v2, 0, 1.0, s6
	s_delay_alu instid0(VALU_DEP_1) | instskip(NEXT) | instid1(VALU_DEP_1)
	v_cvt_f16_f32_e32 v2, v2
	v_and_b32_e32 v2, 0xffff, v2
	global_store_b32 v[0:1], v2, off
.LBB71_1533:
	s_mov_b32 s4, 0
.LBB71_1534:
	s_delay_alu instid0(SALU_CYCLE_1)
	s_and_not1_b32 vcc_lo, exec_lo, s4
	s_cbranch_vccnz .LBB71_1543
; %bb.1535:
	s_sext_i32_i16 s5, s7
	s_mov_b32 s4, -1
	s_cmp_lt_i32 s5, 6
	s_cbranch_scc1 .LBB71_1541
; %bb.1536:
	s_cmp_gt_i32 s5, 6
	s_cbranch_scc0 .LBB71_1538
; %bb.1537:
	s_wait_xcnt 0x0
	v_cndmask_b32_e64 v2, 0, 1, s6
	s_mov_b32 s4, 0
	s_delay_alu instid0(VALU_DEP_1)
	v_cvt_f64_u32_e32 v[2:3], v2
	global_store_b64 v[0:1], v[2:3], off
.LBB71_1538:
	s_and_not1_b32 vcc_lo, exec_lo, s4
	s_cbranch_vccnz .LBB71_1540
; %bb.1539:
	s_wait_xcnt 0x0
	v_cndmask_b32_e64 v2, 0, 1.0, s6
	global_store_b32 v[0:1], v2, off
.LBB71_1540:
	s_mov_b32 s4, 0
.LBB71_1541:
	s_delay_alu instid0(SALU_CYCLE_1)
	s_and_not1_b32 vcc_lo, exec_lo, s4
	s_cbranch_vccnz .LBB71_1543
; %bb.1542:
	s_wait_xcnt 0x0
	v_cndmask_b32_e64 v2, 0, 1.0, s6
	s_delay_alu instid0(VALU_DEP_1)
	v_cvt_f16_f32_e32 v2, v2
	global_store_b16 v[0:1], v2, off
.LBB71_1543:
	s_mov_b32 s4, 0
.LBB71_1544:
	s_delay_alu instid0(SALU_CYCLE_1)
	s_and_not1_b32 vcc_lo, exec_lo, s4
	s_cbranch_vccnz .LBB71_1560
; %bb.1545:
	s_sext_i32_i16 s5, s7
	s_mov_b32 s4, -1
	s_cmp_lt_i32 s5, 2
	s_cbranch_scc1 .LBB71_1555
; %bb.1546:
	s_cmp_lt_i32 s5, 3
	s_cbranch_scc1 .LBB71_1552
; %bb.1547:
	s_cmp_gt_i32 s5, 3
	s_cbranch_scc0 .LBB71_1549
; %bb.1548:
	s_mov_b32 s4, 0
	s_wait_xcnt 0x0
	v_cndmask_b32_e64 v2, 0, 1, s6
	v_mov_b32_e32 v3, s4
	global_store_b64 v[0:1], v[2:3], off
.LBB71_1549:
	s_and_not1_b32 vcc_lo, exec_lo, s4
	s_cbranch_vccnz .LBB71_1551
; %bb.1550:
	s_wait_xcnt 0x0
	v_cndmask_b32_e64 v2, 0, 1, s6
	global_store_b32 v[0:1], v2, off
.LBB71_1551:
	s_mov_b32 s4, 0
.LBB71_1552:
	s_delay_alu instid0(SALU_CYCLE_1)
	s_and_not1_b32 vcc_lo, exec_lo, s4
	s_cbranch_vccnz .LBB71_1554
; %bb.1553:
	s_wait_xcnt 0x0
	v_cndmask_b32_e64 v2, 0, 1, s6
	global_store_b16 v[0:1], v2, off
.LBB71_1554:
	s_mov_b32 s4, 0
.LBB71_1555:
	s_delay_alu instid0(SALU_CYCLE_1)
	s_and_not1_b32 vcc_lo, exec_lo, s4
	s_cbranch_vccnz .LBB71_1560
; %bb.1556:
	s_wait_xcnt 0x0
	v_cndmask_b32_e64 v2, 0, 1, s6
	s_sext_i32_i16 s4, s7
	s_delay_alu instid0(SALU_CYCLE_1)
	s_cmp_gt_i32 s4, 0
	s_mov_b32 s4, -1
	s_cbranch_scc0 .LBB71_1558
; %bb.1557:
	s_mov_b32 s4, 0
	global_store_b8 v[0:1], v2, off
.LBB71_1558:
	s_and_not1_b32 vcc_lo, exec_lo, s4
	s_cbranch_vccnz .LBB71_1560
; %bb.1559:
	global_store_b8 v[0:1], v2, off
.LBB71_1560:
	s_wait_xcnt 0x0
	s_or_b32 exec_lo, exec_lo, s0
	s_delay_alu instid0(SALU_CYCLE_1)
	s_and_b32 s8, s1, exec_lo
                                        ; implicit-def: $vgpr1
                                        ; implicit-def: $vgpr0
.LBB71_1561:
	s_or_saveexec_b32 s9, s33
	s_mov_b32 s0, 0
                                        ; implicit-def: $sgpr4
                                        ; implicit-def: $vgpr2_vgpr3
                                        ; implicit-def: $sgpr1
	s_xor_b32 exec_lo, exec_lo, s9
	s_cbranch_execz .LBB71_3049
; %bb.1562:
	v_cndmask_b32_e64 v3, 0, 1, s31
	s_and_not1_b32 vcc_lo, exec_lo, s31
	s_cbranch_vccnz .LBB71_1568
; %bb.1563:
	s_cmp_lg_u32 s28, 0
	s_mov_b32 s4, 0
	s_cbranch_scc0 .LBB71_1572
; %bb.1564:
	s_min_u32 s5, s29, 15
	v_dual_mov_b32 v6, 0 :: v_dual_mov_b32 v2, v0
	s_wait_loadcnt 0x0
	v_dual_mov_b32 v8, 0 :: v_dual_mov_b32 v14, 0
	s_add_co_i32 s6, s5, 1
	s_mov_b64 s[0:1], 0xffffffffffffffe8
	s_and_b32 s6, s6, 30
	s_add_nc_u64 s[0:1], s[2:3], s[0:1]
.LBB71_1565:                            ; =>This Inner Loop Header: Depth=1
	s_clause 0x1
	s_load_b128 s[12:15], s[0:1], 0x1c
	s_load_b64 s[10:11], s[0:1], 0x2c
	s_add_co_i32 s6, s6, -2
	s_delay_alu instid0(SALU_CYCLE_1) | instskip(SKIP_2) | instid1(VALU_DEP_1)
	s_cmp_lg_u32 s6, 0
	s_wait_kmcnt 0x0
	v_mul_hi_u32 v4, s13, v2
	v_add_nc_u32_e32 v4, v2, v4
	s_delay_alu instid0(VALU_DEP_1) | instskip(NEXT) | instid1(VALU_DEP_1)
	v_lshrrev_b32_e32 v4, s14, v4
	v_mul_hi_u32 v5, s10, v4
	v_mul_lo_u32 v7, v4, s12
	s_clause 0x1
	s_load_b128 s[16:19], s[0:1], 0xdc
	s_load_b64 s[12:13], s[0:1], 0xec
	s_wait_xcnt 0x0
	s_add_nc_u64 s[0:1], s[0:1], 24
	s_delay_alu instid0(VALU_DEP_1) | instskip(NEXT) | instid1(VALU_DEP_1)
	v_dual_add_nc_u32 v5, v4, v5 :: v_dual_sub_nc_u32 v7, v2, v7
	v_lshrrev_b32_e32 v2, s11, v5
	s_wait_kmcnt 0x0
	s_delay_alu instid0(VALU_DEP_2) | instskip(NEXT) | instid1(VALU_DEP_2)
	v_mad_u32 v6, v7, s16, v6
	v_mul_lo_u32 v5, v2, s15
	v_mad_u32 v9, v7, s18, v14
	v_mad_u32 v7, v7, s17, v8
	s_delay_alu instid0(VALU_DEP_3) | instskip(NEXT) | instid1(VALU_DEP_1)
	v_sub_nc_u32_e32 v4, v4, v5
	v_mad_u32 v6, v4, s19, v6
	s_delay_alu instid0(VALU_DEP_4) | instskip(NEXT) | instid1(VALU_DEP_4)
	v_mad_u32 v14, v4, s13, v9
	v_mad_u32 v8, v4, s12, v7
	s_cbranch_scc1 .LBB71_1565
; %bb.1566:
	s_bitcmp1_b32 s5, 0
	s_cselect_b32 s5, -1, 0
	s_delay_alu instid0(SALU_CYCLE_1)
	s_and_b32 vcc_lo, exec_lo, s5
	s_cbranch_vccnz .LBB71_1569
; %bb.1567:
	s_clause 0x1
	s_load_b96 s[12:14], s[0:1], 0x1c
	s_load_b96 s[16:18], s[0:1], 0xdc
	s_wait_kmcnt 0x0
	v_mul_hi_u32 v4, s13, v2
	s_delay_alu instid0(VALU_DEP_1) | instskip(NEXT) | instid1(VALU_DEP_1)
	v_add_nc_u32_e32 v4, v2, v4
	v_lshrrev_b32_e32 v4, s14, v4
	s_delay_alu instid0(VALU_DEP_1) | instskip(NEXT) | instid1(VALU_DEP_1)
	v_mul_lo_u32 v4, v4, s12
	v_sub_nc_u32_e32 v2, v2, v4
	s_delay_alu instid0(VALU_DEP_1)
	v_mad_u32 v6, v2, s16, v6
	v_mad_u32 v8, v2, s17, v8
	;; [unrolled: 1-line block ×3, first 2 shown]
	s_and_not1_b32 vcc_lo, exec_lo, s4
	s_cbranch_vccz .LBB71_1570
	s_branch .LBB71_1573
.LBB71_1568:
	s_mov_b32 s4, -1
                                        ; implicit-def: $vgpr14
                                        ; implicit-def: $vgpr8
                                        ; implicit-def: $vgpr6
.LBB71_1569:
	s_delay_alu instid0(SALU_CYCLE_1)
	s_and_not1_b32 vcc_lo, exec_lo, s4
	s_cbranch_vccnz .LBB71_1573
.LBB71_1570:
	s_clause 0x1
	s_load_b96 s[4:6], s[2:3], 0x4
	s_load_b96 s[12:14], s[2:3], 0xc4
	s_cmp_lt_u32 s28, 2
	s_wait_kmcnt 0x0
	v_mul_hi_u32 v2, s5, v0
	s_delay_alu instid0(VALU_DEP_1) | instskip(NEXT) | instid1(VALU_DEP_1)
	v_add_nc_u32_e32 v2, v0, v2
	v_lshrrev_b32_e32 v2, s6, v2
	s_wait_loadcnt 0x0
	s_delay_alu instid0(VALU_DEP_1) | instskip(NEXT) | instid1(VALU_DEP_1)
	v_mul_lo_u32 v4, v2, s4
	v_sub_nc_u32_e32 v4, v0, v4
	s_delay_alu instid0(VALU_DEP_1)
	v_mul_lo_u32 v6, v4, s12
	v_mul_lo_u32 v14, v4, s14
	;; [unrolled: 1-line block ×3, first 2 shown]
	s_cbranch_scc1 .LBB71_1573
; %bb.1571:
	s_clause 0x1
	s_load_b96 s[4:6], s[2:3], 0x10
	s_load_b96 s[12:14], s[2:3], 0xd0
	s_wait_kmcnt 0x0
	v_mul_hi_u32 v4, s5, v2
	s_delay_alu instid0(VALU_DEP_1) | instskip(NEXT) | instid1(VALU_DEP_1)
	v_add_nc_u32_e32 v4, v2, v4
	v_lshrrev_b32_e32 v4, s6, v4
	s_delay_alu instid0(VALU_DEP_1) | instskip(NEXT) | instid1(VALU_DEP_1)
	v_mul_lo_u32 v4, v4, s4
	v_sub_nc_u32_e32 v2, v2, v4
	s_delay_alu instid0(VALU_DEP_1)
	v_mad_u32 v6, v2, s12, v6
	v_mad_u32 v8, v2, s13, v8
	;; [unrolled: 1-line block ×3, first 2 shown]
	s_branch .LBB71_1573
.LBB71_1572:
	s_wait_loadcnt 0x0
	v_dual_mov_b32 v14, 0 :: v_dual_mov_b32 v8, 0
	v_mov_b32_e32 v6, 0
	s_and_not1_b32 vcc_lo, exec_lo, s4
	s_cbranch_vccz .LBB71_1570
.LBB71_1573:
	v_cmp_ne_u32_e32 vcc_lo, 1, v3
	v_add_nc_u32_e32 v2, 0x80, v0
	s_cbranch_vccnz .LBB71_1579
; %bb.1574:
	s_cmp_lg_u32 s28, 0
	s_mov_b32 s4, 0
	s_cbranch_scc0 .LBB71_1583
; %bb.1575:
	s_min_u32 s5, s29, 15
	s_wait_loadcnt 0x0
	v_dual_mov_b32 v4, 0 :: v_dual_mov_b32 v5, v2
	v_dual_mov_b32 v12, 0 :: v_dual_mov_b32 v20, 0
	s_add_co_i32 s6, s5, 1
	s_mov_b64 s[0:1], 0xffffffffffffffe8
	s_and_b32 s6, s6, 30
	s_add_nc_u64 s[0:1], s[2:3], s[0:1]
.LBB71_1576:                            ; =>This Inner Loop Header: Depth=1
	s_clause 0x1
	s_load_b128 s[12:15], s[0:1], 0x1c
	s_load_b64 s[10:11], s[0:1], 0x2c
	s_add_co_i32 s6, s6, -2
	s_delay_alu instid0(SALU_CYCLE_1) | instskip(SKIP_2) | instid1(VALU_DEP_1)
	s_cmp_lg_u32 s6, 0
	s_wait_kmcnt 0x0
	v_mul_hi_u32 v7, s13, v5
	v_add_nc_u32_e32 v7, v5, v7
	s_delay_alu instid0(VALU_DEP_1) | instskip(NEXT) | instid1(VALU_DEP_1)
	v_lshrrev_b32_e32 v7, s14, v7
	v_mul_hi_u32 v9, s10, v7
	v_mul_lo_u32 v10, v7, s12
	s_clause 0x1
	s_load_b128 s[16:19], s[0:1], 0xdc
	s_load_b64 s[12:13], s[0:1], 0xec
	s_wait_xcnt 0x0
	s_add_nc_u64 s[0:1], s[0:1], 24
	s_delay_alu instid0(VALU_DEP_1) | instskip(NEXT) | instid1(VALU_DEP_1)
	v_dual_add_nc_u32 v9, v7, v9 :: v_dual_sub_nc_u32 v10, v5, v10
	v_lshrrev_b32_e32 v5, s11, v9
	s_wait_kmcnt 0x0
	s_delay_alu instid0(VALU_DEP_2) | instskip(NEXT) | instid1(VALU_DEP_2)
	v_mad_u32 v4, v10, s16, v4
	v_mul_lo_u32 v9, v5, s15
	v_mad_u32 v11, v10, s18, v20
	v_mad_u32 v10, v10, s17, v12
	s_delay_alu instid0(VALU_DEP_3) | instskip(NEXT) | instid1(VALU_DEP_1)
	v_sub_nc_u32_e32 v7, v7, v9
	v_mad_u32 v4, v7, s19, v4
	s_delay_alu instid0(VALU_DEP_4) | instskip(NEXT) | instid1(VALU_DEP_4)
	v_mad_u32 v20, v7, s13, v11
	v_mad_u32 v12, v7, s12, v10
	s_cbranch_scc1 .LBB71_1576
; %bb.1577:
	s_bitcmp1_b32 s5, 0
	s_cselect_b32 s5, -1, 0
	s_delay_alu instid0(SALU_CYCLE_1)
	s_and_b32 vcc_lo, exec_lo, s5
	s_cbranch_vccnz .LBB71_1580
; %bb.1578:
	s_clause 0x1
	s_load_b96 s[12:14], s[0:1], 0x1c
	s_load_b96 s[16:18], s[0:1], 0xdc
	s_wait_kmcnt 0x0
	v_mul_hi_u32 v7, s13, v5
	s_delay_alu instid0(VALU_DEP_1) | instskip(NEXT) | instid1(VALU_DEP_1)
	v_add_nc_u32_e32 v7, v5, v7
	v_lshrrev_b32_e32 v7, s14, v7
	s_delay_alu instid0(VALU_DEP_1) | instskip(NEXT) | instid1(VALU_DEP_1)
	v_mul_lo_u32 v7, v7, s12
	v_sub_nc_u32_e32 v5, v5, v7
	s_delay_alu instid0(VALU_DEP_1)
	v_mad_u32 v4, v5, s16, v4
	v_mad_u32 v12, v5, s17, v12
	v_mad_u32 v20, v5, s18, v20
	s_and_not1_b32 vcc_lo, exec_lo, s4
	s_cbranch_vccz .LBB71_1581
	s_branch .LBB71_1584
.LBB71_1579:
	s_mov_b32 s4, -1
                                        ; implicit-def: $vgpr20
                                        ; implicit-def: $vgpr12
                                        ; implicit-def: $vgpr4
.LBB71_1580:
	s_delay_alu instid0(SALU_CYCLE_1)
	s_and_not1_b32 vcc_lo, exec_lo, s4
	s_cbranch_vccnz .LBB71_1584
.LBB71_1581:
	s_clause 0x1
	s_load_b96 s[4:6], s[2:3], 0x4
	s_load_b96 s[12:14], s[2:3], 0xc4
	s_cmp_lt_u32 s28, 2
	s_wait_loadcnt 0x0
	s_wait_kmcnt 0x0
	v_mul_hi_u32 v4, s5, v2
	s_delay_alu instid0(VALU_DEP_1) | instskip(NEXT) | instid1(VALU_DEP_1)
	v_add_nc_u32_e32 v4, v2, v4
	v_lshrrev_b32_e32 v5, s6, v4
	s_delay_alu instid0(VALU_DEP_1) | instskip(NEXT) | instid1(VALU_DEP_1)
	v_mul_lo_u32 v4, v5, s4
	v_sub_nc_u32_e32 v2, v2, v4
	s_delay_alu instid0(VALU_DEP_1)
	v_mul_lo_u32 v4, v2, s12
	v_mul_lo_u32 v20, v2, s14
	;; [unrolled: 1-line block ×3, first 2 shown]
	s_cbranch_scc1 .LBB71_1584
; %bb.1582:
	s_clause 0x1
	s_load_b96 s[4:6], s[2:3], 0x10
	s_load_b96 s[12:14], s[2:3], 0xd0
	s_wait_kmcnt 0x0
	v_mul_hi_u32 v2, s5, v5
	s_delay_alu instid0(VALU_DEP_1) | instskip(NEXT) | instid1(VALU_DEP_1)
	v_add_nc_u32_e32 v2, v5, v2
	v_lshrrev_b32_e32 v2, s6, v2
	s_delay_alu instid0(VALU_DEP_1) | instskip(NEXT) | instid1(VALU_DEP_1)
	v_mul_lo_u32 v2, v2, s4
	v_sub_nc_u32_e32 v2, v5, v2
	s_delay_alu instid0(VALU_DEP_1)
	v_mad_u32 v4, v2, s12, v4
	v_mad_u32 v12, v2, s13, v12
	;; [unrolled: 1-line block ×3, first 2 shown]
	s_branch .LBB71_1584
.LBB71_1583:
	v_dual_mov_b32 v20, 0 :: v_dual_mov_b32 v12, 0
	s_wait_loadcnt 0x0
	v_mov_b32_e32 v4, 0
	s_and_not1_b32 vcc_lo, exec_lo, s4
	s_cbranch_vccz .LBB71_1581
.LBB71_1584:
	v_cmp_ne_u32_e32 vcc_lo, 1, v3
	v_add_nc_u32_e32 v0, 0x100, v0
	s_cbranch_vccnz .LBB71_1590
; %bb.1585:
	s_cmp_lg_u32 s28, 0
	s_mov_b32 s4, 0
	s_cbranch_scc0 .LBB71_1594
; %bb.1586:
	s_min_u32 s5, s29, 15
	s_wait_loadcnt 0x0
	v_dual_mov_b32 v2, 0 :: v_dual_mov_b32 v5, v0
	v_dual_mov_b32 v18, 0 :: v_dual_mov_b32 v22, 0
	s_add_co_i32 s6, s5, 1
	s_mov_b64 s[0:1], 0xffffffffffffffe8
	s_and_b32 s6, s6, 30
	s_add_nc_u64 s[0:1], s[2:3], s[0:1]
.LBB71_1587:                            ; =>This Inner Loop Header: Depth=1
	s_clause 0x1
	s_load_b128 s[12:15], s[0:1], 0x1c
	s_load_b64 s[10:11], s[0:1], 0x2c
	s_add_co_i32 s6, s6, -2
	s_delay_alu instid0(SALU_CYCLE_1) | instskip(SKIP_2) | instid1(VALU_DEP_1)
	s_cmp_lg_u32 s6, 0
	s_wait_kmcnt 0x0
	v_mul_hi_u32 v7, s13, v5
	v_add_nc_u32_e32 v7, v5, v7
	s_delay_alu instid0(VALU_DEP_1) | instskip(NEXT) | instid1(VALU_DEP_1)
	v_lshrrev_b32_e32 v7, s14, v7
	v_mul_hi_u32 v9, s10, v7
	v_mul_lo_u32 v10, v7, s12
	s_clause 0x1
	s_load_b128 s[16:19], s[0:1], 0xdc
	s_load_b64 s[12:13], s[0:1], 0xec
	s_wait_xcnt 0x0
	s_add_nc_u64 s[0:1], s[0:1], 24
	s_delay_alu instid0(VALU_DEP_1) | instskip(NEXT) | instid1(VALU_DEP_1)
	v_dual_add_nc_u32 v9, v7, v9 :: v_dual_sub_nc_u32 v10, v5, v10
	v_lshrrev_b32_e32 v5, s11, v9
	s_wait_kmcnt 0x0
	s_delay_alu instid0(VALU_DEP_2) | instskip(NEXT) | instid1(VALU_DEP_2)
	v_mad_u32 v2, v10, s16, v2
	v_mul_lo_u32 v9, v5, s15
	v_mad_u32 v11, v10, s18, v22
	v_mad_u32 v10, v10, s17, v18
	s_delay_alu instid0(VALU_DEP_3) | instskip(NEXT) | instid1(VALU_DEP_1)
	v_sub_nc_u32_e32 v7, v7, v9
	v_mad_u32 v2, v7, s19, v2
	s_delay_alu instid0(VALU_DEP_4) | instskip(NEXT) | instid1(VALU_DEP_4)
	v_mad_u32 v22, v7, s13, v11
	v_mad_u32 v18, v7, s12, v10
	s_cbranch_scc1 .LBB71_1587
; %bb.1588:
	s_bitcmp1_b32 s5, 0
	s_cselect_b32 s5, -1, 0
	s_delay_alu instid0(SALU_CYCLE_1)
	s_and_b32 vcc_lo, exec_lo, s5
	s_cbranch_vccnz .LBB71_1591
; %bb.1589:
	s_clause 0x1
	s_load_b96 s[12:14], s[0:1], 0x1c
	s_load_b96 s[16:18], s[0:1], 0xdc
	s_wait_kmcnt 0x0
	v_mul_hi_u32 v7, s13, v5
	s_delay_alu instid0(VALU_DEP_1) | instskip(NEXT) | instid1(VALU_DEP_1)
	v_add_nc_u32_e32 v7, v5, v7
	v_lshrrev_b32_e32 v7, s14, v7
	s_delay_alu instid0(VALU_DEP_1) | instskip(NEXT) | instid1(VALU_DEP_1)
	v_mul_lo_u32 v7, v7, s12
	v_sub_nc_u32_e32 v5, v5, v7
	s_delay_alu instid0(VALU_DEP_1)
	v_mad_u32 v2, v5, s16, v2
	v_mad_u32 v18, v5, s17, v18
	;; [unrolled: 1-line block ×3, first 2 shown]
	s_and_not1_b32 vcc_lo, exec_lo, s4
	s_cbranch_vccz .LBB71_1592
	s_branch .LBB71_1595
.LBB71_1590:
	s_mov_b32 s4, -1
                                        ; implicit-def: $vgpr22
                                        ; implicit-def: $vgpr18
                                        ; implicit-def: $vgpr2
.LBB71_1591:
	s_delay_alu instid0(SALU_CYCLE_1)
	s_and_not1_b32 vcc_lo, exec_lo, s4
	s_cbranch_vccnz .LBB71_1595
.LBB71_1592:
	s_clause 0x1
	s_load_b96 s[4:6], s[2:3], 0x4
	s_load_b96 s[12:14], s[2:3], 0xc4
	s_cmp_lt_u32 s28, 2
	s_wait_kmcnt 0x0
	v_mul_hi_u32 v2, s5, v0
	s_delay_alu instid0(VALU_DEP_1) | instskip(SKIP_1) | instid1(VALU_DEP_1)
	v_add_nc_u32_e32 v2, v0, v2
	s_wait_loadcnt 0x0
	v_lshrrev_b32_e32 v5, s6, v2
	s_delay_alu instid0(VALU_DEP_1) | instskip(NEXT) | instid1(VALU_DEP_1)
	v_mul_lo_u32 v2, v5, s4
	v_sub_nc_u32_e32 v0, v0, v2
	s_delay_alu instid0(VALU_DEP_1)
	v_mul_lo_u32 v2, v0, s12
	v_mul_lo_u32 v22, v0, s14
	;; [unrolled: 1-line block ×3, first 2 shown]
	s_cbranch_scc1 .LBB71_1595
; %bb.1593:
	s_clause 0x1
	s_load_b96 s[4:6], s[2:3], 0x10
	s_load_b96 s[12:14], s[2:3], 0xd0
	s_wait_kmcnt 0x0
	v_mul_hi_u32 v0, s5, v5
	s_delay_alu instid0(VALU_DEP_1) | instskip(NEXT) | instid1(VALU_DEP_1)
	v_add_nc_u32_e32 v0, v5, v0
	v_lshrrev_b32_e32 v0, s6, v0
	s_delay_alu instid0(VALU_DEP_1) | instskip(NEXT) | instid1(VALU_DEP_1)
	v_mul_lo_u32 v0, v0, s4
	v_sub_nc_u32_e32 v0, v5, v0
	s_delay_alu instid0(VALU_DEP_1)
	v_mad_u32 v2, v0, s12, v2
	v_mad_u32 v18, v0, s13, v18
	;; [unrolled: 1-line block ×3, first 2 shown]
	s_branch .LBB71_1595
.LBB71_1594:
	v_dual_mov_b32 v22, 0 :: v_dual_mov_b32 v18, 0
	v_mov_b32_e32 v2, 0
	s_and_not1_b32 vcc_lo, exec_lo, s4
	s_cbranch_vccz .LBB71_1592
.LBB71_1595:
	v_cmp_ne_u32_e32 vcc_lo, 1, v3
	s_cbranch_vccnz .LBB71_1601
; %bb.1596:
	s_cmp_lg_u32 s28, 0
	s_mov_b32 s4, 0
	s_cbranch_scc0 .LBB71_1605
; %bb.1597:
	s_min_u32 s5, s29, 15
	v_dual_mov_b32 v0, 0 :: v_dual_mov_b32 v3, v1
	v_dual_mov_b32 v16, 0 :: v_dual_mov_b32 v10, 0
	s_add_co_i32 s6, s5, 1
	s_mov_b64 s[0:1], 0xffffffffffffffe8
	s_and_b32 s6, s6, 30
	s_add_nc_u64 s[0:1], s[2:3], s[0:1]
.LBB71_1598:                            ; =>This Inner Loop Header: Depth=1
	s_clause 0x1
	s_load_b128 s[12:15], s[0:1], 0x1c
	s_load_b64 s[10:11], s[0:1], 0x2c
	s_add_co_i32 s6, s6, -2
	s_delay_alu instid0(SALU_CYCLE_1) | instskip(SKIP_3) | instid1(VALU_DEP_1)
	s_cmp_lg_u32 s6, 0
	s_wait_loadcnt 0x0
	s_wait_kmcnt 0x0
	v_mul_hi_u32 v5, s13, v3
	v_add_nc_u32_e32 v5, v3, v5
	s_delay_alu instid0(VALU_DEP_1) | instskip(NEXT) | instid1(VALU_DEP_1)
	v_lshrrev_b32_e32 v5, s14, v5
	v_mul_hi_u32 v7, s10, v5
	v_mul_lo_u32 v9, v5, s12
	s_clause 0x1
	s_load_b128 s[16:19], s[0:1], 0xdc
	s_load_b64 s[12:13], s[0:1], 0xec
	s_wait_xcnt 0x0
	s_add_nc_u64 s[0:1], s[0:1], 24
	s_delay_alu instid0(VALU_DEP_1) | instskip(NEXT) | instid1(VALU_DEP_1)
	v_dual_add_nc_u32 v7, v5, v7 :: v_dual_sub_nc_u32 v9, v3, v9
	v_lshrrev_b32_e32 v3, s11, v7
	s_wait_kmcnt 0x0
	s_delay_alu instid0(VALU_DEP_2) | instskip(NEXT) | instid1(VALU_DEP_2)
	v_mad_u32 v0, v9, s16, v0
	v_mul_lo_u32 v7, v3, s15
	v_mad_u32 v10, v9, s18, v10
	v_mad_u32 v9, v9, s17, v16
	s_delay_alu instid0(VALU_DEP_3) | instskip(NEXT) | instid1(VALU_DEP_1)
	v_sub_nc_u32_e32 v5, v5, v7
	v_mad_u32 v0, v5, s19, v0
	s_delay_alu instid0(VALU_DEP_4) | instskip(NEXT) | instid1(VALU_DEP_4)
	v_mad_u32 v10, v5, s13, v10
	v_mad_u32 v16, v5, s12, v9
	s_cbranch_scc1 .LBB71_1598
; %bb.1599:
	s_bitcmp1_b32 s5, 0
	s_cselect_b32 s5, -1, 0
	s_delay_alu instid0(SALU_CYCLE_1)
	s_and_b32 vcc_lo, exec_lo, s5
	s_cbranch_vccnz .LBB71_1602
; %bb.1600:
	s_clause 0x1
	s_load_b96 s[12:14], s[0:1], 0x1c
	s_load_b96 s[16:18], s[0:1], 0xdc
	s_wait_kmcnt 0x0
	v_mul_hi_u32 v5, s13, v3
	s_delay_alu instid0(VALU_DEP_1) | instskip(NEXT) | instid1(VALU_DEP_1)
	v_add_nc_u32_e32 v5, v3, v5
	v_lshrrev_b32_e32 v5, s14, v5
	s_delay_alu instid0(VALU_DEP_1) | instskip(NEXT) | instid1(VALU_DEP_1)
	v_mul_lo_u32 v5, v5, s12
	v_sub_nc_u32_e32 v3, v3, v5
	s_delay_alu instid0(VALU_DEP_1)
	v_mad_u32 v0, v3, s16, v0
	v_mad_u32 v16, v3, s17, v16
	v_mad_u32 v10, v3, s18, v10
	s_and_not1_b32 vcc_lo, exec_lo, s4
	s_cbranch_vccz .LBB71_1603
	s_branch .LBB71_1606
.LBB71_1601:
	s_mov_b32 s4, -1
                                        ; implicit-def: $vgpr10
                                        ; implicit-def: $vgpr16
                                        ; implicit-def: $vgpr0
.LBB71_1602:
	s_delay_alu instid0(SALU_CYCLE_1)
	s_and_not1_b32 vcc_lo, exec_lo, s4
	s_cbranch_vccnz .LBB71_1606
.LBB71_1603:
	s_clause 0x1
	s_load_b96 s[4:6], s[2:3], 0x4
	s_load_b96 s[12:14], s[2:3], 0xc4
	s_cmp_lt_u32 s28, 2
	s_wait_kmcnt 0x0
	v_mul_hi_u32 v0, s5, v1
	s_delay_alu instid0(VALU_DEP_1) | instskip(NEXT) | instid1(VALU_DEP_1)
	v_add_nc_u32_e32 v0, v1, v0
	v_lshrrev_b32_e32 v3, s6, v0
	s_delay_alu instid0(VALU_DEP_1) | instskip(NEXT) | instid1(VALU_DEP_1)
	v_mul_lo_u32 v0, v3, s4
	v_sub_nc_u32_e32 v1, v1, v0
	s_delay_alu instid0(VALU_DEP_1)
	v_mul_lo_u32 v0, v1, s12
	v_mul_lo_u32 v10, v1, s14
	;; [unrolled: 1-line block ×3, first 2 shown]
	s_cbranch_scc1 .LBB71_1606
; %bb.1604:
	s_clause 0x1
	s_load_b96 s[4:6], s[2:3], 0x10
	s_load_b96 s[12:14], s[2:3], 0xd0
	s_wait_kmcnt 0x0
	v_mul_hi_u32 v1, s5, v3
	s_delay_alu instid0(VALU_DEP_1) | instskip(NEXT) | instid1(VALU_DEP_1)
	v_add_nc_u32_e32 v1, v3, v1
	v_lshrrev_b32_e32 v1, s6, v1
	s_delay_alu instid0(VALU_DEP_1) | instskip(NEXT) | instid1(VALU_DEP_1)
	v_mul_lo_u32 v1, v1, s4
	v_sub_nc_u32_e32 v1, v3, v1
	s_delay_alu instid0(VALU_DEP_1)
	v_mad_u32 v0, v1, s12, v0
	v_mad_u32 v16, v1, s13, v16
	;; [unrolled: 1-line block ×3, first 2 shown]
	s_branch .LBB71_1606
.LBB71_1605:
	v_dual_mov_b32 v10, 0 :: v_dual_mov_b32 v16, 0
	v_mov_b32_e32 v0, 0
	s_and_not1_b32 vcc_lo, exec_lo, s4
	s_cbranch_vccz .LBB71_1603
.LBB71_1606:
	s_wait_loadcnt 0x0
	v_mov_b32_e32 v9, 0
	s_load_b128 s[4:7], s[2:3], 0x188
	global_load_u8 v1, v9, s[2:3] offset:421
	s_wait_kmcnt 0x0
	v_add_nc_u64_e32 v[24:25], s[6:7], v[8:9]
	s_wait_loadcnt 0x0
	v_and_b32_e32 v3, 0xffff, v1
	v_readfirstlane_b32 s11, v1
	s_delay_alu instid0(VALU_DEP_2)
	v_cmp_gt_i32_e32 vcc_lo, 11, v3
	s_cbranch_vccnz .LBB71_1613
; %bb.1607:
	s_and_b32 s0, 0xffff, s11
	s_mov_b32 s12, 0
	s_cmp_gt_i32 s0, 25
	s_cbranch_scc0 .LBB71_1615
; %bb.1608:
	s_cmp_gt_i32 s0, 28
	s_cbranch_scc0 .LBB71_1616
; %bb.1609:
	s_cmp_gt_i32 s0, 43
	s_cbranch_scc0 .LBB71_1617
; %bb.1610:
	s_cmp_gt_i32 s0, 45
	s_cbranch_scc0 .LBB71_1618
; %bb.1611:
	s_cmp_eq_u32 s0, 46
	s_mov_b32 s10, 0
	s_cbranch_scc0 .LBB71_1621
; %bb.1612:
	global_load_b32 v1, v[24:25], off
	s_mov_b32 s1, 0
	s_mov_b32 s13, -1
	s_wait_loadcnt 0x0
	v_lshlrev_b32_e32 v1, 16, v1
	s_delay_alu instid0(VALU_DEP_1)
	v_cvt_i32_f32_e32 v8, v1
	s_branch .LBB71_1623
.LBB71_1613:
	s_mov_b32 s13, 0
	s_mov_b32 s10, s8
                                        ; implicit-def: $vgpr8
	s_cbranch_execnz .LBB71_1681
.LBB71_1614:
	s_and_not1_b32 vcc_lo, exec_lo, s13
	s_cbranch_vccz .LBB71_1726
	s_branch .LBB71_3047
.LBB71_1615:
	s_mov_b32 s13, 0
	s_mov_b32 s1, 0
                                        ; implicit-def: $vgpr8
	s_cbranch_execnz .LBB71_1648
	s_branch .LBB71_1677
.LBB71_1616:
	s_mov_b32 s13, 0
	s_mov_b32 s1, 0
                                        ; implicit-def: $vgpr8
	s_cbranch_execz .LBB71_1647
	s_branch .LBB71_1632
.LBB71_1617:
	s_mov_b32 s13, 0
	s_mov_b32 s1, 0
                                        ; implicit-def: $vgpr8
	s_cbranch_execnz .LBB71_1628
	s_branch .LBB71_1631
.LBB71_1618:
	s_mov_b32 s10, -1
	s_mov_b32 s13, 0
	s_mov_b32 s1, 0
	s_branch .LBB71_1622
.LBB71_1619:
	s_and_not1_saveexec_b32 s10, s10
	s_cbranch_execz .LBB71_1474
.LBB71_1620:
	v_add_f32_e32 v2, 0x46000000, v3
	s_and_not1_b32 s9, s9, exec_lo
	s_delay_alu instid0(VALU_DEP_1) | instskip(NEXT) | instid1(VALU_DEP_1)
	v_and_b32_e32 v2, 0xff, v2
	v_cmp_ne_u32_e32 vcc_lo, 0, v2
	s_and_b32 s11, vcc_lo, exec_lo
	s_delay_alu instid0(SALU_CYCLE_1)
	s_or_b32 s9, s9, s11
	s_or_b32 exec_lo, exec_lo, s10
	v_mov_b32_e32 v4, 0
	s_and_saveexec_b32 s10, s9
	s_cbranch_execnz .LBB71_1475
	s_branch .LBB71_1476
.LBB71_1621:
	s_mov_b32 s1, -1
	s_mov_b32 s13, 0
.LBB71_1622:
                                        ; implicit-def: $vgpr8
.LBB71_1623:
	s_and_b32 vcc_lo, exec_lo, s10
	s_cbranch_vccz .LBB71_1626
; %bb.1624:
	s_cmp_eq_u32 s0, 44
	s_cbranch_scc0 .LBB71_1627
; %bb.1625:
	global_load_u8 v1, v[24:25], off
	s_mov_b32 s1, 0
	s_mov_b32 s13, -1
	s_wait_loadcnt 0x0
	v_lshlrev_b32_e32 v3, 23, v1
	v_cmp_ne_u32_e32 vcc_lo, 0, v1
	s_delay_alu instid0(VALU_DEP_2) | instskip(NEXT) | instid1(VALU_DEP_1)
	v_cvt_i32_f32_e32 v3, v3
	v_cndmask_b32_e32 v8, 0, v3, vcc_lo
.LBB71_1626:
	s_branch .LBB71_1631
.LBB71_1627:
	s_mov_b32 s1, -1
                                        ; implicit-def: $vgpr8
	s_branch .LBB71_1631
.LBB71_1628:
	s_cmp_eq_u32 s0, 29
	s_cbranch_scc0 .LBB71_1630
; %bb.1629:
	global_load_b64 v[8:9], v[24:25], off
	s_mov_b32 s1, 0
	s_mov_b32 s13, -1
	s_branch .LBB71_1631
.LBB71_1630:
	s_mov_b32 s1, -1
                                        ; implicit-def: $vgpr8
.LBB71_1631:
	s_branch .LBB71_1647
.LBB71_1632:
	s_cmp_lt_i32 s0, 27
	s_cbranch_scc1 .LBB71_1635
; %bb.1633:
	s_cmp_gt_i32 s0, 27
	s_cbranch_scc0 .LBB71_1636
; %bb.1634:
	s_wait_loadcnt 0x0
	global_load_b32 v8, v[24:25], off
	s_mov_b32 s10, 0
	s_branch .LBB71_1637
.LBB71_1635:
	s_mov_b32 s10, -1
                                        ; implicit-def: $vgpr8
	s_branch .LBB71_1640
.LBB71_1636:
	s_mov_b32 s10, -1
                                        ; implicit-def: $vgpr8
.LBB71_1637:
	s_delay_alu instid0(SALU_CYCLE_1)
	s_and_not1_b32 vcc_lo, exec_lo, s10
	s_cbranch_vccnz .LBB71_1639
; %bb.1638:
	s_wait_loadcnt 0x0
	global_load_u16 v8, v[24:25], off
.LBB71_1639:
	s_mov_b32 s10, 0
.LBB71_1640:
	s_delay_alu instid0(SALU_CYCLE_1)
	s_and_not1_b32 vcc_lo, exec_lo, s10
	s_cbranch_vccnz .LBB71_1646
; %bb.1641:
	global_load_u8 v1, v[24:25], off
	s_mov_b32 s13, 0
	s_mov_b32 s10, exec_lo
	s_wait_loadcnt 0x0
	v_cmpx_lt_i16_e32 0x7f, v1
	s_xor_b32 s10, exec_lo, s10
	s_cbranch_execz .LBB71_1657
; %bb.1642:
	v_cmp_ne_u16_e32 vcc_lo, 0x80, v1
	s_and_b32 s13, vcc_lo, exec_lo
	s_and_not1_saveexec_b32 s10, s10
	s_cbranch_execnz .LBB71_1658
.LBB71_1643:
	s_or_b32 exec_lo, exec_lo, s10
	v_mov_b32_e32 v8, 0
	s_and_saveexec_b32 s10, s13
	s_cbranch_execz .LBB71_1645
.LBB71_1644:
	v_and_b32_e32 v3, 0xffff, v1
	s_delay_alu instid0(VALU_DEP_1) | instskip(SKIP_1) | instid1(VALU_DEP_2)
	v_dual_lshlrev_b32 v1, 24, v1 :: v_dual_bitop2_b32 v5, 7, v3 bitop3:0x40
	v_bfe_u32 v9, v3, 3, 4
	v_and_b32_e32 v1, 0x80000000, v1
	s_delay_alu instid0(VALU_DEP_3) | instskip(NEXT) | instid1(VALU_DEP_3)
	v_clz_i32_u32_e32 v7, v5
	v_cmp_eq_u32_e32 vcc_lo, 0, v9
	s_delay_alu instid0(VALU_DEP_2) | instskip(NEXT) | instid1(VALU_DEP_1)
	v_min_u32_e32 v7, 32, v7
	v_subrev_nc_u32_e32 v8, 28, v7
	v_sub_nc_u32_e32 v7, 29, v7
	s_delay_alu instid0(VALU_DEP_2) | instskip(NEXT) | instid1(VALU_DEP_2)
	v_lshlrev_b32_e32 v3, v8, v3
	v_cndmask_b32_e32 v7, v9, v7, vcc_lo
	s_delay_alu instid0(VALU_DEP_2) | instskip(NEXT) | instid1(VALU_DEP_1)
	v_and_b32_e32 v3, 7, v3
	v_cndmask_b32_e32 v3, v5, v3, vcc_lo
	s_delay_alu instid0(VALU_DEP_3) | instskip(NEXT) | instid1(VALU_DEP_2)
	v_lshl_add_u32 v5, v7, 23, 0x3b800000
	v_lshlrev_b32_e32 v3, 20, v3
	s_delay_alu instid0(VALU_DEP_1) | instskip(NEXT) | instid1(VALU_DEP_1)
	v_or3_b32 v1, v1, v5, v3
	v_cvt_i32_f32_e32 v8, v1
.LBB71_1645:
	s_or_b32 exec_lo, exec_lo, s10
.LBB71_1646:
	s_mov_b32 s13, -1
.LBB71_1647:
	s_branch .LBB71_1677
.LBB71_1648:
	s_cmp_gt_i32 s0, 22
	s_cbranch_scc0 .LBB71_1656
; %bb.1649:
	s_cmp_lt_i32 s0, 24
	s_cbranch_scc1 .LBB71_1659
; %bb.1650:
	s_cmp_gt_i32 s0, 24
	s_cbranch_scc0 .LBB71_1660
; %bb.1651:
	global_load_u8 v1, v[24:25], off
	s_mov_b32 s10, exec_lo
	s_wait_loadcnt 0x0
	v_cmpx_lt_i16_e32 0x7f, v1
	s_xor_b32 s10, exec_lo, s10
	s_cbranch_execz .LBB71_1671
; %bb.1652:
	v_cmp_ne_u16_e32 vcc_lo, 0x80, v1
	s_and_b32 s12, vcc_lo, exec_lo
	s_and_not1_saveexec_b32 s10, s10
	s_cbranch_execnz .LBB71_1672
.LBB71_1653:
	s_or_b32 exec_lo, exec_lo, s10
	v_mov_b32_e32 v8, 0
	s_and_saveexec_b32 s10, s12
	s_cbranch_execz .LBB71_1655
.LBB71_1654:
	v_and_b32_e32 v3, 0xffff, v1
	s_delay_alu instid0(VALU_DEP_1) | instskip(SKIP_1) | instid1(VALU_DEP_2)
	v_dual_lshlrev_b32 v1, 24, v1 :: v_dual_bitop2_b32 v5, 3, v3 bitop3:0x40
	v_bfe_u32 v9, v3, 2, 5
	v_and_b32_e32 v1, 0x80000000, v1
	s_delay_alu instid0(VALU_DEP_3) | instskip(NEXT) | instid1(VALU_DEP_3)
	v_clz_i32_u32_e32 v7, v5
	v_cmp_eq_u32_e32 vcc_lo, 0, v9
	s_delay_alu instid0(VALU_DEP_2) | instskip(NEXT) | instid1(VALU_DEP_1)
	v_min_u32_e32 v7, 32, v7
	v_subrev_nc_u32_e32 v8, 29, v7
	v_sub_nc_u32_e32 v7, 30, v7
	s_delay_alu instid0(VALU_DEP_2) | instskip(NEXT) | instid1(VALU_DEP_2)
	v_lshlrev_b32_e32 v3, v8, v3
	v_cndmask_b32_e32 v7, v9, v7, vcc_lo
	s_delay_alu instid0(VALU_DEP_2) | instskip(NEXT) | instid1(VALU_DEP_1)
	v_and_b32_e32 v3, 3, v3
	v_cndmask_b32_e32 v3, v5, v3, vcc_lo
	s_delay_alu instid0(VALU_DEP_3) | instskip(NEXT) | instid1(VALU_DEP_2)
	v_lshl_add_u32 v5, v7, 23, 0x37800000
	v_lshlrev_b32_e32 v3, 21, v3
	s_delay_alu instid0(VALU_DEP_1) | instskip(NEXT) | instid1(VALU_DEP_1)
	v_or3_b32 v1, v1, v5, v3
	v_cvt_i32_f32_e32 v8, v1
.LBB71_1655:
	s_or_b32 exec_lo, exec_lo, s10
	s_mov_b32 s10, 0
	s_branch .LBB71_1661
.LBB71_1656:
                                        ; implicit-def: $vgpr8
	s_mov_b32 s12, 0
	s_branch .LBB71_1667
.LBB71_1657:
	s_and_not1_saveexec_b32 s10, s10
	s_cbranch_execz .LBB71_1643
.LBB71_1658:
	v_cmp_ne_u16_e32 vcc_lo, 0, v1
	s_and_not1_b32 s13, s13, exec_lo
	s_and_b32 s14, vcc_lo, exec_lo
	s_delay_alu instid0(SALU_CYCLE_1)
	s_or_b32 s13, s13, s14
	s_or_b32 exec_lo, exec_lo, s10
	v_mov_b32_e32 v8, 0
	s_and_saveexec_b32 s10, s13
	s_cbranch_execnz .LBB71_1644
	s_branch .LBB71_1645
.LBB71_1659:
	s_mov_b32 s10, -1
                                        ; implicit-def: $vgpr8
	s_branch .LBB71_1664
.LBB71_1660:
	s_mov_b32 s10, -1
                                        ; implicit-def: $vgpr8
.LBB71_1661:
	s_delay_alu instid0(SALU_CYCLE_1)
	s_and_b32 vcc_lo, exec_lo, s10
	s_cbranch_vccz .LBB71_1663
; %bb.1662:
	global_load_u8 v1, v[24:25], off
	s_wait_loadcnt 0x0
	v_lshlrev_b32_e32 v1, 24, v1
	s_delay_alu instid0(VALU_DEP_1) | instskip(NEXT) | instid1(VALU_DEP_1)
	v_and_b32_e32 v3, 0x7f000000, v1
	v_clz_i32_u32_e32 v5, v3
	v_cmp_ne_u32_e32 vcc_lo, 0, v3
	v_add_nc_u32_e32 v8, 0x1000000, v3
	s_delay_alu instid0(VALU_DEP_3) | instskip(NEXT) | instid1(VALU_DEP_1)
	v_min_u32_e32 v5, 32, v5
	v_sub_nc_u32_e64 v5, v5, 4 clamp
	s_delay_alu instid0(VALU_DEP_1) | instskip(NEXT) | instid1(VALU_DEP_1)
	v_dual_lshlrev_b32 v7, v5, v3 :: v_dual_lshlrev_b32 v5, 23, v5
	v_lshrrev_b32_e32 v7, 4, v7
	s_delay_alu instid0(VALU_DEP_1) | instskip(NEXT) | instid1(VALU_DEP_1)
	v_dual_sub_nc_u32 v5, v7, v5 :: v_dual_ashrrev_i32 v7, 8, v8
	v_add_nc_u32_e32 v5, 0x3c000000, v5
	s_delay_alu instid0(VALU_DEP_1) | instskip(NEXT) | instid1(VALU_DEP_1)
	v_and_or_b32 v5, 0x7f800000, v7, v5
	v_cndmask_b32_e32 v3, 0, v5, vcc_lo
	s_delay_alu instid0(VALU_DEP_1) | instskip(NEXT) | instid1(VALU_DEP_1)
	v_and_or_b32 v1, 0x80000000, v1, v3
	v_cvt_i32_f32_e32 v8, v1
.LBB71_1663:
	s_mov_b32 s10, 0
.LBB71_1664:
	s_delay_alu instid0(SALU_CYCLE_1)
	s_and_not1_b32 vcc_lo, exec_lo, s10
	s_cbranch_vccnz .LBB71_1666
; %bb.1665:
	global_load_u8 v1, v[24:25], off
	s_wait_loadcnt 0x0
	v_lshlrev_b32_e32 v3, 25, v1
	v_lshlrev_b16 v1, 8, v1
	s_delay_alu instid0(VALU_DEP_1) | instskip(SKIP_1) | instid1(VALU_DEP_2)
	v_and_or_b32 v7, 0x7f00, v1, 0.5
	v_bfe_i32 v1, v1, 0, 16
	v_add_f32_e32 v7, -0.5, v7
	v_lshrrev_b32_e32 v5, 4, v3
	v_cmp_gt_u32_e32 vcc_lo, 0x8000000, v3
	s_delay_alu instid0(VALU_DEP_2) | instskip(NEXT) | instid1(VALU_DEP_1)
	v_or_b32_e32 v5, 0x70000000, v5
	v_mul_f32_e32 v5, 0x7800000, v5
	s_delay_alu instid0(VALU_DEP_1) | instskip(NEXT) | instid1(VALU_DEP_1)
	v_cndmask_b32_e32 v3, v5, v7, vcc_lo
	v_and_or_b32 v1, 0x80000000, v1, v3
	s_delay_alu instid0(VALU_DEP_1)
	v_cvt_i32_f32_e32 v8, v1
.LBB71_1666:
	s_mov_b32 s13, -1
	s_mov_b32 s12, 0
	s_cbranch_execnz .LBB71_1677
.LBB71_1667:
	s_cmp_gt_i32 s0, 14
	s_cbranch_scc0 .LBB71_1670
; %bb.1668:
	s_cmp_eq_u32 s0, 15
	s_cbranch_scc0 .LBB71_1673
; %bb.1669:
	global_load_u16 v1, v[24:25], off
	s_mov_b32 s1, 0
	s_mov_b32 s13, -1
	s_wait_loadcnt 0x0
	v_lshlrev_b32_e32 v1, 16, v1
	s_delay_alu instid0(VALU_DEP_1)
	v_cvt_i32_f32_e32 v8, v1
	s_branch .LBB71_1674
.LBB71_1670:
	s_mov_b32 s10, -1
                                        ; implicit-def: $vgpr8
	s_branch .LBB71_1675
.LBB71_1671:
	s_and_not1_saveexec_b32 s10, s10
	s_cbranch_execz .LBB71_1653
.LBB71_1672:
	v_cmp_ne_u16_e32 vcc_lo, 0, v1
	s_and_not1_b32 s12, s12, exec_lo
	s_and_b32 s13, vcc_lo, exec_lo
	s_delay_alu instid0(SALU_CYCLE_1)
	s_or_b32 s12, s12, s13
	s_or_b32 exec_lo, exec_lo, s10
	v_mov_b32_e32 v8, 0
	s_and_saveexec_b32 s10, s12
	s_cbranch_execnz .LBB71_1654
	s_branch .LBB71_1655
.LBB71_1673:
	s_mov_b32 s1, -1
                                        ; implicit-def: $vgpr8
.LBB71_1674:
	s_mov_b32 s10, 0
.LBB71_1675:
	s_delay_alu instid0(SALU_CYCLE_1)
	s_and_b32 vcc_lo, exec_lo, s10
	s_cbranch_vccz .LBB71_1677
; %bb.1676:
	s_cmp_lg_u32 s0, 11
	s_mov_b32 s12, -1
	s_cselect_b32 s1, -1, 0
.LBB71_1677:
	s_delay_alu instid0(SALU_CYCLE_1)
	s_and_b32 vcc_lo, exec_lo, s1
	s_mov_b32 s10, s8
	s_cbranch_vccnz .LBB71_1738
; %bb.1678:
	s_and_not1_b32 vcc_lo, exec_lo, s12
	s_cbranch_vccnz .LBB71_1680
.LBB71_1679:
	global_load_u8 v1, v[24:25], off
	s_mov_b32 s13, -1
	s_wait_loadcnt 0x0
	v_cmp_ne_u16_e32 vcc_lo, 0, v1
	v_cndmask_b32_e64 v8, 0, 1, vcc_lo
.LBB71_1680:
	s_branch .LBB71_1614
.LBB71_1681:
	s_and_b32 s0, 0xffff, s11
	s_delay_alu instid0(SALU_CYCLE_1)
	s_cmp_lt_i32 s0, 5
	s_cbranch_scc1 .LBB71_1686
; %bb.1682:
	s_cmp_lt_i32 s0, 8
	s_cbranch_scc1 .LBB71_1687
; %bb.1683:
	;; [unrolled: 3-line block ×3, first 2 shown]
	s_cmp_gt_i32 s0, 9
	s_cbranch_scc0 .LBB71_1689
; %bb.1685:
	s_wait_loadcnt 0x0
	global_load_b64 v[8:9], v[24:25], off
	s_mov_b32 s1, 0
	s_wait_loadcnt 0x0
	v_cvt_i32_f64_e32 v8, v[8:9]
	s_branch .LBB71_1690
.LBB71_1686:
                                        ; implicit-def: $vgpr8
	s_branch .LBB71_1707
.LBB71_1687:
                                        ; implicit-def: $vgpr8
	s_branch .LBB71_1696
.LBB71_1688:
	s_mov_b32 s1, -1
                                        ; implicit-def: $vgpr8
	s_branch .LBB71_1693
.LBB71_1689:
	s_mov_b32 s1, -1
                                        ; implicit-def: $vgpr8
.LBB71_1690:
	s_delay_alu instid0(SALU_CYCLE_1)
	s_and_not1_b32 vcc_lo, exec_lo, s1
	s_cbranch_vccnz .LBB71_1692
; %bb.1691:
	global_load_b32 v1, v[24:25], off
	s_wait_loadcnt 0x0
	v_cvt_i32_f32_e32 v8, v1
.LBB71_1692:
	s_mov_b32 s1, 0
.LBB71_1693:
	s_delay_alu instid0(SALU_CYCLE_1)
	s_and_not1_b32 vcc_lo, exec_lo, s1
	s_cbranch_vccnz .LBB71_1695
; %bb.1694:
	global_load_b32 v1, v[24:25], off
	s_wait_loadcnt 0x0
	v_cvt_i16_f16_e32 v8, v1
.LBB71_1695:
	s_cbranch_execnz .LBB71_1706
.LBB71_1696:
	s_cmp_lt_i32 s0, 6
	s_cbranch_scc1 .LBB71_1699
; %bb.1697:
	s_cmp_gt_i32 s0, 6
	s_cbranch_scc0 .LBB71_1700
; %bb.1698:
	s_wait_loadcnt 0x0
	global_load_b64 v[8:9], v[24:25], off
	s_mov_b32 s1, 0
	s_wait_loadcnt 0x0
	v_cvt_i32_f64_e32 v8, v[8:9]
	s_branch .LBB71_1701
.LBB71_1699:
	s_mov_b32 s1, -1
                                        ; implicit-def: $vgpr8
	s_branch .LBB71_1704
.LBB71_1700:
	s_mov_b32 s1, -1
                                        ; implicit-def: $vgpr8
.LBB71_1701:
	s_delay_alu instid0(SALU_CYCLE_1)
	s_and_not1_b32 vcc_lo, exec_lo, s1
	s_cbranch_vccnz .LBB71_1703
; %bb.1702:
	global_load_b32 v1, v[24:25], off
	s_wait_loadcnt 0x0
	v_cvt_i32_f32_e32 v8, v1
.LBB71_1703:
	s_mov_b32 s1, 0
.LBB71_1704:
	s_delay_alu instid0(SALU_CYCLE_1)
	s_and_not1_b32 vcc_lo, exec_lo, s1
	s_cbranch_vccnz .LBB71_1706
; %bb.1705:
	global_load_u16 v1, v[24:25], off
	s_wait_loadcnt 0x0
	v_cvt_i16_f16_e32 v8, v1
.LBB71_1706:
	s_cbranch_execnz .LBB71_1725
.LBB71_1707:
	s_cmp_lt_i32 s0, 2
	s_cbranch_scc1 .LBB71_1711
; %bb.1708:
	s_cmp_lt_i32 s0, 3
	s_cbranch_scc1 .LBB71_1712
; %bb.1709:
	s_cmp_gt_i32 s0, 3
	s_cbranch_scc0 .LBB71_1713
; %bb.1710:
	s_wait_loadcnt 0x0
	global_load_b64 v[8:9], v[24:25], off
	s_mov_b32 s1, 0
	s_branch .LBB71_1714
.LBB71_1711:
                                        ; implicit-def: $vgpr8
	s_branch .LBB71_1720
.LBB71_1712:
	s_mov_b32 s1, -1
                                        ; implicit-def: $vgpr8
	s_branch .LBB71_1717
.LBB71_1713:
	s_mov_b32 s1, -1
                                        ; implicit-def: $vgpr8
.LBB71_1714:
	s_delay_alu instid0(SALU_CYCLE_1)
	s_and_not1_b32 vcc_lo, exec_lo, s1
	s_cbranch_vccnz .LBB71_1716
; %bb.1715:
	s_wait_loadcnt 0x0
	global_load_b32 v8, v[24:25], off
.LBB71_1716:
	s_mov_b32 s1, 0
.LBB71_1717:
	s_delay_alu instid0(SALU_CYCLE_1)
	s_and_not1_b32 vcc_lo, exec_lo, s1
	s_cbranch_vccnz .LBB71_1719
; %bb.1718:
	s_wait_loadcnt 0x0
	global_load_u16 v8, v[24:25], off
.LBB71_1719:
	s_cbranch_execnz .LBB71_1725
.LBB71_1720:
	s_cmp_gt_i32 s0, 0
	s_mov_b32 s0, 0
	s_cbranch_scc0 .LBB71_1722
; %bb.1721:
	s_wait_loadcnt 0x0
	global_load_i8 v8, v[24:25], off
	s_branch .LBB71_1723
.LBB71_1722:
	s_mov_b32 s0, -1
                                        ; implicit-def: $vgpr8
.LBB71_1723:
	s_delay_alu instid0(SALU_CYCLE_1)
	s_and_not1_b32 vcc_lo, exec_lo, s0
	s_cbranch_vccnz .LBB71_1725
; %bb.1724:
	s_wait_loadcnt 0x0
	global_load_u8 v8, v[24:25], off
.LBB71_1725:
.LBB71_1726:
	v_mov_b32_e32 v15, 0
	s_load_b64 s[0:1], s[2:3], 0x198
	global_load_u8 v1, v15, s[2:3] offset:422
	s_wait_kmcnt 0x0
	v_add_nc_u64_e32 v[24:25], s[0:1], v[14:15]
	s_wait_loadcnt 0x0
	v_and_b32_e32 v3, 0xffff, v1
	v_readfirstlane_b32 s12, v1
	s_delay_alu instid0(VALU_DEP_2)
	v_cmp_gt_i32_e32 vcc_lo, 11, v3
	s_cbranch_vccnz .LBB71_1733
; %bb.1727:
	s_and_b32 s13, 0xffff, s12
	s_mov_b32 s15, 0
	s_cmp_gt_i32 s13, 25
	s_cbranch_scc0 .LBB71_1735
; %bb.1728:
	s_cmp_gt_i32 s13, 28
	s_cbranch_scc0 .LBB71_1736
; %bb.1729:
	;; [unrolled: 3-line block ×4, first 2 shown]
	s_cmp_eq_u32 s13, 46
	s_mov_b32 s17, 0
	s_cbranch_scc0 .LBB71_1742
; %bb.1732:
	global_load_b32 v1, v[24:25], off
	s_mov_b32 s14, 0
	s_mov_b32 s16, -1
	s_wait_loadcnt 0x0
	v_lshlrev_b32_e32 v1, 16, v1
	s_delay_alu instid0(VALU_DEP_1)
	v_cvt_i32_f32_e32 v14, v1
	s_branch .LBB71_1744
.LBB71_1733:
	s_mov_b32 s16, 0
                                        ; implicit-def: $vgpr14
	s_cbranch_execnz .LBB71_1805
.LBB71_1734:
	s_and_not1_b32 vcc_lo, exec_lo, s16
	s_cbranch_vccnz .LBB71_3047
	s_branch .LBB71_1852
.LBB71_1735:
	s_mov_b32 s16, 0
	s_mov_b32 s14, 0
                                        ; implicit-def: $vgpr14
	s_cbranch_execnz .LBB71_1771
	s_branch .LBB71_1801
.LBB71_1736:
	s_mov_b32 s17, -1
	s_mov_b32 s16, 0
	s_mov_b32 s14, 0
                                        ; implicit-def: $vgpr14
	s_branch .LBB71_1754
.LBB71_1737:
	s_mov_b32 s17, -1
	s_mov_b32 s16, 0
	s_mov_b32 s14, 0
                                        ; implicit-def: $vgpr14
	s_branch .LBB71_1749
.LBB71_1738:
	s_or_b32 s10, s8, exec_lo
	s_trap 2
	s_cbranch_execz .LBB71_1679
	s_branch .LBB71_1680
.LBB71_1739:
	s_mov_b32 s17, -1
	s_mov_b32 s16, 0
	s_mov_b32 s14, 0
	s_branch .LBB71_1743
.LBB71_1740:
	s_and_not1_saveexec_b32 s11, s11
	s_cbranch_execz .LBB71_1486
.LBB71_1741:
	v_add_f32_e32 v2, 0x42800000, v3
	s_and_not1_b32 s10, s10, exec_lo
	s_delay_alu instid0(VALU_DEP_1) | instskip(NEXT) | instid1(VALU_DEP_1)
	v_and_b32_e32 v2, 0xff, v2
	v_cmp_ne_u32_e32 vcc_lo, 0, v2
	s_and_b32 s12, vcc_lo, exec_lo
	s_delay_alu instid0(SALU_CYCLE_1)
	s_or_b32 s10, s10, s12
	s_or_b32 exec_lo, exec_lo, s11
	v_mov_b32_e32 v4, 0
	s_and_saveexec_b32 s11, s10
	s_cbranch_execnz .LBB71_1487
	s_branch .LBB71_1488
.LBB71_1742:
	s_mov_b32 s14, -1
	s_mov_b32 s16, 0
.LBB71_1743:
                                        ; implicit-def: $vgpr14
.LBB71_1744:
	s_and_b32 vcc_lo, exec_lo, s17
	s_cbranch_vccz .LBB71_1748
; %bb.1745:
	s_cmp_eq_u32 s13, 44
	s_cbranch_scc0 .LBB71_1747
; %bb.1746:
	global_load_u8 v1, v[24:25], off
	s_mov_b32 s14, 0
	s_mov_b32 s16, -1
	s_wait_loadcnt 0x0
	v_lshlrev_b32_e32 v3, 23, v1
	v_cmp_ne_u32_e32 vcc_lo, 0, v1
	s_delay_alu instid0(VALU_DEP_2) | instskip(NEXT) | instid1(VALU_DEP_1)
	v_cvt_i32_f32_e32 v3, v3
	v_cndmask_b32_e32 v14, 0, v3, vcc_lo
	s_branch .LBB71_1748
.LBB71_1747:
	s_mov_b32 s14, -1
                                        ; implicit-def: $vgpr14
.LBB71_1748:
	s_mov_b32 s17, 0
.LBB71_1749:
	s_delay_alu instid0(SALU_CYCLE_1)
	s_and_b32 vcc_lo, exec_lo, s17
	s_cbranch_vccz .LBB71_1753
; %bb.1750:
	s_cmp_eq_u32 s13, 29
	s_cbranch_scc0 .LBB71_1752
; %bb.1751:
	global_load_b64 v[14:15], v[24:25], off
	s_mov_b32 s14, 0
	s_mov_b32 s16, -1
	s_branch .LBB71_1753
.LBB71_1752:
	s_mov_b32 s14, -1
                                        ; implicit-def: $vgpr14
.LBB71_1753:
	s_mov_b32 s17, 0
.LBB71_1754:
	s_delay_alu instid0(SALU_CYCLE_1)
	s_and_b32 vcc_lo, exec_lo, s17
	s_cbranch_vccz .LBB71_1770
; %bb.1755:
	s_cmp_lt_i32 s13, 27
	s_cbranch_scc1 .LBB71_1758
; %bb.1756:
	s_cmp_gt_i32 s13, 27
	s_cbranch_scc0 .LBB71_1759
; %bb.1757:
	s_wait_loadcnt 0x0
	global_load_b32 v14, v[24:25], off
	s_mov_b32 s16, 0
	s_branch .LBB71_1760
.LBB71_1758:
	s_mov_b32 s16, -1
                                        ; implicit-def: $vgpr14
	s_branch .LBB71_1763
.LBB71_1759:
	s_mov_b32 s16, -1
                                        ; implicit-def: $vgpr14
.LBB71_1760:
	s_delay_alu instid0(SALU_CYCLE_1)
	s_and_not1_b32 vcc_lo, exec_lo, s16
	s_cbranch_vccnz .LBB71_1762
; %bb.1761:
	s_wait_loadcnt 0x0
	global_load_u16 v14, v[24:25], off
.LBB71_1762:
	s_mov_b32 s16, 0
.LBB71_1763:
	s_delay_alu instid0(SALU_CYCLE_1)
	s_and_not1_b32 vcc_lo, exec_lo, s16
	s_cbranch_vccnz .LBB71_1769
; %bb.1764:
	global_load_u8 v1, v[24:25], off
	s_mov_b32 s17, 0
	s_mov_b32 s16, exec_lo
	s_wait_loadcnt 0x0
	v_cmpx_lt_i16_e32 0x7f, v1
	s_xor_b32 s16, exec_lo, s16
	s_cbranch_execz .LBB71_1780
; %bb.1765:
	v_cmp_ne_u16_e32 vcc_lo, 0x80, v1
	s_and_b32 s17, vcc_lo, exec_lo
	s_and_not1_saveexec_b32 s16, s16
	s_cbranch_execnz .LBB71_1781
.LBB71_1766:
	s_or_b32 exec_lo, exec_lo, s16
	v_mov_b32_e32 v14, 0
	s_and_saveexec_b32 s16, s17
	s_cbranch_execz .LBB71_1768
.LBB71_1767:
	v_and_b32_e32 v3, 0xffff, v1
	s_delay_alu instid0(VALU_DEP_1) | instskip(SKIP_1) | instid1(VALU_DEP_2)
	v_dual_lshlrev_b32 v1, 24, v1 :: v_dual_bitop2_b32 v5, 7, v3 bitop3:0x40
	v_bfe_u32 v11, v3, 3, 4
	v_and_b32_e32 v1, 0x80000000, v1
	s_delay_alu instid0(VALU_DEP_3) | instskip(NEXT) | instid1(VALU_DEP_3)
	v_clz_i32_u32_e32 v7, v5
	v_cmp_eq_u32_e32 vcc_lo, 0, v11
	s_delay_alu instid0(VALU_DEP_2) | instskip(NEXT) | instid1(VALU_DEP_1)
	v_min_u32_e32 v7, 32, v7
	v_subrev_nc_u32_e32 v9, 28, v7
	v_sub_nc_u32_e32 v7, 29, v7
	s_delay_alu instid0(VALU_DEP_2) | instskip(NEXT) | instid1(VALU_DEP_2)
	v_lshlrev_b32_e32 v3, v9, v3
	v_cndmask_b32_e32 v7, v11, v7, vcc_lo
	s_delay_alu instid0(VALU_DEP_2) | instskip(NEXT) | instid1(VALU_DEP_1)
	v_and_b32_e32 v3, 7, v3
	v_cndmask_b32_e32 v3, v5, v3, vcc_lo
	s_delay_alu instid0(VALU_DEP_3) | instskip(NEXT) | instid1(VALU_DEP_2)
	v_lshl_add_u32 v5, v7, 23, 0x3b800000
	v_lshlrev_b32_e32 v3, 20, v3
	s_delay_alu instid0(VALU_DEP_1) | instskip(NEXT) | instid1(VALU_DEP_1)
	v_or3_b32 v1, v1, v5, v3
	v_cvt_i32_f32_e32 v14, v1
.LBB71_1768:
	s_or_b32 exec_lo, exec_lo, s16
.LBB71_1769:
	s_mov_b32 s16, -1
.LBB71_1770:
	s_branch .LBB71_1801
.LBB71_1771:
	s_cmp_gt_i32 s13, 22
	s_cbranch_scc0 .LBB71_1779
; %bb.1772:
	s_cmp_lt_i32 s13, 24
	s_cbranch_scc1 .LBB71_1782
; %bb.1773:
	s_cmp_gt_i32 s13, 24
	s_cbranch_scc0 .LBB71_1783
; %bb.1774:
	global_load_u8 v1, v[24:25], off
	s_mov_b32 s16, 0
	s_mov_b32 s15, exec_lo
	s_wait_loadcnt 0x0
	v_cmpx_lt_i16_e32 0x7f, v1
	s_xor_b32 s15, exec_lo, s15
	s_cbranch_execz .LBB71_1795
; %bb.1775:
	v_cmp_ne_u16_e32 vcc_lo, 0x80, v1
	s_and_b32 s16, vcc_lo, exec_lo
	s_and_not1_saveexec_b32 s15, s15
	s_cbranch_execnz .LBB71_1796
.LBB71_1776:
	s_or_b32 exec_lo, exec_lo, s15
	v_mov_b32_e32 v14, 0
	s_and_saveexec_b32 s15, s16
	s_cbranch_execz .LBB71_1778
.LBB71_1777:
	v_and_b32_e32 v3, 0xffff, v1
	s_delay_alu instid0(VALU_DEP_1) | instskip(SKIP_1) | instid1(VALU_DEP_2)
	v_dual_lshlrev_b32 v1, 24, v1 :: v_dual_bitop2_b32 v5, 3, v3 bitop3:0x40
	v_bfe_u32 v11, v3, 2, 5
	v_and_b32_e32 v1, 0x80000000, v1
	s_delay_alu instid0(VALU_DEP_3) | instskip(NEXT) | instid1(VALU_DEP_3)
	v_clz_i32_u32_e32 v7, v5
	v_cmp_eq_u32_e32 vcc_lo, 0, v11
	s_delay_alu instid0(VALU_DEP_2) | instskip(NEXT) | instid1(VALU_DEP_1)
	v_min_u32_e32 v7, 32, v7
	v_subrev_nc_u32_e32 v9, 29, v7
	v_sub_nc_u32_e32 v7, 30, v7
	s_delay_alu instid0(VALU_DEP_2) | instskip(NEXT) | instid1(VALU_DEP_2)
	v_lshlrev_b32_e32 v3, v9, v3
	v_cndmask_b32_e32 v7, v11, v7, vcc_lo
	s_delay_alu instid0(VALU_DEP_2) | instskip(NEXT) | instid1(VALU_DEP_1)
	v_and_b32_e32 v3, 3, v3
	v_cndmask_b32_e32 v3, v5, v3, vcc_lo
	s_delay_alu instid0(VALU_DEP_3) | instskip(NEXT) | instid1(VALU_DEP_2)
	v_lshl_add_u32 v5, v7, 23, 0x37800000
	v_lshlrev_b32_e32 v3, 21, v3
	s_delay_alu instid0(VALU_DEP_1) | instskip(NEXT) | instid1(VALU_DEP_1)
	v_or3_b32 v1, v1, v5, v3
	v_cvt_i32_f32_e32 v14, v1
.LBB71_1778:
	s_or_b32 exec_lo, exec_lo, s15
	s_mov_b32 s15, 0
	s_branch .LBB71_1784
.LBB71_1779:
	s_mov_b32 s15, -1
                                        ; implicit-def: $vgpr14
	s_branch .LBB71_1790
.LBB71_1780:
	s_and_not1_saveexec_b32 s16, s16
	s_cbranch_execz .LBB71_1766
.LBB71_1781:
	v_cmp_ne_u16_e32 vcc_lo, 0, v1
	s_and_not1_b32 s17, s17, exec_lo
	s_and_b32 s18, vcc_lo, exec_lo
	s_delay_alu instid0(SALU_CYCLE_1)
	s_or_b32 s17, s17, s18
	s_or_b32 exec_lo, exec_lo, s16
	v_mov_b32_e32 v14, 0
	s_and_saveexec_b32 s16, s17
	s_cbranch_execnz .LBB71_1767
	s_branch .LBB71_1768
.LBB71_1782:
	s_mov_b32 s15, -1
                                        ; implicit-def: $vgpr14
	s_branch .LBB71_1787
.LBB71_1783:
	s_mov_b32 s15, -1
                                        ; implicit-def: $vgpr14
.LBB71_1784:
	s_delay_alu instid0(SALU_CYCLE_1)
	s_and_b32 vcc_lo, exec_lo, s15
	s_cbranch_vccz .LBB71_1786
; %bb.1785:
	global_load_u8 v1, v[24:25], off
	s_wait_loadcnt 0x0
	v_lshlrev_b32_e32 v1, 24, v1
	s_delay_alu instid0(VALU_DEP_1) | instskip(NEXT) | instid1(VALU_DEP_1)
	v_and_b32_e32 v3, 0x7f000000, v1
	v_clz_i32_u32_e32 v5, v3
	v_add_nc_u32_e32 v9, 0x1000000, v3
	v_cmp_ne_u32_e32 vcc_lo, 0, v3
	s_delay_alu instid0(VALU_DEP_3) | instskip(NEXT) | instid1(VALU_DEP_1)
	v_min_u32_e32 v5, 32, v5
	v_sub_nc_u32_e64 v5, v5, 4 clamp
	s_delay_alu instid0(VALU_DEP_1) | instskip(NEXT) | instid1(VALU_DEP_1)
	v_dual_lshlrev_b32 v7, v5, v3 :: v_dual_lshlrev_b32 v5, 23, v5
	v_lshrrev_b32_e32 v7, 4, v7
	s_delay_alu instid0(VALU_DEP_1) | instskip(SKIP_1) | instid1(VALU_DEP_2)
	v_sub_nc_u32_e32 v5, v7, v5
	v_ashrrev_i32_e32 v7, 8, v9
	v_add_nc_u32_e32 v5, 0x3c000000, v5
	s_delay_alu instid0(VALU_DEP_1) | instskip(NEXT) | instid1(VALU_DEP_1)
	v_and_or_b32 v5, 0x7f800000, v7, v5
	v_cndmask_b32_e32 v3, 0, v5, vcc_lo
	s_delay_alu instid0(VALU_DEP_1) | instskip(NEXT) | instid1(VALU_DEP_1)
	v_and_or_b32 v1, 0x80000000, v1, v3
	v_cvt_i32_f32_e32 v14, v1
.LBB71_1786:
	s_mov_b32 s15, 0
.LBB71_1787:
	s_delay_alu instid0(SALU_CYCLE_1)
	s_and_not1_b32 vcc_lo, exec_lo, s15
	s_cbranch_vccnz .LBB71_1789
; %bb.1788:
	global_load_u8 v1, v[24:25], off
	s_wait_loadcnt 0x0
	v_lshlrev_b32_e32 v3, 25, v1
	v_lshlrev_b16 v1, 8, v1
	s_delay_alu instid0(VALU_DEP_1) | instskip(SKIP_1) | instid1(VALU_DEP_2)
	v_and_or_b32 v7, 0x7f00, v1, 0.5
	v_bfe_i32 v1, v1, 0, 16
	v_add_f32_e32 v7, -0.5, v7
	v_lshrrev_b32_e32 v5, 4, v3
	v_cmp_gt_u32_e32 vcc_lo, 0x8000000, v3
	s_delay_alu instid0(VALU_DEP_2) | instskip(NEXT) | instid1(VALU_DEP_1)
	v_or_b32_e32 v5, 0x70000000, v5
	v_mul_f32_e32 v5, 0x7800000, v5
	s_delay_alu instid0(VALU_DEP_1) | instskip(NEXT) | instid1(VALU_DEP_1)
	v_cndmask_b32_e32 v3, v5, v7, vcc_lo
	v_and_or_b32 v1, 0x80000000, v1, v3
	s_delay_alu instid0(VALU_DEP_1)
	v_cvt_i32_f32_e32 v14, v1
.LBB71_1789:
	s_mov_b32 s15, 0
	s_mov_b32 s16, -1
.LBB71_1790:
	s_and_not1_b32 vcc_lo, exec_lo, s15
	s_mov_b32 s15, 0
	s_cbranch_vccnz .LBB71_1801
; %bb.1791:
	s_cmp_gt_i32 s13, 14
	s_cbranch_scc0 .LBB71_1794
; %bb.1792:
	s_cmp_eq_u32 s13, 15
	s_cbranch_scc0 .LBB71_1797
; %bb.1793:
	global_load_u16 v1, v[24:25], off
	s_mov_b32 s14, 0
	s_mov_b32 s16, -1
	s_wait_loadcnt 0x0
	v_lshlrev_b32_e32 v1, 16, v1
	s_delay_alu instid0(VALU_DEP_1)
	v_cvt_i32_f32_e32 v14, v1
	s_branch .LBB71_1799
.LBB71_1794:
	s_mov_b32 s15, -1
	s_branch .LBB71_1798
.LBB71_1795:
	s_and_not1_saveexec_b32 s15, s15
	s_cbranch_execz .LBB71_1776
.LBB71_1796:
	v_cmp_ne_u16_e32 vcc_lo, 0, v1
	s_and_not1_b32 s16, s16, exec_lo
	s_and_b32 s17, vcc_lo, exec_lo
	s_delay_alu instid0(SALU_CYCLE_1)
	s_or_b32 s16, s16, s17
	s_or_b32 exec_lo, exec_lo, s15
	v_mov_b32_e32 v14, 0
	s_and_saveexec_b32 s15, s16
	s_cbranch_execnz .LBB71_1777
	s_branch .LBB71_1778
.LBB71_1797:
	s_mov_b32 s14, -1
.LBB71_1798:
                                        ; implicit-def: $vgpr14
.LBB71_1799:
	s_and_b32 vcc_lo, exec_lo, s15
	s_mov_b32 s15, 0
	s_cbranch_vccz .LBB71_1801
; %bb.1800:
	s_cmp_lg_u32 s13, 11
	s_mov_b32 s15, -1
	s_cselect_b32 s14, -1, 0
.LBB71_1801:
	s_delay_alu instid0(SALU_CYCLE_1)
	s_and_b32 vcc_lo, exec_lo, s14
	s_cbranch_vccnz .LBB71_1864
; %bb.1802:
	s_and_not1_b32 vcc_lo, exec_lo, s15
	s_cbranch_vccnz .LBB71_1804
.LBB71_1803:
	global_load_u8 v1, v[24:25], off
	s_mov_b32 s16, -1
	s_wait_loadcnt 0x0
	v_cmp_ne_u16_e32 vcc_lo, 0, v1
	v_cndmask_b32_e64 v14, 0, 1, vcc_lo
.LBB71_1804:
	s_branch .LBB71_1734
.LBB71_1805:
	s_and_b32 s13, 0xffff, s12
	s_delay_alu instid0(SALU_CYCLE_1)
	s_cmp_lt_i32 s13, 5
	s_cbranch_scc1 .LBB71_1810
; %bb.1806:
	s_cmp_lt_i32 s13, 8
	s_cbranch_scc1 .LBB71_1811
; %bb.1807:
	;; [unrolled: 3-line block ×3, first 2 shown]
	s_cmp_gt_i32 s13, 9
	s_cbranch_scc0 .LBB71_1813
; %bb.1809:
	s_wait_loadcnt 0x0
	global_load_b64 v[14:15], v[24:25], off
	s_mov_b32 s14, 0
	s_wait_loadcnt 0x0
	v_cvt_i32_f64_e32 v14, v[14:15]
	s_branch .LBB71_1814
.LBB71_1810:
                                        ; implicit-def: $vgpr14
	s_branch .LBB71_1832
.LBB71_1811:
	s_mov_b32 s14, -1
                                        ; implicit-def: $vgpr14
	s_branch .LBB71_1820
.LBB71_1812:
	s_mov_b32 s14, -1
                                        ; implicit-def: $vgpr14
	s_branch .LBB71_1817
.LBB71_1813:
	s_mov_b32 s14, -1
                                        ; implicit-def: $vgpr14
.LBB71_1814:
	s_delay_alu instid0(SALU_CYCLE_1)
	s_and_not1_b32 vcc_lo, exec_lo, s14
	s_cbranch_vccnz .LBB71_1816
; %bb.1815:
	global_load_b32 v1, v[24:25], off
	s_wait_loadcnt 0x0
	v_cvt_i32_f32_e32 v14, v1
.LBB71_1816:
	s_mov_b32 s14, 0
.LBB71_1817:
	s_delay_alu instid0(SALU_CYCLE_1)
	s_and_not1_b32 vcc_lo, exec_lo, s14
	s_cbranch_vccnz .LBB71_1819
; %bb.1818:
	global_load_b32 v1, v[24:25], off
	s_wait_loadcnt 0x0
	v_cvt_i16_f16_e32 v14, v1
.LBB71_1819:
	s_mov_b32 s14, 0
.LBB71_1820:
	s_delay_alu instid0(SALU_CYCLE_1)
	s_and_not1_b32 vcc_lo, exec_lo, s14
	s_cbranch_vccnz .LBB71_1831
; %bb.1821:
	s_cmp_lt_i32 s13, 6
	s_cbranch_scc1 .LBB71_1824
; %bb.1822:
	s_cmp_gt_i32 s13, 6
	s_cbranch_scc0 .LBB71_1825
; %bb.1823:
	s_wait_loadcnt 0x0
	global_load_b64 v[14:15], v[24:25], off
	s_mov_b32 s14, 0
	s_wait_loadcnt 0x0
	v_cvt_i32_f64_e32 v14, v[14:15]
	s_branch .LBB71_1826
.LBB71_1824:
	s_mov_b32 s14, -1
                                        ; implicit-def: $vgpr14
	s_branch .LBB71_1829
.LBB71_1825:
	s_mov_b32 s14, -1
                                        ; implicit-def: $vgpr14
.LBB71_1826:
	s_delay_alu instid0(SALU_CYCLE_1)
	s_and_not1_b32 vcc_lo, exec_lo, s14
	s_cbranch_vccnz .LBB71_1828
; %bb.1827:
	global_load_b32 v1, v[24:25], off
	s_wait_loadcnt 0x0
	v_cvt_i32_f32_e32 v14, v1
.LBB71_1828:
	s_mov_b32 s14, 0
.LBB71_1829:
	s_delay_alu instid0(SALU_CYCLE_1)
	s_and_not1_b32 vcc_lo, exec_lo, s14
	s_cbranch_vccnz .LBB71_1831
; %bb.1830:
	global_load_u16 v1, v[24:25], off
	s_wait_loadcnt 0x0
	v_cvt_i16_f16_e32 v14, v1
.LBB71_1831:
	s_cbranch_execnz .LBB71_1851
.LBB71_1832:
	s_cmp_lt_i32 s13, 2
	s_cbranch_scc1 .LBB71_1836
; %bb.1833:
	s_cmp_lt_i32 s13, 3
	s_cbranch_scc1 .LBB71_1837
; %bb.1834:
	s_cmp_gt_i32 s13, 3
	s_cbranch_scc0 .LBB71_1838
; %bb.1835:
	s_wait_loadcnt 0x0
	global_load_b64 v[14:15], v[24:25], off
	s_mov_b32 s14, 0
	s_branch .LBB71_1839
.LBB71_1836:
	s_mov_b32 s14, -1
                                        ; implicit-def: $vgpr14
	s_branch .LBB71_1845
.LBB71_1837:
	s_mov_b32 s14, -1
                                        ; implicit-def: $vgpr14
	s_branch .LBB71_1842
.LBB71_1838:
	s_mov_b32 s14, -1
                                        ; implicit-def: $vgpr14
.LBB71_1839:
	s_delay_alu instid0(SALU_CYCLE_1)
	s_and_not1_b32 vcc_lo, exec_lo, s14
	s_cbranch_vccnz .LBB71_1841
; %bb.1840:
	s_wait_loadcnt 0x0
	global_load_b32 v14, v[24:25], off
.LBB71_1841:
	s_mov_b32 s14, 0
.LBB71_1842:
	s_delay_alu instid0(SALU_CYCLE_1)
	s_and_not1_b32 vcc_lo, exec_lo, s14
	s_cbranch_vccnz .LBB71_1844
; %bb.1843:
	s_wait_loadcnt 0x0
	global_load_u16 v14, v[24:25], off
.LBB71_1844:
	s_mov_b32 s14, 0
.LBB71_1845:
	s_delay_alu instid0(SALU_CYCLE_1)
	s_and_not1_b32 vcc_lo, exec_lo, s14
	s_cbranch_vccnz .LBB71_1851
; %bb.1846:
	s_cmp_gt_i32 s13, 0
	s_mov_b32 s13, 0
	s_cbranch_scc0 .LBB71_1848
; %bb.1847:
	s_wait_loadcnt 0x0
	global_load_i8 v14, v[24:25], off
	s_branch .LBB71_1849
.LBB71_1848:
	s_mov_b32 s13, -1
                                        ; implicit-def: $vgpr14
.LBB71_1849:
	s_delay_alu instid0(SALU_CYCLE_1)
	s_and_not1_b32 vcc_lo, exec_lo, s13
	s_cbranch_vccnz .LBB71_1851
; %bb.1850:
	s_wait_loadcnt 0x0
	global_load_u8 v14, v[24:25], off
.LBB71_1851:
.LBB71_1852:
	v_mov_b32_e32 v13, 0
	s_and_b32 s11, 0xffff, s11
	s_delay_alu instid0(SALU_CYCLE_1) | instskip(SKIP_1) | instid1(VALU_DEP_1)
	s_cmp_lt_i32 s11, 11
	s_wait_xcnt 0x0
	v_add_nc_u64_e32 v[24:25], s[6:7], v[12:13]
	s_cbranch_scc1 .LBB71_1859
; %bb.1853:
	s_cmp_gt_i32 s11, 25
	s_mov_b32 s14, 0
	s_cbranch_scc0 .LBB71_1861
; %bb.1854:
	s_cmp_gt_i32 s11, 28
	s_cbranch_scc0 .LBB71_1862
; %bb.1855:
	s_cmp_gt_i32 s11, 43
	;; [unrolled: 3-line block ×3, first 2 shown]
	s_cbranch_scc0 .LBB71_1865
; %bb.1857:
	s_cmp_eq_u32 s11, 46
	s_mov_b32 s16, 0
	s_cbranch_scc0 .LBB71_1866
; %bb.1858:
	global_load_b32 v1, v[24:25], off
	s_mov_b32 s13, 0
	s_mov_b32 s15, -1
	s_wait_loadcnt 0x0
	v_lshlrev_b32_e32 v1, 16, v1
	s_delay_alu instid0(VALU_DEP_1)
	v_cvt_i32_f32_e32 v12, v1
	s_branch .LBB71_1868
.LBB71_1859:
	s_mov_b32 s15, 0
                                        ; implicit-def: $vgpr12
	s_cbranch_execnz .LBB71_1930
.LBB71_1860:
	s_and_not1_b32 vcc_lo, exec_lo, s15
	s_cbranch_vccnz .LBB71_3047
	s_branch .LBB71_1978
.LBB71_1861:
	s_mov_b32 s16, -1
	s_mov_b32 s15, 0
	s_mov_b32 s13, 0
                                        ; implicit-def: $vgpr12
	s_branch .LBB71_1895
.LBB71_1862:
	s_mov_b32 s16, -1
	s_mov_b32 s15, 0
	s_mov_b32 s13, 0
                                        ; implicit-def: $vgpr12
	s_branch .LBB71_1878
.LBB71_1863:
	s_mov_b32 s16, -1
	s_mov_b32 s15, 0
	s_mov_b32 s13, 0
                                        ; implicit-def: $vgpr12
	s_branch .LBB71_1873
.LBB71_1864:
	s_or_b32 s10, s10, exec_lo
	s_trap 2
	s_cbranch_execz .LBB71_1803
	s_branch .LBB71_1804
.LBB71_1865:
	s_mov_b32 s16, -1
	s_mov_b32 s15, 0
	s_mov_b32 s13, 0
	s_branch .LBB71_1867
.LBB71_1866:
	s_mov_b32 s13, -1
	s_mov_b32 s15, 0
.LBB71_1867:
                                        ; implicit-def: $vgpr12
.LBB71_1868:
	s_and_b32 vcc_lo, exec_lo, s16
	s_cbranch_vccz .LBB71_1872
; %bb.1869:
	s_cmp_eq_u32 s11, 44
	s_cbranch_scc0 .LBB71_1871
; %bb.1870:
	global_load_u8 v1, v[24:25], off
	s_mov_b32 s13, 0
	s_mov_b32 s15, -1
	s_wait_loadcnt 0x0
	v_lshlrev_b32_e32 v3, 23, v1
	v_cmp_ne_u32_e32 vcc_lo, 0, v1
	s_delay_alu instid0(VALU_DEP_2) | instskip(NEXT) | instid1(VALU_DEP_1)
	v_cvt_i32_f32_e32 v3, v3
	v_cndmask_b32_e32 v12, 0, v3, vcc_lo
	s_branch .LBB71_1872
.LBB71_1871:
	s_mov_b32 s13, -1
                                        ; implicit-def: $vgpr12
.LBB71_1872:
	s_mov_b32 s16, 0
.LBB71_1873:
	s_delay_alu instid0(SALU_CYCLE_1)
	s_and_b32 vcc_lo, exec_lo, s16
	s_cbranch_vccz .LBB71_1877
; %bb.1874:
	s_cmp_eq_u32 s11, 29
	s_cbranch_scc0 .LBB71_1876
; %bb.1875:
	global_load_b64 v[12:13], v[24:25], off
	s_mov_b32 s13, 0
	s_mov_b32 s15, -1
	s_branch .LBB71_1877
.LBB71_1876:
	s_mov_b32 s13, -1
                                        ; implicit-def: $vgpr12
.LBB71_1877:
	s_mov_b32 s16, 0
.LBB71_1878:
	s_delay_alu instid0(SALU_CYCLE_1)
	s_and_b32 vcc_lo, exec_lo, s16
	s_cbranch_vccz .LBB71_1894
; %bb.1879:
	s_cmp_lt_i32 s11, 27
	s_cbranch_scc1 .LBB71_1882
; %bb.1880:
	s_cmp_gt_i32 s11, 27
	s_cbranch_scc0 .LBB71_1883
; %bb.1881:
	s_wait_loadcnt 0x0
	global_load_b32 v12, v[24:25], off
	s_mov_b32 s15, 0
	s_branch .LBB71_1884
.LBB71_1882:
	s_mov_b32 s15, -1
                                        ; implicit-def: $vgpr12
	s_branch .LBB71_1887
.LBB71_1883:
	s_mov_b32 s15, -1
                                        ; implicit-def: $vgpr12
.LBB71_1884:
	s_delay_alu instid0(SALU_CYCLE_1)
	s_and_not1_b32 vcc_lo, exec_lo, s15
	s_cbranch_vccnz .LBB71_1886
; %bb.1885:
	s_wait_loadcnt 0x0
	global_load_u16 v12, v[24:25], off
.LBB71_1886:
	s_mov_b32 s15, 0
.LBB71_1887:
	s_delay_alu instid0(SALU_CYCLE_1)
	s_and_not1_b32 vcc_lo, exec_lo, s15
	s_cbranch_vccnz .LBB71_1893
; %bb.1888:
	global_load_u8 v1, v[24:25], off
	s_mov_b32 s16, 0
	s_mov_b32 s15, exec_lo
	s_wait_loadcnt 0x0
	v_cmpx_lt_i16_e32 0x7f, v1
	s_xor_b32 s15, exec_lo, s15
	s_cbranch_execz .LBB71_1905
; %bb.1889:
	v_cmp_ne_u16_e32 vcc_lo, 0x80, v1
	s_and_b32 s16, vcc_lo, exec_lo
	s_and_not1_saveexec_b32 s15, s15
	s_cbranch_execnz .LBB71_1906
.LBB71_1890:
	s_or_b32 exec_lo, exec_lo, s15
	v_mov_b32_e32 v12, 0
	s_and_saveexec_b32 s15, s16
	s_cbranch_execz .LBB71_1892
.LBB71_1891:
	v_and_b32_e32 v3, 0xffff, v1
	s_delay_alu instid0(VALU_DEP_1) | instskip(SKIP_1) | instid1(VALU_DEP_2)
	v_dual_lshlrev_b32 v1, 24, v1 :: v_dual_bitop2_b32 v5, 7, v3 bitop3:0x40
	v_bfe_u32 v11, v3, 3, 4
	v_and_b32_e32 v1, 0x80000000, v1
	s_delay_alu instid0(VALU_DEP_3) | instskip(NEXT) | instid1(VALU_DEP_3)
	v_clz_i32_u32_e32 v7, v5
	v_cmp_eq_u32_e32 vcc_lo, 0, v11
	s_delay_alu instid0(VALU_DEP_2) | instskip(NEXT) | instid1(VALU_DEP_1)
	v_min_u32_e32 v7, 32, v7
	v_subrev_nc_u32_e32 v9, 28, v7
	v_sub_nc_u32_e32 v7, 29, v7
	s_delay_alu instid0(VALU_DEP_2) | instskip(NEXT) | instid1(VALU_DEP_2)
	v_lshlrev_b32_e32 v3, v9, v3
	v_cndmask_b32_e32 v7, v11, v7, vcc_lo
	s_delay_alu instid0(VALU_DEP_2) | instskip(NEXT) | instid1(VALU_DEP_1)
	v_and_b32_e32 v3, 7, v3
	v_cndmask_b32_e32 v3, v5, v3, vcc_lo
	s_delay_alu instid0(VALU_DEP_3) | instskip(NEXT) | instid1(VALU_DEP_2)
	v_lshl_add_u32 v5, v7, 23, 0x3b800000
	v_lshlrev_b32_e32 v3, 20, v3
	s_delay_alu instid0(VALU_DEP_1) | instskip(NEXT) | instid1(VALU_DEP_1)
	v_or3_b32 v1, v1, v5, v3
	v_cvt_i32_f32_e32 v12, v1
.LBB71_1892:
	s_or_b32 exec_lo, exec_lo, s15
.LBB71_1893:
	s_mov_b32 s15, -1
.LBB71_1894:
	s_mov_b32 s16, 0
.LBB71_1895:
	s_delay_alu instid0(SALU_CYCLE_1)
	s_and_b32 vcc_lo, exec_lo, s16
	s_cbranch_vccz .LBB71_1926
; %bb.1896:
	s_cmp_gt_i32 s11, 22
	s_cbranch_scc0 .LBB71_1904
; %bb.1897:
	s_cmp_lt_i32 s11, 24
	s_cbranch_scc1 .LBB71_1907
; %bb.1898:
	s_cmp_gt_i32 s11, 24
	s_cbranch_scc0 .LBB71_1908
; %bb.1899:
	global_load_u8 v1, v[24:25], off
	s_mov_b32 s15, 0
	s_mov_b32 s14, exec_lo
	s_wait_loadcnt 0x0
	v_cmpx_lt_i16_e32 0x7f, v1
	s_xor_b32 s14, exec_lo, s14
	s_cbranch_execz .LBB71_1920
; %bb.1900:
	v_cmp_ne_u16_e32 vcc_lo, 0x80, v1
	s_and_b32 s15, vcc_lo, exec_lo
	s_and_not1_saveexec_b32 s14, s14
	s_cbranch_execnz .LBB71_1921
.LBB71_1901:
	s_or_b32 exec_lo, exec_lo, s14
	v_mov_b32_e32 v12, 0
	s_and_saveexec_b32 s14, s15
	s_cbranch_execz .LBB71_1903
.LBB71_1902:
	v_and_b32_e32 v3, 0xffff, v1
	s_delay_alu instid0(VALU_DEP_1) | instskip(SKIP_1) | instid1(VALU_DEP_2)
	v_dual_lshlrev_b32 v1, 24, v1 :: v_dual_bitop2_b32 v5, 3, v3 bitop3:0x40
	v_bfe_u32 v11, v3, 2, 5
	v_and_b32_e32 v1, 0x80000000, v1
	s_delay_alu instid0(VALU_DEP_3) | instskip(NEXT) | instid1(VALU_DEP_3)
	v_clz_i32_u32_e32 v7, v5
	v_cmp_eq_u32_e32 vcc_lo, 0, v11
	s_delay_alu instid0(VALU_DEP_2) | instskip(NEXT) | instid1(VALU_DEP_1)
	v_min_u32_e32 v7, 32, v7
	v_subrev_nc_u32_e32 v9, 29, v7
	v_sub_nc_u32_e32 v7, 30, v7
	s_delay_alu instid0(VALU_DEP_2) | instskip(NEXT) | instid1(VALU_DEP_2)
	v_lshlrev_b32_e32 v3, v9, v3
	v_cndmask_b32_e32 v7, v11, v7, vcc_lo
	s_delay_alu instid0(VALU_DEP_2) | instskip(NEXT) | instid1(VALU_DEP_1)
	v_and_b32_e32 v3, 3, v3
	v_cndmask_b32_e32 v3, v5, v3, vcc_lo
	s_delay_alu instid0(VALU_DEP_3) | instskip(NEXT) | instid1(VALU_DEP_2)
	v_lshl_add_u32 v5, v7, 23, 0x37800000
	v_lshlrev_b32_e32 v3, 21, v3
	s_delay_alu instid0(VALU_DEP_1) | instskip(NEXT) | instid1(VALU_DEP_1)
	v_or3_b32 v1, v1, v5, v3
	v_cvt_i32_f32_e32 v12, v1
.LBB71_1903:
	s_or_b32 exec_lo, exec_lo, s14
	s_mov_b32 s14, 0
	s_branch .LBB71_1909
.LBB71_1904:
	s_mov_b32 s14, -1
                                        ; implicit-def: $vgpr12
	s_branch .LBB71_1915
.LBB71_1905:
	s_and_not1_saveexec_b32 s15, s15
	s_cbranch_execz .LBB71_1890
.LBB71_1906:
	v_cmp_ne_u16_e32 vcc_lo, 0, v1
	s_and_not1_b32 s16, s16, exec_lo
	s_and_b32 s17, vcc_lo, exec_lo
	s_delay_alu instid0(SALU_CYCLE_1)
	s_or_b32 s16, s16, s17
	s_or_b32 exec_lo, exec_lo, s15
	v_mov_b32_e32 v12, 0
	s_and_saveexec_b32 s15, s16
	s_cbranch_execnz .LBB71_1891
	s_branch .LBB71_1892
.LBB71_1907:
	s_mov_b32 s14, -1
                                        ; implicit-def: $vgpr12
	s_branch .LBB71_1912
.LBB71_1908:
	s_mov_b32 s14, -1
                                        ; implicit-def: $vgpr12
.LBB71_1909:
	s_delay_alu instid0(SALU_CYCLE_1)
	s_and_b32 vcc_lo, exec_lo, s14
	s_cbranch_vccz .LBB71_1911
; %bb.1910:
	global_load_u8 v1, v[24:25], off
	s_wait_loadcnt 0x0
	v_lshlrev_b32_e32 v1, 24, v1
	s_delay_alu instid0(VALU_DEP_1) | instskip(NEXT) | instid1(VALU_DEP_1)
	v_and_b32_e32 v3, 0x7f000000, v1
	v_clz_i32_u32_e32 v5, v3
	v_add_nc_u32_e32 v9, 0x1000000, v3
	v_cmp_ne_u32_e32 vcc_lo, 0, v3
	s_delay_alu instid0(VALU_DEP_3) | instskip(NEXT) | instid1(VALU_DEP_1)
	v_min_u32_e32 v5, 32, v5
	v_sub_nc_u32_e64 v5, v5, 4 clamp
	s_delay_alu instid0(VALU_DEP_1) | instskip(NEXT) | instid1(VALU_DEP_1)
	v_dual_lshlrev_b32 v7, v5, v3 :: v_dual_lshlrev_b32 v5, 23, v5
	v_lshrrev_b32_e32 v7, 4, v7
	s_delay_alu instid0(VALU_DEP_1) | instskip(SKIP_1) | instid1(VALU_DEP_2)
	v_sub_nc_u32_e32 v5, v7, v5
	v_ashrrev_i32_e32 v7, 8, v9
	v_add_nc_u32_e32 v5, 0x3c000000, v5
	s_delay_alu instid0(VALU_DEP_1) | instskip(NEXT) | instid1(VALU_DEP_1)
	v_and_or_b32 v5, 0x7f800000, v7, v5
	v_cndmask_b32_e32 v3, 0, v5, vcc_lo
	s_delay_alu instid0(VALU_DEP_1) | instskip(NEXT) | instid1(VALU_DEP_1)
	v_and_or_b32 v1, 0x80000000, v1, v3
	v_cvt_i32_f32_e32 v12, v1
.LBB71_1911:
	s_mov_b32 s14, 0
.LBB71_1912:
	s_delay_alu instid0(SALU_CYCLE_1)
	s_and_not1_b32 vcc_lo, exec_lo, s14
	s_cbranch_vccnz .LBB71_1914
; %bb.1913:
	global_load_u8 v1, v[24:25], off
	s_wait_loadcnt 0x0
	v_lshlrev_b32_e32 v3, 25, v1
	v_lshlrev_b16 v1, 8, v1
	s_delay_alu instid0(VALU_DEP_1) | instskip(SKIP_1) | instid1(VALU_DEP_2)
	v_and_or_b32 v7, 0x7f00, v1, 0.5
	v_bfe_i32 v1, v1, 0, 16
	v_add_f32_e32 v7, -0.5, v7
	v_lshrrev_b32_e32 v5, 4, v3
	v_cmp_gt_u32_e32 vcc_lo, 0x8000000, v3
	s_delay_alu instid0(VALU_DEP_2) | instskip(NEXT) | instid1(VALU_DEP_1)
	v_or_b32_e32 v5, 0x70000000, v5
	v_mul_f32_e32 v5, 0x7800000, v5
	s_delay_alu instid0(VALU_DEP_1) | instskip(NEXT) | instid1(VALU_DEP_1)
	v_cndmask_b32_e32 v3, v5, v7, vcc_lo
	v_and_or_b32 v1, 0x80000000, v1, v3
	s_delay_alu instid0(VALU_DEP_1)
	v_cvt_i32_f32_e32 v12, v1
.LBB71_1914:
	s_mov_b32 s14, 0
	s_mov_b32 s15, -1
.LBB71_1915:
	s_and_not1_b32 vcc_lo, exec_lo, s14
	s_mov_b32 s14, 0
	s_cbranch_vccnz .LBB71_1926
; %bb.1916:
	s_cmp_gt_i32 s11, 14
	s_cbranch_scc0 .LBB71_1919
; %bb.1917:
	s_cmp_eq_u32 s11, 15
	s_cbranch_scc0 .LBB71_1922
; %bb.1918:
	global_load_u16 v1, v[24:25], off
	s_mov_b32 s13, 0
	s_mov_b32 s15, -1
	s_wait_loadcnt 0x0
	v_lshlrev_b32_e32 v1, 16, v1
	s_delay_alu instid0(VALU_DEP_1)
	v_cvt_i32_f32_e32 v12, v1
	s_branch .LBB71_1924
.LBB71_1919:
	s_mov_b32 s14, -1
	s_branch .LBB71_1923
.LBB71_1920:
	s_and_not1_saveexec_b32 s14, s14
	s_cbranch_execz .LBB71_1901
.LBB71_1921:
	v_cmp_ne_u16_e32 vcc_lo, 0, v1
	s_and_not1_b32 s15, s15, exec_lo
	s_and_b32 s16, vcc_lo, exec_lo
	s_delay_alu instid0(SALU_CYCLE_1)
	s_or_b32 s15, s15, s16
	s_or_b32 exec_lo, exec_lo, s14
	v_mov_b32_e32 v12, 0
	s_and_saveexec_b32 s14, s15
	s_cbranch_execnz .LBB71_1902
	s_branch .LBB71_1903
.LBB71_1922:
	s_mov_b32 s13, -1
.LBB71_1923:
                                        ; implicit-def: $vgpr12
.LBB71_1924:
	s_and_b32 vcc_lo, exec_lo, s14
	s_mov_b32 s14, 0
	s_cbranch_vccz .LBB71_1926
; %bb.1925:
	s_cmp_lg_u32 s11, 11
	s_mov_b32 s14, -1
	s_cselect_b32 s13, -1, 0
.LBB71_1926:
	s_delay_alu instid0(SALU_CYCLE_1)
	s_and_b32 vcc_lo, exec_lo, s13
	s_cbranch_vccnz .LBB71_1989
; %bb.1927:
	s_and_not1_b32 vcc_lo, exec_lo, s14
	s_cbranch_vccnz .LBB71_1929
.LBB71_1928:
	global_load_u8 v1, v[24:25], off
	s_mov_b32 s15, -1
	s_wait_loadcnt 0x0
	v_cmp_ne_u16_e32 vcc_lo, 0, v1
	v_cndmask_b32_e64 v12, 0, 1, vcc_lo
.LBB71_1929:
	s_branch .LBB71_1860
.LBB71_1930:
	s_cmp_lt_i32 s11, 5
	s_cbranch_scc1 .LBB71_1935
; %bb.1931:
	s_cmp_lt_i32 s11, 8
	s_cbranch_scc1 .LBB71_1936
; %bb.1932:
	;; [unrolled: 3-line block ×3, first 2 shown]
	s_cmp_gt_i32 s11, 9
	s_cbranch_scc0 .LBB71_1938
; %bb.1934:
	s_wait_loadcnt 0x0
	global_load_b64 v[12:13], v[24:25], off
	s_mov_b32 s13, 0
	s_wait_loadcnt 0x0
	v_cvt_i32_f64_e32 v12, v[12:13]
	s_branch .LBB71_1939
.LBB71_1935:
	s_mov_b32 s13, -1
                                        ; implicit-def: $vgpr12
	s_branch .LBB71_1957
.LBB71_1936:
	s_mov_b32 s13, -1
                                        ; implicit-def: $vgpr12
	s_branch .LBB71_1945
.LBB71_1937:
	s_mov_b32 s13, -1
                                        ; implicit-def: $vgpr12
	s_branch .LBB71_1942
.LBB71_1938:
	s_mov_b32 s13, -1
                                        ; implicit-def: $vgpr12
.LBB71_1939:
	s_delay_alu instid0(SALU_CYCLE_1)
	s_and_not1_b32 vcc_lo, exec_lo, s13
	s_cbranch_vccnz .LBB71_1941
; %bb.1940:
	global_load_b32 v1, v[24:25], off
	s_wait_loadcnt 0x0
	v_cvt_i32_f32_e32 v12, v1
.LBB71_1941:
	s_mov_b32 s13, 0
.LBB71_1942:
	s_delay_alu instid0(SALU_CYCLE_1)
	s_and_not1_b32 vcc_lo, exec_lo, s13
	s_cbranch_vccnz .LBB71_1944
; %bb.1943:
	global_load_b32 v1, v[24:25], off
	s_wait_loadcnt 0x0
	v_cvt_i16_f16_e32 v12, v1
.LBB71_1944:
	s_mov_b32 s13, 0
.LBB71_1945:
	s_delay_alu instid0(SALU_CYCLE_1)
	s_and_not1_b32 vcc_lo, exec_lo, s13
	s_cbranch_vccnz .LBB71_1956
; %bb.1946:
	s_cmp_lt_i32 s11, 6
	s_cbranch_scc1 .LBB71_1949
; %bb.1947:
	s_cmp_gt_i32 s11, 6
	s_cbranch_scc0 .LBB71_1950
; %bb.1948:
	s_wait_loadcnt 0x0
	global_load_b64 v[12:13], v[24:25], off
	s_mov_b32 s13, 0
	s_wait_loadcnt 0x0
	v_cvt_i32_f64_e32 v12, v[12:13]
	s_branch .LBB71_1951
.LBB71_1949:
	s_mov_b32 s13, -1
                                        ; implicit-def: $vgpr12
	s_branch .LBB71_1954
.LBB71_1950:
	s_mov_b32 s13, -1
                                        ; implicit-def: $vgpr12
.LBB71_1951:
	s_delay_alu instid0(SALU_CYCLE_1)
	s_and_not1_b32 vcc_lo, exec_lo, s13
	s_cbranch_vccnz .LBB71_1953
; %bb.1952:
	global_load_b32 v1, v[24:25], off
	s_wait_loadcnt 0x0
	v_cvt_i32_f32_e32 v12, v1
.LBB71_1953:
	s_mov_b32 s13, 0
.LBB71_1954:
	s_delay_alu instid0(SALU_CYCLE_1)
	s_and_not1_b32 vcc_lo, exec_lo, s13
	s_cbranch_vccnz .LBB71_1956
; %bb.1955:
	global_load_u16 v1, v[24:25], off
	s_wait_loadcnt 0x0
	v_cvt_i16_f16_e32 v12, v1
.LBB71_1956:
	s_mov_b32 s13, 0
.LBB71_1957:
	s_delay_alu instid0(SALU_CYCLE_1)
	s_and_not1_b32 vcc_lo, exec_lo, s13
	s_cbranch_vccnz .LBB71_1977
; %bb.1958:
	s_cmp_lt_i32 s11, 2
	s_cbranch_scc1 .LBB71_1962
; %bb.1959:
	s_cmp_lt_i32 s11, 3
	s_cbranch_scc1 .LBB71_1963
; %bb.1960:
	s_cmp_gt_i32 s11, 3
	s_cbranch_scc0 .LBB71_1964
; %bb.1961:
	s_wait_loadcnt 0x0
	global_load_b64 v[12:13], v[24:25], off
	s_mov_b32 s13, 0
	s_branch .LBB71_1965
.LBB71_1962:
	s_mov_b32 s13, -1
                                        ; implicit-def: $vgpr12
	s_branch .LBB71_1971
.LBB71_1963:
	s_mov_b32 s13, -1
                                        ; implicit-def: $vgpr12
	s_branch .LBB71_1968
.LBB71_1964:
	s_mov_b32 s13, -1
                                        ; implicit-def: $vgpr12
.LBB71_1965:
	s_delay_alu instid0(SALU_CYCLE_1)
	s_and_not1_b32 vcc_lo, exec_lo, s13
	s_cbranch_vccnz .LBB71_1967
; %bb.1966:
	s_wait_loadcnt 0x0
	global_load_b32 v12, v[24:25], off
.LBB71_1967:
	s_mov_b32 s13, 0
.LBB71_1968:
	s_delay_alu instid0(SALU_CYCLE_1)
	s_and_not1_b32 vcc_lo, exec_lo, s13
	s_cbranch_vccnz .LBB71_1970
; %bb.1969:
	s_wait_loadcnt 0x0
	global_load_u16 v12, v[24:25], off
.LBB71_1970:
	s_mov_b32 s13, 0
.LBB71_1971:
	s_delay_alu instid0(SALU_CYCLE_1)
	s_and_not1_b32 vcc_lo, exec_lo, s13
	s_cbranch_vccnz .LBB71_1977
; %bb.1972:
	s_cmp_gt_i32 s11, 0
	s_mov_b32 s13, 0
	s_cbranch_scc0 .LBB71_1974
; %bb.1973:
	s_wait_loadcnt 0x0
	global_load_i8 v12, v[24:25], off
	s_branch .LBB71_1975
.LBB71_1974:
	s_mov_b32 s13, -1
                                        ; implicit-def: $vgpr12
.LBB71_1975:
	s_delay_alu instid0(SALU_CYCLE_1)
	s_and_not1_b32 vcc_lo, exec_lo, s13
	s_cbranch_vccnz .LBB71_1977
; %bb.1976:
	s_wait_loadcnt 0x0
	global_load_u8 v12, v[24:25], off
.LBB71_1977:
.LBB71_1978:
	v_mov_b32_e32 v21, 0
	s_and_b32 s12, 0xffff, s12
	s_delay_alu instid0(SALU_CYCLE_1) | instskip(SKIP_1) | instid1(VALU_DEP_1)
	s_cmp_lt_i32 s12, 11
	s_wait_xcnt 0x0
	v_add_nc_u64_e32 v[24:25], s[0:1], v[20:21]
	s_cbranch_scc1 .LBB71_1985
; %bb.1979:
	s_cmp_gt_i32 s12, 25
	s_mov_b32 s14, 0
	s_cbranch_scc0 .LBB71_1986
; %bb.1980:
	s_cmp_gt_i32 s12, 28
	s_cbranch_scc0 .LBB71_1987
; %bb.1981:
	s_cmp_gt_i32 s12, 43
	s_cbranch_scc0 .LBB71_1988
; %bb.1982:
	s_cmp_gt_i32 s12, 45
	s_cbranch_scc0 .LBB71_1990
; %bb.1983:
	s_cmp_eq_u32 s12, 46
	s_mov_b32 s16, 0
	s_cbranch_scc0 .LBB71_1991
; %bb.1984:
	global_load_b32 v1, v[24:25], off
	s_mov_b32 s13, 0
	s_mov_b32 s15, -1
	s_wait_loadcnt 0x0
	v_lshlrev_b32_e32 v1, 16, v1
	s_delay_alu instid0(VALU_DEP_1)
	v_cvt_i32_f32_e32 v20, v1
	s_branch .LBB71_1993
.LBB71_1985:
	s_mov_b32 s13, -1
	s_mov_b32 s15, 0
                                        ; implicit-def: $vgpr20
	s_branch .LBB71_2055
.LBB71_1986:
	s_mov_b32 s16, -1
	s_mov_b32 s15, 0
	s_mov_b32 s13, 0
                                        ; implicit-def: $vgpr20
	s_branch .LBB71_2020
.LBB71_1987:
	s_mov_b32 s16, -1
	s_mov_b32 s15, 0
	s_mov_b32 s13, 0
                                        ; implicit-def: $vgpr20
	s_branch .LBB71_2003
.LBB71_1988:
	s_mov_b32 s16, -1
	s_mov_b32 s15, 0
	s_mov_b32 s13, 0
                                        ; implicit-def: $vgpr20
	s_branch .LBB71_1998
.LBB71_1989:
	s_or_b32 s10, s10, exec_lo
	s_trap 2
	s_cbranch_execz .LBB71_1928
	s_branch .LBB71_1929
.LBB71_1990:
	s_mov_b32 s16, -1
	s_mov_b32 s15, 0
	s_mov_b32 s13, 0
	s_branch .LBB71_1992
.LBB71_1991:
	s_mov_b32 s13, -1
	s_mov_b32 s15, 0
.LBB71_1992:
                                        ; implicit-def: $vgpr20
.LBB71_1993:
	s_and_b32 vcc_lo, exec_lo, s16
	s_cbranch_vccz .LBB71_1997
; %bb.1994:
	s_cmp_eq_u32 s12, 44
	s_cbranch_scc0 .LBB71_1996
; %bb.1995:
	global_load_u8 v1, v[24:25], off
	s_mov_b32 s13, 0
	s_mov_b32 s15, -1
	s_wait_loadcnt 0x0
	v_lshlrev_b32_e32 v3, 23, v1
	v_cmp_ne_u32_e32 vcc_lo, 0, v1
	s_delay_alu instid0(VALU_DEP_2) | instskip(NEXT) | instid1(VALU_DEP_1)
	v_cvt_i32_f32_e32 v3, v3
	v_cndmask_b32_e32 v20, 0, v3, vcc_lo
	s_branch .LBB71_1997
.LBB71_1996:
	s_mov_b32 s13, -1
                                        ; implicit-def: $vgpr20
.LBB71_1997:
	s_mov_b32 s16, 0
.LBB71_1998:
	s_delay_alu instid0(SALU_CYCLE_1)
	s_and_b32 vcc_lo, exec_lo, s16
	s_cbranch_vccz .LBB71_2002
; %bb.1999:
	s_cmp_eq_u32 s12, 29
	s_cbranch_scc0 .LBB71_2001
; %bb.2000:
	global_load_b64 v[20:21], v[24:25], off
	s_mov_b32 s13, 0
	s_mov_b32 s15, -1
	s_branch .LBB71_2002
.LBB71_2001:
	s_mov_b32 s13, -1
                                        ; implicit-def: $vgpr20
.LBB71_2002:
	s_mov_b32 s16, 0
.LBB71_2003:
	s_delay_alu instid0(SALU_CYCLE_1)
	s_and_b32 vcc_lo, exec_lo, s16
	s_cbranch_vccz .LBB71_2019
; %bb.2004:
	s_cmp_lt_i32 s12, 27
	s_cbranch_scc1 .LBB71_2007
; %bb.2005:
	s_cmp_gt_i32 s12, 27
	s_cbranch_scc0 .LBB71_2008
; %bb.2006:
	s_wait_loadcnt 0x0
	global_load_b32 v20, v[24:25], off
	s_mov_b32 s15, 0
	s_branch .LBB71_2009
.LBB71_2007:
	s_mov_b32 s15, -1
                                        ; implicit-def: $vgpr20
	s_branch .LBB71_2012
.LBB71_2008:
	s_mov_b32 s15, -1
                                        ; implicit-def: $vgpr20
.LBB71_2009:
	s_delay_alu instid0(SALU_CYCLE_1)
	s_and_not1_b32 vcc_lo, exec_lo, s15
	s_cbranch_vccnz .LBB71_2011
; %bb.2010:
	s_wait_loadcnt 0x0
	global_load_u16 v20, v[24:25], off
.LBB71_2011:
	s_mov_b32 s15, 0
.LBB71_2012:
	s_delay_alu instid0(SALU_CYCLE_1)
	s_and_not1_b32 vcc_lo, exec_lo, s15
	s_cbranch_vccnz .LBB71_2018
; %bb.2013:
	global_load_u8 v1, v[24:25], off
	s_mov_b32 s16, 0
	s_mov_b32 s15, exec_lo
	s_wait_loadcnt 0x0
	v_cmpx_lt_i16_e32 0x7f, v1
	s_xor_b32 s15, exec_lo, s15
	s_cbranch_execz .LBB71_2030
; %bb.2014:
	v_cmp_ne_u16_e32 vcc_lo, 0x80, v1
	s_and_b32 s16, vcc_lo, exec_lo
	s_and_not1_saveexec_b32 s15, s15
	s_cbranch_execnz .LBB71_2031
.LBB71_2015:
	s_or_b32 exec_lo, exec_lo, s15
	v_mov_b32_e32 v20, 0
	s_and_saveexec_b32 s15, s16
	s_cbranch_execz .LBB71_2017
.LBB71_2016:
	v_and_b32_e32 v3, 0xffff, v1
	s_delay_alu instid0(VALU_DEP_1) | instskip(SKIP_1) | instid1(VALU_DEP_2)
	v_dual_lshlrev_b32 v1, 24, v1 :: v_dual_bitop2_b32 v5, 7, v3 bitop3:0x40
	v_bfe_u32 v11, v3, 3, 4
	v_and_b32_e32 v1, 0x80000000, v1
	s_delay_alu instid0(VALU_DEP_3) | instskip(NEXT) | instid1(VALU_DEP_3)
	v_clz_i32_u32_e32 v7, v5
	v_cmp_eq_u32_e32 vcc_lo, 0, v11
	s_delay_alu instid0(VALU_DEP_2) | instskip(NEXT) | instid1(VALU_DEP_1)
	v_min_u32_e32 v7, 32, v7
	v_subrev_nc_u32_e32 v9, 28, v7
	v_sub_nc_u32_e32 v7, 29, v7
	s_delay_alu instid0(VALU_DEP_2) | instskip(NEXT) | instid1(VALU_DEP_2)
	v_lshlrev_b32_e32 v3, v9, v3
	v_cndmask_b32_e32 v7, v11, v7, vcc_lo
	s_delay_alu instid0(VALU_DEP_2) | instskip(NEXT) | instid1(VALU_DEP_1)
	v_and_b32_e32 v3, 7, v3
	v_cndmask_b32_e32 v3, v5, v3, vcc_lo
	s_delay_alu instid0(VALU_DEP_3) | instskip(NEXT) | instid1(VALU_DEP_2)
	v_lshl_add_u32 v5, v7, 23, 0x3b800000
	v_lshlrev_b32_e32 v3, 20, v3
	s_delay_alu instid0(VALU_DEP_1) | instskip(NEXT) | instid1(VALU_DEP_1)
	v_or3_b32 v1, v1, v5, v3
	v_cvt_i32_f32_e32 v20, v1
.LBB71_2017:
	s_or_b32 exec_lo, exec_lo, s15
.LBB71_2018:
	s_mov_b32 s15, -1
.LBB71_2019:
	s_mov_b32 s16, 0
.LBB71_2020:
	s_delay_alu instid0(SALU_CYCLE_1)
	s_and_b32 vcc_lo, exec_lo, s16
	s_cbranch_vccz .LBB71_2051
; %bb.2021:
	s_cmp_gt_i32 s12, 22
	s_cbranch_scc0 .LBB71_2029
; %bb.2022:
	s_cmp_lt_i32 s12, 24
	s_cbranch_scc1 .LBB71_2032
; %bb.2023:
	s_cmp_gt_i32 s12, 24
	s_cbranch_scc0 .LBB71_2033
; %bb.2024:
	global_load_u8 v1, v[24:25], off
	s_mov_b32 s15, 0
	s_mov_b32 s14, exec_lo
	s_wait_loadcnt 0x0
	v_cmpx_lt_i16_e32 0x7f, v1
	s_xor_b32 s14, exec_lo, s14
	s_cbranch_execz .LBB71_2045
; %bb.2025:
	v_cmp_ne_u16_e32 vcc_lo, 0x80, v1
	s_and_b32 s15, vcc_lo, exec_lo
	s_and_not1_saveexec_b32 s14, s14
	s_cbranch_execnz .LBB71_2046
.LBB71_2026:
	s_or_b32 exec_lo, exec_lo, s14
	v_mov_b32_e32 v20, 0
	s_and_saveexec_b32 s14, s15
	s_cbranch_execz .LBB71_2028
.LBB71_2027:
	v_and_b32_e32 v3, 0xffff, v1
	s_delay_alu instid0(VALU_DEP_1) | instskip(SKIP_1) | instid1(VALU_DEP_2)
	v_dual_lshlrev_b32 v1, 24, v1 :: v_dual_bitop2_b32 v5, 3, v3 bitop3:0x40
	v_bfe_u32 v11, v3, 2, 5
	v_and_b32_e32 v1, 0x80000000, v1
	s_delay_alu instid0(VALU_DEP_3) | instskip(NEXT) | instid1(VALU_DEP_3)
	v_clz_i32_u32_e32 v7, v5
	v_cmp_eq_u32_e32 vcc_lo, 0, v11
	s_delay_alu instid0(VALU_DEP_2) | instskip(NEXT) | instid1(VALU_DEP_1)
	v_min_u32_e32 v7, 32, v7
	v_subrev_nc_u32_e32 v9, 29, v7
	v_sub_nc_u32_e32 v7, 30, v7
	s_delay_alu instid0(VALU_DEP_2) | instskip(NEXT) | instid1(VALU_DEP_2)
	v_lshlrev_b32_e32 v3, v9, v3
	v_cndmask_b32_e32 v7, v11, v7, vcc_lo
	s_delay_alu instid0(VALU_DEP_2) | instskip(NEXT) | instid1(VALU_DEP_1)
	v_and_b32_e32 v3, 3, v3
	v_cndmask_b32_e32 v3, v5, v3, vcc_lo
	s_delay_alu instid0(VALU_DEP_3) | instskip(NEXT) | instid1(VALU_DEP_2)
	v_lshl_add_u32 v5, v7, 23, 0x37800000
	v_lshlrev_b32_e32 v3, 21, v3
	s_delay_alu instid0(VALU_DEP_1) | instskip(NEXT) | instid1(VALU_DEP_1)
	v_or3_b32 v1, v1, v5, v3
	v_cvt_i32_f32_e32 v20, v1
.LBB71_2028:
	s_or_b32 exec_lo, exec_lo, s14
	s_mov_b32 s14, 0
	s_branch .LBB71_2034
.LBB71_2029:
	s_mov_b32 s14, -1
                                        ; implicit-def: $vgpr20
	s_branch .LBB71_2040
.LBB71_2030:
	s_and_not1_saveexec_b32 s15, s15
	s_cbranch_execz .LBB71_2015
.LBB71_2031:
	v_cmp_ne_u16_e32 vcc_lo, 0, v1
	s_and_not1_b32 s16, s16, exec_lo
	s_and_b32 s17, vcc_lo, exec_lo
	s_delay_alu instid0(SALU_CYCLE_1)
	s_or_b32 s16, s16, s17
	s_or_b32 exec_lo, exec_lo, s15
	v_mov_b32_e32 v20, 0
	s_and_saveexec_b32 s15, s16
	s_cbranch_execnz .LBB71_2016
	s_branch .LBB71_2017
.LBB71_2032:
	s_mov_b32 s14, -1
                                        ; implicit-def: $vgpr20
	s_branch .LBB71_2037
.LBB71_2033:
	s_mov_b32 s14, -1
                                        ; implicit-def: $vgpr20
.LBB71_2034:
	s_delay_alu instid0(SALU_CYCLE_1)
	s_and_b32 vcc_lo, exec_lo, s14
	s_cbranch_vccz .LBB71_2036
; %bb.2035:
	global_load_u8 v1, v[24:25], off
	s_wait_loadcnt 0x0
	v_lshlrev_b32_e32 v1, 24, v1
	s_delay_alu instid0(VALU_DEP_1) | instskip(NEXT) | instid1(VALU_DEP_1)
	v_and_b32_e32 v3, 0x7f000000, v1
	v_clz_i32_u32_e32 v5, v3
	v_add_nc_u32_e32 v9, 0x1000000, v3
	v_cmp_ne_u32_e32 vcc_lo, 0, v3
	s_delay_alu instid0(VALU_DEP_3) | instskip(NEXT) | instid1(VALU_DEP_1)
	v_min_u32_e32 v5, 32, v5
	v_sub_nc_u32_e64 v5, v5, 4 clamp
	s_delay_alu instid0(VALU_DEP_1) | instskip(NEXT) | instid1(VALU_DEP_1)
	v_dual_lshlrev_b32 v7, v5, v3 :: v_dual_lshlrev_b32 v5, 23, v5
	v_lshrrev_b32_e32 v7, 4, v7
	s_delay_alu instid0(VALU_DEP_1) | instskip(SKIP_1) | instid1(VALU_DEP_2)
	v_sub_nc_u32_e32 v5, v7, v5
	v_ashrrev_i32_e32 v7, 8, v9
	v_add_nc_u32_e32 v5, 0x3c000000, v5
	s_delay_alu instid0(VALU_DEP_1) | instskip(NEXT) | instid1(VALU_DEP_1)
	v_and_or_b32 v5, 0x7f800000, v7, v5
	v_cndmask_b32_e32 v3, 0, v5, vcc_lo
	s_delay_alu instid0(VALU_DEP_1) | instskip(NEXT) | instid1(VALU_DEP_1)
	v_and_or_b32 v1, 0x80000000, v1, v3
	v_cvt_i32_f32_e32 v20, v1
.LBB71_2036:
	s_mov_b32 s14, 0
.LBB71_2037:
	s_delay_alu instid0(SALU_CYCLE_1)
	s_and_not1_b32 vcc_lo, exec_lo, s14
	s_cbranch_vccnz .LBB71_2039
; %bb.2038:
	global_load_u8 v1, v[24:25], off
	s_wait_loadcnt 0x0
	v_lshlrev_b32_e32 v3, 25, v1
	v_lshlrev_b16 v1, 8, v1
	s_delay_alu instid0(VALU_DEP_1) | instskip(SKIP_1) | instid1(VALU_DEP_2)
	v_and_or_b32 v7, 0x7f00, v1, 0.5
	v_bfe_i32 v1, v1, 0, 16
	v_add_f32_e32 v7, -0.5, v7
	v_lshrrev_b32_e32 v5, 4, v3
	v_cmp_gt_u32_e32 vcc_lo, 0x8000000, v3
	s_delay_alu instid0(VALU_DEP_2) | instskip(NEXT) | instid1(VALU_DEP_1)
	v_or_b32_e32 v5, 0x70000000, v5
	v_mul_f32_e32 v5, 0x7800000, v5
	s_delay_alu instid0(VALU_DEP_1) | instskip(NEXT) | instid1(VALU_DEP_1)
	v_cndmask_b32_e32 v3, v5, v7, vcc_lo
	v_and_or_b32 v1, 0x80000000, v1, v3
	s_delay_alu instid0(VALU_DEP_1)
	v_cvt_i32_f32_e32 v20, v1
.LBB71_2039:
	s_mov_b32 s14, 0
	s_mov_b32 s15, -1
.LBB71_2040:
	s_and_not1_b32 vcc_lo, exec_lo, s14
	s_mov_b32 s14, 0
	s_cbranch_vccnz .LBB71_2051
; %bb.2041:
	s_cmp_gt_i32 s12, 14
	s_cbranch_scc0 .LBB71_2044
; %bb.2042:
	s_cmp_eq_u32 s12, 15
	s_cbranch_scc0 .LBB71_2047
; %bb.2043:
	global_load_u16 v1, v[24:25], off
	s_mov_b32 s13, 0
	s_mov_b32 s15, -1
	s_wait_loadcnt 0x0
	v_lshlrev_b32_e32 v1, 16, v1
	s_delay_alu instid0(VALU_DEP_1)
	v_cvt_i32_f32_e32 v20, v1
	s_branch .LBB71_2049
.LBB71_2044:
	s_mov_b32 s14, -1
	s_branch .LBB71_2048
.LBB71_2045:
	s_and_not1_saveexec_b32 s14, s14
	s_cbranch_execz .LBB71_2026
.LBB71_2046:
	v_cmp_ne_u16_e32 vcc_lo, 0, v1
	s_and_not1_b32 s15, s15, exec_lo
	s_and_b32 s16, vcc_lo, exec_lo
	s_delay_alu instid0(SALU_CYCLE_1)
	s_or_b32 s15, s15, s16
	s_or_b32 exec_lo, exec_lo, s14
	v_mov_b32_e32 v20, 0
	s_and_saveexec_b32 s14, s15
	s_cbranch_execnz .LBB71_2027
	s_branch .LBB71_2028
.LBB71_2047:
	s_mov_b32 s13, -1
.LBB71_2048:
                                        ; implicit-def: $vgpr20
.LBB71_2049:
	s_and_b32 vcc_lo, exec_lo, s14
	s_mov_b32 s14, 0
	s_cbranch_vccz .LBB71_2051
; %bb.2050:
	s_cmp_lg_u32 s12, 11
	s_mov_b32 s14, -1
	s_cselect_b32 s13, -1, 0
.LBB71_2051:
	s_delay_alu instid0(SALU_CYCLE_1)
	s_and_b32 vcc_lo, exec_lo, s13
	s_cbranch_vccnz .LBB71_2116
; %bb.2052:
	s_and_not1_b32 vcc_lo, exec_lo, s14
	s_cbranch_vccnz .LBB71_2054
.LBB71_2053:
	global_load_u8 v1, v[24:25], off
	s_mov_b32 s15, -1
	s_wait_loadcnt 0x0
	v_cmp_ne_u16_e32 vcc_lo, 0, v1
	v_cndmask_b32_e64 v20, 0, 1, vcc_lo
.LBB71_2054:
	s_mov_b32 s13, 0
.LBB71_2055:
	s_delay_alu instid0(SALU_CYCLE_1)
	s_and_b32 vcc_lo, exec_lo, s13
	s_cbranch_vccz .LBB71_2104
; %bb.2056:
	s_cmp_lt_i32 s12, 5
	s_cbranch_scc1 .LBB71_2061
; %bb.2057:
	s_cmp_lt_i32 s12, 8
	s_cbranch_scc1 .LBB71_2062
; %bb.2058:
	s_cmp_lt_i32 s12, 9
	s_cbranch_scc1 .LBB71_2063
; %bb.2059:
	s_cmp_gt_i32 s12, 9
	s_cbranch_scc0 .LBB71_2064
; %bb.2060:
	s_wait_loadcnt 0x0
	global_load_b64 v[20:21], v[24:25], off
	s_mov_b32 s13, 0
	s_wait_loadcnt 0x0
	v_cvt_i32_f64_e32 v20, v[20:21]
	s_branch .LBB71_2065
.LBB71_2061:
	s_mov_b32 s13, -1
                                        ; implicit-def: $vgpr20
	s_branch .LBB71_2083
.LBB71_2062:
	s_mov_b32 s13, -1
                                        ; implicit-def: $vgpr20
	s_branch .LBB71_2071
.LBB71_2063:
	s_mov_b32 s13, -1
                                        ; implicit-def: $vgpr20
	s_branch .LBB71_2068
.LBB71_2064:
	s_mov_b32 s13, -1
                                        ; implicit-def: $vgpr20
.LBB71_2065:
	s_delay_alu instid0(SALU_CYCLE_1)
	s_and_not1_b32 vcc_lo, exec_lo, s13
	s_cbranch_vccnz .LBB71_2067
; %bb.2066:
	global_load_b32 v1, v[24:25], off
	s_wait_loadcnt 0x0
	v_cvt_i32_f32_e32 v20, v1
.LBB71_2067:
	s_mov_b32 s13, 0
.LBB71_2068:
	s_delay_alu instid0(SALU_CYCLE_1)
	s_and_not1_b32 vcc_lo, exec_lo, s13
	s_cbranch_vccnz .LBB71_2070
; %bb.2069:
	global_load_b32 v1, v[24:25], off
	s_wait_loadcnt 0x0
	v_cvt_i16_f16_e32 v20, v1
.LBB71_2070:
	s_mov_b32 s13, 0
.LBB71_2071:
	s_delay_alu instid0(SALU_CYCLE_1)
	s_and_not1_b32 vcc_lo, exec_lo, s13
	s_cbranch_vccnz .LBB71_2082
; %bb.2072:
	s_cmp_lt_i32 s12, 6
	s_cbranch_scc1 .LBB71_2075
; %bb.2073:
	s_cmp_gt_i32 s12, 6
	s_cbranch_scc0 .LBB71_2076
; %bb.2074:
	s_wait_loadcnt 0x0
	global_load_b64 v[20:21], v[24:25], off
	s_mov_b32 s13, 0
	s_wait_loadcnt 0x0
	v_cvt_i32_f64_e32 v20, v[20:21]
	s_branch .LBB71_2077
.LBB71_2075:
	s_mov_b32 s13, -1
                                        ; implicit-def: $vgpr20
	s_branch .LBB71_2080
.LBB71_2076:
	s_mov_b32 s13, -1
                                        ; implicit-def: $vgpr20
.LBB71_2077:
	s_delay_alu instid0(SALU_CYCLE_1)
	s_and_not1_b32 vcc_lo, exec_lo, s13
	s_cbranch_vccnz .LBB71_2079
; %bb.2078:
	global_load_b32 v1, v[24:25], off
	s_wait_loadcnt 0x0
	v_cvt_i32_f32_e32 v20, v1
.LBB71_2079:
	s_mov_b32 s13, 0
.LBB71_2080:
	s_delay_alu instid0(SALU_CYCLE_1)
	s_and_not1_b32 vcc_lo, exec_lo, s13
	s_cbranch_vccnz .LBB71_2082
; %bb.2081:
	global_load_u16 v1, v[24:25], off
	s_wait_loadcnt 0x0
	v_cvt_i16_f16_e32 v20, v1
.LBB71_2082:
	s_mov_b32 s13, 0
.LBB71_2083:
	s_delay_alu instid0(SALU_CYCLE_1)
	s_and_not1_b32 vcc_lo, exec_lo, s13
	s_cbranch_vccnz .LBB71_2103
; %bb.2084:
	s_cmp_lt_i32 s12, 2
	s_cbranch_scc1 .LBB71_2088
; %bb.2085:
	s_cmp_lt_i32 s12, 3
	s_cbranch_scc1 .LBB71_2089
; %bb.2086:
	s_cmp_gt_i32 s12, 3
	s_cbranch_scc0 .LBB71_2090
; %bb.2087:
	s_wait_loadcnt 0x0
	global_load_b64 v[20:21], v[24:25], off
	s_mov_b32 s13, 0
	s_branch .LBB71_2091
.LBB71_2088:
	s_mov_b32 s13, -1
                                        ; implicit-def: $vgpr20
	s_branch .LBB71_2097
.LBB71_2089:
	s_mov_b32 s13, -1
                                        ; implicit-def: $vgpr20
	s_branch .LBB71_2094
.LBB71_2090:
	s_mov_b32 s13, -1
                                        ; implicit-def: $vgpr20
.LBB71_2091:
	s_delay_alu instid0(SALU_CYCLE_1)
	s_and_not1_b32 vcc_lo, exec_lo, s13
	s_cbranch_vccnz .LBB71_2093
; %bb.2092:
	s_wait_loadcnt 0x0
	global_load_b32 v20, v[24:25], off
.LBB71_2093:
	s_mov_b32 s13, 0
.LBB71_2094:
	s_delay_alu instid0(SALU_CYCLE_1)
	s_and_not1_b32 vcc_lo, exec_lo, s13
	s_cbranch_vccnz .LBB71_2096
; %bb.2095:
	s_wait_loadcnt 0x0
	global_load_u16 v20, v[24:25], off
.LBB71_2096:
	s_mov_b32 s13, 0
.LBB71_2097:
	s_delay_alu instid0(SALU_CYCLE_1)
	s_and_not1_b32 vcc_lo, exec_lo, s13
	s_cbranch_vccnz .LBB71_2103
; %bb.2098:
	s_cmp_gt_i32 s12, 0
	s_mov_b32 s13, 0
	s_cbranch_scc0 .LBB71_2100
; %bb.2099:
	s_wait_loadcnt 0x0
	global_load_i8 v20, v[24:25], off
	s_branch .LBB71_2101
.LBB71_2100:
	s_mov_b32 s13, -1
                                        ; implicit-def: $vgpr20
.LBB71_2101:
	s_delay_alu instid0(SALU_CYCLE_1)
	s_and_not1_b32 vcc_lo, exec_lo, s13
	s_cbranch_vccnz .LBB71_2103
; %bb.2102:
	s_wait_loadcnt 0x0
	global_load_u8 v20, v[24:25], off
.LBB71_2103:
	s_mov_b32 s15, -1
.LBB71_2104:
	s_delay_alu instid0(SALU_CYCLE_1)
	s_and_not1_b32 vcc_lo, exec_lo, s15
	s_cbranch_vccnz .LBB71_3047
; %bb.2105:
	v_mov_b32_e32 v19, 0
	s_cmp_lt_i32 s11, 11
	s_wait_xcnt 0x0
	s_delay_alu instid0(VALU_DEP_1)
	v_add_nc_u64_e32 v[24:25], s[6:7], v[18:19]
	s_cbranch_scc1 .LBB71_2112
; %bb.2106:
	s_cmp_gt_i32 s11, 25
	s_mov_b32 s14, 0
	s_cbranch_scc0 .LBB71_2113
; %bb.2107:
	s_cmp_gt_i32 s11, 28
	s_cbranch_scc0 .LBB71_2114
; %bb.2108:
	s_cmp_gt_i32 s11, 43
	;; [unrolled: 3-line block ×3, first 2 shown]
	s_cbranch_scc0 .LBB71_2117
; %bb.2110:
	s_cmp_eq_u32 s11, 46
	s_mov_b32 s16, 0
	s_cbranch_scc0 .LBB71_2118
; %bb.2111:
	global_load_b32 v1, v[24:25], off
	s_mov_b32 s13, 0
	s_mov_b32 s15, -1
	s_wait_loadcnt 0x0
	v_lshlrev_b32_e32 v1, 16, v1
	s_delay_alu instid0(VALU_DEP_1)
	v_cvt_i32_f32_e32 v18, v1
	s_branch .LBB71_2120
.LBB71_2112:
	s_mov_b32 s13, -1
	s_mov_b32 s15, 0
                                        ; implicit-def: $vgpr18
	s_branch .LBB71_2182
.LBB71_2113:
	s_mov_b32 s16, -1
	s_mov_b32 s15, 0
	s_mov_b32 s13, 0
                                        ; implicit-def: $vgpr18
	s_branch .LBB71_2147
.LBB71_2114:
	s_mov_b32 s16, -1
	s_mov_b32 s15, 0
	s_mov_b32 s13, 0
                                        ; implicit-def: $vgpr18
	s_branch .LBB71_2130
.LBB71_2115:
	s_mov_b32 s16, -1
	s_mov_b32 s15, 0
	s_mov_b32 s13, 0
                                        ; implicit-def: $vgpr18
	s_branch .LBB71_2125
.LBB71_2116:
	s_or_b32 s10, s10, exec_lo
	s_trap 2
	s_cbranch_execz .LBB71_2053
	s_branch .LBB71_2054
.LBB71_2117:
	s_mov_b32 s16, -1
	s_mov_b32 s15, 0
	s_mov_b32 s13, 0
	s_branch .LBB71_2119
.LBB71_2118:
	s_mov_b32 s13, -1
	s_mov_b32 s15, 0
.LBB71_2119:
                                        ; implicit-def: $vgpr18
.LBB71_2120:
	s_and_b32 vcc_lo, exec_lo, s16
	s_cbranch_vccz .LBB71_2124
; %bb.2121:
	s_cmp_eq_u32 s11, 44
	s_cbranch_scc0 .LBB71_2123
; %bb.2122:
	global_load_u8 v1, v[24:25], off
	s_mov_b32 s13, 0
	s_mov_b32 s15, -1
	s_wait_loadcnt 0x0
	v_lshlrev_b32_e32 v3, 23, v1
	v_cmp_ne_u32_e32 vcc_lo, 0, v1
	s_delay_alu instid0(VALU_DEP_2) | instskip(NEXT) | instid1(VALU_DEP_1)
	v_cvt_i32_f32_e32 v3, v3
	v_cndmask_b32_e32 v18, 0, v3, vcc_lo
	s_branch .LBB71_2124
.LBB71_2123:
	s_mov_b32 s13, -1
                                        ; implicit-def: $vgpr18
.LBB71_2124:
	s_mov_b32 s16, 0
.LBB71_2125:
	s_delay_alu instid0(SALU_CYCLE_1)
	s_and_b32 vcc_lo, exec_lo, s16
	s_cbranch_vccz .LBB71_2129
; %bb.2126:
	s_cmp_eq_u32 s11, 29
	s_cbranch_scc0 .LBB71_2128
; %bb.2127:
	global_load_b64 v[18:19], v[24:25], off
	s_mov_b32 s13, 0
	s_mov_b32 s15, -1
	s_branch .LBB71_2129
.LBB71_2128:
	s_mov_b32 s13, -1
                                        ; implicit-def: $vgpr18
.LBB71_2129:
	s_mov_b32 s16, 0
.LBB71_2130:
	s_delay_alu instid0(SALU_CYCLE_1)
	s_and_b32 vcc_lo, exec_lo, s16
	s_cbranch_vccz .LBB71_2146
; %bb.2131:
	s_cmp_lt_i32 s11, 27
	s_cbranch_scc1 .LBB71_2134
; %bb.2132:
	s_cmp_gt_i32 s11, 27
	s_cbranch_scc0 .LBB71_2135
; %bb.2133:
	s_wait_loadcnt 0x0
	global_load_b32 v18, v[24:25], off
	s_mov_b32 s15, 0
	s_branch .LBB71_2136
.LBB71_2134:
	s_mov_b32 s15, -1
                                        ; implicit-def: $vgpr18
	s_branch .LBB71_2139
.LBB71_2135:
	s_mov_b32 s15, -1
                                        ; implicit-def: $vgpr18
.LBB71_2136:
	s_delay_alu instid0(SALU_CYCLE_1)
	s_and_not1_b32 vcc_lo, exec_lo, s15
	s_cbranch_vccnz .LBB71_2138
; %bb.2137:
	s_wait_loadcnt 0x0
	global_load_u16 v18, v[24:25], off
.LBB71_2138:
	s_mov_b32 s15, 0
.LBB71_2139:
	s_delay_alu instid0(SALU_CYCLE_1)
	s_and_not1_b32 vcc_lo, exec_lo, s15
	s_cbranch_vccnz .LBB71_2145
; %bb.2140:
	global_load_u8 v1, v[24:25], off
	s_mov_b32 s16, 0
	s_mov_b32 s15, exec_lo
	s_wait_loadcnt 0x0
	v_cmpx_lt_i16_e32 0x7f, v1
	s_xor_b32 s15, exec_lo, s15
	s_cbranch_execz .LBB71_2157
; %bb.2141:
	v_cmp_ne_u16_e32 vcc_lo, 0x80, v1
	s_and_b32 s16, vcc_lo, exec_lo
	s_and_not1_saveexec_b32 s15, s15
	s_cbranch_execnz .LBB71_2158
.LBB71_2142:
	s_or_b32 exec_lo, exec_lo, s15
	v_mov_b32_e32 v18, 0
	s_and_saveexec_b32 s15, s16
	s_cbranch_execz .LBB71_2144
.LBB71_2143:
	v_and_b32_e32 v3, 0xffff, v1
	s_delay_alu instid0(VALU_DEP_1) | instskip(SKIP_1) | instid1(VALU_DEP_2)
	v_dual_lshlrev_b32 v1, 24, v1 :: v_dual_bitop2_b32 v5, 7, v3 bitop3:0x40
	v_bfe_u32 v11, v3, 3, 4
	v_and_b32_e32 v1, 0x80000000, v1
	s_delay_alu instid0(VALU_DEP_3) | instskip(NEXT) | instid1(VALU_DEP_3)
	v_clz_i32_u32_e32 v7, v5
	v_cmp_eq_u32_e32 vcc_lo, 0, v11
	s_delay_alu instid0(VALU_DEP_2) | instskip(NEXT) | instid1(VALU_DEP_1)
	v_min_u32_e32 v7, 32, v7
	v_subrev_nc_u32_e32 v9, 28, v7
	v_sub_nc_u32_e32 v7, 29, v7
	s_delay_alu instid0(VALU_DEP_2) | instskip(NEXT) | instid1(VALU_DEP_2)
	v_lshlrev_b32_e32 v3, v9, v3
	v_cndmask_b32_e32 v7, v11, v7, vcc_lo
	s_delay_alu instid0(VALU_DEP_2) | instskip(NEXT) | instid1(VALU_DEP_1)
	v_and_b32_e32 v3, 7, v3
	v_cndmask_b32_e32 v3, v5, v3, vcc_lo
	s_delay_alu instid0(VALU_DEP_3) | instskip(NEXT) | instid1(VALU_DEP_2)
	v_lshl_add_u32 v5, v7, 23, 0x3b800000
	v_lshlrev_b32_e32 v3, 20, v3
	s_delay_alu instid0(VALU_DEP_1) | instskip(NEXT) | instid1(VALU_DEP_1)
	v_or3_b32 v1, v1, v5, v3
	v_cvt_i32_f32_e32 v18, v1
.LBB71_2144:
	s_or_b32 exec_lo, exec_lo, s15
.LBB71_2145:
	s_mov_b32 s15, -1
.LBB71_2146:
	s_mov_b32 s16, 0
.LBB71_2147:
	s_delay_alu instid0(SALU_CYCLE_1)
	s_and_b32 vcc_lo, exec_lo, s16
	s_cbranch_vccz .LBB71_2178
; %bb.2148:
	s_cmp_gt_i32 s11, 22
	s_cbranch_scc0 .LBB71_2156
; %bb.2149:
	s_cmp_lt_i32 s11, 24
	s_cbranch_scc1 .LBB71_2159
; %bb.2150:
	s_cmp_gt_i32 s11, 24
	s_cbranch_scc0 .LBB71_2160
; %bb.2151:
	global_load_u8 v1, v[24:25], off
	s_mov_b32 s15, 0
	s_mov_b32 s14, exec_lo
	s_wait_loadcnt 0x0
	v_cmpx_lt_i16_e32 0x7f, v1
	s_xor_b32 s14, exec_lo, s14
	s_cbranch_execz .LBB71_2172
; %bb.2152:
	v_cmp_ne_u16_e32 vcc_lo, 0x80, v1
	s_and_b32 s15, vcc_lo, exec_lo
	s_and_not1_saveexec_b32 s14, s14
	s_cbranch_execnz .LBB71_2173
.LBB71_2153:
	s_or_b32 exec_lo, exec_lo, s14
	v_mov_b32_e32 v18, 0
	s_and_saveexec_b32 s14, s15
	s_cbranch_execz .LBB71_2155
.LBB71_2154:
	v_and_b32_e32 v3, 0xffff, v1
	s_delay_alu instid0(VALU_DEP_1) | instskip(SKIP_1) | instid1(VALU_DEP_2)
	v_dual_lshlrev_b32 v1, 24, v1 :: v_dual_bitop2_b32 v5, 3, v3 bitop3:0x40
	v_bfe_u32 v11, v3, 2, 5
	v_and_b32_e32 v1, 0x80000000, v1
	s_delay_alu instid0(VALU_DEP_3) | instskip(NEXT) | instid1(VALU_DEP_3)
	v_clz_i32_u32_e32 v7, v5
	v_cmp_eq_u32_e32 vcc_lo, 0, v11
	s_delay_alu instid0(VALU_DEP_2) | instskip(NEXT) | instid1(VALU_DEP_1)
	v_min_u32_e32 v7, 32, v7
	v_subrev_nc_u32_e32 v9, 29, v7
	v_sub_nc_u32_e32 v7, 30, v7
	s_delay_alu instid0(VALU_DEP_2) | instskip(NEXT) | instid1(VALU_DEP_2)
	v_lshlrev_b32_e32 v3, v9, v3
	v_cndmask_b32_e32 v7, v11, v7, vcc_lo
	s_delay_alu instid0(VALU_DEP_2) | instskip(NEXT) | instid1(VALU_DEP_1)
	v_and_b32_e32 v3, 3, v3
	v_cndmask_b32_e32 v3, v5, v3, vcc_lo
	s_delay_alu instid0(VALU_DEP_3) | instskip(NEXT) | instid1(VALU_DEP_2)
	v_lshl_add_u32 v5, v7, 23, 0x37800000
	v_lshlrev_b32_e32 v3, 21, v3
	s_delay_alu instid0(VALU_DEP_1) | instskip(NEXT) | instid1(VALU_DEP_1)
	v_or3_b32 v1, v1, v5, v3
	v_cvt_i32_f32_e32 v18, v1
.LBB71_2155:
	s_or_b32 exec_lo, exec_lo, s14
	s_mov_b32 s14, 0
	s_branch .LBB71_2161
.LBB71_2156:
	s_mov_b32 s14, -1
                                        ; implicit-def: $vgpr18
	s_branch .LBB71_2167
.LBB71_2157:
	s_and_not1_saveexec_b32 s15, s15
	s_cbranch_execz .LBB71_2142
.LBB71_2158:
	v_cmp_ne_u16_e32 vcc_lo, 0, v1
	s_and_not1_b32 s16, s16, exec_lo
	s_and_b32 s17, vcc_lo, exec_lo
	s_delay_alu instid0(SALU_CYCLE_1)
	s_or_b32 s16, s16, s17
	s_or_b32 exec_lo, exec_lo, s15
	v_mov_b32_e32 v18, 0
	s_and_saveexec_b32 s15, s16
	s_cbranch_execnz .LBB71_2143
	s_branch .LBB71_2144
.LBB71_2159:
	s_mov_b32 s14, -1
                                        ; implicit-def: $vgpr18
	s_branch .LBB71_2164
.LBB71_2160:
	s_mov_b32 s14, -1
                                        ; implicit-def: $vgpr18
.LBB71_2161:
	s_delay_alu instid0(SALU_CYCLE_1)
	s_and_b32 vcc_lo, exec_lo, s14
	s_cbranch_vccz .LBB71_2163
; %bb.2162:
	global_load_u8 v1, v[24:25], off
	s_wait_loadcnt 0x0
	v_lshlrev_b32_e32 v1, 24, v1
	s_delay_alu instid0(VALU_DEP_1) | instskip(NEXT) | instid1(VALU_DEP_1)
	v_and_b32_e32 v3, 0x7f000000, v1
	v_clz_i32_u32_e32 v5, v3
	v_add_nc_u32_e32 v9, 0x1000000, v3
	v_cmp_ne_u32_e32 vcc_lo, 0, v3
	s_delay_alu instid0(VALU_DEP_3) | instskip(NEXT) | instid1(VALU_DEP_1)
	v_min_u32_e32 v5, 32, v5
	v_sub_nc_u32_e64 v5, v5, 4 clamp
	s_delay_alu instid0(VALU_DEP_1) | instskip(NEXT) | instid1(VALU_DEP_1)
	v_dual_lshlrev_b32 v7, v5, v3 :: v_dual_lshlrev_b32 v5, 23, v5
	v_lshrrev_b32_e32 v7, 4, v7
	s_delay_alu instid0(VALU_DEP_1) | instskip(SKIP_1) | instid1(VALU_DEP_2)
	v_sub_nc_u32_e32 v5, v7, v5
	v_ashrrev_i32_e32 v7, 8, v9
	v_add_nc_u32_e32 v5, 0x3c000000, v5
	s_delay_alu instid0(VALU_DEP_1) | instskip(NEXT) | instid1(VALU_DEP_1)
	v_and_or_b32 v5, 0x7f800000, v7, v5
	v_cndmask_b32_e32 v3, 0, v5, vcc_lo
	s_delay_alu instid0(VALU_DEP_1) | instskip(NEXT) | instid1(VALU_DEP_1)
	v_and_or_b32 v1, 0x80000000, v1, v3
	v_cvt_i32_f32_e32 v18, v1
.LBB71_2163:
	s_mov_b32 s14, 0
.LBB71_2164:
	s_delay_alu instid0(SALU_CYCLE_1)
	s_and_not1_b32 vcc_lo, exec_lo, s14
	s_cbranch_vccnz .LBB71_2166
; %bb.2165:
	global_load_u8 v1, v[24:25], off
	s_wait_loadcnt 0x0
	v_lshlrev_b32_e32 v3, 25, v1
	v_lshlrev_b16 v1, 8, v1
	s_delay_alu instid0(VALU_DEP_1) | instskip(SKIP_1) | instid1(VALU_DEP_2)
	v_and_or_b32 v7, 0x7f00, v1, 0.5
	v_bfe_i32 v1, v1, 0, 16
	v_add_f32_e32 v7, -0.5, v7
	v_lshrrev_b32_e32 v5, 4, v3
	v_cmp_gt_u32_e32 vcc_lo, 0x8000000, v3
	s_delay_alu instid0(VALU_DEP_2) | instskip(NEXT) | instid1(VALU_DEP_1)
	v_or_b32_e32 v5, 0x70000000, v5
	v_mul_f32_e32 v5, 0x7800000, v5
	s_delay_alu instid0(VALU_DEP_1) | instskip(NEXT) | instid1(VALU_DEP_1)
	v_cndmask_b32_e32 v3, v5, v7, vcc_lo
	v_and_or_b32 v1, 0x80000000, v1, v3
	s_delay_alu instid0(VALU_DEP_1)
	v_cvt_i32_f32_e32 v18, v1
.LBB71_2166:
	s_mov_b32 s14, 0
	s_mov_b32 s15, -1
.LBB71_2167:
	s_and_not1_b32 vcc_lo, exec_lo, s14
	s_mov_b32 s14, 0
	s_cbranch_vccnz .LBB71_2178
; %bb.2168:
	s_cmp_gt_i32 s11, 14
	s_cbranch_scc0 .LBB71_2171
; %bb.2169:
	s_cmp_eq_u32 s11, 15
	s_cbranch_scc0 .LBB71_2174
; %bb.2170:
	global_load_u16 v1, v[24:25], off
	s_mov_b32 s13, 0
	s_mov_b32 s15, -1
	s_wait_loadcnt 0x0
	v_lshlrev_b32_e32 v1, 16, v1
	s_delay_alu instid0(VALU_DEP_1)
	v_cvt_i32_f32_e32 v18, v1
	s_branch .LBB71_2176
.LBB71_2171:
	s_mov_b32 s14, -1
	s_branch .LBB71_2175
.LBB71_2172:
	s_and_not1_saveexec_b32 s14, s14
	s_cbranch_execz .LBB71_2153
.LBB71_2173:
	v_cmp_ne_u16_e32 vcc_lo, 0, v1
	s_and_not1_b32 s15, s15, exec_lo
	s_and_b32 s16, vcc_lo, exec_lo
	s_delay_alu instid0(SALU_CYCLE_1)
	s_or_b32 s15, s15, s16
	s_or_b32 exec_lo, exec_lo, s14
	v_mov_b32_e32 v18, 0
	s_and_saveexec_b32 s14, s15
	s_cbranch_execnz .LBB71_2154
	s_branch .LBB71_2155
.LBB71_2174:
	s_mov_b32 s13, -1
.LBB71_2175:
                                        ; implicit-def: $vgpr18
.LBB71_2176:
	s_and_b32 vcc_lo, exec_lo, s14
	s_mov_b32 s14, 0
	s_cbranch_vccz .LBB71_2178
; %bb.2177:
	s_cmp_lg_u32 s11, 11
	s_mov_b32 s14, -1
	s_cselect_b32 s13, -1, 0
.LBB71_2178:
	s_delay_alu instid0(SALU_CYCLE_1)
	s_and_b32 vcc_lo, exec_lo, s13
	s_cbranch_vccnz .LBB71_2243
; %bb.2179:
	s_and_not1_b32 vcc_lo, exec_lo, s14
	s_cbranch_vccnz .LBB71_2181
.LBB71_2180:
	global_load_u8 v1, v[24:25], off
	s_mov_b32 s15, -1
	s_wait_loadcnt 0x0
	v_cmp_ne_u16_e32 vcc_lo, 0, v1
	v_cndmask_b32_e64 v18, 0, 1, vcc_lo
.LBB71_2181:
	s_mov_b32 s13, 0
.LBB71_2182:
	s_delay_alu instid0(SALU_CYCLE_1)
	s_and_b32 vcc_lo, exec_lo, s13
	s_cbranch_vccz .LBB71_2231
; %bb.2183:
	s_cmp_lt_i32 s11, 5
	s_cbranch_scc1 .LBB71_2188
; %bb.2184:
	s_cmp_lt_i32 s11, 8
	s_cbranch_scc1 .LBB71_2189
	;; [unrolled: 3-line block ×3, first 2 shown]
; %bb.2186:
	s_cmp_gt_i32 s11, 9
	s_cbranch_scc0 .LBB71_2191
; %bb.2187:
	s_wait_loadcnt 0x0
	global_load_b64 v[18:19], v[24:25], off
	s_mov_b32 s13, 0
	s_wait_loadcnt 0x0
	v_cvt_i32_f64_e32 v18, v[18:19]
	s_branch .LBB71_2192
.LBB71_2188:
	s_mov_b32 s13, -1
                                        ; implicit-def: $vgpr18
	s_branch .LBB71_2210
.LBB71_2189:
	s_mov_b32 s13, -1
                                        ; implicit-def: $vgpr18
	s_branch .LBB71_2198
.LBB71_2190:
	s_mov_b32 s13, -1
                                        ; implicit-def: $vgpr18
	s_branch .LBB71_2195
.LBB71_2191:
	s_mov_b32 s13, -1
                                        ; implicit-def: $vgpr18
.LBB71_2192:
	s_delay_alu instid0(SALU_CYCLE_1)
	s_and_not1_b32 vcc_lo, exec_lo, s13
	s_cbranch_vccnz .LBB71_2194
; %bb.2193:
	global_load_b32 v1, v[24:25], off
	s_wait_loadcnt 0x0
	v_cvt_i32_f32_e32 v18, v1
.LBB71_2194:
	s_mov_b32 s13, 0
.LBB71_2195:
	s_delay_alu instid0(SALU_CYCLE_1)
	s_and_not1_b32 vcc_lo, exec_lo, s13
	s_cbranch_vccnz .LBB71_2197
; %bb.2196:
	global_load_b32 v1, v[24:25], off
	s_wait_loadcnt 0x0
	v_cvt_i16_f16_e32 v18, v1
.LBB71_2197:
	s_mov_b32 s13, 0
.LBB71_2198:
	s_delay_alu instid0(SALU_CYCLE_1)
	s_and_not1_b32 vcc_lo, exec_lo, s13
	s_cbranch_vccnz .LBB71_2209
; %bb.2199:
	s_cmp_lt_i32 s11, 6
	s_cbranch_scc1 .LBB71_2202
; %bb.2200:
	s_cmp_gt_i32 s11, 6
	s_cbranch_scc0 .LBB71_2203
; %bb.2201:
	s_wait_loadcnt 0x0
	global_load_b64 v[18:19], v[24:25], off
	s_mov_b32 s13, 0
	s_wait_loadcnt 0x0
	v_cvt_i32_f64_e32 v18, v[18:19]
	s_branch .LBB71_2204
.LBB71_2202:
	s_mov_b32 s13, -1
                                        ; implicit-def: $vgpr18
	s_branch .LBB71_2207
.LBB71_2203:
	s_mov_b32 s13, -1
                                        ; implicit-def: $vgpr18
.LBB71_2204:
	s_delay_alu instid0(SALU_CYCLE_1)
	s_and_not1_b32 vcc_lo, exec_lo, s13
	s_cbranch_vccnz .LBB71_2206
; %bb.2205:
	global_load_b32 v1, v[24:25], off
	s_wait_loadcnt 0x0
	v_cvt_i32_f32_e32 v18, v1
.LBB71_2206:
	s_mov_b32 s13, 0
.LBB71_2207:
	s_delay_alu instid0(SALU_CYCLE_1)
	s_and_not1_b32 vcc_lo, exec_lo, s13
	s_cbranch_vccnz .LBB71_2209
; %bb.2208:
	global_load_u16 v1, v[24:25], off
	s_wait_loadcnt 0x0
	v_cvt_i16_f16_e32 v18, v1
.LBB71_2209:
	s_mov_b32 s13, 0
.LBB71_2210:
	s_delay_alu instid0(SALU_CYCLE_1)
	s_and_not1_b32 vcc_lo, exec_lo, s13
	s_cbranch_vccnz .LBB71_2230
; %bb.2211:
	s_cmp_lt_i32 s11, 2
	s_cbranch_scc1 .LBB71_2215
; %bb.2212:
	s_cmp_lt_i32 s11, 3
	s_cbranch_scc1 .LBB71_2216
; %bb.2213:
	s_cmp_gt_i32 s11, 3
	s_cbranch_scc0 .LBB71_2217
; %bb.2214:
	s_wait_loadcnt 0x0
	global_load_b64 v[18:19], v[24:25], off
	s_mov_b32 s13, 0
	s_branch .LBB71_2218
.LBB71_2215:
	s_mov_b32 s13, -1
                                        ; implicit-def: $vgpr18
	s_branch .LBB71_2224
.LBB71_2216:
	s_mov_b32 s13, -1
                                        ; implicit-def: $vgpr18
	s_branch .LBB71_2221
.LBB71_2217:
	s_mov_b32 s13, -1
                                        ; implicit-def: $vgpr18
.LBB71_2218:
	s_delay_alu instid0(SALU_CYCLE_1)
	s_and_not1_b32 vcc_lo, exec_lo, s13
	s_cbranch_vccnz .LBB71_2220
; %bb.2219:
	s_wait_loadcnt 0x0
	global_load_b32 v18, v[24:25], off
.LBB71_2220:
	s_mov_b32 s13, 0
.LBB71_2221:
	s_delay_alu instid0(SALU_CYCLE_1)
	s_and_not1_b32 vcc_lo, exec_lo, s13
	s_cbranch_vccnz .LBB71_2223
; %bb.2222:
	s_wait_loadcnt 0x0
	global_load_u16 v18, v[24:25], off
.LBB71_2223:
	s_mov_b32 s13, 0
.LBB71_2224:
	s_delay_alu instid0(SALU_CYCLE_1)
	s_and_not1_b32 vcc_lo, exec_lo, s13
	s_cbranch_vccnz .LBB71_2230
; %bb.2225:
	s_cmp_gt_i32 s11, 0
	s_mov_b32 s13, 0
	s_cbranch_scc0 .LBB71_2227
; %bb.2226:
	s_wait_loadcnt 0x0
	global_load_i8 v18, v[24:25], off
	s_branch .LBB71_2228
.LBB71_2227:
	s_mov_b32 s13, -1
                                        ; implicit-def: $vgpr18
.LBB71_2228:
	s_delay_alu instid0(SALU_CYCLE_1)
	s_and_not1_b32 vcc_lo, exec_lo, s13
	s_cbranch_vccnz .LBB71_2230
; %bb.2229:
	s_wait_loadcnt 0x0
	global_load_u8 v18, v[24:25], off
.LBB71_2230:
	s_mov_b32 s15, -1
.LBB71_2231:
	s_delay_alu instid0(SALU_CYCLE_1)
	s_and_not1_b32 vcc_lo, exec_lo, s15
	s_cbranch_vccnz .LBB71_3047
; %bb.2232:
	v_mov_b32_e32 v23, 0
	s_cmp_lt_i32 s12, 11
	s_wait_xcnt 0x0
	s_delay_alu instid0(VALU_DEP_1)
	v_add_nc_u64_e32 v[24:25], s[0:1], v[22:23]
	s_cbranch_scc1 .LBB71_2239
; %bb.2233:
	s_cmp_gt_i32 s12, 25
	s_mov_b32 s14, 0
	s_cbranch_scc0 .LBB71_2240
; %bb.2234:
	s_cmp_gt_i32 s12, 28
	s_cbranch_scc0 .LBB71_2241
; %bb.2235:
	s_cmp_gt_i32 s12, 43
	;; [unrolled: 3-line block ×3, first 2 shown]
	s_cbranch_scc0 .LBB71_2244
; %bb.2237:
	s_cmp_eq_u32 s12, 46
	s_mov_b32 s16, 0
	s_cbranch_scc0 .LBB71_2247
; %bb.2238:
	global_load_b32 v1, v[24:25], off
	s_mov_b32 s13, 0
	s_mov_b32 s15, -1
	s_wait_loadcnt 0x0
	v_lshlrev_b32_e32 v1, 16, v1
	s_delay_alu instid0(VALU_DEP_1)
	v_cvt_i32_f32_e32 v22, v1
	s_branch .LBB71_2249
.LBB71_2239:
	s_mov_b32 s13, -1
	s_mov_b32 s15, 0
                                        ; implicit-def: $vgpr22
	s_branch .LBB71_2311
.LBB71_2240:
	s_mov_b32 s16, -1
	s_mov_b32 s15, 0
	s_mov_b32 s13, 0
                                        ; implicit-def: $vgpr22
	s_branch .LBB71_2276
.LBB71_2241:
	s_mov_b32 s16, -1
	s_mov_b32 s15, 0
	s_mov_b32 s13, 0
                                        ; implicit-def: $vgpr22
	s_branch .LBB71_2259
.LBB71_2242:
	s_mov_b32 s16, -1
	s_mov_b32 s15, 0
	s_mov_b32 s13, 0
                                        ; implicit-def: $vgpr22
	s_branch .LBB71_2254
.LBB71_2243:
	s_or_b32 s10, s10, exec_lo
	s_trap 2
	s_cbranch_execz .LBB71_2180
	s_branch .LBB71_2181
.LBB71_2244:
	s_mov_b32 s16, -1
	s_mov_b32 s15, 0
	s_mov_b32 s13, 0
	s_branch .LBB71_2248
.LBB71_2245:
	s_and_not1_saveexec_b32 s53, s53
	s_cbranch_execz .LBB71_1097
.LBB71_2246:
	v_add_f32_e32 v1, 0x42800000, v4
	s_and_not1_b32 s52, s52, exec_lo
	s_delay_alu instid0(VALU_DEP_1) | instskip(NEXT) | instid1(VALU_DEP_1)
	v_and_b32_e32 v1, 0xff, v1
	v_cmp_ne_u32_e32 vcc_lo, 0, v1
	s_and_b32 s54, vcc_lo, exec_lo
	s_delay_alu instid0(SALU_CYCLE_1)
	s_or_b32 s52, s52, s54
	s_or_b32 exec_lo, exec_lo, s53
	v_mov_b32_e32 v5, 0
	s_and_saveexec_b32 s53, s52
	s_cbranch_execnz .LBB71_1098
	s_branch .LBB71_1099
.LBB71_2247:
	s_mov_b32 s13, -1
	s_mov_b32 s15, 0
.LBB71_2248:
                                        ; implicit-def: $vgpr22
.LBB71_2249:
	s_and_b32 vcc_lo, exec_lo, s16
	s_cbranch_vccz .LBB71_2253
; %bb.2250:
	s_cmp_eq_u32 s12, 44
	s_cbranch_scc0 .LBB71_2252
; %bb.2251:
	global_load_u8 v1, v[24:25], off
	s_mov_b32 s13, 0
	s_mov_b32 s15, -1
	s_wait_loadcnt 0x0
	v_lshlrev_b32_e32 v3, 23, v1
	v_cmp_ne_u32_e32 vcc_lo, 0, v1
	s_delay_alu instid0(VALU_DEP_2) | instskip(NEXT) | instid1(VALU_DEP_1)
	v_cvt_i32_f32_e32 v3, v3
	v_cndmask_b32_e32 v22, 0, v3, vcc_lo
	s_branch .LBB71_2253
.LBB71_2252:
	s_mov_b32 s13, -1
                                        ; implicit-def: $vgpr22
.LBB71_2253:
	s_mov_b32 s16, 0
.LBB71_2254:
	s_delay_alu instid0(SALU_CYCLE_1)
	s_and_b32 vcc_lo, exec_lo, s16
	s_cbranch_vccz .LBB71_2258
; %bb.2255:
	s_cmp_eq_u32 s12, 29
	s_cbranch_scc0 .LBB71_2257
; %bb.2256:
	global_load_b64 v[22:23], v[24:25], off
	s_mov_b32 s13, 0
	s_mov_b32 s15, -1
	s_branch .LBB71_2258
.LBB71_2257:
	s_mov_b32 s13, -1
                                        ; implicit-def: $vgpr22
.LBB71_2258:
	s_mov_b32 s16, 0
.LBB71_2259:
	s_delay_alu instid0(SALU_CYCLE_1)
	s_and_b32 vcc_lo, exec_lo, s16
	s_cbranch_vccz .LBB71_2275
; %bb.2260:
	s_cmp_lt_i32 s12, 27
	s_cbranch_scc1 .LBB71_2263
; %bb.2261:
	s_cmp_gt_i32 s12, 27
	s_cbranch_scc0 .LBB71_2264
; %bb.2262:
	s_wait_loadcnt 0x0
	global_load_b32 v22, v[24:25], off
	s_mov_b32 s15, 0
	s_branch .LBB71_2265
.LBB71_2263:
	s_mov_b32 s15, -1
                                        ; implicit-def: $vgpr22
	s_branch .LBB71_2268
.LBB71_2264:
	s_mov_b32 s15, -1
                                        ; implicit-def: $vgpr22
.LBB71_2265:
	s_delay_alu instid0(SALU_CYCLE_1)
	s_and_not1_b32 vcc_lo, exec_lo, s15
	s_cbranch_vccnz .LBB71_2267
; %bb.2266:
	s_wait_loadcnt 0x0
	global_load_u16 v22, v[24:25], off
.LBB71_2267:
	s_mov_b32 s15, 0
.LBB71_2268:
	s_delay_alu instid0(SALU_CYCLE_1)
	s_and_not1_b32 vcc_lo, exec_lo, s15
	s_cbranch_vccnz .LBB71_2274
; %bb.2269:
	global_load_u8 v1, v[24:25], off
	s_mov_b32 s16, 0
	s_mov_b32 s15, exec_lo
	s_wait_loadcnt 0x0
	v_cmpx_lt_i16_e32 0x7f, v1
	s_xor_b32 s15, exec_lo, s15
	s_cbranch_execz .LBB71_2286
; %bb.2270:
	v_cmp_ne_u16_e32 vcc_lo, 0x80, v1
	s_and_b32 s16, vcc_lo, exec_lo
	s_and_not1_saveexec_b32 s15, s15
	s_cbranch_execnz .LBB71_2287
.LBB71_2271:
	s_or_b32 exec_lo, exec_lo, s15
	v_mov_b32_e32 v22, 0
	s_and_saveexec_b32 s15, s16
	s_cbranch_execz .LBB71_2273
.LBB71_2272:
	v_and_b32_e32 v3, 0xffff, v1
	s_delay_alu instid0(VALU_DEP_1) | instskip(SKIP_1) | instid1(VALU_DEP_2)
	v_dual_lshlrev_b32 v1, 24, v1 :: v_dual_bitop2_b32 v5, 7, v3 bitop3:0x40
	v_bfe_u32 v11, v3, 3, 4
	v_and_b32_e32 v1, 0x80000000, v1
	s_delay_alu instid0(VALU_DEP_3) | instskip(NEXT) | instid1(VALU_DEP_3)
	v_clz_i32_u32_e32 v7, v5
	v_cmp_eq_u32_e32 vcc_lo, 0, v11
	s_delay_alu instid0(VALU_DEP_2) | instskip(NEXT) | instid1(VALU_DEP_1)
	v_min_u32_e32 v7, 32, v7
	v_subrev_nc_u32_e32 v9, 28, v7
	v_sub_nc_u32_e32 v7, 29, v7
	s_delay_alu instid0(VALU_DEP_2) | instskip(NEXT) | instid1(VALU_DEP_2)
	v_lshlrev_b32_e32 v3, v9, v3
	v_cndmask_b32_e32 v7, v11, v7, vcc_lo
	s_delay_alu instid0(VALU_DEP_2) | instskip(NEXT) | instid1(VALU_DEP_1)
	v_and_b32_e32 v3, 7, v3
	v_cndmask_b32_e32 v3, v5, v3, vcc_lo
	s_delay_alu instid0(VALU_DEP_3) | instskip(NEXT) | instid1(VALU_DEP_2)
	v_lshl_add_u32 v5, v7, 23, 0x3b800000
	v_lshlrev_b32_e32 v3, 20, v3
	s_delay_alu instid0(VALU_DEP_1) | instskip(NEXT) | instid1(VALU_DEP_1)
	v_or3_b32 v1, v1, v5, v3
	v_cvt_i32_f32_e32 v22, v1
.LBB71_2273:
	s_or_b32 exec_lo, exec_lo, s15
.LBB71_2274:
	s_mov_b32 s15, -1
.LBB71_2275:
	s_mov_b32 s16, 0
.LBB71_2276:
	s_delay_alu instid0(SALU_CYCLE_1)
	s_and_b32 vcc_lo, exec_lo, s16
	s_cbranch_vccz .LBB71_2307
; %bb.2277:
	s_cmp_gt_i32 s12, 22
	s_cbranch_scc0 .LBB71_2285
; %bb.2278:
	s_cmp_lt_i32 s12, 24
	s_cbranch_scc1 .LBB71_2288
; %bb.2279:
	s_cmp_gt_i32 s12, 24
	s_cbranch_scc0 .LBB71_2289
; %bb.2280:
	global_load_u8 v1, v[24:25], off
	s_mov_b32 s15, 0
	s_mov_b32 s14, exec_lo
	s_wait_loadcnt 0x0
	v_cmpx_lt_i16_e32 0x7f, v1
	s_xor_b32 s14, exec_lo, s14
	s_cbranch_execz .LBB71_2301
; %bb.2281:
	v_cmp_ne_u16_e32 vcc_lo, 0x80, v1
	s_and_b32 s15, vcc_lo, exec_lo
	s_and_not1_saveexec_b32 s14, s14
	s_cbranch_execnz .LBB71_2302
.LBB71_2282:
	s_or_b32 exec_lo, exec_lo, s14
	v_mov_b32_e32 v22, 0
	s_and_saveexec_b32 s14, s15
	s_cbranch_execz .LBB71_2284
.LBB71_2283:
	v_and_b32_e32 v3, 0xffff, v1
	s_delay_alu instid0(VALU_DEP_1) | instskip(SKIP_1) | instid1(VALU_DEP_2)
	v_dual_lshlrev_b32 v1, 24, v1 :: v_dual_bitop2_b32 v5, 3, v3 bitop3:0x40
	v_bfe_u32 v11, v3, 2, 5
	v_and_b32_e32 v1, 0x80000000, v1
	s_delay_alu instid0(VALU_DEP_3) | instskip(NEXT) | instid1(VALU_DEP_3)
	v_clz_i32_u32_e32 v7, v5
	v_cmp_eq_u32_e32 vcc_lo, 0, v11
	s_delay_alu instid0(VALU_DEP_2) | instskip(NEXT) | instid1(VALU_DEP_1)
	v_min_u32_e32 v7, 32, v7
	v_subrev_nc_u32_e32 v9, 29, v7
	v_sub_nc_u32_e32 v7, 30, v7
	s_delay_alu instid0(VALU_DEP_2) | instskip(NEXT) | instid1(VALU_DEP_2)
	v_lshlrev_b32_e32 v3, v9, v3
	v_cndmask_b32_e32 v7, v11, v7, vcc_lo
	s_delay_alu instid0(VALU_DEP_2) | instskip(NEXT) | instid1(VALU_DEP_1)
	v_and_b32_e32 v3, 3, v3
	v_cndmask_b32_e32 v3, v5, v3, vcc_lo
	s_delay_alu instid0(VALU_DEP_3) | instskip(NEXT) | instid1(VALU_DEP_2)
	v_lshl_add_u32 v5, v7, 23, 0x37800000
	v_lshlrev_b32_e32 v3, 21, v3
	s_delay_alu instid0(VALU_DEP_1) | instskip(NEXT) | instid1(VALU_DEP_1)
	v_or3_b32 v1, v1, v5, v3
	v_cvt_i32_f32_e32 v22, v1
.LBB71_2284:
	s_or_b32 exec_lo, exec_lo, s14
	s_mov_b32 s14, 0
	s_branch .LBB71_2290
.LBB71_2285:
	s_mov_b32 s14, -1
                                        ; implicit-def: $vgpr22
	s_branch .LBB71_2296
.LBB71_2286:
	s_and_not1_saveexec_b32 s15, s15
	s_cbranch_execz .LBB71_2271
.LBB71_2287:
	v_cmp_ne_u16_e32 vcc_lo, 0, v1
	s_and_not1_b32 s16, s16, exec_lo
	s_and_b32 s17, vcc_lo, exec_lo
	s_delay_alu instid0(SALU_CYCLE_1)
	s_or_b32 s16, s16, s17
	s_or_b32 exec_lo, exec_lo, s15
	v_mov_b32_e32 v22, 0
	s_and_saveexec_b32 s15, s16
	s_cbranch_execnz .LBB71_2272
	s_branch .LBB71_2273
.LBB71_2288:
	s_mov_b32 s14, -1
                                        ; implicit-def: $vgpr22
	s_branch .LBB71_2293
.LBB71_2289:
	s_mov_b32 s14, -1
                                        ; implicit-def: $vgpr22
.LBB71_2290:
	s_delay_alu instid0(SALU_CYCLE_1)
	s_and_b32 vcc_lo, exec_lo, s14
	s_cbranch_vccz .LBB71_2292
; %bb.2291:
	global_load_u8 v1, v[24:25], off
	s_wait_loadcnt 0x0
	v_lshlrev_b32_e32 v1, 24, v1
	s_delay_alu instid0(VALU_DEP_1) | instskip(NEXT) | instid1(VALU_DEP_1)
	v_and_b32_e32 v3, 0x7f000000, v1
	v_clz_i32_u32_e32 v5, v3
	v_add_nc_u32_e32 v9, 0x1000000, v3
	v_cmp_ne_u32_e32 vcc_lo, 0, v3
	s_delay_alu instid0(VALU_DEP_3) | instskip(NEXT) | instid1(VALU_DEP_1)
	v_min_u32_e32 v5, 32, v5
	v_sub_nc_u32_e64 v5, v5, 4 clamp
	s_delay_alu instid0(VALU_DEP_1) | instskip(NEXT) | instid1(VALU_DEP_1)
	v_dual_lshlrev_b32 v7, v5, v3 :: v_dual_lshlrev_b32 v5, 23, v5
	v_lshrrev_b32_e32 v7, 4, v7
	s_delay_alu instid0(VALU_DEP_1) | instskip(SKIP_1) | instid1(VALU_DEP_2)
	v_sub_nc_u32_e32 v5, v7, v5
	v_ashrrev_i32_e32 v7, 8, v9
	v_add_nc_u32_e32 v5, 0x3c000000, v5
	s_delay_alu instid0(VALU_DEP_1) | instskip(NEXT) | instid1(VALU_DEP_1)
	v_and_or_b32 v5, 0x7f800000, v7, v5
	v_cndmask_b32_e32 v3, 0, v5, vcc_lo
	s_delay_alu instid0(VALU_DEP_1) | instskip(NEXT) | instid1(VALU_DEP_1)
	v_and_or_b32 v1, 0x80000000, v1, v3
	v_cvt_i32_f32_e32 v22, v1
.LBB71_2292:
	s_mov_b32 s14, 0
.LBB71_2293:
	s_delay_alu instid0(SALU_CYCLE_1)
	s_and_not1_b32 vcc_lo, exec_lo, s14
	s_cbranch_vccnz .LBB71_2295
; %bb.2294:
	global_load_u8 v1, v[24:25], off
	s_wait_loadcnt 0x0
	v_lshlrev_b32_e32 v3, 25, v1
	v_lshlrev_b16 v1, 8, v1
	s_delay_alu instid0(VALU_DEP_1) | instskip(SKIP_1) | instid1(VALU_DEP_2)
	v_and_or_b32 v7, 0x7f00, v1, 0.5
	v_bfe_i32 v1, v1, 0, 16
	v_add_f32_e32 v7, -0.5, v7
	v_lshrrev_b32_e32 v5, 4, v3
	v_cmp_gt_u32_e32 vcc_lo, 0x8000000, v3
	s_delay_alu instid0(VALU_DEP_2) | instskip(NEXT) | instid1(VALU_DEP_1)
	v_or_b32_e32 v5, 0x70000000, v5
	v_mul_f32_e32 v5, 0x7800000, v5
	s_delay_alu instid0(VALU_DEP_1) | instskip(NEXT) | instid1(VALU_DEP_1)
	v_cndmask_b32_e32 v3, v5, v7, vcc_lo
	v_and_or_b32 v1, 0x80000000, v1, v3
	s_delay_alu instid0(VALU_DEP_1)
	v_cvt_i32_f32_e32 v22, v1
.LBB71_2295:
	s_mov_b32 s14, 0
	s_mov_b32 s15, -1
.LBB71_2296:
	s_and_not1_b32 vcc_lo, exec_lo, s14
	s_mov_b32 s14, 0
	s_cbranch_vccnz .LBB71_2307
; %bb.2297:
	s_cmp_gt_i32 s12, 14
	s_cbranch_scc0 .LBB71_2300
; %bb.2298:
	s_cmp_eq_u32 s12, 15
	s_cbranch_scc0 .LBB71_2303
; %bb.2299:
	global_load_u16 v1, v[24:25], off
	s_mov_b32 s13, 0
	s_mov_b32 s15, -1
	s_wait_loadcnt 0x0
	v_lshlrev_b32_e32 v1, 16, v1
	s_delay_alu instid0(VALU_DEP_1)
	v_cvt_i32_f32_e32 v22, v1
	s_branch .LBB71_2305
.LBB71_2300:
	s_mov_b32 s14, -1
	s_branch .LBB71_2304
.LBB71_2301:
	s_and_not1_saveexec_b32 s14, s14
	s_cbranch_execz .LBB71_2282
.LBB71_2302:
	v_cmp_ne_u16_e32 vcc_lo, 0, v1
	s_and_not1_b32 s15, s15, exec_lo
	s_and_b32 s16, vcc_lo, exec_lo
	s_delay_alu instid0(SALU_CYCLE_1)
	s_or_b32 s15, s15, s16
	s_or_b32 exec_lo, exec_lo, s14
	v_mov_b32_e32 v22, 0
	s_and_saveexec_b32 s14, s15
	s_cbranch_execnz .LBB71_2283
	s_branch .LBB71_2284
.LBB71_2303:
	s_mov_b32 s13, -1
.LBB71_2304:
                                        ; implicit-def: $vgpr22
.LBB71_2305:
	s_and_b32 vcc_lo, exec_lo, s14
	s_mov_b32 s14, 0
	s_cbranch_vccz .LBB71_2307
; %bb.2306:
	s_cmp_lg_u32 s12, 11
	s_mov_b32 s14, -1
	s_cselect_b32 s13, -1, 0
.LBB71_2307:
	s_delay_alu instid0(SALU_CYCLE_1)
	s_and_b32 vcc_lo, exec_lo, s13
	s_cbranch_vccnz .LBB71_2372
; %bb.2308:
	s_and_not1_b32 vcc_lo, exec_lo, s14
	s_cbranch_vccnz .LBB71_2310
.LBB71_2309:
	global_load_u8 v1, v[24:25], off
	s_mov_b32 s15, -1
	s_wait_loadcnt 0x0
	v_cmp_ne_u16_e32 vcc_lo, 0, v1
	v_cndmask_b32_e64 v22, 0, 1, vcc_lo
.LBB71_2310:
	s_mov_b32 s13, 0
.LBB71_2311:
	s_delay_alu instid0(SALU_CYCLE_1)
	s_and_b32 vcc_lo, exec_lo, s13
	s_cbranch_vccz .LBB71_2360
; %bb.2312:
	s_cmp_lt_i32 s12, 5
	s_cbranch_scc1 .LBB71_2317
; %bb.2313:
	s_cmp_lt_i32 s12, 8
	s_cbranch_scc1 .LBB71_2318
	;; [unrolled: 3-line block ×3, first 2 shown]
; %bb.2315:
	s_cmp_gt_i32 s12, 9
	s_cbranch_scc0 .LBB71_2320
; %bb.2316:
	s_wait_loadcnt 0x0
	global_load_b64 v[22:23], v[24:25], off
	s_mov_b32 s13, 0
	s_wait_loadcnt 0x0
	v_cvt_i32_f64_e32 v22, v[22:23]
	s_branch .LBB71_2321
.LBB71_2317:
	s_mov_b32 s13, -1
                                        ; implicit-def: $vgpr22
	s_branch .LBB71_2339
.LBB71_2318:
	s_mov_b32 s13, -1
                                        ; implicit-def: $vgpr22
	s_branch .LBB71_2327
.LBB71_2319:
	s_mov_b32 s13, -1
                                        ; implicit-def: $vgpr22
	s_branch .LBB71_2324
.LBB71_2320:
	s_mov_b32 s13, -1
                                        ; implicit-def: $vgpr22
.LBB71_2321:
	s_delay_alu instid0(SALU_CYCLE_1)
	s_and_not1_b32 vcc_lo, exec_lo, s13
	s_cbranch_vccnz .LBB71_2323
; %bb.2322:
	global_load_b32 v1, v[24:25], off
	s_wait_loadcnt 0x0
	v_cvt_i32_f32_e32 v22, v1
.LBB71_2323:
	s_mov_b32 s13, 0
.LBB71_2324:
	s_delay_alu instid0(SALU_CYCLE_1)
	s_and_not1_b32 vcc_lo, exec_lo, s13
	s_cbranch_vccnz .LBB71_2326
; %bb.2325:
	global_load_b32 v1, v[24:25], off
	s_wait_loadcnt 0x0
	v_cvt_i16_f16_e32 v22, v1
.LBB71_2326:
	s_mov_b32 s13, 0
.LBB71_2327:
	s_delay_alu instid0(SALU_CYCLE_1)
	s_and_not1_b32 vcc_lo, exec_lo, s13
	s_cbranch_vccnz .LBB71_2338
; %bb.2328:
	s_cmp_lt_i32 s12, 6
	s_cbranch_scc1 .LBB71_2331
; %bb.2329:
	s_cmp_gt_i32 s12, 6
	s_cbranch_scc0 .LBB71_2332
; %bb.2330:
	s_wait_loadcnt 0x0
	global_load_b64 v[22:23], v[24:25], off
	s_mov_b32 s13, 0
	s_wait_loadcnt 0x0
	v_cvt_i32_f64_e32 v22, v[22:23]
	s_branch .LBB71_2333
.LBB71_2331:
	s_mov_b32 s13, -1
                                        ; implicit-def: $vgpr22
	s_branch .LBB71_2336
.LBB71_2332:
	s_mov_b32 s13, -1
                                        ; implicit-def: $vgpr22
.LBB71_2333:
	s_delay_alu instid0(SALU_CYCLE_1)
	s_and_not1_b32 vcc_lo, exec_lo, s13
	s_cbranch_vccnz .LBB71_2335
; %bb.2334:
	global_load_b32 v1, v[24:25], off
	s_wait_loadcnt 0x0
	v_cvt_i32_f32_e32 v22, v1
.LBB71_2335:
	s_mov_b32 s13, 0
.LBB71_2336:
	s_delay_alu instid0(SALU_CYCLE_1)
	s_and_not1_b32 vcc_lo, exec_lo, s13
	s_cbranch_vccnz .LBB71_2338
; %bb.2337:
	global_load_u16 v1, v[24:25], off
	s_wait_loadcnt 0x0
	v_cvt_i16_f16_e32 v22, v1
.LBB71_2338:
	s_mov_b32 s13, 0
.LBB71_2339:
	s_delay_alu instid0(SALU_CYCLE_1)
	s_and_not1_b32 vcc_lo, exec_lo, s13
	s_cbranch_vccnz .LBB71_2359
; %bb.2340:
	s_cmp_lt_i32 s12, 2
	s_cbranch_scc1 .LBB71_2344
; %bb.2341:
	s_cmp_lt_i32 s12, 3
	s_cbranch_scc1 .LBB71_2345
; %bb.2342:
	s_cmp_gt_i32 s12, 3
	s_cbranch_scc0 .LBB71_2346
; %bb.2343:
	s_wait_loadcnt 0x0
	global_load_b64 v[22:23], v[24:25], off
	s_mov_b32 s13, 0
	s_branch .LBB71_2347
.LBB71_2344:
	s_mov_b32 s13, -1
                                        ; implicit-def: $vgpr22
	s_branch .LBB71_2353
.LBB71_2345:
	s_mov_b32 s13, -1
                                        ; implicit-def: $vgpr22
	s_branch .LBB71_2350
.LBB71_2346:
	s_mov_b32 s13, -1
                                        ; implicit-def: $vgpr22
.LBB71_2347:
	s_delay_alu instid0(SALU_CYCLE_1)
	s_and_not1_b32 vcc_lo, exec_lo, s13
	s_cbranch_vccnz .LBB71_2349
; %bb.2348:
	s_wait_loadcnt 0x0
	global_load_b32 v22, v[24:25], off
.LBB71_2349:
	s_mov_b32 s13, 0
.LBB71_2350:
	s_delay_alu instid0(SALU_CYCLE_1)
	s_and_not1_b32 vcc_lo, exec_lo, s13
	s_cbranch_vccnz .LBB71_2352
; %bb.2351:
	s_wait_loadcnt 0x0
	global_load_u16 v22, v[24:25], off
.LBB71_2352:
	s_mov_b32 s13, 0
.LBB71_2353:
	s_delay_alu instid0(SALU_CYCLE_1)
	s_and_not1_b32 vcc_lo, exec_lo, s13
	s_cbranch_vccnz .LBB71_2359
; %bb.2354:
	s_cmp_gt_i32 s12, 0
	s_mov_b32 s13, 0
	s_cbranch_scc0 .LBB71_2356
; %bb.2355:
	s_wait_loadcnt 0x0
	global_load_i8 v22, v[24:25], off
	s_branch .LBB71_2357
.LBB71_2356:
	s_mov_b32 s13, -1
                                        ; implicit-def: $vgpr22
.LBB71_2357:
	s_delay_alu instid0(SALU_CYCLE_1)
	s_and_not1_b32 vcc_lo, exec_lo, s13
	s_cbranch_vccnz .LBB71_2359
; %bb.2358:
	s_wait_loadcnt 0x0
	global_load_u8 v22, v[24:25], off
.LBB71_2359:
	s_mov_b32 s15, -1
.LBB71_2360:
	s_delay_alu instid0(SALU_CYCLE_1)
	s_and_not1_b32 vcc_lo, exec_lo, s15
	s_cbranch_vccnz .LBB71_3047
; %bb.2361:
	v_mov_b32_e32 v17, 0
	s_cmp_lt_i32 s11, 11
	s_wait_xcnt 0x0
	s_delay_alu instid0(VALU_DEP_1)
	v_add_nc_u64_e32 v[24:25], s[6:7], v[16:17]
	s_cbranch_scc1 .LBB71_2368
; %bb.2362:
	s_cmp_gt_i32 s11, 25
	s_mov_b32 s7, 0
	s_cbranch_scc0 .LBB71_2369
; %bb.2363:
	s_cmp_gt_i32 s11, 28
	s_cbranch_scc0 .LBB71_2370
; %bb.2364:
	s_cmp_gt_i32 s11, 43
	;; [unrolled: 3-line block ×3, first 2 shown]
	s_cbranch_scc0 .LBB71_2373
; %bb.2366:
	s_cmp_eq_u32 s11, 46
	s_mov_b32 s14, 0
	s_cbranch_scc0 .LBB71_2374
; %bb.2367:
	global_load_b32 v1, v[24:25], off
	s_mov_b32 s6, 0
	s_mov_b32 s13, -1
	s_wait_loadcnt 0x0
	v_lshlrev_b32_e32 v1, 16, v1
	s_delay_alu instid0(VALU_DEP_1)
	v_cvt_i32_f32_e32 v16, v1
	s_branch .LBB71_2376
.LBB71_2368:
	s_mov_b32 s6, -1
	s_mov_b32 s13, 0
                                        ; implicit-def: $vgpr16
	s_branch .LBB71_2438
.LBB71_2369:
	s_mov_b32 s14, -1
	s_mov_b32 s13, 0
	s_mov_b32 s6, 0
                                        ; implicit-def: $vgpr16
	s_branch .LBB71_2403
.LBB71_2370:
	s_mov_b32 s14, -1
	s_mov_b32 s13, 0
	s_mov_b32 s6, 0
                                        ; implicit-def: $vgpr16
	s_branch .LBB71_2386
.LBB71_2371:
	s_mov_b32 s14, -1
	s_mov_b32 s13, 0
	s_mov_b32 s6, 0
                                        ; implicit-def: $vgpr16
	s_branch .LBB71_2381
.LBB71_2372:
	s_or_b32 s10, s10, exec_lo
	s_trap 2
	s_cbranch_execz .LBB71_2309
	s_branch .LBB71_2310
.LBB71_2373:
	s_mov_b32 s14, -1
	s_mov_b32 s13, 0
	s_mov_b32 s6, 0
	s_branch .LBB71_2375
.LBB71_2374:
	s_mov_b32 s6, -1
	s_mov_b32 s13, 0
.LBB71_2375:
                                        ; implicit-def: $vgpr16
.LBB71_2376:
	s_and_b32 vcc_lo, exec_lo, s14
	s_cbranch_vccz .LBB71_2380
; %bb.2377:
	s_cmp_eq_u32 s11, 44
	s_cbranch_scc0 .LBB71_2379
; %bb.2378:
	global_load_u8 v1, v[24:25], off
	s_mov_b32 s6, 0
	s_mov_b32 s13, -1
	s_wait_loadcnt 0x0
	v_lshlrev_b32_e32 v3, 23, v1
	v_cmp_ne_u32_e32 vcc_lo, 0, v1
	s_delay_alu instid0(VALU_DEP_2) | instskip(NEXT) | instid1(VALU_DEP_1)
	v_cvt_i32_f32_e32 v3, v3
	v_cndmask_b32_e32 v16, 0, v3, vcc_lo
	s_branch .LBB71_2380
.LBB71_2379:
	s_mov_b32 s6, -1
                                        ; implicit-def: $vgpr16
.LBB71_2380:
	s_mov_b32 s14, 0
.LBB71_2381:
	s_delay_alu instid0(SALU_CYCLE_1)
	s_and_b32 vcc_lo, exec_lo, s14
	s_cbranch_vccz .LBB71_2385
; %bb.2382:
	s_cmp_eq_u32 s11, 29
	s_cbranch_scc0 .LBB71_2384
; %bb.2383:
	global_load_b64 v[16:17], v[24:25], off
	s_mov_b32 s6, 0
	s_mov_b32 s13, -1
	s_branch .LBB71_2385
.LBB71_2384:
	s_mov_b32 s6, -1
                                        ; implicit-def: $vgpr16
.LBB71_2385:
	s_mov_b32 s14, 0
.LBB71_2386:
	s_delay_alu instid0(SALU_CYCLE_1)
	s_and_b32 vcc_lo, exec_lo, s14
	s_cbranch_vccz .LBB71_2402
; %bb.2387:
	s_cmp_lt_i32 s11, 27
	s_cbranch_scc1 .LBB71_2390
; %bb.2388:
	s_cmp_gt_i32 s11, 27
	s_cbranch_scc0 .LBB71_2391
; %bb.2389:
	s_wait_loadcnt 0x0
	global_load_b32 v16, v[24:25], off
	s_mov_b32 s13, 0
	s_branch .LBB71_2392
.LBB71_2390:
	s_mov_b32 s13, -1
                                        ; implicit-def: $vgpr16
	s_branch .LBB71_2395
.LBB71_2391:
	s_mov_b32 s13, -1
                                        ; implicit-def: $vgpr16
.LBB71_2392:
	s_delay_alu instid0(SALU_CYCLE_1)
	s_and_not1_b32 vcc_lo, exec_lo, s13
	s_cbranch_vccnz .LBB71_2394
; %bb.2393:
	s_wait_loadcnt 0x0
	global_load_u16 v16, v[24:25], off
.LBB71_2394:
	s_mov_b32 s13, 0
.LBB71_2395:
	s_delay_alu instid0(SALU_CYCLE_1)
	s_and_not1_b32 vcc_lo, exec_lo, s13
	s_cbranch_vccnz .LBB71_2401
; %bb.2396:
	global_load_u8 v1, v[24:25], off
	s_mov_b32 s14, 0
	s_mov_b32 s13, exec_lo
	s_wait_loadcnt 0x0
	v_cmpx_lt_i16_e32 0x7f, v1
	s_xor_b32 s13, exec_lo, s13
	s_cbranch_execz .LBB71_2413
; %bb.2397:
	v_cmp_ne_u16_e32 vcc_lo, 0x80, v1
	s_and_b32 s14, vcc_lo, exec_lo
	s_and_not1_saveexec_b32 s13, s13
	s_cbranch_execnz .LBB71_2414
.LBB71_2398:
	s_or_b32 exec_lo, exec_lo, s13
	v_mov_b32_e32 v16, 0
	s_and_saveexec_b32 s13, s14
	s_cbranch_execz .LBB71_2400
.LBB71_2399:
	v_and_b32_e32 v3, 0xffff, v1
	s_delay_alu instid0(VALU_DEP_1) | instskip(SKIP_1) | instid1(VALU_DEP_2)
	v_dual_lshlrev_b32 v1, 24, v1 :: v_dual_bitop2_b32 v5, 7, v3 bitop3:0x40
	v_bfe_u32 v11, v3, 3, 4
	v_and_b32_e32 v1, 0x80000000, v1
	s_delay_alu instid0(VALU_DEP_3) | instskip(NEXT) | instid1(VALU_DEP_3)
	v_clz_i32_u32_e32 v7, v5
	v_cmp_eq_u32_e32 vcc_lo, 0, v11
	s_delay_alu instid0(VALU_DEP_2) | instskip(NEXT) | instid1(VALU_DEP_1)
	v_min_u32_e32 v7, 32, v7
	v_subrev_nc_u32_e32 v9, 28, v7
	v_sub_nc_u32_e32 v7, 29, v7
	s_delay_alu instid0(VALU_DEP_2) | instskip(NEXT) | instid1(VALU_DEP_2)
	v_lshlrev_b32_e32 v3, v9, v3
	v_cndmask_b32_e32 v7, v11, v7, vcc_lo
	s_delay_alu instid0(VALU_DEP_2) | instskip(NEXT) | instid1(VALU_DEP_1)
	v_and_b32_e32 v3, 7, v3
	v_cndmask_b32_e32 v3, v5, v3, vcc_lo
	s_delay_alu instid0(VALU_DEP_3) | instskip(NEXT) | instid1(VALU_DEP_2)
	v_lshl_add_u32 v5, v7, 23, 0x3b800000
	v_lshlrev_b32_e32 v3, 20, v3
	s_delay_alu instid0(VALU_DEP_1) | instskip(NEXT) | instid1(VALU_DEP_1)
	v_or3_b32 v1, v1, v5, v3
	v_cvt_i32_f32_e32 v16, v1
.LBB71_2400:
	s_or_b32 exec_lo, exec_lo, s13
.LBB71_2401:
	s_mov_b32 s13, -1
.LBB71_2402:
	s_mov_b32 s14, 0
.LBB71_2403:
	s_delay_alu instid0(SALU_CYCLE_1)
	s_and_b32 vcc_lo, exec_lo, s14
	s_cbranch_vccz .LBB71_2434
; %bb.2404:
	s_cmp_gt_i32 s11, 22
	s_cbranch_scc0 .LBB71_2412
; %bb.2405:
	s_cmp_lt_i32 s11, 24
	s_cbranch_scc1 .LBB71_2415
; %bb.2406:
	s_cmp_gt_i32 s11, 24
	s_cbranch_scc0 .LBB71_2416
; %bb.2407:
	global_load_u8 v1, v[24:25], off
	s_mov_b32 s13, 0
	s_mov_b32 s7, exec_lo
	s_wait_loadcnt 0x0
	v_cmpx_lt_i16_e32 0x7f, v1
	s_xor_b32 s7, exec_lo, s7
	s_cbranch_execz .LBB71_2428
; %bb.2408:
	v_cmp_ne_u16_e32 vcc_lo, 0x80, v1
	s_and_b32 s13, vcc_lo, exec_lo
	s_and_not1_saveexec_b32 s7, s7
	s_cbranch_execnz .LBB71_2429
.LBB71_2409:
	s_or_b32 exec_lo, exec_lo, s7
	v_mov_b32_e32 v16, 0
	s_and_saveexec_b32 s7, s13
	s_cbranch_execz .LBB71_2411
.LBB71_2410:
	v_and_b32_e32 v3, 0xffff, v1
	s_delay_alu instid0(VALU_DEP_1) | instskip(SKIP_1) | instid1(VALU_DEP_2)
	v_dual_lshlrev_b32 v1, 24, v1 :: v_dual_bitop2_b32 v5, 3, v3 bitop3:0x40
	v_bfe_u32 v11, v3, 2, 5
	v_and_b32_e32 v1, 0x80000000, v1
	s_delay_alu instid0(VALU_DEP_3) | instskip(NEXT) | instid1(VALU_DEP_3)
	v_clz_i32_u32_e32 v7, v5
	v_cmp_eq_u32_e32 vcc_lo, 0, v11
	s_delay_alu instid0(VALU_DEP_2) | instskip(NEXT) | instid1(VALU_DEP_1)
	v_min_u32_e32 v7, 32, v7
	v_subrev_nc_u32_e32 v9, 29, v7
	v_sub_nc_u32_e32 v7, 30, v7
	s_delay_alu instid0(VALU_DEP_2) | instskip(NEXT) | instid1(VALU_DEP_2)
	v_lshlrev_b32_e32 v3, v9, v3
	v_cndmask_b32_e32 v7, v11, v7, vcc_lo
	s_delay_alu instid0(VALU_DEP_2) | instskip(NEXT) | instid1(VALU_DEP_1)
	v_and_b32_e32 v3, 3, v3
	v_cndmask_b32_e32 v3, v5, v3, vcc_lo
	s_delay_alu instid0(VALU_DEP_3) | instskip(NEXT) | instid1(VALU_DEP_2)
	v_lshl_add_u32 v5, v7, 23, 0x37800000
	v_lshlrev_b32_e32 v3, 21, v3
	s_delay_alu instid0(VALU_DEP_1) | instskip(NEXT) | instid1(VALU_DEP_1)
	v_or3_b32 v1, v1, v5, v3
	v_cvt_i32_f32_e32 v16, v1
.LBB71_2411:
	s_or_b32 exec_lo, exec_lo, s7
	s_mov_b32 s7, 0
	s_branch .LBB71_2417
.LBB71_2412:
	s_mov_b32 s7, -1
                                        ; implicit-def: $vgpr16
	s_branch .LBB71_2423
.LBB71_2413:
	s_and_not1_saveexec_b32 s13, s13
	s_cbranch_execz .LBB71_2398
.LBB71_2414:
	v_cmp_ne_u16_e32 vcc_lo, 0, v1
	s_and_not1_b32 s14, s14, exec_lo
	s_and_b32 s15, vcc_lo, exec_lo
	s_delay_alu instid0(SALU_CYCLE_1)
	s_or_b32 s14, s14, s15
	s_or_b32 exec_lo, exec_lo, s13
	v_mov_b32_e32 v16, 0
	s_and_saveexec_b32 s13, s14
	s_cbranch_execnz .LBB71_2399
	s_branch .LBB71_2400
.LBB71_2415:
	s_mov_b32 s7, -1
                                        ; implicit-def: $vgpr16
	s_branch .LBB71_2420
.LBB71_2416:
	s_mov_b32 s7, -1
                                        ; implicit-def: $vgpr16
.LBB71_2417:
	s_delay_alu instid0(SALU_CYCLE_1)
	s_and_b32 vcc_lo, exec_lo, s7
	s_cbranch_vccz .LBB71_2419
; %bb.2418:
	global_load_u8 v1, v[24:25], off
	s_wait_loadcnt 0x0
	v_lshlrev_b32_e32 v1, 24, v1
	s_delay_alu instid0(VALU_DEP_1) | instskip(NEXT) | instid1(VALU_DEP_1)
	v_and_b32_e32 v3, 0x7f000000, v1
	v_clz_i32_u32_e32 v5, v3
	v_add_nc_u32_e32 v9, 0x1000000, v3
	v_cmp_ne_u32_e32 vcc_lo, 0, v3
	s_delay_alu instid0(VALU_DEP_3) | instskip(NEXT) | instid1(VALU_DEP_1)
	v_min_u32_e32 v5, 32, v5
	v_sub_nc_u32_e64 v5, v5, 4 clamp
	s_delay_alu instid0(VALU_DEP_1) | instskip(NEXT) | instid1(VALU_DEP_1)
	v_dual_lshlrev_b32 v7, v5, v3 :: v_dual_lshlrev_b32 v5, 23, v5
	v_lshrrev_b32_e32 v7, 4, v7
	s_delay_alu instid0(VALU_DEP_1) | instskip(SKIP_1) | instid1(VALU_DEP_2)
	v_sub_nc_u32_e32 v5, v7, v5
	v_ashrrev_i32_e32 v7, 8, v9
	v_add_nc_u32_e32 v5, 0x3c000000, v5
	s_delay_alu instid0(VALU_DEP_1) | instskip(NEXT) | instid1(VALU_DEP_1)
	v_and_or_b32 v5, 0x7f800000, v7, v5
	v_cndmask_b32_e32 v3, 0, v5, vcc_lo
	s_delay_alu instid0(VALU_DEP_1) | instskip(NEXT) | instid1(VALU_DEP_1)
	v_and_or_b32 v1, 0x80000000, v1, v3
	v_cvt_i32_f32_e32 v16, v1
.LBB71_2419:
	s_mov_b32 s7, 0
.LBB71_2420:
	s_delay_alu instid0(SALU_CYCLE_1)
	s_and_not1_b32 vcc_lo, exec_lo, s7
	s_cbranch_vccnz .LBB71_2422
; %bb.2421:
	global_load_u8 v1, v[24:25], off
	s_wait_loadcnt 0x0
	v_lshlrev_b32_e32 v3, 25, v1
	v_lshlrev_b16 v1, 8, v1
	s_delay_alu instid0(VALU_DEP_1) | instskip(SKIP_1) | instid1(VALU_DEP_2)
	v_and_or_b32 v7, 0x7f00, v1, 0.5
	v_bfe_i32 v1, v1, 0, 16
	v_add_f32_e32 v7, -0.5, v7
	v_lshrrev_b32_e32 v5, 4, v3
	v_cmp_gt_u32_e32 vcc_lo, 0x8000000, v3
	s_delay_alu instid0(VALU_DEP_2) | instskip(NEXT) | instid1(VALU_DEP_1)
	v_or_b32_e32 v5, 0x70000000, v5
	v_mul_f32_e32 v5, 0x7800000, v5
	s_delay_alu instid0(VALU_DEP_1) | instskip(NEXT) | instid1(VALU_DEP_1)
	v_cndmask_b32_e32 v3, v5, v7, vcc_lo
	v_and_or_b32 v1, 0x80000000, v1, v3
	s_delay_alu instid0(VALU_DEP_1)
	v_cvt_i32_f32_e32 v16, v1
.LBB71_2422:
	s_mov_b32 s7, 0
	s_mov_b32 s13, -1
.LBB71_2423:
	s_and_not1_b32 vcc_lo, exec_lo, s7
	s_mov_b32 s7, 0
	s_cbranch_vccnz .LBB71_2434
; %bb.2424:
	s_cmp_gt_i32 s11, 14
	s_cbranch_scc0 .LBB71_2427
; %bb.2425:
	s_cmp_eq_u32 s11, 15
	s_cbranch_scc0 .LBB71_2430
; %bb.2426:
	global_load_u16 v1, v[24:25], off
	s_mov_b32 s6, 0
	s_mov_b32 s13, -1
	s_wait_loadcnt 0x0
	v_lshlrev_b32_e32 v1, 16, v1
	s_delay_alu instid0(VALU_DEP_1)
	v_cvt_i32_f32_e32 v16, v1
	s_branch .LBB71_2432
.LBB71_2427:
	s_mov_b32 s7, -1
	s_branch .LBB71_2431
.LBB71_2428:
	s_and_not1_saveexec_b32 s7, s7
	s_cbranch_execz .LBB71_2409
.LBB71_2429:
	v_cmp_ne_u16_e32 vcc_lo, 0, v1
	s_and_not1_b32 s13, s13, exec_lo
	s_and_b32 s14, vcc_lo, exec_lo
	s_delay_alu instid0(SALU_CYCLE_1)
	s_or_b32 s13, s13, s14
	s_or_b32 exec_lo, exec_lo, s7
	v_mov_b32_e32 v16, 0
	s_and_saveexec_b32 s7, s13
	s_cbranch_execnz .LBB71_2410
	s_branch .LBB71_2411
.LBB71_2430:
	s_mov_b32 s6, -1
.LBB71_2431:
                                        ; implicit-def: $vgpr16
.LBB71_2432:
	s_and_b32 vcc_lo, exec_lo, s7
	s_mov_b32 s7, 0
	s_cbranch_vccz .LBB71_2434
; %bb.2433:
	s_cmp_lg_u32 s11, 11
	s_mov_b32 s7, -1
	s_cselect_b32 s6, -1, 0
.LBB71_2434:
	s_delay_alu instid0(SALU_CYCLE_1)
	s_and_b32 vcc_lo, exec_lo, s6
	s_cbranch_vccnz .LBB71_2499
; %bb.2435:
	s_and_not1_b32 vcc_lo, exec_lo, s7
	s_cbranch_vccnz .LBB71_2437
.LBB71_2436:
	global_load_u8 v1, v[24:25], off
	s_mov_b32 s13, -1
	s_wait_loadcnt 0x0
	v_cmp_ne_u16_e32 vcc_lo, 0, v1
	v_cndmask_b32_e64 v16, 0, 1, vcc_lo
.LBB71_2437:
	s_mov_b32 s6, 0
.LBB71_2438:
	s_delay_alu instid0(SALU_CYCLE_1)
	s_and_b32 vcc_lo, exec_lo, s6
	s_cbranch_vccz .LBB71_2487
; %bb.2439:
	s_cmp_lt_i32 s11, 5
	s_cbranch_scc1 .LBB71_2444
; %bb.2440:
	s_cmp_lt_i32 s11, 8
	s_cbranch_scc1 .LBB71_2445
	;; [unrolled: 3-line block ×3, first 2 shown]
; %bb.2442:
	s_cmp_gt_i32 s11, 9
	s_cbranch_scc0 .LBB71_2447
; %bb.2443:
	s_wait_loadcnt 0x0
	global_load_b64 v[16:17], v[24:25], off
	s_mov_b32 s6, 0
	s_wait_loadcnt 0x0
	v_cvt_i32_f64_e32 v16, v[16:17]
	s_branch .LBB71_2448
.LBB71_2444:
	s_mov_b32 s6, -1
                                        ; implicit-def: $vgpr16
	s_branch .LBB71_2466
.LBB71_2445:
	s_mov_b32 s6, -1
                                        ; implicit-def: $vgpr16
	s_branch .LBB71_2454
.LBB71_2446:
	s_mov_b32 s6, -1
                                        ; implicit-def: $vgpr16
	s_branch .LBB71_2451
.LBB71_2447:
	s_mov_b32 s6, -1
                                        ; implicit-def: $vgpr16
.LBB71_2448:
	s_delay_alu instid0(SALU_CYCLE_1)
	s_and_not1_b32 vcc_lo, exec_lo, s6
	s_cbranch_vccnz .LBB71_2450
; %bb.2449:
	global_load_b32 v1, v[24:25], off
	s_wait_loadcnt 0x0
	v_cvt_i32_f32_e32 v16, v1
.LBB71_2450:
	s_mov_b32 s6, 0
.LBB71_2451:
	s_delay_alu instid0(SALU_CYCLE_1)
	s_and_not1_b32 vcc_lo, exec_lo, s6
	s_cbranch_vccnz .LBB71_2453
; %bb.2452:
	global_load_b32 v1, v[24:25], off
	s_wait_loadcnt 0x0
	v_cvt_i16_f16_e32 v16, v1
.LBB71_2453:
	s_mov_b32 s6, 0
.LBB71_2454:
	s_delay_alu instid0(SALU_CYCLE_1)
	s_and_not1_b32 vcc_lo, exec_lo, s6
	s_cbranch_vccnz .LBB71_2465
; %bb.2455:
	s_cmp_lt_i32 s11, 6
	s_cbranch_scc1 .LBB71_2458
; %bb.2456:
	s_cmp_gt_i32 s11, 6
	s_cbranch_scc0 .LBB71_2459
; %bb.2457:
	s_wait_loadcnt 0x0
	global_load_b64 v[16:17], v[24:25], off
	s_mov_b32 s6, 0
	s_wait_loadcnt 0x0
	v_cvt_i32_f64_e32 v16, v[16:17]
	s_branch .LBB71_2460
.LBB71_2458:
	s_mov_b32 s6, -1
                                        ; implicit-def: $vgpr16
	s_branch .LBB71_2463
.LBB71_2459:
	s_mov_b32 s6, -1
                                        ; implicit-def: $vgpr16
.LBB71_2460:
	s_delay_alu instid0(SALU_CYCLE_1)
	s_and_not1_b32 vcc_lo, exec_lo, s6
	s_cbranch_vccnz .LBB71_2462
; %bb.2461:
	global_load_b32 v1, v[24:25], off
	s_wait_loadcnt 0x0
	v_cvt_i32_f32_e32 v16, v1
.LBB71_2462:
	s_mov_b32 s6, 0
.LBB71_2463:
	s_delay_alu instid0(SALU_CYCLE_1)
	s_and_not1_b32 vcc_lo, exec_lo, s6
	s_cbranch_vccnz .LBB71_2465
; %bb.2464:
	global_load_u16 v1, v[24:25], off
	s_wait_loadcnt 0x0
	v_cvt_i16_f16_e32 v16, v1
.LBB71_2465:
	s_mov_b32 s6, 0
.LBB71_2466:
	s_delay_alu instid0(SALU_CYCLE_1)
	s_and_not1_b32 vcc_lo, exec_lo, s6
	s_cbranch_vccnz .LBB71_2486
; %bb.2467:
	s_cmp_lt_i32 s11, 2
	s_cbranch_scc1 .LBB71_2471
; %bb.2468:
	s_cmp_lt_i32 s11, 3
	s_cbranch_scc1 .LBB71_2472
; %bb.2469:
	s_cmp_gt_i32 s11, 3
	s_cbranch_scc0 .LBB71_2473
; %bb.2470:
	s_wait_loadcnt 0x0
	global_load_b64 v[16:17], v[24:25], off
	s_mov_b32 s6, 0
	s_branch .LBB71_2474
.LBB71_2471:
	s_mov_b32 s6, -1
                                        ; implicit-def: $vgpr16
	s_branch .LBB71_2480
.LBB71_2472:
	s_mov_b32 s6, -1
                                        ; implicit-def: $vgpr16
	s_branch .LBB71_2477
.LBB71_2473:
	s_mov_b32 s6, -1
                                        ; implicit-def: $vgpr16
.LBB71_2474:
	s_delay_alu instid0(SALU_CYCLE_1)
	s_and_not1_b32 vcc_lo, exec_lo, s6
	s_cbranch_vccnz .LBB71_2476
; %bb.2475:
	s_wait_loadcnt 0x0
	global_load_b32 v16, v[24:25], off
.LBB71_2476:
	s_mov_b32 s6, 0
.LBB71_2477:
	s_delay_alu instid0(SALU_CYCLE_1)
	s_and_not1_b32 vcc_lo, exec_lo, s6
	s_cbranch_vccnz .LBB71_2479
; %bb.2478:
	s_wait_loadcnt 0x0
	global_load_u16 v16, v[24:25], off
.LBB71_2479:
	s_mov_b32 s6, 0
.LBB71_2480:
	s_delay_alu instid0(SALU_CYCLE_1)
	s_and_not1_b32 vcc_lo, exec_lo, s6
	s_cbranch_vccnz .LBB71_2486
; %bb.2481:
	s_cmp_gt_i32 s11, 0
	s_mov_b32 s6, 0
	s_cbranch_scc0 .LBB71_2483
; %bb.2482:
	s_wait_loadcnt 0x0
	global_load_i8 v16, v[24:25], off
	s_branch .LBB71_2484
.LBB71_2483:
	s_mov_b32 s6, -1
                                        ; implicit-def: $vgpr16
.LBB71_2484:
	s_delay_alu instid0(SALU_CYCLE_1)
	s_and_not1_b32 vcc_lo, exec_lo, s6
	s_cbranch_vccnz .LBB71_2486
; %bb.2485:
	s_wait_loadcnt 0x0
	global_load_u8 v16, v[24:25], off
.LBB71_2486:
	s_mov_b32 s13, -1
.LBB71_2487:
	s_delay_alu instid0(SALU_CYCLE_1)
	s_and_not1_b32 vcc_lo, exec_lo, s13
	s_cbranch_vccnz .LBB71_3047
; %bb.2488:
	v_mov_b32_e32 v11, 0
	s_cmp_lt_i32 s12, 11
	s_wait_xcnt 0x0
	s_delay_alu instid0(VALU_DEP_1)
	v_add_nc_u64_e32 v[24:25], s[0:1], v[10:11]
	s_cbranch_scc1 .LBB71_2495
; %bb.2489:
	s_cmp_gt_i32 s12, 25
	s_mov_b32 s1, 0
	s_cbranch_scc0 .LBB71_2496
; %bb.2490:
	s_cmp_gt_i32 s12, 28
	s_cbranch_scc0 .LBB71_2497
; %bb.2491:
	s_cmp_gt_i32 s12, 43
	;; [unrolled: 3-line block ×3, first 2 shown]
	s_cbranch_scc0 .LBB71_2500
; %bb.2493:
	s_cmp_eq_u32 s12, 46
	s_mov_b32 s7, 0
	s_cbranch_scc0 .LBB71_2501
; %bb.2494:
	global_load_b32 v1, v[24:25], off
	s_mov_b32 s0, 0
	s_mov_b32 s6, -1
	s_wait_loadcnt 0x0
	v_lshlrev_b32_e32 v1, 16, v1
	s_delay_alu instid0(VALU_DEP_1)
	v_cvt_i32_f32_e32 v10, v1
	s_branch .LBB71_2503
.LBB71_2495:
	s_mov_b32 s0, -1
	s_mov_b32 s6, 0
                                        ; implicit-def: $vgpr10
	s_branch .LBB71_2565
.LBB71_2496:
	s_mov_b32 s7, -1
	s_mov_b32 s6, 0
	s_mov_b32 s0, 0
                                        ; implicit-def: $vgpr10
	s_branch .LBB71_2530
.LBB71_2497:
	s_mov_b32 s7, -1
	s_mov_b32 s6, 0
	s_mov_b32 s0, 0
                                        ; implicit-def: $vgpr10
	s_branch .LBB71_2513
.LBB71_2498:
	s_mov_b32 s7, -1
	s_mov_b32 s6, 0
	s_mov_b32 s0, 0
                                        ; implicit-def: $vgpr10
	s_branch .LBB71_2508
.LBB71_2499:
	s_or_b32 s10, s10, exec_lo
	s_trap 2
	s_cbranch_execz .LBB71_2436
	s_branch .LBB71_2437
.LBB71_2500:
	s_mov_b32 s7, -1
	s_mov_b32 s6, 0
	s_mov_b32 s0, 0
	s_branch .LBB71_2502
.LBB71_2501:
	s_mov_b32 s0, -1
	s_mov_b32 s6, 0
.LBB71_2502:
                                        ; implicit-def: $vgpr10
.LBB71_2503:
	s_and_b32 vcc_lo, exec_lo, s7
	s_cbranch_vccz .LBB71_2507
; %bb.2504:
	s_cmp_eq_u32 s12, 44
	s_cbranch_scc0 .LBB71_2506
; %bb.2505:
	global_load_u8 v1, v[24:25], off
	s_mov_b32 s0, 0
	s_mov_b32 s6, -1
	s_wait_loadcnt 0x0
	v_lshlrev_b32_e32 v3, 23, v1
	v_cmp_ne_u32_e32 vcc_lo, 0, v1
	s_delay_alu instid0(VALU_DEP_2) | instskip(NEXT) | instid1(VALU_DEP_1)
	v_cvt_i32_f32_e32 v3, v3
	v_cndmask_b32_e32 v10, 0, v3, vcc_lo
	s_branch .LBB71_2507
.LBB71_2506:
	s_mov_b32 s0, -1
                                        ; implicit-def: $vgpr10
.LBB71_2507:
	s_mov_b32 s7, 0
.LBB71_2508:
	s_delay_alu instid0(SALU_CYCLE_1)
	s_and_b32 vcc_lo, exec_lo, s7
	s_cbranch_vccz .LBB71_2512
; %bb.2509:
	s_cmp_eq_u32 s12, 29
	s_cbranch_scc0 .LBB71_2511
; %bb.2510:
	global_load_b64 v[10:11], v[24:25], off
	s_mov_b32 s0, 0
	s_mov_b32 s6, -1
	s_branch .LBB71_2512
.LBB71_2511:
	s_mov_b32 s0, -1
                                        ; implicit-def: $vgpr10
.LBB71_2512:
	s_mov_b32 s7, 0
.LBB71_2513:
	s_delay_alu instid0(SALU_CYCLE_1)
	s_and_b32 vcc_lo, exec_lo, s7
	s_cbranch_vccz .LBB71_2529
; %bb.2514:
	s_cmp_lt_i32 s12, 27
	s_cbranch_scc1 .LBB71_2517
; %bb.2515:
	s_cmp_gt_i32 s12, 27
	s_cbranch_scc0 .LBB71_2518
; %bb.2516:
	s_wait_loadcnt 0x0
	global_load_b32 v10, v[24:25], off
	s_mov_b32 s6, 0
	s_branch .LBB71_2519
.LBB71_2517:
	s_mov_b32 s6, -1
                                        ; implicit-def: $vgpr10
	s_branch .LBB71_2522
.LBB71_2518:
	s_mov_b32 s6, -1
                                        ; implicit-def: $vgpr10
.LBB71_2519:
	s_delay_alu instid0(SALU_CYCLE_1)
	s_and_not1_b32 vcc_lo, exec_lo, s6
	s_cbranch_vccnz .LBB71_2521
; %bb.2520:
	s_wait_loadcnt 0x0
	global_load_u16 v10, v[24:25], off
.LBB71_2521:
	s_mov_b32 s6, 0
.LBB71_2522:
	s_delay_alu instid0(SALU_CYCLE_1)
	s_and_not1_b32 vcc_lo, exec_lo, s6
	s_cbranch_vccnz .LBB71_2528
; %bb.2523:
	global_load_u8 v1, v[24:25], off
	s_mov_b32 s7, 0
	s_mov_b32 s6, exec_lo
	s_wait_loadcnt 0x0
	v_cmpx_lt_i16_e32 0x7f, v1
	s_xor_b32 s6, exec_lo, s6
	s_cbranch_execz .LBB71_2540
; %bb.2524:
	v_cmp_ne_u16_e32 vcc_lo, 0x80, v1
	s_and_b32 s7, vcc_lo, exec_lo
	s_and_not1_saveexec_b32 s6, s6
	s_cbranch_execnz .LBB71_2541
.LBB71_2525:
	s_or_b32 exec_lo, exec_lo, s6
	v_mov_b32_e32 v10, 0
	s_and_saveexec_b32 s6, s7
	s_cbranch_execz .LBB71_2527
.LBB71_2526:
	v_and_b32_e32 v3, 0xffff, v1
	s_delay_alu instid0(VALU_DEP_1) | instskip(SKIP_1) | instid1(VALU_DEP_2)
	v_dual_lshlrev_b32 v1, 24, v1 :: v_dual_bitop2_b32 v5, 7, v3 bitop3:0x40
	v_bfe_u32 v10, v3, 3, 4
	v_and_b32_e32 v1, 0x80000000, v1
	s_delay_alu instid0(VALU_DEP_3) | instskip(NEXT) | instid1(VALU_DEP_3)
	v_clz_i32_u32_e32 v7, v5
	v_cmp_eq_u32_e32 vcc_lo, 0, v10
	s_delay_alu instid0(VALU_DEP_2) | instskip(NEXT) | instid1(VALU_DEP_1)
	v_min_u32_e32 v7, 32, v7
	v_subrev_nc_u32_e32 v9, 28, v7
	v_sub_nc_u32_e32 v7, 29, v7
	s_delay_alu instid0(VALU_DEP_2) | instskip(NEXT) | instid1(VALU_DEP_2)
	v_lshlrev_b32_e32 v3, v9, v3
	v_cndmask_b32_e32 v7, v10, v7, vcc_lo
	s_delay_alu instid0(VALU_DEP_2) | instskip(NEXT) | instid1(VALU_DEP_1)
	v_and_b32_e32 v3, 7, v3
	v_cndmask_b32_e32 v3, v5, v3, vcc_lo
	s_delay_alu instid0(VALU_DEP_3) | instskip(NEXT) | instid1(VALU_DEP_2)
	v_lshl_add_u32 v5, v7, 23, 0x3b800000
	v_lshlrev_b32_e32 v3, 20, v3
	s_delay_alu instid0(VALU_DEP_1) | instskip(NEXT) | instid1(VALU_DEP_1)
	v_or3_b32 v1, v1, v5, v3
	v_cvt_i32_f32_e32 v10, v1
.LBB71_2527:
	s_or_b32 exec_lo, exec_lo, s6
.LBB71_2528:
	s_mov_b32 s6, -1
.LBB71_2529:
	s_mov_b32 s7, 0
.LBB71_2530:
	s_delay_alu instid0(SALU_CYCLE_1)
	s_and_b32 vcc_lo, exec_lo, s7
	s_cbranch_vccz .LBB71_2561
; %bb.2531:
	s_cmp_gt_i32 s12, 22
	s_cbranch_scc0 .LBB71_2539
; %bb.2532:
	s_cmp_lt_i32 s12, 24
	s_cbranch_scc1 .LBB71_2542
; %bb.2533:
	s_cmp_gt_i32 s12, 24
	s_cbranch_scc0 .LBB71_2543
; %bb.2534:
	global_load_u8 v1, v[24:25], off
	s_mov_b32 s6, 0
	s_mov_b32 s1, exec_lo
	s_wait_loadcnt 0x0
	v_cmpx_lt_i16_e32 0x7f, v1
	s_xor_b32 s1, exec_lo, s1
	s_cbranch_execz .LBB71_2555
; %bb.2535:
	v_cmp_ne_u16_e32 vcc_lo, 0x80, v1
	s_and_b32 s6, vcc_lo, exec_lo
	s_and_not1_saveexec_b32 s1, s1
	s_cbranch_execnz .LBB71_2556
.LBB71_2536:
	s_or_b32 exec_lo, exec_lo, s1
	v_mov_b32_e32 v10, 0
	s_and_saveexec_b32 s1, s6
	s_cbranch_execz .LBB71_2538
.LBB71_2537:
	v_and_b32_e32 v3, 0xffff, v1
	s_delay_alu instid0(VALU_DEP_1) | instskip(SKIP_1) | instid1(VALU_DEP_2)
	v_dual_lshlrev_b32 v1, 24, v1 :: v_dual_bitop2_b32 v5, 3, v3 bitop3:0x40
	v_bfe_u32 v10, v3, 2, 5
	v_and_b32_e32 v1, 0x80000000, v1
	s_delay_alu instid0(VALU_DEP_3) | instskip(NEXT) | instid1(VALU_DEP_3)
	v_clz_i32_u32_e32 v7, v5
	v_cmp_eq_u32_e32 vcc_lo, 0, v10
	s_delay_alu instid0(VALU_DEP_2) | instskip(NEXT) | instid1(VALU_DEP_1)
	v_min_u32_e32 v7, 32, v7
	v_subrev_nc_u32_e32 v9, 29, v7
	v_sub_nc_u32_e32 v7, 30, v7
	s_delay_alu instid0(VALU_DEP_2) | instskip(NEXT) | instid1(VALU_DEP_2)
	v_lshlrev_b32_e32 v3, v9, v3
	v_cndmask_b32_e32 v7, v10, v7, vcc_lo
	s_delay_alu instid0(VALU_DEP_2) | instskip(NEXT) | instid1(VALU_DEP_1)
	v_and_b32_e32 v3, 3, v3
	v_cndmask_b32_e32 v3, v5, v3, vcc_lo
	s_delay_alu instid0(VALU_DEP_3) | instskip(NEXT) | instid1(VALU_DEP_2)
	v_lshl_add_u32 v5, v7, 23, 0x37800000
	v_lshlrev_b32_e32 v3, 21, v3
	s_delay_alu instid0(VALU_DEP_1) | instskip(NEXT) | instid1(VALU_DEP_1)
	v_or3_b32 v1, v1, v5, v3
	v_cvt_i32_f32_e32 v10, v1
.LBB71_2538:
	s_or_b32 exec_lo, exec_lo, s1
	s_mov_b32 s1, 0
	s_branch .LBB71_2544
.LBB71_2539:
	s_mov_b32 s1, -1
                                        ; implicit-def: $vgpr10
	s_branch .LBB71_2550
.LBB71_2540:
	s_and_not1_saveexec_b32 s6, s6
	s_cbranch_execz .LBB71_2525
.LBB71_2541:
	v_cmp_ne_u16_e32 vcc_lo, 0, v1
	s_and_not1_b32 s7, s7, exec_lo
	s_and_b32 s11, vcc_lo, exec_lo
	s_delay_alu instid0(SALU_CYCLE_1)
	s_or_b32 s7, s7, s11
	s_or_b32 exec_lo, exec_lo, s6
	v_mov_b32_e32 v10, 0
	s_and_saveexec_b32 s6, s7
	s_cbranch_execnz .LBB71_2526
	s_branch .LBB71_2527
.LBB71_2542:
	s_mov_b32 s1, -1
                                        ; implicit-def: $vgpr10
	s_branch .LBB71_2547
.LBB71_2543:
	s_mov_b32 s1, -1
                                        ; implicit-def: $vgpr10
.LBB71_2544:
	s_delay_alu instid0(SALU_CYCLE_1)
	s_and_b32 vcc_lo, exec_lo, s1
	s_cbranch_vccz .LBB71_2546
; %bb.2545:
	global_load_u8 v1, v[24:25], off
	s_wait_loadcnt 0x0
	v_lshlrev_b32_e32 v1, 24, v1
	s_delay_alu instid0(VALU_DEP_1) | instskip(NEXT) | instid1(VALU_DEP_1)
	v_and_b32_e32 v3, 0x7f000000, v1
	v_clz_i32_u32_e32 v5, v3
	v_add_nc_u32_e32 v9, 0x1000000, v3
	v_cmp_ne_u32_e32 vcc_lo, 0, v3
	s_delay_alu instid0(VALU_DEP_3) | instskip(NEXT) | instid1(VALU_DEP_1)
	v_min_u32_e32 v5, 32, v5
	v_sub_nc_u32_e64 v5, v5, 4 clamp
	s_delay_alu instid0(VALU_DEP_1) | instskip(NEXT) | instid1(VALU_DEP_1)
	v_dual_lshlrev_b32 v7, v5, v3 :: v_dual_lshlrev_b32 v5, 23, v5
	v_lshrrev_b32_e32 v7, 4, v7
	s_delay_alu instid0(VALU_DEP_1) | instskip(SKIP_1) | instid1(VALU_DEP_2)
	v_sub_nc_u32_e32 v5, v7, v5
	v_ashrrev_i32_e32 v7, 8, v9
	v_add_nc_u32_e32 v5, 0x3c000000, v5
	s_delay_alu instid0(VALU_DEP_1) | instskip(NEXT) | instid1(VALU_DEP_1)
	v_and_or_b32 v5, 0x7f800000, v7, v5
	v_cndmask_b32_e32 v3, 0, v5, vcc_lo
	s_delay_alu instid0(VALU_DEP_1) | instskip(NEXT) | instid1(VALU_DEP_1)
	v_and_or_b32 v1, 0x80000000, v1, v3
	v_cvt_i32_f32_e32 v10, v1
.LBB71_2546:
	s_mov_b32 s1, 0
.LBB71_2547:
	s_delay_alu instid0(SALU_CYCLE_1)
	s_and_not1_b32 vcc_lo, exec_lo, s1
	s_cbranch_vccnz .LBB71_2549
; %bb.2548:
	global_load_u8 v1, v[24:25], off
	s_wait_loadcnt 0x0
	v_lshlrev_b32_e32 v3, 25, v1
	v_lshlrev_b16 v1, 8, v1
	s_delay_alu instid0(VALU_DEP_1) | instskip(SKIP_1) | instid1(VALU_DEP_2)
	v_and_or_b32 v7, 0x7f00, v1, 0.5
	v_bfe_i32 v1, v1, 0, 16
	v_add_f32_e32 v7, -0.5, v7
	v_lshrrev_b32_e32 v5, 4, v3
	v_cmp_gt_u32_e32 vcc_lo, 0x8000000, v3
	s_delay_alu instid0(VALU_DEP_2) | instskip(NEXT) | instid1(VALU_DEP_1)
	v_or_b32_e32 v5, 0x70000000, v5
	v_mul_f32_e32 v5, 0x7800000, v5
	s_delay_alu instid0(VALU_DEP_1) | instskip(NEXT) | instid1(VALU_DEP_1)
	v_cndmask_b32_e32 v3, v5, v7, vcc_lo
	v_and_or_b32 v1, 0x80000000, v1, v3
	s_delay_alu instid0(VALU_DEP_1)
	v_cvt_i32_f32_e32 v10, v1
.LBB71_2549:
	s_mov_b32 s1, 0
	s_mov_b32 s6, -1
.LBB71_2550:
	s_and_not1_b32 vcc_lo, exec_lo, s1
	s_mov_b32 s1, 0
	s_cbranch_vccnz .LBB71_2561
; %bb.2551:
	s_cmp_gt_i32 s12, 14
	s_cbranch_scc0 .LBB71_2554
; %bb.2552:
	s_cmp_eq_u32 s12, 15
	s_cbranch_scc0 .LBB71_2557
; %bb.2553:
	global_load_u16 v1, v[24:25], off
	s_mov_b32 s0, 0
	s_mov_b32 s6, -1
	s_wait_loadcnt 0x0
	v_lshlrev_b32_e32 v1, 16, v1
	s_delay_alu instid0(VALU_DEP_1)
	v_cvt_i32_f32_e32 v10, v1
	s_branch .LBB71_2559
.LBB71_2554:
	s_mov_b32 s1, -1
	s_branch .LBB71_2558
.LBB71_2555:
	s_and_not1_saveexec_b32 s1, s1
	s_cbranch_execz .LBB71_2536
.LBB71_2556:
	v_cmp_ne_u16_e32 vcc_lo, 0, v1
	s_and_not1_b32 s6, s6, exec_lo
	s_and_b32 s7, vcc_lo, exec_lo
	s_delay_alu instid0(SALU_CYCLE_1)
	s_or_b32 s6, s6, s7
	s_or_b32 exec_lo, exec_lo, s1
	v_mov_b32_e32 v10, 0
	s_and_saveexec_b32 s1, s6
	s_cbranch_execnz .LBB71_2537
	s_branch .LBB71_2538
.LBB71_2557:
	s_mov_b32 s0, -1
.LBB71_2558:
                                        ; implicit-def: $vgpr10
.LBB71_2559:
	s_and_b32 vcc_lo, exec_lo, s1
	s_mov_b32 s1, 0
	s_cbranch_vccz .LBB71_2561
; %bb.2560:
	s_cmp_lg_u32 s12, 11
	s_mov_b32 s1, -1
	s_cselect_b32 s0, -1, 0
.LBB71_2561:
	s_delay_alu instid0(SALU_CYCLE_1)
	s_and_b32 vcc_lo, exec_lo, s0
	s_cbranch_vccnz .LBB71_3093
; %bb.2562:
	s_and_not1_b32 vcc_lo, exec_lo, s1
	s_cbranch_vccnz .LBB71_2564
.LBB71_2563:
	global_load_u8 v1, v[24:25], off
	s_mov_b32 s6, -1
	s_wait_loadcnt 0x0
	v_cmp_ne_u16_e32 vcc_lo, 0, v1
	v_cndmask_b32_e64 v10, 0, 1, vcc_lo
.LBB71_2564:
	s_mov_b32 s0, 0
.LBB71_2565:
	s_delay_alu instid0(SALU_CYCLE_1)
	s_and_b32 vcc_lo, exec_lo, s0
	s_cbranch_vccz .LBB71_2614
; %bb.2566:
	s_cmp_lt_i32 s12, 5
	s_cbranch_scc1 .LBB71_2571
; %bb.2567:
	s_cmp_lt_i32 s12, 8
	s_cbranch_scc1 .LBB71_2572
	;; [unrolled: 3-line block ×3, first 2 shown]
; %bb.2569:
	s_cmp_gt_i32 s12, 9
	s_cbranch_scc0 .LBB71_2574
; %bb.2570:
	s_wait_loadcnt 0x0
	global_load_b64 v[10:11], v[24:25], off
	s_mov_b32 s0, 0
	s_wait_loadcnt 0x0
	v_cvt_i32_f64_e32 v10, v[10:11]
	s_branch .LBB71_2575
.LBB71_2571:
	s_mov_b32 s0, -1
                                        ; implicit-def: $vgpr10
	s_branch .LBB71_2593
.LBB71_2572:
	s_mov_b32 s0, -1
                                        ; implicit-def: $vgpr10
	s_branch .LBB71_2581
.LBB71_2573:
	s_mov_b32 s0, -1
                                        ; implicit-def: $vgpr10
	s_branch .LBB71_2578
.LBB71_2574:
	s_mov_b32 s0, -1
                                        ; implicit-def: $vgpr10
.LBB71_2575:
	s_delay_alu instid0(SALU_CYCLE_1)
	s_and_not1_b32 vcc_lo, exec_lo, s0
	s_cbranch_vccnz .LBB71_2577
; %bb.2576:
	global_load_b32 v1, v[24:25], off
	s_wait_loadcnt 0x0
	v_cvt_i32_f32_e32 v10, v1
.LBB71_2577:
	s_mov_b32 s0, 0
.LBB71_2578:
	s_delay_alu instid0(SALU_CYCLE_1)
	s_and_not1_b32 vcc_lo, exec_lo, s0
	s_cbranch_vccnz .LBB71_2580
; %bb.2579:
	global_load_b32 v1, v[24:25], off
	s_wait_loadcnt 0x0
	v_cvt_i16_f16_e32 v10, v1
.LBB71_2580:
	s_mov_b32 s0, 0
.LBB71_2581:
	s_delay_alu instid0(SALU_CYCLE_1)
	s_and_not1_b32 vcc_lo, exec_lo, s0
	s_cbranch_vccnz .LBB71_2592
; %bb.2582:
	s_cmp_lt_i32 s12, 6
	s_cbranch_scc1 .LBB71_2585
; %bb.2583:
	s_cmp_gt_i32 s12, 6
	s_cbranch_scc0 .LBB71_2586
; %bb.2584:
	s_wait_loadcnt 0x0
	global_load_b64 v[10:11], v[24:25], off
	s_mov_b32 s0, 0
	s_wait_loadcnt 0x0
	v_cvt_i32_f64_e32 v10, v[10:11]
	s_branch .LBB71_2587
.LBB71_2585:
	s_mov_b32 s0, -1
                                        ; implicit-def: $vgpr10
	s_branch .LBB71_2590
.LBB71_2586:
	s_mov_b32 s0, -1
                                        ; implicit-def: $vgpr10
.LBB71_2587:
	s_delay_alu instid0(SALU_CYCLE_1)
	s_and_not1_b32 vcc_lo, exec_lo, s0
	s_cbranch_vccnz .LBB71_2589
; %bb.2588:
	global_load_b32 v1, v[24:25], off
	s_wait_loadcnt 0x0
	v_cvt_i32_f32_e32 v10, v1
.LBB71_2589:
	s_mov_b32 s0, 0
.LBB71_2590:
	s_delay_alu instid0(SALU_CYCLE_1)
	s_and_not1_b32 vcc_lo, exec_lo, s0
	s_cbranch_vccnz .LBB71_2592
; %bb.2591:
	global_load_u16 v1, v[24:25], off
	s_wait_loadcnt 0x0
	v_cvt_i16_f16_e32 v10, v1
.LBB71_2592:
	s_mov_b32 s0, 0
.LBB71_2593:
	s_delay_alu instid0(SALU_CYCLE_1)
	s_and_not1_b32 vcc_lo, exec_lo, s0
	s_cbranch_vccnz .LBB71_2613
; %bb.2594:
	s_cmp_lt_i32 s12, 2
	s_cbranch_scc1 .LBB71_2598
; %bb.2595:
	s_cmp_lt_i32 s12, 3
	s_cbranch_scc1 .LBB71_2599
; %bb.2596:
	s_cmp_gt_i32 s12, 3
	s_cbranch_scc0 .LBB71_2600
; %bb.2597:
	s_wait_loadcnt 0x0
	global_load_b64 v[10:11], v[24:25], off
	s_mov_b32 s0, 0
	s_branch .LBB71_2601
.LBB71_2598:
	s_mov_b32 s0, -1
                                        ; implicit-def: $vgpr10
	s_branch .LBB71_2607
.LBB71_2599:
	s_mov_b32 s0, -1
                                        ; implicit-def: $vgpr10
	s_branch .LBB71_2604
.LBB71_2600:
	s_mov_b32 s0, -1
                                        ; implicit-def: $vgpr10
.LBB71_2601:
	s_delay_alu instid0(SALU_CYCLE_1)
	s_and_not1_b32 vcc_lo, exec_lo, s0
	s_cbranch_vccnz .LBB71_2603
; %bb.2602:
	s_wait_loadcnt 0x0
	global_load_b32 v10, v[24:25], off
.LBB71_2603:
	s_mov_b32 s0, 0
.LBB71_2604:
	s_delay_alu instid0(SALU_CYCLE_1)
	s_and_not1_b32 vcc_lo, exec_lo, s0
	s_cbranch_vccnz .LBB71_2606
; %bb.2605:
	s_wait_loadcnt 0x0
	global_load_u16 v10, v[24:25], off
.LBB71_2606:
	s_mov_b32 s0, 0
.LBB71_2607:
	s_delay_alu instid0(SALU_CYCLE_1)
	s_and_not1_b32 vcc_lo, exec_lo, s0
	s_cbranch_vccnz .LBB71_2613
; %bb.2608:
	s_cmp_gt_i32 s12, 0
	s_mov_b32 s0, 0
	s_cbranch_scc0 .LBB71_2610
; %bb.2609:
	s_wait_loadcnt 0x0
	global_load_i8 v10, v[24:25], off
	s_branch .LBB71_2611
.LBB71_2610:
	s_mov_b32 s0, -1
                                        ; implicit-def: $vgpr10
.LBB71_2611:
	s_delay_alu instid0(SALU_CYCLE_1)
	s_and_not1_b32 vcc_lo, exec_lo, s0
	s_cbranch_vccnz .LBB71_2613
; %bb.2612:
	s_wait_loadcnt 0x0
	global_load_u8 v10, v[24:25], off
.LBB71_2613:
	s_mov_b32 s6, -1
.LBB71_2614:
	s_delay_alu instid0(SALU_CYCLE_1)
	s_and_not1_b32 vcc_lo, exec_lo, s6
	s_cbranch_vccnz .LBB71_3047
; %bb.2615:
	s_load_b64 s[0:1], s[2:3], 0x1a0
	v_mov_b32_e32 v7, 0
	s_wait_loadcnt 0x0
	v_cmp_ne_u16_e32 vcc_lo, v8, v14
	s_mov_b32 s11, 0
	s_delay_alu instid0(VALU_DEP_2)
	v_add_nc_u64_e32 v[6:7], s[4:5], v[6:7]
	s_wait_kmcnt 0x0
	s_cmp_eq_u32 s0, 0
	s_mov_b32 s0, -1
	s_cselect_b32 s2, -1, 0
	s_and_b32 s1, s1, 0xff
	s_xor_b32 s3, s2, vcc_lo
	s_cmp_lt_i32 s1, 11
	s_cbranch_scc1 .LBB71_2694
; %bb.2616:
	s_and_b32 s6, 0xffff, s1
	s_mov_b32 s12, -1
	s_mov_b32 s7, 0
	s_cmp_gt_i32 s6, 25
	s_mov_b32 s0, 0
	s_cbranch_scc0 .LBB71_2649
; %bb.2617:
	s_cmp_gt_i32 s6, 28
	s_cbranch_scc0 .LBB71_2632
; %bb.2618:
	s_cmp_gt_i32 s6, 43
	;; [unrolled: 3-line block ×3, first 2 shown]
	s_cbranch_scc0 .LBB71_2622
; %bb.2620:
	s_mov_b32 s0, -1
	s_mov_b32 s12, 0
	s_cmp_eq_u32 s6, 46
	s_cbranch_scc0 .LBB71_2622
; %bb.2621:
	v_cndmask_b32_e64 v1, 0, 1.0, s3
	s_mov_b32 s0, 0
	s_mov_b32 s11, -1
	s_delay_alu instid0(VALU_DEP_1) | instskip(NEXT) | instid1(VALU_DEP_1)
	v_bfe_u32 v3, v1, 16, 1
	v_add3_u32 v1, v1, v3, 0x7fff
	s_delay_alu instid0(VALU_DEP_1)
	v_lshrrev_b32_e32 v1, 16, v1
	global_store_b32 v[6:7], v1, off
.LBB71_2622:
	s_and_b32 vcc_lo, exec_lo, s12
	s_cbranch_vccz .LBB71_2627
; %bb.2623:
	s_cmp_eq_u32 s6, 44
	s_mov_b32 s0, -1
	s_cbranch_scc0 .LBB71_2627
; %bb.2624:
	v_cndmask_b32_e64 v5, 0, 1.0, s3
	v_mov_b32_e32 v3, 0xff
	s_mov_b32 s11, exec_lo
	s_wait_xcnt 0x0
	s_delay_alu instid0(VALU_DEP_2) | instskip(NEXT) | instid1(VALU_DEP_1)
	v_lshrrev_b32_e32 v1, 23, v5
	v_cmpx_ne_u32_e32 0xff, v1
; %bb.2625:
	v_and_b32_e32 v3, 0x400000, v5
	v_and_or_b32 v5, 0x3fffff, v5, v1
	s_delay_alu instid0(VALU_DEP_2) | instskip(NEXT) | instid1(VALU_DEP_2)
	v_cmp_ne_u32_e32 vcc_lo, 0, v3
	v_cmp_ne_u32_e64 s0, 0, v5
	s_and_b32 s0, vcc_lo, s0
	s_delay_alu instid0(SALU_CYCLE_1) | instskip(NEXT) | instid1(VALU_DEP_1)
	v_cndmask_b32_e64 v3, 0, 1, s0
	v_add_nc_u32_e32 v3, v1, v3
; %bb.2626:
	s_or_b32 exec_lo, exec_lo, s11
	s_mov_b32 s0, 0
	s_mov_b32 s11, -1
	global_store_b8 v[6:7], v3, off
.LBB71_2627:
	s_mov_b32 s12, 0
.LBB71_2628:
	s_delay_alu instid0(SALU_CYCLE_1)
	s_and_b32 vcc_lo, exec_lo, s12
	s_cbranch_vccz .LBB71_2631
; %bb.2629:
	s_cmp_eq_u32 s6, 29
	s_mov_b32 s0, -1
	s_cbranch_scc0 .LBB71_2631
; %bb.2630:
	s_mov_b32 s0, 0
	v_cndmask_b32_e64 v8, 0, 1, s3
	v_mov_b32_e32 v9, s0
	s_mov_b32 s11, -1
	global_store_b64 v[6:7], v[8:9], off
.LBB71_2631:
	s_mov_b32 s12, 0
.LBB71_2632:
	s_delay_alu instid0(SALU_CYCLE_1)
	s_and_b32 vcc_lo, exec_lo, s12
	s_cbranch_vccz .LBB71_2648
; %bb.2633:
	s_cmp_lt_i32 s6, 27
	s_mov_b32 s11, -1
	s_cbranch_scc1 .LBB71_2639
; %bb.2634:
	s_cmp_gt_i32 s6, 27
	s_cbranch_scc0 .LBB71_2636
; %bb.2635:
	s_wait_xcnt 0x0
	v_cndmask_b32_e64 v1, 0, 1, s3
	s_mov_b32 s11, 0
	global_store_b32 v[6:7], v1, off
.LBB71_2636:
	s_and_not1_b32 vcc_lo, exec_lo, s11
	s_cbranch_vccnz .LBB71_2638
; %bb.2637:
	s_wait_xcnt 0x0
	v_cndmask_b32_e64 v1, 0, 1, s3
	global_store_b16 v[6:7], v1, off
.LBB71_2638:
	s_mov_b32 s11, 0
.LBB71_2639:
	s_delay_alu instid0(SALU_CYCLE_1)
	s_and_not1_b32 vcc_lo, exec_lo, s11
	s_cbranch_vccnz .LBB71_2647
; %bb.2640:
	s_wait_xcnt 0x0
	v_cndmask_b32_e64 v3, 0, 1.0, s3
	v_mov_b32_e32 v5, 0x80
	s_mov_b32 s11, exec_lo
	s_delay_alu instid0(VALU_DEP_2)
	v_cmpx_gt_u32_e32 0x43800000, v3
	s_cbranch_execz .LBB71_2646
; %bb.2641:
	s_mov_b32 s12, 0
	s_mov_b32 s13, exec_lo
                                        ; implicit-def: $vgpr1
	v_cmpx_lt_u32_e32 0x3bffffff, v3
	s_xor_b32 s13, exec_lo, s13
	s_cbranch_execz .LBB71_3094
; %bb.2642:
	v_bfe_u32 v1, v3, 20, 1
	s_mov_b32 s12, exec_lo
	s_delay_alu instid0(VALU_DEP_1) | instskip(NEXT) | instid1(VALU_DEP_1)
	v_add3_u32 v1, v3, v1, 0x487ffff
                                        ; implicit-def: $vgpr3
	v_lshrrev_b32_e32 v1, 20, v1
	s_and_not1_saveexec_b32 s13, s13
	s_cbranch_execnz .LBB71_3095
.LBB71_2643:
	s_or_b32 exec_lo, exec_lo, s13
	v_mov_b32_e32 v5, 0
	s_and_saveexec_b32 s13, s12
.LBB71_2644:
	v_mov_b32_e32 v5, v1
.LBB71_2645:
	s_or_b32 exec_lo, exec_lo, s13
.LBB71_2646:
	s_delay_alu instid0(SALU_CYCLE_1)
	s_or_b32 exec_lo, exec_lo, s11
	global_store_b8 v[6:7], v5, off
.LBB71_2647:
	s_mov_b32 s11, -1
.LBB71_2648:
	s_mov_b32 s12, 0
.LBB71_2649:
	s_delay_alu instid0(SALU_CYCLE_1)
	s_and_b32 vcc_lo, exec_lo, s12
	s_cbranch_vccz .LBB71_2689
; %bb.2650:
	s_cmp_gt_i32 s6, 22
	s_mov_b32 s7, -1
	s_cbranch_scc0 .LBB71_2682
; %bb.2651:
	s_cmp_lt_i32 s6, 24
	s_cbranch_scc1 .LBB71_2671
; %bb.2652:
	s_cmp_gt_i32 s6, 24
	s_cbranch_scc0 .LBB71_2660
; %bb.2653:
	s_wait_xcnt 0x0
	v_cndmask_b32_e64 v3, 0, 1.0, s3
	v_mov_b32_e32 v5, 0x80
	s_mov_b32 s7, exec_lo
	s_delay_alu instid0(VALU_DEP_2)
	v_cmpx_gt_u32_e32 0x47800000, v3
	s_cbranch_execz .LBB71_2659
; %bb.2654:
	s_mov_b32 s11, 0
	s_mov_b32 s12, exec_lo
                                        ; implicit-def: $vgpr1
	v_cmpx_lt_u32_e32 0x37ffffff, v3
	s_xor_b32 s12, exec_lo, s12
	s_cbranch_execz .LBB71_3097
; %bb.2655:
	v_bfe_u32 v1, v3, 21, 1
	s_mov_b32 s11, exec_lo
	s_delay_alu instid0(VALU_DEP_1) | instskip(NEXT) | instid1(VALU_DEP_1)
	v_add3_u32 v1, v3, v1, 0x88fffff
                                        ; implicit-def: $vgpr3
	v_lshrrev_b32_e32 v1, 21, v1
	s_and_not1_saveexec_b32 s12, s12
	s_cbranch_execnz .LBB71_3098
.LBB71_2656:
	s_or_b32 exec_lo, exec_lo, s12
	v_mov_b32_e32 v5, 0
	s_and_saveexec_b32 s12, s11
.LBB71_2657:
	v_mov_b32_e32 v5, v1
.LBB71_2658:
	s_or_b32 exec_lo, exec_lo, s12
.LBB71_2659:
	s_delay_alu instid0(SALU_CYCLE_1)
	s_or_b32 exec_lo, exec_lo, s7
	s_mov_b32 s7, 0
	global_store_b8 v[6:7], v5, off
.LBB71_2660:
	s_and_b32 vcc_lo, exec_lo, s7
	s_cbranch_vccz .LBB71_2670
; %bb.2661:
	s_wait_xcnt 0x0
	v_cndmask_b32_e64 v3, 0, 1.0, s3
	s_mov_b32 s7, exec_lo
                                        ; implicit-def: $vgpr1
	s_delay_alu instid0(VALU_DEP_1)
	v_cmpx_gt_u32_e32 0x43f00000, v3
	s_xor_b32 s7, exec_lo, s7
	s_cbranch_execz .LBB71_2667
; %bb.2662:
	s_mov_b32 s11, exec_lo
                                        ; implicit-def: $vgpr1
	v_cmpx_lt_u32_e32 0x3c7fffff, v3
	s_xor_b32 s11, exec_lo, s11
; %bb.2663:
	v_bfe_u32 v1, v3, 20, 1
	s_delay_alu instid0(VALU_DEP_1) | instskip(NEXT) | instid1(VALU_DEP_1)
	v_add3_u32 v1, v3, v1, 0x407ffff
	v_and_b32_e32 v3, 0xff00000, v1
	v_lshrrev_b32_e32 v1, 20, v1
	s_delay_alu instid0(VALU_DEP_2) | instskip(NEXT) | instid1(VALU_DEP_2)
	v_cmp_ne_u32_e32 vcc_lo, 0x7f00000, v3
                                        ; implicit-def: $vgpr3
	v_cndmask_b32_e32 v1, 0x7e, v1, vcc_lo
; %bb.2664:
	s_and_not1_saveexec_b32 s11, s11
; %bb.2665:
	v_add_f32_e32 v1, 0x46800000, v3
; %bb.2666:
	s_or_b32 exec_lo, exec_lo, s11
                                        ; implicit-def: $vgpr3
.LBB71_2667:
	s_and_not1_saveexec_b32 s7, s7
; %bb.2668:
	v_mov_b32_e32 v1, 0x7f
	v_cmp_lt_u32_e32 vcc_lo, 0x7f800000, v3
	s_delay_alu instid0(VALU_DEP_2)
	v_cndmask_b32_e32 v1, 0x7e, v1, vcc_lo
; %bb.2669:
	s_or_b32 exec_lo, exec_lo, s7
	global_store_b8 v[6:7], v1, off
.LBB71_2670:
	s_mov_b32 s7, 0
.LBB71_2671:
	s_delay_alu instid0(SALU_CYCLE_1)
	s_and_not1_b32 vcc_lo, exec_lo, s7
	s_cbranch_vccnz .LBB71_2681
; %bb.2672:
	s_wait_xcnt 0x0
	v_cndmask_b32_e64 v3, 0, 1.0, s3
	s_mov_b32 s7, exec_lo
                                        ; implicit-def: $vgpr1
	s_delay_alu instid0(VALU_DEP_1)
	v_cmpx_gt_u32_e32 0x47800000, v3
	s_xor_b32 s7, exec_lo, s7
	s_cbranch_execz .LBB71_2678
; %bb.2673:
	s_mov_b32 s11, exec_lo
                                        ; implicit-def: $vgpr1
	v_cmpx_lt_u32_e32 0x387fffff, v3
	s_xor_b32 s11, exec_lo, s11
; %bb.2674:
	v_bfe_u32 v1, v3, 21, 1
	s_delay_alu instid0(VALU_DEP_1) | instskip(NEXT) | instid1(VALU_DEP_1)
	v_add3_u32 v1, v3, v1, 0x80fffff
                                        ; implicit-def: $vgpr3
	v_lshrrev_b32_e32 v1, 21, v1
; %bb.2675:
	s_and_not1_saveexec_b32 s11, s11
; %bb.2676:
	v_add_f32_e32 v1, 0x43000000, v3
; %bb.2677:
	s_or_b32 exec_lo, exec_lo, s11
                                        ; implicit-def: $vgpr3
.LBB71_2678:
	s_and_not1_saveexec_b32 s7, s7
; %bb.2679:
	v_mov_b32_e32 v1, 0x7f
	v_cmp_lt_u32_e32 vcc_lo, 0x7f800000, v3
	s_delay_alu instid0(VALU_DEP_2)
	v_cndmask_b32_e32 v1, 0x7c, v1, vcc_lo
; %bb.2680:
	s_or_b32 exec_lo, exec_lo, s7
	global_store_b8 v[6:7], v1, off
.LBB71_2681:
	s_mov_b32 s7, 0
	s_mov_b32 s11, -1
.LBB71_2682:
	s_and_not1_b32 vcc_lo, exec_lo, s7
	s_mov_b32 s7, 0
	s_cbranch_vccnz .LBB71_2689
; %bb.2683:
	s_cmp_gt_i32 s6, 14
	s_mov_b32 s7, -1
	s_cbranch_scc0 .LBB71_2687
; %bb.2684:
	s_cmp_eq_u32 s6, 15
	s_mov_b32 s0, -1
	s_cbranch_scc0 .LBB71_2686
; %bb.2685:
	s_wait_xcnt 0x0
	v_cndmask_b32_e64 v1, 0, 1.0, s3
	s_mov_b32 s0, 0
	s_mov_b32 s11, -1
	s_delay_alu instid0(VALU_DEP_1) | instskip(NEXT) | instid1(VALU_DEP_1)
	v_bfe_u32 v3, v1, 16, 1
	v_add3_u32 v1, v1, v3, 0x7fff
	global_store_d16_hi_b16 v[6:7], v1, off
.LBB71_2686:
	s_mov_b32 s7, 0
.LBB71_2687:
	s_delay_alu instid0(SALU_CYCLE_1)
	s_and_b32 vcc_lo, exec_lo, s7
	s_mov_b32 s7, 0
	s_cbranch_vccz .LBB71_2689
; %bb.2688:
	s_cmp_lg_u32 s6, 11
	s_mov_b32 s7, -1
	s_cselect_b32 s0, -1, 0
.LBB71_2689:
	s_delay_alu instid0(SALU_CYCLE_1)
	s_and_b32 vcc_lo, exec_lo, s0
	s_cbranch_vccnz .LBB71_3096
; %bb.2690:
	s_and_not1_b32 vcc_lo, exec_lo, s7
	s_cbranch_vccnz .LBB71_2692
.LBB71_2691:
	s_wait_xcnt 0x0
	v_cndmask_b32_e64 v1, 0, 1, s3
	s_mov_b32 s11, -1
	global_store_b8 v[6:7], v1, off
.LBB71_2692:
.LBB71_2693:
	s_and_not1_b32 vcc_lo, exec_lo, s11
	s_cbranch_vccnz .LBB71_3047
	s_branch .LBB71_2733
.LBB71_2694:
	s_and_b32 vcc_lo, exec_lo, s0
	s_cbranch_vccz .LBB71_2693
; %bb.2695:
	s_and_b32 s0, 0xffff, s1
	s_mov_b32 s6, -1
	s_cmp_lt_i32 s0, 5
	s_cbranch_scc1 .LBB71_2716
; %bb.2696:
	s_cmp_lt_i32 s0, 8
	s_cbranch_scc1 .LBB71_2706
; %bb.2697:
	;; [unrolled: 3-line block ×3, first 2 shown]
	s_cmp_gt_i32 s0, 9
	s_cbranch_scc0 .LBB71_2700
; %bb.2699:
	s_wait_xcnt 0x0
	v_cndmask_b32_e64 v1, 0, 1, s3
	v_mov_b32_e32 v26, 0
	s_mov_b32 s6, 0
	s_delay_alu instid0(VALU_DEP_2) | instskip(NEXT) | instid1(VALU_DEP_2)
	v_cvt_f64_u32_e32 v[24:25], v1
	v_mov_b32_e32 v27, v26
	global_store_b128 v[6:7], v[24:27], off
.LBB71_2700:
	s_and_not1_b32 vcc_lo, exec_lo, s6
	s_cbranch_vccnz .LBB71_2702
; %bb.2701:
	s_wait_xcnt 0x0
	v_cndmask_b32_e64 v8, 0, 1.0, s3
	v_mov_b32_e32 v9, 0
	global_store_b64 v[6:7], v[8:9], off
.LBB71_2702:
	s_mov_b32 s6, 0
.LBB71_2703:
	s_delay_alu instid0(SALU_CYCLE_1)
	s_and_not1_b32 vcc_lo, exec_lo, s6
	s_cbranch_vccnz .LBB71_2705
; %bb.2704:
	s_wait_xcnt 0x0
	v_cndmask_b32_e64 v1, 0, 1.0, s3
	s_delay_alu instid0(VALU_DEP_1) | instskip(NEXT) | instid1(VALU_DEP_1)
	v_cvt_f16_f32_e32 v1, v1
	v_and_b32_e32 v1, 0xffff, v1
	global_store_b32 v[6:7], v1, off
.LBB71_2705:
	s_mov_b32 s6, 0
.LBB71_2706:
	s_delay_alu instid0(SALU_CYCLE_1)
	s_and_not1_b32 vcc_lo, exec_lo, s6
	s_cbranch_vccnz .LBB71_2715
; %bb.2707:
	s_cmp_lt_i32 s0, 6
	s_mov_b32 s6, -1
	s_cbranch_scc1 .LBB71_2713
; %bb.2708:
	s_cmp_gt_i32 s0, 6
	s_cbranch_scc0 .LBB71_2710
; %bb.2709:
	s_wait_xcnt 0x0
	v_cndmask_b32_e64 v1, 0, 1, s3
	s_mov_b32 s6, 0
	s_delay_alu instid0(VALU_DEP_1)
	v_cvt_f64_u32_e32 v[8:9], v1
	global_store_b64 v[6:7], v[8:9], off
.LBB71_2710:
	s_and_not1_b32 vcc_lo, exec_lo, s6
	s_cbranch_vccnz .LBB71_2712
; %bb.2711:
	s_wait_xcnt 0x0
	v_cndmask_b32_e64 v1, 0, 1.0, s3
	global_store_b32 v[6:7], v1, off
.LBB71_2712:
	s_mov_b32 s6, 0
.LBB71_2713:
	s_delay_alu instid0(SALU_CYCLE_1)
	s_and_not1_b32 vcc_lo, exec_lo, s6
	s_cbranch_vccnz .LBB71_2715
; %bb.2714:
	s_wait_xcnt 0x0
	v_cndmask_b32_e64 v1, 0, 1.0, s3
	s_delay_alu instid0(VALU_DEP_1)
	v_cvt_f16_f32_e32 v1, v1
	global_store_b16 v[6:7], v1, off
.LBB71_2715:
	s_mov_b32 s6, 0
.LBB71_2716:
	s_delay_alu instid0(SALU_CYCLE_1)
	s_and_not1_b32 vcc_lo, exec_lo, s6
	s_cbranch_vccnz .LBB71_2732
; %bb.2717:
	s_cmp_lt_i32 s0, 2
	s_mov_b32 s6, -1
	s_cbranch_scc1 .LBB71_2727
; %bb.2718:
	s_cmp_lt_i32 s0, 3
	s_cbranch_scc1 .LBB71_2724
; %bb.2719:
	s_cmp_gt_i32 s0, 3
	s_cbranch_scc0 .LBB71_2721
; %bb.2720:
	s_mov_b32 s6, 0
	s_wait_xcnt 0x0
	v_cndmask_b32_e64 v8, 0, 1, s3
	v_mov_b32_e32 v9, s6
	global_store_b64 v[6:7], v[8:9], off
.LBB71_2721:
	s_and_not1_b32 vcc_lo, exec_lo, s6
	s_cbranch_vccnz .LBB71_2723
; %bb.2722:
	s_wait_xcnt 0x0
	v_cndmask_b32_e64 v1, 0, 1, s3
	global_store_b32 v[6:7], v1, off
.LBB71_2723:
	s_mov_b32 s6, 0
.LBB71_2724:
	s_delay_alu instid0(SALU_CYCLE_1)
	s_and_not1_b32 vcc_lo, exec_lo, s6
	s_cbranch_vccnz .LBB71_2726
; %bb.2725:
	s_wait_xcnt 0x0
	v_cndmask_b32_e64 v1, 0, 1, s3
	global_store_b16 v[6:7], v1, off
.LBB71_2726:
	s_mov_b32 s6, 0
.LBB71_2727:
	s_delay_alu instid0(SALU_CYCLE_1)
	s_and_not1_b32 vcc_lo, exec_lo, s6
	s_cbranch_vccnz .LBB71_2732
; %bb.2728:
	s_wait_xcnt 0x0
	v_cndmask_b32_e64 v1, 0, 1, s3
	s_cmp_gt_i32 s0, 0
	s_mov_b32 s0, -1
	s_cbranch_scc0 .LBB71_2730
; %bb.2729:
	s_mov_b32 s0, 0
	global_store_b8 v[6:7], v1, off
.LBB71_2730:
	s_and_not1_b32 vcc_lo, exec_lo, s0
	s_cbranch_vccnz .LBB71_2732
; %bb.2731:
	global_store_b8 v[6:7], v1, off
.LBB71_2732:
.LBB71_2733:
	s_wait_xcnt 0x0
	v_mov_b32_e32 v5, 0
	v_cmp_ne_u16_e32 vcc_lo, v12, v20
	s_and_b32 s3, 0xffff, s1
	s_delay_alu instid0(VALU_DEP_2)
	v_add_nc_u64_e32 v[4:5], s[4:5], v[4:5]
	s_xor_b32 s6, s2, vcc_lo
	s_cmp_lt_i32 s3, 11
	s_cbranch_scc1 .LBB71_2811
; %bb.2734:
	s_mov_b32 s12, -1
	s_mov_b32 s7, 0
	s_cmp_gt_i32 s3, 25
	s_mov_b32 s11, 0
	s_mov_b32 s0, 0
	s_cbranch_scc0 .LBB71_2767
; %bb.2735:
	s_cmp_gt_i32 s3, 28
	s_cbranch_scc0 .LBB71_2750
; %bb.2736:
	s_cmp_gt_i32 s3, 43
	s_cbranch_scc0 .LBB71_2746
; %bb.2737:
	s_cmp_gt_i32 s3, 45
	s_cbranch_scc0 .LBB71_2740
; %bb.2738:
	s_mov_b32 s0, -1
	s_mov_b32 s12, 0
	s_cmp_eq_u32 s3, 46
	s_cbranch_scc0 .LBB71_2740
; %bb.2739:
	v_cndmask_b32_e64 v1, 0, 1.0, s6
	s_mov_b32 s0, 0
	s_mov_b32 s11, -1
	s_delay_alu instid0(VALU_DEP_1) | instskip(NEXT) | instid1(VALU_DEP_1)
	v_bfe_u32 v3, v1, 16, 1
	v_add3_u32 v1, v1, v3, 0x7fff
	s_delay_alu instid0(VALU_DEP_1)
	v_lshrrev_b32_e32 v1, 16, v1
	global_store_b32 v[4:5], v1, off
.LBB71_2740:
	s_and_b32 vcc_lo, exec_lo, s12
	s_cbranch_vccz .LBB71_2745
; %bb.2741:
	s_cmp_eq_u32 s3, 44
	s_mov_b32 s0, -1
	s_cbranch_scc0 .LBB71_2745
; %bb.2742:
	v_cndmask_b32_e64 v6, 0, 1.0, s6
	v_mov_b32_e32 v3, 0xff
	s_mov_b32 s11, exec_lo
	s_wait_xcnt 0x0
	s_delay_alu instid0(VALU_DEP_2) | instskip(NEXT) | instid1(VALU_DEP_1)
	v_lshrrev_b32_e32 v1, 23, v6
	v_cmpx_ne_u32_e32 0xff, v1
; %bb.2743:
	v_and_b32_e32 v3, 0x400000, v6
	v_and_or_b32 v6, 0x3fffff, v6, v1
	s_delay_alu instid0(VALU_DEP_2) | instskip(NEXT) | instid1(VALU_DEP_2)
	v_cmp_ne_u32_e32 vcc_lo, 0, v3
	v_cmp_ne_u32_e64 s0, 0, v6
	s_and_b32 s0, vcc_lo, s0
	s_delay_alu instid0(SALU_CYCLE_1) | instskip(NEXT) | instid1(VALU_DEP_1)
	v_cndmask_b32_e64 v3, 0, 1, s0
	v_add_nc_u32_e32 v3, v1, v3
; %bb.2744:
	s_or_b32 exec_lo, exec_lo, s11
	s_mov_b32 s0, 0
	s_mov_b32 s11, -1
	global_store_b8 v[4:5], v3, off
.LBB71_2745:
	s_mov_b32 s12, 0
.LBB71_2746:
	s_delay_alu instid0(SALU_CYCLE_1)
	s_and_b32 vcc_lo, exec_lo, s12
	s_cbranch_vccz .LBB71_2749
; %bb.2747:
	s_cmp_eq_u32 s3, 29
	s_mov_b32 s0, -1
	s_cbranch_scc0 .LBB71_2749
; %bb.2748:
	s_mov_b32 s0, 0
	v_cndmask_b32_e64 v6, 0, 1, s6
	v_mov_b32_e32 v7, s0
	s_mov_b32 s11, -1
	global_store_b64 v[4:5], v[6:7], off
.LBB71_2749:
	s_mov_b32 s12, 0
.LBB71_2750:
	s_delay_alu instid0(SALU_CYCLE_1)
	s_and_b32 vcc_lo, exec_lo, s12
	s_cbranch_vccz .LBB71_2766
; %bb.2751:
	s_cmp_lt_i32 s3, 27
	s_mov_b32 s11, -1
	s_cbranch_scc1 .LBB71_2757
; %bb.2752:
	s_cmp_gt_i32 s3, 27
	s_cbranch_scc0 .LBB71_2754
; %bb.2753:
	s_wait_xcnt 0x0
	v_cndmask_b32_e64 v1, 0, 1, s6
	s_mov_b32 s11, 0
	global_store_b32 v[4:5], v1, off
.LBB71_2754:
	s_and_not1_b32 vcc_lo, exec_lo, s11
	s_cbranch_vccnz .LBB71_2756
; %bb.2755:
	s_wait_xcnt 0x0
	v_cndmask_b32_e64 v1, 0, 1, s6
	global_store_b16 v[4:5], v1, off
.LBB71_2756:
	s_mov_b32 s11, 0
.LBB71_2757:
	s_delay_alu instid0(SALU_CYCLE_1)
	s_and_not1_b32 vcc_lo, exec_lo, s11
	s_cbranch_vccnz .LBB71_2765
; %bb.2758:
	s_wait_xcnt 0x0
	v_cndmask_b32_e64 v3, 0, 1.0, s6
	v_mov_b32_e32 v6, 0x80
	s_mov_b32 s11, exec_lo
	s_delay_alu instid0(VALU_DEP_2)
	v_cmpx_gt_u32_e32 0x43800000, v3
	s_cbranch_execz .LBB71_2764
; %bb.2759:
	s_mov_b32 s12, 0
	s_mov_b32 s13, exec_lo
                                        ; implicit-def: $vgpr1
	v_cmpx_lt_u32_e32 0x3bffffff, v3
	s_xor_b32 s13, exec_lo, s13
	s_cbranch_execz .LBB71_3099
; %bb.2760:
	v_bfe_u32 v1, v3, 20, 1
	s_mov_b32 s12, exec_lo
	s_delay_alu instid0(VALU_DEP_1) | instskip(NEXT) | instid1(VALU_DEP_1)
	v_add3_u32 v1, v3, v1, 0x487ffff
                                        ; implicit-def: $vgpr3
	v_lshrrev_b32_e32 v1, 20, v1
	s_and_not1_saveexec_b32 s13, s13
	s_cbranch_execnz .LBB71_3100
.LBB71_2761:
	s_or_b32 exec_lo, exec_lo, s13
	v_mov_b32_e32 v6, 0
	s_and_saveexec_b32 s13, s12
.LBB71_2762:
	v_mov_b32_e32 v6, v1
.LBB71_2763:
	s_or_b32 exec_lo, exec_lo, s13
.LBB71_2764:
	s_delay_alu instid0(SALU_CYCLE_1)
	s_or_b32 exec_lo, exec_lo, s11
	global_store_b8 v[4:5], v6, off
.LBB71_2765:
	s_mov_b32 s11, -1
.LBB71_2766:
	s_mov_b32 s12, 0
.LBB71_2767:
	s_delay_alu instid0(SALU_CYCLE_1)
	s_and_b32 vcc_lo, exec_lo, s12
	s_cbranch_vccz .LBB71_2807
; %bb.2768:
	s_cmp_gt_i32 s3, 22
	s_mov_b32 s7, -1
	s_cbranch_scc0 .LBB71_2800
; %bb.2769:
	s_cmp_lt_i32 s3, 24
	s_cbranch_scc1 .LBB71_2789
; %bb.2770:
	s_cmp_gt_i32 s3, 24
	s_cbranch_scc0 .LBB71_2778
; %bb.2771:
	s_wait_xcnt 0x0
	v_cndmask_b32_e64 v3, 0, 1.0, s6
	v_mov_b32_e32 v6, 0x80
	s_mov_b32 s7, exec_lo
	s_delay_alu instid0(VALU_DEP_2)
	v_cmpx_gt_u32_e32 0x47800000, v3
	s_cbranch_execz .LBB71_2777
; %bb.2772:
	s_mov_b32 s11, 0
	s_mov_b32 s12, exec_lo
                                        ; implicit-def: $vgpr1
	v_cmpx_lt_u32_e32 0x37ffffff, v3
	s_xor_b32 s12, exec_lo, s12
	s_cbranch_execz .LBB71_3102
; %bb.2773:
	v_bfe_u32 v1, v3, 21, 1
	s_mov_b32 s11, exec_lo
	s_delay_alu instid0(VALU_DEP_1) | instskip(NEXT) | instid1(VALU_DEP_1)
	v_add3_u32 v1, v3, v1, 0x88fffff
                                        ; implicit-def: $vgpr3
	v_lshrrev_b32_e32 v1, 21, v1
	s_and_not1_saveexec_b32 s12, s12
	s_cbranch_execnz .LBB71_3103
.LBB71_2774:
	s_or_b32 exec_lo, exec_lo, s12
	v_mov_b32_e32 v6, 0
	s_and_saveexec_b32 s12, s11
.LBB71_2775:
	v_mov_b32_e32 v6, v1
.LBB71_2776:
	s_or_b32 exec_lo, exec_lo, s12
.LBB71_2777:
	s_delay_alu instid0(SALU_CYCLE_1)
	s_or_b32 exec_lo, exec_lo, s7
	s_mov_b32 s7, 0
	global_store_b8 v[4:5], v6, off
.LBB71_2778:
	s_and_b32 vcc_lo, exec_lo, s7
	s_cbranch_vccz .LBB71_2788
; %bb.2779:
	s_wait_xcnt 0x0
	v_cndmask_b32_e64 v3, 0, 1.0, s6
	s_mov_b32 s7, exec_lo
                                        ; implicit-def: $vgpr1
	s_delay_alu instid0(VALU_DEP_1)
	v_cmpx_gt_u32_e32 0x43f00000, v3
	s_xor_b32 s7, exec_lo, s7
	s_cbranch_execz .LBB71_2785
; %bb.2780:
	s_mov_b32 s11, exec_lo
                                        ; implicit-def: $vgpr1
	v_cmpx_lt_u32_e32 0x3c7fffff, v3
	s_xor_b32 s11, exec_lo, s11
; %bb.2781:
	v_bfe_u32 v1, v3, 20, 1
	s_delay_alu instid0(VALU_DEP_1) | instskip(NEXT) | instid1(VALU_DEP_1)
	v_add3_u32 v1, v3, v1, 0x407ffff
	v_and_b32_e32 v3, 0xff00000, v1
	v_lshrrev_b32_e32 v1, 20, v1
	s_delay_alu instid0(VALU_DEP_2) | instskip(NEXT) | instid1(VALU_DEP_2)
	v_cmp_ne_u32_e32 vcc_lo, 0x7f00000, v3
                                        ; implicit-def: $vgpr3
	v_cndmask_b32_e32 v1, 0x7e, v1, vcc_lo
; %bb.2782:
	s_and_not1_saveexec_b32 s11, s11
; %bb.2783:
	v_add_f32_e32 v1, 0x46800000, v3
; %bb.2784:
	s_or_b32 exec_lo, exec_lo, s11
                                        ; implicit-def: $vgpr3
.LBB71_2785:
	s_and_not1_saveexec_b32 s7, s7
; %bb.2786:
	v_mov_b32_e32 v1, 0x7f
	v_cmp_lt_u32_e32 vcc_lo, 0x7f800000, v3
	s_delay_alu instid0(VALU_DEP_2)
	v_cndmask_b32_e32 v1, 0x7e, v1, vcc_lo
; %bb.2787:
	s_or_b32 exec_lo, exec_lo, s7
	global_store_b8 v[4:5], v1, off
.LBB71_2788:
	s_mov_b32 s7, 0
.LBB71_2789:
	s_delay_alu instid0(SALU_CYCLE_1)
	s_and_not1_b32 vcc_lo, exec_lo, s7
	s_cbranch_vccnz .LBB71_2799
; %bb.2790:
	s_wait_xcnt 0x0
	v_cndmask_b32_e64 v3, 0, 1.0, s6
	s_mov_b32 s7, exec_lo
                                        ; implicit-def: $vgpr1
	s_delay_alu instid0(VALU_DEP_1)
	v_cmpx_gt_u32_e32 0x47800000, v3
	s_xor_b32 s7, exec_lo, s7
	s_cbranch_execz .LBB71_2796
; %bb.2791:
	s_mov_b32 s11, exec_lo
                                        ; implicit-def: $vgpr1
	v_cmpx_lt_u32_e32 0x387fffff, v3
	s_xor_b32 s11, exec_lo, s11
; %bb.2792:
	v_bfe_u32 v1, v3, 21, 1
	s_delay_alu instid0(VALU_DEP_1) | instskip(NEXT) | instid1(VALU_DEP_1)
	v_add3_u32 v1, v3, v1, 0x80fffff
                                        ; implicit-def: $vgpr3
	v_lshrrev_b32_e32 v1, 21, v1
; %bb.2793:
	s_and_not1_saveexec_b32 s11, s11
; %bb.2794:
	v_add_f32_e32 v1, 0x43000000, v3
; %bb.2795:
	s_or_b32 exec_lo, exec_lo, s11
                                        ; implicit-def: $vgpr3
.LBB71_2796:
	s_and_not1_saveexec_b32 s7, s7
; %bb.2797:
	v_mov_b32_e32 v1, 0x7f
	v_cmp_lt_u32_e32 vcc_lo, 0x7f800000, v3
	s_delay_alu instid0(VALU_DEP_2)
	v_cndmask_b32_e32 v1, 0x7c, v1, vcc_lo
; %bb.2798:
	s_or_b32 exec_lo, exec_lo, s7
	global_store_b8 v[4:5], v1, off
.LBB71_2799:
	s_mov_b32 s7, 0
	s_mov_b32 s11, -1
.LBB71_2800:
	s_and_not1_b32 vcc_lo, exec_lo, s7
	s_mov_b32 s7, 0
	s_cbranch_vccnz .LBB71_2807
; %bb.2801:
	s_cmp_gt_i32 s3, 14
	s_mov_b32 s7, -1
	s_cbranch_scc0 .LBB71_2805
; %bb.2802:
	s_cmp_eq_u32 s3, 15
	s_mov_b32 s0, -1
	s_cbranch_scc0 .LBB71_2804
; %bb.2803:
	s_wait_xcnt 0x0
	v_cndmask_b32_e64 v1, 0, 1.0, s6
	s_mov_b32 s0, 0
	s_mov_b32 s11, -1
	s_delay_alu instid0(VALU_DEP_1) | instskip(NEXT) | instid1(VALU_DEP_1)
	v_bfe_u32 v3, v1, 16, 1
	v_add3_u32 v1, v1, v3, 0x7fff
	global_store_d16_hi_b16 v[4:5], v1, off
.LBB71_2804:
	s_mov_b32 s7, 0
.LBB71_2805:
	s_delay_alu instid0(SALU_CYCLE_1)
	s_and_b32 vcc_lo, exec_lo, s7
	s_mov_b32 s7, 0
	s_cbranch_vccz .LBB71_2807
; %bb.2806:
	s_cmp_lg_u32 s3, 11
	s_mov_b32 s7, -1
	s_cselect_b32 s0, -1, 0
.LBB71_2807:
	s_delay_alu instid0(SALU_CYCLE_1)
	s_and_b32 vcc_lo, exec_lo, s0
	s_cbranch_vccnz .LBB71_3101
; %bb.2808:
	s_and_not1_b32 vcc_lo, exec_lo, s7
	s_cbranch_vccnz .LBB71_2810
.LBB71_2809:
	s_wait_xcnt 0x0
	v_cndmask_b32_e64 v1, 0, 1, s6
	s_mov_b32 s11, -1
	global_store_b8 v[4:5], v1, off
.LBB71_2810:
	s_mov_b32 s0, 0
	s_branch .LBB71_2812
.LBB71_2811:
	s_mov_b32 s0, -1
	s_mov_b32 s11, 0
.LBB71_2812:
	s_and_b32 vcc_lo, exec_lo, s0
	s_cbranch_vccz .LBB71_2851
; %bb.2813:
	s_cmp_lt_i32 s3, 5
	s_mov_b32 s0, -1
	s_cbranch_scc1 .LBB71_2834
; %bb.2814:
	s_cmp_lt_i32 s3, 8
	s_cbranch_scc1 .LBB71_2824
; %bb.2815:
	s_cmp_lt_i32 s3, 9
	s_cbranch_scc1 .LBB71_2821
; %bb.2816:
	s_cmp_gt_i32 s3, 9
	s_cbranch_scc0 .LBB71_2818
; %bb.2817:
	s_wait_xcnt 0x0
	v_cndmask_b32_e64 v1, 0, 1, s6
	v_mov_b32_e32 v8, 0
	s_mov_b32 s0, 0
	s_delay_alu instid0(VALU_DEP_2) | instskip(NEXT) | instid1(VALU_DEP_2)
	v_cvt_f64_u32_e32 v[6:7], v1
	v_mov_b32_e32 v9, v8
	global_store_b128 v[4:5], v[6:9], off
.LBB71_2818:
	s_and_not1_b32 vcc_lo, exec_lo, s0
	s_cbranch_vccnz .LBB71_2820
; %bb.2819:
	s_wait_xcnt 0x0
	v_cndmask_b32_e64 v6, 0, 1.0, s6
	v_mov_b32_e32 v7, 0
	global_store_b64 v[4:5], v[6:7], off
.LBB71_2820:
	s_mov_b32 s0, 0
.LBB71_2821:
	s_delay_alu instid0(SALU_CYCLE_1)
	s_and_not1_b32 vcc_lo, exec_lo, s0
	s_cbranch_vccnz .LBB71_2823
; %bb.2822:
	s_wait_xcnt 0x0
	v_cndmask_b32_e64 v1, 0, 1.0, s6
	s_delay_alu instid0(VALU_DEP_1) | instskip(NEXT) | instid1(VALU_DEP_1)
	v_cvt_f16_f32_e32 v1, v1
	v_and_b32_e32 v1, 0xffff, v1
	global_store_b32 v[4:5], v1, off
.LBB71_2823:
	s_mov_b32 s0, 0
.LBB71_2824:
	s_delay_alu instid0(SALU_CYCLE_1)
	s_and_not1_b32 vcc_lo, exec_lo, s0
	s_cbranch_vccnz .LBB71_2833
; %bb.2825:
	s_cmp_lt_i32 s3, 6
	s_mov_b32 s0, -1
	s_cbranch_scc1 .LBB71_2831
; %bb.2826:
	s_cmp_gt_i32 s3, 6
	s_cbranch_scc0 .LBB71_2828
; %bb.2827:
	s_wait_xcnt 0x0
	v_cndmask_b32_e64 v1, 0, 1, s6
	s_mov_b32 s0, 0
	s_delay_alu instid0(VALU_DEP_1)
	v_cvt_f64_u32_e32 v[6:7], v1
	global_store_b64 v[4:5], v[6:7], off
.LBB71_2828:
	s_and_not1_b32 vcc_lo, exec_lo, s0
	s_cbranch_vccnz .LBB71_2830
; %bb.2829:
	s_wait_xcnt 0x0
	v_cndmask_b32_e64 v1, 0, 1.0, s6
	global_store_b32 v[4:5], v1, off
.LBB71_2830:
	s_mov_b32 s0, 0
.LBB71_2831:
	s_delay_alu instid0(SALU_CYCLE_1)
	s_and_not1_b32 vcc_lo, exec_lo, s0
	s_cbranch_vccnz .LBB71_2833
; %bb.2832:
	s_wait_xcnt 0x0
	v_cndmask_b32_e64 v1, 0, 1.0, s6
	s_delay_alu instid0(VALU_DEP_1)
	v_cvt_f16_f32_e32 v1, v1
	global_store_b16 v[4:5], v1, off
.LBB71_2833:
	s_mov_b32 s0, 0
.LBB71_2834:
	s_delay_alu instid0(SALU_CYCLE_1)
	s_and_not1_b32 vcc_lo, exec_lo, s0
	s_cbranch_vccnz .LBB71_2850
; %bb.2835:
	s_cmp_lt_i32 s3, 2
	s_mov_b32 s0, -1
	s_cbranch_scc1 .LBB71_2845
; %bb.2836:
	s_cmp_lt_i32 s3, 3
	s_cbranch_scc1 .LBB71_2842
; %bb.2837:
	s_cmp_gt_i32 s3, 3
	s_cbranch_scc0 .LBB71_2839
; %bb.2838:
	s_mov_b32 s0, 0
	s_wait_xcnt 0x0
	v_cndmask_b32_e64 v6, 0, 1, s6
	v_mov_b32_e32 v7, s0
	global_store_b64 v[4:5], v[6:7], off
.LBB71_2839:
	s_and_not1_b32 vcc_lo, exec_lo, s0
	s_cbranch_vccnz .LBB71_2841
; %bb.2840:
	s_wait_xcnt 0x0
	v_cndmask_b32_e64 v1, 0, 1, s6
	global_store_b32 v[4:5], v1, off
.LBB71_2841:
	s_mov_b32 s0, 0
.LBB71_2842:
	s_delay_alu instid0(SALU_CYCLE_1)
	s_and_not1_b32 vcc_lo, exec_lo, s0
	s_cbranch_vccnz .LBB71_2844
; %bb.2843:
	s_wait_xcnt 0x0
	v_cndmask_b32_e64 v1, 0, 1, s6
	global_store_b16 v[4:5], v1, off
.LBB71_2844:
	s_mov_b32 s0, 0
.LBB71_2845:
	s_delay_alu instid0(SALU_CYCLE_1)
	s_and_not1_b32 vcc_lo, exec_lo, s0
	s_cbranch_vccnz .LBB71_2850
; %bb.2846:
	s_wait_xcnt 0x0
	v_cndmask_b32_e64 v1, 0, 1, s6
	s_cmp_gt_i32 s3, 0
	s_mov_b32 s0, -1
	s_cbranch_scc0 .LBB71_2848
; %bb.2847:
	s_mov_b32 s0, 0
	global_store_b8 v[4:5], v1, off
.LBB71_2848:
	s_and_not1_b32 vcc_lo, exec_lo, s0
	s_cbranch_vccnz .LBB71_2850
; %bb.2849:
	global_store_b8 v[4:5], v1, off
.LBB71_2850:
	s_mov_b32 s11, -1
.LBB71_2851:
	s_delay_alu instid0(SALU_CYCLE_1)
	s_and_not1_b32 vcc_lo, exec_lo, s11
	s_cbranch_vccnz .LBB71_3047
; %bb.2852:
	s_wait_xcnt 0x0
	v_mov_b32_e32 v3, 0
	v_cmp_ne_u16_e32 vcc_lo, v18, v22
	s_delay_alu instid0(VALU_DEP_2)
	v_add_nc_u64_e32 v[2:3], s[4:5], v[2:3]
	s_xor_b32 s6, s2, vcc_lo
	s_cmp_lt_i32 s3, 11
	s_cbranch_scc1 .LBB71_2930
; %bb.2853:
	s_mov_b32 s12, -1
	s_mov_b32 s7, 0
	s_cmp_gt_i32 s3, 25
	s_mov_b32 s11, 0
	s_mov_b32 s0, 0
	s_cbranch_scc0 .LBB71_2886
; %bb.2854:
	s_cmp_gt_i32 s3, 28
	s_cbranch_scc0 .LBB71_2869
; %bb.2855:
	s_cmp_gt_i32 s3, 43
	;; [unrolled: 3-line block ×3, first 2 shown]
	s_cbranch_scc0 .LBB71_2859
; %bb.2857:
	s_mov_b32 s0, -1
	s_mov_b32 s12, 0
	s_cmp_eq_u32 s3, 46
	s_cbranch_scc0 .LBB71_2859
; %bb.2858:
	v_cndmask_b32_e64 v1, 0, 1.0, s6
	s_mov_b32 s0, 0
	s_mov_b32 s11, -1
	s_delay_alu instid0(VALU_DEP_1) | instskip(NEXT) | instid1(VALU_DEP_1)
	v_bfe_u32 v4, v1, 16, 1
	v_add3_u32 v1, v1, v4, 0x7fff
	s_delay_alu instid0(VALU_DEP_1)
	v_lshrrev_b32_e32 v1, 16, v1
	global_store_b32 v[2:3], v1, off
.LBB71_2859:
	s_and_b32 vcc_lo, exec_lo, s12
	s_cbranch_vccz .LBB71_2864
; %bb.2860:
	s_cmp_eq_u32 s3, 44
	s_mov_b32 s0, -1
	s_cbranch_scc0 .LBB71_2864
; %bb.2861:
	v_cndmask_b32_e64 v5, 0, 1.0, s6
	s_mov_b32 s11, exec_lo
	s_wait_xcnt 0x0
	s_delay_alu instid0(VALU_DEP_1) | instskip(NEXT) | instid1(VALU_DEP_1)
	v_dual_mov_b32 v4, 0xff :: v_dual_lshrrev_b32 v1, 23, v5
	v_cmpx_ne_u32_e32 0xff, v1
; %bb.2862:
	v_and_b32_e32 v4, 0x400000, v5
	v_and_or_b32 v5, 0x3fffff, v5, v1
	s_delay_alu instid0(VALU_DEP_2) | instskip(NEXT) | instid1(VALU_DEP_2)
	v_cmp_ne_u32_e32 vcc_lo, 0, v4
	v_cmp_ne_u32_e64 s0, 0, v5
	s_and_b32 s0, vcc_lo, s0
	s_delay_alu instid0(SALU_CYCLE_1) | instskip(NEXT) | instid1(VALU_DEP_1)
	v_cndmask_b32_e64 v4, 0, 1, s0
	v_add_nc_u32_e32 v4, v1, v4
; %bb.2863:
	s_or_b32 exec_lo, exec_lo, s11
	s_mov_b32 s0, 0
	s_mov_b32 s11, -1
	global_store_b8 v[2:3], v4, off
.LBB71_2864:
	s_mov_b32 s12, 0
.LBB71_2865:
	s_delay_alu instid0(SALU_CYCLE_1)
	s_and_b32 vcc_lo, exec_lo, s12
	s_cbranch_vccz .LBB71_2868
; %bb.2866:
	s_cmp_eq_u32 s3, 29
	s_mov_b32 s0, -1
	s_cbranch_scc0 .LBB71_2868
; %bb.2867:
	s_mov_b32 s0, 0
	s_wait_xcnt 0x0
	v_cndmask_b32_e64 v4, 0, 1, s6
	v_mov_b32_e32 v5, s0
	s_mov_b32 s11, -1
	global_store_b64 v[2:3], v[4:5], off
.LBB71_2868:
	s_mov_b32 s12, 0
.LBB71_2869:
	s_delay_alu instid0(SALU_CYCLE_1)
	s_and_b32 vcc_lo, exec_lo, s12
	s_cbranch_vccz .LBB71_2885
; %bb.2870:
	s_cmp_lt_i32 s3, 27
	s_mov_b32 s11, -1
	s_cbranch_scc1 .LBB71_2876
; %bb.2871:
	s_cmp_gt_i32 s3, 27
	s_cbranch_scc0 .LBB71_2873
; %bb.2872:
	s_wait_xcnt 0x0
	v_cndmask_b32_e64 v1, 0, 1, s6
	s_mov_b32 s11, 0
	global_store_b32 v[2:3], v1, off
.LBB71_2873:
	s_and_not1_b32 vcc_lo, exec_lo, s11
	s_cbranch_vccnz .LBB71_2875
; %bb.2874:
	s_wait_xcnt 0x0
	v_cndmask_b32_e64 v1, 0, 1, s6
	global_store_b16 v[2:3], v1, off
.LBB71_2875:
	s_mov_b32 s11, 0
.LBB71_2876:
	s_delay_alu instid0(SALU_CYCLE_1)
	s_and_not1_b32 vcc_lo, exec_lo, s11
	s_cbranch_vccnz .LBB71_2884
; %bb.2877:
	s_wait_xcnt 0x0
	v_cndmask_b32_e64 v4, 0, 1.0, s6
	v_mov_b32_e32 v5, 0x80
	s_mov_b32 s11, exec_lo
	s_delay_alu instid0(VALU_DEP_2)
	v_cmpx_gt_u32_e32 0x43800000, v4
	s_cbranch_execz .LBB71_2883
; %bb.2878:
	s_mov_b32 s12, 0
	s_mov_b32 s13, exec_lo
                                        ; implicit-def: $vgpr1
	v_cmpx_lt_u32_e32 0x3bffffff, v4
	s_xor_b32 s13, exec_lo, s13
	s_cbranch_execz .LBB71_3104
; %bb.2879:
	v_bfe_u32 v1, v4, 20, 1
	s_mov_b32 s12, exec_lo
	s_delay_alu instid0(VALU_DEP_1) | instskip(NEXT) | instid1(VALU_DEP_1)
	v_add3_u32 v1, v4, v1, 0x487ffff
                                        ; implicit-def: $vgpr4
	v_lshrrev_b32_e32 v1, 20, v1
	s_and_not1_saveexec_b32 s13, s13
	s_cbranch_execnz .LBB71_3105
.LBB71_2880:
	s_or_b32 exec_lo, exec_lo, s13
	v_mov_b32_e32 v5, 0
	s_and_saveexec_b32 s13, s12
.LBB71_2881:
	v_mov_b32_e32 v5, v1
.LBB71_2882:
	s_or_b32 exec_lo, exec_lo, s13
.LBB71_2883:
	s_delay_alu instid0(SALU_CYCLE_1)
	s_or_b32 exec_lo, exec_lo, s11
	global_store_b8 v[2:3], v5, off
.LBB71_2884:
	s_mov_b32 s11, -1
.LBB71_2885:
	s_mov_b32 s12, 0
.LBB71_2886:
	s_delay_alu instid0(SALU_CYCLE_1)
	s_and_b32 vcc_lo, exec_lo, s12
	s_cbranch_vccz .LBB71_2926
; %bb.2887:
	s_cmp_gt_i32 s3, 22
	s_mov_b32 s7, -1
	s_cbranch_scc0 .LBB71_2919
; %bb.2888:
	s_cmp_lt_i32 s3, 24
	s_cbranch_scc1 .LBB71_2908
; %bb.2889:
	s_cmp_gt_i32 s3, 24
	s_cbranch_scc0 .LBB71_2897
; %bb.2890:
	s_wait_xcnt 0x0
	v_cndmask_b32_e64 v4, 0, 1.0, s6
	v_mov_b32_e32 v5, 0x80
	s_mov_b32 s7, exec_lo
	s_delay_alu instid0(VALU_DEP_2)
	v_cmpx_gt_u32_e32 0x47800000, v4
	s_cbranch_execz .LBB71_2896
; %bb.2891:
	s_mov_b32 s11, 0
	s_mov_b32 s12, exec_lo
                                        ; implicit-def: $vgpr1
	v_cmpx_lt_u32_e32 0x37ffffff, v4
	s_xor_b32 s12, exec_lo, s12
	s_cbranch_execz .LBB71_3107
; %bb.2892:
	v_bfe_u32 v1, v4, 21, 1
	s_mov_b32 s11, exec_lo
	s_delay_alu instid0(VALU_DEP_1) | instskip(NEXT) | instid1(VALU_DEP_1)
	v_add3_u32 v1, v4, v1, 0x88fffff
                                        ; implicit-def: $vgpr4
	v_lshrrev_b32_e32 v1, 21, v1
	s_and_not1_saveexec_b32 s12, s12
	s_cbranch_execnz .LBB71_3108
.LBB71_2893:
	s_or_b32 exec_lo, exec_lo, s12
	v_mov_b32_e32 v5, 0
	s_and_saveexec_b32 s12, s11
.LBB71_2894:
	v_mov_b32_e32 v5, v1
.LBB71_2895:
	s_or_b32 exec_lo, exec_lo, s12
.LBB71_2896:
	s_delay_alu instid0(SALU_CYCLE_1)
	s_or_b32 exec_lo, exec_lo, s7
	s_mov_b32 s7, 0
	global_store_b8 v[2:3], v5, off
.LBB71_2897:
	s_and_b32 vcc_lo, exec_lo, s7
	s_cbranch_vccz .LBB71_2907
; %bb.2898:
	s_wait_xcnt 0x0
	v_cndmask_b32_e64 v4, 0, 1.0, s6
	s_mov_b32 s7, exec_lo
                                        ; implicit-def: $vgpr1
	s_delay_alu instid0(VALU_DEP_1)
	v_cmpx_gt_u32_e32 0x43f00000, v4
	s_xor_b32 s7, exec_lo, s7
	s_cbranch_execz .LBB71_2904
; %bb.2899:
	s_mov_b32 s11, exec_lo
                                        ; implicit-def: $vgpr1
	v_cmpx_lt_u32_e32 0x3c7fffff, v4
	s_xor_b32 s11, exec_lo, s11
; %bb.2900:
	v_bfe_u32 v1, v4, 20, 1
	s_delay_alu instid0(VALU_DEP_1) | instskip(NEXT) | instid1(VALU_DEP_1)
	v_add3_u32 v1, v4, v1, 0x407ffff
	v_and_b32_e32 v4, 0xff00000, v1
	v_lshrrev_b32_e32 v1, 20, v1
	s_delay_alu instid0(VALU_DEP_2) | instskip(NEXT) | instid1(VALU_DEP_2)
	v_cmp_ne_u32_e32 vcc_lo, 0x7f00000, v4
                                        ; implicit-def: $vgpr4
	v_cndmask_b32_e32 v1, 0x7e, v1, vcc_lo
; %bb.2901:
	s_and_not1_saveexec_b32 s11, s11
; %bb.2902:
	v_add_f32_e32 v1, 0x46800000, v4
; %bb.2903:
	s_or_b32 exec_lo, exec_lo, s11
                                        ; implicit-def: $vgpr4
.LBB71_2904:
	s_and_not1_saveexec_b32 s7, s7
; %bb.2905:
	v_mov_b32_e32 v1, 0x7f
	v_cmp_lt_u32_e32 vcc_lo, 0x7f800000, v4
	s_delay_alu instid0(VALU_DEP_2)
	v_cndmask_b32_e32 v1, 0x7e, v1, vcc_lo
; %bb.2906:
	s_or_b32 exec_lo, exec_lo, s7
	global_store_b8 v[2:3], v1, off
.LBB71_2907:
	s_mov_b32 s7, 0
.LBB71_2908:
	s_delay_alu instid0(SALU_CYCLE_1)
	s_and_not1_b32 vcc_lo, exec_lo, s7
	s_cbranch_vccnz .LBB71_2918
; %bb.2909:
	s_wait_xcnt 0x0
	v_cndmask_b32_e64 v4, 0, 1.0, s6
	s_mov_b32 s7, exec_lo
                                        ; implicit-def: $vgpr1
	s_delay_alu instid0(VALU_DEP_1)
	v_cmpx_gt_u32_e32 0x47800000, v4
	s_xor_b32 s7, exec_lo, s7
	s_cbranch_execz .LBB71_2915
; %bb.2910:
	s_mov_b32 s11, exec_lo
                                        ; implicit-def: $vgpr1
	v_cmpx_lt_u32_e32 0x387fffff, v4
	s_xor_b32 s11, exec_lo, s11
; %bb.2911:
	v_bfe_u32 v1, v4, 21, 1
	s_delay_alu instid0(VALU_DEP_1) | instskip(NEXT) | instid1(VALU_DEP_1)
	v_add3_u32 v1, v4, v1, 0x80fffff
                                        ; implicit-def: $vgpr4
	v_lshrrev_b32_e32 v1, 21, v1
; %bb.2912:
	s_and_not1_saveexec_b32 s11, s11
; %bb.2913:
	v_add_f32_e32 v1, 0x43000000, v4
; %bb.2914:
	s_or_b32 exec_lo, exec_lo, s11
                                        ; implicit-def: $vgpr4
.LBB71_2915:
	s_and_not1_saveexec_b32 s7, s7
; %bb.2916:
	v_mov_b32_e32 v1, 0x7f
	v_cmp_lt_u32_e32 vcc_lo, 0x7f800000, v4
	s_delay_alu instid0(VALU_DEP_2)
	v_cndmask_b32_e32 v1, 0x7c, v1, vcc_lo
; %bb.2917:
	s_or_b32 exec_lo, exec_lo, s7
	global_store_b8 v[2:3], v1, off
.LBB71_2918:
	s_mov_b32 s7, 0
	s_mov_b32 s11, -1
.LBB71_2919:
	s_and_not1_b32 vcc_lo, exec_lo, s7
	s_mov_b32 s7, 0
	s_cbranch_vccnz .LBB71_2926
; %bb.2920:
	s_cmp_gt_i32 s3, 14
	s_mov_b32 s7, -1
	s_cbranch_scc0 .LBB71_2924
; %bb.2921:
	s_cmp_eq_u32 s3, 15
	s_mov_b32 s0, -1
	s_cbranch_scc0 .LBB71_2923
; %bb.2922:
	s_wait_xcnt 0x0
	v_cndmask_b32_e64 v1, 0, 1.0, s6
	s_mov_b32 s0, 0
	s_mov_b32 s11, -1
	s_delay_alu instid0(VALU_DEP_1) | instskip(NEXT) | instid1(VALU_DEP_1)
	v_bfe_u32 v4, v1, 16, 1
	v_add3_u32 v1, v1, v4, 0x7fff
	global_store_d16_hi_b16 v[2:3], v1, off
.LBB71_2923:
	s_mov_b32 s7, 0
.LBB71_2924:
	s_delay_alu instid0(SALU_CYCLE_1)
	s_and_b32 vcc_lo, exec_lo, s7
	s_mov_b32 s7, 0
	s_cbranch_vccz .LBB71_2926
; %bb.2925:
	s_cmp_lg_u32 s3, 11
	s_mov_b32 s7, -1
	s_cselect_b32 s0, -1, 0
.LBB71_2926:
	s_delay_alu instid0(SALU_CYCLE_1)
	s_and_b32 vcc_lo, exec_lo, s0
	s_cbranch_vccnz .LBB71_3106
; %bb.2927:
	s_and_not1_b32 vcc_lo, exec_lo, s7
	s_cbranch_vccnz .LBB71_2929
.LBB71_2928:
	s_wait_xcnt 0x0
	v_cndmask_b32_e64 v1, 0, 1, s6
	s_mov_b32 s11, -1
	global_store_b8 v[2:3], v1, off
.LBB71_2929:
	s_mov_b32 s0, 0
	s_branch .LBB71_2931
.LBB71_2930:
	s_mov_b32 s0, -1
	s_mov_b32 s11, 0
.LBB71_2931:
	s_and_b32 vcc_lo, exec_lo, s0
	s_cbranch_vccz .LBB71_2970
; %bb.2932:
	s_cmp_lt_i32 s3, 5
	s_mov_b32 s0, -1
	s_cbranch_scc1 .LBB71_2953
; %bb.2933:
	s_cmp_lt_i32 s3, 8
	s_cbranch_scc1 .LBB71_2943
; %bb.2934:
	s_cmp_lt_i32 s3, 9
	s_cbranch_scc1 .LBB71_2940
; %bb.2935:
	s_cmp_gt_i32 s3, 9
	s_cbranch_scc0 .LBB71_2937
; %bb.2936:
	s_wait_xcnt 0x0
	v_cndmask_b32_e64 v1, 0, 1, s6
	v_mov_b32_e32 v6, 0
	s_mov_b32 s0, 0
	s_delay_alu instid0(VALU_DEP_2) | instskip(NEXT) | instid1(VALU_DEP_2)
	v_cvt_f64_u32_e32 v[4:5], v1
	v_mov_b32_e32 v7, v6
	global_store_b128 v[2:3], v[4:7], off
.LBB71_2937:
	s_and_not1_b32 vcc_lo, exec_lo, s0
	s_cbranch_vccnz .LBB71_2939
; %bb.2938:
	s_wait_xcnt 0x0
	v_cndmask_b32_e64 v4, 0, 1.0, s6
	v_mov_b32_e32 v5, 0
	global_store_b64 v[2:3], v[4:5], off
.LBB71_2939:
	s_mov_b32 s0, 0
.LBB71_2940:
	s_delay_alu instid0(SALU_CYCLE_1)
	s_and_not1_b32 vcc_lo, exec_lo, s0
	s_cbranch_vccnz .LBB71_2942
; %bb.2941:
	s_wait_xcnt 0x0
	v_cndmask_b32_e64 v1, 0, 1.0, s6
	s_delay_alu instid0(VALU_DEP_1) | instskip(NEXT) | instid1(VALU_DEP_1)
	v_cvt_f16_f32_e32 v1, v1
	v_and_b32_e32 v1, 0xffff, v1
	global_store_b32 v[2:3], v1, off
.LBB71_2942:
	s_mov_b32 s0, 0
.LBB71_2943:
	s_delay_alu instid0(SALU_CYCLE_1)
	s_and_not1_b32 vcc_lo, exec_lo, s0
	s_cbranch_vccnz .LBB71_2952
; %bb.2944:
	s_cmp_lt_i32 s3, 6
	s_mov_b32 s0, -1
	s_cbranch_scc1 .LBB71_2950
; %bb.2945:
	s_cmp_gt_i32 s3, 6
	s_cbranch_scc0 .LBB71_2947
; %bb.2946:
	s_wait_xcnt 0x0
	v_cndmask_b32_e64 v1, 0, 1, s6
	s_mov_b32 s0, 0
	s_delay_alu instid0(VALU_DEP_1)
	v_cvt_f64_u32_e32 v[4:5], v1
	global_store_b64 v[2:3], v[4:5], off
.LBB71_2947:
	s_and_not1_b32 vcc_lo, exec_lo, s0
	s_cbranch_vccnz .LBB71_2949
; %bb.2948:
	s_wait_xcnt 0x0
	v_cndmask_b32_e64 v1, 0, 1.0, s6
	global_store_b32 v[2:3], v1, off
.LBB71_2949:
	s_mov_b32 s0, 0
.LBB71_2950:
	s_delay_alu instid0(SALU_CYCLE_1)
	s_and_not1_b32 vcc_lo, exec_lo, s0
	s_cbranch_vccnz .LBB71_2952
; %bb.2951:
	s_wait_xcnt 0x0
	v_cndmask_b32_e64 v1, 0, 1.0, s6
	s_delay_alu instid0(VALU_DEP_1)
	v_cvt_f16_f32_e32 v1, v1
	global_store_b16 v[2:3], v1, off
.LBB71_2952:
	s_mov_b32 s0, 0
.LBB71_2953:
	s_delay_alu instid0(SALU_CYCLE_1)
	s_and_not1_b32 vcc_lo, exec_lo, s0
	s_cbranch_vccnz .LBB71_2969
; %bb.2954:
	s_cmp_lt_i32 s3, 2
	s_mov_b32 s0, -1
	s_cbranch_scc1 .LBB71_2964
; %bb.2955:
	s_cmp_lt_i32 s3, 3
	s_cbranch_scc1 .LBB71_2961
; %bb.2956:
	s_cmp_gt_i32 s3, 3
	s_cbranch_scc0 .LBB71_2958
; %bb.2957:
	s_mov_b32 s0, 0
	s_wait_xcnt 0x0
	v_cndmask_b32_e64 v4, 0, 1, s6
	v_mov_b32_e32 v5, s0
	global_store_b64 v[2:3], v[4:5], off
.LBB71_2958:
	s_and_not1_b32 vcc_lo, exec_lo, s0
	s_cbranch_vccnz .LBB71_2960
; %bb.2959:
	s_wait_xcnt 0x0
	v_cndmask_b32_e64 v1, 0, 1, s6
	global_store_b32 v[2:3], v1, off
.LBB71_2960:
	s_mov_b32 s0, 0
.LBB71_2961:
	s_delay_alu instid0(SALU_CYCLE_1)
	s_and_not1_b32 vcc_lo, exec_lo, s0
	s_cbranch_vccnz .LBB71_2963
; %bb.2962:
	s_wait_xcnt 0x0
	v_cndmask_b32_e64 v1, 0, 1, s6
	global_store_b16 v[2:3], v1, off
.LBB71_2963:
	s_mov_b32 s0, 0
.LBB71_2964:
	s_delay_alu instid0(SALU_CYCLE_1)
	s_and_not1_b32 vcc_lo, exec_lo, s0
	s_cbranch_vccnz .LBB71_2969
; %bb.2965:
	s_cmp_gt_i32 s3, 0
	s_mov_b32 s0, -1
	s_cbranch_scc0 .LBB71_2967
; %bb.2966:
	s_wait_xcnt 0x0
	v_cndmask_b32_e64 v1, 0, 1, s6
	s_mov_b32 s0, 0
	global_store_b8 v[2:3], v1, off
.LBB71_2967:
	s_and_not1_b32 vcc_lo, exec_lo, s0
	s_cbranch_vccnz .LBB71_2969
; %bb.2968:
	s_wait_xcnt 0x0
	v_cndmask_b32_e64 v1, 0, 1, s6
	global_store_b8 v[2:3], v1, off
.LBB71_2969:
	s_mov_b32 s11, -1
.LBB71_2970:
	s_delay_alu instid0(SALU_CYCLE_1)
	s_and_not1_b32 vcc_lo, exec_lo, s11
	s_cbranch_vccnz .LBB71_3047
; %bb.2971:
	s_wait_xcnt 0x0
	v_mov_b32_e32 v1, 0
	v_cmp_ne_u16_e32 vcc_lo, v16, v10
	s_delay_alu instid0(VALU_DEP_2)
	v_add_nc_u64_e32 v[2:3], s[4:5], v[0:1]
	s_xor_b32 s4, s2, vcc_lo
	s_cmp_lt_i32 s3, 11
	s_cbranch_scc1 .LBB71_3092
; %bb.2972:
	s_mov_b32 s5, -1
	s_mov_b32 s2, 0
	s_cmp_gt_i32 s3, 25
	s_mov_b32 s0, 0
	s_cbranch_scc0 .LBB71_3005
; %bb.2973:
	s_cmp_gt_i32 s3, 28
	s_cbranch_scc0 .LBB71_2989
; %bb.2974:
	s_cmp_gt_i32 s3, 43
	s_cbranch_scc0 .LBB71_2985
; %bb.2975:
	s_cmp_gt_i32 s3, 45
	s_cbranch_scc0 .LBB71_2979
; %bb.2976:
	s_cmp_eq_u32 s3, 46
	s_mov_b32 s0, -1
	s_cbranch_scc0 .LBB71_2978
; %bb.2977:
	v_cndmask_b32_e64 v0, 0, 1.0, s4
	s_mov_b32 s0, 0
	s_delay_alu instid0(VALU_DEP_1) | instskip(NEXT) | instid1(VALU_DEP_1)
	v_bfe_u32 v1, v0, 16, 1
	v_add3_u32 v0, v0, v1, 0x7fff
	s_delay_alu instid0(VALU_DEP_1)
	v_lshrrev_b32_e32 v0, 16, v0
	global_store_b32 v[2:3], v0, off
.LBB71_2978:
	s_mov_b32 s5, 0
.LBB71_2979:
	s_delay_alu instid0(SALU_CYCLE_1)
	s_and_b32 vcc_lo, exec_lo, s5
	s_cbranch_vccz .LBB71_2984
; %bb.2980:
	s_cmp_eq_u32 s3, 44
	s_mov_b32 s0, -1
	s_cbranch_scc0 .LBB71_2984
; %bb.2981:
	v_cndmask_b32_e64 v4, 0, 1.0, s4
	s_mov_b32 s5, exec_lo
	s_wait_xcnt 0x0
	s_delay_alu instid0(VALU_DEP_1) | instskip(NEXT) | instid1(VALU_DEP_1)
	v_dual_mov_b32 v1, 0xff :: v_dual_lshrrev_b32 v0, 23, v4
	v_cmpx_ne_u32_e32 0xff, v0
; %bb.2982:
	v_and_b32_e32 v1, 0x400000, v4
	v_and_or_b32 v4, 0x3fffff, v4, v0
	s_delay_alu instid0(VALU_DEP_2) | instskip(NEXT) | instid1(VALU_DEP_2)
	v_cmp_ne_u32_e32 vcc_lo, 0, v1
	v_cmp_ne_u32_e64 s0, 0, v4
	s_and_b32 s0, vcc_lo, s0
	s_delay_alu instid0(SALU_CYCLE_1) | instskip(NEXT) | instid1(VALU_DEP_1)
	v_cndmask_b32_e64 v1, 0, 1, s0
	v_add_nc_u32_e32 v1, v0, v1
; %bb.2983:
	s_or_b32 exec_lo, exec_lo, s5
	s_mov_b32 s0, 0
	global_store_b8 v[2:3], v1, off
.LBB71_2984:
	s_mov_b32 s5, 0
.LBB71_2985:
	s_delay_alu instid0(SALU_CYCLE_1)
	s_and_b32 vcc_lo, exec_lo, s5
	s_cbranch_vccz .LBB71_2988
; %bb.2986:
	s_cmp_eq_u32 s3, 29
	s_mov_b32 s0, -1
	s_cbranch_scc0 .LBB71_2988
; %bb.2987:
	s_mov_b32 s0, 0
	s_wait_xcnt 0x0
	v_cndmask_b32_e64 v0, 0, 1, s4
	v_mov_b32_e32 v1, s0
	global_store_b64 v[2:3], v[0:1], off
.LBB71_2988:
	s_mov_b32 s5, 0
.LBB71_2989:
	s_delay_alu instid0(SALU_CYCLE_1)
	s_and_b32 vcc_lo, exec_lo, s5
	s_cbranch_vccz .LBB71_3004
; %bb.2990:
	s_cmp_lt_i32 s3, 27
	s_mov_b32 s5, -1
	s_cbranch_scc1 .LBB71_2996
; %bb.2991:
	s_wait_xcnt 0x0
	v_cndmask_b32_e64 v0, 0, 1, s4
	s_cmp_gt_i32 s3, 27
	s_cbranch_scc0 .LBB71_2993
; %bb.2992:
	s_mov_b32 s5, 0
	global_store_b32 v[2:3], v0, off
.LBB71_2993:
	s_and_not1_b32 vcc_lo, exec_lo, s5
	s_cbranch_vccnz .LBB71_2995
; %bb.2994:
	global_store_b16 v[2:3], v0, off
.LBB71_2995:
	s_mov_b32 s5, 0
.LBB71_2996:
	s_delay_alu instid0(SALU_CYCLE_1)
	s_and_not1_b32 vcc_lo, exec_lo, s5
	s_cbranch_vccnz .LBB71_3004
; %bb.2997:
	s_wait_xcnt 0x0
	v_cndmask_b32_e64 v1, 0, 1.0, s4
	v_mov_b32_e32 v4, 0x80
	s_mov_b32 s5, exec_lo
	s_delay_alu instid0(VALU_DEP_2)
	v_cmpx_gt_u32_e32 0x43800000, v1
	s_cbranch_execz .LBB71_3003
; %bb.2998:
	s_mov_b32 s6, 0
	s_mov_b32 s7, exec_lo
                                        ; implicit-def: $vgpr0
	v_cmpx_lt_u32_e32 0x3bffffff, v1
	s_xor_b32 s7, exec_lo, s7
	s_cbranch_execz .LBB71_3109
; %bb.2999:
	v_bfe_u32 v0, v1, 20, 1
	s_mov_b32 s6, exec_lo
	s_delay_alu instid0(VALU_DEP_1) | instskip(NEXT) | instid1(VALU_DEP_1)
	v_add3_u32 v0, v1, v0, 0x487ffff
                                        ; implicit-def: $vgpr1
	v_lshrrev_b32_e32 v0, 20, v0
	s_and_not1_saveexec_b32 s7, s7
	s_cbranch_execnz .LBB71_3110
.LBB71_3000:
	s_or_b32 exec_lo, exec_lo, s7
	v_mov_b32_e32 v4, 0
	s_and_saveexec_b32 s7, s6
.LBB71_3001:
	v_mov_b32_e32 v4, v0
.LBB71_3002:
	s_or_b32 exec_lo, exec_lo, s7
.LBB71_3003:
	s_delay_alu instid0(SALU_CYCLE_1)
	s_or_b32 exec_lo, exec_lo, s5
	global_store_b8 v[2:3], v4, off
.LBB71_3004:
	s_mov_b32 s5, 0
.LBB71_3005:
	s_delay_alu instid0(SALU_CYCLE_1)
	s_and_b32 vcc_lo, exec_lo, s5
	s_cbranch_vccz .LBB71_3045
; %bb.3006:
	s_cmp_gt_i32 s3, 22
	s_mov_b32 s2, -1
	s_cbranch_scc0 .LBB71_3038
; %bb.3007:
	s_cmp_lt_i32 s3, 24
	s_cbranch_scc1 .LBB71_3027
; %bb.3008:
	s_cmp_gt_i32 s3, 24
	s_cbranch_scc0 .LBB71_3016
; %bb.3009:
	s_wait_xcnt 0x0
	v_cndmask_b32_e64 v1, 0, 1.0, s4
	v_mov_b32_e32 v4, 0x80
	s_mov_b32 s2, exec_lo
	s_delay_alu instid0(VALU_DEP_2)
	v_cmpx_gt_u32_e32 0x47800000, v1
	s_cbranch_execz .LBB71_3015
; %bb.3010:
	s_mov_b32 s5, 0
	s_mov_b32 s6, exec_lo
                                        ; implicit-def: $vgpr0
	v_cmpx_lt_u32_e32 0x37ffffff, v1
	s_xor_b32 s6, exec_lo, s6
	s_cbranch_execz .LBB71_3112
; %bb.3011:
	v_bfe_u32 v0, v1, 21, 1
	s_mov_b32 s5, exec_lo
	s_delay_alu instid0(VALU_DEP_1) | instskip(NEXT) | instid1(VALU_DEP_1)
	v_add3_u32 v0, v1, v0, 0x88fffff
                                        ; implicit-def: $vgpr1
	v_lshrrev_b32_e32 v0, 21, v0
	s_and_not1_saveexec_b32 s6, s6
	s_cbranch_execnz .LBB71_3113
.LBB71_3012:
	s_or_b32 exec_lo, exec_lo, s6
	v_mov_b32_e32 v4, 0
	s_and_saveexec_b32 s6, s5
.LBB71_3013:
	v_mov_b32_e32 v4, v0
.LBB71_3014:
	s_or_b32 exec_lo, exec_lo, s6
.LBB71_3015:
	s_delay_alu instid0(SALU_CYCLE_1)
	s_or_b32 exec_lo, exec_lo, s2
	s_mov_b32 s2, 0
	global_store_b8 v[2:3], v4, off
.LBB71_3016:
	s_and_b32 vcc_lo, exec_lo, s2
	s_cbranch_vccz .LBB71_3026
; %bb.3017:
	s_wait_xcnt 0x0
	v_cndmask_b32_e64 v1, 0, 1.0, s4
	s_mov_b32 s2, exec_lo
                                        ; implicit-def: $vgpr0
	s_delay_alu instid0(VALU_DEP_1)
	v_cmpx_gt_u32_e32 0x43f00000, v1
	s_xor_b32 s2, exec_lo, s2
	s_cbranch_execz .LBB71_3023
; %bb.3018:
	s_mov_b32 s5, exec_lo
                                        ; implicit-def: $vgpr0
	v_cmpx_lt_u32_e32 0x3c7fffff, v1
	s_xor_b32 s5, exec_lo, s5
; %bb.3019:
	v_bfe_u32 v0, v1, 20, 1
	s_delay_alu instid0(VALU_DEP_1) | instskip(NEXT) | instid1(VALU_DEP_1)
	v_add3_u32 v0, v1, v0, 0x407ffff
	v_and_b32_e32 v1, 0xff00000, v0
	v_lshrrev_b32_e32 v0, 20, v0
	s_delay_alu instid0(VALU_DEP_2) | instskip(NEXT) | instid1(VALU_DEP_2)
	v_cmp_ne_u32_e32 vcc_lo, 0x7f00000, v1
                                        ; implicit-def: $vgpr1
	v_cndmask_b32_e32 v0, 0x7e, v0, vcc_lo
; %bb.3020:
	s_and_not1_saveexec_b32 s5, s5
; %bb.3021:
	v_add_f32_e32 v0, 0x46800000, v1
; %bb.3022:
	s_or_b32 exec_lo, exec_lo, s5
                                        ; implicit-def: $vgpr1
.LBB71_3023:
	s_and_not1_saveexec_b32 s2, s2
; %bb.3024:
	v_mov_b32_e32 v0, 0x7f
	v_cmp_lt_u32_e32 vcc_lo, 0x7f800000, v1
	s_delay_alu instid0(VALU_DEP_2)
	v_cndmask_b32_e32 v0, 0x7e, v0, vcc_lo
; %bb.3025:
	s_or_b32 exec_lo, exec_lo, s2
	global_store_b8 v[2:3], v0, off
.LBB71_3026:
	s_mov_b32 s2, 0
.LBB71_3027:
	s_delay_alu instid0(SALU_CYCLE_1)
	s_and_not1_b32 vcc_lo, exec_lo, s2
	s_cbranch_vccnz .LBB71_3037
; %bb.3028:
	s_wait_xcnt 0x0
	v_cndmask_b32_e64 v1, 0, 1.0, s4
	s_mov_b32 s2, exec_lo
                                        ; implicit-def: $vgpr0
	s_delay_alu instid0(VALU_DEP_1)
	v_cmpx_gt_u32_e32 0x47800000, v1
	s_xor_b32 s2, exec_lo, s2
	s_cbranch_execz .LBB71_3034
; %bb.3029:
	s_mov_b32 s5, exec_lo
                                        ; implicit-def: $vgpr0
	v_cmpx_lt_u32_e32 0x387fffff, v1
	s_xor_b32 s5, exec_lo, s5
; %bb.3030:
	v_bfe_u32 v0, v1, 21, 1
	s_delay_alu instid0(VALU_DEP_1) | instskip(NEXT) | instid1(VALU_DEP_1)
	v_add3_u32 v0, v1, v0, 0x80fffff
                                        ; implicit-def: $vgpr1
	v_lshrrev_b32_e32 v0, 21, v0
; %bb.3031:
	s_and_not1_saveexec_b32 s5, s5
; %bb.3032:
	v_add_f32_e32 v0, 0x43000000, v1
; %bb.3033:
	s_or_b32 exec_lo, exec_lo, s5
                                        ; implicit-def: $vgpr1
.LBB71_3034:
	s_and_not1_saveexec_b32 s2, s2
; %bb.3035:
	v_mov_b32_e32 v0, 0x7f
	v_cmp_lt_u32_e32 vcc_lo, 0x7f800000, v1
	s_delay_alu instid0(VALU_DEP_2)
	v_cndmask_b32_e32 v0, 0x7c, v0, vcc_lo
; %bb.3036:
	s_or_b32 exec_lo, exec_lo, s2
	global_store_b8 v[2:3], v0, off
.LBB71_3037:
	s_mov_b32 s2, 0
.LBB71_3038:
	s_delay_alu instid0(SALU_CYCLE_1)
	s_and_not1_b32 vcc_lo, exec_lo, s2
	s_mov_b32 s2, 0
	s_cbranch_vccnz .LBB71_3045
; %bb.3039:
	s_cmp_gt_i32 s3, 14
	s_mov_b32 s2, -1
	s_cbranch_scc0 .LBB71_3043
; %bb.3040:
	s_cmp_eq_u32 s3, 15
	s_mov_b32 s0, -1
	s_cbranch_scc0 .LBB71_3042
; %bb.3041:
	s_wait_xcnt 0x0
	v_cndmask_b32_e64 v0, 0, 1.0, s4
	s_mov_b32 s0, 0
	s_delay_alu instid0(VALU_DEP_1) | instskip(NEXT) | instid1(VALU_DEP_1)
	v_bfe_u32 v1, v0, 16, 1
	v_add3_u32 v0, v0, v1, 0x7fff
	global_store_d16_hi_b16 v[2:3], v0, off
.LBB71_3042:
	s_mov_b32 s2, 0
.LBB71_3043:
	s_delay_alu instid0(SALU_CYCLE_1)
	s_and_b32 vcc_lo, exec_lo, s2
	s_mov_b32 s2, 0
	s_cbranch_vccz .LBB71_3045
; %bb.3044:
	s_cmp_lg_u32 s3, 11
	s_mov_b32 s2, -1
	s_cselect_b32 s0, -1, 0
.LBB71_3045:
	s_delay_alu instid0(SALU_CYCLE_1)
	s_and_b32 vcc_lo, exec_lo, s0
	s_cbranch_vccnz .LBB71_3111
.LBB71_3046:
	s_mov_b32 s0, 0
	s_branch .LBB71_3048
.LBB71_3047:
	s_mov_b32 s0, 0
	s_wait_xcnt 0x0
	s_mov_b32 s2, 0
                                        ; implicit-def: $sgpr4
                                        ; implicit-def: $vgpr2_vgpr3
                                        ; implicit-def: $sgpr1
.LBB71_3048:
	s_and_not1_b32 s3, s8, exec_lo
	s_and_b32 s5, s10, exec_lo
	s_and_b32 s0, s0, exec_lo
	s_and_b32 s30, s2, exec_lo
	s_or_b32 s8, s3, s5
.LBB71_3049:
	s_wait_xcnt 0x0
	s_or_b32 exec_lo, exec_lo, s9
	s_and_saveexec_b32 s2, s8
	s_cbranch_execz .LBB71_3052
; %bb.3050:
	; divergent unreachable
	s_or_b32 exec_lo, exec_lo, s2
	s_and_saveexec_b32 s2, s30
	s_delay_alu instid0(SALU_CYCLE_1)
	s_xor_b32 s2, exec_lo, s2
	s_cbranch_execnz .LBB71_3053
.LBB71_3051:
	s_or_b32 exec_lo, exec_lo, s2
	s_and_saveexec_b32 s2, s0
	s_cbranch_execnz .LBB71_3054
	s_branch .LBB71_3091
.LBB71_3052:
	s_or_b32 exec_lo, exec_lo, s2
	s_and_saveexec_b32 s2, s30
	s_delay_alu instid0(SALU_CYCLE_1)
	s_xor_b32 s2, exec_lo, s2
	s_cbranch_execz .LBB71_3051
.LBB71_3053:
	v_cndmask_b32_e64 v0, 0, 1, s4
	global_store_b8 v[2:3], v0, off
	s_wait_xcnt 0x0
	s_or_b32 exec_lo, exec_lo, s2
	s_and_saveexec_b32 s2, s0
	s_cbranch_execz .LBB71_3091
.LBB71_3054:
	s_sext_i32_i16 s2, s1
	s_mov_b32 s0, -1
	s_cmp_lt_i32 s2, 5
	s_cbranch_scc1 .LBB71_3075
; %bb.3055:
	s_cmp_lt_i32 s2, 8
	s_cbranch_scc1 .LBB71_3065
; %bb.3056:
	;; [unrolled: 3-line block ×3, first 2 shown]
	s_cmp_gt_i32 s2, 9
	s_cbranch_scc0 .LBB71_3059
; %bb.3058:
	v_cndmask_b32_e64 v0, 0, 1, s4
	v_mov_b32_e32 v6, 0
	s_mov_b32 s0, 0
	s_wait_loadcnt 0x0
	s_delay_alu instid0(VALU_DEP_2) | instskip(NEXT) | instid1(VALU_DEP_2)
	v_cvt_f64_u32_e32 v[4:5], v0
	v_mov_b32_e32 v7, v6
	global_store_b128 v[2:3], v[4:7], off
.LBB71_3059:
	s_and_not1_b32 vcc_lo, exec_lo, s0
	s_cbranch_vccnz .LBB71_3061
; %bb.3060:
	v_cndmask_b32_e64 v0, 0, 1.0, s4
	v_mov_b32_e32 v1, 0
	global_store_b64 v[2:3], v[0:1], off
.LBB71_3061:
	s_mov_b32 s0, 0
.LBB71_3062:
	s_delay_alu instid0(SALU_CYCLE_1)
	s_and_not1_b32 vcc_lo, exec_lo, s0
	s_cbranch_vccnz .LBB71_3064
; %bb.3063:
	s_wait_xcnt 0x0
	v_cndmask_b32_e64 v0, 0, 1.0, s4
	s_delay_alu instid0(VALU_DEP_1) | instskip(NEXT) | instid1(VALU_DEP_1)
	v_cvt_f16_f32_e32 v0, v0
	v_and_b32_e32 v0, 0xffff, v0
	global_store_b32 v[2:3], v0, off
.LBB71_3064:
	s_mov_b32 s0, 0
.LBB71_3065:
	s_delay_alu instid0(SALU_CYCLE_1)
	s_and_not1_b32 vcc_lo, exec_lo, s0
	s_cbranch_vccnz .LBB71_3074
; %bb.3066:
	s_sext_i32_i16 s2, s1
	s_mov_b32 s0, -1
	s_cmp_lt_i32 s2, 6
	s_cbranch_scc1 .LBB71_3072
; %bb.3067:
	s_cmp_gt_i32 s2, 6
	s_cbranch_scc0 .LBB71_3069
; %bb.3068:
	s_wait_xcnt 0x0
	v_cndmask_b32_e64 v0, 0, 1, s4
	s_mov_b32 s0, 0
	s_delay_alu instid0(VALU_DEP_1)
	v_cvt_f64_u32_e32 v[0:1], v0
	global_store_b64 v[2:3], v[0:1], off
.LBB71_3069:
	s_and_not1_b32 vcc_lo, exec_lo, s0
	s_cbranch_vccnz .LBB71_3071
; %bb.3070:
	s_wait_xcnt 0x0
	v_cndmask_b32_e64 v0, 0, 1.0, s4
	global_store_b32 v[2:3], v0, off
.LBB71_3071:
	s_mov_b32 s0, 0
.LBB71_3072:
	s_delay_alu instid0(SALU_CYCLE_1)
	s_and_not1_b32 vcc_lo, exec_lo, s0
	s_cbranch_vccnz .LBB71_3074
; %bb.3073:
	s_wait_xcnt 0x0
	v_cndmask_b32_e64 v0, 0, 1.0, s4
	s_delay_alu instid0(VALU_DEP_1)
	v_cvt_f16_f32_e32 v0, v0
	global_store_b16 v[2:3], v0, off
.LBB71_3074:
	s_mov_b32 s0, 0
.LBB71_3075:
	s_delay_alu instid0(SALU_CYCLE_1)
	s_and_not1_b32 vcc_lo, exec_lo, s0
	s_cbranch_vccnz .LBB71_3091
; %bb.3076:
	s_sext_i32_i16 s2, s1
	s_mov_b32 s0, -1
	s_cmp_lt_i32 s2, 2
	s_cbranch_scc1 .LBB71_3086
; %bb.3077:
	s_cmp_lt_i32 s2, 3
	s_cbranch_scc1 .LBB71_3083
; %bb.3078:
	s_cmp_gt_i32 s2, 3
	s_cbranch_scc0 .LBB71_3080
; %bb.3079:
	s_mov_b32 s0, 0
	s_wait_xcnt 0x0
	v_cndmask_b32_e64 v0, 0, 1, s4
	v_mov_b32_e32 v1, s0
	global_store_b64 v[2:3], v[0:1], off
.LBB71_3080:
	s_and_not1_b32 vcc_lo, exec_lo, s0
	s_cbranch_vccnz .LBB71_3082
; %bb.3081:
	s_wait_xcnt 0x0
	v_cndmask_b32_e64 v0, 0, 1, s4
	global_store_b32 v[2:3], v0, off
.LBB71_3082:
	s_mov_b32 s0, 0
.LBB71_3083:
	s_delay_alu instid0(SALU_CYCLE_1)
	s_and_not1_b32 vcc_lo, exec_lo, s0
	s_cbranch_vccnz .LBB71_3085
; %bb.3084:
	s_wait_xcnt 0x0
	v_cndmask_b32_e64 v0, 0, 1, s4
	global_store_b16 v[2:3], v0, off
.LBB71_3085:
	s_mov_b32 s0, 0
.LBB71_3086:
	s_delay_alu instid0(SALU_CYCLE_1)
	s_and_not1_b32 vcc_lo, exec_lo, s0
	s_cbranch_vccnz .LBB71_3091
; %bb.3087:
	s_sext_i32_i16 s0, s1
	s_delay_alu instid0(SALU_CYCLE_1)
	s_cmp_gt_i32 s0, 0
	s_mov_b32 s0, -1
	s_cbranch_scc0 .LBB71_3089
; %bb.3088:
	s_wait_xcnt 0x0
	v_cndmask_b32_e64 v0, 0, 1, s4
	s_mov_b32 s0, 0
	global_store_b8 v[2:3], v0, off
.LBB71_3089:
	s_and_not1_b32 vcc_lo, exec_lo, s0
	s_cbranch_vccnz .LBB71_3091
; %bb.3090:
	s_wait_xcnt 0x0
	v_cndmask_b32_e64 v0, 0, 1, s4
	global_store_b8 v[2:3], v0, off
	s_endpgm
.LBB71_3091:
	s_endpgm
.LBB71_3092:
	s_mov_b32 s2, 0
	s_mov_b32 s0, -1
	s_branch .LBB71_3048
.LBB71_3093:
	s_or_b32 s10, s10, exec_lo
	s_trap 2
	s_cbranch_execz .LBB71_2563
	s_branch .LBB71_2564
.LBB71_3094:
	s_and_not1_saveexec_b32 s13, s13
	s_cbranch_execz .LBB71_2643
.LBB71_3095:
	v_add_f32_e32 v1, 0x46000000, v3
	s_and_not1_b32 s12, s12, exec_lo
	s_delay_alu instid0(VALU_DEP_1) | instskip(NEXT) | instid1(VALU_DEP_1)
	v_and_b32_e32 v1, 0xff, v1
	v_cmp_ne_u32_e32 vcc_lo, 0, v1
	s_and_b32 s14, vcc_lo, exec_lo
	s_delay_alu instid0(SALU_CYCLE_1)
	s_or_b32 s12, s12, s14
	s_or_b32 exec_lo, exec_lo, s13
	v_mov_b32_e32 v5, 0
	s_and_saveexec_b32 s13, s12
	s_cbranch_execnz .LBB71_2644
	s_branch .LBB71_2645
.LBB71_3096:
	s_or_b32 s10, s10, exec_lo
	s_trap 2
	s_cbranch_execz .LBB71_2691
	s_branch .LBB71_2692
.LBB71_3097:
	s_and_not1_saveexec_b32 s12, s12
	s_cbranch_execz .LBB71_2656
.LBB71_3098:
	v_add_f32_e32 v1, 0x42800000, v3
	s_and_not1_b32 s11, s11, exec_lo
	s_delay_alu instid0(VALU_DEP_1) | instskip(NEXT) | instid1(VALU_DEP_1)
	v_and_b32_e32 v1, 0xff, v1
	v_cmp_ne_u32_e32 vcc_lo, 0, v1
	s_and_b32 s13, vcc_lo, exec_lo
	s_delay_alu instid0(SALU_CYCLE_1)
	s_or_b32 s11, s11, s13
	s_or_b32 exec_lo, exec_lo, s12
	v_mov_b32_e32 v5, 0
	s_and_saveexec_b32 s12, s11
	s_cbranch_execnz .LBB71_2657
	s_branch .LBB71_2658
.LBB71_3099:
	s_and_not1_saveexec_b32 s13, s13
	s_cbranch_execz .LBB71_2761
.LBB71_3100:
	v_add_f32_e32 v1, 0x46000000, v3
	s_and_not1_b32 s12, s12, exec_lo
	s_delay_alu instid0(VALU_DEP_1) | instskip(NEXT) | instid1(VALU_DEP_1)
	v_and_b32_e32 v1, 0xff, v1
	v_cmp_ne_u32_e32 vcc_lo, 0, v1
	s_and_b32 s14, vcc_lo, exec_lo
	s_delay_alu instid0(SALU_CYCLE_1)
	s_or_b32 s12, s12, s14
	s_or_b32 exec_lo, exec_lo, s13
	v_mov_b32_e32 v6, 0
	s_and_saveexec_b32 s13, s12
	s_cbranch_execnz .LBB71_2762
	s_branch .LBB71_2763
.LBB71_3101:
	s_or_b32 s10, s10, exec_lo
	s_trap 2
	s_cbranch_execz .LBB71_2809
	s_branch .LBB71_2810
.LBB71_3102:
	s_and_not1_saveexec_b32 s12, s12
	s_cbranch_execz .LBB71_2774
.LBB71_3103:
	v_add_f32_e32 v1, 0x42800000, v3
	s_and_not1_b32 s11, s11, exec_lo
	s_delay_alu instid0(VALU_DEP_1) | instskip(NEXT) | instid1(VALU_DEP_1)
	v_and_b32_e32 v1, 0xff, v1
	v_cmp_ne_u32_e32 vcc_lo, 0, v1
	s_and_b32 s13, vcc_lo, exec_lo
	s_delay_alu instid0(SALU_CYCLE_1)
	s_or_b32 s11, s11, s13
	s_or_b32 exec_lo, exec_lo, s12
	v_mov_b32_e32 v6, 0
	s_and_saveexec_b32 s12, s11
	s_cbranch_execnz .LBB71_2775
	s_branch .LBB71_2776
.LBB71_3104:
	s_and_not1_saveexec_b32 s13, s13
	s_cbranch_execz .LBB71_2880
.LBB71_3105:
	v_add_f32_e32 v1, 0x46000000, v4
	s_and_not1_b32 s12, s12, exec_lo
	s_delay_alu instid0(VALU_DEP_1) | instskip(NEXT) | instid1(VALU_DEP_1)
	v_and_b32_e32 v1, 0xff, v1
	v_cmp_ne_u32_e32 vcc_lo, 0, v1
	s_and_b32 s14, vcc_lo, exec_lo
	s_delay_alu instid0(SALU_CYCLE_1)
	s_or_b32 s12, s12, s14
	s_or_b32 exec_lo, exec_lo, s13
	v_mov_b32_e32 v5, 0
	s_and_saveexec_b32 s13, s12
	s_cbranch_execnz .LBB71_2881
	s_branch .LBB71_2882
.LBB71_3106:
	s_or_b32 s10, s10, exec_lo
	s_trap 2
	s_cbranch_execz .LBB71_2928
	s_branch .LBB71_2929
.LBB71_3107:
	s_and_not1_saveexec_b32 s12, s12
	s_cbranch_execz .LBB71_2893
.LBB71_3108:
	v_add_f32_e32 v1, 0x42800000, v4
	s_and_not1_b32 s11, s11, exec_lo
	s_delay_alu instid0(VALU_DEP_1) | instskip(NEXT) | instid1(VALU_DEP_1)
	v_and_b32_e32 v1, 0xff, v1
	v_cmp_ne_u32_e32 vcc_lo, 0, v1
	s_and_b32 s13, vcc_lo, exec_lo
	s_delay_alu instid0(SALU_CYCLE_1)
	s_or_b32 s11, s11, s13
	s_or_b32 exec_lo, exec_lo, s12
	v_mov_b32_e32 v5, 0
	s_and_saveexec_b32 s12, s11
	s_cbranch_execnz .LBB71_2894
	s_branch .LBB71_2895
.LBB71_3109:
	s_and_not1_saveexec_b32 s7, s7
	s_cbranch_execz .LBB71_3000
.LBB71_3110:
	v_add_f32_e32 v0, 0x46000000, v1
	s_and_not1_b32 s6, s6, exec_lo
	s_delay_alu instid0(VALU_DEP_1) | instskip(NEXT) | instid1(VALU_DEP_1)
	v_and_b32_e32 v0, 0xff, v0
	v_cmp_ne_u32_e32 vcc_lo, 0, v0
	s_and_b32 s11, vcc_lo, exec_lo
	s_delay_alu instid0(SALU_CYCLE_1)
	s_or_b32 s6, s6, s11
	s_or_b32 exec_lo, exec_lo, s7
	v_mov_b32_e32 v4, 0
	s_and_saveexec_b32 s7, s6
	s_cbranch_execnz .LBB71_3001
	s_branch .LBB71_3002
.LBB71_3111:
	s_mov_b32 s2, 0
	s_or_b32 s10, s10, exec_lo
	s_trap 2
	s_branch .LBB71_3046
.LBB71_3112:
	s_and_not1_saveexec_b32 s6, s6
	s_cbranch_execz .LBB71_3012
.LBB71_3113:
	v_add_f32_e32 v0, 0x42800000, v1
	s_and_not1_b32 s5, s5, exec_lo
	s_delay_alu instid0(VALU_DEP_1) | instskip(NEXT) | instid1(VALU_DEP_1)
	v_and_b32_e32 v0, 0xff, v0
	v_cmp_ne_u32_e32 vcc_lo, 0, v0
	s_and_b32 s7, vcc_lo, exec_lo
	s_delay_alu instid0(SALU_CYCLE_1)
	s_or_b32 s5, s5, s7
	s_or_b32 exec_lo, exec_lo, s6
	v_mov_b32_e32 v4, 0
	s_and_saveexec_b32 s6, s5
	s_cbranch_execnz .LBB71_3013
	s_branch .LBB71_3014
	.section	.rodata,"a",@progbits
	.p2align	6, 0x0
	.amdhsa_kernel _ZN2at6native32elementwise_kernel_manual_unrollILi128ELi4EZNS0_15gpu_kernel_implINS0_13BinaryFunctorIssbNS0_12_GLOBAL__N_116CompareEqFunctorIsEEEEEEvRNS_18TensorIteratorBaseERKT_EUlibE0_EEviT1_
		.amdhsa_group_segment_fixed_size 0
		.amdhsa_private_segment_fixed_size 0
		.amdhsa_kernarg_size 432
		.amdhsa_user_sgpr_count 2
		.amdhsa_user_sgpr_dispatch_ptr 0
		.amdhsa_user_sgpr_queue_ptr 0
		.amdhsa_user_sgpr_kernarg_segment_ptr 1
		.amdhsa_user_sgpr_dispatch_id 0
		.amdhsa_user_sgpr_kernarg_preload_length 0
		.amdhsa_user_sgpr_kernarg_preload_offset 0
		.amdhsa_user_sgpr_private_segment_size 0
		.amdhsa_wavefront_size32 1
		.amdhsa_uses_dynamic_stack 0
		.amdhsa_enable_private_segment 0
		.amdhsa_system_sgpr_workgroup_id_x 1
		.amdhsa_system_sgpr_workgroup_id_y 0
		.amdhsa_system_sgpr_workgroup_id_z 0
		.amdhsa_system_sgpr_workgroup_info 0
		.amdhsa_system_vgpr_workitem_id 0
		.amdhsa_next_free_vgpr 28
		.amdhsa_next_free_sgpr 62
		.amdhsa_named_barrier_count 0
		.amdhsa_reserve_vcc 1
		.amdhsa_float_round_mode_32 0
		.amdhsa_float_round_mode_16_64 0
		.amdhsa_float_denorm_mode_32 3
		.amdhsa_float_denorm_mode_16_64 3
		.amdhsa_fp16_overflow 0
		.amdhsa_memory_ordered 1
		.amdhsa_forward_progress 1
		.amdhsa_inst_pref_size 255
		.amdhsa_round_robin_scheduling 0
		.amdhsa_exception_fp_ieee_invalid_op 0
		.amdhsa_exception_fp_denorm_src 0
		.amdhsa_exception_fp_ieee_div_zero 0
		.amdhsa_exception_fp_ieee_overflow 0
		.amdhsa_exception_fp_ieee_underflow 0
		.amdhsa_exception_fp_ieee_inexact 0
		.amdhsa_exception_int_div_zero 0
	.end_amdhsa_kernel
	.section	.text._ZN2at6native32elementwise_kernel_manual_unrollILi128ELi4EZNS0_15gpu_kernel_implINS0_13BinaryFunctorIssbNS0_12_GLOBAL__N_116CompareEqFunctorIsEEEEEEvRNS_18TensorIteratorBaseERKT_EUlibE0_EEviT1_,"axG",@progbits,_ZN2at6native32elementwise_kernel_manual_unrollILi128ELi4EZNS0_15gpu_kernel_implINS0_13BinaryFunctorIssbNS0_12_GLOBAL__N_116CompareEqFunctorIsEEEEEEvRNS_18TensorIteratorBaseERKT_EUlibE0_EEviT1_,comdat
.Lfunc_end71:
	.size	_ZN2at6native32elementwise_kernel_manual_unrollILi128ELi4EZNS0_15gpu_kernel_implINS0_13BinaryFunctorIssbNS0_12_GLOBAL__N_116CompareEqFunctorIsEEEEEEvRNS_18TensorIteratorBaseERKT_EUlibE0_EEviT1_, .Lfunc_end71-_ZN2at6native32elementwise_kernel_manual_unrollILi128ELi4EZNS0_15gpu_kernel_implINS0_13BinaryFunctorIssbNS0_12_GLOBAL__N_116CompareEqFunctorIsEEEEEEvRNS_18TensorIteratorBaseERKT_EUlibE0_EEviT1_
                                        ; -- End function
	.set _ZN2at6native32elementwise_kernel_manual_unrollILi128ELi4EZNS0_15gpu_kernel_implINS0_13BinaryFunctorIssbNS0_12_GLOBAL__N_116CompareEqFunctorIsEEEEEEvRNS_18TensorIteratorBaseERKT_EUlibE0_EEviT1_.num_vgpr, 28
	.set _ZN2at6native32elementwise_kernel_manual_unrollILi128ELi4EZNS0_15gpu_kernel_implINS0_13BinaryFunctorIssbNS0_12_GLOBAL__N_116CompareEqFunctorIsEEEEEEvRNS_18TensorIteratorBaseERKT_EUlibE0_EEviT1_.num_agpr, 0
	.set _ZN2at6native32elementwise_kernel_manual_unrollILi128ELi4EZNS0_15gpu_kernel_implINS0_13BinaryFunctorIssbNS0_12_GLOBAL__N_116CompareEqFunctorIsEEEEEEvRNS_18TensorIteratorBaseERKT_EUlibE0_EEviT1_.numbered_sgpr, 62
	.set _ZN2at6native32elementwise_kernel_manual_unrollILi128ELi4EZNS0_15gpu_kernel_implINS0_13BinaryFunctorIssbNS0_12_GLOBAL__N_116CompareEqFunctorIsEEEEEEvRNS_18TensorIteratorBaseERKT_EUlibE0_EEviT1_.num_named_barrier, 0
	.set _ZN2at6native32elementwise_kernel_manual_unrollILi128ELi4EZNS0_15gpu_kernel_implINS0_13BinaryFunctorIssbNS0_12_GLOBAL__N_116CompareEqFunctorIsEEEEEEvRNS_18TensorIteratorBaseERKT_EUlibE0_EEviT1_.private_seg_size, 0
	.set _ZN2at6native32elementwise_kernel_manual_unrollILi128ELi4EZNS0_15gpu_kernel_implINS0_13BinaryFunctorIssbNS0_12_GLOBAL__N_116CompareEqFunctorIsEEEEEEvRNS_18TensorIteratorBaseERKT_EUlibE0_EEviT1_.uses_vcc, 1
	.set _ZN2at6native32elementwise_kernel_manual_unrollILi128ELi4EZNS0_15gpu_kernel_implINS0_13BinaryFunctorIssbNS0_12_GLOBAL__N_116CompareEqFunctorIsEEEEEEvRNS_18TensorIteratorBaseERKT_EUlibE0_EEviT1_.uses_flat_scratch, 0
	.set _ZN2at6native32elementwise_kernel_manual_unrollILi128ELi4EZNS0_15gpu_kernel_implINS0_13BinaryFunctorIssbNS0_12_GLOBAL__N_116CompareEqFunctorIsEEEEEEvRNS_18TensorIteratorBaseERKT_EUlibE0_EEviT1_.has_dyn_sized_stack, 0
	.set _ZN2at6native32elementwise_kernel_manual_unrollILi128ELi4EZNS0_15gpu_kernel_implINS0_13BinaryFunctorIssbNS0_12_GLOBAL__N_116CompareEqFunctorIsEEEEEEvRNS_18TensorIteratorBaseERKT_EUlibE0_EEviT1_.has_recursion, 0
	.set _ZN2at6native32elementwise_kernel_manual_unrollILi128ELi4EZNS0_15gpu_kernel_implINS0_13BinaryFunctorIssbNS0_12_GLOBAL__N_116CompareEqFunctorIsEEEEEEvRNS_18TensorIteratorBaseERKT_EUlibE0_EEviT1_.has_indirect_call, 0
	.section	.AMDGPU.csdata,"",@progbits
; Kernel info:
; codeLenInByte = 55508
; TotalNumSgprs: 64
; NumVgprs: 28
; ScratchSize: 0
; MemoryBound: 1
; FloatMode: 240
; IeeeMode: 1
; LDSByteSize: 0 bytes/workgroup (compile time only)
; SGPRBlocks: 0
; VGPRBlocks: 1
; NumSGPRsForWavesPerEU: 64
; NumVGPRsForWavesPerEU: 28
; NamedBarCnt: 0
; Occupancy: 16
; WaveLimiterHint : 1
; COMPUTE_PGM_RSRC2:SCRATCH_EN: 0
; COMPUTE_PGM_RSRC2:USER_SGPR: 2
; COMPUTE_PGM_RSRC2:TRAP_HANDLER: 0
; COMPUTE_PGM_RSRC2:TGID_X_EN: 1
; COMPUTE_PGM_RSRC2:TGID_Y_EN: 0
; COMPUTE_PGM_RSRC2:TGID_Z_EN: 0
; COMPUTE_PGM_RSRC2:TIDIG_COMP_CNT: 0
	.section	.text._ZN2at6native29vectorized_elementwise_kernelILi16ENS0_13AUnaryFunctorIssbNS0_12_GLOBAL__N_116CompareEqFunctorIsEEEESt5arrayIPcLm2EEEEviT0_T1_,"axG",@progbits,_ZN2at6native29vectorized_elementwise_kernelILi16ENS0_13AUnaryFunctorIssbNS0_12_GLOBAL__N_116CompareEqFunctorIsEEEESt5arrayIPcLm2EEEEviT0_T1_,comdat
	.globl	_ZN2at6native29vectorized_elementwise_kernelILi16ENS0_13AUnaryFunctorIssbNS0_12_GLOBAL__N_116CompareEqFunctorIsEEEESt5arrayIPcLm2EEEEviT0_T1_ ; -- Begin function _ZN2at6native29vectorized_elementwise_kernelILi16ENS0_13AUnaryFunctorIssbNS0_12_GLOBAL__N_116CompareEqFunctorIsEEEESt5arrayIPcLm2EEEEviT0_T1_
	.p2align	8
	.type	_ZN2at6native29vectorized_elementwise_kernelILi16ENS0_13AUnaryFunctorIssbNS0_12_GLOBAL__N_116CompareEqFunctorIsEEEESt5arrayIPcLm2EEEEviT0_T1_,@function
_ZN2at6native29vectorized_elementwise_kernelILi16ENS0_13AUnaryFunctorIssbNS0_12_GLOBAL__N_116CompareEqFunctorIsEEEESt5arrayIPcLm2EEEEviT0_T1_: ; @_ZN2at6native29vectorized_elementwise_kernelILi16ENS0_13AUnaryFunctorIssbNS0_12_GLOBAL__N_116CompareEqFunctorIsEEEESt5arrayIPcLm2EEEEviT0_T1_
; %bb.0:
	s_clause 0x1
	s_load_b96 s[20:22], s[0:1], 0x0
	s_load_b128 s[16:19], s[0:1], 0x10
	s_wait_xcnt 0x0
	s_bfe_u32 s0, ttmp6, 0x4000c
	s_and_b32 s1, ttmp6, 15
	s_add_co_i32 s0, s0, 1
	s_getreg_b32 s2, hwreg(HW_REG_IB_STS2, 6, 4)
	s_mul_i32 s0, ttmp9, s0
	s_delay_alu instid0(SALU_CYCLE_1) | instskip(SKIP_2) | instid1(SALU_CYCLE_1)
	s_add_co_i32 s1, s1, s0
	s_cmp_eq_u32 s2, 0
	s_cselect_b32 s0, ttmp9, s1
	s_lshl_b32 s24, s0, 12
	s_mov_b32 s0, -1
	s_wait_kmcnt 0x0
	s_sub_co_i32 s15, s20, s24
	s_delay_alu instid0(SALU_CYCLE_1)
	s_cmp_gt_i32 s15, 0xfff
	s_cbranch_scc0 .LBB72_2
; %bb.1:
	s_ashr_i32 s25, s24, 31
	v_lshlrev_b32_e32 v1, 5, v0
	s_lshl_b64 s[0:1], s[24:25], 1
	s_cmp_eq_u32 s21, 0
	s_add_nc_u64 s[0:1], s[18:19], s[0:1]
	s_cselect_b32 s20, -1, 0
	s_clause 0x1
	global_load_b128 v[2:5], v1, s[0:1] offset:16
	global_load_b128 v[6:9], v1, s[0:1]
	s_wait_loadcnt 0x1
	s_wait_xcnt 0x0
	v_cmp_ne_u16_e64 s0, s22, v5
	v_lshrrev_b32_e32 v1, 16, v4
	v_cmp_ne_u16_e32 vcc_lo, s22, v4
	v_dual_lshrrev_b32 v4, 16, v5 :: v_dual_lshrrev_b32 v5, 16, v2
	v_cmp_ne_u16_e64 s1, s22, v2
	v_lshrrev_b32_e32 v2, 16, v3
	v_cmp_ne_u16_e64 s2, s22, v3
	s_wait_loadcnt 0x0
	v_lshrrev_b32_e32 v3, 16, v8
	s_xor_b32 s0, s20, s0
	v_cmp_ne_u16_e64 s3, s22, v8
	v_cmp_ne_u16_e64 s10, s22, v2
	v_cndmask_b32_e64 v2, 0, 1, s0
	s_xor_b32 s0, s20, s1
	v_cmp_ne_u16_e64 s4, s22, v9
	s_xor_b32 s23, s20, vcc_lo
	v_cmp_ne_u16_e64 s11, s22, v3
	v_cndmask_b32_e64 v3, 0, 1, s0
	s_xor_b32 s0, s20, s2
	v_dual_lshrrev_b32 v8, 16, v9 :: v_dual_lshrrev_b32 v9, 16, v6
	v_cmp_ne_u16_e64 s5, s22, v6
	v_cmp_ne_u16_e64 s7, s22, v1
	v_cndmask_b32_e64 v1, 0, 1, s23
	v_lshrrev_b32_e32 v6, 16, v7
	v_cmp_ne_u16_e64 s8, s22, v4
	v_cndmask_b32_e64 v4, 0, 1, s0
	s_xor_b32 s0, s20, s3
	v_cmp_ne_u16_e64 s6, s22, v7
	v_cmp_ne_u16_e64 s9, s22, v5
	v_cndmask_b32_e64 v5, 0, 1, s0
	s_xor_b32 s0, s20, s4
	v_cmp_ne_u16_e64 s14, s22, v6
	v_cndmask_b32_e64 v6, 0, 1, s0
	s_xor_b32 s0, s20, s5
	;; [unrolled: 3-line block ×4, first 2 shown]
	s_add_nc_u64 s[2:3], s[16:17], s[24:25]
	v_cndmask_b32_e64 v9, 0, 1, s0
	s_xor_b32 s0, s20, s8
	s_delay_alu instid0(SALU_CYCLE_1) | instskip(SKIP_1) | instid1(VALU_DEP_2)
	v_cndmask_b32_e64 v10, 0, 1, s0
	s_xor_b32 s0, s20, s9
	v_lshlrev_b16 v9, 8, v9
	v_cndmask_b32_e64 v11, 0, 1, s0
	s_xor_b32 s0, s20, s10
	v_lshlrev_b16 v10, 8, v10
	;; [unrolled: 3-line block ×6, first 2 shown]
	v_cndmask_b32_e64 v16, 0, 1, s0
	v_or_b32_e32 v1, v1, v9
	v_lshlrev_b16 v15, 8, v15
	s_mov_b32 s0, 0
	v_or_b32_e32 v6, v6, v14
	v_lshlrev_b16 v16, 8, v16
	v_or_b32_e32 v4, v4, v12
	v_or_b32_e32 v7, v7, v15
	v_and_b32_e32 v1, 0xffff, v1
	v_lshlrev_b32_e32 v6, 16, v6
	s_delay_alu instid0(VALU_DEP_4) | instskip(SKIP_2) | instid1(VALU_DEP_3)
	v_dual_lshlrev_b32 v4, 16, v4 :: v_dual_bitop2_b32 v2, v2, v10 bitop3:0x54
	v_or_b32_e32 v3, v3, v11
	v_or_b32_e32 v8, v8, v16
	v_dual_lshlrev_b32 v2, 16, v2 :: v_dual_bitop2_b32 v5, v5, v13 bitop3:0x54
	v_and_b32_e32 v7, 0xffff, v7
	s_delay_alu instid0(VALU_DEP_4) | instskip(NEXT) | instid1(VALU_DEP_4)
	v_and_b32_e32 v3, 0xffff, v3
	v_lshlrev_b32_e32 v8, 16, v8
	s_delay_alu instid0(VALU_DEP_4) | instskip(SKIP_1) | instid1(VALU_DEP_4)
	v_and_b32_e32 v9, 0xffff, v5
	v_or_b32_e32 v5, v1, v2
	v_or_b32_e32 v4, v3, v4
	s_delay_alu instid0(VALU_DEP_4) | instskip(NEXT) | instid1(VALU_DEP_4)
	v_or_b32_e32 v2, v7, v8
	v_or_b32_e32 v3, v9, v6
	global_store_b128 v0, v[2:5], s[2:3] scale_offset
.LBB72_2:
	s_and_not1_b32 vcc_lo, exec_lo, s0
	s_cbranch_vccnz .LBB72_52
; %bb.3:
	v_cmp_gt_i32_e32 vcc_lo, s15, v0
	v_dual_mov_b32 v6, 0 :: v_dual_bitop2_b32 v1, s24, v0 bitop3:0x54
	s_wait_xcnt 0x0
	v_or_b32_e32 v2, 0x100, v0
	v_dual_mov_b32 v7, 0 :: v_dual_mov_b32 v9, v0
	s_and_saveexec_b32 s0, vcc_lo
	s_cbranch_execz .LBB72_5
; %bb.4:
	global_load_u16 v7, v1, s[18:19] scale_offset
	v_or_b32_e32 v9, 0x100, v0
.LBB72_5:
	s_wait_xcnt 0x0
	s_or_b32 exec_lo, exec_lo, s0
	s_delay_alu instid0(SALU_CYCLE_1) | instskip(NEXT) | instid1(VALU_DEP_1)
	s_mov_b32 s1, exec_lo
	v_cmpx_gt_i32_e64 s15, v9
	s_cbranch_execz .LBB72_7
; %bb.6:
	v_add_nc_u32_e32 v3, s24, v9
	v_add_nc_u32_e32 v9, 0x100, v9
	global_load_u16 v6, v3, s[18:19] scale_offset
.LBB72_7:
	s_wait_xcnt 0x0
	s_or_b32 exec_lo, exec_lo, s1
	v_dual_mov_b32 v4, 0 :: v_dual_mov_b32 v5, 0
	s_mov_b32 s1, exec_lo
	v_cmpx_gt_i32_e64 s15, v9
	s_cbranch_execz .LBB72_9
; %bb.8:
	v_add_nc_u32_e32 v3, s24, v9
	v_add_nc_u32_e32 v9, 0x100, v9
	global_load_u16 v5, v3, s[18:19] scale_offset
.LBB72_9:
	s_wait_xcnt 0x0
	s_or_b32 exec_lo, exec_lo, s1
	s_delay_alu instid0(SALU_CYCLE_1)
	s_mov_b32 s1, exec_lo
	v_cmpx_gt_i32_e64 s15, v9
	s_cbranch_execz .LBB72_11
; %bb.10:
	v_add_nc_u32_e32 v3, s24, v9
	v_add_nc_u32_e32 v9, 0x100, v9
	global_load_u16 v4, v3, s[18:19] scale_offset
.LBB72_11:
	s_wait_xcnt 0x0
	s_or_b32 exec_lo, exec_lo, s1
	v_dual_mov_b32 v12, 0 :: v_dual_mov_b32 v14, 0
	s_mov_b32 s1, exec_lo
	v_cmpx_gt_i32_e64 s15, v9
	s_cbranch_execz .LBB72_13
; %bb.12:
	v_add_nc_u32_e32 v3, s24, v9
	v_add_nc_u32_e32 v9, 0x100, v9
	global_load_u16 v14, v3, s[18:19] scale_offset
.LBB72_13:
	s_wait_xcnt 0x0
	s_or_b32 exec_lo, exec_lo, s1
	s_delay_alu instid0(SALU_CYCLE_1)
	;; [unrolled: 22-line block ×7, first 2 shown]
	s_mov_b32 s1, exec_lo
	v_cmpx_gt_i32_e64 s15, v9
	s_cbranch_execz .LBB72_35
; %bb.34:
	v_add_nc_u32_e32 v9, s24, v9
	global_load_u16 v16, v9, s[18:19] scale_offset
.LBB72_35:
	s_wait_xcnt 0x0
	s_or_b32 exec_lo, exec_lo, s1
	s_wait_loadcnt 0x0
	v_cmp_ne_u16_e64 s0, s22, v7
	s_cmp_eq_u32 s21, 0
	v_cmp_ne_u16_e64 s1, s22, v6
	s_cselect_b32 s4, -1, 0
	v_cmp_ne_u16_e64 s2, s22, v14
	s_xor_b32 s0, s4, s0
	v_cmp_ne_u16_e64 s3, s22, v10
	v_cndmask_b32_e64 v6, 0, 1, s0
	s_xor_b32 s0, s4, s1
	v_cmp_gt_i32_e64 s1, s15, v2
	v_cndmask_b32_e64 v7, 0, 1, s0
	s_xor_b32 s0, s4, s2
	v_or_b32_e32 v10, 0xc00, v0
	v_cndmask_b32_e64 v9, 0, 1, s0
	v_cmp_ne_u16_e64 s0, s22, v12
	v_or_b32_e32 v12, 0x400, v0
	v_lshlrev_b16 v7, 8, v7
	s_delay_alu instid0(VALU_DEP_4) | instskip(SKIP_1) | instid1(SALU_CYCLE_1)
	v_bitop3_b16 v9, v9, 0, 0xff00 bitop3:0xf8
	s_xor_b32 s0, s4, s0
	v_cndmask_b32_e64 v14, 0, 1, s0
	v_cmp_gt_i32_e64 s0, s15, v12
	s_delay_alu instid0(VALU_DEP_3) | instskip(SKIP_1) | instid1(VALU_DEP_4)
	v_and_b32_e32 v9, 0xffff, v9
	v_cndmask_b32_e32 v6, 0, v6, vcc_lo
	v_lshlrev_b16 v12, 8, v14
	v_or_b32_e32 v14, 0x200, v0
	s_delay_alu instid0(VALU_DEP_3) | instskip(SKIP_1) | instid1(VALU_DEP_3)
	v_dual_cndmask_b32 v9, 0, v9, s0 :: v_dual_bitop2_b32 v7, v6, v7 bitop3:0x54
	v_cmp_ne_u16_e64 s0, s22, v5
	v_cmp_gt_i32_e64 s2, s15, v14
	s_delay_alu instid0(VALU_DEP_3) | instskip(SKIP_1) | instid1(VALU_DEP_1)
	v_and_b32_e32 v7, 0xffff, v7
	s_xor_b32 s0, s4, s0
	v_cndmask_b32_e64 v5, v6, v7, s1
	v_bitop3_b16 v6, v9, v12, 0xff bitop3:0xec
	v_or_b32_e32 v12, 0x500, v0
	v_cndmask_b32_e64 v7, 0, 1, s0
	v_cmp_ne_u16_e64 s0, s22, v4
	s_delay_alu instid0(VALU_DEP_4) | instskip(NEXT) | instid1(VALU_DEP_4)
	v_and_b32_e32 v6, 0xffff, v6
	v_cmp_gt_i32_e64 s1, s15, v12
	s_delay_alu instid0(VALU_DEP_4)
	v_lshl_or_b32 v7, v7, 16, v5
	s_xor_b32 s0, s4, s0
	v_cndmask_b32_e64 v4, v9, v6, s1
	v_cmp_ne_u16_e64 s1, s22, v13
	v_cndmask_b32_e64 v6, 0, 1, s0
	v_cndmask_b32_e64 v5, v5, v7, s2
	v_cmp_ne_u16_e64 s2, s22, v17
	v_lshrrev_b32_e32 v7, 16, v4
	s_xor_b32 s0, s4, s1
	v_cmp_ne_u16_e64 s1, s22, v18
	v_cndmask_b32_e64 v9, 0, 1, s0
	v_cmp_ne_u16_e64 s0, s22, v15
	v_lshlrev_b16 v6, 8, v6
	s_xor_b32 s1, s4, s1
	v_bitop3_b16 v7, v9, v7, 0xff00 bitop3:0xf8
	s_xor_b32 s0, s4, s0
	v_cndmask_b32_e64 v13, 0, 1, s1
	s_xor_b32 s1, s4, s2
	v_cndmask_b32_e64 v15, 0, 1, s0
	v_lshlrev_b32_e32 v7, 16, v7
	v_cmp_gt_i32_e64 s0, s15, v10
	v_lshrrev_b32_e32 v12, 16, v5
	v_or_b32_e32 v9, 0x600, v0
	v_cndmask_b32_e64 v14, 0, 1, s1
	v_and_or_b32 v7, 0xffff, v4, v7
	v_cndmask_b32_e64 v10, 0, v13, s0
	s_xor_b32 s0, s4, s3
	v_bitop3_b16 v6, v12, v6, 0xff bitop3:0xec
	v_or_b32_e32 v12, 0x800, v0
	v_lshlrev_b16 v13, 8, v14
	v_cndmask_b32_e64 v14, 0, 1, s0
	v_cmp_gt_i32_e64 s0, s15, v9
	v_cmp_ne_u16_e64 s1, s22, v11
	s_delay_alu instid0(VALU_DEP_2)
	v_dual_lshlrev_b32 v6, 16, v6 :: v_dual_cndmask_b32 v4, v4, v7, s0
	v_cmp_gt_i32_e64 s0, s15, v12
	v_bitop3_b16 v7, v10, v13, 0xff bitop3:0xec
	v_lshlrev_b16 v12, 8, v14
	v_or_b32_e32 v13, 0x900, v0
	s_xor_b32 s1, s4, s1
	v_cndmask_b32_e64 v9, 0, v15, s0
	v_cmp_ne_u16_e64 s0, s22, v3
	v_or_b32_e32 v3, 0xd00, v0
	v_and_b32_e32 v7, 0xffff, v7
	v_and_or_b32 v6, 0xffff, v5, v6
	s_xor_b32 s0, s4, s0
	s_delay_alu instid0(VALU_DEP_3) | instskip(NEXT) | instid1(VALU_DEP_1)
	v_cmp_gt_i32_e64 s2, s15, v3
	v_dual_cndmask_b32 v3, v10, v7, s2 :: v_dual_bitop2_b32 v12, v9, v12 bitop3:0x54
	v_cmp_ne_u16_e64 s2, s22, v19
	v_cndmask_b32_e64 v10, 0, 1, s1
	s_delay_alu instid0(VALU_DEP_3) | instskip(NEXT) | instid1(VALU_DEP_4)
	v_and_b32_e32 v7, 0xffff, v12
	v_lshrrev_b32_e32 v11, 16, v3
	s_xor_b32 s1, s4, s2
	s_delay_alu instid0(SALU_CYCLE_1) | instskip(SKIP_2) | instid1(VALU_DEP_3)
	v_cndmask_b32_e64 v12, 0, 1, s1
	v_cmp_gt_i32_e64 s1, s15, v13
	v_or_b32_e32 v13, 0xa00, v0
	v_bitop3_b16 v11, v12, v11, 0xff00 bitop3:0xf8
	s_delay_alu instid0(VALU_DEP_3)
	v_dual_lshrrev_b32 v12, 16, v4 :: v_dual_cndmask_b32 v7, v9, v7, s1
	v_lshlrev_b32_e32 v9, 16, v10
	v_cndmask_b32_e64 v10, 0, 1, s0
	v_cmp_ne_u16_e64 s0, s22, v8
	v_cmp_gt_i32_e64 s1, s15, v13
	v_or_b32_e32 v8, 0xe00, v0
	v_and_or_b32 v9, 0x1ff, v7, v9
	v_lshlrev_b32_e32 v11, 16, v11
	s_xor_b32 s0, s4, s0
	v_lshlrev_b16 v10, 8, v10
	v_or_b32_e32 v13, 0x300, v0
	v_cndmask_b32_e64 v7, v7, v9, s1
	v_and_or_b32 v9, 0xffff, v3, v11
	v_cmp_ne_u16_e64 s1, s22, v16
	v_cndmask_b32_e64 v11, 0, 1, s0
	v_cmp_gt_i32_e64 s0, s15, v8
	s_delay_alu instid0(VALU_DEP_2) | instskip(NEXT) | instid1(VALU_DEP_2)
	v_lshlrev_b16 v11, 8, v11
	v_cndmask_b32_e64 v3, v3, v9, s0
	s_xor_b32 s0, s4, s1
	v_bitop3_b16 v9, v12, v10, 0xff bitop3:0xec
	v_cndmask_b32_e64 v8, 0, 1, s0
	v_lshrrev_b32_e32 v10, 16, v7
	v_cmp_gt_i32_e64 s0, s15, v13
	s_delay_alu instid0(VALU_DEP_4) | instskip(NEXT) | instid1(VALU_DEP_4)
	v_dual_lshrrev_b32 v12, 16, v3 :: v_dual_lshlrev_b32 v9, 16, v9
	v_lshlrev_b16 v8, 8, v8
	s_delay_alu instid0(VALU_DEP_4) | instskip(NEXT) | instid1(VALU_DEP_4)
	v_bitop3_b16 v10, v10, v11, 0xff bitop3:0xec
	v_cndmask_b32_e64 v6, v5, v6, s0
	v_or_b32_e32 v11, 0xb00, v0
	v_and_or_b32 v9, 0xffff, v4, v9
	v_bitop3_b16 v8, v12, v8, 0xff bitop3:0xec
	v_lshlrev_b32_e32 v5, 16, v10
	v_or_b32_e32 v10, 0x700, v0
	v_or_b32_e32 v13, 0xf00, v0
	s_delay_alu instid0(VALU_DEP_4) | instskip(NEXT) | instid1(VALU_DEP_4)
	v_lshlrev_b32_e32 v8, 16, v8
	v_and_or_b32 v12, 0xffff, v7, v5
	s_delay_alu instid0(VALU_DEP_4) | instskip(NEXT) | instid1(VALU_DEP_3)
	v_cmp_gt_i32_e64 s0, s15, v10
	v_and_or_b32 v8, 0xffff, v3, v8
	s_delay_alu instid0(VALU_DEP_2) | instskip(SKIP_1) | instid1(VALU_DEP_1)
	v_cndmask_b32_e64 v5, v4, v9, s0
	v_cmp_gt_i32_e64 s0, s15, v11
	v_cndmask_b32_e64 v4, v7, v12, s0
	v_cmp_gt_i32_e64 s0, s15, v13
	s_delay_alu instid0(VALU_DEP_1)
	v_cndmask_b32_e64 v3, v3, v8, s0
	s_and_saveexec_b32 s0, vcc_lo
	s_cbranch_execnz .LBB72_53
; %bb.36:
	s_or_b32 exec_lo, exec_lo, s0
	s_delay_alu instid0(SALU_CYCLE_1)
	s_mov_b32 s0, exec_lo
	v_cmpx_gt_i32_e64 s15, v0
	s_cbranch_execnz .LBB72_54
.LBB72_37:
	s_or_b32 exec_lo, exec_lo, s0
	s_delay_alu instid0(SALU_CYCLE_1)
	s_mov_b32 s0, exec_lo
	v_cmpx_gt_i32_e64 s15, v0
	s_cbranch_execnz .LBB72_55
.LBB72_38:
	s_or_b32 exec_lo, exec_lo, s0
	s_delay_alu instid0(SALU_CYCLE_1)
	s_mov_b32 s0, exec_lo
	v_cmpx_gt_i32_e64 s15, v0
	s_cbranch_execnz .LBB72_56
.LBB72_39:
	s_or_b32 exec_lo, exec_lo, s0
	s_delay_alu instid0(SALU_CYCLE_1)
	s_mov_b32 s0, exec_lo
	v_cmpx_gt_i32_e64 s15, v0
	s_cbranch_execnz .LBB72_57
.LBB72_40:
	s_or_b32 exec_lo, exec_lo, s0
	s_delay_alu instid0(SALU_CYCLE_1)
	s_mov_b32 s0, exec_lo
	v_cmpx_gt_i32_e64 s15, v0
	s_cbranch_execnz .LBB72_58
.LBB72_41:
	s_or_b32 exec_lo, exec_lo, s0
	s_delay_alu instid0(SALU_CYCLE_1)
	s_mov_b32 s0, exec_lo
	v_cmpx_gt_i32_e64 s15, v0
	s_cbranch_execnz .LBB72_59
.LBB72_42:
	s_or_b32 exec_lo, exec_lo, s0
	s_delay_alu instid0(SALU_CYCLE_1)
	s_mov_b32 s0, exec_lo
	v_cmpx_gt_i32_e64 s15, v0
	s_cbranch_execnz .LBB72_60
.LBB72_43:
	s_or_b32 exec_lo, exec_lo, s0
	s_delay_alu instid0(SALU_CYCLE_1)
	s_mov_b32 s0, exec_lo
	v_cmpx_gt_i32_e64 s15, v0
	s_cbranch_execnz .LBB72_61
.LBB72_44:
	s_or_b32 exec_lo, exec_lo, s0
	s_delay_alu instid0(SALU_CYCLE_1)
	s_mov_b32 s0, exec_lo
	v_cmpx_gt_i32_e64 s15, v0
	s_cbranch_execnz .LBB72_62
.LBB72_45:
	s_or_b32 exec_lo, exec_lo, s0
	s_delay_alu instid0(SALU_CYCLE_1)
	s_mov_b32 s0, exec_lo
	v_cmpx_gt_i32_e64 s15, v0
	s_cbranch_execnz .LBB72_63
.LBB72_46:
	s_or_b32 exec_lo, exec_lo, s0
	s_delay_alu instid0(SALU_CYCLE_1)
	s_mov_b32 s0, exec_lo
	v_cmpx_gt_i32_e64 s15, v0
	s_cbranch_execnz .LBB72_64
.LBB72_47:
	s_or_b32 exec_lo, exec_lo, s0
	s_delay_alu instid0(SALU_CYCLE_1)
	s_mov_b32 s0, exec_lo
	v_cmpx_gt_i32_e64 s15, v0
	s_cbranch_execnz .LBB72_65
.LBB72_48:
	s_or_b32 exec_lo, exec_lo, s0
	s_delay_alu instid0(SALU_CYCLE_1)
	s_mov_b32 s0, exec_lo
	v_cmpx_gt_i32_e64 s15, v0
	s_cbranch_execnz .LBB72_66
.LBB72_49:
	s_or_b32 exec_lo, exec_lo, s0
	s_delay_alu instid0(SALU_CYCLE_1)
	s_mov_b32 s0, exec_lo
	v_cmpx_gt_i32_e64 s15, v0
	s_cbranch_execnz .LBB72_67
.LBB72_50:
	s_or_b32 exec_lo, exec_lo, s0
	s_delay_alu instid0(SALU_CYCLE_1)
	s_mov_b32 s0, exec_lo
	v_cmpx_gt_i32_e64 s15, v0
	s_cbranch_execz .LBB72_52
.LBB72_51:
	v_dual_lshrrev_b32 v1, 24, v3 :: v_dual_add_nc_u32 v0, s24, v0
	global_store_b8 v0, v1, s[16:17]
.LBB72_52:
	s_endpgm
.LBB72_53:
	v_mov_b32_e32 v0, v2
	global_store_b8 v1, v6, s[16:17]
	s_wait_xcnt 0x0
	s_or_b32 exec_lo, exec_lo, s0
	s_delay_alu instid0(SALU_CYCLE_1)
	s_mov_b32 s0, exec_lo
	v_cmpx_gt_i32_e64 s15, v0
	s_cbranch_execz .LBB72_37
.LBB72_54:
	v_dual_lshrrev_b32 v1, 8, v6 :: v_dual_add_nc_u32 v2, s24, v0
	v_add_nc_u32_e32 v0, 0x100, v0
	global_store_b8 v2, v1, s[16:17]
	s_wait_xcnt 0x0
	s_or_b32 exec_lo, exec_lo, s0
	s_delay_alu instid0(SALU_CYCLE_1)
	s_mov_b32 s0, exec_lo
	v_cmpx_gt_i32_e64 s15, v0
	s_cbranch_execz .LBB72_38
.LBB72_55:
	v_add_nc_u32_e32 v1, s24, v0
	v_add_nc_u32_e32 v0, 0x100, v0
	global_store_d16_hi_b8 v1, v6, s[16:17]
	s_wait_xcnt 0x0
	s_or_b32 exec_lo, exec_lo, s0
	s_delay_alu instid0(SALU_CYCLE_1)
	s_mov_b32 s0, exec_lo
	v_cmpx_gt_i32_e64 s15, v0
	s_cbranch_execz .LBB72_39
.LBB72_56:
	v_dual_lshrrev_b32 v1, 24, v6 :: v_dual_add_nc_u32 v2, s24, v0
	v_add_nc_u32_e32 v0, 0x100, v0
	global_store_b8 v2, v1, s[16:17]
	s_wait_xcnt 0x0
	s_or_b32 exec_lo, exec_lo, s0
	s_delay_alu instid0(SALU_CYCLE_1)
	s_mov_b32 s0, exec_lo
	v_cmpx_gt_i32_e64 s15, v0
	s_cbranch_execz .LBB72_40
.LBB72_57:
	v_add_nc_u32_e32 v1, s24, v0
	v_add_nc_u32_e32 v0, 0x100, v0
	global_store_b8 v1, v5, s[16:17]
	s_wait_xcnt 0x0
	s_or_b32 exec_lo, exec_lo, s0
	s_delay_alu instid0(SALU_CYCLE_1)
	s_mov_b32 s0, exec_lo
	v_cmpx_gt_i32_e64 s15, v0
	s_cbranch_execz .LBB72_41
.LBB72_58:
	v_dual_lshrrev_b32 v1, 8, v5 :: v_dual_add_nc_u32 v2, s24, v0
	v_add_nc_u32_e32 v0, 0x100, v0
	global_store_b8 v2, v1, s[16:17]
	s_wait_xcnt 0x0
	s_or_b32 exec_lo, exec_lo, s0
	s_delay_alu instid0(SALU_CYCLE_1)
	s_mov_b32 s0, exec_lo
	v_cmpx_gt_i32_e64 s15, v0
	s_cbranch_execz .LBB72_42
.LBB72_59:
	v_add_nc_u32_e32 v1, s24, v0
	v_add_nc_u32_e32 v0, 0x100, v0
	global_store_d16_hi_b8 v1, v5, s[16:17]
	s_wait_xcnt 0x0
	s_or_b32 exec_lo, exec_lo, s0
	s_delay_alu instid0(SALU_CYCLE_1)
	s_mov_b32 s0, exec_lo
	v_cmpx_gt_i32_e64 s15, v0
	s_cbranch_execz .LBB72_43
.LBB72_60:
	v_dual_lshrrev_b32 v1, 24, v5 :: v_dual_add_nc_u32 v2, s24, v0
	v_add_nc_u32_e32 v0, 0x100, v0
	global_store_b8 v2, v1, s[16:17]
	s_wait_xcnt 0x0
	s_or_b32 exec_lo, exec_lo, s0
	s_delay_alu instid0(SALU_CYCLE_1)
	s_mov_b32 s0, exec_lo
	v_cmpx_gt_i32_e64 s15, v0
	s_cbranch_execz .LBB72_44
.LBB72_61:
	v_add_nc_u32_e32 v1, s24, v0
	v_add_nc_u32_e32 v0, 0x100, v0
	global_store_b8 v1, v4, s[16:17]
	s_wait_xcnt 0x0
	s_or_b32 exec_lo, exec_lo, s0
	s_delay_alu instid0(SALU_CYCLE_1)
	s_mov_b32 s0, exec_lo
	v_cmpx_gt_i32_e64 s15, v0
	s_cbranch_execz .LBB72_45
.LBB72_62:
	v_lshrrev_b32_e32 v1, 8, v4
	v_add_nc_u32_e32 v2, s24, v0
	v_add_nc_u32_e32 v0, 0x100, v0
	global_store_b8 v2, v1, s[16:17]
	s_wait_xcnt 0x0
	s_or_b32 exec_lo, exec_lo, s0
	s_delay_alu instid0(SALU_CYCLE_1)
	s_mov_b32 s0, exec_lo
	v_cmpx_gt_i32_e64 s15, v0
	s_cbranch_execz .LBB72_46
.LBB72_63:
	v_add_nc_u32_e32 v1, s24, v0
	v_add_nc_u32_e32 v0, 0x100, v0
	global_store_d16_hi_b8 v1, v4, s[16:17]
	s_wait_xcnt 0x0
	s_or_b32 exec_lo, exec_lo, s0
	s_delay_alu instid0(SALU_CYCLE_1)
	s_mov_b32 s0, exec_lo
	v_cmpx_gt_i32_e64 s15, v0
	s_cbranch_execz .LBB72_47
.LBB72_64:
	v_lshrrev_b32_e32 v1, 24, v4
	v_add_nc_u32_e32 v2, s24, v0
	v_add_nc_u32_e32 v0, 0x100, v0
	global_store_b8 v2, v1, s[16:17]
	s_wait_xcnt 0x0
	s_or_b32 exec_lo, exec_lo, s0
	s_delay_alu instid0(SALU_CYCLE_1)
	s_mov_b32 s0, exec_lo
	v_cmpx_gt_i32_e64 s15, v0
	s_cbranch_execz .LBB72_48
.LBB72_65:
	v_add_nc_u32_e32 v1, s24, v0
	v_add_nc_u32_e32 v0, 0x100, v0
	global_store_b8 v1, v3, s[16:17]
	s_wait_xcnt 0x0
	s_or_b32 exec_lo, exec_lo, s0
	s_delay_alu instid0(SALU_CYCLE_1)
	s_mov_b32 s0, exec_lo
	v_cmpx_gt_i32_e64 s15, v0
	s_cbranch_execz .LBB72_49
.LBB72_66:
	v_dual_lshrrev_b32 v1, 8, v3 :: v_dual_add_nc_u32 v2, s24, v0
	v_add_nc_u32_e32 v0, 0x100, v0
	global_store_b8 v2, v1, s[16:17]
	s_wait_xcnt 0x0
	s_or_b32 exec_lo, exec_lo, s0
	s_delay_alu instid0(SALU_CYCLE_1)
	s_mov_b32 s0, exec_lo
	v_cmpx_gt_i32_e64 s15, v0
	s_cbranch_execz .LBB72_50
.LBB72_67:
	v_add_nc_u32_e32 v1, s24, v0
	v_add_nc_u32_e32 v0, 0x100, v0
	global_store_d16_hi_b8 v1, v3, s[16:17]
	s_wait_xcnt 0x0
	s_or_b32 exec_lo, exec_lo, s0
	s_delay_alu instid0(SALU_CYCLE_1)
	s_mov_b32 s0, exec_lo
	v_cmpx_gt_i32_e64 s15, v0
	s_cbranch_execnz .LBB72_51
	s_branch .LBB72_52
	.section	.rodata,"a",@progbits
	.p2align	6, 0x0
	.amdhsa_kernel _ZN2at6native29vectorized_elementwise_kernelILi16ENS0_13AUnaryFunctorIssbNS0_12_GLOBAL__N_116CompareEqFunctorIsEEEESt5arrayIPcLm2EEEEviT0_T1_
		.amdhsa_group_segment_fixed_size 0
		.amdhsa_private_segment_fixed_size 0
		.amdhsa_kernarg_size 32
		.amdhsa_user_sgpr_count 2
		.amdhsa_user_sgpr_dispatch_ptr 0
		.amdhsa_user_sgpr_queue_ptr 0
		.amdhsa_user_sgpr_kernarg_segment_ptr 1
		.amdhsa_user_sgpr_dispatch_id 0
		.amdhsa_user_sgpr_kernarg_preload_length 0
		.amdhsa_user_sgpr_kernarg_preload_offset 0
		.amdhsa_user_sgpr_private_segment_size 0
		.amdhsa_wavefront_size32 1
		.amdhsa_uses_dynamic_stack 0
		.amdhsa_enable_private_segment 0
		.amdhsa_system_sgpr_workgroup_id_x 1
		.amdhsa_system_sgpr_workgroup_id_y 0
		.amdhsa_system_sgpr_workgroup_id_z 0
		.amdhsa_system_sgpr_workgroup_info 0
		.amdhsa_system_vgpr_workitem_id 0
		.amdhsa_next_free_vgpr 20
		.amdhsa_next_free_sgpr 26
		.amdhsa_named_barrier_count 0
		.amdhsa_reserve_vcc 1
		.amdhsa_float_round_mode_32 0
		.amdhsa_float_round_mode_16_64 0
		.amdhsa_float_denorm_mode_32 3
		.amdhsa_float_denorm_mode_16_64 3
		.amdhsa_fp16_overflow 0
		.amdhsa_memory_ordered 1
		.amdhsa_forward_progress 1
		.amdhsa_inst_pref_size 31
		.amdhsa_round_robin_scheduling 0
		.amdhsa_exception_fp_ieee_invalid_op 0
		.amdhsa_exception_fp_denorm_src 0
		.amdhsa_exception_fp_ieee_div_zero 0
		.amdhsa_exception_fp_ieee_overflow 0
		.amdhsa_exception_fp_ieee_underflow 0
		.amdhsa_exception_fp_ieee_inexact 0
		.amdhsa_exception_int_div_zero 0
	.end_amdhsa_kernel
	.section	.text._ZN2at6native29vectorized_elementwise_kernelILi16ENS0_13AUnaryFunctorIssbNS0_12_GLOBAL__N_116CompareEqFunctorIsEEEESt5arrayIPcLm2EEEEviT0_T1_,"axG",@progbits,_ZN2at6native29vectorized_elementwise_kernelILi16ENS0_13AUnaryFunctorIssbNS0_12_GLOBAL__N_116CompareEqFunctorIsEEEESt5arrayIPcLm2EEEEviT0_T1_,comdat
.Lfunc_end72:
	.size	_ZN2at6native29vectorized_elementwise_kernelILi16ENS0_13AUnaryFunctorIssbNS0_12_GLOBAL__N_116CompareEqFunctorIsEEEESt5arrayIPcLm2EEEEviT0_T1_, .Lfunc_end72-_ZN2at6native29vectorized_elementwise_kernelILi16ENS0_13AUnaryFunctorIssbNS0_12_GLOBAL__N_116CompareEqFunctorIsEEEESt5arrayIPcLm2EEEEviT0_T1_
                                        ; -- End function
	.set _ZN2at6native29vectorized_elementwise_kernelILi16ENS0_13AUnaryFunctorIssbNS0_12_GLOBAL__N_116CompareEqFunctorIsEEEESt5arrayIPcLm2EEEEviT0_T1_.num_vgpr, 20
	.set _ZN2at6native29vectorized_elementwise_kernelILi16ENS0_13AUnaryFunctorIssbNS0_12_GLOBAL__N_116CompareEqFunctorIsEEEESt5arrayIPcLm2EEEEviT0_T1_.num_agpr, 0
	.set _ZN2at6native29vectorized_elementwise_kernelILi16ENS0_13AUnaryFunctorIssbNS0_12_GLOBAL__N_116CompareEqFunctorIsEEEESt5arrayIPcLm2EEEEviT0_T1_.numbered_sgpr, 26
	.set _ZN2at6native29vectorized_elementwise_kernelILi16ENS0_13AUnaryFunctorIssbNS0_12_GLOBAL__N_116CompareEqFunctorIsEEEESt5arrayIPcLm2EEEEviT0_T1_.num_named_barrier, 0
	.set _ZN2at6native29vectorized_elementwise_kernelILi16ENS0_13AUnaryFunctorIssbNS0_12_GLOBAL__N_116CompareEqFunctorIsEEEESt5arrayIPcLm2EEEEviT0_T1_.private_seg_size, 0
	.set _ZN2at6native29vectorized_elementwise_kernelILi16ENS0_13AUnaryFunctorIssbNS0_12_GLOBAL__N_116CompareEqFunctorIsEEEESt5arrayIPcLm2EEEEviT0_T1_.uses_vcc, 1
	.set _ZN2at6native29vectorized_elementwise_kernelILi16ENS0_13AUnaryFunctorIssbNS0_12_GLOBAL__N_116CompareEqFunctorIsEEEESt5arrayIPcLm2EEEEviT0_T1_.uses_flat_scratch, 0
	.set _ZN2at6native29vectorized_elementwise_kernelILi16ENS0_13AUnaryFunctorIssbNS0_12_GLOBAL__N_116CompareEqFunctorIsEEEESt5arrayIPcLm2EEEEviT0_T1_.has_dyn_sized_stack, 0
	.set _ZN2at6native29vectorized_elementwise_kernelILi16ENS0_13AUnaryFunctorIssbNS0_12_GLOBAL__N_116CompareEqFunctorIsEEEESt5arrayIPcLm2EEEEviT0_T1_.has_recursion, 0
	.set _ZN2at6native29vectorized_elementwise_kernelILi16ENS0_13AUnaryFunctorIssbNS0_12_GLOBAL__N_116CompareEqFunctorIsEEEESt5arrayIPcLm2EEEEviT0_T1_.has_indirect_call, 0
	.section	.AMDGPU.csdata,"",@progbits
; Kernel info:
; codeLenInByte = 3964
; TotalNumSgprs: 28
; NumVgprs: 20
; ScratchSize: 0
; MemoryBound: 0
; FloatMode: 240
; IeeeMode: 1
; LDSByteSize: 0 bytes/workgroup (compile time only)
; SGPRBlocks: 0
; VGPRBlocks: 1
; NumSGPRsForWavesPerEU: 28
; NumVGPRsForWavesPerEU: 20
; NamedBarCnt: 0
; Occupancy: 16
; WaveLimiterHint : 0
; COMPUTE_PGM_RSRC2:SCRATCH_EN: 0
; COMPUTE_PGM_RSRC2:USER_SGPR: 2
; COMPUTE_PGM_RSRC2:TRAP_HANDLER: 0
; COMPUTE_PGM_RSRC2:TGID_X_EN: 1
; COMPUTE_PGM_RSRC2:TGID_Y_EN: 0
; COMPUTE_PGM_RSRC2:TGID_Z_EN: 0
; COMPUTE_PGM_RSRC2:TIDIG_COMP_CNT: 0
	.section	.text._ZN2at6native29vectorized_elementwise_kernelILi8ENS0_13AUnaryFunctorIssbNS0_12_GLOBAL__N_116CompareEqFunctorIsEEEESt5arrayIPcLm2EEEEviT0_T1_,"axG",@progbits,_ZN2at6native29vectorized_elementwise_kernelILi8ENS0_13AUnaryFunctorIssbNS0_12_GLOBAL__N_116CompareEqFunctorIsEEEESt5arrayIPcLm2EEEEviT0_T1_,comdat
	.globl	_ZN2at6native29vectorized_elementwise_kernelILi8ENS0_13AUnaryFunctorIssbNS0_12_GLOBAL__N_116CompareEqFunctorIsEEEESt5arrayIPcLm2EEEEviT0_T1_ ; -- Begin function _ZN2at6native29vectorized_elementwise_kernelILi8ENS0_13AUnaryFunctorIssbNS0_12_GLOBAL__N_116CompareEqFunctorIsEEEESt5arrayIPcLm2EEEEviT0_T1_
	.p2align	8
	.type	_ZN2at6native29vectorized_elementwise_kernelILi8ENS0_13AUnaryFunctorIssbNS0_12_GLOBAL__N_116CompareEqFunctorIsEEEESt5arrayIPcLm2EEEEviT0_T1_,@function
_ZN2at6native29vectorized_elementwise_kernelILi8ENS0_13AUnaryFunctorIssbNS0_12_GLOBAL__N_116CompareEqFunctorIsEEEESt5arrayIPcLm2EEEEviT0_T1_: ; @_ZN2at6native29vectorized_elementwise_kernelILi8ENS0_13AUnaryFunctorIssbNS0_12_GLOBAL__N_116CompareEqFunctorIsEEEESt5arrayIPcLm2EEEEviT0_T1_
; %bb.0:
	s_clause 0x1
	s_load_b96 s[12:14], s[0:1], 0x0
	s_load_b128 s[8:11], s[0:1], 0x10
	s_wait_xcnt 0x0
	s_bfe_u32 s0, ttmp6, 0x4000c
	s_and_b32 s1, ttmp6, 15
	s_add_co_i32 s0, s0, 1
	s_getreg_b32 s2, hwreg(HW_REG_IB_STS2, 6, 4)
	s_mul_i32 s0, ttmp9, s0
	s_delay_alu instid0(SALU_CYCLE_1) | instskip(SKIP_2) | instid1(SALU_CYCLE_1)
	s_add_co_i32 s1, s1, s0
	s_cmp_eq_u32 s2, 0
	s_cselect_b32 s0, ttmp9, s1
	s_lshl_b32 s16, s0, 12
	s_mov_b32 s0, -1
	s_wait_kmcnt 0x0
	s_sub_co_i32 s7, s12, s16
	s_delay_alu instid0(SALU_CYCLE_1)
	s_cmp_gt_i32 s7, 0xfff
	s_cbranch_scc0 .LBB73_2
; %bb.1:
	s_ashr_i32 s17, s16, 31
	s_delay_alu instid0(SALU_CYCLE_1)
	s_lshl_b64 s[0:1], s[16:17], 1
	s_cmp_eq_u32 s13, 0
	s_add_nc_u64 s[0:1], s[10:11], s[0:1]
	s_cselect_b32 s12, -1, 0
	s_clause 0x1
	global_load_b128 v[2:5], v0, s[0:1] scale_offset
	global_load_b128 v[6:9], v0, s[0:1] offset:4096 scale_offset
	s_wait_loadcnt 0x1
	s_wait_xcnt 0x0
	v_cmp_ne_u16_e64 s0, s14, v3
	v_dual_lshrrev_b32 v1, 16, v2 :: v_dual_lshrrev_b32 v10, 16, v3
	v_cmp_ne_u16_e32 vcc_lo, s14, v2
	v_cmp_ne_u16_e64 s1, s14, v4
	v_dual_lshrrev_b32 v11, 16, v4 :: v_dual_lshrrev_b32 v12, 16, v5
	s_wait_loadcnt 0x0
	v_cmp_ne_u16_e64 s3, s14, v6
	s_xor_b32 s0, s12, s0
	v_dual_lshrrev_b32 v13, 16, v6 :: v_dual_lshrrev_b32 v14, 16, v7
	v_cmp_ne_u16_e64 s5, s14, v8
	s_xor_b32 s15, s12, vcc_lo
	v_cmp_ne_u16_e32 vcc_lo, s14, v1
	v_cndmask_b32_e64 v1, 0, 1, s0
	v_cmp_ne_u16_e64 s0, s14, v10
	s_xor_b32 s1, s12, s1
	v_dual_lshrrev_b32 v15, 16, v8 :: v_dual_lshrrev_b32 v16, 16, v9
	v_cmp_ne_u16_e64 s6, s14, v9
	v_cndmask_b32_e64 v3, 0, 1, s1
	v_cmp_ne_u16_e64 s1, s14, v11
	s_xor_b32 s3, s12, s3
	v_cmp_ne_u16_e64 s4, s14, v7
	v_cmp_ne_u16_e64 s2, s14, v5
	v_cndmask_b32_e64 v5, 0, 1, s3
	v_cmp_ne_u16_e64 s3, s14, v13
	s_xor_b32 s5, s12, s5
	s_xor_b32 s0, s12, s0
	v_cndmask_b32_e64 v7, 0, 1, s5
	v_cmp_ne_u16_e64 s5, s14, v15
	s_xor_b32 s6, s12, s6
	v_cndmask_b32_e64 v10, 0, 1, s0
	s_xor_b32 s0, s12, s1
	s_xor_b32 s4, s12, s4
	v_cndmask_b32_e64 v8, 0, 1, s6
	v_cmp_ne_u16_e64 s6, s14, v16
	s_xor_b32 s2, s12, s2
	v_cndmask_b32_e64 v11, 0, 1, s0
	s_xor_b32 s0, s12, s3
	v_cndmask_b32_e64 v6, 0, 1, s4
	v_cmp_ne_u16_e64 s4, s14, v14
	v_cndmask_b32_e64 v4, 0, 1, s2
	v_cmp_ne_u16_e64 s2, s14, v12
	v_cndmask_b32_e64 v12, 0, 1, s0
	s_xor_b32 s0, s12, s5
	v_cndmask_b32_e64 v2, 0, 1, s15
	v_cndmask_b32_e64 v13, 0, 1, s0
	s_xor_b32 s0, s12, s6
	s_xor_b32 s15, s12, vcc_lo
	v_cndmask_b32_e64 v14, 0, 1, s0
	s_xor_b32 s0, s12, s4
	v_cndmask_b32_e64 v9, 0, 1, s15
	v_cndmask_b32_e64 v15, 0, 1, s0
	s_xor_b32 s0, s12, s2
	v_lshlrev_b16 v12, 8, v12
	v_cndmask_b32_e64 v16, 0, 1, s0
	v_lshlrev_b16 v11, 8, v11
	v_lshlrev_b16 v15, 8, v15
	;; [unrolled: 1-line block ×7, first 2 shown]
	v_or_b32_e32 v6, v6, v15
	v_or_b32_e32 v3, v3, v11
	;; [unrolled: 1-line block ×6, first 2 shown]
	s_delay_alu instid0(VALU_DEP_4)
	v_dual_lshlrev_b32 v4, 16, v4 :: v_dual_bitop2_b32 v8, v8, v14 bitop3:0x54
	v_or_b32_e32 v7, v7, v13
	v_and_b32_e32 v2, 0xffff, v2
	v_lshlrev_b32_e32 v1, 16, v1
	v_and_b32_e32 v9, 0xffff, v5
	v_lshlrev_b32_e32 v6, 16, v6
	;; [unrolled: 2-line block ×3, first 2 shown]
	v_and_b32_e32 v7, 0xffff, v7
	s_add_nc_u64 s[2:3], s[8:9], s[16:17]
	s_mov_b32 s0, 0
	v_or_b32_e32 v5, v5, v4
	v_or_b32_e32 v4, v2, v1
	;; [unrolled: 1-line block ×4, first 2 shown]
	s_clause 0x1
	global_store_b64 v0, v[4:5], s[2:3] scale_offset
	global_store_b64 v0, v[2:3], s[2:3] offset:2048 scale_offset
.LBB73_2:
	s_and_not1_b32 vcc_lo, exec_lo, s0
	s_cbranch_vccnz .LBB73_52
; %bb.3:
	v_cmp_gt_i32_e32 vcc_lo, s7, v0
	v_dual_mov_b32 v6, 0 :: v_dual_bitop2_b32 v1, s16, v0 bitop3:0x54
	s_wait_xcnt 0x0
	v_or_b32_e32 v2, 0x100, v0
	v_dual_mov_b32 v7, 0 :: v_dual_mov_b32 v9, v0
	s_and_saveexec_b32 s0, vcc_lo
	s_cbranch_execz .LBB73_5
; %bb.4:
	global_load_u16 v7, v1, s[10:11] scale_offset
	v_or_b32_e32 v9, 0x100, v0
.LBB73_5:
	s_wait_xcnt 0x0
	s_or_b32 exec_lo, exec_lo, s0
	s_delay_alu instid0(SALU_CYCLE_1) | instskip(NEXT) | instid1(VALU_DEP_1)
	s_mov_b32 s1, exec_lo
	v_cmpx_gt_i32_e64 s7, v9
	s_cbranch_execz .LBB73_7
; %bb.6:
	v_add_nc_u32_e32 v3, s16, v9
	v_add_nc_u32_e32 v9, 0x100, v9
	global_load_u16 v6, v3, s[10:11] scale_offset
.LBB73_7:
	s_wait_xcnt 0x0
	s_or_b32 exec_lo, exec_lo, s1
	v_dual_mov_b32 v4, 0 :: v_dual_mov_b32 v5, 0
	s_mov_b32 s1, exec_lo
	v_cmpx_gt_i32_e64 s7, v9
	s_cbranch_execz .LBB73_9
; %bb.8:
	v_add_nc_u32_e32 v3, s16, v9
	v_add_nc_u32_e32 v9, 0x100, v9
	global_load_u16 v5, v3, s[10:11] scale_offset
.LBB73_9:
	s_wait_xcnt 0x0
	s_or_b32 exec_lo, exec_lo, s1
	s_delay_alu instid0(SALU_CYCLE_1)
	s_mov_b32 s1, exec_lo
	v_cmpx_gt_i32_e64 s7, v9
	s_cbranch_execz .LBB73_11
; %bb.10:
	v_add_nc_u32_e32 v3, s16, v9
	v_add_nc_u32_e32 v9, 0x100, v9
	global_load_u16 v4, v3, s[10:11] scale_offset
.LBB73_11:
	s_wait_xcnt 0x0
	s_or_b32 exec_lo, exec_lo, s1
	v_dual_mov_b32 v12, 0 :: v_dual_mov_b32 v14, 0
	s_mov_b32 s1, exec_lo
	v_cmpx_gt_i32_e64 s7, v9
	s_cbranch_execz .LBB73_13
; %bb.12:
	v_add_nc_u32_e32 v3, s16, v9
	v_add_nc_u32_e32 v9, 0x100, v9
	global_load_u16 v14, v3, s[10:11] scale_offset
.LBB73_13:
	s_wait_xcnt 0x0
	s_or_b32 exec_lo, exec_lo, s1
	s_delay_alu instid0(SALU_CYCLE_1)
	;; [unrolled: 22-line block ×7, first 2 shown]
	s_mov_b32 s1, exec_lo
	v_cmpx_gt_i32_e64 s7, v9
	s_cbranch_execz .LBB73_35
; %bb.34:
	v_add_nc_u32_e32 v9, s16, v9
	global_load_u16 v16, v9, s[10:11] scale_offset
.LBB73_35:
	s_wait_xcnt 0x0
	s_or_b32 exec_lo, exec_lo, s1
	s_wait_loadcnt 0x0
	v_cmp_ne_u16_e64 s0, s14, v7
	s_cmp_eq_u32 s13, 0
	v_cmp_ne_u16_e64 s1, s14, v6
	s_cselect_b32 s4, -1, 0
	v_cmp_ne_u16_e64 s2, s14, v14
	s_xor_b32 s0, s4, s0
	v_cmp_ne_u16_e64 s3, s14, v10
	v_cndmask_b32_e64 v6, 0, 1, s0
	s_xor_b32 s0, s4, s1
	v_cmp_gt_i32_e64 s1, s7, v2
	v_cndmask_b32_e64 v7, 0, 1, s0
	s_xor_b32 s0, s4, s2
	v_or_b32_e32 v10, 0xc00, v0
	v_cndmask_b32_e64 v9, 0, 1, s0
	v_cmp_ne_u16_e64 s0, s14, v12
	v_or_b32_e32 v12, 0x400, v0
	v_lshlrev_b16 v7, 8, v7
	s_delay_alu instid0(VALU_DEP_4) | instskip(SKIP_1) | instid1(SALU_CYCLE_1)
	v_bitop3_b16 v9, v9, 0, 0xff00 bitop3:0xf8
	s_xor_b32 s0, s4, s0
	v_cndmask_b32_e64 v14, 0, 1, s0
	v_cmp_gt_i32_e64 s0, s7, v12
	s_delay_alu instid0(VALU_DEP_3) | instskip(SKIP_1) | instid1(VALU_DEP_4)
	v_and_b32_e32 v9, 0xffff, v9
	v_cndmask_b32_e32 v6, 0, v6, vcc_lo
	v_lshlrev_b16 v12, 8, v14
	v_or_b32_e32 v14, 0x200, v0
	s_delay_alu instid0(VALU_DEP_3) | instskip(SKIP_1) | instid1(VALU_DEP_3)
	v_dual_cndmask_b32 v9, 0, v9, s0 :: v_dual_bitop2_b32 v7, v6, v7 bitop3:0x54
	v_cmp_ne_u16_e64 s0, s14, v5
	v_cmp_gt_i32_e64 s2, s7, v14
	s_delay_alu instid0(VALU_DEP_3) | instskip(SKIP_1) | instid1(VALU_DEP_1)
	v_and_b32_e32 v7, 0xffff, v7
	s_xor_b32 s0, s4, s0
	v_cndmask_b32_e64 v5, v6, v7, s1
	v_bitop3_b16 v6, v9, v12, 0xff bitop3:0xec
	v_or_b32_e32 v12, 0x500, v0
	v_cndmask_b32_e64 v7, 0, 1, s0
	v_cmp_ne_u16_e64 s0, s14, v4
	s_delay_alu instid0(VALU_DEP_4) | instskip(NEXT) | instid1(VALU_DEP_4)
	v_and_b32_e32 v6, 0xffff, v6
	v_cmp_gt_i32_e64 s1, s7, v12
	s_delay_alu instid0(VALU_DEP_4)
	v_lshl_or_b32 v7, v7, 16, v5
	s_xor_b32 s0, s4, s0
	v_cndmask_b32_e64 v4, v9, v6, s1
	v_cmp_ne_u16_e64 s1, s14, v13
	v_cndmask_b32_e64 v6, 0, 1, s0
	v_cndmask_b32_e64 v5, v5, v7, s2
	v_cmp_ne_u16_e64 s2, s14, v17
	v_lshrrev_b32_e32 v7, 16, v4
	s_xor_b32 s0, s4, s1
	v_cmp_ne_u16_e64 s1, s14, v18
	v_cndmask_b32_e64 v9, 0, 1, s0
	v_cmp_ne_u16_e64 s0, s14, v15
	v_lshlrev_b16 v6, 8, v6
	s_xor_b32 s1, s4, s1
	v_bitop3_b16 v7, v9, v7, 0xff00 bitop3:0xf8
	s_xor_b32 s0, s4, s0
	v_cndmask_b32_e64 v13, 0, 1, s1
	s_xor_b32 s1, s4, s2
	v_cndmask_b32_e64 v15, 0, 1, s0
	v_lshlrev_b32_e32 v7, 16, v7
	v_cmp_gt_i32_e64 s0, s7, v10
	v_lshrrev_b32_e32 v12, 16, v5
	v_or_b32_e32 v9, 0x600, v0
	v_cndmask_b32_e64 v14, 0, 1, s1
	v_and_or_b32 v7, 0xffff, v4, v7
	v_cndmask_b32_e64 v10, 0, v13, s0
	s_xor_b32 s0, s4, s3
	v_bitop3_b16 v6, v12, v6, 0xff bitop3:0xec
	v_or_b32_e32 v12, 0x800, v0
	v_lshlrev_b16 v13, 8, v14
	v_cndmask_b32_e64 v14, 0, 1, s0
	v_cmp_gt_i32_e64 s0, s7, v9
	v_cmp_ne_u16_e64 s1, s14, v11
	s_delay_alu instid0(VALU_DEP_2)
	v_dual_lshlrev_b32 v6, 16, v6 :: v_dual_cndmask_b32 v4, v4, v7, s0
	v_cmp_gt_i32_e64 s0, s7, v12
	v_bitop3_b16 v7, v10, v13, 0xff bitop3:0xec
	v_lshlrev_b16 v12, 8, v14
	v_or_b32_e32 v13, 0x900, v0
	s_xor_b32 s1, s4, s1
	v_cndmask_b32_e64 v9, 0, v15, s0
	v_cmp_ne_u16_e64 s0, s14, v3
	v_or_b32_e32 v3, 0xd00, v0
	v_and_b32_e32 v7, 0xffff, v7
	v_and_or_b32 v6, 0xffff, v5, v6
	s_xor_b32 s0, s4, s0
	s_delay_alu instid0(VALU_DEP_3) | instskip(NEXT) | instid1(VALU_DEP_1)
	v_cmp_gt_i32_e64 s2, s7, v3
	v_dual_cndmask_b32 v3, v10, v7, s2 :: v_dual_bitop2_b32 v12, v9, v12 bitop3:0x54
	v_cmp_ne_u16_e64 s2, s14, v19
	v_cndmask_b32_e64 v10, 0, 1, s1
	s_delay_alu instid0(VALU_DEP_3) | instskip(NEXT) | instid1(VALU_DEP_4)
	v_and_b32_e32 v7, 0xffff, v12
	v_lshrrev_b32_e32 v11, 16, v3
	s_xor_b32 s1, s4, s2
	s_delay_alu instid0(SALU_CYCLE_1) | instskip(SKIP_2) | instid1(VALU_DEP_3)
	v_cndmask_b32_e64 v12, 0, 1, s1
	v_cmp_gt_i32_e64 s1, s7, v13
	v_or_b32_e32 v13, 0xa00, v0
	v_bitop3_b16 v11, v12, v11, 0xff00 bitop3:0xf8
	s_delay_alu instid0(VALU_DEP_3)
	v_dual_lshrrev_b32 v12, 16, v4 :: v_dual_cndmask_b32 v7, v9, v7, s1
	v_lshlrev_b32_e32 v9, 16, v10
	v_cndmask_b32_e64 v10, 0, 1, s0
	v_cmp_ne_u16_e64 s0, s14, v8
	v_cmp_gt_i32_e64 s1, s7, v13
	v_or_b32_e32 v8, 0xe00, v0
	v_and_or_b32 v9, 0x1ff, v7, v9
	v_lshlrev_b32_e32 v11, 16, v11
	s_xor_b32 s0, s4, s0
	v_lshlrev_b16 v10, 8, v10
	v_or_b32_e32 v13, 0x300, v0
	v_cndmask_b32_e64 v7, v7, v9, s1
	v_and_or_b32 v9, 0xffff, v3, v11
	v_cmp_ne_u16_e64 s1, s14, v16
	v_cndmask_b32_e64 v11, 0, 1, s0
	v_cmp_gt_i32_e64 s0, s7, v8
	s_delay_alu instid0(VALU_DEP_2) | instskip(NEXT) | instid1(VALU_DEP_2)
	v_lshlrev_b16 v11, 8, v11
	v_cndmask_b32_e64 v3, v3, v9, s0
	s_xor_b32 s0, s4, s1
	v_bitop3_b16 v9, v12, v10, 0xff bitop3:0xec
	v_cndmask_b32_e64 v8, 0, 1, s0
	v_lshrrev_b32_e32 v10, 16, v7
	v_cmp_gt_i32_e64 s0, s7, v13
	s_delay_alu instid0(VALU_DEP_4) | instskip(NEXT) | instid1(VALU_DEP_4)
	v_dual_lshrrev_b32 v12, 16, v3 :: v_dual_lshlrev_b32 v9, 16, v9
	v_lshlrev_b16 v8, 8, v8
	s_delay_alu instid0(VALU_DEP_4) | instskip(NEXT) | instid1(VALU_DEP_4)
	v_bitop3_b16 v10, v10, v11, 0xff bitop3:0xec
	v_cndmask_b32_e64 v6, v5, v6, s0
	v_or_b32_e32 v11, 0xb00, v0
	v_and_or_b32 v9, 0xffff, v4, v9
	v_bitop3_b16 v8, v12, v8, 0xff bitop3:0xec
	v_lshlrev_b32_e32 v5, 16, v10
	v_or_b32_e32 v10, 0x700, v0
	v_or_b32_e32 v13, 0xf00, v0
	s_delay_alu instid0(VALU_DEP_4) | instskip(NEXT) | instid1(VALU_DEP_4)
	v_lshlrev_b32_e32 v8, 16, v8
	v_and_or_b32 v12, 0xffff, v7, v5
	s_delay_alu instid0(VALU_DEP_4) | instskip(NEXT) | instid1(VALU_DEP_3)
	v_cmp_gt_i32_e64 s0, s7, v10
	v_and_or_b32 v8, 0xffff, v3, v8
	s_delay_alu instid0(VALU_DEP_2) | instskip(SKIP_1) | instid1(VALU_DEP_1)
	v_cndmask_b32_e64 v5, v4, v9, s0
	v_cmp_gt_i32_e64 s0, s7, v11
	v_cndmask_b32_e64 v4, v7, v12, s0
	v_cmp_gt_i32_e64 s0, s7, v13
	s_delay_alu instid0(VALU_DEP_1)
	v_cndmask_b32_e64 v3, v3, v8, s0
	s_and_saveexec_b32 s0, vcc_lo
	s_cbranch_execnz .LBB73_53
; %bb.36:
	s_or_b32 exec_lo, exec_lo, s0
	s_delay_alu instid0(SALU_CYCLE_1)
	s_mov_b32 s0, exec_lo
	v_cmpx_gt_i32_e64 s7, v0
	s_cbranch_execnz .LBB73_54
.LBB73_37:
	s_or_b32 exec_lo, exec_lo, s0
	s_delay_alu instid0(SALU_CYCLE_1)
	s_mov_b32 s0, exec_lo
	v_cmpx_gt_i32_e64 s7, v0
	s_cbranch_execnz .LBB73_55
.LBB73_38:
	s_or_b32 exec_lo, exec_lo, s0
	s_delay_alu instid0(SALU_CYCLE_1)
	s_mov_b32 s0, exec_lo
	v_cmpx_gt_i32_e64 s7, v0
	s_cbranch_execnz .LBB73_56
.LBB73_39:
	s_or_b32 exec_lo, exec_lo, s0
	s_delay_alu instid0(SALU_CYCLE_1)
	s_mov_b32 s0, exec_lo
	v_cmpx_gt_i32_e64 s7, v0
	s_cbranch_execnz .LBB73_57
.LBB73_40:
	s_or_b32 exec_lo, exec_lo, s0
	s_delay_alu instid0(SALU_CYCLE_1)
	s_mov_b32 s0, exec_lo
	v_cmpx_gt_i32_e64 s7, v0
	s_cbranch_execnz .LBB73_58
.LBB73_41:
	s_or_b32 exec_lo, exec_lo, s0
	s_delay_alu instid0(SALU_CYCLE_1)
	s_mov_b32 s0, exec_lo
	v_cmpx_gt_i32_e64 s7, v0
	s_cbranch_execnz .LBB73_59
.LBB73_42:
	s_or_b32 exec_lo, exec_lo, s0
	s_delay_alu instid0(SALU_CYCLE_1)
	s_mov_b32 s0, exec_lo
	v_cmpx_gt_i32_e64 s7, v0
	s_cbranch_execnz .LBB73_60
.LBB73_43:
	s_or_b32 exec_lo, exec_lo, s0
	s_delay_alu instid0(SALU_CYCLE_1)
	s_mov_b32 s0, exec_lo
	v_cmpx_gt_i32_e64 s7, v0
	s_cbranch_execnz .LBB73_61
.LBB73_44:
	s_or_b32 exec_lo, exec_lo, s0
	s_delay_alu instid0(SALU_CYCLE_1)
	s_mov_b32 s0, exec_lo
	v_cmpx_gt_i32_e64 s7, v0
	s_cbranch_execnz .LBB73_62
.LBB73_45:
	s_or_b32 exec_lo, exec_lo, s0
	s_delay_alu instid0(SALU_CYCLE_1)
	s_mov_b32 s0, exec_lo
	v_cmpx_gt_i32_e64 s7, v0
	s_cbranch_execnz .LBB73_63
.LBB73_46:
	s_or_b32 exec_lo, exec_lo, s0
	s_delay_alu instid0(SALU_CYCLE_1)
	s_mov_b32 s0, exec_lo
	v_cmpx_gt_i32_e64 s7, v0
	s_cbranch_execnz .LBB73_64
.LBB73_47:
	s_or_b32 exec_lo, exec_lo, s0
	s_delay_alu instid0(SALU_CYCLE_1)
	s_mov_b32 s0, exec_lo
	v_cmpx_gt_i32_e64 s7, v0
	s_cbranch_execnz .LBB73_65
.LBB73_48:
	s_or_b32 exec_lo, exec_lo, s0
	s_delay_alu instid0(SALU_CYCLE_1)
	s_mov_b32 s0, exec_lo
	v_cmpx_gt_i32_e64 s7, v0
	s_cbranch_execnz .LBB73_66
.LBB73_49:
	s_or_b32 exec_lo, exec_lo, s0
	s_delay_alu instid0(SALU_CYCLE_1)
	s_mov_b32 s0, exec_lo
	v_cmpx_gt_i32_e64 s7, v0
	s_cbranch_execnz .LBB73_67
.LBB73_50:
	s_or_b32 exec_lo, exec_lo, s0
	s_delay_alu instid0(SALU_CYCLE_1)
	s_mov_b32 s0, exec_lo
	v_cmpx_gt_i32_e64 s7, v0
	s_cbranch_execz .LBB73_52
.LBB73_51:
	v_dual_lshrrev_b32 v1, 24, v3 :: v_dual_add_nc_u32 v0, s16, v0
	global_store_b8 v0, v1, s[8:9]
.LBB73_52:
	s_endpgm
.LBB73_53:
	v_mov_b32_e32 v0, v2
	global_store_b8 v1, v6, s[8:9]
	s_wait_xcnt 0x0
	s_or_b32 exec_lo, exec_lo, s0
	s_delay_alu instid0(SALU_CYCLE_1)
	s_mov_b32 s0, exec_lo
	v_cmpx_gt_i32_e64 s7, v0
	s_cbranch_execz .LBB73_37
.LBB73_54:
	v_dual_lshrrev_b32 v1, 8, v6 :: v_dual_add_nc_u32 v2, s16, v0
	v_add_nc_u32_e32 v0, 0x100, v0
	global_store_b8 v2, v1, s[8:9]
	s_wait_xcnt 0x0
	s_or_b32 exec_lo, exec_lo, s0
	s_delay_alu instid0(SALU_CYCLE_1)
	s_mov_b32 s0, exec_lo
	v_cmpx_gt_i32_e64 s7, v0
	s_cbranch_execz .LBB73_38
.LBB73_55:
	v_add_nc_u32_e32 v1, s16, v0
	v_add_nc_u32_e32 v0, 0x100, v0
	global_store_d16_hi_b8 v1, v6, s[8:9]
	s_wait_xcnt 0x0
	s_or_b32 exec_lo, exec_lo, s0
	s_delay_alu instid0(SALU_CYCLE_1)
	s_mov_b32 s0, exec_lo
	v_cmpx_gt_i32_e64 s7, v0
	s_cbranch_execz .LBB73_39
.LBB73_56:
	v_dual_lshrrev_b32 v1, 24, v6 :: v_dual_add_nc_u32 v2, s16, v0
	v_add_nc_u32_e32 v0, 0x100, v0
	global_store_b8 v2, v1, s[8:9]
	s_wait_xcnt 0x0
	s_or_b32 exec_lo, exec_lo, s0
	s_delay_alu instid0(SALU_CYCLE_1)
	s_mov_b32 s0, exec_lo
	v_cmpx_gt_i32_e64 s7, v0
	s_cbranch_execz .LBB73_40
.LBB73_57:
	v_add_nc_u32_e32 v1, s16, v0
	v_add_nc_u32_e32 v0, 0x100, v0
	global_store_b8 v1, v5, s[8:9]
	s_wait_xcnt 0x0
	s_or_b32 exec_lo, exec_lo, s0
	s_delay_alu instid0(SALU_CYCLE_1)
	s_mov_b32 s0, exec_lo
	v_cmpx_gt_i32_e64 s7, v0
	s_cbranch_execz .LBB73_41
.LBB73_58:
	v_dual_lshrrev_b32 v1, 8, v5 :: v_dual_add_nc_u32 v2, s16, v0
	v_add_nc_u32_e32 v0, 0x100, v0
	global_store_b8 v2, v1, s[8:9]
	s_wait_xcnt 0x0
	s_or_b32 exec_lo, exec_lo, s0
	s_delay_alu instid0(SALU_CYCLE_1)
	s_mov_b32 s0, exec_lo
	v_cmpx_gt_i32_e64 s7, v0
	s_cbranch_execz .LBB73_42
.LBB73_59:
	v_add_nc_u32_e32 v1, s16, v0
	v_add_nc_u32_e32 v0, 0x100, v0
	global_store_d16_hi_b8 v1, v5, s[8:9]
	s_wait_xcnt 0x0
	s_or_b32 exec_lo, exec_lo, s0
	s_delay_alu instid0(SALU_CYCLE_1)
	s_mov_b32 s0, exec_lo
	v_cmpx_gt_i32_e64 s7, v0
	s_cbranch_execz .LBB73_43
.LBB73_60:
	v_dual_lshrrev_b32 v1, 24, v5 :: v_dual_add_nc_u32 v2, s16, v0
	v_add_nc_u32_e32 v0, 0x100, v0
	global_store_b8 v2, v1, s[8:9]
	s_wait_xcnt 0x0
	s_or_b32 exec_lo, exec_lo, s0
	s_delay_alu instid0(SALU_CYCLE_1)
	s_mov_b32 s0, exec_lo
	v_cmpx_gt_i32_e64 s7, v0
	s_cbranch_execz .LBB73_44
.LBB73_61:
	v_add_nc_u32_e32 v1, s16, v0
	v_add_nc_u32_e32 v0, 0x100, v0
	global_store_b8 v1, v4, s[8:9]
	s_wait_xcnt 0x0
	s_or_b32 exec_lo, exec_lo, s0
	s_delay_alu instid0(SALU_CYCLE_1)
	s_mov_b32 s0, exec_lo
	v_cmpx_gt_i32_e64 s7, v0
	s_cbranch_execz .LBB73_45
.LBB73_62:
	v_lshrrev_b32_e32 v1, 8, v4
	v_add_nc_u32_e32 v2, s16, v0
	v_add_nc_u32_e32 v0, 0x100, v0
	global_store_b8 v2, v1, s[8:9]
	s_wait_xcnt 0x0
	s_or_b32 exec_lo, exec_lo, s0
	s_delay_alu instid0(SALU_CYCLE_1)
	s_mov_b32 s0, exec_lo
	v_cmpx_gt_i32_e64 s7, v0
	s_cbranch_execz .LBB73_46
.LBB73_63:
	v_add_nc_u32_e32 v1, s16, v0
	v_add_nc_u32_e32 v0, 0x100, v0
	global_store_d16_hi_b8 v1, v4, s[8:9]
	s_wait_xcnt 0x0
	s_or_b32 exec_lo, exec_lo, s0
	s_delay_alu instid0(SALU_CYCLE_1)
	s_mov_b32 s0, exec_lo
	v_cmpx_gt_i32_e64 s7, v0
	s_cbranch_execz .LBB73_47
.LBB73_64:
	v_lshrrev_b32_e32 v1, 24, v4
	v_add_nc_u32_e32 v2, s16, v0
	v_add_nc_u32_e32 v0, 0x100, v0
	global_store_b8 v2, v1, s[8:9]
	s_wait_xcnt 0x0
	s_or_b32 exec_lo, exec_lo, s0
	s_delay_alu instid0(SALU_CYCLE_1)
	s_mov_b32 s0, exec_lo
	v_cmpx_gt_i32_e64 s7, v0
	s_cbranch_execz .LBB73_48
.LBB73_65:
	v_add_nc_u32_e32 v1, s16, v0
	v_add_nc_u32_e32 v0, 0x100, v0
	global_store_b8 v1, v3, s[8:9]
	s_wait_xcnt 0x0
	s_or_b32 exec_lo, exec_lo, s0
	s_delay_alu instid0(SALU_CYCLE_1)
	s_mov_b32 s0, exec_lo
	v_cmpx_gt_i32_e64 s7, v0
	s_cbranch_execz .LBB73_49
.LBB73_66:
	v_dual_lshrrev_b32 v1, 8, v3 :: v_dual_add_nc_u32 v2, s16, v0
	v_add_nc_u32_e32 v0, 0x100, v0
	global_store_b8 v2, v1, s[8:9]
	s_wait_xcnt 0x0
	s_or_b32 exec_lo, exec_lo, s0
	s_delay_alu instid0(SALU_CYCLE_1)
	s_mov_b32 s0, exec_lo
	v_cmpx_gt_i32_e64 s7, v0
	s_cbranch_execz .LBB73_50
.LBB73_67:
	v_add_nc_u32_e32 v1, s16, v0
	v_add_nc_u32_e32 v0, 0x100, v0
	global_store_d16_hi_b8 v1, v3, s[8:9]
	s_wait_xcnt 0x0
	s_or_b32 exec_lo, exec_lo, s0
	s_delay_alu instid0(SALU_CYCLE_1)
	s_mov_b32 s0, exec_lo
	v_cmpx_gt_i32_e64 s7, v0
	s_cbranch_execnz .LBB73_51
	s_branch .LBB73_52
	.section	.rodata,"a",@progbits
	.p2align	6, 0x0
	.amdhsa_kernel _ZN2at6native29vectorized_elementwise_kernelILi8ENS0_13AUnaryFunctorIssbNS0_12_GLOBAL__N_116CompareEqFunctorIsEEEESt5arrayIPcLm2EEEEviT0_T1_
		.amdhsa_group_segment_fixed_size 0
		.amdhsa_private_segment_fixed_size 0
		.amdhsa_kernarg_size 32
		.amdhsa_user_sgpr_count 2
		.amdhsa_user_sgpr_dispatch_ptr 0
		.amdhsa_user_sgpr_queue_ptr 0
		.amdhsa_user_sgpr_kernarg_segment_ptr 1
		.amdhsa_user_sgpr_dispatch_id 0
		.amdhsa_user_sgpr_kernarg_preload_length 0
		.amdhsa_user_sgpr_kernarg_preload_offset 0
		.amdhsa_user_sgpr_private_segment_size 0
		.amdhsa_wavefront_size32 1
		.amdhsa_uses_dynamic_stack 0
		.amdhsa_enable_private_segment 0
		.amdhsa_system_sgpr_workgroup_id_x 1
		.amdhsa_system_sgpr_workgroup_id_y 0
		.amdhsa_system_sgpr_workgroup_id_z 0
		.amdhsa_system_sgpr_workgroup_info 0
		.amdhsa_system_vgpr_workitem_id 0
		.amdhsa_next_free_vgpr 20
		.amdhsa_next_free_sgpr 18
		.amdhsa_named_barrier_count 0
		.amdhsa_reserve_vcc 1
		.amdhsa_float_round_mode_32 0
		.amdhsa_float_round_mode_16_64 0
		.amdhsa_float_denorm_mode_32 3
		.amdhsa_float_denorm_mode_16_64 3
		.amdhsa_fp16_overflow 0
		.amdhsa_memory_ordered 1
		.amdhsa_forward_progress 1
		.amdhsa_inst_pref_size 31
		.amdhsa_round_robin_scheduling 0
		.amdhsa_exception_fp_ieee_invalid_op 0
		.amdhsa_exception_fp_denorm_src 0
		.amdhsa_exception_fp_ieee_div_zero 0
		.amdhsa_exception_fp_ieee_overflow 0
		.amdhsa_exception_fp_ieee_underflow 0
		.amdhsa_exception_fp_ieee_inexact 0
		.amdhsa_exception_int_div_zero 0
	.end_amdhsa_kernel
	.section	.text._ZN2at6native29vectorized_elementwise_kernelILi8ENS0_13AUnaryFunctorIssbNS0_12_GLOBAL__N_116CompareEqFunctorIsEEEESt5arrayIPcLm2EEEEviT0_T1_,"axG",@progbits,_ZN2at6native29vectorized_elementwise_kernelILi8ENS0_13AUnaryFunctorIssbNS0_12_GLOBAL__N_116CompareEqFunctorIsEEEESt5arrayIPcLm2EEEEviT0_T1_,comdat
.Lfunc_end73:
	.size	_ZN2at6native29vectorized_elementwise_kernelILi8ENS0_13AUnaryFunctorIssbNS0_12_GLOBAL__N_116CompareEqFunctorIsEEEESt5arrayIPcLm2EEEEviT0_T1_, .Lfunc_end73-_ZN2at6native29vectorized_elementwise_kernelILi8ENS0_13AUnaryFunctorIssbNS0_12_GLOBAL__N_116CompareEqFunctorIsEEEESt5arrayIPcLm2EEEEviT0_T1_
                                        ; -- End function
	.set _ZN2at6native29vectorized_elementwise_kernelILi8ENS0_13AUnaryFunctorIssbNS0_12_GLOBAL__N_116CompareEqFunctorIsEEEESt5arrayIPcLm2EEEEviT0_T1_.num_vgpr, 20
	.set _ZN2at6native29vectorized_elementwise_kernelILi8ENS0_13AUnaryFunctorIssbNS0_12_GLOBAL__N_116CompareEqFunctorIsEEEESt5arrayIPcLm2EEEEviT0_T1_.num_agpr, 0
	.set _ZN2at6native29vectorized_elementwise_kernelILi8ENS0_13AUnaryFunctorIssbNS0_12_GLOBAL__N_116CompareEqFunctorIsEEEESt5arrayIPcLm2EEEEviT0_T1_.numbered_sgpr, 18
	.set _ZN2at6native29vectorized_elementwise_kernelILi8ENS0_13AUnaryFunctorIssbNS0_12_GLOBAL__N_116CompareEqFunctorIsEEEESt5arrayIPcLm2EEEEviT0_T1_.num_named_barrier, 0
	.set _ZN2at6native29vectorized_elementwise_kernelILi8ENS0_13AUnaryFunctorIssbNS0_12_GLOBAL__N_116CompareEqFunctorIsEEEESt5arrayIPcLm2EEEEviT0_T1_.private_seg_size, 0
	.set _ZN2at6native29vectorized_elementwise_kernelILi8ENS0_13AUnaryFunctorIssbNS0_12_GLOBAL__N_116CompareEqFunctorIsEEEESt5arrayIPcLm2EEEEviT0_T1_.uses_vcc, 1
	.set _ZN2at6native29vectorized_elementwise_kernelILi8ENS0_13AUnaryFunctorIssbNS0_12_GLOBAL__N_116CompareEqFunctorIsEEEESt5arrayIPcLm2EEEEviT0_T1_.uses_flat_scratch, 0
	.set _ZN2at6native29vectorized_elementwise_kernelILi8ENS0_13AUnaryFunctorIssbNS0_12_GLOBAL__N_116CompareEqFunctorIsEEEESt5arrayIPcLm2EEEEviT0_T1_.has_dyn_sized_stack, 0
	.set _ZN2at6native29vectorized_elementwise_kernelILi8ENS0_13AUnaryFunctorIssbNS0_12_GLOBAL__N_116CompareEqFunctorIsEEEESt5arrayIPcLm2EEEEviT0_T1_.has_recursion, 0
	.set _ZN2at6native29vectorized_elementwise_kernelILi8ENS0_13AUnaryFunctorIssbNS0_12_GLOBAL__N_116CompareEqFunctorIsEEEESt5arrayIPcLm2EEEEviT0_T1_.has_indirect_call, 0
	.section	.AMDGPU.csdata,"",@progbits
; Kernel info:
; codeLenInByte = 3964
; TotalNumSgprs: 20
; NumVgprs: 20
; ScratchSize: 0
; MemoryBound: 0
; FloatMode: 240
; IeeeMode: 1
; LDSByteSize: 0 bytes/workgroup (compile time only)
; SGPRBlocks: 0
; VGPRBlocks: 1
; NumSGPRsForWavesPerEU: 20
; NumVGPRsForWavesPerEU: 20
; NamedBarCnt: 0
; Occupancy: 16
; WaveLimiterHint : 1
; COMPUTE_PGM_RSRC2:SCRATCH_EN: 0
; COMPUTE_PGM_RSRC2:USER_SGPR: 2
; COMPUTE_PGM_RSRC2:TRAP_HANDLER: 0
; COMPUTE_PGM_RSRC2:TGID_X_EN: 1
; COMPUTE_PGM_RSRC2:TGID_Y_EN: 0
; COMPUTE_PGM_RSRC2:TGID_Z_EN: 0
; COMPUTE_PGM_RSRC2:TIDIG_COMP_CNT: 0
	.section	.text._ZN2at6native29vectorized_elementwise_kernelILi4ENS0_13AUnaryFunctorIssbNS0_12_GLOBAL__N_116CompareEqFunctorIsEEEESt5arrayIPcLm2EEEEviT0_T1_,"axG",@progbits,_ZN2at6native29vectorized_elementwise_kernelILi4ENS0_13AUnaryFunctorIssbNS0_12_GLOBAL__N_116CompareEqFunctorIsEEEESt5arrayIPcLm2EEEEviT0_T1_,comdat
	.globl	_ZN2at6native29vectorized_elementwise_kernelILi4ENS0_13AUnaryFunctorIssbNS0_12_GLOBAL__N_116CompareEqFunctorIsEEEESt5arrayIPcLm2EEEEviT0_T1_ ; -- Begin function _ZN2at6native29vectorized_elementwise_kernelILi4ENS0_13AUnaryFunctorIssbNS0_12_GLOBAL__N_116CompareEqFunctorIsEEEESt5arrayIPcLm2EEEEviT0_T1_
	.p2align	8
	.type	_ZN2at6native29vectorized_elementwise_kernelILi4ENS0_13AUnaryFunctorIssbNS0_12_GLOBAL__N_116CompareEqFunctorIsEEEESt5arrayIPcLm2EEEEviT0_T1_,@function
_ZN2at6native29vectorized_elementwise_kernelILi4ENS0_13AUnaryFunctorIssbNS0_12_GLOBAL__N_116CompareEqFunctorIsEEEESt5arrayIPcLm2EEEEviT0_T1_: ; @_ZN2at6native29vectorized_elementwise_kernelILi4ENS0_13AUnaryFunctorIssbNS0_12_GLOBAL__N_116CompareEqFunctorIsEEEESt5arrayIPcLm2EEEEviT0_T1_
; %bb.0:
	s_clause 0x1
	s_load_b96 s[12:14], s[0:1], 0x0
	s_load_b128 s[8:11], s[0:1], 0x10
	s_wait_xcnt 0x0
	s_bfe_u32 s0, ttmp6, 0x4000c
	s_and_b32 s1, ttmp6, 15
	s_add_co_i32 s0, s0, 1
	s_getreg_b32 s2, hwreg(HW_REG_IB_STS2, 6, 4)
	s_mul_i32 s0, ttmp9, s0
	s_delay_alu instid0(SALU_CYCLE_1) | instskip(SKIP_2) | instid1(SALU_CYCLE_1)
	s_add_co_i32 s1, s1, s0
	s_cmp_eq_u32 s2, 0
	s_cselect_b32 s0, ttmp9, s1
	s_lshl_b32 s16, s0, 12
	s_mov_b32 s0, -1
	s_wait_kmcnt 0x0
	s_sub_co_i32 s7, s12, s16
	s_delay_alu instid0(SALU_CYCLE_1)
	s_cmp_gt_i32 s7, 0xfff
	s_cbranch_scc0 .LBB74_2
; %bb.1:
	s_ashr_i32 s17, s16, 31
	s_delay_alu instid0(SALU_CYCLE_1)
	s_lshl_b64 s[0:1], s[16:17], 1
	s_cmp_eq_u32 s13, 0
	s_add_nc_u64 s[0:1], s[10:11], s[0:1]
	s_cselect_b32 s12, -1, 0
	s_clause 0x3
	global_load_b64 v[2:3], v0, s[0:1] scale_offset
	global_load_b64 v[4:5], v0, s[0:1] offset:2048 scale_offset
	global_load_b64 v[6:7], v0, s[0:1] offset:4096 scale_offset
	;; [unrolled: 1-line block ×3, first 2 shown]
	s_wait_loadcnt 0x3
	s_wait_xcnt 0x0
	v_cmp_ne_u16_e64 s0, s14, v3
	v_cmp_ne_u16_e32 vcc_lo, s14, v2
	v_dual_lshrrev_b32 v1, 16, v2 :: v_dual_lshrrev_b32 v2, 16, v3
	s_wait_loadcnt 0x2
	v_cmp_ne_u16_e64 s1, s14, v4
	v_dual_lshrrev_b32 v3, 16, v4 :: v_dual_lshrrev_b32 v4, 16, v5
	v_cmp_ne_u16_e64 s2, s14, v5
	s_wait_loadcnt 0x1
	v_cmp_ne_u16_e64 s3, s14, v6
	s_xor_b32 s0, s12, s0
	v_dual_lshrrev_b32 v5, 16, v6 :: v_dual_lshrrev_b32 v6, 16, v7
	v_cmp_ne_u16_e64 s4, s14, v7
	s_wait_loadcnt 0x0
	v_cmp_ne_u16_e64 s5, s14, v8
	s_xor_b32 s15, s12, vcc_lo
	v_cmp_ne_u16_e32 vcc_lo, s14, v1
	v_cndmask_b32_e64 v1, 0, 1, s0
	v_cmp_ne_u16_e64 s0, s14, v2
	s_xor_b32 s1, s12, s1
	v_dual_lshrrev_b32 v7, 16, v8 :: v_dual_lshrrev_b32 v8, 16, v9
	v_cmp_ne_u16_e64 s6, s14, v9
	v_cndmask_b32_e64 v2, 0, 1, s1
	v_cmp_ne_u16_e64 s1, s14, v3
	s_xor_b32 s2, s12, s2
	s_xor_b32 s3, s12, s3
	v_cndmask_b32_e64 v3, 0, 1, s2
	v_cmp_ne_u16_e64 s2, s14, v4
	v_cndmask_b32_e64 v4, 0, 1, s3
	v_cmp_ne_u16_e64 s3, s14, v5
	s_xor_b32 s4, s12, s4
	s_xor_b32 s5, s12, s5
	;; [unrolled: 1-line block ×3, first 2 shown]
	v_cndmask_b32_e64 v5, 0, 1, s4
	v_cmp_ne_u16_e64 s4, s14, v6
	v_cndmask_b32_e64 v6, 0, 1, s5
	v_cmp_ne_u16_e64 s5, s14, v7
	s_xor_b32 s6, s12, s6
	v_cndmask_b32_e64 v10, 0, 1, s0
	s_xor_b32 s0, s12, s1
	v_cndmask_b32_e64 v7, 0, 1, s6
	v_cmp_ne_u16_e64 s6, s14, v8
	v_cndmask_b32_e64 v11, 0, 1, s0
	s_xor_b32 s0, s12, s3
	v_cndmask_b32_e64 v9, 0, 1, s15
	v_cndmask_b32_e64 v12, 0, 1, s0
	s_xor_b32 s0, s12, s5
	s_xor_b32 s15, s12, vcc_lo
	v_cndmask_b32_e64 v13, 0, 1, s0
	s_xor_b32 s0, s12, s6
	v_cndmask_b32_e64 v8, 0, 1, s15
	v_cndmask_b32_e64 v14, 0, 1, s0
	s_xor_b32 s0, s12, s4
	v_lshlrev_b16 v10, 8, v10
	v_cndmask_b32_e64 v15, 0, 1, s0
	s_xor_b32 s0, s12, s2
	v_lshlrev_b16 v14, 8, v14
	v_cndmask_b32_e64 v16, 0, 1, s0
	v_lshlrev_b16 v8, 8, v8
	v_lshlrev_b16 v11, 8, v11
	v_or_b32_e32 v1, v1, v10
	v_lshlrev_b16 v12, 8, v12
	v_lshlrev_b16 v16, 8, v16
	v_lshlrev_b16 v15, 8, v15
	v_lshlrev_b16 v13, 8, v13
	v_dual_lshlrev_b32 v1, 16, v1 :: v_dual_bitop2_b32 v7, v7, v14 bitop3:0x54
	v_or_b32_e32 v8, v9, v8
	v_or_b32_e32 v2, v2, v11
	s_delay_alu instid0(VALU_DEP_3) | instskip(SKIP_2) | instid1(VALU_DEP_3)
	v_dual_lshlrev_b32 v7, 16, v7 :: v_dual_bitop2_b32 v3, v3, v16 bitop3:0x54
	v_or_b32_e32 v5, v5, v15
	v_or_b32_e32 v4, v4, v12
	v_dual_lshlrev_b32 v3, 16, v3 :: v_dual_bitop2_b32 v6, v6, v13 bitop3:0x54
	v_and_b32_e32 v8, 0xffff, v8
	v_and_b32_e32 v2, 0xffff, v2
	v_lshlrev_b32_e32 v5, 16, v5
	v_and_b32_e32 v4, 0xffff, v4
	v_and_b32_e32 v6, 0xffff, v6
	v_or_b32_e32 v1, v8, v1
	v_or_b32_e32 v2, v2, v3
	s_add_nc_u64 s[2:3], s[8:9], s[16:17]
	v_or_b32_e32 v3, v4, v5
	v_or_b32_e32 v4, v6, v7
	s_mov_b32 s0, 0
	s_clause 0x3
	global_store_b32 v0, v1, s[2:3] scale_offset
	global_store_b32 v0, v2, s[2:3] offset:1024 scale_offset
	global_store_b32 v0, v3, s[2:3] offset:2048 scale_offset
	;; [unrolled: 1-line block ×3, first 2 shown]
.LBB74_2:
	s_and_not1_b32 vcc_lo, exec_lo, s0
	s_cbranch_vccnz .LBB74_52
; %bb.3:
	v_cmp_gt_i32_e32 vcc_lo, s7, v0
	s_wait_xcnt 0x3
	v_dual_mov_b32 v6, 0 :: v_dual_bitop2_b32 v1, s16, v0 bitop3:0x54
	s_wait_xcnt 0x2
	v_or_b32_e32 v2, 0x100, v0
	v_dual_mov_b32 v7, 0 :: v_dual_mov_b32 v9, v0
	s_wait_xcnt 0x0
	s_and_saveexec_b32 s0, vcc_lo
	s_cbranch_execz .LBB74_5
; %bb.4:
	global_load_u16 v7, v1, s[10:11] scale_offset
	v_or_b32_e32 v9, 0x100, v0
.LBB74_5:
	s_wait_xcnt 0x0
	s_or_b32 exec_lo, exec_lo, s0
	s_delay_alu instid0(SALU_CYCLE_1) | instskip(NEXT) | instid1(VALU_DEP_1)
	s_mov_b32 s1, exec_lo
	v_cmpx_gt_i32_e64 s7, v9
	s_cbranch_execz .LBB74_7
; %bb.6:
	v_add_nc_u32_e32 v3, s16, v9
	v_add_nc_u32_e32 v9, 0x100, v9
	global_load_u16 v6, v3, s[10:11] scale_offset
.LBB74_7:
	s_wait_xcnt 0x0
	s_or_b32 exec_lo, exec_lo, s1
	v_dual_mov_b32 v4, 0 :: v_dual_mov_b32 v5, 0
	s_mov_b32 s1, exec_lo
	v_cmpx_gt_i32_e64 s7, v9
	s_cbranch_execz .LBB74_9
; %bb.8:
	v_add_nc_u32_e32 v3, s16, v9
	v_add_nc_u32_e32 v9, 0x100, v9
	global_load_u16 v5, v3, s[10:11] scale_offset
.LBB74_9:
	s_wait_xcnt 0x0
	s_or_b32 exec_lo, exec_lo, s1
	s_delay_alu instid0(SALU_CYCLE_1)
	s_mov_b32 s1, exec_lo
	v_cmpx_gt_i32_e64 s7, v9
	s_cbranch_execz .LBB74_11
; %bb.10:
	v_add_nc_u32_e32 v3, s16, v9
	v_add_nc_u32_e32 v9, 0x100, v9
	global_load_u16 v4, v3, s[10:11] scale_offset
.LBB74_11:
	s_wait_xcnt 0x0
	s_or_b32 exec_lo, exec_lo, s1
	v_dual_mov_b32 v12, 0 :: v_dual_mov_b32 v14, 0
	s_mov_b32 s1, exec_lo
	v_cmpx_gt_i32_e64 s7, v9
	s_cbranch_execz .LBB74_13
; %bb.12:
	v_add_nc_u32_e32 v3, s16, v9
	v_add_nc_u32_e32 v9, 0x100, v9
	global_load_u16 v14, v3, s[10:11] scale_offset
.LBB74_13:
	s_wait_xcnt 0x0
	s_or_b32 exec_lo, exec_lo, s1
	s_delay_alu instid0(SALU_CYCLE_1)
	;; [unrolled: 22-line block ×7, first 2 shown]
	s_mov_b32 s1, exec_lo
	v_cmpx_gt_i32_e64 s7, v9
	s_cbranch_execz .LBB74_35
; %bb.34:
	v_add_nc_u32_e32 v9, s16, v9
	global_load_u16 v16, v9, s[10:11] scale_offset
.LBB74_35:
	s_wait_xcnt 0x0
	s_or_b32 exec_lo, exec_lo, s1
	s_wait_loadcnt 0x0
	v_cmp_ne_u16_e64 s0, s14, v7
	s_cmp_eq_u32 s13, 0
	v_cmp_ne_u16_e64 s1, s14, v6
	s_cselect_b32 s4, -1, 0
	v_cmp_ne_u16_e64 s2, s14, v14
	s_xor_b32 s0, s4, s0
	v_cmp_ne_u16_e64 s3, s14, v10
	v_cndmask_b32_e64 v6, 0, 1, s0
	s_xor_b32 s0, s4, s1
	v_cmp_gt_i32_e64 s1, s7, v2
	v_cndmask_b32_e64 v7, 0, 1, s0
	s_xor_b32 s0, s4, s2
	v_or_b32_e32 v10, 0xc00, v0
	v_cndmask_b32_e64 v9, 0, 1, s0
	v_cmp_ne_u16_e64 s0, s14, v12
	v_or_b32_e32 v12, 0x400, v0
	v_lshlrev_b16 v7, 8, v7
	s_delay_alu instid0(VALU_DEP_4) | instskip(SKIP_1) | instid1(SALU_CYCLE_1)
	v_bitop3_b16 v9, v9, 0, 0xff00 bitop3:0xf8
	s_xor_b32 s0, s4, s0
	v_cndmask_b32_e64 v14, 0, 1, s0
	v_cmp_gt_i32_e64 s0, s7, v12
	s_delay_alu instid0(VALU_DEP_3) | instskip(SKIP_1) | instid1(VALU_DEP_4)
	v_and_b32_e32 v9, 0xffff, v9
	v_cndmask_b32_e32 v6, 0, v6, vcc_lo
	v_lshlrev_b16 v12, 8, v14
	v_or_b32_e32 v14, 0x200, v0
	s_delay_alu instid0(VALU_DEP_3) | instskip(SKIP_1) | instid1(VALU_DEP_3)
	v_dual_cndmask_b32 v9, 0, v9, s0 :: v_dual_bitop2_b32 v7, v6, v7 bitop3:0x54
	v_cmp_ne_u16_e64 s0, s14, v5
	v_cmp_gt_i32_e64 s2, s7, v14
	s_delay_alu instid0(VALU_DEP_3) | instskip(SKIP_1) | instid1(VALU_DEP_1)
	v_and_b32_e32 v7, 0xffff, v7
	s_xor_b32 s0, s4, s0
	v_cndmask_b32_e64 v5, v6, v7, s1
	v_bitop3_b16 v6, v9, v12, 0xff bitop3:0xec
	v_or_b32_e32 v12, 0x500, v0
	v_cndmask_b32_e64 v7, 0, 1, s0
	v_cmp_ne_u16_e64 s0, s14, v4
	s_delay_alu instid0(VALU_DEP_4) | instskip(NEXT) | instid1(VALU_DEP_4)
	v_and_b32_e32 v6, 0xffff, v6
	v_cmp_gt_i32_e64 s1, s7, v12
	s_delay_alu instid0(VALU_DEP_4)
	v_lshl_or_b32 v7, v7, 16, v5
	s_xor_b32 s0, s4, s0
	v_cndmask_b32_e64 v4, v9, v6, s1
	v_cmp_ne_u16_e64 s1, s14, v13
	v_cndmask_b32_e64 v6, 0, 1, s0
	v_cndmask_b32_e64 v5, v5, v7, s2
	v_cmp_ne_u16_e64 s2, s14, v17
	v_lshrrev_b32_e32 v7, 16, v4
	s_xor_b32 s0, s4, s1
	v_cmp_ne_u16_e64 s1, s14, v18
	v_cndmask_b32_e64 v9, 0, 1, s0
	v_cmp_ne_u16_e64 s0, s14, v15
	v_lshlrev_b16 v6, 8, v6
	s_xor_b32 s1, s4, s1
	v_bitop3_b16 v7, v9, v7, 0xff00 bitop3:0xf8
	s_xor_b32 s0, s4, s0
	v_cndmask_b32_e64 v13, 0, 1, s1
	s_xor_b32 s1, s4, s2
	v_cndmask_b32_e64 v15, 0, 1, s0
	v_lshlrev_b32_e32 v7, 16, v7
	v_cmp_gt_i32_e64 s0, s7, v10
	v_lshrrev_b32_e32 v12, 16, v5
	v_or_b32_e32 v9, 0x600, v0
	v_cndmask_b32_e64 v14, 0, 1, s1
	v_and_or_b32 v7, 0xffff, v4, v7
	v_cndmask_b32_e64 v10, 0, v13, s0
	s_xor_b32 s0, s4, s3
	v_bitop3_b16 v6, v12, v6, 0xff bitop3:0xec
	v_or_b32_e32 v12, 0x800, v0
	v_lshlrev_b16 v13, 8, v14
	v_cndmask_b32_e64 v14, 0, 1, s0
	v_cmp_gt_i32_e64 s0, s7, v9
	v_cmp_ne_u16_e64 s1, s14, v11
	s_delay_alu instid0(VALU_DEP_2)
	v_dual_lshlrev_b32 v6, 16, v6 :: v_dual_cndmask_b32 v4, v4, v7, s0
	v_cmp_gt_i32_e64 s0, s7, v12
	v_bitop3_b16 v7, v10, v13, 0xff bitop3:0xec
	v_lshlrev_b16 v12, 8, v14
	v_or_b32_e32 v13, 0x900, v0
	s_xor_b32 s1, s4, s1
	v_cndmask_b32_e64 v9, 0, v15, s0
	v_cmp_ne_u16_e64 s0, s14, v3
	v_or_b32_e32 v3, 0xd00, v0
	v_and_b32_e32 v7, 0xffff, v7
	v_and_or_b32 v6, 0xffff, v5, v6
	s_xor_b32 s0, s4, s0
	s_delay_alu instid0(VALU_DEP_3) | instskip(NEXT) | instid1(VALU_DEP_1)
	v_cmp_gt_i32_e64 s2, s7, v3
	v_dual_cndmask_b32 v3, v10, v7, s2 :: v_dual_bitop2_b32 v12, v9, v12 bitop3:0x54
	v_cmp_ne_u16_e64 s2, s14, v19
	v_cndmask_b32_e64 v10, 0, 1, s1
	s_delay_alu instid0(VALU_DEP_3) | instskip(NEXT) | instid1(VALU_DEP_4)
	v_and_b32_e32 v7, 0xffff, v12
	v_lshrrev_b32_e32 v11, 16, v3
	s_xor_b32 s1, s4, s2
	s_delay_alu instid0(SALU_CYCLE_1) | instskip(SKIP_2) | instid1(VALU_DEP_3)
	v_cndmask_b32_e64 v12, 0, 1, s1
	v_cmp_gt_i32_e64 s1, s7, v13
	v_or_b32_e32 v13, 0xa00, v0
	v_bitop3_b16 v11, v12, v11, 0xff00 bitop3:0xf8
	s_delay_alu instid0(VALU_DEP_3)
	v_dual_lshrrev_b32 v12, 16, v4 :: v_dual_cndmask_b32 v7, v9, v7, s1
	v_lshlrev_b32_e32 v9, 16, v10
	v_cndmask_b32_e64 v10, 0, 1, s0
	v_cmp_ne_u16_e64 s0, s14, v8
	v_cmp_gt_i32_e64 s1, s7, v13
	v_or_b32_e32 v8, 0xe00, v0
	v_and_or_b32 v9, 0x1ff, v7, v9
	v_lshlrev_b32_e32 v11, 16, v11
	s_xor_b32 s0, s4, s0
	v_lshlrev_b16 v10, 8, v10
	v_or_b32_e32 v13, 0x300, v0
	v_cndmask_b32_e64 v7, v7, v9, s1
	v_and_or_b32 v9, 0xffff, v3, v11
	v_cmp_ne_u16_e64 s1, s14, v16
	v_cndmask_b32_e64 v11, 0, 1, s0
	v_cmp_gt_i32_e64 s0, s7, v8
	s_delay_alu instid0(VALU_DEP_2) | instskip(NEXT) | instid1(VALU_DEP_2)
	v_lshlrev_b16 v11, 8, v11
	v_cndmask_b32_e64 v3, v3, v9, s0
	s_xor_b32 s0, s4, s1
	v_bitop3_b16 v9, v12, v10, 0xff bitop3:0xec
	v_cndmask_b32_e64 v8, 0, 1, s0
	v_lshrrev_b32_e32 v10, 16, v7
	v_cmp_gt_i32_e64 s0, s7, v13
	s_delay_alu instid0(VALU_DEP_4) | instskip(NEXT) | instid1(VALU_DEP_4)
	v_dual_lshrrev_b32 v12, 16, v3 :: v_dual_lshlrev_b32 v9, 16, v9
	v_lshlrev_b16 v8, 8, v8
	s_delay_alu instid0(VALU_DEP_4) | instskip(NEXT) | instid1(VALU_DEP_4)
	v_bitop3_b16 v10, v10, v11, 0xff bitop3:0xec
	v_cndmask_b32_e64 v6, v5, v6, s0
	v_or_b32_e32 v11, 0xb00, v0
	v_and_or_b32 v9, 0xffff, v4, v9
	v_bitop3_b16 v8, v12, v8, 0xff bitop3:0xec
	v_lshlrev_b32_e32 v5, 16, v10
	v_or_b32_e32 v10, 0x700, v0
	v_or_b32_e32 v13, 0xf00, v0
	s_delay_alu instid0(VALU_DEP_4) | instskip(NEXT) | instid1(VALU_DEP_4)
	v_lshlrev_b32_e32 v8, 16, v8
	v_and_or_b32 v12, 0xffff, v7, v5
	s_delay_alu instid0(VALU_DEP_4) | instskip(NEXT) | instid1(VALU_DEP_3)
	v_cmp_gt_i32_e64 s0, s7, v10
	v_and_or_b32 v8, 0xffff, v3, v8
	s_delay_alu instid0(VALU_DEP_2) | instskip(SKIP_1) | instid1(VALU_DEP_1)
	v_cndmask_b32_e64 v5, v4, v9, s0
	v_cmp_gt_i32_e64 s0, s7, v11
	v_cndmask_b32_e64 v4, v7, v12, s0
	v_cmp_gt_i32_e64 s0, s7, v13
	s_delay_alu instid0(VALU_DEP_1)
	v_cndmask_b32_e64 v3, v3, v8, s0
	s_and_saveexec_b32 s0, vcc_lo
	s_cbranch_execnz .LBB74_53
; %bb.36:
	s_or_b32 exec_lo, exec_lo, s0
	s_delay_alu instid0(SALU_CYCLE_1)
	s_mov_b32 s0, exec_lo
	v_cmpx_gt_i32_e64 s7, v0
	s_cbranch_execnz .LBB74_54
.LBB74_37:
	s_or_b32 exec_lo, exec_lo, s0
	s_delay_alu instid0(SALU_CYCLE_1)
	s_mov_b32 s0, exec_lo
	v_cmpx_gt_i32_e64 s7, v0
	s_cbranch_execnz .LBB74_55
.LBB74_38:
	s_or_b32 exec_lo, exec_lo, s0
	s_delay_alu instid0(SALU_CYCLE_1)
	s_mov_b32 s0, exec_lo
	v_cmpx_gt_i32_e64 s7, v0
	s_cbranch_execnz .LBB74_56
.LBB74_39:
	s_or_b32 exec_lo, exec_lo, s0
	s_delay_alu instid0(SALU_CYCLE_1)
	s_mov_b32 s0, exec_lo
	v_cmpx_gt_i32_e64 s7, v0
	s_cbranch_execnz .LBB74_57
.LBB74_40:
	s_or_b32 exec_lo, exec_lo, s0
	s_delay_alu instid0(SALU_CYCLE_1)
	s_mov_b32 s0, exec_lo
	v_cmpx_gt_i32_e64 s7, v0
	s_cbranch_execnz .LBB74_58
.LBB74_41:
	s_or_b32 exec_lo, exec_lo, s0
	s_delay_alu instid0(SALU_CYCLE_1)
	s_mov_b32 s0, exec_lo
	v_cmpx_gt_i32_e64 s7, v0
	s_cbranch_execnz .LBB74_59
.LBB74_42:
	s_or_b32 exec_lo, exec_lo, s0
	s_delay_alu instid0(SALU_CYCLE_1)
	s_mov_b32 s0, exec_lo
	v_cmpx_gt_i32_e64 s7, v0
	s_cbranch_execnz .LBB74_60
.LBB74_43:
	s_or_b32 exec_lo, exec_lo, s0
	s_delay_alu instid0(SALU_CYCLE_1)
	s_mov_b32 s0, exec_lo
	v_cmpx_gt_i32_e64 s7, v0
	s_cbranch_execnz .LBB74_61
.LBB74_44:
	s_or_b32 exec_lo, exec_lo, s0
	s_delay_alu instid0(SALU_CYCLE_1)
	s_mov_b32 s0, exec_lo
	v_cmpx_gt_i32_e64 s7, v0
	s_cbranch_execnz .LBB74_62
.LBB74_45:
	s_or_b32 exec_lo, exec_lo, s0
	s_delay_alu instid0(SALU_CYCLE_1)
	s_mov_b32 s0, exec_lo
	v_cmpx_gt_i32_e64 s7, v0
	s_cbranch_execnz .LBB74_63
.LBB74_46:
	s_or_b32 exec_lo, exec_lo, s0
	s_delay_alu instid0(SALU_CYCLE_1)
	s_mov_b32 s0, exec_lo
	v_cmpx_gt_i32_e64 s7, v0
	s_cbranch_execnz .LBB74_64
.LBB74_47:
	s_or_b32 exec_lo, exec_lo, s0
	s_delay_alu instid0(SALU_CYCLE_1)
	s_mov_b32 s0, exec_lo
	v_cmpx_gt_i32_e64 s7, v0
	s_cbranch_execnz .LBB74_65
.LBB74_48:
	s_or_b32 exec_lo, exec_lo, s0
	s_delay_alu instid0(SALU_CYCLE_1)
	s_mov_b32 s0, exec_lo
	v_cmpx_gt_i32_e64 s7, v0
	s_cbranch_execnz .LBB74_66
.LBB74_49:
	s_or_b32 exec_lo, exec_lo, s0
	s_delay_alu instid0(SALU_CYCLE_1)
	s_mov_b32 s0, exec_lo
	v_cmpx_gt_i32_e64 s7, v0
	s_cbranch_execnz .LBB74_67
.LBB74_50:
	s_or_b32 exec_lo, exec_lo, s0
	s_delay_alu instid0(SALU_CYCLE_1)
	s_mov_b32 s0, exec_lo
	v_cmpx_gt_i32_e64 s7, v0
	s_cbranch_execz .LBB74_52
.LBB74_51:
	v_dual_lshrrev_b32 v1, 24, v3 :: v_dual_add_nc_u32 v0, s16, v0
	global_store_b8 v0, v1, s[8:9]
.LBB74_52:
	s_endpgm
.LBB74_53:
	v_mov_b32_e32 v0, v2
	global_store_b8 v1, v6, s[8:9]
	s_wait_xcnt 0x0
	s_or_b32 exec_lo, exec_lo, s0
	s_delay_alu instid0(SALU_CYCLE_1)
	s_mov_b32 s0, exec_lo
	v_cmpx_gt_i32_e64 s7, v0
	s_cbranch_execz .LBB74_37
.LBB74_54:
	v_dual_lshrrev_b32 v1, 8, v6 :: v_dual_add_nc_u32 v2, s16, v0
	v_add_nc_u32_e32 v0, 0x100, v0
	global_store_b8 v2, v1, s[8:9]
	s_wait_xcnt 0x0
	s_or_b32 exec_lo, exec_lo, s0
	s_delay_alu instid0(SALU_CYCLE_1)
	s_mov_b32 s0, exec_lo
	v_cmpx_gt_i32_e64 s7, v0
	s_cbranch_execz .LBB74_38
.LBB74_55:
	v_add_nc_u32_e32 v1, s16, v0
	v_add_nc_u32_e32 v0, 0x100, v0
	global_store_d16_hi_b8 v1, v6, s[8:9]
	s_wait_xcnt 0x0
	s_or_b32 exec_lo, exec_lo, s0
	s_delay_alu instid0(SALU_CYCLE_1)
	s_mov_b32 s0, exec_lo
	v_cmpx_gt_i32_e64 s7, v0
	s_cbranch_execz .LBB74_39
.LBB74_56:
	v_dual_lshrrev_b32 v1, 24, v6 :: v_dual_add_nc_u32 v2, s16, v0
	v_add_nc_u32_e32 v0, 0x100, v0
	global_store_b8 v2, v1, s[8:9]
	s_wait_xcnt 0x0
	s_or_b32 exec_lo, exec_lo, s0
	s_delay_alu instid0(SALU_CYCLE_1)
	s_mov_b32 s0, exec_lo
	v_cmpx_gt_i32_e64 s7, v0
	s_cbranch_execz .LBB74_40
.LBB74_57:
	v_add_nc_u32_e32 v1, s16, v0
	v_add_nc_u32_e32 v0, 0x100, v0
	global_store_b8 v1, v5, s[8:9]
	s_wait_xcnt 0x0
	s_or_b32 exec_lo, exec_lo, s0
	s_delay_alu instid0(SALU_CYCLE_1)
	s_mov_b32 s0, exec_lo
	v_cmpx_gt_i32_e64 s7, v0
	s_cbranch_execz .LBB74_41
.LBB74_58:
	v_dual_lshrrev_b32 v1, 8, v5 :: v_dual_add_nc_u32 v2, s16, v0
	v_add_nc_u32_e32 v0, 0x100, v0
	global_store_b8 v2, v1, s[8:9]
	s_wait_xcnt 0x0
	s_or_b32 exec_lo, exec_lo, s0
	s_delay_alu instid0(SALU_CYCLE_1)
	s_mov_b32 s0, exec_lo
	v_cmpx_gt_i32_e64 s7, v0
	s_cbranch_execz .LBB74_42
.LBB74_59:
	v_add_nc_u32_e32 v1, s16, v0
	v_add_nc_u32_e32 v0, 0x100, v0
	global_store_d16_hi_b8 v1, v5, s[8:9]
	s_wait_xcnt 0x0
	s_or_b32 exec_lo, exec_lo, s0
	s_delay_alu instid0(SALU_CYCLE_1)
	s_mov_b32 s0, exec_lo
	v_cmpx_gt_i32_e64 s7, v0
	s_cbranch_execz .LBB74_43
.LBB74_60:
	v_dual_lshrrev_b32 v1, 24, v5 :: v_dual_add_nc_u32 v2, s16, v0
	v_add_nc_u32_e32 v0, 0x100, v0
	global_store_b8 v2, v1, s[8:9]
	s_wait_xcnt 0x0
	s_or_b32 exec_lo, exec_lo, s0
	s_delay_alu instid0(SALU_CYCLE_1)
	s_mov_b32 s0, exec_lo
	v_cmpx_gt_i32_e64 s7, v0
	s_cbranch_execz .LBB74_44
.LBB74_61:
	v_add_nc_u32_e32 v1, s16, v0
	v_add_nc_u32_e32 v0, 0x100, v0
	global_store_b8 v1, v4, s[8:9]
	s_wait_xcnt 0x0
	s_or_b32 exec_lo, exec_lo, s0
	s_delay_alu instid0(SALU_CYCLE_1)
	s_mov_b32 s0, exec_lo
	v_cmpx_gt_i32_e64 s7, v0
	s_cbranch_execz .LBB74_45
.LBB74_62:
	v_lshrrev_b32_e32 v1, 8, v4
	v_add_nc_u32_e32 v2, s16, v0
	v_add_nc_u32_e32 v0, 0x100, v0
	global_store_b8 v2, v1, s[8:9]
	s_wait_xcnt 0x0
	s_or_b32 exec_lo, exec_lo, s0
	s_delay_alu instid0(SALU_CYCLE_1)
	s_mov_b32 s0, exec_lo
	v_cmpx_gt_i32_e64 s7, v0
	s_cbranch_execz .LBB74_46
.LBB74_63:
	v_add_nc_u32_e32 v1, s16, v0
	v_add_nc_u32_e32 v0, 0x100, v0
	global_store_d16_hi_b8 v1, v4, s[8:9]
	s_wait_xcnt 0x0
	s_or_b32 exec_lo, exec_lo, s0
	s_delay_alu instid0(SALU_CYCLE_1)
	s_mov_b32 s0, exec_lo
	v_cmpx_gt_i32_e64 s7, v0
	s_cbranch_execz .LBB74_47
.LBB74_64:
	v_lshrrev_b32_e32 v1, 24, v4
	v_add_nc_u32_e32 v2, s16, v0
	v_add_nc_u32_e32 v0, 0x100, v0
	global_store_b8 v2, v1, s[8:9]
	s_wait_xcnt 0x0
	s_or_b32 exec_lo, exec_lo, s0
	s_delay_alu instid0(SALU_CYCLE_1)
	s_mov_b32 s0, exec_lo
	v_cmpx_gt_i32_e64 s7, v0
	s_cbranch_execz .LBB74_48
.LBB74_65:
	v_add_nc_u32_e32 v1, s16, v0
	v_add_nc_u32_e32 v0, 0x100, v0
	global_store_b8 v1, v3, s[8:9]
	s_wait_xcnt 0x0
	s_or_b32 exec_lo, exec_lo, s0
	s_delay_alu instid0(SALU_CYCLE_1)
	s_mov_b32 s0, exec_lo
	v_cmpx_gt_i32_e64 s7, v0
	s_cbranch_execz .LBB74_49
.LBB74_66:
	v_dual_lshrrev_b32 v1, 8, v3 :: v_dual_add_nc_u32 v2, s16, v0
	v_add_nc_u32_e32 v0, 0x100, v0
	global_store_b8 v2, v1, s[8:9]
	s_wait_xcnt 0x0
	s_or_b32 exec_lo, exec_lo, s0
	s_delay_alu instid0(SALU_CYCLE_1)
	s_mov_b32 s0, exec_lo
	v_cmpx_gt_i32_e64 s7, v0
	s_cbranch_execz .LBB74_50
.LBB74_67:
	v_add_nc_u32_e32 v1, s16, v0
	v_add_nc_u32_e32 v0, 0x100, v0
	global_store_d16_hi_b8 v1, v3, s[8:9]
	s_wait_xcnt 0x0
	s_or_b32 exec_lo, exec_lo, s0
	s_delay_alu instid0(SALU_CYCLE_1)
	s_mov_b32 s0, exec_lo
	v_cmpx_gt_i32_e64 s7, v0
	s_cbranch_execnz .LBB74_51
	s_branch .LBB74_52
	.section	.rodata,"a",@progbits
	.p2align	6, 0x0
	.amdhsa_kernel _ZN2at6native29vectorized_elementwise_kernelILi4ENS0_13AUnaryFunctorIssbNS0_12_GLOBAL__N_116CompareEqFunctorIsEEEESt5arrayIPcLm2EEEEviT0_T1_
		.amdhsa_group_segment_fixed_size 0
		.amdhsa_private_segment_fixed_size 0
		.amdhsa_kernarg_size 32
		.amdhsa_user_sgpr_count 2
		.amdhsa_user_sgpr_dispatch_ptr 0
		.amdhsa_user_sgpr_queue_ptr 0
		.amdhsa_user_sgpr_kernarg_segment_ptr 1
		.amdhsa_user_sgpr_dispatch_id 0
		.amdhsa_user_sgpr_kernarg_preload_length 0
		.amdhsa_user_sgpr_kernarg_preload_offset 0
		.amdhsa_user_sgpr_private_segment_size 0
		.amdhsa_wavefront_size32 1
		.amdhsa_uses_dynamic_stack 0
		.amdhsa_enable_private_segment 0
		.amdhsa_system_sgpr_workgroup_id_x 1
		.amdhsa_system_sgpr_workgroup_id_y 0
		.amdhsa_system_sgpr_workgroup_id_z 0
		.amdhsa_system_sgpr_workgroup_info 0
		.amdhsa_system_vgpr_workitem_id 0
		.amdhsa_next_free_vgpr 20
		.amdhsa_next_free_sgpr 18
		.amdhsa_named_barrier_count 0
		.amdhsa_reserve_vcc 1
		.amdhsa_float_round_mode_32 0
		.amdhsa_float_round_mode_16_64 0
		.amdhsa_float_denorm_mode_32 3
		.amdhsa_float_denorm_mode_16_64 3
		.amdhsa_fp16_overflow 0
		.amdhsa_memory_ordered 1
		.amdhsa_forward_progress 1
		.amdhsa_inst_pref_size 32
		.amdhsa_round_robin_scheduling 0
		.amdhsa_exception_fp_ieee_invalid_op 0
		.amdhsa_exception_fp_denorm_src 0
		.amdhsa_exception_fp_ieee_div_zero 0
		.amdhsa_exception_fp_ieee_overflow 0
		.amdhsa_exception_fp_ieee_underflow 0
		.amdhsa_exception_fp_ieee_inexact 0
		.amdhsa_exception_int_div_zero 0
	.end_amdhsa_kernel
	.section	.text._ZN2at6native29vectorized_elementwise_kernelILi4ENS0_13AUnaryFunctorIssbNS0_12_GLOBAL__N_116CompareEqFunctorIsEEEESt5arrayIPcLm2EEEEviT0_T1_,"axG",@progbits,_ZN2at6native29vectorized_elementwise_kernelILi4ENS0_13AUnaryFunctorIssbNS0_12_GLOBAL__N_116CompareEqFunctorIsEEEESt5arrayIPcLm2EEEEviT0_T1_,comdat
.Lfunc_end74:
	.size	_ZN2at6native29vectorized_elementwise_kernelILi4ENS0_13AUnaryFunctorIssbNS0_12_GLOBAL__N_116CompareEqFunctorIsEEEESt5arrayIPcLm2EEEEviT0_T1_, .Lfunc_end74-_ZN2at6native29vectorized_elementwise_kernelILi4ENS0_13AUnaryFunctorIssbNS0_12_GLOBAL__N_116CompareEqFunctorIsEEEESt5arrayIPcLm2EEEEviT0_T1_
                                        ; -- End function
	.set _ZN2at6native29vectorized_elementwise_kernelILi4ENS0_13AUnaryFunctorIssbNS0_12_GLOBAL__N_116CompareEqFunctorIsEEEESt5arrayIPcLm2EEEEviT0_T1_.num_vgpr, 20
	.set _ZN2at6native29vectorized_elementwise_kernelILi4ENS0_13AUnaryFunctorIssbNS0_12_GLOBAL__N_116CompareEqFunctorIsEEEESt5arrayIPcLm2EEEEviT0_T1_.num_agpr, 0
	.set _ZN2at6native29vectorized_elementwise_kernelILi4ENS0_13AUnaryFunctorIssbNS0_12_GLOBAL__N_116CompareEqFunctorIsEEEESt5arrayIPcLm2EEEEviT0_T1_.numbered_sgpr, 18
	.set _ZN2at6native29vectorized_elementwise_kernelILi4ENS0_13AUnaryFunctorIssbNS0_12_GLOBAL__N_116CompareEqFunctorIsEEEESt5arrayIPcLm2EEEEviT0_T1_.num_named_barrier, 0
	.set _ZN2at6native29vectorized_elementwise_kernelILi4ENS0_13AUnaryFunctorIssbNS0_12_GLOBAL__N_116CompareEqFunctorIsEEEESt5arrayIPcLm2EEEEviT0_T1_.private_seg_size, 0
	.set _ZN2at6native29vectorized_elementwise_kernelILi4ENS0_13AUnaryFunctorIssbNS0_12_GLOBAL__N_116CompareEqFunctorIsEEEESt5arrayIPcLm2EEEEviT0_T1_.uses_vcc, 1
	.set _ZN2at6native29vectorized_elementwise_kernelILi4ENS0_13AUnaryFunctorIssbNS0_12_GLOBAL__N_116CompareEqFunctorIsEEEESt5arrayIPcLm2EEEEviT0_T1_.uses_flat_scratch, 0
	.set _ZN2at6native29vectorized_elementwise_kernelILi4ENS0_13AUnaryFunctorIssbNS0_12_GLOBAL__N_116CompareEqFunctorIsEEEESt5arrayIPcLm2EEEEviT0_T1_.has_dyn_sized_stack, 0
	.set _ZN2at6native29vectorized_elementwise_kernelILi4ENS0_13AUnaryFunctorIssbNS0_12_GLOBAL__N_116CompareEqFunctorIsEEEESt5arrayIPcLm2EEEEviT0_T1_.has_recursion, 0
	.set _ZN2at6native29vectorized_elementwise_kernelILi4ENS0_13AUnaryFunctorIssbNS0_12_GLOBAL__N_116CompareEqFunctorIsEEEESt5arrayIPcLm2EEEEviT0_T1_.has_indirect_call, 0
	.section	.AMDGPU.csdata,"",@progbits
; Kernel info:
; codeLenInByte = 4036
; TotalNumSgprs: 20
; NumVgprs: 20
; ScratchSize: 0
; MemoryBound: 0
; FloatMode: 240
; IeeeMode: 1
; LDSByteSize: 0 bytes/workgroup (compile time only)
; SGPRBlocks: 0
; VGPRBlocks: 1
; NumSGPRsForWavesPerEU: 20
; NumVGPRsForWavesPerEU: 20
; NamedBarCnt: 0
; Occupancy: 16
; WaveLimiterHint : 1
; COMPUTE_PGM_RSRC2:SCRATCH_EN: 0
; COMPUTE_PGM_RSRC2:USER_SGPR: 2
; COMPUTE_PGM_RSRC2:TRAP_HANDLER: 0
; COMPUTE_PGM_RSRC2:TGID_X_EN: 1
; COMPUTE_PGM_RSRC2:TGID_Y_EN: 0
; COMPUTE_PGM_RSRC2:TGID_Z_EN: 0
; COMPUTE_PGM_RSRC2:TIDIG_COMP_CNT: 0
	.section	.text._ZN2at6native29vectorized_elementwise_kernelILi2ENS0_13AUnaryFunctorIssbNS0_12_GLOBAL__N_116CompareEqFunctorIsEEEESt5arrayIPcLm2EEEEviT0_T1_,"axG",@progbits,_ZN2at6native29vectorized_elementwise_kernelILi2ENS0_13AUnaryFunctorIssbNS0_12_GLOBAL__N_116CompareEqFunctorIsEEEESt5arrayIPcLm2EEEEviT0_T1_,comdat
	.globl	_ZN2at6native29vectorized_elementwise_kernelILi2ENS0_13AUnaryFunctorIssbNS0_12_GLOBAL__N_116CompareEqFunctorIsEEEESt5arrayIPcLm2EEEEviT0_T1_ ; -- Begin function _ZN2at6native29vectorized_elementwise_kernelILi2ENS0_13AUnaryFunctorIssbNS0_12_GLOBAL__N_116CompareEqFunctorIsEEEESt5arrayIPcLm2EEEEviT0_T1_
	.p2align	8
	.type	_ZN2at6native29vectorized_elementwise_kernelILi2ENS0_13AUnaryFunctorIssbNS0_12_GLOBAL__N_116CompareEqFunctorIsEEEESt5arrayIPcLm2EEEEviT0_T1_,@function
_ZN2at6native29vectorized_elementwise_kernelILi2ENS0_13AUnaryFunctorIssbNS0_12_GLOBAL__N_116CompareEqFunctorIsEEEESt5arrayIPcLm2EEEEviT0_T1_: ; @_ZN2at6native29vectorized_elementwise_kernelILi2ENS0_13AUnaryFunctorIssbNS0_12_GLOBAL__N_116CompareEqFunctorIsEEEESt5arrayIPcLm2EEEEviT0_T1_
; %bb.0:
	s_clause 0x1
	s_load_b96 s[12:14], s[0:1], 0x0
	s_load_b128 s[8:11], s[0:1], 0x10
	s_wait_xcnt 0x0
	s_bfe_u32 s0, ttmp6, 0x4000c
	s_and_b32 s1, ttmp6, 15
	s_add_co_i32 s0, s0, 1
	s_getreg_b32 s2, hwreg(HW_REG_IB_STS2, 6, 4)
	s_mul_i32 s0, ttmp9, s0
	s_delay_alu instid0(SALU_CYCLE_1) | instskip(SKIP_2) | instid1(SALU_CYCLE_1)
	s_add_co_i32 s1, s1, s0
	s_cmp_eq_u32 s2, 0
	s_cselect_b32 s0, ttmp9, s1
	s_lshl_b32 s16, s0, 12
	s_wait_kmcnt 0x0
	s_sub_co_i32 s7, s12, s16
	s_mov_b32 s12, -1
	s_cmp_gt_i32 s7, 0xfff
	s_cbranch_scc0 .LBB75_2
; %bb.1:
	s_ashr_i32 s17, s16, 31
	s_mov_b32 s12, 0
	s_lshl_b64 s[0:1], s[16:17], 1
	s_cmp_eq_u32 s13, 0
	s_add_nc_u64 s[0:1], s[10:11], s[0:1]
	s_cselect_b32 s15, -1, 0
	s_clause 0x7
	global_load_b32 v1, v0, s[0:1] scale_offset
	global_load_b32 v2, v0, s[0:1] offset:1024 scale_offset
	global_load_b32 v3, v0, s[0:1] offset:2048 scale_offset
	;; [unrolled: 1-line block ×7, first 2 shown]
	s_add_nc_u64 s[18:19], s[8:9], s[16:17]
	s_wait_loadcnt 0x7
	v_cmp_ne_u16_e32 vcc_lo, s14, v1
	s_wait_loadcnt 0x6
	s_wait_xcnt 0x0
	v_cmp_ne_u16_e64 s0, s14, v2
	v_dual_lshrrev_b32 v1, 16, v1 :: v_dual_lshrrev_b32 v2, 16, v2
	s_wait_loadcnt 0x5
	v_cmp_ne_u16_e64 s1, s14, v3
	v_lshrrev_b32_e32 v3, 16, v3
	s_wait_loadcnt 0x4
	v_cmp_ne_u16_e64 s2, s14, v4
	s_wait_loadcnt 0x3
	v_cmp_ne_u16_e64 s3, s14, v5
	s_xor_b32 s0, s15, s0
	v_dual_lshrrev_b32 v4, 16, v4 :: v_dual_lshrrev_b32 v5, 16, v5
	s_wait_loadcnt 0x2
	v_cmp_ne_u16_e64 s4, s14, v6
	s_wait_loadcnt 0x1
	v_cmp_ne_u16_e64 s5, s14, v7
	s_xor_b32 s17, s15, vcc_lo
	v_cmp_ne_u16_e32 vcc_lo, s14, v1
	v_cndmask_b32_e64 v1, 0, 1, s0
	v_cmp_ne_u16_e64 s0, s14, v2
	s_xor_b32 s1, s15, s1
	v_dual_lshrrev_b32 v6, 16, v6 :: v_dual_lshrrev_b32 v7, 16, v7
	s_wait_loadcnt 0x0
	v_cmp_ne_u16_e64 s6, s14, v8
	v_cndmask_b32_e64 v2, 0, 1, s1
	v_cmp_ne_u16_e64 s1, s14, v3
	s_xor_b32 s2, s15, s2
	s_xor_b32 s3, s15, s3
	v_lshrrev_b32_e32 v8, 16, v8
	v_cndmask_b32_e64 v3, 0, 1, s2
	v_cmp_ne_u16_e64 s2, s14, v4
	v_cndmask_b32_e64 v4, 0, 1, s3
	v_cmp_ne_u16_e64 s3, s14, v5
	s_xor_b32 s4, s15, s4
	s_xor_b32 s5, s15, s5
	;; [unrolled: 1-line block ×3, first 2 shown]
	v_cndmask_b32_e64 v5, 0, 1, s4
	v_cmp_ne_u16_e64 s4, s14, v6
	v_cndmask_b32_e64 v6, 0, 1, s5
	v_cmp_ne_u16_e64 s5, s14, v7
	s_xor_b32 s6, s15, s6
	v_cndmask_b32_e64 v10, 0, 1, s0
	s_xor_b32 s0, s15, s1
	v_cndmask_b32_e64 v7, 0, 1, s6
	v_cmp_ne_u16_e64 s6, s14, v8
	v_cndmask_b32_e64 v11, 0, 1, s0
	s_xor_b32 s0, s15, s3
	v_cndmask_b32_e64 v9, 0, 1, s17
	v_cndmask_b32_e64 v12, 0, 1, s0
	s_xor_b32 s0, s15, s5
	s_xor_b32 s17, s15, vcc_lo
	v_cndmask_b32_e64 v13, 0, 1, s0
	s_xor_b32 s0, s15, s6
	v_cndmask_b32_e64 v8, 0, 1, s17
	v_cndmask_b32_e64 v14, 0, 1, s0
	s_xor_b32 s0, s15, s4
	v_lshlrev_b16 v10, 8, v10
	v_cndmask_b32_e64 v15, 0, 1, s0
	s_xor_b32 s0, s15, s2
	v_lshlrev_b16 v8, 8, v8
	v_cndmask_b32_e64 v16, 0, 1, s0
	v_lshlrev_b16 v11, 8, v11
	v_lshlrev_b16 v12, 8, v12
	;; [unrolled: 1-line block ×6, first 2 shown]
	v_or_b32_e32 v8, v9, v8
	v_or_b32_e32 v1, v1, v10
	;; [unrolled: 1-line block ×8, first 2 shown]
	s_clause 0x7
	global_store_b16 v0, v8, s[18:19] scale_offset
	global_store_b16 v0, v1, s[18:19] offset:512 scale_offset
	global_store_b16 v0, v2, s[18:19] offset:1024 scale_offset
	;; [unrolled: 1-line block ×7, first 2 shown]
.LBB75_2:
	s_and_not1_b32 vcc_lo, exec_lo, s12
	s_cbranch_vccnz .LBB75_52
; %bb.3:
	v_cmp_gt_i32_e32 vcc_lo, s7, v0
	s_wait_xcnt 0x1
	v_dual_mov_b32 v6, 0 :: v_dual_bitop2_b32 v1, s16, v0 bitop3:0x54
	v_or_b32_e32 v2, 0x100, v0
	s_wait_xcnt 0x0
	v_dual_mov_b32 v7, 0 :: v_dual_mov_b32 v9, v0
	s_and_saveexec_b32 s0, vcc_lo
	s_cbranch_execz .LBB75_5
; %bb.4:
	global_load_u16 v7, v1, s[10:11] scale_offset
	v_or_b32_e32 v9, 0x100, v0
.LBB75_5:
	s_wait_xcnt 0x0
	s_or_b32 exec_lo, exec_lo, s0
	s_delay_alu instid0(SALU_CYCLE_1) | instskip(NEXT) | instid1(VALU_DEP_1)
	s_mov_b32 s1, exec_lo
	v_cmpx_gt_i32_e64 s7, v9
	s_cbranch_execz .LBB75_7
; %bb.6:
	v_add_nc_u32_e32 v3, s16, v9
	v_add_nc_u32_e32 v9, 0x100, v9
	global_load_u16 v6, v3, s[10:11] scale_offset
.LBB75_7:
	s_wait_xcnt 0x0
	s_or_b32 exec_lo, exec_lo, s1
	v_dual_mov_b32 v4, 0 :: v_dual_mov_b32 v5, 0
	s_mov_b32 s1, exec_lo
	v_cmpx_gt_i32_e64 s7, v9
	s_cbranch_execz .LBB75_9
; %bb.8:
	v_add_nc_u32_e32 v3, s16, v9
	v_add_nc_u32_e32 v9, 0x100, v9
	global_load_u16 v5, v3, s[10:11] scale_offset
.LBB75_9:
	s_wait_xcnt 0x0
	s_or_b32 exec_lo, exec_lo, s1
	s_delay_alu instid0(SALU_CYCLE_1)
	s_mov_b32 s1, exec_lo
	v_cmpx_gt_i32_e64 s7, v9
	s_cbranch_execz .LBB75_11
; %bb.10:
	v_add_nc_u32_e32 v3, s16, v9
	v_add_nc_u32_e32 v9, 0x100, v9
	global_load_u16 v4, v3, s[10:11] scale_offset
.LBB75_11:
	s_wait_xcnt 0x0
	s_or_b32 exec_lo, exec_lo, s1
	v_dual_mov_b32 v12, 0 :: v_dual_mov_b32 v14, 0
	s_mov_b32 s1, exec_lo
	v_cmpx_gt_i32_e64 s7, v9
	s_cbranch_execz .LBB75_13
; %bb.12:
	v_add_nc_u32_e32 v3, s16, v9
	v_add_nc_u32_e32 v9, 0x100, v9
	global_load_u16 v14, v3, s[10:11] scale_offset
.LBB75_13:
	s_wait_xcnt 0x0
	s_or_b32 exec_lo, exec_lo, s1
	s_delay_alu instid0(SALU_CYCLE_1)
	;; [unrolled: 22-line block ×7, first 2 shown]
	s_mov_b32 s1, exec_lo
	v_cmpx_gt_i32_e64 s7, v9
	s_cbranch_execz .LBB75_35
; %bb.34:
	v_add_nc_u32_e32 v9, s16, v9
	global_load_u16 v16, v9, s[10:11] scale_offset
.LBB75_35:
	s_wait_xcnt 0x0
	s_or_b32 exec_lo, exec_lo, s1
	s_wait_loadcnt 0x0
	v_cmp_ne_u16_e64 s0, s14, v7
	s_cmp_eq_u32 s13, 0
	v_cmp_ne_u16_e64 s1, s14, v6
	s_cselect_b32 s4, -1, 0
	v_cmp_ne_u16_e64 s2, s14, v14
	s_xor_b32 s0, s4, s0
	v_cmp_ne_u16_e64 s3, s14, v10
	v_cndmask_b32_e64 v6, 0, 1, s0
	s_xor_b32 s0, s4, s1
	v_cmp_gt_i32_e64 s1, s7, v2
	v_cndmask_b32_e64 v7, 0, 1, s0
	s_xor_b32 s0, s4, s2
	v_or_b32_e32 v10, 0xc00, v0
	v_cndmask_b32_e64 v9, 0, 1, s0
	v_cmp_ne_u16_e64 s0, s14, v12
	v_or_b32_e32 v12, 0x400, v0
	v_lshlrev_b16 v7, 8, v7
	s_delay_alu instid0(VALU_DEP_4) | instskip(SKIP_1) | instid1(SALU_CYCLE_1)
	v_bitop3_b16 v9, v9, 0, 0xff00 bitop3:0xf8
	s_xor_b32 s0, s4, s0
	v_cndmask_b32_e64 v14, 0, 1, s0
	v_cmp_gt_i32_e64 s0, s7, v12
	s_delay_alu instid0(VALU_DEP_3) | instskip(SKIP_1) | instid1(VALU_DEP_4)
	v_and_b32_e32 v9, 0xffff, v9
	v_cndmask_b32_e32 v6, 0, v6, vcc_lo
	v_lshlrev_b16 v12, 8, v14
	v_or_b32_e32 v14, 0x200, v0
	s_delay_alu instid0(VALU_DEP_3) | instskip(SKIP_1) | instid1(VALU_DEP_3)
	v_dual_cndmask_b32 v9, 0, v9, s0 :: v_dual_bitop2_b32 v7, v6, v7 bitop3:0x54
	v_cmp_ne_u16_e64 s0, s14, v5
	v_cmp_gt_i32_e64 s2, s7, v14
	s_delay_alu instid0(VALU_DEP_3) | instskip(SKIP_1) | instid1(VALU_DEP_1)
	v_and_b32_e32 v7, 0xffff, v7
	s_xor_b32 s0, s4, s0
	v_cndmask_b32_e64 v5, v6, v7, s1
	v_bitop3_b16 v6, v9, v12, 0xff bitop3:0xec
	v_or_b32_e32 v12, 0x500, v0
	v_cndmask_b32_e64 v7, 0, 1, s0
	v_cmp_ne_u16_e64 s0, s14, v4
	s_delay_alu instid0(VALU_DEP_4) | instskip(NEXT) | instid1(VALU_DEP_4)
	v_and_b32_e32 v6, 0xffff, v6
	v_cmp_gt_i32_e64 s1, s7, v12
	s_delay_alu instid0(VALU_DEP_4)
	v_lshl_or_b32 v7, v7, 16, v5
	s_xor_b32 s0, s4, s0
	v_cndmask_b32_e64 v4, v9, v6, s1
	v_cmp_ne_u16_e64 s1, s14, v13
	v_cndmask_b32_e64 v6, 0, 1, s0
	v_cndmask_b32_e64 v5, v5, v7, s2
	v_cmp_ne_u16_e64 s2, s14, v17
	v_lshrrev_b32_e32 v7, 16, v4
	s_xor_b32 s0, s4, s1
	v_cmp_ne_u16_e64 s1, s14, v18
	v_cndmask_b32_e64 v9, 0, 1, s0
	v_cmp_ne_u16_e64 s0, s14, v15
	v_lshlrev_b16 v6, 8, v6
	s_xor_b32 s1, s4, s1
	v_bitop3_b16 v7, v9, v7, 0xff00 bitop3:0xf8
	s_xor_b32 s0, s4, s0
	v_cndmask_b32_e64 v13, 0, 1, s1
	s_xor_b32 s1, s4, s2
	v_cndmask_b32_e64 v15, 0, 1, s0
	v_lshlrev_b32_e32 v7, 16, v7
	v_cmp_gt_i32_e64 s0, s7, v10
	v_lshrrev_b32_e32 v12, 16, v5
	v_or_b32_e32 v9, 0x600, v0
	v_cndmask_b32_e64 v14, 0, 1, s1
	v_and_or_b32 v7, 0xffff, v4, v7
	v_cndmask_b32_e64 v10, 0, v13, s0
	s_xor_b32 s0, s4, s3
	v_bitop3_b16 v6, v12, v6, 0xff bitop3:0xec
	v_or_b32_e32 v12, 0x800, v0
	v_lshlrev_b16 v13, 8, v14
	v_cndmask_b32_e64 v14, 0, 1, s0
	v_cmp_gt_i32_e64 s0, s7, v9
	v_cmp_ne_u16_e64 s1, s14, v11
	s_delay_alu instid0(VALU_DEP_2)
	v_dual_lshlrev_b32 v6, 16, v6 :: v_dual_cndmask_b32 v4, v4, v7, s0
	v_cmp_gt_i32_e64 s0, s7, v12
	v_bitop3_b16 v7, v10, v13, 0xff bitop3:0xec
	v_lshlrev_b16 v12, 8, v14
	v_or_b32_e32 v13, 0x900, v0
	s_xor_b32 s1, s4, s1
	v_cndmask_b32_e64 v9, 0, v15, s0
	v_cmp_ne_u16_e64 s0, s14, v3
	v_or_b32_e32 v3, 0xd00, v0
	v_and_b32_e32 v7, 0xffff, v7
	v_and_or_b32 v6, 0xffff, v5, v6
	s_xor_b32 s0, s4, s0
	s_delay_alu instid0(VALU_DEP_3) | instskip(NEXT) | instid1(VALU_DEP_1)
	v_cmp_gt_i32_e64 s2, s7, v3
	v_dual_cndmask_b32 v3, v10, v7, s2 :: v_dual_bitop2_b32 v12, v9, v12 bitop3:0x54
	v_cmp_ne_u16_e64 s2, s14, v19
	v_cndmask_b32_e64 v10, 0, 1, s1
	s_delay_alu instid0(VALU_DEP_3) | instskip(NEXT) | instid1(VALU_DEP_4)
	v_and_b32_e32 v7, 0xffff, v12
	v_lshrrev_b32_e32 v11, 16, v3
	s_xor_b32 s1, s4, s2
	s_delay_alu instid0(SALU_CYCLE_1) | instskip(SKIP_2) | instid1(VALU_DEP_3)
	v_cndmask_b32_e64 v12, 0, 1, s1
	v_cmp_gt_i32_e64 s1, s7, v13
	v_or_b32_e32 v13, 0xa00, v0
	v_bitop3_b16 v11, v12, v11, 0xff00 bitop3:0xf8
	s_delay_alu instid0(VALU_DEP_3)
	v_dual_lshrrev_b32 v12, 16, v4 :: v_dual_cndmask_b32 v7, v9, v7, s1
	v_lshlrev_b32_e32 v9, 16, v10
	v_cndmask_b32_e64 v10, 0, 1, s0
	v_cmp_ne_u16_e64 s0, s14, v8
	v_cmp_gt_i32_e64 s1, s7, v13
	v_or_b32_e32 v8, 0xe00, v0
	v_and_or_b32 v9, 0x1ff, v7, v9
	v_lshlrev_b32_e32 v11, 16, v11
	s_xor_b32 s0, s4, s0
	v_lshlrev_b16 v10, 8, v10
	v_or_b32_e32 v13, 0x300, v0
	v_cndmask_b32_e64 v7, v7, v9, s1
	v_and_or_b32 v9, 0xffff, v3, v11
	v_cmp_ne_u16_e64 s1, s14, v16
	v_cndmask_b32_e64 v11, 0, 1, s0
	v_cmp_gt_i32_e64 s0, s7, v8
	s_delay_alu instid0(VALU_DEP_2) | instskip(NEXT) | instid1(VALU_DEP_2)
	v_lshlrev_b16 v11, 8, v11
	v_cndmask_b32_e64 v3, v3, v9, s0
	s_xor_b32 s0, s4, s1
	v_bitop3_b16 v9, v12, v10, 0xff bitop3:0xec
	v_cndmask_b32_e64 v8, 0, 1, s0
	v_lshrrev_b32_e32 v10, 16, v7
	v_cmp_gt_i32_e64 s0, s7, v13
	s_delay_alu instid0(VALU_DEP_4) | instskip(NEXT) | instid1(VALU_DEP_4)
	v_dual_lshrrev_b32 v12, 16, v3 :: v_dual_lshlrev_b32 v9, 16, v9
	v_lshlrev_b16 v8, 8, v8
	s_delay_alu instid0(VALU_DEP_4) | instskip(NEXT) | instid1(VALU_DEP_4)
	v_bitop3_b16 v10, v10, v11, 0xff bitop3:0xec
	v_cndmask_b32_e64 v6, v5, v6, s0
	v_or_b32_e32 v11, 0xb00, v0
	v_and_or_b32 v9, 0xffff, v4, v9
	v_bitop3_b16 v8, v12, v8, 0xff bitop3:0xec
	v_lshlrev_b32_e32 v5, 16, v10
	v_or_b32_e32 v10, 0x700, v0
	v_or_b32_e32 v13, 0xf00, v0
	s_delay_alu instid0(VALU_DEP_4) | instskip(NEXT) | instid1(VALU_DEP_4)
	v_lshlrev_b32_e32 v8, 16, v8
	v_and_or_b32 v12, 0xffff, v7, v5
	s_delay_alu instid0(VALU_DEP_4) | instskip(NEXT) | instid1(VALU_DEP_3)
	v_cmp_gt_i32_e64 s0, s7, v10
	v_and_or_b32 v8, 0xffff, v3, v8
	s_delay_alu instid0(VALU_DEP_2) | instskip(SKIP_1) | instid1(VALU_DEP_1)
	v_cndmask_b32_e64 v5, v4, v9, s0
	v_cmp_gt_i32_e64 s0, s7, v11
	v_cndmask_b32_e64 v4, v7, v12, s0
	v_cmp_gt_i32_e64 s0, s7, v13
	s_delay_alu instid0(VALU_DEP_1)
	v_cndmask_b32_e64 v3, v3, v8, s0
	s_and_saveexec_b32 s0, vcc_lo
	s_cbranch_execnz .LBB75_53
; %bb.36:
	s_or_b32 exec_lo, exec_lo, s0
	s_delay_alu instid0(SALU_CYCLE_1)
	s_mov_b32 s0, exec_lo
	v_cmpx_gt_i32_e64 s7, v0
	s_cbranch_execnz .LBB75_54
.LBB75_37:
	s_or_b32 exec_lo, exec_lo, s0
	s_delay_alu instid0(SALU_CYCLE_1)
	s_mov_b32 s0, exec_lo
	v_cmpx_gt_i32_e64 s7, v0
	s_cbranch_execnz .LBB75_55
.LBB75_38:
	s_or_b32 exec_lo, exec_lo, s0
	s_delay_alu instid0(SALU_CYCLE_1)
	s_mov_b32 s0, exec_lo
	v_cmpx_gt_i32_e64 s7, v0
	s_cbranch_execnz .LBB75_56
.LBB75_39:
	s_or_b32 exec_lo, exec_lo, s0
	s_delay_alu instid0(SALU_CYCLE_1)
	s_mov_b32 s0, exec_lo
	v_cmpx_gt_i32_e64 s7, v0
	s_cbranch_execnz .LBB75_57
.LBB75_40:
	s_or_b32 exec_lo, exec_lo, s0
	s_delay_alu instid0(SALU_CYCLE_1)
	s_mov_b32 s0, exec_lo
	v_cmpx_gt_i32_e64 s7, v0
	s_cbranch_execnz .LBB75_58
.LBB75_41:
	s_or_b32 exec_lo, exec_lo, s0
	s_delay_alu instid0(SALU_CYCLE_1)
	s_mov_b32 s0, exec_lo
	v_cmpx_gt_i32_e64 s7, v0
	s_cbranch_execnz .LBB75_59
.LBB75_42:
	s_or_b32 exec_lo, exec_lo, s0
	s_delay_alu instid0(SALU_CYCLE_1)
	s_mov_b32 s0, exec_lo
	v_cmpx_gt_i32_e64 s7, v0
	s_cbranch_execnz .LBB75_60
.LBB75_43:
	s_or_b32 exec_lo, exec_lo, s0
	s_delay_alu instid0(SALU_CYCLE_1)
	s_mov_b32 s0, exec_lo
	v_cmpx_gt_i32_e64 s7, v0
	s_cbranch_execnz .LBB75_61
.LBB75_44:
	s_or_b32 exec_lo, exec_lo, s0
	s_delay_alu instid0(SALU_CYCLE_1)
	s_mov_b32 s0, exec_lo
	v_cmpx_gt_i32_e64 s7, v0
	s_cbranch_execnz .LBB75_62
.LBB75_45:
	s_or_b32 exec_lo, exec_lo, s0
	s_delay_alu instid0(SALU_CYCLE_1)
	s_mov_b32 s0, exec_lo
	v_cmpx_gt_i32_e64 s7, v0
	s_cbranch_execnz .LBB75_63
.LBB75_46:
	s_or_b32 exec_lo, exec_lo, s0
	s_delay_alu instid0(SALU_CYCLE_1)
	s_mov_b32 s0, exec_lo
	v_cmpx_gt_i32_e64 s7, v0
	s_cbranch_execnz .LBB75_64
.LBB75_47:
	s_or_b32 exec_lo, exec_lo, s0
	s_delay_alu instid0(SALU_CYCLE_1)
	s_mov_b32 s0, exec_lo
	v_cmpx_gt_i32_e64 s7, v0
	s_cbranch_execnz .LBB75_65
.LBB75_48:
	s_or_b32 exec_lo, exec_lo, s0
	s_delay_alu instid0(SALU_CYCLE_1)
	s_mov_b32 s0, exec_lo
	v_cmpx_gt_i32_e64 s7, v0
	s_cbranch_execnz .LBB75_66
.LBB75_49:
	s_or_b32 exec_lo, exec_lo, s0
	s_delay_alu instid0(SALU_CYCLE_1)
	s_mov_b32 s0, exec_lo
	v_cmpx_gt_i32_e64 s7, v0
	s_cbranch_execnz .LBB75_67
.LBB75_50:
	s_or_b32 exec_lo, exec_lo, s0
	s_delay_alu instid0(SALU_CYCLE_1)
	s_mov_b32 s0, exec_lo
	v_cmpx_gt_i32_e64 s7, v0
	s_cbranch_execz .LBB75_52
.LBB75_51:
	v_dual_lshrrev_b32 v1, 24, v3 :: v_dual_add_nc_u32 v0, s16, v0
	global_store_b8 v0, v1, s[8:9]
.LBB75_52:
	s_endpgm
.LBB75_53:
	v_mov_b32_e32 v0, v2
	global_store_b8 v1, v6, s[8:9]
	s_wait_xcnt 0x0
	s_or_b32 exec_lo, exec_lo, s0
	s_delay_alu instid0(SALU_CYCLE_1)
	s_mov_b32 s0, exec_lo
	v_cmpx_gt_i32_e64 s7, v0
	s_cbranch_execz .LBB75_37
.LBB75_54:
	v_dual_lshrrev_b32 v1, 8, v6 :: v_dual_add_nc_u32 v2, s16, v0
	v_add_nc_u32_e32 v0, 0x100, v0
	global_store_b8 v2, v1, s[8:9]
	s_wait_xcnt 0x0
	s_or_b32 exec_lo, exec_lo, s0
	s_delay_alu instid0(SALU_CYCLE_1)
	s_mov_b32 s0, exec_lo
	v_cmpx_gt_i32_e64 s7, v0
	s_cbranch_execz .LBB75_38
.LBB75_55:
	v_add_nc_u32_e32 v1, s16, v0
	v_add_nc_u32_e32 v0, 0x100, v0
	global_store_d16_hi_b8 v1, v6, s[8:9]
	s_wait_xcnt 0x0
	s_or_b32 exec_lo, exec_lo, s0
	s_delay_alu instid0(SALU_CYCLE_1)
	s_mov_b32 s0, exec_lo
	v_cmpx_gt_i32_e64 s7, v0
	s_cbranch_execz .LBB75_39
.LBB75_56:
	v_dual_lshrrev_b32 v1, 24, v6 :: v_dual_add_nc_u32 v2, s16, v0
	v_add_nc_u32_e32 v0, 0x100, v0
	global_store_b8 v2, v1, s[8:9]
	s_wait_xcnt 0x0
	s_or_b32 exec_lo, exec_lo, s0
	s_delay_alu instid0(SALU_CYCLE_1)
	s_mov_b32 s0, exec_lo
	v_cmpx_gt_i32_e64 s7, v0
	s_cbranch_execz .LBB75_40
.LBB75_57:
	v_add_nc_u32_e32 v1, s16, v0
	v_add_nc_u32_e32 v0, 0x100, v0
	global_store_b8 v1, v5, s[8:9]
	s_wait_xcnt 0x0
	s_or_b32 exec_lo, exec_lo, s0
	s_delay_alu instid0(SALU_CYCLE_1)
	s_mov_b32 s0, exec_lo
	v_cmpx_gt_i32_e64 s7, v0
	s_cbranch_execz .LBB75_41
.LBB75_58:
	v_dual_lshrrev_b32 v1, 8, v5 :: v_dual_add_nc_u32 v2, s16, v0
	v_add_nc_u32_e32 v0, 0x100, v0
	global_store_b8 v2, v1, s[8:9]
	s_wait_xcnt 0x0
	s_or_b32 exec_lo, exec_lo, s0
	s_delay_alu instid0(SALU_CYCLE_1)
	s_mov_b32 s0, exec_lo
	v_cmpx_gt_i32_e64 s7, v0
	s_cbranch_execz .LBB75_42
.LBB75_59:
	v_add_nc_u32_e32 v1, s16, v0
	v_add_nc_u32_e32 v0, 0x100, v0
	global_store_d16_hi_b8 v1, v5, s[8:9]
	s_wait_xcnt 0x0
	s_or_b32 exec_lo, exec_lo, s0
	s_delay_alu instid0(SALU_CYCLE_1)
	s_mov_b32 s0, exec_lo
	v_cmpx_gt_i32_e64 s7, v0
	s_cbranch_execz .LBB75_43
.LBB75_60:
	v_dual_lshrrev_b32 v1, 24, v5 :: v_dual_add_nc_u32 v2, s16, v0
	v_add_nc_u32_e32 v0, 0x100, v0
	global_store_b8 v2, v1, s[8:9]
	s_wait_xcnt 0x0
	s_or_b32 exec_lo, exec_lo, s0
	s_delay_alu instid0(SALU_CYCLE_1)
	s_mov_b32 s0, exec_lo
	v_cmpx_gt_i32_e64 s7, v0
	s_cbranch_execz .LBB75_44
.LBB75_61:
	v_add_nc_u32_e32 v1, s16, v0
	v_add_nc_u32_e32 v0, 0x100, v0
	global_store_b8 v1, v4, s[8:9]
	s_wait_xcnt 0x0
	s_or_b32 exec_lo, exec_lo, s0
	s_delay_alu instid0(SALU_CYCLE_1)
	s_mov_b32 s0, exec_lo
	v_cmpx_gt_i32_e64 s7, v0
	s_cbranch_execz .LBB75_45
.LBB75_62:
	v_lshrrev_b32_e32 v1, 8, v4
	v_add_nc_u32_e32 v2, s16, v0
	v_add_nc_u32_e32 v0, 0x100, v0
	global_store_b8 v2, v1, s[8:9]
	s_wait_xcnt 0x0
	s_or_b32 exec_lo, exec_lo, s0
	s_delay_alu instid0(SALU_CYCLE_1)
	s_mov_b32 s0, exec_lo
	v_cmpx_gt_i32_e64 s7, v0
	s_cbranch_execz .LBB75_46
.LBB75_63:
	v_add_nc_u32_e32 v1, s16, v0
	v_add_nc_u32_e32 v0, 0x100, v0
	global_store_d16_hi_b8 v1, v4, s[8:9]
	s_wait_xcnt 0x0
	s_or_b32 exec_lo, exec_lo, s0
	s_delay_alu instid0(SALU_CYCLE_1)
	s_mov_b32 s0, exec_lo
	v_cmpx_gt_i32_e64 s7, v0
	s_cbranch_execz .LBB75_47
.LBB75_64:
	v_lshrrev_b32_e32 v1, 24, v4
	v_add_nc_u32_e32 v2, s16, v0
	v_add_nc_u32_e32 v0, 0x100, v0
	global_store_b8 v2, v1, s[8:9]
	s_wait_xcnt 0x0
	s_or_b32 exec_lo, exec_lo, s0
	s_delay_alu instid0(SALU_CYCLE_1)
	s_mov_b32 s0, exec_lo
	v_cmpx_gt_i32_e64 s7, v0
	s_cbranch_execz .LBB75_48
.LBB75_65:
	v_add_nc_u32_e32 v1, s16, v0
	v_add_nc_u32_e32 v0, 0x100, v0
	global_store_b8 v1, v3, s[8:9]
	s_wait_xcnt 0x0
	s_or_b32 exec_lo, exec_lo, s0
	s_delay_alu instid0(SALU_CYCLE_1)
	s_mov_b32 s0, exec_lo
	v_cmpx_gt_i32_e64 s7, v0
	s_cbranch_execz .LBB75_49
.LBB75_66:
	v_dual_lshrrev_b32 v1, 8, v3 :: v_dual_add_nc_u32 v2, s16, v0
	v_add_nc_u32_e32 v0, 0x100, v0
	global_store_b8 v2, v1, s[8:9]
	s_wait_xcnt 0x0
	s_or_b32 exec_lo, exec_lo, s0
	s_delay_alu instid0(SALU_CYCLE_1)
	s_mov_b32 s0, exec_lo
	v_cmpx_gt_i32_e64 s7, v0
	s_cbranch_execz .LBB75_50
.LBB75_67:
	v_add_nc_u32_e32 v1, s16, v0
	v_add_nc_u32_e32 v0, 0x100, v0
	global_store_d16_hi_b8 v1, v3, s[8:9]
	s_wait_xcnt 0x0
	s_or_b32 exec_lo, exec_lo, s0
	s_delay_alu instid0(SALU_CYCLE_1)
	s_mov_b32 s0, exec_lo
	v_cmpx_gt_i32_e64 s7, v0
	s_cbranch_execnz .LBB75_51
	s_branch .LBB75_52
	.section	.rodata,"a",@progbits
	.p2align	6, 0x0
	.amdhsa_kernel _ZN2at6native29vectorized_elementwise_kernelILi2ENS0_13AUnaryFunctorIssbNS0_12_GLOBAL__N_116CompareEqFunctorIsEEEESt5arrayIPcLm2EEEEviT0_T1_
		.amdhsa_group_segment_fixed_size 0
		.amdhsa_private_segment_fixed_size 0
		.amdhsa_kernarg_size 32
		.amdhsa_user_sgpr_count 2
		.amdhsa_user_sgpr_dispatch_ptr 0
		.amdhsa_user_sgpr_queue_ptr 0
		.amdhsa_user_sgpr_kernarg_segment_ptr 1
		.amdhsa_user_sgpr_dispatch_id 0
		.amdhsa_user_sgpr_kernarg_preload_length 0
		.amdhsa_user_sgpr_kernarg_preload_offset 0
		.amdhsa_user_sgpr_private_segment_size 0
		.amdhsa_wavefront_size32 1
		.amdhsa_uses_dynamic_stack 0
		.amdhsa_enable_private_segment 0
		.amdhsa_system_sgpr_workgroup_id_x 1
		.amdhsa_system_sgpr_workgroup_id_y 0
		.amdhsa_system_sgpr_workgroup_id_z 0
		.amdhsa_system_sgpr_workgroup_info 0
		.amdhsa_system_vgpr_workitem_id 0
		.amdhsa_next_free_vgpr 20
		.amdhsa_next_free_sgpr 20
		.amdhsa_named_barrier_count 0
		.amdhsa_reserve_vcc 1
		.amdhsa_float_round_mode_32 0
		.amdhsa_float_round_mode_16_64 0
		.amdhsa_float_denorm_mode_32 3
		.amdhsa_float_denorm_mode_16_64 3
		.amdhsa_fp16_overflow 0
		.amdhsa_memory_ordered 1
		.amdhsa_forward_progress 1
		.amdhsa_inst_pref_size 32
		.amdhsa_round_robin_scheduling 0
		.amdhsa_exception_fp_ieee_invalid_op 0
		.amdhsa_exception_fp_denorm_src 0
		.amdhsa_exception_fp_ieee_div_zero 0
		.amdhsa_exception_fp_ieee_overflow 0
		.amdhsa_exception_fp_ieee_underflow 0
		.amdhsa_exception_fp_ieee_inexact 0
		.amdhsa_exception_int_div_zero 0
	.end_amdhsa_kernel
	.section	.text._ZN2at6native29vectorized_elementwise_kernelILi2ENS0_13AUnaryFunctorIssbNS0_12_GLOBAL__N_116CompareEqFunctorIsEEEESt5arrayIPcLm2EEEEviT0_T1_,"axG",@progbits,_ZN2at6native29vectorized_elementwise_kernelILi2ENS0_13AUnaryFunctorIssbNS0_12_GLOBAL__N_116CompareEqFunctorIsEEEESt5arrayIPcLm2EEEEviT0_T1_,comdat
.Lfunc_end75:
	.size	_ZN2at6native29vectorized_elementwise_kernelILi2ENS0_13AUnaryFunctorIssbNS0_12_GLOBAL__N_116CompareEqFunctorIsEEEESt5arrayIPcLm2EEEEviT0_T1_, .Lfunc_end75-_ZN2at6native29vectorized_elementwise_kernelILi2ENS0_13AUnaryFunctorIssbNS0_12_GLOBAL__N_116CompareEqFunctorIsEEEESt5arrayIPcLm2EEEEviT0_T1_
                                        ; -- End function
	.set _ZN2at6native29vectorized_elementwise_kernelILi2ENS0_13AUnaryFunctorIssbNS0_12_GLOBAL__N_116CompareEqFunctorIsEEEESt5arrayIPcLm2EEEEviT0_T1_.num_vgpr, 20
	.set _ZN2at6native29vectorized_elementwise_kernelILi2ENS0_13AUnaryFunctorIssbNS0_12_GLOBAL__N_116CompareEqFunctorIsEEEESt5arrayIPcLm2EEEEviT0_T1_.num_agpr, 0
	.set _ZN2at6native29vectorized_elementwise_kernelILi2ENS0_13AUnaryFunctorIssbNS0_12_GLOBAL__N_116CompareEqFunctorIsEEEESt5arrayIPcLm2EEEEviT0_T1_.numbered_sgpr, 20
	.set _ZN2at6native29vectorized_elementwise_kernelILi2ENS0_13AUnaryFunctorIssbNS0_12_GLOBAL__N_116CompareEqFunctorIsEEEESt5arrayIPcLm2EEEEviT0_T1_.num_named_barrier, 0
	.set _ZN2at6native29vectorized_elementwise_kernelILi2ENS0_13AUnaryFunctorIssbNS0_12_GLOBAL__N_116CompareEqFunctorIsEEEESt5arrayIPcLm2EEEEviT0_T1_.private_seg_size, 0
	.set _ZN2at6native29vectorized_elementwise_kernelILi2ENS0_13AUnaryFunctorIssbNS0_12_GLOBAL__N_116CompareEqFunctorIsEEEESt5arrayIPcLm2EEEEviT0_T1_.uses_vcc, 1
	.set _ZN2at6native29vectorized_elementwise_kernelILi2ENS0_13AUnaryFunctorIssbNS0_12_GLOBAL__N_116CompareEqFunctorIsEEEESt5arrayIPcLm2EEEEviT0_T1_.uses_flat_scratch, 0
	.set _ZN2at6native29vectorized_elementwise_kernelILi2ENS0_13AUnaryFunctorIssbNS0_12_GLOBAL__N_116CompareEqFunctorIsEEEESt5arrayIPcLm2EEEEviT0_T1_.has_dyn_sized_stack, 0
	.set _ZN2at6native29vectorized_elementwise_kernelILi2ENS0_13AUnaryFunctorIssbNS0_12_GLOBAL__N_116CompareEqFunctorIsEEEESt5arrayIPcLm2EEEEviT0_T1_.has_recursion, 0
	.set _ZN2at6native29vectorized_elementwise_kernelILi2ENS0_13AUnaryFunctorIssbNS0_12_GLOBAL__N_116CompareEqFunctorIsEEEESt5arrayIPcLm2EEEEviT0_T1_.has_indirect_call, 0
	.section	.AMDGPU.csdata,"",@progbits
; Kernel info:
; codeLenInByte = 4052
; TotalNumSgprs: 22
; NumVgprs: 20
; ScratchSize: 0
; MemoryBound: 0
; FloatMode: 240
; IeeeMode: 1
; LDSByteSize: 0 bytes/workgroup (compile time only)
; SGPRBlocks: 0
; VGPRBlocks: 1
; NumSGPRsForWavesPerEU: 22
; NumVGPRsForWavesPerEU: 20
; NamedBarCnt: 0
; Occupancy: 16
; WaveLimiterHint : 1
; COMPUTE_PGM_RSRC2:SCRATCH_EN: 0
; COMPUTE_PGM_RSRC2:USER_SGPR: 2
; COMPUTE_PGM_RSRC2:TRAP_HANDLER: 0
; COMPUTE_PGM_RSRC2:TGID_X_EN: 1
; COMPUTE_PGM_RSRC2:TGID_Y_EN: 0
; COMPUTE_PGM_RSRC2:TGID_Z_EN: 0
; COMPUTE_PGM_RSRC2:TIDIG_COMP_CNT: 0
	.section	.text._ZN2at6native27unrolled_elementwise_kernelINS0_13AUnaryFunctorIssbNS0_12_GLOBAL__N_116CompareEqFunctorIsEEEESt5arrayIPcLm2EELi4E23TrivialOffsetCalculatorILi1EjESB_NS0_6memory15LoadWithoutCastENSC_16StoreWithoutCastEEEviT_T0_T2_T3_T4_T5_,"axG",@progbits,_ZN2at6native27unrolled_elementwise_kernelINS0_13AUnaryFunctorIssbNS0_12_GLOBAL__N_116CompareEqFunctorIsEEEESt5arrayIPcLm2EELi4E23TrivialOffsetCalculatorILi1EjESB_NS0_6memory15LoadWithoutCastENSC_16StoreWithoutCastEEEviT_T0_T2_T3_T4_T5_,comdat
	.globl	_ZN2at6native27unrolled_elementwise_kernelINS0_13AUnaryFunctorIssbNS0_12_GLOBAL__N_116CompareEqFunctorIsEEEESt5arrayIPcLm2EELi4E23TrivialOffsetCalculatorILi1EjESB_NS0_6memory15LoadWithoutCastENSC_16StoreWithoutCastEEEviT_T0_T2_T3_T4_T5_ ; -- Begin function _ZN2at6native27unrolled_elementwise_kernelINS0_13AUnaryFunctorIssbNS0_12_GLOBAL__N_116CompareEqFunctorIsEEEESt5arrayIPcLm2EELi4E23TrivialOffsetCalculatorILi1EjESB_NS0_6memory15LoadWithoutCastENSC_16StoreWithoutCastEEEviT_T0_T2_T3_T4_T5_
	.p2align	8
	.type	_ZN2at6native27unrolled_elementwise_kernelINS0_13AUnaryFunctorIssbNS0_12_GLOBAL__N_116CompareEqFunctorIsEEEESt5arrayIPcLm2EELi4E23TrivialOffsetCalculatorILi1EjESB_NS0_6memory15LoadWithoutCastENSC_16StoreWithoutCastEEEviT_T0_T2_T3_T4_T5_,@function
_ZN2at6native27unrolled_elementwise_kernelINS0_13AUnaryFunctorIssbNS0_12_GLOBAL__N_116CompareEqFunctorIsEEEESt5arrayIPcLm2EELi4E23TrivialOffsetCalculatorILi1EjESB_NS0_6memory15LoadWithoutCastENSC_16StoreWithoutCastEEEviT_T0_T2_T3_T4_T5_: ; @_ZN2at6native27unrolled_elementwise_kernelINS0_13AUnaryFunctorIssbNS0_12_GLOBAL__N_116CompareEqFunctorIsEEEESt5arrayIPcLm2EELi4E23TrivialOffsetCalculatorILi1EjESB_NS0_6memory15LoadWithoutCastENSC_16StoreWithoutCastEEEviT_T0_T2_T3_T4_T5_
; %bb.0:
	s_clause 0x1
	s_load_b96 s[8:10], s[0:1], 0x0
	s_load_b128 s[4:7], s[0:1], 0x10
	s_bfe_u32 s2, ttmp6, 0x4000c
	s_wait_xcnt 0x0
	s_and_b32 s0, ttmp6, 15
	s_add_co_i32 s2, s2, 1
	v_dual_mov_b32 v3, 0 :: v_dual_mov_b32 v4, 0
	s_mul_i32 s1, ttmp9, s2
	s_getreg_b32 s2, hwreg(HW_REG_IB_STS2, 6, 4)
	s_add_co_i32 s0, s0, s1
	s_cmp_eq_u32 s2, 0
	v_or_b32_e32 v1, 0x100, v0
	s_cselect_b32 s0, ttmp9, s0
	v_mov_b32_e32 v6, v0
	s_lshl_b32 s2, s0, 10
	s_delay_alu instid0(SALU_CYCLE_1) | instskip(SKIP_2) | instid1(SALU_CYCLE_1)
	v_or_b32_e32 v2, s2, v0
	s_wait_kmcnt 0x0
	s_sub_co_i32 s3, s8, s2
	v_cmp_gt_i32_e32 vcc_lo, s3, v0
	s_and_saveexec_b32 s0, vcc_lo
	s_cbranch_execz .LBB76_2
; %bb.1:
	global_load_u16 v4, v2, s[6:7] scale_offset
	v_or_b32_e32 v6, 0x100, v0
.LBB76_2:
	s_wait_xcnt 0x0
	s_or_b32 exec_lo, exec_lo, s0
	s_delay_alu instid0(SALU_CYCLE_1) | instskip(NEXT) | instid1(VALU_DEP_1)
	s_mov_b32 s1, exec_lo
	v_cmpx_gt_i32_e64 s3, v6
	s_cbranch_execz .LBB76_4
; %bb.3:
	v_add_nc_u32_e32 v3, s2, v6
	v_add_nc_u32_e32 v6, 0x100, v6
	global_load_u16 v3, v3, s[6:7] scale_offset
.LBB76_4:
	s_wait_xcnt 0x0
	s_or_b32 exec_lo, exec_lo, s1
	v_dual_mov_b32 v5, 0 :: v_dual_mov_b32 v7, 0
	s_mov_b32 s1, exec_lo
	v_cmpx_gt_i32_e64 s3, v6
	s_cbranch_execz .LBB76_6
; %bb.5:
	v_add_nc_u32_e32 v7, s2, v6
	v_add_nc_u32_e32 v6, 0x100, v6
	global_load_u16 v7, v7, s[6:7] scale_offset
.LBB76_6:
	s_wait_xcnt 0x0
	s_or_b32 exec_lo, exec_lo, s1
	s_delay_alu instid0(SALU_CYCLE_1)
	s_mov_b32 s1, exec_lo
	v_cmpx_gt_i32_e64 s3, v6
	s_cbranch_execz .LBB76_8
; %bb.7:
	v_add_nc_u32_e32 v5, s2, v6
	global_load_u16 v5, v5, s[6:7] scale_offset
.LBB76_8:
	s_wait_xcnt 0x0
	s_or_b32 exec_lo, exec_lo, s1
	s_wait_loadcnt 0x0
	v_cmp_ne_u16_e64 s0, s10, v4
	s_cmp_eq_u32 s9, 0
	v_cmp_ne_u16_e64 s1, s10, v3
	s_cselect_b32 s6, -1, 0
	s_delay_alu instid0(SALU_CYCLE_1) | instskip(NEXT) | instid1(SALU_CYCLE_1)
	s_xor_b32 s0, s6, s0
	v_cndmask_b32_e64 v3, 0, 1, s0
	s_xor_b32 s0, s6, s1
	s_delay_alu instid0(SALU_CYCLE_1) | instskip(SKIP_1) | instid1(VALU_DEP_2)
	v_cndmask_b32_e64 v4, 0, 1, s0
	v_cmp_ne_u16_e64 s0, s10, v7
	v_lshlrev_b16 v4, 8, v4
	s_xor_b32 s0, s6, s0
	s_delay_alu instid0(SALU_CYCLE_1) | instskip(SKIP_2) | instid1(VALU_DEP_2)
	v_cndmask_b32_e64 v6, 0, 1, s0
	v_cndmask_b32_e32 v3, 0, v3, vcc_lo
	v_cmp_gt_i32_e64 s0, s3, v1
	v_dual_lshlrev_b32 v6, 16, v6 :: v_dual_bitop2_b32 v4, v3, v4 bitop3:0x54
	s_delay_alu instid0(VALU_DEP_1) | instskip(NEXT) | instid1(VALU_DEP_1)
	v_and_b32_e32 v4, 0xffff, v4
	v_cndmask_b32_e64 v3, v3, v4, s0
	v_or_b32_e32 v4, 0x200, v0
	v_cmp_ne_u16_e64 s0, s10, v5
	s_delay_alu instid0(VALU_DEP_3) | instskip(NEXT) | instid1(VALU_DEP_3)
	v_or_b32_e32 v6, v3, v6
	v_cmp_gt_i32_e64 s1, s3, v4
	s_xor_b32 s0, s6, s0
	s_delay_alu instid0(SALU_CYCLE_1) | instskip(SKIP_1) | instid1(VALU_DEP_2)
	v_cndmask_b32_e64 v4, 0, 1, s0
	v_cndmask_b32_e64 v3, v3, v6, s1
	v_lshlrev_b16 v4, 8, v4
	s_delay_alu instid0(VALU_DEP_2) | instskip(NEXT) | instid1(VALU_DEP_1)
	v_lshrrev_b32_e32 v5, 16, v3
	v_bitop3_b16 v4, v5, v4, 0xff bitop3:0xec
	v_or_b32_e32 v5, 0x300, v0
	s_delay_alu instid0(VALU_DEP_2) | instskip(NEXT) | instid1(VALU_DEP_2)
	v_lshlrev_b32_e32 v4, 16, v4
	v_cmp_gt_i32_e64 s0, s3, v5
	s_delay_alu instid0(VALU_DEP_2) | instskip(NEXT) | instid1(VALU_DEP_1)
	v_and_or_b32 v4, 0xffff, v3, v4
	v_cndmask_b32_e64 v3, v3, v4, s0
	s_and_saveexec_b32 s0, vcc_lo
	s_cbranch_execnz .LBB76_13
; %bb.9:
	s_or_b32 exec_lo, exec_lo, s0
	s_delay_alu instid0(SALU_CYCLE_1)
	s_mov_b32 s0, exec_lo
	v_cmpx_gt_i32_e64 s3, v0
	s_cbranch_execnz .LBB76_14
.LBB76_10:
	s_or_b32 exec_lo, exec_lo, s0
	s_delay_alu instid0(SALU_CYCLE_1)
	s_mov_b32 s0, exec_lo
	v_cmpx_gt_i32_e64 s3, v0
	s_cbranch_execnz .LBB76_15
.LBB76_11:
	s_or_b32 exec_lo, exec_lo, s0
	s_delay_alu instid0(SALU_CYCLE_1)
	s_mov_b32 s0, exec_lo
	v_cmpx_gt_i32_e64 s3, v0
	s_cbranch_execnz .LBB76_16
.LBB76_12:
	s_endpgm
.LBB76_13:
	v_mov_b32_e32 v0, v1
	global_store_b8 v2, v3, s[4:5]
	s_wait_xcnt 0x0
	s_or_b32 exec_lo, exec_lo, s0
	s_delay_alu instid0(SALU_CYCLE_1)
	s_mov_b32 s0, exec_lo
	v_cmpx_gt_i32_e64 s3, v0
	s_cbranch_execz .LBB76_10
.LBB76_14:
	v_add_nc_u32_e32 v1, 0x100, v0
	v_dual_add_nc_u32 v2, s2, v0 :: v_dual_lshrrev_b32 v4, 8, v3
	s_delay_alu instid0(VALU_DEP_2) | instskip(SKIP_3) | instid1(SALU_CYCLE_1)
	v_mov_b32_e32 v0, v1
	global_store_b8 v2, v4, s[4:5]
	s_wait_xcnt 0x0
	s_or_b32 exec_lo, exec_lo, s0
	s_mov_b32 s0, exec_lo
	v_cmpx_gt_i32_e64 s3, v0
	s_cbranch_execz .LBB76_11
.LBB76_15:
	v_add_nc_u32_e32 v1, 0x100, v0
	s_delay_alu instid0(VALU_DEP_1) | instskip(SKIP_3) | instid1(SALU_CYCLE_1)
	v_dual_add_nc_u32 v2, s2, v0 :: v_dual_mov_b32 v0, v1
	global_store_d16_hi_b8 v2, v3, s[4:5]
	s_wait_xcnt 0x0
	s_or_b32 exec_lo, exec_lo, s0
	s_mov_b32 s0, exec_lo
	v_cmpx_gt_i32_e64 s3, v0
	s_cbranch_execz .LBB76_12
.LBB76_16:
	v_dual_add_nc_u32 v0, s2, v0 :: v_dual_lshrrev_b32 v1, 24, v3
	global_store_b8 v0, v1, s[4:5]
	s_endpgm
	.section	.rodata,"a",@progbits
	.p2align	6, 0x0
	.amdhsa_kernel _ZN2at6native27unrolled_elementwise_kernelINS0_13AUnaryFunctorIssbNS0_12_GLOBAL__N_116CompareEqFunctorIsEEEESt5arrayIPcLm2EELi4E23TrivialOffsetCalculatorILi1EjESB_NS0_6memory15LoadWithoutCastENSC_16StoreWithoutCastEEEviT_T0_T2_T3_T4_T5_
		.amdhsa_group_segment_fixed_size 0
		.amdhsa_private_segment_fixed_size 0
		.amdhsa_kernarg_size 36
		.amdhsa_user_sgpr_count 2
		.amdhsa_user_sgpr_dispatch_ptr 0
		.amdhsa_user_sgpr_queue_ptr 0
		.amdhsa_user_sgpr_kernarg_segment_ptr 1
		.amdhsa_user_sgpr_dispatch_id 0
		.amdhsa_user_sgpr_kernarg_preload_length 0
		.amdhsa_user_sgpr_kernarg_preload_offset 0
		.amdhsa_user_sgpr_private_segment_size 0
		.amdhsa_wavefront_size32 1
		.amdhsa_uses_dynamic_stack 0
		.amdhsa_enable_private_segment 0
		.amdhsa_system_sgpr_workgroup_id_x 1
		.amdhsa_system_sgpr_workgroup_id_y 0
		.amdhsa_system_sgpr_workgroup_id_z 0
		.amdhsa_system_sgpr_workgroup_info 0
		.amdhsa_system_vgpr_workitem_id 0
		.amdhsa_next_free_vgpr 8
		.amdhsa_next_free_sgpr 11
		.amdhsa_named_barrier_count 0
		.amdhsa_reserve_vcc 1
		.amdhsa_float_round_mode_32 0
		.amdhsa_float_round_mode_16_64 0
		.amdhsa_float_denorm_mode_32 3
		.amdhsa_float_denorm_mode_16_64 3
		.amdhsa_fp16_overflow 0
		.amdhsa_memory_ordered 1
		.amdhsa_forward_progress 1
		.amdhsa_inst_pref_size 7
		.amdhsa_round_robin_scheduling 0
		.amdhsa_exception_fp_ieee_invalid_op 0
		.amdhsa_exception_fp_denorm_src 0
		.amdhsa_exception_fp_ieee_div_zero 0
		.amdhsa_exception_fp_ieee_overflow 0
		.amdhsa_exception_fp_ieee_underflow 0
		.amdhsa_exception_fp_ieee_inexact 0
		.amdhsa_exception_int_div_zero 0
	.end_amdhsa_kernel
	.section	.text._ZN2at6native27unrolled_elementwise_kernelINS0_13AUnaryFunctorIssbNS0_12_GLOBAL__N_116CompareEqFunctorIsEEEESt5arrayIPcLm2EELi4E23TrivialOffsetCalculatorILi1EjESB_NS0_6memory15LoadWithoutCastENSC_16StoreWithoutCastEEEviT_T0_T2_T3_T4_T5_,"axG",@progbits,_ZN2at6native27unrolled_elementwise_kernelINS0_13AUnaryFunctorIssbNS0_12_GLOBAL__N_116CompareEqFunctorIsEEEESt5arrayIPcLm2EELi4E23TrivialOffsetCalculatorILi1EjESB_NS0_6memory15LoadWithoutCastENSC_16StoreWithoutCastEEEviT_T0_T2_T3_T4_T5_,comdat
.Lfunc_end76:
	.size	_ZN2at6native27unrolled_elementwise_kernelINS0_13AUnaryFunctorIssbNS0_12_GLOBAL__N_116CompareEqFunctorIsEEEESt5arrayIPcLm2EELi4E23TrivialOffsetCalculatorILi1EjESB_NS0_6memory15LoadWithoutCastENSC_16StoreWithoutCastEEEviT_T0_T2_T3_T4_T5_, .Lfunc_end76-_ZN2at6native27unrolled_elementwise_kernelINS0_13AUnaryFunctorIssbNS0_12_GLOBAL__N_116CompareEqFunctorIsEEEESt5arrayIPcLm2EELi4E23TrivialOffsetCalculatorILi1EjESB_NS0_6memory15LoadWithoutCastENSC_16StoreWithoutCastEEEviT_T0_T2_T3_T4_T5_
                                        ; -- End function
	.set _ZN2at6native27unrolled_elementwise_kernelINS0_13AUnaryFunctorIssbNS0_12_GLOBAL__N_116CompareEqFunctorIsEEEESt5arrayIPcLm2EELi4E23TrivialOffsetCalculatorILi1EjESB_NS0_6memory15LoadWithoutCastENSC_16StoreWithoutCastEEEviT_T0_T2_T3_T4_T5_.num_vgpr, 8
	.set _ZN2at6native27unrolled_elementwise_kernelINS0_13AUnaryFunctorIssbNS0_12_GLOBAL__N_116CompareEqFunctorIsEEEESt5arrayIPcLm2EELi4E23TrivialOffsetCalculatorILi1EjESB_NS0_6memory15LoadWithoutCastENSC_16StoreWithoutCastEEEviT_T0_T2_T3_T4_T5_.num_agpr, 0
	.set _ZN2at6native27unrolled_elementwise_kernelINS0_13AUnaryFunctorIssbNS0_12_GLOBAL__N_116CompareEqFunctorIsEEEESt5arrayIPcLm2EELi4E23TrivialOffsetCalculatorILi1EjESB_NS0_6memory15LoadWithoutCastENSC_16StoreWithoutCastEEEviT_T0_T2_T3_T4_T5_.numbered_sgpr, 11
	.set _ZN2at6native27unrolled_elementwise_kernelINS0_13AUnaryFunctorIssbNS0_12_GLOBAL__N_116CompareEqFunctorIsEEEESt5arrayIPcLm2EELi4E23TrivialOffsetCalculatorILi1EjESB_NS0_6memory15LoadWithoutCastENSC_16StoreWithoutCastEEEviT_T0_T2_T3_T4_T5_.num_named_barrier, 0
	.set _ZN2at6native27unrolled_elementwise_kernelINS0_13AUnaryFunctorIssbNS0_12_GLOBAL__N_116CompareEqFunctorIsEEEESt5arrayIPcLm2EELi4E23TrivialOffsetCalculatorILi1EjESB_NS0_6memory15LoadWithoutCastENSC_16StoreWithoutCastEEEviT_T0_T2_T3_T4_T5_.private_seg_size, 0
	.set _ZN2at6native27unrolled_elementwise_kernelINS0_13AUnaryFunctorIssbNS0_12_GLOBAL__N_116CompareEqFunctorIsEEEESt5arrayIPcLm2EELi4E23TrivialOffsetCalculatorILi1EjESB_NS0_6memory15LoadWithoutCastENSC_16StoreWithoutCastEEEviT_T0_T2_T3_T4_T5_.uses_vcc, 1
	.set _ZN2at6native27unrolled_elementwise_kernelINS0_13AUnaryFunctorIssbNS0_12_GLOBAL__N_116CompareEqFunctorIsEEEESt5arrayIPcLm2EELi4E23TrivialOffsetCalculatorILi1EjESB_NS0_6memory15LoadWithoutCastENSC_16StoreWithoutCastEEEviT_T0_T2_T3_T4_T5_.uses_flat_scratch, 0
	.set _ZN2at6native27unrolled_elementwise_kernelINS0_13AUnaryFunctorIssbNS0_12_GLOBAL__N_116CompareEqFunctorIsEEEESt5arrayIPcLm2EELi4E23TrivialOffsetCalculatorILi1EjESB_NS0_6memory15LoadWithoutCastENSC_16StoreWithoutCastEEEviT_T0_T2_T3_T4_T5_.has_dyn_sized_stack, 0
	.set _ZN2at6native27unrolled_elementwise_kernelINS0_13AUnaryFunctorIssbNS0_12_GLOBAL__N_116CompareEqFunctorIsEEEESt5arrayIPcLm2EELi4E23TrivialOffsetCalculatorILi1EjESB_NS0_6memory15LoadWithoutCastENSC_16StoreWithoutCastEEEviT_T0_T2_T3_T4_T5_.has_recursion, 0
	.set _ZN2at6native27unrolled_elementwise_kernelINS0_13AUnaryFunctorIssbNS0_12_GLOBAL__N_116CompareEqFunctorIsEEEESt5arrayIPcLm2EELi4E23TrivialOffsetCalculatorILi1EjESB_NS0_6memory15LoadWithoutCastENSC_16StoreWithoutCastEEEviT_T0_T2_T3_T4_T5_.has_indirect_call, 0
	.section	.AMDGPU.csdata,"",@progbits
; Kernel info:
; codeLenInByte = 844
; TotalNumSgprs: 13
; NumVgprs: 8
; ScratchSize: 0
; MemoryBound: 0
; FloatMode: 240
; IeeeMode: 1
; LDSByteSize: 0 bytes/workgroup (compile time only)
; SGPRBlocks: 0
; VGPRBlocks: 0
; NumSGPRsForWavesPerEU: 13
; NumVGPRsForWavesPerEU: 8
; NamedBarCnt: 0
; Occupancy: 16
; WaveLimiterHint : 0
; COMPUTE_PGM_RSRC2:SCRATCH_EN: 0
; COMPUTE_PGM_RSRC2:USER_SGPR: 2
; COMPUTE_PGM_RSRC2:TRAP_HANDLER: 0
; COMPUTE_PGM_RSRC2:TGID_X_EN: 1
; COMPUTE_PGM_RSRC2:TGID_Y_EN: 0
; COMPUTE_PGM_RSRC2:TGID_Z_EN: 0
; COMPUTE_PGM_RSRC2:TIDIG_COMP_CNT: 0
	.section	.text._ZN2at6native32elementwise_kernel_manual_unrollILi128ELi8EZNS0_22gpu_kernel_impl_nocastINS0_13AUnaryFunctorIssbNS0_12_GLOBAL__N_116CompareEqFunctorIsEEEEEEvRNS_18TensorIteratorBaseERKT_EUlibE_EEviT1_,"axG",@progbits,_ZN2at6native32elementwise_kernel_manual_unrollILi128ELi8EZNS0_22gpu_kernel_impl_nocastINS0_13AUnaryFunctorIssbNS0_12_GLOBAL__N_116CompareEqFunctorIsEEEEEEvRNS_18TensorIteratorBaseERKT_EUlibE_EEviT1_,comdat
	.globl	_ZN2at6native32elementwise_kernel_manual_unrollILi128ELi8EZNS0_22gpu_kernel_impl_nocastINS0_13AUnaryFunctorIssbNS0_12_GLOBAL__N_116CompareEqFunctorIsEEEEEEvRNS_18TensorIteratorBaseERKT_EUlibE_EEviT1_ ; -- Begin function _ZN2at6native32elementwise_kernel_manual_unrollILi128ELi8EZNS0_22gpu_kernel_impl_nocastINS0_13AUnaryFunctorIssbNS0_12_GLOBAL__N_116CompareEqFunctorIsEEEEEEvRNS_18TensorIteratorBaseERKT_EUlibE_EEviT1_
	.p2align	8
	.type	_ZN2at6native32elementwise_kernel_manual_unrollILi128ELi8EZNS0_22gpu_kernel_impl_nocastINS0_13AUnaryFunctorIssbNS0_12_GLOBAL__N_116CompareEqFunctorIsEEEEEEvRNS_18TensorIteratorBaseERKT_EUlibE_EEviT1_,@function
_ZN2at6native32elementwise_kernel_manual_unrollILi128ELi8EZNS0_22gpu_kernel_impl_nocastINS0_13AUnaryFunctorIssbNS0_12_GLOBAL__N_116CompareEqFunctorIsEEEEEEvRNS_18TensorIteratorBaseERKT_EUlibE_EEviT1_: ; @_ZN2at6native32elementwise_kernel_manual_unrollILi128ELi8EZNS0_22gpu_kernel_impl_nocastINS0_13AUnaryFunctorIssbNS0_12_GLOBAL__N_116CompareEqFunctorIsEEEEEEvRNS_18TensorIteratorBaseERKT_EUlibE_EEviT1_
; %bb.0:
	s_clause 0x1
	s_load_b32 s30, s[0:1], 0x8
	s_load_b32 s36, s[0:1], 0x0
	s_bfe_u32 s2, ttmp6, 0x4000c
	s_and_b32 s3, ttmp6, 15
	s_add_co_i32 s2, s2, 1
	s_getreg_b32 s4, hwreg(HW_REG_IB_STS2, 6, 4)
	s_mul_i32 s2, ttmp9, s2
	s_add_nc_u64 s[12:13], s[0:1], 8
	s_add_co_i32 s3, s3, s2
	s_cmp_eq_u32 s4, 0
	s_mov_b32 s19, 0
	s_cselect_b32 s2, ttmp9, s3
	s_wait_xcnt 0x0
	s_mov_b32 s0, exec_lo
	v_lshl_or_b32 v0, s2, 10, v0
	s_delay_alu instid0(VALU_DEP_1) | instskip(SKIP_2) | instid1(SALU_CYCLE_1)
	v_or_b32_e32 v16, 0x380, v0
	s_wait_kmcnt 0x0
	s_add_co_i32 s31, s30, -1
	s_cmp_gt_u32 s31, 1
	s_cselect_b32 s33, -1, 0
	v_cmpx_le_i32_e64 s36, v16
	s_xor_b32 s34, exec_lo, s0
	s_cbranch_execz .LBB77_7
; %bb.1:
	s_clause 0x4
	s_load_b128 s[4:7], s[12:13], 0x4
	s_load_b64 s[16:17], s[12:13], 0x14
	s_load_b64 s[14:15], s[12:13], 0x158
	s_load_b128 s[8:11], s[12:13], 0xc4
	s_load_b128 s[0:3], s[12:13], 0x148
	s_cmp_lg_u32 s30, 0
	s_add_nc_u64 s[22:23], s[12:13], 0xc4
	s_cselect_b32 s38, -1, 0
	s_min_u32 s37, s31, 15
	s_cmp_gt_u32 s30, 1
	s_mov_b32 s21, s19
	s_cselect_b32 s35, -1, 0
	s_wait_kmcnt 0x0
	s_mov_b32 s18, s5
	s_mov_b32 s20, s16
	s_cmp_eq_u32 s14, 0
	s_mov_b32 s14, exec_lo
	s_cselect_b32 s5, -1, 0
	v_cmpx_gt_i32_e64 s36, v0
	s_cbranch_execz .LBB77_14
; %bb.2:
	s_and_not1_b32 vcc_lo, exec_lo, s33
	s_cbranch_vccnz .LBB77_21
; %bb.3:
	s_and_not1_b32 vcc_lo, exec_lo, s38
	s_cbranch_vccnz .LBB77_129
; %bb.4:
	s_add_co_i32 s16, s37, 1
	s_cmp_eq_u32 s31, 2
	s_cbranch_scc1 .LBB77_131
; %bb.5:
	v_dual_mov_b32 v2, 0 :: v_dual_mov_b32 v3, 0
	v_mov_b32_e32 v1, v0
	s_and_b32 s24, s16, 28
	s_mov_b32 s25, 0
	s_mov_b64 s[26:27], s[12:13]
	s_mov_b64 s[28:29], s[22:23]
.LBB77_6:                               ; =>This Inner Loop Header: Depth=1
	s_clause 0x1
	s_load_b256 s[40:47], s[26:27], 0x4
	s_load_b128 s[56:59], s[26:27], 0x24
	s_load_b256 s[48:55], s[28:29], 0x0
	s_add_co_i32 s25, s25, 4
	s_wait_xcnt 0x0
	s_add_nc_u64 s[26:27], s[26:27], 48
	s_cmp_lg_u32 s24, s25
	s_add_nc_u64 s[28:29], s[28:29], 32
	s_wait_kmcnt 0x0
	v_mul_hi_u32 v4, s41, v1
	s_delay_alu instid0(VALU_DEP_1) | instskip(NEXT) | instid1(VALU_DEP_1)
	v_add_nc_u32_e32 v4, v1, v4
	v_lshrrev_b32_e32 v4, s42, v4
	s_delay_alu instid0(VALU_DEP_1) | instskip(NEXT) | instid1(VALU_DEP_1)
	v_mul_hi_u32 v5, s44, v4
	v_add_nc_u32_e32 v5, v4, v5
	s_delay_alu instid0(VALU_DEP_1) | instskip(NEXT) | instid1(VALU_DEP_1)
	v_lshrrev_b32_e32 v5, s45, v5
	v_mul_hi_u32 v6, s47, v5
	s_delay_alu instid0(VALU_DEP_1) | instskip(SKIP_1) | instid1(VALU_DEP_1)
	v_add_nc_u32_e32 v6, v5, v6
	v_mul_lo_u32 v7, v4, s40
	v_sub_nc_u32_e32 v1, v1, v7
	v_mul_lo_u32 v7, v5, s43
	s_delay_alu instid0(VALU_DEP_4) | instskip(NEXT) | instid1(VALU_DEP_3)
	v_lshrrev_b32_e32 v6, s56, v6
	v_mad_u32 v3, v1, s49, v3
	v_mad_u32 v1, v1, s48, v2
	s_delay_alu instid0(VALU_DEP_4) | instskip(NEXT) | instid1(VALU_DEP_4)
	v_sub_nc_u32_e32 v2, v4, v7
	v_mul_hi_u32 v8, s58, v6
	v_mul_lo_u32 v4, v6, s46
	s_delay_alu instid0(VALU_DEP_3) | instskip(SKIP_1) | instid1(VALU_DEP_4)
	v_mad_u32 v3, v2, s51, v3
	v_mad_u32 v2, v2, s50, v1
	v_add_nc_u32_e32 v7, v6, v8
	s_delay_alu instid0(VALU_DEP_1) | instskip(NEXT) | instid1(VALU_DEP_1)
	v_dual_sub_nc_u32 v4, v5, v4 :: v_dual_lshrrev_b32 v1, s59, v7
	v_mad_u32 v3, v4, s53, v3
	s_delay_alu instid0(VALU_DEP_4) | instskip(NEXT) | instid1(VALU_DEP_3)
	v_mad_u32 v2, v4, s52, v2
	v_mul_lo_u32 v5, v1, s57
	s_delay_alu instid0(VALU_DEP_1) | instskip(NEXT) | instid1(VALU_DEP_1)
	v_sub_nc_u32_e32 v4, v6, v5
	v_mad_u32 v3, v4, s55, v3
	s_delay_alu instid0(VALU_DEP_4)
	v_mad_u32 v2, v4, s54, v2
	s_cbranch_scc1 .LBB77_6
	s_branch .LBB77_132
.LBB77_7:
	s_and_not1_saveexec_b32 s0, s34
	s_cbranch_execz .LBB77_221
.LBB77_8:
	v_cndmask_b32_e64 v14, 0, 1, s33
	s_and_not1_b32 vcc_lo, exec_lo, s33
	s_cbranch_vccnz .LBB77_20
; %bb.9:
	s_cmp_lg_u32 s30, 0
	s_mov_b32 s6, 0
	s_cbranch_scc0 .LBB77_23
; %bb.10:
	s_min_u32 s1, s31, 15
	s_delay_alu instid0(SALU_CYCLE_1)
	s_add_co_i32 s1, s1, 1
	s_cmp_eq_u32 s31, 2
	s_cbranch_scc1 .LBB77_24
; %bb.11:
	v_dual_mov_b32 v2, 0 :: v_dual_mov_b32 v3, 0
	v_mov_b32_e32 v1, v0
	s_and_b32 s0, s1, 28
	s_add_nc_u64 s[2:3], s[12:13], 0xc4
	s_mov_b32 s7, 0
	s_mov_b64 s[4:5], s[12:13]
.LBB77_12:                              ; =>This Inner Loop Header: Depth=1
	s_clause 0x1
	s_load_b256 s[16:23], s[4:5], 0x4
	s_load_b128 s[8:11], s[4:5], 0x24
	s_load_b256 s[36:43], s[2:3], 0x0
	s_add_co_i32 s7, s7, 4
	s_wait_xcnt 0x0
	s_add_nc_u64 s[4:5], s[4:5], 48
	s_cmp_lg_u32 s0, s7
	s_add_nc_u64 s[2:3], s[2:3], 32
	s_wait_kmcnt 0x0
	v_mul_hi_u32 v4, s17, v1
	s_delay_alu instid0(VALU_DEP_1) | instskip(NEXT) | instid1(VALU_DEP_1)
	v_add_nc_u32_e32 v4, v1, v4
	v_lshrrev_b32_e32 v4, s18, v4
	s_delay_alu instid0(VALU_DEP_1) | instskip(NEXT) | instid1(VALU_DEP_1)
	v_mul_hi_u32 v5, s20, v4
	v_add_nc_u32_e32 v5, v4, v5
	s_delay_alu instid0(VALU_DEP_1) | instskip(NEXT) | instid1(VALU_DEP_1)
	v_lshrrev_b32_e32 v5, s21, v5
	v_mul_hi_u32 v6, s23, v5
	s_delay_alu instid0(VALU_DEP_1) | instskip(SKIP_1) | instid1(VALU_DEP_1)
	v_add_nc_u32_e32 v6, v5, v6
	v_mul_lo_u32 v7, v4, s16
	v_sub_nc_u32_e32 v1, v1, v7
	v_mul_lo_u32 v7, v5, s19
	s_delay_alu instid0(VALU_DEP_4) | instskip(NEXT) | instid1(VALU_DEP_3)
	v_lshrrev_b32_e32 v6, s8, v6
	v_mad_u32 v3, v1, s37, v3
	v_mad_u32 v1, v1, s36, v2
	s_delay_alu instid0(VALU_DEP_4) | instskip(NEXT) | instid1(VALU_DEP_4)
	v_sub_nc_u32_e32 v2, v4, v7
	v_mul_hi_u32 v8, s10, v6
	v_mul_lo_u32 v4, v6, s22
	s_delay_alu instid0(VALU_DEP_3) | instskip(SKIP_1) | instid1(VALU_DEP_4)
	v_mad_u32 v3, v2, s39, v3
	v_mad_u32 v2, v2, s38, v1
	v_add_nc_u32_e32 v7, v6, v8
	s_delay_alu instid0(VALU_DEP_1) | instskip(NEXT) | instid1(VALU_DEP_1)
	v_dual_sub_nc_u32 v4, v5, v4 :: v_dual_lshrrev_b32 v1, s11, v7
	v_mad_u32 v3, v4, s41, v3
	s_delay_alu instid0(VALU_DEP_4) | instskip(NEXT) | instid1(VALU_DEP_3)
	v_mad_u32 v2, v4, s40, v2
	v_mul_lo_u32 v5, v1, s9
	s_delay_alu instid0(VALU_DEP_1) | instskip(NEXT) | instid1(VALU_DEP_1)
	v_sub_nc_u32_e32 v4, v6, v5
	v_mad_u32 v3, v4, s43, v3
	s_delay_alu instid0(VALU_DEP_4)
	v_mad_u32 v2, v4, s42, v2
	s_cbranch_scc1 .LBB77_12
; %bb.13:
	s_and_b32 s4, s1, 3
	s_mov_b32 s1, 0
	s_cmp_eq_u32 s4, 0
	s_cbranch_scc0 .LBB77_25
	s_branch .LBB77_27
.LBB77_14:
	s_or_b32 exec_lo, exec_lo, s14
	s_delay_alu instid0(SALU_CYCLE_1)
	s_mov_b32 s14, exec_lo
	v_cmpx_gt_i32_e64 s36, v0
	s_cbranch_execz .LBB77_139
.LBB77_15:
	s_and_not1_b32 vcc_lo, exec_lo, s33
	s_cbranch_vccnz .LBB77_22
; %bb.16:
	s_and_not1_b32 vcc_lo, exec_lo, s38
	s_cbranch_vccnz .LBB77_130
; %bb.17:
	s_add_co_i32 s16, s37, 1
	s_cmp_eq_u32 s31, 2
	s_cbranch_scc1 .LBB77_147
; %bb.18:
	v_dual_mov_b32 v2, 0 :: v_dual_mov_b32 v3, 0
	v_mov_b32_e32 v1, v0
	s_and_b32 s24, s16, 28
	s_mov_b32 s25, 0
	s_mov_b64 s[26:27], s[12:13]
	s_mov_b64 s[28:29], s[22:23]
.LBB77_19:                              ; =>This Inner Loop Header: Depth=1
	s_clause 0x1
	s_load_b256 s[40:47], s[26:27], 0x4
	s_load_b128 s[56:59], s[26:27], 0x24
	s_load_b256 s[48:55], s[28:29], 0x0
	s_add_co_i32 s25, s25, 4
	s_wait_xcnt 0x0
	s_add_nc_u64 s[26:27], s[26:27], 48
	s_cmp_eq_u32 s24, s25
	s_add_nc_u64 s[28:29], s[28:29], 32
	s_wait_kmcnt 0x0
	v_mul_hi_u32 v4, s41, v1
	s_delay_alu instid0(VALU_DEP_1) | instskip(NEXT) | instid1(VALU_DEP_1)
	v_add_nc_u32_e32 v4, v1, v4
	v_lshrrev_b32_e32 v4, s42, v4
	s_delay_alu instid0(VALU_DEP_1) | instskip(NEXT) | instid1(VALU_DEP_1)
	v_mul_hi_u32 v5, s44, v4
	v_add_nc_u32_e32 v5, v4, v5
	s_delay_alu instid0(VALU_DEP_1) | instskip(NEXT) | instid1(VALU_DEP_1)
	v_lshrrev_b32_e32 v5, s45, v5
	v_mul_hi_u32 v6, s47, v5
	s_delay_alu instid0(VALU_DEP_1) | instskip(SKIP_1) | instid1(VALU_DEP_1)
	v_add_nc_u32_e32 v6, v5, v6
	v_mul_lo_u32 v7, v4, s40
	v_sub_nc_u32_e32 v1, v1, v7
	v_mul_lo_u32 v7, v5, s43
	s_delay_alu instid0(VALU_DEP_4) | instskip(NEXT) | instid1(VALU_DEP_3)
	v_lshrrev_b32_e32 v6, s56, v6
	v_mad_u32 v3, v1, s49, v3
	v_mad_u32 v1, v1, s48, v2
	s_delay_alu instid0(VALU_DEP_4) | instskip(NEXT) | instid1(VALU_DEP_4)
	v_sub_nc_u32_e32 v2, v4, v7
	v_mul_hi_u32 v8, s58, v6
	v_mul_lo_u32 v4, v6, s46
	s_delay_alu instid0(VALU_DEP_3) | instskip(SKIP_1) | instid1(VALU_DEP_4)
	v_mad_u32 v3, v2, s51, v3
	v_mad_u32 v2, v2, s50, v1
	v_add_nc_u32_e32 v7, v6, v8
	s_delay_alu instid0(VALU_DEP_1) | instskip(NEXT) | instid1(VALU_DEP_1)
	v_dual_sub_nc_u32 v4, v5, v4 :: v_dual_lshrrev_b32 v1, s59, v7
	v_mad_u32 v3, v4, s53, v3
	s_delay_alu instid0(VALU_DEP_4) | instskip(NEXT) | instid1(VALU_DEP_3)
	v_mad_u32 v2, v4, s52, v2
	v_mul_lo_u32 v5, v1, s57
	s_delay_alu instid0(VALU_DEP_1) | instskip(NEXT) | instid1(VALU_DEP_1)
	v_sub_nc_u32_e32 v4, v6, v5
	v_mad_u32 v3, v4, s55, v3
	s_delay_alu instid0(VALU_DEP_4)
	v_mad_u32 v2, v4, s54, v2
	s_cbranch_scc0 .LBB77_19
	s_branch .LBB77_148
.LBB77_20:
	s_mov_b32 s6, -1
                                        ; implicit-def: $vgpr3
	s_branch .LBB77_27
.LBB77_21:
                                        ; implicit-def: $vgpr3
	s_branch .LBB77_136
.LBB77_22:
                                        ; implicit-def: $vgpr3
	s_branch .LBB77_152
.LBB77_23:
	v_dual_mov_b32 v3, 0 :: v_dual_mov_b32 v2, 0
	s_branch .LBB77_27
.LBB77_24:
	v_mov_b64_e32 v[2:3], 0
	v_mov_b32_e32 v1, v0
	s_mov_b32 s0, 0
	s_and_b32 s4, s1, 3
	s_mov_b32 s1, 0
	s_cmp_eq_u32 s4, 0
	s_cbranch_scc1 .LBB77_27
.LBB77_25:
	s_lshl_b32 s2, s0, 3
	s_mov_b32 s3, s1
	s_mul_u64 s[8:9], s[0:1], 12
	s_add_nc_u64 s[2:3], s[12:13], s[2:3]
	s_delay_alu instid0(SALU_CYCLE_1)
	s_add_nc_u64 s[0:1], s[2:3], 0xc4
	s_add_nc_u64 s[2:3], s[12:13], s[8:9]
.LBB77_26:                              ; =>This Inner Loop Header: Depth=1
	s_load_b96 s[8:10], s[2:3], 0x4
	s_add_co_i32 s4, s4, -1
	s_wait_xcnt 0x0
	s_add_nc_u64 s[2:3], s[2:3], 12
	s_cmp_lg_u32 s4, 0
	s_wait_kmcnt 0x0
	v_mul_hi_u32 v4, s9, v1
	s_delay_alu instid0(VALU_DEP_1) | instskip(NEXT) | instid1(VALU_DEP_1)
	v_add_nc_u32_e32 v4, v1, v4
	v_lshrrev_b32_e32 v4, s10, v4
	s_load_b64 s[10:11], s[0:1], 0x0
	s_wait_xcnt 0x0
	s_add_nc_u64 s[0:1], s[0:1], 8
	s_delay_alu instid0(VALU_DEP_1) | instskip(NEXT) | instid1(VALU_DEP_1)
	v_mul_lo_u32 v5, v4, s8
	v_sub_nc_u32_e32 v1, v1, v5
	s_wait_kmcnt 0x0
	s_delay_alu instid0(VALU_DEP_1)
	v_mad_u32 v3, v1, s11, v3
	v_mad_u32 v2, v1, s10, v2
	v_mov_b32_e32 v1, v4
	s_cbranch_scc1 .LBB77_26
.LBB77_27:
	s_and_not1_b32 vcc_lo, exec_lo, s6
	s_cbranch_vccnz .LBB77_30
; %bb.28:
	s_clause 0x1
	s_load_b96 s[0:2], s[12:13], 0x4
	s_load_b64 s[4:5], s[12:13], 0xc4
	s_cmp_lt_u32 s30, 2
	s_wait_kmcnt 0x0
	v_mul_hi_u32 v1, s1, v0
	s_delay_alu instid0(VALU_DEP_1) | instskip(NEXT) | instid1(VALU_DEP_1)
	v_add_nc_u32_e32 v1, v0, v1
	v_lshrrev_b32_e32 v1, s2, v1
	s_delay_alu instid0(VALU_DEP_1) | instskip(NEXT) | instid1(VALU_DEP_1)
	v_mul_lo_u32 v2, v1, s0
	v_sub_nc_u32_e32 v2, v0, v2
	s_delay_alu instid0(VALU_DEP_1)
	v_mul_lo_u32 v3, v2, s5
	v_mul_lo_u32 v2, v2, s4
	s_cbranch_scc1 .LBB77_30
; %bb.29:
	s_clause 0x1
	s_load_b96 s[0:2], s[12:13], 0x10
	s_load_b64 s[4:5], s[12:13], 0xcc
	s_wait_kmcnt 0x0
	v_mul_hi_u32 v4, s1, v1
	s_delay_alu instid0(VALU_DEP_1) | instskip(NEXT) | instid1(VALU_DEP_1)
	v_add_nc_u32_e32 v4, v1, v4
	v_lshrrev_b32_e32 v4, s2, v4
	s_delay_alu instid0(VALU_DEP_1) | instskip(NEXT) | instid1(VALU_DEP_1)
	v_mul_lo_u32 v4, v4, s0
	v_sub_nc_u32_e32 v1, v1, v4
	s_delay_alu instid0(VALU_DEP_1)
	v_mad_u32 v2, v1, s4, v2
	v_mad_u32 v3, v1, s5, v3
.LBB77_30:
	v_cmp_ne_u32_e32 vcc_lo, 1, v14
	v_add_nc_u32_e32 v1, 0x80, v0
	s_cbranch_vccnz .LBB77_36
; %bb.31:
	s_cmp_lg_u32 s30, 0
	s_mov_b32 s6, 0
	s_cbranch_scc0 .LBB77_37
; %bb.32:
	s_min_u32 s1, s31, 15
	s_delay_alu instid0(SALU_CYCLE_1)
	s_add_co_i32 s1, s1, 1
	s_cmp_eq_u32 s31, 2
	s_cbranch_scc1 .LBB77_38
; %bb.33:
	v_dual_mov_b32 v4, 0 :: v_dual_mov_b32 v5, 0
	v_mov_b32_e32 v6, v1
	s_and_b32 s0, s1, 28
	s_add_nc_u64 s[2:3], s[12:13], 0xc4
	s_mov_b32 s7, 0
	s_mov_b64 s[4:5], s[12:13]
.LBB77_34:                              ; =>This Inner Loop Header: Depth=1
	s_clause 0x1
	s_load_b256 s[16:23], s[4:5], 0x4
	s_load_b128 s[8:11], s[4:5], 0x24
	s_load_b256 s[36:43], s[2:3], 0x0
	s_add_co_i32 s7, s7, 4
	s_wait_xcnt 0x0
	s_add_nc_u64 s[4:5], s[4:5], 48
	s_cmp_lg_u32 s0, s7
	s_add_nc_u64 s[2:3], s[2:3], 32
	s_wait_kmcnt 0x0
	v_mul_hi_u32 v7, s17, v6
	s_delay_alu instid0(VALU_DEP_1) | instskip(NEXT) | instid1(VALU_DEP_1)
	v_add_nc_u32_e32 v7, v6, v7
	v_lshrrev_b32_e32 v7, s18, v7
	s_delay_alu instid0(VALU_DEP_1) | instskip(NEXT) | instid1(VALU_DEP_1)
	v_mul_hi_u32 v8, s20, v7
	v_add_nc_u32_e32 v8, v7, v8
	s_delay_alu instid0(VALU_DEP_1) | instskip(NEXT) | instid1(VALU_DEP_1)
	v_lshrrev_b32_e32 v8, s21, v8
	v_mul_hi_u32 v9, s23, v8
	s_delay_alu instid0(VALU_DEP_1) | instskip(SKIP_1) | instid1(VALU_DEP_1)
	v_add_nc_u32_e32 v9, v8, v9
	v_mul_lo_u32 v10, v7, s16
	v_sub_nc_u32_e32 v6, v6, v10
	v_mul_lo_u32 v10, v8, s19
	s_delay_alu instid0(VALU_DEP_4) | instskip(NEXT) | instid1(VALU_DEP_3)
	v_lshrrev_b32_e32 v9, s8, v9
	v_mad_u32 v5, v6, s37, v5
	v_mad_u32 v4, v6, s36, v4
	s_delay_alu instid0(VALU_DEP_4) | instskip(NEXT) | instid1(VALU_DEP_4)
	v_sub_nc_u32_e32 v6, v7, v10
	v_mul_hi_u32 v11, s10, v9
	v_mul_lo_u32 v7, v9, s22
	s_delay_alu instid0(VALU_DEP_3) | instskip(SKIP_1) | instid1(VALU_DEP_4)
	v_mad_u32 v5, v6, s39, v5
	v_mad_u32 v4, v6, s38, v4
	v_add_nc_u32_e32 v10, v9, v11
	s_delay_alu instid0(VALU_DEP_1) | instskip(NEXT) | instid1(VALU_DEP_1)
	v_dual_sub_nc_u32 v7, v8, v7 :: v_dual_lshrrev_b32 v6, s11, v10
	v_mad_u32 v5, v7, s41, v5
	s_delay_alu instid0(VALU_DEP_4) | instskip(NEXT) | instid1(VALU_DEP_3)
	v_mad_u32 v4, v7, s40, v4
	v_mul_lo_u32 v8, v6, s9
	s_delay_alu instid0(VALU_DEP_1) | instskip(NEXT) | instid1(VALU_DEP_1)
	v_sub_nc_u32_e32 v7, v9, v8
	v_mad_u32 v5, v7, s43, v5
	s_delay_alu instid0(VALU_DEP_4)
	v_mad_u32 v4, v7, s42, v4
	s_cbranch_scc1 .LBB77_34
; %bb.35:
	s_and_b32 s4, s1, 3
	s_mov_b32 s1, 0
	s_cmp_eq_u32 s4, 0
	s_cbranch_scc0 .LBB77_39
	s_branch .LBB77_41
.LBB77_36:
	s_mov_b32 s6, -1
                                        ; implicit-def: $vgpr5
	s_branch .LBB77_41
.LBB77_37:
	v_dual_mov_b32 v5, 0 :: v_dual_mov_b32 v4, 0
	s_branch .LBB77_41
.LBB77_38:
	v_mov_b64_e32 v[4:5], 0
	v_mov_b32_e32 v6, v1
	s_mov_b32 s0, 0
	s_and_b32 s4, s1, 3
	s_mov_b32 s1, 0
	s_cmp_eq_u32 s4, 0
	s_cbranch_scc1 .LBB77_41
.LBB77_39:
	s_lshl_b32 s2, s0, 3
	s_mov_b32 s3, s1
	s_mul_u64 s[8:9], s[0:1], 12
	s_add_nc_u64 s[2:3], s[12:13], s[2:3]
	s_delay_alu instid0(SALU_CYCLE_1)
	s_add_nc_u64 s[0:1], s[2:3], 0xc4
	s_add_nc_u64 s[2:3], s[12:13], s[8:9]
.LBB77_40:                              ; =>This Inner Loop Header: Depth=1
	s_load_b96 s[8:10], s[2:3], 0x4
	s_add_co_i32 s4, s4, -1
	s_wait_xcnt 0x0
	s_add_nc_u64 s[2:3], s[2:3], 12
	s_cmp_lg_u32 s4, 0
	s_wait_kmcnt 0x0
	v_mul_hi_u32 v7, s9, v6
	s_delay_alu instid0(VALU_DEP_1) | instskip(NEXT) | instid1(VALU_DEP_1)
	v_add_nc_u32_e32 v7, v6, v7
	v_lshrrev_b32_e32 v7, s10, v7
	s_load_b64 s[10:11], s[0:1], 0x0
	s_wait_xcnt 0x0
	s_add_nc_u64 s[0:1], s[0:1], 8
	s_delay_alu instid0(VALU_DEP_1) | instskip(NEXT) | instid1(VALU_DEP_1)
	v_mul_lo_u32 v8, v7, s8
	v_sub_nc_u32_e32 v6, v6, v8
	s_wait_kmcnt 0x0
	s_delay_alu instid0(VALU_DEP_1)
	v_mad_u32 v5, v6, s11, v5
	v_mad_u32 v4, v6, s10, v4
	v_mov_b32_e32 v6, v7
	s_cbranch_scc1 .LBB77_40
.LBB77_41:
	s_and_not1_b32 vcc_lo, exec_lo, s6
	s_cbranch_vccnz .LBB77_44
; %bb.42:
	s_clause 0x1
	s_load_b96 s[0:2], s[12:13], 0x4
	s_load_b64 s[4:5], s[12:13], 0xc4
	s_cmp_lt_u32 s30, 2
	s_wait_kmcnt 0x0
	v_mul_hi_u32 v4, s1, v1
	s_delay_alu instid0(VALU_DEP_1) | instskip(NEXT) | instid1(VALU_DEP_1)
	v_add_nc_u32_e32 v4, v1, v4
	v_lshrrev_b32_e32 v6, s2, v4
	s_delay_alu instid0(VALU_DEP_1) | instskip(NEXT) | instid1(VALU_DEP_1)
	v_mul_lo_u32 v4, v6, s0
	v_sub_nc_u32_e32 v1, v1, v4
	s_delay_alu instid0(VALU_DEP_1)
	v_mul_lo_u32 v5, v1, s5
	v_mul_lo_u32 v4, v1, s4
	s_cbranch_scc1 .LBB77_44
; %bb.43:
	s_clause 0x1
	s_load_b96 s[0:2], s[12:13], 0x10
	s_load_b64 s[4:5], s[12:13], 0xcc
	s_wait_kmcnt 0x0
	v_mul_hi_u32 v1, s1, v6
	s_delay_alu instid0(VALU_DEP_1) | instskip(NEXT) | instid1(VALU_DEP_1)
	v_add_nc_u32_e32 v1, v6, v1
	v_lshrrev_b32_e32 v1, s2, v1
	s_delay_alu instid0(VALU_DEP_1) | instskip(NEXT) | instid1(VALU_DEP_1)
	v_mul_lo_u32 v1, v1, s0
	v_sub_nc_u32_e32 v1, v6, v1
	s_delay_alu instid0(VALU_DEP_1)
	v_mad_u32 v4, v1, s4, v4
	v_mad_u32 v5, v1, s5, v5
.LBB77_44:
	v_cmp_ne_u32_e32 vcc_lo, 1, v14
	v_add_nc_u32_e32 v1, 0x100, v0
	s_cbranch_vccnz .LBB77_50
; %bb.45:
	s_cmp_lg_u32 s30, 0
	s_mov_b32 s6, 0
	s_cbranch_scc0 .LBB77_51
; %bb.46:
	s_min_u32 s1, s31, 15
	s_delay_alu instid0(SALU_CYCLE_1)
	s_add_co_i32 s1, s1, 1
	s_cmp_eq_u32 s31, 2
	s_cbranch_scc1 .LBB77_52
; %bb.47:
	v_dual_mov_b32 v6, 0 :: v_dual_mov_b32 v7, 0
	v_mov_b32_e32 v8, v1
	s_and_b32 s0, s1, 28
	s_add_nc_u64 s[2:3], s[12:13], 0xc4
	s_mov_b32 s7, 0
	s_mov_b64 s[4:5], s[12:13]
.LBB77_48:                              ; =>This Inner Loop Header: Depth=1
	s_clause 0x1
	s_load_b256 s[16:23], s[4:5], 0x4
	s_load_b128 s[8:11], s[4:5], 0x24
	s_load_b256 s[36:43], s[2:3], 0x0
	s_add_co_i32 s7, s7, 4
	s_wait_xcnt 0x0
	s_add_nc_u64 s[4:5], s[4:5], 48
	s_cmp_lg_u32 s0, s7
	s_add_nc_u64 s[2:3], s[2:3], 32
	s_wait_kmcnt 0x0
	v_mul_hi_u32 v9, s17, v8
	s_delay_alu instid0(VALU_DEP_1) | instskip(NEXT) | instid1(VALU_DEP_1)
	v_add_nc_u32_e32 v9, v8, v9
	v_lshrrev_b32_e32 v9, s18, v9
	s_delay_alu instid0(VALU_DEP_1) | instskip(NEXT) | instid1(VALU_DEP_1)
	v_mul_hi_u32 v10, s20, v9
	v_add_nc_u32_e32 v10, v9, v10
	s_delay_alu instid0(VALU_DEP_1) | instskip(NEXT) | instid1(VALU_DEP_1)
	v_lshrrev_b32_e32 v10, s21, v10
	v_mul_hi_u32 v11, s23, v10
	s_delay_alu instid0(VALU_DEP_1) | instskip(SKIP_1) | instid1(VALU_DEP_1)
	v_add_nc_u32_e32 v11, v10, v11
	v_mul_lo_u32 v12, v9, s16
	v_sub_nc_u32_e32 v8, v8, v12
	v_mul_lo_u32 v12, v10, s19
	s_delay_alu instid0(VALU_DEP_4) | instskip(NEXT) | instid1(VALU_DEP_3)
	v_lshrrev_b32_e32 v11, s8, v11
	v_mad_u32 v7, v8, s37, v7
	v_mad_u32 v6, v8, s36, v6
	s_delay_alu instid0(VALU_DEP_4) | instskip(NEXT) | instid1(VALU_DEP_4)
	v_sub_nc_u32_e32 v8, v9, v12
	v_mul_hi_u32 v13, s10, v11
	v_mul_lo_u32 v9, v11, s22
	s_delay_alu instid0(VALU_DEP_3) | instskip(SKIP_1) | instid1(VALU_DEP_4)
	v_mad_u32 v7, v8, s39, v7
	v_mad_u32 v6, v8, s38, v6
	v_add_nc_u32_e32 v12, v11, v13
	s_delay_alu instid0(VALU_DEP_1) | instskip(NEXT) | instid1(VALU_DEP_1)
	v_dual_sub_nc_u32 v9, v10, v9 :: v_dual_lshrrev_b32 v8, s11, v12
	v_mad_u32 v7, v9, s41, v7
	s_delay_alu instid0(VALU_DEP_4) | instskip(NEXT) | instid1(VALU_DEP_3)
	v_mad_u32 v6, v9, s40, v6
	v_mul_lo_u32 v10, v8, s9
	s_delay_alu instid0(VALU_DEP_1) | instskip(NEXT) | instid1(VALU_DEP_1)
	v_sub_nc_u32_e32 v9, v11, v10
	v_mad_u32 v7, v9, s43, v7
	s_delay_alu instid0(VALU_DEP_4)
	v_mad_u32 v6, v9, s42, v6
	s_cbranch_scc1 .LBB77_48
; %bb.49:
	s_and_b32 s4, s1, 3
	s_mov_b32 s1, 0
	s_cmp_eq_u32 s4, 0
	s_cbranch_scc0 .LBB77_53
	s_branch .LBB77_55
.LBB77_50:
	s_mov_b32 s6, -1
                                        ; implicit-def: $vgpr7
	s_branch .LBB77_55
.LBB77_51:
	v_dual_mov_b32 v7, 0 :: v_dual_mov_b32 v6, 0
	s_branch .LBB77_55
.LBB77_52:
	v_mov_b64_e32 v[6:7], 0
	v_mov_b32_e32 v8, v1
	s_mov_b32 s0, 0
	s_and_b32 s4, s1, 3
	s_mov_b32 s1, 0
	s_cmp_eq_u32 s4, 0
	s_cbranch_scc1 .LBB77_55
.LBB77_53:
	s_lshl_b32 s2, s0, 3
	s_mov_b32 s3, s1
	s_mul_u64 s[8:9], s[0:1], 12
	s_add_nc_u64 s[2:3], s[12:13], s[2:3]
	s_delay_alu instid0(SALU_CYCLE_1)
	s_add_nc_u64 s[0:1], s[2:3], 0xc4
	s_add_nc_u64 s[2:3], s[12:13], s[8:9]
.LBB77_54:                              ; =>This Inner Loop Header: Depth=1
	s_load_b96 s[8:10], s[2:3], 0x4
	s_add_co_i32 s4, s4, -1
	s_wait_xcnt 0x0
	s_add_nc_u64 s[2:3], s[2:3], 12
	s_cmp_lg_u32 s4, 0
	s_wait_kmcnt 0x0
	v_mul_hi_u32 v9, s9, v8
	s_delay_alu instid0(VALU_DEP_1) | instskip(NEXT) | instid1(VALU_DEP_1)
	v_add_nc_u32_e32 v9, v8, v9
	v_lshrrev_b32_e32 v9, s10, v9
	s_load_b64 s[10:11], s[0:1], 0x0
	s_wait_xcnt 0x0
	s_add_nc_u64 s[0:1], s[0:1], 8
	s_delay_alu instid0(VALU_DEP_1) | instskip(NEXT) | instid1(VALU_DEP_1)
	v_mul_lo_u32 v10, v9, s8
	v_sub_nc_u32_e32 v8, v8, v10
	s_wait_kmcnt 0x0
	s_delay_alu instid0(VALU_DEP_1)
	v_mad_u32 v7, v8, s11, v7
	v_mad_u32 v6, v8, s10, v6
	v_mov_b32_e32 v8, v9
	s_cbranch_scc1 .LBB77_54
.LBB77_55:
	s_and_not1_b32 vcc_lo, exec_lo, s6
	s_cbranch_vccnz .LBB77_58
; %bb.56:
	s_clause 0x1
	s_load_b96 s[0:2], s[12:13], 0x4
	s_load_b64 s[4:5], s[12:13], 0xc4
	s_cmp_lt_u32 s30, 2
	s_wait_kmcnt 0x0
	v_mul_hi_u32 v6, s1, v1
	s_delay_alu instid0(VALU_DEP_1) | instskip(NEXT) | instid1(VALU_DEP_1)
	v_add_nc_u32_e32 v6, v1, v6
	v_lshrrev_b32_e32 v8, s2, v6
	s_delay_alu instid0(VALU_DEP_1) | instskip(NEXT) | instid1(VALU_DEP_1)
	v_mul_lo_u32 v6, v8, s0
	v_sub_nc_u32_e32 v1, v1, v6
	s_delay_alu instid0(VALU_DEP_1)
	v_mul_lo_u32 v7, v1, s5
	v_mul_lo_u32 v6, v1, s4
	s_cbranch_scc1 .LBB77_58
; %bb.57:
	s_clause 0x1
	s_load_b96 s[0:2], s[12:13], 0x10
	s_load_b64 s[4:5], s[12:13], 0xcc
	s_wait_kmcnt 0x0
	v_mul_hi_u32 v1, s1, v8
	s_delay_alu instid0(VALU_DEP_1) | instskip(NEXT) | instid1(VALU_DEP_1)
	v_add_nc_u32_e32 v1, v8, v1
	v_lshrrev_b32_e32 v1, s2, v1
	s_delay_alu instid0(VALU_DEP_1) | instskip(NEXT) | instid1(VALU_DEP_1)
	v_mul_lo_u32 v1, v1, s0
	v_sub_nc_u32_e32 v1, v8, v1
	s_delay_alu instid0(VALU_DEP_1)
	v_mad_u32 v6, v1, s4, v6
	v_mad_u32 v7, v1, s5, v7
.LBB77_58:
	v_cmp_ne_u32_e32 vcc_lo, 1, v14
	v_add_nc_u32_e32 v1, 0x180, v0
	s_cbranch_vccnz .LBB77_64
; %bb.59:
	s_cmp_lg_u32 s30, 0
	s_mov_b32 s6, 0
	s_cbranch_scc0 .LBB77_65
; %bb.60:
	s_min_u32 s1, s31, 15
	s_delay_alu instid0(SALU_CYCLE_1)
	s_add_co_i32 s1, s1, 1
	s_cmp_eq_u32 s31, 2
	s_cbranch_scc1 .LBB77_66
; %bb.61:
	v_dual_mov_b32 v8, 0 :: v_dual_mov_b32 v9, 0
	v_mov_b32_e32 v10, v1
	s_and_b32 s0, s1, 28
	s_add_nc_u64 s[2:3], s[12:13], 0xc4
	s_mov_b32 s7, 0
	s_mov_b64 s[4:5], s[12:13]
.LBB77_62:                              ; =>This Inner Loop Header: Depth=1
	s_clause 0x1
	s_load_b256 s[16:23], s[4:5], 0x4
	s_load_b128 s[8:11], s[4:5], 0x24
	s_load_b256 s[36:43], s[2:3], 0x0
	s_add_co_i32 s7, s7, 4
	s_wait_xcnt 0x0
	s_add_nc_u64 s[4:5], s[4:5], 48
	s_cmp_lg_u32 s0, s7
	s_add_nc_u64 s[2:3], s[2:3], 32
	s_wait_kmcnt 0x0
	v_mul_hi_u32 v11, s17, v10
	s_delay_alu instid0(VALU_DEP_1) | instskip(NEXT) | instid1(VALU_DEP_1)
	v_add_nc_u32_e32 v11, v10, v11
	v_lshrrev_b32_e32 v11, s18, v11
	s_delay_alu instid0(VALU_DEP_1) | instskip(NEXT) | instid1(VALU_DEP_1)
	v_mul_hi_u32 v12, s20, v11
	v_add_nc_u32_e32 v12, v11, v12
	s_delay_alu instid0(VALU_DEP_1) | instskip(NEXT) | instid1(VALU_DEP_1)
	v_lshrrev_b32_e32 v12, s21, v12
	v_mul_hi_u32 v13, s23, v12
	s_delay_alu instid0(VALU_DEP_1) | instskip(SKIP_1) | instid1(VALU_DEP_1)
	v_add_nc_u32_e32 v13, v12, v13
	v_mul_lo_u32 v15, v11, s16
	v_sub_nc_u32_e32 v10, v10, v15
	v_mul_lo_u32 v15, v12, s19
	s_delay_alu instid0(VALU_DEP_4) | instskip(NEXT) | instid1(VALU_DEP_3)
	v_lshrrev_b32_e32 v13, s8, v13
	v_mad_u32 v9, v10, s37, v9
	v_mad_u32 v8, v10, s36, v8
	s_delay_alu instid0(VALU_DEP_4) | instskip(NEXT) | instid1(VALU_DEP_4)
	v_sub_nc_u32_e32 v10, v11, v15
	v_mul_hi_u32 v17, s10, v13
	v_mul_lo_u32 v11, v13, s22
	s_delay_alu instid0(VALU_DEP_3) | instskip(SKIP_1) | instid1(VALU_DEP_3)
	v_mad_u32 v9, v10, s39, v9
	v_mad_u32 v8, v10, s38, v8
	v_dual_add_nc_u32 v15, v13, v17 :: v_dual_sub_nc_u32 v11, v12, v11
	s_delay_alu instid0(VALU_DEP_1) | instskip(NEXT) | instid1(VALU_DEP_2)
	v_lshrrev_b32_e32 v10, s11, v15
	v_mad_u32 v9, v11, s41, v9
	s_delay_alu instid0(VALU_DEP_4) | instskip(NEXT) | instid1(VALU_DEP_3)
	v_mad_u32 v8, v11, s40, v8
	v_mul_lo_u32 v12, v10, s9
	s_delay_alu instid0(VALU_DEP_1) | instskip(NEXT) | instid1(VALU_DEP_1)
	v_sub_nc_u32_e32 v11, v13, v12
	v_mad_u32 v9, v11, s43, v9
	s_delay_alu instid0(VALU_DEP_4)
	v_mad_u32 v8, v11, s42, v8
	s_cbranch_scc1 .LBB77_62
; %bb.63:
	s_and_b32 s4, s1, 3
	s_mov_b32 s1, 0
	s_cmp_eq_u32 s4, 0
	s_cbranch_scc0 .LBB77_67
	s_branch .LBB77_69
.LBB77_64:
	s_mov_b32 s6, -1
                                        ; implicit-def: $vgpr9
	s_branch .LBB77_69
.LBB77_65:
	v_dual_mov_b32 v9, 0 :: v_dual_mov_b32 v8, 0
	s_branch .LBB77_69
.LBB77_66:
	v_mov_b64_e32 v[8:9], 0
	v_mov_b32_e32 v10, v1
	s_mov_b32 s0, 0
	s_and_b32 s4, s1, 3
	s_mov_b32 s1, 0
	s_cmp_eq_u32 s4, 0
	s_cbranch_scc1 .LBB77_69
.LBB77_67:
	s_lshl_b32 s2, s0, 3
	s_mov_b32 s3, s1
	s_mul_u64 s[8:9], s[0:1], 12
	s_add_nc_u64 s[2:3], s[12:13], s[2:3]
	s_delay_alu instid0(SALU_CYCLE_1)
	s_add_nc_u64 s[0:1], s[2:3], 0xc4
	s_add_nc_u64 s[2:3], s[12:13], s[8:9]
.LBB77_68:                              ; =>This Inner Loop Header: Depth=1
	s_load_b96 s[8:10], s[2:3], 0x4
	s_add_co_i32 s4, s4, -1
	s_wait_xcnt 0x0
	s_add_nc_u64 s[2:3], s[2:3], 12
	s_cmp_lg_u32 s4, 0
	s_wait_kmcnt 0x0
	v_mul_hi_u32 v11, s9, v10
	s_delay_alu instid0(VALU_DEP_1) | instskip(NEXT) | instid1(VALU_DEP_1)
	v_add_nc_u32_e32 v11, v10, v11
	v_lshrrev_b32_e32 v11, s10, v11
	s_load_b64 s[10:11], s[0:1], 0x0
	s_wait_xcnt 0x0
	s_add_nc_u64 s[0:1], s[0:1], 8
	s_delay_alu instid0(VALU_DEP_1) | instskip(NEXT) | instid1(VALU_DEP_1)
	v_mul_lo_u32 v12, v11, s8
	v_sub_nc_u32_e32 v10, v10, v12
	s_wait_kmcnt 0x0
	s_delay_alu instid0(VALU_DEP_1)
	v_mad_u32 v9, v10, s11, v9
	v_mad_u32 v8, v10, s10, v8
	v_mov_b32_e32 v10, v11
	s_cbranch_scc1 .LBB77_68
.LBB77_69:
	s_and_not1_b32 vcc_lo, exec_lo, s6
	s_cbranch_vccnz .LBB77_72
; %bb.70:
	s_clause 0x1
	s_load_b96 s[0:2], s[12:13], 0x4
	s_load_b64 s[4:5], s[12:13], 0xc4
	s_cmp_lt_u32 s30, 2
	s_wait_kmcnt 0x0
	v_mul_hi_u32 v8, s1, v1
	s_delay_alu instid0(VALU_DEP_1) | instskip(NEXT) | instid1(VALU_DEP_1)
	v_add_nc_u32_e32 v8, v1, v8
	v_lshrrev_b32_e32 v10, s2, v8
	s_delay_alu instid0(VALU_DEP_1) | instskip(NEXT) | instid1(VALU_DEP_1)
	v_mul_lo_u32 v8, v10, s0
	v_sub_nc_u32_e32 v1, v1, v8
	s_delay_alu instid0(VALU_DEP_1)
	v_mul_lo_u32 v9, v1, s5
	v_mul_lo_u32 v8, v1, s4
	s_cbranch_scc1 .LBB77_72
; %bb.71:
	s_clause 0x1
	s_load_b96 s[0:2], s[12:13], 0x10
	s_load_b64 s[4:5], s[12:13], 0xcc
	s_wait_kmcnt 0x0
	v_mul_hi_u32 v1, s1, v10
	s_delay_alu instid0(VALU_DEP_1) | instskip(NEXT) | instid1(VALU_DEP_1)
	v_add_nc_u32_e32 v1, v10, v1
	v_lshrrev_b32_e32 v1, s2, v1
	s_delay_alu instid0(VALU_DEP_1) | instskip(NEXT) | instid1(VALU_DEP_1)
	v_mul_lo_u32 v1, v1, s0
	v_sub_nc_u32_e32 v1, v10, v1
	s_delay_alu instid0(VALU_DEP_1)
	v_mad_u32 v8, v1, s4, v8
	v_mad_u32 v9, v1, s5, v9
.LBB77_72:
	v_cmp_ne_u32_e32 vcc_lo, 1, v14
	v_add_nc_u32_e32 v1, 0x200, v0
	s_cbranch_vccnz .LBB77_78
; %bb.73:
	s_cmp_lg_u32 s30, 0
	s_mov_b32 s6, 0
	s_cbranch_scc0 .LBB77_79
; %bb.74:
	s_min_u32 s1, s31, 15
	s_delay_alu instid0(SALU_CYCLE_1)
	s_add_co_i32 s1, s1, 1
	s_cmp_eq_u32 s31, 2
	s_cbranch_scc1 .LBB77_80
; %bb.75:
	v_dual_mov_b32 v10, 0 :: v_dual_mov_b32 v11, 0
	v_mov_b32_e32 v12, v1
	s_and_b32 s0, s1, 28
	s_add_nc_u64 s[2:3], s[12:13], 0xc4
	s_mov_b32 s7, 0
	s_mov_b64 s[4:5], s[12:13]
.LBB77_76:                              ; =>This Inner Loop Header: Depth=1
	s_clause 0x1
	s_load_b256 s[16:23], s[4:5], 0x4
	s_load_b128 s[8:11], s[4:5], 0x24
	s_load_b256 s[36:43], s[2:3], 0x0
	s_add_co_i32 s7, s7, 4
	s_wait_xcnt 0x0
	s_add_nc_u64 s[4:5], s[4:5], 48
	s_cmp_lg_u32 s0, s7
	s_add_nc_u64 s[2:3], s[2:3], 32
	s_wait_kmcnt 0x0
	v_mul_hi_u32 v13, s17, v12
	s_delay_alu instid0(VALU_DEP_1) | instskip(NEXT) | instid1(VALU_DEP_1)
	v_add_nc_u32_e32 v13, v12, v13
	v_lshrrev_b32_e32 v13, s18, v13
	s_delay_alu instid0(VALU_DEP_1) | instskip(NEXT) | instid1(VALU_DEP_1)
	v_mul_lo_u32 v18, v13, s16
	v_sub_nc_u32_e32 v12, v12, v18
	v_mul_hi_u32 v15, s20, v13
	s_delay_alu instid0(VALU_DEP_2) | instskip(SKIP_1) | instid1(VALU_DEP_3)
	v_mad_u32 v11, v12, s37, v11
	v_mad_u32 v10, v12, s36, v10
	v_add_nc_u32_e32 v15, v13, v15
	s_delay_alu instid0(VALU_DEP_1) | instskip(NEXT) | instid1(VALU_DEP_1)
	v_lshrrev_b32_e32 v15, s21, v15
	v_mul_hi_u32 v17, s23, v15
	v_mul_lo_u32 v18, v15, s19
	s_delay_alu instid0(VALU_DEP_1) | instskip(NEXT) | instid1(VALU_DEP_1)
	v_dual_add_nc_u32 v17, v15, v17 :: v_dual_sub_nc_u32 v12, v13, v18
	v_lshrrev_b32_e32 v17, s8, v17
	s_delay_alu instid0(VALU_DEP_2) | instskip(SKIP_1) | instid1(VALU_DEP_3)
	v_mad_u32 v11, v12, s39, v11
	v_mad_u32 v10, v12, s38, v10
	v_mul_hi_u32 v19, s10, v17
	v_mul_lo_u32 v13, v17, s22
	s_delay_alu instid0(VALU_DEP_1) | instskip(NEXT) | instid1(VALU_DEP_1)
	v_dual_add_nc_u32 v18, v17, v19 :: v_dual_sub_nc_u32 v13, v15, v13
	v_lshrrev_b32_e32 v12, s11, v18
	s_delay_alu instid0(VALU_DEP_2) | instskip(SKIP_1) | instid1(VALU_DEP_3)
	v_mad_u32 v11, v13, s41, v11
	v_mad_u32 v10, v13, s40, v10
	v_mul_lo_u32 v15, v12, s9
	s_delay_alu instid0(VALU_DEP_1) | instskip(NEXT) | instid1(VALU_DEP_1)
	v_sub_nc_u32_e32 v13, v17, v15
	v_mad_u32 v11, v13, s43, v11
	s_delay_alu instid0(VALU_DEP_4)
	v_mad_u32 v10, v13, s42, v10
	s_cbranch_scc1 .LBB77_76
; %bb.77:
	s_and_b32 s4, s1, 3
	s_mov_b32 s1, 0
	s_cmp_eq_u32 s4, 0
	s_cbranch_scc0 .LBB77_81
	s_branch .LBB77_83
.LBB77_78:
	s_mov_b32 s6, -1
                                        ; implicit-def: $vgpr11
	s_branch .LBB77_83
.LBB77_79:
	v_dual_mov_b32 v11, 0 :: v_dual_mov_b32 v10, 0
	s_branch .LBB77_83
.LBB77_80:
	v_mov_b64_e32 v[10:11], 0
	v_mov_b32_e32 v12, v1
	s_mov_b32 s0, 0
	s_and_b32 s4, s1, 3
	s_mov_b32 s1, 0
	s_cmp_eq_u32 s4, 0
	s_cbranch_scc1 .LBB77_83
.LBB77_81:
	s_lshl_b32 s2, s0, 3
	s_mov_b32 s3, s1
	s_mul_u64 s[8:9], s[0:1], 12
	s_add_nc_u64 s[2:3], s[12:13], s[2:3]
	s_delay_alu instid0(SALU_CYCLE_1)
	s_add_nc_u64 s[0:1], s[2:3], 0xc4
	s_add_nc_u64 s[2:3], s[12:13], s[8:9]
.LBB77_82:                              ; =>This Inner Loop Header: Depth=1
	s_load_b96 s[8:10], s[2:3], 0x4
	s_add_co_i32 s4, s4, -1
	s_wait_xcnt 0x0
	s_add_nc_u64 s[2:3], s[2:3], 12
	s_cmp_lg_u32 s4, 0
	s_wait_kmcnt 0x0
	v_mul_hi_u32 v13, s9, v12
	s_delay_alu instid0(VALU_DEP_1) | instskip(NEXT) | instid1(VALU_DEP_1)
	v_add_nc_u32_e32 v13, v12, v13
	v_lshrrev_b32_e32 v13, s10, v13
	s_load_b64 s[10:11], s[0:1], 0x0
	s_wait_xcnt 0x0
	s_add_nc_u64 s[0:1], s[0:1], 8
	s_delay_alu instid0(VALU_DEP_1) | instskip(NEXT) | instid1(VALU_DEP_1)
	v_mul_lo_u32 v15, v13, s8
	v_sub_nc_u32_e32 v12, v12, v15
	s_wait_kmcnt 0x0
	s_delay_alu instid0(VALU_DEP_1)
	v_mad_u32 v11, v12, s11, v11
	v_mad_u32 v10, v12, s10, v10
	v_mov_b32_e32 v12, v13
	s_cbranch_scc1 .LBB77_82
.LBB77_83:
	s_and_not1_b32 vcc_lo, exec_lo, s6
	s_cbranch_vccnz .LBB77_86
; %bb.84:
	s_clause 0x1
	s_load_b96 s[0:2], s[12:13], 0x4
	s_load_b64 s[4:5], s[12:13], 0xc4
	s_cmp_lt_u32 s30, 2
	s_wait_kmcnt 0x0
	v_mul_hi_u32 v10, s1, v1
	s_delay_alu instid0(VALU_DEP_1) | instskip(NEXT) | instid1(VALU_DEP_1)
	v_add_nc_u32_e32 v10, v1, v10
	v_lshrrev_b32_e32 v12, s2, v10
	s_delay_alu instid0(VALU_DEP_1) | instskip(NEXT) | instid1(VALU_DEP_1)
	v_mul_lo_u32 v10, v12, s0
	v_sub_nc_u32_e32 v1, v1, v10
	s_delay_alu instid0(VALU_DEP_1)
	v_mul_lo_u32 v11, v1, s5
	v_mul_lo_u32 v10, v1, s4
	s_cbranch_scc1 .LBB77_86
; %bb.85:
	s_clause 0x1
	s_load_b96 s[0:2], s[12:13], 0x10
	s_load_b64 s[4:5], s[12:13], 0xcc
	s_wait_kmcnt 0x0
	v_mul_hi_u32 v1, s1, v12
	s_delay_alu instid0(VALU_DEP_1) | instskip(NEXT) | instid1(VALU_DEP_1)
	v_add_nc_u32_e32 v1, v12, v1
	v_lshrrev_b32_e32 v1, s2, v1
	s_delay_alu instid0(VALU_DEP_1) | instskip(NEXT) | instid1(VALU_DEP_1)
	v_mul_lo_u32 v1, v1, s0
	v_sub_nc_u32_e32 v1, v12, v1
	s_delay_alu instid0(VALU_DEP_1)
	v_mad_u32 v10, v1, s4, v10
	v_mad_u32 v11, v1, s5, v11
.LBB77_86:
	v_cmp_ne_u32_e32 vcc_lo, 1, v14
	v_add_nc_u32_e32 v1, 0x280, v0
	s_cbranch_vccnz .LBB77_92
; %bb.87:
	s_cmp_lg_u32 s30, 0
	s_mov_b32 s6, 0
	s_cbranch_scc0 .LBB77_93
; %bb.88:
	s_min_u32 s1, s31, 15
	s_delay_alu instid0(SALU_CYCLE_1)
	s_add_co_i32 s1, s1, 1
	s_cmp_eq_u32 s31, 2
	s_cbranch_scc1 .LBB77_94
; %bb.89:
	v_dual_mov_b32 v12, 0 :: v_dual_mov_b32 v13, 0
	v_mov_b32_e32 v15, v1
	s_and_b32 s0, s1, 28
	s_add_nc_u64 s[2:3], s[12:13], 0xc4
	s_mov_b32 s7, 0
	s_mov_b64 s[4:5], s[12:13]
.LBB77_90:                              ; =>This Inner Loop Header: Depth=1
	s_clause 0x1
	s_load_b256 s[16:23], s[4:5], 0x4
	s_load_b128 s[8:11], s[4:5], 0x24
	s_load_b256 s[36:43], s[2:3], 0x0
	s_add_co_i32 s7, s7, 4
	s_wait_xcnt 0x0
	s_add_nc_u64 s[4:5], s[4:5], 48
	s_cmp_lg_u32 s0, s7
	s_add_nc_u64 s[2:3], s[2:3], 32
	s_wait_kmcnt 0x0
	v_mul_hi_u32 v17, s17, v15
	s_delay_alu instid0(VALU_DEP_1) | instskip(NEXT) | instid1(VALU_DEP_1)
	v_add_nc_u32_e32 v17, v15, v17
	v_lshrrev_b32_e32 v17, s18, v17
	s_delay_alu instid0(VALU_DEP_1) | instskip(NEXT) | instid1(VALU_DEP_1)
	v_mul_hi_u32 v18, s20, v17
	v_add_nc_u32_e32 v18, v17, v18
	s_delay_alu instid0(VALU_DEP_1) | instskip(NEXT) | instid1(VALU_DEP_1)
	v_lshrrev_b32_e32 v18, s21, v18
	v_mul_hi_u32 v19, s23, v18
	s_delay_alu instid0(VALU_DEP_1) | instskip(SKIP_1) | instid1(VALU_DEP_1)
	v_add_nc_u32_e32 v19, v18, v19
	v_mul_lo_u32 v20, v17, s16
	v_sub_nc_u32_e32 v15, v15, v20
	v_mul_lo_u32 v20, v18, s19
	s_delay_alu instid0(VALU_DEP_4) | instskip(NEXT) | instid1(VALU_DEP_3)
	v_lshrrev_b32_e32 v19, s8, v19
	v_mad_u32 v13, v15, s37, v13
	v_mad_u32 v12, v15, s36, v12
	s_delay_alu instid0(VALU_DEP_4) | instskip(NEXT) | instid1(VALU_DEP_4)
	v_sub_nc_u32_e32 v15, v17, v20
	v_mul_hi_u32 v21, s10, v19
	v_mul_lo_u32 v17, v19, s22
	s_delay_alu instid0(VALU_DEP_3) | instskip(SKIP_1) | instid1(VALU_DEP_4)
	v_mad_u32 v13, v15, s39, v13
	v_mad_u32 v12, v15, s38, v12
	v_add_nc_u32_e32 v20, v19, v21
	s_delay_alu instid0(VALU_DEP_1) | instskip(NEXT) | instid1(VALU_DEP_1)
	v_dual_sub_nc_u32 v17, v18, v17 :: v_dual_lshrrev_b32 v15, s11, v20
	v_mad_u32 v13, v17, s41, v13
	s_delay_alu instid0(VALU_DEP_4) | instskip(NEXT) | instid1(VALU_DEP_3)
	v_mad_u32 v12, v17, s40, v12
	v_mul_lo_u32 v18, v15, s9
	s_delay_alu instid0(VALU_DEP_1) | instskip(NEXT) | instid1(VALU_DEP_1)
	v_sub_nc_u32_e32 v17, v19, v18
	v_mad_u32 v13, v17, s43, v13
	s_delay_alu instid0(VALU_DEP_4)
	v_mad_u32 v12, v17, s42, v12
	s_cbranch_scc1 .LBB77_90
; %bb.91:
	s_and_b32 s4, s1, 3
	s_mov_b32 s1, 0
	s_cmp_eq_u32 s4, 0
	s_cbranch_scc0 .LBB77_95
	s_branch .LBB77_97
.LBB77_92:
	s_mov_b32 s6, -1
                                        ; implicit-def: $vgpr13
	s_branch .LBB77_97
.LBB77_93:
	v_dual_mov_b32 v13, 0 :: v_dual_mov_b32 v12, 0
	s_branch .LBB77_97
.LBB77_94:
	v_mov_b64_e32 v[12:13], 0
	v_mov_b32_e32 v15, v1
	s_mov_b32 s0, 0
	s_and_b32 s4, s1, 3
	s_mov_b32 s1, 0
	s_cmp_eq_u32 s4, 0
	s_cbranch_scc1 .LBB77_97
.LBB77_95:
	s_lshl_b32 s2, s0, 3
	s_mov_b32 s3, s1
	s_mul_u64 s[8:9], s[0:1], 12
	s_add_nc_u64 s[2:3], s[12:13], s[2:3]
	s_delay_alu instid0(SALU_CYCLE_1)
	s_add_nc_u64 s[0:1], s[2:3], 0xc4
	s_add_nc_u64 s[2:3], s[12:13], s[8:9]
.LBB77_96:                              ; =>This Inner Loop Header: Depth=1
	s_load_b96 s[8:10], s[2:3], 0x4
	s_add_co_i32 s4, s4, -1
	s_wait_xcnt 0x0
	s_add_nc_u64 s[2:3], s[2:3], 12
	s_cmp_lg_u32 s4, 0
	s_wait_kmcnt 0x0
	v_mul_hi_u32 v17, s9, v15
	s_delay_alu instid0(VALU_DEP_1) | instskip(NEXT) | instid1(VALU_DEP_1)
	v_add_nc_u32_e32 v17, v15, v17
	v_lshrrev_b32_e32 v17, s10, v17
	s_load_b64 s[10:11], s[0:1], 0x0
	s_wait_xcnt 0x0
	s_add_nc_u64 s[0:1], s[0:1], 8
	s_delay_alu instid0(VALU_DEP_1) | instskip(NEXT) | instid1(VALU_DEP_1)
	v_mul_lo_u32 v18, v17, s8
	v_sub_nc_u32_e32 v15, v15, v18
	s_wait_kmcnt 0x0
	s_delay_alu instid0(VALU_DEP_1)
	v_mad_u32 v13, v15, s11, v13
	v_mad_u32 v12, v15, s10, v12
	v_mov_b32_e32 v15, v17
	s_cbranch_scc1 .LBB77_96
.LBB77_97:
	s_and_not1_b32 vcc_lo, exec_lo, s6
	s_cbranch_vccnz .LBB77_100
; %bb.98:
	s_clause 0x1
	s_load_b96 s[0:2], s[12:13], 0x4
	s_load_b64 s[4:5], s[12:13], 0xc4
	s_cmp_lt_u32 s30, 2
	s_wait_kmcnt 0x0
	v_mul_hi_u32 v12, s1, v1
	s_delay_alu instid0(VALU_DEP_1) | instskip(NEXT) | instid1(VALU_DEP_1)
	v_add_nc_u32_e32 v12, v1, v12
	v_lshrrev_b32_e32 v15, s2, v12
	s_delay_alu instid0(VALU_DEP_1) | instskip(NEXT) | instid1(VALU_DEP_1)
	v_mul_lo_u32 v12, v15, s0
	v_sub_nc_u32_e32 v1, v1, v12
	s_delay_alu instid0(VALU_DEP_1)
	v_mul_lo_u32 v13, v1, s5
	v_mul_lo_u32 v12, v1, s4
	s_cbranch_scc1 .LBB77_100
; %bb.99:
	s_clause 0x1
	s_load_b96 s[0:2], s[12:13], 0x10
	s_load_b64 s[4:5], s[12:13], 0xcc
	s_wait_kmcnt 0x0
	v_mul_hi_u32 v1, s1, v15
	s_delay_alu instid0(VALU_DEP_1) | instskip(NEXT) | instid1(VALU_DEP_1)
	v_add_nc_u32_e32 v1, v15, v1
	v_lshrrev_b32_e32 v1, s2, v1
	s_delay_alu instid0(VALU_DEP_1) | instskip(NEXT) | instid1(VALU_DEP_1)
	v_mul_lo_u32 v1, v1, s0
	v_sub_nc_u32_e32 v1, v15, v1
	s_delay_alu instid0(VALU_DEP_1)
	v_mad_u32 v12, v1, s4, v12
	v_mad_u32 v13, v1, s5, v13
.LBB77_100:
	v_cmp_ne_u32_e32 vcc_lo, 1, v14
	v_add_nc_u32_e32 v15, 0x300, v0
	s_cbranch_vccnz .LBB77_106
; %bb.101:
	s_cmp_lg_u32 s30, 0
	s_mov_b32 s6, 0
	s_cbranch_scc0 .LBB77_107
; %bb.102:
	s_min_u32 s1, s31, 15
	s_delay_alu instid0(SALU_CYCLE_1)
	s_add_co_i32 s1, s1, 1
	s_cmp_eq_u32 s31, 2
	s_cbranch_scc1 .LBB77_108
; %bb.103:
	v_dual_mov_b32 v0, 0 :: v_dual_mov_b32 v1, 0
	v_mov_b32_e32 v17, v15
	s_and_b32 s0, s1, 28
	s_add_nc_u64 s[2:3], s[12:13], 0xc4
	s_mov_b32 s7, 0
	s_mov_b64 s[4:5], s[12:13]
.LBB77_104:                             ; =>This Inner Loop Header: Depth=1
	s_clause 0x1
	s_load_b256 s[16:23], s[4:5], 0x4
	s_load_b128 s[8:11], s[4:5], 0x24
	s_load_b256 s[36:43], s[2:3], 0x0
	s_add_co_i32 s7, s7, 4
	s_wait_xcnt 0x0
	s_add_nc_u64 s[4:5], s[4:5], 48
	s_cmp_lg_u32 s0, s7
	s_add_nc_u64 s[2:3], s[2:3], 32
	s_wait_kmcnt 0x0
	v_mul_hi_u32 v18, s17, v17
	s_delay_alu instid0(VALU_DEP_1) | instskip(NEXT) | instid1(VALU_DEP_1)
	v_add_nc_u32_e32 v18, v17, v18
	v_lshrrev_b32_e32 v18, s18, v18
	s_delay_alu instid0(VALU_DEP_1) | instskip(NEXT) | instid1(VALU_DEP_1)
	v_mul_hi_u32 v19, s20, v18
	v_add_nc_u32_e32 v19, v18, v19
	s_delay_alu instid0(VALU_DEP_1) | instskip(NEXT) | instid1(VALU_DEP_1)
	v_lshrrev_b32_e32 v19, s21, v19
	v_mul_hi_u32 v20, s23, v19
	s_delay_alu instid0(VALU_DEP_1) | instskip(SKIP_1) | instid1(VALU_DEP_1)
	v_add_nc_u32_e32 v20, v19, v20
	v_mul_lo_u32 v21, v18, s16
	v_sub_nc_u32_e32 v17, v17, v21
	v_mul_lo_u32 v21, v19, s19
	s_delay_alu instid0(VALU_DEP_4) | instskip(NEXT) | instid1(VALU_DEP_3)
	v_lshrrev_b32_e32 v20, s8, v20
	v_mad_u32 v1, v17, s37, v1
	v_mad_u32 v0, v17, s36, v0
	s_delay_alu instid0(VALU_DEP_4) | instskip(NEXT) | instid1(VALU_DEP_4)
	v_sub_nc_u32_e32 v17, v18, v21
	v_mul_hi_u32 v22, s10, v20
	v_mul_lo_u32 v18, v20, s22
	s_delay_alu instid0(VALU_DEP_3) | instskip(SKIP_1) | instid1(VALU_DEP_4)
	v_mad_u32 v1, v17, s39, v1
	v_mad_u32 v0, v17, s38, v0
	v_add_nc_u32_e32 v21, v20, v22
	s_delay_alu instid0(VALU_DEP_1) | instskip(NEXT) | instid1(VALU_DEP_1)
	v_dual_sub_nc_u32 v18, v19, v18 :: v_dual_lshrrev_b32 v17, s11, v21
	v_mad_u32 v1, v18, s41, v1
	s_delay_alu instid0(VALU_DEP_4) | instskip(NEXT) | instid1(VALU_DEP_3)
	v_mad_u32 v0, v18, s40, v0
	v_mul_lo_u32 v19, v17, s9
	s_delay_alu instid0(VALU_DEP_1) | instskip(NEXT) | instid1(VALU_DEP_1)
	v_sub_nc_u32_e32 v18, v20, v19
	v_mad_u32 v1, v18, s43, v1
	s_delay_alu instid0(VALU_DEP_4)
	v_mad_u32 v0, v18, s42, v0
	s_cbranch_scc1 .LBB77_104
; %bb.105:
	s_and_b32 s4, s1, 3
	s_mov_b32 s1, 0
	s_cmp_eq_u32 s4, 0
	s_cbranch_scc0 .LBB77_109
	s_branch .LBB77_111
.LBB77_106:
	s_mov_b32 s6, -1
                                        ; implicit-def: $vgpr1
	s_branch .LBB77_111
.LBB77_107:
	v_dual_mov_b32 v1, 0 :: v_dual_mov_b32 v0, 0
	s_branch .LBB77_111
.LBB77_108:
	v_mov_b64_e32 v[0:1], 0
	v_mov_b32_e32 v17, v15
	s_mov_b32 s0, 0
	s_and_b32 s4, s1, 3
	s_mov_b32 s1, 0
	s_cmp_eq_u32 s4, 0
	s_cbranch_scc1 .LBB77_111
.LBB77_109:
	s_lshl_b32 s2, s0, 3
	s_mov_b32 s3, s1
	s_mul_u64 s[8:9], s[0:1], 12
	s_add_nc_u64 s[2:3], s[12:13], s[2:3]
	s_delay_alu instid0(SALU_CYCLE_1)
	s_add_nc_u64 s[0:1], s[2:3], 0xc4
	s_add_nc_u64 s[2:3], s[12:13], s[8:9]
.LBB77_110:                             ; =>This Inner Loop Header: Depth=1
	s_load_b96 s[8:10], s[2:3], 0x4
	s_add_co_i32 s4, s4, -1
	s_wait_xcnt 0x0
	s_add_nc_u64 s[2:3], s[2:3], 12
	s_cmp_lg_u32 s4, 0
	s_wait_kmcnt 0x0
	v_mul_hi_u32 v18, s9, v17
	s_delay_alu instid0(VALU_DEP_1) | instskip(NEXT) | instid1(VALU_DEP_1)
	v_add_nc_u32_e32 v18, v17, v18
	v_lshrrev_b32_e32 v18, s10, v18
	s_load_b64 s[10:11], s[0:1], 0x0
	s_wait_xcnt 0x0
	s_add_nc_u64 s[0:1], s[0:1], 8
	s_delay_alu instid0(VALU_DEP_1) | instskip(NEXT) | instid1(VALU_DEP_1)
	v_mul_lo_u32 v19, v18, s8
	v_sub_nc_u32_e32 v17, v17, v19
	s_wait_kmcnt 0x0
	s_delay_alu instid0(VALU_DEP_1)
	v_mad_u32 v1, v17, s11, v1
	v_mad_u32 v0, v17, s10, v0
	v_mov_b32_e32 v17, v18
	s_cbranch_scc1 .LBB77_110
.LBB77_111:
	s_and_not1_b32 vcc_lo, exec_lo, s6
	s_cbranch_vccnz .LBB77_114
; %bb.112:
	s_clause 0x1
	s_load_b96 s[0:2], s[12:13], 0x4
	s_load_b64 s[4:5], s[12:13], 0xc4
	s_cmp_lt_u32 s30, 2
	s_wait_kmcnt 0x0
	v_mul_hi_u32 v0, s1, v15
	s_delay_alu instid0(VALU_DEP_1) | instskip(NEXT) | instid1(VALU_DEP_1)
	v_add_nc_u32_e32 v0, v15, v0
	v_lshrrev_b32_e32 v17, s2, v0
	s_delay_alu instid0(VALU_DEP_1) | instskip(NEXT) | instid1(VALU_DEP_1)
	v_mul_lo_u32 v0, v17, s0
	v_sub_nc_u32_e32 v0, v15, v0
	s_delay_alu instid0(VALU_DEP_1)
	v_mul_lo_u32 v1, v0, s5
	v_mul_lo_u32 v0, v0, s4
	s_cbranch_scc1 .LBB77_114
; %bb.113:
	s_clause 0x1
	s_load_b96 s[0:2], s[12:13], 0x10
	s_load_b64 s[4:5], s[12:13], 0xcc
	s_wait_kmcnt 0x0
	v_mul_hi_u32 v15, s1, v17
	s_delay_alu instid0(VALU_DEP_1) | instskip(NEXT) | instid1(VALU_DEP_1)
	v_add_nc_u32_e32 v15, v17, v15
	v_lshrrev_b32_e32 v15, s2, v15
	s_delay_alu instid0(VALU_DEP_1) | instskip(NEXT) | instid1(VALU_DEP_1)
	v_mul_lo_u32 v15, v15, s0
	v_sub_nc_u32_e32 v15, v17, v15
	s_delay_alu instid0(VALU_DEP_1)
	v_mad_u32 v0, v15, s4, v0
	v_mad_u32 v1, v15, s5, v1
.LBB77_114:
	v_cmp_ne_u32_e32 vcc_lo, 1, v14
	s_cbranch_vccnz .LBB77_120
; %bb.115:
	s_cmp_lg_u32 s30, 0
	s_mov_b32 s6, 0
	s_cbranch_scc0 .LBB77_121
; %bb.116:
	s_min_u32 s1, s31, 15
	s_delay_alu instid0(SALU_CYCLE_1)
	s_add_co_i32 s1, s1, 1
	s_cmp_eq_u32 s31, 2
	s_cbranch_scc1 .LBB77_122
; %bb.117:
	v_dual_mov_b32 v14, 0 :: v_dual_mov_b32 v15, 0
	v_mov_b32_e32 v17, v16
	s_and_b32 s0, s1, 28
	s_add_nc_u64 s[2:3], s[12:13], 0xc4
	s_mov_b32 s7, 0
	s_mov_b64 s[4:5], s[12:13]
.LBB77_118:                             ; =>This Inner Loop Header: Depth=1
	s_clause 0x1
	s_load_b256 s[16:23], s[4:5], 0x4
	s_load_b128 s[8:11], s[4:5], 0x24
	s_load_b256 s[36:43], s[2:3], 0x0
	s_add_co_i32 s7, s7, 4
	s_wait_xcnt 0x0
	s_add_nc_u64 s[4:5], s[4:5], 48
	s_cmp_lg_u32 s0, s7
	s_add_nc_u64 s[2:3], s[2:3], 32
	s_wait_kmcnt 0x0
	v_mul_hi_u32 v18, s17, v17
	s_delay_alu instid0(VALU_DEP_1) | instskip(NEXT) | instid1(VALU_DEP_1)
	v_add_nc_u32_e32 v18, v17, v18
	v_lshrrev_b32_e32 v18, s18, v18
	s_delay_alu instid0(VALU_DEP_1) | instskip(NEXT) | instid1(VALU_DEP_1)
	v_mul_hi_u32 v19, s20, v18
	v_add_nc_u32_e32 v19, v18, v19
	s_delay_alu instid0(VALU_DEP_1) | instskip(NEXT) | instid1(VALU_DEP_1)
	v_lshrrev_b32_e32 v19, s21, v19
	v_mul_hi_u32 v20, s23, v19
	s_delay_alu instid0(VALU_DEP_1) | instskip(SKIP_1) | instid1(VALU_DEP_1)
	v_add_nc_u32_e32 v20, v19, v20
	v_mul_lo_u32 v21, v18, s16
	v_sub_nc_u32_e32 v17, v17, v21
	v_mul_lo_u32 v21, v19, s19
	s_delay_alu instid0(VALU_DEP_4) | instskip(NEXT) | instid1(VALU_DEP_3)
	v_lshrrev_b32_e32 v20, s8, v20
	v_mad_u32 v15, v17, s37, v15
	v_mad_u32 v14, v17, s36, v14
	s_delay_alu instid0(VALU_DEP_4) | instskip(NEXT) | instid1(VALU_DEP_4)
	v_sub_nc_u32_e32 v17, v18, v21
	v_mul_hi_u32 v22, s10, v20
	v_mul_lo_u32 v18, v20, s22
	s_delay_alu instid0(VALU_DEP_3) | instskip(SKIP_1) | instid1(VALU_DEP_4)
	v_mad_u32 v15, v17, s39, v15
	v_mad_u32 v14, v17, s38, v14
	v_add_nc_u32_e32 v21, v20, v22
	s_delay_alu instid0(VALU_DEP_1) | instskip(NEXT) | instid1(VALU_DEP_1)
	v_dual_sub_nc_u32 v18, v19, v18 :: v_dual_lshrrev_b32 v17, s11, v21
	v_mad_u32 v15, v18, s41, v15
	s_delay_alu instid0(VALU_DEP_4) | instskip(NEXT) | instid1(VALU_DEP_3)
	v_mad_u32 v14, v18, s40, v14
	v_mul_lo_u32 v19, v17, s9
	s_delay_alu instid0(VALU_DEP_1) | instskip(NEXT) | instid1(VALU_DEP_1)
	v_sub_nc_u32_e32 v18, v20, v19
	v_mad_u32 v15, v18, s43, v15
	s_delay_alu instid0(VALU_DEP_4)
	v_mad_u32 v14, v18, s42, v14
	s_cbranch_scc1 .LBB77_118
; %bb.119:
	s_and_b32 s4, s1, 3
	s_mov_b32 s1, 0
	s_cmp_eq_u32 s4, 0
	s_cbranch_scc0 .LBB77_123
	s_branch .LBB77_125
.LBB77_120:
	s_mov_b32 s6, -1
                                        ; implicit-def: $vgpr15
	s_branch .LBB77_125
.LBB77_121:
	v_dual_mov_b32 v15, 0 :: v_dual_mov_b32 v14, 0
	s_branch .LBB77_125
.LBB77_122:
	v_mov_b64_e32 v[14:15], 0
	v_mov_b32_e32 v17, v16
	s_mov_b32 s0, 0
	s_and_b32 s4, s1, 3
	s_mov_b32 s1, 0
	s_cmp_eq_u32 s4, 0
	s_cbranch_scc1 .LBB77_125
.LBB77_123:
	s_lshl_b32 s2, s0, 3
	s_mov_b32 s3, s1
	s_mul_u64 s[8:9], s[0:1], 12
	s_add_nc_u64 s[2:3], s[12:13], s[2:3]
	s_delay_alu instid0(SALU_CYCLE_1)
	s_add_nc_u64 s[0:1], s[2:3], 0xc4
	s_add_nc_u64 s[2:3], s[12:13], s[8:9]
.LBB77_124:                             ; =>This Inner Loop Header: Depth=1
	s_load_b96 s[8:10], s[2:3], 0x4
	s_add_co_i32 s4, s4, -1
	s_wait_xcnt 0x0
	s_add_nc_u64 s[2:3], s[2:3], 12
	s_cmp_lg_u32 s4, 0
	s_wait_kmcnt 0x0
	v_mul_hi_u32 v18, s9, v17
	s_delay_alu instid0(VALU_DEP_1) | instskip(NEXT) | instid1(VALU_DEP_1)
	v_add_nc_u32_e32 v18, v17, v18
	v_lshrrev_b32_e32 v18, s10, v18
	s_load_b64 s[10:11], s[0:1], 0x0
	s_wait_xcnt 0x0
	s_add_nc_u64 s[0:1], s[0:1], 8
	s_delay_alu instid0(VALU_DEP_1) | instskip(NEXT) | instid1(VALU_DEP_1)
	v_mul_lo_u32 v19, v18, s8
	v_sub_nc_u32_e32 v17, v17, v19
	s_wait_kmcnt 0x0
	s_delay_alu instid0(VALU_DEP_1)
	v_mad_u32 v15, v17, s11, v15
	v_mad_u32 v14, v17, s10, v14
	v_mov_b32_e32 v17, v18
	s_cbranch_scc1 .LBB77_124
.LBB77_125:
	s_and_not1_b32 vcc_lo, exec_lo, s6
	s_cbranch_vccnz .LBB77_128
; %bb.126:
	s_clause 0x1
	s_load_b96 s[0:2], s[12:13], 0x4
	s_load_b64 s[4:5], s[12:13], 0xc4
	s_cmp_lt_u32 s30, 2
	s_wait_kmcnt 0x0
	v_mul_hi_u32 v14, s1, v16
	s_delay_alu instid0(VALU_DEP_1) | instskip(NEXT) | instid1(VALU_DEP_1)
	v_add_nc_u32_e32 v14, v16, v14
	v_lshrrev_b32_e32 v17, s2, v14
	s_delay_alu instid0(VALU_DEP_1) | instskip(NEXT) | instid1(VALU_DEP_1)
	v_mul_lo_u32 v14, v17, s0
	v_sub_nc_u32_e32 v14, v16, v14
	s_delay_alu instid0(VALU_DEP_1)
	v_mul_lo_u32 v15, v14, s5
	v_mul_lo_u32 v14, v14, s4
	s_cbranch_scc1 .LBB77_128
; %bb.127:
	s_clause 0x1
	s_load_b96 s[0:2], s[12:13], 0x10
	s_load_b64 s[4:5], s[12:13], 0xcc
	s_wait_kmcnt 0x0
	v_mul_hi_u32 v16, s1, v17
	s_delay_alu instid0(VALU_DEP_1) | instskip(NEXT) | instid1(VALU_DEP_1)
	v_add_nc_u32_e32 v16, v17, v16
	v_lshrrev_b32_e32 v16, s2, v16
	s_delay_alu instid0(VALU_DEP_1) | instskip(NEXT) | instid1(VALU_DEP_1)
	v_mul_lo_u32 v16, v16, s0
	v_sub_nc_u32_e32 v16, v17, v16
	s_delay_alu instid0(VALU_DEP_1)
	v_mad_u32 v14, v16, s4, v14
	v_mad_u32 v15, v16, s5, v15
.LBB77_128:
	s_clause 0x1
	s_load_b128 s[8:11], s[12:13], 0x148
	s_load_b64 s[6:7], s[12:13], 0x158
	s_wait_kmcnt 0x0
	s_clause 0x7
	global_load_u16 v16, v3, s[10:11]
	global_load_u16 v17, v5, s[10:11]
	;; [unrolled: 1-line block ×8, first 2 shown]
	s_cmp_eq_u32 s6, 0
	s_wait_xcnt 0x0
	s_cselect_b32 s10, -1, 0
	s_wait_loadcnt 0x7
	v_cmp_ne_u16_e32 vcc_lo, s7, v16
	s_wait_loadcnt 0x6
	v_cmp_ne_u16_e64 s0, s7, v17
	s_wait_loadcnt 0x5
	v_cmp_ne_u16_e64 s1, s7, v18
	;; [unrolled: 2-line block ×5, first 2 shown]
	s_xor_b32 s0, s10, s0
	s_wait_loadcnt 0x1
	v_cmp_ne_u16_e64 s5, s7, v22
	v_cndmask_b32_e64 v3, 0, 1, s0
	s_xor_b32 s0, s10, s1
	s_wait_loadcnt 0x0
	v_cmp_ne_u16_e64 s6, s7, v23
	v_cndmask_b32_e64 v5, 0, 1, s0
	s_xor_b32 s0, s10, s2
	s_xor_b32 s7, s10, vcc_lo
	v_cndmask_b32_e64 v7, 0, 1, s0
	s_xor_b32 s0, s10, s3
	v_cndmask_b32_e64 v1, 0, 1, s7
	v_cndmask_b32_e64 v9, 0, 1, s0
	s_xor_b32 s0, s10, s4
	s_delay_alu instid0(SALU_CYCLE_1) | instskip(SKIP_1) | instid1(SALU_CYCLE_1)
	v_cndmask_b32_e64 v11, 0, 1, s0
	s_xor_b32 s0, s10, s5
	v_cndmask_b32_e64 v13, 0, 1, s0
	s_xor_b32 s0, s10, s6
	s_delay_alu instid0(SALU_CYCLE_1)
	v_cndmask_b32_e64 v15, 0, 1, s0
	s_clause 0x7
	global_store_b8 v2, v1, s[8:9]
	global_store_b8 v4, v3, s[8:9]
	;; [unrolled: 1-line block ×8, first 2 shown]
	s_endpgm
.LBB77_129:
	v_dual_mov_b32 v3, 0 :: v_dual_mov_b32 v2, 0
	s_branch .LBB77_135
.LBB77_130:
	v_dual_mov_b32 v3, 0 :: v_dual_mov_b32 v2, 0
	s_branch .LBB77_151
.LBB77_131:
	v_mov_b64_e32 v[2:3], 0
	v_mov_b32_e32 v1, v0
	s_mov_b32 s24, 0
.LBB77_132:
	s_and_b32 s16, s16, 3
	s_mov_b32 s25, 0
	s_cmp_eq_u32 s16, 0
	s_cbranch_scc1 .LBB77_135
; %bb.133:
	s_lshl_b32 s26, s24, 3
	s_mov_b32 s27, s25
	s_mul_u64 s[28:29], s[24:25], 12
	s_add_nc_u64 s[26:27], s[12:13], s[26:27]
	s_delay_alu instid0(SALU_CYCLE_1)
	s_add_nc_u64 s[24:25], s[26:27], 0xc4
	s_add_nc_u64 s[26:27], s[12:13], s[28:29]
.LBB77_134:                             ; =>This Inner Loop Header: Depth=1
	s_load_b96 s[40:42], s[26:27], 0x4
	s_load_b64 s[28:29], s[24:25], 0x0
	s_add_co_i32 s16, s16, -1
	s_wait_xcnt 0x0
	s_add_nc_u64 s[26:27], s[26:27], 12
	s_cmp_lg_u32 s16, 0
	s_add_nc_u64 s[24:25], s[24:25], 8
	s_wait_kmcnt 0x0
	v_mul_hi_u32 v4, s41, v1
	s_delay_alu instid0(VALU_DEP_1) | instskip(NEXT) | instid1(VALU_DEP_1)
	v_add_nc_u32_e32 v4, v1, v4
	v_lshrrev_b32_e32 v4, s42, v4
	s_delay_alu instid0(VALU_DEP_1) | instskip(NEXT) | instid1(VALU_DEP_1)
	v_mul_lo_u32 v5, v4, s40
	v_sub_nc_u32_e32 v1, v1, v5
	s_delay_alu instid0(VALU_DEP_1)
	v_mad_u32 v3, v1, s29, v3
	v_mad_u32 v2, v1, s28, v2
	v_mov_b32_e32 v1, v4
	s_cbranch_scc1 .LBB77_134
.LBB77_135:
	s_cbranch_execnz .LBB77_138
.LBB77_136:
	v_mov_b32_e32 v1, 0
	s_and_not1_b32 vcc_lo, exec_lo, s35
	s_delay_alu instid0(VALU_DEP_1) | instskip(NEXT) | instid1(VALU_DEP_1)
	v_mul_u64_e32 v[2:3], s[18:19], v[0:1]
	v_add_nc_u32_e32 v2, v0, v3
	s_delay_alu instid0(VALU_DEP_1) | instskip(NEXT) | instid1(VALU_DEP_1)
	v_lshrrev_b32_e32 v4, s6, v2
	v_mul_lo_u32 v2, v4, s4
	s_delay_alu instid0(VALU_DEP_1) | instskip(NEXT) | instid1(VALU_DEP_1)
	v_sub_nc_u32_e32 v2, v0, v2
	v_mul_lo_u32 v3, v2, s9
	v_mul_lo_u32 v2, v2, s8
	s_cbranch_vccnz .LBB77_138
; %bb.137:
	v_mov_b32_e32 v5, v1
	s_delay_alu instid0(VALU_DEP_1) | instskip(NEXT) | instid1(VALU_DEP_1)
	v_mul_u64_e32 v[6:7], s[20:21], v[4:5]
	v_add_nc_u32_e32 v1, v4, v7
	s_delay_alu instid0(VALU_DEP_1) | instskip(NEXT) | instid1(VALU_DEP_1)
	v_lshrrev_b32_e32 v1, s17, v1
	v_mul_lo_u32 v1, v1, s7
	s_delay_alu instid0(VALU_DEP_1) | instskip(NEXT) | instid1(VALU_DEP_1)
	v_sub_nc_u32_e32 v1, v4, v1
	v_mad_u32 v2, v1, s10, v2
	v_mad_u32 v3, v1, s11, v3
.LBB77_138:
	global_load_u16 v1, v3, s[2:3]
	v_add_nc_u32_e32 v0, 0x80, v0
	s_wait_loadcnt 0x0
	v_cmp_ne_u16_e32 vcc_lo, s15, v1
	s_xor_b32 s16, s5, vcc_lo
	s_delay_alu instid0(SALU_CYCLE_1) | instskip(SKIP_3) | instid1(SALU_CYCLE_1)
	v_cndmask_b32_e64 v1, 0, 1, s16
	global_store_b8 v2, v1, s[0:1]
	s_wait_xcnt 0x0
	s_or_b32 exec_lo, exec_lo, s14
	s_mov_b32 s14, exec_lo
	v_cmpx_gt_i32_e64 s36, v0
	s_cbranch_execnz .LBB77_15
.LBB77_139:
	s_or_b32 exec_lo, exec_lo, s14
	s_delay_alu instid0(SALU_CYCLE_1)
	s_mov_b32 s14, exec_lo
	v_cmpx_gt_i32_e64 s36, v0
	s_cbranch_execz .LBB77_155
.LBB77_140:
	s_and_not1_b32 vcc_lo, exec_lo, s33
	s_cbranch_vccnz .LBB77_145
; %bb.141:
	s_and_not1_b32 vcc_lo, exec_lo, s38
	s_cbranch_vccnz .LBB77_146
; %bb.142:
	s_add_co_i32 s16, s37, 1
	s_cmp_eq_u32 s31, 2
	s_cbranch_scc1 .LBB77_163
; %bb.143:
	v_dual_mov_b32 v2, 0 :: v_dual_mov_b32 v3, 0
	v_mov_b32_e32 v1, v0
	s_and_b32 s24, s16, 28
	s_mov_b32 s25, 0
	s_mov_b64 s[26:27], s[12:13]
	s_mov_b64 s[28:29], s[22:23]
.LBB77_144:                             ; =>This Inner Loop Header: Depth=1
	s_clause 0x1
	s_load_b256 s[40:47], s[26:27], 0x4
	s_load_b128 s[56:59], s[26:27], 0x24
	s_load_b256 s[48:55], s[28:29], 0x0
	s_add_co_i32 s25, s25, 4
	s_wait_xcnt 0x0
	s_add_nc_u64 s[26:27], s[26:27], 48
	s_cmp_eq_u32 s24, s25
	s_add_nc_u64 s[28:29], s[28:29], 32
	s_wait_kmcnt 0x0
	v_mul_hi_u32 v4, s41, v1
	s_delay_alu instid0(VALU_DEP_1) | instskip(NEXT) | instid1(VALU_DEP_1)
	v_add_nc_u32_e32 v4, v1, v4
	v_lshrrev_b32_e32 v4, s42, v4
	s_delay_alu instid0(VALU_DEP_1) | instskip(NEXT) | instid1(VALU_DEP_1)
	v_mul_hi_u32 v5, s44, v4
	v_add_nc_u32_e32 v5, v4, v5
	s_delay_alu instid0(VALU_DEP_1) | instskip(NEXT) | instid1(VALU_DEP_1)
	v_lshrrev_b32_e32 v5, s45, v5
	v_mul_hi_u32 v6, s47, v5
	s_delay_alu instid0(VALU_DEP_1) | instskip(SKIP_1) | instid1(VALU_DEP_1)
	v_add_nc_u32_e32 v6, v5, v6
	v_mul_lo_u32 v7, v4, s40
	v_sub_nc_u32_e32 v1, v1, v7
	v_mul_lo_u32 v7, v5, s43
	s_delay_alu instid0(VALU_DEP_4) | instskip(NEXT) | instid1(VALU_DEP_3)
	v_lshrrev_b32_e32 v6, s56, v6
	v_mad_u32 v3, v1, s49, v3
	v_mad_u32 v1, v1, s48, v2
	s_delay_alu instid0(VALU_DEP_4) | instskip(NEXT) | instid1(VALU_DEP_4)
	v_sub_nc_u32_e32 v2, v4, v7
	v_mul_hi_u32 v8, s58, v6
	v_mul_lo_u32 v4, v6, s46
	s_delay_alu instid0(VALU_DEP_3) | instskip(SKIP_1) | instid1(VALU_DEP_4)
	v_mad_u32 v3, v2, s51, v3
	v_mad_u32 v2, v2, s50, v1
	v_add_nc_u32_e32 v7, v6, v8
	s_delay_alu instid0(VALU_DEP_1) | instskip(NEXT) | instid1(VALU_DEP_1)
	v_dual_sub_nc_u32 v4, v5, v4 :: v_dual_lshrrev_b32 v1, s59, v7
	v_mad_u32 v3, v4, s53, v3
	s_delay_alu instid0(VALU_DEP_4) | instskip(NEXT) | instid1(VALU_DEP_3)
	v_mad_u32 v2, v4, s52, v2
	v_mul_lo_u32 v5, v1, s57
	s_delay_alu instid0(VALU_DEP_1) | instskip(NEXT) | instid1(VALU_DEP_1)
	v_sub_nc_u32_e32 v4, v6, v5
	v_mad_u32 v3, v4, s55, v3
	s_delay_alu instid0(VALU_DEP_4)
	v_mad_u32 v2, v4, s54, v2
	s_cbranch_scc0 .LBB77_144
	s_branch .LBB77_164
.LBB77_145:
                                        ; implicit-def: $vgpr3
	s_branch .LBB77_168
.LBB77_146:
	v_dual_mov_b32 v3, 0 :: v_dual_mov_b32 v2, 0
	s_branch .LBB77_167
.LBB77_147:
	v_mov_b64_e32 v[2:3], 0
	v_mov_b32_e32 v1, v0
	s_mov_b32 s24, 0
.LBB77_148:
	s_and_b32 s16, s16, 3
	s_mov_b32 s25, 0
	s_cmp_eq_u32 s16, 0
	s_cbranch_scc1 .LBB77_151
; %bb.149:
	s_lshl_b32 s26, s24, 3
	s_mov_b32 s27, s25
	s_mul_u64 s[28:29], s[24:25], 12
	s_add_nc_u64 s[26:27], s[12:13], s[26:27]
	s_delay_alu instid0(SALU_CYCLE_1)
	s_add_nc_u64 s[24:25], s[26:27], 0xc4
	s_add_nc_u64 s[26:27], s[12:13], s[28:29]
.LBB77_150:                             ; =>This Inner Loop Header: Depth=1
	s_load_b96 s[40:42], s[26:27], 0x4
	s_load_b64 s[28:29], s[24:25], 0x0
	s_add_co_i32 s16, s16, -1
	s_wait_xcnt 0x0
	s_add_nc_u64 s[26:27], s[26:27], 12
	s_cmp_lg_u32 s16, 0
	s_add_nc_u64 s[24:25], s[24:25], 8
	s_wait_kmcnt 0x0
	v_mul_hi_u32 v4, s41, v1
	s_delay_alu instid0(VALU_DEP_1) | instskip(NEXT) | instid1(VALU_DEP_1)
	v_add_nc_u32_e32 v4, v1, v4
	v_lshrrev_b32_e32 v4, s42, v4
	s_delay_alu instid0(VALU_DEP_1) | instskip(NEXT) | instid1(VALU_DEP_1)
	v_mul_lo_u32 v5, v4, s40
	v_sub_nc_u32_e32 v1, v1, v5
	s_delay_alu instid0(VALU_DEP_1)
	v_mad_u32 v3, v1, s29, v3
	v_mad_u32 v2, v1, s28, v2
	v_mov_b32_e32 v1, v4
	s_cbranch_scc1 .LBB77_150
.LBB77_151:
	s_cbranch_execnz .LBB77_154
.LBB77_152:
	v_mov_b32_e32 v1, 0
	s_and_not1_b32 vcc_lo, exec_lo, s35
	s_delay_alu instid0(VALU_DEP_1) | instskip(NEXT) | instid1(VALU_DEP_1)
	v_mul_u64_e32 v[2:3], s[18:19], v[0:1]
	v_add_nc_u32_e32 v2, v0, v3
	s_delay_alu instid0(VALU_DEP_1) | instskip(NEXT) | instid1(VALU_DEP_1)
	v_lshrrev_b32_e32 v4, s6, v2
	v_mul_lo_u32 v2, v4, s4
	s_delay_alu instid0(VALU_DEP_1) | instskip(NEXT) | instid1(VALU_DEP_1)
	v_sub_nc_u32_e32 v2, v0, v2
	v_mul_lo_u32 v3, v2, s9
	v_mul_lo_u32 v2, v2, s8
	s_cbranch_vccnz .LBB77_154
; %bb.153:
	v_mov_b32_e32 v5, v1
	s_delay_alu instid0(VALU_DEP_1) | instskip(NEXT) | instid1(VALU_DEP_1)
	v_mul_u64_e32 v[6:7], s[20:21], v[4:5]
	v_add_nc_u32_e32 v1, v4, v7
	s_delay_alu instid0(VALU_DEP_1) | instskip(NEXT) | instid1(VALU_DEP_1)
	v_lshrrev_b32_e32 v1, s17, v1
	v_mul_lo_u32 v1, v1, s7
	s_delay_alu instid0(VALU_DEP_1) | instskip(NEXT) | instid1(VALU_DEP_1)
	v_sub_nc_u32_e32 v1, v4, v1
	v_mad_u32 v2, v1, s10, v2
	v_mad_u32 v3, v1, s11, v3
.LBB77_154:
	global_load_u16 v1, v3, s[2:3]
	v_add_nc_u32_e32 v0, 0x80, v0
	s_wait_loadcnt 0x0
	v_cmp_ne_u16_e32 vcc_lo, s15, v1
	s_xor_b32 s16, s5, vcc_lo
	s_delay_alu instid0(SALU_CYCLE_1) | instskip(SKIP_3) | instid1(SALU_CYCLE_1)
	v_cndmask_b32_e64 v1, 0, 1, s16
	global_store_b8 v2, v1, s[0:1]
	s_wait_xcnt 0x0
	s_or_b32 exec_lo, exec_lo, s14
	s_mov_b32 s14, exec_lo
	v_cmpx_gt_i32_e64 s36, v0
	s_cbranch_execnz .LBB77_140
.LBB77_155:
	s_or_b32 exec_lo, exec_lo, s14
	s_delay_alu instid0(SALU_CYCLE_1)
	s_mov_b32 s14, exec_lo
	v_cmpx_gt_i32_e64 s36, v0
	s_cbranch_execz .LBB77_171
.LBB77_156:
	s_and_not1_b32 vcc_lo, exec_lo, s33
	s_cbranch_vccnz .LBB77_161
; %bb.157:
	s_and_not1_b32 vcc_lo, exec_lo, s38
	s_cbranch_vccnz .LBB77_162
; %bb.158:
	s_add_co_i32 s16, s37, 1
	s_cmp_eq_u32 s31, 2
	s_cbranch_scc1 .LBB77_179
; %bb.159:
	v_dual_mov_b32 v2, 0 :: v_dual_mov_b32 v3, 0
	v_mov_b32_e32 v1, v0
	s_and_b32 s24, s16, 28
	s_mov_b32 s25, 0
	s_mov_b64 s[26:27], s[12:13]
	s_mov_b64 s[28:29], s[22:23]
.LBB77_160:                             ; =>This Inner Loop Header: Depth=1
	s_clause 0x1
	s_load_b256 s[40:47], s[26:27], 0x4
	s_load_b128 s[56:59], s[26:27], 0x24
	s_load_b256 s[48:55], s[28:29], 0x0
	s_add_co_i32 s25, s25, 4
	s_wait_xcnt 0x0
	s_add_nc_u64 s[26:27], s[26:27], 48
	s_cmp_eq_u32 s24, s25
	s_add_nc_u64 s[28:29], s[28:29], 32
	s_wait_kmcnt 0x0
	v_mul_hi_u32 v4, s41, v1
	s_delay_alu instid0(VALU_DEP_1) | instskip(NEXT) | instid1(VALU_DEP_1)
	v_add_nc_u32_e32 v4, v1, v4
	v_lshrrev_b32_e32 v4, s42, v4
	s_delay_alu instid0(VALU_DEP_1) | instskip(NEXT) | instid1(VALU_DEP_1)
	v_mul_hi_u32 v5, s44, v4
	v_add_nc_u32_e32 v5, v4, v5
	s_delay_alu instid0(VALU_DEP_1) | instskip(NEXT) | instid1(VALU_DEP_1)
	v_lshrrev_b32_e32 v5, s45, v5
	v_mul_hi_u32 v6, s47, v5
	s_delay_alu instid0(VALU_DEP_1) | instskip(SKIP_1) | instid1(VALU_DEP_1)
	v_add_nc_u32_e32 v6, v5, v6
	v_mul_lo_u32 v7, v4, s40
	v_sub_nc_u32_e32 v1, v1, v7
	v_mul_lo_u32 v7, v5, s43
	s_delay_alu instid0(VALU_DEP_4) | instskip(NEXT) | instid1(VALU_DEP_3)
	v_lshrrev_b32_e32 v6, s56, v6
	v_mad_u32 v3, v1, s49, v3
	v_mad_u32 v1, v1, s48, v2
	s_delay_alu instid0(VALU_DEP_4) | instskip(NEXT) | instid1(VALU_DEP_4)
	v_sub_nc_u32_e32 v2, v4, v7
	v_mul_hi_u32 v8, s58, v6
	v_mul_lo_u32 v4, v6, s46
	s_delay_alu instid0(VALU_DEP_3) | instskip(SKIP_1) | instid1(VALU_DEP_4)
	v_mad_u32 v3, v2, s51, v3
	v_mad_u32 v2, v2, s50, v1
	v_add_nc_u32_e32 v7, v6, v8
	s_delay_alu instid0(VALU_DEP_1) | instskip(NEXT) | instid1(VALU_DEP_1)
	v_dual_sub_nc_u32 v4, v5, v4 :: v_dual_lshrrev_b32 v1, s59, v7
	v_mad_u32 v3, v4, s53, v3
	s_delay_alu instid0(VALU_DEP_4) | instskip(NEXT) | instid1(VALU_DEP_3)
	v_mad_u32 v2, v4, s52, v2
	v_mul_lo_u32 v5, v1, s57
	s_delay_alu instid0(VALU_DEP_1) | instskip(NEXT) | instid1(VALU_DEP_1)
	v_sub_nc_u32_e32 v4, v6, v5
	v_mad_u32 v3, v4, s55, v3
	s_delay_alu instid0(VALU_DEP_4)
	v_mad_u32 v2, v4, s54, v2
	s_cbranch_scc0 .LBB77_160
	s_branch .LBB77_180
.LBB77_161:
                                        ; implicit-def: $vgpr3
	s_branch .LBB77_184
.LBB77_162:
	v_dual_mov_b32 v3, 0 :: v_dual_mov_b32 v2, 0
	s_branch .LBB77_183
.LBB77_163:
	v_mov_b64_e32 v[2:3], 0
	v_mov_b32_e32 v1, v0
	s_mov_b32 s24, 0
.LBB77_164:
	s_and_b32 s16, s16, 3
	s_mov_b32 s25, 0
	s_cmp_eq_u32 s16, 0
	s_cbranch_scc1 .LBB77_167
; %bb.165:
	s_lshl_b32 s26, s24, 3
	s_mov_b32 s27, s25
	s_mul_u64 s[28:29], s[24:25], 12
	s_add_nc_u64 s[26:27], s[12:13], s[26:27]
	s_delay_alu instid0(SALU_CYCLE_1)
	s_add_nc_u64 s[24:25], s[26:27], 0xc4
	s_add_nc_u64 s[26:27], s[12:13], s[28:29]
.LBB77_166:                             ; =>This Inner Loop Header: Depth=1
	s_load_b96 s[40:42], s[26:27], 0x4
	s_load_b64 s[28:29], s[24:25], 0x0
	s_add_co_i32 s16, s16, -1
	s_wait_xcnt 0x0
	s_add_nc_u64 s[26:27], s[26:27], 12
	s_cmp_lg_u32 s16, 0
	s_add_nc_u64 s[24:25], s[24:25], 8
	s_wait_kmcnt 0x0
	v_mul_hi_u32 v4, s41, v1
	s_delay_alu instid0(VALU_DEP_1) | instskip(NEXT) | instid1(VALU_DEP_1)
	v_add_nc_u32_e32 v4, v1, v4
	v_lshrrev_b32_e32 v4, s42, v4
	s_delay_alu instid0(VALU_DEP_1) | instskip(NEXT) | instid1(VALU_DEP_1)
	v_mul_lo_u32 v5, v4, s40
	v_sub_nc_u32_e32 v1, v1, v5
	s_delay_alu instid0(VALU_DEP_1)
	v_mad_u32 v3, v1, s29, v3
	v_mad_u32 v2, v1, s28, v2
	v_mov_b32_e32 v1, v4
	s_cbranch_scc1 .LBB77_166
.LBB77_167:
	s_cbranch_execnz .LBB77_170
.LBB77_168:
	v_mov_b32_e32 v1, 0
	s_and_not1_b32 vcc_lo, exec_lo, s35
	s_delay_alu instid0(VALU_DEP_1) | instskip(NEXT) | instid1(VALU_DEP_1)
	v_mul_u64_e32 v[2:3], s[18:19], v[0:1]
	v_add_nc_u32_e32 v2, v0, v3
	s_delay_alu instid0(VALU_DEP_1) | instskip(NEXT) | instid1(VALU_DEP_1)
	v_lshrrev_b32_e32 v4, s6, v2
	v_mul_lo_u32 v2, v4, s4
	s_delay_alu instid0(VALU_DEP_1) | instskip(NEXT) | instid1(VALU_DEP_1)
	v_sub_nc_u32_e32 v2, v0, v2
	v_mul_lo_u32 v3, v2, s9
	v_mul_lo_u32 v2, v2, s8
	s_cbranch_vccnz .LBB77_170
; %bb.169:
	v_mov_b32_e32 v5, v1
	s_delay_alu instid0(VALU_DEP_1) | instskip(NEXT) | instid1(VALU_DEP_1)
	v_mul_u64_e32 v[6:7], s[20:21], v[4:5]
	v_add_nc_u32_e32 v1, v4, v7
	s_delay_alu instid0(VALU_DEP_1) | instskip(NEXT) | instid1(VALU_DEP_1)
	v_lshrrev_b32_e32 v1, s17, v1
	v_mul_lo_u32 v1, v1, s7
	s_delay_alu instid0(VALU_DEP_1) | instskip(NEXT) | instid1(VALU_DEP_1)
	v_sub_nc_u32_e32 v1, v4, v1
	v_mad_u32 v2, v1, s10, v2
	v_mad_u32 v3, v1, s11, v3
.LBB77_170:
	global_load_u16 v1, v3, s[2:3]
	v_add_nc_u32_e32 v0, 0x80, v0
	s_wait_loadcnt 0x0
	v_cmp_ne_u16_e32 vcc_lo, s15, v1
	s_xor_b32 s16, s5, vcc_lo
	s_delay_alu instid0(SALU_CYCLE_1) | instskip(SKIP_3) | instid1(SALU_CYCLE_1)
	v_cndmask_b32_e64 v1, 0, 1, s16
	global_store_b8 v2, v1, s[0:1]
	s_wait_xcnt 0x0
	s_or_b32 exec_lo, exec_lo, s14
	s_mov_b32 s14, exec_lo
	v_cmpx_gt_i32_e64 s36, v0
	s_cbranch_execnz .LBB77_156
.LBB77_171:
	s_or_b32 exec_lo, exec_lo, s14
	s_delay_alu instid0(SALU_CYCLE_1)
	s_mov_b32 s14, exec_lo
	v_cmpx_gt_i32_e64 s36, v0
	s_cbranch_execz .LBB77_187
.LBB77_172:
	s_and_not1_b32 vcc_lo, exec_lo, s33
	s_cbranch_vccnz .LBB77_177
; %bb.173:
	s_and_not1_b32 vcc_lo, exec_lo, s38
	s_cbranch_vccnz .LBB77_178
; %bb.174:
	s_add_co_i32 s16, s37, 1
	s_cmp_eq_u32 s31, 2
	s_cbranch_scc1 .LBB77_195
; %bb.175:
	v_dual_mov_b32 v2, 0 :: v_dual_mov_b32 v3, 0
	v_mov_b32_e32 v1, v0
	s_and_b32 s24, s16, 28
	s_mov_b32 s25, 0
	s_mov_b64 s[26:27], s[12:13]
	s_mov_b64 s[28:29], s[22:23]
.LBB77_176:                             ; =>This Inner Loop Header: Depth=1
	s_clause 0x1
	s_load_b256 s[40:47], s[26:27], 0x4
	s_load_b128 s[56:59], s[26:27], 0x24
	s_load_b256 s[48:55], s[28:29], 0x0
	s_add_co_i32 s25, s25, 4
	s_wait_xcnt 0x0
	s_add_nc_u64 s[26:27], s[26:27], 48
	s_cmp_eq_u32 s24, s25
	s_add_nc_u64 s[28:29], s[28:29], 32
	s_wait_kmcnt 0x0
	v_mul_hi_u32 v4, s41, v1
	s_delay_alu instid0(VALU_DEP_1) | instskip(NEXT) | instid1(VALU_DEP_1)
	v_add_nc_u32_e32 v4, v1, v4
	v_lshrrev_b32_e32 v4, s42, v4
	s_delay_alu instid0(VALU_DEP_1) | instskip(NEXT) | instid1(VALU_DEP_1)
	v_mul_hi_u32 v5, s44, v4
	v_add_nc_u32_e32 v5, v4, v5
	s_delay_alu instid0(VALU_DEP_1) | instskip(NEXT) | instid1(VALU_DEP_1)
	v_lshrrev_b32_e32 v5, s45, v5
	v_mul_hi_u32 v6, s47, v5
	s_delay_alu instid0(VALU_DEP_1) | instskip(SKIP_1) | instid1(VALU_DEP_1)
	v_add_nc_u32_e32 v6, v5, v6
	v_mul_lo_u32 v7, v4, s40
	v_sub_nc_u32_e32 v1, v1, v7
	v_mul_lo_u32 v7, v5, s43
	s_delay_alu instid0(VALU_DEP_4) | instskip(NEXT) | instid1(VALU_DEP_3)
	v_lshrrev_b32_e32 v6, s56, v6
	v_mad_u32 v3, v1, s49, v3
	v_mad_u32 v1, v1, s48, v2
	s_delay_alu instid0(VALU_DEP_4) | instskip(NEXT) | instid1(VALU_DEP_4)
	v_sub_nc_u32_e32 v2, v4, v7
	v_mul_hi_u32 v8, s58, v6
	v_mul_lo_u32 v4, v6, s46
	s_delay_alu instid0(VALU_DEP_3) | instskip(SKIP_1) | instid1(VALU_DEP_4)
	v_mad_u32 v3, v2, s51, v3
	v_mad_u32 v2, v2, s50, v1
	v_add_nc_u32_e32 v7, v6, v8
	s_delay_alu instid0(VALU_DEP_1) | instskip(NEXT) | instid1(VALU_DEP_1)
	v_dual_sub_nc_u32 v4, v5, v4 :: v_dual_lshrrev_b32 v1, s59, v7
	v_mad_u32 v3, v4, s53, v3
	s_delay_alu instid0(VALU_DEP_4) | instskip(NEXT) | instid1(VALU_DEP_3)
	v_mad_u32 v2, v4, s52, v2
	v_mul_lo_u32 v5, v1, s57
	s_delay_alu instid0(VALU_DEP_1) | instskip(NEXT) | instid1(VALU_DEP_1)
	v_sub_nc_u32_e32 v4, v6, v5
	v_mad_u32 v3, v4, s55, v3
	s_delay_alu instid0(VALU_DEP_4)
	v_mad_u32 v2, v4, s54, v2
	s_cbranch_scc0 .LBB77_176
	s_branch .LBB77_196
.LBB77_177:
                                        ; implicit-def: $vgpr3
	s_branch .LBB77_200
.LBB77_178:
	v_dual_mov_b32 v3, 0 :: v_dual_mov_b32 v2, 0
	s_branch .LBB77_199
.LBB77_179:
	v_mov_b64_e32 v[2:3], 0
	v_mov_b32_e32 v1, v0
	s_mov_b32 s24, 0
.LBB77_180:
	s_and_b32 s16, s16, 3
	s_mov_b32 s25, 0
	s_cmp_eq_u32 s16, 0
	s_cbranch_scc1 .LBB77_183
; %bb.181:
	s_lshl_b32 s26, s24, 3
	s_mov_b32 s27, s25
	s_mul_u64 s[28:29], s[24:25], 12
	s_add_nc_u64 s[26:27], s[12:13], s[26:27]
	s_delay_alu instid0(SALU_CYCLE_1)
	s_add_nc_u64 s[24:25], s[26:27], 0xc4
	s_add_nc_u64 s[26:27], s[12:13], s[28:29]
.LBB77_182:                             ; =>This Inner Loop Header: Depth=1
	s_load_b96 s[40:42], s[26:27], 0x4
	s_load_b64 s[28:29], s[24:25], 0x0
	s_add_co_i32 s16, s16, -1
	s_wait_xcnt 0x0
	s_add_nc_u64 s[26:27], s[26:27], 12
	s_cmp_lg_u32 s16, 0
	s_add_nc_u64 s[24:25], s[24:25], 8
	s_wait_kmcnt 0x0
	v_mul_hi_u32 v4, s41, v1
	s_delay_alu instid0(VALU_DEP_1) | instskip(NEXT) | instid1(VALU_DEP_1)
	v_add_nc_u32_e32 v4, v1, v4
	v_lshrrev_b32_e32 v4, s42, v4
	s_delay_alu instid0(VALU_DEP_1) | instskip(NEXT) | instid1(VALU_DEP_1)
	v_mul_lo_u32 v5, v4, s40
	v_sub_nc_u32_e32 v1, v1, v5
	s_delay_alu instid0(VALU_DEP_1)
	v_mad_u32 v3, v1, s29, v3
	v_mad_u32 v2, v1, s28, v2
	v_mov_b32_e32 v1, v4
	s_cbranch_scc1 .LBB77_182
.LBB77_183:
	s_cbranch_execnz .LBB77_186
.LBB77_184:
	v_mov_b32_e32 v1, 0
	s_and_not1_b32 vcc_lo, exec_lo, s35
	s_delay_alu instid0(VALU_DEP_1) | instskip(NEXT) | instid1(VALU_DEP_1)
	v_mul_u64_e32 v[2:3], s[18:19], v[0:1]
	v_add_nc_u32_e32 v2, v0, v3
	s_delay_alu instid0(VALU_DEP_1) | instskip(NEXT) | instid1(VALU_DEP_1)
	v_lshrrev_b32_e32 v4, s6, v2
	v_mul_lo_u32 v2, v4, s4
	s_delay_alu instid0(VALU_DEP_1) | instskip(NEXT) | instid1(VALU_DEP_1)
	v_sub_nc_u32_e32 v2, v0, v2
	v_mul_lo_u32 v3, v2, s9
	v_mul_lo_u32 v2, v2, s8
	s_cbranch_vccnz .LBB77_186
; %bb.185:
	v_mov_b32_e32 v5, v1
	s_delay_alu instid0(VALU_DEP_1) | instskip(NEXT) | instid1(VALU_DEP_1)
	v_mul_u64_e32 v[6:7], s[20:21], v[4:5]
	v_add_nc_u32_e32 v1, v4, v7
	s_delay_alu instid0(VALU_DEP_1) | instskip(NEXT) | instid1(VALU_DEP_1)
	v_lshrrev_b32_e32 v1, s17, v1
	v_mul_lo_u32 v1, v1, s7
	s_delay_alu instid0(VALU_DEP_1) | instskip(NEXT) | instid1(VALU_DEP_1)
	v_sub_nc_u32_e32 v1, v4, v1
	v_mad_u32 v2, v1, s10, v2
	v_mad_u32 v3, v1, s11, v3
.LBB77_186:
	global_load_u16 v1, v3, s[2:3]
	v_add_nc_u32_e32 v0, 0x80, v0
	s_wait_loadcnt 0x0
	v_cmp_ne_u16_e32 vcc_lo, s15, v1
	s_xor_b32 s16, s5, vcc_lo
	s_delay_alu instid0(SALU_CYCLE_1) | instskip(SKIP_3) | instid1(SALU_CYCLE_1)
	v_cndmask_b32_e64 v1, 0, 1, s16
	global_store_b8 v2, v1, s[0:1]
	s_wait_xcnt 0x0
	s_or_b32 exec_lo, exec_lo, s14
	s_mov_b32 s14, exec_lo
	v_cmpx_gt_i32_e64 s36, v0
	s_cbranch_execnz .LBB77_172
.LBB77_187:
	s_or_b32 exec_lo, exec_lo, s14
	s_delay_alu instid0(SALU_CYCLE_1)
	s_mov_b32 s14, exec_lo
	v_cmpx_gt_i32_e64 s36, v0
	s_cbranch_execz .LBB77_203
.LBB77_188:
	s_and_not1_b32 vcc_lo, exec_lo, s33
	s_cbranch_vccnz .LBB77_193
; %bb.189:
	s_and_not1_b32 vcc_lo, exec_lo, s38
	s_cbranch_vccnz .LBB77_194
; %bb.190:
	s_add_co_i32 s16, s37, 1
	s_cmp_eq_u32 s31, 2
	s_cbranch_scc1 .LBB77_211
; %bb.191:
	v_dual_mov_b32 v2, 0 :: v_dual_mov_b32 v3, 0
	v_mov_b32_e32 v1, v0
	s_and_b32 s24, s16, 28
	s_mov_b32 s25, 0
	s_mov_b64 s[26:27], s[12:13]
	s_mov_b64 s[28:29], s[22:23]
.LBB77_192:                             ; =>This Inner Loop Header: Depth=1
	s_clause 0x1
	s_load_b256 s[40:47], s[26:27], 0x4
	s_load_b128 s[56:59], s[26:27], 0x24
	s_load_b256 s[48:55], s[28:29], 0x0
	s_add_co_i32 s25, s25, 4
	s_wait_xcnt 0x0
	s_add_nc_u64 s[26:27], s[26:27], 48
	s_cmp_eq_u32 s24, s25
	s_add_nc_u64 s[28:29], s[28:29], 32
	s_wait_kmcnt 0x0
	v_mul_hi_u32 v4, s41, v1
	s_delay_alu instid0(VALU_DEP_1) | instskip(NEXT) | instid1(VALU_DEP_1)
	v_add_nc_u32_e32 v4, v1, v4
	v_lshrrev_b32_e32 v4, s42, v4
	s_delay_alu instid0(VALU_DEP_1) | instskip(NEXT) | instid1(VALU_DEP_1)
	v_mul_hi_u32 v5, s44, v4
	v_add_nc_u32_e32 v5, v4, v5
	s_delay_alu instid0(VALU_DEP_1) | instskip(NEXT) | instid1(VALU_DEP_1)
	v_lshrrev_b32_e32 v5, s45, v5
	v_mul_hi_u32 v6, s47, v5
	s_delay_alu instid0(VALU_DEP_1) | instskip(SKIP_1) | instid1(VALU_DEP_1)
	v_add_nc_u32_e32 v6, v5, v6
	v_mul_lo_u32 v7, v4, s40
	v_sub_nc_u32_e32 v1, v1, v7
	v_mul_lo_u32 v7, v5, s43
	s_delay_alu instid0(VALU_DEP_4) | instskip(NEXT) | instid1(VALU_DEP_3)
	v_lshrrev_b32_e32 v6, s56, v6
	v_mad_u32 v3, v1, s49, v3
	v_mad_u32 v1, v1, s48, v2
	s_delay_alu instid0(VALU_DEP_4) | instskip(NEXT) | instid1(VALU_DEP_4)
	v_sub_nc_u32_e32 v2, v4, v7
	v_mul_hi_u32 v8, s58, v6
	v_mul_lo_u32 v4, v6, s46
	s_delay_alu instid0(VALU_DEP_3) | instskip(SKIP_1) | instid1(VALU_DEP_4)
	v_mad_u32 v3, v2, s51, v3
	v_mad_u32 v2, v2, s50, v1
	v_add_nc_u32_e32 v7, v6, v8
	s_delay_alu instid0(VALU_DEP_1) | instskip(NEXT) | instid1(VALU_DEP_1)
	v_dual_sub_nc_u32 v4, v5, v4 :: v_dual_lshrrev_b32 v1, s59, v7
	v_mad_u32 v3, v4, s53, v3
	s_delay_alu instid0(VALU_DEP_4) | instskip(NEXT) | instid1(VALU_DEP_3)
	v_mad_u32 v2, v4, s52, v2
	v_mul_lo_u32 v5, v1, s57
	s_delay_alu instid0(VALU_DEP_1) | instskip(NEXT) | instid1(VALU_DEP_1)
	v_sub_nc_u32_e32 v4, v6, v5
	v_mad_u32 v3, v4, s55, v3
	s_delay_alu instid0(VALU_DEP_4)
	v_mad_u32 v2, v4, s54, v2
	s_cbranch_scc0 .LBB77_192
	s_branch .LBB77_212
.LBB77_193:
                                        ; implicit-def: $vgpr3
	s_branch .LBB77_216
.LBB77_194:
	v_dual_mov_b32 v3, 0 :: v_dual_mov_b32 v2, 0
	s_branch .LBB77_215
.LBB77_195:
	v_mov_b64_e32 v[2:3], 0
	v_mov_b32_e32 v1, v0
	s_mov_b32 s24, 0
.LBB77_196:
	s_and_b32 s16, s16, 3
	s_mov_b32 s25, 0
	s_cmp_eq_u32 s16, 0
	s_cbranch_scc1 .LBB77_199
; %bb.197:
	s_lshl_b32 s26, s24, 3
	s_mov_b32 s27, s25
	s_mul_u64 s[28:29], s[24:25], 12
	s_add_nc_u64 s[26:27], s[12:13], s[26:27]
	s_delay_alu instid0(SALU_CYCLE_1)
	s_add_nc_u64 s[24:25], s[26:27], 0xc4
	s_add_nc_u64 s[26:27], s[12:13], s[28:29]
.LBB77_198:                             ; =>This Inner Loop Header: Depth=1
	s_load_b96 s[40:42], s[26:27], 0x4
	s_load_b64 s[28:29], s[24:25], 0x0
	s_add_co_i32 s16, s16, -1
	s_wait_xcnt 0x0
	s_add_nc_u64 s[26:27], s[26:27], 12
	s_cmp_lg_u32 s16, 0
	s_add_nc_u64 s[24:25], s[24:25], 8
	s_wait_kmcnt 0x0
	v_mul_hi_u32 v4, s41, v1
	s_delay_alu instid0(VALU_DEP_1) | instskip(NEXT) | instid1(VALU_DEP_1)
	v_add_nc_u32_e32 v4, v1, v4
	v_lshrrev_b32_e32 v4, s42, v4
	s_delay_alu instid0(VALU_DEP_1) | instskip(NEXT) | instid1(VALU_DEP_1)
	v_mul_lo_u32 v5, v4, s40
	v_sub_nc_u32_e32 v1, v1, v5
	s_delay_alu instid0(VALU_DEP_1)
	v_mad_u32 v3, v1, s29, v3
	v_mad_u32 v2, v1, s28, v2
	v_mov_b32_e32 v1, v4
	s_cbranch_scc1 .LBB77_198
.LBB77_199:
	s_cbranch_execnz .LBB77_202
.LBB77_200:
	v_mov_b32_e32 v1, 0
	s_and_not1_b32 vcc_lo, exec_lo, s35
	s_delay_alu instid0(VALU_DEP_1) | instskip(NEXT) | instid1(VALU_DEP_1)
	v_mul_u64_e32 v[2:3], s[18:19], v[0:1]
	v_add_nc_u32_e32 v2, v0, v3
	s_delay_alu instid0(VALU_DEP_1) | instskip(NEXT) | instid1(VALU_DEP_1)
	v_lshrrev_b32_e32 v4, s6, v2
	v_mul_lo_u32 v2, v4, s4
	s_delay_alu instid0(VALU_DEP_1) | instskip(NEXT) | instid1(VALU_DEP_1)
	v_sub_nc_u32_e32 v2, v0, v2
	v_mul_lo_u32 v3, v2, s9
	v_mul_lo_u32 v2, v2, s8
	s_cbranch_vccnz .LBB77_202
; %bb.201:
	v_mov_b32_e32 v5, v1
	s_delay_alu instid0(VALU_DEP_1) | instskip(NEXT) | instid1(VALU_DEP_1)
	v_mul_u64_e32 v[6:7], s[20:21], v[4:5]
	v_add_nc_u32_e32 v1, v4, v7
	s_delay_alu instid0(VALU_DEP_1) | instskip(NEXT) | instid1(VALU_DEP_1)
	v_lshrrev_b32_e32 v1, s17, v1
	v_mul_lo_u32 v1, v1, s7
	s_delay_alu instid0(VALU_DEP_1) | instskip(NEXT) | instid1(VALU_DEP_1)
	v_sub_nc_u32_e32 v1, v4, v1
	v_mad_u32 v2, v1, s10, v2
	v_mad_u32 v3, v1, s11, v3
.LBB77_202:
	global_load_u16 v1, v3, s[2:3]
	v_add_nc_u32_e32 v0, 0x80, v0
	s_wait_loadcnt 0x0
	v_cmp_ne_u16_e32 vcc_lo, s15, v1
	s_xor_b32 s16, s5, vcc_lo
	s_delay_alu instid0(SALU_CYCLE_1) | instskip(SKIP_3) | instid1(SALU_CYCLE_1)
	v_cndmask_b32_e64 v1, 0, 1, s16
	global_store_b8 v2, v1, s[0:1]
	s_wait_xcnt 0x0
	s_or_b32 exec_lo, exec_lo, s14
	s_mov_b32 s14, exec_lo
	v_cmpx_gt_i32_e64 s36, v0
	s_cbranch_execnz .LBB77_188
.LBB77_203:
	s_or_b32 exec_lo, exec_lo, s14
	s_delay_alu instid0(SALU_CYCLE_1)
	s_mov_b32 s14, exec_lo
	v_cmpx_gt_i32_e64 s36, v0
	s_cbranch_execz .LBB77_219
.LBB77_204:
	s_and_not1_b32 vcc_lo, exec_lo, s33
	s_cbranch_vccnz .LBB77_209
; %bb.205:
	s_and_not1_b32 vcc_lo, exec_lo, s38
	s_cbranch_vccnz .LBB77_210
; %bb.206:
	s_add_co_i32 s16, s37, 1
	s_cmp_eq_u32 s31, 2
	s_cbranch_scc1 .LBB77_222
; %bb.207:
	v_dual_mov_b32 v2, 0 :: v_dual_mov_b32 v3, 0
	v_mov_b32_e32 v1, v0
	s_and_b32 s24, s16, 28
	s_mov_b32 s25, 0
	s_mov_b64 s[26:27], s[12:13]
	s_mov_b64 s[28:29], s[22:23]
.LBB77_208:                             ; =>This Inner Loop Header: Depth=1
	s_clause 0x1
	s_load_b256 s[40:47], s[26:27], 0x4
	s_load_b128 s[56:59], s[26:27], 0x24
	s_load_b256 s[48:55], s[28:29], 0x0
	s_add_co_i32 s25, s25, 4
	s_wait_xcnt 0x0
	s_add_nc_u64 s[26:27], s[26:27], 48
	s_cmp_eq_u32 s24, s25
	s_add_nc_u64 s[28:29], s[28:29], 32
	s_wait_kmcnt 0x0
	v_mul_hi_u32 v4, s41, v1
	s_delay_alu instid0(VALU_DEP_1) | instskip(NEXT) | instid1(VALU_DEP_1)
	v_add_nc_u32_e32 v4, v1, v4
	v_lshrrev_b32_e32 v4, s42, v4
	s_delay_alu instid0(VALU_DEP_1) | instskip(NEXT) | instid1(VALU_DEP_1)
	v_mul_hi_u32 v5, s44, v4
	v_add_nc_u32_e32 v5, v4, v5
	s_delay_alu instid0(VALU_DEP_1) | instskip(NEXT) | instid1(VALU_DEP_1)
	v_lshrrev_b32_e32 v5, s45, v5
	v_mul_hi_u32 v6, s47, v5
	s_delay_alu instid0(VALU_DEP_1) | instskip(SKIP_1) | instid1(VALU_DEP_1)
	v_add_nc_u32_e32 v6, v5, v6
	v_mul_lo_u32 v7, v4, s40
	v_sub_nc_u32_e32 v1, v1, v7
	v_mul_lo_u32 v7, v5, s43
	s_delay_alu instid0(VALU_DEP_4) | instskip(NEXT) | instid1(VALU_DEP_3)
	v_lshrrev_b32_e32 v6, s56, v6
	v_mad_u32 v3, v1, s49, v3
	v_mad_u32 v1, v1, s48, v2
	s_delay_alu instid0(VALU_DEP_4) | instskip(NEXT) | instid1(VALU_DEP_4)
	v_sub_nc_u32_e32 v2, v4, v7
	v_mul_hi_u32 v8, s58, v6
	v_mul_lo_u32 v4, v6, s46
	s_delay_alu instid0(VALU_DEP_3) | instskip(SKIP_1) | instid1(VALU_DEP_4)
	v_mad_u32 v3, v2, s51, v3
	v_mad_u32 v2, v2, s50, v1
	v_add_nc_u32_e32 v7, v6, v8
	s_delay_alu instid0(VALU_DEP_1) | instskip(NEXT) | instid1(VALU_DEP_1)
	v_dual_sub_nc_u32 v4, v5, v4 :: v_dual_lshrrev_b32 v1, s59, v7
	v_mad_u32 v3, v4, s53, v3
	s_delay_alu instid0(VALU_DEP_4) | instskip(NEXT) | instid1(VALU_DEP_3)
	v_mad_u32 v2, v4, s52, v2
	v_mul_lo_u32 v5, v1, s57
	s_delay_alu instid0(VALU_DEP_1) | instskip(NEXT) | instid1(VALU_DEP_1)
	v_sub_nc_u32_e32 v4, v6, v5
	v_mad_u32 v3, v4, s55, v3
	s_delay_alu instid0(VALU_DEP_4)
	v_mad_u32 v2, v4, s54, v2
	s_cbranch_scc0 .LBB77_208
	s_branch .LBB77_223
.LBB77_209:
                                        ; implicit-def: $vgpr3
	s_branch .LBB77_227
.LBB77_210:
	v_dual_mov_b32 v3, 0 :: v_dual_mov_b32 v2, 0
	s_branch .LBB77_226
.LBB77_211:
	v_mov_b64_e32 v[2:3], 0
	v_mov_b32_e32 v1, v0
	s_mov_b32 s24, 0
.LBB77_212:
	s_and_b32 s16, s16, 3
	s_mov_b32 s25, 0
	s_cmp_eq_u32 s16, 0
	s_cbranch_scc1 .LBB77_215
; %bb.213:
	s_lshl_b32 s26, s24, 3
	s_mov_b32 s27, s25
	s_mul_u64 s[28:29], s[24:25], 12
	s_add_nc_u64 s[26:27], s[12:13], s[26:27]
	s_delay_alu instid0(SALU_CYCLE_1)
	s_add_nc_u64 s[24:25], s[26:27], 0xc4
	s_add_nc_u64 s[26:27], s[12:13], s[28:29]
.LBB77_214:                             ; =>This Inner Loop Header: Depth=1
	s_load_b96 s[40:42], s[26:27], 0x4
	s_load_b64 s[28:29], s[24:25], 0x0
	s_add_co_i32 s16, s16, -1
	s_wait_xcnt 0x0
	s_add_nc_u64 s[26:27], s[26:27], 12
	s_cmp_lg_u32 s16, 0
	s_add_nc_u64 s[24:25], s[24:25], 8
	s_wait_kmcnt 0x0
	v_mul_hi_u32 v4, s41, v1
	s_delay_alu instid0(VALU_DEP_1) | instskip(NEXT) | instid1(VALU_DEP_1)
	v_add_nc_u32_e32 v4, v1, v4
	v_lshrrev_b32_e32 v4, s42, v4
	s_delay_alu instid0(VALU_DEP_1) | instskip(NEXT) | instid1(VALU_DEP_1)
	v_mul_lo_u32 v5, v4, s40
	v_sub_nc_u32_e32 v1, v1, v5
	s_delay_alu instid0(VALU_DEP_1)
	v_mad_u32 v3, v1, s29, v3
	v_mad_u32 v2, v1, s28, v2
	v_mov_b32_e32 v1, v4
	s_cbranch_scc1 .LBB77_214
.LBB77_215:
	s_cbranch_execnz .LBB77_218
.LBB77_216:
	v_mov_b32_e32 v1, 0
	s_and_not1_b32 vcc_lo, exec_lo, s35
	s_delay_alu instid0(VALU_DEP_1) | instskip(NEXT) | instid1(VALU_DEP_1)
	v_mul_u64_e32 v[2:3], s[18:19], v[0:1]
	v_add_nc_u32_e32 v2, v0, v3
	s_delay_alu instid0(VALU_DEP_1) | instskip(NEXT) | instid1(VALU_DEP_1)
	v_lshrrev_b32_e32 v4, s6, v2
	v_mul_lo_u32 v2, v4, s4
	s_delay_alu instid0(VALU_DEP_1) | instskip(NEXT) | instid1(VALU_DEP_1)
	v_sub_nc_u32_e32 v2, v0, v2
	v_mul_lo_u32 v3, v2, s9
	v_mul_lo_u32 v2, v2, s8
	s_cbranch_vccnz .LBB77_218
; %bb.217:
	v_mov_b32_e32 v5, v1
	s_delay_alu instid0(VALU_DEP_1) | instskip(NEXT) | instid1(VALU_DEP_1)
	v_mul_u64_e32 v[6:7], s[20:21], v[4:5]
	v_add_nc_u32_e32 v1, v4, v7
	s_delay_alu instid0(VALU_DEP_1) | instskip(NEXT) | instid1(VALU_DEP_1)
	v_lshrrev_b32_e32 v1, s17, v1
	v_mul_lo_u32 v1, v1, s7
	s_delay_alu instid0(VALU_DEP_1) | instskip(NEXT) | instid1(VALU_DEP_1)
	v_sub_nc_u32_e32 v1, v4, v1
	v_mad_u32 v2, v1, s10, v2
	v_mad_u32 v3, v1, s11, v3
.LBB77_218:
	global_load_u16 v1, v3, s[2:3]
	v_add_nc_u32_e32 v0, 0x80, v0
	s_wait_loadcnt 0x0
	v_cmp_ne_u16_e32 vcc_lo, s15, v1
	s_xor_b32 s16, s5, vcc_lo
	s_delay_alu instid0(SALU_CYCLE_1) | instskip(SKIP_3) | instid1(SALU_CYCLE_1)
	v_cndmask_b32_e64 v1, 0, 1, s16
	global_store_b8 v2, v1, s[0:1]
	s_wait_xcnt 0x0
	s_or_b32 exec_lo, exec_lo, s14
	s_mov_b32 s14, exec_lo
	v_cmpx_gt_i32_e64 s36, v0
	s_cbranch_execnz .LBB77_204
.LBB77_219:
	s_or_b32 exec_lo, exec_lo, s14
	s_delay_alu instid0(SALU_CYCLE_1)
	s_mov_b32 s14, exec_lo
	v_cmpx_gt_i32_e64 s36, v0
	s_cbranch_execnz .LBB77_230
.LBB77_220:
	s_or_b32 exec_lo, exec_lo, s14
                                        ; implicit-def: $vgpr16
                                        ; implicit-def: $vgpr0
	s_and_not1_saveexec_b32 s0, s34
	s_cbranch_execnz .LBB77_8
.LBB77_221:
	s_endpgm
.LBB77_222:
	v_mov_b64_e32 v[2:3], 0
	v_mov_b32_e32 v1, v0
	s_mov_b32 s24, 0
.LBB77_223:
	s_and_b32 s16, s16, 3
	s_mov_b32 s25, 0
	s_cmp_eq_u32 s16, 0
	s_cbranch_scc1 .LBB77_226
; %bb.224:
	s_lshl_b32 s26, s24, 3
	s_mov_b32 s27, s25
	s_mul_u64 s[28:29], s[24:25], 12
	s_add_nc_u64 s[26:27], s[12:13], s[26:27]
	s_delay_alu instid0(SALU_CYCLE_1)
	s_add_nc_u64 s[24:25], s[26:27], 0xc4
	s_add_nc_u64 s[26:27], s[12:13], s[28:29]
.LBB77_225:                             ; =>This Inner Loop Header: Depth=1
	s_load_b96 s[40:42], s[26:27], 0x4
	s_load_b64 s[28:29], s[24:25], 0x0
	s_add_co_i32 s16, s16, -1
	s_wait_xcnt 0x0
	s_add_nc_u64 s[26:27], s[26:27], 12
	s_cmp_lg_u32 s16, 0
	s_add_nc_u64 s[24:25], s[24:25], 8
	s_wait_kmcnt 0x0
	v_mul_hi_u32 v4, s41, v1
	s_delay_alu instid0(VALU_DEP_1) | instskip(NEXT) | instid1(VALU_DEP_1)
	v_add_nc_u32_e32 v4, v1, v4
	v_lshrrev_b32_e32 v4, s42, v4
	s_delay_alu instid0(VALU_DEP_1) | instskip(NEXT) | instid1(VALU_DEP_1)
	v_mul_lo_u32 v5, v4, s40
	v_sub_nc_u32_e32 v1, v1, v5
	s_delay_alu instid0(VALU_DEP_1)
	v_mad_u32 v3, v1, s29, v3
	v_mad_u32 v2, v1, s28, v2
	v_mov_b32_e32 v1, v4
	s_cbranch_scc1 .LBB77_225
.LBB77_226:
	s_cbranch_execnz .LBB77_229
.LBB77_227:
	v_mov_b32_e32 v1, 0
	s_and_not1_b32 vcc_lo, exec_lo, s35
	s_delay_alu instid0(VALU_DEP_1) | instskip(NEXT) | instid1(VALU_DEP_1)
	v_mul_u64_e32 v[2:3], s[18:19], v[0:1]
	v_add_nc_u32_e32 v2, v0, v3
	s_delay_alu instid0(VALU_DEP_1) | instskip(NEXT) | instid1(VALU_DEP_1)
	v_lshrrev_b32_e32 v4, s6, v2
	v_mul_lo_u32 v2, v4, s4
	s_delay_alu instid0(VALU_DEP_1) | instskip(NEXT) | instid1(VALU_DEP_1)
	v_sub_nc_u32_e32 v2, v0, v2
	v_mul_lo_u32 v3, v2, s9
	v_mul_lo_u32 v2, v2, s8
	s_cbranch_vccnz .LBB77_229
; %bb.228:
	v_mov_b32_e32 v5, v1
	s_delay_alu instid0(VALU_DEP_1) | instskip(NEXT) | instid1(VALU_DEP_1)
	v_mul_u64_e32 v[6:7], s[20:21], v[4:5]
	v_add_nc_u32_e32 v1, v4, v7
	s_delay_alu instid0(VALU_DEP_1) | instskip(NEXT) | instid1(VALU_DEP_1)
	v_lshrrev_b32_e32 v1, s17, v1
	v_mul_lo_u32 v1, v1, s7
	s_delay_alu instid0(VALU_DEP_1) | instskip(NEXT) | instid1(VALU_DEP_1)
	v_sub_nc_u32_e32 v1, v4, v1
	v_mad_u32 v2, v1, s10, v2
	v_mad_u32 v3, v1, s11, v3
.LBB77_229:
	global_load_u16 v1, v3, s[2:3]
	v_add_nc_u32_e32 v0, 0x80, v0
	s_wait_loadcnt 0x0
	v_cmp_ne_u16_e32 vcc_lo, s15, v1
	s_xor_b32 s16, s5, vcc_lo
	s_delay_alu instid0(SALU_CYCLE_1) | instskip(SKIP_3) | instid1(SALU_CYCLE_1)
	v_cndmask_b32_e64 v1, 0, 1, s16
	global_store_b8 v2, v1, s[0:1]
	s_wait_xcnt 0x0
	s_or_b32 exec_lo, exec_lo, s14
	s_mov_b32 s14, exec_lo
	v_cmpx_gt_i32_e64 s36, v0
	s_cbranch_execz .LBB77_220
.LBB77_230:
	s_and_not1_b32 vcc_lo, exec_lo, s33
	s_cbranch_vccnz .LBB77_235
; %bb.231:
	s_and_not1_b32 vcc_lo, exec_lo, s38
	s_cbranch_vccnz .LBB77_236
; %bb.232:
	s_add_co_i32 s37, s37, 1
	s_cmp_eq_u32 s31, 2
	s_cbranch_scc1 .LBB77_237
; %bb.233:
	v_dual_mov_b32 v2, 0 :: v_dual_mov_b32 v3, 0
	v_mov_b32_e32 v1, v0
	s_and_b32 s24, s37, 28
	s_mov_b32 s16, 0
	s_mov_b64 s[26:27], s[12:13]
.LBB77_234:                             ; =>This Inner Loop Header: Depth=1
	s_clause 0x1
	s_load_b256 s[40:47], s[26:27], 0x4
	s_load_b128 s[56:59], s[26:27], 0x24
	s_load_b256 s[48:55], s[22:23], 0x0
	s_add_co_i32 s16, s16, 4
	s_wait_xcnt 0x0
	s_add_nc_u64 s[26:27], s[26:27], 48
	s_cmp_eq_u32 s24, s16
	s_add_nc_u64 s[22:23], s[22:23], 32
	s_wait_kmcnt 0x0
	v_mul_hi_u32 v4, s41, v1
	s_delay_alu instid0(VALU_DEP_1) | instskip(NEXT) | instid1(VALU_DEP_1)
	v_add_nc_u32_e32 v4, v1, v4
	v_lshrrev_b32_e32 v4, s42, v4
	s_delay_alu instid0(VALU_DEP_1) | instskip(NEXT) | instid1(VALU_DEP_1)
	v_mul_hi_u32 v5, s44, v4
	v_add_nc_u32_e32 v5, v4, v5
	s_delay_alu instid0(VALU_DEP_1) | instskip(NEXT) | instid1(VALU_DEP_1)
	v_lshrrev_b32_e32 v5, s45, v5
	v_mul_hi_u32 v6, s47, v5
	s_delay_alu instid0(VALU_DEP_1) | instskip(SKIP_1) | instid1(VALU_DEP_1)
	v_add_nc_u32_e32 v6, v5, v6
	v_mul_lo_u32 v7, v4, s40
	v_sub_nc_u32_e32 v1, v1, v7
	v_mul_lo_u32 v7, v5, s43
	s_delay_alu instid0(VALU_DEP_4) | instskip(NEXT) | instid1(VALU_DEP_3)
	v_lshrrev_b32_e32 v6, s56, v6
	v_mad_u32 v3, v1, s49, v3
	v_mad_u32 v1, v1, s48, v2
	s_delay_alu instid0(VALU_DEP_4) | instskip(NEXT) | instid1(VALU_DEP_4)
	v_sub_nc_u32_e32 v2, v4, v7
	v_mul_hi_u32 v8, s58, v6
	v_mul_lo_u32 v4, v6, s46
	s_delay_alu instid0(VALU_DEP_3) | instskip(SKIP_1) | instid1(VALU_DEP_4)
	v_mad_u32 v3, v2, s51, v3
	v_mad_u32 v2, v2, s50, v1
	v_add_nc_u32_e32 v7, v6, v8
	s_delay_alu instid0(VALU_DEP_1) | instskip(NEXT) | instid1(VALU_DEP_1)
	v_dual_sub_nc_u32 v4, v5, v4 :: v_dual_lshrrev_b32 v1, s59, v7
	v_mad_u32 v3, v4, s53, v3
	s_delay_alu instid0(VALU_DEP_4) | instskip(NEXT) | instid1(VALU_DEP_3)
	v_mad_u32 v2, v4, s52, v2
	v_mul_lo_u32 v5, v1, s57
	s_delay_alu instid0(VALU_DEP_1) | instskip(NEXT) | instid1(VALU_DEP_1)
	v_sub_nc_u32_e32 v4, v6, v5
	v_mad_u32 v3, v4, s55, v3
	s_delay_alu instid0(VALU_DEP_4)
	v_mad_u32 v2, v4, s54, v2
	s_cbranch_scc0 .LBB77_234
	s_branch .LBB77_238
.LBB77_235:
                                        ; implicit-def: $vgpr3
	s_branch .LBB77_242
.LBB77_236:
	v_dual_mov_b32 v3, 0 :: v_dual_mov_b32 v2, 0
	s_branch .LBB77_241
.LBB77_237:
	v_mov_b64_e32 v[2:3], 0
	v_mov_b32_e32 v1, v0
	s_mov_b32 s24, 0
.LBB77_238:
	s_and_b32 s16, s37, 3
	s_mov_b32 s25, 0
	s_cmp_eq_u32 s16, 0
	s_cbranch_scc1 .LBB77_241
; %bb.239:
	s_lshl_b32 s22, s24, 3
	s_mov_b32 s23, s25
	s_mul_u64 s[24:25], s[24:25], 12
	s_add_nc_u64 s[22:23], s[12:13], s[22:23]
	s_add_nc_u64 s[24:25], s[12:13], s[24:25]
	;; [unrolled: 1-line block ×3, first 2 shown]
.LBB77_240:                             ; =>This Inner Loop Header: Depth=1
	s_load_b96 s[36:38], s[24:25], 0x4
	s_load_b64 s[26:27], s[22:23], 0x0
	s_add_co_i32 s16, s16, -1
	s_wait_xcnt 0x0
	s_add_nc_u64 s[24:25], s[24:25], 12
	s_cmp_lg_u32 s16, 0
	s_add_nc_u64 s[22:23], s[22:23], 8
	s_wait_kmcnt 0x0
	v_mul_hi_u32 v4, s37, v1
	s_delay_alu instid0(VALU_DEP_1) | instskip(NEXT) | instid1(VALU_DEP_1)
	v_add_nc_u32_e32 v4, v1, v4
	v_lshrrev_b32_e32 v4, s38, v4
	s_delay_alu instid0(VALU_DEP_1) | instskip(NEXT) | instid1(VALU_DEP_1)
	v_mul_lo_u32 v5, v4, s36
	v_sub_nc_u32_e32 v1, v1, v5
	s_delay_alu instid0(VALU_DEP_1)
	v_mad_u32 v3, v1, s27, v3
	v_mad_u32 v2, v1, s26, v2
	v_mov_b32_e32 v1, v4
	s_cbranch_scc1 .LBB77_240
.LBB77_241:
	s_cbranch_execnz .LBB77_244
.LBB77_242:
	v_mov_b32_e32 v1, 0
	s_and_not1_b32 vcc_lo, exec_lo, s35
	s_delay_alu instid0(VALU_DEP_1) | instskip(NEXT) | instid1(VALU_DEP_1)
	v_mul_u64_e32 v[2:3], s[18:19], v[0:1]
	v_add_nc_u32_e32 v2, v0, v3
	s_delay_alu instid0(VALU_DEP_1) | instskip(NEXT) | instid1(VALU_DEP_1)
	v_lshrrev_b32_e32 v4, s6, v2
	v_mul_lo_u32 v2, v4, s4
	s_delay_alu instid0(VALU_DEP_1) | instskip(NEXT) | instid1(VALU_DEP_1)
	v_sub_nc_u32_e32 v0, v0, v2
	v_mul_lo_u32 v3, v0, s9
	v_mul_lo_u32 v2, v0, s8
	s_cbranch_vccnz .LBB77_244
; %bb.243:
	v_mov_b32_e32 v5, v1
	s_delay_alu instid0(VALU_DEP_1) | instskip(NEXT) | instid1(VALU_DEP_1)
	v_mul_u64_e32 v[0:1], s[20:21], v[4:5]
	v_add_nc_u32_e32 v0, v4, v1
	s_delay_alu instid0(VALU_DEP_1) | instskip(NEXT) | instid1(VALU_DEP_1)
	v_lshrrev_b32_e32 v0, s17, v0
	v_mul_lo_u32 v0, v0, s7
	s_delay_alu instid0(VALU_DEP_1) | instskip(NEXT) | instid1(VALU_DEP_1)
	v_sub_nc_u32_e32 v0, v4, v0
	v_mad_u32 v2, v0, s10, v2
	v_mad_u32 v3, v0, s11, v3
.LBB77_244:
	global_load_u16 v0, v3, s[2:3]
	s_wait_loadcnt 0x0
	v_cmp_ne_u16_e32 vcc_lo, s15, v0
	s_wait_xcnt 0x0
	s_xor_b32 s2, s5, vcc_lo
	s_delay_alu instid0(SALU_CYCLE_1)
	v_cndmask_b32_e64 v0, 0, 1, s2
	global_store_b8 v2, v0, s[0:1]
	s_wait_xcnt 0x0
	s_or_b32 exec_lo, exec_lo, s14
                                        ; implicit-def: $vgpr16
                                        ; implicit-def: $vgpr0
	s_and_not1_saveexec_b32 s0, s34
	s_cbranch_execz .LBB77_221
	s_branch .LBB77_8
	.section	.rodata,"a",@progbits
	.p2align	6, 0x0
	.amdhsa_kernel _ZN2at6native32elementwise_kernel_manual_unrollILi128ELi8EZNS0_22gpu_kernel_impl_nocastINS0_13AUnaryFunctorIssbNS0_12_GLOBAL__N_116CompareEqFunctorIsEEEEEEvRNS_18TensorIteratorBaseERKT_EUlibE_EEviT1_
		.amdhsa_group_segment_fixed_size 0
		.amdhsa_private_segment_fixed_size 0
		.amdhsa_kernarg_size 360
		.amdhsa_user_sgpr_count 2
		.amdhsa_user_sgpr_dispatch_ptr 0
		.amdhsa_user_sgpr_queue_ptr 0
		.amdhsa_user_sgpr_kernarg_segment_ptr 1
		.amdhsa_user_sgpr_dispatch_id 0
		.amdhsa_user_sgpr_kernarg_preload_length 0
		.amdhsa_user_sgpr_kernarg_preload_offset 0
		.amdhsa_user_sgpr_private_segment_size 0
		.amdhsa_wavefront_size32 1
		.amdhsa_uses_dynamic_stack 0
		.amdhsa_enable_private_segment 0
		.amdhsa_system_sgpr_workgroup_id_x 1
		.amdhsa_system_sgpr_workgroup_id_y 0
		.amdhsa_system_sgpr_workgroup_id_z 0
		.amdhsa_system_sgpr_workgroup_info 0
		.amdhsa_system_vgpr_workitem_id 0
		.amdhsa_next_free_vgpr 24
		.amdhsa_next_free_sgpr 60
		.amdhsa_named_barrier_count 0
		.amdhsa_reserve_vcc 1
		.amdhsa_float_round_mode_32 0
		.amdhsa_float_round_mode_16_64 0
		.amdhsa_float_denorm_mode_32 3
		.amdhsa_float_denorm_mode_16_64 3
		.amdhsa_fp16_overflow 0
		.amdhsa_memory_ordered 1
		.amdhsa_forward_progress 1
		.amdhsa_inst_pref_size 99
		.amdhsa_round_robin_scheduling 0
		.amdhsa_exception_fp_ieee_invalid_op 0
		.amdhsa_exception_fp_denorm_src 0
		.amdhsa_exception_fp_ieee_div_zero 0
		.amdhsa_exception_fp_ieee_overflow 0
		.amdhsa_exception_fp_ieee_underflow 0
		.amdhsa_exception_fp_ieee_inexact 0
		.amdhsa_exception_int_div_zero 0
	.end_amdhsa_kernel
	.section	.text._ZN2at6native32elementwise_kernel_manual_unrollILi128ELi8EZNS0_22gpu_kernel_impl_nocastINS0_13AUnaryFunctorIssbNS0_12_GLOBAL__N_116CompareEqFunctorIsEEEEEEvRNS_18TensorIteratorBaseERKT_EUlibE_EEviT1_,"axG",@progbits,_ZN2at6native32elementwise_kernel_manual_unrollILi128ELi8EZNS0_22gpu_kernel_impl_nocastINS0_13AUnaryFunctorIssbNS0_12_GLOBAL__N_116CompareEqFunctorIsEEEEEEvRNS_18TensorIteratorBaseERKT_EUlibE_EEviT1_,comdat
.Lfunc_end77:
	.size	_ZN2at6native32elementwise_kernel_manual_unrollILi128ELi8EZNS0_22gpu_kernel_impl_nocastINS0_13AUnaryFunctorIssbNS0_12_GLOBAL__N_116CompareEqFunctorIsEEEEEEvRNS_18TensorIteratorBaseERKT_EUlibE_EEviT1_, .Lfunc_end77-_ZN2at6native32elementwise_kernel_manual_unrollILi128ELi8EZNS0_22gpu_kernel_impl_nocastINS0_13AUnaryFunctorIssbNS0_12_GLOBAL__N_116CompareEqFunctorIsEEEEEEvRNS_18TensorIteratorBaseERKT_EUlibE_EEviT1_
                                        ; -- End function
	.set _ZN2at6native32elementwise_kernel_manual_unrollILi128ELi8EZNS0_22gpu_kernel_impl_nocastINS0_13AUnaryFunctorIssbNS0_12_GLOBAL__N_116CompareEqFunctorIsEEEEEEvRNS_18TensorIteratorBaseERKT_EUlibE_EEviT1_.num_vgpr, 24
	.set _ZN2at6native32elementwise_kernel_manual_unrollILi128ELi8EZNS0_22gpu_kernel_impl_nocastINS0_13AUnaryFunctorIssbNS0_12_GLOBAL__N_116CompareEqFunctorIsEEEEEEvRNS_18TensorIteratorBaseERKT_EUlibE_EEviT1_.num_agpr, 0
	.set _ZN2at6native32elementwise_kernel_manual_unrollILi128ELi8EZNS0_22gpu_kernel_impl_nocastINS0_13AUnaryFunctorIssbNS0_12_GLOBAL__N_116CompareEqFunctorIsEEEEEEvRNS_18TensorIteratorBaseERKT_EUlibE_EEviT1_.numbered_sgpr, 60
	.set _ZN2at6native32elementwise_kernel_manual_unrollILi128ELi8EZNS0_22gpu_kernel_impl_nocastINS0_13AUnaryFunctorIssbNS0_12_GLOBAL__N_116CompareEqFunctorIsEEEEEEvRNS_18TensorIteratorBaseERKT_EUlibE_EEviT1_.num_named_barrier, 0
	.set _ZN2at6native32elementwise_kernel_manual_unrollILi128ELi8EZNS0_22gpu_kernel_impl_nocastINS0_13AUnaryFunctorIssbNS0_12_GLOBAL__N_116CompareEqFunctorIsEEEEEEvRNS_18TensorIteratorBaseERKT_EUlibE_EEviT1_.private_seg_size, 0
	.set _ZN2at6native32elementwise_kernel_manual_unrollILi128ELi8EZNS0_22gpu_kernel_impl_nocastINS0_13AUnaryFunctorIssbNS0_12_GLOBAL__N_116CompareEqFunctorIsEEEEEEvRNS_18TensorIteratorBaseERKT_EUlibE_EEviT1_.uses_vcc, 1
	.set _ZN2at6native32elementwise_kernel_manual_unrollILi128ELi8EZNS0_22gpu_kernel_impl_nocastINS0_13AUnaryFunctorIssbNS0_12_GLOBAL__N_116CompareEqFunctorIsEEEEEEvRNS_18TensorIteratorBaseERKT_EUlibE_EEviT1_.uses_flat_scratch, 0
	.set _ZN2at6native32elementwise_kernel_manual_unrollILi128ELi8EZNS0_22gpu_kernel_impl_nocastINS0_13AUnaryFunctorIssbNS0_12_GLOBAL__N_116CompareEqFunctorIsEEEEEEvRNS_18TensorIteratorBaseERKT_EUlibE_EEviT1_.has_dyn_sized_stack, 0
	.set _ZN2at6native32elementwise_kernel_manual_unrollILi128ELi8EZNS0_22gpu_kernel_impl_nocastINS0_13AUnaryFunctorIssbNS0_12_GLOBAL__N_116CompareEqFunctorIsEEEEEEvRNS_18TensorIteratorBaseERKT_EUlibE_EEviT1_.has_recursion, 0
	.set _ZN2at6native32elementwise_kernel_manual_unrollILi128ELi8EZNS0_22gpu_kernel_impl_nocastINS0_13AUnaryFunctorIssbNS0_12_GLOBAL__N_116CompareEqFunctorIsEEEEEEvRNS_18TensorIteratorBaseERKT_EUlibE_EEviT1_.has_indirect_call, 0
	.section	.AMDGPU.csdata,"",@progbits
; Kernel info:
; codeLenInByte = 12616
; TotalNumSgprs: 62
; NumVgprs: 24
; ScratchSize: 0
; MemoryBound: 0
; FloatMode: 240
; IeeeMode: 1
; LDSByteSize: 0 bytes/workgroup (compile time only)
; SGPRBlocks: 0
; VGPRBlocks: 1
; NumSGPRsForWavesPerEU: 62
; NumVGPRsForWavesPerEU: 24
; NamedBarCnt: 0
; Occupancy: 16
; WaveLimiterHint : 1
; COMPUTE_PGM_RSRC2:SCRATCH_EN: 0
; COMPUTE_PGM_RSRC2:USER_SGPR: 2
; COMPUTE_PGM_RSRC2:TRAP_HANDLER: 0
; COMPUTE_PGM_RSRC2:TGID_X_EN: 1
; COMPUTE_PGM_RSRC2:TGID_Y_EN: 0
; COMPUTE_PGM_RSRC2:TGID_Z_EN: 0
; COMPUTE_PGM_RSRC2:TIDIG_COMP_CNT: 0
	.section	.text._ZN2at6native32elementwise_kernel_manual_unrollILi128ELi4EZNS0_15gpu_kernel_implINS0_13AUnaryFunctorIssbNS0_12_GLOBAL__N_116CompareEqFunctorIsEEEEEEvRNS_18TensorIteratorBaseERKT_EUlibE_EEviT1_,"axG",@progbits,_ZN2at6native32elementwise_kernel_manual_unrollILi128ELi4EZNS0_15gpu_kernel_implINS0_13AUnaryFunctorIssbNS0_12_GLOBAL__N_116CompareEqFunctorIsEEEEEEvRNS_18TensorIteratorBaseERKT_EUlibE_EEviT1_,comdat
	.globl	_ZN2at6native32elementwise_kernel_manual_unrollILi128ELi4EZNS0_15gpu_kernel_implINS0_13AUnaryFunctorIssbNS0_12_GLOBAL__N_116CompareEqFunctorIsEEEEEEvRNS_18TensorIteratorBaseERKT_EUlibE_EEviT1_ ; -- Begin function _ZN2at6native32elementwise_kernel_manual_unrollILi128ELi4EZNS0_15gpu_kernel_implINS0_13AUnaryFunctorIssbNS0_12_GLOBAL__N_116CompareEqFunctorIsEEEEEEvRNS_18TensorIteratorBaseERKT_EUlibE_EEviT1_
	.p2align	8
	.type	_ZN2at6native32elementwise_kernel_manual_unrollILi128ELi4EZNS0_15gpu_kernel_implINS0_13AUnaryFunctorIssbNS0_12_GLOBAL__N_116CompareEqFunctorIsEEEEEEvRNS_18TensorIteratorBaseERKT_EUlibE_EEviT1_,@function
_ZN2at6native32elementwise_kernel_manual_unrollILi128ELi4EZNS0_15gpu_kernel_implINS0_13AUnaryFunctorIssbNS0_12_GLOBAL__N_116CompareEqFunctorIsEEEEEEvRNS_18TensorIteratorBaseERKT_EUlibE_EEviT1_: ; @_ZN2at6native32elementwise_kernel_manual_unrollILi128ELi4EZNS0_15gpu_kernel_implINS0_13AUnaryFunctorIssbNS0_12_GLOBAL__N_116CompareEqFunctorIsEEEEEEvRNS_18TensorIteratorBaseERKT_EUlibE_EEviT1_
; %bb.0:
	s_load_b32 s2, s[0:1], 0x28
	s_bfe_u32 s3, ttmp6, 0x4000c
	s_clause 0x1
	s_load_b32 s14, s[0:1], 0x0
	s_load_b256 s[4:11], s[0:1], 0x8
	s_add_co_i32 s3, s3, 1
	s_and_b32 s12, ttmp6, 15
	s_wait_xcnt 0x0
	s_mul_i32 s0, ttmp9, s3
	s_getreg_b32 s13, hwreg(HW_REG_IB_STS2, 6, 4)
	s_add_co_i32 s12, s12, s0
	s_mov_b32 s1, 0
	s_wait_kmcnt 0x0
	s_bfe_u32 s3, s2, 0x80008
	s_cmp_eq_u32 s13, 0
	s_mov_b32 s13, 0
	s_cselect_b32 s0, ttmp9, s12
	s_delay_alu instid0(SALU_CYCLE_1) | instskip(SKIP_1) | instid1(VALU_DEP_1)
	v_lshl_or_b32 v10, s0, 9, v0
	s_mov_b32 s0, exec_lo
	v_or_b32_e32 v0, 0x180, v10
	s_delay_alu instid0(VALU_DEP_1)
	v_cmpx_le_i32_e64 s14, v0
	s_xor_b32 s12, exec_lo, s0
	s_cbranch_execz .LBB78_1015
; %bb.1:
	s_cmp_eq_u32 s10, 0
	s_mov_b32 s18, 0
	s_cselect_b32 s13, -1, 0
	s_mov_b32 s20, -1
	s_mov_b32 s16, 0
	s_mov_b32 s15, 0
	s_mov_b32 s17, exec_lo
	v_cmpx_gt_i32_e64 s14, v10
	s_cbranch_execz .LBB78_248
; %bb.2:
	v_mul_lo_u32 v0, v10, s9
	s_and_b32 s0, 0xffff, s3
	s_delay_alu instid0(SALU_CYCLE_1) | instskip(NEXT) | instid1(VALU_DEP_1)
	s_cmp_lt_i32 s0, 11
	v_ashrrev_i32_e32 v1, 31, v0
	s_delay_alu instid0(VALU_DEP_1)
	v_add_nc_u64_e32 v[0:1], s[6:7], v[0:1]
	s_cbranch_scc1 .LBB78_9
; %bb.3:
	s_cmp_gt_i32 s0, 25
	s_cbranch_scc0 .LBB78_18
; %bb.4:
	s_cmp_gt_i32 s0, 28
	s_cbranch_scc0 .LBB78_21
	;; [unrolled: 3-line block ×4, first 2 shown]
; %bb.7:
	s_cmp_eq_u32 s0, 46
	s_mov_b32 s19, 0
	s_cbranch_scc0 .LBB78_27
; %bb.8:
	global_load_b32 v2, v[0:1], off
	s_mov_b32 s15, -1
	s_wait_loadcnt 0x0
	v_lshlrev_b32_e32 v2, 16, v2
	s_delay_alu instid0(VALU_DEP_1)
	v_cvt_i32_f32_e32 v2, v2
	s_branch .LBB78_29
.LBB78_9:
                                        ; implicit-def: $vgpr2
	s_cbranch_execnz .LBB78_198
.LBB78_10:
	s_and_not1_b32 vcc_lo, exec_lo, s15
	s_cbranch_vccnz .LBB78_245
.LBB78_11:
	s_wait_xcnt 0x0
	v_mul_lo_u32 v0, v10, s8
	s_wait_loadcnt 0x0
	s_delay_alu instid0(VALU_DEP_2) | instskip(SKIP_3) | instid1(VALU_DEP_2)
	v_cmp_ne_u16_e32 vcc_lo, s11, v2
	s_and_b32 s19, s2, 0xff
	s_xor_b32 s15, s13, vcc_lo
	s_cmp_lt_i32 s19, 11
	v_ashrrev_i32_e32 v1, 31, v0
	s_delay_alu instid0(VALU_DEP_1)
	v_add_nc_u64_e32 v[0:1], s[4:5], v[0:1]
	s_cbranch_scc1 .LBB78_19
; %bb.12:
	s_and_b32 s20, 0xffff, s19
	s_delay_alu instid0(SALU_CYCLE_1)
	s_cmp_gt_i32 s20, 25
	s_cbranch_scc0 .LBB78_22
; %bb.13:
	s_cmp_gt_i32 s20, 28
	s_cbranch_scc0 .LBB78_24
; %bb.14:
	;; [unrolled: 3-line block ×4, first 2 shown]
	s_mov_b32 s22, 0
	s_mov_b32 s0, -1
	s_cmp_eq_u32 s20, 46
	s_mov_b32 s21, 0
	s_cbranch_scc0 .LBB78_33
; %bb.17:
	v_cndmask_b32_e64 v2, 0, 1.0, s15
	s_mov_b32 s21, -1
	s_mov_b32 s0, 0
	s_delay_alu instid0(VALU_DEP_1) | instskip(NEXT) | instid1(VALU_DEP_1)
	v_bfe_u32 v3, v2, 16, 1
	v_add3_u32 v2, v2, v3, 0x7fff
	s_delay_alu instid0(VALU_DEP_1)
	v_lshrrev_b32_e32 v2, 16, v2
	global_store_b32 v[0:1], v2, off
	s_branch .LBB78_33
.LBB78_18:
                                        ; implicit-def: $vgpr2
	s_cbranch_execnz .LBB78_165
	s_branch .LBB78_197
.LBB78_19:
	s_mov_b32 s0, 0
	s_mov_b32 s21, 0
	s_cbranch_execnz .LBB78_102
.LBB78_20:
	s_and_not1_b32 vcc_lo, exec_lo, s21
	s_cbranch_vccnz .LBB78_246
	s_branch .LBB78_140
.LBB78_21:
	s_mov_b32 s19, -1
                                        ; implicit-def: $vgpr2
	s_branch .LBB78_148
.LBB78_22:
	s_mov_b32 s22, -1
	s_mov_b32 s0, 0
	s_mov_b32 s21, 0
	s_branch .LBB78_60
.LBB78_23:
	s_mov_b32 s19, -1
                                        ; implicit-def: $vgpr2
	s_branch .LBB78_143
.LBB78_24:
	s_mov_b32 s22, -1
	s_mov_b32 s0, 0
	s_mov_b32 s21, 0
	s_branch .LBB78_43
.LBB78_25:
	s_mov_b32 s19, -1
	s_branch .LBB78_28
.LBB78_26:
	s_mov_b32 s22, -1
	s_mov_b32 s0, 0
	s_mov_b32 s21, 0
	s_branch .LBB78_39
.LBB78_27:
	s_mov_b32 s16, -1
.LBB78_28:
                                        ; implicit-def: $vgpr2
.LBB78_29:
	s_and_b32 vcc_lo, exec_lo, s19
	s_cbranch_vccz .LBB78_142
; %bb.30:
	s_cmp_eq_u32 s0, 44
	s_cbranch_scc0 .LBB78_141
; %bb.31:
	global_load_u8 v2, v[0:1], off
	s_mov_b32 s16, 0
	s_mov_b32 s15, -1
	s_wait_loadcnt 0x0
	v_lshlrev_b32_e32 v3, 23, v2
	v_cmp_ne_u32_e32 vcc_lo, 0, v2
	s_delay_alu instid0(VALU_DEP_2) | instskip(NEXT) | instid1(VALU_DEP_1)
	v_cvt_i32_f32_e32 v3, v3
	v_cndmask_b32_e32 v2, 0, v3, vcc_lo
	s_branch .LBB78_142
.LBB78_32:
	s_mov_b32 s22, -1
	s_mov_b32 s0, 0
	s_mov_b32 s21, 0
.LBB78_33:
	s_and_b32 vcc_lo, exec_lo, s22
	s_cbranch_vccz .LBB78_38
; %bb.34:
	s_cmp_eq_u32 s20, 44
	s_mov_b32 s0, -1
	s_cbranch_scc0 .LBB78_38
; %bb.35:
	v_cndmask_b32_e64 v4, 0, 1.0, s15
	s_mov_b32 s21, exec_lo
	s_wait_xcnt 0x0
	s_delay_alu instid0(VALU_DEP_1) | instskip(NEXT) | instid1(VALU_DEP_1)
	v_dual_mov_b32 v3, 0xff :: v_dual_lshrrev_b32 v2, 23, v4
	v_cmpx_ne_u32_e32 0xff, v2
; %bb.36:
	v_and_b32_e32 v3, 0x400000, v4
	v_and_or_b32 v4, 0x3fffff, v4, v2
	s_delay_alu instid0(VALU_DEP_2) | instskip(NEXT) | instid1(VALU_DEP_2)
	v_cmp_ne_u32_e32 vcc_lo, 0, v3
	v_cmp_ne_u32_e64 s0, 0, v4
	s_and_b32 s0, vcc_lo, s0
	s_delay_alu instid0(SALU_CYCLE_1) | instskip(NEXT) | instid1(VALU_DEP_1)
	v_cndmask_b32_e64 v3, 0, 1, s0
	v_add_nc_u32_e32 v3, v2, v3
; %bb.37:
	s_or_b32 exec_lo, exec_lo, s21
	s_mov_b32 s21, -1
	s_mov_b32 s0, 0
	global_store_b8 v[0:1], v3, off
.LBB78_38:
	s_mov_b32 s22, 0
.LBB78_39:
	s_delay_alu instid0(SALU_CYCLE_1)
	s_and_b32 vcc_lo, exec_lo, s22
	s_cbranch_vccz .LBB78_42
; %bb.40:
	s_cmp_eq_u32 s20, 29
	s_mov_b32 s0, -1
	s_cbranch_scc0 .LBB78_42
; %bb.41:
	s_mov_b32 s0, 0
	s_wait_xcnt 0x0
	v_cndmask_b32_e64 v2, 0, 1, s15
	v_mov_b32_e32 v3, s0
	s_mov_b32 s21, -1
	s_mov_b32 s22, 0
	global_store_b64 v[0:1], v[2:3], off
	s_branch .LBB78_43
.LBB78_42:
	s_mov_b32 s22, 0
.LBB78_43:
	s_delay_alu instid0(SALU_CYCLE_1)
	s_and_b32 vcc_lo, exec_lo, s22
	s_cbranch_vccz .LBB78_59
; %bb.44:
	s_cmp_lt_i32 s20, 27
	s_mov_b32 s21, -1
	s_cbranch_scc1 .LBB78_50
; %bb.45:
	s_cmp_gt_i32 s20, 27
	s_cbranch_scc0 .LBB78_47
; %bb.46:
	s_wait_xcnt 0x0
	v_cndmask_b32_e64 v2, 0, 1, s15
	s_mov_b32 s21, 0
	global_store_b32 v[0:1], v2, off
.LBB78_47:
	s_and_not1_b32 vcc_lo, exec_lo, s21
	s_cbranch_vccnz .LBB78_49
; %bb.48:
	s_wait_xcnt 0x0
	v_cndmask_b32_e64 v2, 0, 1, s15
	global_store_b16 v[0:1], v2, off
.LBB78_49:
	s_mov_b32 s21, 0
.LBB78_50:
	s_delay_alu instid0(SALU_CYCLE_1)
	s_and_not1_b32 vcc_lo, exec_lo, s21
	s_cbranch_vccnz .LBB78_58
; %bb.51:
	s_wait_xcnt 0x0
	v_cndmask_b32_e64 v3, 0, 1.0, s15
	v_mov_b32_e32 v4, 0x80
	s_mov_b32 s21, exec_lo
	s_delay_alu instid0(VALU_DEP_2)
	v_cmpx_gt_u32_e32 0x43800000, v3
	s_cbranch_execz .LBB78_57
; %bb.52:
	s_mov_b32 s22, 0
	s_mov_b32 s23, exec_lo
                                        ; implicit-def: $vgpr2
	v_cmpx_lt_u32_e32 0x3bffffff, v3
	s_xor_b32 s23, exec_lo, s23
	s_cbranch_execz .LBB78_275
; %bb.53:
	v_bfe_u32 v2, v3, 20, 1
	s_mov_b32 s22, exec_lo
	s_delay_alu instid0(VALU_DEP_1) | instskip(NEXT) | instid1(VALU_DEP_1)
	v_add3_u32 v2, v3, v2, 0x487ffff
                                        ; implicit-def: $vgpr3
	v_lshrrev_b32_e32 v2, 20, v2
	s_and_not1_saveexec_b32 s23, s23
	s_cbranch_execnz .LBB78_276
.LBB78_54:
	s_or_b32 exec_lo, exec_lo, s23
	v_mov_b32_e32 v4, 0
	s_and_saveexec_b32 s23, s22
.LBB78_55:
	v_mov_b32_e32 v4, v2
.LBB78_56:
	s_or_b32 exec_lo, exec_lo, s23
.LBB78_57:
	s_delay_alu instid0(SALU_CYCLE_1)
	s_or_b32 exec_lo, exec_lo, s21
	global_store_b8 v[0:1], v4, off
.LBB78_58:
	s_mov_b32 s21, -1
.LBB78_59:
	s_mov_b32 s22, 0
.LBB78_60:
	s_delay_alu instid0(SALU_CYCLE_1)
	s_and_b32 vcc_lo, exec_lo, s22
	s_cbranch_vccz .LBB78_101
; %bb.61:
	s_cmp_gt_i32 s20, 22
	s_mov_b32 s22, -1
	s_cbranch_scc0 .LBB78_93
; %bb.62:
	s_cmp_lt_i32 s20, 24
	s_mov_b32 s21, -1
	s_cbranch_scc1 .LBB78_82
; %bb.63:
	s_cmp_gt_i32 s20, 24
	s_cbranch_scc0 .LBB78_71
; %bb.64:
	s_wait_xcnt 0x0
	v_cndmask_b32_e64 v3, 0, 1.0, s15
	v_mov_b32_e32 v4, 0x80
	s_mov_b32 s21, exec_lo
	s_delay_alu instid0(VALU_DEP_2)
	v_cmpx_gt_u32_e32 0x47800000, v3
	s_cbranch_execz .LBB78_70
; %bb.65:
	s_mov_b32 s22, 0
	s_mov_b32 s23, exec_lo
                                        ; implicit-def: $vgpr2
	v_cmpx_lt_u32_e32 0x37ffffff, v3
	s_xor_b32 s23, exec_lo, s23
	s_cbranch_execz .LBB78_279
; %bb.66:
	v_bfe_u32 v2, v3, 21, 1
	s_mov_b32 s22, exec_lo
	s_delay_alu instid0(VALU_DEP_1) | instskip(NEXT) | instid1(VALU_DEP_1)
	v_add3_u32 v2, v3, v2, 0x88fffff
                                        ; implicit-def: $vgpr3
	v_lshrrev_b32_e32 v2, 21, v2
	s_and_not1_saveexec_b32 s23, s23
	s_cbranch_execnz .LBB78_280
.LBB78_67:
	s_or_b32 exec_lo, exec_lo, s23
	v_mov_b32_e32 v4, 0
	s_and_saveexec_b32 s23, s22
.LBB78_68:
	v_mov_b32_e32 v4, v2
.LBB78_69:
	s_or_b32 exec_lo, exec_lo, s23
.LBB78_70:
	s_delay_alu instid0(SALU_CYCLE_1)
	s_or_b32 exec_lo, exec_lo, s21
	s_mov_b32 s21, 0
	global_store_b8 v[0:1], v4, off
.LBB78_71:
	s_and_b32 vcc_lo, exec_lo, s21
	s_cbranch_vccz .LBB78_81
; %bb.72:
	s_wait_xcnt 0x0
	v_cndmask_b32_e64 v3, 0, 1.0, s15
	s_mov_b32 s21, exec_lo
                                        ; implicit-def: $vgpr2
	s_delay_alu instid0(VALU_DEP_1)
	v_cmpx_gt_u32_e32 0x43f00000, v3
	s_xor_b32 s21, exec_lo, s21
	s_cbranch_execz .LBB78_78
; %bb.73:
	s_mov_b32 s22, exec_lo
                                        ; implicit-def: $vgpr2
	v_cmpx_lt_u32_e32 0x3c7fffff, v3
	s_xor_b32 s22, exec_lo, s22
; %bb.74:
	v_bfe_u32 v2, v3, 20, 1
	s_delay_alu instid0(VALU_DEP_1) | instskip(NEXT) | instid1(VALU_DEP_1)
	v_add3_u32 v2, v3, v2, 0x407ffff
	v_and_b32_e32 v3, 0xff00000, v2
	v_lshrrev_b32_e32 v2, 20, v2
	s_delay_alu instid0(VALU_DEP_2) | instskip(NEXT) | instid1(VALU_DEP_2)
	v_cmp_ne_u32_e32 vcc_lo, 0x7f00000, v3
                                        ; implicit-def: $vgpr3
	v_cndmask_b32_e32 v2, 0x7e, v2, vcc_lo
; %bb.75:
	s_and_not1_saveexec_b32 s22, s22
; %bb.76:
	v_add_f32_e32 v2, 0x46800000, v3
; %bb.77:
	s_or_b32 exec_lo, exec_lo, s22
                                        ; implicit-def: $vgpr3
.LBB78_78:
	s_and_not1_saveexec_b32 s21, s21
; %bb.79:
	v_mov_b32_e32 v2, 0x7f
	v_cmp_lt_u32_e32 vcc_lo, 0x7f800000, v3
	s_delay_alu instid0(VALU_DEP_2)
	v_cndmask_b32_e32 v2, 0x7e, v2, vcc_lo
; %bb.80:
	s_or_b32 exec_lo, exec_lo, s21
	global_store_b8 v[0:1], v2, off
.LBB78_81:
	s_mov_b32 s21, 0
.LBB78_82:
	s_delay_alu instid0(SALU_CYCLE_1)
	s_and_not1_b32 vcc_lo, exec_lo, s21
	s_cbranch_vccnz .LBB78_92
; %bb.83:
	s_wait_xcnt 0x0
	v_cndmask_b32_e64 v3, 0, 1.0, s15
	s_mov_b32 s21, exec_lo
                                        ; implicit-def: $vgpr2
	s_delay_alu instid0(VALU_DEP_1)
	v_cmpx_gt_u32_e32 0x47800000, v3
	s_xor_b32 s21, exec_lo, s21
	s_cbranch_execz .LBB78_89
; %bb.84:
	s_mov_b32 s22, exec_lo
                                        ; implicit-def: $vgpr2
	v_cmpx_lt_u32_e32 0x387fffff, v3
	s_xor_b32 s22, exec_lo, s22
; %bb.85:
	v_bfe_u32 v2, v3, 21, 1
	s_delay_alu instid0(VALU_DEP_1) | instskip(NEXT) | instid1(VALU_DEP_1)
	v_add3_u32 v2, v3, v2, 0x80fffff
                                        ; implicit-def: $vgpr3
	v_lshrrev_b32_e32 v2, 21, v2
; %bb.86:
	s_and_not1_saveexec_b32 s22, s22
; %bb.87:
	v_add_f32_e32 v2, 0x43000000, v3
; %bb.88:
	s_or_b32 exec_lo, exec_lo, s22
                                        ; implicit-def: $vgpr3
.LBB78_89:
	s_and_not1_saveexec_b32 s21, s21
; %bb.90:
	v_mov_b32_e32 v2, 0x7f
	v_cmp_lt_u32_e32 vcc_lo, 0x7f800000, v3
	s_delay_alu instid0(VALU_DEP_2)
	v_cndmask_b32_e32 v2, 0x7c, v2, vcc_lo
; %bb.91:
	s_or_b32 exec_lo, exec_lo, s21
	global_store_b8 v[0:1], v2, off
.LBB78_92:
	s_mov_b32 s22, 0
	s_mov_b32 s21, -1
.LBB78_93:
	s_and_not1_b32 vcc_lo, exec_lo, s22
	s_cbranch_vccnz .LBB78_101
; %bb.94:
	s_cmp_gt_i32 s20, 14
	s_mov_b32 s22, -1
	s_cbranch_scc0 .LBB78_98
; %bb.95:
	s_cmp_eq_u32 s20, 15
	s_mov_b32 s0, -1
	s_cbranch_scc0 .LBB78_97
; %bb.96:
	s_wait_xcnt 0x0
	v_cndmask_b32_e64 v2, 0, 1.0, s15
	s_mov_b32 s21, -1
	s_mov_b32 s0, 0
	s_delay_alu instid0(VALU_DEP_1) | instskip(NEXT) | instid1(VALU_DEP_1)
	v_bfe_u32 v3, v2, 16, 1
	v_add3_u32 v2, v2, v3, 0x7fff
	global_store_d16_hi_b16 v[0:1], v2, off
.LBB78_97:
	s_mov_b32 s22, 0
.LBB78_98:
	s_delay_alu instid0(SALU_CYCLE_1)
	s_and_b32 vcc_lo, exec_lo, s22
	s_cbranch_vccz .LBB78_101
; %bb.99:
	s_cmp_eq_u32 s20, 11
	s_mov_b32 s0, -1
	s_cbranch_scc0 .LBB78_101
; %bb.100:
	s_wait_xcnt 0x0
	v_cndmask_b32_e64 v2, 0, 1, s15
	s_mov_b32 s21, -1
	s_mov_b32 s0, 0
	global_store_b8 v[0:1], v2, off
.LBB78_101:
	s_branch .LBB78_20
.LBB78_102:
	s_and_b32 s19, 0xffff, s19
	s_mov_b32 s20, -1
	s_cmp_lt_i32 s19, 5
	s_cbranch_scc1 .LBB78_123
; %bb.103:
	s_cmp_lt_i32 s19, 8
	s_cbranch_scc1 .LBB78_113
; %bb.104:
	;; [unrolled: 3-line block ×3, first 2 shown]
	s_cmp_gt_i32 s19, 9
	s_cbranch_scc0 .LBB78_107
; %bb.106:
	s_wait_xcnt 0x0
	v_cndmask_b32_e64 v2, 0, 1, s15
	v_mov_b32_e32 v4, 0
	s_mov_b32 s20, 0
	s_delay_alu instid0(VALU_DEP_2) | instskip(NEXT) | instid1(VALU_DEP_2)
	v_cvt_f64_u32_e32 v[2:3], v2
	v_mov_b32_e32 v5, v4
	global_store_b128 v[0:1], v[2:5], off
.LBB78_107:
	s_and_not1_b32 vcc_lo, exec_lo, s20
	s_cbranch_vccnz .LBB78_109
; %bb.108:
	s_wait_xcnt 0x0
	v_cndmask_b32_e64 v2, 0, 1.0, s15
	v_mov_b32_e32 v3, 0
	global_store_b64 v[0:1], v[2:3], off
.LBB78_109:
	s_mov_b32 s20, 0
.LBB78_110:
	s_delay_alu instid0(SALU_CYCLE_1)
	s_and_not1_b32 vcc_lo, exec_lo, s20
	s_cbranch_vccnz .LBB78_112
; %bb.111:
	s_wait_xcnt 0x0
	v_cndmask_b32_e64 v2, 0, 1.0, s15
	s_delay_alu instid0(VALU_DEP_1) | instskip(NEXT) | instid1(VALU_DEP_1)
	v_cvt_f16_f32_e32 v2, v2
	v_and_b32_e32 v2, 0xffff, v2
	global_store_b32 v[0:1], v2, off
.LBB78_112:
	s_mov_b32 s20, 0
.LBB78_113:
	s_delay_alu instid0(SALU_CYCLE_1)
	s_and_not1_b32 vcc_lo, exec_lo, s20
	s_cbranch_vccnz .LBB78_122
; %bb.114:
	s_cmp_lt_i32 s19, 6
	s_mov_b32 s20, -1
	s_cbranch_scc1 .LBB78_120
; %bb.115:
	s_cmp_gt_i32 s19, 6
	s_cbranch_scc0 .LBB78_117
; %bb.116:
	s_wait_xcnt 0x0
	v_cndmask_b32_e64 v2, 0, 1, s15
	s_mov_b32 s20, 0
	s_delay_alu instid0(VALU_DEP_1)
	v_cvt_f64_u32_e32 v[2:3], v2
	global_store_b64 v[0:1], v[2:3], off
.LBB78_117:
	s_and_not1_b32 vcc_lo, exec_lo, s20
	s_cbranch_vccnz .LBB78_119
; %bb.118:
	s_wait_xcnt 0x0
	v_cndmask_b32_e64 v2, 0, 1.0, s15
	global_store_b32 v[0:1], v2, off
.LBB78_119:
	s_mov_b32 s20, 0
.LBB78_120:
	s_delay_alu instid0(SALU_CYCLE_1)
	s_and_not1_b32 vcc_lo, exec_lo, s20
	s_cbranch_vccnz .LBB78_122
; %bb.121:
	s_wait_xcnt 0x0
	v_cndmask_b32_e64 v2, 0, 1.0, s15
	s_delay_alu instid0(VALU_DEP_1)
	v_cvt_f16_f32_e32 v2, v2
	global_store_b16 v[0:1], v2, off
.LBB78_122:
	s_mov_b32 s20, 0
.LBB78_123:
	s_delay_alu instid0(SALU_CYCLE_1)
	s_and_not1_b32 vcc_lo, exec_lo, s20
	s_cbranch_vccnz .LBB78_139
; %bb.124:
	s_cmp_lt_i32 s19, 2
	s_mov_b32 s20, -1
	s_cbranch_scc1 .LBB78_134
; %bb.125:
	s_cmp_lt_i32 s19, 3
	s_cbranch_scc1 .LBB78_131
; %bb.126:
	s_cmp_gt_i32 s19, 3
	s_cbranch_scc0 .LBB78_128
; %bb.127:
	s_mov_b32 s20, 0
	s_wait_xcnt 0x0
	v_cndmask_b32_e64 v2, 0, 1, s15
	v_mov_b32_e32 v3, s20
	global_store_b64 v[0:1], v[2:3], off
.LBB78_128:
	s_and_not1_b32 vcc_lo, exec_lo, s20
	s_cbranch_vccnz .LBB78_130
; %bb.129:
	s_wait_xcnt 0x0
	v_cndmask_b32_e64 v2, 0, 1, s15
	global_store_b32 v[0:1], v2, off
.LBB78_130:
	s_mov_b32 s20, 0
.LBB78_131:
	s_delay_alu instid0(SALU_CYCLE_1)
	s_and_not1_b32 vcc_lo, exec_lo, s20
	s_cbranch_vccnz .LBB78_133
; %bb.132:
	s_wait_xcnt 0x0
	v_cndmask_b32_e64 v2, 0, 1, s15
	global_store_b16 v[0:1], v2, off
.LBB78_133:
	s_mov_b32 s20, 0
.LBB78_134:
	s_delay_alu instid0(SALU_CYCLE_1)
	s_and_not1_b32 vcc_lo, exec_lo, s20
	s_cbranch_vccnz .LBB78_139
; %bb.135:
	s_wait_xcnt 0x0
	v_cndmask_b32_e64 v2, 0, 1, s15
	s_cmp_gt_i32 s19, 0
	s_mov_b32 s15, -1
	s_cbranch_scc0 .LBB78_137
; %bb.136:
	s_mov_b32 s15, 0
	global_store_b8 v[0:1], v2, off
.LBB78_137:
	s_and_not1_b32 vcc_lo, exec_lo, s15
	s_cbranch_vccnz .LBB78_139
; %bb.138:
	global_store_b8 v[0:1], v2, off
.LBB78_139:
.LBB78_140:
	v_add_nc_u32_e32 v10, 0x80, v10
	s_mov_b32 s19, -1
	s_branch .LBB78_247
.LBB78_141:
	s_mov_b32 s16, -1
                                        ; implicit-def: $vgpr2
.LBB78_142:
	s_mov_b32 s19, 0
.LBB78_143:
	s_delay_alu instid0(SALU_CYCLE_1)
	s_and_b32 vcc_lo, exec_lo, s19
	s_cbranch_vccz .LBB78_147
; %bb.144:
	s_cmp_eq_u32 s0, 29
	s_cbranch_scc0 .LBB78_146
; %bb.145:
	global_load_b64 v[2:3], v[0:1], off
	s_mov_b32 s15, -1
	s_mov_b32 s16, 0
	s_branch .LBB78_147
.LBB78_146:
	s_mov_b32 s16, -1
                                        ; implicit-def: $vgpr2
.LBB78_147:
	s_mov_b32 s19, 0
.LBB78_148:
	s_delay_alu instid0(SALU_CYCLE_1)
	s_and_b32 vcc_lo, exec_lo, s19
	s_cbranch_vccz .LBB78_164
; %bb.149:
	s_cmp_lt_i32 s0, 27
	s_cbranch_scc1 .LBB78_152
; %bb.150:
	s_cmp_gt_i32 s0, 27
	s_cbranch_scc0 .LBB78_153
; %bb.151:
	s_wait_loadcnt 0x0
	global_load_b32 v2, v[0:1], off
	s_mov_b32 s15, 0
	s_branch .LBB78_154
.LBB78_152:
	s_mov_b32 s15, -1
                                        ; implicit-def: $vgpr2
	s_branch .LBB78_157
.LBB78_153:
	s_mov_b32 s15, -1
                                        ; implicit-def: $vgpr2
.LBB78_154:
	s_delay_alu instid0(SALU_CYCLE_1)
	s_and_not1_b32 vcc_lo, exec_lo, s15
	s_cbranch_vccnz .LBB78_156
; %bb.155:
	s_wait_loadcnt 0x0
	global_load_u16 v2, v[0:1], off
.LBB78_156:
	s_mov_b32 s15, 0
.LBB78_157:
	s_delay_alu instid0(SALU_CYCLE_1)
	s_and_not1_b32 vcc_lo, exec_lo, s15
	s_cbranch_vccnz .LBB78_163
; %bb.158:
	s_wait_loadcnt 0x0
	global_load_u8 v3, v[0:1], off
	s_mov_b32 s19, 0
	s_mov_b32 s15, exec_lo
	s_wait_loadcnt 0x0
	v_cmpx_lt_i16_e32 0x7f, v3
	s_xor_b32 s15, exec_lo, s15
	s_cbranch_execz .LBB78_174
; %bb.159:
	v_cmp_ne_u16_e32 vcc_lo, 0x80, v3
	s_and_b32 s19, vcc_lo, exec_lo
	s_and_not1_saveexec_b32 s15, s15
	s_cbranch_execnz .LBB78_175
.LBB78_160:
	s_or_b32 exec_lo, exec_lo, s15
	v_mov_b32_e32 v2, 0
	s_and_saveexec_b32 s15, s19
	s_cbranch_execz .LBB78_162
.LBB78_161:
	v_and_b32_e32 v2, 0xffff, v3
	s_delay_alu instid0(VALU_DEP_1) | instskip(SKIP_1) | instid1(VALU_DEP_2)
	v_and_b32_e32 v4, 7, v2
	v_bfe_u32 v7, v2, 3, 4
	v_clz_i32_u32_e32 v5, v4
	s_delay_alu instid0(VALU_DEP_2) | instskip(NEXT) | instid1(VALU_DEP_2)
	v_cmp_eq_u32_e32 vcc_lo, 0, v7
	v_min_u32_e32 v5, 32, v5
	s_delay_alu instid0(VALU_DEP_1) | instskip(NEXT) | instid1(VALU_DEP_1)
	v_subrev_nc_u32_e32 v6, 28, v5
	v_dual_lshlrev_b32 v2, v6, v2 :: v_dual_sub_nc_u32 v5, 29, v5
	s_delay_alu instid0(VALU_DEP_1) | instskip(NEXT) | instid1(VALU_DEP_1)
	v_dual_lshlrev_b32 v3, 24, v3 :: v_dual_bitop2_b32 v2, 7, v2 bitop3:0x40
	v_dual_cndmask_b32 v5, v7, v5 :: v_dual_cndmask_b32 v2, v4, v2
	s_delay_alu instid0(VALU_DEP_2) | instskip(NEXT) | instid1(VALU_DEP_2)
	v_and_b32_e32 v3, 0x80000000, v3
	v_lshl_add_u32 v4, v5, 23, 0x3b800000
	s_delay_alu instid0(VALU_DEP_3) | instskip(NEXT) | instid1(VALU_DEP_1)
	v_lshlrev_b32_e32 v2, 20, v2
	v_or3_b32 v2, v3, v4, v2
	s_delay_alu instid0(VALU_DEP_1)
	v_cvt_i32_f32_e32 v2, v2
.LBB78_162:
	s_or_b32 exec_lo, exec_lo, s15
.LBB78_163:
	s_mov_b32 s15, -1
.LBB78_164:
	s_branch .LBB78_197
.LBB78_165:
	s_cmp_gt_i32 s0, 22
	s_cbranch_scc0 .LBB78_173
; %bb.166:
	s_cmp_lt_i32 s0, 24
	s_cbranch_scc1 .LBB78_176
; %bb.167:
	s_cmp_gt_i32 s0, 24
	s_cbranch_scc0 .LBB78_177
; %bb.168:
	s_wait_loadcnt 0x0
	global_load_u8 v3, v[0:1], off
	s_mov_b32 s19, 0
	s_mov_b32 s15, exec_lo
	s_wait_loadcnt 0x0
	v_cmpx_lt_i16_e32 0x7f, v3
	s_xor_b32 s15, exec_lo, s15
	s_cbranch_execz .LBB78_189
; %bb.169:
	v_cmp_ne_u16_e32 vcc_lo, 0x80, v3
	s_and_b32 s19, vcc_lo, exec_lo
	s_and_not1_saveexec_b32 s15, s15
	s_cbranch_execnz .LBB78_190
.LBB78_170:
	s_or_b32 exec_lo, exec_lo, s15
	v_mov_b32_e32 v2, 0
	s_and_saveexec_b32 s15, s19
	s_cbranch_execz .LBB78_172
.LBB78_171:
	v_and_b32_e32 v2, 0xffff, v3
	s_delay_alu instid0(VALU_DEP_1) | instskip(SKIP_1) | instid1(VALU_DEP_2)
	v_and_b32_e32 v4, 3, v2
	v_bfe_u32 v7, v2, 2, 5
	v_clz_i32_u32_e32 v5, v4
	s_delay_alu instid0(VALU_DEP_2) | instskip(NEXT) | instid1(VALU_DEP_2)
	v_cmp_eq_u32_e32 vcc_lo, 0, v7
	v_min_u32_e32 v5, 32, v5
	s_delay_alu instid0(VALU_DEP_1) | instskip(NEXT) | instid1(VALU_DEP_1)
	v_subrev_nc_u32_e32 v6, 29, v5
	v_dual_lshlrev_b32 v2, v6, v2 :: v_dual_sub_nc_u32 v5, 30, v5
	s_delay_alu instid0(VALU_DEP_1) | instskip(NEXT) | instid1(VALU_DEP_1)
	v_dual_lshlrev_b32 v3, 24, v3 :: v_dual_bitop2_b32 v2, 3, v2 bitop3:0x40
	v_dual_cndmask_b32 v5, v7, v5 :: v_dual_cndmask_b32 v2, v4, v2
	s_delay_alu instid0(VALU_DEP_2) | instskip(NEXT) | instid1(VALU_DEP_2)
	v_and_b32_e32 v3, 0x80000000, v3
	v_lshl_add_u32 v4, v5, 23, 0x37800000
	s_delay_alu instid0(VALU_DEP_3) | instskip(NEXT) | instid1(VALU_DEP_1)
	v_lshlrev_b32_e32 v2, 21, v2
	v_or3_b32 v2, v3, v4, v2
	s_delay_alu instid0(VALU_DEP_1)
	v_cvt_i32_f32_e32 v2, v2
.LBB78_172:
	s_or_b32 exec_lo, exec_lo, s15
	s_mov_b32 s15, 0
	s_branch .LBB78_178
.LBB78_173:
	s_mov_b32 s19, -1
                                        ; implicit-def: $vgpr2
	s_branch .LBB78_184
.LBB78_174:
	s_and_not1_saveexec_b32 s15, s15
	s_cbranch_execz .LBB78_160
.LBB78_175:
	v_cmp_ne_u16_e32 vcc_lo, 0, v3
	s_and_not1_b32 s19, s19, exec_lo
	s_and_b32 s20, vcc_lo, exec_lo
	s_delay_alu instid0(SALU_CYCLE_1)
	s_or_b32 s19, s19, s20
	s_or_b32 exec_lo, exec_lo, s15
	v_mov_b32_e32 v2, 0
	s_and_saveexec_b32 s15, s19
	s_cbranch_execnz .LBB78_161
	s_branch .LBB78_162
.LBB78_176:
	s_mov_b32 s15, -1
                                        ; implicit-def: $vgpr2
	s_branch .LBB78_181
.LBB78_177:
	s_mov_b32 s15, -1
                                        ; implicit-def: $vgpr2
.LBB78_178:
	s_delay_alu instid0(SALU_CYCLE_1)
	s_and_b32 vcc_lo, exec_lo, s15
	s_cbranch_vccz .LBB78_180
; %bb.179:
	s_wait_loadcnt 0x0
	global_load_u8 v2, v[0:1], off
	s_wait_loadcnt 0x0
	v_lshlrev_b32_e32 v2, 24, v2
	s_delay_alu instid0(VALU_DEP_1) | instskip(NEXT) | instid1(VALU_DEP_1)
	v_and_b32_e32 v3, 0x7f000000, v2
	v_clz_i32_u32_e32 v4, v3
	v_cmp_ne_u32_e32 vcc_lo, 0, v3
	v_add_nc_u32_e32 v6, 0x1000000, v3
	s_delay_alu instid0(VALU_DEP_3) | instskip(NEXT) | instid1(VALU_DEP_1)
	v_min_u32_e32 v4, 32, v4
	v_sub_nc_u32_e64 v4, v4, 4 clamp
	s_delay_alu instid0(VALU_DEP_1) | instskip(NEXT) | instid1(VALU_DEP_1)
	v_dual_lshlrev_b32 v5, v4, v3 :: v_dual_lshlrev_b32 v4, 23, v4
	v_lshrrev_b32_e32 v5, 4, v5
	s_delay_alu instid0(VALU_DEP_1) | instskip(NEXT) | instid1(VALU_DEP_1)
	v_dual_sub_nc_u32 v4, v5, v4 :: v_dual_ashrrev_i32 v5, 8, v6
	v_add_nc_u32_e32 v4, 0x3c000000, v4
	s_delay_alu instid0(VALU_DEP_1) | instskip(NEXT) | instid1(VALU_DEP_1)
	v_and_or_b32 v4, 0x7f800000, v5, v4
	v_cndmask_b32_e32 v3, 0, v4, vcc_lo
	s_delay_alu instid0(VALU_DEP_1) | instskip(NEXT) | instid1(VALU_DEP_1)
	v_and_or_b32 v2, 0x80000000, v2, v3
	v_cvt_i32_f32_e32 v2, v2
.LBB78_180:
	s_mov_b32 s15, 0
.LBB78_181:
	s_delay_alu instid0(SALU_CYCLE_1)
	s_and_not1_b32 vcc_lo, exec_lo, s15
	s_cbranch_vccnz .LBB78_183
; %bb.182:
	s_wait_loadcnt 0x0
	global_load_u8 v2, v[0:1], off
	s_wait_loadcnt 0x0
	v_lshlrev_b32_e32 v3, 25, v2
	v_lshlrev_b16 v2, 8, v2
	s_delay_alu instid0(VALU_DEP_1) | instskip(SKIP_1) | instid1(VALU_DEP_2)
	v_and_or_b32 v5, 0x7f00, v2, 0.5
	v_bfe_i32 v2, v2, 0, 16
	v_dual_add_f32 v5, -0.5, v5 :: v_dual_lshrrev_b32 v4, 4, v3
	v_cmp_gt_u32_e32 vcc_lo, 0x8000000, v3
	s_delay_alu instid0(VALU_DEP_2) | instskip(NEXT) | instid1(VALU_DEP_1)
	v_or_b32_e32 v4, 0x70000000, v4
	v_mul_f32_e32 v4, 0x7800000, v4
	s_delay_alu instid0(VALU_DEP_1) | instskip(NEXT) | instid1(VALU_DEP_1)
	v_cndmask_b32_e32 v3, v4, v5, vcc_lo
	v_and_or_b32 v2, 0x80000000, v2, v3
	s_delay_alu instid0(VALU_DEP_1)
	v_cvt_i32_f32_e32 v2, v2
.LBB78_183:
	s_mov_b32 s19, 0
	s_mov_b32 s15, -1
.LBB78_184:
	s_and_not1_b32 vcc_lo, exec_lo, s19
	s_cbranch_vccnz .LBB78_197
; %bb.185:
	s_cmp_gt_i32 s0, 14
	s_cbranch_scc0 .LBB78_188
; %bb.186:
	s_cmp_eq_u32 s0, 15
	s_cbranch_scc0 .LBB78_191
; %bb.187:
	s_wait_loadcnt 0x0
	global_load_u16 v2, v[0:1], off
	s_mov_b32 s15, -1
	s_mov_b32 s16, 0
	s_wait_loadcnt 0x0
	v_lshlrev_b32_e32 v2, 16, v2
	s_delay_alu instid0(VALU_DEP_1)
	v_cvt_i32_f32_e32 v2, v2
	s_branch .LBB78_192
.LBB78_188:
	s_mov_b32 s19, -1
                                        ; implicit-def: $vgpr2
	s_branch .LBB78_193
.LBB78_189:
	s_and_not1_saveexec_b32 s15, s15
	s_cbranch_execz .LBB78_170
.LBB78_190:
	v_cmp_ne_u16_e32 vcc_lo, 0, v3
	s_and_not1_b32 s19, s19, exec_lo
	s_and_b32 s20, vcc_lo, exec_lo
	s_delay_alu instid0(SALU_CYCLE_1)
	s_or_b32 s19, s19, s20
	s_or_b32 exec_lo, exec_lo, s15
	v_mov_b32_e32 v2, 0
	s_and_saveexec_b32 s15, s19
	s_cbranch_execnz .LBB78_171
	s_branch .LBB78_172
.LBB78_191:
	s_mov_b32 s16, -1
                                        ; implicit-def: $vgpr2
.LBB78_192:
	s_mov_b32 s19, 0
.LBB78_193:
	s_delay_alu instid0(SALU_CYCLE_1)
	s_and_b32 vcc_lo, exec_lo, s19
	s_cbranch_vccz .LBB78_197
; %bb.194:
	s_cmp_eq_u32 s0, 11
	s_cbranch_scc0 .LBB78_196
; %bb.195:
	s_wait_loadcnt 0x0
	global_load_u8 v2, v[0:1], off
	s_mov_b32 s16, 0
	s_mov_b32 s15, -1
	s_wait_loadcnt 0x0
	v_cmp_ne_u16_e32 vcc_lo, 0, v2
	v_cndmask_b32_e64 v2, 0, 1, vcc_lo
	s_branch .LBB78_197
.LBB78_196:
	s_mov_b32 s16, -1
                                        ; implicit-def: $vgpr2
.LBB78_197:
	s_branch .LBB78_10
.LBB78_198:
	s_cmp_lt_i32 s0, 5
	s_cbranch_scc1 .LBB78_203
; %bb.199:
	s_cmp_lt_i32 s0, 8
	s_cbranch_scc1 .LBB78_204
; %bb.200:
	;; [unrolled: 3-line block ×3, first 2 shown]
	s_cmp_gt_i32 s0, 9
	s_cbranch_scc0 .LBB78_206
; %bb.202:
	s_wait_loadcnt 0x0
	global_load_b64 v[2:3], v[0:1], off
	s_mov_b32 s15, 0
	s_wait_loadcnt 0x0
	v_cvt_i32_f64_e32 v2, v[2:3]
	s_branch .LBB78_207
.LBB78_203:
                                        ; implicit-def: $vgpr2
	s_branch .LBB78_225
.LBB78_204:
	s_mov_b32 s15, -1
                                        ; implicit-def: $vgpr2
	s_branch .LBB78_213
.LBB78_205:
	s_mov_b32 s15, -1
                                        ; implicit-def: $vgpr2
	s_branch .LBB78_210
.LBB78_206:
	s_mov_b32 s15, -1
                                        ; implicit-def: $vgpr2
.LBB78_207:
	s_delay_alu instid0(SALU_CYCLE_1)
	s_and_not1_b32 vcc_lo, exec_lo, s15
	s_cbranch_vccnz .LBB78_209
; %bb.208:
	s_wait_loadcnt 0x0
	global_load_b32 v2, v[0:1], off
	s_wait_loadcnt 0x0
	v_cvt_i32_f32_e32 v2, v2
.LBB78_209:
	s_mov_b32 s15, 0
.LBB78_210:
	s_delay_alu instid0(SALU_CYCLE_1)
	s_and_not1_b32 vcc_lo, exec_lo, s15
	s_cbranch_vccnz .LBB78_212
; %bb.211:
	s_wait_loadcnt 0x0
	global_load_b32 v2, v[0:1], off
	s_wait_loadcnt 0x0
	v_cvt_i16_f16_e32 v2, v2
.LBB78_212:
	s_mov_b32 s15, 0
.LBB78_213:
	s_delay_alu instid0(SALU_CYCLE_1)
	s_and_not1_b32 vcc_lo, exec_lo, s15
	s_cbranch_vccnz .LBB78_224
; %bb.214:
	s_cmp_lt_i32 s0, 6
	s_cbranch_scc1 .LBB78_217
; %bb.215:
	s_cmp_gt_i32 s0, 6
	s_cbranch_scc0 .LBB78_218
; %bb.216:
	s_wait_loadcnt 0x0
	global_load_b64 v[2:3], v[0:1], off
	s_mov_b32 s15, 0
	s_wait_loadcnt 0x0
	v_cvt_i32_f64_e32 v2, v[2:3]
	s_branch .LBB78_219
.LBB78_217:
	s_mov_b32 s15, -1
                                        ; implicit-def: $vgpr2
	s_branch .LBB78_222
.LBB78_218:
	s_mov_b32 s15, -1
                                        ; implicit-def: $vgpr2
.LBB78_219:
	s_delay_alu instid0(SALU_CYCLE_1)
	s_and_not1_b32 vcc_lo, exec_lo, s15
	s_cbranch_vccnz .LBB78_221
; %bb.220:
	s_wait_loadcnt 0x0
	global_load_b32 v2, v[0:1], off
	s_wait_loadcnt 0x0
	v_cvt_i32_f32_e32 v2, v2
.LBB78_221:
	s_mov_b32 s15, 0
.LBB78_222:
	s_delay_alu instid0(SALU_CYCLE_1)
	s_and_not1_b32 vcc_lo, exec_lo, s15
	s_cbranch_vccnz .LBB78_224
; %bb.223:
	s_wait_loadcnt 0x0
	global_load_u16 v2, v[0:1], off
	s_wait_loadcnt 0x0
	v_cvt_i16_f16_e32 v2, v2
.LBB78_224:
	s_cbranch_execnz .LBB78_244
.LBB78_225:
	s_cmp_lt_i32 s0, 2
	s_cbranch_scc1 .LBB78_229
; %bb.226:
	s_cmp_lt_i32 s0, 3
	s_cbranch_scc1 .LBB78_230
; %bb.227:
	s_cmp_gt_i32 s0, 3
	s_cbranch_scc0 .LBB78_231
; %bb.228:
	s_wait_loadcnt 0x0
	global_load_b64 v[2:3], v[0:1], off
	s_mov_b32 s15, 0
	s_branch .LBB78_232
.LBB78_229:
	s_mov_b32 s15, -1
                                        ; implicit-def: $vgpr2
	s_branch .LBB78_238
.LBB78_230:
	s_mov_b32 s15, -1
                                        ; implicit-def: $vgpr2
	s_branch .LBB78_235
.LBB78_231:
	s_mov_b32 s15, -1
                                        ; implicit-def: $vgpr2
.LBB78_232:
	s_delay_alu instid0(SALU_CYCLE_1)
	s_and_not1_b32 vcc_lo, exec_lo, s15
	s_cbranch_vccnz .LBB78_234
; %bb.233:
	s_wait_loadcnt 0x0
	global_load_b32 v2, v[0:1], off
.LBB78_234:
	s_mov_b32 s15, 0
.LBB78_235:
	s_delay_alu instid0(SALU_CYCLE_1)
	s_and_not1_b32 vcc_lo, exec_lo, s15
	s_cbranch_vccnz .LBB78_237
; %bb.236:
	s_wait_loadcnt 0x0
	global_load_u16 v2, v[0:1], off
.LBB78_237:
	s_mov_b32 s15, 0
.LBB78_238:
	s_delay_alu instid0(SALU_CYCLE_1)
	s_and_not1_b32 vcc_lo, exec_lo, s15
	s_cbranch_vccnz .LBB78_244
; %bb.239:
	s_cmp_gt_i32 s0, 0
	s_mov_b32 s0, 0
	s_cbranch_scc0 .LBB78_241
; %bb.240:
	s_wait_loadcnt 0x0
	global_load_i8 v2, v[0:1], off
	s_branch .LBB78_242
.LBB78_241:
	s_mov_b32 s0, -1
                                        ; implicit-def: $vgpr2
.LBB78_242:
	s_delay_alu instid0(SALU_CYCLE_1)
	s_and_not1_b32 vcc_lo, exec_lo, s0
	s_cbranch_vccnz .LBB78_244
; %bb.243:
	s_wait_loadcnt 0x0
	global_load_u8 v2, v[0:1], off
.LBB78_244:
	s_branch .LBB78_11
.LBB78_245:
	s_mov_b32 s0, 0
.LBB78_246:
	s_mov_b32 s19, 0
                                        ; implicit-def: $vgpr10
.LBB78_247:
	s_and_b32 s15, s0, exec_lo
	s_and_b32 s16, s16, exec_lo
	s_or_not1_b32 s20, s19, exec_lo
.LBB78_248:
	s_wait_xcnt 0x0
	s_or_b32 exec_lo, exec_lo, s17
	s_mov_b32 s19, 0
	s_mov_b32 s0, 0
                                        ; implicit-def: $vgpr0_vgpr1
                                        ; implicit-def: $vgpr2
	s_and_saveexec_b32 s17, s20
	s_cbranch_execz .LBB78_257
; %bb.249:
	s_mov_b32 s0, -1
	s_mov_b32 s18, s16
	s_mov_b32 s19, s15
	s_mov_b32 s20, exec_lo
	v_cmpx_gt_i32_e64 s14, v10
	s_cbranch_execz .LBB78_507
; %bb.250:
	v_mul_lo_u32 v0, v10, s9
	s_and_b32 s0, 0xffff, s3
	s_delay_alu instid0(SALU_CYCLE_1) | instskip(NEXT) | instid1(VALU_DEP_1)
	s_cmp_lt_i32 s0, 11
	v_ashrrev_i32_e32 v1, 31, v0
	s_delay_alu instid0(VALU_DEP_1)
	v_add_nc_u64_e32 v[0:1], s[6:7], v[0:1]
	s_cbranch_scc1 .LBB78_260
; %bb.251:
	s_cmp_gt_i32 s0, 25
	s_cbranch_scc0 .LBB78_269
; %bb.252:
	s_cmp_gt_i32 s0, 28
	s_cbranch_scc0 .LBB78_271
	;; [unrolled: 3-line block ×4, first 2 shown]
; %bb.255:
	s_cmp_eq_u32 s0, 46
	s_mov_b32 s21, 0
	s_cbranch_scc0 .LBB78_281
; %bb.256:
	s_wait_loadcnt 0x0
	global_load_b32 v2, v[0:1], off
	s_mov_b32 s19, -1
	s_mov_b32 s18, 0
	s_wait_loadcnt 0x0
	v_lshlrev_b32_e32 v2, 16, v2
	s_delay_alu instid0(VALU_DEP_1)
	v_cvt_i32_f32_e32 v2, v2
	s_branch .LBB78_283
.LBB78_257:
	s_or_b32 exec_lo, exec_lo, s17
	s_mov_b32 s14, 0
	s_and_saveexec_b32 s17, s16
	s_cbranch_execnz .LBB78_847
.LBB78_258:
	s_or_b32 exec_lo, exec_lo, s17
	s_and_saveexec_b32 s16, s18
	s_delay_alu instid0(SALU_CYCLE_1)
	s_xor_b32 s16, exec_lo, s16
	s_cbranch_execz .LBB78_848
.LBB78_259:
	s_wait_loadcnt 0x0
	global_load_u8 v2, v[0:1], off
	s_or_b32 s0, s0, exec_lo
	s_wait_loadcnt 0x0
	v_cmp_ne_u16_e32 vcc_lo, 0, v2
	v_cndmask_b32_e64 v2, 0, 1, vcc_lo
	s_wait_xcnt 0x0
	s_or_b32 exec_lo, exec_lo, s16
	s_and_saveexec_b32 s16, s19
	s_cbranch_execz .LBB78_894
	s_branch .LBB78_849
.LBB78_260:
	s_mov_b32 s19, 0
	s_mov_b32 s18, s16
                                        ; implicit-def: $vgpr2
	s_cbranch_execnz .LBB78_456
.LBB78_261:
	s_and_not1_b32 vcc_lo, exec_lo, s19
	s_cbranch_vccnz .LBB78_504
.LBB78_262:
	s_wait_xcnt 0x0
	v_mul_lo_u32 v0, v10, s8
	s_wait_loadcnt 0x0
	s_delay_alu instid0(VALU_DEP_2) | instskip(SKIP_3) | instid1(VALU_DEP_2)
	v_cmp_ne_u16_e32 vcc_lo, s11, v2
	s_and_b32 s21, s2, 0xff
	s_xor_b32 s19, s13, vcc_lo
	s_cmp_lt_i32 s21, 11
	v_ashrrev_i32_e32 v1, 31, v0
	s_delay_alu instid0(VALU_DEP_1)
	v_add_nc_u64_e32 v[0:1], s[4:5], v[0:1]
	s_cbranch_scc1 .LBB78_270
; %bb.263:
	s_and_b32 s22, 0xffff, s21
	s_delay_alu instid0(SALU_CYCLE_1)
	s_cmp_gt_i32 s22, 25
	s_cbranch_scc0 .LBB78_272
; %bb.264:
	s_cmp_gt_i32 s22, 28
	s_cbranch_scc0 .LBB78_274
; %bb.265:
	;; [unrolled: 3-line block ×4, first 2 shown]
	s_mov_b32 s24, 0
	s_mov_b32 s0, -1
	s_cmp_eq_u32 s22, 46
	s_mov_b32 s23, 0
	s_cbranch_scc0 .LBB78_287
; %bb.268:
	v_cndmask_b32_e64 v2, 0, 1.0, s19
	s_mov_b32 s23, -1
	s_mov_b32 s0, 0
	s_delay_alu instid0(VALU_DEP_1) | instskip(NEXT) | instid1(VALU_DEP_1)
	v_bfe_u32 v3, v2, 16, 1
	v_add3_u32 v2, v2, v3, 0x7fff
	s_delay_alu instid0(VALU_DEP_1)
	v_lshrrev_b32_e32 v2, 16, v2
	global_store_b32 v[0:1], v2, off
	s_branch .LBB78_287
.LBB78_269:
	s_mov_b32 s21, -1
	s_mov_b32 s19, 0
	s_mov_b32 s18, s16
                                        ; implicit-def: $vgpr2
	s_branch .LBB78_422
.LBB78_270:
	s_mov_b32 s22, -1
	s_mov_b32 s23, 0
	s_mov_b32 s0, s15
	s_branch .LBB78_356
.LBB78_271:
	s_mov_b32 s21, -1
	s_mov_b32 s19, 0
	s_mov_b32 s18, s16
                                        ; implicit-def: $vgpr2
	s_branch .LBB78_405
.LBB78_272:
	s_mov_b32 s24, -1
	s_mov_b32 s23, 0
	s_mov_b32 s0, s15
	s_branch .LBB78_314
.LBB78_273:
	s_mov_b32 s21, -1
	s_mov_b32 s19, 0
	s_mov_b32 s18, s16
                                        ; implicit-def: $vgpr2
	s_branch .LBB78_400
.LBB78_274:
	s_mov_b32 s24, -1
	s_mov_b32 s23, 0
	s_mov_b32 s0, s15
	s_branch .LBB78_297
.LBB78_275:
	s_and_not1_saveexec_b32 s23, s23
	s_cbranch_execz .LBB78_54
.LBB78_276:
	v_add_f32_e32 v2, 0x46000000, v3
	s_and_not1_b32 s22, s22, exec_lo
	s_delay_alu instid0(VALU_DEP_1) | instskip(NEXT) | instid1(VALU_DEP_1)
	v_and_b32_e32 v2, 0xff, v2
	v_cmp_ne_u32_e32 vcc_lo, 0, v2
	s_and_b32 s24, vcc_lo, exec_lo
	s_delay_alu instid0(SALU_CYCLE_1)
	s_or_b32 s22, s22, s24
	s_or_b32 exec_lo, exec_lo, s23
	v_mov_b32_e32 v4, 0
	s_and_saveexec_b32 s23, s22
	s_cbranch_execnz .LBB78_55
	s_branch .LBB78_56
.LBB78_277:
	s_mov_b32 s21, -1
	s_mov_b32 s19, 0
	s_mov_b32 s18, s16
	s_branch .LBB78_282
.LBB78_278:
	s_mov_b32 s24, -1
	s_mov_b32 s23, 0
	s_mov_b32 s0, s15
	s_branch .LBB78_293
.LBB78_279:
	s_and_not1_saveexec_b32 s23, s23
	s_cbranch_execz .LBB78_67
.LBB78_280:
	v_add_f32_e32 v2, 0x42800000, v3
	s_and_not1_b32 s22, s22, exec_lo
	s_delay_alu instid0(VALU_DEP_1) | instskip(NEXT) | instid1(VALU_DEP_1)
	v_and_b32_e32 v2, 0xff, v2
	v_cmp_ne_u32_e32 vcc_lo, 0, v2
	s_and_b32 s24, vcc_lo, exec_lo
	s_delay_alu instid0(SALU_CYCLE_1)
	s_or_b32 s22, s22, s24
	s_or_b32 exec_lo, exec_lo, s23
	v_mov_b32_e32 v4, 0
	s_and_saveexec_b32 s23, s22
	s_cbranch_execnz .LBB78_68
	s_branch .LBB78_69
.LBB78_281:
	s_mov_b32 s18, -1
	s_mov_b32 s19, 0
.LBB78_282:
                                        ; implicit-def: $vgpr2
.LBB78_283:
	s_and_b32 vcc_lo, exec_lo, s21
	s_cbranch_vccz .LBB78_399
; %bb.284:
	s_cmp_eq_u32 s0, 44
	s_cbranch_scc0 .LBB78_398
; %bb.285:
	s_wait_loadcnt 0x0
	global_load_u8 v2, v[0:1], off
	s_mov_b32 s18, 0
	s_mov_b32 s19, -1
	s_wait_loadcnt 0x0
	v_lshlrev_b32_e32 v3, 23, v2
	v_cmp_ne_u32_e32 vcc_lo, 0, v2
	s_delay_alu instid0(VALU_DEP_2) | instskip(NEXT) | instid1(VALU_DEP_1)
	v_cvt_i32_f32_e32 v3, v3
	v_cndmask_b32_e32 v2, 0, v3, vcc_lo
	s_branch .LBB78_399
.LBB78_286:
	s_mov_b32 s24, -1
	s_mov_b32 s23, 0
	s_mov_b32 s0, s15
.LBB78_287:
	s_and_b32 vcc_lo, exec_lo, s24
	s_cbranch_vccz .LBB78_292
; %bb.288:
	s_cmp_eq_u32 s22, 44
	s_mov_b32 s0, -1
	s_cbranch_scc0 .LBB78_292
; %bb.289:
	v_cndmask_b32_e64 v4, 0, 1.0, s19
	s_mov_b32 s23, exec_lo
	s_wait_xcnt 0x0
	s_delay_alu instid0(VALU_DEP_1) | instskip(NEXT) | instid1(VALU_DEP_1)
	v_dual_mov_b32 v3, 0xff :: v_dual_lshrrev_b32 v2, 23, v4
	v_cmpx_ne_u32_e32 0xff, v2
; %bb.290:
	v_and_b32_e32 v3, 0x400000, v4
	v_and_or_b32 v4, 0x3fffff, v4, v2
	s_delay_alu instid0(VALU_DEP_2) | instskip(NEXT) | instid1(VALU_DEP_2)
	v_cmp_ne_u32_e32 vcc_lo, 0, v3
	v_cmp_ne_u32_e64 s0, 0, v4
	s_and_b32 s0, vcc_lo, s0
	s_delay_alu instid0(SALU_CYCLE_1) | instskip(NEXT) | instid1(VALU_DEP_1)
	v_cndmask_b32_e64 v3, 0, 1, s0
	v_add_nc_u32_e32 v3, v2, v3
; %bb.291:
	s_or_b32 exec_lo, exec_lo, s23
	s_mov_b32 s23, -1
	s_mov_b32 s0, 0
	global_store_b8 v[0:1], v3, off
.LBB78_292:
	s_mov_b32 s24, 0
.LBB78_293:
	s_delay_alu instid0(SALU_CYCLE_1)
	s_and_b32 vcc_lo, exec_lo, s24
	s_cbranch_vccz .LBB78_296
; %bb.294:
	s_cmp_eq_u32 s22, 29
	s_mov_b32 s0, -1
	s_cbranch_scc0 .LBB78_296
; %bb.295:
	s_mov_b32 s0, 0
	s_wait_xcnt 0x0
	v_cndmask_b32_e64 v2, 0, 1, s19
	v_mov_b32_e32 v3, s0
	s_mov_b32 s23, -1
	s_mov_b32 s24, 0
	global_store_b64 v[0:1], v[2:3], off
	s_branch .LBB78_297
.LBB78_296:
	s_mov_b32 s24, 0
.LBB78_297:
	s_delay_alu instid0(SALU_CYCLE_1)
	s_and_b32 vcc_lo, exec_lo, s24
	s_cbranch_vccz .LBB78_313
; %bb.298:
	s_cmp_lt_i32 s22, 27
	s_mov_b32 s23, -1
	s_cbranch_scc1 .LBB78_304
; %bb.299:
	s_cmp_gt_i32 s22, 27
	s_cbranch_scc0 .LBB78_301
; %bb.300:
	s_wait_xcnt 0x0
	v_cndmask_b32_e64 v2, 0, 1, s19
	s_mov_b32 s23, 0
	global_store_b32 v[0:1], v2, off
.LBB78_301:
	s_and_not1_b32 vcc_lo, exec_lo, s23
	s_cbranch_vccnz .LBB78_303
; %bb.302:
	s_wait_xcnt 0x0
	v_cndmask_b32_e64 v2, 0, 1, s19
	global_store_b16 v[0:1], v2, off
.LBB78_303:
	s_mov_b32 s23, 0
.LBB78_304:
	s_delay_alu instid0(SALU_CYCLE_1)
	s_and_not1_b32 vcc_lo, exec_lo, s23
	s_cbranch_vccnz .LBB78_312
; %bb.305:
	s_wait_xcnt 0x0
	v_cndmask_b32_e64 v3, 0, 1.0, s19
	v_mov_b32_e32 v4, 0x80
	s_mov_b32 s23, exec_lo
	s_delay_alu instid0(VALU_DEP_2)
	v_cmpx_gt_u32_e32 0x43800000, v3
	s_cbranch_execz .LBB78_311
; %bb.306:
	s_mov_b32 s24, 0
	s_mov_b32 s25, exec_lo
                                        ; implicit-def: $vgpr2
	v_cmpx_lt_u32_e32 0x3bffffff, v3
	s_xor_b32 s25, exec_lo, s25
	s_cbranch_execz .LBB78_520
; %bb.307:
	v_bfe_u32 v2, v3, 20, 1
	s_mov_b32 s24, exec_lo
	s_delay_alu instid0(VALU_DEP_1) | instskip(NEXT) | instid1(VALU_DEP_1)
	v_add3_u32 v2, v3, v2, 0x487ffff
                                        ; implicit-def: $vgpr3
	v_lshrrev_b32_e32 v2, 20, v2
	s_and_not1_saveexec_b32 s25, s25
	s_cbranch_execnz .LBB78_521
.LBB78_308:
	s_or_b32 exec_lo, exec_lo, s25
	v_mov_b32_e32 v4, 0
	s_and_saveexec_b32 s25, s24
.LBB78_309:
	v_mov_b32_e32 v4, v2
.LBB78_310:
	s_or_b32 exec_lo, exec_lo, s25
.LBB78_311:
	s_delay_alu instid0(SALU_CYCLE_1)
	s_or_b32 exec_lo, exec_lo, s23
	global_store_b8 v[0:1], v4, off
.LBB78_312:
	s_mov_b32 s23, -1
.LBB78_313:
	s_mov_b32 s24, 0
.LBB78_314:
	s_delay_alu instid0(SALU_CYCLE_1)
	s_and_b32 vcc_lo, exec_lo, s24
	s_cbranch_vccz .LBB78_355
; %bb.315:
	s_cmp_gt_i32 s22, 22
	s_mov_b32 s24, -1
	s_cbranch_scc0 .LBB78_347
; %bb.316:
	s_cmp_lt_i32 s22, 24
	s_mov_b32 s23, -1
	s_cbranch_scc1 .LBB78_336
; %bb.317:
	s_cmp_gt_i32 s22, 24
	s_cbranch_scc0 .LBB78_325
; %bb.318:
	s_wait_xcnt 0x0
	v_cndmask_b32_e64 v3, 0, 1.0, s19
	v_mov_b32_e32 v4, 0x80
	s_mov_b32 s23, exec_lo
	s_delay_alu instid0(VALU_DEP_2)
	v_cmpx_gt_u32_e32 0x47800000, v3
	s_cbranch_execz .LBB78_324
; %bb.319:
	s_mov_b32 s24, 0
	s_mov_b32 s25, exec_lo
                                        ; implicit-def: $vgpr2
	v_cmpx_lt_u32_e32 0x37ffffff, v3
	s_xor_b32 s25, exec_lo, s25
	s_cbranch_execz .LBB78_523
; %bb.320:
	v_bfe_u32 v2, v3, 21, 1
	s_mov_b32 s24, exec_lo
	s_delay_alu instid0(VALU_DEP_1) | instskip(NEXT) | instid1(VALU_DEP_1)
	v_add3_u32 v2, v3, v2, 0x88fffff
                                        ; implicit-def: $vgpr3
	v_lshrrev_b32_e32 v2, 21, v2
	s_and_not1_saveexec_b32 s25, s25
	s_cbranch_execnz .LBB78_524
.LBB78_321:
	s_or_b32 exec_lo, exec_lo, s25
	v_mov_b32_e32 v4, 0
	s_and_saveexec_b32 s25, s24
.LBB78_322:
	v_mov_b32_e32 v4, v2
.LBB78_323:
	s_or_b32 exec_lo, exec_lo, s25
.LBB78_324:
	s_delay_alu instid0(SALU_CYCLE_1)
	s_or_b32 exec_lo, exec_lo, s23
	s_mov_b32 s23, 0
	global_store_b8 v[0:1], v4, off
.LBB78_325:
	s_and_b32 vcc_lo, exec_lo, s23
	s_cbranch_vccz .LBB78_335
; %bb.326:
	s_wait_xcnt 0x0
	v_cndmask_b32_e64 v3, 0, 1.0, s19
	s_mov_b32 s23, exec_lo
                                        ; implicit-def: $vgpr2
	s_delay_alu instid0(VALU_DEP_1)
	v_cmpx_gt_u32_e32 0x43f00000, v3
	s_xor_b32 s23, exec_lo, s23
	s_cbranch_execz .LBB78_332
; %bb.327:
	s_mov_b32 s24, exec_lo
                                        ; implicit-def: $vgpr2
	v_cmpx_lt_u32_e32 0x3c7fffff, v3
	s_xor_b32 s24, exec_lo, s24
; %bb.328:
	v_bfe_u32 v2, v3, 20, 1
	s_delay_alu instid0(VALU_DEP_1) | instskip(NEXT) | instid1(VALU_DEP_1)
	v_add3_u32 v2, v3, v2, 0x407ffff
	v_and_b32_e32 v3, 0xff00000, v2
	v_lshrrev_b32_e32 v2, 20, v2
	s_delay_alu instid0(VALU_DEP_2) | instskip(NEXT) | instid1(VALU_DEP_2)
	v_cmp_ne_u32_e32 vcc_lo, 0x7f00000, v3
                                        ; implicit-def: $vgpr3
	v_cndmask_b32_e32 v2, 0x7e, v2, vcc_lo
; %bb.329:
	s_and_not1_saveexec_b32 s24, s24
; %bb.330:
	v_add_f32_e32 v2, 0x46800000, v3
; %bb.331:
	s_or_b32 exec_lo, exec_lo, s24
                                        ; implicit-def: $vgpr3
.LBB78_332:
	s_and_not1_saveexec_b32 s23, s23
; %bb.333:
	v_mov_b32_e32 v2, 0x7f
	v_cmp_lt_u32_e32 vcc_lo, 0x7f800000, v3
	s_delay_alu instid0(VALU_DEP_2)
	v_cndmask_b32_e32 v2, 0x7e, v2, vcc_lo
; %bb.334:
	s_or_b32 exec_lo, exec_lo, s23
	global_store_b8 v[0:1], v2, off
.LBB78_335:
	s_mov_b32 s23, 0
.LBB78_336:
	s_delay_alu instid0(SALU_CYCLE_1)
	s_and_not1_b32 vcc_lo, exec_lo, s23
	s_cbranch_vccnz .LBB78_346
; %bb.337:
	s_wait_xcnt 0x0
	v_cndmask_b32_e64 v3, 0, 1.0, s19
	s_mov_b32 s23, exec_lo
                                        ; implicit-def: $vgpr2
	s_delay_alu instid0(VALU_DEP_1)
	v_cmpx_gt_u32_e32 0x47800000, v3
	s_xor_b32 s23, exec_lo, s23
	s_cbranch_execz .LBB78_343
; %bb.338:
	s_mov_b32 s24, exec_lo
                                        ; implicit-def: $vgpr2
	v_cmpx_lt_u32_e32 0x387fffff, v3
	s_xor_b32 s24, exec_lo, s24
; %bb.339:
	v_bfe_u32 v2, v3, 21, 1
	s_delay_alu instid0(VALU_DEP_1) | instskip(NEXT) | instid1(VALU_DEP_1)
	v_add3_u32 v2, v3, v2, 0x80fffff
                                        ; implicit-def: $vgpr3
	v_lshrrev_b32_e32 v2, 21, v2
; %bb.340:
	s_and_not1_saveexec_b32 s24, s24
; %bb.341:
	v_add_f32_e32 v2, 0x43000000, v3
; %bb.342:
	s_or_b32 exec_lo, exec_lo, s24
                                        ; implicit-def: $vgpr3
.LBB78_343:
	s_and_not1_saveexec_b32 s23, s23
; %bb.344:
	v_mov_b32_e32 v2, 0x7f
	v_cmp_lt_u32_e32 vcc_lo, 0x7f800000, v3
	s_delay_alu instid0(VALU_DEP_2)
	v_cndmask_b32_e32 v2, 0x7c, v2, vcc_lo
; %bb.345:
	s_or_b32 exec_lo, exec_lo, s23
	global_store_b8 v[0:1], v2, off
.LBB78_346:
	s_mov_b32 s24, 0
	s_mov_b32 s23, -1
.LBB78_347:
	s_and_not1_b32 vcc_lo, exec_lo, s24
	s_cbranch_vccnz .LBB78_355
; %bb.348:
	s_cmp_gt_i32 s22, 14
	s_mov_b32 s24, -1
	s_cbranch_scc0 .LBB78_352
; %bb.349:
	s_cmp_eq_u32 s22, 15
	s_mov_b32 s0, -1
	s_cbranch_scc0 .LBB78_351
; %bb.350:
	s_wait_xcnt 0x0
	v_cndmask_b32_e64 v2, 0, 1.0, s19
	s_mov_b32 s23, -1
	s_mov_b32 s0, 0
	s_delay_alu instid0(VALU_DEP_1) | instskip(NEXT) | instid1(VALU_DEP_1)
	v_bfe_u32 v3, v2, 16, 1
	v_add3_u32 v2, v2, v3, 0x7fff
	global_store_d16_hi_b16 v[0:1], v2, off
.LBB78_351:
	s_mov_b32 s24, 0
.LBB78_352:
	s_delay_alu instid0(SALU_CYCLE_1)
	s_and_b32 vcc_lo, exec_lo, s24
	s_cbranch_vccz .LBB78_355
; %bb.353:
	s_cmp_eq_u32 s22, 11
	s_mov_b32 s0, -1
	s_cbranch_scc0 .LBB78_355
; %bb.354:
	s_wait_xcnt 0x0
	v_cndmask_b32_e64 v2, 0, 1, s19
	s_mov_b32 s23, -1
	s_mov_b32 s0, 0
	global_store_b8 v[0:1], v2, off
.LBB78_355:
	s_mov_b32 s22, 0
.LBB78_356:
	s_delay_alu instid0(SALU_CYCLE_1)
	s_and_b32 vcc_lo, exec_lo, s22
	s_cbranch_vccz .LBB78_395
; %bb.357:
	s_and_b32 s21, 0xffff, s21
	s_mov_b32 s22, -1
	s_cmp_lt_i32 s21, 5
	s_cbranch_scc1 .LBB78_378
; %bb.358:
	s_cmp_lt_i32 s21, 8
	s_cbranch_scc1 .LBB78_368
; %bb.359:
	;; [unrolled: 3-line block ×3, first 2 shown]
	s_cmp_gt_i32 s21, 9
	s_cbranch_scc0 .LBB78_362
; %bb.361:
	s_wait_xcnt 0x0
	v_cndmask_b32_e64 v2, 0, 1, s19
	v_mov_b32_e32 v4, 0
	s_mov_b32 s22, 0
	s_delay_alu instid0(VALU_DEP_2) | instskip(NEXT) | instid1(VALU_DEP_2)
	v_cvt_f64_u32_e32 v[2:3], v2
	v_mov_b32_e32 v5, v4
	global_store_b128 v[0:1], v[2:5], off
.LBB78_362:
	s_and_not1_b32 vcc_lo, exec_lo, s22
	s_cbranch_vccnz .LBB78_364
; %bb.363:
	s_wait_xcnt 0x0
	v_cndmask_b32_e64 v2, 0, 1.0, s19
	v_mov_b32_e32 v3, 0
	global_store_b64 v[0:1], v[2:3], off
.LBB78_364:
	s_mov_b32 s22, 0
.LBB78_365:
	s_delay_alu instid0(SALU_CYCLE_1)
	s_and_not1_b32 vcc_lo, exec_lo, s22
	s_cbranch_vccnz .LBB78_367
; %bb.366:
	s_wait_xcnt 0x0
	v_cndmask_b32_e64 v2, 0, 1.0, s19
	s_delay_alu instid0(VALU_DEP_1) | instskip(NEXT) | instid1(VALU_DEP_1)
	v_cvt_f16_f32_e32 v2, v2
	v_and_b32_e32 v2, 0xffff, v2
	global_store_b32 v[0:1], v2, off
.LBB78_367:
	s_mov_b32 s22, 0
.LBB78_368:
	s_delay_alu instid0(SALU_CYCLE_1)
	s_and_not1_b32 vcc_lo, exec_lo, s22
	s_cbranch_vccnz .LBB78_377
; %bb.369:
	s_cmp_lt_i32 s21, 6
	s_mov_b32 s22, -1
	s_cbranch_scc1 .LBB78_375
; %bb.370:
	s_cmp_gt_i32 s21, 6
	s_cbranch_scc0 .LBB78_372
; %bb.371:
	s_wait_xcnt 0x0
	v_cndmask_b32_e64 v2, 0, 1, s19
	s_mov_b32 s22, 0
	s_delay_alu instid0(VALU_DEP_1)
	v_cvt_f64_u32_e32 v[2:3], v2
	global_store_b64 v[0:1], v[2:3], off
.LBB78_372:
	s_and_not1_b32 vcc_lo, exec_lo, s22
	s_cbranch_vccnz .LBB78_374
; %bb.373:
	s_wait_xcnt 0x0
	v_cndmask_b32_e64 v2, 0, 1.0, s19
	global_store_b32 v[0:1], v2, off
.LBB78_374:
	s_mov_b32 s22, 0
.LBB78_375:
	s_delay_alu instid0(SALU_CYCLE_1)
	s_and_not1_b32 vcc_lo, exec_lo, s22
	s_cbranch_vccnz .LBB78_377
; %bb.376:
	s_wait_xcnt 0x0
	v_cndmask_b32_e64 v2, 0, 1.0, s19
	s_delay_alu instid0(VALU_DEP_1)
	v_cvt_f16_f32_e32 v2, v2
	global_store_b16 v[0:1], v2, off
.LBB78_377:
	s_mov_b32 s22, 0
.LBB78_378:
	s_delay_alu instid0(SALU_CYCLE_1)
	s_and_not1_b32 vcc_lo, exec_lo, s22
	s_cbranch_vccnz .LBB78_394
; %bb.379:
	s_cmp_lt_i32 s21, 2
	s_mov_b32 s22, -1
	s_cbranch_scc1 .LBB78_389
; %bb.380:
	s_cmp_lt_i32 s21, 3
	s_cbranch_scc1 .LBB78_386
; %bb.381:
	s_cmp_gt_i32 s21, 3
	s_cbranch_scc0 .LBB78_383
; %bb.382:
	s_mov_b32 s22, 0
	s_wait_xcnt 0x0
	v_cndmask_b32_e64 v2, 0, 1, s19
	v_mov_b32_e32 v3, s22
	global_store_b64 v[0:1], v[2:3], off
.LBB78_383:
	s_and_not1_b32 vcc_lo, exec_lo, s22
	s_cbranch_vccnz .LBB78_385
; %bb.384:
	s_wait_xcnt 0x0
	v_cndmask_b32_e64 v2, 0, 1, s19
	global_store_b32 v[0:1], v2, off
.LBB78_385:
	s_mov_b32 s22, 0
.LBB78_386:
	s_delay_alu instid0(SALU_CYCLE_1)
	s_and_not1_b32 vcc_lo, exec_lo, s22
	s_cbranch_vccnz .LBB78_388
; %bb.387:
	s_wait_xcnt 0x0
	v_cndmask_b32_e64 v2, 0, 1, s19
	global_store_b16 v[0:1], v2, off
.LBB78_388:
	s_mov_b32 s22, 0
.LBB78_389:
	s_delay_alu instid0(SALU_CYCLE_1)
	s_and_not1_b32 vcc_lo, exec_lo, s22
	s_cbranch_vccnz .LBB78_394
; %bb.390:
	s_wait_xcnt 0x0
	v_cndmask_b32_e64 v2, 0, 1, s19
	s_cmp_gt_i32 s21, 0
	s_mov_b32 s19, -1
	s_cbranch_scc0 .LBB78_392
; %bb.391:
	s_mov_b32 s19, 0
	global_store_b8 v[0:1], v2, off
.LBB78_392:
	s_and_not1_b32 vcc_lo, exec_lo, s19
	s_cbranch_vccnz .LBB78_394
; %bb.393:
	global_store_b8 v[0:1], v2, off
.LBB78_394:
	s_mov_b32 s23, -1
.LBB78_395:
	s_delay_alu instid0(SALU_CYCLE_1)
	s_and_not1_b32 vcc_lo, exec_lo, s23
	s_cbranch_vccnz .LBB78_397
; %bb.396:
	v_add_nc_u32_e32 v10, 0x80, v10
	s_mov_b32 s21, -1
	s_branch .LBB78_506
.LBB78_397:
	s_mov_b32 s21, 0
	s_branch .LBB78_505
.LBB78_398:
	s_mov_b32 s18, -1
                                        ; implicit-def: $vgpr2
.LBB78_399:
	s_mov_b32 s21, 0
.LBB78_400:
	s_delay_alu instid0(SALU_CYCLE_1)
	s_and_b32 vcc_lo, exec_lo, s21
	s_cbranch_vccz .LBB78_404
; %bb.401:
	s_cmp_eq_u32 s0, 29
	s_cbranch_scc0 .LBB78_403
; %bb.402:
	s_wait_loadcnt 0x0
	global_load_b64 v[2:3], v[0:1], off
	s_mov_b32 s19, -1
	s_mov_b32 s18, 0
	s_branch .LBB78_404
.LBB78_403:
	s_mov_b32 s18, -1
                                        ; implicit-def: $vgpr2
.LBB78_404:
	s_mov_b32 s21, 0
.LBB78_405:
	s_delay_alu instid0(SALU_CYCLE_1)
	s_and_b32 vcc_lo, exec_lo, s21
	s_cbranch_vccz .LBB78_421
; %bb.406:
	s_cmp_lt_i32 s0, 27
	s_cbranch_scc1 .LBB78_409
; %bb.407:
	s_cmp_gt_i32 s0, 27
	s_cbranch_scc0 .LBB78_410
; %bb.408:
	s_wait_loadcnt 0x0
	global_load_b32 v2, v[0:1], off
	s_mov_b32 s19, 0
	s_branch .LBB78_411
.LBB78_409:
	s_mov_b32 s19, -1
                                        ; implicit-def: $vgpr2
	s_branch .LBB78_414
.LBB78_410:
	s_mov_b32 s19, -1
                                        ; implicit-def: $vgpr2
.LBB78_411:
	s_delay_alu instid0(SALU_CYCLE_1)
	s_and_not1_b32 vcc_lo, exec_lo, s19
	s_cbranch_vccnz .LBB78_413
; %bb.412:
	s_wait_loadcnt 0x0
	global_load_u16 v2, v[0:1], off
.LBB78_413:
	s_mov_b32 s19, 0
.LBB78_414:
	s_delay_alu instid0(SALU_CYCLE_1)
	s_and_not1_b32 vcc_lo, exec_lo, s19
	s_cbranch_vccnz .LBB78_420
; %bb.415:
	s_wait_loadcnt 0x0
	global_load_u8 v3, v[0:1], off
	s_mov_b32 s21, 0
	s_mov_b32 s19, exec_lo
	s_wait_loadcnt 0x0
	v_cmpx_lt_i16_e32 0x7f, v3
	s_xor_b32 s19, exec_lo, s19
	s_cbranch_execz .LBB78_432
; %bb.416:
	v_cmp_ne_u16_e32 vcc_lo, 0x80, v3
	s_and_b32 s21, vcc_lo, exec_lo
	s_and_not1_saveexec_b32 s19, s19
	s_cbranch_execnz .LBB78_433
.LBB78_417:
	s_or_b32 exec_lo, exec_lo, s19
	v_mov_b32_e32 v2, 0
	s_and_saveexec_b32 s19, s21
	s_cbranch_execz .LBB78_419
.LBB78_418:
	v_and_b32_e32 v2, 0xffff, v3
	s_delay_alu instid0(VALU_DEP_1) | instskip(SKIP_1) | instid1(VALU_DEP_2)
	v_and_b32_e32 v4, 7, v2
	v_bfe_u32 v7, v2, 3, 4
	v_clz_i32_u32_e32 v5, v4
	s_delay_alu instid0(VALU_DEP_2) | instskip(NEXT) | instid1(VALU_DEP_2)
	v_cmp_eq_u32_e32 vcc_lo, 0, v7
	v_min_u32_e32 v5, 32, v5
	s_delay_alu instid0(VALU_DEP_1) | instskip(NEXT) | instid1(VALU_DEP_1)
	v_subrev_nc_u32_e32 v6, 28, v5
	v_dual_lshlrev_b32 v2, v6, v2 :: v_dual_sub_nc_u32 v5, 29, v5
	s_delay_alu instid0(VALU_DEP_1) | instskip(NEXT) | instid1(VALU_DEP_1)
	v_dual_lshlrev_b32 v3, 24, v3 :: v_dual_bitop2_b32 v2, 7, v2 bitop3:0x40
	v_dual_cndmask_b32 v5, v7, v5 :: v_dual_cndmask_b32 v2, v4, v2
	s_delay_alu instid0(VALU_DEP_2) | instskip(NEXT) | instid1(VALU_DEP_2)
	v_and_b32_e32 v3, 0x80000000, v3
	v_lshl_add_u32 v4, v5, 23, 0x3b800000
	s_delay_alu instid0(VALU_DEP_3) | instskip(NEXT) | instid1(VALU_DEP_1)
	v_lshlrev_b32_e32 v2, 20, v2
	v_or3_b32 v2, v3, v4, v2
	s_delay_alu instid0(VALU_DEP_1)
	v_cvt_i32_f32_e32 v2, v2
.LBB78_419:
	s_or_b32 exec_lo, exec_lo, s19
.LBB78_420:
	s_mov_b32 s19, -1
.LBB78_421:
	s_mov_b32 s21, 0
.LBB78_422:
	s_delay_alu instid0(SALU_CYCLE_1)
	s_and_b32 vcc_lo, exec_lo, s21
	s_cbranch_vccz .LBB78_455
; %bb.423:
	s_cmp_gt_i32 s0, 22
	s_cbranch_scc0 .LBB78_431
; %bb.424:
	s_cmp_lt_i32 s0, 24
	s_cbranch_scc1 .LBB78_434
; %bb.425:
	s_cmp_gt_i32 s0, 24
	s_cbranch_scc0 .LBB78_435
; %bb.426:
	s_wait_loadcnt 0x0
	global_load_u8 v3, v[0:1], off
	s_mov_b32 s21, 0
	s_mov_b32 s19, exec_lo
	s_wait_loadcnt 0x0
	v_cmpx_lt_i16_e32 0x7f, v3
	s_xor_b32 s19, exec_lo, s19
	s_cbranch_execz .LBB78_447
; %bb.427:
	v_cmp_ne_u16_e32 vcc_lo, 0x80, v3
	s_and_b32 s21, vcc_lo, exec_lo
	s_and_not1_saveexec_b32 s19, s19
	s_cbranch_execnz .LBB78_448
.LBB78_428:
	s_or_b32 exec_lo, exec_lo, s19
	v_mov_b32_e32 v2, 0
	s_and_saveexec_b32 s19, s21
	s_cbranch_execz .LBB78_430
.LBB78_429:
	v_and_b32_e32 v2, 0xffff, v3
	s_delay_alu instid0(VALU_DEP_1) | instskip(SKIP_1) | instid1(VALU_DEP_2)
	v_and_b32_e32 v4, 3, v2
	v_bfe_u32 v7, v2, 2, 5
	v_clz_i32_u32_e32 v5, v4
	s_delay_alu instid0(VALU_DEP_2) | instskip(NEXT) | instid1(VALU_DEP_2)
	v_cmp_eq_u32_e32 vcc_lo, 0, v7
	v_min_u32_e32 v5, 32, v5
	s_delay_alu instid0(VALU_DEP_1) | instskip(NEXT) | instid1(VALU_DEP_1)
	v_subrev_nc_u32_e32 v6, 29, v5
	v_dual_lshlrev_b32 v2, v6, v2 :: v_dual_sub_nc_u32 v5, 30, v5
	s_delay_alu instid0(VALU_DEP_1) | instskip(NEXT) | instid1(VALU_DEP_1)
	v_dual_lshlrev_b32 v3, 24, v3 :: v_dual_bitop2_b32 v2, 3, v2 bitop3:0x40
	v_dual_cndmask_b32 v5, v7, v5 :: v_dual_cndmask_b32 v2, v4, v2
	s_delay_alu instid0(VALU_DEP_2) | instskip(NEXT) | instid1(VALU_DEP_2)
	v_and_b32_e32 v3, 0x80000000, v3
	v_lshl_add_u32 v4, v5, 23, 0x37800000
	s_delay_alu instid0(VALU_DEP_3) | instskip(NEXT) | instid1(VALU_DEP_1)
	v_lshlrev_b32_e32 v2, 21, v2
	v_or3_b32 v2, v3, v4, v2
	s_delay_alu instid0(VALU_DEP_1)
	v_cvt_i32_f32_e32 v2, v2
.LBB78_430:
	s_or_b32 exec_lo, exec_lo, s19
	s_mov_b32 s19, 0
	s_branch .LBB78_436
.LBB78_431:
	s_mov_b32 s21, -1
                                        ; implicit-def: $vgpr2
	s_branch .LBB78_442
.LBB78_432:
	s_and_not1_saveexec_b32 s19, s19
	s_cbranch_execz .LBB78_417
.LBB78_433:
	v_cmp_ne_u16_e32 vcc_lo, 0, v3
	s_and_not1_b32 s21, s21, exec_lo
	s_and_b32 s22, vcc_lo, exec_lo
	s_delay_alu instid0(SALU_CYCLE_1)
	s_or_b32 s21, s21, s22
	s_or_b32 exec_lo, exec_lo, s19
	v_mov_b32_e32 v2, 0
	s_and_saveexec_b32 s19, s21
	s_cbranch_execnz .LBB78_418
	s_branch .LBB78_419
.LBB78_434:
	s_mov_b32 s19, -1
                                        ; implicit-def: $vgpr2
	s_branch .LBB78_439
.LBB78_435:
	s_mov_b32 s19, -1
                                        ; implicit-def: $vgpr2
.LBB78_436:
	s_delay_alu instid0(SALU_CYCLE_1)
	s_and_b32 vcc_lo, exec_lo, s19
	s_cbranch_vccz .LBB78_438
; %bb.437:
	s_wait_loadcnt 0x0
	global_load_u8 v2, v[0:1], off
	s_wait_loadcnt 0x0
	v_lshlrev_b32_e32 v2, 24, v2
	s_delay_alu instid0(VALU_DEP_1) | instskip(NEXT) | instid1(VALU_DEP_1)
	v_and_b32_e32 v3, 0x7f000000, v2
	v_clz_i32_u32_e32 v4, v3
	v_cmp_ne_u32_e32 vcc_lo, 0, v3
	v_add_nc_u32_e32 v6, 0x1000000, v3
	s_delay_alu instid0(VALU_DEP_3) | instskip(NEXT) | instid1(VALU_DEP_1)
	v_min_u32_e32 v4, 32, v4
	v_sub_nc_u32_e64 v4, v4, 4 clamp
	s_delay_alu instid0(VALU_DEP_1) | instskip(NEXT) | instid1(VALU_DEP_1)
	v_dual_lshlrev_b32 v5, v4, v3 :: v_dual_lshlrev_b32 v4, 23, v4
	v_lshrrev_b32_e32 v5, 4, v5
	s_delay_alu instid0(VALU_DEP_1) | instskip(NEXT) | instid1(VALU_DEP_1)
	v_dual_sub_nc_u32 v4, v5, v4 :: v_dual_ashrrev_i32 v5, 8, v6
	v_add_nc_u32_e32 v4, 0x3c000000, v4
	s_delay_alu instid0(VALU_DEP_1) | instskip(NEXT) | instid1(VALU_DEP_1)
	v_and_or_b32 v4, 0x7f800000, v5, v4
	v_cndmask_b32_e32 v3, 0, v4, vcc_lo
	s_delay_alu instid0(VALU_DEP_1) | instskip(NEXT) | instid1(VALU_DEP_1)
	v_and_or_b32 v2, 0x80000000, v2, v3
	v_cvt_i32_f32_e32 v2, v2
.LBB78_438:
	s_mov_b32 s19, 0
.LBB78_439:
	s_delay_alu instid0(SALU_CYCLE_1)
	s_and_not1_b32 vcc_lo, exec_lo, s19
	s_cbranch_vccnz .LBB78_441
; %bb.440:
	s_wait_loadcnt 0x0
	global_load_u8 v2, v[0:1], off
	s_wait_loadcnt 0x0
	v_lshlrev_b32_e32 v3, 25, v2
	v_lshlrev_b16 v2, 8, v2
	s_delay_alu instid0(VALU_DEP_1) | instskip(SKIP_1) | instid1(VALU_DEP_2)
	v_and_or_b32 v5, 0x7f00, v2, 0.5
	v_bfe_i32 v2, v2, 0, 16
	v_dual_add_f32 v5, -0.5, v5 :: v_dual_lshrrev_b32 v4, 4, v3
	v_cmp_gt_u32_e32 vcc_lo, 0x8000000, v3
	s_delay_alu instid0(VALU_DEP_2) | instskip(NEXT) | instid1(VALU_DEP_1)
	v_or_b32_e32 v4, 0x70000000, v4
	v_mul_f32_e32 v4, 0x7800000, v4
	s_delay_alu instid0(VALU_DEP_1) | instskip(NEXT) | instid1(VALU_DEP_1)
	v_cndmask_b32_e32 v3, v4, v5, vcc_lo
	v_and_or_b32 v2, 0x80000000, v2, v3
	s_delay_alu instid0(VALU_DEP_1)
	v_cvt_i32_f32_e32 v2, v2
.LBB78_441:
	s_mov_b32 s21, 0
	s_mov_b32 s19, -1
.LBB78_442:
	s_and_not1_b32 vcc_lo, exec_lo, s21
	s_cbranch_vccnz .LBB78_455
; %bb.443:
	s_cmp_gt_i32 s0, 14
	s_cbranch_scc0 .LBB78_446
; %bb.444:
	s_cmp_eq_u32 s0, 15
	s_cbranch_scc0 .LBB78_449
; %bb.445:
	s_wait_loadcnt 0x0
	global_load_u16 v2, v[0:1], off
	s_mov_b32 s19, -1
	s_mov_b32 s18, 0
	s_wait_loadcnt 0x0
	v_lshlrev_b32_e32 v2, 16, v2
	s_delay_alu instid0(VALU_DEP_1)
	v_cvt_i32_f32_e32 v2, v2
	s_branch .LBB78_450
.LBB78_446:
	s_mov_b32 s21, -1
                                        ; implicit-def: $vgpr2
	s_branch .LBB78_451
.LBB78_447:
	s_and_not1_saveexec_b32 s19, s19
	s_cbranch_execz .LBB78_428
.LBB78_448:
	v_cmp_ne_u16_e32 vcc_lo, 0, v3
	s_and_not1_b32 s21, s21, exec_lo
	s_and_b32 s22, vcc_lo, exec_lo
	s_delay_alu instid0(SALU_CYCLE_1)
	s_or_b32 s21, s21, s22
	s_or_b32 exec_lo, exec_lo, s19
	v_mov_b32_e32 v2, 0
	s_and_saveexec_b32 s19, s21
	s_cbranch_execnz .LBB78_429
	s_branch .LBB78_430
.LBB78_449:
	s_mov_b32 s18, -1
                                        ; implicit-def: $vgpr2
.LBB78_450:
	s_mov_b32 s21, 0
.LBB78_451:
	s_delay_alu instid0(SALU_CYCLE_1)
	s_and_b32 vcc_lo, exec_lo, s21
	s_cbranch_vccz .LBB78_455
; %bb.452:
	s_cmp_eq_u32 s0, 11
	s_cbranch_scc0 .LBB78_454
; %bb.453:
	s_wait_loadcnt 0x0
	global_load_u8 v2, v[0:1], off
	s_mov_b32 s18, 0
	s_mov_b32 s19, -1
	s_wait_loadcnt 0x0
	v_cmp_ne_u16_e32 vcc_lo, 0, v2
	v_cndmask_b32_e64 v2, 0, 1, vcc_lo
	s_branch .LBB78_455
.LBB78_454:
	s_mov_b32 s18, -1
                                        ; implicit-def: $vgpr2
.LBB78_455:
	s_branch .LBB78_261
.LBB78_456:
	s_cmp_lt_i32 s0, 5
	s_cbranch_scc1 .LBB78_461
; %bb.457:
	s_cmp_lt_i32 s0, 8
	s_cbranch_scc1 .LBB78_462
; %bb.458:
	;; [unrolled: 3-line block ×3, first 2 shown]
	s_cmp_gt_i32 s0, 9
	s_cbranch_scc0 .LBB78_464
; %bb.460:
	s_wait_loadcnt 0x0
	global_load_b64 v[2:3], v[0:1], off
	s_mov_b32 s19, 0
	s_wait_loadcnt 0x0
	v_cvt_i32_f64_e32 v2, v[2:3]
	s_branch .LBB78_465
.LBB78_461:
	s_mov_b32 s19, -1
                                        ; implicit-def: $vgpr2
	s_branch .LBB78_483
.LBB78_462:
	s_mov_b32 s19, -1
                                        ; implicit-def: $vgpr2
	s_branch .LBB78_471
.LBB78_463:
	s_mov_b32 s19, -1
                                        ; implicit-def: $vgpr2
	s_branch .LBB78_468
.LBB78_464:
	s_mov_b32 s19, -1
                                        ; implicit-def: $vgpr2
.LBB78_465:
	s_delay_alu instid0(SALU_CYCLE_1)
	s_and_not1_b32 vcc_lo, exec_lo, s19
	s_cbranch_vccnz .LBB78_467
; %bb.466:
	s_wait_loadcnt 0x0
	global_load_b32 v2, v[0:1], off
	s_wait_loadcnt 0x0
	v_cvt_i32_f32_e32 v2, v2
.LBB78_467:
	s_mov_b32 s19, 0
.LBB78_468:
	s_delay_alu instid0(SALU_CYCLE_1)
	s_and_not1_b32 vcc_lo, exec_lo, s19
	s_cbranch_vccnz .LBB78_470
; %bb.469:
	s_wait_loadcnt 0x0
	global_load_b32 v2, v[0:1], off
	s_wait_loadcnt 0x0
	v_cvt_i16_f16_e32 v2, v2
.LBB78_470:
	s_mov_b32 s19, 0
.LBB78_471:
	s_delay_alu instid0(SALU_CYCLE_1)
	s_and_not1_b32 vcc_lo, exec_lo, s19
	s_cbranch_vccnz .LBB78_482
; %bb.472:
	s_cmp_lt_i32 s0, 6
	s_cbranch_scc1 .LBB78_475
; %bb.473:
	s_cmp_gt_i32 s0, 6
	s_cbranch_scc0 .LBB78_476
; %bb.474:
	s_wait_loadcnt 0x0
	global_load_b64 v[2:3], v[0:1], off
	s_mov_b32 s19, 0
	s_wait_loadcnt 0x0
	v_cvt_i32_f64_e32 v2, v[2:3]
	s_branch .LBB78_477
.LBB78_475:
	s_mov_b32 s19, -1
                                        ; implicit-def: $vgpr2
	s_branch .LBB78_480
.LBB78_476:
	s_mov_b32 s19, -1
                                        ; implicit-def: $vgpr2
.LBB78_477:
	s_delay_alu instid0(SALU_CYCLE_1)
	s_and_not1_b32 vcc_lo, exec_lo, s19
	s_cbranch_vccnz .LBB78_479
; %bb.478:
	s_wait_loadcnt 0x0
	global_load_b32 v2, v[0:1], off
	s_wait_loadcnt 0x0
	v_cvt_i32_f32_e32 v2, v2
.LBB78_479:
	s_mov_b32 s19, 0
.LBB78_480:
	s_delay_alu instid0(SALU_CYCLE_1)
	s_and_not1_b32 vcc_lo, exec_lo, s19
	s_cbranch_vccnz .LBB78_482
; %bb.481:
	s_wait_loadcnt 0x0
	global_load_u16 v2, v[0:1], off
	s_wait_loadcnt 0x0
	v_cvt_i16_f16_e32 v2, v2
.LBB78_482:
	s_mov_b32 s19, 0
.LBB78_483:
	s_delay_alu instid0(SALU_CYCLE_1)
	s_and_not1_b32 vcc_lo, exec_lo, s19
	s_cbranch_vccnz .LBB78_503
; %bb.484:
	s_cmp_lt_i32 s0, 2
	s_cbranch_scc1 .LBB78_488
; %bb.485:
	s_cmp_lt_i32 s0, 3
	s_cbranch_scc1 .LBB78_489
; %bb.486:
	s_cmp_gt_i32 s0, 3
	s_cbranch_scc0 .LBB78_490
; %bb.487:
	s_wait_loadcnt 0x0
	global_load_b64 v[2:3], v[0:1], off
	s_mov_b32 s19, 0
	s_branch .LBB78_491
.LBB78_488:
	s_mov_b32 s19, -1
                                        ; implicit-def: $vgpr2
	s_branch .LBB78_497
.LBB78_489:
	s_mov_b32 s19, -1
                                        ; implicit-def: $vgpr2
	s_branch .LBB78_494
.LBB78_490:
	s_mov_b32 s19, -1
                                        ; implicit-def: $vgpr2
.LBB78_491:
	s_delay_alu instid0(SALU_CYCLE_1)
	s_and_not1_b32 vcc_lo, exec_lo, s19
	s_cbranch_vccnz .LBB78_493
; %bb.492:
	s_wait_loadcnt 0x0
	global_load_b32 v2, v[0:1], off
.LBB78_493:
	s_mov_b32 s19, 0
.LBB78_494:
	s_delay_alu instid0(SALU_CYCLE_1)
	s_and_not1_b32 vcc_lo, exec_lo, s19
	s_cbranch_vccnz .LBB78_496
; %bb.495:
	s_wait_loadcnt 0x0
	global_load_u16 v2, v[0:1], off
.LBB78_496:
	s_mov_b32 s19, 0
.LBB78_497:
	s_delay_alu instid0(SALU_CYCLE_1)
	s_and_not1_b32 vcc_lo, exec_lo, s19
	s_cbranch_vccnz .LBB78_503
; %bb.498:
	s_cmp_gt_i32 s0, 0
	s_mov_b32 s0, 0
	s_cbranch_scc0 .LBB78_500
; %bb.499:
	s_wait_loadcnt 0x0
	global_load_i8 v2, v[0:1], off
	s_branch .LBB78_501
.LBB78_500:
	s_mov_b32 s0, -1
                                        ; implicit-def: $vgpr2
.LBB78_501:
	s_delay_alu instid0(SALU_CYCLE_1)
	s_and_not1_b32 vcc_lo, exec_lo, s0
	s_cbranch_vccnz .LBB78_503
; %bb.502:
	s_wait_loadcnt 0x0
	global_load_u8 v2, v[0:1], off
.LBB78_503:
	s_branch .LBB78_262
.LBB78_504:
	s_mov_b32 s21, 0
	s_mov_b32 s0, s15
.LBB78_505:
                                        ; implicit-def: $vgpr10
.LBB78_506:
	s_and_not1_b32 s19, s15, exec_lo
	s_and_b32 s0, s0, exec_lo
	s_and_not1_b32 s22, s16, exec_lo
	s_and_b32 s18, s18, exec_lo
	s_or_b32 s19, s19, s0
	s_or_b32 s18, s22, s18
	s_or_not1_b32 s0, s21, exec_lo
.LBB78_507:
	s_wait_xcnt 0x0
	s_or_b32 exec_lo, exec_lo, s20
	s_mov_b32 s21, 0
	s_mov_b32 s22, 0
	;; [unrolled: 1-line block ×3, first 2 shown]
                                        ; implicit-def: $vgpr0_vgpr1
                                        ; implicit-def: $vgpr2
	s_and_saveexec_b32 s20, s0
	s_cbranch_execz .LBB78_846
; %bb.508:
	s_mov_b32 s23, -1
	s_mov_b32 s0, s18
	s_mov_b32 s22, s19
	s_mov_b32 s21, exec_lo
	v_cmpx_gt_i32_e64 s14, v10
	s_cbranch_execz .LBB78_764
; %bb.509:
	v_mul_lo_u32 v0, v10, s9
	s_and_b32 s0, 0xffff, s3
	s_delay_alu instid0(SALU_CYCLE_1) | instskip(NEXT) | instid1(VALU_DEP_1)
	s_cmp_lt_i32 s0, 11
	v_ashrrev_i32_e32 v1, 31, v0
	s_delay_alu instid0(VALU_DEP_1)
	v_add_nc_u64_e32 v[0:1], s[6:7], v[0:1]
	s_cbranch_scc1 .LBB78_516
; %bb.510:
	s_cmp_gt_i32 s0, 25
	s_cbranch_scc0 .LBB78_517
; %bb.511:
	s_cmp_gt_i32 s0, 28
	s_cbranch_scc0 .LBB78_518
	;; [unrolled: 3-line block ×4, first 2 shown]
; %bb.514:
	s_cmp_eq_u32 s0, 46
	s_mov_b32 s24, 0
	s_cbranch_scc0 .LBB78_525
; %bb.515:
	s_wait_loadcnt 0x0
	global_load_b32 v2, v[0:1], off
	s_mov_b32 s22, 0
	s_wait_loadcnt 0x0
	v_lshlrev_b32_e32 v2, 16, v2
	s_delay_alu instid0(VALU_DEP_1)
	v_cvt_i32_f32_e32 v2, v2
	s_branch .LBB78_527
.LBB78_516:
	s_mov_b32 s24, -1
	s_mov_b32 s23, 0
	s_mov_b32 s22, s18
                                        ; implicit-def: $vgpr2
	s_branch .LBB78_588
.LBB78_517:
	s_mov_b32 s24, -1
	s_mov_b32 s23, 0
	s_mov_b32 s22, s18
                                        ; implicit-def: $vgpr2
	s_branch .LBB78_554
.LBB78_518:
	s_mov_b32 s24, -1
	s_mov_b32 s23, 0
	s_mov_b32 s22, s18
                                        ; implicit-def: $vgpr2
	s_branch .LBB78_537
.LBB78_519:
	s_mov_b32 s24, -1
	s_mov_b32 s23, 0
	s_mov_b32 s22, s18
                                        ; implicit-def: $vgpr2
	s_branch .LBB78_532
.LBB78_520:
	s_and_not1_saveexec_b32 s25, s25
	s_cbranch_execz .LBB78_308
.LBB78_521:
	v_add_f32_e32 v2, 0x46000000, v3
	s_and_not1_b32 s24, s24, exec_lo
	s_delay_alu instid0(VALU_DEP_1) | instskip(NEXT) | instid1(VALU_DEP_1)
	v_and_b32_e32 v2, 0xff, v2
	v_cmp_ne_u32_e32 vcc_lo, 0, v2
	s_and_b32 s26, vcc_lo, exec_lo
	s_delay_alu instid0(SALU_CYCLE_1)
	s_or_b32 s24, s24, s26
	s_or_b32 exec_lo, exec_lo, s25
	v_mov_b32_e32 v4, 0
	s_and_saveexec_b32 s25, s24
	s_cbranch_execnz .LBB78_309
	s_branch .LBB78_310
.LBB78_522:
	s_mov_b32 s24, -1
	s_mov_b32 s23, 0
	s_mov_b32 s22, s18
	s_branch .LBB78_526
.LBB78_523:
	s_and_not1_saveexec_b32 s25, s25
	s_cbranch_execz .LBB78_321
.LBB78_524:
	v_add_f32_e32 v2, 0x42800000, v3
	s_and_not1_b32 s24, s24, exec_lo
	s_delay_alu instid0(VALU_DEP_1) | instskip(NEXT) | instid1(VALU_DEP_1)
	v_and_b32_e32 v2, 0xff, v2
	v_cmp_ne_u32_e32 vcc_lo, 0, v2
	s_and_b32 s26, vcc_lo, exec_lo
	s_delay_alu instid0(SALU_CYCLE_1)
	s_or_b32 s24, s24, s26
	s_or_b32 exec_lo, exec_lo, s25
	v_mov_b32_e32 v4, 0
	s_and_saveexec_b32 s25, s24
	s_cbranch_execnz .LBB78_322
	s_branch .LBB78_323
.LBB78_525:
	s_mov_b32 s22, -1
	s_mov_b32 s23, 0
.LBB78_526:
                                        ; implicit-def: $vgpr2
.LBB78_527:
	s_and_b32 vcc_lo, exec_lo, s24
	s_cbranch_vccz .LBB78_531
; %bb.528:
	s_cmp_eq_u32 s0, 44
	s_cbranch_scc0 .LBB78_530
; %bb.529:
	s_wait_loadcnt 0x0
	global_load_u8 v2, v[0:1], off
	s_mov_b32 s22, 0
	s_mov_b32 s23, -1
	s_wait_loadcnt 0x0
	v_lshlrev_b32_e32 v3, 23, v2
	v_cmp_ne_u32_e32 vcc_lo, 0, v2
	s_delay_alu instid0(VALU_DEP_2) | instskip(NEXT) | instid1(VALU_DEP_1)
	v_cvt_i32_f32_e32 v3, v3
	v_cndmask_b32_e32 v2, 0, v3, vcc_lo
	s_branch .LBB78_531
.LBB78_530:
	s_mov_b32 s22, -1
                                        ; implicit-def: $vgpr2
.LBB78_531:
	s_mov_b32 s24, 0
.LBB78_532:
	s_delay_alu instid0(SALU_CYCLE_1)
	s_and_b32 vcc_lo, exec_lo, s24
	s_cbranch_vccz .LBB78_536
; %bb.533:
	s_cmp_eq_u32 s0, 29
	s_cbranch_scc0 .LBB78_535
; %bb.534:
	s_wait_loadcnt 0x0
	global_load_b64 v[2:3], v[0:1], off
	s_mov_b32 s23, -1
	s_mov_b32 s22, 0
	s_branch .LBB78_536
.LBB78_535:
	s_mov_b32 s22, -1
                                        ; implicit-def: $vgpr2
.LBB78_536:
	s_mov_b32 s24, 0
.LBB78_537:
	s_delay_alu instid0(SALU_CYCLE_1)
	s_and_b32 vcc_lo, exec_lo, s24
	s_cbranch_vccz .LBB78_553
; %bb.538:
	s_cmp_lt_i32 s0, 27
	s_cbranch_scc1 .LBB78_541
; %bb.539:
	s_cmp_gt_i32 s0, 27
	s_cbranch_scc0 .LBB78_542
; %bb.540:
	s_wait_loadcnt 0x0
	global_load_b32 v2, v[0:1], off
	s_mov_b32 s23, 0
	s_branch .LBB78_543
.LBB78_541:
	s_mov_b32 s23, -1
                                        ; implicit-def: $vgpr2
	s_branch .LBB78_546
.LBB78_542:
	s_mov_b32 s23, -1
                                        ; implicit-def: $vgpr2
.LBB78_543:
	s_delay_alu instid0(SALU_CYCLE_1)
	s_and_not1_b32 vcc_lo, exec_lo, s23
	s_cbranch_vccnz .LBB78_545
; %bb.544:
	s_wait_loadcnt 0x0
	global_load_u16 v2, v[0:1], off
.LBB78_545:
	s_mov_b32 s23, 0
.LBB78_546:
	s_delay_alu instid0(SALU_CYCLE_1)
	s_and_not1_b32 vcc_lo, exec_lo, s23
	s_cbranch_vccnz .LBB78_552
; %bb.547:
	s_wait_loadcnt 0x0
	global_load_u8 v3, v[0:1], off
	s_mov_b32 s24, 0
	s_mov_b32 s23, exec_lo
	s_wait_loadcnt 0x0
	v_cmpx_lt_i16_e32 0x7f, v3
	s_xor_b32 s23, exec_lo, s23
	s_cbranch_execz .LBB78_564
; %bb.548:
	v_cmp_ne_u16_e32 vcc_lo, 0x80, v3
	s_and_b32 s24, vcc_lo, exec_lo
	s_and_not1_saveexec_b32 s23, s23
	s_cbranch_execnz .LBB78_565
.LBB78_549:
	s_or_b32 exec_lo, exec_lo, s23
	v_mov_b32_e32 v2, 0
	s_and_saveexec_b32 s23, s24
	s_cbranch_execz .LBB78_551
.LBB78_550:
	v_and_b32_e32 v2, 0xffff, v3
	s_delay_alu instid0(VALU_DEP_1) | instskip(SKIP_1) | instid1(VALU_DEP_2)
	v_and_b32_e32 v4, 7, v2
	v_bfe_u32 v7, v2, 3, 4
	v_clz_i32_u32_e32 v5, v4
	s_delay_alu instid0(VALU_DEP_2) | instskip(NEXT) | instid1(VALU_DEP_2)
	v_cmp_eq_u32_e32 vcc_lo, 0, v7
	v_min_u32_e32 v5, 32, v5
	s_delay_alu instid0(VALU_DEP_1) | instskip(NEXT) | instid1(VALU_DEP_1)
	v_subrev_nc_u32_e32 v6, 28, v5
	v_dual_lshlrev_b32 v2, v6, v2 :: v_dual_sub_nc_u32 v5, 29, v5
	s_delay_alu instid0(VALU_DEP_1) | instskip(NEXT) | instid1(VALU_DEP_1)
	v_dual_lshlrev_b32 v3, 24, v3 :: v_dual_bitop2_b32 v2, 7, v2 bitop3:0x40
	v_dual_cndmask_b32 v5, v7, v5 :: v_dual_cndmask_b32 v2, v4, v2
	s_delay_alu instid0(VALU_DEP_2) | instskip(NEXT) | instid1(VALU_DEP_2)
	v_and_b32_e32 v3, 0x80000000, v3
	v_lshl_add_u32 v4, v5, 23, 0x3b800000
	s_delay_alu instid0(VALU_DEP_3) | instskip(NEXT) | instid1(VALU_DEP_1)
	v_lshlrev_b32_e32 v2, 20, v2
	v_or3_b32 v2, v3, v4, v2
	s_delay_alu instid0(VALU_DEP_1)
	v_cvt_i32_f32_e32 v2, v2
.LBB78_551:
	s_or_b32 exec_lo, exec_lo, s23
.LBB78_552:
	s_mov_b32 s23, -1
.LBB78_553:
	s_mov_b32 s24, 0
.LBB78_554:
	s_delay_alu instid0(SALU_CYCLE_1)
	s_and_b32 vcc_lo, exec_lo, s24
	s_cbranch_vccz .LBB78_587
; %bb.555:
	s_cmp_gt_i32 s0, 22
	s_cbranch_scc0 .LBB78_563
; %bb.556:
	s_cmp_lt_i32 s0, 24
	s_cbranch_scc1 .LBB78_566
; %bb.557:
	s_cmp_gt_i32 s0, 24
	s_cbranch_scc0 .LBB78_567
; %bb.558:
	s_wait_loadcnt 0x0
	global_load_u8 v3, v[0:1], off
	s_mov_b32 s24, 0
	s_mov_b32 s23, exec_lo
	s_wait_loadcnt 0x0
	v_cmpx_lt_i16_e32 0x7f, v3
	s_xor_b32 s23, exec_lo, s23
	s_cbranch_execz .LBB78_579
; %bb.559:
	v_cmp_ne_u16_e32 vcc_lo, 0x80, v3
	s_and_b32 s24, vcc_lo, exec_lo
	s_and_not1_saveexec_b32 s23, s23
	s_cbranch_execnz .LBB78_580
.LBB78_560:
	s_or_b32 exec_lo, exec_lo, s23
	v_mov_b32_e32 v2, 0
	s_and_saveexec_b32 s23, s24
	s_cbranch_execz .LBB78_562
.LBB78_561:
	v_and_b32_e32 v2, 0xffff, v3
	s_delay_alu instid0(VALU_DEP_1) | instskip(SKIP_1) | instid1(VALU_DEP_2)
	v_and_b32_e32 v4, 3, v2
	v_bfe_u32 v7, v2, 2, 5
	v_clz_i32_u32_e32 v5, v4
	s_delay_alu instid0(VALU_DEP_2) | instskip(NEXT) | instid1(VALU_DEP_2)
	v_cmp_eq_u32_e32 vcc_lo, 0, v7
	v_min_u32_e32 v5, 32, v5
	s_delay_alu instid0(VALU_DEP_1) | instskip(NEXT) | instid1(VALU_DEP_1)
	v_subrev_nc_u32_e32 v6, 29, v5
	v_dual_lshlrev_b32 v2, v6, v2 :: v_dual_sub_nc_u32 v5, 30, v5
	s_delay_alu instid0(VALU_DEP_1) | instskip(NEXT) | instid1(VALU_DEP_1)
	v_dual_lshlrev_b32 v3, 24, v3 :: v_dual_bitop2_b32 v2, 3, v2 bitop3:0x40
	v_dual_cndmask_b32 v5, v7, v5 :: v_dual_cndmask_b32 v2, v4, v2
	s_delay_alu instid0(VALU_DEP_2) | instskip(NEXT) | instid1(VALU_DEP_2)
	v_and_b32_e32 v3, 0x80000000, v3
	v_lshl_add_u32 v4, v5, 23, 0x37800000
	s_delay_alu instid0(VALU_DEP_3) | instskip(NEXT) | instid1(VALU_DEP_1)
	v_lshlrev_b32_e32 v2, 21, v2
	v_or3_b32 v2, v3, v4, v2
	s_delay_alu instid0(VALU_DEP_1)
	v_cvt_i32_f32_e32 v2, v2
.LBB78_562:
	s_or_b32 exec_lo, exec_lo, s23
	s_mov_b32 s23, 0
	s_branch .LBB78_568
.LBB78_563:
	s_mov_b32 s24, -1
                                        ; implicit-def: $vgpr2
	s_branch .LBB78_574
.LBB78_564:
	s_and_not1_saveexec_b32 s23, s23
	s_cbranch_execz .LBB78_549
.LBB78_565:
	v_cmp_ne_u16_e32 vcc_lo, 0, v3
	s_and_not1_b32 s24, s24, exec_lo
	s_and_b32 s25, vcc_lo, exec_lo
	s_delay_alu instid0(SALU_CYCLE_1)
	s_or_b32 s24, s24, s25
	s_or_b32 exec_lo, exec_lo, s23
	v_mov_b32_e32 v2, 0
	s_and_saveexec_b32 s23, s24
	s_cbranch_execnz .LBB78_550
	s_branch .LBB78_551
.LBB78_566:
	s_mov_b32 s23, -1
                                        ; implicit-def: $vgpr2
	s_branch .LBB78_571
.LBB78_567:
	s_mov_b32 s23, -1
                                        ; implicit-def: $vgpr2
.LBB78_568:
	s_delay_alu instid0(SALU_CYCLE_1)
	s_and_b32 vcc_lo, exec_lo, s23
	s_cbranch_vccz .LBB78_570
; %bb.569:
	s_wait_loadcnt 0x0
	global_load_u8 v2, v[0:1], off
	s_wait_loadcnt 0x0
	v_lshlrev_b32_e32 v2, 24, v2
	s_delay_alu instid0(VALU_DEP_1) | instskip(NEXT) | instid1(VALU_DEP_1)
	v_and_b32_e32 v3, 0x7f000000, v2
	v_clz_i32_u32_e32 v4, v3
	v_cmp_ne_u32_e32 vcc_lo, 0, v3
	v_add_nc_u32_e32 v6, 0x1000000, v3
	s_delay_alu instid0(VALU_DEP_3) | instskip(NEXT) | instid1(VALU_DEP_1)
	v_min_u32_e32 v4, 32, v4
	v_sub_nc_u32_e64 v4, v4, 4 clamp
	s_delay_alu instid0(VALU_DEP_1) | instskip(NEXT) | instid1(VALU_DEP_1)
	v_dual_lshlrev_b32 v5, v4, v3 :: v_dual_lshlrev_b32 v4, 23, v4
	v_lshrrev_b32_e32 v5, 4, v5
	s_delay_alu instid0(VALU_DEP_1) | instskip(NEXT) | instid1(VALU_DEP_1)
	v_dual_sub_nc_u32 v4, v5, v4 :: v_dual_ashrrev_i32 v5, 8, v6
	v_add_nc_u32_e32 v4, 0x3c000000, v4
	s_delay_alu instid0(VALU_DEP_1) | instskip(NEXT) | instid1(VALU_DEP_1)
	v_and_or_b32 v4, 0x7f800000, v5, v4
	v_cndmask_b32_e32 v3, 0, v4, vcc_lo
	s_delay_alu instid0(VALU_DEP_1) | instskip(NEXT) | instid1(VALU_DEP_1)
	v_and_or_b32 v2, 0x80000000, v2, v3
	v_cvt_i32_f32_e32 v2, v2
.LBB78_570:
	s_mov_b32 s23, 0
.LBB78_571:
	s_delay_alu instid0(SALU_CYCLE_1)
	s_and_not1_b32 vcc_lo, exec_lo, s23
	s_cbranch_vccnz .LBB78_573
; %bb.572:
	s_wait_loadcnt 0x0
	global_load_u8 v2, v[0:1], off
	s_wait_loadcnt 0x0
	v_lshlrev_b32_e32 v3, 25, v2
	v_lshlrev_b16 v2, 8, v2
	s_delay_alu instid0(VALU_DEP_1) | instskip(SKIP_1) | instid1(VALU_DEP_2)
	v_and_or_b32 v5, 0x7f00, v2, 0.5
	v_bfe_i32 v2, v2, 0, 16
	v_dual_add_f32 v5, -0.5, v5 :: v_dual_lshrrev_b32 v4, 4, v3
	v_cmp_gt_u32_e32 vcc_lo, 0x8000000, v3
	s_delay_alu instid0(VALU_DEP_2) | instskip(NEXT) | instid1(VALU_DEP_1)
	v_or_b32_e32 v4, 0x70000000, v4
	v_mul_f32_e32 v4, 0x7800000, v4
	s_delay_alu instid0(VALU_DEP_1) | instskip(NEXT) | instid1(VALU_DEP_1)
	v_cndmask_b32_e32 v3, v4, v5, vcc_lo
	v_and_or_b32 v2, 0x80000000, v2, v3
	s_delay_alu instid0(VALU_DEP_1)
	v_cvt_i32_f32_e32 v2, v2
.LBB78_573:
	s_mov_b32 s24, 0
	s_mov_b32 s23, -1
.LBB78_574:
	s_and_not1_b32 vcc_lo, exec_lo, s24
	s_cbranch_vccnz .LBB78_587
; %bb.575:
	s_cmp_gt_i32 s0, 14
	s_cbranch_scc0 .LBB78_578
; %bb.576:
	s_cmp_eq_u32 s0, 15
	s_cbranch_scc0 .LBB78_581
; %bb.577:
	s_wait_loadcnt 0x0
	global_load_u16 v2, v[0:1], off
	s_mov_b32 s23, -1
	s_mov_b32 s22, 0
	s_wait_loadcnt 0x0
	v_lshlrev_b32_e32 v2, 16, v2
	s_delay_alu instid0(VALU_DEP_1)
	v_cvt_i32_f32_e32 v2, v2
	s_branch .LBB78_582
.LBB78_578:
	s_mov_b32 s24, -1
                                        ; implicit-def: $vgpr2
	s_branch .LBB78_583
.LBB78_579:
	s_and_not1_saveexec_b32 s23, s23
	s_cbranch_execz .LBB78_560
.LBB78_580:
	v_cmp_ne_u16_e32 vcc_lo, 0, v3
	s_and_not1_b32 s24, s24, exec_lo
	s_and_b32 s25, vcc_lo, exec_lo
	s_delay_alu instid0(SALU_CYCLE_1)
	s_or_b32 s24, s24, s25
	s_or_b32 exec_lo, exec_lo, s23
	v_mov_b32_e32 v2, 0
	s_and_saveexec_b32 s23, s24
	s_cbranch_execnz .LBB78_561
	s_branch .LBB78_562
.LBB78_581:
	s_mov_b32 s22, -1
                                        ; implicit-def: $vgpr2
.LBB78_582:
	s_mov_b32 s24, 0
.LBB78_583:
	s_delay_alu instid0(SALU_CYCLE_1)
	s_and_b32 vcc_lo, exec_lo, s24
	s_cbranch_vccz .LBB78_587
; %bb.584:
	s_cmp_eq_u32 s0, 11
	s_cbranch_scc0 .LBB78_586
; %bb.585:
	s_wait_loadcnt 0x0
	global_load_u8 v2, v[0:1], off
	s_mov_b32 s22, 0
	s_mov_b32 s23, -1
	s_wait_loadcnt 0x0
	v_cmp_ne_u16_e32 vcc_lo, 0, v2
	v_cndmask_b32_e64 v2, 0, 1, vcc_lo
	s_branch .LBB78_587
.LBB78_586:
	s_mov_b32 s22, -1
                                        ; implicit-def: $vgpr2
.LBB78_587:
	s_mov_b32 s24, 0
.LBB78_588:
	s_delay_alu instid0(SALU_CYCLE_1)
	s_and_b32 vcc_lo, exec_lo, s24
	s_cbranch_vccz .LBB78_637
; %bb.589:
	s_cmp_lt_i32 s0, 5
	s_cbranch_scc1 .LBB78_594
; %bb.590:
	s_cmp_lt_i32 s0, 8
	s_cbranch_scc1 .LBB78_595
	;; [unrolled: 3-line block ×3, first 2 shown]
; %bb.592:
	s_cmp_gt_i32 s0, 9
	s_cbranch_scc0 .LBB78_597
; %bb.593:
	s_wait_loadcnt 0x0
	global_load_b64 v[2:3], v[0:1], off
	s_mov_b32 s23, 0
	s_wait_loadcnt 0x0
	v_cvt_i32_f64_e32 v2, v[2:3]
	s_branch .LBB78_598
.LBB78_594:
	s_mov_b32 s23, -1
                                        ; implicit-def: $vgpr2
	s_branch .LBB78_616
.LBB78_595:
	s_mov_b32 s23, -1
                                        ; implicit-def: $vgpr2
	s_branch .LBB78_604
.LBB78_596:
	s_mov_b32 s23, -1
                                        ; implicit-def: $vgpr2
	s_branch .LBB78_601
.LBB78_597:
	s_mov_b32 s23, -1
                                        ; implicit-def: $vgpr2
.LBB78_598:
	s_delay_alu instid0(SALU_CYCLE_1)
	s_and_not1_b32 vcc_lo, exec_lo, s23
	s_cbranch_vccnz .LBB78_600
; %bb.599:
	s_wait_loadcnt 0x0
	global_load_b32 v2, v[0:1], off
	s_wait_loadcnt 0x0
	v_cvt_i32_f32_e32 v2, v2
.LBB78_600:
	s_mov_b32 s23, 0
.LBB78_601:
	s_delay_alu instid0(SALU_CYCLE_1)
	s_and_not1_b32 vcc_lo, exec_lo, s23
	s_cbranch_vccnz .LBB78_603
; %bb.602:
	s_wait_loadcnt 0x0
	global_load_b32 v2, v[0:1], off
	s_wait_loadcnt 0x0
	v_cvt_i16_f16_e32 v2, v2
.LBB78_603:
	s_mov_b32 s23, 0
.LBB78_604:
	s_delay_alu instid0(SALU_CYCLE_1)
	s_and_not1_b32 vcc_lo, exec_lo, s23
	s_cbranch_vccnz .LBB78_615
; %bb.605:
	s_cmp_lt_i32 s0, 6
	s_cbranch_scc1 .LBB78_608
; %bb.606:
	s_cmp_gt_i32 s0, 6
	s_cbranch_scc0 .LBB78_609
; %bb.607:
	s_wait_loadcnt 0x0
	global_load_b64 v[2:3], v[0:1], off
	s_mov_b32 s23, 0
	s_wait_loadcnt 0x0
	v_cvt_i32_f64_e32 v2, v[2:3]
	s_branch .LBB78_610
.LBB78_608:
	s_mov_b32 s23, -1
                                        ; implicit-def: $vgpr2
	s_branch .LBB78_613
.LBB78_609:
	s_mov_b32 s23, -1
                                        ; implicit-def: $vgpr2
.LBB78_610:
	s_delay_alu instid0(SALU_CYCLE_1)
	s_and_not1_b32 vcc_lo, exec_lo, s23
	s_cbranch_vccnz .LBB78_612
; %bb.611:
	s_wait_loadcnt 0x0
	global_load_b32 v2, v[0:1], off
	s_wait_loadcnt 0x0
	v_cvt_i32_f32_e32 v2, v2
.LBB78_612:
	s_mov_b32 s23, 0
.LBB78_613:
	s_delay_alu instid0(SALU_CYCLE_1)
	s_and_not1_b32 vcc_lo, exec_lo, s23
	s_cbranch_vccnz .LBB78_615
; %bb.614:
	s_wait_loadcnt 0x0
	global_load_u16 v2, v[0:1], off
	s_wait_loadcnt 0x0
	v_cvt_i16_f16_e32 v2, v2
.LBB78_615:
	s_mov_b32 s23, 0
.LBB78_616:
	s_delay_alu instid0(SALU_CYCLE_1)
	s_and_not1_b32 vcc_lo, exec_lo, s23
	s_cbranch_vccnz .LBB78_636
; %bb.617:
	s_cmp_lt_i32 s0, 2
	s_cbranch_scc1 .LBB78_621
; %bb.618:
	s_cmp_lt_i32 s0, 3
	s_cbranch_scc1 .LBB78_622
; %bb.619:
	s_cmp_gt_i32 s0, 3
	s_cbranch_scc0 .LBB78_623
; %bb.620:
	s_wait_loadcnt 0x0
	global_load_b64 v[2:3], v[0:1], off
	s_mov_b32 s23, 0
	s_branch .LBB78_624
.LBB78_621:
	s_mov_b32 s23, -1
                                        ; implicit-def: $vgpr2
	s_branch .LBB78_630
.LBB78_622:
	s_mov_b32 s23, -1
                                        ; implicit-def: $vgpr2
	s_branch .LBB78_627
.LBB78_623:
	s_mov_b32 s23, -1
                                        ; implicit-def: $vgpr2
.LBB78_624:
	s_delay_alu instid0(SALU_CYCLE_1)
	s_and_not1_b32 vcc_lo, exec_lo, s23
	s_cbranch_vccnz .LBB78_626
; %bb.625:
	s_wait_loadcnt 0x0
	global_load_b32 v2, v[0:1], off
.LBB78_626:
	s_mov_b32 s23, 0
.LBB78_627:
	s_delay_alu instid0(SALU_CYCLE_1)
	s_and_not1_b32 vcc_lo, exec_lo, s23
	s_cbranch_vccnz .LBB78_629
; %bb.628:
	s_wait_loadcnt 0x0
	global_load_u16 v2, v[0:1], off
.LBB78_629:
	s_mov_b32 s23, 0
.LBB78_630:
	s_delay_alu instid0(SALU_CYCLE_1)
	s_and_not1_b32 vcc_lo, exec_lo, s23
	s_cbranch_vccnz .LBB78_636
; %bb.631:
	s_cmp_gt_i32 s0, 0
	s_mov_b32 s0, 0
	s_cbranch_scc0 .LBB78_633
; %bb.632:
	s_wait_loadcnt 0x0
	global_load_i8 v2, v[0:1], off
	s_branch .LBB78_634
.LBB78_633:
	s_mov_b32 s0, -1
                                        ; implicit-def: $vgpr2
.LBB78_634:
	s_delay_alu instid0(SALU_CYCLE_1)
	s_and_not1_b32 vcc_lo, exec_lo, s0
	s_cbranch_vccnz .LBB78_636
; %bb.635:
	s_wait_loadcnt 0x0
	global_load_u8 v2, v[0:1], off
.LBB78_636:
	s_mov_b32 s23, -1
.LBB78_637:
	s_delay_alu instid0(SALU_CYCLE_1)
	s_and_not1_b32 vcc_lo, exec_lo, s23
	s_cbranch_vccnz .LBB78_645
; %bb.638:
	s_wait_xcnt 0x0
	v_mul_lo_u32 v0, v10, s8
	s_wait_loadcnt 0x0
	s_delay_alu instid0(VALU_DEP_2) | instskip(SKIP_3) | instid1(VALU_DEP_2)
	v_cmp_ne_u16_e32 vcc_lo, s11, v2
	s_and_b32 s24, s2, 0xff
	s_xor_b32 s23, s13, vcc_lo
	s_cmp_lt_i32 s24, 11
	v_ashrrev_i32_e32 v1, 31, v0
	s_delay_alu instid0(VALU_DEP_1)
	v_add_nc_u64_e32 v[0:1], s[4:5], v[0:1]
	s_cbranch_scc1 .LBB78_646
; %bb.639:
	s_and_b32 s25, 0xffff, s24
	s_delay_alu instid0(SALU_CYCLE_1)
	s_cmp_gt_i32 s25, 25
	s_cbranch_scc0 .LBB78_647
; %bb.640:
	s_cmp_gt_i32 s25, 28
	s_cbranch_scc0 .LBB78_648
; %bb.641:
	;; [unrolled: 3-line block ×4, first 2 shown]
	s_mov_b32 s27, 0
	s_mov_b32 s0, -1
	s_cmp_eq_u32 s25, 46
	s_mov_b32 s26, 0
	s_cbranch_scc0 .LBB78_651
; %bb.644:
	v_cndmask_b32_e64 v2, 0, 1.0, s23
	s_mov_b32 s26, -1
	s_mov_b32 s0, 0
	s_delay_alu instid0(VALU_DEP_1) | instskip(NEXT) | instid1(VALU_DEP_1)
	v_bfe_u32 v3, v2, 16, 1
	v_add3_u32 v2, v2, v3, 0x7fff
	s_delay_alu instid0(VALU_DEP_1)
	v_lshrrev_b32_e32 v2, 16, v2
	global_store_b32 v[0:1], v2, off
	s_branch .LBB78_651
.LBB78_645:
	s_mov_b32 s23, 0
	s_mov_b32 s0, s19
	s_branch .LBB78_762
.LBB78_646:
	s_mov_b32 s25, -1
	s_mov_b32 s26, 0
	s_mov_b32 s0, s19
	s_branch .LBB78_720
.LBB78_647:
	s_mov_b32 s27, -1
	s_mov_b32 s26, 0
	s_mov_b32 s0, s19
	s_branch .LBB78_678
.LBB78_648:
	s_mov_b32 s27, -1
	s_mov_b32 s26, 0
	s_mov_b32 s0, s19
	s_branch .LBB78_661
.LBB78_649:
	s_mov_b32 s27, -1
	s_mov_b32 s26, 0
	s_mov_b32 s0, s19
	s_branch .LBB78_657
.LBB78_650:
	s_mov_b32 s27, -1
	s_mov_b32 s26, 0
	s_mov_b32 s0, s19
.LBB78_651:
	s_and_b32 vcc_lo, exec_lo, s27
	s_cbranch_vccz .LBB78_656
; %bb.652:
	s_cmp_eq_u32 s25, 44
	s_mov_b32 s0, -1
	s_cbranch_scc0 .LBB78_656
; %bb.653:
	v_cndmask_b32_e64 v4, 0, 1.0, s23
	s_mov_b32 s26, exec_lo
	s_wait_xcnt 0x0
	s_delay_alu instid0(VALU_DEP_1) | instskip(NEXT) | instid1(VALU_DEP_1)
	v_dual_mov_b32 v3, 0xff :: v_dual_lshrrev_b32 v2, 23, v4
	v_cmpx_ne_u32_e32 0xff, v2
; %bb.654:
	v_and_b32_e32 v3, 0x400000, v4
	v_and_or_b32 v4, 0x3fffff, v4, v2
	s_delay_alu instid0(VALU_DEP_2) | instskip(NEXT) | instid1(VALU_DEP_2)
	v_cmp_ne_u32_e32 vcc_lo, 0, v3
	v_cmp_ne_u32_e64 s0, 0, v4
	s_and_b32 s0, vcc_lo, s0
	s_delay_alu instid0(SALU_CYCLE_1) | instskip(NEXT) | instid1(VALU_DEP_1)
	v_cndmask_b32_e64 v3, 0, 1, s0
	v_add_nc_u32_e32 v3, v2, v3
; %bb.655:
	s_or_b32 exec_lo, exec_lo, s26
	s_mov_b32 s26, -1
	s_mov_b32 s0, 0
	global_store_b8 v[0:1], v3, off
.LBB78_656:
	s_mov_b32 s27, 0
.LBB78_657:
	s_delay_alu instid0(SALU_CYCLE_1)
	s_and_b32 vcc_lo, exec_lo, s27
	s_cbranch_vccz .LBB78_660
; %bb.658:
	s_cmp_eq_u32 s25, 29
	s_mov_b32 s0, -1
	s_cbranch_scc0 .LBB78_660
; %bb.659:
	s_mov_b32 s0, 0
	s_wait_xcnt 0x0
	v_cndmask_b32_e64 v2, 0, 1, s23
	v_mov_b32_e32 v3, s0
	s_mov_b32 s26, -1
	s_mov_b32 s27, 0
	global_store_b64 v[0:1], v[2:3], off
	s_branch .LBB78_661
.LBB78_660:
	s_mov_b32 s27, 0
.LBB78_661:
	s_delay_alu instid0(SALU_CYCLE_1)
	s_and_b32 vcc_lo, exec_lo, s27
	s_cbranch_vccz .LBB78_677
; %bb.662:
	s_cmp_lt_i32 s25, 27
	s_mov_b32 s26, -1
	s_cbranch_scc1 .LBB78_668
; %bb.663:
	s_cmp_gt_i32 s25, 27
	s_cbranch_scc0 .LBB78_665
; %bb.664:
	s_wait_xcnt 0x0
	v_cndmask_b32_e64 v2, 0, 1, s23
	s_mov_b32 s26, 0
	global_store_b32 v[0:1], v2, off
.LBB78_665:
	s_and_not1_b32 vcc_lo, exec_lo, s26
	s_cbranch_vccnz .LBB78_667
; %bb.666:
	s_wait_xcnt 0x0
	v_cndmask_b32_e64 v2, 0, 1, s23
	global_store_b16 v[0:1], v2, off
.LBB78_667:
	s_mov_b32 s26, 0
.LBB78_668:
	s_delay_alu instid0(SALU_CYCLE_1)
	s_and_not1_b32 vcc_lo, exec_lo, s26
	s_cbranch_vccnz .LBB78_676
; %bb.669:
	s_wait_xcnt 0x0
	v_cndmask_b32_e64 v3, 0, 1.0, s23
	v_mov_b32_e32 v4, 0x80
	s_mov_b32 s26, exec_lo
	s_delay_alu instid0(VALU_DEP_2)
	v_cmpx_gt_u32_e32 0x43800000, v3
	s_cbranch_execz .LBB78_675
; %bb.670:
	s_mov_b32 s27, 0
	s_mov_b32 s28, exec_lo
                                        ; implicit-def: $vgpr2
	v_cmpx_lt_u32_e32 0x3bffffff, v3
	s_xor_b32 s28, exec_lo, s28
	s_cbranch_execz .LBB78_777
; %bb.671:
	v_bfe_u32 v2, v3, 20, 1
	s_mov_b32 s27, exec_lo
	s_delay_alu instid0(VALU_DEP_1) | instskip(NEXT) | instid1(VALU_DEP_1)
	v_add3_u32 v2, v3, v2, 0x487ffff
                                        ; implicit-def: $vgpr3
	v_lshrrev_b32_e32 v2, 20, v2
	s_and_not1_saveexec_b32 s28, s28
	s_cbranch_execnz .LBB78_778
.LBB78_672:
	s_or_b32 exec_lo, exec_lo, s28
	v_mov_b32_e32 v4, 0
	s_and_saveexec_b32 s28, s27
.LBB78_673:
	v_mov_b32_e32 v4, v2
.LBB78_674:
	s_or_b32 exec_lo, exec_lo, s28
.LBB78_675:
	s_delay_alu instid0(SALU_CYCLE_1)
	s_or_b32 exec_lo, exec_lo, s26
	global_store_b8 v[0:1], v4, off
.LBB78_676:
	s_mov_b32 s26, -1
.LBB78_677:
	s_mov_b32 s27, 0
.LBB78_678:
	s_delay_alu instid0(SALU_CYCLE_1)
	s_and_b32 vcc_lo, exec_lo, s27
	s_cbranch_vccz .LBB78_719
; %bb.679:
	s_cmp_gt_i32 s25, 22
	s_mov_b32 s27, -1
	s_cbranch_scc0 .LBB78_711
; %bb.680:
	s_cmp_lt_i32 s25, 24
	s_mov_b32 s26, -1
	s_cbranch_scc1 .LBB78_700
; %bb.681:
	s_cmp_gt_i32 s25, 24
	s_cbranch_scc0 .LBB78_689
; %bb.682:
	s_wait_xcnt 0x0
	v_cndmask_b32_e64 v3, 0, 1.0, s23
	v_mov_b32_e32 v4, 0x80
	s_mov_b32 s26, exec_lo
	s_delay_alu instid0(VALU_DEP_2)
	v_cmpx_gt_u32_e32 0x47800000, v3
	s_cbranch_execz .LBB78_688
; %bb.683:
	s_mov_b32 s27, 0
	s_mov_b32 s28, exec_lo
                                        ; implicit-def: $vgpr2
	v_cmpx_lt_u32_e32 0x37ffffff, v3
	s_xor_b32 s28, exec_lo, s28
	s_cbranch_execz .LBB78_780
; %bb.684:
	v_bfe_u32 v2, v3, 21, 1
	s_mov_b32 s27, exec_lo
	s_delay_alu instid0(VALU_DEP_1) | instskip(NEXT) | instid1(VALU_DEP_1)
	v_add3_u32 v2, v3, v2, 0x88fffff
                                        ; implicit-def: $vgpr3
	v_lshrrev_b32_e32 v2, 21, v2
	s_and_not1_saveexec_b32 s28, s28
	s_cbranch_execnz .LBB78_781
.LBB78_685:
	s_or_b32 exec_lo, exec_lo, s28
	v_mov_b32_e32 v4, 0
	s_and_saveexec_b32 s28, s27
.LBB78_686:
	v_mov_b32_e32 v4, v2
.LBB78_687:
	s_or_b32 exec_lo, exec_lo, s28
.LBB78_688:
	s_delay_alu instid0(SALU_CYCLE_1)
	s_or_b32 exec_lo, exec_lo, s26
	s_mov_b32 s26, 0
	global_store_b8 v[0:1], v4, off
.LBB78_689:
	s_and_b32 vcc_lo, exec_lo, s26
	s_cbranch_vccz .LBB78_699
; %bb.690:
	s_wait_xcnt 0x0
	v_cndmask_b32_e64 v3, 0, 1.0, s23
	s_mov_b32 s26, exec_lo
                                        ; implicit-def: $vgpr2
	s_delay_alu instid0(VALU_DEP_1)
	v_cmpx_gt_u32_e32 0x43f00000, v3
	s_xor_b32 s26, exec_lo, s26
	s_cbranch_execz .LBB78_696
; %bb.691:
	s_mov_b32 s27, exec_lo
                                        ; implicit-def: $vgpr2
	v_cmpx_lt_u32_e32 0x3c7fffff, v3
	s_xor_b32 s27, exec_lo, s27
; %bb.692:
	v_bfe_u32 v2, v3, 20, 1
	s_delay_alu instid0(VALU_DEP_1) | instskip(NEXT) | instid1(VALU_DEP_1)
	v_add3_u32 v2, v3, v2, 0x407ffff
	v_and_b32_e32 v3, 0xff00000, v2
	v_lshrrev_b32_e32 v2, 20, v2
	s_delay_alu instid0(VALU_DEP_2) | instskip(NEXT) | instid1(VALU_DEP_2)
	v_cmp_ne_u32_e32 vcc_lo, 0x7f00000, v3
                                        ; implicit-def: $vgpr3
	v_cndmask_b32_e32 v2, 0x7e, v2, vcc_lo
; %bb.693:
	s_and_not1_saveexec_b32 s27, s27
; %bb.694:
	v_add_f32_e32 v2, 0x46800000, v3
; %bb.695:
	s_or_b32 exec_lo, exec_lo, s27
                                        ; implicit-def: $vgpr3
.LBB78_696:
	s_and_not1_saveexec_b32 s26, s26
; %bb.697:
	v_mov_b32_e32 v2, 0x7f
	v_cmp_lt_u32_e32 vcc_lo, 0x7f800000, v3
	s_delay_alu instid0(VALU_DEP_2)
	v_cndmask_b32_e32 v2, 0x7e, v2, vcc_lo
; %bb.698:
	s_or_b32 exec_lo, exec_lo, s26
	global_store_b8 v[0:1], v2, off
.LBB78_699:
	s_mov_b32 s26, 0
.LBB78_700:
	s_delay_alu instid0(SALU_CYCLE_1)
	s_and_not1_b32 vcc_lo, exec_lo, s26
	s_cbranch_vccnz .LBB78_710
; %bb.701:
	s_wait_xcnt 0x0
	v_cndmask_b32_e64 v3, 0, 1.0, s23
	s_mov_b32 s26, exec_lo
                                        ; implicit-def: $vgpr2
	s_delay_alu instid0(VALU_DEP_1)
	v_cmpx_gt_u32_e32 0x47800000, v3
	s_xor_b32 s26, exec_lo, s26
	s_cbranch_execz .LBB78_707
; %bb.702:
	s_mov_b32 s27, exec_lo
                                        ; implicit-def: $vgpr2
	v_cmpx_lt_u32_e32 0x387fffff, v3
	s_xor_b32 s27, exec_lo, s27
; %bb.703:
	v_bfe_u32 v2, v3, 21, 1
	s_delay_alu instid0(VALU_DEP_1) | instskip(NEXT) | instid1(VALU_DEP_1)
	v_add3_u32 v2, v3, v2, 0x80fffff
                                        ; implicit-def: $vgpr3
	v_lshrrev_b32_e32 v2, 21, v2
; %bb.704:
	s_and_not1_saveexec_b32 s27, s27
; %bb.705:
	v_add_f32_e32 v2, 0x43000000, v3
; %bb.706:
	s_or_b32 exec_lo, exec_lo, s27
                                        ; implicit-def: $vgpr3
.LBB78_707:
	s_and_not1_saveexec_b32 s26, s26
; %bb.708:
	v_mov_b32_e32 v2, 0x7f
	v_cmp_lt_u32_e32 vcc_lo, 0x7f800000, v3
	s_delay_alu instid0(VALU_DEP_2)
	v_cndmask_b32_e32 v2, 0x7c, v2, vcc_lo
; %bb.709:
	s_or_b32 exec_lo, exec_lo, s26
	global_store_b8 v[0:1], v2, off
.LBB78_710:
	s_mov_b32 s27, 0
	s_mov_b32 s26, -1
.LBB78_711:
	s_and_not1_b32 vcc_lo, exec_lo, s27
	s_cbranch_vccnz .LBB78_719
; %bb.712:
	s_cmp_gt_i32 s25, 14
	s_mov_b32 s27, -1
	s_cbranch_scc0 .LBB78_716
; %bb.713:
	s_cmp_eq_u32 s25, 15
	s_mov_b32 s0, -1
	s_cbranch_scc0 .LBB78_715
; %bb.714:
	s_wait_xcnt 0x0
	v_cndmask_b32_e64 v2, 0, 1.0, s23
	s_mov_b32 s26, -1
	s_mov_b32 s0, 0
	s_delay_alu instid0(VALU_DEP_1) | instskip(NEXT) | instid1(VALU_DEP_1)
	v_bfe_u32 v3, v2, 16, 1
	v_add3_u32 v2, v2, v3, 0x7fff
	global_store_d16_hi_b16 v[0:1], v2, off
.LBB78_715:
	s_mov_b32 s27, 0
.LBB78_716:
	s_delay_alu instid0(SALU_CYCLE_1)
	s_and_b32 vcc_lo, exec_lo, s27
	s_cbranch_vccz .LBB78_719
; %bb.717:
	s_cmp_eq_u32 s25, 11
	s_mov_b32 s0, -1
	s_cbranch_scc0 .LBB78_719
; %bb.718:
	s_wait_xcnt 0x0
	v_cndmask_b32_e64 v2, 0, 1, s23
	s_mov_b32 s26, -1
	s_mov_b32 s0, 0
	global_store_b8 v[0:1], v2, off
.LBB78_719:
	s_mov_b32 s25, 0
.LBB78_720:
	s_delay_alu instid0(SALU_CYCLE_1)
	s_and_b32 vcc_lo, exec_lo, s25
	s_cbranch_vccz .LBB78_759
; %bb.721:
	s_and_b32 s24, 0xffff, s24
	s_mov_b32 s25, -1
	s_cmp_lt_i32 s24, 5
	s_cbranch_scc1 .LBB78_742
; %bb.722:
	s_cmp_lt_i32 s24, 8
	s_cbranch_scc1 .LBB78_732
; %bb.723:
	;; [unrolled: 3-line block ×3, first 2 shown]
	s_cmp_gt_i32 s24, 9
	s_cbranch_scc0 .LBB78_726
; %bb.725:
	s_wait_xcnt 0x0
	v_cndmask_b32_e64 v2, 0, 1, s23
	v_mov_b32_e32 v4, 0
	s_mov_b32 s25, 0
	s_delay_alu instid0(VALU_DEP_2) | instskip(NEXT) | instid1(VALU_DEP_2)
	v_cvt_f64_u32_e32 v[2:3], v2
	v_mov_b32_e32 v5, v4
	global_store_b128 v[0:1], v[2:5], off
.LBB78_726:
	s_and_not1_b32 vcc_lo, exec_lo, s25
	s_cbranch_vccnz .LBB78_728
; %bb.727:
	s_wait_xcnt 0x0
	v_cndmask_b32_e64 v2, 0, 1.0, s23
	v_mov_b32_e32 v3, 0
	global_store_b64 v[0:1], v[2:3], off
.LBB78_728:
	s_mov_b32 s25, 0
.LBB78_729:
	s_delay_alu instid0(SALU_CYCLE_1)
	s_and_not1_b32 vcc_lo, exec_lo, s25
	s_cbranch_vccnz .LBB78_731
; %bb.730:
	s_wait_xcnt 0x0
	v_cndmask_b32_e64 v2, 0, 1.0, s23
	s_delay_alu instid0(VALU_DEP_1) | instskip(NEXT) | instid1(VALU_DEP_1)
	v_cvt_f16_f32_e32 v2, v2
	v_and_b32_e32 v2, 0xffff, v2
	global_store_b32 v[0:1], v2, off
.LBB78_731:
	s_mov_b32 s25, 0
.LBB78_732:
	s_delay_alu instid0(SALU_CYCLE_1)
	s_and_not1_b32 vcc_lo, exec_lo, s25
	s_cbranch_vccnz .LBB78_741
; %bb.733:
	s_cmp_lt_i32 s24, 6
	s_mov_b32 s25, -1
	s_cbranch_scc1 .LBB78_739
; %bb.734:
	s_cmp_gt_i32 s24, 6
	s_cbranch_scc0 .LBB78_736
; %bb.735:
	s_wait_xcnt 0x0
	v_cndmask_b32_e64 v2, 0, 1, s23
	s_mov_b32 s25, 0
	s_delay_alu instid0(VALU_DEP_1)
	v_cvt_f64_u32_e32 v[2:3], v2
	global_store_b64 v[0:1], v[2:3], off
.LBB78_736:
	s_and_not1_b32 vcc_lo, exec_lo, s25
	s_cbranch_vccnz .LBB78_738
; %bb.737:
	s_wait_xcnt 0x0
	v_cndmask_b32_e64 v2, 0, 1.0, s23
	global_store_b32 v[0:1], v2, off
.LBB78_738:
	s_mov_b32 s25, 0
.LBB78_739:
	s_delay_alu instid0(SALU_CYCLE_1)
	s_and_not1_b32 vcc_lo, exec_lo, s25
	s_cbranch_vccnz .LBB78_741
; %bb.740:
	s_wait_xcnt 0x0
	v_cndmask_b32_e64 v2, 0, 1.0, s23
	s_delay_alu instid0(VALU_DEP_1)
	v_cvt_f16_f32_e32 v2, v2
	global_store_b16 v[0:1], v2, off
.LBB78_741:
	s_mov_b32 s25, 0
.LBB78_742:
	s_delay_alu instid0(SALU_CYCLE_1)
	s_and_not1_b32 vcc_lo, exec_lo, s25
	s_cbranch_vccnz .LBB78_758
; %bb.743:
	s_cmp_lt_i32 s24, 2
	s_mov_b32 s25, -1
	s_cbranch_scc1 .LBB78_753
; %bb.744:
	s_cmp_lt_i32 s24, 3
	s_cbranch_scc1 .LBB78_750
; %bb.745:
	s_cmp_gt_i32 s24, 3
	s_cbranch_scc0 .LBB78_747
; %bb.746:
	s_mov_b32 s25, 0
	s_wait_xcnt 0x0
	v_cndmask_b32_e64 v2, 0, 1, s23
	v_mov_b32_e32 v3, s25
	global_store_b64 v[0:1], v[2:3], off
.LBB78_747:
	s_and_not1_b32 vcc_lo, exec_lo, s25
	s_cbranch_vccnz .LBB78_749
; %bb.748:
	s_wait_xcnt 0x0
	v_cndmask_b32_e64 v2, 0, 1, s23
	global_store_b32 v[0:1], v2, off
.LBB78_749:
	s_mov_b32 s25, 0
.LBB78_750:
	s_delay_alu instid0(SALU_CYCLE_1)
	s_and_not1_b32 vcc_lo, exec_lo, s25
	s_cbranch_vccnz .LBB78_752
; %bb.751:
	s_wait_xcnt 0x0
	v_cndmask_b32_e64 v2, 0, 1, s23
	global_store_b16 v[0:1], v2, off
.LBB78_752:
	s_mov_b32 s25, 0
.LBB78_753:
	s_delay_alu instid0(SALU_CYCLE_1)
	s_and_not1_b32 vcc_lo, exec_lo, s25
	s_cbranch_vccnz .LBB78_758
; %bb.754:
	s_wait_xcnt 0x0
	v_cndmask_b32_e64 v2, 0, 1, s23
	s_cmp_gt_i32 s24, 0
	s_mov_b32 s23, -1
	s_cbranch_scc0 .LBB78_756
; %bb.755:
	s_mov_b32 s23, 0
	global_store_b8 v[0:1], v2, off
.LBB78_756:
	s_and_not1_b32 vcc_lo, exec_lo, s23
	s_cbranch_vccnz .LBB78_758
; %bb.757:
	global_store_b8 v[0:1], v2, off
.LBB78_758:
	s_mov_b32 s26, -1
.LBB78_759:
	s_delay_alu instid0(SALU_CYCLE_1)
	s_and_not1_b32 vcc_lo, exec_lo, s26
	s_cbranch_vccnz .LBB78_761
; %bb.760:
	v_add_nc_u32_e32 v10, 0x80, v10
	s_mov_b32 s23, -1
	s_branch .LBB78_763
.LBB78_761:
	s_mov_b32 s23, 0
.LBB78_762:
                                        ; implicit-def: $vgpr10
.LBB78_763:
	s_and_not1_b32 s24, s19, exec_lo
	s_and_b32 s0, s0, exec_lo
	s_and_not1_b32 s25, s18, exec_lo
	s_and_b32 s26, s22, exec_lo
	s_or_b32 s22, s24, s0
	s_or_b32 s0, s25, s26
	s_or_not1_b32 s23, s23, exec_lo
.LBB78_764:
	s_wait_xcnt 0x0
	s_or_b32 exec_lo, exec_lo, s21
	s_mov_b32 s24, 0
	s_mov_b32 s25, 0
	;; [unrolled: 1-line block ×3, first 2 shown]
                                        ; implicit-def: $vgpr0_vgpr1
                                        ; implicit-def: $vgpr2
	s_and_saveexec_b32 s21, s23
	s_cbranch_execz .LBB78_845
; %bb.765:
	v_cmp_gt_i32_e32 vcc_lo, s14, v10
	s_mov_b32 s23, 0
	s_mov_b32 s24, s0
	;; [unrolled: 1-line block ×3, first 2 shown]
                                        ; implicit-def: $vgpr0_vgpr1
                                        ; implicit-def: $vgpr2
	s_and_saveexec_b32 s14, vcc_lo
	s_cbranch_execz .LBB78_844
; %bb.766:
	v_mul_lo_u32 v0, v10, s9
	s_and_b32 s23, 0xffff, s3
	s_delay_alu instid0(SALU_CYCLE_1) | instskip(NEXT) | instid1(VALU_DEP_1)
	s_cmp_lt_i32 s23, 11
	v_ashrrev_i32_e32 v1, 31, v0
	s_delay_alu instid0(VALU_DEP_1)
	v_add_nc_u64_e32 v[0:1], s[6:7], v[0:1]
	s_cbranch_scc1 .LBB78_773
; %bb.767:
	s_cmp_gt_i32 s23, 25
	s_cbranch_scc0 .LBB78_774
; %bb.768:
	s_cmp_gt_i32 s23, 28
	s_cbranch_scc0 .LBB78_775
	;; [unrolled: 3-line block ×4, first 2 shown]
; %bb.771:
	s_cmp_eq_u32 s23, 46
	s_cbranch_scc0 .LBB78_782
; %bb.772:
	s_wait_loadcnt 0x0
	global_load_b32 v2, v[0:1], off
	s_mov_b32 s24, 0
	s_mov_b32 s26, -1
	s_wait_loadcnt 0x0
	v_lshlrev_b32_e32 v2, 16, v2
	s_delay_alu instid0(VALU_DEP_1)
	v_cvt_i32_f32_e32 v2, v2
	s_branch .LBB78_784
.LBB78_773:
	s_mov_b32 s23, -1
	s_mov_b32 s24, s0
                                        ; implicit-def: $vgpr2
	s_branch .LBB78_843
.LBB78_774:
	s_mov_b32 s27, -1
	s_mov_b32 s24, s0
                                        ; implicit-def: $vgpr2
	s_branch .LBB78_811
.LBB78_775:
	s_mov_b32 s27, -1
	s_mov_b32 s24, s0
                                        ; implicit-def: $vgpr2
	s_branch .LBB78_794
.LBB78_776:
	s_mov_b32 s27, -1
	s_mov_b32 s24, s0
                                        ; implicit-def: $vgpr2
	s_branch .LBB78_789
.LBB78_777:
	s_and_not1_saveexec_b32 s28, s28
	s_cbranch_execz .LBB78_672
.LBB78_778:
	v_add_f32_e32 v2, 0x46000000, v3
	s_and_not1_b32 s27, s27, exec_lo
	s_delay_alu instid0(VALU_DEP_1) | instskip(NEXT) | instid1(VALU_DEP_1)
	v_and_b32_e32 v2, 0xff, v2
	v_cmp_ne_u32_e32 vcc_lo, 0, v2
	s_and_b32 s29, vcc_lo, exec_lo
	s_delay_alu instid0(SALU_CYCLE_1)
	s_or_b32 s27, s27, s29
	s_or_b32 exec_lo, exec_lo, s28
	v_mov_b32_e32 v4, 0
	s_and_saveexec_b32 s28, s27
	s_cbranch_execnz .LBB78_673
	s_branch .LBB78_674
.LBB78_779:
	s_mov_b32 s27, -1
	s_mov_b32 s24, s0
	s_branch .LBB78_783
.LBB78_780:
	s_and_not1_saveexec_b32 s28, s28
	s_cbranch_execz .LBB78_685
.LBB78_781:
	v_add_f32_e32 v2, 0x42800000, v3
	s_and_not1_b32 s27, s27, exec_lo
	s_delay_alu instid0(VALU_DEP_1) | instskip(NEXT) | instid1(VALU_DEP_1)
	v_and_b32_e32 v2, 0xff, v2
	v_cmp_ne_u32_e32 vcc_lo, 0, v2
	s_and_b32 s29, vcc_lo, exec_lo
	s_delay_alu instid0(SALU_CYCLE_1)
	s_or_b32 s27, s27, s29
	s_or_b32 exec_lo, exec_lo, s28
	v_mov_b32_e32 v4, 0
	s_and_saveexec_b32 s28, s27
	s_cbranch_execnz .LBB78_686
	s_branch .LBB78_687
.LBB78_782:
	s_mov_b32 s24, -1
.LBB78_783:
                                        ; implicit-def: $vgpr2
.LBB78_784:
	s_and_b32 vcc_lo, exec_lo, s27
	s_cbranch_vccz .LBB78_788
; %bb.785:
	s_cmp_eq_u32 s23, 44
	s_cbranch_scc0 .LBB78_787
; %bb.786:
	s_wait_loadcnt 0x0
	global_load_u8 v2, v[0:1], off
	s_mov_b32 s24, 0
	s_mov_b32 s26, -1
	s_wait_loadcnt 0x0
	v_lshlrev_b32_e32 v3, 23, v2
	v_cmp_ne_u32_e32 vcc_lo, 0, v2
	s_delay_alu instid0(VALU_DEP_2) | instskip(NEXT) | instid1(VALU_DEP_1)
	v_cvt_i32_f32_e32 v3, v3
	v_cndmask_b32_e32 v2, 0, v3, vcc_lo
	s_branch .LBB78_788
.LBB78_787:
	s_mov_b32 s24, -1
                                        ; implicit-def: $vgpr2
.LBB78_788:
	s_mov_b32 s27, 0
.LBB78_789:
	s_delay_alu instid0(SALU_CYCLE_1)
	s_and_b32 vcc_lo, exec_lo, s27
	s_cbranch_vccz .LBB78_793
; %bb.790:
	s_cmp_eq_u32 s23, 29
	s_cbranch_scc0 .LBB78_792
; %bb.791:
	s_wait_loadcnt 0x0
	global_load_b64 v[2:3], v[0:1], off
	s_mov_b32 s24, 0
	s_mov_b32 s26, -1
	s_branch .LBB78_793
.LBB78_792:
	s_mov_b32 s24, -1
                                        ; implicit-def: $vgpr2
.LBB78_793:
	s_mov_b32 s27, 0
.LBB78_794:
	s_delay_alu instid0(SALU_CYCLE_1)
	s_and_b32 vcc_lo, exec_lo, s27
	s_cbranch_vccz .LBB78_810
; %bb.795:
	s_cmp_lt_i32 s23, 27
	s_cbranch_scc1 .LBB78_798
; %bb.796:
	s_cmp_gt_i32 s23, 27
	s_cbranch_scc0 .LBB78_799
; %bb.797:
	s_wait_loadcnt 0x0
	global_load_b32 v2, v[0:1], off
	s_mov_b32 s26, 0
	s_branch .LBB78_800
.LBB78_798:
	s_mov_b32 s26, -1
                                        ; implicit-def: $vgpr2
	s_branch .LBB78_803
.LBB78_799:
	s_mov_b32 s26, -1
                                        ; implicit-def: $vgpr2
.LBB78_800:
	s_delay_alu instid0(SALU_CYCLE_1)
	s_and_not1_b32 vcc_lo, exec_lo, s26
	s_cbranch_vccnz .LBB78_802
; %bb.801:
	s_wait_loadcnt 0x0
	global_load_u16 v2, v[0:1], off
.LBB78_802:
	s_mov_b32 s26, 0
.LBB78_803:
	s_delay_alu instid0(SALU_CYCLE_1)
	s_and_not1_b32 vcc_lo, exec_lo, s26
	s_cbranch_vccnz .LBB78_809
; %bb.804:
	s_wait_loadcnt 0x0
	global_load_u8 v3, v[0:1], off
	s_mov_b32 s27, 0
	s_mov_b32 s26, exec_lo
	s_wait_loadcnt 0x0
	v_cmpx_lt_i16_e32 0x7f, v3
	s_xor_b32 s26, exec_lo, s26
	s_cbranch_execz .LBB78_821
; %bb.805:
	v_cmp_ne_u16_e32 vcc_lo, 0x80, v3
	s_and_b32 s27, vcc_lo, exec_lo
	s_and_not1_saveexec_b32 s26, s26
	s_cbranch_execnz .LBB78_822
.LBB78_806:
	s_or_b32 exec_lo, exec_lo, s26
	v_mov_b32_e32 v2, 0
	s_and_saveexec_b32 s26, s27
	s_cbranch_execz .LBB78_808
.LBB78_807:
	v_and_b32_e32 v2, 0xffff, v3
	s_delay_alu instid0(VALU_DEP_1) | instskip(SKIP_1) | instid1(VALU_DEP_2)
	v_and_b32_e32 v4, 7, v2
	v_bfe_u32 v7, v2, 3, 4
	v_clz_i32_u32_e32 v5, v4
	s_delay_alu instid0(VALU_DEP_2) | instskip(NEXT) | instid1(VALU_DEP_2)
	v_cmp_eq_u32_e32 vcc_lo, 0, v7
	v_min_u32_e32 v5, 32, v5
	s_delay_alu instid0(VALU_DEP_1) | instskip(NEXT) | instid1(VALU_DEP_1)
	v_subrev_nc_u32_e32 v6, 28, v5
	v_dual_lshlrev_b32 v2, v6, v2 :: v_dual_sub_nc_u32 v5, 29, v5
	s_delay_alu instid0(VALU_DEP_1) | instskip(NEXT) | instid1(VALU_DEP_1)
	v_dual_lshlrev_b32 v3, 24, v3 :: v_dual_bitop2_b32 v2, 7, v2 bitop3:0x40
	v_dual_cndmask_b32 v5, v7, v5 :: v_dual_cndmask_b32 v2, v4, v2
	s_delay_alu instid0(VALU_DEP_2) | instskip(NEXT) | instid1(VALU_DEP_2)
	v_and_b32_e32 v3, 0x80000000, v3
	v_lshl_add_u32 v4, v5, 23, 0x3b800000
	s_delay_alu instid0(VALU_DEP_3) | instskip(NEXT) | instid1(VALU_DEP_1)
	v_lshlrev_b32_e32 v2, 20, v2
	v_or3_b32 v2, v3, v4, v2
	s_delay_alu instid0(VALU_DEP_1)
	v_cvt_i32_f32_e32 v2, v2
.LBB78_808:
	s_or_b32 exec_lo, exec_lo, s26
.LBB78_809:
	s_mov_b32 s26, -1
.LBB78_810:
	s_mov_b32 s27, 0
.LBB78_811:
	s_delay_alu instid0(SALU_CYCLE_1)
	s_and_b32 vcc_lo, exec_lo, s27
	s_cbranch_vccz .LBB78_842
; %bb.812:
	s_cmp_gt_i32 s23, 22
	s_cbranch_scc0 .LBB78_820
; %bb.813:
	s_cmp_lt_i32 s23, 24
	s_cbranch_scc1 .LBB78_823
; %bb.814:
	s_cmp_gt_i32 s23, 24
	s_cbranch_scc0 .LBB78_824
; %bb.815:
	s_wait_loadcnt 0x0
	global_load_u8 v3, v[0:1], off
	s_mov_b32 s26, 0
	s_mov_b32 s25, exec_lo
	s_wait_loadcnt 0x0
	v_cmpx_lt_i16_e32 0x7f, v3
	s_xor_b32 s25, exec_lo, s25
	s_cbranch_execz .LBB78_836
; %bb.816:
	v_cmp_ne_u16_e32 vcc_lo, 0x80, v3
	s_and_b32 s26, vcc_lo, exec_lo
	s_and_not1_saveexec_b32 s25, s25
	s_cbranch_execnz .LBB78_837
.LBB78_817:
	s_or_b32 exec_lo, exec_lo, s25
	v_mov_b32_e32 v2, 0
	s_and_saveexec_b32 s25, s26
	s_cbranch_execz .LBB78_819
.LBB78_818:
	v_and_b32_e32 v2, 0xffff, v3
	s_delay_alu instid0(VALU_DEP_1) | instskip(SKIP_1) | instid1(VALU_DEP_2)
	v_and_b32_e32 v4, 3, v2
	v_bfe_u32 v7, v2, 2, 5
	v_clz_i32_u32_e32 v5, v4
	s_delay_alu instid0(VALU_DEP_2) | instskip(NEXT) | instid1(VALU_DEP_2)
	v_cmp_eq_u32_e32 vcc_lo, 0, v7
	v_min_u32_e32 v5, 32, v5
	s_delay_alu instid0(VALU_DEP_1) | instskip(NEXT) | instid1(VALU_DEP_1)
	v_subrev_nc_u32_e32 v6, 29, v5
	v_dual_lshlrev_b32 v2, v6, v2 :: v_dual_sub_nc_u32 v5, 30, v5
	s_delay_alu instid0(VALU_DEP_1) | instskip(NEXT) | instid1(VALU_DEP_1)
	v_dual_lshlrev_b32 v3, 24, v3 :: v_dual_bitop2_b32 v2, 3, v2 bitop3:0x40
	v_dual_cndmask_b32 v5, v7, v5 :: v_dual_cndmask_b32 v2, v4, v2
	s_delay_alu instid0(VALU_DEP_2) | instskip(NEXT) | instid1(VALU_DEP_2)
	v_and_b32_e32 v3, 0x80000000, v3
	v_lshl_add_u32 v4, v5, 23, 0x37800000
	s_delay_alu instid0(VALU_DEP_3) | instskip(NEXT) | instid1(VALU_DEP_1)
	v_lshlrev_b32_e32 v2, 21, v2
	v_or3_b32 v2, v3, v4, v2
	s_delay_alu instid0(VALU_DEP_1)
	v_cvt_i32_f32_e32 v2, v2
.LBB78_819:
	s_or_b32 exec_lo, exec_lo, s25
	s_mov_b32 s25, 0
	s_branch .LBB78_825
.LBB78_820:
	s_mov_b32 s25, -1
                                        ; implicit-def: $vgpr2
	s_branch .LBB78_831
.LBB78_821:
	s_and_not1_saveexec_b32 s26, s26
	s_cbranch_execz .LBB78_806
.LBB78_822:
	v_cmp_ne_u16_e32 vcc_lo, 0, v3
	s_and_not1_b32 s27, s27, exec_lo
	s_and_b32 s28, vcc_lo, exec_lo
	s_delay_alu instid0(SALU_CYCLE_1)
	s_or_b32 s27, s27, s28
	s_or_b32 exec_lo, exec_lo, s26
	v_mov_b32_e32 v2, 0
	s_and_saveexec_b32 s26, s27
	s_cbranch_execnz .LBB78_807
	s_branch .LBB78_808
.LBB78_823:
	s_mov_b32 s25, -1
                                        ; implicit-def: $vgpr2
	s_branch .LBB78_828
.LBB78_824:
	s_mov_b32 s25, -1
                                        ; implicit-def: $vgpr2
.LBB78_825:
	s_delay_alu instid0(SALU_CYCLE_1)
	s_and_b32 vcc_lo, exec_lo, s25
	s_cbranch_vccz .LBB78_827
; %bb.826:
	s_wait_loadcnt 0x0
	global_load_u8 v2, v[0:1], off
	s_wait_loadcnt 0x0
	v_lshlrev_b32_e32 v2, 24, v2
	s_delay_alu instid0(VALU_DEP_1) | instskip(NEXT) | instid1(VALU_DEP_1)
	v_and_b32_e32 v3, 0x7f000000, v2
	v_clz_i32_u32_e32 v4, v3
	v_cmp_ne_u32_e32 vcc_lo, 0, v3
	v_add_nc_u32_e32 v6, 0x1000000, v3
	s_delay_alu instid0(VALU_DEP_3) | instskip(NEXT) | instid1(VALU_DEP_1)
	v_min_u32_e32 v4, 32, v4
	v_sub_nc_u32_e64 v4, v4, 4 clamp
	s_delay_alu instid0(VALU_DEP_1) | instskip(NEXT) | instid1(VALU_DEP_1)
	v_dual_lshlrev_b32 v5, v4, v3 :: v_dual_lshlrev_b32 v4, 23, v4
	v_lshrrev_b32_e32 v5, 4, v5
	s_delay_alu instid0(VALU_DEP_1) | instskip(NEXT) | instid1(VALU_DEP_1)
	v_dual_sub_nc_u32 v4, v5, v4 :: v_dual_ashrrev_i32 v5, 8, v6
	v_add_nc_u32_e32 v4, 0x3c000000, v4
	s_delay_alu instid0(VALU_DEP_1) | instskip(NEXT) | instid1(VALU_DEP_1)
	v_and_or_b32 v4, 0x7f800000, v5, v4
	v_cndmask_b32_e32 v3, 0, v4, vcc_lo
	s_delay_alu instid0(VALU_DEP_1) | instskip(NEXT) | instid1(VALU_DEP_1)
	v_and_or_b32 v2, 0x80000000, v2, v3
	v_cvt_i32_f32_e32 v2, v2
.LBB78_827:
	s_mov_b32 s25, 0
.LBB78_828:
	s_delay_alu instid0(SALU_CYCLE_1)
	s_and_not1_b32 vcc_lo, exec_lo, s25
	s_cbranch_vccnz .LBB78_830
; %bb.829:
	s_wait_loadcnt 0x0
	global_load_u8 v2, v[0:1], off
	s_wait_loadcnt 0x0
	v_lshlrev_b32_e32 v3, 25, v2
	v_lshlrev_b16 v2, 8, v2
	s_delay_alu instid0(VALU_DEP_1) | instskip(SKIP_1) | instid1(VALU_DEP_2)
	v_and_or_b32 v5, 0x7f00, v2, 0.5
	v_bfe_i32 v2, v2, 0, 16
	v_dual_add_f32 v5, -0.5, v5 :: v_dual_lshrrev_b32 v4, 4, v3
	v_cmp_gt_u32_e32 vcc_lo, 0x8000000, v3
	s_delay_alu instid0(VALU_DEP_2) | instskip(NEXT) | instid1(VALU_DEP_1)
	v_or_b32_e32 v4, 0x70000000, v4
	v_mul_f32_e32 v4, 0x7800000, v4
	s_delay_alu instid0(VALU_DEP_1) | instskip(NEXT) | instid1(VALU_DEP_1)
	v_cndmask_b32_e32 v3, v4, v5, vcc_lo
	v_and_or_b32 v2, 0x80000000, v2, v3
	s_delay_alu instid0(VALU_DEP_1)
	v_cvt_i32_f32_e32 v2, v2
.LBB78_830:
	s_mov_b32 s25, 0
	s_mov_b32 s26, -1
.LBB78_831:
	s_and_not1_b32 vcc_lo, exec_lo, s25
	s_mov_b32 s25, 0
	s_cbranch_vccnz .LBB78_842
; %bb.832:
	s_cmp_gt_i32 s23, 14
	s_cbranch_scc0 .LBB78_835
; %bb.833:
	s_cmp_eq_u32 s23, 15
	s_cbranch_scc0 .LBB78_838
; %bb.834:
	s_wait_loadcnt 0x0
	global_load_u16 v2, v[0:1], off
	s_mov_b32 s24, 0
	s_mov_b32 s26, -1
	s_wait_loadcnt 0x0
	v_lshlrev_b32_e32 v2, 16, v2
	s_delay_alu instid0(VALU_DEP_1)
	v_cvt_i32_f32_e32 v2, v2
	s_branch .LBB78_840
.LBB78_835:
	s_mov_b32 s25, -1
	s_branch .LBB78_839
.LBB78_836:
	s_and_not1_saveexec_b32 s25, s25
	s_cbranch_execz .LBB78_817
.LBB78_837:
	v_cmp_ne_u16_e32 vcc_lo, 0, v3
	s_and_not1_b32 s26, s26, exec_lo
	s_and_b32 s27, vcc_lo, exec_lo
	s_delay_alu instid0(SALU_CYCLE_1)
	s_or_b32 s26, s26, s27
	s_or_b32 exec_lo, exec_lo, s25
	v_mov_b32_e32 v2, 0
	s_and_saveexec_b32 s25, s26
	s_cbranch_execnz .LBB78_818
	s_branch .LBB78_819
.LBB78_838:
	s_mov_b32 s24, -1
.LBB78_839:
                                        ; implicit-def: $vgpr2
.LBB78_840:
	s_and_b32 vcc_lo, exec_lo, s25
	s_mov_b32 s25, 0
	s_cbranch_vccz .LBB78_842
; %bb.841:
	s_cmp_lg_u32 s23, 11
	s_mov_b32 s25, -1
	s_cselect_b32 s23, -1, 0
	s_and_not1_b32 s24, s24, exec_lo
	s_and_b32 s23, s23, exec_lo
	s_delay_alu instid0(SALU_CYCLE_1)
	s_or_b32 s24, s24, s23
.LBB78_842:
	s_mov_b32 s23, 0
.LBB78_843:
	s_and_not1_b32 s28, s0, exec_lo
	s_and_b32 s24, s24, exec_lo
	s_and_b32 s26, s26, exec_lo
	;; [unrolled: 1-line block ×4, first 2 shown]
	s_or_b32 s24, s28, s24
.LBB78_844:
	s_wait_xcnt 0x0
	s_or_b32 exec_lo, exec_lo, s14
	s_delay_alu instid0(SALU_CYCLE_1)
	s_and_not1_b32 s0, s0, exec_lo
	s_and_b32 s14, s24, exec_lo
	s_and_b32 s26, s26, exec_lo
	s_and_b32 s25, s27, exec_lo
	s_and_b32 s24, s23, exec_lo
	s_or_b32 s0, s0, s14
.LBB78_845:
	s_or_b32 exec_lo, exec_lo, s21
	s_delay_alu instid0(SALU_CYCLE_1)
	s_and_not1_b32 s14, s19, exec_lo
	s_and_b32 s19, s22, exec_lo
	s_and_b32 s0, s0, exec_lo
	s_or_b32 s19, s14, s19
	s_and_not1_b32 s14, s18, exec_lo
	s_and_b32 s23, s26, exec_lo
	s_and_b32 s22, s25, exec_lo
	;; [unrolled: 1-line block ×3, first 2 shown]
	s_or_b32 s18, s14, s0
.LBB78_846:
	s_or_b32 exec_lo, exec_lo, s20
	s_delay_alu instid0(SALU_CYCLE_1)
	s_and_not1_b32 s0, s15, exec_lo
	s_and_b32 s14, s19, exec_lo
	s_and_b32 s19, s22, exec_lo
	s_or_b32 s15, s0, s14
	s_and_not1_b32 s14, s16, exec_lo
	s_and_b32 s16, s18, exec_lo
	s_and_b32 s0, s23, exec_lo
	;; [unrolled: 1-line block ×3, first 2 shown]
	s_or_b32 s16, s14, s16
	s_or_b32 exec_lo, exec_lo, s17
	s_mov_b32 s14, 0
	s_and_saveexec_b32 s17, s16
	s_cbranch_execz .LBB78_258
.LBB78_847:
	s_mov_b32 s14, exec_lo
	s_and_not1_b32 s18, s18, exec_lo
	s_trap 2
	s_or_b32 exec_lo, exec_lo, s17
	s_and_saveexec_b32 s16, s18
	s_delay_alu instid0(SALU_CYCLE_1)
	s_xor_b32 s16, exec_lo, s16
	s_cbranch_execnz .LBB78_259
.LBB78_848:
	s_or_b32 exec_lo, exec_lo, s16
	s_and_saveexec_b32 s16, s19
	s_cbranch_execz .LBB78_894
.LBB78_849:
	s_sext_i32_i16 s17, s3
	s_delay_alu instid0(SALU_CYCLE_1)
	s_cmp_lt_i32 s17, 5
	s_cbranch_scc1 .LBB78_854
; %bb.850:
	s_cmp_lt_i32 s17, 8
	s_cbranch_scc1 .LBB78_855
; %bb.851:
	s_cmp_lt_i32 s17, 9
	s_cbranch_scc1 .LBB78_856
; %bb.852:
	s_cmp_gt_i32 s17, 9
	s_cbranch_scc0 .LBB78_857
; %bb.853:
	s_wait_loadcnt 0x0
	global_load_b64 v[2:3], v[0:1], off
	s_mov_b32 s17, 0
	s_wait_loadcnt 0x0
	v_cvt_i32_f64_e32 v2, v[2:3]
	s_branch .LBB78_858
.LBB78_854:
                                        ; implicit-def: $vgpr2
	s_branch .LBB78_875
.LBB78_855:
                                        ; implicit-def: $vgpr2
	s_branch .LBB78_864
.LBB78_856:
	s_mov_b32 s17, -1
                                        ; implicit-def: $vgpr2
	s_branch .LBB78_861
.LBB78_857:
	s_mov_b32 s17, -1
                                        ; implicit-def: $vgpr2
.LBB78_858:
	s_delay_alu instid0(SALU_CYCLE_1)
	s_and_not1_b32 vcc_lo, exec_lo, s17
	s_cbranch_vccnz .LBB78_860
; %bb.859:
	s_wait_loadcnt 0x0
	global_load_b32 v2, v[0:1], off
	s_wait_loadcnt 0x0
	v_cvt_i32_f32_e32 v2, v2
.LBB78_860:
	s_mov_b32 s17, 0
.LBB78_861:
	s_delay_alu instid0(SALU_CYCLE_1)
	s_and_not1_b32 vcc_lo, exec_lo, s17
	s_cbranch_vccnz .LBB78_863
; %bb.862:
	s_wait_loadcnt 0x0
	global_load_b32 v2, v[0:1], off
	s_wait_loadcnt 0x0
	v_cvt_i16_f16_e32 v2, v2
.LBB78_863:
	s_cbranch_execnz .LBB78_874
.LBB78_864:
	s_sext_i32_i16 s17, s3
	s_delay_alu instid0(SALU_CYCLE_1)
	s_cmp_lt_i32 s17, 6
	s_cbranch_scc1 .LBB78_867
; %bb.865:
	s_cmp_gt_i32 s17, 6
	s_cbranch_scc0 .LBB78_868
; %bb.866:
	s_wait_loadcnt 0x0
	global_load_b64 v[2:3], v[0:1], off
	s_mov_b32 s17, 0
	s_wait_loadcnt 0x0
	v_cvt_i32_f64_e32 v2, v[2:3]
	s_branch .LBB78_869
.LBB78_867:
	s_mov_b32 s17, -1
                                        ; implicit-def: $vgpr2
	s_branch .LBB78_872
.LBB78_868:
	s_mov_b32 s17, -1
                                        ; implicit-def: $vgpr2
.LBB78_869:
	s_delay_alu instid0(SALU_CYCLE_1)
	s_and_not1_b32 vcc_lo, exec_lo, s17
	s_cbranch_vccnz .LBB78_871
; %bb.870:
	s_wait_loadcnt 0x0
	global_load_b32 v2, v[0:1], off
	s_wait_loadcnt 0x0
	v_cvt_i32_f32_e32 v2, v2
.LBB78_871:
	s_mov_b32 s17, 0
.LBB78_872:
	s_delay_alu instid0(SALU_CYCLE_1)
	s_and_not1_b32 vcc_lo, exec_lo, s17
	s_cbranch_vccnz .LBB78_874
; %bb.873:
	s_wait_loadcnt 0x0
	global_load_u16 v2, v[0:1], off
	s_wait_loadcnt 0x0
	v_cvt_i16_f16_e32 v2, v2
.LBB78_874:
	s_cbranch_execnz .LBB78_893
.LBB78_875:
	s_sext_i32_i16 s17, s3
	s_delay_alu instid0(SALU_CYCLE_1)
	s_cmp_lt_i32 s17, 2
	s_cbranch_scc1 .LBB78_879
; %bb.876:
	s_cmp_lt_i32 s17, 3
	s_cbranch_scc1 .LBB78_880
; %bb.877:
	s_cmp_gt_i32 s17, 3
	s_cbranch_scc0 .LBB78_881
; %bb.878:
	s_wait_loadcnt 0x0
	global_load_b64 v[2:3], v[0:1], off
	s_mov_b32 s17, 0
	s_branch .LBB78_882
.LBB78_879:
                                        ; implicit-def: $vgpr2
	s_branch .LBB78_888
.LBB78_880:
	s_mov_b32 s17, -1
                                        ; implicit-def: $vgpr2
	s_branch .LBB78_885
.LBB78_881:
	s_mov_b32 s17, -1
                                        ; implicit-def: $vgpr2
.LBB78_882:
	s_delay_alu instid0(SALU_CYCLE_1)
	s_and_not1_b32 vcc_lo, exec_lo, s17
	s_cbranch_vccnz .LBB78_884
; %bb.883:
	s_wait_loadcnt 0x0
	global_load_b32 v2, v[0:1], off
.LBB78_884:
	s_mov_b32 s17, 0
.LBB78_885:
	s_delay_alu instid0(SALU_CYCLE_1)
	s_and_not1_b32 vcc_lo, exec_lo, s17
	s_cbranch_vccnz .LBB78_887
; %bb.886:
	s_wait_loadcnt 0x0
	global_load_u16 v2, v[0:1], off
.LBB78_887:
	s_cbranch_execnz .LBB78_893
.LBB78_888:
	s_sext_i32_i16 s17, s3
	s_delay_alu instid0(SALU_CYCLE_1)
	s_cmp_gt_i32 s17, 0
	s_mov_b32 s17, 0
	s_cbranch_scc0 .LBB78_890
; %bb.889:
	s_wait_loadcnt 0x0
	global_load_i8 v2, v[0:1], off
	s_branch .LBB78_891
.LBB78_890:
	s_mov_b32 s17, -1
                                        ; implicit-def: $vgpr2
.LBB78_891:
	s_delay_alu instid0(SALU_CYCLE_1)
	s_and_not1_b32 vcc_lo, exec_lo, s17
	s_cbranch_vccnz .LBB78_893
; %bb.892:
	s_wait_loadcnt 0x0
	global_load_u8 v2, v[0:1], off
.LBB78_893:
	s_or_b32 s0, s0, exec_lo
.LBB78_894:
	s_wait_xcnt 0x0
	s_or_b32 exec_lo, exec_lo, s16
	s_mov_b32 s20, 0
	s_mov_b32 s19, 0
                                        ; implicit-def: $sgpr16
                                        ; implicit-def: $sgpr17
                                        ; implicit-def: $vgpr0_vgpr1
	s_and_saveexec_b32 s18, s0
	s_cbranch_execz .LBB78_902
; %bb.895:
	v_mul_lo_u32 v0, v10, s8
	s_wait_loadcnt 0x0
	s_delay_alu instid0(VALU_DEP_2) | instskip(SKIP_3) | instid1(VALU_DEP_2)
	v_cmp_ne_u16_e32 vcc_lo, s11, v2
	s_and_b32 s17, s2, 0xff
	s_xor_b32 s16, s13, vcc_lo
	s_cmp_lt_i32 s17, 11
	v_ashrrev_i32_e32 v1, 31, v0
	s_delay_alu instid0(VALU_DEP_1)
	v_add_nc_u64_e32 v[0:1], s[4:5], v[0:1]
	s_cbranch_scc1 .LBB78_905
; %bb.896:
	s_and_b32 s13, 0xffff, s17
	s_mov_b32 s19, -1
	s_cmp_gt_i32 s13, 25
	s_mov_b32 s0, s15
	s_cbranch_scc0 .LBB78_933
; %bb.897:
	s_cmp_gt_i32 s13, 28
	s_mov_b32 s0, s15
	s_cbranch_scc0 .LBB78_917
; %bb.898:
	;; [unrolled: 4-line block ×4, first 2 shown]
	s_cmp_eq_u32 s13, 46
	s_mov_b32 s0, -1
	s_cbranch_scc0 .LBB78_906
; %bb.901:
	v_cndmask_b32_e64 v2, 0, 1.0, s16
	s_mov_b32 s0, 0
	s_mov_b32 s19, 0
	s_delay_alu instid0(VALU_DEP_1) | instskip(NEXT) | instid1(VALU_DEP_1)
	v_bfe_u32 v3, v2, 16, 1
	v_add3_u32 v2, v2, v3, 0x7fff
	s_delay_alu instid0(VALU_DEP_1)
	v_lshrrev_b32_e32 v2, 16, v2
	global_store_b32 v[0:1], v2, off
	s_branch .LBB78_907
.LBB78_902:
	s_or_b32 exec_lo, exec_lo, s18
	s_and_saveexec_b32 s0, s15
	s_cbranch_execnz .LBB78_975
.LBB78_903:
	s_or_b32 exec_lo, exec_lo, s0
	s_and_saveexec_b32 s0, s20
	s_delay_alu instid0(SALU_CYCLE_1)
	s_xor_b32 s0, exec_lo, s0
	s_cbranch_execz .LBB78_976
.LBB78_904:
	s_wait_loadcnt 0x0
	v_cndmask_b32_e64 v2, 0, 1, s16
	global_store_b8 v[0:1], v2, off
	s_wait_xcnt 0x0
	s_or_b32 exec_lo, exec_lo, s0
	s_and_saveexec_b32 s0, s19
	s_delay_alu instid0(SALU_CYCLE_1)
	s_xor_b32 s0, exec_lo, s0
	s_cbranch_execz .LBB78_1014
	s_branch .LBB78_977
.LBB78_905:
	s_mov_b32 s19, -1
	s_mov_b32 s0, s15
	s_branch .LBB78_974
.LBB78_906:
	s_mov_b32 s19, 0
.LBB78_907:
	s_delay_alu instid0(SALU_CYCLE_1)
	s_and_b32 vcc_lo, exec_lo, s19
	s_cbranch_vccz .LBB78_912
; %bb.908:
	s_cmp_eq_u32 s13, 44
	s_mov_b32 s0, -1
	s_cbranch_scc0 .LBB78_912
; %bb.909:
	v_cndmask_b32_e64 v4, 0, 1.0, s16
	s_mov_b32 s19, exec_lo
	s_wait_xcnt 0x0
	s_delay_alu instid0(VALU_DEP_1) | instskip(NEXT) | instid1(VALU_DEP_1)
	v_dual_mov_b32 v3, 0xff :: v_dual_lshrrev_b32 v2, 23, v4
	v_cmpx_ne_u32_e32 0xff, v2
; %bb.910:
	v_and_b32_e32 v3, 0x400000, v4
	v_and_or_b32 v4, 0x3fffff, v4, v2
	s_delay_alu instid0(VALU_DEP_2) | instskip(NEXT) | instid1(VALU_DEP_2)
	v_cmp_ne_u32_e32 vcc_lo, 0, v3
	v_cmp_ne_u32_e64 s0, 0, v4
	s_and_b32 s0, vcc_lo, s0
	s_delay_alu instid0(SALU_CYCLE_1) | instskip(NEXT) | instid1(VALU_DEP_1)
	v_cndmask_b32_e64 v3, 0, 1, s0
	v_add_nc_u32_e32 v3, v2, v3
; %bb.911:
	s_or_b32 exec_lo, exec_lo, s19
	s_mov_b32 s0, 0
	global_store_b8 v[0:1], v3, off
.LBB78_912:
	s_mov_b32 s19, 0
.LBB78_913:
	s_delay_alu instid0(SALU_CYCLE_1)
	s_and_b32 vcc_lo, exec_lo, s19
	s_cbranch_vccz .LBB78_916
; %bb.914:
	s_cmp_eq_u32 s13, 29
	s_mov_b32 s0, -1
	s_cbranch_scc0 .LBB78_916
; %bb.915:
	s_mov_b32 s0, 0
	s_wait_xcnt 0x0
	v_cndmask_b32_e64 v2, 0, 1, s16
	v_mov_b32_e32 v3, s0
	s_mov_b32 s19, 0
	global_store_b64 v[0:1], v[2:3], off
	s_branch .LBB78_917
.LBB78_916:
	s_mov_b32 s19, 0
.LBB78_917:
	s_delay_alu instid0(SALU_CYCLE_1)
	s_and_b32 vcc_lo, exec_lo, s19
	s_cbranch_vccz .LBB78_932
; %bb.918:
	s_cmp_lt_i32 s13, 27
	s_mov_b32 s19, -1
	s_cbranch_scc1 .LBB78_924
; %bb.919:
	s_wait_xcnt 0x0
	v_cndmask_b32_e64 v2, 0, 1, s16
	s_cmp_gt_i32 s13, 27
	s_cbranch_scc0 .LBB78_921
; %bb.920:
	s_mov_b32 s19, 0
	global_store_b32 v[0:1], v2, off
.LBB78_921:
	s_and_not1_b32 vcc_lo, exec_lo, s19
	s_cbranch_vccnz .LBB78_923
; %bb.922:
	global_store_b16 v[0:1], v2, off
.LBB78_923:
	s_mov_b32 s19, 0
.LBB78_924:
	s_delay_alu instid0(SALU_CYCLE_1)
	s_and_not1_b32 vcc_lo, exec_lo, s19
	s_cbranch_vccnz .LBB78_932
; %bb.925:
	s_wait_xcnt 0x0
	v_cndmask_b32_e64 v3, 0, 1.0, s16
	v_mov_b32_e32 v4, 0x80
	s_mov_b32 s19, exec_lo
	s_delay_alu instid0(VALU_DEP_2)
	v_cmpx_gt_u32_e32 0x43800000, v3
	s_cbranch_execz .LBB78_931
; %bb.926:
	s_mov_b32 s21, exec_lo
                                        ; implicit-def: $vgpr2
	v_cmpx_lt_u32_e32 0x3bffffff, v3
	s_xor_b32 s21, exec_lo, s21
	s_cbranch_execz .LBB78_1029
; %bb.927:
	v_bfe_u32 v2, v3, 20, 1
	s_mov_b32 s20, exec_lo
	s_delay_alu instid0(VALU_DEP_1) | instskip(NEXT) | instid1(VALU_DEP_1)
	v_add3_u32 v2, v3, v2, 0x487ffff
                                        ; implicit-def: $vgpr3
	v_lshrrev_b32_e32 v2, 20, v2
	s_and_not1_saveexec_b32 s21, s21
	s_cbranch_execnz .LBB78_1030
.LBB78_928:
	s_or_b32 exec_lo, exec_lo, s21
	v_mov_b32_e32 v4, 0
	s_and_saveexec_b32 s21, s20
.LBB78_929:
	v_mov_b32_e32 v4, v2
.LBB78_930:
	s_or_b32 exec_lo, exec_lo, s21
.LBB78_931:
	s_delay_alu instid0(SALU_CYCLE_1)
	s_or_b32 exec_lo, exec_lo, s19
	global_store_b8 v[0:1], v4, off
.LBB78_932:
	s_mov_b32 s19, 0
.LBB78_933:
	s_delay_alu instid0(SALU_CYCLE_1)
	s_and_b32 vcc_lo, exec_lo, s19
	s_mov_b32 s19, 0
	s_cbranch_vccz .LBB78_973
; %bb.934:
	s_cmp_gt_i32 s13, 22
	s_mov_b32 s20, -1
	s_cbranch_scc0 .LBB78_966
; %bb.935:
	s_cmp_lt_i32 s13, 24
	s_cbranch_scc1 .LBB78_955
; %bb.936:
	s_cmp_gt_i32 s13, 24
	s_cbranch_scc0 .LBB78_944
; %bb.937:
	s_wait_xcnt 0x0
	v_cndmask_b32_e64 v3, 0, 1.0, s16
	v_mov_b32_e32 v4, 0x80
	s_mov_b32 s20, exec_lo
	s_delay_alu instid0(VALU_DEP_2)
	v_cmpx_gt_u32_e32 0x47800000, v3
	s_cbranch_execz .LBB78_943
; %bb.938:
	s_mov_b32 s21, 0
	s_mov_b32 s22, exec_lo
                                        ; implicit-def: $vgpr2
	v_cmpx_lt_u32_e32 0x37ffffff, v3
	s_xor_b32 s22, exec_lo, s22
	s_cbranch_execz .LBB78_1150
; %bb.939:
	v_bfe_u32 v2, v3, 21, 1
	s_mov_b32 s21, exec_lo
	s_delay_alu instid0(VALU_DEP_1) | instskip(NEXT) | instid1(VALU_DEP_1)
	v_add3_u32 v2, v3, v2, 0x88fffff
                                        ; implicit-def: $vgpr3
	v_lshrrev_b32_e32 v2, 21, v2
	s_and_not1_saveexec_b32 s22, s22
	s_cbranch_execnz .LBB78_1151
.LBB78_940:
	s_or_b32 exec_lo, exec_lo, s22
	v_mov_b32_e32 v4, 0
	s_and_saveexec_b32 s22, s21
.LBB78_941:
	v_mov_b32_e32 v4, v2
.LBB78_942:
	s_or_b32 exec_lo, exec_lo, s22
.LBB78_943:
	s_delay_alu instid0(SALU_CYCLE_1)
	s_or_b32 exec_lo, exec_lo, s20
	s_mov_b32 s20, 0
	global_store_b8 v[0:1], v4, off
.LBB78_944:
	s_and_b32 vcc_lo, exec_lo, s20
	s_cbranch_vccz .LBB78_954
; %bb.945:
	s_wait_xcnt 0x0
	v_cndmask_b32_e64 v3, 0, 1.0, s16
	s_mov_b32 s20, exec_lo
                                        ; implicit-def: $vgpr2
	s_delay_alu instid0(VALU_DEP_1)
	v_cmpx_gt_u32_e32 0x43f00000, v3
	s_xor_b32 s20, exec_lo, s20
	s_cbranch_execz .LBB78_951
; %bb.946:
	s_mov_b32 s21, exec_lo
                                        ; implicit-def: $vgpr2
	v_cmpx_lt_u32_e32 0x3c7fffff, v3
	s_xor_b32 s21, exec_lo, s21
; %bb.947:
	v_bfe_u32 v2, v3, 20, 1
	s_delay_alu instid0(VALU_DEP_1) | instskip(NEXT) | instid1(VALU_DEP_1)
	v_add3_u32 v2, v3, v2, 0x407ffff
	v_and_b32_e32 v3, 0xff00000, v2
	v_lshrrev_b32_e32 v2, 20, v2
	s_delay_alu instid0(VALU_DEP_2) | instskip(NEXT) | instid1(VALU_DEP_2)
	v_cmp_ne_u32_e32 vcc_lo, 0x7f00000, v3
                                        ; implicit-def: $vgpr3
	v_cndmask_b32_e32 v2, 0x7e, v2, vcc_lo
; %bb.948:
	s_and_not1_saveexec_b32 s21, s21
; %bb.949:
	v_add_f32_e32 v2, 0x46800000, v3
; %bb.950:
	s_or_b32 exec_lo, exec_lo, s21
                                        ; implicit-def: $vgpr3
.LBB78_951:
	s_and_not1_saveexec_b32 s20, s20
; %bb.952:
	v_mov_b32_e32 v2, 0x7f
	v_cmp_lt_u32_e32 vcc_lo, 0x7f800000, v3
	s_delay_alu instid0(VALU_DEP_2)
	v_cndmask_b32_e32 v2, 0x7e, v2, vcc_lo
; %bb.953:
	s_or_b32 exec_lo, exec_lo, s20
	global_store_b8 v[0:1], v2, off
.LBB78_954:
	s_mov_b32 s20, 0
.LBB78_955:
	s_delay_alu instid0(SALU_CYCLE_1)
	s_and_not1_b32 vcc_lo, exec_lo, s20
	s_cbranch_vccnz .LBB78_965
; %bb.956:
	s_wait_xcnt 0x0
	v_cndmask_b32_e64 v3, 0, 1.0, s16
	s_mov_b32 s20, exec_lo
                                        ; implicit-def: $vgpr2
	s_delay_alu instid0(VALU_DEP_1)
	v_cmpx_gt_u32_e32 0x47800000, v3
	s_xor_b32 s20, exec_lo, s20
	s_cbranch_execz .LBB78_962
; %bb.957:
	s_mov_b32 s21, exec_lo
                                        ; implicit-def: $vgpr2
	v_cmpx_lt_u32_e32 0x387fffff, v3
	s_xor_b32 s21, exec_lo, s21
; %bb.958:
	v_bfe_u32 v2, v3, 21, 1
	s_delay_alu instid0(VALU_DEP_1) | instskip(NEXT) | instid1(VALU_DEP_1)
	v_add3_u32 v2, v3, v2, 0x80fffff
                                        ; implicit-def: $vgpr3
	v_lshrrev_b32_e32 v2, 21, v2
; %bb.959:
	s_and_not1_saveexec_b32 s21, s21
; %bb.960:
	v_add_f32_e32 v2, 0x43000000, v3
; %bb.961:
	s_or_b32 exec_lo, exec_lo, s21
                                        ; implicit-def: $vgpr3
.LBB78_962:
	s_and_not1_saveexec_b32 s20, s20
; %bb.963:
	v_mov_b32_e32 v2, 0x7f
	v_cmp_lt_u32_e32 vcc_lo, 0x7f800000, v3
	s_delay_alu instid0(VALU_DEP_2)
	v_cndmask_b32_e32 v2, 0x7c, v2, vcc_lo
; %bb.964:
	s_or_b32 exec_lo, exec_lo, s20
	global_store_b8 v[0:1], v2, off
.LBB78_965:
	s_mov_b32 s20, 0
.LBB78_966:
	s_delay_alu instid0(SALU_CYCLE_1)
	s_and_not1_b32 vcc_lo, exec_lo, s20
	s_mov_b32 s20, 0
	s_cbranch_vccnz .LBB78_974
; %bb.967:
	s_cmp_gt_i32 s13, 14
	s_mov_b32 s20, -1
	s_cbranch_scc0 .LBB78_971
; %bb.968:
	s_cmp_eq_u32 s13, 15
	s_mov_b32 s0, -1
	s_cbranch_scc0 .LBB78_970
; %bb.969:
	s_wait_xcnt 0x0
	v_cndmask_b32_e64 v2, 0, 1.0, s16
	s_mov_b32 s0, 0
	s_delay_alu instid0(VALU_DEP_1) | instskip(NEXT) | instid1(VALU_DEP_1)
	v_bfe_u32 v3, v2, 16, 1
	v_add3_u32 v2, v2, v3, 0x7fff
	global_store_d16_hi_b16 v[0:1], v2, off
.LBB78_970:
	s_mov_b32 s20, 0
.LBB78_971:
	s_delay_alu instid0(SALU_CYCLE_1)
	s_and_b32 vcc_lo, exec_lo, s20
	s_mov_b32 s20, 0
	s_cbranch_vccz .LBB78_974
; %bb.972:
	s_cmp_lg_u32 s13, 11
	s_mov_b32 s20, -1
	s_cselect_b32 s13, -1, 0
	s_and_not1_b32 s0, s0, exec_lo
	s_and_b32 s13, s13, exec_lo
	s_delay_alu instid0(SALU_CYCLE_1)
	s_or_b32 s0, s0, s13
	s_branch .LBB78_974
.LBB78_973:
	s_mov_b32 s20, 0
.LBB78_974:
	s_and_not1_b32 s13, s15, exec_lo
	s_and_b32 s0, s0, exec_lo
	s_and_b32 s19, s19, exec_lo
	;; [unrolled: 1-line block ×3, first 2 shown]
	s_or_b32 s15, s13, s0
	s_wait_xcnt 0x0
	s_or_b32 exec_lo, exec_lo, s18
	s_and_saveexec_b32 s0, s15
	s_cbranch_execz .LBB78_903
.LBB78_975:
	s_or_b32 s14, s14, exec_lo
	s_and_not1_b32 s20, s20, exec_lo
	s_trap 2
	s_or_b32 exec_lo, exec_lo, s0
	s_and_saveexec_b32 s0, s20
	s_delay_alu instid0(SALU_CYCLE_1)
	s_xor_b32 s0, exec_lo, s0
	s_cbranch_execnz .LBB78_904
.LBB78_976:
	s_or_b32 exec_lo, exec_lo, s0
	s_and_saveexec_b32 s0, s19
	s_delay_alu instid0(SALU_CYCLE_1)
	s_xor_b32 s0, exec_lo, s0
	s_cbranch_execz .LBB78_1014
.LBB78_977:
	s_sext_i32_i16 s15, s17
	s_mov_b32 s13, -1
	s_cmp_lt_i32 s15, 5
	s_cbranch_scc1 .LBB78_998
; %bb.978:
	s_cmp_lt_i32 s15, 8
	s_cbranch_scc1 .LBB78_988
; %bb.979:
	;; [unrolled: 3-line block ×3, first 2 shown]
	s_cmp_gt_i32 s15, 9
	s_cbranch_scc0 .LBB78_982
; %bb.981:
	s_wait_loadcnt 0x0
	v_cndmask_b32_e64 v2, 0, 1, s16
	v_mov_b32_e32 v4, 0
	s_mov_b32 s13, 0
	s_delay_alu instid0(VALU_DEP_2) | instskip(NEXT) | instid1(VALU_DEP_2)
	v_cvt_f64_u32_e32 v[2:3], v2
	v_mov_b32_e32 v5, v4
	global_store_b128 v[0:1], v[2:5], off
.LBB78_982:
	s_and_not1_b32 vcc_lo, exec_lo, s13
	s_cbranch_vccnz .LBB78_984
; %bb.983:
	s_wait_loadcnt 0x0
	v_cndmask_b32_e64 v2, 0, 1.0, s16
	v_mov_b32_e32 v3, 0
	global_store_b64 v[0:1], v[2:3], off
.LBB78_984:
	s_mov_b32 s13, 0
.LBB78_985:
	s_delay_alu instid0(SALU_CYCLE_1)
	s_and_not1_b32 vcc_lo, exec_lo, s13
	s_cbranch_vccnz .LBB78_987
; %bb.986:
	s_wait_loadcnt 0x0
	v_cndmask_b32_e64 v2, 0, 1.0, s16
	s_delay_alu instid0(VALU_DEP_1) | instskip(NEXT) | instid1(VALU_DEP_1)
	v_cvt_f16_f32_e32 v2, v2
	v_and_b32_e32 v2, 0xffff, v2
	global_store_b32 v[0:1], v2, off
.LBB78_987:
	s_mov_b32 s13, 0
.LBB78_988:
	s_delay_alu instid0(SALU_CYCLE_1)
	s_and_not1_b32 vcc_lo, exec_lo, s13
	s_cbranch_vccnz .LBB78_997
; %bb.989:
	s_sext_i32_i16 s15, s17
	s_mov_b32 s13, -1
	s_cmp_lt_i32 s15, 6
	s_cbranch_scc1 .LBB78_995
; %bb.990:
	s_cmp_gt_i32 s15, 6
	s_cbranch_scc0 .LBB78_992
; %bb.991:
	s_wait_loadcnt 0x0
	v_cndmask_b32_e64 v2, 0, 1, s16
	s_mov_b32 s13, 0
	s_delay_alu instid0(VALU_DEP_1)
	v_cvt_f64_u32_e32 v[2:3], v2
	global_store_b64 v[0:1], v[2:3], off
.LBB78_992:
	s_and_not1_b32 vcc_lo, exec_lo, s13
	s_cbranch_vccnz .LBB78_994
; %bb.993:
	s_wait_loadcnt 0x0
	v_cndmask_b32_e64 v2, 0, 1.0, s16
	global_store_b32 v[0:1], v2, off
.LBB78_994:
	s_mov_b32 s13, 0
.LBB78_995:
	s_delay_alu instid0(SALU_CYCLE_1)
	s_and_not1_b32 vcc_lo, exec_lo, s13
	s_cbranch_vccnz .LBB78_997
; %bb.996:
	s_wait_loadcnt 0x0
	v_cndmask_b32_e64 v2, 0, 1.0, s16
	s_delay_alu instid0(VALU_DEP_1)
	v_cvt_f16_f32_e32 v2, v2
	global_store_b16 v[0:1], v2, off
.LBB78_997:
	s_mov_b32 s13, 0
.LBB78_998:
	s_delay_alu instid0(SALU_CYCLE_1)
	s_and_not1_b32 vcc_lo, exec_lo, s13
	s_cbranch_vccnz .LBB78_1014
; %bb.999:
	s_sext_i32_i16 s15, s17
	s_mov_b32 s13, -1
	s_cmp_lt_i32 s15, 2
	s_cbranch_scc1 .LBB78_1009
; %bb.1000:
	s_cmp_lt_i32 s15, 3
	s_cbranch_scc1 .LBB78_1006
; %bb.1001:
	s_cmp_gt_i32 s15, 3
	s_cbranch_scc0 .LBB78_1003
; %bb.1002:
	s_mov_b32 s13, 0
	s_wait_loadcnt 0x0
	v_cndmask_b32_e64 v2, 0, 1, s16
	v_mov_b32_e32 v3, s13
	global_store_b64 v[0:1], v[2:3], off
.LBB78_1003:
	s_and_not1_b32 vcc_lo, exec_lo, s13
	s_cbranch_vccnz .LBB78_1005
; %bb.1004:
	s_wait_loadcnt 0x0
	v_cndmask_b32_e64 v2, 0, 1, s16
	global_store_b32 v[0:1], v2, off
.LBB78_1005:
	s_mov_b32 s13, 0
.LBB78_1006:
	s_delay_alu instid0(SALU_CYCLE_1)
	s_and_not1_b32 vcc_lo, exec_lo, s13
	s_cbranch_vccnz .LBB78_1008
; %bb.1007:
	s_wait_loadcnt 0x0
	v_cndmask_b32_e64 v2, 0, 1, s16
	global_store_b16 v[0:1], v2, off
.LBB78_1008:
	s_mov_b32 s13, 0
.LBB78_1009:
	s_delay_alu instid0(SALU_CYCLE_1)
	s_and_not1_b32 vcc_lo, exec_lo, s13
	s_cbranch_vccnz .LBB78_1014
; %bb.1010:
	s_wait_loadcnt 0x0
	v_cndmask_b32_e64 v2, 0, 1, s16
	s_sext_i32_i16 s13, s17
	s_delay_alu instid0(SALU_CYCLE_1)
	s_cmp_gt_i32 s13, 0
	s_mov_b32 s13, -1
	s_cbranch_scc0 .LBB78_1012
; %bb.1011:
	s_mov_b32 s13, 0
	global_store_b8 v[0:1], v2, off
.LBB78_1012:
	s_and_not1_b32 vcc_lo, exec_lo, s13
	s_cbranch_vccnz .LBB78_1014
; %bb.1013:
	global_store_b8 v[0:1], v2, off
.LBB78_1014:
	s_wait_xcnt 0x0
	s_or_b32 exec_lo, exec_lo, s0
	s_delay_alu instid0(SALU_CYCLE_1)
	s_and_b32 s13, s14, exec_lo
                                        ; implicit-def: $vgpr10
.LBB78_1015:
	s_or_saveexec_b32 s12, s12
	s_mov_b32 s0, 0
                                        ; implicit-def: $sgpr15
                                        ; implicit-def: $sgpr14
                                        ; implicit-def: $vgpr0_vgpr1
	s_xor_b32 exec_lo, exec_lo, s12
	s_cbranch_execz .LBB78_1949
; %bb.1016:
	v_mul_lo_u32 v0, s9, v10
	s_and_b32 s0, 0xffff, s3
	s_delay_alu instid0(SALU_CYCLE_1) | instskip(NEXT) | instid1(VALU_DEP_1)
	s_cmp_lt_i32 s0, 11
	v_ashrrev_i32_e32 v1, 31, v0
	s_wait_loadcnt 0x0
	s_delay_alu instid0(VALU_DEP_1)
	v_add_nc_u64_e32 v[2:3], s[6:7], v[0:1]
	s_cbranch_scc1 .LBB78_1023
; %bb.1017:
	s_cmp_gt_i32 s0, 25
	s_mov_b32 s3, 0
	s_cbranch_scc0 .LBB78_1025
; %bb.1018:
	s_cmp_gt_i32 s0, 28
	s_cbranch_scc0 .LBB78_1026
; %bb.1019:
	s_cmp_gt_i32 s0, 43
	;; [unrolled: 3-line block ×3, first 2 shown]
	s_cbranch_scc0 .LBB78_1028
; %bb.1021:
	s_cmp_eq_u32 s0, 46
	s_mov_b32 s15, 0
	s_cbranch_scc0 .LBB78_1031
; %bb.1022:
	global_load_b32 v1, v[2:3], off
	s_mov_b32 s14, -1
	s_wait_loadcnt 0x0
	v_lshlrev_b32_e32 v1, 16, v1
	s_delay_alu instid0(VALU_DEP_1)
	v_cvt_i32_f32_e32 v6, v1
	s_branch .LBB78_1033
.LBB78_1023:
	s_mov_b32 s14, 0
	s_mov_b32 s1, s13
                                        ; implicit-def: $vgpr6
	s_cbranch_execnz .LBB78_1091
.LBB78_1024:
	s_and_not1_b32 vcc_lo, exec_lo, s14
	s_cbranch_vccz .LBB78_1136
	s_branch .LBB78_1947
.LBB78_1025:
	s_mov_b32 s14, 0
                                        ; implicit-def: $vgpr6
	s_cbranch_execnz .LBB78_1058
	s_branch .LBB78_1087
.LBB78_1026:
	s_mov_b32 s14, 0
                                        ; implicit-def: $vgpr6
	s_cbranch_execz .LBB78_1057
	s_branch .LBB78_1042
.LBB78_1027:
	s_mov_b32 s14, 0
                                        ; implicit-def: $vgpr6
	s_cbranch_execnz .LBB78_1038
	s_branch .LBB78_1041
.LBB78_1028:
	s_mov_b32 s15, -1
	s_branch .LBB78_1032
.LBB78_1029:
	s_and_not1_saveexec_b32 s21, s21
	s_cbranch_execz .LBB78_928
.LBB78_1030:
	v_add_f32_e32 v2, 0x46000000, v3
	s_and_not1_b32 s20, s20, exec_lo
	s_delay_alu instid0(VALU_DEP_1) | instskip(NEXT) | instid1(VALU_DEP_1)
	v_and_b32_e32 v2, 0xff, v2
	v_cmp_ne_u32_e32 vcc_lo, 0, v2
	s_and_b32 s22, vcc_lo, exec_lo
	s_delay_alu instid0(SALU_CYCLE_1)
	s_or_b32 s20, s20, s22
	s_or_b32 exec_lo, exec_lo, s21
	v_mov_b32_e32 v4, 0
	s_and_saveexec_b32 s21, s20
	s_cbranch_execnz .LBB78_929
	s_branch .LBB78_930
.LBB78_1031:
	s_mov_b32 s1, -1
.LBB78_1032:
	s_mov_b32 s14, 0
                                        ; implicit-def: $vgpr6
.LBB78_1033:
	s_and_b32 vcc_lo, exec_lo, s15
	s_cbranch_vccz .LBB78_1036
; %bb.1034:
	s_cmp_eq_u32 s0, 44
	s_cbranch_scc0 .LBB78_1037
; %bb.1035:
	global_load_u8 v1, v[2:3], off
	s_mov_b32 s1, 0
	s_mov_b32 s14, -1
	s_wait_loadcnt 0x0
	v_lshlrev_b32_e32 v4, 23, v1
	v_cmp_ne_u32_e32 vcc_lo, 0, v1
	s_delay_alu instid0(VALU_DEP_2) | instskip(NEXT) | instid1(VALU_DEP_1)
	v_cvt_i32_f32_e32 v4, v4
	v_cndmask_b32_e32 v6, 0, v4, vcc_lo
.LBB78_1036:
	s_branch .LBB78_1041
.LBB78_1037:
	s_mov_b32 s1, -1
                                        ; implicit-def: $vgpr6
	s_branch .LBB78_1041
.LBB78_1038:
	s_cmp_eq_u32 s0, 29
	s_cbranch_scc0 .LBB78_1040
; %bb.1039:
	global_load_b64 v[6:7], v[2:3], off
	s_mov_b32 s1, 0
	s_mov_b32 s14, -1
	s_branch .LBB78_1041
.LBB78_1040:
	s_mov_b32 s1, -1
                                        ; implicit-def: $vgpr6
.LBB78_1041:
	s_branch .LBB78_1057
.LBB78_1042:
	s_cmp_lt_i32 s0, 27
	s_cbranch_scc1 .LBB78_1045
; %bb.1043:
	s_cmp_gt_i32 s0, 27
	s_cbranch_scc0 .LBB78_1046
; %bb.1044:
	s_wait_loadcnt 0x0
	global_load_b32 v6, v[2:3], off
	s_mov_b32 s14, 0
	s_branch .LBB78_1047
.LBB78_1045:
	s_mov_b32 s14, -1
                                        ; implicit-def: $vgpr6
	s_branch .LBB78_1050
.LBB78_1046:
	s_mov_b32 s14, -1
                                        ; implicit-def: $vgpr6
.LBB78_1047:
	s_delay_alu instid0(SALU_CYCLE_1)
	s_and_not1_b32 vcc_lo, exec_lo, s14
	s_cbranch_vccnz .LBB78_1049
; %bb.1048:
	s_wait_loadcnt 0x0
	global_load_u16 v6, v[2:3], off
.LBB78_1049:
	s_mov_b32 s14, 0
.LBB78_1050:
	s_delay_alu instid0(SALU_CYCLE_1)
	s_and_not1_b32 vcc_lo, exec_lo, s14
	s_cbranch_vccnz .LBB78_1056
; %bb.1051:
	global_load_u8 v1, v[2:3], off
	s_mov_b32 s15, 0
	s_mov_b32 s14, exec_lo
	s_wait_loadcnt 0x0
	v_cmpx_lt_i16_e32 0x7f, v1
	s_xor_b32 s14, exec_lo, s14
	s_cbranch_execz .LBB78_1067
; %bb.1052:
	v_cmp_ne_u16_e32 vcc_lo, 0x80, v1
	s_and_b32 s15, vcc_lo, exec_lo
	s_and_not1_saveexec_b32 s14, s14
	s_cbranch_execnz .LBB78_1068
.LBB78_1053:
	s_or_b32 exec_lo, exec_lo, s14
	v_mov_b32_e32 v6, 0
	s_and_saveexec_b32 s14, s15
	s_cbranch_execz .LBB78_1055
.LBB78_1054:
	v_and_b32_e32 v4, 0xffff, v1
	s_delay_alu instid0(VALU_DEP_1) | instskip(SKIP_1) | instid1(VALU_DEP_2)
	v_and_b32_e32 v5, 7, v4
	v_bfe_u32 v8, v4, 3, 4
	v_clz_i32_u32_e32 v6, v5
	s_delay_alu instid0(VALU_DEP_2) | instskip(NEXT) | instid1(VALU_DEP_2)
	v_cmp_eq_u32_e32 vcc_lo, 0, v8
	v_min_u32_e32 v6, 32, v6
	s_delay_alu instid0(VALU_DEP_1) | instskip(NEXT) | instid1(VALU_DEP_1)
	v_subrev_nc_u32_e32 v7, 28, v6
	v_dual_lshlrev_b32 v4, v7, v4 :: v_dual_sub_nc_u32 v6, 29, v6
	s_delay_alu instid0(VALU_DEP_1) | instskip(NEXT) | instid1(VALU_DEP_1)
	v_dual_lshlrev_b32 v1, 24, v1 :: v_dual_bitop2_b32 v4, 7, v4 bitop3:0x40
	v_dual_cndmask_b32 v6, v8, v6, vcc_lo :: v_dual_cndmask_b32 v4, v5, v4, vcc_lo
	s_delay_alu instid0(VALU_DEP_2) | instskip(NEXT) | instid1(VALU_DEP_2)
	v_and_b32_e32 v1, 0x80000000, v1
	v_lshl_add_u32 v5, v6, 23, 0x3b800000
	s_delay_alu instid0(VALU_DEP_3) | instskip(NEXT) | instid1(VALU_DEP_1)
	v_lshlrev_b32_e32 v4, 20, v4
	v_or3_b32 v1, v1, v5, v4
	s_delay_alu instid0(VALU_DEP_1)
	v_cvt_i32_f32_e32 v6, v1
.LBB78_1055:
	s_or_b32 exec_lo, exec_lo, s14
.LBB78_1056:
	s_mov_b32 s14, -1
.LBB78_1057:
	s_branch .LBB78_1087
.LBB78_1058:
	s_cmp_gt_i32 s0, 22
	s_cbranch_scc0 .LBB78_1066
; %bb.1059:
	s_cmp_lt_i32 s0, 24
	s_cbranch_scc1 .LBB78_1069
; %bb.1060:
	s_cmp_gt_i32 s0, 24
	s_cbranch_scc0 .LBB78_1070
; %bb.1061:
	global_load_u8 v1, v[2:3], off
	s_mov_b32 s14, 0
	s_mov_b32 s3, exec_lo
	s_wait_loadcnt 0x0
	v_cmpx_lt_i16_e32 0x7f, v1
	s_xor_b32 s3, exec_lo, s3
	s_cbranch_execz .LBB78_1081
; %bb.1062:
	v_cmp_ne_u16_e32 vcc_lo, 0x80, v1
	s_and_b32 s14, vcc_lo, exec_lo
	s_and_not1_saveexec_b32 s3, s3
	s_cbranch_execnz .LBB78_1082
.LBB78_1063:
	s_or_b32 exec_lo, exec_lo, s3
	v_mov_b32_e32 v6, 0
	s_and_saveexec_b32 s3, s14
	s_cbranch_execz .LBB78_1065
.LBB78_1064:
	v_and_b32_e32 v4, 0xffff, v1
	s_delay_alu instid0(VALU_DEP_1) | instskip(SKIP_1) | instid1(VALU_DEP_2)
	v_and_b32_e32 v5, 3, v4
	v_bfe_u32 v8, v4, 2, 5
	v_clz_i32_u32_e32 v6, v5
	s_delay_alu instid0(VALU_DEP_2) | instskip(NEXT) | instid1(VALU_DEP_2)
	v_cmp_eq_u32_e32 vcc_lo, 0, v8
	v_min_u32_e32 v6, 32, v6
	s_delay_alu instid0(VALU_DEP_1) | instskip(NEXT) | instid1(VALU_DEP_1)
	v_subrev_nc_u32_e32 v7, 29, v6
	v_dual_lshlrev_b32 v4, v7, v4 :: v_dual_sub_nc_u32 v6, 30, v6
	s_delay_alu instid0(VALU_DEP_1) | instskip(NEXT) | instid1(VALU_DEP_1)
	v_dual_lshlrev_b32 v1, 24, v1 :: v_dual_bitop2_b32 v4, 3, v4 bitop3:0x40
	v_dual_cndmask_b32 v6, v8, v6, vcc_lo :: v_dual_cndmask_b32 v4, v5, v4, vcc_lo
	s_delay_alu instid0(VALU_DEP_2) | instskip(NEXT) | instid1(VALU_DEP_2)
	v_and_b32_e32 v1, 0x80000000, v1
	v_lshl_add_u32 v5, v6, 23, 0x37800000
	s_delay_alu instid0(VALU_DEP_3) | instskip(NEXT) | instid1(VALU_DEP_1)
	v_lshlrev_b32_e32 v4, 21, v4
	v_or3_b32 v1, v1, v5, v4
	s_delay_alu instid0(VALU_DEP_1)
	v_cvt_i32_f32_e32 v6, v1
.LBB78_1065:
	s_or_b32 exec_lo, exec_lo, s3
	s_mov_b32 s3, 0
	s_branch .LBB78_1071
.LBB78_1066:
                                        ; implicit-def: $vgpr6
	s_mov_b32 s3, 0
	s_branch .LBB78_1077
.LBB78_1067:
	s_and_not1_saveexec_b32 s14, s14
	s_cbranch_execz .LBB78_1053
.LBB78_1068:
	v_cmp_ne_u16_e32 vcc_lo, 0, v1
	s_and_not1_b32 s15, s15, exec_lo
	s_and_b32 s16, vcc_lo, exec_lo
	s_delay_alu instid0(SALU_CYCLE_1)
	s_or_b32 s15, s15, s16
	s_or_b32 exec_lo, exec_lo, s14
	v_mov_b32_e32 v6, 0
	s_and_saveexec_b32 s14, s15
	s_cbranch_execnz .LBB78_1054
	s_branch .LBB78_1055
.LBB78_1069:
	s_mov_b32 s3, -1
                                        ; implicit-def: $vgpr6
	s_branch .LBB78_1074
.LBB78_1070:
	s_mov_b32 s3, -1
                                        ; implicit-def: $vgpr6
.LBB78_1071:
	s_delay_alu instid0(SALU_CYCLE_1)
	s_and_b32 vcc_lo, exec_lo, s3
	s_cbranch_vccz .LBB78_1073
; %bb.1072:
	global_load_u8 v1, v[2:3], off
	s_wait_loadcnt 0x0
	v_lshlrev_b32_e32 v1, 24, v1
	s_delay_alu instid0(VALU_DEP_1) | instskip(NEXT) | instid1(VALU_DEP_1)
	v_and_b32_e32 v4, 0x7f000000, v1
	v_clz_i32_u32_e32 v5, v4
	v_cmp_ne_u32_e32 vcc_lo, 0, v4
	v_add_nc_u32_e32 v7, 0x1000000, v4
	s_delay_alu instid0(VALU_DEP_3) | instskip(NEXT) | instid1(VALU_DEP_1)
	v_min_u32_e32 v5, 32, v5
	v_sub_nc_u32_e64 v5, v5, 4 clamp
	s_delay_alu instid0(VALU_DEP_1) | instskip(NEXT) | instid1(VALU_DEP_1)
	v_dual_lshlrev_b32 v6, v5, v4 :: v_dual_lshlrev_b32 v5, 23, v5
	v_lshrrev_b32_e32 v6, 4, v6
	s_delay_alu instid0(VALU_DEP_1) | instskip(NEXT) | instid1(VALU_DEP_1)
	v_dual_sub_nc_u32 v5, v6, v5 :: v_dual_ashrrev_i32 v6, 8, v7
	v_add_nc_u32_e32 v5, 0x3c000000, v5
	s_delay_alu instid0(VALU_DEP_1) | instskip(NEXT) | instid1(VALU_DEP_1)
	v_and_or_b32 v5, 0x7f800000, v6, v5
	v_cndmask_b32_e32 v4, 0, v5, vcc_lo
	s_delay_alu instid0(VALU_DEP_1) | instskip(NEXT) | instid1(VALU_DEP_1)
	v_and_or_b32 v1, 0x80000000, v1, v4
	v_cvt_i32_f32_e32 v6, v1
.LBB78_1073:
	s_mov_b32 s3, 0
.LBB78_1074:
	s_delay_alu instid0(SALU_CYCLE_1)
	s_and_not1_b32 vcc_lo, exec_lo, s3
	s_cbranch_vccnz .LBB78_1076
; %bb.1075:
	global_load_u8 v1, v[2:3], off
	s_wait_loadcnt 0x0
	v_lshlrev_b32_e32 v4, 25, v1
	v_lshlrev_b16 v1, 8, v1
	s_delay_alu instid0(VALU_DEP_1) | instskip(SKIP_1) | instid1(VALU_DEP_2)
	v_and_or_b32 v6, 0x7f00, v1, 0.5
	v_bfe_i32 v1, v1, 0, 16
	v_dual_add_f32 v6, -0.5, v6 :: v_dual_lshrrev_b32 v5, 4, v4
	v_cmp_gt_u32_e32 vcc_lo, 0x8000000, v4
	s_delay_alu instid0(VALU_DEP_2) | instskip(NEXT) | instid1(VALU_DEP_1)
	v_or_b32_e32 v5, 0x70000000, v5
	v_mul_f32_e32 v5, 0x7800000, v5
	s_delay_alu instid0(VALU_DEP_1) | instskip(NEXT) | instid1(VALU_DEP_1)
	v_cndmask_b32_e32 v4, v5, v6, vcc_lo
	v_and_or_b32 v1, 0x80000000, v1, v4
	s_delay_alu instid0(VALU_DEP_1)
	v_cvt_i32_f32_e32 v6, v1
.LBB78_1076:
	s_mov_b32 s14, -1
	s_mov_b32 s3, 0
	s_cbranch_execnz .LBB78_1087
.LBB78_1077:
	s_cmp_gt_i32 s0, 14
	s_cbranch_scc0 .LBB78_1080
; %bb.1078:
	s_cmp_eq_u32 s0, 15
	s_cbranch_scc0 .LBB78_1083
; %bb.1079:
	global_load_u16 v1, v[2:3], off
	s_mov_b32 s1, 0
	s_mov_b32 s14, -1
	s_wait_loadcnt 0x0
	v_lshlrev_b32_e32 v1, 16, v1
	s_delay_alu instid0(VALU_DEP_1)
	v_cvt_i32_f32_e32 v6, v1
	s_branch .LBB78_1085
.LBB78_1080:
	s_mov_b32 s3, -1
	s_branch .LBB78_1084
.LBB78_1081:
	s_and_not1_saveexec_b32 s3, s3
	s_cbranch_execz .LBB78_1063
.LBB78_1082:
	v_cmp_ne_u16_e32 vcc_lo, 0, v1
	s_and_not1_b32 s14, s14, exec_lo
	s_and_b32 s15, vcc_lo, exec_lo
	s_delay_alu instid0(SALU_CYCLE_1)
	s_or_b32 s14, s14, s15
	s_or_b32 exec_lo, exec_lo, s3
	v_mov_b32_e32 v6, 0
	s_and_saveexec_b32 s3, s14
	s_cbranch_execnz .LBB78_1064
	s_branch .LBB78_1065
.LBB78_1083:
	s_mov_b32 s1, -1
.LBB78_1084:
                                        ; implicit-def: $vgpr6
.LBB78_1085:
	s_and_b32 vcc_lo, exec_lo, s3
	s_mov_b32 s3, 0
	s_cbranch_vccz .LBB78_1087
; %bb.1086:
	s_cmp_lg_u32 s0, 11
	s_mov_b32 s3, -1
	s_cselect_b32 s1, -1, 0
.LBB78_1087:
	s_delay_alu instid0(SALU_CYCLE_1)
	s_and_b32 vcc_lo, exec_lo, s1
	s_mov_b32 s1, s13
	s_cbranch_vccnz .LBB78_1148
; %bb.1088:
	s_and_not1_b32 vcc_lo, exec_lo, s3
	s_cbranch_vccnz .LBB78_1090
.LBB78_1089:
	global_load_u8 v1, v[2:3], off
	s_mov_b32 s14, -1
	s_wait_loadcnt 0x0
	v_cmp_ne_u16_e32 vcc_lo, 0, v1
	v_cndmask_b32_e64 v6, 0, 1, vcc_lo
.LBB78_1090:
	s_branch .LBB78_1024
.LBB78_1091:
	s_cmp_lt_i32 s0, 5
	s_cbranch_scc1 .LBB78_1096
; %bb.1092:
	s_cmp_lt_i32 s0, 8
	s_cbranch_scc1 .LBB78_1097
; %bb.1093:
	;; [unrolled: 3-line block ×3, first 2 shown]
	s_cmp_gt_i32 s0, 9
	s_cbranch_scc0 .LBB78_1099
; %bb.1095:
	global_load_b64 v[4:5], v[2:3], off
	s_mov_b32 s3, 0
	s_wait_loadcnt 0x0
	v_cvt_i32_f64_e32 v6, v[4:5]
	s_branch .LBB78_1100
.LBB78_1096:
                                        ; implicit-def: $vgpr6
	s_branch .LBB78_1117
.LBB78_1097:
                                        ; implicit-def: $vgpr6
	s_branch .LBB78_1106
.LBB78_1098:
	s_mov_b32 s3, -1
                                        ; implicit-def: $vgpr6
	s_branch .LBB78_1103
.LBB78_1099:
	s_mov_b32 s3, -1
                                        ; implicit-def: $vgpr6
.LBB78_1100:
	s_delay_alu instid0(SALU_CYCLE_1)
	s_and_not1_b32 vcc_lo, exec_lo, s3
	s_cbranch_vccnz .LBB78_1102
; %bb.1101:
	global_load_b32 v1, v[2:3], off
	s_wait_loadcnt 0x0
	v_cvt_i32_f32_e32 v6, v1
.LBB78_1102:
	s_mov_b32 s3, 0
.LBB78_1103:
	s_delay_alu instid0(SALU_CYCLE_1)
	s_and_not1_b32 vcc_lo, exec_lo, s3
	s_cbranch_vccnz .LBB78_1105
; %bb.1104:
	global_load_b32 v1, v[2:3], off
	s_wait_loadcnt 0x0
	v_cvt_i16_f16_e32 v6, v1
.LBB78_1105:
	s_cbranch_execnz .LBB78_1116
.LBB78_1106:
	s_cmp_lt_i32 s0, 6
	s_cbranch_scc1 .LBB78_1109
; %bb.1107:
	s_cmp_gt_i32 s0, 6
	s_cbranch_scc0 .LBB78_1110
; %bb.1108:
	global_load_b64 v[4:5], v[2:3], off
	s_mov_b32 s3, 0
	s_wait_loadcnt 0x0
	v_cvt_i32_f64_e32 v6, v[4:5]
	s_branch .LBB78_1111
.LBB78_1109:
	s_mov_b32 s3, -1
                                        ; implicit-def: $vgpr6
	s_branch .LBB78_1114
.LBB78_1110:
	s_mov_b32 s3, -1
                                        ; implicit-def: $vgpr6
.LBB78_1111:
	s_delay_alu instid0(SALU_CYCLE_1)
	s_and_not1_b32 vcc_lo, exec_lo, s3
	s_cbranch_vccnz .LBB78_1113
; %bb.1112:
	global_load_b32 v1, v[2:3], off
	s_wait_loadcnt 0x0
	v_cvt_i32_f32_e32 v6, v1
.LBB78_1113:
	s_mov_b32 s3, 0
.LBB78_1114:
	s_delay_alu instid0(SALU_CYCLE_1)
	s_and_not1_b32 vcc_lo, exec_lo, s3
	s_cbranch_vccnz .LBB78_1116
; %bb.1115:
	global_load_u16 v1, v[2:3], off
	s_wait_loadcnt 0x0
	v_cvt_i16_f16_e32 v6, v1
.LBB78_1116:
	s_cbranch_execnz .LBB78_1135
.LBB78_1117:
	s_cmp_lt_i32 s0, 2
	s_cbranch_scc1 .LBB78_1121
; %bb.1118:
	s_cmp_lt_i32 s0, 3
	s_cbranch_scc1 .LBB78_1122
; %bb.1119:
	s_cmp_gt_i32 s0, 3
	s_cbranch_scc0 .LBB78_1123
; %bb.1120:
	s_wait_loadcnt 0x0
	global_load_b64 v[6:7], v[2:3], off
	s_mov_b32 s3, 0
	s_branch .LBB78_1124
.LBB78_1121:
                                        ; implicit-def: $vgpr6
	s_branch .LBB78_1130
.LBB78_1122:
	s_mov_b32 s3, -1
                                        ; implicit-def: $vgpr6
	s_branch .LBB78_1127
.LBB78_1123:
	s_mov_b32 s3, -1
                                        ; implicit-def: $vgpr6
.LBB78_1124:
	s_delay_alu instid0(SALU_CYCLE_1)
	s_and_not1_b32 vcc_lo, exec_lo, s3
	s_cbranch_vccnz .LBB78_1126
; %bb.1125:
	s_wait_loadcnt 0x0
	global_load_b32 v6, v[2:3], off
.LBB78_1126:
	s_mov_b32 s3, 0
.LBB78_1127:
	s_delay_alu instid0(SALU_CYCLE_1)
	s_and_not1_b32 vcc_lo, exec_lo, s3
	s_cbranch_vccnz .LBB78_1129
; %bb.1128:
	s_wait_loadcnt 0x0
	global_load_u16 v6, v[2:3], off
.LBB78_1129:
	s_cbranch_execnz .LBB78_1135
.LBB78_1130:
	s_cmp_gt_i32 s0, 0
	s_mov_b32 s3, 0
	s_cbranch_scc0 .LBB78_1132
; %bb.1131:
	s_wait_loadcnt 0x0
	global_load_i8 v6, v[2:3], off
	s_branch .LBB78_1133
.LBB78_1132:
	s_mov_b32 s3, -1
                                        ; implicit-def: $vgpr6
.LBB78_1133:
	s_delay_alu instid0(SALU_CYCLE_1)
	s_and_not1_b32 vcc_lo, exec_lo, s3
	s_cbranch_vccnz .LBB78_1135
; %bb.1134:
	s_wait_loadcnt 0x0
	global_load_u8 v6, v[2:3], off
.LBB78_1135:
.LBB78_1136:
	s_lshl_b32 s3, s9, 7
	s_cmp_lt_i32 s0, 11
	v_add_nc_u32_e32 v0, s3, v0
	s_delay_alu instid0(VALU_DEP_1) | instskip(SKIP_1) | instid1(VALU_DEP_1)
	v_ashrrev_i32_e32 v1, 31, v0
	s_wait_xcnt 0x0
	v_add_nc_u64_e32 v[2:3], s[6:7], v[0:1]
	s_cbranch_scc1 .LBB78_1143
; %bb.1137:
	s_cmp_gt_i32 s0, 25
	s_mov_b32 s14, 0
	s_cbranch_scc0 .LBB78_1145
; %bb.1138:
	s_cmp_gt_i32 s0, 28
	s_cbranch_scc0 .LBB78_1146
; %bb.1139:
	s_cmp_gt_i32 s0, 43
	;; [unrolled: 3-line block ×3, first 2 shown]
	s_cbranch_scc0 .LBB78_1149
; %bb.1141:
	s_cmp_eq_u32 s0, 46
	s_mov_b32 s16, 0
	s_cbranch_scc0 .LBB78_1152
; %bb.1142:
	global_load_b32 v1, v[2:3], off
	s_mov_b32 s9, 0
	s_mov_b32 s15, -1
	s_wait_loadcnt 0x0
	v_lshlrev_b32_e32 v1, 16, v1
	s_delay_alu instid0(VALU_DEP_1)
	v_cvt_i32_f32_e32 v4, v1
	s_branch .LBB78_1154
.LBB78_1143:
	s_mov_b32 s15, 0
                                        ; implicit-def: $vgpr4
	s_cbranch_execnz .LBB78_1215
.LBB78_1144:
	s_and_not1_b32 vcc_lo, exec_lo, s15
	s_cbranch_vccnz .LBB78_1947
	s_branch .LBB78_1262
.LBB78_1145:
	s_mov_b32 s15, 0
	s_mov_b32 s9, 0
                                        ; implicit-def: $vgpr4
	s_cbranch_execnz .LBB78_1181
	s_branch .LBB78_1211
.LBB78_1146:
	s_mov_b32 s16, -1
	s_mov_b32 s15, 0
	s_mov_b32 s9, 0
                                        ; implicit-def: $vgpr4
	s_branch .LBB78_1164
.LBB78_1147:
	s_mov_b32 s16, -1
	s_mov_b32 s15, 0
	s_mov_b32 s9, 0
                                        ; implicit-def: $vgpr4
	s_branch .LBB78_1159
.LBB78_1148:
	s_or_b32 s1, s13, exec_lo
	s_trap 2
	s_cbranch_execz .LBB78_1089
	s_branch .LBB78_1090
.LBB78_1149:
	s_mov_b32 s16, -1
	s_mov_b32 s15, 0
	s_mov_b32 s9, 0
	s_branch .LBB78_1153
.LBB78_1150:
	s_and_not1_saveexec_b32 s22, s22
	s_cbranch_execz .LBB78_940
.LBB78_1151:
	v_add_f32_e32 v2, 0x42800000, v3
	s_and_not1_b32 s21, s21, exec_lo
	s_delay_alu instid0(VALU_DEP_1) | instskip(NEXT) | instid1(VALU_DEP_1)
	v_and_b32_e32 v2, 0xff, v2
	v_cmp_ne_u32_e32 vcc_lo, 0, v2
	s_and_b32 s23, vcc_lo, exec_lo
	s_delay_alu instid0(SALU_CYCLE_1)
	s_or_b32 s21, s21, s23
	s_or_b32 exec_lo, exec_lo, s22
	v_mov_b32_e32 v4, 0
	s_and_saveexec_b32 s22, s21
	s_cbranch_execnz .LBB78_941
	s_branch .LBB78_942
.LBB78_1152:
	s_mov_b32 s9, -1
	s_mov_b32 s15, 0
.LBB78_1153:
                                        ; implicit-def: $vgpr4
.LBB78_1154:
	s_and_b32 vcc_lo, exec_lo, s16
	s_cbranch_vccz .LBB78_1158
; %bb.1155:
	s_cmp_eq_u32 s0, 44
	s_cbranch_scc0 .LBB78_1157
; %bb.1156:
	global_load_u8 v1, v[2:3], off
	s_mov_b32 s9, 0
	s_mov_b32 s15, -1
	s_wait_loadcnt 0x0
	v_lshlrev_b32_e32 v4, 23, v1
	v_cmp_ne_u32_e32 vcc_lo, 0, v1
	s_delay_alu instid0(VALU_DEP_2) | instskip(NEXT) | instid1(VALU_DEP_1)
	v_cvt_i32_f32_e32 v4, v4
	v_cndmask_b32_e32 v4, 0, v4, vcc_lo
	s_branch .LBB78_1158
.LBB78_1157:
	s_mov_b32 s9, -1
                                        ; implicit-def: $vgpr4
.LBB78_1158:
	s_mov_b32 s16, 0
.LBB78_1159:
	s_delay_alu instid0(SALU_CYCLE_1)
	s_and_b32 vcc_lo, exec_lo, s16
	s_cbranch_vccz .LBB78_1163
; %bb.1160:
	s_cmp_eq_u32 s0, 29
	s_cbranch_scc0 .LBB78_1162
; %bb.1161:
	global_load_b64 v[4:5], v[2:3], off
	s_mov_b32 s9, 0
	s_mov_b32 s15, -1
	s_branch .LBB78_1163
.LBB78_1162:
	s_mov_b32 s9, -1
                                        ; implicit-def: $vgpr4
.LBB78_1163:
	s_mov_b32 s16, 0
.LBB78_1164:
	s_delay_alu instid0(SALU_CYCLE_1)
	s_and_b32 vcc_lo, exec_lo, s16
	s_cbranch_vccz .LBB78_1180
; %bb.1165:
	s_cmp_lt_i32 s0, 27
	s_cbranch_scc1 .LBB78_1168
; %bb.1166:
	s_cmp_gt_i32 s0, 27
	s_cbranch_scc0 .LBB78_1169
; %bb.1167:
	s_wait_loadcnt 0x0
	global_load_b32 v4, v[2:3], off
	s_mov_b32 s15, 0
	s_branch .LBB78_1170
.LBB78_1168:
	s_mov_b32 s15, -1
                                        ; implicit-def: $vgpr4
	s_branch .LBB78_1173
.LBB78_1169:
	s_mov_b32 s15, -1
                                        ; implicit-def: $vgpr4
.LBB78_1170:
	s_delay_alu instid0(SALU_CYCLE_1)
	s_and_not1_b32 vcc_lo, exec_lo, s15
	s_cbranch_vccnz .LBB78_1172
; %bb.1171:
	s_wait_loadcnt 0x0
	global_load_u16 v4, v[2:3], off
.LBB78_1172:
	s_mov_b32 s15, 0
.LBB78_1173:
	s_delay_alu instid0(SALU_CYCLE_1)
	s_and_not1_b32 vcc_lo, exec_lo, s15
	s_cbranch_vccnz .LBB78_1179
; %bb.1174:
	global_load_u8 v1, v[2:3], off
	s_mov_b32 s16, 0
	s_mov_b32 s15, exec_lo
	s_wait_loadcnt 0x0
	v_cmpx_lt_i16_e32 0x7f, v1
	s_xor_b32 s15, exec_lo, s15
	s_cbranch_execz .LBB78_1190
; %bb.1175:
	v_cmp_ne_u16_e32 vcc_lo, 0x80, v1
	s_and_b32 s16, vcc_lo, exec_lo
	s_and_not1_saveexec_b32 s15, s15
	s_cbranch_execnz .LBB78_1191
.LBB78_1176:
	s_or_b32 exec_lo, exec_lo, s15
	v_mov_b32_e32 v4, 0
	s_and_saveexec_b32 s15, s16
	s_cbranch_execz .LBB78_1178
.LBB78_1177:
	v_and_b32_e32 v4, 0xffff, v1
	s_delay_alu instid0(VALU_DEP_1) | instskip(SKIP_1) | instid1(VALU_DEP_2)
	v_and_b32_e32 v5, 7, v4
	v_bfe_u32 v9, v4, 3, 4
	v_clz_i32_u32_e32 v7, v5
	s_delay_alu instid0(VALU_DEP_2) | instskip(NEXT) | instid1(VALU_DEP_2)
	v_cmp_eq_u32_e32 vcc_lo, 0, v9
	v_min_u32_e32 v7, 32, v7
	s_delay_alu instid0(VALU_DEP_1) | instskip(NEXT) | instid1(VALU_DEP_1)
	v_subrev_nc_u32_e32 v8, 28, v7
	v_dual_lshlrev_b32 v4, v8, v4 :: v_dual_sub_nc_u32 v7, 29, v7
	s_delay_alu instid0(VALU_DEP_1) | instskip(NEXT) | instid1(VALU_DEP_2)
	v_dual_lshlrev_b32 v1, 24, v1 :: v_dual_bitop2_b32 v4, 7, v4 bitop3:0x40
	v_cndmask_b32_e32 v7, v9, v7, vcc_lo
	s_delay_alu instid0(VALU_DEP_2) | instskip(NEXT) | instid1(VALU_DEP_3)
	v_cndmask_b32_e32 v4, v5, v4, vcc_lo
	v_and_b32_e32 v1, 0x80000000, v1
	s_delay_alu instid0(VALU_DEP_3) | instskip(NEXT) | instid1(VALU_DEP_3)
	v_lshl_add_u32 v5, v7, 23, 0x3b800000
	v_lshlrev_b32_e32 v4, 20, v4
	s_delay_alu instid0(VALU_DEP_1) | instskip(NEXT) | instid1(VALU_DEP_1)
	v_or3_b32 v1, v1, v5, v4
	v_cvt_i32_f32_e32 v4, v1
.LBB78_1178:
	s_or_b32 exec_lo, exec_lo, s15
.LBB78_1179:
	s_mov_b32 s15, -1
.LBB78_1180:
	s_branch .LBB78_1211
.LBB78_1181:
	s_cmp_gt_i32 s0, 22
	s_cbranch_scc0 .LBB78_1189
; %bb.1182:
	s_cmp_lt_i32 s0, 24
	s_cbranch_scc1 .LBB78_1192
; %bb.1183:
	s_cmp_gt_i32 s0, 24
	s_cbranch_scc0 .LBB78_1193
; %bb.1184:
	global_load_u8 v1, v[2:3], off
	s_mov_b32 s15, 0
	s_mov_b32 s14, exec_lo
	s_wait_loadcnt 0x0
	v_cmpx_lt_i16_e32 0x7f, v1
	s_xor_b32 s14, exec_lo, s14
	s_cbranch_execz .LBB78_1205
; %bb.1185:
	v_cmp_ne_u16_e32 vcc_lo, 0x80, v1
	s_and_b32 s15, vcc_lo, exec_lo
	s_and_not1_saveexec_b32 s14, s14
	s_cbranch_execnz .LBB78_1206
.LBB78_1186:
	s_or_b32 exec_lo, exec_lo, s14
	v_mov_b32_e32 v4, 0
	s_and_saveexec_b32 s14, s15
	s_cbranch_execz .LBB78_1188
.LBB78_1187:
	v_and_b32_e32 v4, 0xffff, v1
	s_delay_alu instid0(VALU_DEP_1) | instskip(SKIP_1) | instid1(VALU_DEP_2)
	v_and_b32_e32 v5, 3, v4
	v_bfe_u32 v9, v4, 2, 5
	v_clz_i32_u32_e32 v7, v5
	s_delay_alu instid0(VALU_DEP_2) | instskip(NEXT) | instid1(VALU_DEP_2)
	v_cmp_eq_u32_e32 vcc_lo, 0, v9
	v_min_u32_e32 v7, 32, v7
	s_delay_alu instid0(VALU_DEP_1) | instskip(NEXT) | instid1(VALU_DEP_1)
	v_subrev_nc_u32_e32 v8, 29, v7
	v_dual_lshlrev_b32 v4, v8, v4 :: v_dual_sub_nc_u32 v7, 30, v7
	s_delay_alu instid0(VALU_DEP_1) | instskip(NEXT) | instid1(VALU_DEP_2)
	v_dual_lshlrev_b32 v1, 24, v1 :: v_dual_bitop2_b32 v4, 3, v4 bitop3:0x40
	v_cndmask_b32_e32 v7, v9, v7, vcc_lo
	s_delay_alu instid0(VALU_DEP_2) | instskip(NEXT) | instid1(VALU_DEP_3)
	v_cndmask_b32_e32 v4, v5, v4, vcc_lo
	v_and_b32_e32 v1, 0x80000000, v1
	s_delay_alu instid0(VALU_DEP_3) | instskip(NEXT) | instid1(VALU_DEP_3)
	v_lshl_add_u32 v5, v7, 23, 0x37800000
	v_lshlrev_b32_e32 v4, 21, v4
	s_delay_alu instid0(VALU_DEP_1) | instskip(NEXT) | instid1(VALU_DEP_1)
	v_or3_b32 v1, v1, v5, v4
	v_cvt_i32_f32_e32 v4, v1
.LBB78_1188:
	s_or_b32 exec_lo, exec_lo, s14
	s_mov_b32 s14, 0
	s_branch .LBB78_1194
.LBB78_1189:
	s_mov_b32 s14, -1
                                        ; implicit-def: $vgpr4
	s_branch .LBB78_1200
.LBB78_1190:
	s_and_not1_saveexec_b32 s15, s15
	s_cbranch_execz .LBB78_1176
.LBB78_1191:
	v_cmp_ne_u16_e32 vcc_lo, 0, v1
	s_and_not1_b32 s16, s16, exec_lo
	s_and_b32 s17, vcc_lo, exec_lo
	s_delay_alu instid0(SALU_CYCLE_1)
	s_or_b32 s16, s16, s17
	s_or_b32 exec_lo, exec_lo, s15
	v_mov_b32_e32 v4, 0
	s_and_saveexec_b32 s15, s16
	s_cbranch_execnz .LBB78_1177
	s_branch .LBB78_1178
.LBB78_1192:
	s_mov_b32 s14, -1
                                        ; implicit-def: $vgpr4
	s_branch .LBB78_1197
.LBB78_1193:
	s_mov_b32 s14, -1
                                        ; implicit-def: $vgpr4
.LBB78_1194:
	s_delay_alu instid0(SALU_CYCLE_1)
	s_and_b32 vcc_lo, exec_lo, s14
	s_cbranch_vccz .LBB78_1196
; %bb.1195:
	global_load_u8 v1, v[2:3], off
	s_wait_loadcnt 0x0
	v_lshlrev_b32_e32 v1, 24, v1
	s_delay_alu instid0(VALU_DEP_1) | instskip(NEXT) | instid1(VALU_DEP_1)
	v_and_b32_e32 v4, 0x7f000000, v1
	v_clz_i32_u32_e32 v5, v4
	v_add_nc_u32_e32 v8, 0x1000000, v4
	v_cmp_ne_u32_e32 vcc_lo, 0, v4
	s_delay_alu instid0(VALU_DEP_3) | instskip(NEXT) | instid1(VALU_DEP_1)
	v_min_u32_e32 v5, 32, v5
	v_sub_nc_u32_e64 v5, v5, 4 clamp
	s_delay_alu instid0(VALU_DEP_1) | instskip(NEXT) | instid1(VALU_DEP_1)
	v_dual_lshlrev_b32 v7, v5, v4 :: v_dual_lshlrev_b32 v5, 23, v5
	v_lshrrev_b32_e32 v7, 4, v7
	s_delay_alu instid0(VALU_DEP_1) | instskip(NEXT) | instid1(VALU_DEP_1)
	v_dual_sub_nc_u32 v5, v7, v5 :: v_dual_ashrrev_i32 v7, 8, v8
	v_add_nc_u32_e32 v5, 0x3c000000, v5
	s_delay_alu instid0(VALU_DEP_1) | instskip(NEXT) | instid1(VALU_DEP_1)
	v_and_or_b32 v5, 0x7f800000, v7, v5
	v_cndmask_b32_e32 v4, 0, v5, vcc_lo
	s_delay_alu instid0(VALU_DEP_1) | instskip(NEXT) | instid1(VALU_DEP_1)
	v_and_or_b32 v1, 0x80000000, v1, v4
	v_cvt_i32_f32_e32 v4, v1
.LBB78_1196:
	s_mov_b32 s14, 0
.LBB78_1197:
	s_delay_alu instid0(SALU_CYCLE_1)
	s_and_not1_b32 vcc_lo, exec_lo, s14
	s_cbranch_vccnz .LBB78_1199
; %bb.1198:
	global_load_u8 v1, v[2:3], off
	s_wait_loadcnt 0x0
	v_lshlrev_b32_e32 v4, 25, v1
	v_lshlrev_b16 v1, 8, v1
	s_delay_alu instid0(VALU_DEP_1) | instskip(SKIP_1) | instid1(VALU_DEP_2)
	v_and_or_b32 v7, 0x7f00, v1, 0.5
	v_bfe_i32 v1, v1, 0, 16
	v_dual_add_f32 v7, -0.5, v7 :: v_dual_lshrrev_b32 v5, 4, v4
	v_cmp_gt_u32_e32 vcc_lo, 0x8000000, v4
	s_delay_alu instid0(VALU_DEP_2) | instskip(NEXT) | instid1(VALU_DEP_1)
	v_or_b32_e32 v5, 0x70000000, v5
	v_mul_f32_e32 v5, 0x7800000, v5
	s_delay_alu instid0(VALU_DEP_1) | instskip(NEXT) | instid1(VALU_DEP_1)
	v_cndmask_b32_e32 v4, v5, v7, vcc_lo
	v_and_or_b32 v1, 0x80000000, v1, v4
	s_delay_alu instid0(VALU_DEP_1)
	v_cvt_i32_f32_e32 v4, v1
.LBB78_1199:
	s_mov_b32 s14, 0
	s_mov_b32 s15, -1
.LBB78_1200:
	s_and_not1_b32 vcc_lo, exec_lo, s14
	s_mov_b32 s14, 0
	s_cbranch_vccnz .LBB78_1211
; %bb.1201:
	s_cmp_gt_i32 s0, 14
	s_cbranch_scc0 .LBB78_1204
; %bb.1202:
	s_cmp_eq_u32 s0, 15
	s_cbranch_scc0 .LBB78_1207
; %bb.1203:
	global_load_u16 v1, v[2:3], off
	s_mov_b32 s9, 0
	s_mov_b32 s15, -1
	s_wait_loadcnt 0x0
	v_lshlrev_b32_e32 v1, 16, v1
	s_delay_alu instid0(VALU_DEP_1)
	v_cvt_i32_f32_e32 v4, v1
	s_branch .LBB78_1209
.LBB78_1204:
	s_mov_b32 s14, -1
	s_branch .LBB78_1208
.LBB78_1205:
	s_and_not1_saveexec_b32 s14, s14
	s_cbranch_execz .LBB78_1186
.LBB78_1206:
	v_cmp_ne_u16_e32 vcc_lo, 0, v1
	s_and_not1_b32 s15, s15, exec_lo
	s_and_b32 s16, vcc_lo, exec_lo
	s_delay_alu instid0(SALU_CYCLE_1)
	s_or_b32 s15, s15, s16
	s_or_b32 exec_lo, exec_lo, s14
	v_mov_b32_e32 v4, 0
	s_and_saveexec_b32 s14, s15
	s_cbranch_execnz .LBB78_1187
	s_branch .LBB78_1188
.LBB78_1207:
	s_mov_b32 s9, -1
.LBB78_1208:
                                        ; implicit-def: $vgpr4
.LBB78_1209:
	s_and_b32 vcc_lo, exec_lo, s14
	s_mov_b32 s14, 0
	s_cbranch_vccz .LBB78_1211
; %bb.1210:
	s_cmp_lg_u32 s0, 11
	s_mov_b32 s14, -1
	s_cselect_b32 s9, -1, 0
.LBB78_1211:
	s_delay_alu instid0(SALU_CYCLE_1)
	s_and_b32 vcc_lo, exec_lo, s9
	s_cbranch_vccnz .LBB78_1274
; %bb.1212:
	s_and_not1_b32 vcc_lo, exec_lo, s14
	s_cbranch_vccnz .LBB78_1214
.LBB78_1213:
	global_load_u8 v1, v[2:3], off
	s_mov_b32 s15, -1
	s_wait_loadcnt 0x0
	v_cmp_ne_u16_e32 vcc_lo, 0, v1
	v_cndmask_b32_e64 v4, 0, 1, vcc_lo
.LBB78_1214:
	s_branch .LBB78_1144
.LBB78_1215:
	s_cmp_lt_i32 s0, 5
	s_cbranch_scc1 .LBB78_1220
; %bb.1216:
	s_cmp_lt_i32 s0, 8
	s_cbranch_scc1 .LBB78_1221
; %bb.1217:
	;; [unrolled: 3-line block ×3, first 2 shown]
	s_cmp_gt_i32 s0, 9
	s_cbranch_scc0 .LBB78_1223
; %bb.1219:
	s_wait_loadcnt 0x0
	global_load_b64 v[4:5], v[2:3], off
	s_mov_b32 s9, 0
	s_wait_loadcnt 0x0
	v_cvt_i32_f64_e32 v4, v[4:5]
	s_branch .LBB78_1224
.LBB78_1220:
                                        ; implicit-def: $vgpr4
	s_branch .LBB78_1242
.LBB78_1221:
	s_mov_b32 s9, -1
                                        ; implicit-def: $vgpr4
	s_branch .LBB78_1230
.LBB78_1222:
	s_mov_b32 s9, -1
                                        ; implicit-def: $vgpr4
	s_branch .LBB78_1227
.LBB78_1223:
	s_mov_b32 s9, -1
                                        ; implicit-def: $vgpr4
.LBB78_1224:
	s_delay_alu instid0(SALU_CYCLE_1)
	s_and_not1_b32 vcc_lo, exec_lo, s9
	s_cbranch_vccnz .LBB78_1226
; %bb.1225:
	global_load_b32 v1, v[2:3], off
	s_wait_loadcnt 0x0
	v_cvt_i32_f32_e32 v4, v1
.LBB78_1226:
	s_mov_b32 s9, 0
.LBB78_1227:
	s_delay_alu instid0(SALU_CYCLE_1)
	s_and_not1_b32 vcc_lo, exec_lo, s9
	s_cbranch_vccnz .LBB78_1229
; %bb.1228:
	global_load_b32 v1, v[2:3], off
	s_wait_loadcnt 0x0
	v_cvt_i16_f16_e32 v4, v1
.LBB78_1229:
	s_mov_b32 s9, 0
.LBB78_1230:
	s_delay_alu instid0(SALU_CYCLE_1)
	s_and_not1_b32 vcc_lo, exec_lo, s9
	s_cbranch_vccnz .LBB78_1241
; %bb.1231:
	s_cmp_lt_i32 s0, 6
	s_cbranch_scc1 .LBB78_1234
; %bb.1232:
	s_cmp_gt_i32 s0, 6
	s_cbranch_scc0 .LBB78_1235
; %bb.1233:
	s_wait_loadcnt 0x0
	global_load_b64 v[4:5], v[2:3], off
	s_mov_b32 s9, 0
	s_wait_loadcnt 0x0
	v_cvt_i32_f64_e32 v4, v[4:5]
	s_branch .LBB78_1236
.LBB78_1234:
	s_mov_b32 s9, -1
                                        ; implicit-def: $vgpr4
	s_branch .LBB78_1239
.LBB78_1235:
	s_mov_b32 s9, -1
                                        ; implicit-def: $vgpr4
.LBB78_1236:
	s_delay_alu instid0(SALU_CYCLE_1)
	s_and_not1_b32 vcc_lo, exec_lo, s9
	s_cbranch_vccnz .LBB78_1238
; %bb.1237:
	global_load_b32 v1, v[2:3], off
	s_wait_loadcnt 0x0
	v_cvt_i32_f32_e32 v4, v1
.LBB78_1238:
	s_mov_b32 s9, 0
.LBB78_1239:
	s_delay_alu instid0(SALU_CYCLE_1)
	s_and_not1_b32 vcc_lo, exec_lo, s9
	s_cbranch_vccnz .LBB78_1241
; %bb.1240:
	global_load_u16 v1, v[2:3], off
	s_wait_loadcnt 0x0
	v_cvt_i16_f16_e32 v4, v1
.LBB78_1241:
	s_cbranch_execnz .LBB78_1261
.LBB78_1242:
	s_cmp_lt_i32 s0, 2
	s_cbranch_scc1 .LBB78_1246
; %bb.1243:
	s_cmp_lt_i32 s0, 3
	s_cbranch_scc1 .LBB78_1247
; %bb.1244:
	s_cmp_gt_i32 s0, 3
	s_cbranch_scc0 .LBB78_1248
; %bb.1245:
	s_wait_loadcnt 0x0
	global_load_b64 v[4:5], v[2:3], off
	s_mov_b32 s9, 0
	s_branch .LBB78_1249
.LBB78_1246:
	s_mov_b32 s9, -1
                                        ; implicit-def: $vgpr4
	s_branch .LBB78_1255
.LBB78_1247:
	s_mov_b32 s9, -1
                                        ; implicit-def: $vgpr4
	s_branch .LBB78_1252
.LBB78_1248:
	s_mov_b32 s9, -1
                                        ; implicit-def: $vgpr4
.LBB78_1249:
	s_delay_alu instid0(SALU_CYCLE_1)
	s_and_not1_b32 vcc_lo, exec_lo, s9
	s_cbranch_vccnz .LBB78_1251
; %bb.1250:
	s_wait_loadcnt 0x0
	global_load_b32 v4, v[2:3], off
.LBB78_1251:
	s_mov_b32 s9, 0
.LBB78_1252:
	s_delay_alu instid0(SALU_CYCLE_1)
	s_and_not1_b32 vcc_lo, exec_lo, s9
	s_cbranch_vccnz .LBB78_1254
; %bb.1253:
	s_wait_loadcnt 0x0
	global_load_u16 v4, v[2:3], off
.LBB78_1254:
	s_mov_b32 s9, 0
.LBB78_1255:
	s_delay_alu instid0(SALU_CYCLE_1)
	s_and_not1_b32 vcc_lo, exec_lo, s9
	s_cbranch_vccnz .LBB78_1261
; %bb.1256:
	s_cmp_gt_i32 s0, 0
	s_mov_b32 s9, 0
	s_cbranch_scc0 .LBB78_1258
; %bb.1257:
	s_wait_loadcnt 0x0
	global_load_i8 v4, v[2:3], off
	s_branch .LBB78_1259
.LBB78_1258:
	s_mov_b32 s9, -1
                                        ; implicit-def: $vgpr4
.LBB78_1259:
	s_delay_alu instid0(SALU_CYCLE_1)
	s_and_not1_b32 vcc_lo, exec_lo, s9
	s_cbranch_vccnz .LBB78_1261
; %bb.1260:
	s_wait_loadcnt 0x0
	global_load_u8 v4, v[2:3], off
.LBB78_1261:
.LBB78_1262:
	v_add_nc_u32_e32 v0, s3, v0
	s_cmp_lt_i32 s0, 11
	s_delay_alu instid0(VALU_DEP_1) | instskip(NEXT) | instid1(VALU_DEP_1)
	v_ashrrev_i32_e32 v1, 31, v0
	v_add_nc_u64_e32 v[8:9], s[6:7], v[0:1]
	s_cbranch_scc1 .LBB78_1269
; %bb.1263:
	s_cmp_gt_i32 s0, 25
	s_mov_b32 s14, 0
	s_cbranch_scc0 .LBB78_1271
; %bb.1264:
	s_cmp_gt_i32 s0, 28
	s_cbranch_scc0 .LBB78_1272
; %bb.1265:
	s_cmp_gt_i32 s0, 43
	;; [unrolled: 3-line block ×3, first 2 shown]
	s_cbranch_scc0 .LBB78_1275
; %bb.1267:
	s_cmp_eq_u32 s0, 46
	s_mov_b32 s16, 0
	s_cbranch_scc0 .LBB78_1276
; %bb.1268:
	global_load_b32 v1, v[8:9], off
	s_mov_b32 s9, 0
	s_mov_b32 s15, -1
	s_wait_loadcnt 0x0
	v_lshlrev_b32_e32 v1, 16, v1
	s_wait_xcnt 0x1
	s_delay_alu instid0(VALU_DEP_1)
	v_cvt_i32_f32_e32 v2, v1
	s_branch .LBB78_1278
.LBB78_1269:
	s_mov_b32 s15, 0
                                        ; implicit-def: $vgpr2
	s_cbranch_execnz .LBB78_1340
.LBB78_1270:
	s_and_not1_b32 vcc_lo, exec_lo, s15
	s_cbranch_vccnz .LBB78_1947
	s_branch .LBB78_1388
.LBB78_1271:
	s_mov_b32 s16, -1
	s_mov_b32 s15, 0
	s_mov_b32 s9, 0
                                        ; implicit-def: $vgpr2
	s_branch .LBB78_1305
.LBB78_1272:
	s_mov_b32 s16, -1
	s_mov_b32 s15, 0
	s_mov_b32 s9, 0
                                        ; implicit-def: $vgpr2
	s_branch .LBB78_1288
.LBB78_1273:
	s_mov_b32 s16, -1
	s_mov_b32 s15, 0
	s_mov_b32 s9, 0
                                        ; implicit-def: $vgpr2
	s_branch .LBB78_1283
.LBB78_1274:
	s_or_b32 s1, s1, exec_lo
	s_trap 2
	s_cbranch_execz .LBB78_1213
	s_branch .LBB78_1214
.LBB78_1275:
	s_mov_b32 s16, -1
	s_mov_b32 s15, 0
	s_mov_b32 s9, 0
	s_branch .LBB78_1277
.LBB78_1276:
	s_mov_b32 s9, -1
	s_mov_b32 s15, 0
.LBB78_1277:
                                        ; implicit-def: $vgpr2
.LBB78_1278:
	s_and_b32 vcc_lo, exec_lo, s16
	s_cbranch_vccz .LBB78_1282
; %bb.1279:
	s_cmp_eq_u32 s0, 44
	s_cbranch_scc0 .LBB78_1281
; %bb.1280:
	global_load_u8 v1, v[8:9], off
	s_mov_b32 s9, 0
	s_mov_b32 s15, -1
	s_wait_loadcnt 0x0
	s_wait_xcnt 0x1
	v_lshlrev_b32_e32 v2, 23, v1
	v_cmp_ne_u32_e32 vcc_lo, 0, v1
	s_delay_alu instid0(VALU_DEP_2) | instskip(NEXT) | instid1(VALU_DEP_1)
	v_cvt_i32_f32_e32 v2, v2
	v_cndmask_b32_e32 v2, 0, v2, vcc_lo
	s_branch .LBB78_1282
.LBB78_1281:
	s_mov_b32 s9, -1
                                        ; implicit-def: $vgpr2
.LBB78_1282:
	s_mov_b32 s16, 0
.LBB78_1283:
	s_delay_alu instid0(SALU_CYCLE_1)
	s_and_b32 vcc_lo, exec_lo, s16
	s_cbranch_vccz .LBB78_1287
; %bb.1284:
	s_cmp_eq_u32 s0, 29
	s_cbranch_scc0 .LBB78_1286
; %bb.1285:
	global_load_b64 v[2:3], v[8:9], off
	s_mov_b32 s9, 0
	s_mov_b32 s15, -1
	s_branch .LBB78_1287
.LBB78_1286:
	s_mov_b32 s9, -1
                                        ; implicit-def: $vgpr2
.LBB78_1287:
	s_mov_b32 s16, 0
.LBB78_1288:
	s_delay_alu instid0(SALU_CYCLE_1)
	s_and_b32 vcc_lo, exec_lo, s16
	s_cbranch_vccz .LBB78_1304
; %bb.1289:
	s_cmp_lt_i32 s0, 27
	s_cbranch_scc1 .LBB78_1292
; %bb.1290:
	s_cmp_gt_i32 s0, 27
	s_cbranch_scc0 .LBB78_1293
; %bb.1291:
	s_wait_loadcnt 0x0
	global_load_b32 v2, v[8:9], off
	s_mov_b32 s15, 0
	s_branch .LBB78_1294
.LBB78_1292:
	s_mov_b32 s15, -1
                                        ; implicit-def: $vgpr2
	s_branch .LBB78_1297
.LBB78_1293:
	s_mov_b32 s15, -1
                                        ; implicit-def: $vgpr2
.LBB78_1294:
	s_delay_alu instid0(SALU_CYCLE_1)
	s_and_not1_b32 vcc_lo, exec_lo, s15
	s_cbranch_vccnz .LBB78_1296
; %bb.1295:
	s_wait_loadcnt 0x0
	global_load_u16 v2, v[8:9], off
.LBB78_1296:
	s_mov_b32 s15, 0
.LBB78_1297:
	s_delay_alu instid0(SALU_CYCLE_1)
	s_and_not1_b32 vcc_lo, exec_lo, s15
	s_cbranch_vccnz .LBB78_1303
; %bb.1298:
	global_load_u8 v1, v[8:9], off
	s_mov_b32 s16, 0
	s_mov_b32 s15, exec_lo
	s_wait_loadcnt 0x0
	v_cmpx_lt_i16_e32 0x7f, v1
	s_xor_b32 s15, exec_lo, s15
	s_cbranch_execz .LBB78_1315
; %bb.1299:
	v_cmp_ne_u16_e32 vcc_lo, 0x80, v1
	s_and_b32 s16, vcc_lo, exec_lo
	s_and_not1_saveexec_b32 s15, s15
	s_cbranch_execnz .LBB78_1316
.LBB78_1300:
	s_or_b32 exec_lo, exec_lo, s15
	v_mov_b32_e32 v2, 0
	s_and_saveexec_b32 s15, s16
	s_cbranch_execz .LBB78_1302
.LBB78_1301:
	v_and_b32_e32 v2, 0xffff, v1
	s_delay_alu instid0(VALU_DEP_1) | instskip(SKIP_1) | instid1(VALU_DEP_2)
	v_and_b32_e32 v3, 7, v2
	v_bfe_u32 v11, v2, 3, 4
	v_clz_i32_u32_e32 v5, v3
	s_delay_alu instid0(VALU_DEP_2) | instskip(NEXT) | instid1(VALU_DEP_2)
	v_cmp_eq_u32_e32 vcc_lo, 0, v11
	v_min_u32_e32 v5, 32, v5
	s_delay_alu instid0(VALU_DEP_1) | instskip(NEXT) | instid1(VALU_DEP_1)
	v_subrev_nc_u32_e32 v7, 28, v5
	v_dual_lshlrev_b32 v2, v7, v2 :: v_dual_sub_nc_u32 v5, 29, v5
	s_delay_alu instid0(VALU_DEP_1) | instskip(NEXT) | instid1(VALU_DEP_1)
	v_dual_lshlrev_b32 v1, 24, v1 :: v_dual_bitop2_b32 v2, 7, v2 bitop3:0x40
	v_cndmask_b32_e32 v2, v3, v2, vcc_lo
	s_delay_alu instid0(VALU_DEP_3) | instskip(NEXT) | instid1(VALU_DEP_3)
	v_cndmask_b32_e32 v5, v11, v5, vcc_lo
	v_and_b32_e32 v1, 0x80000000, v1
	s_delay_alu instid0(VALU_DEP_3) | instskip(NEXT) | instid1(VALU_DEP_3)
	v_lshlrev_b32_e32 v2, 20, v2
	v_lshl_add_u32 v3, v5, 23, 0x3b800000
	s_delay_alu instid0(VALU_DEP_1) | instskip(NEXT) | instid1(VALU_DEP_1)
	v_or3_b32 v1, v1, v3, v2
	v_cvt_i32_f32_e32 v2, v1
.LBB78_1302:
	s_or_b32 exec_lo, exec_lo, s15
.LBB78_1303:
	s_mov_b32 s15, -1
.LBB78_1304:
	s_mov_b32 s16, 0
.LBB78_1305:
	s_delay_alu instid0(SALU_CYCLE_1)
	s_and_b32 vcc_lo, exec_lo, s16
	s_cbranch_vccz .LBB78_1336
; %bb.1306:
	s_cmp_gt_i32 s0, 22
	s_cbranch_scc0 .LBB78_1314
; %bb.1307:
	s_cmp_lt_i32 s0, 24
	s_cbranch_scc1 .LBB78_1317
; %bb.1308:
	s_cmp_gt_i32 s0, 24
	s_cbranch_scc0 .LBB78_1318
; %bb.1309:
	global_load_u8 v1, v[8:9], off
	s_mov_b32 s15, 0
	s_mov_b32 s14, exec_lo
	s_wait_loadcnt 0x0
	v_cmpx_lt_i16_e32 0x7f, v1
	s_xor_b32 s14, exec_lo, s14
	s_cbranch_execz .LBB78_1330
; %bb.1310:
	v_cmp_ne_u16_e32 vcc_lo, 0x80, v1
	s_and_b32 s15, vcc_lo, exec_lo
	s_and_not1_saveexec_b32 s14, s14
	s_cbranch_execnz .LBB78_1331
.LBB78_1311:
	s_or_b32 exec_lo, exec_lo, s14
	v_mov_b32_e32 v2, 0
	s_and_saveexec_b32 s14, s15
	s_cbranch_execz .LBB78_1313
.LBB78_1312:
	v_and_b32_e32 v2, 0xffff, v1
	s_delay_alu instid0(VALU_DEP_1) | instskip(SKIP_1) | instid1(VALU_DEP_2)
	v_and_b32_e32 v3, 3, v2
	v_bfe_u32 v11, v2, 2, 5
	v_clz_i32_u32_e32 v5, v3
	s_delay_alu instid0(VALU_DEP_2) | instskip(NEXT) | instid1(VALU_DEP_2)
	v_cmp_eq_u32_e32 vcc_lo, 0, v11
	v_min_u32_e32 v5, 32, v5
	s_delay_alu instid0(VALU_DEP_1) | instskip(NEXT) | instid1(VALU_DEP_1)
	v_subrev_nc_u32_e32 v7, 29, v5
	v_dual_lshlrev_b32 v2, v7, v2 :: v_dual_sub_nc_u32 v5, 30, v5
	s_delay_alu instid0(VALU_DEP_1) | instskip(NEXT) | instid1(VALU_DEP_1)
	v_dual_lshlrev_b32 v1, 24, v1 :: v_dual_bitop2_b32 v2, 3, v2 bitop3:0x40
	v_cndmask_b32_e32 v2, v3, v2, vcc_lo
	s_delay_alu instid0(VALU_DEP_3) | instskip(NEXT) | instid1(VALU_DEP_3)
	v_cndmask_b32_e32 v5, v11, v5, vcc_lo
	v_and_b32_e32 v1, 0x80000000, v1
	s_delay_alu instid0(VALU_DEP_3) | instskip(NEXT) | instid1(VALU_DEP_3)
	v_lshlrev_b32_e32 v2, 21, v2
	v_lshl_add_u32 v3, v5, 23, 0x37800000
	s_delay_alu instid0(VALU_DEP_1) | instskip(NEXT) | instid1(VALU_DEP_1)
	v_or3_b32 v1, v1, v3, v2
	v_cvt_i32_f32_e32 v2, v1
.LBB78_1313:
	s_or_b32 exec_lo, exec_lo, s14
	s_mov_b32 s14, 0
	s_branch .LBB78_1319
.LBB78_1314:
	s_mov_b32 s14, -1
                                        ; implicit-def: $vgpr2
	s_branch .LBB78_1325
.LBB78_1315:
	s_and_not1_saveexec_b32 s15, s15
	s_cbranch_execz .LBB78_1300
.LBB78_1316:
	v_cmp_ne_u16_e32 vcc_lo, 0, v1
	s_and_not1_b32 s16, s16, exec_lo
	s_and_b32 s17, vcc_lo, exec_lo
	s_delay_alu instid0(SALU_CYCLE_1)
	s_or_b32 s16, s16, s17
	s_or_b32 exec_lo, exec_lo, s15
	v_mov_b32_e32 v2, 0
	s_and_saveexec_b32 s15, s16
	s_cbranch_execnz .LBB78_1301
	s_branch .LBB78_1302
.LBB78_1317:
	s_mov_b32 s14, -1
                                        ; implicit-def: $vgpr2
	s_branch .LBB78_1322
.LBB78_1318:
	s_mov_b32 s14, -1
                                        ; implicit-def: $vgpr2
.LBB78_1319:
	s_delay_alu instid0(SALU_CYCLE_1)
	s_and_b32 vcc_lo, exec_lo, s14
	s_cbranch_vccz .LBB78_1321
; %bb.1320:
	global_load_u8 v1, v[8:9], off
	s_wait_loadcnt 0x0
	v_lshlrev_b32_e32 v1, 24, v1
	s_wait_xcnt 0x1
	s_delay_alu instid0(VALU_DEP_1) | instskip(NEXT) | instid1(VALU_DEP_1)
	v_and_b32_e32 v2, 0x7f000000, v1
	v_clz_i32_u32_e32 v3, v2
	v_cmp_ne_u32_e32 vcc_lo, 0, v2
	v_add_nc_u32_e32 v7, 0x1000000, v2
	s_delay_alu instid0(VALU_DEP_3) | instskip(NEXT) | instid1(VALU_DEP_1)
	v_min_u32_e32 v3, 32, v3
	v_sub_nc_u32_e64 v3, v3, 4 clamp
	s_delay_alu instid0(VALU_DEP_1) | instskip(NEXT) | instid1(VALU_DEP_1)
	v_dual_lshlrev_b32 v5, v3, v2 :: v_dual_lshlrev_b32 v3, 23, v3
	v_lshrrev_b32_e32 v5, 4, v5
	s_delay_alu instid0(VALU_DEP_1) | instskip(SKIP_1) | instid1(VALU_DEP_2)
	v_sub_nc_u32_e32 v3, v5, v3
	v_ashrrev_i32_e32 v5, 8, v7
	v_add_nc_u32_e32 v3, 0x3c000000, v3
	s_delay_alu instid0(VALU_DEP_1) | instskip(NEXT) | instid1(VALU_DEP_1)
	v_and_or_b32 v3, 0x7f800000, v5, v3
	v_cndmask_b32_e32 v2, 0, v3, vcc_lo
	s_delay_alu instid0(VALU_DEP_1) | instskip(NEXT) | instid1(VALU_DEP_1)
	v_and_or_b32 v1, 0x80000000, v1, v2
	v_cvt_i32_f32_e32 v2, v1
.LBB78_1321:
	s_mov_b32 s14, 0
.LBB78_1322:
	s_delay_alu instid0(SALU_CYCLE_1)
	s_and_not1_b32 vcc_lo, exec_lo, s14
	s_cbranch_vccnz .LBB78_1324
; %bb.1323:
	global_load_u8 v1, v[8:9], off
	s_wait_loadcnt 0x0
	s_wait_xcnt 0x1
	v_lshlrev_b32_e32 v2, 25, v1
	v_lshlrev_b16 v1, 8, v1
	s_delay_alu instid0(VALU_DEP_1) | instskip(NEXT) | instid1(VALU_DEP_3)
	v_and_or_b32 v5, 0x7f00, v1, 0.5
	v_lshrrev_b32_e32 v3, 4, v2
	v_bfe_i32 v1, v1, 0, 16
	s_delay_alu instid0(VALU_DEP_3) | instskip(NEXT) | instid1(VALU_DEP_3)
	v_add_f32_e32 v5, -0.5, v5
	v_or_b32_e32 v3, 0x70000000, v3
	s_delay_alu instid0(VALU_DEP_1) | instskip(SKIP_1) | instid1(VALU_DEP_2)
	v_mul_f32_e32 v3, 0x7800000, v3
	v_cmp_gt_u32_e32 vcc_lo, 0x8000000, v2
	v_cndmask_b32_e32 v2, v3, v5, vcc_lo
	s_delay_alu instid0(VALU_DEP_1) | instskip(NEXT) | instid1(VALU_DEP_1)
	v_and_or_b32 v1, 0x80000000, v1, v2
	v_cvt_i32_f32_e32 v2, v1
.LBB78_1324:
	s_mov_b32 s14, 0
	s_mov_b32 s15, -1
.LBB78_1325:
	s_and_not1_b32 vcc_lo, exec_lo, s14
	s_mov_b32 s14, 0
	s_cbranch_vccnz .LBB78_1336
; %bb.1326:
	s_cmp_gt_i32 s0, 14
	s_cbranch_scc0 .LBB78_1329
; %bb.1327:
	s_cmp_eq_u32 s0, 15
	s_cbranch_scc0 .LBB78_1332
; %bb.1328:
	global_load_u16 v1, v[8:9], off
	s_mov_b32 s9, 0
	s_mov_b32 s15, -1
	s_wait_loadcnt 0x0
	v_lshlrev_b32_e32 v1, 16, v1
	s_wait_xcnt 0x1
	s_delay_alu instid0(VALU_DEP_1)
	v_cvt_i32_f32_e32 v2, v1
	s_branch .LBB78_1334
.LBB78_1329:
	s_mov_b32 s14, -1
	s_branch .LBB78_1333
.LBB78_1330:
	s_and_not1_saveexec_b32 s14, s14
	s_cbranch_execz .LBB78_1311
.LBB78_1331:
	v_cmp_ne_u16_e32 vcc_lo, 0, v1
	s_and_not1_b32 s15, s15, exec_lo
	s_and_b32 s16, vcc_lo, exec_lo
	s_delay_alu instid0(SALU_CYCLE_1)
	s_or_b32 s15, s15, s16
	s_or_b32 exec_lo, exec_lo, s14
	v_mov_b32_e32 v2, 0
	s_and_saveexec_b32 s14, s15
	s_cbranch_execnz .LBB78_1312
	s_branch .LBB78_1313
.LBB78_1332:
	s_mov_b32 s9, -1
.LBB78_1333:
                                        ; implicit-def: $vgpr2
.LBB78_1334:
	s_and_b32 vcc_lo, exec_lo, s14
	s_mov_b32 s14, 0
	s_cbranch_vccz .LBB78_1336
; %bb.1335:
	s_cmp_lg_u32 s0, 11
	s_mov_b32 s14, -1
	s_cselect_b32 s9, -1, 0
.LBB78_1336:
	s_delay_alu instid0(SALU_CYCLE_1)
	s_and_b32 vcc_lo, exec_lo, s9
	s_cbranch_vccnz .LBB78_1399
; %bb.1337:
	s_and_not1_b32 vcc_lo, exec_lo, s14
	s_cbranch_vccnz .LBB78_1339
.LBB78_1338:
	global_load_u8 v1, v[8:9], off
	s_mov_b32 s15, -1
	s_wait_loadcnt 0x0
	v_cmp_ne_u16_e32 vcc_lo, 0, v1
	s_wait_xcnt 0x1
	v_cndmask_b32_e64 v2, 0, 1, vcc_lo
.LBB78_1339:
	s_branch .LBB78_1270
.LBB78_1340:
	s_cmp_lt_i32 s0, 5
	s_cbranch_scc1 .LBB78_1345
; %bb.1341:
	s_cmp_lt_i32 s0, 8
	s_cbranch_scc1 .LBB78_1346
; %bb.1342:
	;; [unrolled: 3-line block ×3, first 2 shown]
	s_cmp_gt_i32 s0, 9
	s_cbranch_scc0 .LBB78_1348
; %bb.1344:
	s_wait_loadcnt 0x0
	global_load_b64 v[2:3], v[8:9], off
	s_mov_b32 s9, 0
	s_wait_loadcnt 0x0
	v_cvt_i32_f64_e32 v2, v[2:3]
	s_branch .LBB78_1349
.LBB78_1345:
	s_mov_b32 s9, -1
                                        ; implicit-def: $vgpr2
	s_branch .LBB78_1367
.LBB78_1346:
	s_mov_b32 s9, -1
                                        ; implicit-def: $vgpr2
	s_branch .LBB78_1355
.LBB78_1347:
	s_mov_b32 s9, -1
                                        ; implicit-def: $vgpr2
	s_branch .LBB78_1352
.LBB78_1348:
	s_mov_b32 s9, -1
                                        ; implicit-def: $vgpr2
.LBB78_1349:
	s_delay_alu instid0(SALU_CYCLE_1)
	s_and_not1_b32 vcc_lo, exec_lo, s9
	s_cbranch_vccnz .LBB78_1351
; %bb.1350:
	global_load_b32 v1, v[8:9], off
	s_wait_loadcnt 0x0
	s_wait_xcnt 0x1
	v_cvt_i32_f32_e32 v2, v1
.LBB78_1351:
	s_mov_b32 s9, 0
.LBB78_1352:
	s_delay_alu instid0(SALU_CYCLE_1)
	s_and_not1_b32 vcc_lo, exec_lo, s9
	s_cbranch_vccnz .LBB78_1354
; %bb.1353:
	global_load_b32 v1, v[8:9], off
	s_wait_loadcnt 0x0
	s_wait_xcnt 0x1
	v_cvt_i16_f16_e32 v2, v1
.LBB78_1354:
	s_mov_b32 s9, 0
.LBB78_1355:
	s_delay_alu instid0(SALU_CYCLE_1)
	s_and_not1_b32 vcc_lo, exec_lo, s9
	s_cbranch_vccnz .LBB78_1366
; %bb.1356:
	s_cmp_lt_i32 s0, 6
	s_cbranch_scc1 .LBB78_1359
; %bb.1357:
	s_cmp_gt_i32 s0, 6
	s_cbranch_scc0 .LBB78_1360
; %bb.1358:
	s_wait_loadcnt 0x0
	global_load_b64 v[2:3], v[8:9], off
	s_mov_b32 s9, 0
	s_wait_loadcnt 0x0
	v_cvt_i32_f64_e32 v2, v[2:3]
	s_branch .LBB78_1361
.LBB78_1359:
	s_mov_b32 s9, -1
                                        ; implicit-def: $vgpr2
	s_branch .LBB78_1364
.LBB78_1360:
	s_mov_b32 s9, -1
                                        ; implicit-def: $vgpr2
.LBB78_1361:
	s_delay_alu instid0(SALU_CYCLE_1)
	s_and_not1_b32 vcc_lo, exec_lo, s9
	s_cbranch_vccnz .LBB78_1363
; %bb.1362:
	global_load_b32 v1, v[8:9], off
	s_wait_loadcnt 0x0
	s_wait_xcnt 0x1
	v_cvt_i32_f32_e32 v2, v1
.LBB78_1363:
	s_mov_b32 s9, 0
.LBB78_1364:
	s_delay_alu instid0(SALU_CYCLE_1)
	s_and_not1_b32 vcc_lo, exec_lo, s9
	s_cbranch_vccnz .LBB78_1366
; %bb.1365:
	global_load_u16 v1, v[8:9], off
	s_wait_loadcnt 0x0
	s_wait_xcnt 0x1
	v_cvt_i16_f16_e32 v2, v1
.LBB78_1366:
	s_mov_b32 s9, 0
.LBB78_1367:
	s_delay_alu instid0(SALU_CYCLE_1)
	s_and_not1_b32 vcc_lo, exec_lo, s9
	s_cbranch_vccnz .LBB78_1387
; %bb.1368:
	s_cmp_lt_i32 s0, 2
	s_cbranch_scc1 .LBB78_1372
; %bb.1369:
	s_cmp_lt_i32 s0, 3
	s_cbranch_scc1 .LBB78_1373
; %bb.1370:
	s_cmp_gt_i32 s0, 3
	s_cbranch_scc0 .LBB78_1374
; %bb.1371:
	s_wait_loadcnt 0x0
	global_load_b64 v[2:3], v[8:9], off
	s_mov_b32 s9, 0
	s_branch .LBB78_1375
.LBB78_1372:
	s_mov_b32 s9, -1
                                        ; implicit-def: $vgpr2
	s_branch .LBB78_1381
.LBB78_1373:
	s_mov_b32 s9, -1
                                        ; implicit-def: $vgpr2
	s_branch .LBB78_1378
.LBB78_1374:
	s_mov_b32 s9, -1
                                        ; implicit-def: $vgpr2
.LBB78_1375:
	s_delay_alu instid0(SALU_CYCLE_1)
	s_and_not1_b32 vcc_lo, exec_lo, s9
	s_cbranch_vccnz .LBB78_1377
; %bb.1376:
	s_wait_loadcnt 0x0
	global_load_b32 v2, v[8:9], off
.LBB78_1377:
	s_mov_b32 s9, 0
.LBB78_1378:
	s_delay_alu instid0(SALU_CYCLE_1)
	s_and_not1_b32 vcc_lo, exec_lo, s9
	s_cbranch_vccnz .LBB78_1380
; %bb.1379:
	s_wait_loadcnt 0x0
	global_load_u16 v2, v[8:9], off
.LBB78_1380:
	s_mov_b32 s9, 0
.LBB78_1381:
	s_delay_alu instid0(SALU_CYCLE_1)
	s_and_not1_b32 vcc_lo, exec_lo, s9
	s_cbranch_vccnz .LBB78_1387
; %bb.1382:
	s_cmp_gt_i32 s0, 0
	s_mov_b32 s9, 0
	s_cbranch_scc0 .LBB78_1384
; %bb.1383:
	s_wait_loadcnt 0x0
	global_load_i8 v2, v[8:9], off
	s_branch .LBB78_1385
.LBB78_1384:
	s_mov_b32 s9, -1
                                        ; implicit-def: $vgpr2
.LBB78_1385:
	s_delay_alu instid0(SALU_CYCLE_1)
	s_and_not1_b32 vcc_lo, exec_lo, s9
	s_cbranch_vccnz .LBB78_1387
; %bb.1386:
	s_wait_loadcnt 0x0
	global_load_u8 v2, v[8:9], off
.LBB78_1387:
.LBB78_1388:
	v_add_nc_u32_e32 v0, s3, v0
	s_cmp_lt_i32 s0, 11
	s_delay_alu instid0(VALU_DEP_1) | instskip(SKIP_1) | instid1(VALU_DEP_1)
	v_ashrrev_i32_e32 v1, 31, v0
	s_wait_xcnt 0x0
	v_add_nc_u64_e32 v[8:9], s[6:7], v[0:1]
	s_cbranch_scc1 .LBB78_1395
; %bb.1389:
	s_cmp_gt_i32 s0, 25
	s_mov_b32 s6, 0
	s_cbranch_scc0 .LBB78_1396
; %bb.1390:
	s_cmp_gt_i32 s0, 28
	s_cbranch_scc0 .LBB78_1397
; %bb.1391:
	s_cmp_gt_i32 s0, 43
	;; [unrolled: 3-line block ×3, first 2 shown]
	s_cbranch_scc0 .LBB78_1400
; %bb.1393:
	s_cmp_eq_u32 s0, 46
	s_mov_b32 s9, 0
	s_cbranch_scc0 .LBB78_1401
; %bb.1394:
	global_load_b32 v0, v[8:9], off
	s_mov_b32 s3, 0
	s_mov_b32 s7, -1
	s_wait_loadcnt 0x0
	v_lshlrev_b32_e32 v0, 16, v0
	s_delay_alu instid0(VALU_DEP_1)
	v_cvt_i32_f32_e32 v0, v0
	s_branch .LBB78_1403
.LBB78_1395:
	s_mov_b32 s3, -1
	s_mov_b32 s7, 0
                                        ; implicit-def: $vgpr0
	s_branch .LBB78_1465
.LBB78_1396:
	s_mov_b32 s9, -1
	s_mov_b32 s7, 0
	s_mov_b32 s3, 0
                                        ; implicit-def: $vgpr0
	s_branch .LBB78_1430
.LBB78_1397:
	s_mov_b32 s9, -1
	s_mov_b32 s7, 0
	s_mov_b32 s3, 0
                                        ; implicit-def: $vgpr0
	s_branch .LBB78_1413
.LBB78_1398:
	s_mov_b32 s9, -1
	s_mov_b32 s7, 0
	s_mov_b32 s3, 0
                                        ; implicit-def: $vgpr0
	s_branch .LBB78_1408
.LBB78_1399:
	s_or_b32 s1, s1, exec_lo
	s_trap 2
	s_cbranch_execz .LBB78_1338
	s_branch .LBB78_1339
.LBB78_1400:
	s_mov_b32 s9, -1
	s_mov_b32 s7, 0
	s_mov_b32 s3, 0
	s_branch .LBB78_1402
.LBB78_1401:
	s_mov_b32 s3, -1
	s_mov_b32 s7, 0
.LBB78_1402:
                                        ; implicit-def: $vgpr0
.LBB78_1403:
	s_and_b32 vcc_lo, exec_lo, s9
	s_cbranch_vccz .LBB78_1407
; %bb.1404:
	s_cmp_eq_u32 s0, 44
	s_cbranch_scc0 .LBB78_1406
; %bb.1405:
	global_load_u8 v0, v[8:9], off
	s_mov_b32 s3, 0
	s_mov_b32 s7, -1
	s_wait_loadcnt 0x0
	v_lshlrev_b32_e32 v1, 23, v0
	v_cmp_ne_u32_e32 vcc_lo, 0, v0
	s_delay_alu instid0(VALU_DEP_2) | instskip(NEXT) | instid1(VALU_DEP_1)
	v_cvt_i32_f32_e32 v1, v1
	v_cndmask_b32_e32 v0, 0, v1, vcc_lo
	s_branch .LBB78_1407
.LBB78_1406:
	s_mov_b32 s3, -1
                                        ; implicit-def: $vgpr0
.LBB78_1407:
	s_mov_b32 s9, 0
.LBB78_1408:
	s_delay_alu instid0(SALU_CYCLE_1)
	s_and_b32 vcc_lo, exec_lo, s9
	s_cbranch_vccz .LBB78_1412
; %bb.1409:
	s_cmp_eq_u32 s0, 29
	s_cbranch_scc0 .LBB78_1411
; %bb.1410:
	global_load_b64 v[0:1], v[8:9], off
	s_mov_b32 s3, 0
	s_mov_b32 s7, -1
	s_branch .LBB78_1412
.LBB78_1411:
	s_mov_b32 s3, -1
                                        ; implicit-def: $vgpr0
.LBB78_1412:
	s_mov_b32 s9, 0
.LBB78_1413:
	s_delay_alu instid0(SALU_CYCLE_1)
	s_and_b32 vcc_lo, exec_lo, s9
	s_cbranch_vccz .LBB78_1429
; %bb.1414:
	s_cmp_lt_i32 s0, 27
	s_cbranch_scc1 .LBB78_1417
; %bb.1415:
	s_cmp_gt_i32 s0, 27
	s_cbranch_scc0 .LBB78_1418
; %bb.1416:
	s_wait_loadcnt 0x0
	global_load_b32 v0, v[8:9], off
	s_mov_b32 s7, 0
	s_branch .LBB78_1419
.LBB78_1417:
	s_mov_b32 s7, -1
                                        ; implicit-def: $vgpr0
	s_branch .LBB78_1422
.LBB78_1418:
	s_mov_b32 s7, -1
                                        ; implicit-def: $vgpr0
.LBB78_1419:
	s_delay_alu instid0(SALU_CYCLE_1)
	s_and_not1_b32 vcc_lo, exec_lo, s7
	s_cbranch_vccnz .LBB78_1421
; %bb.1420:
	s_wait_loadcnt 0x0
	global_load_u16 v0, v[8:9], off
.LBB78_1421:
	s_mov_b32 s7, 0
.LBB78_1422:
	s_delay_alu instid0(SALU_CYCLE_1)
	s_and_not1_b32 vcc_lo, exec_lo, s7
	s_cbranch_vccnz .LBB78_1428
; %bb.1423:
	s_wait_loadcnt 0x0
	global_load_u8 v1, v[8:9], off
	s_mov_b32 s9, 0
	s_mov_b32 s7, exec_lo
	s_wait_loadcnt 0x0
	v_cmpx_lt_i16_e32 0x7f, v1
	s_xor_b32 s7, exec_lo, s7
	s_cbranch_execz .LBB78_1440
; %bb.1424:
	v_cmp_ne_u16_e32 vcc_lo, 0x80, v1
	s_and_b32 s9, vcc_lo, exec_lo
	s_and_not1_saveexec_b32 s7, s7
	s_cbranch_execnz .LBB78_1441
.LBB78_1425:
	s_or_b32 exec_lo, exec_lo, s7
	v_mov_b32_e32 v0, 0
	s_and_saveexec_b32 s7, s9
	s_cbranch_execz .LBB78_1427
.LBB78_1426:
	v_and_b32_e32 v0, 0xffff, v1
	s_delay_alu instid0(VALU_DEP_1) | instskip(SKIP_1) | instid1(VALU_DEP_2)
	v_and_b32_e32 v3, 7, v0
	v_bfe_u32 v11, v0, 3, 4
	v_clz_i32_u32_e32 v5, v3
	s_delay_alu instid0(VALU_DEP_2) | instskip(NEXT) | instid1(VALU_DEP_2)
	v_cmp_eq_u32_e32 vcc_lo, 0, v11
	v_min_u32_e32 v5, 32, v5
	s_delay_alu instid0(VALU_DEP_1) | instskip(NEXT) | instid1(VALU_DEP_1)
	v_subrev_nc_u32_e32 v7, 28, v5
	v_dual_lshlrev_b32 v0, v7, v0 :: v_dual_sub_nc_u32 v5, 29, v5
	s_delay_alu instid0(VALU_DEP_1) | instskip(NEXT) | instid1(VALU_DEP_1)
	v_dual_lshlrev_b32 v1, 24, v1 :: v_dual_bitop2_b32 v0, 7, v0 bitop3:0x40
	v_cndmask_b32_e32 v0, v3, v0, vcc_lo
	s_delay_alu instid0(VALU_DEP_3) | instskip(NEXT) | instid1(VALU_DEP_3)
	v_cndmask_b32_e32 v5, v11, v5, vcc_lo
	v_and_b32_e32 v1, 0x80000000, v1
	s_delay_alu instid0(VALU_DEP_3) | instskip(NEXT) | instid1(VALU_DEP_3)
	v_lshlrev_b32_e32 v0, 20, v0
	v_lshl_add_u32 v3, v5, 23, 0x3b800000
	s_delay_alu instid0(VALU_DEP_1) | instskip(NEXT) | instid1(VALU_DEP_1)
	v_or3_b32 v0, v1, v3, v0
	v_cvt_i32_f32_e32 v0, v0
.LBB78_1427:
	s_or_b32 exec_lo, exec_lo, s7
.LBB78_1428:
	s_mov_b32 s7, -1
.LBB78_1429:
	s_mov_b32 s9, 0
.LBB78_1430:
	s_delay_alu instid0(SALU_CYCLE_1)
	s_and_b32 vcc_lo, exec_lo, s9
	s_cbranch_vccz .LBB78_1461
; %bb.1431:
	s_cmp_gt_i32 s0, 22
	s_cbranch_scc0 .LBB78_1439
; %bb.1432:
	s_cmp_lt_i32 s0, 24
	s_cbranch_scc1 .LBB78_1442
; %bb.1433:
	s_cmp_gt_i32 s0, 24
	s_cbranch_scc0 .LBB78_1443
; %bb.1434:
	s_wait_loadcnt 0x0
	global_load_u8 v1, v[8:9], off
	s_mov_b32 s7, 0
	s_mov_b32 s6, exec_lo
	s_wait_loadcnt 0x0
	v_cmpx_lt_i16_e32 0x7f, v1
	s_xor_b32 s6, exec_lo, s6
	s_cbranch_execz .LBB78_1455
; %bb.1435:
	v_cmp_ne_u16_e32 vcc_lo, 0x80, v1
	s_and_b32 s7, vcc_lo, exec_lo
	s_and_not1_saveexec_b32 s6, s6
	s_cbranch_execnz .LBB78_1456
.LBB78_1436:
	s_or_b32 exec_lo, exec_lo, s6
	v_mov_b32_e32 v0, 0
	s_and_saveexec_b32 s6, s7
	s_cbranch_execz .LBB78_1438
.LBB78_1437:
	v_and_b32_e32 v0, 0xffff, v1
	s_delay_alu instid0(VALU_DEP_1) | instskip(SKIP_1) | instid1(VALU_DEP_2)
	v_and_b32_e32 v3, 3, v0
	v_bfe_u32 v11, v0, 2, 5
	v_clz_i32_u32_e32 v5, v3
	s_delay_alu instid0(VALU_DEP_2) | instskip(NEXT) | instid1(VALU_DEP_2)
	v_cmp_eq_u32_e32 vcc_lo, 0, v11
	v_min_u32_e32 v5, 32, v5
	s_delay_alu instid0(VALU_DEP_1) | instskip(NEXT) | instid1(VALU_DEP_1)
	v_subrev_nc_u32_e32 v7, 29, v5
	v_dual_lshlrev_b32 v0, v7, v0 :: v_dual_sub_nc_u32 v5, 30, v5
	s_delay_alu instid0(VALU_DEP_1) | instskip(NEXT) | instid1(VALU_DEP_1)
	v_dual_lshlrev_b32 v1, 24, v1 :: v_dual_bitop2_b32 v0, 3, v0 bitop3:0x40
	v_cndmask_b32_e32 v0, v3, v0, vcc_lo
	s_delay_alu instid0(VALU_DEP_3) | instskip(NEXT) | instid1(VALU_DEP_3)
	v_cndmask_b32_e32 v5, v11, v5, vcc_lo
	v_and_b32_e32 v1, 0x80000000, v1
	s_delay_alu instid0(VALU_DEP_3) | instskip(NEXT) | instid1(VALU_DEP_3)
	v_lshlrev_b32_e32 v0, 21, v0
	v_lshl_add_u32 v3, v5, 23, 0x37800000
	s_delay_alu instid0(VALU_DEP_1) | instskip(NEXT) | instid1(VALU_DEP_1)
	v_or3_b32 v0, v1, v3, v0
	v_cvt_i32_f32_e32 v0, v0
.LBB78_1438:
	s_or_b32 exec_lo, exec_lo, s6
	s_mov_b32 s6, 0
	s_branch .LBB78_1444
.LBB78_1439:
	s_mov_b32 s6, -1
                                        ; implicit-def: $vgpr0
	s_branch .LBB78_1450
.LBB78_1440:
	s_and_not1_saveexec_b32 s7, s7
	s_cbranch_execz .LBB78_1425
.LBB78_1441:
	v_cmp_ne_u16_e32 vcc_lo, 0, v1
	s_and_not1_b32 s9, s9, exec_lo
	s_and_b32 s14, vcc_lo, exec_lo
	s_delay_alu instid0(SALU_CYCLE_1)
	s_or_b32 s9, s9, s14
	s_or_b32 exec_lo, exec_lo, s7
	v_mov_b32_e32 v0, 0
	s_and_saveexec_b32 s7, s9
	s_cbranch_execnz .LBB78_1426
	s_branch .LBB78_1427
.LBB78_1442:
	s_mov_b32 s6, -1
                                        ; implicit-def: $vgpr0
	s_branch .LBB78_1447
.LBB78_1443:
	s_mov_b32 s6, -1
                                        ; implicit-def: $vgpr0
.LBB78_1444:
	s_delay_alu instid0(SALU_CYCLE_1)
	s_and_b32 vcc_lo, exec_lo, s6
	s_cbranch_vccz .LBB78_1446
; %bb.1445:
	s_wait_loadcnt 0x0
	global_load_u8 v0, v[8:9], off
	s_wait_loadcnt 0x0
	v_lshlrev_b32_e32 v0, 24, v0
	s_delay_alu instid0(VALU_DEP_1) | instskip(NEXT) | instid1(VALU_DEP_1)
	v_and_b32_e32 v1, 0x7f000000, v0
	v_clz_i32_u32_e32 v3, v1
	v_add_nc_u32_e32 v7, 0x1000000, v1
	v_cmp_ne_u32_e32 vcc_lo, 0, v1
	s_delay_alu instid0(VALU_DEP_3) | instskip(NEXT) | instid1(VALU_DEP_1)
	v_min_u32_e32 v3, 32, v3
	v_sub_nc_u32_e64 v3, v3, 4 clamp
	s_delay_alu instid0(VALU_DEP_1) | instskip(NEXT) | instid1(VALU_DEP_1)
	v_dual_lshlrev_b32 v5, v3, v1 :: v_dual_lshlrev_b32 v3, 23, v3
	v_lshrrev_b32_e32 v5, 4, v5
	s_delay_alu instid0(VALU_DEP_1) | instskip(SKIP_1) | instid1(VALU_DEP_2)
	v_sub_nc_u32_e32 v3, v5, v3
	v_ashrrev_i32_e32 v5, 8, v7
	v_add_nc_u32_e32 v3, 0x3c000000, v3
	s_delay_alu instid0(VALU_DEP_1) | instskip(NEXT) | instid1(VALU_DEP_1)
	v_and_or_b32 v3, 0x7f800000, v5, v3
	v_cndmask_b32_e32 v1, 0, v3, vcc_lo
	s_delay_alu instid0(VALU_DEP_1) | instskip(NEXT) | instid1(VALU_DEP_1)
	v_and_or_b32 v0, 0x80000000, v0, v1
	v_cvt_i32_f32_e32 v0, v0
.LBB78_1446:
	s_mov_b32 s6, 0
.LBB78_1447:
	s_delay_alu instid0(SALU_CYCLE_1)
	s_and_not1_b32 vcc_lo, exec_lo, s6
	s_cbranch_vccnz .LBB78_1449
; %bb.1448:
	s_wait_loadcnt 0x0
	global_load_u8 v0, v[8:9], off
	s_wait_loadcnt 0x0
	v_lshlrev_b32_e32 v1, 25, v0
	v_lshlrev_b16 v0, 8, v0
	s_delay_alu instid0(VALU_DEP_1) | instskip(SKIP_1) | instid1(VALU_DEP_2)
	v_and_or_b32 v5, 0x7f00, v0, 0.5
	v_bfe_i32 v0, v0, 0, 16
	v_add_f32_e32 v5, -0.5, v5
	v_lshrrev_b32_e32 v3, 4, v1
	v_cmp_gt_u32_e32 vcc_lo, 0x8000000, v1
	s_delay_alu instid0(VALU_DEP_2) | instskip(NEXT) | instid1(VALU_DEP_1)
	v_or_b32_e32 v3, 0x70000000, v3
	v_mul_f32_e32 v3, 0x7800000, v3
	s_delay_alu instid0(VALU_DEP_1) | instskip(NEXT) | instid1(VALU_DEP_1)
	v_cndmask_b32_e32 v1, v3, v5, vcc_lo
	v_and_or_b32 v0, 0x80000000, v0, v1
	s_delay_alu instid0(VALU_DEP_1)
	v_cvt_i32_f32_e32 v0, v0
.LBB78_1449:
	s_mov_b32 s6, 0
	s_mov_b32 s7, -1
.LBB78_1450:
	s_and_not1_b32 vcc_lo, exec_lo, s6
	s_mov_b32 s6, 0
	s_cbranch_vccnz .LBB78_1461
; %bb.1451:
	s_cmp_gt_i32 s0, 14
	s_cbranch_scc0 .LBB78_1454
; %bb.1452:
	s_cmp_eq_u32 s0, 15
	s_cbranch_scc0 .LBB78_1457
; %bb.1453:
	s_wait_loadcnt 0x0
	global_load_u16 v0, v[8:9], off
	s_mov_b32 s3, 0
	s_mov_b32 s7, -1
	s_wait_loadcnt 0x0
	v_lshlrev_b32_e32 v0, 16, v0
	s_delay_alu instid0(VALU_DEP_1)
	v_cvt_i32_f32_e32 v0, v0
	s_branch .LBB78_1459
.LBB78_1454:
	s_mov_b32 s6, -1
	s_branch .LBB78_1458
.LBB78_1455:
	s_and_not1_saveexec_b32 s6, s6
	s_cbranch_execz .LBB78_1436
.LBB78_1456:
	v_cmp_ne_u16_e32 vcc_lo, 0, v1
	s_and_not1_b32 s7, s7, exec_lo
	s_and_b32 s9, vcc_lo, exec_lo
	s_delay_alu instid0(SALU_CYCLE_1)
	s_or_b32 s7, s7, s9
	s_or_b32 exec_lo, exec_lo, s6
	v_mov_b32_e32 v0, 0
	s_and_saveexec_b32 s6, s7
	s_cbranch_execnz .LBB78_1437
	s_branch .LBB78_1438
.LBB78_1457:
	s_mov_b32 s3, -1
.LBB78_1458:
                                        ; implicit-def: $vgpr0
.LBB78_1459:
	s_and_b32 vcc_lo, exec_lo, s6
	s_mov_b32 s6, 0
	s_cbranch_vccz .LBB78_1461
; %bb.1460:
	s_cmp_lg_u32 s0, 11
	s_mov_b32 s6, -1
	s_cselect_b32 s3, -1, 0
.LBB78_1461:
	s_delay_alu instid0(SALU_CYCLE_1)
	s_and_b32 vcc_lo, exec_lo, s3
	s_cbranch_vccnz .LBB78_1993
; %bb.1462:
	s_and_not1_b32 vcc_lo, exec_lo, s6
	s_cbranch_vccnz .LBB78_1464
.LBB78_1463:
	s_wait_loadcnt 0x0
	global_load_u8 v0, v[8:9], off
	s_mov_b32 s7, -1
	s_wait_loadcnt 0x0
	v_cmp_ne_u16_e32 vcc_lo, 0, v0
	v_cndmask_b32_e64 v0, 0, 1, vcc_lo
.LBB78_1464:
	s_mov_b32 s3, 0
.LBB78_1465:
	s_delay_alu instid0(SALU_CYCLE_1)
	s_and_b32 vcc_lo, exec_lo, s3
	s_cbranch_vccz .LBB78_1514
; %bb.1466:
	s_cmp_lt_i32 s0, 5
	s_cbranch_scc1 .LBB78_1471
; %bb.1467:
	s_cmp_lt_i32 s0, 8
	s_cbranch_scc1 .LBB78_1472
	;; [unrolled: 3-line block ×3, first 2 shown]
; %bb.1469:
	s_cmp_gt_i32 s0, 9
	s_cbranch_scc0 .LBB78_1474
; %bb.1470:
	s_wait_loadcnt 0x0
	global_load_b64 v[0:1], v[8:9], off
	s_mov_b32 s3, 0
	s_wait_loadcnt 0x0
	v_cvt_i32_f64_e32 v0, v[0:1]
	s_branch .LBB78_1475
.LBB78_1471:
	s_mov_b32 s3, -1
                                        ; implicit-def: $vgpr0
	s_branch .LBB78_1493
.LBB78_1472:
	s_mov_b32 s3, -1
                                        ; implicit-def: $vgpr0
	s_branch .LBB78_1481
.LBB78_1473:
	s_mov_b32 s3, -1
                                        ; implicit-def: $vgpr0
	s_branch .LBB78_1478
.LBB78_1474:
	s_mov_b32 s3, -1
                                        ; implicit-def: $vgpr0
.LBB78_1475:
	s_delay_alu instid0(SALU_CYCLE_1)
	s_and_not1_b32 vcc_lo, exec_lo, s3
	s_cbranch_vccnz .LBB78_1477
; %bb.1476:
	s_wait_loadcnt 0x0
	global_load_b32 v0, v[8:9], off
	s_wait_loadcnt 0x0
	v_cvt_i32_f32_e32 v0, v0
.LBB78_1477:
	s_mov_b32 s3, 0
.LBB78_1478:
	s_delay_alu instid0(SALU_CYCLE_1)
	s_and_not1_b32 vcc_lo, exec_lo, s3
	s_cbranch_vccnz .LBB78_1480
; %bb.1479:
	s_wait_loadcnt 0x0
	global_load_b32 v0, v[8:9], off
	s_wait_loadcnt 0x0
	v_cvt_i16_f16_e32 v0, v0
.LBB78_1480:
	s_mov_b32 s3, 0
.LBB78_1481:
	s_delay_alu instid0(SALU_CYCLE_1)
	s_and_not1_b32 vcc_lo, exec_lo, s3
	s_cbranch_vccnz .LBB78_1492
; %bb.1482:
	s_cmp_lt_i32 s0, 6
	s_cbranch_scc1 .LBB78_1485
; %bb.1483:
	s_cmp_gt_i32 s0, 6
	s_cbranch_scc0 .LBB78_1486
; %bb.1484:
	s_wait_loadcnt 0x0
	global_load_b64 v[0:1], v[8:9], off
	s_mov_b32 s3, 0
	s_wait_loadcnt 0x0
	v_cvt_i32_f64_e32 v0, v[0:1]
	s_branch .LBB78_1487
.LBB78_1485:
	s_mov_b32 s3, -1
                                        ; implicit-def: $vgpr0
	s_branch .LBB78_1490
.LBB78_1486:
	s_mov_b32 s3, -1
                                        ; implicit-def: $vgpr0
.LBB78_1487:
	s_delay_alu instid0(SALU_CYCLE_1)
	s_and_not1_b32 vcc_lo, exec_lo, s3
	s_cbranch_vccnz .LBB78_1489
; %bb.1488:
	s_wait_loadcnt 0x0
	global_load_b32 v0, v[8:9], off
	s_wait_loadcnt 0x0
	v_cvt_i32_f32_e32 v0, v0
.LBB78_1489:
	s_mov_b32 s3, 0
.LBB78_1490:
	s_delay_alu instid0(SALU_CYCLE_1)
	s_and_not1_b32 vcc_lo, exec_lo, s3
	s_cbranch_vccnz .LBB78_1492
; %bb.1491:
	s_wait_loadcnt 0x0
	global_load_u16 v0, v[8:9], off
	s_wait_loadcnt 0x0
	v_cvt_i16_f16_e32 v0, v0
.LBB78_1492:
	s_mov_b32 s3, 0
.LBB78_1493:
	s_delay_alu instid0(SALU_CYCLE_1)
	s_and_not1_b32 vcc_lo, exec_lo, s3
	s_cbranch_vccnz .LBB78_1513
; %bb.1494:
	s_cmp_lt_i32 s0, 2
	s_cbranch_scc1 .LBB78_1498
; %bb.1495:
	s_cmp_lt_i32 s0, 3
	s_cbranch_scc1 .LBB78_1499
; %bb.1496:
	s_cmp_gt_i32 s0, 3
	s_cbranch_scc0 .LBB78_1500
; %bb.1497:
	s_wait_loadcnt 0x0
	global_load_b64 v[0:1], v[8:9], off
	s_mov_b32 s3, 0
	s_branch .LBB78_1501
.LBB78_1498:
	s_mov_b32 s3, -1
                                        ; implicit-def: $vgpr0
	s_branch .LBB78_1507
.LBB78_1499:
	s_mov_b32 s3, -1
                                        ; implicit-def: $vgpr0
	s_branch .LBB78_1504
.LBB78_1500:
	s_mov_b32 s3, -1
                                        ; implicit-def: $vgpr0
.LBB78_1501:
	s_delay_alu instid0(SALU_CYCLE_1)
	s_and_not1_b32 vcc_lo, exec_lo, s3
	s_cbranch_vccnz .LBB78_1503
; %bb.1502:
	s_wait_loadcnt 0x0
	global_load_b32 v0, v[8:9], off
.LBB78_1503:
	s_mov_b32 s3, 0
.LBB78_1504:
	s_delay_alu instid0(SALU_CYCLE_1)
	s_and_not1_b32 vcc_lo, exec_lo, s3
	s_cbranch_vccnz .LBB78_1506
; %bb.1505:
	s_wait_loadcnt 0x0
	global_load_u16 v0, v[8:9], off
.LBB78_1506:
	s_mov_b32 s3, 0
.LBB78_1507:
	s_delay_alu instid0(SALU_CYCLE_1)
	s_and_not1_b32 vcc_lo, exec_lo, s3
	s_cbranch_vccnz .LBB78_1513
; %bb.1508:
	s_cmp_gt_i32 s0, 0
	s_mov_b32 s0, 0
	s_cbranch_scc0 .LBB78_1510
; %bb.1509:
	s_wait_loadcnt 0x0
	global_load_i8 v0, v[8:9], off
	s_branch .LBB78_1511
.LBB78_1510:
	s_mov_b32 s0, -1
                                        ; implicit-def: $vgpr0
.LBB78_1511:
	s_delay_alu instid0(SALU_CYCLE_1)
	s_and_not1_b32 vcc_lo, exec_lo, s0
	s_cbranch_vccnz .LBB78_1513
; %bb.1512:
	s_wait_loadcnt 0x0
	global_load_u8 v0, v[8:9], off
.LBB78_1513:
	s_mov_b32 s7, -1
.LBB78_1514:
	s_delay_alu instid0(SALU_CYCLE_1)
	s_and_not1_b32 vcc_lo, exec_lo, s7
	s_cbranch_vccnz .LBB78_1947
; %bb.1515:
	s_wait_xcnt 0x0
	v_mul_lo_u32 v8, s8, v10
	s_wait_loadcnt 0x0
	v_cmp_ne_u16_e32 vcc_lo, s11, v6
	s_cmp_eq_u32 s10, 0
	s_mov_b32 s9, 0
	s_cselect_b32 s3, -1, 0
	s_and_b32 s14, s2, 0xff
	s_xor_b32 s2, s3, vcc_lo
	s_cmp_lt_i32 s14, 11
	s_mov_b32 s0, -1
	s_delay_alu instid0(VALU_DEP_2) | instskip(NEXT) | instid1(VALU_DEP_1)
	v_ashrrev_i32_e32 v9, 31, v8
	v_add_nc_u64_e32 v[6:7], s[4:5], v[8:9]
	s_cbranch_scc1 .LBB78_1594
; %bb.1516:
	s_and_b32 s6, 0xffff, s14
	s_mov_b32 s10, -1
	s_mov_b32 s7, 0
	s_cmp_gt_i32 s6, 25
	s_mov_b32 s0, 0
	s_cbranch_scc0 .LBB78_1549
; %bb.1517:
	s_cmp_gt_i32 s6, 28
	s_cbranch_scc0 .LBB78_1532
; %bb.1518:
	s_cmp_gt_i32 s6, 43
	;; [unrolled: 3-line block ×3, first 2 shown]
	s_cbranch_scc0 .LBB78_1522
; %bb.1520:
	s_mov_b32 s0, -1
	s_mov_b32 s10, 0
	s_cmp_eq_u32 s6, 46
	s_cbranch_scc0 .LBB78_1522
; %bb.1521:
	v_cndmask_b32_e64 v1, 0, 1.0, s2
	s_mov_b32 s0, 0
	s_mov_b32 s9, -1
	s_delay_alu instid0(VALU_DEP_1) | instskip(NEXT) | instid1(VALU_DEP_1)
	v_bfe_u32 v3, v1, 16, 1
	v_add3_u32 v1, v1, v3, 0x7fff
	s_delay_alu instid0(VALU_DEP_1)
	v_lshrrev_b32_e32 v1, 16, v1
	global_store_b32 v[6:7], v1, off
.LBB78_1522:
	s_and_b32 vcc_lo, exec_lo, s10
	s_cbranch_vccz .LBB78_1527
; %bb.1523:
	s_cmp_eq_u32 s6, 44
	s_mov_b32 s0, -1
	s_cbranch_scc0 .LBB78_1527
; %bb.1524:
	v_cndmask_b32_e64 v5, 0, 1.0, s2
	v_mov_b32_e32 v3, 0xff
	s_mov_b32 s9, exec_lo
	s_wait_xcnt 0x0
	s_delay_alu instid0(VALU_DEP_2) | instskip(NEXT) | instid1(VALU_DEP_1)
	v_lshrrev_b32_e32 v1, 23, v5
	v_cmpx_ne_u32_e32 0xff, v1
; %bb.1525:
	v_and_b32_e32 v3, 0x400000, v5
	v_and_or_b32 v5, 0x3fffff, v5, v1
	s_delay_alu instid0(VALU_DEP_2) | instskip(NEXT) | instid1(VALU_DEP_2)
	v_cmp_ne_u32_e32 vcc_lo, 0, v3
	v_cmp_ne_u32_e64 s0, 0, v5
	s_and_b32 s0, vcc_lo, s0
	s_delay_alu instid0(SALU_CYCLE_1) | instskip(NEXT) | instid1(VALU_DEP_1)
	v_cndmask_b32_e64 v3, 0, 1, s0
	v_add_nc_u32_e32 v3, v1, v3
; %bb.1526:
	s_or_b32 exec_lo, exec_lo, s9
	s_mov_b32 s0, 0
	s_mov_b32 s9, -1
	global_store_b8 v[6:7], v3, off
.LBB78_1527:
	s_mov_b32 s10, 0
.LBB78_1528:
	s_delay_alu instid0(SALU_CYCLE_1)
	s_and_b32 vcc_lo, exec_lo, s10
	s_cbranch_vccz .LBB78_1531
; %bb.1529:
	s_cmp_eq_u32 s6, 29
	s_mov_b32 s0, -1
	s_cbranch_scc0 .LBB78_1531
; %bb.1530:
	s_mov_b32 s0, 0
	v_cndmask_b32_e64 v10, 0, 1, s2
	v_mov_b32_e32 v11, s0
	s_mov_b32 s9, -1
	global_store_b64 v[6:7], v[10:11], off
.LBB78_1531:
	s_mov_b32 s10, 0
.LBB78_1532:
	s_delay_alu instid0(SALU_CYCLE_1)
	s_and_b32 vcc_lo, exec_lo, s10
	s_cbranch_vccz .LBB78_1548
; %bb.1533:
	s_cmp_lt_i32 s6, 27
	s_mov_b32 s9, -1
	s_cbranch_scc1 .LBB78_1539
; %bb.1534:
	s_cmp_gt_i32 s6, 27
	s_cbranch_scc0 .LBB78_1536
; %bb.1535:
	s_wait_xcnt 0x0
	v_cndmask_b32_e64 v1, 0, 1, s2
	s_mov_b32 s9, 0
	global_store_b32 v[6:7], v1, off
.LBB78_1536:
	s_and_not1_b32 vcc_lo, exec_lo, s9
	s_cbranch_vccnz .LBB78_1538
; %bb.1537:
	s_wait_xcnt 0x0
	v_cndmask_b32_e64 v1, 0, 1, s2
	global_store_b16 v[6:7], v1, off
.LBB78_1538:
	s_mov_b32 s9, 0
.LBB78_1539:
	s_delay_alu instid0(SALU_CYCLE_1)
	s_and_not1_b32 vcc_lo, exec_lo, s9
	s_cbranch_vccnz .LBB78_1547
; %bb.1540:
	s_wait_xcnt 0x0
	v_cndmask_b32_e64 v3, 0, 1.0, s2
	v_mov_b32_e32 v5, 0x80
	s_mov_b32 s9, exec_lo
	s_delay_alu instid0(VALU_DEP_2)
	v_cmpx_gt_u32_e32 0x43800000, v3
	s_cbranch_execz .LBB78_1546
; %bb.1541:
	s_mov_b32 s10, 0
	s_mov_b32 s15, exec_lo
                                        ; implicit-def: $vgpr1
	v_cmpx_lt_u32_e32 0x3bffffff, v3
	s_xor_b32 s15, exec_lo, s15
	s_cbranch_execz .LBB78_1994
; %bb.1542:
	v_bfe_u32 v1, v3, 20, 1
	s_mov_b32 s10, exec_lo
	s_delay_alu instid0(VALU_DEP_1) | instskip(NEXT) | instid1(VALU_DEP_1)
	v_add3_u32 v1, v3, v1, 0x487ffff
                                        ; implicit-def: $vgpr3
	v_lshrrev_b32_e32 v1, 20, v1
	s_and_not1_saveexec_b32 s15, s15
	s_cbranch_execnz .LBB78_1995
.LBB78_1543:
	s_or_b32 exec_lo, exec_lo, s15
	v_mov_b32_e32 v5, 0
	s_and_saveexec_b32 s15, s10
.LBB78_1544:
	v_mov_b32_e32 v5, v1
.LBB78_1545:
	s_or_b32 exec_lo, exec_lo, s15
.LBB78_1546:
	s_delay_alu instid0(SALU_CYCLE_1)
	s_or_b32 exec_lo, exec_lo, s9
	global_store_b8 v[6:7], v5, off
.LBB78_1547:
	s_mov_b32 s9, -1
.LBB78_1548:
	s_mov_b32 s10, 0
.LBB78_1549:
	s_delay_alu instid0(SALU_CYCLE_1)
	s_and_b32 vcc_lo, exec_lo, s10
	s_cbranch_vccz .LBB78_1589
; %bb.1550:
	s_cmp_gt_i32 s6, 22
	s_mov_b32 s7, -1
	s_cbranch_scc0 .LBB78_1582
; %bb.1551:
	s_cmp_lt_i32 s6, 24
	s_cbranch_scc1 .LBB78_1571
; %bb.1552:
	s_cmp_gt_i32 s6, 24
	s_cbranch_scc0 .LBB78_1560
; %bb.1553:
	s_wait_xcnt 0x0
	v_cndmask_b32_e64 v3, 0, 1.0, s2
	v_mov_b32_e32 v5, 0x80
	s_mov_b32 s7, exec_lo
	s_delay_alu instid0(VALU_DEP_2)
	v_cmpx_gt_u32_e32 0x47800000, v3
	s_cbranch_execz .LBB78_1559
; %bb.1554:
	s_mov_b32 s9, 0
	s_mov_b32 s10, exec_lo
                                        ; implicit-def: $vgpr1
	v_cmpx_lt_u32_e32 0x37ffffff, v3
	s_xor_b32 s10, exec_lo, s10
	s_cbranch_execz .LBB78_1997
; %bb.1555:
	v_bfe_u32 v1, v3, 21, 1
	s_mov_b32 s9, exec_lo
	s_delay_alu instid0(VALU_DEP_1) | instskip(NEXT) | instid1(VALU_DEP_1)
	v_add3_u32 v1, v3, v1, 0x88fffff
                                        ; implicit-def: $vgpr3
	v_lshrrev_b32_e32 v1, 21, v1
	s_and_not1_saveexec_b32 s10, s10
	s_cbranch_execnz .LBB78_1998
.LBB78_1556:
	s_or_b32 exec_lo, exec_lo, s10
	v_mov_b32_e32 v5, 0
	s_and_saveexec_b32 s10, s9
.LBB78_1557:
	v_mov_b32_e32 v5, v1
.LBB78_1558:
	s_or_b32 exec_lo, exec_lo, s10
.LBB78_1559:
	s_delay_alu instid0(SALU_CYCLE_1)
	s_or_b32 exec_lo, exec_lo, s7
	s_mov_b32 s7, 0
	global_store_b8 v[6:7], v5, off
.LBB78_1560:
	s_and_b32 vcc_lo, exec_lo, s7
	s_cbranch_vccz .LBB78_1570
; %bb.1561:
	s_wait_xcnt 0x0
	v_cndmask_b32_e64 v3, 0, 1.0, s2
	s_mov_b32 s7, exec_lo
                                        ; implicit-def: $vgpr1
	s_delay_alu instid0(VALU_DEP_1)
	v_cmpx_gt_u32_e32 0x43f00000, v3
	s_xor_b32 s7, exec_lo, s7
	s_cbranch_execz .LBB78_1567
; %bb.1562:
	s_mov_b32 s9, exec_lo
                                        ; implicit-def: $vgpr1
	v_cmpx_lt_u32_e32 0x3c7fffff, v3
	s_xor_b32 s9, exec_lo, s9
; %bb.1563:
	v_bfe_u32 v1, v3, 20, 1
	s_delay_alu instid0(VALU_DEP_1) | instskip(NEXT) | instid1(VALU_DEP_1)
	v_add3_u32 v1, v3, v1, 0x407ffff
	v_and_b32_e32 v3, 0xff00000, v1
	v_lshrrev_b32_e32 v1, 20, v1
	s_delay_alu instid0(VALU_DEP_2) | instskip(NEXT) | instid1(VALU_DEP_2)
	v_cmp_ne_u32_e32 vcc_lo, 0x7f00000, v3
                                        ; implicit-def: $vgpr3
	v_cndmask_b32_e32 v1, 0x7e, v1, vcc_lo
; %bb.1564:
	s_and_not1_saveexec_b32 s9, s9
; %bb.1565:
	v_add_f32_e32 v1, 0x46800000, v3
; %bb.1566:
	s_or_b32 exec_lo, exec_lo, s9
                                        ; implicit-def: $vgpr3
.LBB78_1567:
	s_and_not1_saveexec_b32 s7, s7
; %bb.1568:
	v_mov_b32_e32 v1, 0x7f
	v_cmp_lt_u32_e32 vcc_lo, 0x7f800000, v3
	s_delay_alu instid0(VALU_DEP_2)
	v_cndmask_b32_e32 v1, 0x7e, v1, vcc_lo
; %bb.1569:
	s_or_b32 exec_lo, exec_lo, s7
	global_store_b8 v[6:7], v1, off
.LBB78_1570:
	s_mov_b32 s7, 0
.LBB78_1571:
	s_delay_alu instid0(SALU_CYCLE_1)
	s_and_not1_b32 vcc_lo, exec_lo, s7
	s_cbranch_vccnz .LBB78_1581
; %bb.1572:
	s_wait_xcnt 0x0
	v_cndmask_b32_e64 v3, 0, 1.0, s2
	s_mov_b32 s7, exec_lo
                                        ; implicit-def: $vgpr1
	s_delay_alu instid0(VALU_DEP_1)
	v_cmpx_gt_u32_e32 0x47800000, v3
	s_xor_b32 s7, exec_lo, s7
	s_cbranch_execz .LBB78_1578
; %bb.1573:
	s_mov_b32 s9, exec_lo
                                        ; implicit-def: $vgpr1
	v_cmpx_lt_u32_e32 0x387fffff, v3
	s_xor_b32 s9, exec_lo, s9
; %bb.1574:
	v_bfe_u32 v1, v3, 21, 1
	s_delay_alu instid0(VALU_DEP_1) | instskip(NEXT) | instid1(VALU_DEP_1)
	v_add3_u32 v1, v3, v1, 0x80fffff
                                        ; implicit-def: $vgpr3
	v_lshrrev_b32_e32 v1, 21, v1
; %bb.1575:
	s_and_not1_saveexec_b32 s9, s9
; %bb.1576:
	v_add_f32_e32 v1, 0x43000000, v3
; %bb.1577:
	s_or_b32 exec_lo, exec_lo, s9
                                        ; implicit-def: $vgpr3
.LBB78_1578:
	s_and_not1_saveexec_b32 s7, s7
; %bb.1579:
	v_mov_b32_e32 v1, 0x7f
	v_cmp_lt_u32_e32 vcc_lo, 0x7f800000, v3
	s_delay_alu instid0(VALU_DEP_2)
	v_cndmask_b32_e32 v1, 0x7c, v1, vcc_lo
; %bb.1580:
	s_or_b32 exec_lo, exec_lo, s7
	global_store_b8 v[6:7], v1, off
.LBB78_1581:
	s_mov_b32 s7, 0
	s_mov_b32 s9, -1
.LBB78_1582:
	s_and_not1_b32 vcc_lo, exec_lo, s7
	s_mov_b32 s7, 0
	s_cbranch_vccnz .LBB78_1589
; %bb.1583:
	s_cmp_gt_i32 s6, 14
	s_mov_b32 s7, -1
	s_cbranch_scc0 .LBB78_1587
; %bb.1584:
	s_cmp_eq_u32 s6, 15
	s_mov_b32 s0, -1
	s_cbranch_scc0 .LBB78_1586
; %bb.1585:
	s_wait_xcnt 0x0
	v_cndmask_b32_e64 v1, 0, 1.0, s2
	s_mov_b32 s0, 0
	s_mov_b32 s9, -1
	s_delay_alu instid0(VALU_DEP_1) | instskip(NEXT) | instid1(VALU_DEP_1)
	v_bfe_u32 v3, v1, 16, 1
	v_add3_u32 v1, v1, v3, 0x7fff
	global_store_d16_hi_b16 v[6:7], v1, off
.LBB78_1586:
	s_mov_b32 s7, 0
.LBB78_1587:
	s_delay_alu instid0(SALU_CYCLE_1)
	s_and_b32 vcc_lo, exec_lo, s7
	s_mov_b32 s7, 0
	s_cbranch_vccz .LBB78_1589
; %bb.1588:
	s_cmp_lg_u32 s6, 11
	s_mov_b32 s7, -1
	s_cselect_b32 s0, -1, 0
.LBB78_1589:
	s_delay_alu instid0(SALU_CYCLE_1)
	s_and_b32 vcc_lo, exec_lo, s0
	s_cbranch_vccnz .LBB78_1996
; %bb.1590:
	s_and_not1_b32 vcc_lo, exec_lo, s7
	s_cbranch_vccnz .LBB78_1592
.LBB78_1591:
	s_wait_xcnt 0x0
	v_cndmask_b32_e64 v1, 0, 1, s2
	s_mov_b32 s9, -1
	global_store_b8 v[6:7], v1, off
.LBB78_1592:
.LBB78_1593:
	s_and_not1_b32 vcc_lo, exec_lo, s9
	s_cbranch_vccnz .LBB78_1947
	s_branch .LBB78_1633
.LBB78_1594:
	s_and_b32 vcc_lo, exec_lo, s0
	s_cbranch_vccz .LBB78_1593
; %bb.1595:
	s_and_b32 s0, 0xffff, s14
	s_mov_b32 s6, -1
	s_cmp_lt_i32 s0, 5
	s_cbranch_scc1 .LBB78_1616
; %bb.1596:
	s_cmp_lt_i32 s0, 8
	s_cbranch_scc1 .LBB78_1606
; %bb.1597:
	;; [unrolled: 3-line block ×3, first 2 shown]
	s_cmp_gt_i32 s0, 9
	s_cbranch_scc0 .LBB78_1600
; %bb.1599:
	s_wait_xcnt 0x0
	v_cndmask_b32_e64 v1, 0, 1, s2
	v_mov_b32_e32 v12, 0
	s_mov_b32 s6, 0
	s_delay_alu instid0(VALU_DEP_2) | instskip(NEXT) | instid1(VALU_DEP_2)
	v_cvt_f64_u32_e32 v[10:11], v1
	v_mov_b32_e32 v13, v12
	global_store_b128 v[6:7], v[10:13], off
.LBB78_1600:
	s_and_not1_b32 vcc_lo, exec_lo, s6
	s_cbranch_vccnz .LBB78_1602
; %bb.1601:
	s_wait_xcnt 0x0
	v_cndmask_b32_e64 v10, 0, 1.0, s2
	v_mov_b32_e32 v11, 0
	global_store_b64 v[6:7], v[10:11], off
.LBB78_1602:
	s_mov_b32 s6, 0
.LBB78_1603:
	s_delay_alu instid0(SALU_CYCLE_1)
	s_and_not1_b32 vcc_lo, exec_lo, s6
	s_cbranch_vccnz .LBB78_1605
; %bb.1604:
	s_wait_xcnt 0x0
	v_cndmask_b32_e64 v1, 0, 1.0, s2
	s_delay_alu instid0(VALU_DEP_1) | instskip(NEXT) | instid1(VALU_DEP_1)
	v_cvt_f16_f32_e32 v1, v1
	v_and_b32_e32 v1, 0xffff, v1
	global_store_b32 v[6:7], v1, off
.LBB78_1605:
	s_mov_b32 s6, 0
.LBB78_1606:
	s_delay_alu instid0(SALU_CYCLE_1)
	s_and_not1_b32 vcc_lo, exec_lo, s6
	s_cbranch_vccnz .LBB78_1615
; %bb.1607:
	s_cmp_lt_i32 s0, 6
	s_mov_b32 s6, -1
	s_cbranch_scc1 .LBB78_1613
; %bb.1608:
	s_cmp_gt_i32 s0, 6
	s_cbranch_scc0 .LBB78_1610
; %bb.1609:
	s_wait_xcnt 0x0
	v_cndmask_b32_e64 v1, 0, 1, s2
	s_mov_b32 s6, 0
	s_delay_alu instid0(VALU_DEP_1)
	v_cvt_f64_u32_e32 v[10:11], v1
	global_store_b64 v[6:7], v[10:11], off
.LBB78_1610:
	s_and_not1_b32 vcc_lo, exec_lo, s6
	s_cbranch_vccnz .LBB78_1612
; %bb.1611:
	s_wait_xcnt 0x0
	v_cndmask_b32_e64 v1, 0, 1.0, s2
	global_store_b32 v[6:7], v1, off
.LBB78_1612:
	s_mov_b32 s6, 0
.LBB78_1613:
	s_delay_alu instid0(SALU_CYCLE_1)
	s_and_not1_b32 vcc_lo, exec_lo, s6
	s_cbranch_vccnz .LBB78_1615
; %bb.1614:
	s_wait_xcnt 0x0
	v_cndmask_b32_e64 v1, 0, 1.0, s2
	s_delay_alu instid0(VALU_DEP_1)
	v_cvt_f16_f32_e32 v1, v1
	global_store_b16 v[6:7], v1, off
.LBB78_1615:
	s_mov_b32 s6, 0
.LBB78_1616:
	s_delay_alu instid0(SALU_CYCLE_1)
	s_and_not1_b32 vcc_lo, exec_lo, s6
	s_cbranch_vccnz .LBB78_1632
; %bb.1617:
	s_cmp_lt_i32 s0, 2
	s_mov_b32 s6, -1
	s_cbranch_scc1 .LBB78_1627
; %bb.1618:
	s_cmp_lt_i32 s0, 3
	s_cbranch_scc1 .LBB78_1624
; %bb.1619:
	s_cmp_gt_i32 s0, 3
	s_cbranch_scc0 .LBB78_1621
; %bb.1620:
	s_mov_b32 s6, 0
	s_wait_xcnt 0x0
	v_cndmask_b32_e64 v10, 0, 1, s2
	v_mov_b32_e32 v11, s6
	global_store_b64 v[6:7], v[10:11], off
.LBB78_1621:
	s_and_not1_b32 vcc_lo, exec_lo, s6
	s_cbranch_vccnz .LBB78_1623
; %bb.1622:
	s_wait_xcnt 0x0
	v_cndmask_b32_e64 v1, 0, 1, s2
	global_store_b32 v[6:7], v1, off
.LBB78_1623:
	s_mov_b32 s6, 0
.LBB78_1624:
	s_delay_alu instid0(SALU_CYCLE_1)
	s_and_not1_b32 vcc_lo, exec_lo, s6
	s_cbranch_vccnz .LBB78_1626
; %bb.1625:
	s_wait_xcnt 0x0
	v_cndmask_b32_e64 v1, 0, 1, s2
	global_store_b16 v[6:7], v1, off
.LBB78_1626:
	s_mov_b32 s6, 0
.LBB78_1627:
	s_delay_alu instid0(SALU_CYCLE_1)
	s_and_not1_b32 vcc_lo, exec_lo, s6
	s_cbranch_vccnz .LBB78_1632
; %bb.1628:
	s_wait_xcnt 0x0
	v_cndmask_b32_e64 v1, 0, 1, s2
	s_cmp_gt_i32 s0, 0
	s_mov_b32 s0, -1
	s_cbranch_scc0 .LBB78_1630
; %bb.1629:
	s_mov_b32 s0, 0
	global_store_b8 v[6:7], v1, off
.LBB78_1630:
	s_and_not1_b32 vcc_lo, exec_lo, s0
	s_cbranch_vccnz .LBB78_1632
; %bb.1631:
	global_store_b8 v[6:7], v1, off
.LBB78_1632:
.LBB78_1633:
	s_lshl_b32 s2, s8, 7
	v_cmp_ne_u16_e32 vcc_lo, s11, v4
	s_wait_xcnt 0x0
	v_add_nc_u32_e32 v6, s2, v8
	s_xor_b32 s6, s3, vcc_lo
	s_delay_alu instid0(VALU_DEP_1) | instskip(SKIP_1) | instid1(VALU_DEP_1)
	v_ashrrev_i32_e32 v7, 31, v6
	s_cmp_lt_i32 s14, 11
	v_add_nc_u64_e32 v[4:5], s[4:5], v[6:7]
	s_cbranch_scc1 .LBB78_1711
; %bb.1634:
	s_and_b32 s7, 0xffff, s14
	s_mov_b32 s10, -1
	s_mov_b32 s8, 0
	s_cmp_gt_i32 s7, 25
	s_mov_b32 s9, 0
	s_mov_b32 s0, 0
	s_cbranch_scc0 .LBB78_1667
; %bb.1635:
	s_cmp_gt_i32 s7, 28
	s_cbranch_scc0 .LBB78_1650
; %bb.1636:
	s_cmp_gt_i32 s7, 43
	;; [unrolled: 3-line block ×3, first 2 shown]
	s_cbranch_scc0 .LBB78_1640
; %bb.1638:
	s_mov_b32 s0, -1
	s_mov_b32 s10, 0
	s_cmp_eq_u32 s7, 46
	s_cbranch_scc0 .LBB78_1640
; %bb.1639:
	v_cndmask_b32_e64 v1, 0, 1.0, s6
	s_mov_b32 s0, 0
	s_mov_b32 s9, -1
	s_delay_alu instid0(VALU_DEP_1) | instskip(NEXT) | instid1(VALU_DEP_1)
	v_bfe_u32 v3, v1, 16, 1
	v_add3_u32 v1, v1, v3, 0x7fff
	s_delay_alu instid0(VALU_DEP_1)
	v_lshrrev_b32_e32 v1, 16, v1
	global_store_b32 v[4:5], v1, off
.LBB78_1640:
	s_and_b32 vcc_lo, exec_lo, s10
	s_cbranch_vccz .LBB78_1645
; %bb.1641:
	s_cmp_eq_u32 s7, 44
	s_mov_b32 s0, -1
	s_cbranch_scc0 .LBB78_1645
; %bb.1642:
	v_cndmask_b32_e64 v7, 0, 1.0, s6
	v_mov_b32_e32 v3, 0xff
	s_mov_b32 s9, exec_lo
	s_wait_xcnt 0x0
	s_delay_alu instid0(VALU_DEP_2) | instskip(NEXT) | instid1(VALU_DEP_1)
	v_lshrrev_b32_e32 v1, 23, v7
	v_cmpx_ne_u32_e32 0xff, v1
; %bb.1643:
	v_and_b32_e32 v3, 0x400000, v7
	v_and_or_b32 v7, 0x3fffff, v7, v1
	s_delay_alu instid0(VALU_DEP_2) | instskip(NEXT) | instid1(VALU_DEP_2)
	v_cmp_ne_u32_e32 vcc_lo, 0, v3
	v_cmp_ne_u32_e64 s0, 0, v7
	s_and_b32 s0, vcc_lo, s0
	s_delay_alu instid0(SALU_CYCLE_1) | instskip(NEXT) | instid1(VALU_DEP_1)
	v_cndmask_b32_e64 v3, 0, 1, s0
	v_add_nc_u32_e32 v3, v1, v3
; %bb.1644:
	s_or_b32 exec_lo, exec_lo, s9
	s_mov_b32 s0, 0
	s_mov_b32 s9, -1
	global_store_b8 v[4:5], v3, off
.LBB78_1645:
	s_mov_b32 s10, 0
.LBB78_1646:
	s_delay_alu instid0(SALU_CYCLE_1)
	s_and_b32 vcc_lo, exec_lo, s10
	s_cbranch_vccz .LBB78_1649
; %bb.1647:
	s_cmp_eq_u32 s7, 29
	s_mov_b32 s0, -1
	s_cbranch_scc0 .LBB78_1649
; %bb.1648:
	s_mov_b32 s0, 0
	v_cndmask_b32_e64 v8, 0, 1, s6
	v_mov_b32_e32 v9, s0
	s_mov_b32 s9, -1
	global_store_b64 v[4:5], v[8:9], off
.LBB78_1649:
	s_mov_b32 s10, 0
.LBB78_1650:
	s_delay_alu instid0(SALU_CYCLE_1)
	s_and_b32 vcc_lo, exec_lo, s10
	s_cbranch_vccz .LBB78_1666
; %bb.1651:
	s_cmp_lt_i32 s7, 27
	s_mov_b32 s9, -1
	s_cbranch_scc1 .LBB78_1657
; %bb.1652:
	s_cmp_gt_i32 s7, 27
	s_cbranch_scc0 .LBB78_1654
; %bb.1653:
	s_wait_xcnt 0x0
	v_cndmask_b32_e64 v1, 0, 1, s6
	s_mov_b32 s9, 0
	global_store_b32 v[4:5], v1, off
.LBB78_1654:
	s_and_not1_b32 vcc_lo, exec_lo, s9
	s_cbranch_vccnz .LBB78_1656
; %bb.1655:
	s_wait_xcnt 0x0
	v_cndmask_b32_e64 v1, 0, 1, s6
	global_store_b16 v[4:5], v1, off
.LBB78_1656:
	s_mov_b32 s9, 0
.LBB78_1657:
	s_delay_alu instid0(SALU_CYCLE_1)
	s_and_not1_b32 vcc_lo, exec_lo, s9
	s_cbranch_vccnz .LBB78_1665
; %bb.1658:
	s_wait_xcnt 0x0
	v_cndmask_b32_e64 v3, 0, 1.0, s6
	v_mov_b32_e32 v7, 0x80
	s_mov_b32 s9, exec_lo
	s_delay_alu instid0(VALU_DEP_2)
	v_cmpx_gt_u32_e32 0x43800000, v3
	s_cbranch_execz .LBB78_1664
; %bb.1659:
	s_mov_b32 s10, 0
	s_mov_b32 s15, exec_lo
                                        ; implicit-def: $vgpr1
	v_cmpx_lt_u32_e32 0x3bffffff, v3
	s_xor_b32 s15, exec_lo, s15
	s_cbranch_execz .LBB78_1999
; %bb.1660:
	v_bfe_u32 v1, v3, 20, 1
	s_mov_b32 s10, exec_lo
	s_delay_alu instid0(VALU_DEP_1) | instskip(NEXT) | instid1(VALU_DEP_1)
	v_add3_u32 v1, v3, v1, 0x487ffff
                                        ; implicit-def: $vgpr3
	v_lshrrev_b32_e32 v1, 20, v1
	s_and_not1_saveexec_b32 s15, s15
	s_cbranch_execnz .LBB78_2000
.LBB78_1661:
	s_or_b32 exec_lo, exec_lo, s15
	v_mov_b32_e32 v7, 0
	s_and_saveexec_b32 s15, s10
.LBB78_1662:
	v_mov_b32_e32 v7, v1
.LBB78_1663:
	s_or_b32 exec_lo, exec_lo, s15
.LBB78_1664:
	s_delay_alu instid0(SALU_CYCLE_1)
	s_or_b32 exec_lo, exec_lo, s9
	global_store_b8 v[4:5], v7, off
.LBB78_1665:
	s_mov_b32 s9, -1
.LBB78_1666:
	s_mov_b32 s10, 0
.LBB78_1667:
	s_delay_alu instid0(SALU_CYCLE_1)
	s_and_b32 vcc_lo, exec_lo, s10
	s_cbranch_vccz .LBB78_1707
; %bb.1668:
	s_cmp_gt_i32 s7, 22
	s_mov_b32 s8, -1
	s_cbranch_scc0 .LBB78_1700
; %bb.1669:
	s_cmp_lt_i32 s7, 24
	s_cbranch_scc1 .LBB78_1689
; %bb.1670:
	s_cmp_gt_i32 s7, 24
	s_cbranch_scc0 .LBB78_1678
; %bb.1671:
	s_wait_xcnt 0x0
	v_cndmask_b32_e64 v3, 0, 1.0, s6
	v_mov_b32_e32 v7, 0x80
	s_mov_b32 s8, exec_lo
	s_delay_alu instid0(VALU_DEP_2)
	v_cmpx_gt_u32_e32 0x47800000, v3
	s_cbranch_execz .LBB78_1677
; %bb.1672:
	s_mov_b32 s9, 0
	s_mov_b32 s10, exec_lo
                                        ; implicit-def: $vgpr1
	v_cmpx_lt_u32_e32 0x37ffffff, v3
	s_xor_b32 s10, exec_lo, s10
	s_cbranch_execz .LBB78_2002
; %bb.1673:
	v_bfe_u32 v1, v3, 21, 1
	s_mov_b32 s9, exec_lo
	s_delay_alu instid0(VALU_DEP_1) | instskip(NEXT) | instid1(VALU_DEP_1)
	v_add3_u32 v1, v3, v1, 0x88fffff
                                        ; implicit-def: $vgpr3
	v_lshrrev_b32_e32 v1, 21, v1
	s_and_not1_saveexec_b32 s10, s10
	s_cbranch_execnz .LBB78_2003
.LBB78_1674:
	s_or_b32 exec_lo, exec_lo, s10
	v_mov_b32_e32 v7, 0
	s_and_saveexec_b32 s10, s9
.LBB78_1675:
	v_mov_b32_e32 v7, v1
.LBB78_1676:
	s_or_b32 exec_lo, exec_lo, s10
.LBB78_1677:
	s_delay_alu instid0(SALU_CYCLE_1)
	s_or_b32 exec_lo, exec_lo, s8
	s_mov_b32 s8, 0
	global_store_b8 v[4:5], v7, off
.LBB78_1678:
	s_and_b32 vcc_lo, exec_lo, s8
	s_cbranch_vccz .LBB78_1688
; %bb.1679:
	s_wait_xcnt 0x0
	v_cndmask_b32_e64 v3, 0, 1.0, s6
	s_mov_b32 s8, exec_lo
                                        ; implicit-def: $vgpr1
	s_delay_alu instid0(VALU_DEP_1)
	v_cmpx_gt_u32_e32 0x43f00000, v3
	s_xor_b32 s8, exec_lo, s8
	s_cbranch_execz .LBB78_1685
; %bb.1680:
	s_mov_b32 s9, exec_lo
                                        ; implicit-def: $vgpr1
	v_cmpx_lt_u32_e32 0x3c7fffff, v3
	s_xor_b32 s9, exec_lo, s9
; %bb.1681:
	v_bfe_u32 v1, v3, 20, 1
	s_delay_alu instid0(VALU_DEP_1) | instskip(NEXT) | instid1(VALU_DEP_1)
	v_add3_u32 v1, v3, v1, 0x407ffff
	v_and_b32_e32 v3, 0xff00000, v1
	v_lshrrev_b32_e32 v1, 20, v1
	s_delay_alu instid0(VALU_DEP_2) | instskip(NEXT) | instid1(VALU_DEP_2)
	v_cmp_ne_u32_e32 vcc_lo, 0x7f00000, v3
                                        ; implicit-def: $vgpr3
	v_cndmask_b32_e32 v1, 0x7e, v1, vcc_lo
; %bb.1682:
	s_and_not1_saveexec_b32 s9, s9
; %bb.1683:
	v_add_f32_e32 v1, 0x46800000, v3
; %bb.1684:
	s_or_b32 exec_lo, exec_lo, s9
                                        ; implicit-def: $vgpr3
.LBB78_1685:
	s_and_not1_saveexec_b32 s8, s8
; %bb.1686:
	v_mov_b32_e32 v1, 0x7f
	v_cmp_lt_u32_e32 vcc_lo, 0x7f800000, v3
	s_delay_alu instid0(VALU_DEP_2)
	v_cndmask_b32_e32 v1, 0x7e, v1, vcc_lo
; %bb.1687:
	s_or_b32 exec_lo, exec_lo, s8
	global_store_b8 v[4:5], v1, off
.LBB78_1688:
	s_mov_b32 s8, 0
.LBB78_1689:
	s_delay_alu instid0(SALU_CYCLE_1)
	s_and_not1_b32 vcc_lo, exec_lo, s8
	s_cbranch_vccnz .LBB78_1699
; %bb.1690:
	s_wait_xcnt 0x0
	v_cndmask_b32_e64 v3, 0, 1.0, s6
	s_mov_b32 s8, exec_lo
                                        ; implicit-def: $vgpr1
	s_delay_alu instid0(VALU_DEP_1)
	v_cmpx_gt_u32_e32 0x47800000, v3
	s_xor_b32 s8, exec_lo, s8
	s_cbranch_execz .LBB78_1696
; %bb.1691:
	s_mov_b32 s9, exec_lo
                                        ; implicit-def: $vgpr1
	v_cmpx_lt_u32_e32 0x387fffff, v3
	s_xor_b32 s9, exec_lo, s9
; %bb.1692:
	v_bfe_u32 v1, v3, 21, 1
	s_delay_alu instid0(VALU_DEP_1) | instskip(NEXT) | instid1(VALU_DEP_1)
	v_add3_u32 v1, v3, v1, 0x80fffff
                                        ; implicit-def: $vgpr3
	v_lshrrev_b32_e32 v1, 21, v1
; %bb.1693:
	s_and_not1_saveexec_b32 s9, s9
; %bb.1694:
	v_add_f32_e32 v1, 0x43000000, v3
; %bb.1695:
	s_or_b32 exec_lo, exec_lo, s9
                                        ; implicit-def: $vgpr3
.LBB78_1696:
	s_and_not1_saveexec_b32 s8, s8
; %bb.1697:
	v_mov_b32_e32 v1, 0x7f
	v_cmp_lt_u32_e32 vcc_lo, 0x7f800000, v3
	s_delay_alu instid0(VALU_DEP_2)
	v_cndmask_b32_e32 v1, 0x7c, v1, vcc_lo
; %bb.1698:
	s_or_b32 exec_lo, exec_lo, s8
	global_store_b8 v[4:5], v1, off
.LBB78_1699:
	s_mov_b32 s8, 0
	s_mov_b32 s9, -1
.LBB78_1700:
	s_and_not1_b32 vcc_lo, exec_lo, s8
	s_mov_b32 s8, 0
	s_cbranch_vccnz .LBB78_1707
; %bb.1701:
	s_cmp_gt_i32 s7, 14
	s_mov_b32 s8, -1
	s_cbranch_scc0 .LBB78_1705
; %bb.1702:
	s_cmp_eq_u32 s7, 15
	s_mov_b32 s0, -1
	s_cbranch_scc0 .LBB78_1704
; %bb.1703:
	s_wait_xcnt 0x0
	v_cndmask_b32_e64 v1, 0, 1.0, s6
	s_mov_b32 s0, 0
	s_mov_b32 s9, -1
	s_delay_alu instid0(VALU_DEP_1) | instskip(NEXT) | instid1(VALU_DEP_1)
	v_bfe_u32 v3, v1, 16, 1
	v_add3_u32 v1, v1, v3, 0x7fff
	global_store_d16_hi_b16 v[4:5], v1, off
.LBB78_1704:
	s_mov_b32 s8, 0
.LBB78_1705:
	s_delay_alu instid0(SALU_CYCLE_1)
	s_and_b32 vcc_lo, exec_lo, s8
	s_mov_b32 s8, 0
	s_cbranch_vccz .LBB78_1707
; %bb.1706:
	s_cmp_lg_u32 s7, 11
	s_mov_b32 s8, -1
	s_cselect_b32 s0, -1, 0
.LBB78_1707:
	s_delay_alu instid0(SALU_CYCLE_1)
	s_and_b32 vcc_lo, exec_lo, s0
	s_cbranch_vccnz .LBB78_2001
; %bb.1708:
	s_and_not1_b32 vcc_lo, exec_lo, s8
	s_cbranch_vccnz .LBB78_1710
.LBB78_1709:
	s_wait_xcnt 0x0
	v_cndmask_b32_e64 v1, 0, 1, s6
	s_mov_b32 s9, -1
	global_store_b8 v[4:5], v1, off
.LBB78_1710:
	s_mov_b32 s0, 0
	s_branch .LBB78_1712
.LBB78_1711:
	s_mov_b32 s0, -1
	s_mov_b32 s9, 0
.LBB78_1712:
	s_and_b32 vcc_lo, exec_lo, s0
	s_cbranch_vccz .LBB78_1751
; %bb.1713:
	s_and_b32 s0, 0xffff, s14
	s_mov_b32 s7, -1
	s_cmp_lt_i32 s0, 5
	s_cbranch_scc1 .LBB78_1734
; %bb.1714:
	s_cmp_lt_i32 s0, 8
	s_cbranch_scc1 .LBB78_1724
; %bb.1715:
	;; [unrolled: 3-line block ×3, first 2 shown]
	s_cmp_gt_i32 s0, 9
	s_cbranch_scc0 .LBB78_1718
; %bb.1717:
	s_wait_xcnt 0x0
	v_cndmask_b32_e64 v1, 0, 1, s6
	v_mov_b32_e32 v10, 0
	s_mov_b32 s7, 0
	s_delay_alu instid0(VALU_DEP_2) | instskip(NEXT) | instid1(VALU_DEP_2)
	v_cvt_f64_u32_e32 v[8:9], v1
	v_mov_b32_e32 v11, v10
	global_store_b128 v[4:5], v[8:11], off
.LBB78_1718:
	s_and_not1_b32 vcc_lo, exec_lo, s7
	s_cbranch_vccnz .LBB78_1720
; %bb.1719:
	s_wait_xcnt 0x0
	v_cndmask_b32_e64 v8, 0, 1.0, s6
	v_mov_b32_e32 v9, 0
	global_store_b64 v[4:5], v[8:9], off
.LBB78_1720:
	s_mov_b32 s7, 0
.LBB78_1721:
	s_delay_alu instid0(SALU_CYCLE_1)
	s_and_not1_b32 vcc_lo, exec_lo, s7
	s_cbranch_vccnz .LBB78_1723
; %bb.1722:
	s_wait_xcnt 0x0
	v_cndmask_b32_e64 v1, 0, 1.0, s6
	s_delay_alu instid0(VALU_DEP_1) | instskip(NEXT) | instid1(VALU_DEP_1)
	v_cvt_f16_f32_e32 v1, v1
	v_and_b32_e32 v1, 0xffff, v1
	global_store_b32 v[4:5], v1, off
.LBB78_1723:
	s_mov_b32 s7, 0
.LBB78_1724:
	s_delay_alu instid0(SALU_CYCLE_1)
	s_and_not1_b32 vcc_lo, exec_lo, s7
	s_cbranch_vccnz .LBB78_1733
; %bb.1725:
	s_cmp_lt_i32 s0, 6
	s_mov_b32 s7, -1
	s_cbranch_scc1 .LBB78_1731
; %bb.1726:
	s_cmp_gt_i32 s0, 6
	s_cbranch_scc0 .LBB78_1728
; %bb.1727:
	s_wait_xcnt 0x0
	v_cndmask_b32_e64 v1, 0, 1, s6
	s_mov_b32 s7, 0
	s_delay_alu instid0(VALU_DEP_1)
	v_cvt_f64_u32_e32 v[8:9], v1
	global_store_b64 v[4:5], v[8:9], off
.LBB78_1728:
	s_and_not1_b32 vcc_lo, exec_lo, s7
	s_cbranch_vccnz .LBB78_1730
; %bb.1729:
	s_wait_xcnt 0x0
	v_cndmask_b32_e64 v1, 0, 1.0, s6
	global_store_b32 v[4:5], v1, off
.LBB78_1730:
	s_mov_b32 s7, 0
.LBB78_1731:
	s_delay_alu instid0(SALU_CYCLE_1)
	s_and_not1_b32 vcc_lo, exec_lo, s7
	s_cbranch_vccnz .LBB78_1733
; %bb.1732:
	s_wait_xcnt 0x0
	v_cndmask_b32_e64 v1, 0, 1.0, s6
	s_delay_alu instid0(VALU_DEP_1)
	v_cvt_f16_f32_e32 v1, v1
	global_store_b16 v[4:5], v1, off
.LBB78_1733:
	s_mov_b32 s7, 0
.LBB78_1734:
	s_delay_alu instid0(SALU_CYCLE_1)
	s_and_not1_b32 vcc_lo, exec_lo, s7
	s_cbranch_vccnz .LBB78_1750
; %bb.1735:
	s_cmp_lt_i32 s0, 2
	s_mov_b32 s7, -1
	s_cbranch_scc1 .LBB78_1745
; %bb.1736:
	s_cmp_lt_i32 s0, 3
	s_cbranch_scc1 .LBB78_1742
; %bb.1737:
	s_cmp_gt_i32 s0, 3
	s_cbranch_scc0 .LBB78_1739
; %bb.1738:
	s_mov_b32 s7, 0
	s_wait_xcnt 0x0
	v_cndmask_b32_e64 v8, 0, 1, s6
	v_mov_b32_e32 v9, s7
	global_store_b64 v[4:5], v[8:9], off
.LBB78_1739:
	s_and_not1_b32 vcc_lo, exec_lo, s7
	s_cbranch_vccnz .LBB78_1741
; %bb.1740:
	s_wait_xcnt 0x0
	v_cndmask_b32_e64 v1, 0, 1, s6
	global_store_b32 v[4:5], v1, off
.LBB78_1741:
	s_mov_b32 s7, 0
.LBB78_1742:
	s_delay_alu instid0(SALU_CYCLE_1)
	s_and_not1_b32 vcc_lo, exec_lo, s7
	s_cbranch_vccnz .LBB78_1744
; %bb.1743:
	s_wait_xcnt 0x0
	v_cndmask_b32_e64 v1, 0, 1, s6
	global_store_b16 v[4:5], v1, off
.LBB78_1744:
	s_mov_b32 s7, 0
.LBB78_1745:
	s_delay_alu instid0(SALU_CYCLE_1)
	s_and_not1_b32 vcc_lo, exec_lo, s7
	s_cbranch_vccnz .LBB78_1750
; %bb.1746:
	s_wait_xcnt 0x0
	v_cndmask_b32_e64 v1, 0, 1, s6
	s_cmp_gt_i32 s0, 0
	s_mov_b32 s0, -1
	s_cbranch_scc0 .LBB78_1748
; %bb.1747:
	s_mov_b32 s0, 0
	global_store_b8 v[4:5], v1, off
.LBB78_1748:
	s_and_not1_b32 vcc_lo, exec_lo, s0
	s_cbranch_vccnz .LBB78_1750
; %bb.1749:
	global_store_b8 v[4:5], v1, off
.LBB78_1750:
	s_mov_b32 s9, -1
.LBB78_1751:
	s_delay_alu instid0(SALU_CYCLE_1)
	s_and_not1_b32 vcc_lo, exec_lo, s9
	s_cbranch_vccnz .LBB78_1947
; %bb.1752:
	s_wait_xcnt 0x0
	v_add_nc_u32_e32 v4, s2, v6
	v_cmp_ne_u16_e32 vcc_lo, s11, v2
	s_delay_alu instid0(VALU_DEP_2) | instskip(SKIP_2) | instid1(VALU_DEP_1)
	v_ashrrev_i32_e32 v5, 31, v4
	s_xor_b32 s6, s3, vcc_lo
	s_cmp_lt_i32 s14, 11
	v_add_nc_u64_e32 v[2:3], s[4:5], v[4:5]
	s_cbranch_scc1 .LBB78_1830
; %bb.1753:
	s_and_b32 s7, 0xffff, s14
	s_mov_b32 s10, -1
	s_mov_b32 s8, 0
	s_cmp_gt_i32 s7, 25
	s_mov_b32 s9, 0
	s_mov_b32 s0, 0
	s_cbranch_scc0 .LBB78_1786
; %bb.1754:
	s_cmp_gt_i32 s7, 28
	s_cbranch_scc0 .LBB78_1769
; %bb.1755:
	s_cmp_gt_i32 s7, 43
	;; [unrolled: 3-line block ×3, first 2 shown]
	s_cbranch_scc0 .LBB78_1759
; %bb.1757:
	s_mov_b32 s0, -1
	s_mov_b32 s10, 0
	s_cmp_eq_u32 s7, 46
	s_cbranch_scc0 .LBB78_1759
; %bb.1758:
	v_cndmask_b32_e64 v1, 0, 1.0, s6
	s_mov_b32 s0, 0
	s_mov_b32 s9, -1
	s_delay_alu instid0(VALU_DEP_1) | instskip(NEXT) | instid1(VALU_DEP_1)
	v_bfe_u32 v5, v1, 16, 1
	v_add3_u32 v1, v1, v5, 0x7fff
	s_delay_alu instid0(VALU_DEP_1)
	v_lshrrev_b32_e32 v1, 16, v1
	global_store_b32 v[2:3], v1, off
.LBB78_1759:
	s_and_b32 vcc_lo, exec_lo, s10
	s_cbranch_vccz .LBB78_1764
; %bb.1760:
	s_cmp_eq_u32 s7, 44
	s_mov_b32 s0, -1
	s_cbranch_scc0 .LBB78_1764
; %bb.1761:
	v_cndmask_b32_e64 v6, 0, 1.0, s6
	v_mov_b32_e32 v5, 0xff
	s_mov_b32 s9, exec_lo
	s_wait_xcnt 0x0
	s_delay_alu instid0(VALU_DEP_2) | instskip(NEXT) | instid1(VALU_DEP_1)
	v_lshrrev_b32_e32 v1, 23, v6
	v_cmpx_ne_u32_e32 0xff, v1
; %bb.1762:
	v_and_b32_e32 v5, 0x400000, v6
	v_and_or_b32 v6, 0x3fffff, v6, v1
	s_delay_alu instid0(VALU_DEP_2) | instskip(NEXT) | instid1(VALU_DEP_2)
	v_cmp_ne_u32_e32 vcc_lo, 0, v5
	v_cmp_ne_u32_e64 s0, 0, v6
	s_and_b32 s0, vcc_lo, s0
	s_delay_alu instid0(SALU_CYCLE_1) | instskip(NEXT) | instid1(VALU_DEP_1)
	v_cndmask_b32_e64 v5, 0, 1, s0
	v_add_nc_u32_e32 v5, v1, v5
; %bb.1763:
	s_or_b32 exec_lo, exec_lo, s9
	s_mov_b32 s0, 0
	s_mov_b32 s9, -1
	global_store_b8 v[2:3], v5, off
.LBB78_1764:
	s_mov_b32 s10, 0
.LBB78_1765:
	s_delay_alu instid0(SALU_CYCLE_1)
	s_and_b32 vcc_lo, exec_lo, s10
	s_cbranch_vccz .LBB78_1768
; %bb.1766:
	s_cmp_eq_u32 s7, 29
	s_mov_b32 s0, -1
	s_cbranch_scc0 .LBB78_1768
; %bb.1767:
	s_mov_b32 s0, 0
	v_cndmask_b32_e64 v6, 0, 1, s6
	v_mov_b32_e32 v7, s0
	s_mov_b32 s9, -1
	global_store_b64 v[2:3], v[6:7], off
.LBB78_1768:
	s_mov_b32 s10, 0
.LBB78_1769:
	s_delay_alu instid0(SALU_CYCLE_1)
	s_and_b32 vcc_lo, exec_lo, s10
	s_cbranch_vccz .LBB78_1785
; %bb.1770:
	s_cmp_lt_i32 s7, 27
	s_mov_b32 s9, -1
	s_cbranch_scc1 .LBB78_1776
; %bb.1771:
	s_cmp_gt_i32 s7, 27
	s_cbranch_scc0 .LBB78_1773
; %bb.1772:
	s_wait_xcnt 0x0
	v_cndmask_b32_e64 v1, 0, 1, s6
	s_mov_b32 s9, 0
	global_store_b32 v[2:3], v1, off
.LBB78_1773:
	s_and_not1_b32 vcc_lo, exec_lo, s9
	s_cbranch_vccnz .LBB78_1775
; %bb.1774:
	s_wait_xcnt 0x0
	v_cndmask_b32_e64 v1, 0, 1, s6
	global_store_b16 v[2:3], v1, off
.LBB78_1775:
	s_mov_b32 s9, 0
.LBB78_1776:
	s_delay_alu instid0(SALU_CYCLE_1)
	s_and_not1_b32 vcc_lo, exec_lo, s9
	s_cbranch_vccnz .LBB78_1784
; %bb.1777:
	s_wait_xcnt 0x0
	v_cndmask_b32_e64 v5, 0, 1.0, s6
	v_mov_b32_e32 v6, 0x80
	s_mov_b32 s9, exec_lo
	s_delay_alu instid0(VALU_DEP_2)
	v_cmpx_gt_u32_e32 0x43800000, v5
	s_cbranch_execz .LBB78_1783
; %bb.1778:
	s_mov_b32 s10, 0
	s_mov_b32 s15, exec_lo
                                        ; implicit-def: $vgpr1
	v_cmpx_lt_u32_e32 0x3bffffff, v5
	s_xor_b32 s15, exec_lo, s15
	s_cbranch_execz .LBB78_2004
; %bb.1779:
	v_bfe_u32 v1, v5, 20, 1
	s_mov_b32 s10, exec_lo
	s_delay_alu instid0(VALU_DEP_1) | instskip(NEXT) | instid1(VALU_DEP_1)
	v_add3_u32 v1, v5, v1, 0x487ffff
                                        ; implicit-def: $vgpr5
	v_lshrrev_b32_e32 v1, 20, v1
	s_and_not1_saveexec_b32 s15, s15
	s_cbranch_execnz .LBB78_2005
.LBB78_1780:
	s_or_b32 exec_lo, exec_lo, s15
	v_mov_b32_e32 v6, 0
	s_and_saveexec_b32 s15, s10
.LBB78_1781:
	v_mov_b32_e32 v6, v1
.LBB78_1782:
	s_or_b32 exec_lo, exec_lo, s15
.LBB78_1783:
	s_delay_alu instid0(SALU_CYCLE_1)
	s_or_b32 exec_lo, exec_lo, s9
	global_store_b8 v[2:3], v6, off
.LBB78_1784:
	s_mov_b32 s9, -1
.LBB78_1785:
	s_mov_b32 s10, 0
.LBB78_1786:
	s_delay_alu instid0(SALU_CYCLE_1)
	s_and_b32 vcc_lo, exec_lo, s10
	s_cbranch_vccz .LBB78_1826
; %bb.1787:
	s_cmp_gt_i32 s7, 22
	s_mov_b32 s8, -1
	s_cbranch_scc0 .LBB78_1819
; %bb.1788:
	s_cmp_lt_i32 s7, 24
	s_cbranch_scc1 .LBB78_1808
; %bb.1789:
	s_cmp_gt_i32 s7, 24
	s_cbranch_scc0 .LBB78_1797
; %bb.1790:
	s_wait_xcnt 0x0
	v_cndmask_b32_e64 v5, 0, 1.0, s6
	v_mov_b32_e32 v6, 0x80
	s_mov_b32 s8, exec_lo
	s_delay_alu instid0(VALU_DEP_2)
	v_cmpx_gt_u32_e32 0x47800000, v5
	s_cbranch_execz .LBB78_1796
; %bb.1791:
	s_mov_b32 s9, 0
	s_mov_b32 s10, exec_lo
                                        ; implicit-def: $vgpr1
	v_cmpx_lt_u32_e32 0x37ffffff, v5
	s_xor_b32 s10, exec_lo, s10
	s_cbranch_execz .LBB78_2007
; %bb.1792:
	v_bfe_u32 v1, v5, 21, 1
	s_mov_b32 s9, exec_lo
	s_delay_alu instid0(VALU_DEP_1) | instskip(NEXT) | instid1(VALU_DEP_1)
	v_add3_u32 v1, v5, v1, 0x88fffff
                                        ; implicit-def: $vgpr5
	v_lshrrev_b32_e32 v1, 21, v1
	s_and_not1_saveexec_b32 s10, s10
	s_cbranch_execnz .LBB78_2008
.LBB78_1793:
	s_or_b32 exec_lo, exec_lo, s10
	v_mov_b32_e32 v6, 0
	s_and_saveexec_b32 s10, s9
.LBB78_1794:
	v_mov_b32_e32 v6, v1
.LBB78_1795:
	s_or_b32 exec_lo, exec_lo, s10
.LBB78_1796:
	s_delay_alu instid0(SALU_CYCLE_1)
	s_or_b32 exec_lo, exec_lo, s8
	s_mov_b32 s8, 0
	global_store_b8 v[2:3], v6, off
.LBB78_1797:
	s_and_b32 vcc_lo, exec_lo, s8
	s_cbranch_vccz .LBB78_1807
; %bb.1798:
	s_wait_xcnt 0x0
	v_cndmask_b32_e64 v5, 0, 1.0, s6
	s_mov_b32 s8, exec_lo
                                        ; implicit-def: $vgpr1
	s_delay_alu instid0(VALU_DEP_1)
	v_cmpx_gt_u32_e32 0x43f00000, v5
	s_xor_b32 s8, exec_lo, s8
	s_cbranch_execz .LBB78_1804
; %bb.1799:
	s_mov_b32 s9, exec_lo
                                        ; implicit-def: $vgpr1
	v_cmpx_lt_u32_e32 0x3c7fffff, v5
	s_xor_b32 s9, exec_lo, s9
; %bb.1800:
	v_bfe_u32 v1, v5, 20, 1
	s_delay_alu instid0(VALU_DEP_1) | instskip(NEXT) | instid1(VALU_DEP_1)
	v_add3_u32 v1, v5, v1, 0x407ffff
	v_and_b32_e32 v5, 0xff00000, v1
	v_lshrrev_b32_e32 v1, 20, v1
	s_delay_alu instid0(VALU_DEP_2) | instskip(NEXT) | instid1(VALU_DEP_2)
	v_cmp_ne_u32_e32 vcc_lo, 0x7f00000, v5
                                        ; implicit-def: $vgpr5
	v_cndmask_b32_e32 v1, 0x7e, v1, vcc_lo
; %bb.1801:
	s_and_not1_saveexec_b32 s9, s9
; %bb.1802:
	v_add_f32_e32 v1, 0x46800000, v5
; %bb.1803:
	s_or_b32 exec_lo, exec_lo, s9
                                        ; implicit-def: $vgpr5
.LBB78_1804:
	s_and_not1_saveexec_b32 s8, s8
; %bb.1805:
	v_mov_b32_e32 v1, 0x7f
	v_cmp_lt_u32_e32 vcc_lo, 0x7f800000, v5
	s_delay_alu instid0(VALU_DEP_2)
	v_cndmask_b32_e32 v1, 0x7e, v1, vcc_lo
; %bb.1806:
	s_or_b32 exec_lo, exec_lo, s8
	global_store_b8 v[2:3], v1, off
.LBB78_1807:
	s_mov_b32 s8, 0
.LBB78_1808:
	s_delay_alu instid0(SALU_CYCLE_1)
	s_and_not1_b32 vcc_lo, exec_lo, s8
	s_cbranch_vccnz .LBB78_1818
; %bb.1809:
	s_wait_xcnt 0x0
	v_cndmask_b32_e64 v5, 0, 1.0, s6
	s_mov_b32 s8, exec_lo
                                        ; implicit-def: $vgpr1
	s_delay_alu instid0(VALU_DEP_1)
	v_cmpx_gt_u32_e32 0x47800000, v5
	s_xor_b32 s8, exec_lo, s8
	s_cbranch_execz .LBB78_1815
; %bb.1810:
	s_mov_b32 s9, exec_lo
                                        ; implicit-def: $vgpr1
	v_cmpx_lt_u32_e32 0x387fffff, v5
	s_xor_b32 s9, exec_lo, s9
; %bb.1811:
	v_bfe_u32 v1, v5, 21, 1
	s_delay_alu instid0(VALU_DEP_1) | instskip(NEXT) | instid1(VALU_DEP_1)
	v_add3_u32 v1, v5, v1, 0x80fffff
                                        ; implicit-def: $vgpr5
	v_lshrrev_b32_e32 v1, 21, v1
; %bb.1812:
	s_and_not1_saveexec_b32 s9, s9
; %bb.1813:
	v_add_f32_e32 v1, 0x43000000, v5
; %bb.1814:
	s_or_b32 exec_lo, exec_lo, s9
                                        ; implicit-def: $vgpr5
.LBB78_1815:
	s_and_not1_saveexec_b32 s8, s8
; %bb.1816:
	v_mov_b32_e32 v1, 0x7f
	v_cmp_lt_u32_e32 vcc_lo, 0x7f800000, v5
	s_delay_alu instid0(VALU_DEP_2)
	v_cndmask_b32_e32 v1, 0x7c, v1, vcc_lo
; %bb.1817:
	s_or_b32 exec_lo, exec_lo, s8
	global_store_b8 v[2:3], v1, off
.LBB78_1818:
	s_mov_b32 s8, 0
	s_mov_b32 s9, -1
.LBB78_1819:
	s_and_not1_b32 vcc_lo, exec_lo, s8
	s_mov_b32 s8, 0
	s_cbranch_vccnz .LBB78_1826
; %bb.1820:
	s_cmp_gt_i32 s7, 14
	s_mov_b32 s8, -1
	s_cbranch_scc0 .LBB78_1824
; %bb.1821:
	s_cmp_eq_u32 s7, 15
	s_mov_b32 s0, -1
	s_cbranch_scc0 .LBB78_1823
; %bb.1822:
	s_wait_xcnt 0x0
	v_cndmask_b32_e64 v1, 0, 1.0, s6
	s_mov_b32 s0, 0
	s_mov_b32 s9, -1
	s_delay_alu instid0(VALU_DEP_1) | instskip(NEXT) | instid1(VALU_DEP_1)
	v_bfe_u32 v5, v1, 16, 1
	v_add3_u32 v1, v1, v5, 0x7fff
	global_store_d16_hi_b16 v[2:3], v1, off
.LBB78_1823:
	s_mov_b32 s8, 0
.LBB78_1824:
	s_delay_alu instid0(SALU_CYCLE_1)
	s_and_b32 vcc_lo, exec_lo, s8
	s_mov_b32 s8, 0
	s_cbranch_vccz .LBB78_1826
; %bb.1825:
	s_cmp_lg_u32 s7, 11
	s_mov_b32 s8, -1
	s_cselect_b32 s0, -1, 0
.LBB78_1826:
	s_delay_alu instid0(SALU_CYCLE_1)
	s_and_b32 vcc_lo, exec_lo, s0
	s_cbranch_vccnz .LBB78_2006
; %bb.1827:
	s_and_not1_b32 vcc_lo, exec_lo, s8
	s_cbranch_vccnz .LBB78_1829
.LBB78_1828:
	s_wait_xcnt 0x0
	v_cndmask_b32_e64 v1, 0, 1, s6
	s_mov_b32 s9, -1
	global_store_b8 v[2:3], v1, off
.LBB78_1829:
	s_mov_b32 s0, 0
	s_branch .LBB78_1831
.LBB78_1830:
	s_mov_b32 s0, -1
	s_mov_b32 s9, 0
.LBB78_1831:
	s_and_b32 vcc_lo, exec_lo, s0
	s_cbranch_vccz .LBB78_1870
; %bb.1832:
	s_and_b32 s0, 0xffff, s14
	s_mov_b32 s7, -1
	s_cmp_lt_i32 s0, 5
	s_cbranch_scc1 .LBB78_1853
; %bb.1833:
	s_cmp_lt_i32 s0, 8
	s_cbranch_scc1 .LBB78_1843
; %bb.1834:
	;; [unrolled: 3-line block ×3, first 2 shown]
	s_cmp_gt_i32 s0, 9
	s_cbranch_scc0 .LBB78_1837
; %bb.1836:
	s_wait_xcnt 0x0
	v_cndmask_b32_e64 v1, 0, 1, s6
	v_mov_b32_e32 v8, 0
	s_mov_b32 s7, 0
	s_delay_alu instid0(VALU_DEP_2) | instskip(NEXT) | instid1(VALU_DEP_2)
	v_cvt_f64_u32_e32 v[6:7], v1
	v_mov_b32_e32 v9, v8
	global_store_b128 v[2:3], v[6:9], off
.LBB78_1837:
	s_and_not1_b32 vcc_lo, exec_lo, s7
	s_cbranch_vccnz .LBB78_1839
; %bb.1838:
	s_wait_xcnt 0x0
	v_cndmask_b32_e64 v6, 0, 1.0, s6
	v_mov_b32_e32 v7, 0
	global_store_b64 v[2:3], v[6:7], off
.LBB78_1839:
	s_mov_b32 s7, 0
.LBB78_1840:
	s_delay_alu instid0(SALU_CYCLE_1)
	s_and_not1_b32 vcc_lo, exec_lo, s7
	s_cbranch_vccnz .LBB78_1842
; %bb.1841:
	s_wait_xcnt 0x0
	v_cndmask_b32_e64 v1, 0, 1.0, s6
	s_delay_alu instid0(VALU_DEP_1) | instskip(NEXT) | instid1(VALU_DEP_1)
	v_cvt_f16_f32_e32 v1, v1
	v_and_b32_e32 v1, 0xffff, v1
	global_store_b32 v[2:3], v1, off
.LBB78_1842:
	s_mov_b32 s7, 0
.LBB78_1843:
	s_delay_alu instid0(SALU_CYCLE_1)
	s_and_not1_b32 vcc_lo, exec_lo, s7
	s_cbranch_vccnz .LBB78_1852
; %bb.1844:
	s_cmp_lt_i32 s0, 6
	s_mov_b32 s7, -1
	s_cbranch_scc1 .LBB78_1850
; %bb.1845:
	s_cmp_gt_i32 s0, 6
	s_cbranch_scc0 .LBB78_1847
; %bb.1846:
	s_wait_xcnt 0x0
	v_cndmask_b32_e64 v1, 0, 1, s6
	s_mov_b32 s7, 0
	s_delay_alu instid0(VALU_DEP_1)
	v_cvt_f64_u32_e32 v[6:7], v1
	global_store_b64 v[2:3], v[6:7], off
.LBB78_1847:
	s_and_not1_b32 vcc_lo, exec_lo, s7
	s_cbranch_vccnz .LBB78_1849
; %bb.1848:
	s_wait_xcnt 0x0
	v_cndmask_b32_e64 v1, 0, 1.0, s6
	global_store_b32 v[2:3], v1, off
.LBB78_1849:
	s_mov_b32 s7, 0
.LBB78_1850:
	s_delay_alu instid0(SALU_CYCLE_1)
	s_and_not1_b32 vcc_lo, exec_lo, s7
	s_cbranch_vccnz .LBB78_1852
; %bb.1851:
	s_wait_xcnt 0x0
	v_cndmask_b32_e64 v1, 0, 1.0, s6
	s_delay_alu instid0(VALU_DEP_1)
	v_cvt_f16_f32_e32 v1, v1
	global_store_b16 v[2:3], v1, off
.LBB78_1852:
	s_mov_b32 s7, 0
.LBB78_1853:
	s_delay_alu instid0(SALU_CYCLE_1)
	s_and_not1_b32 vcc_lo, exec_lo, s7
	s_cbranch_vccnz .LBB78_1869
; %bb.1854:
	s_cmp_lt_i32 s0, 2
	s_mov_b32 s7, -1
	s_cbranch_scc1 .LBB78_1864
; %bb.1855:
	s_cmp_lt_i32 s0, 3
	s_cbranch_scc1 .LBB78_1861
; %bb.1856:
	s_cmp_gt_i32 s0, 3
	s_cbranch_scc0 .LBB78_1858
; %bb.1857:
	s_mov_b32 s7, 0
	s_wait_xcnt 0x0
	v_cndmask_b32_e64 v6, 0, 1, s6
	v_mov_b32_e32 v7, s7
	global_store_b64 v[2:3], v[6:7], off
.LBB78_1858:
	s_and_not1_b32 vcc_lo, exec_lo, s7
	s_cbranch_vccnz .LBB78_1860
; %bb.1859:
	s_wait_xcnt 0x0
	v_cndmask_b32_e64 v1, 0, 1, s6
	global_store_b32 v[2:3], v1, off
.LBB78_1860:
	s_mov_b32 s7, 0
.LBB78_1861:
	s_delay_alu instid0(SALU_CYCLE_1)
	s_and_not1_b32 vcc_lo, exec_lo, s7
	s_cbranch_vccnz .LBB78_1863
; %bb.1862:
	s_wait_xcnt 0x0
	v_cndmask_b32_e64 v1, 0, 1, s6
	global_store_b16 v[2:3], v1, off
.LBB78_1863:
	s_mov_b32 s7, 0
.LBB78_1864:
	s_delay_alu instid0(SALU_CYCLE_1)
	s_and_not1_b32 vcc_lo, exec_lo, s7
	s_cbranch_vccnz .LBB78_1869
; %bb.1865:
	s_wait_xcnt 0x0
	v_cndmask_b32_e64 v1, 0, 1, s6
	s_cmp_gt_i32 s0, 0
	s_mov_b32 s0, -1
	s_cbranch_scc0 .LBB78_1867
; %bb.1866:
	s_mov_b32 s0, 0
	global_store_b8 v[2:3], v1, off
.LBB78_1867:
	s_and_not1_b32 vcc_lo, exec_lo, s0
	s_cbranch_vccnz .LBB78_1869
; %bb.1868:
	global_store_b8 v[2:3], v1, off
.LBB78_1869:
	s_mov_b32 s9, -1
.LBB78_1870:
	s_delay_alu instid0(SALU_CYCLE_1)
	s_and_not1_b32 vcc_lo, exec_lo, s9
	s_cbranch_vccnz .LBB78_1947
; %bb.1871:
	s_wait_xcnt 0x0
	v_add_nc_u32_e32 v2, s2, v4
	v_cmp_ne_u16_e32 vcc_lo, s11, v0
	s_delay_alu instid0(VALU_DEP_2) | instskip(SKIP_2) | instid1(VALU_DEP_1)
	v_ashrrev_i32_e32 v3, 31, v2
	s_xor_b32 s15, s3, vcc_lo
	s_cmp_lt_i32 s14, 11
	v_add_nc_u64_e32 v[0:1], s[4:5], v[2:3]
	s_cbranch_scc1 .LBB78_1992
; %bb.1872:
	s_and_b32 s2, 0xffff, s14
	s_mov_b32 s4, -1
	s_mov_b32 s3, 0
	s_cmp_gt_i32 s2, 25
	s_mov_b32 s0, 0
	s_cbranch_scc0 .LBB78_1905
; %bb.1873:
	s_cmp_gt_i32 s2, 28
	s_cbranch_scc0 .LBB78_1889
; %bb.1874:
	s_cmp_gt_i32 s2, 43
	;; [unrolled: 3-line block ×3, first 2 shown]
	s_cbranch_scc0 .LBB78_1879
; %bb.1876:
	s_cmp_eq_u32 s2, 46
	s_mov_b32 s0, -1
	s_cbranch_scc0 .LBB78_1878
; %bb.1877:
	v_cndmask_b32_e64 v2, 0, 1.0, s15
	s_mov_b32 s0, 0
	s_delay_alu instid0(VALU_DEP_1) | instskip(NEXT) | instid1(VALU_DEP_1)
	v_bfe_u32 v3, v2, 16, 1
	v_add3_u32 v2, v2, v3, 0x7fff
	s_delay_alu instid0(VALU_DEP_1)
	v_lshrrev_b32_e32 v2, 16, v2
	global_store_b32 v[0:1], v2, off
.LBB78_1878:
	s_mov_b32 s4, 0
.LBB78_1879:
	s_delay_alu instid0(SALU_CYCLE_1)
	s_and_b32 vcc_lo, exec_lo, s4
	s_cbranch_vccz .LBB78_1884
; %bb.1880:
	s_cmp_eq_u32 s2, 44
	s_mov_b32 s0, -1
	s_cbranch_scc0 .LBB78_1884
; %bb.1881:
	v_cndmask_b32_e64 v4, 0, 1.0, s15
	s_mov_b32 s4, exec_lo
	s_wait_xcnt 0x0
	s_delay_alu instid0(VALU_DEP_1) | instskip(NEXT) | instid1(VALU_DEP_1)
	v_dual_mov_b32 v3, 0xff :: v_dual_lshrrev_b32 v2, 23, v4
	v_cmpx_ne_u32_e32 0xff, v2
; %bb.1882:
	v_and_b32_e32 v3, 0x400000, v4
	v_and_or_b32 v4, 0x3fffff, v4, v2
	s_delay_alu instid0(VALU_DEP_2) | instskip(NEXT) | instid1(VALU_DEP_2)
	v_cmp_ne_u32_e32 vcc_lo, 0, v3
	v_cmp_ne_u32_e64 s0, 0, v4
	s_and_b32 s0, vcc_lo, s0
	s_delay_alu instid0(SALU_CYCLE_1) | instskip(NEXT) | instid1(VALU_DEP_1)
	v_cndmask_b32_e64 v3, 0, 1, s0
	v_add_nc_u32_e32 v3, v2, v3
; %bb.1883:
	s_or_b32 exec_lo, exec_lo, s4
	s_mov_b32 s0, 0
	global_store_b8 v[0:1], v3, off
.LBB78_1884:
	s_mov_b32 s4, 0
.LBB78_1885:
	s_delay_alu instid0(SALU_CYCLE_1)
	s_and_b32 vcc_lo, exec_lo, s4
	s_cbranch_vccz .LBB78_1888
; %bb.1886:
	s_cmp_eq_u32 s2, 29
	s_mov_b32 s0, -1
	s_cbranch_scc0 .LBB78_1888
; %bb.1887:
	s_mov_b32 s0, 0
	s_wait_xcnt 0x0
	v_cndmask_b32_e64 v2, 0, 1, s15
	v_mov_b32_e32 v3, s0
	global_store_b64 v[0:1], v[2:3], off
.LBB78_1888:
	s_mov_b32 s4, 0
.LBB78_1889:
	s_delay_alu instid0(SALU_CYCLE_1)
	s_and_b32 vcc_lo, exec_lo, s4
	s_cbranch_vccz .LBB78_1904
; %bb.1890:
	s_cmp_lt_i32 s2, 27
	s_mov_b32 s4, -1
	s_cbranch_scc1 .LBB78_1896
; %bb.1891:
	s_wait_xcnt 0x0
	v_cndmask_b32_e64 v2, 0, 1, s15
	s_cmp_gt_i32 s2, 27
	s_cbranch_scc0 .LBB78_1893
; %bb.1892:
	s_mov_b32 s4, 0
	global_store_b32 v[0:1], v2, off
.LBB78_1893:
	s_and_not1_b32 vcc_lo, exec_lo, s4
	s_cbranch_vccnz .LBB78_1895
; %bb.1894:
	global_store_b16 v[0:1], v2, off
.LBB78_1895:
	s_mov_b32 s4, 0
.LBB78_1896:
	s_delay_alu instid0(SALU_CYCLE_1)
	s_and_not1_b32 vcc_lo, exec_lo, s4
	s_cbranch_vccnz .LBB78_1904
; %bb.1897:
	s_wait_xcnt 0x0
	v_cndmask_b32_e64 v3, 0, 1.0, s15
	v_mov_b32_e32 v4, 0x80
	s_mov_b32 s4, exec_lo
	s_delay_alu instid0(VALU_DEP_2)
	v_cmpx_gt_u32_e32 0x43800000, v3
	s_cbranch_execz .LBB78_1903
; %bb.1898:
	s_mov_b32 s5, 0
	s_mov_b32 s6, exec_lo
                                        ; implicit-def: $vgpr2
	v_cmpx_lt_u32_e32 0x3bffffff, v3
	s_xor_b32 s6, exec_lo, s6
	s_cbranch_execz .LBB78_2009
; %bb.1899:
	v_bfe_u32 v2, v3, 20, 1
	s_mov_b32 s5, exec_lo
	s_delay_alu instid0(VALU_DEP_1) | instskip(NEXT) | instid1(VALU_DEP_1)
	v_add3_u32 v2, v3, v2, 0x487ffff
                                        ; implicit-def: $vgpr3
	v_lshrrev_b32_e32 v2, 20, v2
	s_and_not1_saveexec_b32 s6, s6
	s_cbranch_execnz .LBB78_2010
.LBB78_1900:
	s_or_b32 exec_lo, exec_lo, s6
	v_mov_b32_e32 v4, 0
	s_and_saveexec_b32 s6, s5
.LBB78_1901:
	v_mov_b32_e32 v4, v2
.LBB78_1902:
	s_or_b32 exec_lo, exec_lo, s6
.LBB78_1903:
	s_delay_alu instid0(SALU_CYCLE_1)
	s_or_b32 exec_lo, exec_lo, s4
	global_store_b8 v[0:1], v4, off
.LBB78_1904:
	s_mov_b32 s4, 0
.LBB78_1905:
	s_delay_alu instid0(SALU_CYCLE_1)
	s_and_b32 vcc_lo, exec_lo, s4
	s_cbranch_vccz .LBB78_1945
; %bb.1906:
	s_cmp_gt_i32 s2, 22
	s_mov_b32 s3, -1
	s_cbranch_scc0 .LBB78_1938
; %bb.1907:
	s_cmp_lt_i32 s2, 24
	s_cbranch_scc1 .LBB78_1927
; %bb.1908:
	s_cmp_gt_i32 s2, 24
	s_cbranch_scc0 .LBB78_1916
; %bb.1909:
	s_wait_xcnt 0x0
	v_cndmask_b32_e64 v3, 0, 1.0, s15
	v_mov_b32_e32 v4, 0x80
	s_mov_b32 s3, exec_lo
	s_delay_alu instid0(VALU_DEP_2)
	v_cmpx_gt_u32_e32 0x47800000, v3
	s_cbranch_execz .LBB78_1915
; %bb.1910:
	s_mov_b32 s4, 0
	s_mov_b32 s5, exec_lo
                                        ; implicit-def: $vgpr2
	v_cmpx_lt_u32_e32 0x37ffffff, v3
	s_xor_b32 s5, exec_lo, s5
	s_cbranch_execz .LBB78_2012
; %bb.1911:
	v_bfe_u32 v2, v3, 21, 1
	s_mov_b32 s4, exec_lo
	s_delay_alu instid0(VALU_DEP_1) | instskip(NEXT) | instid1(VALU_DEP_1)
	v_add3_u32 v2, v3, v2, 0x88fffff
                                        ; implicit-def: $vgpr3
	v_lshrrev_b32_e32 v2, 21, v2
	s_and_not1_saveexec_b32 s5, s5
	s_cbranch_execnz .LBB78_2013
.LBB78_1912:
	s_or_b32 exec_lo, exec_lo, s5
	v_mov_b32_e32 v4, 0
	s_and_saveexec_b32 s5, s4
.LBB78_1913:
	v_mov_b32_e32 v4, v2
.LBB78_1914:
	s_or_b32 exec_lo, exec_lo, s5
.LBB78_1915:
	s_delay_alu instid0(SALU_CYCLE_1)
	s_or_b32 exec_lo, exec_lo, s3
	s_mov_b32 s3, 0
	global_store_b8 v[0:1], v4, off
.LBB78_1916:
	s_and_b32 vcc_lo, exec_lo, s3
	s_cbranch_vccz .LBB78_1926
; %bb.1917:
	s_wait_xcnt 0x0
	v_cndmask_b32_e64 v3, 0, 1.0, s15
	s_mov_b32 s3, exec_lo
                                        ; implicit-def: $vgpr2
	s_delay_alu instid0(VALU_DEP_1)
	v_cmpx_gt_u32_e32 0x43f00000, v3
	s_xor_b32 s3, exec_lo, s3
	s_cbranch_execz .LBB78_1923
; %bb.1918:
	s_mov_b32 s4, exec_lo
                                        ; implicit-def: $vgpr2
	v_cmpx_lt_u32_e32 0x3c7fffff, v3
	s_xor_b32 s4, exec_lo, s4
; %bb.1919:
	v_bfe_u32 v2, v3, 20, 1
	s_delay_alu instid0(VALU_DEP_1) | instskip(NEXT) | instid1(VALU_DEP_1)
	v_add3_u32 v2, v3, v2, 0x407ffff
	v_and_b32_e32 v3, 0xff00000, v2
	v_lshrrev_b32_e32 v2, 20, v2
	s_delay_alu instid0(VALU_DEP_2) | instskip(NEXT) | instid1(VALU_DEP_2)
	v_cmp_ne_u32_e32 vcc_lo, 0x7f00000, v3
                                        ; implicit-def: $vgpr3
	v_cndmask_b32_e32 v2, 0x7e, v2, vcc_lo
; %bb.1920:
	s_and_not1_saveexec_b32 s4, s4
; %bb.1921:
	v_add_f32_e32 v2, 0x46800000, v3
; %bb.1922:
	s_or_b32 exec_lo, exec_lo, s4
                                        ; implicit-def: $vgpr3
.LBB78_1923:
	s_and_not1_saveexec_b32 s3, s3
; %bb.1924:
	v_mov_b32_e32 v2, 0x7f
	v_cmp_lt_u32_e32 vcc_lo, 0x7f800000, v3
	s_delay_alu instid0(VALU_DEP_2)
	v_cndmask_b32_e32 v2, 0x7e, v2, vcc_lo
; %bb.1925:
	s_or_b32 exec_lo, exec_lo, s3
	global_store_b8 v[0:1], v2, off
.LBB78_1926:
	s_mov_b32 s3, 0
.LBB78_1927:
	s_delay_alu instid0(SALU_CYCLE_1)
	s_and_not1_b32 vcc_lo, exec_lo, s3
	s_cbranch_vccnz .LBB78_1937
; %bb.1928:
	s_wait_xcnt 0x0
	v_cndmask_b32_e64 v3, 0, 1.0, s15
	s_mov_b32 s3, exec_lo
                                        ; implicit-def: $vgpr2
	s_delay_alu instid0(VALU_DEP_1)
	v_cmpx_gt_u32_e32 0x47800000, v3
	s_xor_b32 s3, exec_lo, s3
	s_cbranch_execz .LBB78_1934
; %bb.1929:
	s_mov_b32 s4, exec_lo
                                        ; implicit-def: $vgpr2
	v_cmpx_lt_u32_e32 0x387fffff, v3
	s_xor_b32 s4, exec_lo, s4
; %bb.1930:
	v_bfe_u32 v2, v3, 21, 1
	s_delay_alu instid0(VALU_DEP_1) | instskip(NEXT) | instid1(VALU_DEP_1)
	v_add3_u32 v2, v3, v2, 0x80fffff
                                        ; implicit-def: $vgpr3
	v_lshrrev_b32_e32 v2, 21, v2
; %bb.1931:
	s_and_not1_saveexec_b32 s4, s4
; %bb.1932:
	v_add_f32_e32 v2, 0x43000000, v3
; %bb.1933:
	s_or_b32 exec_lo, exec_lo, s4
                                        ; implicit-def: $vgpr3
.LBB78_1934:
	s_and_not1_saveexec_b32 s3, s3
; %bb.1935:
	v_mov_b32_e32 v2, 0x7f
	v_cmp_lt_u32_e32 vcc_lo, 0x7f800000, v3
	s_delay_alu instid0(VALU_DEP_2)
	v_cndmask_b32_e32 v2, 0x7c, v2, vcc_lo
; %bb.1936:
	s_or_b32 exec_lo, exec_lo, s3
	global_store_b8 v[0:1], v2, off
.LBB78_1937:
	s_mov_b32 s3, 0
.LBB78_1938:
	s_delay_alu instid0(SALU_CYCLE_1)
	s_and_not1_b32 vcc_lo, exec_lo, s3
	s_mov_b32 s3, 0
	s_cbranch_vccnz .LBB78_1945
; %bb.1939:
	s_cmp_gt_i32 s2, 14
	s_mov_b32 s3, -1
	s_cbranch_scc0 .LBB78_1943
; %bb.1940:
	s_cmp_eq_u32 s2, 15
	s_mov_b32 s0, -1
	s_cbranch_scc0 .LBB78_1942
; %bb.1941:
	s_wait_xcnt 0x0
	v_cndmask_b32_e64 v2, 0, 1.0, s15
	s_mov_b32 s0, 0
	s_delay_alu instid0(VALU_DEP_1) | instskip(NEXT) | instid1(VALU_DEP_1)
	v_bfe_u32 v3, v2, 16, 1
	v_add3_u32 v2, v2, v3, 0x7fff
	global_store_d16_hi_b16 v[0:1], v2, off
.LBB78_1942:
	s_mov_b32 s3, 0
.LBB78_1943:
	s_delay_alu instid0(SALU_CYCLE_1)
	s_and_b32 vcc_lo, exec_lo, s3
	s_mov_b32 s3, 0
	s_cbranch_vccz .LBB78_1945
; %bb.1944:
	s_cmp_lg_u32 s2, 11
	s_mov_b32 s3, -1
	s_cselect_b32 s0, -1, 0
.LBB78_1945:
	s_delay_alu instid0(SALU_CYCLE_1)
	s_and_b32 vcc_lo, exec_lo, s0
	s_cbranch_vccnz .LBB78_2011
.LBB78_1946:
	s_mov_b32 s0, 0
	s_branch .LBB78_1948
.LBB78_1947:
	s_mov_b32 s0, 0
	s_mov_b32 s3, 0
                                        ; implicit-def: $sgpr15
                                        ; implicit-def: $sgpr14
                                        ; implicit-def: $vgpr0_vgpr1
.LBB78_1948:
	s_and_not1_b32 s2, s13, exec_lo
	s_and_b32 s4, s1, exec_lo
	s_and_b32 s0, s0, exec_lo
	s_and_b32 s1, s3, exec_lo
	s_or_b32 s13, s2, s4
.LBB78_1949:
	s_wait_xcnt 0x0
	s_or_b32 exec_lo, exec_lo, s12
	s_and_saveexec_b32 s2, s13
	s_cbranch_execz .LBB78_1952
; %bb.1950:
	; divergent unreachable
	s_or_b32 exec_lo, exec_lo, s2
	s_and_saveexec_b32 s2, s1
	s_delay_alu instid0(SALU_CYCLE_1)
	s_xor_b32 s1, exec_lo, s2
	s_cbranch_execnz .LBB78_1953
.LBB78_1951:
	s_or_b32 exec_lo, exec_lo, s1
	s_and_saveexec_b32 s1, s0
	s_cbranch_execnz .LBB78_1954
	s_branch .LBB78_1991
.LBB78_1952:
	s_or_b32 exec_lo, exec_lo, s2
	s_and_saveexec_b32 s2, s1
	s_delay_alu instid0(SALU_CYCLE_1)
	s_xor_b32 s1, exec_lo, s2
	s_cbranch_execz .LBB78_1951
.LBB78_1953:
	s_wait_loadcnt 0x0
	v_cndmask_b32_e64 v2, 0, 1, s15
	global_store_b8 v[0:1], v2, off
	s_wait_xcnt 0x0
	s_or_b32 exec_lo, exec_lo, s1
	s_and_saveexec_b32 s1, s0
	s_cbranch_execz .LBB78_1991
.LBB78_1954:
	s_sext_i32_i16 s1, s14
	s_mov_b32 s0, -1
	s_cmp_lt_i32 s1, 5
	s_cbranch_scc1 .LBB78_1975
; %bb.1955:
	s_cmp_lt_i32 s1, 8
	s_cbranch_scc1 .LBB78_1965
; %bb.1956:
	;; [unrolled: 3-line block ×3, first 2 shown]
	s_cmp_gt_i32 s1, 9
	s_cbranch_scc0 .LBB78_1959
; %bb.1958:
	s_wait_loadcnt 0x0
	v_cndmask_b32_e64 v2, 0, 1, s15
	v_mov_b32_e32 v4, 0
	s_mov_b32 s0, 0
	s_delay_alu instid0(VALU_DEP_2) | instskip(NEXT) | instid1(VALU_DEP_2)
	v_cvt_f64_u32_e32 v[2:3], v2
	v_mov_b32_e32 v5, v4
	global_store_b128 v[0:1], v[2:5], off
.LBB78_1959:
	s_and_not1_b32 vcc_lo, exec_lo, s0
	s_cbranch_vccnz .LBB78_1961
; %bb.1960:
	s_wait_loadcnt 0x0
	v_cndmask_b32_e64 v2, 0, 1.0, s15
	v_mov_b32_e32 v3, 0
	global_store_b64 v[0:1], v[2:3], off
.LBB78_1961:
	s_mov_b32 s0, 0
.LBB78_1962:
	s_delay_alu instid0(SALU_CYCLE_1)
	s_and_not1_b32 vcc_lo, exec_lo, s0
	s_cbranch_vccnz .LBB78_1964
; %bb.1963:
	s_wait_loadcnt 0x0
	v_cndmask_b32_e64 v2, 0, 1.0, s15
	s_delay_alu instid0(VALU_DEP_1) | instskip(NEXT) | instid1(VALU_DEP_1)
	v_cvt_f16_f32_e32 v2, v2
	v_and_b32_e32 v2, 0xffff, v2
	global_store_b32 v[0:1], v2, off
.LBB78_1964:
	s_mov_b32 s0, 0
.LBB78_1965:
	s_delay_alu instid0(SALU_CYCLE_1)
	s_and_not1_b32 vcc_lo, exec_lo, s0
	s_cbranch_vccnz .LBB78_1974
; %bb.1966:
	s_sext_i32_i16 s1, s14
	s_mov_b32 s0, -1
	s_cmp_lt_i32 s1, 6
	s_cbranch_scc1 .LBB78_1972
; %bb.1967:
	s_cmp_gt_i32 s1, 6
	s_cbranch_scc0 .LBB78_1969
; %bb.1968:
	s_wait_loadcnt 0x0
	v_cndmask_b32_e64 v2, 0, 1, s15
	s_mov_b32 s0, 0
	s_delay_alu instid0(VALU_DEP_1)
	v_cvt_f64_u32_e32 v[2:3], v2
	global_store_b64 v[0:1], v[2:3], off
.LBB78_1969:
	s_and_not1_b32 vcc_lo, exec_lo, s0
	s_cbranch_vccnz .LBB78_1971
; %bb.1970:
	s_wait_loadcnt 0x0
	v_cndmask_b32_e64 v2, 0, 1.0, s15
	global_store_b32 v[0:1], v2, off
.LBB78_1971:
	s_mov_b32 s0, 0
.LBB78_1972:
	s_delay_alu instid0(SALU_CYCLE_1)
	s_and_not1_b32 vcc_lo, exec_lo, s0
	s_cbranch_vccnz .LBB78_1974
; %bb.1973:
	s_wait_loadcnt 0x0
	v_cndmask_b32_e64 v2, 0, 1.0, s15
	s_delay_alu instid0(VALU_DEP_1)
	v_cvt_f16_f32_e32 v2, v2
	global_store_b16 v[0:1], v2, off
.LBB78_1974:
	s_mov_b32 s0, 0
.LBB78_1975:
	s_delay_alu instid0(SALU_CYCLE_1)
	s_and_not1_b32 vcc_lo, exec_lo, s0
	s_cbranch_vccnz .LBB78_1991
; %bb.1976:
	s_sext_i32_i16 s1, s14
	s_mov_b32 s0, -1
	s_cmp_lt_i32 s1, 2
	s_cbranch_scc1 .LBB78_1986
; %bb.1977:
	s_cmp_lt_i32 s1, 3
	s_cbranch_scc1 .LBB78_1983
; %bb.1978:
	s_cmp_gt_i32 s1, 3
	s_cbranch_scc0 .LBB78_1980
; %bb.1979:
	s_mov_b32 s0, 0
	s_wait_loadcnt 0x0
	v_cndmask_b32_e64 v2, 0, 1, s15
	v_mov_b32_e32 v3, s0
	global_store_b64 v[0:1], v[2:3], off
.LBB78_1980:
	s_and_not1_b32 vcc_lo, exec_lo, s0
	s_cbranch_vccnz .LBB78_1982
; %bb.1981:
	s_wait_loadcnt 0x0
	v_cndmask_b32_e64 v2, 0, 1, s15
	global_store_b32 v[0:1], v2, off
.LBB78_1982:
	s_mov_b32 s0, 0
.LBB78_1983:
	s_delay_alu instid0(SALU_CYCLE_1)
	s_and_not1_b32 vcc_lo, exec_lo, s0
	s_cbranch_vccnz .LBB78_1985
; %bb.1984:
	s_wait_loadcnt 0x0
	v_cndmask_b32_e64 v2, 0, 1, s15
	global_store_b16 v[0:1], v2, off
.LBB78_1985:
	s_mov_b32 s0, 0
.LBB78_1986:
	s_delay_alu instid0(SALU_CYCLE_1)
	s_and_not1_b32 vcc_lo, exec_lo, s0
	s_cbranch_vccnz .LBB78_1991
; %bb.1987:
	s_wait_loadcnt 0x0
	v_cndmask_b32_e64 v2, 0, 1, s15
	s_sext_i32_i16 s0, s14
	s_delay_alu instid0(SALU_CYCLE_1)
	s_cmp_gt_i32 s0, 0
	s_mov_b32 s0, -1
	s_cbranch_scc0 .LBB78_1989
; %bb.1988:
	s_mov_b32 s0, 0
	global_store_b8 v[0:1], v2, off
.LBB78_1989:
	s_and_not1_b32 vcc_lo, exec_lo, s0
	s_cbranch_vccnz .LBB78_1991
; %bb.1990:
	global_store_b8 v[0:1], v2, off
	s_endpgm
.LBB78_1991:
	s_endpgm
.LBB78_1992:
	s_mov_b32 s3, 0
	s_mov_b32 s0, -1
	s_branch .LBB78_1948
.LBB78_1993:
	s_or_b32 s1, s1, exec_lo
	s_trap 2
	s_cbranch_execz .LBB78_1463
	s_branch .LBB78_1464
.LBB78_1994:
	s_and_not1_saveexec_b32 s15, s15
	s_cbranch_execz .LBB78_1543
.LBB78_1995:
	v_add_f32_e32 v1, 0x46000000, v3
	s_and_not1_b32 s10, s10, exec_lo
	s_delay_alu instid0(VALU_DEP_1) | instskip(NEXT) | instid1(VALU_DEP_1)
	v_and_b32_e32 v1, 0xff, v1
	v_cmp_ne_u32_e32 vcc_lo, 0, v1
	s_and_b32 s16, vcc_lo, exec_lo
	s_delay_alu instid0(SALU_CYCLE_1)
	s_or_b32 s10, s10, s16
	s_or_b32 exec_lo, exec_lo, s15
	v_mov_b32_e32 v5, 0
	s_and_saveexec_b32 s15, s10
	s_cbranch_execnz .LBB78_1544
	s_branch .LBB78_1545
.LBB78_1996:
	s_or_b32 s1, s1, exec_lo
	s_trap 2
	s_cbranch_execz .LBB78_1591
	s_branch .LBB78_1592
.LBB78_1997:
	s_and_not1_saveexec_b32 s10, s10
	s_cbranch_execz .LBB78_1556
.LBB78_1998:
	v_add_f32_e32 v1, 0x42800000, v3
	s_and_not1_b32 s9, s9, exec_lo
	s_delay_alu instid0(VALU_DEP_1) | instskip(NEXT) | instid1(VALU_DEP_1)
	v_and_b32_e32 v1, 0xff, v1
	v_cmp_ne_u32_e32 vcc_lo, 0, v1
	s_and_b32 s15, vcc_lo, exec_lo
	s_delay_alu instid0(SALU_CYCLE_1)
	s_or_b32 s9, s9, s15
	s_or_b32 exec_lo, exec_lo, s10
	v_mov_b32_e32 v5, 0
	s_and_saveexec_b32 s10, s9
	s_cbranch_execnz .LBB78_1557
	s_branch .LBB78_1558
.LBB78_1999:
	s_and_not1_saveexec_b32 s15, s15
	s_cbranch_execz .LBB78_1661
.LBB78_2000:
	v_add_f32_e32 v1, 0x46000000, v3
	s_and_not1_b32 s10, s10, exec_lo
	s_delay_alu instid0(VALU_DEP_1) | instskip(NEXT) | instid1(VALU_DEP_1)
	v_and_b32_e32 v1, 0xff, v1
	v_cmp_ne_u32_e32 vcc_lo, 0, v1
	s_and_b32 s16, vcc_lo, exec_lo
	s_delay_alu instid0(SALU_CYCLE_1)
	s_or_b32 s10, s10, s16
	s_or_b32 exec_lo, exec_lo, s15
	v_mov_b32_e32 v7, 0
	s_and_saveexec_b32 s15, s10
	s_cbranch_execnz .LBB78_1662
	s_branch .LBB78_1663
.LBB78_2001:
	s_or_b32 s1, s1, exec_lo
	s_trap 2
	s_cbranch_execz .LBB78_1709
	s_branch .LBB78_1710
.LBB78_2002:
	s_and_not1_saveexec_b32 s10, s10
	s_cbranch_execz .LBB78_1674
.LBB78_2003:
	v_add_f32_e32 v1, 0x42800000, v3
	s_and_not1_b32 s9, s9, exec_lo
	s_delay_alu instid0(VALU_DEP_1) | instskip(NEXT) | instid1(VALU_DEP_1)
	v_and_b32_e32 v1, 0xff, v1
	v_cmp_ne_u32_e32 vcc_lo, 0, v1
	s_and_b32 s15, vcc_lo, exec_lo
	s_delay_alu instid0(SALU_CYCLE_1)
	s_or_b32 s9, s9, s15
	s_or_b32 exec_lo, exec_lo, s10
	v_mov_b32_e32 v7, 0
	s_and_saveexec_b32 s10, s9
	s_cbranch_execnz .LBB78_1675
	s_branch .LBB78_1676
.LBB78_2004:
	s_and_not1_saveexec_b32 s15, s15
	s_cbranch_execz .LBB78_1780
.LBB78_2005:
	v_add_f32_e32 v1, 0x46000000, v5
	s_and_not1_b32 s10, s10, exec_lo
	s_delay_alu instid0(VALU_DEP_1) | instskip(NEXT) | instid1(VALU_DEP_1)
	v_and_b32_e32 v1, 0xff, v1
	v_cmp_ne_u32_e32 vcc_lo, 0, v1
	s_and_b32 s16, vcc_lo, exec_lo
	s_delay_alu instid0(SALU_CYCLE_1)
	s_or_b32 s10, s10, s16
	s_or_b32 exec_lo, exec_lo, s15
	v_mov_b32_e32 v6, 0
	s_and_saveexec_b32 s15, s10
	s_cbranch_execnz .LBB78_1781
	s_branch .LBB78_1782
.LBB78_2006:
	s_or_b32 s1, s1, exec_lo
	s_trap 2
	s_cbranch_execz .LBB78_1828
	s_branch .LBB78_1829
.LBB78_2007:
	s_and_not1_saveexec_b32 s10, s10
	s_cbranch_execz .LBB78_1793
.LBB78_2008:
	v_add_f32_e32 v1, 0x42800000, v5
	s_and_not1_b32 s9, s9, exec_lo
	s_delay_alu instid0(VALU_DEP_1) | instskip(NEXT) | instid1(VALU_DEP_1)
	v_and_b32_e32 v1, 0xff, v1
	v_cmp_ne_u32_e32 vcc_lo, 0, v1
	s_and_b32 s15, vcc_lo, exec_lo
	s_delay_alu instid0(SALU_CYCLE_1)
	s_or_b32 s9, s9, s15
	s_or_b32 exec_lo, exec_lo, s10
	v_mov_b32_e32 v6, 0
	s_and_saveexec_b32 s10, s9
	s_cbranch_execnz .LBB78_1794
	s_branch .LBB78_1795
.LBB78_2009:
	s_and_not1_saveexec_b32 s6, s6
	s_cbranch_execz .LBB78_1900
.LBB78_2010:
	v_add_f32_e32 v2, 0x46000000, v3
	s_and_not1_b32 s5, s5, exec_lo
	s_delay_alu instid0(VALU_DEP_1) | instskip(NEXT) | instid1(VALU_DEP_1)
	v_and_b32_e32 v2, 0xff, v2
	v_cmp_ne_u32_e32 vcc_lo, 0, v2
	s_and_b32 s7, vcc_lo, exec_lo
	s_delay_alu instid0(SALU_CYCLE_1)
	s_or_b32 s5, s5, s7
	s_or_b32 exec_lo, exec_lo, s6
	v_mov_b32_e32 v4, 0
	s_and_saveexec_b32 s6, s5
	s_cbranch_execnz .LBB78_1901
	s_branch .LBB78_1902
.LBB78_2011:
	s_mov_b32 s3, 0
	s_or_b32 s1, s1, exec_lo
	s_trap 2
	s_branch .LBB78_1946
.LBB78_2012:
	s_and_not1_saveexec_b32 s5, s5
	s_cbranch_execz .LBB78_1912
.LBB78_2013:
	v_add_f32_e32 v2, 0x42800000, v3
	s_and_not1_b32 s4, s4, exec_lo
	s_delay_alu instid0(VALU_DEP_1) | instskip(NEXT) | instid1(VALU_DEP_1)
	v_and_b32_e32 v2, 0xff, v2
	v_cmp_ne_u32_e32 vcc_lo, 0, v2
	s_and_b32 s6, vcc_lo, exec_lo
	s_delay_alu instid0(SALU_CYCLE_1)
	s_or_b32 s4, s4, s6
	s_or_b32 exec_lo, exec_lo, s5
	v_mov_b32_e32 v4, 0
	s_and_saveexec_b32 s5, s4
	s_cbranch_execnz .LBB78_1913
	s_branch .LBB78_1914
	.section	.rodata,"a",@progbits
	.p2align	6, 0x0
	.amdhsa_kernel _ZN2at6native32elementwise_kernel_manual_unrollILi128ELi4EZNS0_15gpu_kernel_implINS0_13AUnaryFunctorIssbNS0_12_GLOBAL__N_116CompareEqFunctorIsEEEEEEvRNS_18TensorIteratorBaseERKT_EUlibE_EEviT1_
		.amdhsa_group_segment_fixed_size 0
		.amdhsa_private_segment_fixed_size 0
		.amdhsa_kernarg_size 48
		.amdhsa_user_sgpr_count 2
		.amdhsa_user_sgpr_dispatch_ptr 0
		.amdhsa_user_sgpr_queue_ptr 0
		.amdhsa_user_sgpr_kernarg_segment_ptr 1
		.amdhsa_user_sgpr_dispatch_id 0
		.amdhsa_user_sgpr_kernarg_preload_length 0
		.amdhsa_user_sgpr_kernarg_preload_offset 0
		.amdhsa_user_sgpr_private_segment_size 0
		.amdhsa_wavefront_size32 1
		.amdhsa_uses_dynamic_stack 0
		.amdhsa_enable_private_segment 0
		.amdhsa_system_sgpr_workgroup_id_x 1
		.amdhsa_system_sgpr_workgroup_id_y 0
		.amdhsa_system_sgpr_workgroup_id_z 0
		.amdhsa_system_sgpr_workgroup_info 0
		.amdhsa_system_vgpr_workitem_id 0
		.amdhsa_next_free_vgpr 14
		.amdhsa_next_free_sgpr 30
		.amdhsa_named_barrier_count 0
		.amdhsa_reserve_vcc 1
		.amdhsa_float_round_mode_32 0
		.amdhsa_float_round_mode_16_64 0
		.amdhsa_float_denorm_mode_32 3
		.amdhsa_float_denorm_mode_16_64 3
		.amdhsa_fp16_overflow 0
		.amdhsa_memory_ordered 1
		.amdhsa_forward_progress 1
		.amdhsa_inst_pref_size 255
		.amdhsa_round_robin_scheduling 0
		.amdhsa_exception_fp_ieee_invalid_op 0
		.amdhsa_exception_fp_denorm_src 0
		.amdhsa_exception_fp_ieee_div_zero 0
		.amdhsa_exception_fp_ieee_overflow 0
		.amdhsa_exception_fp_ieee_underflow 0
		.amdhsa_exception_fp_ieee_inexact 0
		.amdhsa_exception_int_div_zero 0
	.end_amdhsa_kernel
	.section	.text._ZN2at6native32elementwise_kernel_manual_unrollILi128ELi4EZNS0_15gpu_kernel_implINS0_13AUnaryFunctorIssbNS0_12_GLOBAL__N_116CompareEqFunctorIsEEEEEEvRNS_18TensorIteratorBaseERKT_EUlibE_EEviT1_,"axG",@progbits,_ZN2at6native32elementwise_kernel_manual_unrollILi128ELi4EZNS0_15gpu_kernel_implINS0_13AUnaryFunctorIssbNS0_12_GLOBAL__N_116CompareEqFunctorIsEEEEEEvRNS_18TensorIteratorBaseERKT_EUlibE_EEviT1_,comdat
.Lfunc_end78:
	.size	_ZN2at6native32elementwise_kernel_manual_unrollILi128ELi4EZNS0_15gpu_kernel_implINS0_13AUnaryFunctorIssbNS0_12_GLOBAL__N_116CompareEqFunctorIsEEEEEEvRNS_18TensorIteratorBaseERKT_EUlibE_EEviT1_, .Lfunc_end78-_ZN2at6native32elementwise_kernel_manual_unrollILi128ELi4EZNS0_15gpu_kernel_implINS0_13AUnaryFunctorIssbNS0_12_GLOBAL__N_116CompareEqFunctorIsEEEEEEvRNS_18TensorIteratorBaseERKT_EUlibE_EEviT1_
                                        ; -- End function
	.set _ZN2at6native32elementwise_kernel_manual_unrollILi128ELi4EZNS0_15gpu_kernel_implINS0_13AUnaryFunctorIssbNS0_12_GLOBAL__N_116CompareEqFunctorIsEEEEEEvRNS_18TensorIteratorBaseERKT_EUlibE_EEviT1_.num_vgpr, 14
	.set _ZN2at6native32elementwise_kernel_manual_unrollILi128ELi4EZNS0_15gpu_kernel_implINS0_13AUnaryFunctorIssbNS0_12_GLOBAL__N_116CompareEqFunctorIsEEEEEEvRNS_18TensorIteratorBaseERKT_EUlibE_EEviT1_.num_agpr, 0
	.set _ZN2at6native32elementwise_kernel_manual_unrollILi128ELi4EZNS0_15gpu_kernel_implINS0_13AUnaryFunctorIssbNS0_12_GLOBAL__N_116CompareEqFunctorIsEEEEEEvRNS_18TensorIteratorBaseERKT_EUlibE_EEviT1_.numbered_sgpr, 30
	.set _ZN2at6native32elementwise_kernel_manual_unrollILi128ELi4EZNS0_15gpu_kernel_implINS0_13AUnaryFunctorIssbNS0_12_GLOBAL__N_116CompareEqFunctorIsEEEEEEvRNS_18TensorIteratorBaseERKT_EUlibE_EEviT1_.num_named_barrier, 0
	.set _ZN2at6native32elementwise_kernel_manual_unrollILi128ELi4EZNS0_15gpu_kernel_implINS0_13AUnaryFunctorIssbNS0_12_GLOBAL__N_116CompareEqFunctorIsEEEEEEvRNS_18TensorIteratorBaseERKT_EUlibE_EEviT1_.private_seg_size, 0
	.set _ZN2at6native32elementwise_kernel_manual_unrollILi128ELi4EZNS0_15gpu_kernel_implINS0_13AUnaryFunctorIssbNS0_12_GLOBAL__N_116CompareEqFunctorIsEEEEEEvRNS_18TensorIteratorBaseERKT_EUlibE_EEviT1_.uses_vcc, 1
	.set _ZN2at6native32elementwise_kernel_manual_unrollILi128ELi4EZNS0_15gpu_kernel_implINS0_13AUnaryFunctorIssbNS0_12_GLOBAL__N_116CompareEqFunctorIsEEEEEEvRNS_18TensorIteratorBaseERKT_EUlibE_EEviT1_.uses_flat_scratch, 0
	.set _ZN2at6native32elementwise_kernel_manual_unrollILi128ELi4EZNS0_15gpu_kernel_implINS0_13AUnaryFunctorIssbNS0_12_GLOBAL__N_116CompareEqFunctorIsEEEEEEvRNS_18TensorIteratorBaseERKT_EUlibE_EEviT1_.has_dyn_sized_stack, 0
	.set _ZN2at6native32elementwise_kernel_manual_unrollILi128ELi4EZNS0_15gpu_kernel_implINS0_13AUnaryFunctorIssbNS0_12_GLOBAL__N_116CompareEqFunctorIsEEEEEEvRNS_18TensorIteratorBaseERKT_EUlibE_EEviT1_.has_recursion, 0
	.set _ZN2at6native32elementwise_kernel_manual_unrollILi128ELi4EZNS0_15gpu_kernel_implINS0_13AUnaryFunctorIssbNS0_12_GLOBAL__N_116CompareEqFunctorIsEEEEEEvRNS_18TensorIteratorBaseERKT_EUlibE_EEviT1_.has_indirect_call, 0
	.section	.AMDGPU.csdata,"",@progbits
; Kernel info:
; codeLenInByte = 34184
; TotalNumSgprs: 32
; NumVgprs: 14
; ScratchSize: 0
; MemoryBound: 1
; FloatMode: 240
; IeeeMode: 1
; LDSByteSize: 0 bytes/workgroup (compile time only)
; SGPRBlocks: 0
; VGPRBlocks: 0
; NumSGPRsForWavesPerEU: 32
; NumVGPRsForWavesPerEU: 14
; NamedBarCnt: 0
; Occupancy: 16
; WaveLimiterHint : 0
; COMPUTE_PGM_RSRC2:SCRATCH_EN: 0
; COMPUTE_PGM_RSRC2:USER_SGPR: 2
; COMPUTE_PGM_RSRC2:TRAP_HANDLER: 0
; COMPUTE_PGM_RSRC2:TGID_X_EN: 1
; COMPUTE_PGM_RSRC2:TGID_Y_EN: 0
; COMPUTE_PGM_RSRC2:TGID_Z_EN: 0
; COMPUTE_PGM_RSRC2:TIDIG_COMP_CNT: 0
	.section	.text._ZN2at6native32elementwise_kernel_manual_unrollILi128ELi4EZNS0_15gpu_kernel_implINS0_13AUnaryFunctorIssbNS0_12_GLOBAL__N_116CompareEqFunctorIsEEEEEEvRNS_18TensorIteratorBaseERKT_EUlibE0_EEviT1_,"axG",@progbits,_ZN2at6native32elementwise_kernel_manual_unrollILi128ELi4EZNS0_15gpu_kernel_implINS0_13AUnaryFunctorIssbNS0_12_GLOBAL__N_116CompareEqFunctorIsEEEEEEvRNS_18TensorIteratorBaseERKT_EUlibE0_EEviT1_,comdat
	.globl	_ZN2at6native32elementwise_kernel_manual_unrollILi128ELi4EZNS0_15gpu_kernel_implINS0_13AUnaryFunctorIssbNS0_12_GLOBAL__N_116CompareEqFunctorIsEEEEEEvRNS_18TensorIteratorBaseERKT_EUlibE0_EEviT1_ ; -- Begin function _ZN2at6native32elementwise_kernel_manual_unrollILi128ELi4EZNS0_15gpu_kernel_implINS0_13AUnaryFunctorIssbNS0_12_GLOBAL__N_116CompareEqFunctorIsEEEEEEvRNS_18TensorIteratorBaseERKT_EUlibE0_EEviT1_
	.p2align	8
	.type	_ZN2at6native32elementwise_kernel_manual_unrollILi128ELi4EZNS0_15gpu_kernel_implINS0_13AUnaryFunctorIssbNS0_12_GLOBAL__N_116CompareEqFunctorIsEEEEEEvRNS_18TensorIteratorBaseERKT_EUlibE0_EEviT1_,@function
_ZN2at6native32elementwise_kernel_manual_unrollILi128ELi4EZNS0_15gpu_kernel_implINS0_13AUnaryFunctorIssbNS0_12_GLOBAL__N_116CompareEqFunctorIsEEEEEEvRNS_18TensorIteratorBaseERKT_EUlibE0_EEviT1_: ; @_ZN2at6native32elementwise_kernel_manual_unrollILi128ELi4EZNS0_15gpu_kernel_implINS0_13AUnaryFunctorIssbNS0_12_GLOBAL__N_116CompareEqFunctorIsEEEEEEvRNS_18TensorIteratorBaseERKT_EUlibE0_EEviT1_
; %bb.0:
	s_clause 0x1
	s_load_b32 s33, s[0:1], 0x8
	s_load_b32 s39, s[0:1], 0x0
	s_bfe_u32 s2, ttmp6, 0x4000c
	s_and_b32 s3, ttmp6, 15
	s_add_co_i32 s2, s2, 1
	s_getreg_b32 s4, hwreg(HW_REG_IB_STS2, 6, 4)
	s_mul_i32 s2, ttmp9, s2
	s_mov_b32 s26, -1
	s_add_co_i32 s3, s3, s2
	s_cmp_eq_u32 s4, 0
	s_add_nc_u64 s[16:17], s[0:1], 8
	s_cselect_b32 s2, ttmp9, s3
	s_mov_b32 s3, 0
	v_lshl_or_b32 v0, s2, 9, v0
	s_mov_b32 s8, 0
	s_wait_xcnt 0x0
	s_mov_b32 s0, exec_lo
	s_delay_alu instid0(VALU_DEP_1) | instskip(SKIP_2) | instid1(SALU_CYCLE_1)
	v_or_b32_e32 v9, 0x180, v0
	s_wait_kmcnt 0x0
	s_add_co_i32 s34, s33, -1
	s_cmp_gt_u32 s34, 1
	s_cselect_b32 s35, -1, 0
	v_cmpx_le_i32_e64 s39, v9
	s_xor_b32 s36, exec_lo, s0
	s_cbranch_execz .LBB79_1080
; %bb.1:
	s_clause 0x4
	s_load_b128 s[8:11], s[16:17], 0x4
	s_load_b96 s[0:2], s[16:17], 0x158
	s_load_b64 s[20:21], s[16:17], 0x14
	s_load_b128 s[12:15], s[16:17], 0xc4
	s_load_b128 s[4:7], s[16:17], 0x148
	s_cmp_lg_u32 s33, 0
	s_mov_b32 s19, 0
	s_cselect_b32 s41, -1, 0
	s_min_u32 s40, s34, 15
	s_cmp_gt_u32 s33, 1
	s_add_nc_u64 s[24:25], s[16:17], 0xc4
	s_cselect_b32 s38, -1, 0
	s_mov_b32 s23, s19
	s_mov_b32 s42, s19
	s_mov_b32 s43, exec_lo
	s_wait_kmcnt 0x0
	s_mov_b32 s18, s9
	s_bfe_u32 s37, s2, 0x80008
	s_cmp_eq_u32 s0, 0
	s_mov_b32 s22, s20
	s_cselect_b32 s9, -1, 0
	s_mov_b32 s20, s19
	v_cmpx_gt_i32_e64 s39, v0
	s_cbranch_execz .LBB79_263
; %bb.2:
	s_and_not1_b32 vcc_lo, exec_lo, s35
	s_cbranch_vccnz .LBB79_8
; %bb.3:
	s_and_not1_b32 vcc_lo, exec_lo, s41
	s_cbranch_vccnz .LBB79_9
; %bb.4:
	s_add_co_i32 s0, s40, 1
	s_cmp_eq_u32 s34, 2
	s_cbranch_scc1 .LBB79_10
; %bb.5:
	v_dual_mov_b32 v2, 0 :: v_dual_mov_b32 v4, 0
	v_mov_b32_e32 v1, v0
	s_and_b32 s26, s0, 28
	s_mov_b32 s20, 0
	s_mov_b64 s[28:29], s[16:17]
	s_mov_b64 s[30:31], s[24:25]
.LBB79_6:                               ; =>This Inner Loop Header: Depth=1
	s_clause 0x1
	s_load_b256 s[44:51], s[28:29], 0x4
	s_load_b128 s[60:63], s[28:29], 0x24
	s_load_b256 s[52:59], s[30:31], 0x0
	s_add_co_i32 s20, s20, 4
	s_wait_xcnt 0x0
	s_add_nc_u64 s[28:29], s[28:29], 48
	s_cmp_lg_u32 s26, s20
	s_add_nc_u64 s[30:31], s[30:31], 32
	s_wait_kmcnt 0x0
	v_mul_hi_u32 v3, s45, v1
	s_delay_alu instid0(VALU_DEP_1) | instskip(NEXT) | instid1(VALU_DEP_1)
	v_add_nc_u32_e32 v3, v1, v3
	v_lshrrev_b32_e32 v3, s46, v3
	s_delay_alu instid0(VALU_DEP_1) | instskip(NEXT) | instid1(VALU_DEP_1)
	v_mul_hi_u32 v5, s48, v3
	v_add_nc_u32_e32 v5, v3, v5
	s_delay_alu instid0(VALU_DEP_1) | instskip(NEXT) | instid1(VALU_DEP_1)
	v_lshrrev_b32_e32 v5, s49, v5
	v_mul_hi_u32 v6, s51, v5
	s_delay_alu instid0(VALU_DEP_1) | instskip(SKIP_1) | instid1(VALU_DEP_1)
	v_add_nc_u32_e32 v6, v5, v6
	v_mul_lo_u32 v7, v3, s44
	v_sub_nc_u32_e32 v1, v1, v7
	v_mul_lo_u32 v7, v5, s47
	s_delay_alu instid0(VALU_DEP_4) | instskip(NEXT) | instid1(VALU_DEP_3)
	v_lshrrev_b32_e32 v6, s60, v6
	v_mad_u32 v4, v1, s53, v4
	v_mad_u32 v1, v1, s52, v2
	s_delay_alu instid0(VALU_DEP_4) | instskip(NEXT) | instid1(VALU_DEP_4)
	v_sub_nc_u32_e32 v2, v3, v7
	v_mul_hi_u32 v8, s62, v6
	v_mul_lo_u32 v3, v6, s50
	s_delay_alu instid0(VALU_DEP_3) | instskip(SKIP_1) | instid1(VALU_DEP_3)
	v_mad_u32 v4, v2, s55, v4
	v_mad_u32 v2, v2, s54, v1
	v_dual_add_nc_u32 v7, v6, v8 :: v_dual_sub_nc_u32 v3, v5, v3
	s_delay_alu instid0(VALU_DEP_1) | instskip(NEXT) | instid1(VALU_DEP_2)
	v_lshrrev_b32_e32 v1, s63, v7
	v_mad_u32 v4, v3, s57, v4
	s_delay_alu instid0(VALU_DEP_4) | instskip(NEXT) | instid1(VALU_DEP_3)
	v_mad_u32 v2, v3, s56, v2
	v_mul_lo_u32 v5, v1, s61
	s_delay_alu instid0(VALU_DEP_1) | instskip(NEXT) | instid1(VALU_DEP_1)
	v_sub_nc_u32_e32 v3, v6, v5
	v_mad_u32 v4, v3, s59, v4
	s_delay_alu instid0(VALU_DEP_4)
	v_mad_u32 v2, v3, s58, v2
	s_cbranch_scc1 .LBB79_6
; %bb.7:
	s_delay_alu instid0(VALU_DEP_2)
	v_mov_b32_e32 v3, v4
	s_and_b32 s0, s0, 3
	s_mov_b32 s27, 0
	s_cmp_eq_u32 s0, 0
	s_cbranch_scc0 .LBB79_11
	s_branch .LBB79_14
.LBB79_8:
                                        ; implicit-def: $vgpr4
                                        ; implicit-def: $vgpr2
	s_branch .LBB79_15
.LBB79_9:
	v_dual_mov_b32 v4, 0 :: v_dual_mov_b32 v2, 0
	s_branch .LBB79_14
.LBB79_10:
	v_mov_b64_e32 v[2:3], 0
	v_mov_b32_e32 v1, v0
	s_mov_b32 s26, 0
                                        ; implicit-def: $vgpr4
	s_and_b32 s0, s0, 3
	s_mov_b32 s27, 0
	s_cmp_eq_u32 s0, 0
	s_cbranch_scc1 .LBB79_14
.LBB79_11:
	s_lshl_b32 s28, s26, 3
	s_mov_b32 s29, s27
	s_mul_u64 s[30:31], s[26:27], 12
	s_add_nc_u64 s[28:29], s[16:17], s[28:29]
	s_delay_alu instid0(SALU_CYCLE_1)
	s_add_nc_u64 s[26:27], s[28:29], 0xc4
	s_add_nc_u64 s[28:29], s[16:17], s[30:31]
.LBB79_12:                              ; =>This Inner Loop Header: Depth=1
	s_load_b96 s[44:46], s[28:29], 0x4
	s_load_b64 s[30:31], s[26:27], 0x0
	s_add_co_i32 s0, s0, -1
	s_wait_xcnt 0x0
	s_add_nc_u64 s[28:29], s[28:29], 12
	s_cmp_lg_u32 s0, 0
	s_add_nc_u64 s[26:27], s[26:27], 8
	s_wait_kmcnt 0x0
	v_mul_hi_u32 v4, s45, v1
	s_delay_alu instid0(VALU_DEP_1) | instskip(NEXT) | instid1(VALU_DEP_1)
	v_add_nc_u32_e32 v4, v1, v4
	v_lshrrev_b32_e32 v4, s46, v4
	s_delay_alu instid0(VALU_DEP_1) | instskip(NEXT) | instid1(VALU_DEP_1)
	v_mul_lo_u32 v5, v4, s44
	v_sub_nc_u32_e32 v1, v1, v5
	s_delay_alu instid0(VALU_DEP_1)
	v_mad_u32 v3, v1, s31, v3
	v_mad_u32 v2, v1, s30, v2
	v_mov_b32_e32 v1, v4
	s_cbranch_scc1 .LBB79_12
; %bb.13:
	s_delay_alu instid0(VALU_DEP_3)
	v_mov_b32_e32 v4, v3
.LBB79_14:
	s_cbranch_execnz .LBB79_17
.LBB79_15:
	v_mov_b32_e32 v1, 0
	s_and_not1_b32 vcc_lo, exec_lo, s38
	s_delay_alu instid0(VALU_DEP_1) | instskip(NEXT) | instid1(VALU_DEP_1)
	v_mul_u64_e32 v[2:3], s[18:19], v[0:1]
	v_add_nc_u32_e32 v2, v0, v3
	s_delay_alu instid0(VALU_DEP_1) | instskip(NEXT) | instid1(VALU_DEP_1)
	v_lshrrev_b32_e32 v6, s10, v2
	v_mul_lo_u32 v2, v6, s8
	s_delay_alu instid0(VALU_DEP_1) | instskip(NEXT) | instid1(VALU_DEP_1)
	v_sub_nc_u32_e32 v2, v0, v2
	v_mul_lo_u32 v4, v2, s13
	v_mul_lo_u32 v2, v2, s12
	s_cbranch_vccnz .LBB79_17
; %bb.16:
	v_mov_b32_e32 v7, v1
	s_delay_alu instid0(VALU_DEP_1) | instskip(NEXT) | instid1(VALU_DEP_1)
	v_mul_u64_e32 v[8:9], s[22:23], v[6:7]
	v_add_nc_u32_e32 v1, v6, v9
	s_delay_alu instid0(VALU_DEP_1) | instskip(NEXT) | instid1(VALU_DEP_1)
	v_lshrrev_b32_e32 v1, s21, v1
	v_mul_lo_u32 v1, v1, s11
	s_delay_alu instid0(VALU_DEP_1) | instskip(NEXT) | instid1(VALU_DEP_1)
	v_sub_nc_u32_e32 v1, v6, v1
	v_mad_u32 v2, v1, s14, v2
	v_mad_u32 v4, v1, s15, v4
.LBB79_17:
	v_mov_b32_e32 v5, 0
	s_and_b32 s0, 0xffff, s37
	s_delay_alu instid0(SALU_CYCLE_1) | instskip(NEXT) | instid1(VALU_DEP_1)
	s_cmp_lt_i32 s0, 11
	v_add_nc_u64_e32 v[4:5], s[6:7], v[4:5]
	s_cbranch_scc1 .LBB79_24
; %bb.18:
	s_cmp_gt_i32 s0, 25
	s_cbranch_scc0 .LBB79_33
; %bb.19:
	s_cmp_gt_i32 s0, 28
	s_cbranch_scc0 .LBB79_36
	;; [unrolled: 3-line block ×4, first 2 shown]
; %bb.22:
	s_cmp_eq_u32 s0, 46
	s_mov_b32 s27, 0
	s_cbranch_scc0 .LBB79_42
; %bb.23:
	global_load_b32 v1, v[4:5], off
	s_mov_b32 s20, -1
	s_mov_b32 s26, 0
	s_wait_loadcnt 0x0
	v_lshlrev_b32_e32 v1, 16, v1
	s_delay_alu instid0(VALU_DEP_1)
	v_cvt_i32_f32_e32 v6, v1
	s_branch .LBB79_44
.LBB79_24:
	s_mov_b32 s26, 0
	s_mov_b32 s20, 0
                                        ; implicit-def: $vgpr6
	s_cbranch_execnz .LBB79_213
.LBB79_25:
	s_and_not1_b32 vcc_lo, exec_lo, s20
	s_cbranch_vccnz .LBB79_260
.LBB79_26:
	v_mov_b32_e32 v3, 0
	s_wait_loadcnt 0x0
	s_delay_alu instid0(VALU_DEP_2) | instskip(SKIP_1) | instid1(VALU_DEP_2)
	v_cmp_ne_u16_e32 vcc_lo, s1, v6
	s_and_b32 s27, s2, 0xff
	v_add_nc_u64_e32 v[2:3], s[4:5], v[2:3]
	s_xor_b32 s20, s9, vcc_lo
	s_cmp_lt_i32 s27, 11
	s_cbranch_scc1 .LBB79_34
; %bb.27:
	s_and_b32 s28, 0xffff, s27
	s_delay_alu instid0(SALU_CYCLE_1)
	s_cmp_gt_i32 s28, 25
	s_cbranch_scc0 .LBB79_37
; %bb.28:
	s_cmp_gt_i32 s28, 28
	s_cbranch_scc0 .LBB79_39
; %bb.29:
	;; [unrolled: 3-line block ×4, first 2 shown]
	s_mov_b32 s30, 0
	s_mov_b32 s0, -1
	s_cmp_eq_u32 s28, 46
	s_mov_b32 s29, 0
	s_cbranch_scc0 .LBB79_48
; %bb.32:
	v_cndmask_b32_e64 v1, 0, 1.0, s20
	s_mov_b32 s29, -1
	s_mov_b32 s0, 0
	s_delay_alu instid0(VALU_DEP_1) | instskip(NEXT) | instid1(VALU_DEP_1)
	v_bfe_u32 v4, v1, 16, 1
	v_add3_u32 v1, v1, v4, 0x7fff
	s_delay_alu instid0(VALU_DEP_1)
	v_lshrrev_b32_e32 v1, 16, v1
	global_store_b32 v[2:3], v1, off
	s_branch .LBB79_48
.LBB79_33:
	s_mov_b32 s26, 0
	s_mov_b32 s20, 0
                                        ; implicit-def: $vgpr6
	s_cbranch_execnz .LBB79_180
	s_branch .LBB79_212
.LBB79_34:
	s_mov_b32 s0, 0
	s_mov_b32 s29, 0
	s_cbranch_execnz .LBB79_117
.LBB79_35:
	s_and_not1_b32 vcc_lo, exec_lo, s29
	s_cbranch_vccz .LBB79_155
	s_branch .LBB79_261
.LBB79_36:
	s_mov_b32 s27, -1
	s_mov_b32 s26, 0
	s_mov_b32 s20, 0
                                        ; implicit-def: $vgpr6
	s_branch .LBB79_163
.LBB79_37:
	s_mov_b32 s30, -1
	s_mov_b32 s0, 0
	s_mov_b32 s29, 0
	s_branch .LBB79_75
.LBB79_38:
	s_mov_b32 s27, -1
	s_mov_b32 s26, 0
	s_mov_b32 s20, 0
                                        ; implicit-def: $vgpr6
	s_branch .LBB79_158
.LBB79_39:
	s_mov_b32 s30, -1
	s_mov_b32 s0, 0
	s_mov_b32 s29, 0
	s_branch .LBB79_58
.LBB79_40:
	s_mov_b32 s27, -1
	s_mov_b32 s26, 0
	s_branch .LBB79_43
.LBB79_41:
	s_mov_b32 s30, -1
	s_mov_b32 s0, 0
	s_mov_b32 s29, 0
	s_branch .LBB79_54
.LBB79_42:
	s_mov_b32 s26, -1
.LBB79_43:
	s_mov_b32 s20, 0
                                        ; implicit-def: $vgpr6
.LBB79_44:
	s_and_b32 vcc_lo, exec_lo, s27
	s_cbranch_vccz .LBB79_157
; %bb.45:
	s_cmp_eq_u32 s0, 44
	s_cbranch_scc0 .LBB79_156
; %bb.46:
	global_load_u8 v1, v[4:5], off
	s_mov_b32 s26, 0
	s_mov_b32 s20, -1
	s_wait_loadcnt 0x0
	v_lshlrev_b32_e32 v3, 23, v1
	v_cmp_ne_u32_e32 vcc_lo, 0, v1
	s_delay_alu instid0(VALU_DEP_2) | instskip(NEXT) | instid1(VALU_DEP_1)
	v_cvt_i32_f32_e32 v3, v3
	v_cndmask_b32_e32 v6, 0, v3, vcc_lo
	s_branch .LBB79_157
.LBB79_47:
	s_mov_b32 s30, -1
	s_mov_b32 s0, 0
	s_mov_b32 s29, 0
.LBB79_48:
	s_and_b32 vcc_lo, exec_lo, s30
	s_cbranch_vccz .LBB79_53
; %bb.49:
	s_cmp_eq_u32 s28, 44
	s_mov_b32 s0, -1
	s_cbranch_scc0 .LBB79_53
; %bb.50:
	v_cndmask_b32_e64 v5, 0, 1.0, s20
	s_mov_b32 s29, exec_lo
	s_wait_xcnt 0x0
	s_delay_alu instid0(VALU_DEP_1) | instskip(NEXT) | instid1(VALU_DEP_1)
	v_dual_mov_b32 v4, 0xff :: v_dual_lshrrev_b32 v1, 23, v5
	v_cmpx_ne_u32_e32 0xff, v1
; %bb.51:
	v_and_b32_e32 v4, 0x400000, v5
	v_and_or_b32 v5, 0x3fffff, v5, v1
	s_delay_alu instid0(VALU_DEP_2) | instskip(NEXT) | instid1(VALU_DEP_2)
	v_cmp_ne_u32_e32 vcc_lo, 0, v4
	v_cmp_ne_u32_e64 s0, 0, v5
	s_and_b32 s0, vcc_lo, s0
	s_delay_alu instid0(SALU_CYCLE_1) | instskip(NEXT) | instid1(VALU_DEP_1)
	v_cndmask_b32_e64 v4, 0, 1, s0
	v_add_nc_u32_e32 v4, v1, v4
; %bb.52:
	s_or_b32 exec_lo, exec_lo, s29
	s_mov_b32 s29, -1
	s_mov_b32 s0, 0
	global_store_b8 v[2:3], v4, off
.LBB79_53:
	s_mov_b32 s30, 0
.LBB79_54:
	s_delay_alu instid0(SALU_CYCLE_1)
	s_and_b32 vcc_lo, exec_lo, s30
	s_cbranch_vccz .LBB79_57
; %bb.55:
	s_cmp_eq_u32 s28, 29
	s_mov_b32 s0, -1
	s_cbranch_scc0 .LBB79_57
; %bb.56:
	s_mov_b32 s0, 0
	s_wait_xcnt 0x0
	v_cndmask_b32_e64 v4, 0, 1, s20
	v_mov_b32_e32 v5, s0
	s_mov_b32 s29, -1
	s_mov_b32 s30, 0
	global_store_b64 v[2:3], v[4:5], off
	s_branch .LBB79_58
.LBB79_57:
	s_mov_b32 s30, 0
.LBB79_58:
	s_delay_alu instid0(SALU_CYCLE_1)
	s_and_b32 vcc_lo, exec_lo, s30
	s_cbranch_vccz .LBB79_74
; %bb.59:
	s_cmp_lt_i32 s28, 27
	s_mov_b32 s29, -1
	s_cbranch_scc1 .LBB79_65
; %bb.60:
	s_cmp_gt_i32 s28, 27
	s_cbranch_scc0 .LBB79_62
; %bb.61:
	s_wait_xcnt 0x0
	v_cndmask_b32_e64 v1, 0, 1, s20
	s_mov_b32 s29, 0
	global_store_b32 v[2:3], v1, off
.LBB79_62:
	s_and_not1_b32 vcc_lo, exec_lo, s29
	s_cbranch_vccnz .LBB79_64
; %bb.63:
	s_wait_xcnt 0x0
	v_cndmask_b32_e64 v1, 0, 1, s20
	global_store_b16 v[2:3], v1, off
.LBB79_64:
	s_mov_b32 s29, 0
.LBB79_65:
	s_delay_alu instid0(SALU_CYCLE_1)
	s_and_not1_b32 vcc_lo, exec_lo, s29
	s_cbranch_vccnz .LBB79_73
; %bb.66:
	s_wait_xcnt 0x0
	v_cndmask_b32_e64 v4, 0, 1.0, s20
	v_mov_b32_e32 v5, 0x80
	s_mov_b32 s29, exec_lo
	s_delay_alu instid0(VALU_DEP_2)
	v_cmpx_gt_u32_e32 0x43800000, v4
	s_cbranch_execz .LBB79_72
; %bb.67:
	s_mov_b32 s30, 0
	s_mov_b32 s31, exec_lo
                                        ; implicit-def: $vgpr1
	v_cmpx_lt_u32_e32 0x3bffffff, v4
	s_xor_b32 s31, exec_lo, s31
	s_cbranch_execz .LBB79_306
; %bb.68:
	v_bfe_u32 v1, v4, 20, 1
	s_mov_b32 s30, exec_lo
	s_delay_alu instid0(VALU_DEP_1) | instskip(NEXT) | instid1(VALU_DEP_1)
	v_add3_u32 v1, v4, v1, 0x487ffff
                                        ; implicit-def: $vgpr4
	v_lshrrev_b32_e32 v1, 20, v1
	s_and_not1_saveexec_b32 s31, s31
	s_cbranch_execnz .LBB79_307
.LBB79_69:
	s_or_b32 exec_lo, exec_lo, s31
	v_mov_b32_e32 v5, 0
	s_and_saveexec_b32 s31, s30
.LBB79_70:
	v_mov_b32_e32 v5, v1
.LBB79_71:
	s_or_b32 exec_lo, exec_lo, s31
.LBB79_72:
	s_delay_alu instid0(SALU_CYCLE_1)
	s_or_b32 exec_lo, exec_lo, s29
	global_store_b8 v[2:3], v5, off
.LBB79_73:
	s_mov_b32 s29, -1
.LBB79_74:
	s_mov_b32 s30, 0
.LBB79_75:
	s_delay_alu instid0(SALU_CYCLE_1)
	s_and_b32 vcc_lo, exec_lo, s30
	s_cbranch_vccz .LBB79_116
; %bb.76:
	s_cmp_gt_i32 s28, 22
	s_mov_b32 s30, -1
	s_cbranch_scc0 .LBB79_108
; %bb.77:
	s_cmp_lt_i32 s28, 24
	s_mov_b32 s29, -1
	s_cbranch_scc1 .LBB79_97
; %bb.78:
	s_cmp_gt_i32 s28, 24
	s_cbranch_scc0 .LBB79_86
; %bb.79:
	s_wait_xcnt 0x0
	v_cndmask_b32_e64 v4, 0, 1.0, s20
	v_mov_b32_e32 v5, 0x80
	s_mov_b32 s29, exec_lo
	s_delay_alu instid0(VALU_DEP_2)
	v_cmpx_gt_u32_e32 0x47800000, v4
	s_cbranch_execz .LBB79_85
; %bb.80:
	s_mov_b32 s30, 0
	s_mov_b32 s31, exec_lo
                                        ; implicit-def: $vgpr1
	v_cmpx_lt_u32_e32 0x37ffffff, v4
	s_xor_b32 s31, exec_lo, s31
	s_cbranch_execz .LBB79_310
; %bb.81:
	v_bfe_u32 v1, v4, 21, 1
	s_mov_b32 s30, exec_lo
	s_delay_alu instid0(VALU_DEP_1) | instskip(NEXT) | instid1(VALU_DEP_1)
	v_add3_u32 v1, v4, v1, 0x88fffff
                                        ; implicit-def: $vgpr4
	v_lshrrev_b32_e32 v1, 21, v1
	s_and_not1_saveexec_b32 s31, s31
	s_cbranch_execnz .LBB79_311
.LBB79_82:
	s_or_b32 exec_lo, exec_lo, s31
	v_mov_b32_e32 v5, 0
	s_and_saveexec_b32 s31, s30
.LBB79_83:
	v_mov_b32_e32 v5, v1
.LBB79_84:
	s_or_b32 exec_lo, exec_lo, s31
.LBB79_85:
	s_delay_alu instid0(SALU_CYCLE_1)
	s_or_b32 exec_lo, exec_lo, s29
	s_mov_b32 s29, 0
	global_store_b8 v[2:3], v5, off
.LBB79_86:
	s_and_b32 vcc_lo, exec_lo, s29
	s_cbranch_vccz .LBB79_96
; %bb.87:
	s_wait_xcnt 0x0
	v_cndmask_b32_e64 v4, 0, 1.0, s20
	s_mov_b32 s29, exec_lo
                                        ; implicit-def: $vgpr1
	s_delay_alu instid0(VALU_DEP_1)
	v_cmpx_gt_u32_e32 0x43f00000, v4
	s_xor_b32 s29, exec_lo, s29
	s_cbranch_execz .LBB79_93
; %bb.88:
	s_mov_b32 s30, exec_lo
                                        ; implicit-def: $vgpr1
	v_cmpx_lt_u32_e32 0x3c7fffff, v4
	s_xor_b32 s30, exec_lo, s30
; %bb.89:
	v_bfe_u32 v1, v4, 20, 1
	s_delay_alu instid0(VALU_DEP_1) | instskip(NEXT) | instid1(VALU_DEP_1)
	v_add3_u32 v1, v4, v1, 0x407ffff
	v_and_b32_e32 v4, 0xff00000, v1
	v_lshrrev_b32_e32 v1, 20, v1
	s_delay_alu instid0(VALU_DEP_2) | instskip(NEXT) | instid1(VALU_DEP_2)
	v_cmp_ne_u32_e32 vcc_lo, 0x7f00000, v4
                                        ; implicit-def: $vgpr4
	v_cndmask_b32_e32 v1, 0x7e, v1, vcc_lo
; %bb.90:
	s_and_not1_saveexec_b32 s30, s30
; %bb.91:
	v_add_f32_e32 v1, 0x46800000, v4
; %bb.92:
	s_or_b32 exec_lo, exec_lo, s30
                                        ; implicit-def: $vgpr4
.LBB79_93:
	s_and_not1_saveexec_b32 s29, s29
; %bb.94:
	v_mov_b32_e32 v1, 0x7f
	v_cmp_lt_u32_e32 vcc_lo, 0x7f800000, v4
	s_delay_alu instid0(VALU_DEP_2)
	v_cndmask_b32_e32 v1, 0x7e, v1, vcc_lo
; %bb.95:
	s_or_b32 exec_lo, exec_lo, s29
	global_store_b8 v[2:3], v1, off
.LBB79_96:
	s_mov_b32 s29, 0
.LBB79_97:
	s_delay_alu instid0(SALU_CYCLE_1)
	s_and_not1_b32 vcc_lo, exec_lo, s29
	s_cbranch_vccnz .LBB79_107
; %bb.98:
	s_wait_xcnt 0x0
	v_cndmask_b32_e64 v4, 0, 1.0, s20
	s_mov_b32 s29, exec_lo
                                        ; implicit-def: $vgpr1
	s_delay_alu instid0(VALU_DEP_1)
	v_cmpx_gt_u32_e32 0x47800000, v4
	s_xor_b32 s29, exec_lo, s29
	s_cbranch_execz .LBB79_104
; %bb.99:
	s_mov_b32 s30, exec_lo
                                        ; implicit-def: $vgpr1
	v_cmpx_lt_u32_e32 0x387fffff, v4
	s_xor_b32 s30, exec_lo, s30
; %bb.100:
	v_bfe_u32 v1, v4, 21, 1
	s_delay_alu instid0(VALU_DEP_1) | instskip(NEXT) | instid1(VALU_DEP_1)
	v_add3_u32 v1, v4, v1, 0x80fffff
                                        ; implicit-def: $vgpr4
	v_lshrrev_b32_e32 v1, 21, v1
; %bb.101:
	s_and_not1_saveexec_b32 s30, s30
; %bb.102:
	v_add_f32_e32 v1, 0x43000000, v4
; %bb.103:
	s_or_b32 exec_lo, exec_lo, s30
                                        ; implicit-def: $vgpr4
.LBB79_104:
	s_and_not1_saveexec_b32 s29, s29
; %bb.105:
	v_mov_b32_e32 v1, 0x7f
	v_cmp_lt_u32_e32 vcc_lo, 0x7f800000, v4
	s_delay_alu instid0(VALU_DEP_2)
	v_cndmask_b32_e32 v1, 0x7c, v1, vcc_lo
; %bb.106:
	s_or_b32 exec_lo, exec_lo, s29
	global_store_b8 v[2:3], v1, off
.LBB79_107:
	s_mov_b32 s30, 0
	s_mov_b32 s29, -1
.LBB79_108:
	s_and_not1_b32 vcc_lo, exec_lo, s30
	s_cbranch_vccnz .LBB79_116
; %bb.109:
	s_cmp_gt_i32 s28, 14
	s_mov_b32 s30, -1
	s_cbranch_scc0 .LBB79_113
; %bb.110:
	s_cmp_eq_u32 s28, 15
	s_mov_b32 s0, -1
	s_cbranch_scc0 .LBB79_112
; %bb.111:
	s_wait_xcnt 0x0
	v_cndmask_b32_e64 v1, 0, 1.0, s20
	s_mov_b32 s29, -1
	s_mov_b32 s0, 0
	s_delay_alu instid0(VALU_DEP_1) | instskip(NEXT) | instid1(VALU_DEP_1)
	v_bfe_u32 v4, v1, 16, 1
	v_add3_u32 v1, v1, v4, 0x7fff
	global_store_d16_hi_b16 v[2:3], v1, off
.LBB79_112:
	s_mov_b32 s30, 0
.LBB79_113:
	s_delay_alu instid0(SALU_CYCLE_1)
	s_and_b32 vcc_lo, exec_lo, s30
	s_cbranch_vccz .LBB79_116
; %bb.114:
	s_cmp_eq_u32 s28, 11
	s_mov_b32 s0, -1
	s_cbranch_scc0 .LBB79_116
; %bb.115:
	s_wait_xcnt 0x0
	v_cndmask_b32_e64 v1, 0, 1, s20
	s_mov_b32 s29, -1
	s_mov_b32 s0, 0
	global_store_b8 v[2:3], v1, off
.LBB79_116:
	s_branch .LBB79_35
.LBB79_117:
	s_and_b32 s27, 0xffff, s27
	s_mov_b32 s28, -1
	s_cmp_lt_i32 s27, 5
	s_cbranch_scc1 .LBB79_138
; %bb.118:
	s_cmp_lt_i32 s27, 8
	s_cbranch_scc1 .LBB79_128
; %bb.119:
	;; [unrolled: 3-line block ×3, first 2 shown]
	s_cmp_gt_i32 s27, 9
	s_cbranch_scc0 .LBB79_122
; %bb.121:
	s_wait_xcnt 0x0
	v_cndmask_b32_e64 v1, 0, 1, s20
	v_mov_b32_e32 v6, 0
	s_mov_b32 s28, 0
	s_delay_alu instid0(VALU_DEP_2) | instskip(NEXT) | instid1(VALU_DEP_2)
	v_cvt_f64_u32_e32 v[4:5], v1
	v_mov_b32_e32 v7, v6
	global_store_b128 v[2:3], v[4:7], off
.LBB79_122:
	s_and_not1_b32 vcc_lo, exec_lo, s28
	s_cbranch_vccnz .LBB79_124
; %bb.123:
	s_wait_xcnt 0x0
	v_cndmask_b32_e64 v4, 0, 1.0, s20
	v_mov_b32_e32 v5, 0
	global_store_b64 v[2:3], v[4:5], off
.LBB79_124:
	s_mov_b32 s28, 0
.LBB79_125:
	s_delay_alu instid0(SALU_CYCLE_1)
	s_and_not1_b32 vcc_lo, exec_lo, s28
	s_cbranch_vccnz .LBB79_127
; %bb.126:
	s_wait_xcnt 0x0
	v_cndmask_b32_e64 v1, 0, 1.0, s20
	s_delay_alu instid0(VALU_DEP_1) | instskip(NEXT) | instid1(VALU_DEP_1)
	v_cvt_f16_f32_e32 v1, v1
	v_and_b32_e32 v1, 0xffff, v1
	global_store_b32 v[2:3], v1, off
.LBB79_127:
	s_mov_b32 s28, 0
.LBB79_128:
	s_delay_alu instid0(SALU_CYCLE_1)
	s_and_not1_b32 vcc_lo, exec_lo, s28
	s_cbranch_vccnz .LBB79_137
; %bb.129:
	s_cmp_lt_i32 s27, 6
	s_mov_b32 s28, -1
	s_cbranch_scc1 .LBB79_135
; %bb.130:
	s_cmp_gt_i32 s27, 6
	s_cbranch_scc0 .LBB79_132
; %bb.131:
	s_wait_xcnt 0x0
	v_cndmask_b32_e64 v1, 0, 1, s20
	s_mov_b32 s28, 0
	s_delay_alu instid0(VALU_DEP_1)
	v_cvt_f64_u32_e32 v[4:5], v1
	global_store_b64 v[2:3], v[4:5], off
.LBB79_132:
	s_and_not1_b32 vcc_lo, exec_lo, s28
	s_cbranch_vccnz .LBB79_134
; %bb.133:
	s_wait_xcnt 0x0
	v_cndmask_b32_e64 v1, 0, 1.0, s20
	global_store_b32 v[2:3], v1, off
.LBB79_134:
	s_mov_b32 s28, 0
.LBB79_135:
	s_delay_alu instid0(SALU_CYCLE_1)
	s_and_not1_b32 vcc_lo, exec_lo, s28
	s_cbranch_vccnz .LBB79_137
; %bb.136:
	s_wait_xcnt 0x0
	v_cndmask_b32_e64 v1, 0, 1.0, s20
	s_delay_alu instid0(VALU_DEP_1)
	v_cvt_f16_f32_e32 v1, v1
	global_store_b16 v[2:3], v1, off
.LBB79_137:
	s_mov_b32 s28, 0
.LBB79_138:
	s_delay_alu instid0(SALU_CYCLE_1)
	s_and_not1_b32 vcc_lo, exec_lo, s28
	s_cbranch_vccnz .LBB79_154
; %bb.139:
	s_cmp_lt_i32 s27, 2
	s_mov_b32 s28, -1
	s_cbranch_scc1 .LBB79_149
; %bb.140:
	s_cmp_lt_i32 s27, 3
	s_cbranch_scc1 .LBB79_146
; %bb.141:
	s_cmp_gt_i32 s27, 3
	s_cbranch_scc0 .LBB79_143
; %bb.142:
	s_mov_b32 s28, 0
	s_wait_xcnt 0x0
	v_cndmask_b32_e64 v4, 0, 1, s20
	v_mov_b32_e32 v5, s28
	global_store_b64 v[2:3], v[4:5], off
.LBB79_143:
	s_and_not1_b32 vcc_lo, exec_lo, s28
	s_cbranch_vccnz .LBB79_145
; %bb.144:
	s_wait_xcnt 0x0
	v_cndmask_b32_e64 v1, 0, 1, s20
	global_store_b32 v[2:3], v1, off
.LBB79_145:
	s_mov_b32 s28, 0
.LBB79_146:
	s_delay_alu instid0(SALU_CYCLE_1)
	s_and_not1_b32 vcc_lo, exec_lo, s28
	s_cbranch_vccnz .LBB79_148
; %bb.147:
	s_wait_xcnt 0x0
	v_cndmask_b32_e64 v1, 0, 1, s20
	global_store_b16 v[2:3], v1, off
.LBB79_148:
	s_mov_b32 s28, 0
.LBB79_149:
	s_delay_alu instid0(SALU_CYCLE_1)
	s_and_not1_b32 vcc_lo, exec_lo, s28
	s_cbranch_vccnz .LBB79_154
; %bb.150:
	s_cmp_gt_i32 s27, 0
	s_mov_b32 s27, -1
	s_cbranch_scc0 .LBB79_152
; %bb.151:
	s_wait_xcnt 0x0
	v_cndmask_b32_e64 v1, 0, 1, s20
	s_mov_b32 s27, 0
	global_store_b8 v[2:3], v1, off
.LBB79_152:
	s_and_not1_b32 vcc_lo, exec_lo, s27
	s_cbranch_vccnz .LBB79_154
; %bb.153:
	s_wait_xcnt 0x0
	v_cndmask_b32_e64 v1, 0, 1, s20
	global_store_b8 v[2:3], v1, off
.LBB79_154:
.LBB79_155:
	v_add_nc_u32_e32 v0, 0x80, v0
	s_mov_b32 s27, -1
	s_branch .LBB79_262
.LBB79_156:
	s_mov_b32 s26, -1
                                        ; implicit-def: $vgpr6
.LBB79_157:
	s_mov_b32 s27, 0
.LBB79_158:
	s_delay_alu instid0(SALU_CYCLE_1)
	s_and_b32 vcc_lo, exec_lo, s27
	s_cbranch_vccz .LBB79_162
; %bb.159:
	s_cmp_eq_u32 s0, 29
	s_cbranch_scc0 .LBB79_161
; %bb.160:
	global_load_b64 v[6:7], v[4:5], off
	s_mov_b32 s20, -1
	s_mov_b32 s26, 0
	s_branch .LBB79_162
.LBB79_161:
	s_mov_b32 s26, -1
                                        ; implicit-def: $vgpr6
.LBB79_162:
	s_mov_b32 s27, 0
.LBB79_163:
	s_delay_alu instid0(SALU_CYCLE_1)
	s_and_b32 vcc_lo, exec_lo, s27
	s_cbranch_vccz .LBB79_179
; %bb.164:
	s_cmp_lt_i32 s0, 27
	s_cbranch_scc1 .LBB79_167
; %bb.165:
	s_cmp_gt_i32 s0, 27
	s_cbranch_scc0 .LBB79_168
; %bb.166:
	s_wait_loadcnt 0x0
	global_load_b32 v6, v[4:5], off
	s_mov_b32 s20, 0
	s_branch .LBB79_169
.LBB79_167:
	s_mov_b32 s20, -1
                                        ; implicit-def: $vgpr6
	s_branch .LBB79_172
.LBB79_168:
	s_mov_b32 s20, -1
                                        ; implicit-def: $vgpr6
.LBB79_169:
	s_delay_alu instid0(SALU_CYCLE_1)
	s_and_not1_b32 vcc_lo, exec_lo, s20
	s_cbranch_vccnz .LBB79_171
; %bb.170:
	s_wait_loadcnt 0x0
	global_load_u16 v6, v[4:5], off
.LBB79_171:
	s_mov_b32 s20, 0
.LBB79_172:
	s_delay_alu instid0(SALU_CYCLE_1)
	s_and_not1_b32 vcc_lo, exec_lo, s20
	s_cbranch_vccnz .LBB79_178
; %bb.173:
	global_load_u8 v1, v[4:5], off
	s_mov_b32 s27, 0
	s_mov_b32 s20, exec_lo
	s_wait_loadcnt 0x0
	v_cmpx_lt_i16_e32 0x7f, v1
	s_xor_b32 s20, exec_lo, s20
	s_cbranch_execz .LBB79_189
; %bb.174:
	v_cmp_ne_u16_e32 vcc_lo, 0x80, v1
	s_and_b32 s27, vcc_lo, exec_lo
	s_and_not1_saveexec_b32 s20, s20
	s_cbranch_execnz .LBB79_190
.LBB79_175:
	s_or_b32 exec_lo, exec_lo, s20
	v_mov_b32_e32 v6, 0
	s_and_saveexec_b32 s20, s27
	s_cbranch_execz .LBB79_177
.LBB79_176:
	v_and_b32_e32 v3, 0xffff, v1
	s_delay_alu instid0(VALU_DEP_1) | instskip(SKIP_1) | instid1(VALU_DEP_2)
	v_dual_lshlrev_b32 v1, 24, v1 :: v_dual_bitop2_b32 v6, 7, v3 bitop3:0x40
	v_bfe_u32 v9, v3, 3, 4
	v_and_b32_e32 v1, 0x80000000, v1
	s_delay_alu instid0(VALU_DEP_3) | instskip(NEXT) | instid1(VALU_DEP_3)
	v_clz_i32_u32_e32 v7, v6
	v_cmp_eq_u32_e32 vcc_lo, 0, v9
	s_delay_alu instid0(VALU_DEP_2) | instskip(NEXT) | instid1(VALU_DEP_1)
	v_min_u32_e32 v7, 32, v7
	v_subrev_nc_u32_e32 v8, 28, v7
	v_sub_nc_u32_e32 v7, 29, v7
	s_delay_alu instid0(VALU_DEP_2) | instskip(NEXT) | instid1(VALU_DEP_2)
	v_lshlrev_b32_e32 v3, v8, v3
	v_cndmask_b32_e32 v7, v9, v7, vcc_lo
	s_delay_alu instid0(VALU_DEP_2) | instskip(NEXT) | instid1(VALU_DEP_1)
	v_and_b32_e32 v3, 7, v3
	v_cndmask_b32_e32 v3, v6, v3, vcc_lo
	s_delay_alu instid0(VALU_DEP_3) | instskip(NEXT) | instid1(VALU_DEP_2)
	v_lshl_add_u32 v6, v7, 23, 0x3b800000
	v_lshlrev_b32_e32 v3, 20, v3
	s_delay_alu instid0(VALU_DEP_1) | instskip(NEXT) | instid1(VALU_DEP_1)
	v_or3_b32 v1, v1, v6, v3
	v_cvt_i32_f32_e32 v6, v1
.LBB79_177:
	s_or_b32 exec_lo, exec_lo, s20
.LBB79_178:
	s_mov_b32 s20, -1
.LBB79_179:
	s_branch .LBB79_212
.LBB79_180:
	s_cmp_gt_i32 s0, 22
	s_cbranch_scc0 .LBB79_188
; %bb.181:
	s_cmp_lt_i32 s0, 24
	s_cbranch_scc1 .LBB79_191
; %bb.182:
	s_cmp_gt_i32 s0, 24
	s_cbranch_scc0 .LBB79_192
; %bb.183:
	global_load_u8 v1, v[4:5], off
	s_mov_b32 s27, 0
	s_mov_b32 s20, exec_lo
	s_wait_loadcnt 0x0
	v_cmpx_lt_i16_e32 0x7f, v1
	s_xor_b32 s20, exec_lo, s20
	s_cbranch_execz .LBB79_204
; %bb.184:
	v_cmp_ne_u16_e32 vcc_lo, 0x80, v1
	s_and_b32 s27, vcc_lo, exec_lo
	s_and_not1_saveexec_b32 s20, s20
	s_cbranch_execnz .LBB79_205
.LBB79_185:
	s_or_b32 exec_lo, exec_lo, s20
	v_mov_b32_e32 v6, 0
	s_and_saveexec_b32 s20, s27
	s_cbranch_execz .LBB79_187
.LBB79_186:
	v_and_b32_e32 v3, 0xffff, v1
	s_delay_alu instid0(VALU_DEP_1) | instskip(SKIP_1) | instid1(VALU_DEP_2)
	v_dual_lshlrev_b32 v1, 24, v1 :: v_dual_bitop2_b32 v6, 3, v3 bitop3:0x40
	v_bfe_u32 v9, v3, 2, 5
	v_and_b32_e32 v1, 0x80000000, v1
	s_delay_alu instid0(VALU_DEP_3) | instskip(NEXT) | instid1(VALU_DEP_3)
	v_clz_i32_u32_e32 v7, v6
	v_cmp_eq_u32_e32 vcc_lo, 0, v9
	s_delay_alu instid0(VALU_DEP_2) | instskip(NEXT) | instid1(VALU_DEP_1)
	v_min_u32_e32 v7, 32, v7
	v_subrev_nc_u32_e32 v8, 29, v7
	v_sub_nc_u32_e32 v7, 30, v7
	s_delay_alu instid0(VALU_DEP_2) | instskip(NEXT) | instid1(VALU_DEP_2)
	v_lshlrev_b32_e32 v3, v8, v3
	v_cndmask_b32_e32 v7, v9, v7, vcc_lo
	s_delay_alu instid0(VALU_DEP_2) | instskip(NEXT) | instid1(VALU_DEP_1)
	v_and_b32_e32 v3, 3, v3
	v_cndmask_b32_e32 v3, v6, v3, vcc_lo
	s_delay_alu instid0(VALU_DEP_3) | instskip(NEXT) | instid1(VALU_DEP_2)
	v_lshl_add_u32 v6, v7, 23, 0x37800000
	v_lshlrev_b32_e32 v3, 21, v3
	s_delay_alu instid0(VALU_DEP_1) | instskip(NEXT) | instid1(VALU_DEP_1)
	v_or3_b32 v1, v1, v6, v3
	v_cvt_i32_f32_e32 v6, v1
.LBB79_187:
	s_or_b32 exec_lo, exec_lo, s20
	s_mov_b32 s20, 0
	s_branch .LBB79_193
.LBB79_188:
	s_mov_b32 s27, -1
                                        ; implicit-def: $vgpr6
	s_branch .LBB79_199
.LBB79_189:
	s_and_not1_saveexec_b32 s20, s20
	s_cbranch_execz .LBB79_175
.LBB79_190:
	v_cmp_ne_u16_e32 vcc_lo, 0, v1
	s_and_not1_b32 s27, s27, exec_lo
	s_and_b32 s28, vcc_lo, exec_lo
	s_delay_alu instid0(SALU_CYCLE_1)
	s_or_b32 s27, s27, s28
	s_or_b32 exec_lo, exec_lo, s20
	v_mov_b32_e32 v6, 0
	s_and_saveexec_b32 s20, s27
	s_cbranch_execnz .LBB79_176
	s_branch .LBB79_177
.LBB79_191:
	s_mov_b32 s20, -1
                                        ; implicit-def: $vgpr6
	s_branch .LBB79_196
.LBB79_192:
	s_mov_b32 s20, -1
                                        ; implicit-def: $vgpr6
.LBB79_193:
	s_delay_alu instid0(SALU_CYCLE_1)
	s_and_b32 vcc_lo, exec_lo, s20
	s_cbranch_vccz .LBB79_195
; %bb.194:
	global_load_u8 v1, v[4:5], off
	s_wait_loadcnt 0x0
	v_lshlrev_b32_e32 v1, 24, v1
	s_delay_alu instid0(VALU_DEP_1) | instskip(NEXT) | instid1(VALU_DEP_1)
	v_and_b32_e32 v3, 0x7f000000, v1
	v_clz_i32_u32_e32 v6, v3
	v_cmp_ne_u32_e32 vcc_lo, 0, v3
	v_add_nc_u32_e32 v8, 0x1000000, v3
	s_delay_alu instid0(VALU_DEP_3) | instskip(NEXT) | instid1(VALU_DEP_1)
	v_min_u32_e32 v6, 32, v6
	v_sub_nc_u32_e64 v6, v6, 4 clamp
	s_delay_alu instid0(VALU_DEP_1) | instskip(NEXT) | instid1(VALU_DEP_1)
	v_dual_lshlrev_b32 v7, v6, v3 :: v_dual_lshlrev_b32 v6, 23, v6
	v_lshrrev_b32_e32 v7, 4, v7
	s_delay_alu instid0(VALU_DEP_1) | instskip(NEXT) | instid1(VALU_DEP_1)
	v_dual_sub_nc_u32 v6, v7, v6 :: v_dual_ashrrev_i32 v7, 8, v8
	v_add_nc_u32_e32 v6, 0x3c000000, v6
	s_delay_alu instid0(VALU_DEP_1) | instskip(NEXT) | instid1(VALU_DEP_1)
	v_and_or_b32 v6, 0x7f800000, v7, v6
	v_cndmask_b32_e32 v3, 0, v6, vcc_lo
	s_delay_alu instid0(VALU_DEP_1) | instskip(NEXT) | instid1(VALU_DEP_1)
	v_and_or_b32 v1, 0x80000000, v1, v3
	v_cvt_i32_f32_e32 v6, v1
.LBB79_195:
	s_mov_b32 s20, 0
.LBB79_196:
	s_delay_alu instid0(SALU_CYCLE_1)
	s_and_not1_b32 vcc_lo, exec_lo, s20
	s_cbranch_vccnz .LBB79_198
; %bb.197:
	global_load_u8 v1, v[4:5], off
	s_wait_loadcnt 0x0
	v_lshlrev_b32_e32 v3, 25, v1
	v_lshlrev_b16 v1, 8, v1
	s_delay_alu instid0(VALU_DEP_1) | instskip(SKIP_1) | instid1(VALU_DEP_2)
	v_and_or_b32 v7, 0x7f00, v1, 0.5
	v_bfe_i32 v1, v1, 0, 16
	v_add_f32_e32 v7, -0.5, v7
	v_lshrrev_b32_e32 v6, 4, v3
	v_cmp_gt_u32_e32 vcc_lo, 0x8000000, v3
	s_delay_alu instid0(VALU_DEP_2) | instskip(NEXT) | instid1(VALU_DEP_1)
	v_or_b32_e32 v6, 0x70000000, v6
	v_mul_f32_e32 v6, 0x7800000, v6
	s_delay_alu instid0(VALU_DEP_1) | instskip(NEXT) | instid1(VALU_DEP_1)
	v_cndmask_b32_e32 v3, v6, v7, vcc_lo
	v_and_or_b32 v1, 0x80000000, v1, v3
	s_delay_alu instid0(VALU_DEP_1)
	v_cvt_i32_f32_e32 v6, v1
.LBB79_198:
	s_mov_b32 s27, 0
	s_mov_b32 s20, -1
.LBB79_199:
	s_and_not1_b32 vcc_lo, exec_lo, s27
	s_cbranch_vccnz .LBB79_212
; %bb.200:
	s_cmp_gt_i32 s0, 14
	s_cbranch_scc0 .LBB79_203
; %bb.201:
	s_cmp_eq_u32 s0, 15
	s_cbranch_scc0 .LBB79_206
; %bb.202:
	global_load_u16 v1, v[4:5], off
	s_mov_b32 s20, -1
	s_mov_b32 s26, 0
	s_wait_loadcnt 0x0
	v_lshlrev_b32_e32 v1, 16, v1
	s_delay_alu instid0(VALU_DEP_1)
	v_cvt_i32_f32_e32 v6, v1
	s_branch .LBB79_207
.LBB79_203:
	s_mov_b32 s27, -1
                                        ; implicit-def: $vgpr6
	s_branch .LBB79_208
.LBB79_204:
	s_and_not1_saveexec_b32 s20, s20
	s_cbranch_execz .LBB79_185
.LBB79_205:
	v_cmp_ne_u16_e32 vcc_lo, 0, v1
	s_and_not1_b32 s27, s27, exec_lo
	s_and_b32 s28, vcc_lo, exec_lo
	s_delay_alu instid0(SALU_CYCLE_1)
	s_or_b32 s27, s27, s28
	s_or_b32 exec_lo, exec_lo, s20
	v_mov_b32_e32 v6, 0
	s_and_saveexec_b32 s20, s27
	s_cbranch_execnz .LBB79_186
	s_branch .LBB79_187
.LBB79_206:
	s_mov_b32 s26, -1
                                        ; implicit-def: $vgpr6
.LBB79_207:
	s_mov_b32 s27, 0
.LBB79_208:
	s_delay_alu instid0(SALU_CYCLE_1)
	s_and_b32 vcc_lo, exec_lo, s27
	s_cbranch_vccz .LBB79_212
; %bb.209:
	s_cmp_eq_u32 s0, 11
	s_cbranch_scc0 .LBB79_211
; %bb.210:
	global_load_u8 v1, v[4:5], off
	s_mov_b32 s26, 0
	s_mov_b32 s20, -1
	s_wait_loadcnt 0x0
	v_cmp_ne_u16_e32 vcc_lo, 0, v1
	v_cndmask_b32_e64 v6, 0, 1, vcc_lo
	s_branch .LBB79_212
.LBB79_211:
	s_mov_b32 s26, -1
                                        ; implicit-def: $vgpr6
.LBB79_212:
	s_branch .LBB79_25
.LBB79_213:
	s_cmp_lt_i32 s0, 5
	s_cbranch_scc1 .LBB79_218
; %bb.214:
	s_cmp_lt_i32 s0, 8
	s_cbranch_scc1 .LBB79_219
; %bb.215:
	;; [unrolled: 3-line block ×3, first 2 shown]
	s_cmp_gt_i32 s0, 9
	s_cbranch_scc0 .LBB79_221
; %bb.217:
	s_wait_loadcnt 0x0
	global_load_b64 v[6:7], v[4:5], off
	s_mov_b32 s20, 0
	s_wait_loadcnt 0x0
	v_cvt_i32_f64_e32 v6, v[6:7]
	s_branch .LBB79_222
.LBB79_218:
                                        ; implicit-def: $vgpr6
	s_branch .LBB79_240
.LBB79_219:
	s_mov_b32 s20, -1
                                        ; implicit-def: $vgpr6
	s_branch .LBB79_228
.LBB79_220:
	s_mov_b32 s20, -1
                                        ; implicit-def: $vgpr6
	s_branch .LBB79_225
.LBB79_221:
	s_mov_b32 s20, -1
                                        ; implicit-def: $vgpr6
.LBB79_222:
	s_delay_alu instid0(SALU_CYCLE_1)
	s_and_not1_b32 vcc_lo, exec_lo, s20
	s_cbranch_vccnz .LBB79_224
; %bb.223:
	global_load_b32 v1, v[4:5], off
	s_wait_loadcnt 0x0
	v_cvt_i32_f32_e32 v6, v1
.LBB79_224:
	s_mov_b32 s20, 0
.LBB79_225:
	s_delay_alu instid0(SALU_CYCLE_1)
	s_and_not1_b32 vcc_lo, exec_lo, s20
	s_cbranch_vccnz .LBB79_227
; %bb.226:
	global_load_b32 v1, v[4:5], off
	s_wait_loadcnt 0x0
	v_cvt_i16_f16_e32 v6, v1
.LBB79_227:
	s_mov_b32 s20, 0
.LBB79_228:
	s_delay_alu instid0(SALU_CYCLE_1)
	s_and_not1_b32 vcc_lo, exec_lo, s20
	s_cbranch_vccnz .LBB79_239
; %bb.229:
	s_cmp_lt_i32 s0, 6
	s_cbranch_scc1 .LBB79_232
; %bb.230:
	s_cmp_gt_i32 s0, 6
	s_cbranch_scc0 .LBB79_233
; %bb.231:
	s_wait_loadcnt 0x0
	global_load_b64 v[6:7], v[4:5], off
	s_mov_b32 s20, 0
	s_wait_loadcnt 0x0
	v_cvt_i32_f64_e32 v6, v[6:7]
	s_branch .LBB79_234
.LBB79_232:
	s_mov_b32 s20, -1
                                        ; implicit-def: $vgpr6
	s_branch .LBB79_237
.LBB79_233:
	s_mov_b32 s20, -1
                                        ; implicit-def: $vgpr6
.LBB79_234:
	s_delay_alu instid0(SALU_CYCLE_1)
	s_and_not1_b32 vcc_lo, exec_lo, s20
	s_cbranch_vccnz .LBB79_236
; %bb.235:
	global_load_b32 v1, v[4:5], off
	s_wait_loadcnt 0x0
	v_cvt_i32_f32_e32 v6, v1
.LBB79_236:
	s_mov_b32 s20, 0
.LBB79_237:
	s_delay_alu instid0(SALU_CYCLE_1)
	s_and_not1_b32 vcc_lo, exec_lo, s20
	s_cbranch_vccnz .LBB79_239
; %bb.238:
	global_load_u16 v1, v[4:5], off
	s_wait_loadcnt 0x0
	v_cvt_i16_f16_e32 v6, v1
.LBB79_239:
	s_cbranch_execnz .LBB79_259
.LBB79_240:
	s_cmp_lt_i32 s0, 2
	s_cbranch_scc1 .LBB79_244
; %bb.241:
	s_cmp_lt_i32 s0, 3
	s_cbranch_scc1 .LBB79_245
; %bb.242:
	s_cmp_gt_i32 s0, 3
	s_cbranch_scc0 .LBB79_246
; %bb.243:
	s_wait_loadcnt 0x0
	global_load_b64 v[6:7], v[4:5], off
	s_mov_b32 s20, 0
	s_branch .LBB79_247
.LBB79_244:
	s_mov_b32 s20, -1
                                        ; implicit-def: $vgpr6
	s_branch .LBB79_253
.LBB79_245:
	s_mov_b32 s20, -1
                                        ; implicit-def: $vgpr6
	s_branch .LBB79_250
.LBB79_246:
	s_mov_b32 s20, -1
                                        ; implicit-def: $vgpr6
.LBB79_247:
	s_delay_alu instid0(SALU_CYCLE_1)
	s_and_not1_b32 vcc_lo, exec_lo, s20
	s_cbranch_vccnz .LBB79_249
; %bb.248:
	s_wait_loadcnt 0x0
	global_load_b32 v6, v[4:5], off
.LBB79_249:
	s_mov_b32 s20, 0
.LBB79_250:
	s_delay_alu instid0(SALU_CYCLE_1)
	s_and_not1_b32 vcc_lo, exec_lo, s20
	s_cbranch_vccnz .LBB79_252
; %bb.251:
	s_wait_loadcnt 0x0
	global_load_u16 v6, v[4:5], off
.LBB79_252:
	s_mov_b32 s20, 0
.LBB79_253:
	s_delay_alu instid0(SALU_CYCLE_1)
	s_and_not1_b32 vcc_lo, exec_lo, s20
	s_cbranch_vccnz .LBB79_259
; %bb.254:
	s_cmp_gt_i32 s0, 0
	s_mov_b32 s0, 0
	s_cbranch_scc0 .LBB79_256
; %bb.255:
	s_wait_loadcnt 0x0
	global_load_i8 v6, v[4:5], off
	s_branch .LBB79_257
.LBB79_256:
	s_mov_b32 s0, -1
                                        ; implicit-def: $vgpr6
.LBB79_257:
	s_delay_alu instid0(SALU_CYCLE_1)
	s_and_not1_b32 vcc_lo, exec_lo, s0
	s_cbranch_vccnz .LBB79_259
; %bb.258:
	s_wait_loadcnt 0x0
	global_load_u8 v6, v[4:5], off
.LBB79_259:
	s_branch .LBB79_26
.LBB79_260:
	s_mov_b32 s0, 0
.LBB79_261:
	s_mov_b32 s27, 0
                                        ; implicit-def: $vgpr0
.LBB79_262:
	s_and_b32 s20, s0, exec_lo
	s_and_b32 s42, s26, exec_lo
	s_or_not1_b32 s26, s27, exec_lo
.LBB79_263:
	s_wait_xcnt 0x0
	s_or_b32 exec_lo, exec_lo, s43
	s_mov_b32 s27, 0
	s_mov_b32 s0, 0
                                        ; implicit-def: $vgpr4_vgpr5
                                        ; implicit-def: $vgpr2
                                        ; implicit-def: $vgpr6
	s_and_saveexec_b32 s43, s26
	s_cbranch_execz .LBB79_271
; %bb.264:
	s_mov_b32 s0, -1
	s_mov_b32 s44, s42
	s_mov_b32 s45, s20
	s_mov_b32 s46, exec_lo
	v_cmpx_gt_i32_e64 s39, v0
	s_cbranch_execz .LBB79_538
; %bb.265:
	s_and_not1_b32 vcc_lo, exec_lo, s35
	s_cbranch_vccnz .LBB79_274
; %bb.266:
	s_and_not1_b32 vcc_lo, exec_lo, s41
	s_cbranch_vccnz .LBB79_275
; %bb.267:
	s_add_co_i32 s0, s40, 1
	s_cmp_eq_u32 s34, 2
	s_cbranch_scc1 .LBB79_276
; %bb.268:
	v_dual_mov_b32 v2, 0 :: v_dual_mov_b32 v4, 0
	v_mov_b32_e32 v1, v0
	s_and_b32 s26, s0, 28
	s_mov_b64 s[28:29], s[16:17]
	s_mov_b64 s[30:31], s[24:25]
.LBB79_269:                             ; =>This Inner Loop Header: Depth=1
	s_clause 0x1
	s_load_b256 s[48:55], s[28:29], 0x4
	s_load_b128 s[64:67], s[28:29], 0x24
	s_load_b256 s[56:63], s[30:31], 0x0
	s_add_co_i32 s27, s27, 4
	s_wait_xcnt 0x0
	s_add_nc_u64 s[28:29], s[28:29], 48
	s_cmp_eq_u32 s26, s27
	s_add_nc_u64 s[30:31], s[30:31], 32
	s_wait_kmcnt 0x0
	v_mul_hi_u32 v3, s49, v1
	s_delay_alu instid0(VALU_DEP_1) | instskip(NEXT) | instid1(VALU_DEP_1)
	v_add_nc_u32_e32 v3, v1, v3
	v_lshrrev_b32_e32 v3, s50, v3
	s_delay_alu instid0(VALU_DEP_1) | instskip(NEXT) | instid1(VALU_DEP_1)
	v_mul_hi_u32 v5, s52, v3
	v_add_nc_u32_e32 v5, v3, v5
	s_delay_alu instid0(VALU_DEP_1) | instskip(SKIP_1) | instid1(VALU_DEP_1)
	v_lshrrev_b32_e32 v5, s53, v5
	s_wait_loadcnt 0x0
	v_mul_hi_u32 v6, s55, v5
	s_delay_alu instid0(VALU_DEP_1) | instskip(SKIP_1) | instid1(VALU_DEP_1)
	v_add_nc_u32_e32 v6, v5, v6
	v_mul_lo_u32 v7, v3, s48
	v_sub_nc_u32_e32 v1, v1, v7
	v_mul_lo_u32 v7, v5, s51
	s_delay_alu instid0(VALU_DEP_4) | instskip(NEXT) | instid1(VALU_DEP_3)
	v_lshrrev_b32_e32 v6, s64, v6
	v_mad_u32 v4, v1, s57, v4
	v_mad_u32 v1, v1, s56, v2
	s_delay_alu instid0(VALU_DEP_4) | instskip(NEXT) | instid1(VALU_DEP_4)
	v_sub_nc_u32_e32 v2, v3, v7
	v_mul_hi_u32 v8, s66, v6
	v_mul_lo_u32 v3, v6, s54
	s_delay_alu instid0(VALU_DEP_3) | instskip(SKIP_1) | instid1(VALU_DEP_3)
	v_mad_u32 v4, v2, s59, v4
	v_mad_u32 v2, v2, s58, v1
	v_dual_add_nc_u32 v7, v6, v8 :: v_dual_sub_nc_u32 v3, v5, v3
	s_delay_alu instid0(VALU_DEP_1) | instskip(NEXT) | instid1(VALU_DEP_2)
	v_lshrrev_b32_e32 v1, s67, v7
	v_mad_u32 v4, v3, s61, v4
	s_delay_alu instid0(VALU_DEP_4) | instskip(NEXT) | instid1(VALU_DEP_3)
	v_mad_u32 v2, v3, s60, v2
	v_mul_lo_u32 v5, v1, s65
	s_delay_alu instid0(VALU_DEP_1) | instskip(NEXT) | instid1(VALU_DEP_1)
	v_sub_nc_u32_e32 v3, v6, v5
	v_mad_u32 v4, v3, s63, v4
	s_delay_alu instid0(VALU_DEP_4)
	v_mad_u32 v2, v3, s62, v2
	s_cbranch_scc0 .LBB79_269
; %bb.270:
	s_delay_alu instid0(VALU_DEP_2)
	v_mov_b32_e32 v3, v4
	s_branch .LBB79_277
.LBB79_271:
	s_or_b32 exec_lo, exec_lo, s43
	s_mov_b32 s6, 0
	s_and_saveexec_b32 s7, s42
	s_cbranch_execnz .LBB79_912
.LBB79_272:
	s_or_b32 exec_lo, exec_lo, s7
	s_and_saveexec_b32 s7, s19
	s_delay_alu instid0(SALU_CYCLE_1)
	s_xor_b32 s7, exec_lo, s7
	s_cbranch_execz .LBB79_913
.LBB79_273:
	global_load_u8 v0, v[4:5], off
	s_or_b32 s0, s0, exec_lo
	s_wait_loadcnt 0x0
	v_cmp_ne_u16_e32 vcc_lo, 0, v0
	v_cndmask_b32_e64 v6, 0, 1, vcc_lo
	s_wait_xcnt 0x0
	s_or_b32 exec_lo, exec_lo, s7
	s_and_saveexec_b32 s7, s27
	s_cbranch_execz .LBB79_959
	s_branch .LBB79_914
.LBB79_274:
                                        ; implicit-def: $vgpr4
                                        ; implicit-def: $vgpr2
	s_and_not1_b32 vcc_lo, exec_lo, s0
	s_cbranch_vccnz .LBB79_284
	s_branch .LBB79_282
.LBB79_275:
	v_dual_mov_b32 v4, 0 :: v_dual_mov_b32 v2, 0
	s_branch .LBB79_281
.LBB79_276:
	v_mov_b64_e32 v[2:3], 0
	v_mov_b32_e32 v1, v0
	s_mov_b32 s26, 0
                                        ; implicit-def: $vgpr4
.LBB79_277:
	s_and_b32 s0, s0, 3
	s_mov_b32 s27, 0
	s_cmp_eq_u32 s0, 0
	s_cbranch_scc1 .LBB79_281
; %bb.278:
	s_lshl_b32 s28, s26, 3
	s_mov_b32 s29, s27
	s_mul_u64 s[30:31], s[26:27], 12
	s_add_nc_u64 s[28:29], s[16:17], s[28:29]
	s_delay_alu instid0(SALU_CYCLE_1)
	s_add_nc_u64 s[26:27], s[28:29], 0xc4
	s_add_nc_u64 s[28:29], s[16:17], s[30:31]
.LBB79_279:                             ; =>This Inner Loop Header: Depth=1
	s_load_b96 s[48:50], s[28:29], 0x4
	s_load_b64 s[30:31], s[26:27], 0x0
	s_add_co_i32 s0, s0, -1
	s_wait_xcnt 0x0
	s_add_nc_u64 s[28:29], s[28:29], 12
	s_cmp_lg_u32 s0, 0
	s_add_nc_u64 s[26:27], s[26:27], 8
	s_wait_kmcnt 0x0
	v_mul_hi_u32 v4, s49, v1
	s_delay_alu instid0(VALU_DEP_1) | instskip(NEXT) | instid1(VALU_DEP_1)
	v_add_nc_u32_e32 v4, v1, v4
	v_lshrrev_b32_e32 v4, s50, v4
	s_delay_alu instid0(VALU_DEP_1) | instskip(NEXT) | instid1(VALU_DEP_1)
	v_mul_lo_u32 v5, v4, s48
	v_sub_nc_u32_e32 v1, v1, v5
	s_delay_alu instid0(VALU_DEP_1)
	v_mad_u32 v3, v1, s31, v3
	v_mad_u32 v2, v1, s30, v2
	v_mov_b32_e32 v1, v4
	s_cbranch_scc1 .LBB79_279
; %bb.280:
	s_delay_alu instid0(VALU_DEP_3)
	v_mov_b32_e32 v4, v3
.LBB79_281:
	s_cbranch_execnz .LBB79_284
.LBB79_282:
	v_mov_b32_e32 v1, 0
	s_and_not1_b32 vcc_lo, exec_lo, s38
	s_delay_alu instid0(VALU_DEP_1) | instskip(NEXT) | instid1(VALU_DEP_1)
	v_mul_u64_e32 v[2:3], s[18:19], v[0:1]
	v_add_nc_u32_e32 v2, v0, v3
	s_wait_loadcnt 0x0
	s_delay_alu instid0(VALU_DEP_1) | instskip(NEXT) | instid1(VALU_DEP_1)
	v_lshrrev_b32_e32 v6, s10, v2
	v_mul_lo_u32 v2, v6, s8
	s_delay_alu instid0(VALU_DEP_1) | instskip(NEXT) | instid1(VALU_DEP_1)
	v_sub_nc_u32_e32 v2, v0, v2
	v_mul_lo_u32 v4, v2, s13
	v_mul_lo_u32 v2, v2, s12
	s_cbranch_vccnz .LBB79_284
; %bb.283:
	v_mov_b32_e32 v7, v1
	s_delay_alu instid0(VALU_DEP_1) | instskip(NEXT) | instid1(VALU_DEP_1)
	v_mul_u64_e32 v[8:9], s[22:23], v[6:7]
	v_add_nc_u32_e32 v1, v6, v9
	s_delay_alu instid0(VALU_DEP_1) | instskip(NEXT) | instid1(VALU_DEP_1)
	v_lshrrev_b32_e32 v1, s21, v1
	v_mul_lo_u32 v1, v1, s11
	s_delay_alu instid0(VALU_DEP_1) | instskip(NEXT) | instid1(VALU_DEP_1)
	v_sub_nc_u32_e32 v1, v6, v1
	v_mad_u32 v2, v1, s14, v2
	v_mad_u32 v4, v1, s15, v4
.LBB79_284:
	v_mov_b32_e32 v5, 0
	s_and_b32 s0, 0xffff, s37
	s_delay_alu instid0(SALU_CYCLE_1) | instskip(NEXT) | instid1(VALU_DEP_1)
	s_cmp_lt_i32 s0, 11
	v_add_nc_u64_e32 v[4:5], s[6:7], v[4:5]
	s_cbranch_scc1 .LBB79_291
; %bb.285:
	s_cmp_gt_i32 s0, 25
	s_cbranch_scc0 .LBB79_300
; %bb.286:
	s_cmp_gt_i32 s0, 28
	s_cbranch_scc0 .LBB79_302
	;; [unrolled: 3-line block ×4, first 2 shown]
; %bb.289:
	s_cmp_eq_u32 s0, 46
	s_mov_b32 s28, 0
	s_cbranch_scc0 .LBB79_312
; %bb.290:
	global_load_b32 v1, v[4:5], off
	s_mov_b32 s27, -1
	s_mov_b32 s26, 0
	s_wait_loadcnt 0x0
	v_lshlrev_b32_e32 v1, 16, v1
	s_delay_alu instid0(VALU_DEP_1)
	v_cvt_i32_f32_e32 v6, v1
	s_branch .LBB79_314
.LBB79_291:
	s_mov_b32 s27, 0
	s_mov_b32 s26, s42
                                        ; implicit-def: $vgpr6
	s_cbranch_execnz .LBB79_487
.LBB79_292:
	s_and_not1_b32 vcc_lo, exec_lo, s27
	s_cbranch_vccnz .LBB79_535
.LBB79_293:
	v_mov_b32_e32 v3, 0
	s_wait_loadcnt 0x0
	s_delay_alu instid0(VALU_DEP_2) | instskip(SKIP_1) | instid1(VALU_DEP_2)
	v_cmp_ne_u16_e32 vcc_lo, s1, v6
	s_and_b32 s28, s2, 0xff
	v_add_nc_u64_e32 v[2:3], s[4:5], v[2:3]
	s_xor_b32 s27, s9, vcc_lo
	s_cmp_lt_i32 s28, 11
	s_cbranch_scc1 .LBB79_301
; %bb.294:
	s_and_b32 s29, 0xffff, s28
	s_delay_alu instid0(SALU_CYCLE_1)
	s_cmp_gt_i32 s29, 25
	s_cbranch_scc0 .LBB79_303
; %bb.295:
	s_cmp_gt_i32 s29, 28
	s_cbranch_scc0 .LBB79_305
; %bb.296:
	;; [unrolled: 3-line block ×4, first 2 shown]
	s_mov_b32 s31, 0
	s_mov_b32 s0, -1
	s_cmp_eq_u32 s29, 46
	s_mov_b32 s30, 0
	s_cbranch_scc0 .LBB79_318
; %bb.299:
	v_cndmask_b32_e64 v1, 0, 1.0, s27
	s_mov_b32 s30, -1
	s_mov_b32 s0, 0
	s_wait_xcnt 0x0
	s_delay_alu instid0(VALU_DEP_1) | instskip(NEXT) | instid1(VALU_DEP_1)
	v_bfe_u32 v4, v1, 16, 1
	v_add3_u32 v1, v1, v4, 0x7fff
	s_delay_alu instid0(VALU_DEP_1)
	v_lshrrev_b32_e32 v1, 16, v1
	global_store_b32 v[2:3], v1, off
	s_branch .LBB79_318
.LBB79_300:
	s_mov_b32 s28, -1
	s_mov_b32 s27, 0
	s_mov_b32 s26, s42
                                        ; implicit-def: $vgpr6
	s_branch .LBB79_453
.LBB79_301:
	s_mov_b32 s29, -1
	s_mov_b32 s30, 0
	s_mov_b32 s0, s20
	s_branch .LBB79_387
.LBB79_302:
	s_mov_b32 s28, -1
	s_mov_b32 s27, 0
	s_mov_b32 s26, s42
                                        ; implicit-def: $vgpr6
	s_branch .LBB79_436
.LBB79_303:
	s_mov_b32 s31, -1
	s_mov_b32 s30, 0
	s_mov_b32 s0, s20
	s_branch .LBB79_345
.LBB79_304:
	s_mov_b32 s28, -1
	s_mov_b32 s27, 0
	s_mov_b32 s26, s42
                                        ; implicit-def: $vgpr6
	s_branch .LBB79_431
.LBB79_305:
	s_mov_b32 s31, -1
	s_mov_b32 s30, 0
	s_mov_b32 s0, s20
	s_branch .LBB79_328
.LBB79_306:
	s_and_not1_saveexec_b32 s31, s31
	s_cbranch_execz .LBB79_69
.LBB79_307:
	v_add_f32_e32 v1, 0x46000000, v4
	s_and_not1_b32 s30, s30, exec_lo
	s_delay_alu instid0(VALU_DEP_1) | instskip(NEXT) | instid1(VALU_DEP_1)
	v_and_b32_e32 v1, 0xff, v1
	v_cmp_ne_u32_e32 vcc_lo, 0, v1
	s_and_b32 s42, vcc_lo, exec_lo
	s_delay_alu instid0(SALU_CYCLE_1)
	s_or_b32 s30, s30, s42
	s_or_b32 exec_lo, exec_lo, s31
	v_mov_b32_e32 v5, 0
	s_and_saveexec_b32 s31, s30
	s_cbranch_execnz .LBB79_70
	s_branch .LBB79_71
.LBB79_308:
	s_mov_b32 s28, -1
	s_mov_b32 s27, 0
	s_mov_b32 s26, s42
	s_branch .LBB79_313
.LBB79_309:
	s_mov_b32 s31, -1
	s_mov_b32 s30, 0
	s_mov_b32 s0, s20
	s_branch .LBB79_324
.LBB79_310:
	s_and_not1_saveexec_b32 s31, s31
	s_cbranch_execz .LBB79_82
.LBB79_311:
	v_add_f32_e32 v1, 0x42800000, v4
	s_and_not1_b32 s30, s30, exec_lo
	s_delay_alu instid0(VALU_DEP_1) | instskip(NEXT) | instid1(VALU_DEP_1)
	v_and_b32_e32 v1, 0xff, v1
	v_cmp_ne_u32_e32 vcc_lo, 0, v1
	s_and_b32 s42, vcc_lo, exec_lo
	s_delay_alu instid0(SALU_CYCLE_1)
	s_or_b32 s30, s30, s42
	s_or_b32 exec_lo, exec_lo, s31
	v_mov_b32_e32 v5, 0
	s_and_saveexec_b32 s31, s30
	s_cbranch_execnz .LBB79_83
	s_branch .LBB79_84
.LBB79_312:
	s_mov_b32 s26, -1
	s_mov_b32 s27, 0
.LBB79_313:
                                        ; implicit-def: $vgpr6
.LBB79_314:
	s_and_b32 vcc_lo, exec_lo, s28
	s_cbranch_vccz .LBB79_430
; %bb.315:
	s_cmp_eq_u32 s0, 44
	s_cbranch_scc0 .LBB79_429
; %bb.316:
	global_load_u8 v1, v[4:5], off
	s_mov_b32 s26, 0
	s_mov_b32 s27, -1
	s_wait_loadcnt 0x0
	v_lshlrev_b32_e32 v3, 23, v1
	v_cmp_ne_u32_e32 vcc_lo, 0, v1
	s_delay_alu instid0(VALU_DEP_2) | instskip(NEXT) | instid1(VALU_DEP_1)
	v_cvt_i32_f32_e32 v3, v3
	v_cndmask_b32_e32 v6, 0, v3, vcc_lo
	s_branch .LBB79_430
.LBB79_317:
	s_mov_b32 s31, -1
	s_mov_b32 s30, 0
	s_mov_b32 s0, s20
.LBB79_318:
	s_and_b32 vcc_lo, exec_lo, s31
	s_cbranch_vccz .LBB79_323
; %bb.319:
	s_cmp_eq_u32 s29, 44
	s_mov_b32 s0, -1
	s_cbranch_scc0 .LBB79_323
; %bb.320:
	s_wait_xcnt 0x0
	v_cndmask_b32_e64 v5, 0, 1.0, s27
	s_mov_b32 s30, exec_lo
	s_delay_alu instid0(VALU_DEP_1) | instskip(NEXT) | instid1(VALU_DEP_1)
	v_dual_mov_b32 v4, 0xff :: v_dual_lshrrev_b32 v1, 23, v5
	v_cmpx_ne_u32_e32 0xff, v1
; %bb.321:
	v_and_b32_e32 v4, 0x400000, v5
	v_and_or_b32 v5, 0x3fffff, v5, v1
	s_delay_alu instid0(VALU_DEP_2) | instskip(NEXT) | instid1(VALU_DEP_2)
	v_cmp_ne_u32_e32 vcc_lo, 0, v4
	v_cmp_ne_u32_e64 s0, 0, v5
	s_and_b32 s0, vcc_lo, s0
	s_delay_alu instid0(SALU_CYCLE_1) | instskip(NEXT) | instid1(VALU_DEP_1)
	v_cndmask_b32_e64 v4, 0, 1, s0
	v_add_nc_u32_e32 v4, v1, v4
; %bb.322:
	s_or_b32 exec_lo, exec_lo, s30
	s_mov_b32 s30, -1
	s_mov_b32 s0, 0
	global_store_b8 v[2:3], v4, off
.LBB79_323:
	s_mov_b32 s31, 0
.LBB79_324:
	s_delay_alu instid0(SALU_CYCLE_1)
	s_and_b32 vcc_lo, exec_lo, s31
	s_cbranch_vccz .LBB79_327
; %bb.325:
	s_cmp_eq_u32 s29, 29
	s_mov_b32 s0, -1
	s_cbranch_scc0 .LBB79_327
; %bb.326:
	s_mov_b32 s0, 0
	s_wait_xcnt 0x0
	v_cndmask_b32_e64 v4, 0, 1, s27
	v_mov_b32_e32 v5, s0
	s_mov_b32 s30, -1
	s_mov_b32 s31, 0
	global_store_b64 v[2:3], v[4:5], off
	s_branch .LBB79_328
.LBB79_327:
	s_mov_b32 s31, 0
.LBB79_328:
	s_delay_alu instid0(SALU_CYCLE_1)
	s_and_b32 vcc_lo, exec_lo, s31
	s_cbranch_vccz .LBB79_344
; %bb.329:
	s_cmp_lt_i32 s29, 27
	s_mov_b32 s30, -1
	s_cbranch_scc1 .LBB79_335
; %bb.330:
	s_cmp_gt_i32 s29, 27
	s_cbranch_scc0 .LBB79_332
; %bb.331:
	s_wait_xcnt 0x0
	v_cndmask_b32_e64 v1, 0, 1, s27
	s_mov_b32 s30, 0
	global_store_b32 v[2:3], v1, off
.LBB79_332:
	s_and_not1_b32 vcc_lo, exec_lo, s30
	s_cbranch_vccnz .LBB79_334
; %bb.333:
	s_wait_xcnt 0x0
	v_cndmask_b32_e64 v1, 0, 1, s27
	global_store_b16 v[2:3], v1, off
.LBB79_334:
	s_mov_b32 s30, 0
.LBB79_335:
	s_delay_alu instid0(SALU_CYCLE_1)
	s_and_not1_b32 vcc_lo, exec_lo, s30
	s_cbranch_vccnz .LBB79_343
; %bb.336:
	s_wait_xcnt 0x0
	v_cndmask_b32_e64 v4, 0, 1.0, s27
	v_mov_b32_e32 v5, 0x80
	s_mov_b32 s30, exec_lo
	s_delay_alu instid0(VALU_DEP_2)
	v_cmpx_gt_u32_e32 0x43800000, v4
	s_cbranch_execz .LBB79_342
; %bb.337:
	s_mov_b32 s31, 0
	s_mov_b32 s44, exec_lo
                                        ; implicit-def: $vgpr1
	v_cmpx_lt_u32_e32 0x3bffffff, v4
	s_xor_b32 s44, exec_lo, s44
	s_cbranch_execz .LBB79_568
; %bb.338:
	v_bfe_u32 v1, v4, 20, 1
	s_mov_b32 s31, exec_lo
	s_delay_alu instid0(VALU_DEP_1) | instskip(NEXT) | instid1(VALU_DEP_1)
	v_add3_u32 v1, v4, v1, 0x487ffff
                                        ; implicit-def: $vgpr4
	v_lshrrev_b32_e32 v1, 20, v1
	s_and_not1_saveexec_b32 s44, s44
	s_cbranch_execnz .LBB79_569
.LBB79_339:
	s_or_b32 exec_lo, exec_lo, s44
	v_mov_b32_e32 v5, 0
	s_and_saveexec_b32 s44, s31
.LBB79_340:
	v_mov_b32_e32 v5, v1
.LBB79_341:
	s_or_b32 exec_lo, exec_lo, s44
.LBB79_342:
	s_delay_alu instid0(SALU_CYCLE_1)
	s_or_b32 exec_lo, exec_lo, s30
	global_store_b8 v[2:3], v5, off
.LBB79_343:
	s_mov_b32 s30, -1
.LBB79_344:
	s_mov_b32 s31, 0
.LBB79_345:
	s_delay_alu instid0(SALU_CYCLE_1)
	s_and_b32 vcc_lo, exec_lo, s31
	s_cbranch_vccz .LBB79_386
; %bb.346:
	s_cmp_gt_i32 s29, 22
	s_mov_b32 s31, -1
	s_cbranch_scc0 .LBB79_378
; %bb.347:
	s_cmp_lt_i32 s29, 24
	s_mov_b32 s30, -1
	s_cbranch_scc1 .LBB79_367
; %bb.348:
	s_cmp_gt_i32 s29, 24
	s_cbranch_scc0 .LBB79_356
; %bb.349:
	s_wait_xcnt 0x0
	v_cndmask_b32_e64 v4, 0, 1.0, s27
	v_mov_b32_e32 v5, 0x80
	s_mov_b32 s30, exec_lo
	s_delay_alu instid0(VALU_DEP_2)
	v_cmpx_gt_u32_e32 0x47800000, v4
	s_cbranch_execz .LBB79_355
; %bb.350:
	s_mov_b32 s31, 0
	s_mov_b32 s44, exec_lo
                                        ; implicit-def: $vgpr1
	v_cmpx_lt_u32_e32 0x37ffffff, v4
	s_xor_b32 s44, exec_lo, s44
	s_cbranch_execz .LBB79_571
; %bb.351:
	v_bfe_u32 v1, v4, 21, 1
	s_mov_b32 s31, exec_lo
	s_delay_alu instid0(VALU_DEP_1) | instskip(NEXT) | instid1(VALU_DEP_1)
	v_add3_u32 v1, v4, v1, 0x88fffff
                                        ; implicit-def: $vgpr4
	v_lshrrev_b32_e32 v1, 21, v1
	s_and_not1_saveexec_b32 s44, s44
	s_cbranch_execnz .LBB79_572
.LBB79_352:
	s_or_b32 exec_lo, exec_lo, s44
	v_mov_b32_e32 v5, 0
	s_and_saveexec_b32 s44, s31
.LBB79_353:
	v_mov_b32_e32 v5, v1
.LBB79_354:
	s_or_b32 exec_lo, exec_lo, s44
.LBB79_355:
	s_delay_alu instid0(SALU_CYCLE_1)
	s_or_b32 exec_lo, exec_lo, s30
	s_mov_b32 s30, 0
	global_store_b8 v[2:3], v5, off
.LBB79_356:
	s_and_b32 vcc_lo, exec_lo, s30
	s_cbranch_vccz .LBB79_366
; %bb.357:
	s_wait_xcnt 0x0
	v_cndmask_b32_e64 v4, 0, 1.0, s27
	s_mov_b32 s30, exec_lo
                                        ; implicit-def: $vgpr1
	s_delay_alu instid0(VALU_DEP_1)
	v_cmpx_gt_u32_e32 0x43f00000, v4
	s_xor_b32 s30, exec_lo, s30
	s_cbranch_execz .LBB79_363
; %bb.358:
	s_mov_b32 s31, exec_lo
                                        ; implicit-def: $vgpr1
	v_cmpx_lt_u32_e32 0x3c7fffff, v4
	s_xor_b32 s31, exec_lo, s31
; %bb.359:
	v_bfe_u32 v1, v4, 20, 1
	s_delay_alu instid0(VALU_DEP_1) | instskip(NEXT) | instid1(VALU_DEP_1)
	v_add3_u32 v1, v4, v1, 0x407ffff
	v_and_b32_e32 v4, 0xff00000, v1
	v_lshrrev_b32_e32 v1, 20, v1
	s_delay_alu instid0(VALU_DEP_2) | instskip(NEXT) | instid1(VALU_DEP_2)
	v_cmp_ne_u32_e32 vcc_lo, 0x7f00000, v4
                                        ; implicit-def: $vgpr4
	v_cndmask_b32_e32 v1, 0x7e, v1, vcc_lo
; %bb.360:
	s_and_not1_saveexec_b32 s31, s31
; %bb.361:
	v_add_f32_e32 v1, 0x46800000, v4
; %bb.362:
	s_or_b32 exec_lo, exec_lo, s31
                                        ; implicit-def: $vgpr4
.LBB79_363:
	s_and_not1_saveexec_b32 s30, s30
; %bb.364:
	v_mov_b32_e32 v1, 0x7f
	v_cmp_lt_u32_e32 vcc_lo, 0x7f800000, v4
	s_delay_alu instid0(VALU_DEP_2)
	v_cndmask_b32_e32 v1, 0x7e, v1, vcc_lo
; %bb.365:
	s_or_b32 exec_lo, exec_lo, s30
	global_store_b8 v[2:3], v1, off
.LBB79_366:
	s_mov_b32 s30, 0
.LBB79_367:
	s_delay_alu instid0(SALU_CYCLE_1)
	s_and_not1_b32 vcc_lo, exec_lo, s30
	s_cbranch_vccnz .LBB79_377
; %bb.368:
	s_wait_xcnt 0x0
	v_cndmask_b32_e64 v4, 0, 1.0, s27
	s_mov_b32 s30, exec_lo
                                        ; implicit-def: $vgpr1
	s_delay_alu instid0(VALU_DEP_1)
	v_cmpx_gt_u32_e32 0x47800000, v4
	s_xor_b32 s30, exec_lo, s30
	s_cbranch_execz .LBB79_374
; %bb.369:
	s_mov_b32 s31, exec_lo
                                        ; implicit-def: $vgpr1
	v_cmpx_lt_u32_e32 0x387fffff, v4
	s_xor_b32 s31, exec_lo, s31
; %bb.370:
	v_bfe_u32 v1, v4, 21, 1
	s_delay_alu instid0(VALU_DEP_1) | instskip(NEXT) | instid1(VALU_DEP_1)
	v_add3_u32 v1, v4, v1, 0x80fffff
                                        ; implicit-def: $vgpr4
	v_lshrrev_b32_e32 v1, 21, v1
; %bb.371:
	s_and_not1_saveexec_b32 s31, s31
; %bb.372:
	v_add_f32_e32 v1, 0x43000000, v4
; %bb.373:
	s_or_b32 exec_lo, exec_lo, s31
                                        ; implicit-def: $vgpr4
.LBB79_374:
	s_and_not1_saveexec_b32 s30, s30
; %bb.375:
	v_mov_b32_e32 v1, 0x7f
	v_cmp_lt_u32_e32 vcc_lo, 0x7f800000, v4
	s_delay_alu instid0(VALU_DEP_2)
	v_cndmask_b32_e32 v1, 0x7c, v1, vcc_lo
; %bb.376:
	s_or_b32 exec_lo, exec_lo, s30
	global_store_b8 v[2:3], v1, off
.LBB79_377:
	s_mov_b32 s31, 0
	s_mov_b32 s30, -1
.LBB79_378:
	s_and_not1_b32 vcc_lo, exec_lo, s31
	s_cbranch_vccnz .LBB79_386
; %bb.379:
	s_cmp_gt_i32 s29, 14
	s_mov_b32 s31, -1
	s_cbranch_scc0 .LBB79_383
; %bb.380:
	s_cmp_eq_u32 s29, 15
	s_mov_b32 s0, -1
	s_cbranch_scc0 .LBB79_382
; %bb.381:
	s_wait_xcnt 0x0
	v_cndmask_b32_e64 v1, 0, 1.0, s27
	s_mov_b32 s30, -1
	s_mov_b32 s0, 0
	s_delay_alu instid0(VALU_DEP_1) | instskip(NEXT) | instid1(VALU_DEP_1)
	v_bfe_u32 v4, v1, 16, 1
	v_add3_u32 v1, v1, v4, 0x7fff
	global_store_d16_hi_b16 v[2:3], v1, off
.LBB79_382:
	s_mov_b32 s31, 0
.LBB79_383:
	s_delay_alu instid0(SALU_CYCLE_1)
	s_and_b32 vcc_lo, exec_lo, s31
	s_cbranch_vccz .LBB79_386
; %bb.384:
	s_cmp_eq_u32 s29, 11
	s_mov_b32 s0, -1
	s_cbranch_scc0 .LBB79_386
; %bb.385:
	s_wait_xcnt 0x0
	v_cndmask_b32_e64 v1, 0, 1, s27
	s_mov_b32 s30, -1
	s_mov_b32 s0, 0
	global_store_b8 v[2:3], v1, off
.LBB79_386:
	s_mov_b32 s29, 0
.LBB79_387:
	s_delay_alu instid0(SALU_CYCLE_1)
	s_and_b32 vcc_lo, exec_lo, s29
	s_cbranch_vccz .LBB79_426
; %bb.388:
	s_and_b32 s28, 0xffff, s28
	s_mov_b32 s29, -1
	s_cmp_lt_i32 s28, 5
	s_cbranch_scc1 .LBB79_409
; %bb.389:
	s_cmp_lt_i32 s28, 8
	s_cbranch_scc1 .LBB79_399
; %bb.390:
	;; [unrolled: 3-line block ×3, first 2 shown]
	s_cmp_gt_i32 s28, 9
	s_cbranch_scc0 .LBB79_393
; %bb.392:
	s_wait_xcnt 0x0
	v_cndmask_b32_e64 v1, 0, 1, s27
	v_mov_b32_e32 v6, 0
	s_mov_b32 s29, 0
	s_delay_alu instid0(VALU_DEP_2) | instskip(NEXT) | instid1(VALU_DEP_2)
	v_cvt_f64_u32_e32 v[4:5], v1
	v_mov_b32_e32 v7, v6
	global_store_b128 v[2:3], v[4:7], off
.LBB79_393:
	s_and_not1_b32 vcc_lo, exec_lo, s29
	s_cbranch_vccnz .LBB79_395
; %bb.394:
	s_wait_xcnt 0x0
	v_cndmask_b32_e64 v4, 0, 1.0, s27
	v_mov_b32_e32 v5, 0
	global_store_b64 v[2:3], v[4:5], off
.LBB79_395:
	s_mov_b32 s29, 0
.LBB79_396:
	s_delay_alu instid0(SALU_CYCLE_1)
	s_and_not1_b32 vcc_lo, exec_lo, s29
	s_cbranch_vccnz .LBB79_398
; %bb.397:
	s_wait_xcnt 0x0
	v_cndmask_b32_e64 v1, 0, 1.0, s27
	s_delay_alu instid0(VALU_DEP_1) | instskip(NEXT) | instid1(VALU_DEP_1)
	v_cvt_f16_f32_e32 v1, v1
	v_and_b32_e32 v1, 0xffff, v1
	global_store_b32 v[2:3], v1, off
.LBB79_398:
	s_mov_b32 s29, 0
.LBB79_399:
	s_delay_alu instid0(SALU_CYCLE_1)
	s_and_not1_b32 vcc_lo, exec_lo, s29
	s_cbranch_vccnz .LBB79_408
; %bb.400:
	s_cmp_lt_i32 s28, 6
	s_mov_b32 s29, -1
	s_cbranch_scc1 .LBB79_406
; %bb.401:
	s_cmp_gt_i32 s28, 6
	s_cbranch_scc0 .LBB79_403
; %bb.402:
	s_wait_xcnt 0x0
	v_cndmask_b32_e64 v1, 0, 1, s27
	s_mov_b32 s29, 0
	s_delay_alu instid0(VALU_DEP_1)
	v_cvt_f64_u32_e32 v[4:5], v1
	global_store_b64 v[2:3], v[4:5], off
.LBB79_403:
	s_and_not1_b32 vcc_lo, exec_lo, s29
	s_cbranch_vccnz .LBB79_405
; %bb.404:
	s_wait_xcnt 0x0
	v_cndmask_b32_e64 v1, 0, 1.0, s27
	global_store_b32 v[2:3], v1, off
.LBB79_405:
	s_mov_b32 s29, 0
.LBB79_406:
	s_delay_alu instid0(SALU_CYCLE_1)
	s_and_not1_b32 vcc_lo, exec_lo, s29
	s_cbranch_vccnz .LBB79_408
; %bb.407:
	s_wait_xcnt 0x0
	v_cndmask_b32_e64 v1, 0, 1.0, s27
	s_delay_alu instid0(VALU_DEP_1)
	v_cvt_f16_f32_e32 v1, v1
	global_store_b16 v[2:3], v1, off
.LBB79_408:
	s_mov_b32 s29, 0
.LBB79_409:
	s_delay_alu instid0(SALU_CYCLE_1)
	s_and_not1_b32 vcc_lo, exec_lo, s29
	s_cbranch_vccnz .LBB79_425
; %bb.410:
	s_cmp_lt_i32 s28, 2
	s_mov_b32 s29, -1
	s_cbranch_scc1 .LBB79_420
; %bb.411:
	s_cmp_lt_i32 s28, 3
	s_cbranch_scc1 .LBB79_417
; %bb.412:
	s_cmp_gt_i32 s28, 3
	s_cbranch_scc0 .LBB79_414
; %bb.413:
	s_mov_b32 s29, 0
	s_wait_xcnt 0x0
	v_cndmask_b32_e64 v4, 0, 1, s27
	v_mov_b32_e32 v5, s29
	global_store_b64 v[2:3], v[4:5], off
.LBB79_414:
	s_and_not1_b32 vcc_lo, exec_lo, s29
	s_cbranch_vccnz .LBB79_416
; %bb.415:
	s_wait_xcnt 0x0
	v_cndmask_b32_e64 v1, 0, 1, s27
	global_store_b32 v[2:3], v1, off
.LBB79_416:
	s_mov_b32 s29, 0
.LBB79_417:
	s_delay_alu instid0(SALU_CYCLE_1)
	s_and_not1_b32 vcc_lo, exec_lo, s29
	s_cbranch_vccnz .LBB79_419
; %bb.418:
	s_wait_xcnt 0x0
	v_cndmask_b32_e64 v1, 0, 1, s27
	global_store_b16 v[2:3], v1, off
.LBB79_419:
	s_mov_b32 s29, 0
.LBB79_420:
	s_delay_alu instid0(SALU_CYCLE_1)
	s_and_not1_b32 vcc_lo, exec_lo, s29
	s_cbranch_vccnz .LBB79_425
; %bb.421:
	s_wait_xcnt 0x0
	v_cndmask_b32_e64 v1, 0, 1, s27
	s_cmp_gt_i32 s28, 0
	s_mov_b32 s27, -1
	s_cbranch_scc0 .LBB79_423
; %bb.422:
	s_mov_b32 s27, 0
	global_store_b8 v[2:3], v1, off
.LBB79_423:
	s_and_not1_b32 vcc_lo, exec_lo, s27
	s_cbranch_vccnz .LBB79_425
; %bb.424:
	global_store_b8 v[2:3], v1, off
.LBB79_425:
	s_mov_b32 s30, -1
.LBB79_426:
	s_delay_alu instid0(SALU_CYCLE_1)
	s_and_not1_b32 vcc_lo, exec_lo, s30
	s_cbranch_vccnz .LBB79_428
; %bb.427:
	v_add_nc_u32_e32 v0, 0x80, v0
	s_mov_b32 s27, -1
	s_branch .LBB79_537
.LBB79_428:
	s_mov_b32 s27, 0
	s_branch .LBB79_536
.LBB79_429:
	s_mov_b32 s26, -1
                                        ; implicit-def: $vgpr6
.LBB79_430:
	s_mov_b32 s28, 0
.LBB79_431:
	s_delay_alu instid0(SALU_CYCLE_1)
	s_and_b32 vcc_lo, exec_lo, s28
	s_cbranch_vccz .LBB79_435
; %bb.432:
	s_cmp_eq_u32 s0, 29
	s_cbranch_scc0 .LBB79_434
; %bb.433:
	s_wait_loadcnt 0x0
	global_load_b64 v[6:7], v[4:5], off
	s_mov_b32 s27, -1
	s_mov_b32 s26, 0
	s_branch .LBB79_435
.LBB79_434:
	s_mov_b32 s26, -1
                                        ; implicit-def: $vgpr6
.LBB79_435:
	s_mov_b32 s28, 0
.LBB79_436:
	s_delay_alu instid0(SALU_CYCLE_1)
	s_and_b32 vcc_lo, exec_lo, s28
	s_cbranch_vccz .LBB79_452
; %bb.437:
	s_cmp_lt_i32 s0, 27
	s_cbranch_scc1 .LBB79_440
; %bb.438:
	s_cmp_gt_i32 s0, 27
	s_cbranch_scc0 .LBB79_441
; %bb.439:
	s_wait_loadcnt 0x0
	global_load_b32 v6, v[4:5], off
	s_mov_b32 s27, 0
	s_branch .LBB79_442
.LBB79_440:
	s_mov_b32 s27, -1
                                        ; implicit-def: $vgpr6
	s_branch .LBB79_445
.LBB79_441:
	s_mov_b32 s27, -1
                                        ; implicit-def: $vgpr6
.LBB79_442:
	s_delay_alu instid0(SALU_CYCLE_1)
	s_and_not1_b32 vcc_lo, exec_lo, s27
	s_cbranch_vccnz .LBB79_444
; %bb.443:
	s_wait_loadcnt 0x0
	global_load_u16 v6, v[4:5], off
.LBB79_444:
	s_mov_b32 s27, 0
.LBB79_445:
	s_delay_alu instid0(SALU_CYCLE_1)
	s_and_not1_b32 vcc_lo, exec_lo, s27
	s_cbranch_vccnz .LBB79_451
; %bb.446:
	global_load_u8 v1, v[4:5], off
	s_mov_b32 s28, 0
	s_mov_b32 s27, exec_lo
	s_wait_loadcnt 0x0
	v_cmpx_lt_i16_e32 0x7f, v1
	s_xor_b32 s27, exec_lo, s27
	s_cbranch_execz .LBB79_463
; %bb.447:
	v_cmp_ne_u16_e32 vcc_lo, 0x80, v1
	s_and_b32 s28, vcc_lo, exec_lo
	s_and_not1_saveexec_b32 s27, s27
	s_cbranch_execnz .LBB79_464
.LBB79_448:
	s_or_b32 exec_lo, exec_lo, s27
	v_mov_b32_e32 v6, 0
	s_and_saveexec_b32 s27, s28
	s_cbranch_execz .LBB79_450
.LBB79_449:
	v_and_b32_e32 v3, 0xffff, v1
	s_delay_alu instid0(VALU_DEP_1) | instskip(SKIP_1) | instid1(VALU_DEP_2)
	v_dual_lshlrev_b32 v1, 24, v1 :: v_dual_bitop2_b32 v6, 7, v3 bitop3:0x40
	v_bfe_u32 v9, v3, 3, 4
	v_and_b32_e32 v1, 0x80000000, v1
	s_delay_alu instid0(VALU_DEP_3) | instskip(NEXT) | instid1(VALU_DEP_3)
	v_clz_i32_u32_e32 v7, v6
	v_cmp_eq_u32_e32 vcc_lo, 0, v9
	s_delay_alu instid0(VALU_DEP_2) | instskip(NEXT) | instid1(VALU_DEP_1)
	v_min_u32_e32 v7, 32, v7
	v_subrev_nc_u32_e32 v8, 28, v7
	v_sub_nc_u32_e32 v7, 29, v7
	s_delay_alu instid0(VALU_DEP_2) | instskip(NEXT) | instid1(VALU_DEP_2)
	v_lshlrev_b32_e32 v3, v8, v3
	v_cndmask_b32_e32 v7, v9, v7, vcc_lo
	s_delay_alu instid0(VALU_DEP_2) | instskip(NEXT) | instid1(VALU_DEP_1)
	v_and_b32_e32 v3, 7, v3
	v_cndmask_b32_e32 v3, v6, v3, vcc_lo
	s_delay_alu instid0(VALU_DEP_3) | instskip(NEXT) | instid1(VALU_DEP_2)
	v_lshl_add_u32 v6, v7, 23, 0x3b800000
	v_lshlrev_b32_e32 v3, 20, v3
	s_delay_alu instid0(VALU_DEP_1) | instskip(NEXT) | instid1(VALU_DEP_1)
	v_or3_b32 v1, v1, v6, v3
	v_cvt_i32_f32_e32 v6, v1
.LBB79_450:
	s_or_b32 exec_lo, exec_lo, s27
.LBB79_451:
	s_mov_b32 s27, -1
.LBB79_452:
	s_mov_b32 s28, 0
.LBB79_453:
	s_delay_alu instid0(SALU_CYCLE_1)
	s_and_b32 vcc_lo, exec_lo, s28
	s_cbranch_vccz .LBB79_486
; %bb.454:
	s_cmp_gt_i32 s0, 22
	s_cbranch_scc0 .LBB79_462
; %bb.455:
	s_cmp_lt_i32 s0, 24
	s_cbranch_scc1 .LBB79_465
; %bb.456:
	s_cmp_gt_i32 s0, 24
	s_cbranch_scc0 .LBB79_466
; %bb.457:
	global_load_u8 v1, v[4:5], off
	s_mov_b32 s28, 0
	s_mov_b32 s27, exec_lo
	s_wait_loadcnt 0x0
	v_cmpx_lt_i16_e32 0x7f, v1
	s_xor_b32 s27, exec_lo, s27
	s_cbranch_execz .LBB79_478
; %bb.458:
	v_cmp_ne_u16_e32 vcc_lo, 0x80, v1
	s_and_b32 s28, vcc_lo, exec_lo
	s_and_not1_saveexec_b32 s27, s27
	s_cbranch_execnz .LBB79_479
.LBB79_459:
	s_or_b32 exec_lo, exec_lo, s27
	v_mov_b32_e32 v6, 0
	s_and_saveexec_b32 s27, s28
	s_cbranch_execz .LBB79_461
.LBB79_460:
	v_and_b32_e32 v3, 0xffff, v1
	s_delay_alu instid0(VALU_DEP_1) | instskip(SKIP_1) | instid1(VALU_DEP_2)
	v_dual_lshlrev_b32 v1, 24, v1 :: v_dual_bitop2_b32 v6, 3, v3 bitop3:0x40
	v_bfe_u32 v9, v3, 2, 5
	v_and_b32_e32 v1, 0x80000000, v1
	s_delay_alu instid0(VALU_DEP_3) | instskip(NEXT) | instid1(VALU_DEP_3)
	v_clz_i32_u32_e32 v7, v6
	v_cmp_eq_u32_e32 vcc_lo, 0, v9
	s_delay_alu instid0(VALU_DEP_2) | instskip(NEXT) | instid1(VALU_DEP_1)
	v_min_u32_e32 v7, 32, v7
	v_subrev_nc_u32_e32 v8, 29, v7
	v_sub_nc_u32_e32 v7, 30, v7
	s_delay_alu instid0(VALU_DEP_2) | instskip(NEXT) | instid1(VALU_DEP_2)
	v_lshlrev_b32_e32 v3, v8, v3
	v_cndmask_b32_e32 v7, v9, v7, vcc_lo
	s_delay_alu instid0(VALU_DEP_2) | instskip(NEXT) | instid1(VALU_DEP_1)
	v_and_b32_e32 v3, 3, v3
	v_cndmask_b32_e32 v3, v6, v3, vcc_lo
	s_delay_alu instid0(VALU_DEP_3) | instskip(NEXT) | instid1(VALU_DEP_2)
	v_lshl_add_u32 v6, v7, 23, 0x37800000
	v_lshlrev_b32_e32 v3, 21, v3
	s_delay_alu instid0(VALU_DEP_1) | instskip(NEXT) | instid1(VALU_DEP_1)
	v_or3_b32 v1, v1, v6, v3
	v_cvt_i32_f32_e32 v6, v1
.LBB79_461:
	s_or_b32 exec_lo, exec_lo, s27
	s_mov_b32 s27, 0
	s_branch .LBB79_467
.LBB79_462:
	s_mov_b32 s28, -1
                                        ; implicit-def: $vgpr6
	s_branch .LBB79_473
.LBB79_463:
	s_and_not1_saveexec_b32 s27, s27
	s_cbranch_execz .LBB79_448
.LBB79_464:
	v_cmp_ne_u16_e32 vcc_lo, 0, v1
	s_and_not1_b32 s28, s28, exec_lo
	s_and_b32 s29, vcc_lo, exec_lo
	s_delay_alu instid0(SALU_CYCLE_1)
	s_or_b32 s28, s28, s29
	s_or_b32 exec_lo, exec_lo, s27
	v_mov_b32_e32 v6, 0
	s_and_saveexec_b32 s27, s28
	s_cbranch_execnz .LBB79_449
	s_branch .LBB79_450
.LBB79_465:
	s_mov_b32 s27, -1
                                        ; implicit-def: $vgpr6
	s_branch .LBB79_470
.LBB79_466:
	s_mov_b32 s27, -1
                                        ; implicit-def: $vgpr6
.LBB79_467:
	s_delay_alu instid0(SALU_CYCLE_1)
	s_and_b32 vcc_lo, exec_lo, s27
	s_cbranch_vccz .LBB79_469
; %bb.468:
	global_load_u8 v1, v[4:5], off
	s_wait_loadcnt 0x0
	v_lshlrev_b32_e32 v1, 24, v1
	s_delay_alu instid0(VALU_DEP_1) | instskip(NEXT) | instid1(VALU_DEP_1)
	v_and_b32_e32 v3, 0x7f000000, v1
	v_clz_i32_u32_e32 v6, v3
	v_cmp_ne_u32_e32 vcc_lo, 0, v3
	v_add_nc_u32_e32 v8, 0x1000000, v3
	s_delay_alu instid0(VALU_DEP_3) | instskip(NEXT) | instid1(VALU_DEP_1)
	v_min_u32_e32 v6, 32, v6
	v_sub_nc_u32_e64 v6, v6, 4 clamp
	s_delay_alu instid0(VALU_DEP_1) | instskip(NEXT) | instid1(VALU_DEP_1)
	v_dual_lshlrev_b32 v7, v6, v3 :: v_dual_lshlrev_b32 v6, 23, v6
	v_lshrrev_b32_e32 v7, 4, v7
	s_delay_alu instid0(VALU_DEP_1) | instskip(NEXT) | instid1(VALU_DEP_1)
	v_dual_sub_nc_u32 v6, v7, v6 :: v_dual_ashrrev_i32 v7, 8, v8
	v_add_nc_u32_e32 v6, 0x3c000000, v6
	s_delay_alu instid0(VALU_DEP_1) | instskip(NEXT) | instid1(VALU_DEP_1)
	v_and_or_b32 v6, 0x7f800000, v7, v6
	v_cndmask_b32_e32 v3, 0, v6, vcc_lo
	s_delay_alu instid0(VALU_DEP_1) | instskip(NEXT) | instid1(VALU_DEP_1)
	v_and_or_b32 v1, 0x80000000, v1, v3
	v_cvt_i32_f32_e32 v6, v1
.LBB79_469:
	s_mov_b32 s27, 0
.LBB79_470:
	s_delay_alu instid0(SALU_CYCLE_1)
	s_and_not1_b32 vcc_lo, exec_lo, s27
	s_cbranch_vccnz .LBB79_472
; %bb.471:
	global_load_u8 v1, v[4:5], off
	s_wait_loadcnt 0x0
	v_lshlrev_b32_e32 v3, 25, v1
	v_lshlrev_b16 v1, 8, v1
	s_delay_alu instid0(VALU_DEP_1) | instskip(SKIP_1) | instid1(VALU_DEP_2)
	v_and_or_b32 v7, 0x7f00, v1, 0.5
	v_bfe_i32 v1, v1, 0, 16
	v_add_f32_e32 v7, -0.5, v7
	v_lshrrev_b32_e32 v6, 4, v3
	v_cmp_gt_u32_e32 vcc_lo, 0x8000000, v3
	s_delay_alu instid0(VALU_DEP_2) | instskip(NEXT) | instid1(VALU_DEP_1)
	v_or_b32_e32 v6, 0x70000000, v6
	v_mul_f32_e32 v6, 0x7800000, v6
	s_delay_alu instid0(VALU_DEP_1) | instskip(NEXT) | instid1(VALU_DEP_1)
	v_cndmask_b32_e32 v3, v6, v7, vcc_lo
	v_and_or_b32 v1, 0x80000000, v1, v3
	s_delay_alu instid0(VALU_DEP_1)
	v_cvt_i32_f32_e32 v6, v1
.LBB79_472:
	s_mov_b32 s28, 0
	s_mov_b32 s27, -1
.LBB79_473:
	s_and_not1_b32 vcc_lo, exec_lo, s28
	s_cbranch_vccnz .LBB79_486
; %bb.474:
	s_cmp_gt_i32 s0, 14
	s_cbranch_scc0 .LBB79_477
; %bb.475:
	s_cmp_eq_u32 s0, 15
	s_cbranch_scc0 .LBB79_480
; %bb.476:
	global_load_u16 v1, v[4:5], off
	s_mov_b32 s27, -1
	s_mov_b32 s26, 0
	s_wait_loadcnt 0x0
	v_lshlrev_b32_e32 v1, 16, v1
	s_delay_alu instid0(VALU_DEP_1)
	v_cvt_i32_f32_e32 v6, v1
	s_branch .LBB79_481
.LBB79_477:
	s_mov_b32 s28, -1
                                        ; implicit-def: $vgpr6
	s_branch .LBB79_482
.LBB79_478:
	s_and_not1_saveexec_b32 s27, s27
	s_cbranch_execz .LBB79_459
.LBB79_479:
	v_cmp_ne_u16_e32 vcc_lo, 0, v1
	s_and_not1_b32 s28, s28, exec_lo
	s_and_b32 s29, vcc_lo, exec_lo
	s_delay_alu instid0(SALU_CYCLE_1)
	s_or_b32 s28, s28, s29
	s_or_b32 exec_lo, exec_lo, s27
	v_mov_b32_e32 v6, 0
	s_and_saveexec_b32 s27, s28
	s_cbranch_execnz .LBB79_460
	s_branch .LBB79_461
.LBB79_480:
	s_mov_b32 s26, -1
                                        ; implicit-def: $vgpr6
.LBB79_481:
	s_mov_b32 s28, 0
.LBB79_482:
	s_delay_alu instid0(SALU_CYCLE_1)
	s_and_b32 vcc_lo, exec_lo, s28
	s_cbranch_vccz .LBB79_486
; %bb.483:
	s_cmp_eq_u32 s0, 11
	s_cbranch_scc0 .LBB79_485
; %bb.484:
	global_load_u8 v1, v[4:5], off
	s_mov_b32 s26, 0
	s_mov_b32 s27, -1
	s_wait_loadcnt 0x0
	v_cmp_ne_u16_e32 vcc_lo, 0, v1
	v_cndmask_b32_e64 v6, 0, 1, vcc_lo
	s_branch .LBB79_486
.LBB79_485:
	s_mov_b32 s26, -1
                                        ; implicit-def: $vgpr6
.LBB79_486:
	s_branch .LBB79_292
.LBB79_487:
	s_cmp_lt_i32 s0, 5
	s_cbranch_scc1 .LBB79_492
; %bb.488:
	s_cmp_lt_i32 s0, 8
	s_cbranch_scc1 .LBB79_493
; %bb.489:
	;; [unrolled: 3-line block ×3, first 2 shown]
	s_cmp_gt_i32 s0, 9
	s_cbranch_scc0 .LBB79_495
; %bb.491:
	s_wait_loadcnt 0x0
	global_load_b64 v[6:7], v[4:5], off
	s_mov_b32 s27, 0
	s_wait_loadcnt 0x0
	v_cvt_i32_f64_e32 v6, v[6:7]
	s_branch .LBB79_496
.LBB79_492:
	s_mov_b32 s27, -1
                                        ; implicit-def: $vgpr6
	s_branch .LBB79_514
.LBB79_493:
	s_mov_b32 s27, -1
                                        ; implicit-def: $vgpr6
	s_branch .LBB79_502
.LBB79_494:
	s_mov_b32 s27, -1
                                        ; implicit-def: $vgpr6
	s_branch .LBB79_499
.LBB79_495:
	s_mov_b32 s27, -1
                                        ; implicit-def: $vgpr6
.LBB79_496:
	s_delay_alu instid0(SALU_CYCLE_1)
	s_and_not1_b32 vcc_lo, exec_lo, s27
	s_cbranch_vccnz .LBB79_498
; %bb.497:
	global_load_b32 v1, v[4:5], off
	s_wait_loadcnt 0x0
	v_cvt_i32_f32_e32 v6, v1
.LBB79_498:
	s_mov_b32 s27, 0
.LBB79_499:
	s_delay_alu instid0(SALU_CYCLE_1)
	s_and_not1_b32 vcc_lo, exec_lo, s27
	s_cbranch_vccnz .LBB79_501
; %bb.500:
	global_load_b32 v1, v[4:5], off
	s_wait_loadcnt 0x0
	v_cvt_i16_f16_e32 v6, v1
.LBB79_501:
	s_mov_b32 s27, 0
.LBB79_502:
	s_delay_alu instid0(SALU_CYCLE_1)
	s_and_not1_b32 vcc_lo, exec_lo, s27
	s_cbranch_vccnz .LBB79_513
; %bb.503:
	s_cmp_lt_i32 s0, 6
	s_cbranch_scc1 .LBB79_506
; %bb.504:
	s_cmp_gt_i32 s0, 6
	s_cbranch_scc0 .LBB79_507
; %bb.505:
	s_wait_loadcnt 0x0
	global_load_b64 v[6:7], v[4:5], off
	s_mov_b32 s27, 0
	s_wait_loadcnt 0x0
	v_cvt_i32_f64_e32 v6, v[6:7]
	s_branch .LBB79_508
.LBB79_506:
	s_mov_b32 s27, -1
                                        ; implicit-def: $vgpr6
	s_branch .LBB79_511
.LBB79_507:
	s_mov_b32 s27, -1
                                        ; implicit-def: $vgpr6
.LBB79_508:
	s_delay_alu instid0(SALU_CYCLE_1)
	s_and_not1_b32 vcc_lo, exec_lo, s27
	s_cbranch_vccnz .LBB79_510
; %bb.509:
	global_load_b32 v1, v[4:5], off
	s_wait_loadcnt 0x0
	v_cvt_i32_f32_e32 v6, v1
.LBB79_510:
	s_mov_b32 s27, 0
.LBB79_511:
	s_delay_alu instid0(SALU_CYCLE_1)
	s_and_not1_b32 vcc_lo, exec_lo, s27
	s_cbranch_vccnz .LBB79_513
; %bb.512:
	global_load_u16 v1, v[4:5], off
	s_wait_loadcnt 0x0
	v_cvt_i16_f16_e32 v6, v1
.LBB79_513:
	s_mov_b32 s27, 0
.LBB79_514:
	s_delay_alu instid0(SALU_CYCLE_1)
	s_and_not1_b32 vcc_lo, exec_lo, s27
	s_cbranch_vccnz .LBB79_534
; %bb.515:
	s_cmp_lt_i32 s0, 2
	s_cbranch_scc1 .LBB79_519
; %bb.516:
	s_cmp_lt_i32 s0, 3
	s_cbranch_scc1 .LBB79_520
; %bb.517:
	s_cmp_gt_i32 s0, 3
	s_cbranch_scc0 .LBB79_521
; %bb.518:
	s_wait_loadcnt 0x0
	global_load_b64 v[6:7], v[4:5], off
	s_mov_b32 s27, 0
	s_branch .LBB79_522
.LBB79_519:
	s_mov_b32 s27, -1
                                        ; implicit-def: $vgpr6
	s_branch .LBB79_528
.LBB79_520:
	s_mov_b32 s27, -1
                                        ; implicit-def: $vgpr6
	s_branch .LBB79_525
.LBB79_521:
	s_mov_b32 s27, -1
                                        ; implicit-def: $vgpr6
.LBB79_522:
	s_delay_alu instid0(SALU_CYCLE_1)
	s_and_not1_b32 vcc_lo, exec_lo, s27
	s_cbranch_vccnz .LBB79_524
; %bb.523:
	s_wait_loadcnt 0x0
	global_load_b32 v6, v[4:5], off
.LBB79_524:
	s_mov_b32 s27, 0
.LBB79_525:
	s_delay_alu instid0(SALU_CYCLE_1)
	s_and_not1_b32 vcc_lo, exec_lo, s27
	s_cbranch_vccnz .LBB79_527
; %bb.526:
	s_wait_loadcnt 0x0
	global_load_u16 v6, v[4:5], off
.LBB79_527:
	s_mov_b32 s27, 0
.LBB79_528:
	s_delay_alu instid0(SALU_CYCLE_1)
	s_and_not1_b32 vcc_lo, exec_lo, s27
	s_cbranch_vccnz .LBB79_534
; %bb.529:
	s_cmp_gt_i32 s0, 0
	s_mov_b32 s0, 0
	s_cbranch_scc0 .LBB79_531
; %bb.530:
	s_wait_loadcnt 0x0
	global_load_i8 v6, v[4:5], off
	s_branch .LBB79_532
.LBB79_531:
	s_mov_b32 s0, -1
                                        ; implicit-def: $vgpr6
.LBB79_532:
	s_delay_alu instid0(SALU_CYCLE_1)
	s_and_not1_b32 vcc_lo, exec_lo, s0
	s_cbranch_vccnz .LBB79_534
; %bb.533:
	s_wait_loadcnt 0x0
	global_load_u8 v6, v[4:5], off
.LBB79_534:
	s_branch .LBB79_293
.LBB79_535:
	s_mov_b32 s27, 0
	s_mov_b32 s0, s20
.LBB79_536:
                                        ; implicit-def: $vgpr0
.LBB79_537:
	s_and_not1_b32 s28, s20, exec_lo
	s_and_b32 s0, s0, exec_lo
	s_and_not1_b32 s29, s42, exec_lo
	s_and_b32 s26, s26, exec_lo
	s_or_b32 s45, s28, s0
	s_or_b32 s44, s29, s26
	s_or_not1_b32 s0, s27, exec_lo
.LBB79_538:
	s_wait_xcnt 0x0
	s_or_b32 exec_lo, exec_lo, s46
	s_mov_b32 s26, 0
	s_mov_b32 s27, 0
	;; [unrolled: 1-line block ×3, first 2 shown]
                                        ; implicit-def: $vgpr4_vgpr5
                                        ; implicit-def: $vgpr2
                                        ; implicit-def: $vgpr6
	s_and_saveexec_b32 s46, s0
	s_cbranch_execz .LBB79_911
; %bb.539:
	s_mov_b32 s29, -1
	s_mov_b32 s0, s44
	s_mov_b32 s30, s45
	s_mov_b32 s47, exec_lo
	v_cmpx_gt_i32_e64 s39, v0
	s_cbranch_execz .LBB79_812
; %bb.540:
	s_and_not1_b32 vcc_lo, exec_lo, s35
	s_cbranch_vccnz .LBB79_546
; %bb.541:
	s_and_not1_b32 vcc_lo, exec_lo, s41
	s_cbranch_vccnz .LBB79_547
; %bb.542:
	s_add_co_i32 s0, s40, 1
	s_cmp_eq_u32 s34, 2
	s_cbranch_scc1 .LBB79_548
; %bb.543:
	v_dual_mov_b32 v2, 0 :: v_dual_mov_b32 v4, 0
	v_mov_b32_e32 v1, v0
	s_and_b32 s26, s0, 28
	s_mov_b64 s[28:29], s[16:17]
	s_mov_b64 s[30:31], s[24:25]
.LBB79_544:                             ; =>This Inner Loop Header: Depth=1
	s_clause 0x1
	s_load_b256 s[48:55], s[28:29], 0x4
	s_load_b128 s[64:67], s[28:29], 0x24
	s_load_b256 s[56:63], s[30:31], 0x0
	s_add_co_i32 s27, s27, 4
	s_wait_xcnt 0x0
	s_add_nc_u64 s[28:29], s[28:29], 48
	s_cmp_eq_u32 s26, s27
	s_add_nc_u64 s[30:31], s[30:31], 32
	s_wait_kmcnt 0x0
	v_mul_hi_u32 v3, s49, v1
	s_delay_alu instid0(VALU_DEP_1) | instskip(NEXT) | instid1(VALU_DEP_1)
	v_add_nc_u32_e32 v3, v1, v3
	v_lshrrev_b32_e32 v3, s50, v3
	s_delay_alu instid0(VALU_DEP_1) | instskip(NEXT) | instid1(VALU_DEP_1)
	v_mul_hi_u32 v5, s52, v3
	v_add_nc_u32_e32 v5, v3, v5
	s_delay_alu instid0(VALU_DEP_1) | instskip(SKIP_1) | instid1(VALU_DEP_1)
	v_lshrrev_b32_e32 v5, s53, v5
	s_wait_loadcnt 0x0
	v_mul_hi_u32 v6, s55, v5
	s_delay_alu instid0(VALU_DEP_1) | instskip(SKIP_1) | instid1(VALU_DEP_1)
	v_add_nc_u32_e32 v6, v5, v6
	v_mul_lo_u32 v7, v3, s48
	v_sub_nc_u32_e32 v1, v1, v7
	v_mul_lo_u32 v7, v5, s51
	s_delay_alu instid0(VALU_DEP_4) | instskip(NEXT) | instid1(VALU_DEP_3)
	v_lshrrev_b32_e32 v6, s64, v6
	v_mad_u32 v4, v1, s57, v4
	v_mad_u32 v1, v1, s56, v2
	s_delay_alu instid0(VALU_DEP_4) | instskip(NEXT) | instid1(VALU_DEP_4)
	v_sub_nc_u32_e32 v2, v3, v7
	v_mul_hi_u32 v8, s66, v6
	v_mul_lo_u32 v3, v6, s54
	s_delay_alu instid0(VALU_DEP_3) | instskip(SKIP_1) | instid1(VALU_DEP_3)
	v_mad_u32 v4, v2, s59, v4
	v_mad_u32 v2, v2, s58, v1
	v_dual_add_nc_u32 v7, v6, v8 :: v_dual_sub_nc_u32 v3, v5, v3
	s_delay_alu instid0(VALU_DEP_1) | instskip(NEXT) | instid1(VALU_DEP_2)
	v_lshrrev_b32_e32 v1, s67, v7
	v_mad_u32 v4, v3, s61, v4
	s_delay_alu instid0(VALU_DEP_4) | instskip(NEXT) | instid1(VALU_DEP_3)
	v_mad_u32 v2, v3, s60, v2
	v_mul_lo_u32 v5, v1, s65
	s_delay_alu instid0(VALU_DEP_1) | instskip(NEXT) | instid1(VALU_DEP_1)
	v_sub_nc_u32_e32 v3, v6, v5
	v_mad_u32 v4, v3, s63, v4
	s_delay_alu instid0(VALU_DEP_4)
	v_mad_u32 v2, v3, s62, v2
	s_cbranch_scc0 .LBB79_544
; %bb.545:
	s_delay_alu instid0(VALU_DEP_2)
	v_mov_b32_e32 v3, v4
	s_branch .LBB79_549
.LBB79_546:
	s_mov_b32 s0, -1
                                        ; implicit-def: $vgpr4
                                        ; implicit-def: $vgpr2
	s_branch .LBB79_554
.LBB79_547:
	v_dual_mov_b32 v4, 0 :: v_dual_mov_b32 v2, 0
	s_branch .LBB79_553
.LBB79_548:
	v_mov_b64_e32 v[2:3], 0
	v_mov_b32_e32 v1, v0
                                        ; implicit-def: $vgpr4
.LBB79_549:
	s_and_b32 s0, s0, 3
	s_mov_b32 s27, 0
	s_cmp_eq_u32 s0, 0
	s_cbranch_scc1 .LBB79_553
; %bb.550:
	s_lshl_b32 s28, s26, 3
	s_mov_b32 s29, s27
	s_mul_u64 s[30:31], s[26:27], 12
	s_add_nc_u64 s[28:29], s[16:17], s[28:29]
	s_delay_alu instid0(SALU_CYCLE_1)
	s_add_nc_u64 s[26:27], s[28:29], 0xc4
	s_add_nc_u64 s[28:29], s[16:17], s[30:31]
.LBB79_551:                             ; =>This Inner Loop Header: Depth=1
	s_load_b96 s[48:50], s[28:29], 0x4
	s_load_b64 s[30:31], s[26:27], 0x0
	s_add_co_i32 s0, s0, -1
	s_wait_xcnt 0x0
	s_add_nc_u64 s[28:29], s[28:29], 12
	s_cmp_lg_u32 s0, 0
	s_add_nc_u64 s[26:27], s[26:27], 8
	s_wait_kmcnt 0x0
	v_mul_hi_u32 v4, s49, v1
	s_delay_alu instid0(VALU_DEP_1) | instskip(NEXT) | instid1(VALU_DEP_1)
	v_add_nc_u32_e32 v4, v1, v4
	v_lshrrev_b32_e32 v4, s50, v4
	s_delay_alu instid0(VALU_DEP_1) | instskip(NEXT) | instid1(VALU_DEP_1)
	v_mul_lo_u32 v5, v4, s48
	v_sub_nc_u32_e32 v1, v1, v5
	s_delay_alu instid0(VALU_DEP_1)
	v_mad_u32 v3, v1, s31, v3
	v_mad_u32 v2, v1, s30, v2
	v_mov_b32_e32 v1, v4
	s_cbranch_scc1 .LBB79_551
; %bb.552:
	s_delay_alu instid0(VALU_DEP_3)
	v_mov_b32_e32 v4, v3
.LBB79_553:
	s_mov_b32 s0, 0
.LBB79_554:
	s_delay_alu instid0(SALU_CYCLE_1)
	s_and_not1_b32 vcc_lo, exec_lo, s0
	s_cbranch_vccnz .LBB79_557
; %bb.555:
	v_mov_b32_e32 v1, 0
	s_and_not1_b32 vcc_lo, exec_lo, s38
	s_delay_alu instid0(VALU_DEP_1) | instskip(NEXT) | instid1(VALU_DEP_1)
	v_mul_u64_e32 v[2:3], s[18:19], v[0:1]
	v_add_nc_u32_e32 v2, v0, v3
	s_wait_loadcnt 0x0
	s_delay_alu instid0(VALU_DEP_1) | instskip(NEXT) | instid1(VALU_DEP_1)
	v_lshrrev_b32_e32 v6, s10, v2
	v_mul_lo_u32 v2, v6, s8
	s_delay_alu instid0(VALU_DEP_1) | instskip(NEXT) | instid1(VALU_DEP_1)
	v_sub_nc_u32_e32 v2, v0, v2
	v_mul_lo_u32 v4, v2, s13
	v_mul_lo_u32 v2, v2, s12
	s_cbranch_vccnz .LBB79_557
; %bb.556:
	v_mov_b32_e32 v7, v1
	s_delay_alu instid0(VALU_DEP_1) | instskip(NEXT) | instid1(VALU_DEP_1)
	v_mul_u64_e32 v[8:9], s[22:23], v[6:7]
	v_add_nc_u32_e32 v1, v6, v9
	s_delay_alu instid0(VALU_DEP_1) | instskip(NEXT) | instid1(VALU_DEP_1)
	v_lshrrev_b32_e32 v1, s21, v1
	v_mul_lo_u32 v1, v1, s11
	s_delay_alu instid0(VALU_DEP_1) | instskip(NEXT) | instid1(VALU_DEP_1)
	v_sub_nc_u32_e32 v1, v6, v1
	v_mad_u32 v2, v1, s14, v2
	v_mad_u32 v4, v1, s15, v4
.LBB79_557:
	v_mov_b32_e32 v5, 0
	s_and_b32 s0, 0xffff, s37
	s_delay_alu instid0(SALU_CYCLE_1) | instskip(NEXT) | instid1(VALU_DEP_1)
	s_cmp_lt_i32 s0, 11
	v_add_nc_u64_e32 v[4:5], s[6:7], v[4:5]
	s_cbranch_scc1 .LBB79_564
; %bb.558:
	s_cmp_gt_i32 s0, 25
	s_cbranch_scc0 .LBB79_565
; %bb.559:
	s_cmp_gt_i32 s0, 28
	s_cbranch_scc0 .LBB79_566
	;; [unrolled: 3-line block ×4, first 2 shown]
; %bb.562:
	s_cmp_eq_u32 s0, 46
	s_mov_b32 s28, 0
	s_cbranch_scc0 .LBB79_573
; %bb.563:
	global_load_b32 v1, v[4:5], off
	s_mov_b32 s27, -1
	s_mov_b32 s26, 0
	s_wait_loadcnt 0x0
	v_lshlrev_b32_e32 v1, 16, v1
	s_delay_alu instid0(VALU_DEP_1)
	v_cvt_i32_f32_e32 v6, v1
	s_branch .LBB79_575
.LBB79_564:
	s_mov_b32 s28, -1
	s_mov_b32 s27, 0
	s_mov_b32 s26, s44
                                        ; implicit-def: $vgpr6
	s_branch .LBB79_636
.LBB79_565:
	s_mov_b32 s28, -1
	s_mov_b32 s27, 0
	s_mov_b32 s26, s44
                                        ; implicit-def: $vgpr6
	s_branch .LBB79_602
.LBB79_566:
	s_mov_b32 s28, -1
	s_mov_b32 s27, 0
	s_mov_b32 s26, s44
                                        ; implicit-def: $vgpr6
	s_branch .LBB79_585
.LBB79_567:
	s_mov_b32 s28, -1
	s_mov_b32 s27, 0
	s_mov_b32 s26, s44
                                        ; implicit-def: $vgpr6
	s_branch .LBB79_580
.LBB79_568:
	s_and_not1_saveexec_b32 s44, s44
	s_cbranch_execz .LBB79_339
.LBB79_569:
	v_add_f32_e32 v1, 0x46000000, v4
	s_and_not1_b32 s31, s31, exec_lo
	s_delay_alu instid0(VALU_DEP_1) | instskip(NEXT) | instid1(VALU_DEP_1)
	v_and_b32_e32 v1, 0xff, v1
	v_cmp_ne_u32_e32 vcc_lo, 0, v1
	s_and_b32 s45, vcc_lo, exec_lo
	s_delay_alu instid0(SALU_CYCLE_1)
	s_or_b32 s31, s31, s45
	s_or_b32 exec_lo, exec_lo, s44
	v_mov_b32_e32 v5, 0
	s_and_saveexec_b32 s44, s31
	s_cbranch_execnz .LBB79_340
	s_branch .LBB79_341
.LBB79_570:
	s_mov_b32 s28, -1
	s_mov_b32 s27, 0
	s_mov_b32 s26, s44
	s_branch .LBB79_574
.LBB79_571:
	s_and_not1_saveexec_b32 s44, s44
	s_cbranch_execz .LBB79_352
.LBB79_572:
	v_add_f32_e32 v1, 0x42800000, v4
	s_and_not1_b32 s31, s31, exec_lo
	s_delay_alu instid0(VALU_DEP_1) | instskip(NEXT) | instid1(VALU_DEP_1)
	v_and_b32_e32 v1, 0xff, v1
	v_cmp_ne_u32_e32 vcc_lo, 0, v1
	s_and_b32 s45, vcc_lo, exec_lo
	s_delay_alu instid0(SALU_CYCLE_1)
	s_or_b32 s31, s31, s45
	s_or_b32 exec_lo, exec_lo, s44
	v_mov_b32_e32 v5, 0
	s_and_saveexec_b32 s44, s31
	s_cbranch_execnz .LBB79_353
	s_branch .LBB79_354
.LBB79_573:
	s_mov_b32 s26, -1
	s_mov_b32 s27, 0
.LBB79_574:
                                        ; implicit-def: $vgpr6
.LBB79_575:
	s_and_b32 vcc_lo, exec_lo, s28
	s_cbranch_vccz .LBB79_579
; %bb.576:
	s_cmp_eq_u32 s0, 44
	s_cbranch_scc0 .LBB79_578
; %bb.577:
	global_load_u8 v1, v[4:5], off
	s_mov_b32 s26, 0
	s_mov_b32 s27, -1
	s_wait_loadcnt 0x0
	v_lshlrev_b32_e32 v3, 23, v1
	v_cmp_ne_u32_e32 vcc_lo, 0, v1
	s_delay_alu instid0(VALU_DEP_2) | instskip(NEXT) | instid1(VALU_DEP_1)
	v_cvt_i32_f32_e32 v3, v3
	v_cndmask_b32_e32 v6, 0, v3, vcc_lo
	s_branch .LBB79_579
.LBB79_578:
	s_mov_b32 s26, -1
                                        ; implicit-def: $vgpr6
.LBB79_579:
	s_mov_b32 s28, 0
.LBB79_580:
	s_delay_alu instid0(SALU_CYCLE_1)
	s_and_b32 vcc_lo, exec_lo, s28
	s_cbranch_vccz .LBB79_584
; %bb.581:
	s_cmp_eq_u32 s0, 29
	s_cbranch_scc0 .LBB79_583
; %bb.582:
	s_wait_loadcnt 0x0
	global_load_b64 v[6:7], v[4:5], off
	s_mov_b32 s27, -1
	s_mov_b32 s26, 0
	s_branch .LBB79_584
.LBB79_583:
	s_mov_b32 s26, -1
                                        ; implicit-def: $vgpr6
.LBB79_584:
	s_mov_b32 s28, 0
.LBB79_585:
	s_delay_alu instid0(SALU_CYCLE_1)
	s_and_b32 vcc_lo, exec_lo, s28
	s_cbranch_vccz .LBB79_601
; %bb.586:
	s_cmp_lt_i32 s0, 27
	s_cbranch_scc1 .LBB79_589
; %bb.587:
	s_cmp_gt_i32 s0, 27
	s_cbranch_scc0 .LBB79_590
; %bb.588:
	s_wait_loadcnt 0x0
	global_load_b32 v6, v[4:5], off
	s_mov_b32 s27, 0
	s_branch .LBB79_591
.LBB79_589:
	s_mov_b32 s27, -1
                                        ; implicit-def: $vgpr6
	s_branch .LBB79_594
.LBB79_590:
	s_mov_b32 s27, -1
                                        ; implicit-def: $vgpr6
.LBB79_591:
	s_delay_alu instid0(SALU_CYCLE_1)
	s_and_not1_b32 vcc_lo, exec_lo, s27
	s_cbranch_vccnz .LBB79_593
; %bb.592:
	s_wait_loadcnt 0x0
	global_load_u16 v6, v[4:5], off
.LBB79_593:
	s_mov_b32 s27, 0
.LBB79_594:
	s_delay_alu instid0(SALU_CYCLE_1)
	s_and_not1_b32 vcc_lo, exec_lo, s27
	s_cbranch_vccnz .LBB79_600
; %bb.595:
	global_load_u8 v1, v[4:5], off
	s_mov_b32 s28, 0
	s_mov_b32 s27, exec_lo
	s_wait_loadcnt 0x0
	v_cmpx_lt_i16_e32 0x7f, v1
	s_xor_b32 s27, exec_lo, s27
	s_cbranch_execz .LBB79_612
; %bb.596:
	v_cmp_ne_u16_e32 vcc_lo, 0x80, v1
	s_and_b32 s28, vcc_lo, exec_lo
	s_and_not1_saveexec_b32 s27, s27
	s_cbranch_execnz .LBB79_613
.LBB79_597:
	s_or_b32 exec_lo, exec_lo, s27
	v_mov_b32_e32 v6, 0
	s_and_saveexec_b32 s27, s28
	s_cbranch_execz .LBB79_599
.LBB79_598:
	v_and_b32_e32 v3, 0xffff, v1
	s_delay_alu instid0(VALU_DEP_1) | instskip(SKIP_1) | instid1(VALU_DEP_2)
	v_dual_lshlrev_b32 v1, 24, v1 :: v_dual_bitop2_b32 v6, 7, v3 bitop3:0x40
	v_bfe_u32 v9, v3, 3, 4
	v_and_b32_e32 v1, 0x80000000, v1
	s_delay_alu instid0(VALU_DEP_3) | instskip(NEXT) | instid1(VALU_DEP_3)
	v_clz_i32_u32_e32 v7, v6
	v_cmp_eq_u32_e32 vcc_lo, 0, v9
	s_delay_alu instid0(VALU_DEP_2) | instskip(NEXT) | instid1(VALU_DEP_1)
	v_min_u32_e32 v7, 32, v7
	v_subrev_nc_u32_e32 v8, 28, v7
	v_sub_nc_u32_e32 v7, 29, v7
	s_delay_alu instid0(VALU_DEP_2) | instskip(NEXT) | instid1(VALU_DEP_2)
	v_lshlrev_b32_e32 v3, v8, v3
	v_cndmask_b32_e32 v7, v9, v7, vcc_lo
	s_delay_alu instid0(VALU_DEP_2) | instskip(NEXT) | instid1(VALU_DEP_1)
	v_and_b32_e32 v3, 7, v3
	v_cndmask_b32_e32 v3, v6, v3, vcc_lo
	s_delay_alu instid0(VALU_DEP_3) | instskip(NEXT) | instid1(VALU_DEP_2)
	v_lshl_add_u32 v6, v7, 23, 0x3b800000
	v_lshlrev_b32_e32 v3, 20, v3
	s_delay_alu instid0(VALU_DEP_1) | instskip(NEXT) | instid1(VALU_DEP_1)
	v_or3_b32 v1, v1, v6, v3
	v_cvt_i32_f32_e32 v6, v1
.LBB79_599:
	s_or_b32 exec_lo, exec_lo, s27
.LBB79_600:
	s_mov_b32 s27, -1
.LBB79_601:
	s_mov_b32 s28, 0
.LBB79_602:
	s_delay_alu instid0(SALU_CYCLE_1)
	s_and_b32 vcc_lo, exec_lo, s28
	s_cbranch_vccz .LBB79_635
; %bb.603:
	s_cmp_gt_i32 s0, 22
	s_cbranch_scc0 .LBB79_611
; %bb.604:
	s_cmp_lt_i32 s0, 24
	s_cbranch_scc1 .LBB79_614
; %bb.605:
	s_cmp_gt_i32 s0, 24
	s_cbranch_scc0 .LBB79_615
; %bb.606:
	global_load_u8 v1, v[4:5], off
	s_mov_b32 s28, 0
	s_mov_b32 s27, exec_lo
	s_wait_loadcnt 0x0
	v_cmpx_lt_i16_e32 0x7f, v1
	s_xor_b32 s27, exec_lo, s27
	s_cbranch_execz .LBB79_627
; %bb.607:
	v_cmp_ne_u16_e32 vcc_lo, 0x80, v1
	s_and_b32 s28, vcc_lo, exec_lo
	s_and_not1_saveexec_b32 s27, s27
	s_cbranch_execnz .LBB79_628
.LBB79_608:
	s_or_b32 exec_lo, exec_lo, s27
	v_mov_b32_e32 v6, 0
	s_and_saveexec_b32 s27, s28
	s_cbranch_execz .LBB79_610
.LBB79_609:
	v_and_b32_e32 v3, 0xffff, v1
	s_delay_alu instid0(VALU_DEP_1) | instskip(SKIP_1) | instid1(VALU_DEP_2)
	v_dual_lshlrev_b32 v1, 24, v1 :: v_dual_bitop2_b32 v6, 3, v3 bitop3:0x40
	v_bfe_u32 v9, v3, 2, 5
	v_and_b32_e32 v1, 0x80000000, v1
	s_delay_alu instid0(VALU_DEP_3) | instskip(NEXT) | instid1(VALU_DEP_3)
	v_clz_i32_u32_e32 v7, v6
	v_cmp_eq_u32_e32 vcc_lo, 0, v9
	s_delay_alu instid0(VALU_DEP_2) | instskip(NEXT) | instid1(VALU_DEP_1)
	v_min_u32_e32 v7, 32, v7
	v_subrev_nc_u32_e32 v8, 29, v7
	v_sub_nc_u32_e32 v7, 30, v7
	s_delay_alu instid0(VALU_DEP_2) | instskip(NEXT) | instid1(VALU_DEP_2)
	v_lshlrev_b32_e32 v3, v8, v3
	v_cndmask_b32_e32 v7, v9, v7, vcc_lo
	s_delay_alu instid0(VALU_DEP_2) | instskip(NEXT) | instid1(VALU_DEP_1)
	v_and_b32_e32 v3, 3, v3
	v_cndmask_b32_e32 v3, v6, v3, vcc_lo
	s_delay_alu instid0(VALU_DEP_3) | instskip(NEXT) | instid1(VALU_DEP_2)
	v_lshl_add_u32 v6, v7, 23, 0x37800000
	v_lshlrev_b32_e32 v3, 21, v3
	s_delay_alu instid0(VALU_DEP_1) | instskip(NEXT) | instid1(VALU_DEP_1)
	v_or3_b32 v1, v1, v6, v3
	v_cvt_i32_f32_e32 v6, v1
.LBB79_610:
	s_or_b32 exec_lo, exec_lo, s27
	s_mov_b32 s27, 0
	s_branch .LBB79_616
.LBB79_611:
	s_mov_b32 s28, -1
                                        ; implicit-def: $vgpr6
	s_branch .LBB79_622
.LBB79_612:
	s_and_not1_saveexec_b32 s27, s27
	s_cbranch_execz .LBB79_597
.LBB79_613:
	v_cmp_ne_u16_e32 vcc_lo, 0, v1
	s_and_not1_b32 s28, s28, exec_lo
	s_and_b32 s29, vcc_lo, exec_lo
	s_delay_alu instid0(SALU_CYCLE_1)
	s_or_b32 s28, s28, s29
	s_or_b32 exec_lo, exec_lo, s27
	v_mov_b32_e32 v6, 0
	s_and_saveexec_b32 s27, s28
	s_cbranch_execnz .LBB79_598
	s_branch .LBB79_599
.LBB79_614:
	s_mov_b32 s27, -1
                                        ; implicit-def: $vgpr6
	s_branch .LBB79_619
.LBB79_615:
	s_mov_b32 s27, -1
                                        ; implicit-def: $vgpr6
.LBB79_616:
	s_delay_alu instid0(SALU_CYCLE_1)
	s_and_b32 vcc_lo, exec_lo, s27
	s_cbranch_vccz .LBB79_618
; %bb.617:
	global_load_u8 v1, v[4:5], off
	s_wait_loadcnt 0x0
	v_lshlrev_b32_e32 v1, 24, v1
	s_delay_alu instid0(VALU_DEP_1) | instskip(NEXT) | instid1(VALU_DEP_1)
	v_and_b32_e32 v3, 0x7f000000, v1
	v_clz_i32_u32_e32 v6, v3
	v_cmp_ne_u32_e32 vcc_lo, 0, v3
	v_add_nc_u32_e32 v8, 0x1000000, v3
	s_delay_alu instid0(VALU_DEP_3) | instskip(NEXT) | instid1(VALU_DEP_1)
	v_min_u32_e32 v6, 32, v6
	v_sub_nc_u32_e64 v6, v6, 4 clamp
	s_delay_alu instid0(VALU_DEP_1) | instskip(NEXT) | instid1(VALU_DEP_1)
	v_dual_lshlrev_b32 v7, v6, v3 :: v_dual_lshlrev_b32 v6, 23, v6
	v_lshrrev_b32_e32 v7, 4, v7
	s_delay_alu instid0(VALU_DEP_1) | instskip(NEXT) | instid1(VALU_DEP_1)
	v_dual_sub_nc_u32 v6, v7, v6 :: v_dual_ashrrev_i32 v7, 8, v8
	v_add_nc_u32_e32 v6, 0x3c000000, v6
	s_delay_alu instid0(VALU_DEP_1) | instskip(NEXT) | instid1(VALU_DEP_1)
	v_and_or_b32 v6, 0x7f800000, v7, v6
	v_cndmask_b32_e32 v3, 0, v6, vcc_lo
	s_delay_alu instid0(VALU_DEP_1) | instskip(NEXT) | instid1(VALU_DEP_1)
	v_and_or_b32 v1, 0x80000000, v1, v3
	v_cvt_i32_f32_e32 v6, v1
.LBB79_618:
	s_mov_b32 s27, 0
.LBB79_619:
	s_delay_alu instid0(SALU_CYCLE_1)
	s_and_not1_b32 vcc_lo, exec_lo, s27
	s_cbranch_vccnz .LBB79_621
; %bb.620:
	global_load_u8 v1, v[4:5], off
	s_wait_loadcnt 0x0
	v_lshlrev_b32_e32 v3, 25, v1
	v_lshlrev_b16 v1, 8, v1
	s_delay_alu instid0(VALU_DEP_1) | instskip(SKIP_1) | instid1(VALU_DEP_2)
	v_and_or_b32 v7, 0x7f00, v1, 0.5
	v_bfe_i32 v1, v1, 0, 16
	v_add_f32_e32 v7, -0.5, v7
	v_lshrrev_b32_e32 v6, 4, v3
	v_cmp_gt_u32_e32 vcc_lo, 0x8000000, v3
	s_delay_alu instid0(VALU_DEP_2) | instskip(NEXT) | instid1(VALU_DEP_1)
	v_or_b32_e32 v6, 0x70000000, v6
	v_mul_f32_e32 v6, 0x7800000, v6
	s_delay_alu instid0(VALU_DEP_1) | instskip(NEXT) | instid1(VALU_DEP_1)
	v_cndmask_b32_e32 v3, v6, v7, vcc_lo
	v_and_or_b32 v1, 0x80000000, v1, v3
	s_delay_alu instid0(VALU_DEP_1)
	v_cvt_i32_f32_e32 v6, v1
.LBB79_621:
	s_mov_b32 s28, 0
	s_mov_b32 s27, -1
.LBB79_622:
	s_and_not1_b32 vcc_lo, exec_lo, s28
	s_cbranch_vccnz .LBB79_635
; %bb.623:
	s_cmp_gt_i32 s0, 14
	s_cbranch_scc0 .LBB79_626
; %bb.624:
	s_cmp_eq_u32 s0, 15
	s_cbranch_scc0 .LBB79_629
; %bb.625:
	global_load_u16 v1, v[4:5], off
	s_mov_b32 s27, -1
	s_mov_b32 s26, 0
	s_wait_loadcnt 0x0
	v_lshlrev_b32_e32 v1, 16, v1
	s_delay_alu instid0(VALU_DEP_1)
	v_cvt_i32_f32_e32 v6, v1
	s_branch .LBB79_630
.LBB79_626:
	s_mov_b32 s28, -1
                                        ; implicit-def: $vgpr6
	s_branch .LBB79_631
.LBB79_627:
	s_and_not1_saveexec_b32 s27, s27
	s_cbranch_execz .LBB79_608
.LBB79_628:
	v_cmp_ne_u16_e32 vcc_lo, 0, v1
	s_and_not1_b32 s28, s28, exec_lo
	s_and_b32 s29, vcc_lo, exec_lo
	s_delay_alu instid0(SALU_CYCLE_1)
	s_or_b32 s28, s28, s29
	s_or_b32 exec_lo, exec_lo, s27
	v_mov_b32_e32 v6, 0
	s_and_saveexec_b32 s27, s28
	s_cbranch_execnz .LBB79_609
	s_branch .LBB79_610
.LBB79_629:
	s_mov_b32 s26, -1
                                        ; implicit-def: $vgpr6
.LBB79_630:
	s_mov_b32 s28, 0
.LBB79_631:
	s_delay_alu instid0(SALU_CYCLE_1)
	s_and_b32 vcc_lo, exec_lo, s28
	s_cbranch_vccz .LBB79_635
; %bb.632:
	s_cmp_eq_u32 s0, 11
	s_cbranch_scc0 .LBB79_634
; %bb.633:
	global_load_u8 v1, v[4:5], off
	s_mov_b32 s26, 0
	s_mov_b32 s27, -1
	s_wait_loadcnt 0x0
	v_cmp_ne_u16_e32 vcc_lo, 0, v1
	v_cndmask_b32_e64 v6, 0, 1, vcc_lo
	s_branch .LBB79_635
.LBB79_634:
	s_mov_b32 s26, -1
                                        ; implicit-def: $vgpr6
.LBB79_635:
	s_mov_b32 s28, 0
.LBB79_636:
	s_delay_alu instid0(SALU_CYCLE_1)
	s_and_b32 vcc_lo, exec_lo, s28
	s_cbranch_vccz .LBB79_685
; %bb.637:
	s_cmp_lt_i32 s0, 5
	s_cbranch_scc1 .LBB79_642
; %bb.638:
	s_cmp_lt_i32 s0, 8
	s_cbranch_scc1 .LBB79_643
	;; [unrolled: 3-line block ×3, first 2 shown]
; %bb.640:
	s_cmp_gt_i32 s0, 9
	s_cbranch_scc0 .LBB79_645
; %bb.641:
	s_wait_loadcnt 0x0
	global_load_b64 v[6:7], v[4:5], off
	s_mov_b32 s27, 0
	s_wait_loadcnt 0x0
	v_cvt_i32_f64_e32 v6, v[6:7]
	s_branch .LBB79_646
.LBB79_642:
	s_mov_b32 s27, -1
                                        ; implicit-def: $vgpr6
	s_branch .LBB79_664
.LBB79_643:
	s_mov_b32 s27, -1
                                        ; implicit-def: $vgpr6
	s_branch .LBB79_652
.LBB79_644:
	s_mov_b32 s27, -1
                                        ; implicit-def: $vgpr6
	s_branch .LBB79_649
.LBB79_645:
	s_mov_b32 s27, -1
                                        ; implicit-def: $vgpr6
.LBB79_646:
	s_delay_alu instid0(SALU_CYCLE_1)
	s_and_not1_b32 vcc_lo, exec_lo, s27
	s_cbranch_vccnz .LBB79_648
; %bb.647:
	global_load_b32 v1, v[4:5], off
	s_wait_loadcnt 0x0
	v_cvt_i32_f32_e32 v6, v1
.LBB79_648:
	s_mov_b32 s27, 0
.LBB79_649:
	s_delay_alu instid0(SALU_CYCLE_1)
	s_and_not1_b32 vcc_lo, exec_lo, s27
	s_cbranch_vccnz .LBB79_651
; %bb.650:
	global_load_b32 v1, v[4:5], off
	s_wait_loadcnt 0x0
	v_cvt_i16_f16_e32 v6, v1
.LBB79_651:
	s_mov_b32 s27, 0
.LBB79_652:
	s_delay_alu instid0(SALU_CYCLE_1)
	s_and_not1_b32 vcc_lo, exec_lo, s27
	s_cbranch_vccnz .LBB79_663
; %bb.653:
	s_cmp_lt_i32 s0, 6
	s_cbranch_scc1 .LBB79_656
; %bb.654:
	s_cmp_gt_i32 s0, 6
	s_cbranch_scc0 .LBB79_657
; %bb.655:
	s_wait_loadcnt 0x0
	global_load_b64 v[6:7], v[4:5], off
	s_mov_b32 s27, 0
	s_wait_loadcnt 0x0
	v_cvt_i32_f64_e32 v6, v[6:7]
	s_branch .LBB79_658
.LBB79_656:
	s_mov_b32 s27, -1
                                        ; implicit-def: $vgpr6
	s_branch .LBB79_661
.LBB79_657:
	s_mov_b32 s27, -1
                                        ; implicit-def: $vgpr6
.LBB79_658:
	s_delay_alu instid0(SALU_CYCLE_1)
	s_and_not1_b32 vcc_lo, exec_lo, s27
	s_cbranch_vccnz .LBB79_660
; %bb.659:
	global_load_b32 v1, v[4:5], off
	s_wait_loadcnt 0x0
	v_cvt_i32_f32_e32 v6, v1
.LBB79_660:
	s_mov_b32 s27, 0
.LBB79_661:
	s_delay_alu instid0(SALU_CYCLE_1)
	s_and_not1_b32 vcc_lo, exec_lo, s27
	s_cbranch_vccnz .LBB79_663
; %bb.662:
	global_load_u16 v1, v[4:5], off
	s_wait_loadcnt 0x0
	v_cvt_i16_f16_e32 v6, v1
.LBB79_663:
	s_mov_b32 s27, 0
.LBB79_664:
	s_delay_alu instid0(SALU_CYCLE_1)
	s_and_not1_b32 vcc_lo, exec_lo, s27
	s_cbranch_vccnz .LBB79_684
; %bb.665:
	s_cmp_lt_i32 s0, 2
	s_cbranch_scc1 .LBB79_669
; %bb.666:
	s_cmp_lt_i32 s0, 3
	s_cbranch_scc1 .LBB79_670
; %bb.667:
	s_cmp_gt_i32 s0, 3
	s_cbranch_scc0 .LBB79_671
; %bb.668:
	s_wait_loadcnt 0x0
	global_load_b64 v[6:7], v[4:5], off
	s_mov_b32 s27, 0
	s_branch .LBB79_672
.LBB79_669:
	s_mov_b32 s27, -1
                                        ; implicit-def: $vgpr6
	s_branch .LBB79_678
.LBB79_670:
	s_mov_b32 s27, -1
                                        ; implicit-def: $vgpr6
	s_branch .LBB79_675
.LBB79_671:
	s_mov_b32 s27, -1
                                        ; implicit-def: $vgpr6
.LBB79_672:
	s_delay_alu instid0(SALU_CYCLE_1)
	s_and_not1_b32 vcc_lo, exec_lo, s27
	s_cbranch_vccnz .LBB79_674
; %bb.673:
	s_wait_loadcnt 0x0
	global_load_b32 v6, v[4:5], off
.LBB79_674:
	s_mov_b32 s27, 0
.LBB79_675:
	s_delay_alu instid0(SALU_CYCLE_1)
	s_and_not1_b32 vcc_lo, exec_lo, s27
	s_cbranch_vccnz .LBB79_677
; %bb.676:
	s_wait_loadcnt 0x0
	global_load_u16 v6, v[4:5], off
.LBB79_677:
	s_mov_b32 s27, 0
.LBB79_678:
	s_delay_alu instid0(SALU_CYCLE_1)
	s_and_not1_b32 vcc_lo, exec_lo, s27
	s_cbranch_vccnz .LBB79_684
; %bb.679:
	s_cmp_gt_i32 s0, 0
	s_mov_b32 s0, 0
	s_cbranch_scc0 .LBB79_681
; %bb.680:
	s_wait_loadcnt 0x0
	global_load_i8 v6, v[4:5], off
	s_branch .LBB79_682
.LBB79_681:
	s_mov_b32 s0, -1
                                        ; implicit-def: $vgpr6
.LBB79_682:
	s_delay_alu instid0(SALU_CYCLE_1)
	s_and_not1_b32 vcc_lo, exec_lo, s0
	s_cbranch_vccnz .LBB79_684
; %bb.683:
	s_wait_loadcnt 0x0
	global_load_u8 v6, v[4:5], off
.LBB79_684:
	s_mov_b32 s27, -1
.LBB79_685:
	s_delay_alu instid0(SALU_CYCLE_1)
	s_and_not1_b32 vcc_lo, exec_lo, s27
	s_cbranch_vccnz .LBB79_693
; %bb.686:
	v_mov_b32_e32 v3, 0
	s_wait_loadcnt 0x0
	s_delay_alu instid0(VALU_DEP_2) | instskip(SKIP_1) | instid1(VALU_DEP_2)
	v_cmp_ne_u16_e32 vcc_lo, s1, v6
	s_and_b32 s28, s2, 0xff
	v_add_nc_u64_e32 v[2:3], s[4:5], v[2:3]
	s_xor_b32 s27, s9, vcc_lo
	s_cmp_lt_i32 s28, 11
	s_cbranch_scc1 .LBB79_694
; %bb.687:
	s_and_b32 s29, 0xffff, s28
	s_delay_alu instid0(SALU_CYCLE_1)
	s_cmp_gt_i32 s29, 25
	s_cbranch_scc0 .LBB79_695
; %bb.688:
	s_cmp_gt_i32 s29, 28
	s_cbranch_scc0 .LBB79_696
; %bb.689:
	;; [unrolled: 3-line block ×4, first 2 shown]
	s_mov_b32 s31, 0
	s_mov_b32 s0, -1
	s_cmp_eq_u32 s29, 46
	s_mov_b32 s30, 0
	s_cbranch_scc0 .LBB79_699
; %bb.692:
	v_cndmask_b32_e64 v1, 0, 1.0, s27
	s_mov_b32 s30, -1
	s_mov_b32 s0, 0
	s_wait_xcnt 0x0
	s_delay_alu instid0(VALU_DEP_1) | instskip(NEXT) | instid1(VALU_DEP_1)
	v_bfe_u32 v4, v1, 16, 1
	v_add3_u32 v1, v1, v4, 0x7fff
	s_delay_alu instid0(VALU_DEP_1)
	v_lshrrev_b32_e32 v1, 16, v1
	global_store_b32 v[2:3], v1, off
	s_branch .LBB79_699
.LBB79_693:
	s_mov_b32 s27, 0
	s_mov_b32 s0, s45
	s_branch .LBB79_810
.LBB79_694:
	s_mov_b32 s29, -1
	s_mov_b32 s30, 0
	s_mov_b32 s0, s45
	s_branch .LBB79_768
.LBB79_695:
	s_mov_b32 s31, -1
	s_mov_b32 s30, 0
	s_mov_b32 s0, s45
	s_branch .LBB79_726
.LBB79_696:
	s_mov_b32 s31, -1
	s_mov_b32 s30, 0
	s_mov_b32 s0, s45
	s_branch .LBB79_709
.LBB79_697:
	s_mov_b32 s31, -1
	s_mov_b32 s30, 0
	s_mov_b32 s0, s45
	s_branch .LBB79_705
.LBB79_698:
	s_mov_b32 s31, -1
	s_mov_b32 s30, 0
	s_mov_b32 s0, s45
.LBB79_699:
	s_and_b32 vcc_lo, exec_lo, s31
	s_cbranch_vccz .LBB79_704
; %bb.700:
	s_cmp_eq_u32 s29, 44
	s_mov_b32 s0, -1
	s_cbranch_scc0 .LBB79_704
; %bb.701:
	s_wait_xcnt 0x0
	v_cndmask_b32_e64 v5, 0, 1.0, s27
	s_mov_b32 s30, exec_lo
	s_delay_alu instid0(VALU_DEP_1) | instskip(NEXT) | instid1(VALU_DEP_1)
	v_dual_mov_b32 v4, 0xff :: v_dual_lshrrev_b32 v1, 23, v5
	v_cmpx_ne_u32_e32 0xff, v1
; %bb.702:
	v_and_b32_e32 v4, 0x400000, v5
	v_and_or_b32 v5, 0x3fffff, v5, v1
	s_delay_alu instid0(VALU_DEP_2) | instskip(NEXT) | instid1(VALU_DEP_2)
	v_cmp_ne_u32_e32 vcc_lo, 0, v4
	v_cmp_ne_u32_e64 s0, 0, v5
	s_and_b32 s0, vcc_lo, s0
	s_delay_alu instid0(SALU_CYCLE_1) | instskip(NEXT) | instid1(VALU_DEP_1)
	v_cndmask_b32_e64 v4, 0, 1, s0
	v_add_nc_u32_e32 v4, v1, v4
; %bb.703:
	s_or_b32 exec_lo, exec_lo, s30
	s_mov_b32 s30, -1
	s_mov_b32 s0, 0
	global_store_b8 v[2:3], v4, off
.LBB79_704:
	s_mov_b32 s31, 0
.LBB79_705:
	s_delay_alu instid0(SALU_CYCLE_1)
	s_and_b32 vcc_lo, exec_lo, s31
	s_cbranch_vccz .LBB79_708
; %bb.706:
	s_cmp_eq_u32 s29, 29
	s_mov_b32 s0, -1
	s_cbranch_scc0 .LBB79_708
; %bb.707:
	s_mov_b32 s0, 0
	s_wait_xcnt 0x0
	v_cndmask_b32_e64 v4, 0, 1, s27
	v_mov_b32_e32 v5, s0
	s_mov_b32 s30, -1
	s_mov_b32 s31, 0
	global_store_b64 v[2:3], v[4:5], off
	s_branch .LBB79_709
.LBB79_708:
	s_mov_b32 s31, 0
.LBB79_709:
	s_delay_alu instid0(SALU_CYCLE_1)
	s_and_b32 vcc_lo, exec_lo, s31
	s_cbranch_vccz .LBB79_725
; %bb.710:
	s_cmp_lt_i32 s29, 27
	s_mov_b32 s30, -1
	s_cbranch_scc1 .LBB79_716
; %bb.711:
	s_cmp_gt_i32 s29, 27
	s_cbranch_scc0 .LBB79_713
; %bb.712:
	s_wait_xcnt 0x0
	v_cndmask_b32_e64 v1, 0, 1, s27
	s_mov_b32 s30, 0
	global_store_b32 v[2:3], v1, off
.LBB79_713:
	s_and_not1_b32 vcc_lo, exec_lo, s30
	s_cbranch_vccnz .LBB79_715
; %bb.714:
	s_wait_xcnt 0x0
	v_cndmask_b32_e64 v1, 0, 1, s27
	global_store_b16 v[2:3], v1, off
.LBB79_715:
	s_mov_b32 s30, 0
.LBB79_716:
	s_delay_alu instid0(SALU_CYCLE_1)
	s_and_not1_b32 vcc_lo, exec_lo, s30
	s_cbranch_vccnz .LBB79_724
; %bb.717:
	s_wait_xcnt 0x0
	v_cndmask_b32_e64 v4, 0, 1.0, s27
	v_mov_b32_e32 v5, 0x80
	s_mov_b32 s30, exec_lo
	s_delay_alu instid0(VALU_DEP_2)
	v_cmpx_gt_u32_e32 0x43800000, v4
	s_cbranch_execz .LBB79_723
; %bb.718:
	s_mov_b32 s31, 0
	s_mov_b32 s48, exec_lo
                                        ; implicit-def: $vgpr1
	v_cmpx_lt_u32_e32 0x3bffffff, v4
	s_xor_b32 s48, exec_lo, s48
	s_cbranch_execz .LBB79_842
; %bb.719:
	v_bfe_u32 v1, v4, 20, 1
	s_mov_b32 s31, exec_lo
	s_delay_alu instid0(VALU_DEP_1) | instskip(NEXT) | instid1(VALU_DEP_1)
	v_add3_u32 v1, v4, v1, 0x487ffff
                                        ; implicit-def: $vgpr4
	v_lshrrev_b32_e32 v1, 20, v1
	s_and_not1_saveexec_b32 s48, s48
	s_cbranch_execnz .LBB79_843
.LBB79_720:
	s_or_b32 exec_lo, exec_lo, s48
	v_mov_b32_e32 v5, 0
	s_and_saveexec_b32 s48, s31
.LBB79_721:
	v_mov_b32_e32 v5, v1
.LBB79_722:
	s_or_b32 exec_lo, exec_lo, s48
.LBB79_723:
	s_delay_alu instid0(SALU_CYCLE_1)
	s_or_b32 exec_lo, exec_lo, s30
	global_store_b8 v[2:3], v5, off
.LBB79_724:
	s_mov_b32 s30, -1
.LBB79_725:
	s_mov_b32 s31, 0
.LBB79_726:
	s_delay_alu instid0(SALU_CYCLE_1)
	s_and_b32 vcc_lo, exec_lo, s31
	s_cbranch_vccz .LBB79_767
; %bb.727:
	s_cmp_gt_i32 s29, 22
	s_mov_b32 s31, -1
	s_cbranch_scc0 .LBB79_759
; %bb.728:
	s_cmp_lt_i32 s29, 24
	s_mov_b32 s30, -1
	s_cbranch_scc1 .LBB79_748
; %bb.729:
	s_cmp_gt_i32 s29, 24
	s_cbranch_scc0 .LBB79_737
; %bb.730:
	s_wait_xcnt 0x0
	v_cndmask_b32_e64 v4, 0, 1.0, s27
	v_mov_b32_e32 v5, 0x80
	s_mov_b32 s30, exec_lo
	s_delay_alu instid0(VALU_DEP_2)
	v_cmpx_gt_u32_e32 0x47800000, v4
	s_cbranch_execz .LBB79_736
; %bb.731:
	s_mov_b32 s31, 0
	s_mov_b32 s48, exec_lo
                                        ; implicit-def: $vgpr1
	v_cmpx_lt_u32_e32 0x37ffffff, v4
	s_xor_b32 s48, exec_lo, s48
	s_cbranch_execz .LBB79_845
; %bb.732:
	v_bfe_u32 v1, v4, 21, 1
	s_mov_b32 s31, exec_lo
	s_delay_alu instid0(VALU_DEP_1) | instskip(NEXT) | instid1(VALU_DEP_1)
	v_add3_u32 v1, v4, v1, 0x88fffff
                                        ; implicit-def: $vgpr4
	v_lshrrev_b32_e32 v1, 21, v1
	s_and_not1_saveexec_b32 s48, s48
	s_cbranch_execnz .LBB79_846
.LBB79_733:
	s_or_b32 exec_lo, exec_lo, s48
	v_mov_b32_e32 v5, 0
	s_and_saveexec_b32 s48, s31
.LBB79_734:
	v_mov_b32_e32 v5, v1
.LBB79_735:
	s_or_b32 exec_lo, exec_lo, s48
.LBB79_736:
	s_delay_alu instid0(SALU_CYCLE_1)
	s_or_b32 exec_lo, exec_lo, s30
	s_mov_b32 s30, 0
	global_store_b8 v[2:3], v5, off
.LBB79_737:
	s_and_b32 vcc_lo, exec_lo, s30
	s_cbranch_vccz .LBB79_747
; %bb.738:
	s_wait_xcnt 0x0
	v_cndmask_b32_e64 v4, 0, 1.0, s27
	s_mov_b32 s30, exec_lo
                                        ; implicit-def: $vgpr1
	s_delay_alu instid0(VALU_DEP_1)
	v_cmpx_gt_u32_e32 0x43f00000, v4
	s_xor_b32 s30, exec_lo, s30
	s_cbranch_execz .LBB79_744
; %bb.739:
	s_mov_b32 s31, exec_lo
                                        ; implicit-def: $vgpr1
	v_cmpx_lt_u32_e32 0x3c7fffff, v4
	s_xor_b32 s31, exec_lo, s31
; %bb.740:
	v_bfe_u32 v1, v4, 20, 1
	s_delay_alu instid0(VALU_DEP_1) | instskip(NEXT) | instid1(VALU_DEP_1)
	v_add3_u32 v1, v4, v1, 0x407ffff
	v_and_b32_e32 v4, 0xff00000, v1
	v_lshrrev_b32_e32 v1, 20, v1
	s_delay_alu instid0(VALU_DEP_2) | instskip(NEXT) | instid1(VALU_DEP_2)
	v_cmp_ne_u32_e32 vcc_lo, 0x7f00000, v4
                                        ; implicit-def: $vgpr4
	v_cndmask_b32_e32 v1, 0x7e, v1, vcc_lo
; %bb.741:
	s_and_not1_saveexec_b32 s31, s31
; %bb.742:
	v_add_f32_e32 v1, 0x46800000, v4
; %bb.743:
	s_or_b32 exec_lo, exec_lo, s31
                                        ; implicit-def: $vgpr4
.LBB79_744:
	s_and_not1_saveexec_b32 s30, s30
; %bb.745:
	v_mov_b32_e32 v1, 0x7f
	v_cmp_lt_u32_e32 vcc_lo, 0x7f800000, v4
	s_delay_alu instid0(VALU_DEP_2)
	v_cndmask_b32_e32 v1, 0x7e, v1, vcc_lo
; %bb.746:
	s_or_b32 exec_lo, exec_lo, s30
	global_store_b8 v[2:3], v1, off
.LBB79_747:
	s_mov_b32 s30, 0
.LBB79_748:
	s_delay_alu instid0(SALU_CYCLE_1)
	s_and_not1_b32 vcc_lo, exec_lo, s30
	s_cbranch_vccnz .LBB79_758
; %bb.749:
	s_wait_xcnt 0x0
	v_cndmask_b32_e64 v4, 0, 1.0, s27
	s_mov_b32 s30, exec_lo
                                        ; implicit-def: $vgpr1
	s_delay_alu instid0(VALU_DEP_1)
	v_cmpx_gt_u32_e32 0x47800000, v4
	s_xor_b32 s30, exec_lo, s30
	s_cbranch_execz .LBB79_755
; %bb.750:
	s_mov_b32 s31, exec_lo
                                        ; implicit-def: $vgpr1
	v_cmpx_lt_u32_e32 0x387fffff, v4
	s_xor_b32 s31, exec_lo, s31
; %bb.751:
	v_bfe_u32 v1, v4, 21, 1
	s_delay_alu instid0(VALU_DEP_1) | instskip(NEXT) | instid1(VALU_DEP_1)
	v_add3_u32 v1, v4, v1, 0x80fffff
                                        ; implicit-def: $vgpr4
	v_lshrrev_b32_e32 v1, 21, v1
; %bb.752:
	s_and_not1_saveexec_b32 s31, s31
; %bb.753:
	v_add_f32_e32 v1, 0x43000000, v4
; %bb.754:
	s_or_b32 exec_lo, exec_lo, s31
                                        ; implicit-def: $vgpr4
.LBB79_755:
	s_and_not1_saveexec_b32 s30, s30
; %bb.756:
	v_mov_b32_e32 v1, 0x7f
	v_cmp_lt_u32_e32 vcc_lo, 0x7f800000, v4
	s_delay_alu instid0(VALU_DEP_2)
	v_cndmask_b32_e32 v1, 0x7c, v1, vcc_lo
; %bb.757:
	s_or_b32 exec_lo, exec_lo, s30
	global_store_b8 v[2:3], v1, off
.LBB79_758:
	s_mov_b32 s31, 0
	s_mov_b32 s30, -1
.LBB79_759:
	s_and_not1_b32 vcc_lo, exec_lo, s31
	s_cbranch_vccnz .LBB79_767
; %bb.760:
	s_cmp_gt_i32 s29, 14
	s_mov_b32 s31, -1
	s_cbranch_scc0 .LBB79_764
; %bb.761:
	s_cmp_eq_u32 s29, 15
	s_mov_b32 s0, -1
	s_cbranch_scc0 .LBB79_763
; %bb.762:
	s_wait_xcnt 0x0
	v_cndmask_b32_e64 v1, 0, 1.0, s27
	s_mov_b32 s30, -1
	s_mov_b32 s0, 0
	s_delay_alu instid0(VALU_DEP_1) | instskip(NEXT) | instid1(VALU_DEP_1)
	v_bfe_u32 v4, v1, 16, 1
	v_add3_u32 v1, v1, v4, 0x7fff
	global_store_d16_hi_b16 v[2:3], v1, off
.LBB79_763:
	s_mov_b32 s31, 0
.LBB79_764:
	s_delay_alu instid0(SALU_CYCLE_1)
	s_and_b32 vcc_lo, exec_lo, s31
	s_cbranch_vccz .LBB79_767
; %bb.765:
	s_cmp_eq_u32 s29, 11
	s_mov_b32 s0, -1
	s_cbranch_scc0 .LBB79_767
; %bb.766:
	s_wait_xcnt 0x0
	v_cndmask_b32_e64 v1, 0, 1, s27
	s_mov_b32 s30, -1
	s_mov_b32 s0, 0
	global_store_b8 v[2:3], v1, off
.LBB79_767:
	s_mov_b32 s29, 0
.LBB79_768:
	s_delay_alu instid0(SALU_CYCLE_1)
	s_and_b32 vcc_lo, exec_lo, s29
	s_cbranch_vccz .LBB79_807
; %bb.769:
	s_and_b32 s28, 0xffff, s28
	s_mov_b32 s29, -1
	s_cmp_lt_i32 s28, 5
	s_cbranch_scc1 .LBB79_790
; %bb.770:
	s_cmp_lt_i32 s28, 8
	s_cbranch_scc1 .LBB79_780
; %bb.771:
	;; [unrolled: 3-line block ×3, first 2 shown]
	s_cmp_gt_i32 s28, 9
	s_cbranch_scc0 .LBB79_774
; %bb.773:
	s_wait_xcnt 0x0
	v_cndmask_b32_e64 v1, 0, 1, s27
	v_mov_b32_e32 v6, 0
	s_mov_b32 s29, 0
	s_delay_alu instid0(VALU_DEP_2) | instskip(NEXT) | instid1(VALU_DEP_2)
	v_cvt_f64_u32_e32 v[4:5], v1
	v_mov_b32_e32 v7, v6
	global_store_b128 v[2:3], v[4:7], off
.LBB79_774:
	s_and_not1_b32 vcc_lo, exec_lo, s29
	s_cbranch_vccnz .LBB79_776
; %bb.775:
	s_wait_xcnt 0x0
	v_cndmask_b32_e64 v4, 0, 1.0, s27
	v_mov_b32_e32 v5, 0
	global_store_b64 v[2:3], v[4:5], off
.LBB79_776:
	s_mov_b32 s29, 0
.LBB79_777:
	s_delay_alu instid0(SALU_CYCLE_1)
	s_and_not1_b32 vcc_lo, exec_lo, s29
	s_cbranch_vccnz .LBB79_779
; %bb.778:
	s_wait_xcnt 0x0
	v_cndmask_b32_e64 v1, 0, 1.0, s27
	s_delay_alu instid0(VALU_DEP_1) | instskip(NEXT) | instid1(VALU_DEP_1)
	v_cvt_f16_f32_e32 v1, v1
	v_and_b32_e32 v1, 0xffff, v1
	global_store_b32 v[2:3], v1, off
.LBB79_779:
	s_mov_b32 s29, 0
.LBB79_780:
	s_delay_alu instid0(SALU_CYCLE_1)
	s_and_not1_b32 vcc_lo, exec_lo, s29
	s_cbranch_vccnz .LBB79_789
; %bb.781:
	s_cmp_lt_i32 s28, 6
	s_mov_b32 s29, -1
	s_cbranch_scc1 .LBB79_787
; %bb.782:
	s_cmp_gt_i32 s28, 6
	s_cbranch_scc0 .LBB79_784
; %bb.783:
	s_wait_xcnt 0x0
	v_cndmask_b32_e64 v1, 0, 1, s27
	s_mov_b32 s29, 0
	s_delay_alu instid0(VALU_DEP_1)
	v_cvt_f64_u32_e32 v[4:5], v1
	global_store_b64 v[2:3], v[4:5], off
.LBB79_784:
	s_and_not1_b32 vcc_lo, exec_lo, s29
	s_cbranch_vccnz .LBB79_786
; %bb.785:
	s_wait_xcnt 0x0
	v_cndmask_b32_e64 v1, 0, 1.0, s27
	global_store_b32 v[2:3], v1, off
.LBB79_786:
	s_mov_b32 s29, 0
.LBB79_787:
	s_delay_alu instid0(SALU_CYCLE_1)
	s_and_not1_b32 vcc_lo, exec_lo, s29
	s_cbranch_vccnz .LBB79_789
; %bb.788:
	s_wait_xcnt 0x0
	v_cndmask_b32_e64 v1, 0, 1.0, s27
	s_delay_alu instid0(VALU_DEP_1)
	v_cvt_f16_f32_e32 v1, v1
	global_store_b16 v[2:3], v1, off
.LBB79_789:
	s_mov_b32 s29, 0
.LBB79_790:
	s_delay_alu instid0(SALU_CYCLE_1)
	s_and_not1_b32 vcc_lo, exec_lo, s29
	s_cbranch_vccnz .LBB79_806
; %bb.791:
	s_cmp_lt_i32 s28, 2
	s_mov_b32 s29, -1
	s_cbranch_scc1 .LBB79_801
; %bb.792:
	s_cmp_lt_i32 s28, 3
	s_cbranch_scc1 .LBB79_798
; %bb.793:
	s_cmp_gt_i32 s28, 3
	s_cbranch_scc0 .LBB79_795
; %bb.794:
	s_mov_b32 s29, 0
	s_wait_xcnt 0x0
	v_cndmask_b32_e64 v4, 0, 1, s27
	v_mov_b32_e32 v5, s29
	global_store_b64 v[2:3], v[4:5], off
.LBB79_795:
	s_and_not1_b32 vcc_lo, exec_lo, s29
	s_cbranch_vccnz .LBB79_797
; %bb.796:
	s_wait_xcnt 0x0
	v_cndmask_b32_e64 v1, 0, 1, s27
	global_store_b32 v[2:3], v1, off
.LBB79_797:
	s_mov_b32 s29, 0
.LBB79_798:
	s_delay_alu instid0(SALU_CYCLE_1)
	s_and_not1_b32 vcc_lo, exec_lo, s29
	s_cbranch_vccnz .LBB79_800
; %bb.799:
	s_wait_xcnt 0x0
	v_cndmask_b32_e64 v1, 0, 1, s27
	global_store_b16 v[2:3], v1, off
.LBB79_800:
	s_mov_b32 s29, 0
.LBB79_801:
	s_delay_alu instid0(SALU_CYCLE_1)
	s_and_not1_b32 vcc_lo, exec_lo, s29
	s_cbranch_vccnz .LBB79_806
; %bb.802:
	s_wait_xcnt 0x0
	v_cndmask_b32_e64 v1, 0, 1, s27
	s_cmp_gt_i32 s28, 0
	s_mov_b32 s27, -1
	s_cbranch_scc0 .LBB79_804
; %bb.803:
	s_mov_b32 s27, 0
	global_store_b8 v[2:3], v1, off
.LBB79_804:
	s_and_not1_b32 vcc_lo, exec_lo, s27
	s_cbranch_vccnz .LBB79_806
; %bb.805:
	global_store_b8 v[2:3], v1, off
.LBB79_806:
	s_mov_b32 s30, -1
.LBB79_807:
	s_delay_alu instid0(SALU_CYCLE_1)
	s_and_not1_b32 vcc_lo, exec_lo, s30
	s_cbranch_vccnz .LBB79_809
; %bb.808:
	v_add_nc_u32_e32 v0, 0x80, v0
	s_mov_b32 s27, -1
	s_branch .LBB79_811
.LBB79_809:
	s_mov_b32 s27, 0
.LBB79_810:
                                        ; implicit-def: $vgpr0
.LBB79_811:
	s_and_not1_b32 s28, s45, exec_lo
	s_and_b32 s0, s0, exec_lo
	s_and_not1_b32 s29, s44, exec_lo
	s_and_b32 s26, s26, exec_lo
	s_or_b32 s30, s28, s0
	s_or_b32 s0, s29, s26
	s_or_not1_b32 s29, s27, exec_lo
.LBB79_812:
	s_wait_xcnt 0x0
	s_or_b32 exec_lo, exec_lo, s47
	s_mov_b32 s26, 0
	s_mov_b32 s27, 0
	s_mov_b32 s28, 0
                                        ; implicit-def: $vgpr4_vgpr5
                                        ; implicit-def: $vgpr2
                                        ; implicit-def: $vgpr6
	s_and_saveexec_b32 s31, s29
	s_cbranch_execz .LBB79_910
; %bb.813:
	v_cmp_gt_i32_e32 vcc_lo, s39, v0
	s_mov_b32 s29, s0
                                        ; implicit-def: $vgpr4_vgpr5
                                        ; implicit-def: $vgpr2
                                        ; implicit-def: $vgpr6
	s_and_saveexec_b32 s39, vcc_lo
	s_cbranch_execz .LBB79_909
; %bb.814:
	s_and_not1_b32 vcc_lo, exec_lo, s35
	s_cbranch_vccnz .LBB79_820
; %bb.815:
	s_and_not1_b32 vcc_lo, exec_lo, s41
	s_cbranch_vccnz .LBB79_821
; %bb.816:
	s_add_co_i32 s40, s40, 1
	s_cmp_eq_u32 s34, 2
	s_cbranch_scc1 .LBB79_822
; %bb.817:
	v_dual_mov_b32 v2, 0 :: v_dual_mov_b32 v4, 0
	v_mov_b32_e32 v1, v0
	s_and_b32 s26, s40, 28
	s_mov_b64 s[28:29], s[16:17]
.LBB79_818:                             ; =>This Inner Loop Header: Depth=1
	s_clause 0x1
	s_load_b256 s[48:55], s[28:29], 0x4
	s_load_b128 s[64:67], s[28:29], 0x24
	s_load_b256 s[56:63], s[24:25], 0x0
	s_add_co_i32 s27, s27, 4
	s_wait_xcnt 0x0
	s_add_nc_u64 s[28:29], s[28:29], 48
	s_cmp_eq_u32 s26, s27
	s_add_nc_u64 s[24:25], s[24:25], 32
	s_wait_kmcnt 0x0
	v_mul_hi_u32 v3, s49, v1
	s_delay_alu instid0(VALU_DEP_1) | instskip(NEXT) | instid1(VALU_DEP_1)
	v_add_nc_u32_e32 v3, v1, v3
	v_lshrrev_b32_e32 v3, s50, v3
	s_delay_alu instid0(VALU_DEP_1) | instskip(NEXT) | instid1(VALU_DEP_1)
	v_mul_hi_u32 v5, s52, v3
	v_add_nc_u32_e32 v5, v3, v5
	s_delay_alu instid0(VALU_DEP_1) | instskip(SKIP_1) | instid1(VALU_DEP_1)
	v_lshrrev_b32_e32 v5, s53, v5
	s_wait_loadcnt 0x0
	v_mul_hi_u32 v6, s55, v5
	s_delay_alu instid0(VALU_DEP_1) | instskip(SKIP_1) | instid1(VALU_DEP_1)
	v_add_nc_u32_e32 v6, v5, v6
	v_mul_lo_u32 v7, v3, s48
	v_sub_nc_u32_e32 v1, v1, v7
	v_mul_lo_u32 v7, v5, s51
	s_delay_alu instid0(VALU_DEP_4) | instskip(NEXT) | instid1(VALU_DEP_3)
	v_lshrrev_b32_e32 v6, s64, v6
	v_mad_u32 v4, v1, s57, v4
	v_mad_u32 v1, v1, s56, v2
	s_delay_alu instid0(VALU_DEP_4) | instskip(NEXT) | instid1(VALU_DEP_4)
	v_sub_nc_u32_e32 v2, v3, v7
	v_mul_hi_u32 v8, s66, v6
	v_mul_lo_u32 v3, v6, s54
	s_delay_alu instid0(VALU_DEP_3) | instskip(SKIP_1) | instid1(VALU_DEP_3)
	v_mad_u32 v4, v2, s59, v4
	v_mad_u32 v2, v2, s58, v1
	v_dual_add_nc_u32 v7, v6, v8 :: v_dual_sub_nc_u32 v3, v5, v3
	s_delay_alu instid0(VALU_DEP_1) | instskip(NEXT) | instid1(VALU_DEP_2)
	v_lshrrev_b32_e32 v1, s67, v7
	v_mad_u32 v4, v3, s61, v4
	s_delay_alu instid0(VALU_DEP_4) | instskip(NEXT) | instid1(VALU_DEP_3)
	v_mad_u32 v2, v3, s60, v2
	v_mul_lo_u32 v5, v1, s65
	s_delay_alu instid0(VALU_DEP_1) | instskip(NEXT) | instid1(VALU_DEP_1)
	v_sub_nc_u32_e32 v3, v6, v5
	v_mad_u32 v4, v3, s63, v4
	s_delay_alu instid0(VALU_DEP_4)
	v_mad_u32 v2, v3, s62, v2
	s_cbranch_scc0 .LBB79_818
; %bb.819:
	s_delay_alu instid0(VALU_DEP_2)
	v_mov_b32_e32 v3, v4
	s_branch .LBB79_823
.LBB79_820:
	s_mov_b32 s24, -1
                                        ; implicit-def: $vgpr4
                                        ; implicit-def: $vgpr2
	s_branch .LBB79_828
.LBB79_821:
	v_dual_mov_b32 v4, 0 :: v_dual_mov_b32 v2, 0
	s_branch .LBB79_827
.LBB79_822:
	v_mov_b64_e32 v[2:3], 0
	v_mov_b32_e32 v1, v0
                                        ; implicit-def: $vgpr4
.LBB79_823:
	s_and_b32 s28, s40, 3
	s_mov_b32 s27, 0
	s_cmp_eq_u32 s28, 0
	s_cbranch_scc1 .LBB79_827
; %bb.824:
	s_lshl_b32 s24, s26, 3
	s_mov_b32 s25, s27
	s_mul_u64 s[26:27], s[26:27], 12
	s_add_nc_u64 s[24:25], s[16:17], s[24:25]
	s_add_nc_u64 s[26:27], s[16:17], s[26:27]
	;; [unrolled: 1-line block ×3, first 2 shown]
.LBB79_825:                             ; =>This Inner Loop Header: Depth=1
	s_load_b96 s[48:50], s[26:27], 0x4
	s_load_b64 s[40:41], s[24:25], 0x0
	s_add_co_i32 s28, s28, -1
	s_wait_xcnt 0x0
	s_add_nc_u64 s[26:27], s[26:27], 12
	s_cmp_lg_u32 s28, 0
	s_add_nc_u64 s[24:25], s[24:25], 8
	s_wait_kmcnt 0x0
	v_mul_hi_u32 v4, s49, v1
	s_delay_alu instid0(VALU_DEP_1) | instskip(NEXT) | instid1(VALU_DEP_1)
	v_add_nc_u32_e32 v4, v1, v4
	v_lshrrev_b32_e32 v4, s50, v4
	s_delay_alu instid0(VALU_DEP_1) | instskip(NEXT) | instid1(VALU_DEP_1)
	v_mul_lo_u32 v5, v4, s48
	v_sub_nc_u32_e32 v1, v1, v5
	s_delay_alu instid0(VALU_DEP_1)
	v_mad_u32 v3, v1, s41, v3
	v_mad_u32 v2, v1, s40, v2
	v_mov_b32_e32 v1, v4
	s_cbranch_scc1 .LBB79_825
; %bb.826:
	s_delay_alu instid0(VALU_DEP_3)
	v_mov_b32_e32 v4, v3
.LBB79_827:
	s_mov_b32 s24, 0
.LBB79_828:
	s_delay_alu instid0(SALU_CYCLE_1)
	s_and_not1_b32 vcc_lo, exec_lo, s24
	s_cbranch_vccnz .LBB79_831
; %bb.829:
	v_mov_b32_e32 v1, 0
	s_and_not1_b32 vcc_lo, exec_lo, s38
	s_delay_alu instid0(VALU_DEP_1) | instskip(NEXT) | instid1(VALU_DEP_1)
	v_mul_u64_e32 v[2:3], s[18:19], v[0:1]
	v_add_nc_u32_e32 v2, v0, v3
	s_wait_loadcnt 0x0
	s_delay_alu instid0(VALU_DEP_1) | instskip(NEXT) | instid1(VALU_DEP_1)
	v_lshrrev_b32_e32 v6, s10, v2
	v_mul_lo_u32 v2, v6, s8
	s_delay_alu instid0(VALU_DEP_1) | instskip(NEXT) | instid1(VALU_DEP_1)
	v_sub_nc_u32_e32 v0, v0, v2
	v_mul_lo_u32 v4, v0, s13
	v_mul_lo_u32 v2, v0, s12
	s_cbranch_vccnz .LBB79_831
; %bb.830:
	v_mov_b32_e32 v7, v1
	s_delay_alu instid0(VALU_DEP_1) | instskip(NEXT) | instid1(VALU_DEP_1)
	v_mul_u64_e32 v[0:1], s[22:23], v[6:7]
	v_add_nc_u32_e32 v0, v6, v1
	s_delay_alu instid0(VALU_DEP_1) | instskip(NEXT) | instid1(VALU_DEP_1)
	v_lshrrev_b32_e32 v0, s21, v0
	v_mul_lo_u32 v0, v0, s11
	s_delay_alu instid0(VALU_DEP_1) | instskip(NEXT) | instid1(VALU_DEP_1)
	v_sub_nc_u32_e32 v0, v6, v0
	v_mad_u32 v2, v0, s14, v2
	v_mad_u32 v4, v0, s15, v4
.LBB79_831:
	v_mov_b32_e32 v5, 0
	s_delay_alu instid0(VALU_DEP_1) | instskip(SKIP_1) | instid1(SALU_CYCLE_1)
	v_add_nc_u64_e32 v[4:5], s[6:7], v[4:5]
	s_and_b32 s6, 0xffff, s37
	s_cmp_lt_i32 s6, 11
	s_cbranch_scc1 .LBB79_838
; %bb.832:
	s_cmp_gt_i32 s6, 25
	s_mov_b32 s8, 0
	s_cbranch_scc0 .LBB79_839
; %bb.833:
	s_cmp_gt_i32 s6, 28
	s_cbranch_scc0 .LBB79_840
; %bb.834:
	s_cmp_gt_i32 s6, 43
	;; [unrolled: 3-line block ×3, first 2 shown]
	s_cbranch_scc0 .LBB79_844
; %bb.836:
	s_cmp_eq_u32 s6, 46
	s_mov_b32 s11, 0
	s_cbranch_scc0 .LBB79_847
; %bb.837:
	global_load_b32 v0, v[4:5], off
	s_mov_b32 s7, 0
	s_mov_b32 s10, -1
	s_wait_loadcnt 0x0
	v_lshlrev_b32_e32 v0, 16, v0
	s_delay_alu instid0(VALU_DEP_1)
	v_cvt_i32_f32_e32 v6, v0
	s_branch .LBB79_849
.LBB79_838:
	s_mov_b32 s6, -1
	s_mov_b32 s10, 0
	s_mov_b32 s8, 0
	;; [unrolled: 1-line block ×3, first 2 shown]
                                        ; implicit-def: $vgpr6
	s_branch .LBB79_908
.LBB79_839:
	s_mov_b32 s11, -1
	s_mov_b32 s10, 0
	s_mov_b32 s7, s0
                                        ; implicit-def: $vgpr6
	s_branch .LBB79_876
.LBB79_840:
	s_mov_b32 s11, -1
	s_mov_b32 s10, 0
	s_mov_b32 s7, s0
                                        ; implicit-def: $vgpr6
	s_branch .LBB79_859
.LBB79_841:
	s_mov_b32 s11, -1
	s_mov_b32 s10, 0
	s_mov_b32 s7, s0
                                        ; implicit-def: $vgpr6
	s_branch .LBB79_854
.LBB79_842:
	s_and_not1_saveexec_b32 s48, s48
	s_cbranch_execz .LBB79_720
.LBB79_843:
	v_add_f32_e32 v1, 0x46000000, v4
	s_and_not1_b32 s31, s31, exec_lo
	s_delay_alu instid0(VALU_DEP_1) | instskip(NEXT) | instid1(VALU_DEP_1)
	v_and_b32_e32 v1, 0xff, v1
	v_cmp_ne_u32_e32 vcc_lo, 0, v1
	s_and_b32 s49, vcc_lo, exec_lo
	s_delay_alu instid0(SALU_CYCLE_1)
	s_or_b32 s31, s31, s49
	s_or_b32 exec_lo, exec_lo, s48
	v_mov_b32_e32 v5, 0
	s_and_saveexec_b32 s48, s31
	s_cbranch_execnz .LBB79_721
	s_branch .LBB79_722
.LBB79_844:
	s_mov_b32 s11, -1
	s_mov_b32 s10, 0
	s_mov_b32 s7, s0
	s_branch .LBB79_848
.LBB79_845:
	s_and_not1_saveexec_b32 s48, s48
	s_cbranch_execz .LBB79_733
.LBB79_846:
	v_add_f32_e32 v1, 0x42800000, v4
	s_and_not1_b32 s31, s31, exec_lo
	s_delay_alu instid0(VALU_DEP_1) | instskip(NEXT) | instid1(VALU_DEP_1)
	v_and_b32_e32 v1, 0xff, v1
	v_cmp_ne_u32_e32 vcc_lo, 0, v1
	s_and_b32 s49, vcc_lo, exec_lo
	s_delay_alu instid0(SALU_CYCLE_1)
	s_or_b32 s31, s31, s49
	s_or_b32 exec_lo, exec_lo, s48
	v_mov_b32_e32 v5, 0
	s_and_saveexec_b32 s48, s31
	s_cbranch_execnz .LBB79_734
	s_branch .LBB79_735
.LBB79_847:
	s_mov_b32 s7, -1
	s_mov_b32 s10, 0
.LBB79_848:
                                        ; implicit-def: $vgpr6
.LBB79_849:
	s_and_b32 vcc_lo, exec_lo, s11
	s_cbranch_vccz .LBB79_853
; %bb.850:
	s_cmp_eq_u32 s6, 44
	s_cbranch_scc0 .LBB79_852
; %bb.851:
	global_load_u8 v0, v[4:5], off
	s_mov_b32 s7, 0
	s_mov_b32 s10, -1
	s_wait_loadcnt 0x0
	v_lshlrev_b32_e32 v1, 23, v0
	v_cmp_ne_u32_e32 vcc_lo, 0, v0
	s_delay_alu instid0(VALU_DEP_2) | instskip(NEXT) | instid1(VALU_DEP_1)
	v_cvt_i32_f32_e32 v1, v1
	v_cndmask_b32_e32 v6, 0, v1, vcc_lo
	s_branch .LBB79_853
.LBB79_852:
	s_mov_b32 s7, -1
                                        ; implicit-def: $vgpr6
.LBB79_853:
	s_mov_b32 s11, 0
.LBB79_854:
	s_delay_alu instid0(SALU_CYCLE_1)
	s_and_b32 vcc_lo, exec_lo, s11
	s_cbranch_vccz .LBB79_858
; %bb.855:
	s_cmp_eq_u32 s6, 29
	s_cbranch_scc0 .LBB79_857
; %bb.856:
	s_wait_loadcnt 0x0
	global_load_b64 v[6:7], v[4:5], off
	s_mov_b32 s7, 0
	s_mov_b32 s10, -1
	s_branch .LBB79_858
.LBB79_857:
	s_mov_b32 s7, -1
                                        ; implicit-def: $vgpr6
.LBB79_858:
	s_mov_b32 s11, 0
.LBB79_859:
	s_delay_alu instid0(SALU_CYCLE_1)
	s_and_b32 vcc_lo, exec_lo, s11
	s_cbranch_vccz .LBB79_875
; %bb.860:
	s_cmp_lt_i32 s6, 27
	s_cbranch_scc1 .LBB79_863
; %bb.861:
	s_cmp_gt_i32 s6, 27
	s_cbranch_scc0 .LBB79_864
; %bb.862:
	s_wait_loadcnt 0x0
	global_load_b32 v6, v[4:5], off
	s_mov_b32 s10, 0
	s_branch .LBB79_865
.LBB79_863:
	s_mov_b32 s10, -1
                                        ; implicit-def: $vgpr6
	s_branch .LBB79_868
.LBB79_864:
	s_mov_b32 s10, -1
                                        ; implicit-def: $vgpr6
.LBB79_865:
	s_delay_alu instid0(SALU_CYCLE_1)
	s_and_not1_b32 vcc_lo, exec_lo, s10
	s_cbranch_vccnz .LBB79_867
; %bb.866:
	s_wait_loadcnt 0x0
	global_load_u16 v6, v[4:5], off
.LBB79_867:
	s_mov_b32 s10, 0
.LBB79_868:
	s_delay_alu instid0(SALU_CYCLE_1)
	s_and_not1_b32 vcc_lo, exec_lo, s10
	s_cbranch_vccnz .LBB79_874
; %bb.869:
	global_load_u8 v0, v[4:5], off
	s_mov_b32 s11, 0
	s_mov_b32 s10, exec_lo
	s_wait_loadcnt 0x0
	v_cmpx_lt_i16_e32 0x7f, v0
	s_xor_b32 s10, exec_lo, s10
	s_cbranch_execz .LBB79_886
; %bb.870:
	v_cmp_ne_u16_e32 vcc_lo, 0x80, v0
	s_and_b32 s11, vcc_lo, exec_lo
	s_and_not1_saveexec_b32 s10, s10
	s_cbranch_execnz .LBB79_887
.LBB79_871:
	s_or_b32 exec_lo, exec_lo, s10
	v_mov_b32_e32 v6, 0
	s_and_saveexec_b32 s10, s11
	s_cbranch_execz .LBB79_873
.LBB79_872:
	v_and_b32_e32 v1, 0xffff, v0
	s_delay_alu instid0(VALU_DEP_1) | instskip(SKIP_1) | instid1(VALU_DEP_2)
	v_and_b32_e32 v3, 7, v1
	v_bfe_u32 v8, v1, 3, 4
	v_clz_i32_u32_e32 v6, v3
	s_delay_alu instid0(VALU_DEP_2) | instskip(NEXT) | instid1(VALU_DEP_2)
	v_cmp_eq_u32_e32 vcc_lo, 0, v8
	v_min_u32_e32 v6, 32, v6
	s_delay_alu instid0(VALU_DEP_1) | instskip(NEXT) | instid1(VALU_DEP_1)
	v_subrev_nc_u32_e32 v7, 28, v6
	v_dual_lshlrev_b32 v1, v7, v1 :: v_dual_sub_nc_u32 v6, 29, v6
	s_delay_alu instid0(VALU_DEP_1) | instskip(NEXT) | instid1(VALU_DEP_1)
	v_dual_lshlrev_b32 v0, 24, v0 :: v_dual_bitop2_b32 v1, 7, v1 bitop3:0x40
	v_dual_cndmask_b32 v6, v8, v6 :: v_dual_cndmask_b32 v1, v3, v1
	s_delay_alu instid0(VALU_DEP_2) | instskip(NEXT) | instid1(VALU_DEP_2)
	v_and_b32_e32 v0, 0x80000000, v0
	v_lshl_add_u32 v3, v6, 23, 0x3b800000
	s_delay_alu instid0(VALU_DEP_3) | instskip(NEXT) | instid1(VALU_DEP_1)
	v_lshlrev_b32_e32 v1, 20, v1
	v_or3_b32 v0, v0, v3, v1
	s_delay_alu instid0(VALU_DEP_1)
	v_cvt_i32_f32_e32 v6, v0
.LBB79_873:
	s_or_b32 exec_lo, exec_lo, s10
.LBB79_874:
	s_mov_b32 s10, -1
.LBB79_875:
	s_mov_b32 s11, 0
.LBB79_876:
	s_delay_alu instid0(SALU_CYCLE_1)
	s_and_b32 vcc_lo, exec_lo, s11
	s_cbranch_vccz .LBB79_907
; %bb.877:
	s_cmp_gt_i32 s6, 22
	s_cbranch_scc0 .LBB79_885
; %bb.878:
	s_cmp_lt_i32 s6, 24
	s_cbranch_scc1 .LBB79_888
; %bb.879:
	s_cmp_gt_i32 s6, 24
	s_cbranch_scc0 .LBB79_889
; %bb.880:
	global_load_u8 v0, v[4:5], off
	s_mov_b32 s10, 0
	s_mov_b32 s8, exec_lo
	s_wait_loadcnt 0x0
	v_cmpx_lt_i16_e32 0x7f, v0
	s_xor_b32 s8, exec_lo, s8
	s_cbranch_execz .LBB79_901
; %bb.881:
	v_cmp_ne_u16_e32 vcc_lo, 0x80, v0
	s_and_b32 s10, vcc_lo, exec_lo
	s_and_not1_saveexec_b32 s8, s8
	s_cbranch_execnz .LBB79_902
.LBB79_882:
	s_or_b32 exec_lo, exec_lo, s8
	v_mov_b32_e32 v6, 0
	s_and_saveexec_b32 s8, s10
	s_cbranch_execz .LBB79_884
.LBB79_883:
	v_and_b32_e32 v1, 0xffff, v0
	s_delay_alu instid0(VALU_DEP_1) | instskip(SKIP_1) | instid1(VALU_DEP_2)
	v_and_b32_e32 v3, 3, v1
	v_bfe_u32 v8, v1, 2, 5
	v_clz_i32_u32_e32 v6, v3
	s_delay_alu instid0(VALU_DEP_2) | instskip(NEXT) | instid1(VALU_DEP_2)
	v_cmp_eq_u32_e32 vcc_lo, 0, v8
	v_min_u32_e32 v6, 32, v6
	s_delay_alu instid0(VALU_DEP_1) | instskip(NEXT) | instid1(VALU_DEP_1)
	v_subrev_nc_u32_e32 v7, 29, v6
	v_dual_lshlrev_b32 v1, v7, v1 :: v_dual_sub_nc_u32 v6, 30, v6
	s_delay_alu instid0(VALU_DEP_1) | instskip(NEXT) | instid1(VALU_DEP_1)
	v_dual_lshlrev_b32 v0, 24, v0 :: v_dual_bitop2_b32 v1, 3, v1 bitop3:0x40
	v_dual_cndmask_b32 v6, v8, v6 :: v_dual_cndmask_b32 v1, v3, v1
	s_delay_alu instid0(VALU_DEP_2) | instskip(NEXT) | instid1(VALU_DEP_2)
	v_and_b32_e32 v0, 0x80000000, v0
	v_lshl_add_u32 v3, v6, 23, 0x37800000
	s_delay_alu instid0(VALU_DEP_3) | instskip(NEXT) | instid1(VALU_DEP_1)
	v_lshlrev_b32_e32 v1, 21, v1
	v_or3_b32 v0, v0, v3, v1
	s_delay_alu instid0(VALU_DEP_1)
	v_cvt_i32_f32_e32 v6, v0
.LBB79_884:
	s_or_b32 exec_lo, exec_lo, s8
	s_mov_b32 s8, 0
	s_branch .LBB79_890
.LBB79_885:
	s_mov_b32 s8, -1
                                        ; implicit-def: $vgpr6
	s_branch .LBB79_896
.LBB79_886:
	s_and_not1_saveexec_b32 s10, s10
	s_cbranch_execz .LBB79_871
.LBB79_887:
	v_cmp_ne_u16_e32 vcc_lo, 0, v0
	s_and_not1_b32 s11, s11, exec_lo
	s_and_b32 s12, vcc_lo, exec_lo
	s_delay_alu instid0(SALU_CYCLE_1)
	s_or_b32 s11, s11, s12
	s_or_b32 exec_lo, exec_lo, s10
	v_mov_b32_e32 v6, 0
	s_and_saveexec_b32 s10, s11
	s_cbranch_execnz .LBB79_872
	s_branch .LBB79_873
.LBB79_888:
	s_mov_b32 s8, -1
                                        ; implicit-def: $vgpr6
	s_branch .LBB79_893
.LBB79_889:
	s_mov_b32 s8, -1
                                        ; implicit-def: $vgpr6
.LBB79_890:
	s_delay_alu instid0(SALU_CYCLE_1)
	s_and_b32 vcc_lo, exec_lo, s8
	s_cbranch_vccz .LBB79_892
; %bb.891:
	global_load_u8 v0, v[4:5], off
	s_wait_loadcnt 0x0
	v_lshlrev_b32_e32 v0, 24, v0
	s_delay_alu instid0(VALU_DEP_1) | instskip(NEXT) | instid1(VALU_DEP_1)
	v_and_b32_e32 v1, 0x7f000000, v0
	v_clz_i32_u32_e32 v3, v1
	v_add_nc_u32_e32 v7, 0x1000000, v1
	v_cmp_ne_u32_e32 vcc_lo, 0, v1
	s_delay_alu instid0(VALU_DEP_3) | instskip(NEXT) | instid1(VALU_DEP_1)
	v_min_u32_e32 v3, 32, v3
	v_sub_nc_u32_e64 v3, v3, 4 clamp
	s_delay_alu instid0(VALU_DEP_1) | instskip(NEXT) | instid1(VALU_DEP_1)
	v_dual_lshlrev_b32 v6, v3, v1 :: v_dual_lshlrev_b32 v3, 23, v3
	v_lshrrev_b32_e32 v6, 4, v6
	s_delay_alu instid0(VALU_DEP_1) | instskip(SKIP_1) | instid1(VALU_DEP_2)
	v_sub_nc_u32_e32 v3, v6, v3
	v_ashrrev_i32_e32 v6, 8, v7
	v_add_nc_u32_e32 v3, 0x3c000000, v3
	s_delay_alu instid0(VALU_DEP_1) | instskip(NEXT) | instid1(VALU_DEP_1)
	v_and_or_b32 v3, 0x7f800000, v6, v3
	v_cndmask_b32_e32 v1, 0, v3, vcc_lo
	s_delay_alu instid0(VALU_DEP_1) | instskip(NEXT) | instid1(VALU_DEP_1)
	v_and_or_b32 v0, 0x80000000, v0, v1
	v_cvt_i32_f32_e32 v6, v0
.LBB79_892:
	s_mov_b32 s8, 0
.LBB79_893:
	s_delay_alu instid0(SALU_CYCLE_1)
	s_and_not1_b32 vcc_lo, exec_lo, s8
	s_cbranch_vccnz .LBB79_895
; %bb.894:
	global_load_u8 v0, v[4:5], off
	s_wait_loadcnt 0x0
	v_lshlrev_b32_e32 v1, 25, v0
	v_lshlrev_b16 v0, 8, v0
	s_delay_alu instid0(VALU_DEP_1) | instskip(SKIP_1) | instid1(VALU_DEP_2)
	v_and_or_b32 v6, 0x7f00, v0, 0.5
	v_bfe_i32 v0, v0, 0, 16
	v_dual_add_f32 v6, -0.5, v6 :: v_dual_lshrrev_b32 v3, 4, v1
	v_cmp_gt_u32_e32 vcc_lo, 0x8000000, v1
	s_delay_alu instid0(VALU_DEP_2) | instskip(NEXT) | instid1(VALU_DEP_1)
	v_or_b32_e32 v3, 0x70000000, v3
	v_mul_f32_e32 v3, 0x7800000, v3
	s_delay_alu instid0(VALU_DEP_1) | instskip(NEXT) | instid1(VALU_DEP_1)
	v_cndmask_b32_e32 v1, v3, v6, vcc_lo
	v_and_or_b32 v0, 0x80000000, v0, v1
	s_delay_alu instid0(VALU_DEP_1)
	v_cvt_i32_f32_e32 v6, v0
.LBB79_895:
	s_mov_b32 s8, 0
	s_mov_b32 s10, -1
.LBB79_896:
	s_and_not1_b32 vcc_lo, exec_lo, s8
	s_mov_b32 s8, 0
	s_cbranch_vccnz .LBB79_907
; %bb.897:
	s_cmp_gt_i32 s6, 14
	s_cbranch_scc0 .LBB79_900
; %bb.898:
	s_cmp_eq_u32 s6, 15
	s_cbranch_scc0 .LBB79_903
; %bb.899:
	global_load_u16 v0, v[4:5], off
	s_mov_b32 s7, 0
	s_mov_b32 s10, -1
	s_wait_loadcnt 0x0
	v_lshlrev_b32_e32 v0, 16, v0
	s_delay_alu instid0(VALU_DEP_1)
	v_cvt_i32_f32_e32 v6, v0
	s_branch .LBB79_905
.LBB79_900:
	s_mov_b32 s8, -1
	s_branch .LBB79_904
.LBB79_901:
	s_and_not1_saveexec_b32 s8, s8
	s_cbranch_execz .LBB79_882
.LBB79_902:
	v_cmp_ne_u16_e32 vcc_lo, 0, v0
	s_and_not1_b32 s10, s10, exec_lo
	s_and_b32 s11, vcc_lo, exec_lo
	s_delay_alu instid0(SALU_CYCLE_1)
	s_or_b32 s10, s10, s11
	s_or_b32 exec_lo, exec_lo, s8
	v_mov_b32_e32 v6, 0
	s_and_saveexec_b32 s8, s10
	s_cbranch_execnz .LBB79_883
	s_branch .LBB79_884
.LBB79_903:
	s_mov_b32 s7, -1
.LBB79_904:
                                        ; implicit-def: $vgpr6
.LBB79_905:
	s_and_b32 vcc_lo, exec_lo, s8
	s_mov_b32 s8, 0
	s_cbranch_vccz .LBB79_907
; %bb.906:
	s_cmp_lg_u32 s6, 11
	s_mov_b32 s8, -1
	s_cselect_b32 s6, -1, 0
	s_and_not1_b32 s7, s7, exec_lo
	s_and_b32 s6, s6, exec_lo
	s_delay_alu instid0(SALU_CYCLE_1)
	s_or_b32 s7, s7, s6
.LBB79_907:
	s_mov_b32 s6, 0
.LBB79_908:
	s_delay_alu instid0(SALU_CYCLE_1)
	s_and_b32 s27, s6, exec_lo
	s_and_not1_b32 s6, s0, exec_lo
	s_and_b32 s7, s7, exec_lo
	s_and_b32 s28, s10, exec_lo
	;; [unrolled: 1-line block ×3, first 2 shown]
	s_or_b32 s29, s6, s7
.LBB79_909:
	s_wait_xcnt 0x0
	s_or_b32 exec_lo, exec_lo, s39
	s_delay_alu instid0(SALU_CYCLE_1)
	s_and_not1_b32 s0, s0, exec_lo
	s_and_b32 s6, s29, exec_lo
	s_and_b32 s28, s28, exec_lo
	;; [unrolled: 1-line block ×4, first 2 shown]
	s_or_b32 s0, s0, s6
.LBB79_910:
	s_or_b32 exec_lo, exec_lo, s31
	s_delay_alu instid0(SALU_CYCLE_1)
	s_and_not1_b32 s6, s45, exec_lo
	s_and_b32 s7, s30, exec_lo
	s_and_b32 s0, s0, exec_lo
	s_or_b32 s45, s6, s7
	s_and_not1_b32 s6, s44, exec_lo
	s_and_b32 s28, s28, exec_lo
	s_and_b32 s27, s27, exec_lo
	;; [unrolled: 1-line block ×3, first 2 shown]
	s_or_b32 s44, s6, s0
.LBB79_911:
	s_or_b32 exec_lo, exec_lo, s46
	s_delay_alu instid0(SALU_CYCLE_1)
	s_and_not1_b32 s0, s20, exec_lo
	s_and_b32 s6, s45, exec_lo
	s_and_b32 s7, s44, exec_lo
	s_or_b32 s20, s0, s6
	s_and_not1_b32 s6, s42, exec_lo
	s_and_b32 s0, s28, exec_lo
	s_and_b32 s27, s27, exec_lo
	;; [unrolled: 1-line block ×3, first 2 shown]
	s_or_b32 s42, s6, s7
	s_or_b32 exec_lo, exec_lo, s43
	s_mov_b32 s6, 0
	s_and_saveexec_b32 s7, s42
	s_cbranch_execz .LBB79_272
.LBB79_912:
	s_mov_b32 s6, exec_lo
	s_and_not1_b32 s19, s19, exec_lo
	s_trap 2
	s_or_b32 exec_lo, exec_lo, s7
	s_and_saveexec_b32 s7, s19
	s_delay_alu instid0(SALU_CYCLE_1)
	s_xor_b32 s7, exec_lo, s7
	s_cbranch_execnz .LBB79_273
.LBB79_913:
	s_or_b32 exec_lo, exec_lo, s7
	s_and_saveexec_b32 s7, s27
	s_cbranch_execz .LBB79_959
.LBB79_914:
	s_sext_i32_i16 s8, s37
	s_delay_alu instid0(SALU_CYCLE_1)
	s_cmp_lt_i32 s8, 5
	s_cbranch_scc1 .LBB79_919
; %bb.915:
	s_cmp_lt_i32 s8, 8
	s_cbranch_scc1 .LBB79_920
; %bb.916:
	;; [unrolled: 3-line block ×3, first 2 shown]
	s_cmp_gt_i32 s8, 9
	s_cbranch_scc0 .LBB79_922
; %bb.918:
	global_load_b64 v[0:1], v[4:5], off
	s_mov_b32 s8, 0
	s_wait_loadcnt 0x0
	v_cvt_i32_f64_e32 v6, v[0:1]
	s_branch .LBB79_923
.LBB79_919:
                                        ; implicit-def: $vgpr6
	s_branch .LBB79_940
.LBB79_920:
                                        ; implicit-def: $vgpr6
	s_branch .LBB79_929
.LBB79_921:
	s_mov_b32 s8, -1
                                        ; implicit-def: $vgpr6
	s_branch .LBB79_926
.LBB79_922:
	s_mov_b32 s8, -1
                                        ; implicit-def: $vgpr6
.LBB79_923:
	s_delay_alu instid0(SALU_CYCLE_1)
	s_and_not1_b32 vcc_lo, exec_lo, s8
	s_cbranch_vccnz .LBB79_925
; %bb.924:
	global_load_b32 v0, v[4:5], off
	s_wait_loadcnt 0x0
	v_cvt_i32_f32_e32 v6, v0
.LBB79_925:
	s_mov_b32 s8, 0
.LBB79_926:
	s_delay_alu instid0(SALU_CYCLE_1)
	s_and_not1_b32 vcc_lo, exec_lo, s8
	s_cbranch_vccnz .LBB79_928
; %bb.927:
	global_load_b32 v0, v[4:5], off
	s_wait_loadcnt 0x0
	v_cvt_i16_f16_e32 v6, v0
.LBB79_928:
	s_cbranch_execnz .LBB79_939
.LBB79_929:
	s_sext_i32_i16 s8, s37
	s_delay_alu instid0(SALU_CYCLE_1)
	s_cmp_lt_i32 s8, 6
	s_cbranch_scc1 .LBB79_932
; %bb.930:
	s_cmp_gt_i32 s8, 6
	s_cbranch_scc0 .LBB79_933
; %bb.931:
	global_load_b64 v[0:1], v[4:5], off
	s_mov_b32 s8, 0
	s_wait_loadcnt 0x0
	v_cvt_i32_f64_e32 v6, v[0:1]
	s_branch .LBB79_934
.LBB79_932:
	s_mov_b32 s8, -1
                                        ; implicit-def: $vgpr6
	s_branch .LBB79_937
.LBB79_933:
	s_mov_b32 s8, -1
                                        ; implicit-def: $vgpr6
.LBB79_934:
	s_delay_alu instid0(SALU_CYCLE_1)
	s_and_not1_b32 vcc_lo, exec_lo, s8
	s_cbranch_vccnz .LBB79_936
; %bb.935:
	global_load_b32 v0, v[4:5], off
	s_wait_loadcnt 0x0
	v_cvt_i32_f32_e32 v6, v0
.LBB79_936:
	s_mov_b32 s8, 0
.LBB79_937:
	s_delay_alu instid0(SALU_CYCLE_1)
	s_and_not1_b32 vcc_lo, exec_lo, s8
	s_cbranch_vccnz .LBB79_939
; %bb.938:
	global_load_u16 v0, v[4:5], off
	s_wait_loadcnt 0x0
	v_cvt_i16_f16_e32 v6, v0
.LBB79_939:
	s_cbranch_execnz .LBB79_958
.LBB79_940:
	s_sext_i32_i16 s8, s37
	s_delay_alu instid0(SALU_CYCLE_1)
	s_cmp_lt_i32 s8, 2
	s_cbranch_scc1 .LBB79_944
; %bb.941:
	s_cmp_lt_i32 s8, 3
	s_cbranch_scc1 .LBB79_945
; %bb.942:
	s_cmp_gt_i32 s8, 3
	s_cbranch_scc0 .LBB79_946
; %bb.943:
	s_wait_loadcnt 0x0
	global_load_b64 v[6:7], v[4:5], off
	s_mov_b32 s8, 0
	s_branch .LBB79_947
.LBB79_944:
                                        ; implicit-def: $vgpr6
	s_branch .LBB79_953
.LBB79_945:
	s_mov_b32 s8, -1
                                        ; implicit-def: $vgpr6
	s_branch .LBB79_950
.LBB79_946:
	s_mov_b32 s8, -1
                                        ; implicit-def: $vgpr6
.LBB79_947:
	s_delay_alu instid0(SALU_CYCLE_1)
	s_and_not1_b32 vcc_lo, exec_lo, s8
	s_cbranch_vccnz .LBB79_949
; %bb.948:
	s_wait_loadcnt 0x0
	global_load_b32 v6, v[4:5], off
.LBB79_949:
	s_mov_b32 s8, 0
.LBB79_950:
	s_delay_alu instid0(SALU_CYCLE_1)
	s_and_not1_b32 vcc_lo, exec_lo, s8
	s_cbranch_vccnz .LBB79_952
; %bb.951:
	s_wait_loadcnt 0x0
	global_load_u16 v6, v[4:5], off
.LBB79_952:
	s_cbranch_execnz .LBB79_958
.LBB79_953:
	s_sext_i32_i16 s8, s37
	s_delay_alu instid0(SALU_CYCLE_1)
	s_cmp_gt_i32 s8, 0
	s_mov_b32 s8, 0
	s_cbranch_scc0 .LBB79_955
; %bb.954:
	s_wait_loadcnt 0x0
	global_load_i8 v6, v[4:5], off
	s_branch .LBB79_956
.LBB79_955:
	s_mov_b32 s8, -1
                                        ; implicit-def: $vgpr6
.LBB79_956:
	s_delay_alu instid0(SALU_CYCLE_1)
	s_and_not1_b32 vcc_lo, exec_lo, s8
	s_cbranch_vccnz .LBB79_958
; %bb.957:
	s_wait_loadcnt 0x0
	global_load_u8 v6, v[4:5], off
.LBB79_958:
	s_or_b32 s0, s0, exec_lo
.LBB79_959:
	s_wait_xcnt 0x0
	s_or_b32 exec_lo, exec_lo, s7
	s_mov_b32 s12, 0
	s_mov_b32 s11, 0
                                        ; implicit-def: $sgpr7
                                        ; implicit-def: $sgpr8
                                        ; implicit-def: $vgpr0_vgpr1
	s_and_saveexec_b32 s10, s0
	s_cbranch_execz .LBB79_967
; %bb.960:
	v_mov_b32_e32 v3, 0
	s_wait_loadcnt 0x0
	s_delay_alu instid0(VALU_DEP_2) | instskip(SKIP_1) | instid1(VALU_DEP_2)
	v_cmp_ne_u16_e32 vcc_lo, s1, v6
	s_and_b32 s8, s2, 0xff
	v_add_nc_u64_e32 v[0:1], s[4:5], v[2:3]
	s_xor_b32 s7, s9, vcc_lo
	s_cmp_lt_i32 s8, 11
	s_cbranch_scc1 .LBB79_970
; %bb.961:
	s_and_b32 s1, 0xffff, s8
	s_mov_b32 s2, -1
	s_cmp_gt_i32 s1, 25
	s_mov_b32 s0, s20
	s_cbranch_scc0 .LBB79_998
; %bb.962:
	s_cmp_gt_i32 s1, 28
	s_mov_b32 s0, s20
	s_cbranch_scc0 .LBB79_982
; %bb.963:
	;; [unrolled: 4-line block ×4, first 2 shown]
	s_cmp_eq_u32 s1, 46
	s_mov_b32 s0, -1
	s_cbranch_scc0 .LBB79_971
; %bb.966:
	v_cndmask_b32_e64 v2, 0, 1.0, s7
	s_mov_b32 s0, 0
	s_mov_b32 s2, 0
	s_delay_alu instid0(VALU_DEP_1) | instskip(NEXT) | instid1(VALU_DEP_1)
	v_bfe_u32 v3, v2, 16, 1
	v_add3_u32 v2, v2, v3, 0x7fff
	s_delay_alu instid0(VALU_DEP_1)
	v_lshrrev_b32_e32 v2, 16, v2
	global_store_b32 v[0:1], v2, off
	s_branch .LBB79_972
.LBB79_967:
	s_or_b32 exec_lo, exec_lo, s10
	s_and_saveexec_b32 s0, s20
	s_cbranch_execnz .LBB79_1040
.LBB79_968:
	s_or_b32 exec_lo, exec_lo, s0
	s_and_saveexec_b32 s0, s12
	s_delay_alu instid0(SALU_CYCLE_1)
	s_xor_b32 s0, exec_lo, s0
	s_cbranch_execz .LBB79_1041
.LBB79_969:
	v_cndmask_b32_e64 v2, 0, 1, s7
	global_store_b8 v[0:1], v2, off
	s_wait_xcnt 0x0
	s_or_b32 exec_lo, exec_lo, s0
	s_and_saveexec_b32 s0, s11
	s_delay_alu instid0(SALU_CYCLE_1)
	s_xor_b32 s0, exec_lo, s0
	s_cbranch_execz .LBB79_1079
	s_branch .LBB79_1042
.LBB79_970:
	s_mov_b32 s4, 0
	s_mov_b32 s2, -1
	s_mov_b32 s0, s20
	s_branch .LBB79_1039
.LBB79_971:
	s_mov_b32 s2, 0
.LBB79_972:
	s_delay_alu instid0(SALU_CYCLE_1)
	s_and_b32 vcc_lo, exec_lo, s2
	s_cbranch_vccz .LBB79_977
; %bb.973:
	s_cmp_eq_u32 s1, 44
	s_mov_b32 s0, -1
	s_cbranch_scc0 .LBB79_977
; %bb.974:
	v_cndmask_b32_e64 v4, 0, 1.0, s7
	s_mov_b32 s2, exec_lo
	s_wait_xcnt 0x0
	s_delay_alu instid0(VALU_DEP_1) | instskip(NEXT) | instid1(VALU_DEP_1)
	v_dual_mov_b32 v3, 0xff :: v_dual_lshrrev_b32 v2, 23, v4
	v_cmpx_ne_u32_e32 0xff, v2
; %bb.975:
	v_and_b32_e32 v3, 0x400000, v4
	v_and_or_b32 v4, 0x3fffff, v4, v2
	s_delay_alu instid0(VALU_DEP_2) | instskip(NEXT) | instid1(VALU_DEP_2)
	v_cmp_ne_u32_e32 vcc_lo, 0, v3
	v_cmp_ne_u32_e64 s0, 0, v4
	s_and_b32 s0, vcc_lo, s0
	s_delay_alu instid0(SALU_CYCLE_1) | instskip(NEXT) | instid1(VALU_DEP_1)
	v_cndmask_b32_e64 v3, 0, 1, s0
	v_add_nc_u32_e32 v3, v2, v3
; %bb.976:
	s_or_b32 exec_lo, exec_lo, s2
	s_mov_b32 s0, 0
	global_store_b8 v[0:1], v3, off
.LBB79_977:
	s_mov_b32 s2, 0
.LBB79_978:
	s_delay_alu instid0(SALU_CYCLE_1)
	s_and_b32 vcc_lo, exec_lo, s2
	s_cbranch_vccz .LBB79_981
; %bb.979:
	s_cmp_eq_u32 s1, 29
	s_mov_b32 s0, -1
	s_cbranch_scc0 .LBB79_981
; %bb.980:
	s_mov_b32 s0, 0
	s_wait_xcnt 0x0
	v_cndmask_b32_e64 v2, 0, 1, s7
	v_mov_b32_e32 v3, s0
	s_mov_b32 s2, 0
	global_store_b64 v[0:1], v[2:3], off
	s_branch .LBB79_982
.LBB79_981:
	s_mov_b32 s2, 0
.LBB79_982:
	s_delay_alu instid0(SALU_CYCLE_1)
	s_and_b32 vcc_lo, exec_lo, s2
	s_cbranch_vccz .LBB79_997
; %bb.983:
	s_cmp_lt_i32 s1, 27
	s_mov_b32 s2, -1
	s_cbranch_scc1 .LBB79_989
; %bb.984:
	s_cmp_gt_i32 s1, 27
	s_cbranch_scc0 .LBB79_986
; %bb.985:
	s_wait_xcnt 0x0
	v_cndmask_b32_e64 v2, 0, 1, s7
	s_mov_b32 s2, 0
	global_store_b32 v[0:1], v2, off
.LBB79_986:
	s_and_not1_b32 vcc_lo, exec_lo, s2
	s_cbranch_vccnz .LBB79_988
; %bb.987:
	s_wait_xcnt 0x0
	v_cndmask_b32_e64 v2, 0, 1, s7
	global_store_b16 v[0:1], v2, off
.LBB79_988:
	s_mov_b32 s2, 0
.LBB79_989:
	s_delay_alu instid0(SALU_CYCLE_1)
	s_and_not1_b32 vcc_lo, exec_lo, s2
	s_cbranch_vccnz .LBB79_997
; %bb.990:
	s_wait_xcnt 0x0
	v_cndmask_b32_e64 v3, 0, 1.0, s7
	v_mov_b32_e32 v4, 0x80
	s_mov_b32 s2, exec_lo
	s_delay_alu instid0(VALU_DEP_2)
	v_cmpx_gt_u32_e32 0x43800000, v3
	s_cbranch_execz .LBB79_996
; %bb.991:
	s_mov_b32 s4, 0
	s_mov_b32 s5, exec_lo
                                        ; implicit-def: $vgpr2
	v_cmpx_lt_u32_e32 0x3bffffff, v3
	s_xor_b32 s5, exec_lo, s5
	s_cbranch_execz .LBB79_1154
; %bb.992:
	v_bfe_u32 v2, v3, 20, 1
	s_mov_b32 s4, exec_lo
	s_delay_alu instid0(VALU_DEP_1) | instskip(NEXT) | instid1(VALU_DEP_1)
	v_add3_u32 v2, v3, v2, 0x487ffff
                                        ; implicit-def: $vgpr3
	v_lshrrev_b32_e32 v2, 20, v2
	s_and_not1_saveexec_b32 s5, s5
	s_cbranch_execnz .LBB79_1155
.LBB79_993:
	s_or_b32 exec_lo, exec_lo, s5
	v_mov_b32_e32 v4, 0
	s_and_saveexec_b32 s5, s4
.LBB79_994:
	v_mov_b32_e32 v4, v2
.LBB79_995:
	s_or_b32 exec_lo, exec_lo, s5
.LBB79_996:
	s_delay_alu instid0(SALU_CYCLE_1)
	s_or_b32 exec_lo, exec_lo, s2
	global_store_b8 v[0:1], v4, off
.LBB79_997:
	s_mov_b32 s2, 0
.LBB79_998:
	s_delay_alu instid0(SALU_CYCLE_1)
	s_and_b32 vcc_lo, exec_lo, s2
	s_mov_b32 s2, 0
	s_cbranch_vccz .LBB79_1038
; %bb.999:
	s_cmp_gt_i32 s1, 22
	s_mov_b32 s4, -1
	s_cbranch_scc0 .LBB79_1031
; %bb.1000:
	s_cmp_lt_i32 s1, 24
	s_cbranch_scc1 .LBB79_1020
; %bb.1001:
	s_cmp_gt_i32 s1, 24
	s_cbranch_scc0 .LBB79_1009
; %bb.1002:
	s_wait_xcnt 0x0
	v_cndmask_b32_e64 v3, 0, 1.0, s7
	v_mov_b32_e32 v4, 0x80
	s_mov_b32 s4, exec_lo
	s_delay_alu instid0(VALU_DEP_2)
	v_cmpx_gt_u32_e32 0x47800000, v3
	s_cbranch_execz .LBB79_1008
; %bb.1003:
	s_mov_b32 s5, 0
	s_mov_b32 s9, exec_lo
                                        ; implicit-def: $vgpr2
	v_cmpx_lt_u32_e32 0x37ffffff, v3
	s_xor_b32 s9, exec_lo, s9
	s_cbranch_execz .LBB79_1275
; %bb.1004:
	v_bfe_u32 v2, v3, 21, 1
	s_mov_b32 s5, exec_lo
	s_delay_alu instid0(VALU_DEP_1) | instskip(NEXT) | instid1(VALU_DEP_1)
	v_add3_u32 v2, v3, v2, 0x88fffff
                                        ; implicit-def: $vgpr3
	v_lshrrev_b32_e32 v2, 21, v2
	s_and_not1_saveexec_b32 s9, s9
	s_cbranch_execnz .LBB79_1276
.LBB79_1005:
	s_or_b32 exec_lo, exec_lo, s9
	v_mov_b32_e32 v4, 0
	s_and_saveexec_b32 s9, s5
.LBB79_1006:
	v_mov_b32_e32 v4, v2
.LBB79_1007:
	s_or_b32 exec_lo, exec_lo, s9
.LBB79_1008:
	s_delay_alu instid0(SALU_CYCLE_1)
	s_or_b32 exec_lo, exec_lo, s4
	s_mov_b32 s4, 0
	global_store_b8 v[0:1], v4, off
.LBB79_1009:
	s_and_b32 vcc_lo, exec_lo, s4
	s_cbranch_vccz .LBB79_1019
; %bb.1010:
	s_wait_xcnt 0x0
	v_cndmask_b32_e64 v3, 0, 1.0, s7
	s_mov_b32 s4, exec_lo
                                        ; implicit-def: $vgpr2
	s_delay_alu instid0(VALU_DEP_1)
	v_cmpx_gt_u32_e32 0x43f00000, v3
	s_xor_b32 s4, exec_lo, s4
	s_cbranch_execz .LBB79_1016
; %bb.1011:
	s_mov_b32 s5, exec_lo
                                        ; implicit-def: $vgpr2
	v_cmpx_lt_u32_e32 0x3c7fffff, v3
	s_xor_b32 s5, exec_lo, s5
; %bb.1012:
	v_bfe_u32 v2, v3, 20, 1
	s_delay_alu instid0(VALU_DEP_1) | instskip(NEXT) | instid1(VALU_DEP_1)
	v_add3_u32 v2, v3, v2, 0x407ffff
	v_and_b32_e32 v3, 0xff00000, v2
	v_lshrrev_b32_e32 v2, 20, v2
	s_delay_alu instid0(VALU_DEP_2) | instskip(NEXT) | instid1(VALU_DEP_2)
	v_cmp_ne_u32_e32 vcc_lo, 0x7f00000, v3
                                        ; implicit-def: $vgpr3
	v_cndmask_b32_e32 v2, 0x7e, v2, vcc_lo
; %bb.1013:
	s_and_not1_saveexec_b32 s5, s5
; %bb.1014:
	v_add_f32_e32 v2, 0x46800000, v3
; %bb.1015:
	s_or_b32 exec_lo, exec_lo, s5
                                        ; implicit-def: $vgpr3
.LBB79_1016:
	s_and_not1_saveexec_b32 s4, s4
; %bb.1017:
	v_mov_b32_e32 v2, 0x7f
	v_cmp_lt_u32_e32 vcc_lo, 0x7f800000, v3
	s_delay_alu instid0(VALU_DEP_2)
	v_cndmask_b32_e32 v2, 0x7e, v2, vcc_lo
; %bb.1018:
	s_or_b32 exec_lo, exec_lo, s4
	global_store_b8 v[0:1], v2, off
.LBB79_1019:
	s_mov_b32 s4, 0
.LBB79_1020:
	s_delay_alu instid0(SALU_CYCLE_1)
	s_and_not1_b32 vcc_lo, exec_lo, s4
	s_cbranch_vccnz .LBB79_1030
; %bb.1021:
	s_wait_xcnt 0x0
	v_cndmask_b32_e64 v3, 0, 1.0, s7
	s_mov_b32 s4, exec_lo
                                        ; implicit-def: $vgpr2
	s_delay_alu instid0(VALU_DEP_1)
	v_cmpx_gt_u32_e32 0x47800000, v3
	s_xor_b32 s4, exec_lo, s4
	s_cbranch_execz .LBB79_1027
; %bb.1022:
	s_mov_b32 s5, exec_lo
                                        ; implicit-def: $vgpr2
	v_cmpx_lt_u32_e32 0x387fffff, v3
	s_xor_b32 s5, exec_lo, s5
; %bb.1023:
	v_bfe_u32 v2, v3, 21, 1
	s_delay_alu instid0(VALU_DEP_1) | instskip(NEXT) | instid1(VALU_DEP_1)
	v_add3_u32 v2, v3, v2, 0x80fffff
                                        ; implicit-def: $vgpr3
	v_lshrrev_b32_e32 v2, 21, v2
; %bb.1024:
	s_and_not1_saveexec_b32 s5, s5
; %bb.1025:
	v_add_f32_e32 v2, 0x43000000, v3
; %bb.1026:
	s_or_b32 exec_lo, exec_lo, s5
                                        ; implicit-def: $vgpr3
.LBB79_1027:
	s_and_not1_saveexec_b32 s4, s4
; %bb.1028:
	v_mov_b32_e32 v2, 0x7f
	v_cmp_lt_u32_e32 vcc_lo, 0x7f800000, v3
	s_delay_alu instid0(VALU_DEP_2)
	v_cndmask_b32_e32 v2, 0x7c, v2, vcc_lo
; %bb.1029:
	s_or_b32 exec_lo, exec_lo, s4
	global_store_b8 v[0:1], v2, off
.LBB79_1030:
	s_mov_b32 s4, 0
.LBB79_1031:
	s_delay_alu instid0(SALU_CYCLE_1)
	s_and_not1_b32 vcc_lo, exec_lo, s4
	s_mov_b32 s4, 0
	s_cbranch_vccnz .LBB79_1039
; %bb.1032:
	s_cmp_gt_i32 s1, 14
	s_mov_b32 s4, -1
	s_cbranch_scc0 .LBB79_1036
; %bb.1033:
	s_cmp_eq_u32 s1, 15
	s_mov_b32 s0, -1
	s_cbranch_scc0 .LBB79_1035
; %bb.1034:
	s_wait_xcnt 0x0
	v_cndmask_b32_e64 v2, 0, 1.0, s7
	s_mov_b32 s0, 0
	s_delay_alu instid0(VALU_DEP_1) | instskip(NEXT) | instid1(VALU_DEP_1)
	v_bfe_u32 v3, v2, 16, 1
	v_add3_u32 v2, v2, v3, 0x7fff
	global_store_d16_hi_b16 v[0:1], v2, off
.LBB79_1035:
	s_mov_b32 s4, 0
.LBB79_1036:
	s_delay_alu instid0(SALU_CYCLE_1)
	s_and_b32 vcc_lo, exec_lo, s4
	s_mov_b32 s4, 0
	s_cbranch_vccz .LBB79_1039
; %bb.1037:
	s_cmp_lg_u32 s1, 11
	s_mov_b32 s4, -1
	s_cselect_b32 s1, -1, 0
	s_and_not1_b32 s0, s0, exec_lo
	s_and_b32 s1, s1, exec_lo
	s_delay_alu instid0(SALU_CYCLE_1)
	s_or_b32 s0, s0, s1
	s_branch .LBB79_1039
.LBB79_1038:
	s_mov_b32 s4, 0
.LBB79_1039:
	s_and_not1_b32 s1, s20, exec_lo
	s_and_b32 s0, s0, exec_lo
	s_and_b32 s11, s2, exec_lo
	;; [unrolled: 1-line block ×3, first 2 shown]
	s_or_b32 s20, s1, s0
	s_wait_xcnt 0x0
	s_or_b32 exec_lo, exec_lo, s10
	s_and_saveexec_b32 s0, s20
	s_cbranch_execz .LBB79_968
.LBB79_1040:
	s_or_b32 s6, s6, exec_lo
	s_and_not1_b32 s12, s12, exec_lo
	s_trap 2
	s_or_b32 exec_lo, exec_lo, s0
	s_and_saveexec_b32 s0, s12
	s_delay_alu instid0(SALU_CYCLE_1)
	s_xor_b32 s0, exec_lo, s0
	s_cbranch_execnz .LBB79_969
.LBB79_1041:
	s_or_b32 exec_lo, exec_lo, s0
	s_and_saveexec_b32 s0, s11
	s_delay_alu instid0(SALU_CYCLE_1)
	s_xor_b32 s0, exec_lo, s0
	s_cbranch_execz .LBB79_1079
.LBB79_1042:
	s_sext_i32_i16 s2, s8
	s_mov_b32 s1, -1
	s_cmp_lt_i32 s2, 5
	s_cbranch_scc1 .LBB79_1063
; %bb.1043:
	s_cmp_lt_i32 s2, 8
	s_cbranch_scc1 .LBB79_1053
; %bb.1044:
	;; [unrolled: 3-line block ×3, first 2 shown]
	s_cmp_gt_i32 s2, 9
	s_cbranch_scc0 .LBB79_1047
; %bb.1046:
	v_cndmask_b32_e64 v2, 0, 1, s7
	v_mov_b32_e32 v4, 0
	s_mov_b32 s1, 0
	s_delay_alu instid0(VALU_DEP_2) | instskip(NEXT) | instid1(VALU_DEP_2)
	v_cvt_f64_u32_e32 v[2:3], v2
	v_mov_b32_e32 v5, v4
	global_store_b128 v[0:1], v[2:5], off
.LBB79_1047:
	s_and_not1_b32 vcc_lo, exec_lo, s1
	s_cbranch_vccnz .LBB79_1049
; %bb.1048:
	s_wait_xcnt 0x0
	v_cndmask_b32_e64 v2, 0, 1.0, s7
	v_mov_b32_e32 v3, 0
	global_store_b64 v[0:1], v[2:3], off
.LBB79_1049:
	s_mov_b32 s1, 0
.LBB79_1050:
	s_delay_alu instid0(SALU_CYCLE_1)
	s_and_not1_b32 vcc_lo, exec_lo, s1
	s_cbranch_vccnz .LBB79_1052
; %bb.1051:
	s_wait_xcnt 0x0
	v_cndmask_b32_e64 v2, 0, 1.0, s7
	s_delay_alu instid0(VALU_DEP_1) | instskip(NEXT) | instid1(VALU_DEP_1)
	v_cvt_f16_f32_e32 v2, v2
	v_and_b32_e32 v2, 0xffff, v2
	global_store_b32 v[0:1], v2, off
.LBB79_1052:
	s_mov_b32 s1, 0
.LBB79_1053:
	s_delay_alu instid0(SALU_CYCLE_1)
	s_and_not1_b32 vcc_lo, exec_lo, s1
	s_cbranch_vccnz .LBB79_1062
; %bb.1054:
	s_sext_i32_i16 s2, s8
	s_mov_b32 s1, -1
	s_cmp_lt_i32 s2, 6
	s_cbranch_scc1 .LBB79_1060
; %bb.1055:
	s_cmp_gt_i32 s2, 6
	s_cbranch_scc0 .LBB79_1057
; %bb.1056:
	s_wait_xcnt 0x0
	v_cndmask_b32_e64 v2, 0, 1, s7
	s_mov_b32 s1, 0
	s_delay_alu instid0(VALU_DEP_1)
	v_cvt_f64_u32_e32 v[2:3], v2
	global_store_b64 v[0:1], v[2:3], off
.LBB79_1057:
	s_and_not1_b32 vcc_lo, exec_lo, s1
	s_cbranch_vccnz .LBB79_1059
; %bb.1058:
	s_wait_xcnt 0x0
	v_cndmask_b32_e64 v2, 0, 1.0, s7
	global_store_b32 v[0:1], v2, off
.LBB79_1059:
	s_mov_b32 s1, 0
.LBB79_1060:
	s_delay_alu instid0(SALU_CYCLE_1)
	s_and_not1_b32 vcc_lo, exec_lo, s1
	s_cbranch_vccnz .LBB79_1062
; %bb.1061:
	s_wait_xcnt 0x0
	v_cndmask_b32_e64 v2, 0, 1.0, s7
	s_delay_alu instid0(VALU_DEP_1)
	v_cvt_f16_f32_e32 v2, v2
	global_store_b16 v[0:1], v2, off
.LBB79_1062:
	s_mov_b32 s1, 0
.LBB79_1063:
	s_delay_alu instid0(SALU_CYCLE_1)
	s_and_not1_b32 vcc_lo, exec_lo, s1
	s_cbranch_vccnz .LBB79_1079
; %bb.1064:
	s_sext_i32_i16 s2, s8
	s_mov_b32 s1, -1
	s_cmp_lt_i32 s2, 2
	s_cbranch_scc1 .LBB79_1074
; %bb.1065:
	s_cmp_lt_i32 s2, 3
	s_cbranch_scc1 .LBB79_1071
; %bb.1066:
	s_cmp_gt_i32 s2, 3
	s_cbranch_scc0 .LBB79_1068
; %bb.1067:
	s_mov_b32 s1, 0
	s_wait_xcnt 0x0
	v_cndmask_b32_e64 v2, 0, 1, s7
	v_mov_b32_e32 v3, s1
	global_store_b64 v[0:1], v[2:3], off
.LBB79_1068:
	s_and_not1_b32 vcc_lo, exec_lo, s1
	s_cbranch_vccnz .LBB79_1070
; %bb.1069:
	s_wait_xcnt 0x0
	v_cndmask_b32_e64 v2, 0, 1, s7
	global_store_b32 v[0:1], v2, off
.LBB79_1070:
	s_mov_b32 s1, 0
.LBB79_1071:
	s_delay_alu instid0(SALU_CYCLE_1)
	s_and_not1_b32 vcc_lo, exec_lo, s1
	s_cbranch_vccnz .LBB79_1073
; %bb.1072:
	s_wait_xcnt 0x0
	v_cndmask_b32_e64 v2, 0, 1, s7
	global_store_b16 v[0:1], v2, off
.LBB79_1073:
	s_mov_b32 s1, 0
.LBB79_1074:
	s_delay_alu instid0(SALU_CYCLE_1)
	s_and_not1_b32 vcc_lo, exec_lo, s1
	s_cbranch_vccnz .LBB79_1079
; %bb.1075:
	s_sext_i32_i16 s1, s8
	s_delay_alu instid0(SALU_CYCLE_1)
	s_cmp_gt_i32 s1, 0
	s_mov_b32 s1, -1
	s_cbranch_scc0 .LBB79_1077
; %bb.1076:
	s_wait_xcnt 0x0
	v_cndmask_b32_e64 v2, 0, 1, s7
	s_mov_b32 s1, 0
	global_store_b8 v[0:1], v2, off
.LBB79_1077:
	s_and_not1_b32 vcc_lo, exec_lo, s1
	s_cbranch_vccnz .LBB79_1079
; %bb.1078:
	s_wait_xcnt 0x0
	v_cndmask_b32_e64 v2, 0, 1, s7
	global_store_b8 v[0:1], v2, off
.LBB79_1079:
	s_wait_xcnt 0x0
	s_or_b32 exec_lo, exec_lo, s0
	s_delay_alu instid0(SALU_CYCLE_1)
	s_and_b32 s8, s6, exec_lo
                                        ; implicit-def: $vgpr9
                                        ; implicit-def: $vgpr0
.LBB79_1080:
	s_or_saveexec_b32 s9, s36
	s_mov_b32 s0, 0
                                        ; implicit-def: $sgpr1
                                        ; implicit-def: $vgpr2_vgpr3
                                        ; implicit-def: $sgpr2
	s_xor_b32 exec_lo, exec_lo, s9
	s_cbranch_execz .LBB79_2074
; %bb.1081:
	v_cndmask_b32_e64 v1, 0, 1, s35
	s_and_not1_b32 vcc_lo, exec_lo, s35
	s_cbranch_vccnz .LBB79_1087
; %bb.1082:
	s_cmp_lg_u32 s33, 0
	s_mov_b32 s6, 0
	s_cbranch_scc0 .LBB79_1088
; %bb.1083:
	s_min_u32 s1, s34, 15
	s_delay_alu instid0(SALU_CYCLE_1)
	s_add_co_i32 s1, s1, 1
	s_cmp_eq_u32 s34, 2
	s_cbranch_scc1 .LBB79_1089
; %bb.1084:
	s_wait_loadcnt 0x0
	v_dual_mov_b32 v6, 0 :: v_dual_mov_b32 v14, 0
	v_mov_b32_e32 v2, v0
	s_and_b32 s0, s1, 28
	s_add_nc_u64 s[2:3], s[16:17], 0xc4
	s_mov_b32 s7, 0
	s_mov_b64 s[4:5], s[16:17]
.LBB79_1085:                            ; =>This Inner Loop Header: Depth=1
	s_clause 0x1
	s_load_b256 s[20:27], s[4:5], 0x4
	s_load_b128 s[12:15], s[4:5], 0x24
	s_load_b256 s[36:43], s[2:3], 0x0
	s_add_co_i32 s7, s7, 4
	s_wait_xcnt 0x0
	s_add_nc_u64 s[4:5], s[4:5], 48
	s_cmp_lg_u32 s0, s7
	s_add_nc_u64 s[2:3], s[2:3], 32
	s_wait_kmcnt 0x0
	v_mul_hi_u32 v3, s21, v2
	s_delay_alu instid0(VALU_DEP_1) | instskip(NEXT) | instid1(VALU_DEP_1)
	v_add_nc_u32_e32 v3, v2, v3
	v_lshrrev_b32_e32 v3, s22, v3
	s_delay_alu instid0(VALU_DEP_1) | instskip(NEXT) | instid1(VALU_DEP_1)
	v_mul_hi_u32 v4, s24, v3
	v_add_nc_u32_e32 v4, v3, v4
	s_delay_alu instid0(VALU_DEP_1) | instskip(NEXT) | instid1(VALU_DEP_1)
	v_lshrrev_b32_e32 v4, s25, v4
	v_mul_hi_u32 v5, s27, v4
	s_delay_alu instid0(VALU_DEP_1) | instskip(SKIP_1) | instid1(VALU_DEP_1)
	v_add_nc_u32_e32 v5, v4, v5
	v_mul_lo_u32 v7, v3, s20
	v_sub_nc_u32_e32 v2, v2, v7
	v_mul_lo_u32 v7, v4, s23
	s_delay_alu instid0(VALU_DEP_4) | instskip(NEXT) | instid1(VALU_DEP_3)
	v_lshrrev_b32_e32 v5, s12, v5
	v_mad_u32 v10, v2, s37, v14
	v_mad_u32 v2, v2, s36, v6
	s_delay_alu instid0(VALU_DEP_4) | instskip(NEXT) | instid1(VALU_DEP_4)
	v_sub_nc_u32_e32 v3, v3, v7
	v_mul_hi_u32 v8, s14, v5
	v_mul_lo_u32 v6, v5, s26
	s_delay_alu instid0(VALU_DEP_1) | instskip(NEXT) | instid1(VALU_DEP_4)
	v_dual_add_nc_u32 v7, v5, v8 :: v_dual_sub_nc_u32 v4, v4, v6
	v_mad_u32 v8, v3, s39, v10
	v_mad_u32 v3, v3, s38, v2
	s_delay_alu instid0(VALU_DEP_3) | instskip(NEXT) | instid1(VALU_DEP_1)
	v_lshrrev_b32_e32 v2, s15, v7
	v_mul_lo_u32 v6, v2, s13
	s_delay_alu instid0(VALU_DEP_4) | instskip(NEXT) | instid1(VALU_DEP_4)
	v_mad_u32 v7, v4, s41, v8
	v_mad_u32 v3, v4, s40, v3
	s_delay_alu instid0(VALU_DEP_3) | instskip(NEXT) | instid1(VALU_DEP_1)
	v_sub_nc_u32_e32 v4, v5, v6
	v_mad_u32 v14, v4, s43, v7
	s_delay_alu instid0(VALU_DEP_3)
	v_mad_u32 v6, v4, s42, v3
	s_cbranch_scc1 .LBB79_1085
; %bb.1086:
	s_delay_alu instid0(VALU_DEP_2)
	v_mov_b32_e32 v7, v14
	s_and_b32 s4, s1, 3
	s_mov_b32 s1, 0
	s_cmp_eq_u32 s4, 0
	s_cbranch_scc0 .LBB79_1090
	s_branch .LBB79_1093
.LBB79_1087:
	s_mov_b32 s6, -1
                                        ; implicit-def: $vgpr14
                                        ; implicit-def: $vgpr6
	s_branch .LBB79_1093
.LBB79_1088:
	s_wait_loadcnt 0x0
	v_dual_mov_b32 v14, 0 :: v_dual_mov_b32 v6, 0
	s_branch .LBB79_1093
.LBB79_1089:
	s_wait_loadcnt 0x0
	v_mov_b64_e32 v[6:7], 0
	v_mov_b32_e32 v2, v0
                                        ; implicit-def: $vgpr14
	s_and_b32 s4, s1, 3
	s_mov_b32 s1, 0
	s_cmp_eq_u32 s4, 0
	s_cbranch_scc1 .LBB79_1093
.LBB79_1090:
	s_lshl_b32 s2, s0, 3
	s_mov_b32 s3, s1
	s_mul_u64 s[10:11], s[0:1], 12
	s_add_nc_u64 s[2:3], s[16:17], s[2:3]
	s_delay_alu instid0(SALU_CYCLE_1)
	s_add_nc_u64 s[0:1], s[2:3], 0xc4
	s_add_nc_u64 s[2:3], s[16:17], s[10:11]
.LBB79_1091:                            ; =>This Inner Loop Header: Depth=1
	s_load_b96 s[12:14], s[2:3], 0x4
	s_load_b64 s[10:11], s[0:1], 0x0
	s_add_co_i32 s4, s4, -1
	s_wait_xcnt 0x0
	s_add_nc_u64 s[2:3], s[2:3], 12
	s_cmp_lg_u32 s4, 0
	s_add_nc_u64 s[0:1], s[0:1], 8
	s_wait_kmcnt 0x0
	v_mul_hi_u32 v3, s13, v2
	s_delay_alu instid0(VALU_DEP_1) | instskip(NEXT) | instid1(VALU_DEP_1)
	v_add_nc_u32_e32 v3, v2, v3
	v_lshrrev_b32_e32 v3, s14, v3
	s_delay_alu instid0(VALU_DEP_1) | instskip(NEXT) | instid1(VALU_DEP_1)
	v_mul_lo_u32 v4, v3, s12
	v_sub_nc_u32_e32 v2, v2, v4
	s_delay_alu instid0(VALU_DEP_1)
	v_mad_u32 v7, v2, s11, v7
	v_mad_u32 v6, v2, s10, v6
	v_mov_b32_e32 v2, v3
	s_cbranch_scc1 .LBB79_1091
; %bb.1092:
	s_delay_alu instid0(VALU_DEP_3)
	v_mov_b32_e32 v14, v7
.LBB79_1093:
	s_and_not1_b32 vcc_lo, exec_lo, s6
	s_cbranch_vccnz .LBB79_1096
; %bb.1094:
	s_clause 0x1
	s_load_b96 s[0:2], s[16:17], 0x4
	s_load_b64 s[4:5], s[16:17], 0xc4
	s_cmp_lt_u32 s33, 2
	s_wait_kmcnt 0x0
	v_mul_hi_u32 v2, s1, v0
	s_delay_alu instid0(VALU_DEP_1) | instskip(NEXT) | instid1(VALU_DEP_1)
	v_add_nc_u32_e32 v2, v0, v2
	v_lshrrev_b32_e32 v2, s2, v2
	s_delay_alu instid0(VALU_DEP_1) | instskip(NEXT) | instid1(VALU_DEP_1)
	v_mul_lo_u32 v3, v2, s0
	v_sub_nc_u32_e32 v3, v0, v3
	s_delay_alu instid0(VALU_DEP_1)
	v_mul_lo_u32 v14, v3, s5
	s_wait_loadcnt 0x0
	v_mul_lo_u32 v6, v3, s4
	s_cbranch_scc1 .LBB79_1096
; %bb.1095:
	s_clause 0x1
	s_load_b96 s[0:2], s[16:17], 0x10
	s_load_b64 s[4:5], s[16:17], 0xcc
	s_wait_kmcnt 0x0
	v_mul_hi_u32 v3, s1, v2
	s_delay_alu instid0(VALU_DEP_1) | instskip(NEXT) | instid1(VALU_DEP_1)
	v_add_nc_u32_e32 v3, v2, v3
	v_lshrrev_b32_e32 v3, s2, v3
	s_delay_alu instid0(VALU_DEP_1) | instskip(NEXT) | instid1(VALU_DEP_1)
	v_mul_lo_u32 v3, v3, s0
	v_sub_nc_u32_e32 v2, v2, v3
	s_delay_alu instid0(VALU_DEP_1)
	v_mad_u32 v6, v2, s4, v6
	v_mad_u32 v14, v2, s5, v14
.LBB79_1096:
	v_cmp_ne_u32_e32 vcc_lo, 1, v1
	v_add_nc_u32_e32 v2, 0x80, v0
	s_cbranch_vccnz .LBB79_1102
; %bb.1097:
	s_cmp_lg_u32 s33, 0
	s_mov_b32 s6, 0
	s_cbranch_scc0 .LBB79_1103
; %bb.1098:
	s_min_u32 s1, s34, 15
	s_delay_alu instid0(SALU_CYCLE_1)
	s_add_co_i32 s1, s1, 1
	s_cmp_eq_u32 s34, 2
	s_cbranch_scc1 .LBB79_1104
; %bb.1099:
	v_dual_mov_b32 v4, 0 :: v_dual_mov_b32 v12, 0
	v_mov_b32_e32 v3, v2
	s_and_b32 s0, s1, 28
	s_add_nc_u64 s[2:3], s[16:17], 0xc4
	s_mov_b32 s7, 0
	s_mov_b64 s[4:5], s[16:17]
.LBB79_1100:                            ; =>This Inner Loop Header: Depth=1
	s_clause 0x1
	s_load_b256 s[20:27], s[4:5], 0x4
	s_load_b128 s[12:15], s[4:5], 0x24
	s_load_b256 s[36:43], s[2:3], 0x0
	s_add_co_i32 s7, s7, 4
	s_wait_xcnt 0x0
	s_add_nc_u64 s[4:5], s[4:5], 48
	s_cmp_lg_u32 s0, s7
	s_add_nc_u64 s[2:3], s[2:3], 32
	s_wait_kmcnt 0x0
	v_mul_hi_u32 v5, s21, v3
	s_delay_alu instid0(VALU_DEP_1) | instskip(NEXT) | instid1(VALU_DEP_1)
	v_add_nc_u32_e32 v5, v3, v5
	v_lshrrev_b32_e32 v5, s22, v5
	s_wait_loadcnt 0x0
	s_delay_alu instid0(VALU_DEP_1) | instskip(NEXT) | instid1(VALU_DEP_1)
	v_mul_hi_u32 v7, s24, v5
	v_add_nc_u32_e32 v7, v5, v7
	s_delay_alu instid0(VALU_DEP_1) | instskip(NEXT) | instid1(VALU_DEP_1)
	v_lshrrev_b32_e32 v7, s25, v7
	v_mul_hi_u32 v8, s27, v7
	s_delay_alu instid0(VALU_DEP_1) | instskip(SKIP_1) | instid1(VALU_DEP_1)
	v_add_nc_u32_e32 v8, v7, v8
	v_mul_lo_u32 v10, v5, s20
	v_sub_nc_u32_e32 v3, v3, v10
	v_mul_lo_u32 v10, v7, s23
	s_delay_alu instid0(VALU_DEP_4) | instskip(NEXT) | instid1(VALU_DEP_3)
	v_lshrrev_b32_e32 v8, s12, v8
	v_mad_u32 v12, v3, s37, v12
	v_mad_u32 v3, v3, s36, v4
	s_delay_alu instid0(VALU_DEP_4) | instskip(NEXT) | instid1(VALU_DEP_4)
	v_sub_nc_u32_e32 v4, v5, v10
	v_mul_hi_u32 v11, s14, v8
	v_mul_lo_u32 v5, v8, s26
	s_delay_alu instid0(VALU_DEP_1) | instskip(NEXT) | instid1(VALU_DEP_4)
	v_dual_add_nc_u32 v10, v8, v11 :: v_dual_sub_nc_u32 v5, v7, v5
	v_mad_u32 v11, v4, s39, v12
	v_mad_u32 v4, v4, s38, v3
	s_delay_alu instid0(VALU_DEP_3) | instskip(NEXT) | instid1(VALU_DEP_1)
	v_lshrrev_b32_e32 v3, s15, v10
	v_mul_lo_u32 v7, v3, s13
	s_delay_alu instid0(VALU_DEP_4) | instskip(NEXT) | instid1(VALU_DEP_4)
	v_mad_u32 v10, v5, s41, v11
	v_mad_u32 v4, v5, s40, v4
	s_delay_alu instid0(VALU_DEP_3) | instskip(NEXT) | instid1(VALU_DEP_1)
	v_sub_nc_u32_e32 v5, v8, v7
	v_mad_u32 v12, v5, s43, v10
	s_delay_alu instid0(VALU_DEP_3)
	v_mad_u32 v4, v5, s42, v4
	s_cbranch_scc1 .LBB79_1100
; %bb.1101:
	s_delay_alu instid0(VALU_DEP_2)
	v_mov_b32_e32 v5, v12
	s_and_b32 s4, s1, 3
	s_mov_b32 s1, 0
	s_cmp_eq_u32 s4, 0
	s_cbranch_scc0 .LBB79_1105
	s_branch .LBB79_1108
.LBB79_1102:
	s_mov_b32 s6, -1
                                        ; implicit-def: $vgpr12
                                        ; implicit-def: $vgpr4
	s_branch .LBB79_1108
.LBB79_1103:
	v_dual_mov_b32 v12, 0 :: v_dual_mov_b32 v4, 0
	s_branch .LBB79_1108
.LBB79_1104:
	v_mov_b64_e32 v[4:5], 0
	v_mov_b32_e32 v3, v2
	s_mov_b32 s0, 0
                                        ; implicit-def: $vgpr12
	s_and_b32 s4, s1, 3
	s_mov_b32 s1, 0
	s_cmp_eq_u32 s4, 0
	s_cbranch_scc1 .LBB79_1108
.LBB79_1105:
	s_lshl_b32 s2, s0, 3
	s_mov_b32 s3, s1
	s_mul_u64 s[10:11], s[0:1], 12
	s_add_nc_u64 s[2:3], s[16:17], s[2:3]
	s_delay_alu instid0(SALU_CYCLE_1)
	s_add_nc_u64 s[0:1], s[2:3], 0xc4
	s_add_nc_u64 s[2:3], s[16:17], s[10:11]
.LBB79_1106:                            ; =>This Inner Loop Header: Depth=1
	s_load_b96 s[12:14], s[2:3], 0x4
	s_load_b64 s[10:11], s[0:1], 0x0
	s_add_co_i32 s4, s4, -1
	s_wait_xcnt 0x0
	s_add_nc_u64 s[2:3], s[2:3], 12
	s_cmp_lg_u32 s4, 0
	s_add_nc_u64 s[0:1], s[0:1], 8
	s_wait_loadcnt 0x0
	s_wait_kmcnt 0x0
	v_mul_hi_u32 v7, s13, v3
	s_delay_alu instid0(VALU_DEP_1) | instskip(NEXT) | instid1(VALU_DEP_1)
	v_add_nc_u32_e32 v7, v3, v7
	v_lshrrev_b32_e32 v7, s14, v7
	s_delay_alu instid0(VALU_DEP_1) | instskip(NEXT) | instid1(VALU_DEP_1)
	v_mul_lo_u32 v8, v7, s12
	v_sub_nc_u32_e32 v3, v3, v8
	s_delay_alu instid0(VALU_DEP_1)
	v_mad_u32 v5, v3, s11, v5
	v_mad_u32 v4, v3, s10, v4
	v_mov_b32_e32 v3, v7
	s_cbranch_scc1 .LBB79_1106
; %bb.1107:
	s_delay_alu instid0(VALU_DEP_3)
	v_mov_b32_e32 v12, v5
.LBB79_1108:
	s_and_not1_b32 vcc_lo, exec_lo, s6
	s_cbranch_vccnz .LBB79_1111
; %bb.1109:
	s_clause 0x1
	s_load_b96 s[0:2], s[16:17], 0x4
	s_load_b64 s[4:5], s[16:17], 0xc4
	s_cmp_lt_u32 s33, 2
	s_wait_kmcnt 0x0
	v_mul_hi_u32 v3, s1, v2
	s_delay_alu instid0(VALU_DEP_1) | instskip(NEXT) | instid1(VALU_DEP_1)
	v_add_nc_u32_e32 v3, v2, v3
	v_lshrrev_b32_e32 v3, s2, v3
	s_delay_alu instid0(VALU_DEP_1) | instskip(NEXT) | instid1(VALU_DEP_1)
	v_mul_lo_u32 v4, v3, s0
	v_sub_nc_u32_e32 v2, v2, v4
	s_delay_alu instid0(VALU_DEP_1)
	v_mul_lo_u32 v12, v2, s5
	v_mul_lo_u32 v4, v2, s4
	s_cbranch_scc1 .LBB79_1111
; %bb.1110:
	s_clause 0x1
	s_load_b96 s[0:2], s[16:17], 0x10
	s_load_b64 s[4:5], s[16:17], 0xcc
	s_wait_kmcnt 0x0
	v_mul_hi_u32 v2, s1, v3
	s_delay_alu instid0(VALU_DEP_1) | instskip(NEXT) | instid1(VALU_DEP_1)
	v_add_nc_u32_e32 v2, v3, v2
	v_lshrrev_b32_e32 v2, s2, v2
	s_delay_alu instid0(VALU_DEP_1) | instskip(NEXT) | instid1(VALU_DEP_1)
	v_mul_lo_u32 v2, v2, s0
	v_sub_nc_u32_e32 v2, v3, v2
	s_delay_alu instid0(VALU_DEP_1)
	v_mad_u32 v4, v2, s4, v4
	v_mad_u32 v12, v2, s5, v12
.LBB79_1111:
	v_cmp_ne_u32_e32 vcc_lo, 1, v1
	v_add_nc_u32_e32 v0, 0x100, v0
	s_cbranch_vccnz .LBB79_1117
; %bb.1112:
	s_cmp_lg_u32 s33, 0
	s_mov_b32 s6, 0
	s_cbranch_scc0 .LBB79_1118
; %bb.1113:
	s_min_u32 s1, s34, 15
	s_delay_alu instid0(SALU_CYCLE_1)
	s_add_co_i32 s1, s1, 1
	s_cmp_eq_u32 s34, 2
	s_cbranch_scc1 .LBB79_1119
; %bb.1114:
	v_dual_mov_b32 v2, 0 :: v_dual_mov_b32 v10, 0
	v_mov_b32_e32 v5, v0
	s_and_b32 s0, s1, 28
	s_add_nc_u64 s[2:3], s[16:17], 0xc4
	s_mov_b32 s7, 0
	s_mov_b64 s[4:5], s[16:17]
.LBB79_1115:                            ; =>This Inner Loop Header: Depth=1
	s_clause 0x1
	s_load_b256 s[20:27], s[4:5], 0x4
	s_load_b128 s[12:15], s[4:5], 0x24
	s_load_b256 s[36:43], s[2:3], 0x0
	s_add_co_i32 s7, s7, 4
	s_wait_xcnt 0x0
	s_add_nc_u64 s[4:5], s[4:5], 48
	s_cmp_lg_u32 s0, s7
	s_add_nc_u64 s[2:3], s[2:3], 32
	s_wait_kmcnt 0x0
	v_mul_hi_u32 v3, s21, v5
	s_delay_alu instid0(VALU_DEP_1) | instskip(NEXT) | instid1(VALU_DEP_1)
	v_add_nc_u32_e32 v3, v5, v3
	v_lshrrev_b32_e32 v3, s22, v3
	s_wait_loadcnt 0x0
	s_delay_alu instid0(VALU_DEP_1) | instskip(NEXT) | instid1(VALU_DEP_1)
	v_mul_hi_u32 v7, s24, v3
	v_add_nc_u32_e32 v7, v3, v7
	s_delay_alu instid0(VALU_DEP_1) | instskip(NEXT) | instid1(VALU_DEP_1)
	v_lshrrev_b32_e32 v7, s25, v7
	v_mul_hi_u32 v8, s27, v7
	s_delay_alu instid0(VALU_DEP_1) | instskip(NEXT) | instid1(VALU_DEP_1)
	v_add_nc_u32_e32 v8, v7, v8
	v_lshrrev_b32_e32 v8, s12, v8
	v_mul_lo_u32 v11, v3, s20
	s_delay_alu instid0(VALU_DEP_2) | instskip(NEXT) | instid1(VALU_DEP_2)
	v_mul_hi_u32 v13, s14, v8
	v_sub_nc_u32_e32 v5, v5, v11
	s_delay_alu instid0(VALU_DEP_1) | instskip(SKIP_1) | instid1(VALU_DEP_4)
	v_mad_u32 v10, v5, s37, v10
	v_mad_u32 v2, v5, s36, v2
	v_add_nc_u32_e32 v5, v8, v13
	s_delay_alu instid0(VALU_DEP_1) | instskip(SKIP_1) | instid1(VALU_DEP_1)
	v_lshrrev_b32_e32 v5, s15, v5
	v_mul_lo_u32 v11, v7, s23
	v_sub_nc_u32_e32 v3, v3, v11
	v_mul_lo_u32 v11, v8, s26
	s_delay_alu instid0(VALU_DEP_2) | instskip(SKIP_1) | instid1(VALU_DEP_3)
	v_mad_u32 v10, v3, s39, v10
	v_mad_u32 v2, v3, s38, v2
	v_sub_nc_u32_e32 v3, v7, v11
	v_mul_lo_u32 v7, v5, s13
	s_delay_alu instid0(VALU_DEP_2) | instskip(NEXT) | instid1(VALU_DEP_4)
	v_mad_u32 v10, v3, s41, v10
	v_mad_u32 v2, v3, s40, v2
	s_delay_alu instid0(VALU_DEP_3) | instskip(NEXT) | instid1(VALU_DEP_1)
	v_sub_nc_u32_e32 v3, v8, v7
	v_mad_u32 v10, v3, s43, v10
	s_delay_alu instid0(VALU_DEP_3)
	v_mad_u32 v2, v3, s42, v2
	s_cbranch_scc1 .LBB79_1115
; %bb.1116:
	s_delay_alu instid0(VALU_DEP_2)
	v_mov_b32_e32 v3, v10
	s_and_b32 s4, s1, 3
	s_mov_b32 s1, 0
	s_cmp_eq_u32 s4, 0
	s_cbranch_scc0 .LBB79_1120
	s_branch .LBB79_1123
.LBB79_1117:
	s_mov_b32 s6, -1
                                        ; implicit-def: $vgpr10
                                        ; implicit-def: $vgpr2
	s_branch .LBB79_1123
.LBB79_1118:
	v_dual_mov_b32 v10, 0 :: v_dual_mov_b32 v2, 0
	s_branch .LBB79_1123
.LBB79_1119:
	v_mov_b64_e32 v[2:3], 0
	v_mov_b32_e32 v5, v0
	s_mov_b32 s0, 0
                                        ; implicit-def: $vgpr10
	s_and_b32 s4, s1, 3
	s_mov_b32 s1, 0
	s_cmp_eq_u32 s4, 0
	s_cbranch_scc1 .LBB79_1123
.LBB79_1120:
	s_lshl_b32 s2, s0, 3
	s_mov_b32 s3, s1
	s_mul_u64 s[10:11], s[0:1], 12
	s_add_nc_u64 s[2:3], s[16:17], s[2:3]
	s_delay_alu instid0(SALU_CYCLE_1)
	s_add_nc_u64 s[0:1], s[2:3], 0xc4
	s_add_nc_u64 s[2:3], s[16:17], s[10:11]
.LBB79_1121:                            ; =>This Inner Loop Header: Depth=1
	s_load_b96 s[12:14], s[2:3], 0x4
	s_load_b64 s[10:11], s[0:1], 0x0
	s_add_co_i32 s4, s4, -1
	s_wait_xcnt 0x0
	s_add_nc_u64 s[2:3], s[2:3], 12
	s_cmp_lg_u32 s4, 0
	s_add_nc_u64 s[0:1], s[0:1], 8
	s_wait_loadcnt 0x0
	s_wait_kmcnt 0x0
	v_mul_hi_u32 v7, s13, v5
	s_delay_alu instid0(VALU_DEP_1) | instskip(NEXT) | instid1(VALU_DEP_1)
	v_add_nc_u32_e32 v7, v5, v7
	v_lshrrev_b32_e32 v7, s14, v7
	s_delay_alu instid0(VALU_DEP_1) | instskip(NEXT) | instid1(VALU_DEP_1)
	v_mul_lo_u32 v8, v7, s12
	v_sub_nc_u32_e32 v5, v5, v8
	s_delay_alu instid0(VALU_DEP_1)
	v_mad_u32 v3, v5, s11, v3
	v_mad_u32 v2, v5, s10, v2
	v_mov_b32_e32 v5, v7
	s_cbranch_scc1 .LBB79_1121
; %bb.1122:
	s_delay_alu instid0(VALU_DEP_3)
	v_mov_b32_e32 v10, v3
.LBB79_1123:
	s_and_not1_b32 vcc_lo, exec_lo, s6
	s_cbranch_vccnz .LBB79_1126
; %bb.1124:
	s_clause 0x1
	s_load_b96 s[0:2], s[16:17], 0x4
	s_load_b64 s[4:5], s[16:17], 0xc4
	s_cmp_lt_u32 s33, 2
	s_wait_kmcnt 0x0
	v_mul_hi_u32 v2, s1, v0
	s_delay_alu instid0(VALU_DEP_1) | instskip(NEXT) | instid1(VALU_DEP_1)
	v_add_nc_u32_e32 v2, v0, v2
	v_lshrrev_b32_e32 v3, s2, v2
	s_delay_alu instid0(VALU_DEP_1) | instskip(NEXT) | instid1(VALU_DEP_1)
	v_mul_lo_u32 v2, v3, s0
	v_sub_nc_u32_e32 v0, v0, v2
	s_delay_alu instid0(VALU_DEP_1)
	v_mul_lo_u32 v10, v0, s5
	v_mul_lo_u32 v2, v0, s4
	s_cbranch_scc1 .LBB79_1126
; %bb.1125:
	s_clause 0x1
	s_load_b96 s[0:2], s[16:17], 0x10
	s_load_b64 s[4:5], s[16:17], 0xcc
	s_wait_kmcnt 0x0
	v_mul_hi_u32 v0, s1, v3
	s_delay_alu instid0(VALU_DEP_1) | instskip(NEXT) | instid1(VALU_DEP_1)
	v_add_nc_u32_e32 v0, v3, v0
	v_lshrrev_b32_e32 v0, s2, v0
	s_delay_alu instid0(VALU_DEP_1) | instskip(NEXT) | instid1(VALU_DEP_1)
	v_mul_lo_u32 v0, v0, s0
	v_sub_nc_u32_e32 v0, v3, v0
	s_delay_alu instid0(VALU_DEP_1)
	v_mad_u32 v2, v0, s4, v2
	v_mad_u32 v10, v0, s5, v10
.LBB79_1126:
	v_cmp_ne_u32_e32 vcc_lo, 1, v1
	s_cbranch_vccnz .LBB79_1132
; %bb.1127:
	s_cmp_lg_u32 s33, 0
	s_mov_b32 s6, 0
	s_cbranch_scc0 .LBB79_1133
; %bb.1128:
	s_min_u32 s1, s34, 15
	s_delay_alu instid0(SALU_CYCLE_1)
	s_add_co_i32 s1, s1, 1
	s_cmp_eq_u32 s34, 2
	s_cbranch_scc1 .LBB79_1134
; %bb.1129:
	v_dual_mov_b32 v0, 0 :: v_dual_mov_b32 v8, 0
	v_mov_b32_e32 v3, v9
	s_and_b32 s0, s1, 28
	s_add_nc_u64 s[2:3], s[16:17], 0xc4
	s_mov_b32 s7, 0
	s_mov_b64 s[4:5], s[16:17]
.LBB79_1130:                            ; =>This Inner Loop Header: Depth=1
	s_clause 0x1
	s_load_b256 s[20:27], s[4:5], 0x4
	s_load_b128 s[12:15], s[4:5], 0x24
	s_load_b256 s[36:43], s[2:3], 0x0
	s_add_co_i32 s7, s7, 4
	s_wait_xcnt 0x0
	s_add_nc_u64 s[4:5], s[4:5], 48
	s_cmp_lg_u32 s0, s7
	s_add_nc_u64 s[2:3], s[2:3], 32
	s_wait_kmcnt 0x0
	v_mul_hi_u32 v1, s21, v3
	s_delay_alu instid0(VALU_DEP_1) | instskip(NEXT) | instid1(VALU_DEP_1)
	v_add_nc_u32_e32 v1, v3, v1
	v_lshrrev_b32_e32 v1, s22, v1
	s_delay_alu instid0(VALU_DEP_1) | instskip(NEXT) | instid1(VALU_DEP_1)
	v_mul_lo_u32 v11, v1, s20
	v_sub_nc_u32_e32 v3, v3, v11
	v_mul_hi_u32 v5, s24, v1
	s_delay_alu instid0(VALU_DEP_2) | instskip(SKIP_1) | instid1(VALU_DEP_3)
	v_mad_u32 v8, v3, s37, v8
	v_mad_u32 v0, v3, s36, v0
	v_add_nc_u32_e32 v5, v1, v5
	s_delay_alu instid0(VALU_DEP_1) | instskip(NEXT) | instid1(VALU_DEP_1)
	v_lshrrev_b32_e32 v5, s25, v5
	v_mul_lo_u32 v11, v5, s23
	s_delay_alu instid0(VALU_DEP_1) | instskip(SKIP_2) | instid1(VALU_DEP_2)
	v_sub_nc_u32_e32 v1, v1, v11
	s_wait_loadcnt 0x0
	v_mul_hi_u32 v7, s27, v5
	v_mad_u32 v8, v1, s39, v8
	v_mad_u32 v0, v1, s38, v0
	s_delay_alu instid0(VALU_DEP_3) | instskip(NEXT) | instid1(VALU_DEP_1)
	v_add_nc_u32_e32 v7, v5, v7
	v_lshrrev_b32_e32 v7, s12, v7
	s_delay_alu instid0(VALU_DEP_1) | instskip(SKIP_1) | instid1(VALU_DEP_1)
	v_mul_hi_u32 v13, s14, v7
	v_mul_lo_u32 v11, v7, s26
	v_dual_add_nc_u32 v3, v7, v13 :: v_dual_sub_nc_u32 v1, v5, v11
	s_delay_alu instid0(VALU_DEP_1) | instskip(NEXT) | instid1(VALU_DEP_2)
	v_lshrrev_b32_e32 v3, s15, v3
	v_mad_u32 v8, v1, s41, v8
	v_mad_u32 v0, v1, s40, v0
	s_delay_alu instid0(VALU_DEP_3) | instskip(NEXT) | instid1(VALU_DEP_1)
	v_mul_lo_u32 v5, v3, s13
	v_sub_nc_u32_e32 v1, v7, v5
	s_delay_alu instid0(VALU_DEP_1) | instskip(NEXT) | instid1(VALU_DEP_4)
	v_mad_u32 v8, v1, s43, v8
	v_mad_u32 v0, v1, s42, v0
	s_cbranch_scc1 .LBB79_1130
; %bb.1131:
	s_delay_alu instid0(VALU_DEP_2)
	v_mov_b32_e32 v1, v8
	s_and_b32 s4, s1, 3
	s_mov_b32 s1, 0
	s_cmp_eq_u32 s4, 0
	s_cbranch_scc0 .LBB79_1135
	s_branch .LBB79_1138
.LBB79_1132:
	s_mov_b32 s6, -1
                                        ; implicit-def: $vgpr8
                                        ; implicit-def: $vgpr0
	s_branch .LBB79_1138
.LBB79_1133:
	v_dual_mov_b32 v8, 0 :: v_dual_mov_b32 v0, 0
	s_branch .LBB79_1138
.LBB79_1134:
	v_mov_b64_e32 v[0:1], 0
	v_mov_b32_e32 v3, v9
	s_mov_b32 s0, 0
                                        ; implicit-def: $vgpr8
	s_and_b32 s4, s1, 3
	s_mov_b32 s1, 0
	s_cmp_eq_u32 s4, 0
	s_cbranch_scc1 .LBB79_1138
.LBB79_1135:
	s_lshl_b32 s2, s0, 3
	s_mov_b32 s3, s1
	s_mul_u64 s[10:11], s[0:1], 12
	s_add_nc_u64 s[2:3], s[16:17], s[2:3]
	s_delay_alu instid0(SALU_CYCLE_1)
	s_add_nc_u64 s[0:1], s[2:3], 0xc4
	s_add_nc_u64 s[2:3], s[16:17], s[10:11]
.LBB79_1136:                            ; =>This Inner Loop Header: Depth=1
	s_load_b96 s[12:14], s[2:3], 0x4
	s_load_b64 s[10:11], s[0:1], 0x0
	s_add_co_i32 s4, s4, -1
	s_wait_xcnt 0x0
	s_add_nc_u64 s[2:3], s[2:3], 12
	s_cmp_lg_u32 s4, 0
	s_add_nc_u64 s[0:1], s[0:1], 8
	s_wait_kmcnt 0x0
	v_mul_hi_u32 v5, s13, v3
	s_delay_alu instid0(VALU_DEP_1) | instskip(NEXT) | instid1(VALU_DEP_1)
	v_add_nc_u32_e32 v5, v3, v5
	v_lshrrev_b32_e32 v5, s14, v5
	s_wait_loadcnt 0x0
	s_delay_alu instid0(VALU_DEP_1) | instskip(NEXT) | instid1(VALU_DEP_1)
	v_mul_lo_u32 v7, v5, s12
	v_sub_nc_u32_e32 v3, v3, v7
	s_delay_alu instid0(VALU_DEP_1)
	v_mad_u32 v1, v3, s11, v1
	v_mad_u32 v0, v3, s10, v0
	v_mov_b32_e32 v3, v5
	s_cbranch_scc1 .LBB79_1136
; %bb.1137:
	s_delay_alu instid0(VALU_DEP_3)
	v_mov_b32_e32 v8, v1
.LBB79_1138:
	s_and_not1_b32 vcc_lo, exec_lo, s6
	s_cbranch_vccnz .LBB79_1141
; %bb.1139:
	s_clause 0x1
	s_load_b96 s[0:2], s[16:17], 0x4
	s_load_b64 s[4:5], s[16:17], 0xc4
	s_cmp_lt_u32 s33, 2
	s_wait_kmcnt 0x0
	v_mul_hi_u32 v0, s1, v9
	s_delay_alu instid0(VALU_DEP_1) | instskip(NEXT) | instid1(VALU_DEP_1)
	v_add_nc_u32_e32 v0, v9, v0
	v_lshrrev_b32_e32 v1, s2, v0
	s_delay_alu instid0(VALU_DEP_1) | instskip(NEXT) | instid1(VALU_DEP_1)
	v_mul_lo_u32 v0, v1, s0
	v_sub_nc_u32_e32 v0, v9, v0
	s_delay_alu instid0(VALU_DEP_1)
	v_mul_lo_u32 v8, v0, s5
	v_mul_lo_u32 v0, v0, s4
	s_cbranch_scc1 .LBB79_1141
; %bb.1140:
	s_clause 0x1
	s_load_b96 s[0:2], s[16:17], 0x10
	s_load_b64 s[4:5], s[16:17], 0xcc
	s_wait_kmcnt 0x0
	v_mul_hi_u32 v3, s1, v1
	s_delay_alu instid0(VALU_DEP_1) | instskip(NEXT) | instid1(VALU_DEP_1)
	v_add_nc_u32_e32 v3, v1, v3
	v_lshrrev_b32_e32 v3, s2, v3
	s_delay_alu instid0(VALU_DEP_1) | instskip(NEXT) | instid1(VALU_DEP_1)
	v_mul_lo_u32 v3, v3, s0
	v_sub_nc_u32_e32 v1, v1, v3
	s_delay_alu instid0(VALU_DEP_1)
	v_mad_u32 v0, v1, s4, v0
	v_mad_u32 v8, v1, s5, v8
.LBB79_1141:
	v_mov_b32_e32 v15, 0
	s_load_b128 s[4:7], s[16:17], 0x148
	global_load_u8 v1, v15, s[16:17] offset:353
	s_wait_kmcnt 0x0
	v_add_nc_u64_e32 v[16:17], s[6:7], v[14:15]
	s_wait_loadcnt 0x0
	v_and_b32_e32 v3, 0xffff, v1
	v_readfirstlane_b32 s0, v1
	s_delay_alu instid0(VALU_DEP_2)
	v_cmp_gt_i32_e32 vcc_lo, 11, v3
	s_cbranch_vccnz .LBB79_1148
; %bb.1142:
	s_and_b32 s1, 0xffff, s0
	s_mov_b32 s10, 0
	s_cmp_gt_i32 s1, 25
	s_cbranch_scc0 .LBB79_1150
; %bb.1143:
	s_cmp_gt_i32 s1, 28
	s_cbranch_scc0 .LBB79_1151
; %bb.1144:
	;; [unrolled: 3-line block ×4, first 2 shown]
	s_cmp_eq_u32 s1, 46
	s_mov_b32 s3, 0
	s_cbranch_scc0 .LBB79_1156
; %bb.1147:
	global_load_b32 v1, v[16:17], off
	s_mov_b32 s2, 0
	s_mov_b32 s11, -1
	s_wait_loadcnt 0x0
	v_lshlrev_b32_e32 v1, 16, v1
	s_delay_alu instid0(VALU_DEP_1)
	v_cvt_i32_f32_e32 v14, v1
	s_branch .LBB79_1158
.LBB79_1148:
	s_mov_b32 s11, 0
	s_mov_b32 s3, s8
                                        ; implicit-def: $vgpr14
	s_cbranch_execnz .LBB79_1216
.LBB79_1149:
	s_and_not1_b32 vcc_lo, exec_lo, s11
	s_cbranch_vccz .LBB79_1261
	s_branch .LBB79_2072
.LBB79_1150:
	s_mov_b32 s11, 0
	s_mov_b32 s2, 0
                                        ; implicit-def: $vgpr14
	s_cbranch_execnz .LBB79_1183
	s_branch .LBB79_1212
.LBB79_1151:
	s_mov_b32 s11, 0
	s_mov_b32 s2, 0
                                        ; implicit-def: $vgpr14
	s_cbranch_execz .LBB79_1182
	s_branch .LBB79_1167
.LBB79_1152:
	s_mov_b32 s11, 0
	s_mov_b32 s2, 0
                                        ; implicit-def: $vgpr14
	s_cbranch_execnz .LBB79_1163
	s_branch .LBB79_1166
.LBB79_1153:
	s_mov_b32 s3, -1
	s_mov_b32 s11, 0
	s_mov_b32 s2, 0
	s_branch .LBB79_1157
.LBB79_1154:
	s_and_not1_saveexec_b32 s5, s5
	s_cbranch_execz .LBB79_993
.LBB79_1155:
	v_add_f32_e32 v2, 0x46000000, v3
	s_and_not1_b32 s4, s4, exec_lo
	s_delay_alu instid0(VALU_DEP_1) | instskip(NEXT) | instid1(VALU_DEP_1)
	v_and_b32_e32 v2, 0xff, v2
	v_cmp_ne_u32_e32 vcc_lo, 0, v2
	s_and_b32 s9, vcc_lo, exec_lo
	s_delay_alu instid0(SALU_CYCLE_1)
	s_or_b32 s4, s4, s9
	s_or_b32 exec_lo, exec_lo, s5
	v_mov_b32_e32 v4, 0
	s_and_saveexec_b32 s5, s4
	s_cbranch_execnz .LBB79_994
	s_branch .LBB79_995
.LBB79_1156:
	s_mov_b32 s2, -1
	s_mov_b32 s11, 0
.LBB79_1157:
                                        ; implicit-def: $vgpr14
.LBB79_1158:
	s_and_b32 vcc_lo, exec_lo, s3
	s_cbranch_vccz .LBB79_1161
; %bb.1159:
	s_cmp_eq_u32 s1, 44
	s_cbranch_scc0 .LBB79_1162
; %bb.1160:
	global_load_u8 v1, v[16:17], off
	s_mov_b32 s2, 0
	s_mov_b32 s11, -1
	s_wait_loadcnt 0x0
	v_lshlrev_b32_e32 v3, 23, v1
	v_cmp_ne_u32_e32 vcc_lo, 0, v1
	s_delay_alu instid0(VALU_DEP_2) | instskip(NEXT) | instid1(VALU_DEP_1)
	v_cvt_i32_f32_e32 v3, v3
	v_cndmask_b32_e32 v14, 0, v3, vcc_lo
.LBB79_1161:
	s_branch .LBB79_1166
.LBB79_1162:
	s_mov_b32 s2, -1
                                        ; implicit-def: $vgpr14
	s_branch .LBB79_1166
.LBB79_1163:
	s_cmp_eq_u32 s1, 29
	s_cbranch_scc0 .LBB79_1165
; %bb.1164:
	global_load_b64 v[14:15], v[16:17], off
	s_mov_b32 s2, 0
	s_mov_b32 s11, -1
	s_branch .LBB79_1166
.LBB79_1165:
	s_mov_b32 s2, -1
                                        ; implicit-def: $vgpr14
.LBB79_1166:
	s_branch .LBB79_1182
.LBB79_1167:
	s_cmp_lt_i32 s1, 27
	s_cbranch_scc1 .LBB79_1170
; %bb.1168:
	s_cmp_gt_i32 s1, 27
	s_cbranch_scc0 .LBB79_1171
; %bb.1169:
	s_wait_loadcnt 0x0
	global_load_b32 v14, v[16:17], off
	s_mov_b32 s3, 0
	s_branch .LBB79_1172
.LBB79_1170:
	s_mov_b32 s3, -1
                                        ; implicit-def: $vgpr14
	s_branch .LBB79_1175
.LBB79_1171:
	s_mov_b32 s3, -1
                                        ; implicit-def: $vgpr14
.LBB79_1172:
	s_delay_alu instid0(SALU_CYCLE_1)
	s_and_not1_b32 vcc_lo, exec_lo, s3
	s_cbranch_vccnz .LBB79_1174
; %bb.1173:
	s_wait_loadcnt 0x0
	global_load_u16 v14, v[16:17], off
.LBB79_1174:
	s_mov_b32 s3, 0
.LBB79_1175:
	s_delay_alu instid0(SALU_CYCLE_1)
	s_and_not1_b32 vcc_lo, exec_lo, s3
	s_cbranch_vccnz .LBB79_1181
; %bb.1176:
	global_load_u8 v1, v[16:17], off
	s_mov_b32 s11, 0
	s_mov_b32 s3, exec_lo
	s_wait_loadcnt 0x0
	v_cmpx_lt_i16_e32 0x7f, v1
	s_xor_b32 s3, exec_lo, s3
	s_cbranch_execz .LBB79_1192
; %bb.1177:
	v_cmp_ne_u16_e32 vcc_lo, 0x80, v1
	s_and_b32 s11, vcc_lo, exec_lo
	s_and_not1_saveexec_b32 s3, s3
	s_cbranch_execnz .LBB79_1193
.LBB79_1178:
	s_or_b32 exec_lo, exec_lo, s3
	v_mov_b32_e32 v14, 0
	s_and_saveexec_b32 s3, s11
	s_cbranch_execz .LBB79_1180
.LBB79_1179:
	v_and_b32_e32 v3, 0xffff, v1
	s_delay_alu instid0(VALU_DEP_1) | instskip(SKIP_1) | instid1(VALU_DEP_2)
	v_dual_lshlrev_b32 v1, 24, v1 :: v_dual_bitop2_b32 v5, 7, v3 bitop3:0x40
	v_bfe_u32 v11, v3, 3, 4
	v_and_b32_e32 v1, 0x80000000, v1
	s_delay_alu instid0(VALU_DEP_3) | instskip(NEXT) | instid1(VALU_DEP_3)
	v_clz_i32_u32_e32 v7, v5
	v_cmp_eq_u32_e32 vcc_lo, 0, v11
	s_delay_alu instid0(VALU_DEP_2) | instskip(NEXT) | instid1(VALU_DEP_1)
	v_min_u32_e32 v7, 32, v7
	v_subrev_nc_u32_e32 v9, 28, v7
	v_sub_nc_u32_e32 v7, 29, v7
	s_delay_alu instid0(VALU_DEP_2) | instskip(NEXT) | instid1(VALU_DEP_2)
	v_lshlrev_b32_e32 v3, v9, v3
	v_cndmask_b32_e32 v7, v11, v7, vcc_lo
	s_delay_alu instid0(VALU_DEP_2) | instskip(NEXT) | instid1(VALU_DEP_1)
	v_and_b32_e32 v3, 7, v3
	v_cndmask_b32_e32 v3, v5, v3, vcc_lo
	s_delay_alu instid0(VALU_DEP_3) | instskip(NEXT) | instid1(VALU_DEP_2)
	v_lshl_add_u32 v5, v7, 23, 0x3b800000
	v_lshlrev_b32_e32 v3, 20, v3
	s_delay_alu instid0(VALU_DEP_1) | instskip(NEXT) | instid1(VALU_DEP_1)
	v_or3_b32 v1, v1, v5, v3
	v_cvt_i32_f32_e32 v14, v1
.LBB79_1180:
	s_or_b32 exec_lo, exec_lo, s3
.LBB79_1181:
	s_mov_b32 s11, -1
.LBB79_1182:
	s_branch .LBB79_1212
.LBB79_1183:
	s_cmp_gt_i32 s1, 22
	s_cbranch_scc0 .LBB79_1191
; %bb.1184:
	s_cmp_lt_i32 s1, 24
	s_cbranch_scc1 .LBB79_1194
; %bb.1185:
	s_cmp_gt_i32 s1, 24
	s_cbranch_scc0 .LBB79_1195
; %bb.1186:
	global_load_u8 v1, v[16:17], off
	s_mov_b32 s3, exec_lo
	s_wait_loadcnt 0x0
	v_cmpx_lt_i16_e32 0x7f, v1
	s_xor_b32 s3, exec_lo, s3
	s_cbranch_execz .LBB79_1206
; %bb.1187:
	v_cmp_ne_u16_e32 vcc_lo, 0x80, v1
	s_and_b32 s10, vcc_lo, exec_lo
	s_and_not1_saveexec_b32 s3, s3
	s_cbranch_execnz .LBB79_1207
.LBB79_1188:
	s_or_b32 exec_lo, exec_lo, s3
	v_mov_b32_e32 v14, 0
	s_and_saveexec_b32 s3, s10
	s_cbranch_execz .LBB79_1190
.LBB79_1189:
	v_and_b32_e32 v3, 0xffff, v1
	s_delay_alu instid0(VALU_DEP_1) | instskip(SKIP_1) | instid1(VALU_DEP_2)
	v_dual_lshlrev_b32 v1, 24, v1 :: v_dual_bitop2_b32 v5, 3, v3 bitop3:0x40
	v_bfe_u32 v11, v3, 2, 5
	v_and_b32_e32 v1, 0x80000000, v1
	s_delay_alu instid0(VALU_DEP_3) | instskip(NEXT) | instid1(VALU_DEP_3)
	v_clz_i32_u32_e32 v7, v5
	v_cmp_eq_u32_e32 vcc_lo, 0, v11
	s_delay_alu instid0(VALU_DEP_2) | instskip(NEXT) | instid1(VALU_DEP_1)
	v_min_u32_e32 v7, 32, v7
	v_subrev_nc_u32_e32 v9, 29, v7
	v_sub_nc_u32_e32 v7, 30, v7
	s_delay_alu instid0(VALU_DEP_2) | instskip(NEXT) | instid1(VALU_DEP_2)
	v_lshlrev_b32_e32 v3, v9, v3
	v_cndmask_b32_e32 v7, v11, v7, vcc_lo
	s_delay_alu instid0(VALU_DEP_2) | instskip(NEXT) | instid1(VALU_DEP_1)
	v_and_b32_e32 v3, 3, v3
	v_cndmask_b32_e32 v3, v5, v3, vcc_lo
	s_delay_alu instid0(VALU_DEP_3) | instskip(NEXT) | instid1(VALU_DEP_2)
	v_lshl_add_u32 v5, v7, 23, 0x37800000
	v_lshlrev_b32_e32 v3, 21, v3
	s_delay_alu instid0(VALU_DEP_1) | instskip(NEXT) | instid1(VALU_DEP_1)
	v_or3_b32 v1, v1, v5, v3
	v_cvt_i32_f32_e32 v14, v1
.LBB79_1190:
	s_or_b32 exec_lo, exec_lo, s3
	s_mov_b32 s3, 0
	s_branch .LBB79_1196
.LBB79_1191:
                                        ; implicit-def: $vgpr14
	s_mov_b32 s10, 0
	s_branch .LBB79_1202
.LBB79_1192:
	s_and_not1_saveexec_b32 s3, s3
	s_cbranch_execz .LBB79_1178
.LBB79_1193:
	v_cmp_ne_u16_e32 vcc_lo, 0, v1
	s_and_not1_b32 s11, s11, exec_lo
	s_and_b32 s12, vcc_lo, exec_lo
	s_delay_alu instid0(SALU_CYCLE_1)
	s_or_b32 s11, s11, s12
	s_or_b32 exec_lo, exec_lo, s3
	v_mov_b32_e32 v14, 0
	s_and_saveexec_b32 s3, s11
	s_cbranch_execnz .LBB79_1179
	s_branch .LBB79_1180
.LBB79_1194:
	s_mov_b32 s3, -1
                                        ; implicit-def: $vgpr14
	s_branch .LBB79_1199
.LBB79_1195:
	s_mov_b32 s3, -1
                                        ; implicit-def: $vgpr14
.LBB79_1196:
	s_delay_alu instid0(SALU_CYCLE_1)
	s_and_b32 vcc_lo, exec_lo, s3
	s_cbranch_vccz .LBB79_1198
; %bb.1197:
	global_load_u8 v1, v[16:17], off
	s_wait_loadcnt 0x0
	v_lshlrev_b32_e32 v1, 24, v1
	s_delay_alu instid0(VALU_DEP_1) | instskip(NEXT) | instid1(VALU_DEP_1)
	v_and_b32_e32 v3, 0x7f000000, v1
	v_clz_i32_u32_e32 v5, v3
	v_add_nc_u32_e32 v9, 0x1000000, v3
	v_cmp_ne_u32_e32 vcc_lo, 0, v3
	s_delay_alu instid0(VALU_DEP_3) | instskip(NEXT) | instid1(VALU_DEP_1)
	v_min_u32_e32 v5, 32, v5
	v_sub_nc_u32_e64 v5, v5, 4 clamp
	s_delay_alu instid0(VALU_DEP_1) | instskip(NEXT) | instid1(VALU_DEP_1)
	v_dual_lshlrev_b32 v7, v5, v3 :: v_dual_lshlrev_b32 v5, 23, v5
	v_lshrrev_b32_e32 v7, 4, v7
	s_delay_alu instid0(VALU_DEP_1) | instskip(SKIP_1) | instid1(VALU_DEP_2)
	v_sub_nc_u32_e32 v5, v7, v5
	v_ashrrev_i32_e32 v7, 8, v9
	v_add_nc_u32_e32 v5, 0x3c000000, v5
	s_delay_alu instid0(VALU_DEP_1) | instskip(NEXT) | instid1(VALU_DEP_1)
	v_and_or_b32 v5, 0x7f800000, v7, v5
	v_cndmask_b32_e32 v3, 0, v5, vcc_lo
	s_delay_alu instid0(VALU_DEP_1) | instskip(NEXT) | instid1(VALU_DEP_1)
	v_and_or_b32 v1, 0x80000000, v1, v3
	v_cvt_i32_f32_e32 v14, v1
.LBB79_1198:
	s_mov_b32 s3, 0
.LBB79_1199:
	s_delay_alu instid0(SALU_CYCLE_1)
	s_and_not1_b32 vcc_lo, exec_lo, s3
	s_cbranch_vccnz .LBB79_1201
; %bb.1200:
	global_load_u8 v1, v[16:17], off
	s_wait_loadcnt 0x0
	v_lshlrev_b32_e32 v3, 25, v1
	v_lshlrev_b16 v1, 8, v1
	s_delay_alu instid0(VALU_DEP_1) | instskip(SKIP_1) | instid1(VALU_DEP_2)
	v_and_or_b32 v7, 0x7f00, v1, 0.5
	v_bfe_i32 v1, v1, 0, 16
	v_add_f32_e32 v7, -0.5, v7
	v_lshrrev_b32_e32 v5, 4, v3
	v_cmp_gt_u32_e32 vcc_lo, 0x8000000, v3
	s_delay_alu instid0(VALU_DEP_2) | instskip(NEXT) | instid1(VALU_DEP_1)
	v_or_b32_e32 v5, 0x70000000, v5
	v_mul_f32_e32 v5, 0x7800000, v5
	s_delay_alu instid0(VALU_DEP_1) | instskip(NEXT) | instid1(VALU_DEP_1)
	v_cndmask_b32_e32 v3, v5, v7, vcc_lo
	v_and_or_b32 v1, 0x80000000, v1, v3
	s_delay_alu instid0(VALU_DEP_1)
	v_cvt_i32_f32_e32 v14, v1
.LBB79_1201:
	s_mov_b32 s11, -1
	s_mov_b32 s10, 0
	s_cbranch_execnz .LBB79_1212
.LBB79_1202:
	s_cmp_gt_i32 s1, 14
	s_cbranch_scc0 .LBB79_1205
; %bb.1203:
	s_cmp_eq_u32 s1, 15
	s_cbranch_scc0 .LBB79_1208
; %bb.1204:
	global_load_u16 v1, v[16:17], off
	s_mov_b32 s2, 0
	s_mov_b32 s11, -1
	s_wait_loadcnt 0x0
	v_lshlrev_b32_e32 v1, 16, v1
	s_delay_alu instid0(VALU_DEP_1)
	v_cvt_i32_f32_e32 v14, v1
	s_branch .LBB79_1209
.LBB79_1205:
	s_mov_b32 s3, -1
                                        ; implicit-def: $vgpr14
	s_branch .LBB79_1210
.LBB79_1206:
	s_and_not1_saveexec_b32 s3, s3
	s_cbranch_execz .LBB79_1188
.LBB79_1207:
	v_cmp_ne_u16_e32 vcc_lo, 0, v1
	s_and_not1_b32 s10, s10, exec_lo
	s_and_b32 s11, vcc_lo, exec_lo
	s_delay_alu instid0(SALU_CYCLE_1)
	s_or_b32 s10, s10, s11
	s_or_b32 exec_lo, exec_lo, s3
	v_mov_b32_e32 v14, 0
	s_and_saveexec_b32 s3, s10
	s_cbranch_execnz .LBB79_1189
	s_branch .LBB79_1190
.LBB79_1208:
	s_mov_b32 s2, -1
                                        ; implicit-def: $vgpr14
.LBB79_1209:
	s_mov_b32 s3, 0
.LBB79_1210:
	s_delay_alu instid0(SALU_CYCLE_1)
	s_and_b32 vcc_lo, exec_lo, s3
	s_cbranch_vccz .LBB79_1212
; %bb.1211:
	s_cmp_lg_u32 s1, 11
	s_mov_b32 s10, -1
	s_cselect_b32 s2, -1, 0
.LBB79_1212:
	s_delay_alu instid0(SALU_CYCLE_1)
	s_and_b32 vcc_lo, exec_lo, s2
	s_mov_b32 s3, s8
	s_cbranch_vccnz .LBB79_1273
; %bb.1213:
	s_and_not1_b32 vcc_lo, exec_lo, s10
	s_cbranch_vccnz .LBB79_1215
.LBB79_1214:
	global_load_u8 v1, v[16:17], off
	s_mov_b32 s11, -1
	s_wait_loadcnt 0x0
	v_cmp_ne_u16_e32 vcc_lo, 0, v1
	v_cndmask_b32_e64 v14, 0, 1, vcc_lo
.LBB79_1215:
	s_branch .LBB79_1149
.LBB79_1216:
	s_and_b32 s1, 0xffff, s0
	s_delay_alu instid0(SALU_CYCLE_1)
	s_cmp_lt_i32 s1, 5
	s_cbranch_scc1 .LBB79_1221
; %bb.1217:
	s_cmp_lt_i32 s1, 8
	s_cbranch_scc1 .LBB79_1222
; %bb.1218:
	;; [unrolled: 3-line block ×3, first 2 shown]
	s_cmp_gt_i32 s1, 9
	s_cbranch_scc0 .LBB79_1224
; %bb.1220:
	s_wait_loadcnt 0x0
	global_load_b64 v[14:15], v[16:17], off
	s_mov_b32 s2, 0
	s_wait_loadcnt 0x0
	v_cvt_i32_f64_e32 v14, v[14:15]
	s_branch .LBB79_1225
.LBB79_1221:
                                        ; implicit-def: $vgpr14
	s_branch .LBB79_1242
.LBB79_1222:
                                        ; implicit-def: $vgpr14
	s_branch .LBB79_1231
.LBB79_1223:
	s_mov_b32 s2, -1
                                        ; implicit-def: $vgpr14
	s_branch .LBB79_1228
.LBB79_1224:
	s_mov_b32 s2, -1
                                        ; implicit-def: $vgpr14
.LBB79_1225:
	s_delay_alu instid0(SALU_CYCLE_1)
	s_and_not1_b32 vcc_lo, exec_lo, s2
	s_cbranch_vccnz .LBB79_1227
; %bb.1226:
	global_load_b32 v1, v[16:17], off
	s_wait_loadcnt 0x0
	v_cvt_i32_f32_e32 v14, v1
.LBB79_1227:
	s_mov_b32 s2, 0
.LBB79_1228:
	s_delay_alu instid0(SALU_CYCLE_1)
	s_and_not1_b32 vcc_lo, exec_lo, s2
	s_cbranch_vccnz .LBB79_1230
; %bb.1229:
	global_load_b32 v1, v[16:17], off
	s_wait_loadcnt 0x0
	v_cvt_i16_f16_e32 v14, v1
.LBB79_1230:
	s_cbranch_execnz .LBB79_1241
.LBB79_1231:
	s_cmp_lt_i32 s1, 6
	s_cbranch_scc1 .LBB79_1234
; %bb.1232:
	s_cmp_gt_i32 s1, 6
	s_cbranch_scc0 .LBB79_1235
; %bb.1233:
	s_wait_loadcnt 0x0
	global_load_b64 v[14:15], v[16:17], off
	s_mov_b32 s2, 0
	s_wait_loadcnt 0x0
	v_cvt_i32_f64_e32 v14, v[14:15]
	s_branch .LBB79_1236
.LBB79_1234:
	s_mov_b32 s2, -1
                                        ; implicit-def: $vgpr14
	s_branch .LBB79_1239
.LBB79_1235:
	s_mov_b32 s2, -1
                                        ; implicit-def: $vgpr14
.LBB79_1236:
	s_delay_alu instid0(SALU_CYCLE_1)
	s_and_not1_b32 vcc_lo, exec_lo, s2
	s_cbranch_vccnz .LBB79_1238
; %bb.1237:
	global_load_b32 v1, v[16:17], off
	s_wait_loadcnt 0x0
	v_cvt_i32_f32_e32 v14, v1
.LBB79_1238:
	s_mov_b32 s2, 0
.LBB79_1239:
	s_delay_alu instid0(SALU_CYCLE_1)
	s_and_not1_b32 vcc_lo, exec_lo, s2
	s_cbranch_vccnz .LBB79_1241
; %bb.1240:
	global_load_u16 v1, v[16:17], off
	s_wait_loadcnt 0x0
	v_cvt_i16_f16_e32 v14, v1
.LBB79_1241:
	s_cbranch_execnz .LBB79_1260
.LBB79_1242:
	s_cmp_lt_i32 s1, 2
	s_cbranch_scc1 .LBB79_1246
; %bb.1243:
	s_cmp_lt_i32 s1, 3
	s_cbranch_scc1 .LBB79_1247
; %bb.1244:
	s_cmp_gt_i32 s1, 3
	s_cbranch_scc0 .LBB79_1248
; %bb.1245:
	s_wait_loadcnt 0x0
	global_load_b64 v[14:15], v[16:17], off
	s_mov_b32 s2, 0
	s_branch .LBB79_1249
.LBB79_1246:
                                        ; implicit-def: $vgpr14
	s_branch .LBB79_1255
.LBB79_1247:
	s_mov_b32 s2, -1
                                        ; implicit-def: $vgpr14
	s_branch .LBB79_1252
.LBB79_1248:
	s_mov_b32 s2, -1
                                        ; implicit-def: $vgpr14
.LBB79_1249:
	s_delay_alu instid0(SALU_CYCLE_1)
	s_and_not1_b32 vcc_lo, exec_lo, s2
	s_cbranch_vccnz .LBB79_1251
; %bb.1250:
	s_wait_loadcnt 0x0
	global_load_b32 v14, v[16:17], off
.LBB79_1251:
	s_mov_b32 s2, 0
.LBB79_1252:
	s_delay_alu instid0(SALU_CYCLE_1)
	s_and_not1_b32 vcc_lo, exec_lo, s2
	s_cbranch_vccnz .LBB79_1254
; %bb.1253:
	s_wait_loadcnt 0x0
	global_load_u16 v14, v[16:17], off
.LBB79_1254:
	s_cbranch_execnz .LBB79_1260
.LBB79_1255:
	s_cmp_gt_i32 s1, 0
	s_mov_b32 s1, 0
	s_cbranch_scc0 .LBB79_1257
; %bb.1256:
	s_wait_loadcnt 0x0
	global_load_i8 v14, v[16:17], off
	s_branch .LBB79_1258
.LBB79_1257:
	s_mov_b32 s1, -1
                                        ; implicit-def: $vgpr14
.LBB79_1258:
	s_delay_alu instid0(SALU_CYCLE_1)
	s_and_not1_b32 vcc_lo, exec_lo, s1
	s_cbranch_vccnz .LBB79_1260
; %bb.1259:
	s_wait_loadcnt 0x0
	global_load_u8 v14, v[16:17], off
.LBB79_1260:
.LBB79_1261:
	v_mov_b32_e32 v13, 0
	s_and_b32 s0, 0xffff, s0
	s_delay_alu instid0(SALU_CYCLE_1) | instskip(SKIP_1) | instid1(VALU_DEP_1)
	s_cmp_lt_i32 s0, 11
	s_wait_xcnt 0x0
	v_add_nc_u64_e32 v[16:17], s[6:7], v[12:13]
	s_cbranch_scc1 .LBB79_1268
; %bb.1262:
	s_cmp_gt_i32 s0, 25
	s_mov_b32 s2, 0
	s_cbranch_scc0 .LBB79_1270
; %bb.1263:
	s_cmp_gt_i32 s0, 28
	s_cbranch_scc0 .LBB79_1271
; %bb.1264:
	s_cmp_gt_i32 s0, 43
	;; [unrolled: 3-line block ×3, first 2 shown]
	s_cbranch_scc0 .LBB79_1274
; %bb.1266:
	s_cmp_eq_u32 s0, 46
	s_mov_b32 s11, 0
	s_cbranch_scc0 .LBB79_1277
; %bb.1267:
	global_load_b32 v1, v[16:17], off
	s_mov_b32 s1, 0
	s_mov_b32 s10, -1
	s_wait_loadcnt 0x0
	v_lshlrev_b32_e32 v1, 16, v1
	s_delay_alu instid0(VALU_DEP_1)
	v_cvt_i32_f32_e32 v12, v1
	s_branch .LBB79_1279
.LBB79_1268:
	s_mov_b32 s10, 0
                                        ; implicit-def: $vgpr12
	s_cbranch_execnz .LBB79_1340
.LBB79_1269:
	s_and_not1_b32 vcc_lo, exec_lo, s10
	s_cbranch_vccnz .LBB79_2072
	s_branch .LBB79_1387
.LBB79_1270:
	s_mov_b32 s10, 0
	s_mov_b32 s1, 0
                                        ; implicit-def: $vgpr12
	s_cbranch_execnz .LBB79_1306
	s_branch .LBB79_1336
.LBB79_1271:
	s_mov_b32 s11, -1
	s_mov_b32 s10, 0
	s_mov_b32 s1, 0
                                        ; implicit-def: $vgpr12
	s_branch .LBB79_1289
.LBB79_1272:
	s_mov_b32 s11, -1
	s_mov_b32 s10, 0
	s_mov_b32 s1, 0
                                        ; implicit-def: $vgpr12
	s_branch .LBB79_1284
.LBB79_1273:
	s_or_b32 s3, s8, exec_lo
	s_trap 2
	s_cbranch_execz .LBB79_1214
	s_branch .LBB79_1215
.LBB79_1274:
	s_mov_b32 s11, -1
	s_mov_b32 s10, 0
	s_mov_b32 s1, 0
	s_branch .LBB79_1278
.LBB79_1275:
	s_and_not1_saveexec_b32 s9, s9
	s_cbranch_execz .LBB79_1005
.LBB79_1276:
	v_add_f32_e32 v2, 0x42800000, v3
	s_and_not1_b32 s5, s5, exec_lo
	s_delay_alu instid0(VALU_DEP_1) | instskip(NEXT) | instid1(VALU_DEP_1)
	v_and_b32_e32 v2, 0xff, v2
	v_cmp_ne_u32_e32 vcc_lo, 0, v2
	s_and_b32 s11, vcc_lo, exec_lo
	s_delay_alu instid0(SALU_CYCLE_1)
	s_or_b32 s5, s5, s11
	s_or_b32 exec_lo, exec_lo, s9
	v_mov_b32_e32 v4, 0
	s_and_saveexec_b32 s9, s5
	s_cbranch_execnz .LBB79_1006
	s_branch .LBB79_1007
.LBB79_1277:
	s_mov_b32 s1, -1
	s_mov_b32 s10, 0
.LBB79_1278:
                                        ; implicit-def: $vgpr12
.LBB79_1279:
	s_and_b32 vcc_lo, exec_lo, s11
	s_cbranch_vccz .LBB79_1283
; %bb.1280:
	s_cmp_eq_u32 s0, 44
	s_cbranch_scc0 .LBB79_1282
; %bb.1281:
	global_load_u8 v1, v[16:17], off
	s_mov_b32 s1, 0
	s_mov_b32 s10, -1
	s_wait_loadcnt 0x0
	v_lshlrev_b32_e32 v3, 23, v1
	v_cmp_ne_u32_e32 vcc_lo, 0, v1
	s_delay_alu instid0(VALU_DEP_2) | instskip(NEXT) | instid1(VALU_DEP_1)
	v_cvt_i32_f32_e32 v3, v3
	v_cndmask_b32_e32 v12, 0, v3, vcc_lo
	s_branch .LBB79_1283
.LBB79_1282:
	s_mov_b32 s1, -1
                                        ; implicit-def: $vgpr12
.LBB79_1283:
	s_mov_b32 s11, 0
.LBB79_1284:
	s_delay_alu instid0(SALU_CYCLE_1)
	s_and_b32 vcc_lo, exec_lo, s11
	s_cbranch_vccz .LBB79_1288
; %bb.1285:
	s_cmp_eq_u32 s0, 29
	s_cbranch_scc0 .LBB79_1287
; %bb.1286:
	global_load_b64 v[12:13], v[16:17], off
	s_mov_b32 s1, 0
	s_mov_b32 s10, -1
	s_branch .LBB79_1288
.LBB79_1287:
	s_mov_b32 s1, -1
                                        ; implicit-def: $vgpr12
.LBB79_1288:
	s_mov_b32 s11, 0
.LBB79_1289:
	s_delay_alu instid0(SALU_CYCLE_1)
	s_and_b32 vcc_lo, exec_lo, s11
	s_cbranch_vccz .LBB79_1305
; %bb.1290:
	s_cmp_lt_i32 s0, 27
	s_cbranch_scc1 .LBB79_1293
; %bb.1291:
	s_cmp_gt_i32 s0, 27
	s_cbranch_scc0 .LBB79_1294
; %bb.1292:
	s_wait_loadcnt 0x0
	global_load_b32 v12, v[16:17], off
	s_mov_b32 s10, 0
	s_branch .LBB79_1295
.LBB79_1293:
	s_mov_b32 s10, -1
                                        ; implicit-def: $vgpr12
	s_branch .LBB79_1298
.LBB79_1294:
	s_mov_b32 s10, -1
                                        ; implicit-def: $vgpr12
.LBB79_1295:
	s_delay_alu instid0(SALU_CYCLE_1)
	s_and_not1_b32 vcc_lo, exec_lo, s10
	s_cbranch_vccnz .LBB79_1297
; %bb.1296:
	s_wait_loadcnt 0x0
	global_load_u16 v12, v[16:17], off
.LBB79_1297:
	s_mov_b32 s10, 0
.LBB79_1298:
	s_delay_alu instid0(SALU_CYCLE_1)
	s_and_not1_b32 vcc_lo, exec_lo, s10
	s_cbranch_vccnz .LBB79_1304
; %bb.1299:
	global_load_u8 v1, v[16:17], off
	s_mov_b32 s11, 0
	s_mov_b32 s10, exec_lo
	s_wait_loadcnt 0x0
	v_cmpx_lt_i16_e32 0x7f, v1
	s_xor_b32 s10, exec_lo, s10
	s_cbranch_execz .LBB79_1315
; %bb.1300:
	v_cmp_ne_u16_e32 vcc_lo, 0x80, v1
	s_and_b32 s11, vcc_lo, exec_lo
	s_and_not1_saveexec_b32 s10, s10
	s_cbranch_execnz .LBB79_1316
.LBB79_1301:
	s_or_b32 exec_lo, exec_lo, s10
	v_mov_b32_e32 v12, 0
	s_and_saveexec_b32 s10, s11
	s_cbranch_execz .LBB79_1303
.LBB79_1302:
	v_and_b32_e32 v3, 0xffff, v1
	s_delay_alu instid0(VALU_DEP_1) | instskip(SKIP_1) | instid1(VALU_DEP_2)
	v_dual_lshlrev_b32 v1, 24, v1 :: v_dual_bitop2_b32 v5, 7, v3 bitop3:0x40
	v_bfe_u32 v11, v3, 3, 4
	v_and_b32_e32 v1, 0x80000000, v1
	s_delay_alu instid0(VALU_DEP_3) | instskip(NEXT) | instid1(VALU_DEP_3)
	v_clz_i32_u32_e32 v7, v5
	v_cmp_eq_u32_e32 vcc_lo, 0, v11
	s_delay_alu instid0(VALU_DEP_2) | instskip(NEXT) | instid1(VALU_DEP_1)
	v_min_u32_e32 v7, 32, v7
	v_subrev_nc_u32_e32 v9, 28, v7
	v_sub_nc_u32_e32 v7, 29, v7
	s_delay_alu instid0(VALU_DEP_2) | instskip(NEXT) | instid1(VALU_DEP_2)
	v_lshlrev_b32_e32 v3, v9, v3
	v_cndmask_b32_e32 v7, v11, v7, vcc_lo
	s_delay_alu instid0(VALU_DEP_2) | instskip(NEXT) | instid1(VALU_DEP_1)
	v_and_b32_e32 v3, 7, v3
	v_cndmask_b32_e32 v3, v5, v3, vcc_lo
	s_delay_alu instid0(VALU_DEP_3) | instskip(NEXT) | instid1(VALU_DEP_2)
	v_lshl_add_u32 v5, v7, 23, 0x3b800000
	v_lshlrev_b32_e32 v3, 20, v3
	s_delay_alu instid0(VALU_DEP_1) | instskip(NEXT) | instid1(VALU_DEP_1)
	v_or3_b32 v1, v1, v5, v3
	v_cvt_i32_f32_e32 v12, v1
.LBB79_1303:
	s_or_b32 exec_lo, exec_lo, s10
.LBB79_1304:
	s_mov_b32 s10, -1
.LBB79_1305:
	s_branch .LBB79_1336
.LBB79_1306:
	s_cmp_gt_i32 s0, 22
	s_cbranch_scc0 .LBB79_1314
; %bb.1307:
	s_cmp_lt_i32 s0, 24
	s_cbranch_scc1 .LBB79_1317
; %bb.1308:
	s_cmp_gt_i32 s0, 24
	s_cbranch_scc0 .LBB79_1318
; %bb.1309:
	global_load_u8 v1, v[16:17], off
	s_mov_b32 s10, 0
	s_mov_b32 s2, exec_lo
	s_wait_loadcnt 0x0
	v_cmpx_lt_i16_e32 0x7f, v1
	s_xor_b32 s2, exec_lo, s2
	s_cbranch_execz .LBB79_1330
; %bb.1310:
	v_cmp_ne_u16_e32 vcc_lo, 0x80, v1
	s_and_b32 s10, vcc_lo, exec_lo
	s_and_not1_saveexec_b32 s2, s2
	s_cbranch_execnz .LBB79_1331
.LBB79_1311:
	s_or_b32 exec_lo, exec_lo, s2
	v_mov_b32_e32 v12, 0
	s_and_saveexec_b32 s2, s10
	s_cbranch_execz .LBB79_1313
.LBB79_1312:
	v_and_b32_e32 v3, 0xffff, v1
	s_delay_alu instid0(VALU_DEP_1) | instskip(SKIP_1) | instid1(VALU_DEP_2)
	v_dual_lshlrev_b32 v1, 24, v1 :: v_dual_bitop2_b32 v5, 3, v3 bitop3:0x40
	v_bfe_u32 v11, v3, 2, 5
	v_and_b32_e32 v1, 0x80000000, v1
	s_delay_alu instid0(VALU_DEP_3) | instskip(NEXT) | instid1(VALU_DEP_3)
	v_clz_i32_u32_e32 v7, v5
	v_cmp_eq_u32_e32 vcc_lo, 0, v11
	s_delay_alu instid0(VALU_DEP_2) | instskip(NEXT) | instid1(VALU_DEP_1)
	v_min_u32_e32 v7, 32, v7
	v_subrev_nc_u32_e32 v9, 29, v7
	v_sub_nc_u32_e32 v7, 30, v7
	s_delay_alu instid0(VALU_DEP_2) | instskip(NEXT) | instid1(VALU_DEP_2)
	v_lshlrev_b32_e32 v3, v9, v3
	v_cndmask_b32_e32 v7, v11, v7, vcc_lo
	s_delay_alu instid0(VALU_DEP_2) | instskip(NEXT) | instid1(VALU_DEP_1)
	v_and_b32_e32 v3, 3, v3
	v_cndmask_b32_e32 v3, v5, v3, vcc_lo
	s_delay_alu instid0(VALU_DEP_3) | instskip(NEXT) | instid1(VALU_DEP_2)
	v_lshl_add_u32 v5, v7, 23, 0x37800000
	v_lshlrev_b32_e32 v3, 21, v3
	s_delay_alu instid0(VALU_DEP_1) | instskip(NEXT) | instid1(VALU_DEP_1)
	v_or3_b32 v1, v1, v5, v3
	v_cvt_i32_f32_e32 v12, v1
.LBB79_1313:
	s_or_b32 exec_lo, exec_lo, s2
	s_mov_b32 s2, 0
	s_branch .LBB79_1319
.LBB79_1314:
	s_mov_b32 s2, -1
                                        ; implicit-def: $vgpr12
	s_branch .LBB79_1325
.LBB79_1315:
	s_and_not1_saveexec_b32 s10, s10
	s_cbranch_execz .LBB79_1301
.LBB79_1316:
	v_cmp_ne_u16_e32 vcc_lo, 0, v1
	s_and_not1_b32 s11, s11, exec_lo
	s_and_b32 s12, vcc_lo, exec_lo
	s_delay_alu instid0(SALU_CYCLE_1)
	s_or_b32 s11, s11, s12
	s_or_b32 exec_lo, exec_lo, s10
	v_mov_b32_e32 v12, 0
	s_and_saveexec_b32 s10, s11
	s_cbranch_execnz .LBB79_1302
	s_branch .LBB79_1303
.LBB79_1317:
	s_mov_b32 s2, -1
                                        ; implicit-def: $vgpr12
	s_branch .LBB79_1322
.LBB79_1318:
	s_mov_b32 s2, -1
                                        ; implicit-def: $vgpr12
.LBB79_1319:
	s_delay_alu instid0(SALU_CYCLE_1)
	s_and_b32 vcc_lo, exec_lo, s2
	s_cbranch_vccz .LBB79_1321
; %bb.1320:
	global_load_u8 v1, v[16:17], off
	s_wait_loadcnt 0x0
	v_lshlrev_b32_e32 v1, 24, v1
	s_delay_alu instid0(VALU_DEP_1) | instskip(NEXT) | instid1(VALU_DEP_1)
	v_and_b32_e32 v3, 0x7f000000, v1
	v_clz_i32_u32_e32 v5, v3
	v_add_nc_u32_e32 v9, 0x1000000, v3
	v_cmp_ne_u32_e32 vcc_lo, 0, v3
	s_delay_alu instid0(VALU_DEP_3) | instskip(NEXT) | instid1(VALU_DEP_1)
	v_min_u32_e32 v5, 32, v5
	v_sub_nc_u32_e64 v5, v5, 4 clamp
	s_delay_alu instid0(VALU_DEP_1) | instskip(NEXT) | instid1(VALU_DEP_1)
	v_dual_lshlrev_b32 v7, v5, v3 :: v_dual_lshlrev_b32 v5, 23, v5
	v_lshrrev_b32_e32 v7, 4, v7
	s_delay_alu instid0(VALU_DEP_1) | instskip(SKIP_1) | instid1(VALU_DEP_2)
	v_sub_nc_u32_e32 v5, v7, v5
	v_ashrrev_i32_e32 v7, 8, v9
	v_add_nc_u32_e32 v5, 0x3c000000, v5
	s_delay_alu instid0(VALU_DEP_1) | instskip(NEXT) | instid1(VALU_DEP_1)
	v_and_or_b32 v5, 0x7f800000, v7, v5
	v_cndmask_b32_e32 v3, 0, v5, vcc_lo
	s_delay_alu instid0(VALU_DEP_1) | instskip(NEXT) | instid1(VALU_DEP_1)
	v_and_or_b32 v1, 0x80000000, v1, v3
	v_cvt_i32_f32_e32 v12, v1
.LBB79_1321:
	s_mov_b32 s2, 0
.LBB79_1322:
	s_delay_alu instid0(SALU_CYCLE_1)
	s_and_not1_b32 vcc_lo, exec_lo, s2
	s_cbranch_vccnz .LBB79_1324
; %bb.1323:
	global_load_u8 v1, v[16:17], off
	s_wait_loadcnt 0x0
	v_lshlrev_b32_e32 v3, 25, v1
	v_lshlrev_b16 v1, 8, v1
	s_delay_alu instid0(VALU_DEP_1) | instskip(SKIP_1) | instid1(VALU_DEP_2)
	v_and_or_b32 v7, 0x7f00, v1, 0.5
	v_bfe_i32 v1, v1, 0, 16
	v_add_f32_e32 v7, -0.5, v7
	v_lshrrev_b32_e32 v5, 4, v3
	v_cmp_gt_u32_e32 vcc_lo, 0x8000000, v3
	s_delay_alu instid0(VALU_DEP_2) | instskip(NEXT) | instid1(VALU_DEP_1)
	v_or_b32_e32 v5, 0x70000000, v5
	v_mul_f32_e32 v5, 0x7800000, v5
	s_delay_alu instid0(VALU_DEP_1) | instskip(NEXT) | instid1(VALU_DEP_1)
	v_cndmask_b32_e32 v3, v5, v7, vcc_lo
	v_and_or_b32 v1, 0x80000000, v1, v3
	s_delay_alu instid0(VALU_DEP_1)
	v_cvt_i32_f32_e32 v12, v1
.LBB79_1324:
	s_mov_b32 s2, 0
	s_mov_b32 s10, -1
.LBB79_1325:
	s_and_not1_b32 vcc_lo, exec_lo, s2
	s_mov_b32 s2, 0
	s_cbranch_vccnz .LBB79_1336
; %bb.1326:
	s_cmp_gt_i32 s0, 14
	s_cbranch_scc0 .LBB79_1329
; %bb.1327:
	s_cmp_eq_u32 s0, 15
	s_cbranch_scc0 .LBB79_1332
; %bb.1328:
	global_load_u16 v1, v[16:17], off
	s_mov_b32 s1, 0
	s_mov_b32 s10, -1
	s_wait_loadcnt 0x0
	v_lshlrev_b32_e32 v1, 16, v1
	s_delay_alu instid0(VALU_DEP_1)
	v_cvt_i32_f32_e32 v12, v1
	s_branch .LBB79_1334
.LBB79_1329:
	s_mov_b32 s2, -1
	s_branch .LBB79_1333
.LBB79_1330:
	s_and_not1_saveexec_b32 s2, s2
	s_cbranch_execz .LBB79_1311
.LBB79_1331:
	v_cmp_ne_u16_e32 vcc_lo, 0, v1
	s_and_not1_b32 s10, s10, exec_lo
	s_and_b32 s11, vcc_lo, exec_lo
	s_delay_alu instid0(SALU_CYCLE_1)
	s_or_b32 s10, s10, s11
	s_or_b32 exec_lo, exec_lo, s2
	v_mov_b32_e32 v12, 0
	s_and_saveexec_b32 s2, s10
	s_cbranch_execnz .LBB79_1312
	s_branch .LBB79_1313
.LBB79_1332:
	s_mov_b32 s1, -1
.LBB79_1333:
                                        ; implicit-def: $vgpr12
.LBB79_1334:
	s_and_b32 vcc_lo, exec_lo, s2
	s_mov_b32 s2, 0
	s_cbranch_vccz .LBB79_1336
; %bb.1335:
	s_cmp_lg_u32 s0, 11
	s_mov_b32 s2, -1
	s_cselect_b32 s1, -1, 0
.LBB79_1336:
	s_delay_alu instid0(SALU_CYCLE_1)
	s_and_b32 vcc_lo, exec_lo, s1
	s_cbranch_vccnz .LBB79_1399
; %bb.1337:
	s_and_not1_b32 vcc_lo, exec_lo, s2
	s_cbranch_vccnz .LBB79_1339
.LBB79_1338:
	global_load_u8 v1, v[16:17], off
	s_mov_b32 s10, -1
	s_wait_loadcnt 0x0
	v_cmp_ne_u16_e32 vcc_lo, 0, v1
	v_cndmask_b32_e64 v12, 0, 1, vcc_lo
.LBB79_1339:
	s_branch .LBB79_1269
.LBB79_1340:
	s_cmp_lt_i32 s0, 5
	s_cbranch_scc1 .LBB79_1345
; %bb.1341:
	s_cmp_lt_i32 s0, 8
	s_cbranch_scc1 .LBB79_1346
; %bb.1342:
	;; [unrolled: 3-line block ×3, first 2 shown]
	s_cmp_gt_i32 s0, 9
	s_cbranch_scc0 .LBB79_1348
; %bb.1344:
	s_wait_loadcnt 0x0
	global_load_b64 v[12:13], v[16:17], off
	s_mov_b32 s1, 0
	s_wait_loadcnt 0x0
	v_cvt_i32_f64_e32 v12, v[12:13]
	s_branch .LBB79_1349
.LBB79_1345:
                                        ; implicit-def: $vgpr12
	s_branch .LBB79_1367
.LBB79_1346:
	s_mov_b32 s1, -1
                                        ; implicit-def: $vgpr12
	s_branch .LBB79_1355
.LBB79_1347:
	s_mov_b32 s1, -1
                                        ; implicit-def: $vgpr12
	s_branch .LBB79_1352
.LBB79_1348:
	s_mov_b32 s1, -1
                                        ; implicit-def: $vgpr12
.LBB79_1349:
	s_delay_alu instid0(SALU_CYCLE_1)
	s_and_not1_b32 vcc_lo, exec_lo, s1
	s_cbranch_vccnz .LBB79_1351
; %bb.1350:
	global_load_b32 v1, v[16:17], off
	s_wait_loadcnt 0x0
	v_cvt_i32_f32_e32 v12, v1
.LBB79_1351:
	s_mov_b32 s1, 0
.LBB79_1352:
	s_delay_alu instid0(SALU_CYCLE_1)
	s_and_not1_b32 vcc_lo, exec_lo, s1
	s_cbranch_vccnz .LBB79_1354
; %bb.1353:
	global_load_b32 v1, v[16:17], off
	s_wait_loadcnt 0x0
	v_cvt_i16_f16_e32 v12, v1
.LBB79_1354:
	s_mov_b32 s1, 0
.LBB79_1355:
	s_delay_alu instid0(SALU_CYCLE_1)
	s_and_not1_b32 vcc_lo, exec_lo, s1
	s_cbranch_vccnz .LBB79_1366
; %bb.1356:
	s_cmp_lt_i32 s0, 6
	s_cbranch_scc1 .LBB79_1359
; %bb.1357:
	s_cmp_gt_i32 s0, 6
	s_cbranch_scc0 .LBB79_1360
; %bb.1358:
	s_wait_loadcnt 0x0
	global_load_b64 v[12:13], v[16:17], off
	s_mov_b32 s1, 0
	s_wait_loadcnt 0x0
	v_cvt_i32_f64_e32 v12, v[12:13]
	s_branch .LBB79_1361
.LBB79_1359:
	s_mov_b32 s1, -1
                                        ; implicit-def: $vgpr12
	s_branch .LBB79_1364
.LBB79_1360:
	s_mov_b32 s1, -1
                                        ; implicit-def: $vgpr12
.LBB79_1361:
	s_delay_alu instid0(SALU_CYCLE_1)
	s_and_not1_b32 vcc_lo, exec_lo, s1
	s_cbranch_vccnz .LBB79_1363
; %bb.1362:
	global_load_b32 v1, v[16:17], off
	s_wait_loadcnt 0x0
	v_cvt_i32_f32_e32 v12, v1
.LBB79_1363:
	s_mov_b32 s1, 0
.LBB79_1364:
	s_delay_alu instid0(SALU_CYCLE_1)
	s_and_not1_b32 vcc_lo, exec_lo, s1
	s_cbranch_vccnz .LBB79_1366
; %bb.1365:
	global_load_u16 v1, v[16:17], off
	s_wait_loadcnt 0x0
	v_cvt_i16_f16_e32 v12, v1
.LBB79_1366:
	s_cbranch_execnz .LBB79_1386
.LBB79_1367:
	s_cmp_lt_i32 s0, 2
	s_cbranch_scc1 .LBB79_1371
; %bb.1368:
	s_cmp_lt_i32 s0, 3
	s_cbranch_scc1 .LBB79_1372
; %bb.1369:
	s_cmp_gt_i32 s0, 3
	s_cbranch_scc0 .LBB79_1373
; %bb.1370:
	s_wait_loadcnt 0x0
	global_load_b64 v[12:13], v[16:17], off
	s_mov_b32 s1, 0
	s_branch .LBB79_1374
.LBB79_1371:
	s_mov_b32 s1, -1
                                        ; implicit-def: $vgpr12
	s_branch .LBB79_1380
.LBB79_1372:
	s_mov_b32 s1, -1
                                        ; implicit-def: $vgpr12
	s_branch .LBB79_1377
.LBB79_1373:
	s_mov_b32 s1, -1
                                        ; implicit-def: $vgpr12
.LBB79_1374:
	s_delay_alu instid0(SALU_CYCLE_1)
	s_and_not1_b32 vcc_lo, exec_lo, s1
	s_cbranch_vccnz .LBB79_1376
; %bb.1375:
	s_wait_loadcnt 0x0
	global_load_b32 v12, v[16:17], off
.LBB79_1376:
	s_mov_b32 s1, 0
.LBB79_1377:
	s_delay_alu instid0(SALU_CYCLE_1)
	s_and_not1_b32 vcc_lo, exec_lo, s1
	s_cbranch_vccnz .LBB79_1379
; %bb.1378:
	s_wait_loadcnt 0x0
	global_load_u16 v12, v[16:17], off
.LBB79_1379:
	s_mov_b32 s1, 0
.LBB79_1380:
	s_delay_alu instid0(SALU_CYCLE_1)
	s_and_not1_b32 vcc_lo, exec_lo, s1
	s_cbranch_vccnz .LBB79_1386
; %bb.1381:
	s_cmp_gt_i32 s0, 0
	s_mov_b32 s1, 0
	s_cbranch_scc0 .LBB79_1383
; %bb.1382:
	s_wait_loadcnt 0x0
	global_load_i8 v12, v[16:17], off
	s_branch .LBB79_1384
.LBB79_1383:
	s_mov_b32 s1, -1
                                        ; implicit-def: $vgpr12
.LBB79_1384:
	s_delay_alu instid0(SALU_CYCLE_1)
	s_and_not1_b32 vcc_lo, exec_lo, s1
	s_cbranch_vccnz .LBB79_1386
; %bb.1385:
	s_wait_loadcnt 0x0
	global_load_u8 v12, v[16:17], off
.LBB79_1386:
.LBB79_1387:
	v_mov_b32_e32 v11, 0
	s_cmp_lt_i32 s0, 11
	s_wait_xcnt 0x0
	s_delay_alu instid0(VALU_DEP_1)
	v_add_nc_u64_e32 v[16:17], s[6:7], v[10:11]
	s_cbranch_scc1 .LBB79_1394
; %bb.1388:
	s_cmp_gt_i32 s0, 25
	s_mov_b32 s2, 0
	s_cbranch_scc0 .LBB79_1396
; %bb.1389:
	s_cmp_gt_i32 s0, 28
	s_cbranch_scc0 .LBB79_1397
; %bb.1390:
	s_cmp_gt_i32 s0, 43
	;; [unrolled: 3-line block ×3, first 2 shown]
	s_cbranch_scc0 .LBB79_1400
; %bb.1392:
	s_cmp_eq_u32 s0, 46
	s_mov_b32 s11, 0
	s_cbranch_scc0 .LBB79_1401
; %bb.1393:
	global_load_b32 v1, v[16:17], off
	s_mov_b32 s1, 0
	s_mov_b32 s10, -1
	s_wait_loadcnt 0x0
	v_lshlrev_b32_e32 v1, 16, v1
	s_delay_alu instid0(VALU_DEP_1)
	v_cvt_i32_f32_e32 v10, v1
	s_branch .LBB79_1403
.LBB79_1394:
	s_mov_b32 s10, 0
                                        ; implicit-def: $vgpr10
	s_cbranch_execnz .LBB79_1465
.LBB79_1395:
	s_and_not1_b32 vcc_lo, exec_lo, s10
	s_cbranch_vccnz .LBB79_2072
	s_branch .LBB79_1513
.LBB79_1396:
	s_mov_b32 s11, -1
	s_mov_b32 s10, 0
	s_mov_b32 s1, 0
                                        ; implicit-def: $vgpr10
	s_branch .LBB79_1430
.LBB79_1397:
	s_mov_b32 s11, -1
	s_mov_b32 s10, 0
	s_mov_b32 s1, 0
                                        ; implicit-def: $vgpr10
	s_branch .LBB79_1413
.LBB79_1398:
	s_mov_b32 s11, -1
	s_mov_b32 s10, 0
	s_mov_b32 s1, 0
                                        ; implicit-def: $vgpr10
	s_branch .LBB79_1408
.LBB79_1399:
	s_or_b32 s3, s3, exec_lo
	s_trap 2
	s_cbranch_execz .LBB79_1338
	s_branch .LBB79_1339
.LBB79_1400:
	s_mov_b32 s11, -1
	s_mov_b32 s10, 0
	s_mov_b32 s1, 0
	s_branch .LBB79_1402
.LBB79_1401:
	s_mov_b32 s1, -1
	s_mov_b32 s10, 0
.LBB79_1402:
                                        ; implicit-def: $vgpr10
.LBB79_1403:
	s_and_b32 vcc_lo, exec_lo, s11
	s_cbranch_vccz .LBB79_1407
; %bb.1404:
	s_cmp_eq_u32 s0, 44
	s_cbranch_scc0 .LBB79_1406
; %bb.1405:
	global_load_u8 v1, v[16:17], off
	s_mov_b32 s1, 0
	s_mov_b32 s10, -1
	s_wait_loadcnt 0x0
	v_lshlrev_b32_e32 v3, 23, v1
	v_cmp_ne_u32_e32 vcc_lo, 0, v1
	s_delay_alu instid0(VALU_DEP_2) | instskip(NEXT) | instid1(VALU_DEP_1)
	v_cvt_i32_f32_e32 v3, v3
	v_cndmask_b32_e32 v10, 0, v3, vcc_lo
	s_branch .LBB79_1407
.LBB79_1406:
	s_mov_b32 s1, -1
                                        ; implicit-def: $vgpr10
.LBB79_1407:
	s_mov_b32 s11, 0
.LBB79_1408:
	s_delay_alu instid0(SALU_CYCLE_1)
	s_and_b32 vcc_lo, exec_lo, s11
	s_cbranch_vccz .LBB79_1412
; %bb.1409:
	s_cmp_eq_u32 s0, 29
	s_cbranch_scc0 .LBB79_1411
; %bb.1410:
	global_load_b64 v[10:11], v[16:17], off
	s_mov_b32 s1, 0
	s_mov_b32 s10, -1
	s_branch .LBB79_1412
.LBB79_1411:
	s_mov_b32 s1, -1
                                        ; implicit-def: $vgpr10
.LBB79_1412:
	s_mov_b32 s11, 0
.LBB79_1413:
	s_delay_alu instid0(SALU_CYCLE_1)
	s_and_b32 vcc_lo, exec_lo, s11
	s_cbranch_vccz .LBB79_1429
; %bb.1414:
	s_cmp_lt_i32 s0, 27
	s_cbranch_scc1 .LBB79_1417
; %bb.1415:
	s_cmp_gt_i32 s0, 27
	s_cbranch_scc0 .LBB79_1418
; %bb.1416:
	s_wait_loadcnt 0x0
	global_load_b32 v10, v[16:17], off
	s_mov_b32 s10, 0
	s_branch .LBB79_1419
.LBB79_1417:
	s_mov_b32 s10, -1
                                        ; implicit-def: $vgpr10
	s_branch .LBB79_1422
.LBB79_1418:
	s_mov_b32 s10, -1
                                        ; implicit-def: $vgpr10
.LBB79_1419:
	s_delay_alu instid0(SALU_CYCLE_1)
	s_and_not1_b32 vcc_lo, exec_lo, s10
	s_cbranch_vccnz .LBB79_1421
; %bb.1420:
	s_wait_loadcnt 0x0
	global_load_u16 v10, v[16:17], off
.LBB79_1421:
	s_mov_b32 s10, 0
.LBB79_1422:
	s_delay_alu instid0(SALU_CYCLE_1)
	s_and_not1_b32 vcc_lo, exec_lo, s10
	s_cbranch_vccnz .LBB79_1428
; %bb.1423:
	global_load_u8 v1, v[16:17], off
	s_mov_b32 s11, 0
	s_mov_b32 s10, exec_lo
	s_wait_loadcnt 0x0
	v_cmpx_lt_i16_e32 0x7f, v1
	s_xor_b32 s10, exec_lo, s10
	s_cbranch_execz .LBB79_1440
; %bb.1424:
	v_cmp_ne_u16_e32 vcc_lo, 0x80, v1
	s_and_b32 s11, vcc_lo, exec_lo
	s_and_not1_saveexec_b32 s10, s10
	s_cbranch_execnz .LBB79_1441
.LBB79_1425:
	s_or_b32 exec_lo, exec_lo, s10
	v_mov_b32_e32 v10, 0
	s_and_saveexec_b32 s10, s11
	s_cbranch_execz .LBB79_1427
.LBB79_1426:
	v_and_b32_e32 v3, 0xffff, v1
	s_delay_alu instid0(VALU_DEP_1) | instskip(SKIP_1) | instid1(VALU_DEP_2)
	v_dual_lshlrev_b32 v1, 24, v1 :: v_dual_bitop2_b32 v5, 7, v3 bitop3:0x40
	v_bfe_u32 v10, v3, 3, 4
	v_and_b32_e32 v1, 0x80000000, v1
	s_delay_alu instid0(VALU_DEP_3) | instskip(NEXT) | instid1(VALU_DEP_3)
	v_clz_i32_u32_e32 v7, v5
	v_cmp_eq_u32_e32 vcc_lo, 0, v10
	s_delay_alu instid0(VALU_DEP_2) | instskip(NEXT) | instid1(VALU_DEP_1)
	v_min_u32_e32 v7, 32, v7
	v_subrev_nc_u32_e32 v9, 28, v7
	v_sub_nc_u32_e32 v7, 29, v7
	s_delay_alu instid0(VALU_DEP_2) | instskip(NEXT) | instid1(VALU_DEP_2)
	v_lshlrev_b32_e32 v3, v9, v3
	v_cndmask_b32_e32 v7, v10, v7, vcc_lo
	s_delay_alu instid0(VALU_DEP_2) | instskip(NEXT) | instid1(VALU_DEP_1)
	v_and_b32_e32 v3, 7, v3
	v_cndmask_b32_e32 v3, v5, v3, vcc_lo
	s_delay_alu instid0(VALU_DEP_3) | instskip(NEXT) | instid1(VALU_DEP_2)
	v_lshl_add_u32 v5, v7, 23, 0x3b800000
	v_lshlrev_b32_e32 v3, 20, v3
	s_delay_alu instid0(VALU_DEP_1) | instskip(NEXT) | instid1(VALU_DEP_1)
	v_or3_b32 v1, v1, v5, v3
	v_cvt_i32_f32_e32 v10, v1
.LBB79_1427:
	s_or_b32 exec_lo, exec_lo, s10
.LBB79_1428:
	s_mov_b32 s10, -1
.LBB79_1429:
	s_mov_b32 s11, 0
.LBB79_1430:
	s_delay_alu instid0(SALU_CYCLE_1)
	s_and_b32 vcc_lo, exec_lo, s11
	s_cbranch_vccz .LBB79_1461
; %bb.1431:
	s_cmp_gt_i32 s0, 22
	s_cbranch_scc0 .LBB79_1439
; %bb.1432:
	s_cmp_lt_i32 s0, 24
	s_cbranch_scc1 .LBB79_1442
; %bb.1433:
	s_cmp_gt_i32 s0, 24
	s_cbranch_scc0 .LBB79_1443
; %bb.1434:
	global_load_u8 v1, v[16:17], off
	s_mov_b32 s10, 0
	s_mov_b32 s2, exec_lo
	s_wait_loadcnt 0x0
	v_cmpx_lt_i16_e32 0x7f, v1
	s_xor_b32 s2, exec_lo, s2
	s_cbranch_execz .LBB79_1455
; %bb.1435:
	v_cmp_ne_u16_e32 vcc_lo, 0x80, v1
	s_and_b32 s10, vcc_lo, exec_lo
	s_and_not1_saveexec_b32 s2, s2
	s_cbranch_execnz .LBB79_1456
.LBB79_1436:
	s_or_b32 exec_lo, exec_lo, s2
	v_mov_b32_e32 v10, 0
	s_and_saveexec_b32 s2, s10
	s_cbranch_execz .LBB79_1438
.LBB79_1437:
	v_and_b32_e32 v3, 0xffff, v1
	s_delay_alu instid0(VALU_DEP_1) | instskip(SKIP_1) | instid1(VALU_DEP_2)
	v_dual_lshlrev_b32 v1, 24, v1 :: v_dual_bitop2_b32 v5, 3, v3 bitop3:0x40
	v_bfe_u32 v10, v3, 2, 5
	v_and_b32_e32 v1, 0x80000000, v1
	s_delay_alu instid0(VALU_DEP_3) | instskip(NEXT) | instid1(VALU_DEP_3)
	v_clz_i32_u32_e32 v7, v5
	v_cmp_eq_u32_e32 vcc_lo, 0, v10
	s_delay_alu instid0(VALU_DEP_2) | instskip(NEXT) | instid1(VALU_DEP_1)
	v_min_u32_e32 v7, 32, v7
	v_subrev_nc_u32_e32 v9, 29, v7
	v_sub_nc_u32_e32 v7, 30, v7
	s_delay_alu instid0(VALU_DEP_2) | instskip(NEXT) | instid1(VALU_DEP_2)
	v_lshlrev_b32_e32 v3, v9, v3
	v_cndmask_b32_e32 v7, v10, v7, vcc_lo
	s_delay_alu instid0(VALU_DEP_2) | instskip(NEXT) | instid1(VALU_DEP_1)
	v_and_b32_e32 v3, 3, v3
	v_cndmask_b32_e32 v3, v5, v3, vcc_lo
	s_delay_alu instid0(VALU_DEP_3) | instskip(NEXT) | instid1(VALU_DEP_2)
	v_lshl_add_u32 v5, v7, 23, 0x37800000
	v_lshlrev_b32_e32 v3, 21, v3
	s_delay_alu instid0(VALU_DEP_1) | instskip(NEXT) | instid1(VALU_DEP_1)
	v_or3_b32 v1, v1, v5, v3
	v_cvt_i32_f32_e32 v10, v1
.LBB79_1438:
	s_or_b32 exec_lo, exec_lo, s2
	s_mov_b32 s2, 0
	s_branch .LBB79_1444
.LBB79_1439:
	s_mov_b32 s2, -1
                                        ; implicit-def: $vgpr10
	s_branch .LBB79_1450
.LBB79_1440:
	s_and_not1_saveexec_b32 s10, s10
	s_cbranch_execz .LBB79_1425
.LBB79_1441:
	v_cmp_ne_u16_e32 vcc_lo, 0, v1
	s_and_not1_b32 s11, s11, exec_lo
	s_and_b32 s12, vcc_lo, exec_lo
	s_delay_alu instid0(SALU_CYCLE_1)
	s_or_b32 s11, s11, s12
	s_or_b32 exec_lo, exec_lo, s10
	v_mov_b32_e32 v10, 0
	s_and_saveexec_b32 s10, s11
	s_cbranch_execnz .LBB79_1426
	s_branch .LBB79_1427
.LBB79_1442:
	s_mov_b32 s2, -1
                                        ; implicit-def: $vgpr10
	s_branch .LBB79_1447
.LBB79_1443:
	s_mov_b32 s2, -1
                                        ; implicit-def: $vgpr10
.LBB79_1444:
	s_delay_alu instid0(SALU_CYCLE_1)
	s_and_b32 vcc_lo, exec_lo, s2
	s_cbranch_vccz .LBB79_1446
; %bb.1445:
	global_load_u8 v1, v[16:17], off
	s_wait_loadcnt 0x0
	v_lshlrev_b32_e32 v1, 24, v1
	s_delay_alu instid0(VALU_DEP_1) | instskip(NEXT) | instid1(VALU_DEP_1)
	v_and_b32_e32 v3, 0x7f000000, v1
	v_clz_i32_u32_e32 v5, v3
	v_add_nc_u32_e32 v9, 0x1000000, v3
	v_cmp_ne_u32_e32 vcc_lo, 0, v3
	s_delay_alu instid0(VALU_DEP_3) | instskip(NEXT) | instid1(VALU_DEP_1)
	v_min_u32_e32 v5, 32, v5
	v_sub_nc_u32_e64 v5, v5, 4 clamp
	s_delay_alu instid0(VALU_DEP_1) | instskip(NEXT) | instid1(VALU_DEP_1)
	v_dual_lshlrev_b32 v7, v5, v3 :: v_dual_lshlrev_b32 v5, 23, v5
	v_lshrrev_b32_e32 v7, 4, v7
	s_delay_alu instid0(VALU_DEP_1) | instskip(SKIP_1) | instid1(VALU_DEP_2)
	v_sub_nc_u32_e32 v5, v7, v5
	v_ashrrev_i32_e32 v7, 8, v9
	v_add_nc_u32_e32 v5, 0x3c000000, v5
	s_delay_alu instid0(VALU_DEP_1) | instskip(NEXT) | instid1(VALU_DEP_1)
	v_and_or_b32 v5, 0x7f800000, v7, v5
	v_cndmask_b32_e32 v3, 0, v5, vcc_lo
	s_delay_alu instid0(VALU_DEP_1) | instskip(NEXT) | instid1(VALU_DEP_1)
	v_and_or_b32 v1, 0x80000000, v1, v3
	v_cvt_i32_f32_e32 v10, v1
.LBB79_1446:
	s_mov_b32 s2, 0
.LBB79_1447:
	s_delay_alu instid0(SALU_CYCLE_1)
	s_and_not1_b32 vcc_lo, exec_lo, s2
	s_cbranch_vccnz .LBB79_1449
; %bb.1448:
	global_load_u8 v1, v[16:17], off
	s_wait_loadcnt 0x0
	v_lshlrev_b32_e32 v3, 25, v1
	v_lshlrev_b16 v1, 8, v1
	s_delay_alu instid0(VALU_DEP_1) | instskip(SKIP_1) | instid1(VALU_DEP_2)
	v_and_or_b32 v7, 0x7f00, v1, 0.5
	v_bfe_i32 v1, v1, 0, 16
	v_add_f32_e32 v7, -0.5, v7
	v_lshrrev_b32_e32 v5, 4, v3
	v_cmp_gt_u32_e32 vcc_lo, 0x8000000, v3
	s_delay_alu instid0(VALU_DEP_2) | instskip(NEXT) | instid1(VALU_DEP_1)
	v_or_b32_e32 v5, 0x70000000, v5
	v_mul_f32_e32 v5, 0x7800000, v5
	s_delay_alu instid0(VALU_DEP_1) | instskip(NEXT) | instid1(VALU_DEP_1)
	v_cndmask_b32_e32 v3, v5, v7, vcc_lo
	v_and_or_b32 v1, 0x80000000, v1, v3
	s_delay_alu instid0(VALU_DEP_1)
	v_cvt_i32_f32_e32 v10, v1
.LBB79_1449:
	s_mov_b32 s2, 0
	s_mov_b32 s10, -1
.LBB79_1450:
	s_and_not1_b32 vcc_lo, exec_lo, s2
	s_mov_b32 s2, 0
	s_cbranch_vccnz .LBB79_1461
; %bb.1451:
	s_cmp_gt_i32 s0, 14
	s_cbranch_scc0 .LBB79_1454
; %bb.1452:
	s_cmp_eq_u32 s0, 15
	s_cbranch_scc0 .LBB79_1457
; %bb.1453:
	global_load_u16 v1, v[16:17], off
	s_mov_b32 s1, 0
	s_mov_b32 s10, -1
	s_wait_loadcnt 0x0
	v_lshlrev_b32_e32 v1, 16, v1
	s_delay_alu instid0(VALU_DEP_1)
	v_cvt_i32_f32_e32 v10, v1
	s_branch .LBB79_1459
.LBB79_1454:
	s_mov_b32 s2, -1
	s_branch .LBB79_1458
.LBB79_1455:
	s_and_not1_saveexec_b32 s2, s2
	s_cbranch_execz .LBB79_1436
.LBB79_1456:
	v_cmp_ne_u16_e32 vcc_lo, 0, v1
	s_and_not1_b32 s10, s10, exec_lo
	s_and_b32 s11, vcc_lo, exec_lo
	s_delay_alu instid0(SALU_CYCLE_1)
	s_or_b32 s10, s10, s11
	s_or_b32 exec_lo, exec_lo, s2
	v_mov_b32_e32 v10, 0
	s_and_saveexec_b32 s2, s10
	s_cbranch_execnz .LBB79_1437
	s_branch .LBB79_1438
.LBB79_1457:
	s_mov_b32 s1, -1
.LBB79_1458:
                                        ; implicit-def: $vgpr10
.LBB79_1459:
	s_and_b32 vcc_lo, exec_lo, s2
	s_mov_b32 s2, 0
	s_cbranch_vccz .LBB79_1461
; %bb.1460:
	s_cmp_lg_u32 s0, 11
	s_mov_b32 s2, -1
	s_cselect_b32 s1, -1, 0
.LBB79_1461:
	s_delay_alu instid0(SALU_CYCLE_1)
	s_and_b32 vcc_lo, exec_lo, s1
	s_cbranch_vccnz .LBB79_1524
; %bb.1462:
	s_and_not1_b32 vcc_lo, exec_lo, s2
	s_cbranch_vccnz .LBB79_1464
.LBB79_1463:
	global_load_u8 v1, v[16:17], off
	s_mov_b32 s10, -1
	s_wait_loadcnt 0x0
	v_cmp_ne_u16_e32 vcc_lo, 0, v1
	v_cndmask_b32_e64 v10, 0, 1, vcc_lo
.LBB79_1464:
	s_branch .LBB79_1395
.LBB79_1465:
	s_cmp_lt_i32 s0, 5
	s_cbranch_scc1 .LBB79_1470
; %bb.1466:
	s_cmp_lt_i32 s0, 8
	s_cbranch_scc1 .LBB79_1471
; %bb.1467:
	;; [unrolled: 3-line block ×3, first 2 shown]
	s_cmp_gt_i32 s0, 9
	s_cbranch_scc0 .LBB79_1473
; %bb.1469:
	s_wait_loadcnt 0x0
	global_load_b64 v[10:11], v[16:17], off
	s_mov_b32 s1, 0
	s_wait_loadcnt 0x0
	v_cvt_i32_f64_e32 v10, v[10:11]
	s_branch .LBB79_1474
.LBB79_1470:
	s_mov_b32 s1, -1
                                        ; implicit-def: $vgpr10
	s_branch .LBB79_1492
.LBB79_1471:
	s_mov_b32 s1, -1
                                        ; implicit-def: $vgpr10
	s_branch .LBB79_1480
.LBB79_1472:
	s_mov_b32 s1, -1
                                        ; implicit-def: $vgpr10
	s_branch .LBB79_1477
.LBB79_1473:
	s_mov_b32 s1, -1
                                        ; implicit-def: $vgpr10
.LBB79_1474:
	s_delay_alu instid0(SALU_CYCLE_1)
	s_and_not1_b32 vcc_lo, exec_lo, s1
	s_cbranch_vccnz .LBB79_1476
; %bb.1475:
	global_load_b32 v1, v[16:17], off
	s_wait_loadcnt 0x0
	v_cvt_i32_f32_e32 v10, v1
.LBB79_1476:
	s_mov_b32 s1, 0
.LBB79_1477:
	s_delay_alu instid0(SALU_CYCLE_1)
	s_and_not1_b32 vcc_lo, exec_lo, s1
	s_cbranch_vccnz .LBB79_1479
; %bb.1478:
	global_load_b32 v1, v[16:17], off
	s_wait_loadcnt 0x0
	v_cvt_i16_f16_e32 v10, v1
.LBB79_1479:
	s_mov_b32 s1, 0
.LBB79_1480:
	s_delay_alu instid0(SALU_CYCLE_1)
	s_and_not1_b32 vcc_lo, exec_lo, s1
	s_cbranch_vccnz .LBB79_1491
; %bb.1481:
	s_cmp_lt_i32 s0, 6
	s_cbranch_scc1 .LBB79_1484
; %bb.1482:
	s_cmp_gt_i32 s0, 6
	s_cbranch_scc0 .LBB79_1485
; %bb.1483:
	s_wait_loadcnt 0x0
	global_load_b64 v[10:11], v[16:17], off
	s_mov_b32 s1, 0
	s_wait_loadcnt 0x0
	v_cvt_i32_f64_e32 v10, v[10:11]
	s_branch .LBB79_1486
.LBB79_1484:
	s_mov_b32 s1, -1
                                        ; implicit-def: $vgpr10
	s_branch .LBB79_1489
.LBB79_1485:
	s_mov_b32 s1, -1
                                        ; implicit-def: $vgpr10
.LBB79_1486:
	s_delay_alu instid0(SALU_CYCLE_1)
	s_and_not1_b32 vcc_lo, exec_lo, s1
	s_cbranch_vccnz .LBB79_1488
; %bb.1487:
	global_load_b32 v1, v[16:17], off
	s_wait_loadcnt 0x0
	v_cvt_i32_f32_e32 v10, v1
.LBB79_1488:
	s_mov_b32 s1, 0
.LBB79_1489:
	s_delay_alu instid0(SALU_CYCLE_1)
	s_and_not1_b32 vcc_lo, exec_lo, s1
	s_cbranch_vccnz .LBB79_1491
; %bb.1490:
	global_load_u16 v1, v[16:17], off
	s_wait_loadcnt 0x0
	v_cvt_i16_f16_e32 v10, v1
.LBB79_1491:
	s_mov_b32 s1, 0
.LBB79_1492:
	s_delay_alu instid0(SALU_CYCLE_1)
	s_and_not1_b32 vcc_lo, exec_lo, s1
	s_cbranch_vccnz .LBB79_1512
; %bb.1493:
	s_cmp_lt_i32 s0, 2
	s_cbranch_scc1 .LBB79_1497
; %bb.1494:
	s_cmp_lt_i32 s0, 3
	s_cbranch_scc1 .LBB79_1498
; %bb.1495:
	s_cmp_gt_i32 s0, 3
	s_cbranch_scc0 .LBB79_1499
; %bb.1496:
	s_wait_loadcnt 0x0
	global_load_b64 v[10:11], v[16:17], off
	s_mov_b32 s1, 0
	s_branch .LBB79_1500
.LBB79_1497:
	s_mov_b32 s1, -1
                                        ; implicit-def: $vgpr10
	s_branch .LBB79_1506
.LBB79_1498:
	s_mov_b32 s1, -1
                                        ; implicit-def: $vgpr10
	s_branch .LBB79_1503
.LBB79_1499:
	s_mov_b32 s1, -1
                                        ; implicit-def: $vgpr10
.LBB79_1500:
	s_delay_alu instid0(SALU_CYCLE_1)
	s_and_not1_b32 vcc_lo, exec_lo, s1
	s_cbranch_vccnz .LBB79_1502
; %bb.1501:
	s_wait_loadcnt 0x0
	global_load_b32 v10, v[16:17], off
.LBB79_1502:
	s_mov_b32 s1, 0
.LBB79_1503:
	s_delay_alu instid0(SALU_CYCLE_1)
	s_and_not1_b32 vcc_lo, exec_lo, s1
	s_cbranch_vccnz .LBB79_1505
; %bb.1504:
	s_wait_loadcnt 0x0
	global_load_u16 v10, v[16:17], off
.LBB79_1505:
	s_mov_b32 s1, 0
.LBB79_1506:
	s_delay_alu instid0(SALU_CYCLE_1)
	s_and_not1_b32 vcc_lo, exec_lo, s1
	s_cbranch_vccnz .LBB79_1512
; %bb.1507:
	s_cmp_gt_i32 s0, 0
	s_mov_b32 s1, 0
	s_cbranch_scc0 .LBB79_1509
; %bb.1508:
	s_wait_loadcnt 0x0
	global_load_i8 v10, v[16:17], off
	s_branch .LBB79_1510
.LBB79_1509:
	s_mov_b32 s1, -1
                                        ; implicit-def: $vgpr10
.LBB79_1510:
	s_delay_alu instid0(SALU_CYCLE_1)
	s_and_not1_b32 vcc_lo, exec_lo, s1
	s_cbranch_vccnz .LBB79_1512
; %bb.1511:
	s_wait_loadcnt 0x0
	global_load_u8 v10, v[16:17], off
.LBB79_1512:
.LBB79_1513:
	v_mov_b32_e32 v9, 0
	s_cmp_lt_i32 s0, 11
	s_wait_xcnt 0x0
	s_delay_alu instid0(VALU_DEP_1)
	v_add_nc_u64_e32 v[16:17], s[6:7], v[8:9]
	s_cbranch_scc1 .LBB79_1520
; %bb.1514:
	s_cmp_gt_i32 s0, 25
	s_mov_b32 s2, 0
	s_cbranch_scc0 .LBB79_1521
; %bb.1515:
	s_cmp_gt_i32 s0, 28
	s_cbranch_scc0 .LBB79_1522
; %bb.1516:
	s_cmp_gt_i32 s0, 43
	;; [unrolled: 3-line block ×3, first 2 shown]
	s_cbranch_scc0 .LBB79_1525
; %bb.1518:
	s_cmp_eq_u32 s0, 46
	s_mov_b32 s7, 0
	s_cbranch_scc0 .LBB79_1526
; %bb.1519:
	global_load_b32 v1, v[16:17], off
	s_mov_b32 s1, 0
	s_mov_b32 s6, -1
	s_wait_loadcnt 0x0
	v_lshlrev_b32_e32 v1, 16, v1
	s_delay_alu instid0(VALU_DEP_1)
	v_cvt_i32_f32_e32 v8, v1
	s_branch .LBB79_1528
.LBB79_1520:
	s_mov_b32 s1, -1
	s_mov_b32 s6, 0
                                        ; implicit-def: $vgpr8
	s_branch .LBB79_1590
.LBB79_1521:
	s_mov_b32 s7, -1
	s_mov_b32 s6, 0
	s_mov_b32 s1, 0
                                        ; implicit-def: $vgpr8
	s_branch .LBB79_1555
.LBB79_1522:
	s_mov_b32 s7, -1
	s_mov_b32 s6, 0
	s_mov_b32 s1, 0
                                        ; implicit-def: $vgpr8
	s_branch .LBB79_1538
.LBB79_1523:
	s_mov_b32 s7, -1
	s_mov_b32 s6, 0
	s_mov_b32 s1, 0
                                        ; implicit-def: $vgpr8
	s_branch .LBB79_1533
.LBB79_1524:
	s_or_b32 s3, s3, exec_lo
	s_trap 2
	s_cbranch_execz .LBB79_1463
	s_branch .LBB79_1464
.LBB79_1525:
	s_mov_b32 s7, -1
	s_mov_b32 s6, 0
	s_mov_b32 s1, 0
	s_branch .LBB79_1527
.LBB79_1526:
	s_mov_b32 s1, -1
	s_mov_b32 s6, 0
.LBB79_1527:
                                        ; implicit-def: $vgpr8
.LBB79_1528:
	s_and_b32 vcc_lo, exec_lo, s7
	s_cbranch_vccz .LBB79_1532
; %bb.1529:
	s_cmp_eq_u32 s0, 44
	s_cbranch_scc0 .LBB79_1531
; %bb.1530:
	global_load_u8 v1, v[16:17], off
	s_mov_b32 s1, 0
	s_mov_b32 s6, -1
	s_wait_loadcnt 0x0
	v_lshlrev_b32_e32 v3, 23, v1
	v_cmp_ne_u32_e32 vcc_lo, 0, v1
	s_delay_alu instid0(VALU_DEP_2) | instskip(NEXT) | instid1(VALU_DEP_1)
	v_cvt_i32_f32_e32 v3, v3
	v_cndmask_b32_e32 v8, 0, v3, vcc_lo
	s_branch .LBB79_1532
.LBB79_1531:
	s_mov_b32 s1, -1
                                        ; implicit-def: $vgpr8
.LBB79_1532:
	s_mov_b32 s7, 0
.LBB79_1533:
	s_delay_alu instid0(SALU_CYCLE_1)
	s_and_b32 vcc_lo, exec_lo, s7
	s_cbranch_vccz .LBB79_1537
; %bb.1534:
	s_cmp_eq_u32 s0, 29
	s_cbranch_scc0 .LBB79_1536
; %bb.1535:
	global_load_b64 v[8:9], v[16:17], off
	s_mov_b32 s1, 0
	s_mov_b32 s6, -1
	s_branch .LBB79_1537
.LBB79_1536:
	s_mov_b32 s1, -1
                                        ; implicit-def: $vgpr8
.LBB79_1537:
	s_mov_b32 s7, 0
.LBB79_1538:
	s_delay_alu instid0(SALU_CYCLE_1)
	s_and_b32 vcc_lo, exec_lo, s7
	s_cbranch_vccz .LBB79_1554
; %bb.1539:
	s_cmp_lt_i32 s0, 27
	s_cbranch_scc1 .LBB79_1542
; %bb.1540:
	s_cmp_gt_i32 s0, 27
	s_cbranch_scc0 .LBB79_1543
; %bb.1541:
	s_wait_loadcnt 0x0
	global_load_b32 v8, v[16:17], off
	s_mov_b32 s6, 0
	s_branch .LBB79_1544
.LBB79_1542:
	s_mov_b32 s6, -1
                                        ; implicit-def: $vgpr8
	s_branch .LBB79_1547
.LBB79_1543:
	s_mov_b32 s6, -1
                                        ; implicit-def: $vgpr8
.LBB79_1544:
	s_delay_alu instid0(SALU_CYCLE_1)
	s_and_not1_b32 vcc_lo, exec_lo, s6
	s_cbranch_vccnz .LBB79_1546
; %bb.1545:
	s_wait_loadcnt 0x0
	global_load_u16 v8, v[16:17], off
.LBB79_1546:
	s_mov_b32 s6, 0
.LBB79_1547:
	s_delay_alu instid0(SALU_CYCLE_1)
	s_and_not1_b32 vcc_lo, exec_lo, s6
	s_cbranch_vccnz .LBB79_1553
; %bb.1548:
	global_load_u8 v1, v[16:17], off
	s_mov_b32 s7, 0
	s_mov_b32 s6, exec_lo
	s_wait_loadcnt 0x0
	v_cmpx_lt_i16_e32 0x7f, v1
	s_xor_b32 s6, exec_lo, s6
	s_cbranch_execz .LBB79_1565
; %bb.1549:
	v_cmp_ne_u16_e32 vcc_lo, 0x80, v1
	s_and_b32 s7, vcc_lo, exec_lo
	s_and_not1_saveexec_b32 s6, s6
	s_cbranch_execnz .LBB79_1566
.LBB79_1550:
	s_or_b32 exec_lo, exec_lo, s6
	v_mov_b32_e32 v8, 0
	s_and_saveexec_b32 s6, s7
	s_cbranch_execz .LBB79_1552
.LBB79_1551:
	v_and_b32_e32 v3, 0xffff, v1
	s_delay_alu instid0(VALU_DEP_1) | instskip(SKIP_1) | instid1(VALU_DEP_2)
	v_dual_lshlrev_b32 v1, 24, v1 :: v_dual_bitop2_b32 v5, 7, v3 bitop3:0x40
	v_bfe_u32 v9, v3, 3, 4
	v_and_b32_e32 v1, 0x80000000, v1
	s_delay_alu instid0(VALU_DEP_3) | instskip(NEXT) | instid1(VALU_DEP_3)
	v_clz_i32_u32_e32 v7, v5
	v_cmp_eq_u32_e32 vcc_lo, 0, v9
	s_delay_alu instid0(VALU_DEP_2) | instskip(NEXT) | instid1(VALU_DEP_1)
	v_min_u32_e32 v7, 32, v7
	v_subrev_nc_u32_e32 v8, 28, v7
	v_sub_nc_u32_e32 v7, 29, v7
	s_delay_alu instid0(VALU_DEP_2) | instskip(NEXT) | instid1(VALU_DEP_2)
	v_lshlrev_b32_e32 v3, v8, v3
	v_cndmask_b32_e32 v7, v9, v7, vcc_lo
	s_delay_alu instid0(VALU_DEP_2) | instskip(NEXT) | instid1(VALU_DEP_1)
	v_and_b32_e32 v3, 7, v3
	v_cndmask_b32_e32 v3, v5, v3, vcc_lo
	s_delay_alu instid0(VALU_DEP_3) | instskip(NEXT) | instid1(VALU_DEP_2)
	v_lshl_add_u32 v5, v7, 23, 0x3b800000
	v_lshlrev_b32_e32 v3, 20, v3
	s_delay_alu instid0(VALU_DEP_1) | instskip(NEXT) | instid1(VALU_DEP_1)
	v_or3_b32 v1, v1, v5, v3
	v_cvt_i32_f32_e32 v8, v1
.LBB79_1552:
	s_or_b32 exec_lo, exec_lo, s6
.LBB79_1553:
	s_mov_b32 s6, -1
.LBB79_1554:
	s_mov_b32 s7, 0
.LBB79_1555:
	s_delay_alu instid0(SALU_CYCLE_1)
	s_and_b32 vcc_lo, exec_lo, s7
	s_cbranch_vccz .LBB79_1586
; %bb.1556:
	s_cmp_gt_i32 s0, 22
	s_cbranch_scc0 .LBB79_1564
; %bb.1557:
	s_cmp_lt_i32 s0, 24
	s_cbranch_scc1 .LBB79_1567
; %bb.1558:
	s_cmp_gt_i32 s0, 24
	s_cbranch_scc0 .LBB79_1568
; %bb.1559:
	global_load_u8 v1, v[16:17], off
	s_mov_b32 s6, 0
	s_mov_b32 s2, exec_lo
	s_wait_loadcnt 0x0
	v_cmpx_lt_i16_e32 0x7f, v1
	s_xor_b32 s2, exec_lo, s2
	s_cbranch_execz .LBB79_1580
; %bb.1560:
	v_cmp_ne_u16_e32 vcc_lo, 0x80, v1
	s_and_b32 s6, vcc_lo, exec_lo
	s_and_not1_saveexec_b32 s2, s2
	s_cbranch_execnz .LBB79_1581
.LBB79_1561:
	s_or_b32 exec_lo, exec_lo, s2
	v_mov_b32_e32 v8, 0
	s_and_saveexec_b32 s2, s6
	s_cbranch_execz .LBB79_1563
.LBB79_1562:
	v_and_b32_e32 v3, 0xffff, v1
	s_delay_alu instid0(VALU_DEP_1) | instskip(SKIP_1) | instid1(VALU_DEP_2)
	v_dual_lshlrev_b32 v1, 24, v1 :: v_dual_bitop2_b32 v5, 3, v3 bitop3:0x40
	v_bfe_u32 v9, v3, 2, 5
	v_and_b32_e32 v1, 0x80000000, v1
	s_delay_alu instid0(VALU_DEP_3) | instskip(NEXT) | instid1(VALU_DEP_3)
	v_clz_i32_u32_e32 v7, v5
	v_cmp_eq_u32_e32 vcc_lo, 0, v9
	s_delay_alu instid0(VALU_DEP_2) | instskip(NEXT) | instid1(VALU_DEP_1)
	v_min_u32_e32 v7, 32, v7
	v_subrev_nc_u32_e32 v8, 29, v7
	v_sub_nc_u32_e32 v7, 30, v7
	s_delay_alu instid0(VALU_DEP_2) | instskip(NEXT) | instid1(VALU_DEP_2)
	v_lshlrev_b32_e32 v3, v8, v3
	v_cndmask_b32_e32 v7, v9, v7, vcc_lo
	s_delay_alu instid0(VALU_DEP_2) | instskip(NEXT) | instid1(VALU_DEP_1)
	v_and_b32_e32 v3, 3, v3
	v_cndmask_b32_e32 v3, v5, v3, vcc_lo
	s_delay_alu instid0(VALU_DEP_3) | instskip(NEXT) | instid1(VALU_DEP_2)
	v_lshl_add_u32 v5, v7, 23, 0x37800000
	v_lshlrev_b32_e32 v3, 21, v3
	s_delay_alu instid0(VALU_DEP_1) | instskip(NEXT) | instid1(VALU_DEP_1)
	v_or3_b32 v1, v1, v5, v3
	v_cvt_i32_f32_e32 v8, v1
.LBB79_1563:
	s_or_b32 exec_lo, exec_lo, s2
	s_mov_b32 s2, 0
	s_branch .LBB79_1569
.LBB79_1564:
	s_mov_b32 s2, -1
                                        ; implicit-def: $vgpr8
	s_branch .LBB79_1575
.LBB79_1565:
	s_and_not1_saveexec_b32 s6, s6
	s_cbranch_execz .LBB79_1550
.LBB79_1566:
	v_cmp_ne_u16_e32 vcc_lo, 0, v1
	s_and_not1_b32 s7, s7, exec_lo
	s_and_b32 s10, vcc_lo, exec_lo
	s_delay_alu instid0(SALU_CYCLE_1)
	s_or_b32 s7, s7, s10
	s_or_b32 exec_lo, exec_lo, s6
	v_mov_b32_e32 v8, 0
	s_and_saveexec_b32 s6, s7
	s_cbranch_execnz .LBB79_1551
	s_branch .LBB79_1552
.LBB79_1567:
	s_mov_b32 s2, -1
                                        ; implicit-def: $vgpr8
	s_branch .LBB79_1572
.LBB79_1568:
	s_mov_b32 s2, -1
                                        ; implicit-def: $vgpr8
.LBB79_1569:
	s_delay_alu instid0(SALU_CYCLE_1)
	s_and_b32 vcc_lo, exec_lo, s2
	s_cbranch_vccz .LBB79_1571
; %bb.1570:
	global_load_u8 v1, v[16:17], off
	s_wait_loadcnt 0x0
	v_lshlrev_b32_e32 v1, 24, v1
	s_delay_alu instid0(VALU_DEP_1) | instskip(NEXT) | instid1(VALU_DEP_1)
	v_and_b32_e32 v3, 0x7f000000, v1
	v_clz_i32_u32_e32 v5, v3
	v_cmp_ne_u32_e32 vcc_lo, 0, v3
	v_add_nc_u32_e32 v8, 0x1000000, v3
	s_delay_alu instid0(VALU_DEP_3) | instskip(NEXT) | instid1(VALU_DEP_1)
	v_min_u32_e32 v5, 32, v5
	v_sub_nc_u32_e64 v5, v5, 4 clamp
	s_delay_alu instid0(VALU_DEP_1) | instskip(NEXT) | instid1(VALU_DEP_1)
	v_dual_lshlrev_b32 v7, v5, v3 :: v_dual_lshlrev_b32 v5, 23, v5
	v_lshrrev_b32_e32 v7, 4, v7
	s_delay_alu instid0(VALU_DEP_1) | instskip(NEXT) | instid1(VALU_DEP_1)
	v_dual_sub_nc_u32 v5, v7, v5 :: v_dual_ashrrev_i32 v7, 8, v8
	v_add_nc_u32_e32 v5, 0x3c000000, v5
	s_delay_alu instid0(VALU_DEP_1) | instskip(NEXT) | instid1(VALU_DEP_1)
	v_and_or_b32 v5, 0x7f800000, v7, v5
	v_cndmask_b32_e32 v3, 0, v5, vcc_lo
	s_delay_alu instid0(VALU_DEP_1) | instskip(NEXT) | instid1(VALU_DEP_1)
	v_and_or_b32 v1, 0x80000000, v1, v3
	v_cvt_i32_f32_e32 v8, v1
.LBB79_1571:
	s_mov_b32 s2, 0
.LBB79_1572:
	s_delay_alu instid0(SALU_CYCLE_1)
	s_and_not1_b32 vcc_lo, exec_lo, s2
	s_cbranch_vccnz .LBB79_1574
; %bb.1573:
	global_load_u8 v1, v[16:17], off
	s_wait_loadcnt 0x0
	v_lshlrev_b32_e32 v3, 25, v1
	v_lshlrev_b16 v1, 8, v1
	s_delay_alu instid0(VALU_DEP_1) | instskip(SKIP_1) | instid1(VALU_DEP_2)
	v_and_or_b32 v7, 0x7f00, v1, 0.5
	v_bfe_i32 v1, v1, 0, 16
	v_add_f32_e32 v7, -0.5, v7
	v_lshrrev_b32_e32 v5, 4, v3
	v_cmp_gt_u32_e32 vcc_lo, 0x8000000, v3
	s_delay_alu instid0(VALU_DEP_2) | instskip(NEXT) | instid1(VALU_DEP_1)
	v_or_b32_e32 v5, 0x70000000, v5
	v_mul_f32_e32 v5, 0x7800000, v5
	s_delay_alu instid0(VALU_DEP_1) | instskip(NEXT) | instid1(VALU_DEP_1)
	v_cndmask_b32_e32 v3, v5, v7, vcc_lo
	v_and_or_b32 v1, 0x80000000, v1, v3
	s_delay_alu instid0(VALU_DEP_1)
	v_cvt_i32_f32_e32 v8, v1
.LBB79_1574:
	s_mov_b32 s2, 0
	s_mov_b32 s6, -1
.LBB79_1575:
	s_and_not1_b32 vcc_lo, exec_lo, s2
	s_mov_b32 s2, 0
	s_cbranch_vccnz .LBB79_1586
; %bb.1576:
	s_cmp_gt_i32 s0, 14
	s_cbranch_scc0 .LBB79_1579
; %bb.1577:
	s_cmp_eq_u32 s0, 15
	s_cbranch_scc0 .LBB79_1582
; %bb.1578:
	global_load_u16 v1, v[16:17], off
	s_mov_b32 s1, 0
	s_mov_b32 s6, -1
	s_wait_loadcnt 0x0
	v_lshlrev_b32_e32 v1, 16, v1
	s_delay_alu instid0(VALU_DEP_1)
	v_cvt_i32_f32_e32 v8, v1
	s_branch .LBB79_1584
.LBB79_1579:
	s_mov_b32 s2, -1
	s_branch .LBB79_1583
.LBB79_1580:
	s_and_not1_saveexec_b32 s2, s2
	s_cbranch_execz .LBB79_1561
.LBB79_1581:
	v_cmp_ne_u16_e32 vcc_lo, 0, v1
	s_and_not1_b32 s6, s6, exec_lo
	s_and_b32 s7, vcc_lo, exec_lo
	s_delay_alu instid0(SALU_CYCLE_1)
	s_or_b32 s6, s6, s7
	s_or_b32 exec_lo, exec_lo, s2
	v_mov_b32_e32 v8, 0
	s_and_saveexec_b32 s2, s6
	s_cbranch_execnz .LBB79_1562
	s_branch .LBB79_1563
.LBB79_1582:
	s_mov_b32 s1, -1
.LBB79_1583:
                                        ; implicit-def: $vgpr8
.LBB79_1584:
	s_and_b32 vcc_lo, exec_lo, s2
	s_mov_b32 s2, 0
	s_cbranch_vccz .LBB79_1586
; %bb.1585:
	s_cmp_lg_u32 s0, 11
	s_mov_b32 s2, -1
	s_cselect_b32 s1, -1, 0
.LBB79_1586:
	s_delay_alu instid0(SALU_CYCLE_1)
	s_and_b32 vcc_lo, exec_lo, s1
	s_cbranch_vccnz .LBB79_2118
; %bb.1587:
	s_and_not1_b32 vcc_lo, exec_lo, s2
	s_cbranch_vccnz .LBB79_1589
.LBB79_1588:
	global_load_u8 v1, v[16:17], off
	s_mov_b32 s6, -1
	s_wait_loadcnt 0x0
	v_cmp_ne_u16_e32 vcc_lo, 0, v1
	v_cndmask_b32_e64 v8, 0, 1, vcc_lo
.LBB79_1589:
	s_mov_b32 s1, 0
.LBB79_1590:
	s_delay_alu instid0(SALU_CYCLE_1)
	s_and_b32 vcc_lo, exec_lo, s1
	s_cbranch_vccz .LBB79_1639
; %bb.1591:
	s_cmp_lt_i32 s0, 5
	s_cbranch_scc1 .LBB79_1596
; %bb.1592:
	s_cmp_lt_i32 s0, 8
	s_cbranch_scc1 .LBB79_1597
	;; [unrolled: 3-line block ×3, first 2 shown]
; %bb.1594:
	s_cmp_gt_i32 s0, 9
	s_cbranch_scc0 .LBB79_1599
; %bb.1595:
	s_wait_loadcnt 0x0
	global_load_b64 v[8:9], v[16:17], off
	s_mov_b32 s1, 0
	s_wait_loadcnt 0x0
	v_cvt_i32_f64_e32 v8, v[8:9]
	s_branch .LBB79_1600
.LBB79_1596:
	s_mov_b32 s1, -1
                                        ; implicit-def: $vgpr8
	s_branch .LBB79_1618
.LBB79_1597:
	s_mov_b32 s1, -1
                                        ; implicit-def: $vgpr8
	s_branch .LBB79_1606
.LBB79_1598:
	s_mov_b32 s1, -1
                                        ; implicit-def: $vgpr8
	s_branch .LBB79_1603
.LBB79_1599:
	s_mov_b32 s1, -1
                                        ; implicit-def: $vgpr8
.LBB79_1600:
	s_delay_alu instid0(SALU_CYCLE_1)
	s_and_not1_b32 vcc_lo, exec_lo, s1
	s_cbranch_vccnz .LBB79_1602
; %bb.1601:
	global_load_b32 v1, v[16:17], off
	s_wait_loadcnt 0x0
	v_cvt_i32_f32_e32 v8, v1
.LBB79_1602:
	s_mov_b32 s1, 0
.LBB79_1603:
	s_delay_alu instid0(SALU_CYCLE_1)
	s_and_not1_b32 vcc_lo, exec_lo, s1
	s_cbranch_vccnz .LBB79_1605
; %bb.1604:
	global_load_b32 v1, v[16:17], off
	s_wait_loadcnt 0x0
	v_cvt_i16_f16_e32 v8, v1
.LBB79_1605:
	s_mov_b32 s1, 0
.LBB79_1606:
	s_delay_alu instid0(SALU_CYCLE_1)
	s_and_not1_b32 vcc_lo, exec_lo, s1
	s_cbranch_vccnz .LBB79_1617
; %bb.1607:
	s_cmp_lt_i32 s0, 6
	s_cbranch_scc1 .LBB79_1610
; %bb.1608:
	s_cmp_gt_i32 s0, 6
	s_cbranch_scc0 .LBB79_1611
; %bb.1609:
	s_wait_loadcnt 0x0
	global_load_b64 v[8:9], v[16:17], off
	s_mov_b32 s1, 0
	s_wait_loadcnt 0x0
	v_cvt_i32_f64_e32 v8, v[8:9]
	s_branch .LBB79_1612
.LBB79_1610:
	s_mov_b32 s1, -1
                                        ; implicit-def: $vgpr8
	s_branch .LBB79_1615
.LBB79_1611:
	s_mov_b32 s1, -1
                                        ; implicit-def: $vgpr8
.LBB79_1612:
	s_delay_alu instid0(SALU_CYCLE_1)
	s_and_not1_b32 vcc_lo, exec_lo, s1
	s_cbranch_vccnz .LBB79_1614
; %bb.1613:
	global_load_b32 v1, v[16:17], off
	s_wait_loadcnt 0x0
	v_cvt_i32_f32_e32 v8, v1
.LBB79_1614:
	s_mov_b32 s1, 0
.LBB79_1615:
	s_delay_alu instid0(SALU_CYCLE_1)
	s_and_not1_b32 vcc_lo, exec_lo, s1
	s_cbranch_vccnz .LBB79_1617
; %bb.1616:
	global_load_u16 v1, v[16:17], off
	s_wait_loadcnt 0x0
	v_cvt_i16_f16_e32 v8, v1
.LBB79_1617:
	s_mov_b32 s1, 0
.LBB79_1618:
	s_delay_alu instid0(SALU_CYCLE_1)
	s_and_not1_b32 vcc_lo, exec_lo, s1
	s_cbranch_vccnz .LBB79_1638
; %bb.1619:
	s_cmp_lt_i32 s0, 2
	s_cbranch_scc1 .LBB79_1623
; %bb.1620:
	s_cmp_lt_i32 s0, 3
	s_cbranch_scc1 .LBB79_1624
; %bb.1621:
	s_cmp_gt_i32 s0, 3
	s_cbranch_scc0 .LBB79_1625
; %bb.1622:
	s_wait_loadcnt 0x0
	global_load_b64 v[8:9], v[16:17], off
	s_mov_b32 s1, 0
	s_branch .LBB79_1626
.LBB79_1623:
	s_mov_b32 s1, -1
                                        ; implicit-def: $vgpr8
	s_branch .LBB79_1632
.LBB79_1624:
	s_mov_b32 s1, -1
                                        ; implicit-def: $vgpr8
	s_branch .LBB79_1629
.LBB79_1625:
	s_mov_b32 s1, -1
                                        ; implicit-def: $vgpr8
.LBB79_1626:
	s_delay_alu instid0(SALU_CYCLE_1)
	s_and_not1_b32 vcc_lo, exec_lo, s1
	s_cbranch_vccnz .LBB79_1628
; %bb.1627:
	s_wait_loadcnt 0x0
	global_load_b32 v8, v[16:17], off
.LBB79_1628:
	s_mov_b32 s1, 0
.LBB79_1629:
	s_delay_alu instid0(SALU_CYCLE_1)
	s_and_not1_b32 vcc_lo, exec_lo, s1
	s_cbranch_vccnz .LBB79_1631
; %bb.1630:
	s_wait_loadcnt 0x0
	global_load_u16 v8, v[16:17], off
.LBB79_1631:
	s_mov_b32 s1, 0
.LBB79_1632:
	s_delay_alu instid0(SALU_CYCLE_1)
	s_and_not1_b32 vcc_lo, exec_lo, s1
	s_cbranch_vccnz .LBB79_1638
; %bb.1633:
	s_cmp_gt_i32 s0, 0
	s_mov_b32 s0, 0
	s_cbranch_scc0 .LBB79_1635
; %bb.1634:
	s_wait_loadcnt 0x0
	global_load_i8 v8, v[16:17], off
	s_branch .LBB79_1636
.LBB79_1635:
	s_mov_b32 s0, -1
                                        ; implicit-def: $vgpr8
.LBB79_1636:
	s_delay_alu instid0(SALU_CYCLE_1)
	s_and_not1_b32 vcc_lo, exec_lo, s0
	s_cbranch_vccnz .LBB79_1638
; %bb.1637:
	s_wait_loadcnt 0x0
	global_load_u8 v8, v[16:17], off
.LBB79_1638:
	s_mov_b32 s6, -1
.LBB79_1639:
	s_delay_alu instid0(SALU_CYCLE_1)
	s_and_not1_b32 vcc_lo, exec_lo, s6
	s_cbranch_vccnz .LBB79_2072
; %bb.1640:
	s_load_b96 s[0:2], s[16:17], 0x158
	v_mov_b32_e32 v7, 0
	s_mov_b32 s12, 0
	s_delay_alu instid0(VALU_DEP_1)
	v_add_nc_u64_e32 v[6:7], s[4:5], v[6:7]
	s_wait_loadcnt 0x0
	s_wait_kmcnt 0x0
	v_cmp_ne_u16_e32 vcc_lo, s1, v14
	s_cmp_eq_u32 s0, 0
	s_mov_b32 s0, -1
	s_cselect_b32 s6, -1, 0
	s_and_b32 s2, s2, 0xff
	s_xor_b32 s7, s6, vcc_lo
	s_cmp_lt_i32 s2, 11
	s_cbranch_scc1 .LBB79_1719
; %bb.1641:
	s_and_b32 s10, 0xffff, s2
	s_mov_b32 s13, -1
	s_mov_b32 s11, 0
	s_cmp_gt_i32 s10, 25
	s_mov_b32 s0, 0
	s_cbranch_scc0 .LBB79_1674
; %bb.1642:
	s_cmp_gt_i32 s10, 28
	s_cbranch_scc0 .LBB79_1657
; %bb.1643:
	s_cmp_gt_i32 s10, 43
	s_cbranch_scc0 .LBB79_1653
; %bb.1644:
	s_cmp_gt_i32 s10, 45
	s_cbranch_scc0 .LBB79_1647
; %bb.1645:
	s_mov_b32 s0, -1
	s_mov_b32 s13, 0
	s_cmp_eq_u32 s10, 46
	s_cbranch_scc0 .LBB79_1647
; %bb.1646:
	v_cndmask_b32_e64 v1, 0, 1.0, s7
	s_mov_b32 s0, 0
	s_mov_b32 s12, -1
	s_delay_alu instid0(VALU_DEP_1) | instskip(NEXT) | instid1(VALU_DEP_1)
	v_bfe_u32 v3, v1, 16, 1
	v_add3_u32 v1, v1, v3, 0x7fff
	s_delay_alu instid0(VALU_DEP_1)
	v_lshrrev_b32_e32 v1, 16, v1
	global_store_b32 v[6:7], v1, off
.LBB79_1647:
	s_and_b32 vcc_lo, exec_lo, s13
	s_cbranch_vccz .LBB79_1652
; %bb.1648:
	s_cmp_eq_u32 s10, 44
	s_mov_b32 s0, -1
	s_cbranch_scc0 .LBB79_1652
; %bb.1649:
	v_cndmask_b32_e64 v5, 0, 1.0, s7
	v_mov_b32_e32 v3, 0xff
	s_mov_b32 s12, exec_lo
	s_wait_xcnt 0x0
	s_delay_alu instid0(VALU_DEP_2) | instskip(NEXT) | instid1(VALU_DEP_1)
	v_lshrrev_b32_e32 v1, 23, v5
	v_cmpx_ne_u32_e32 0xff, v1
; %bb.1650:
	v_and_b32_e32 v3, 0x400000, v5
	v_and_or_b32 v5, 0x3fffff, v5, v1
	s_delay_alu instid0(VALU_DEP_2) | instskip(NEXT) | instid1(VALU_DEP_2)
	v_cmp_ne_u32_e32 vcc_lo, 0, v3
	v_cmp_ne_u32_e64 s0, 0, v5
	s_and_b32 s0, vcc_lo, s0
	s_delay_alu instid0(SALU_CYCLE_1) | instskip(NEXT) | instid1(VALU_DEP_1)
	v_cndmask_b32_e64 v3, 0, 1, s0
	v_add_nc_u32_e32 v3, v1, v3
; %bb.1651:
	s_or_b32 exec_lo, exec_lo, s12
	s_mov_b32 s0, 0
	s_mov_b32 s12, -1
	global_store_b8 v[6:7], v3, off
.LBB79_1652:
	s_mov_b32 s13, 0
.LBB79_1653:
	s_delay_alu instid0(SALU_CYCLE_1)
	s_and_b32 vcc_lo, exec_lo, s13
	s_cbranch_vccz .LBB79_1656
; %bb.1654:
	s_cmp_eq_u32 s10, 29
	s_mov_b32 s0, -1
	s_cbranch_scc0 .LBB79_1656
; %bb.1655:
	s_mov_b32 s0, 0
	v_cndmask_b32_e64 v14, 0, 1, s7
	v_mov_b32_e32 v15, s0
	s_mov_b32 s12, -1
	global_store_b64 v[6:7], v[14:15], off
.LBB79_1656:
	s_mov_b32 s13, 0
.LBB79_1657:
	s_delay_alu instid0(SALU_CYCLE_1)
	s_and_b32 vcc_lo, exec_lo, s13
	s_cbranch_vccz .LBB79_1673
; %bb.1658:
	s_cmp_lt_i32 s10, 27
	s_mov_b32 s12, -1
	s_cbranch_scc1 .LBB79_1664
; %bb.1659:
	s_cmp_gt_i32 s10, 27
	s_cbranch_scc0 .LBB79_1661
; %bb.1660:
	s_wait_xcnt 0x0
	v_cndmask_b32_e64 v1, 0, 1, s7
	s_mov_b32 s12, 0
	global_store_b32 v[6:7], v1, off
.LBB79_1661:
	s_and_not1_b32 vcc_lo, exec_lo, s12
	s_cbranch_vccnz .LBB79_1663
; %bb.1662:
	s_wait_xcnt 0x0
	v_cndmask_b32_e64 v1, 0, 1, s7
	global_store_b16 v[6:7], v1, off
.LBB79_1663:
	s_mov_b32 s12, 0
.LBB79_1664:
	s_delay_alu instid0(SALU_CYCLE_1)
	s_and_not1_b32 vcc_lo, exec_lo, s12
	s_cbranch_vccnz .LBB79_1672
; %bb.1665:
	s_wait_xcnt 0x0
	v_cndmask_b32_e64 v3, 0, 1.0, s7
	v_mov_b32_e32 v5, 0x80
	s_mov_b32 s12, exec_lo
	s_delay_alu instid0(VALU_DEP_2)
	v_cmpx_gt_u32_e32 0x43800000, v3
	s_cbranch_execz .LBB79_1671
; %bb.1666:
	s_mov_b32 s13, 0
	s_mov_b32 s14, exec_lo
                                        ; implicit-def: $vgpr1
	v_cmpx_lt_u32_e32 0x3bffffff, v3
	s_xor_b32 s14, exec_lo, s14
	s_cbranch_execz .LBB79_2119
; %bb.1667:
	v_bfe_u32 v1, v3, 20, 1
	s_mov_b32 s13, exec_lo
	s_delay_alu instid0(VALU_DEP_1) | instskip(NEXT) | instid1(VALU_DEP_1)
	v_add3_u32 v1, v3, v1, 0x487ffff
                                        ; implicit-def: $vgpr3
	v_lshrrev_b32_e32 v1, 20, v1
	s_and_not1_saveexec_b32 s14, s14
	s_cbranch_execnz .LBB79_2120
.LBB79_1668:
	s_or_b32 exec_lo, exec_lo, s14
	v_mov_b32_e32 v5, 0
	s_and_saveexec_b32 s14, s13
.LBB79_1669:
	v_mov_b32_e32 v5, v1
.LBB79_1670:
	s_or_b32 exec_lo, exec_lo, s14
.LBB79_1671:
	s_delay_alu instid0(SALU_CYCLE_1)
	s_or_b32 exec_lo, exec_lo, s12
	global_store_b8 v[6:7], v5, off
.LBB79_1672:
	s_mov_b32 s12, -1
.LBB79_1673:
	s_mov_b32 s13, 0
.LBB79_1674:
	s_delay_alu instid0(SALU_CYCLE_1)
	s_and_b32 vcc_lo, exec_lo, s13
	s_cbranch_vccz .LBB79_1714
; %bb.1675:
	s_cmp_gt_i32 s10, 22
	s_mov_b32 s11, -1
	s_cbranch_scc0 .LBB79_1707
; %bb.1676:
	s_cmp_lt_i32 s10, 24
	s_cbranch_scc1 .LBB79_1696
; %bb.1677:
	s_cmp_gt_i32 s10, 24
	s_cbranch_scc0 .LBB79_1685
; %bb.1678:
	s_wait_xcnt 0x0
	v_cndmask_b32_e64 v3, 0, 1.0, s7
	v_mov_b32_e32 v5, 0x80
	s_mov_b32 s11, exec_lo
	s_delay_alu instid0(VALU_DEP_2)
	v_cmpx_gt_u32_e32 0x47800000, v3
	s_cbranch_execz .LBB79_1684
; %bb.1679:
	s_mov_b32 s12, 0
	s_mov_b32 s13, exec_lo
                                        ; implicit-def: $vgpr1
	v_cmpx_lt_u32_e32 0x37ffffff, v3
	s_xor_b32 s13, exec_lo, s13
	s_cbranch_execz .LBB79_2122
; %bb.1680:
	v_bfe_u32 v1, v3, 21, 1
	s_mov_b32 s12, exec_lo
	s_delay_alu instid0(VALU_DEP_1) | instskip(NEXT) | instid1(VALU_DEP_1)
	v_add3_u32 v1, v3, v1, 0x88fffff
                                        ; implicit-def: $vgpr3
	v_lshrrev_b32_e32 v1, 21, v1
	s_and_not1_saveexec_b32 s13, s13
	s_cbranch_execnz .LBB79_2123
.LBB79_1681:
	s_or_b32 exec_lo, exec_lo, s13
	v_mov_b32_e32 v5, 0
	s_and_saveexec_b32 s13, s12
.LBB79_1682:
	v_mov_b32_e32 v5, v1
.LBB79_1683:
	s_or_b32 exec_lo, exec_lo, s13
.LBB79_1684:
	s_delay_alu instid0(SALU_CYCLE_1)
	s_or_b32 exec_lo, exec_lo, s11
	s_mov_b32 s11, 0
	global_store_b8 v[6:7], v5, off
.LBB79_1685:
	s_and_b32 vcc_lo, exec_lo, s11
	s_cbranch_vccz .LBB79_1695
; %bb.1686:
	s_wait_xcnt 0x0
	v_cndmask_b32_e64 v3, 0, 1.0, s7
	s_mov_b32 s11, exec_lo
                                        ; implicit-def: $vgpr1
	s_delay_alu instid0(VALU_DEP_1)
	v_cmpx_gt_u32_e32 0x43f00000, v3
	s_xor_b32 s11, exec_lo, s11
	s_cbranch_execz .LBB79_1692
; %bb.1687:
	s_mov_b32 s12, exec_lo
                                        ; implicit-def: $vgpr1
	v_cmpx_lt_u32_e32 0x3c7fffff, v3
	s_xor_b32 s12, exec_lo, s12
; %bb.1688:
	v_bfe_u32 v1, v3, 20, 1
	s_delay_alu instid0(VALU_DEP_1) | instskip(NEXT) | instid1(VALU_DEP_1)
	v_add3_u32 v1, v3, v1, 0x407ffff
	v_and_b32_e32 v3, 0xff00000, v1
	v_lshrrev_b32_e32 v1, 20, v1
	s_delay_alu instid0(VALU_DEP_2) | instskip(NEXT) | instid1(VALU_DEP_2)
	v_cmp_ne_u32_e32 vcc_lo, 0x7f00000, v3
                                        ; implicit-def: $vgpr3
	v_cndmask_b32_e32 v1, 0x7e, v1, vcc_lo
; %bb.1689:
	s_and_not1_saveexec_b32 s12, s12
; %bb.1690:
	v_add_f32_e32 v1, 0x46800000, v3
; %bb.1691:
	s_or_b32 exec_lo, exec_lo, s12
                                        ; implicit-def: $vgpr3
.LBB79_1692:
	s_and_not1_saveexec_b32 s11, s11
; %bb.1693:
	v_mov_b32_e32 v1, 0x7f
	v_cmp_lt_u32_e32 vcc_lo, 0x7f800000, v3
	s_delay_alu instid0(VALU_DEP_2)
	v_cndmask_b32_e32 v1, 0x7e, v1, vcc_lo
; %bb.1694:
	s_or_b32 exec_lo, exec_lo, s11
	global_store_b8 v[6:7], v1, off
.LBB79_1695:
	s_mov_b32 s11, 0
.LBB79_1696:
	s_delay_alu instid0(SALU_CYCLE_1)
	s_and_not1_b32 vcc_lo, exec_lo, s11
	s_cbranch_vccnz .LBB79_1706
; %bb.1697:
	s_wait_xcnt 0x0
	v_cndmask_b32_e64 v3, 0, 1.0, s7
	s_mov_b32 s11, exec_lo
                                        ; implicit-def: $vgpr1
	s_delay_alu instid0(VALU_DEP_1)
	v_cmpx_gt_u32_e32 0x47800000, v3
	s_xor_b32 s11, exec_lo, s11
	s_cbranch_execz .LBB79_1703
; %bb.1698:
	s_mov_b32 s12, exec_lo
                                        ; implicit-def: $vgpr1
	v_cmpx_lt_u32_e32 0x387fffff, v3
	s_xor_b32 s12, exec_lo, s12
; %bb.1699:
	v_bfe_u32 v1, v3, 21, 1
	s_delay_alu instid0(VALU_DEP_1) | instskip(NEXT) | instid1(VALU_DEP_1)
	v_add3_u32 v1, v3, v1, 0x80fffff
                                        ; implicit-def: $vgpr3
	v_lshrrev_b32_e32 v1, 21, v1
; %bb.1700:
	s_and_not1_saveexec_b32 s12, s12
; %bb.1701:
	v_add_f32_e32 v1, 0x43000000, v3
; %bb.1702:
	s_or_b32 exec_lo, exec_lo, s12
                                        ; implicit-def: $vgpr3
.LBB79_1703:
	s_and_not1_saveexec_b32 s11, s11
; %bb.1704:
	v_mov_b32_e32 v1, 0x7f
	v_cmp_lt_u32_e32 vcc_lo, 0x7f800000, v3
	s_delay_alu instid0(VALU_DEP_2)
	v_cndmask_b32_e32 v1, 0x7c, v1, vcc_lo
; %bb.1705:
	s_or_b32 exec_lo, exec_lo, s11
	global_store_b8 v[6:7], v1, off
.LBB79_1706:
	s_mov_b32 s11, 0
	s_mov_b32 s12, -1
.LBB79_1707:
	s_and_not1_b32 vcc_lo, exec_lo, s11
	s_mov_b32 s11, 0
	s_cbranch_vccnz .LBB79_1714
; %bb.1708:
	s_cmp_gt_i32 s10, 14
	s_mov_b32 s11, -1
	s_cbranch_scc0 .LBB79_1712
; %bb.1709:
	s_cmp_eq_u32 s10, 15
	s_mov_b32 s0, -1
	s_cbranch_scc0 .LBB79_1711
; %bb.1710:
	s_wait_xcnt 0x0
	v_cndmask_b32_e64 v1, 0, 1.0, s7
	s_mov_b32 s0, 0
	s_mov_b32 s12, -1
	s_delay_alu instid0(VALU_DEP_1) | instskip(NEXT) | instid1(VALU_DEP_1)
	v_bfe_u32 v3, v1, 16, 1
	v_add3_u32 v1, v1, v3, 0x7fff
	global_store_d16_hi_b16 v[6:7], v1, off
.LBB79_1711:
	s_mov_b32 s11, 0
.LBB79_1712:
	s_delay_alu instid0(SALU_CYCLE_1)
	s_and_b32 vcc_lo, exec_lo, s11
	s_mov_b32 s11, 0
	s_cbranch_vccz .LBB79_1714
; %bb.1713:
	s_cmp_lg_u32 s10, 11
	s_mov_b32 s11, -1
	s_cselect_b32 s0, -1, 0
.LBB79_1714:
	s_delay_alu instid0(SALU_CYCLE_1)
	s_and_b32 vcc_lo, exec_lo, s0
	s_cbranch_vccnz .LBB79_2121
; %bb.1715:
	s_and_not1_b32 vcc_lo, exec_lo, s11
	s_cbranch_vccnz .LBB79_1717
.LBB79_1716:
	s_wait_xcnt 0x0
	v_cndmask_b32_e64 v1, 0, 1, s7
	s_mov_b32 s12, -1
	global_store_b8 v[6:7], v1, off
.LBB79_1717:
.LBB79_1718:
	s_and_not1_b32 vcc_lo, exec_lo, s12
	s_cbranch_vccnz .LBB79_2072
	s_branch .LBB79_1758
.LBB79_1719:
	s_and_b32 vcc_lo, exec_lo, s0
	s_cbranch_vccz .LBB79_1718
; %bb.1720:
	s_and_b32 s0, 0xffff, s2
	s_mov_b32 s10, -1
	s_cmp_lt_i32 s0, 5
	s_cbranch_scc1 .LBB79_1741
; %bb.1721:
	s_cmp_lt_i32 s0, 8
	s_cbranch_scc1 .LBB79_1731
; %bb.1722:
	s_cmp_lt_i32 s0, 9
	s_cbranch_scc1 .LBB79_1728
; %bb.1723:
	s_cmp_gt_i32 s0, 9
	s_cbranch_scc0 .LBB79_1725
; %bb.1724:
	s_wait_xcnt 0x0
	v_cndmask_b32_e64 v1, 0, 1, s7
	v_mov_b32_e32 v16, 0
	s_mov_b32 s10, 0
	s_delay_alu instid0(VALU_DEP_2) | instskip(NEXT) | instid1(VALU_DEP_2)
	v_cvt_f64_u32_e32 v[14:15], v1
	v_mov_b32_e32 v17, v16
	global_store_b128 v[6:7], v[14:17], off
.LBB79_1725:
	s_and_not1_b32 vcc_lo, exec_lo, s10
	s_cbranch_vccnz .LBB79_1727
; %bb.1726:
	s_wait_xcnt 0x0
	v_cndmask_b32_e64 v14, 0, 1.0, s7
	v_mov_b32_e32 v15, 0
	global_store_b64 v[6:7], v[14:15], off
.LBB79_1727:
	s_mov_b32 s10, 0
.LBB79_1728:
	s_delay_alu instid0(SALU_CYCLE_1)
	s_and_not1_b32 vcc_lo, exec_lo, s10
	s_cbranch_vccnz .LBB79_1730
; %bb.1729:
	s_wait_xcnt 0x0
	v_cndmask_b32_e64 v1, 0, 1.0, s7
	s_delay_alu instid0(VALU_DEP_1) | instskip(NEXT) | instid1(VALU_DEP_1)
	v_cvt_f16_f32_e32 v1, v1
	v_and_b32_e32 v1, 0xffff, v1
	global_store_b32 v[6:7], v1, off
.LBB79_1730:
	s_mov_b32 s10, 0
.LBB79_1731:
	s_delay_alu instid0(SALU_CYCLE_1)
	s_and_not1_b32 vcc_lo, exec_lo, s10
	s_cbranch_vccnz .LBB79_1740
; %bb.1732:
	s_cmp_lt_i32 s0, 6
	s_mov_b32 s10, -1
	s_cbranch_scc1 .LBB79_1738
; %bb.1733:
	s_cmp_gt_i32 s0, 6
	s_cbranch_scc0 .LBB79_1735
; %bb.1734:
	s_wait_xcnt 0x0
	v_cndmask_b32_e64 v1, 0, 1, s7
	s_mov_b32 s10, 0
	s_delay_alu instid0(VALU_DEP_1)
	v_cvt_f64_u32_e32 v[14:15], v1
	global_store_b64 v[6:7], v[14:15], off
.LBB79_1735:
	s_and_not1_b32 vcc_lo, exec_lo, s10
	s_cbranch_vccnz .LBB79_1737
; %bb.1736:
	s_wait_xcnt 0x0
	v_cndmask_b32_e64 v1, 0, 1.0, s7
	global_store_b32 v[6:7], v1, off
.LBB79_1737:
	s_mov_b32 s10, 0
.LBB79_1738:
	s_delay_alu instid0(SALU_CYCLE_1)
	s_and_not1_b32 vcc_lo, exec_lo, s10
	s_cbranch_vccnz .LBB79_1740
; %bb.1739:
	s_wait_xcnt 0x0
	v_cndmask_b32_e64 v1, 0, 1.0, s7
	s_delay_alu instid0(VALU_DEP_1)
	v_cvt_f16_f32_e32 v1, v1
	global_store_b16 v[6:7], v1, off
.LBB79_1740:
	s_mov_b32 s10, 0
.LBB79_1741:
	s_delay_alu instid0(SALU_CYCLE_1)
	s_and_not1_b32 vcc_lo, exec_lo, s10
	s_cbranch_vccnz .LBB79_1757
; %bb.1742:
	s_cmp_lt_i32 s0, 2
	s_mov_b32 s10, -1
	s_cbranch_scc1 .LBB79_1752
; %bb.1743:
	s_cmp_lt_i32 s0, 3
	s_cbranch_scc1 .LBB79_1749
; %bb.1744:
	s_cmp_gt_i32 s0, 3
	s_cbranch_scc0 .LBB79_1746
; %bb.1745:
	s_mov_b32 s10, 0
	s_wait_xcnt 0x0
	v_cndmask_b32_e64 v14, 0, 1, s7
	v_mov_b32_e32 v15, s10
	global_store_b64 v[6:7], v[14:15], off
.LBB79_1746:
	s_and_not1_b32 vcc_lo, exec_lo, s10
	s_cbranch_vccnz .LBB79_1748
; %bb.1747:
	s_wait_xcnt 0x0
	v_cndmask_b32_e64 v1, 0, 1, s7
	global_store_b32 v[6:7], v1, off
.LBB79_1748:
	s_mov_b32 s10, 0
.LBB79_1749:
	s_delay_alu instid0(SALU_CYCLE_1)
	s_and_not1_b32 vcc_lo, exec_lo, s10
	s_cbranch_vccnz .LBB79_1751
; %bb.1750:
	s_wait_xcnt 0x0
	v_cndmask_b32_e64 v1, 0, 1, s7
	global_store_b16 v[6:7], v1, off
.LBB79_1751:
	s_mov_b32 s10, 0
.LBB79_1752:
	s_delay_alu instid0(SALU_CYCLE_1)
	s_and_not1_b32 vcc_lo, exec_lo, s10
	s_cbranch_vccnz .LBB79_1757
; %bb.1753:
	s_wait_xcnt 0x0
	v_cndmask_b32_e64 v1, 0, 1, s7
	s_cmp_gt_i32 s0, 0
	s_mov_b32 s0, -1
	s_cbranch_scc0 .LBB79_1755
; %bb.1754:
	s_mov_b32 s0, 0
	global_store_b8 v[6:7], v1, off
.LBB79_1755:
	s_and_not1_b32 vcc_lo, exec_lo, s0
	s_cbranch_vccnz .LBB79_1757
; %bb.1756:
	global_store_b8 v[6:7], v1, off
.LBB79_1757:
.LBB79_1758:
	s_wait_xcnt 0x0
	v_mov_b32_e32 v5, 0
	v_cmp_ne_u16_e32 vcc_lo, s1, v12
	s_and_b32 s7, 0xffff, s2
	s_delay_alu instid0(VALU_DEP_2)
	v_add_nc_u64_e32 v[4:5], s[4:5], v[4:5]
	s_xor_b32 s10, s6, vcc_lo
	s_cmp_lt_i32 s7, 11
	s_cbranch_scc1 .LBB79_1836
; %bb.1759:
	s_mov_b32 s13, -1
	s_mov_b32 s11, 0
	s_cmp_gt_i32 s7, 25
	s_mov_b32 s12, 0
	s_mov_b32 s0, 0
	s_cbranch_scc0 .LBB79_1792
; %bb.1760:
	s_cmp_gt_i32 s7, 28
	s_cbranch_scc0 .LBB79_1775
; %bb.1761:
	s_cmp_gt_i32 s7, 43
	;; [unrolled: 3-line block ×3, first 2 shown]
	s_cbranch_scc0 .LBB79_1765
; %bb.1763:
	s_mov_b32 s0, -1
	s_mov_b32 s13, 0
	s_cmp_eq_u32 s7, 46
	s_cbranch_scc0 .LBB79_1765
; %bb.1764:
	v_cndmask_b32_e64 v1, 0, 1.0, s10
	s_mov_b32 s0, 0
	s_mov_b32 s12, -1
	s_delay_alu instid0(VALU_DEP_1) | instskip(NEXT) | instid1(VALU_DEP_1)
	v_bfe_u32 v3, v1, 16, 1
	v_add3_u32 v1, v1, v3, 0x7fff
	s_delay_alu instid0(VALU_DEP_1)
	v_lshrrev_b32_e32 v1, 16, v1
	global_store_b32 v[4:5], v1, off
.LBB79_1765:
	s_and_b32 vcc_lo, exec_lo, s13
	s_cbranch_vccz .LBB79_1770
; %bb.1766:
	s_cmp_eq_u32 s7, 44
	s_mov_b32 s0, -1
	s_cbranch_scc0 .LBB79_1770
; %bb.1767:
	v_cndmask_b32_e64 v6, 0, 1.0, s10
	v_mov_b32_e32 v3, 0xff
	s_mov_b32 s12, exec_lo
	s_wait_xcnt 0x0
	s_delay_alu instid0(VALU_DEP_2) | instskip(NEXT) | instid1(VALU_DEP_1)
	v_lshrrev_b32_e32 v1, 23, v6
	v_cmpx_ne_u32_e32 0xff, v1
; %bb.1768:
	v_and_b32_e32 v3, 0x400000, v6
	v_and_or_b32 v6, 0x3fffff, v6, v1
	s_delay_alu instid0(VALU_DEP_2) | instskip(NEXT) | instid1(VALU_DEP_2)
	v_cmp_ne_u32_e32 vcc_lo, 0, v3
	v_cmp_ne_u32_e64 s0, 0, v6
	s_and_b32 s0, vcc_lo, s0
	s_delay_alu instid0(SALU_CYCLE_1) | instskip(NEXT) | instid1(VALU_DEP_1)
	v_cndmask_b32_e64 v3, 0, 1, s0
	v_add_nc_u32_e32 v3, v1, v3
; %bb.1769:
	s_or_b32 exec_lo, exec_lo, s12
	s_mov_b32 s0, 0
	s_mov_b32 s12, -1
	global_store_b8 v[4:5], v3, off
.LBB79_1770:
	s_mov_b32 s13, 0
.LBB79_1771:
	s_delay_alu instid0(SALU_CYCLE_1)
	s_and_b32 vcc_lo, exec_lo, s13
	s_cbranch_vccz .LBB79_1774
; %bb.1772:
	s_cmp_eq_u32 s7, 29
	s_mov_b32 s0, -1
	s_cbranch_scc0 .LBB79_1774
; %bb.1773:
	s_mov_b32 s0, 0
	v_cndmask_b32_e64 v6, 0, 1, s10
	v_mov_b32_e32 v7, s0
	s_mov_b32 s12, -1
	global_store_b64 v[4:5], v[6:7], off
.LBB79_1774:
	s_mov_b32 s13, 0
.LBB79_1775:
	s_delay_alu instid0(SALU_CYCLE_1)
	s_and_b32 vcc_lo, exec_lo, s13
	s_cbranch_vccz .LBB79_1791
; %bb.1776:
	s_cmp_lt_i32 s7, 27
	s_mov_b32 s12, -1
	s_cbranch_scc1 .LBB79_1782
; %bb.1777:
	s_cmp_gt_i32 s7, 27
	s_cbranch_scc0 .LBB79_1779
; %bb.1778:
	s_wait_xcnt 0x0
	v_cndmask_b32_e64 v1, 0, 1, s10
	s_mov_b32 s12, 0
	global_store_b32 v[4:5], v1, off
.LBB79_1779:
	s_and_not1_b32 vcc_lo, exec_lo, s12
	s_cbranch_vccnz .LBB79_1781
; %bb.1780:
	s_wait_xcnt 0x0
	v_cndmask_b32_e64 v1, 0, 1, s10
	global_store_b16 v[4:5], v1, off
.LBB79_1781:
	s_mov_b32 s12, 0
.LBB79_1782:
	s_delay_alu instid0(SALU_CYCLE_1)
	s_and_not1_b32 vcc_lo, exec_lo, s12
	s_cbranch_vccnz .LBB79_1790
; %bb.1783:
	s_wait_xcnt 0x0
	v_cndmask_b32_e64 v3, 0, 1.0, s10
	v_mov_b32_e32 v6, 0x80
	s_mov_b32 s12, exec_lo
	s_delay_alu instid0(VALU_DEP_2)
	v_cmpx_gt_u32_e32 0x43800000, v3
	s_cbranch_execz .LBB79_1789
; %bb.1784:
	s_mov_b32 s13, 0
	s_mov_b32 s14, exec_lo
                                        ; implicit-def: $vgpr1
	v_cmpx_lt_u32_e32 0x3bffffff, v3
	s_xor_b32 s14, exec_lo, s14
	s_cbranch_execz .LBB79_2124
; %bb.1785:
	v_bfe_u32 v1, v3, 20, 1
	s_mov_b32 s13, exec_lo
	s_delay_alu instid0(VALU_DEP_1) | instskip(NEXT) | instid1(VALU_DEP_1)
	v_add3_u32 v1, v3, v1, 0x487ffff
                                        ; implicit-def: $vgpr3
	v_lshrrev_b32_e32 v1, 20, v1
	s_and_not1_saveexec_b32 s14, s14
	s_cbranch_execnz .LBB79_2125
.LBB79_1786:
	s_or_b32 exec_lo, exec_lo, s14
	v_mov_b32_e32 v6, 0
	s_and_saveexec_b32 s14, s13
.LBB79_1787:
	v_mov_b32_e32 v6, v1
.LBB79_1788:
	s_or_b32 exec_lo, exec_lo, s14
.LBB79_1789:
	s_delay_alu instid0(SALU_CYCLE_1)
	s_or_b32 exec_lo, exec_lo, s12
	global_store_b8 v[4:5], v6, off
.LBB79_1790:
	s_mov_b32 s12, -1
.LBB79_1791:
	s_mov_b32 s13, 0
.LBB79_1792:
	s_delay_alu instid0(SALU_CYCLE_1)
	s_and_b32 vcc_lo, exec_lo, s13
	s_cbranch_vccz .LBB79_1832
; %bb.1793:
	s_cmp_gt_i32 s7, 22
	s_mov_b32 s11, -1
	s_cbranch_scc0 .LBB79_1825
; %bb.1794:
	s_cmp_lt_i32 s7, 24
	s_cbranch_scc1 .LBB79_1814
; %bb.1795:
	s_cmp_gt_i32 s7, 24
	s_cbranch_scc0 .LBB79_1803
; %bb.1796:
	s_wait_xcnt 0x0
	v_cndmask_b32_e64 v3, 0, 1.0, s10
	v_mov_b32_e32 v6, 0x80
	s_mov_b32 s11, exec_lo
	s_delay_alu instid0(VALU_DEP_2)
	v_cmpx_gt_u32_e32 0x47800000, v3
	s_cbranch_execz .LBB79_1802
; %bb.1797:
	s_mov_b32 s12, 0
	s_mov_b32 s13, exec_lo
                                        ; implicit-def: $vgpr1
	v_cmpx_lt_u32_e32 0x37ffffff, v3
	s_xor_b32 s13, exec_lo, s13
	s_cbranch_execz .LBB79_2127
; %bb.1798:
	v_bfe_u32 v1, v3, 21, 1
	s_mov_b32 s12, exec_lo
	s_delay_alu instid0(VALU_DEP_1) | instskip(NEXT) | instid1(VALU_DEP_1)
	v_add3_u32 v1, v3, v1, 0x88fffff
                                        ; implicit-def: $vgpr3
	v_lshrrev_b32_e32 v1, 21, v1
	s_and_not1_saveexec_b32 s13, s13
	s_cbranch_execnz .LBB79_2128
.LBB79_1799:
	s_or_b32 exec_lo, exec_lo, s13
	v_mov_b32_e32 v6, 0
	s_and_saveexec_b32 s13, s12
.LBB79_1800:
	v_mov_b32_e32 v6, v1
.LBB79_1801:
	s_or_b32 exec_lo, exec_lo, s13
.LBB79_1802:
	s_delay_alu instid0(SALU_CYCLE_1)
	s_or_b32 exec_lo, exec_lo, s11
	s_mov_b32 s11, 0
	global_store_b8 v[4:5], v6, off
.LBB79_1803:
	s_and_b32 vcc_lo, exec_lo, s11
	s_cbranch_vccz .LBB79_1813
; %bb.1804:
	s_wait_xcnt 0x0
	v_cndmask_b32_e64 v3, 0, 1.0, s10
	s_mov_b32 s11, exec_lo
                                        ; implicit-def: $vgpr1
	s_delay_alu instid0(VALU_DEP_1)
	v_cmpx_gt_u32_e32 0x43f00000, v3
	s_xor_b32 s11, exec_lo, s11
	s_cbranch_execz .LBB79_1810
; %bb.1805:
	s_mov_b32 s12, exec_lo
                                        ; implicit-def: $vgpr1
	v_cmpx_lt_u32_e32 0x3c7fffff, v3
	s_xor_b32 s12, exec_lo, s12
; %bb.1806:
	v_bfe_u32 v1, v3, 20, 1
	s_delay_alu instid0(VALU_DEP_1) | instskip(NEXT) | instid1(VALU_DEP_1)
	v_add3_u32 v1, v3, v1, 0x407ffff
	v_and_b32_e32 v3, 0xff00000, v1
	v_lshrrev_b32_e32 v1, 20, v1
	s_delay_alu instid0(VALU_DEP_2) | instskip(NEXT) | instid1(VALU_DEP_2)
	v_cmp_ne_u32_e32 vcc_lo, 0x7f00000, v3
                                        ; implicit-def: $vgpr3
	v_cndmask_b32_e32 v1, 0x7e, v1, vcc_lo
; %bb.1807:
	s_and_not1_saveexec_b32 s12, s12
; %bb.1808:
	v_add_f32_e32 v1, 0x46800000, v3
; %bb.1809:
	s_or_b32 exec_lo, exec_lo, s12
                                        ; implicit-def: $vgpr3
.LBB79_1810:
	s_and_not1_saveexec_b32 s11, s11
; %bb.1811:
	v_mov_b32_e32 v1, 0x7f
	v_cmp_lt_u32_e32 vcc_lo, 0x7f800000, v3
	s_delay_alu instid0(VALU_DEP_2)
	v_cndmask_b32_e32 v1, 0x7e, v1, vcc_lo
; %bb.1812:
	s_or_b32 exec_lo, exec_lo, s11
	global_store_b8 v[4:5], v1, off
.LBB79_1813:
	s_mov_b32 s11, 0
.LBB79_1814:
	s_delay_alu instid0(SALU_CYCLE_1)
	s_and_not1_b32 vcc_lo, exec_lo, s11
	s_cbranch_vccnz .LBB79_1824
; %bb.1815:
	s_wait_xcnt 0x0
	v_cndmask_b32_e64 v3, 0, 1.0, s10
	s_mov_b32 s11, exec_lo
                                        ; implicit-def: $vgpr1
	s_delay_alu instid0(VALU_DEP_1)
	v_cmpx_gt_u32_e32 0x47800000, v3
	s_xor_b32 s11, exec_lo, s11
	s_cbranch_execz .LBB79_1821
; %bb.1816:
	s_mov_b32 s12, exec_lo
                                        ; implicit-def: $vgpr1
	v_cmpx_lt_u32_e32 0x387fffff, v3
	s_xor_b32 s12, exec_lo, s12
; %bb.1817:
	v_bfe_u32 v1, v3, 21, 1
	s_delay_alu instid0(VALU_DEP_1) | instskip(NEXT) | instid1(VALU_DEP_1)
	v_add3_u32 v1, v3, v1, 0x80fffff
                                        ; implicit-def: $vgpr3
	v_lshrrev_b32_e32 v1, 21, v1
; %bb.1818:
	s_and_not1_saveexec_b32 s12, s12
; %bb.1819:
	v_add_f32_e32 v1, 0x43000000, v3
; %bb.1820:
	s_or_b32 exec_lo, exec_lo, s12
                                        ; implicit-def: $vgpr3
.LBB79_1821:
	s_and_not1_saveexec_b32 s11, s11
; %bb.1822:
	v_mov_b32_e32 v1, 0x7f
	v_cmp_lt_u32_e32 vcc_lo, 0x7f800000, v3
	s_delay_alu instid0(VALU_DEP_2)
	v_cndmask_b32_e32 v1, 0x7c, v1, vcc_lo
; %bb.1823:
	s_or_b32 exec_lo, exec_lo, s11
	global_store_b8 v[4:5], v1, off
.LBB79_1824:
	s_mov_b32 s11, 0
	s_mov_b32 s12, -1
.LBB79_1825:
	s_and_not1_b32 vcc_lo, exec_lo, s11
	s_mov_b32 s11, 0
	s_cbranch_vccnz .LBB79_1832
; %bb.1826:
	s_cmp_gt_i32 s7, 14
	s_mov_b32 s11, -1
	s_cbranch_scc0 .LBB79_1830
; %bb.1827:
	s_cmp_eq_u32 s7, 15
	s_mov_b32 s0, -1
	s_cbranch_scc0 .LBB79_1829
; %bb.1828:
	s_wait_xcnt 0x0
	v_cndmask_b32_e64 v1, 0, 1.0, s10
	s_mov_b32 s0, 0
	s_mov_b32 s12, -1
	s_delay_alu instid0(VALU_DEP_1) | instskip(NEXT) | instid1(VALU_DEP_1)
	v_bfe_u32 v3, v1, 16, 1
	v_add3_u32 v1, v1, v3, 0x7fff
	global_store_d16_hi_b16 v[4:5], v1, off
.LBB79_1829:
	s_mov_b32 s11, 0
.LBB79_1830:
	s_delay_alu instid0(SALU_CYCLE_1)
	s_and_b32 vcc_lo, exec_lo, s11
	s_mov_b32 s11, 0
	s_cbranch_vccz .LBB79_1832
; %bb.1831:
	s_cmp_lg_u32 s7, 11
	s_mov_b32 s11, -1
	s_cselect_b32 s0, -1, 0
.LBB79_1832:
	s_delay_alu instid0(SALU_CYCLE_1)
	s_and_b32 vcc_lo, exec_lo, s0
	s_cbranch_vccnz .LBB79_2126
; %bb.1833:
	s_and_not1_b32 vcc_lo, exec_lo, s11
	s_cbranch_vccnz .LBB79_1835
.LBB79_1834:
	s_wait_xcnt 0x0
	v_cndmask_b32_e64 v1, 0, 1, s10
	s_mov_b32 s12, -1
	global_store_b8 v[4:5], v1, off
.LBB79_1835:
	s_mov_b32 s0, 0
	s_branch .LBB79_1837
.LBB79_1836:
	s_mov_b32 s0, -1
	s_mov_b32 s12, 0
.LBB79_1837:
	s_and_b32 vcc_lo, exec_lo, s0
	s_cbranch_vccz .LBB79_1876
; %bb.1838:
	s_cmp_lt_i32 s7, 5
	s_mov_b32 s0, -1
	s_cbranch_scc1 .LBB79_1859
; %bb.1839:
	s_cmp_lt_i32 s7, 8
	s_cbranch_scc1 .LBB79_1849
; %bb.1840:
	s_cmp_lt_i32 s7, 9
	s_cbranch_scc1 .LBB79_1846
; %bb.1841:
	s_cmp_gt_i32 s7, 9
	s_cbranch_scc0 .LBB79_1843
; %bb.1842:
	s_wait_xcnt 0x0
	v_cndmask_b32_e64 v1, 0, 1, s10
	v_mov_b32_e32 v14, 0
	s_mov_b32 s0, 0
	s_delay_alu instid0(VALU_DEP_2) | instskip(NEXT) | instid1(VALU_DEP_2)
	v_cvt_f64_u32_e32 v[12:13], v1
	v_mov_b32_e32 v15, v14
	global_store_b128 v[4:5], v[12:15], off
.LBB79_1843:
	s_and_not1_b32 vcc_lo, exec_lo, s0
	s_cbranch_vccnz .LBB79_1845
; %bb.1844:
	s_wait_xcnt 0x0
	v_cndmask_b32_e64 v6, 0, 1.0, s10
	v_mov_b32_e32 v7, 0
	global_store_b64 v[4:5], v[6:7], off
.LBB79_1845:
	s_mov_b32 s0, 0
.LBB79_1846:
	s_delay_alu instid0(SALU_CYCLE_1)
	s_and_not1_b32 vcc_lo, exec_lo, s0
	s_cbranch_vccnz .LBB79_1848
; %bb.1847:
	s_wait_xcnt 0x0
	v_cndmask_b32_e64 v1, 0, 1.0, s10
	s_delay_alu instid0(VALU_DEP_1) | instskip(NEXT) | instid1(VALU_DEP_1)
	v_cvt_f16_f32_e32 v1, v1
	v_and_b32_e32 v1, 0xffff, v1
	global_store_b32 v[4:5], v1, off
.LBB79_1848:
	s_mov_b32 s0, 0
.LBB79_1849:
	s_delay_alu instid0(SALU_CYCLE_1)
	s_and_not1_b32 vcc_lo, exec_lo, s0
	s_cbranch_vccnz .LBB79_1858
; %bb.1850:
	s_cmp_lt_i32 s7, 6
	s_mov_b32 s0, -1
	s_cbranch_scc1 .LBB79_1856
; %bb.1851:
	s_cmp_gt_i32 s7, 6
	s_cbranch_scc0 .LBB79_1853
; %bb.1852:
	s_wait_xcnt 0x0
	v_cndmask_b32_e64 v1, 0, 1, s10
	s_mov_b32 s0, 0
	s_delay_alu instid0(VALU_DEP_1)
	v_cvt_f64_u32_e32 v[6:7], v1
	global_store_b64 v[4:5], v[6:7], off
.LBB79_1853:
	s_and_not1_b32 vcc_lo, exec_lo, s0
	s_cbranch_vccnz .LBB79_1855
; %bb.1854:
	s_wait_xcnt 0x0
	v_cndmask_b32_e64 v1, 0, 1.0, s10
	global_store_b32 v[4:5], v1, off
.LBB79_1855:
	s_mov_b32 s0, 0
.LBB79_1856:
	s_delay_alu instid0(SALU_CYCLE_1)
	s_and_not1_b32 vcc_lo, exec_lo, s0
	s_cbranch_vccnz .LBB79_1858
; %bb.1857:
	s_wait_xcnt 0x0
	v_cndmask_b32_e64 v1, 0, 1.0, s10
	s_delay_alu instid0(VALU_DEP_1)
	v_cvt_f16_f32_e32 v1, v1
	global_store_b16 v[4:5], v1, off
.LBB79_1858:
	s_mov_b32 s0, 0
.LBB79_1859:
	s_delay_alu instid0(SALU_CYCLE_1)
	s_and_not1_b32 vcc_lo, exec_lo, s0
	s_cbranch_vccnz .LBB79_1875
; %bb.1860:
	s_cmp_lt_i32 s7, 2
	s_mov_b32 s0, -1
	s_cbranch_scc1 .LBB79_1870
; %bb.1861:
	s_cmp_lt_i32 s7, 3
	s_cbranch_scc1 .LBB79_1867
; %bb.1862:
	s_cmp_gt_i32 s7, 3
	s_cbranch_scc0 .LBB79_1864
; %bb.1863:
	s_mov_b32 s0, 0
	s_wait_xcnt 0x0
	v_cndmask_b32_e64 v6, 0, 1, s10
	v_mov_b32_e32 v7, s0
	global_store_b64 v[4:5], v[6:7], off
.LBB79_1864:
	s_and_not1_b32 vcc_lo, exec_lo, s0
	s_cbranch_vccnz .LBB79_1866
; %bb.1865:
	s_wait_xcnt 0x0
	v_cndmask_b32_e64 v1, 0, 1, s10
	global_store_b32 v[4:5], v1, off
.LBB79_1866:
	s_mov_b32 s0, 0
.LBB79_1867:
	s_delay_alu instid0(SALU_CYCLE_1)
	s_and_not1_b32 vcc_lo, exec_lo, s0
	s_cbranch_vccnz .LBB79_1869
; %bb.1868:
	s_wait_xcnt 0x0
	v_cndmask_b32_e64 v1, 0, 1, s10
	global_store_b16 v[4:5], v1, off
.LBB79_1869:
	s_mov_b32 s0, 0
.LBB79_1870:
	s_delay_alu instid0(SALU_CYCLE_1)
	s_and_not1_b32 vcc_lo, exec_lo, s0
	s_cbranch_vccnz .LBB79_1875
; %bb.1871:
	s_wait_xcnt 0x0
	v_cndmask_b32_e64 v1, 0, 1, s10
	s_cmp_gt_i32 s7, 0
	s_mov_b32 s0, -1
	s_cbranch_scc0 .LBB79_1873
; %bb.1872:
	s_mov_b32 s0, 0
	global_store_b8 v[4:5], v1, off
.LBB79_1873:
	s_and_not1_b32 vcc_lo, exec_lo, s0
	s_cbranch_vccnz .LBB79_1875
; %bb.1874:
	global_store_b8 v[4:5], v1, off
.LBB79_1875:
	s_mov_b32 s12, -1
.LBB79_1876:
	s_delay_alu instid0(SALU_CYCLE_1)
	s_and_not1_b32 vcc_lo, exec_lo, s12
	s_cbranch_vccnz .LBB79_2072
; %bb.1877:
	s_wait_xcnt 0x0
	v_mov_b32_e32 v3, 0
	v_cmp_ne_u16_e32 vcc_lo, s1, v10
	s_delay_alu instid0(VALU_DEP_2)
	v_add_nc_u64_e32 v[2:3], s[4:5], v[2:3]
	s_xor_b32 s10, s6, vcc_lo
	s_cmp_lt_i32 s7, 11
	s_cbranch_scc1 .LBB79_1955
; %bb.1878:
	s_mov_b32 s13, -1
	s_mov_b32 s11, 0
	s_cmp_gt_i32 s7, 25
	s_mov_b32 s12, 0
	s_mov_b32 s0, 0
	s_cbranch_scc0 .LBB79_1911
; %bb.1879:
	s_cmp_gt_i32 s7, 28
	s_cbranch_scc0 .LBB79_1894
; %bb.1880:
	s_cmp_gt_i32 s7, 43
	;; [unrolled: 3-line block ×3, first 2 shown]
	s_cbranch_scc0 .LBB79_1884
; %bb.1882:
	s_mov_b32 s0, -1
	s_mov_b32 s13, 0
	s_cmp_eq_u32 s7, 46
	s_cbranch_scc0 .LBB79_1884
; %bb.1883:
	v_cndmask_b32_e64 v1, 0, 1.0, s10
	s_mov_b32 s0, 0
	s_mov_b32 s12, -1
	s_delay_alu instid0(VALU_DEP_1) | instskip(NEXT) | instid1(VALU_DEP_1)
	v_bfe_u32 v4, v1, 16, 1
	v_add3_u32 v1, v1, v4, 0x7fff
	s_delay_alu instid0(VALU_DEP_1)
	v_lshrrev_b32_e32 v1, 16, v1
	global_store_b32 v[2:3], v1, off
.LBB79_1884:
	s_and_b32 vcc_lo, exec_lo, s13
	s_cbranch_vccz .LBB79_1889
; %bb.1885:
	s_cmp_eq_u32 s7, 44
	s_mov_b32 s0, -1
	s_cbranch_scc0 .LBB79_1889
; %bb.1886:
	v_cndmask_b32_e64 v5, 0, 1.0, s10
	s_mov_b32 s12, exec_lo
	s_wait_xcnt 0x0
	s_delay_alu instid0(VALU_DEP_1) | instskip(NEXT) | instid1(VALU_DEP_1)
	v_dual_mov_b32 v4, 0xff :: v_dual_lshrrev_b32 v1, 23, v5
	v_cmpx_ne_u32_e32 0xff, v1
; %bb.1887:
	v_and_b32_e32 v4, 0x400000, v5
	v_and_or_b32 v5, 0x3fffff, v5, v1
	s_delay_alu instid0(VALU_DEP_2) | instskip(NEXT) | instid1(VALU_DEP_2)
	v_cmp_ne_u32_e32 vcc_lo, 0, v4
	v_cmp_ne_u32_e64 s0, 0, v5
	s_and_b32 s0, vcc_lo, s0
	s_delay_alu instid0(SALU_CYCLE_1) | instskip(NEXT) | instid1(VALU_DEP_1)
	v_cndmask_b32_e64 v4, 0, 1, s0
	v_add_nc_u32_e32 v4, v1, v4
; %bb.1888:
	s_or_b32 exec_lo, exec_lo, s12
	s_mov_b32 s0, 0
	s_mov_b32 s12, -1
	global_store_b8 v[2:3], v4, off
.LBB79_1889:
	s_mov_b32 s13, 0
.LBB79_1890:
	s_delay_alu instid0(SALU_CYCLE_1)
	s_and_b32 vcc_lo, exec_lo, s13
	s_cbranch_vccz .LBB79_1893
; %bb.1891:
	s_cmp_eq_u32 s7, 29
	s_mov_b32 s0, -1
	s_cbranch_scc0 .LBB79_1893
; %bb.1892:
	s_mov_b32 s0, 0
	s_wait_xcnt 0x0
	v_cndmask_b32_e64 v4, 0, 1, s10
	v_mov_b32_e32 v5, s0
	s_mov_b32 s12, -1
	global_store_b64 v[2:3], v[4:5], off
.LBB79_1893:
	s_mov_b32 s13, 0
.LBB79_1894:
	s_delay_alu instid0(SALU_CYCLE_1)
	s_and_b32 vcc_lo, exec_lo, s13
	s_cbranch_vccz .LBB79_1910
; %bb.1895:
	s_cmp_lt_i32 s7, 27
	s_mov_b32 s12, -1
	s_cbranch_scc1 .LBB79_1901
; %bb.1896:
	s_cmp_gt_i32 s7, 27
	s_cbranch_scc0 .LBB79_1898
; %bb.1897:
	s_wait_xcnt 0x0
	v_cndmask_b32_e64 v1, 0, 1, s10
	s_mov_b32 s12, 0
	global_store_b32 v[2:3], v1, off
.LBB79_1898:
	s_and_not1_b32 vcc_lo, exec_lo, s12
	s_cbranch_vccnz .LBB79_1900
; %bb.1899:
	s_wait_xcnt 0x0
	v_cndmask_b32_e64 v1, 0, 1, s10
	global_store_b16 v[2:3], v1, off
.LBB79_1900:
	s_mov_b32 s12, 0
.LBB79_1901:
	s_delay_alu instid0(SALU_CYCLE_1)
	s_and_not1_b32 vcc_lo, exec_lo, s12
	s_cbranch_vccnz .LBB79_1909
; %bb.1902:
	s_wait_xcnt 0x0
	v_cndmask_b32_e64 v4, 0, 1.0, s10
	v_mov_b32_e32 v5, 0x80
	s_mov_b32 s12, exec_lo
	s_delay_alu instid0(VALU_DEP_2)
	v_cmpx_gt_u32_e32 0x43800000, v4
	s_cbranch_execz .LBB79_1908
; %bb.1903:
	s_mov_b32 s13, 0
	s_mov_b32 s14, exec_lo
                                        ; implicit-def: $vgpr1
	v_cmpx_lt_u32_e32 0x3bffffff, v4
	s_xor_b32 s14, exec_lo, s14
	s_cbranch_execz .LBB79_2129
; %bb.1904:
	v_bfe_u32 v1, v4, 20, 1
	s_mov_b32 s13, exec_lo
	s_delay_alu instid0(VALU_DEP_1) | instskip(NEXT) | instid1(VALU_DEP_1)
	v_add3_u32 v1, v4, v1, 0x487ffff
                                        ; implicit-def: $vgpr4
	v_lshrrev_b32_e32 v1, 20, v1
	s_and_not1_saveexec_b32 s14, s14
	s_cbranch_execnz .LBB79_2130
.LBB79_1905:
	s_or_b32 exec_lo, exec_lo, s14
	v_mov_b32_e32 v5, 0
	s_and_saveexec_b32 s14, s13
.LBB79_1906:
	v_mov_b32_e32 v5, v1
.LBB79_1907:
	s_or_b32 exec_lo, exec_lo, s14
.LBB79_1908:
	s_delay_alu instid0(SALU_CYCLE_1)
	s_or_b32 exec_lo, exec_lo, s12
	global_store_b8 v[2:3], v5, off
.LBB79_1909:
	s_mov_b32 s12, -1
.LBB79_1910:
	s_mov_b32 s13, 0
.LBB79_1911:
	s_delay_alu instid0(SALU_CYCLE_1)
	s_and_b32 vcc_lo, exec_lo, s13
	s_cbranch_vccz .LBB79_1951
; %bb.1912:
	s_cmp_gt_i32 s7, 22
	s_mov_b32 s11, -1
	s_cbranch_scc0 .LBB79_1944
; %bb.1913:
	s_cmp_lt_i32 s7, 24
	s_cbranch_scc1 .LBB79_1933
; %bb.1914:
	s_cmp_gt_i32 s7, 24
	s_cbranch_scc0 .LBB79_1922
; %bb.1915:
	s_wait_xcnt 0x0
	v_cndmask_b32_e64 v4, 0, 1.0, s10
	v_mov_b32_e32 v5, 0x80
	s_mov_b32 s11, exec_lo
	s_delay_alu instid0(VALU_DEP_2)
	v_cmpx_gt_u32_e32 0x47800000, v4
	s_cbranch_execz .LBB79_1921
; %bb.1916:
	s_mov_b32 s12, 0
	s_mov_b32 s13, exec_lo
                                        ; implicit-def: $vgpr1
	v_cmpx_lt_u32_e32 0x37ffffff, v4
	s_xor_b32 s13, exec_lo, s13
	s_cbranch_execz .LBB79_2132
; %bb.1917:
	v_bfe_u32 v1, v4, 21, 1
	s_mov_b32 s12, exec_lo
	s_delay_alu instid0(VALU_DEP_1) | instskip(NEXT) | instid1(VALU_DEP_1)
	v_add3_u32 v1, v4, v1, 0x88fffff
                                        ; implicit-def: $vgpr4
	v_lshrrev_b32_e32 v1, 21, v1
	s_and_not1_saveexec_b32 s13, s13
	s_cbranch_execnz .LBB79_2133
.LBB79_1918:
	s_or_b32 exec_lo, exec_lo, s13
	v_mov_b32_e32 v5, 0
	s_and_saveexec_b32 s13, s12
.LBB79_1919:
	v_mov_b32_e32 v5, v1
.LBB79_1920:
	s_or_b32 exec_lo, exec_lo, s13
.LBB79_1921:
	s_delay_alu instid0(SALU_CYCLE_1)
	s_or_b32 exec_lo, exec_lo, s11
	s_mov_b32 s11, 0
	global_store_b8 v[2:3], v5, off
.LBB79_1922:
	s_and_b32 vcc_lo, exec_lo, s11
	s_cbranch_vccz .LBB79_1932
; %bb.1923:
	s_wait_xcnt 0x0
	v_cndmask_b32_e64 v4, 0, 1.0, s10
	s_mov_b32 s11, exec_lo
                                        ; implicit-def: $vgpr1
	s_delay_alu instid0(VALU_DEP_1)
	v_cmpx_gt_u32_e32 0x43f00000, v4
	s_xor_b32 s11, exec_lo, s11
	s_cbranch_execz .LBB79_1929
; %bb.1924:
	s_mov_b32 s12, exec_lo
                                        ; implicit-def: $vgpr1
	v_cmpx_lt_u32_e32 0x3c7fffff, v4
	s_xor_b32 s12, exec_lo, s12
; %bb.1925:
	v_bfe_u32 v1, v4, 20, 1
	s_delay_alu instid0(VALU_DEP_1) | instskip(NEXT) | instid1(VALU_DEP_1)
	v_add3_u32 v1, v4, v1, 0x407ffff
	v_and_b32_e32 v4, 0xff00000, v1
	v_lshrrev_b32_e32 v1, 20, v1
	s_delay_alu instid0(VALU_DEP_2) | instskip(NEXT) | instid1(VALU_DEP_2)
	v_cmp_ne_u32_e32 vcc_lo, 0x7f00000, v4
                                        ; implicit-def: $vgpr4
	v_cndmask_b32_e32 v1, 0x7e, v1, vcc_lo
; %bb.1926:
	s_and_not1_saveexec_b32 s12, s12
; %bb.1927:
	v_add_f32_e32 v1, 0x46800000, v4
; %bb.1928:
	s_or_b32 exec_lo, exec_lo, s12
                                        ; implicit-def: $vgpr4
.LBB79_1929:
	s_and_not1_saveexec_b32 s11, s11
; %bb.1930:
	v_mov_b32_e32 v1, 0x7f
	v_cmp_lt_u32_e32 vcc_lo, 0x7f800000, v4
	s_delay_alu instid0(VALU_DEP_2)
	v_cndmask_b32_e32 v1, 0x7e, v1, vcc_lo
; %bb.1931:
	s_or_b32 exec_lo, exec_lo, s11
	global_store_b8 v[2:3], v1, off
.LBB79_1932:
	s_mov_b32 s11, 0
.LBB79_1933:
	s_delay_alu instid0(SALU_CYCLE_1)
	s_and_not1_b32 vcc_lo, exec_lo, s11
	s_cbranch_vccnz .LBB79_1943
; %bb.1934:
	s_wait_xcnt 0x0
	v_cndmask_b32_e64 v4, 0, 1.0, s10
	s_mov_b32 s11, exec_lo
                                        ; implicit-def: $vgpr1
	s_delay_alu instid0(VALU_DEP_1)
	v_cmpx_gt_u32_e32 0x47800000, v4
	s_xor_b32 s11, exec_lo, s11
	s_cbranch_execz .LBB79_1940
; %bb.1935:
	s_mov_b32 s12, exec_lo
                                        ; implicit-def: $vgpr1
	v_cmpx_lt_u32_e32 0x387fffff, v4
	s_xor_b32 s12, exec_lo, s12
; %bb.1936:
	v_bfe_u32 v1, v4, 21, 1
	s_delay_alu instid0(VALU_DEP_1) | instskip(NEXT) | instid1(VALU_DEP_1)
	v_add3_u32 v1, v4, v1, 0x80fffff
                                        ; implicit-def: $vgpr4
	v_lshrrev_b32_e32 v1, 21, v1
; %bb.1937:
	s_and_not1_saveexec_b32 s12, s12
; %bb.1938:
	v_add_f32_e32 v1, 0x43000000, v4
; %bb.1939:
	s_or_b32 exec_lo, exec_lo, s12
                                        ; implicit-def: $vgpr4
.LBB79_1940:
	s_and_not1_saveexec_b32 s11, s11
; %bb.1941:
	v_mov_b32_e32 v1, 0x7f
	v_cmp_lt_u32_e32 vcc_lo, 0x7f800000, v4
	s_delay_alu instid0(VALU_DEP_2)
	v_cndmask_b32_e32 v1, 0x7c, v1, vcc_lo
; %bb.1942:
	s_or_b32 exec_lo, exec_lo, s11
	global_store_b8 v[2:3], v1, off
.LBB79_1943:
	s_mov_b32 s11, 0
	s_mov_b32 s12, -1
.LBB79_1944:
	s_and_not1_b32 vcc_lo, exec_lo, s11
	s_mov_b32 s11, 0
	s_cbranch_vccnz .LBB79_1951
; %bb.1945:
	s_cmp_gt_i32 s7, 14
	s_mov_b32 s11, -1
	s_cbranch_scc0 .LBB79_1949
; %bb.1946:
	s_cmp_eq_u32 s7, 15
	s_mov_b32 s0, -1
	s_cbranch_scc0 .LBB79_1948
; %bb.1947:
	s_wait_xcnt 0x0
	v_cndmask_b32_e64 v1, 0, 1.0, s10
	s_mov_b32 s0, 0
	s_mov_b32 s12, -1
	s_delay_alu instid0(VALU_DEP_1) | instskip(NEXT) | instid1(VALU_DEP_1)
	v_bfe_u32 v4, v1, 16, 1
	v_add3_u32 v1, v1, v4, 0x7fff
	global_store_d16_hi_b16 v[2:3], v1, off
.LBB79_1948:
	s_mov_b32 s11, 0
.LBB79_1949:
	s_delay_alu instid0(SALU_CYCLE_1)
	s_and_b32 vcc_lo, exec_lo, s11
	s_mov_b32 s11, 0
	s_cbranch_vccz .LBB79_1951
; %bb.1950:
	s_cmp_lg_u32 s7, 11
	s_mov_b32 s11, -1
	s_cselect_b32 s0, -1, 0
.LBB79_1951:
	s_delay_alu instid0(SALU_CYCLE_1)
	s_and_b32 vcc_lo, exec_lo, s0
	s_cbranch_vccnz .LBB79_2131
; %bb.1952:
	s_and_not1_b32 vcc_lo, exec_lo, s11
	s_cbranch_vccnz .LBB79_1954
.LBB79_1953:
	s_wait_xcnt 0x0
	v_cndmask_b32_e64 v1, 0, 1, s10
	s_mov_b32 s12, -1
	global_store_b8 v[2:3], v1, off
.LBB79_1954:
	s_mov_b32 s0, 0
	s_branch .LBB79_1956
.LBB79_1955:
	s_mov_b32 s0, -1
	s_mov_b32 s12, 0
.LBB79_1956:
	s_and_b32 vcc_lo, exec_lo, s0
	s_cbranch_vccz .LBB79_1995
; %bb.1957:
	s_cmp_lt_i32 s7, 5
	s_mov_b32 s0, -1
	s_cbranch_scc1 .LBB79_1978
; %bb.1958:
	s_cmp_lt_i32 s7, 8
	s_cbranch_scc1 .LBB79_1968
; %bb.1959:
	s_cmp_lt_i32 s7, 9
	s_cbranch_scc1 .LBB79_1965
; %bb.1960:
	s_cmp_gt_i32 s7, 9
	s_cbranch_scc0 .LBB79_1962
; %bb.1961:
	s_wait_xcnt 0x0
	v_cndmask_b32_e64 v1, 0, 1, s10
	v_mov_b32_e32 v6, 0
	s_mov_b32 s0, 0
	s_delay_alu instid0(VALU_DEP_2) | instskip(NEXT) | instid1(VALU_DEP_2)
	v_cvt_f64_u32_e32 v[4:5], v1
	v_mov_b32_e32 v7, v6
	global_store_b128 v[2:3], v[4:7], off
.LBB79_1962:
	s_and_not1_b32 vcc_lo, exec_lo, s0
	s_cbranch_vccnz .LBB79_1964
; %bb.1963:
	s_wait_xcnt 0x0
	v_cndmask_b32_e64 v4, 0, 1.0, s10
	v_mov_b32_e32 v5, 0
	global_store_b64 v[2:3], v[4:5], off
.LBB79_1964:
	s_mov_b32 s0, 0
.LBB79_1965:
	s_delay_alu instid0(SALU_CYCLE_1)
	s_and_not1_b32 vcc_lo, exec_lo, s0
	s_cbranch_vccnz .LBB79_1967
; %bb.1966:
	s_wait_xcnt 0x0
	v_cndmask_b32_e64 v1, 0, 1.0, s10
	s_delay_alu instid0(VALU_DEP_1) | instskip(NEXT) | instid1(VALU_DEP_1)
	v_cvt_f16_f32_e32 v1, v1
	v_and_b32_e32 v1, 0xffff, v1
	global_store_b32 v[2:3], v1, off
.LBB79_1967:
	s_mov_b32 s0, 0
.LBB79_1968:
	s_delay_alu instid0(SALU_CYCLE_1)
	s_and_not1_b32 vcc_lo, exec_lo, s0
	s_cbranch_vccnz .LBB79_1977
; %bb.1969:
	s_cmp_lt_i32 s7, 6
	s_mov_b32 s0, -1
	s_cbranch_scc1 .LBB79_1975
; %bb.1970:
	s_cmp_gt_i32 s7, 6
	s_cbranch_scc0 .LBB79_1972
; %bb.1971:
	s_wait_xcnt 0x0
	v_cndmask_b32_e64 v1, 0, 1, s10
	s_mov_b32 s0, 0
	s_delay_alu instid0(VALU_DEP_1)
	v_cvt_f64_u32_e32 v[4:5], v1
	global_store_b64 v[2:3], v[4:5], off
.LBB79_1972:
	s_and_not1_b32 vcc_lo, exec_lo, s0
	s_cbranch_vccnz .LBB79_1974
; %bb.1973:
	s_wait_xcnt 0x0
	v_cndmask_b32_e64 v1, 0, 1.0, s10
	global_store_b32 v[2:3], v1, off
.LBB79_1974:
	s_mov_b32 s0, 0
.LBB79_1975:
	s_delay_alu instid0(SALU_CYCLE_1)
	s_and_not1_b32 vcc_lo, exec_lo, s0
	s_cbranch_vccnz .LBB79_1977
; %bb.1976:
	s_wait_xcnt 0x0
	v_cndmask_b32_e64 v1, 0, 1.0, s10
	s_delay_alu instid0(VALU_DEP_1)
	v_cvt_f16_f32_e32 v1, v1
	global_store_b16 v[2:3], v1, off
.LBB79_1977:
	s_mov_b32 s0, 0
.LBB79_1978:
	s_delay_alu instid0(SALU_CYCLE_1)
	s_and_not1_b32 vcc_lo, exec_lo, s0
	s_cbranch_vccnz .LBB79_1994
; %bb.1979:
	s_cmp_lt_i32 s7, 2
	s_mov_b32 s0, -1
	s_cbranch_scc1 .LBB79_1989
; %bb.1980:
	s_cmp_lt_i32 s7, 3
	s_cbranch_scc1 .LBB79_1986
; %bb.1981:
	s_cmp_gt_i32 s7, 3
	s_cbranch_scc0 .LBB79_1983
; %bb.1982:
	s_mov_b32 s0, 0
	s_wait_xcnt 0x0
	v_cndmask_b32_e64 v4, 0, 1, s10
	v_mov_b32_e32 v5, s0
	global_store_b64 v[2:3], v[4:5], off
.LBB79_1983:
	s_and_not1_b32 vcc_lo, exec_lo, s0
	s_cbranch_vccnz .LBB79_1985
; %bb.1984:
	s_wait_xcnt 0x0
	v_cndmask_b32_e64 v1, 0, 1, s10
	global_store_b32 v[2:3], v1, off
.LBB79_1985:
	s_mov_b32 s0, 0
.LBB79_1986:
	s_delay_alu instid0(SALU_CYCLE_1)
	s_and_not1_b32 vcc_lo, exec_lo, s0
	s_cbranch_vccnz .LBB79_1988
; %bb.1987:
	s_wait_xcnt 0x0
	v_cndmask_b32_e64 v1, 0, 1, s10
	global_store_b16 v[2:3], v1, off
.LBB79_1988:
	s_mov_b32 s0, 0
.LBB79_1989:
	s_delay_alu instid0(SALU_CYCLE_1)
	s_and_not1_b32 vcc_lo, exec_lo, s0
	s_cbranch_vccnz .LBB79_1994
; %bb.1990:
	s_cmp_gt_i32 s7, 0
	s_mov_b32 s0, -1
	s_cbranch_scc0 .LBB79_1992
; %bb.1991:
	s_wait_xcnt 0x0
	v_cndmask_b32_e64 v1, 0, 1, s10
	s_mov_b32 s0, 0
	global_store_b8 v[2:3], v1, off
.LBB79_1992:
	s_and_not1_b32 vcc_lo, exec_lo, s0
	s_cbranch_vccnz .LBB79_1994
; %bb.1993:
	s_wait_xcnt 0x0
	v_cndmask_b32_e64 v1, 0, 1, s10
	global_store_b8 v[2:3], v1, off
.LBB79_1994:
	s_mov_b32 s12, -1
.LBB79_1995:
	s_delay_alu instid0(SALU_CYCLE_1)
	s_and_not1_b32 vcc_lo, exec_lo, s12
	s_cbranch_vccnz .LBB79_2072
; %bb.1996:
	s_wait_xcnt 0x0
	v_mov_b32_e32 v1, 0
	v_cmp_ne_u16_e32 vcc_lo, s1, v8
	s_delay_alu instid0(VALU_DEP_2)
	v_add_nc_u64_e32 v[2:3], s[4:5], v[0:1]
	s_xor_b32 s1, s6, vcc_lo
	s_cmp_lt_i32 s7, 11
	s_cbranch_scc1 .LBB79_2117
; %bb.1997:
	s_mov_b32 s5, -1
	s_mov_b32 s4, 0
	s_cmp_gt_i32 s7, 25
	s_mov_b32 s0, 0
	s_cbranch_scc0 .LBB79_2030
; %bb.1998:
	s_cmp_gt_i32 s7, 28
	s_cbranch_scc0 .LBB79_2014
; %bb.1999:
	s_cmp_gt_i32 s7, 43
	;; [unrolled: 3-line block ×3, first 2 shown]
	s_cbranch_scc0 .LBB79_2004
; %bb.2001:
	s_cmp_eq_u32 s7, 46
	s_mov_b32 s0, -1
	s_cbranch_scc0 .LBB79_2003
; %bb.2002:
	v_cndmask_b32_e64 v0, 0, 1.0, s1
	s_mov_b32 s0, 0
	s_delay_alu instid0(VALU_DEP_1) | instskip(NEXT) | instid1(VALU_DEP_1)
	v_bfe_u32 v1, v0, 16, 1
	v_add3_u32 v0, v0, v1, 0x7fff
	s_delay_alu instid0(VALU_DEP_1)
	v_lshrrev_b32_e32 v0, 16, v0
	global_store_b32 v[2:3], v0, off
.LBB79_2003:
	s_mov_b32 s5, 0
.LBB79_2004:
	s_delay_alu instid0(SALU_CYCLE_1)
	s_and_b32 vcc_lo, exec_lo, s5
	s_cbranch_vccz .LBB79_2009
; %bb.2005:
	s_cmp_eq_u32 s7, 44
	s_mov_b32 s0, -1
	s_cbranch_scc0 .LBB79_2009
; %bb.2006:
	v_cndmask_b32_e64 v4, 0, 1.0, s1
	s_mov_b32 s5, exec_lo
	s_wait_xcnt 0x0
	s_delay_alu instid0(VALU_DEP_1) | instskip(NEXT) | instid1(VALU_DEP_1)
	v_dual_mov_b32 v1, 0xff :: v_dual_lshrrev_b32 v0, 23, v4
	v_cmpx_ne_u32_e32 0xff, v0
; %bb.2007:
	v_and_b32_e32 v1, 0x400000, v4
	v_and_or_b32 v4, 0x3fffff, v4, v0
	s_delay_alu instid0(VALU_DEP_2) | instskip(NEXT) | instid1(VALU_DEP_2)
	v_cmp_ne_u32_e32 vcc_lo, 0, v1
	v_cmp_ne_u32_e64 s0, 0, v4
	s_and_b32 s0, vcc_lo, s0
	s_delay_alu instid0(SALU_CYCLE_1) | instskip(NEXT) | instid1(VALU_DEP_1)
	v_cndmask_b32_e64 v1, 0, 1, s0
	v_add_nc_u32_e32 v1, v0, v1
; %bb.2008:
	s_or_b32 exec_lo, exec_lo, s5
	s_mov_b32 s0, 0
	global_store_b8 v[2:3], v1, off
.LBB79_2009:
	s_mov_b32 s5, 0
.LBB79_2010:
	s_delay_alu instid0(SALU_CYCLE_1)
	s_and_b32 vcc_lo, exec_lo, s5
	s_cbranch_vccz .LBB79_2013
; %bb.2011:
	s_cmp_eq_u32 s7, 29
	s_mov_b32 s0, -1
	s_cbranch_scc0 .LBB79_2013
; %bb.2012:
	s_mov_b32 s0, 0
	s_wait_xcnt 0x0
	v_cndmask_b32_e64 v0, 0, 1, s1
	v_mov_b32_e32 v1, s0
	global_store_b64 v[2:3], v[0:1], off
.LBB79_2013:
	s_mov_b32 s5, 0
.LBB79_2014:
	s_delay_alu instid0(SALU_CYCLE_1)
	s_and_b32 vcc_lo, exec_lo, s5
	s_cbranch_vccz .LBB79_2029
; %bb.2015:
	s_cmp_lt_i32 s7, 27
	s_mov_b32 s5, -1
	s_cbranch_scc1 .LBB79_2021
; %bb.2016:
	s_cmp_gt_i32 s7, 27
	s_cbranch_scc0 .LBB79_2018
; %bb.2017:
	s_wait_xcnt 0x0
	v_cndmask_b32_e64 v0, 0, 1, s1
	s_mov_b32 s5, 0
	global_store_b32 v[2:3], v0, off
.LBB79_2018:
	s_and_not1_b32 vcc_lo, exec_lo, s5
	s_cbranch_vccnz .LBB79_2020
; %bb.2019:
	s_wait_xcnt 0x0
	v_cndmask_b32_e64 v0, 0, 1, s1
	global_store_b16 v[2:3], v0, off
.LBB79_2020:
	s_mov_b32 s5, 0
.LBB79_2021:
	s_delay_alu instid0(SALU_CYCLE_1)
	s_and_not1_b32 vcc_lo, exec_lo, s5
	s_cbranch_vccnz .LBB79_2029
; %bb.2022:
	s_wait_xcnt 0x0
	v_cndmask_b32_e64 v1, 0, 1.0, s1
	v_mov_b32_e32 v4, 0x80
	s_mov_b32 s5, exec_lo
	s_delay_alu instid0(VALU_DEP_2)
	v_cmpx_gt_u32_e32 0x43800000, v1
	s_cbranch_execz .LBB79_2028
; %bb.2023:
	s_mov_b32 s6, 0
	s_mov_b32 s10, exec_lo
                                        ; implicit-def: $vgpr0
	v_cmpx_lt_u32_e32 0x3bffffff, v1
	s_xor_b32 s10, exec_lo, s10
	s_cbranch_execz .LBB79_2134
; %bb.2024:
	v_bfe_u32 v0, v1, 20, 1
	s_mov_b32 s6, exec_lo
	s_delay_alu instid0(VALU_DEP_1) | instskip(NEXT) | instid1(VALU_DEP_1)
	v_add3_u32 v0, v1, v0, 0x487ffff
                                        ; implicit-def: $vgpr1
	v_lshrrev_b32_e32 v0, 20, v0
	s_and_not1_saveexec_b32 s10, s10
	s_cbranch_execnz .LBB79_2135
.LBB79_2025:
	s_or_b32 exec_lo, exec_lo, s10
	v_mov_b32_e32 v4, 0
	s_and_saveexec_b32 s10, s6
.LBB79_2026:
	v_mov_b32_e32 v4, v0
.LBB79_2027:
	s_or_b32 exec_lo, exec_lo, s10
.LBB79_2028:
	s_delay_alu instid0(SALU_CYCLE_1)
	s_or_b32 exec_lo, exec_lo, s5
	global_store_b8 v[2:3], v4, off
.LBB79_2029:
	s_mov_b32 s5, 0
.LBB79_2030:
	s_delay_alu instid0(SALU_CYCLE_1)
	s_and_b32 vcc_lo, exec_lo, s5
	s_cbranch_vccz .LBB79_2070
; %bb.2031:
	s_cmp_gt_i32 s7, 22
	s_mov_b32 s4, -1
	s_cbranch_scc0 .LBB79_2063
; %bb.2032:
	s_cmp_lt_i32 s7, 24
	s_cbranch_scc1 .LBB79_2052
; %bb.2033:
	s_cmp_gt_i32 s7, 24
	s_cbranch_scc0 .LBB79_2041
; %bb.2034:
	s_wait_xcnt 0x0
	v_cndmask_b32_e64 v1, 0, 1.0, s1
	v_mov_b32_e32 v4, 0x80
	s_mov_b32 s4, exec_lo
	s_delay_alu instid0(VALU_DEP_2)
	v_cmpx_gt_u32_e32 0x47800000, v1
	s_cbranch_execz .LBB79_2040
; %bb.2035:
	s_mov_b32 s5, 0
	s_mov_b32 s6, exec_lo
                                        ; implicit-def: $vgpr0
	v_cmpx_lt_u32_e32 0x37ffffff, v1
	s_xor_b32 s6, exec_lo, s6
	s_cbranch_execz .LBB79_2137
; %bb.2036:
	v_bfe_u32 v0, v1, 21, 1
	s_mov_b32 s5, exec_lo
	s_delay_alu instid0(VALU_DEP_1) | instskip(NEXT) | instid1(VALU_DEP_1)
	v_add3_u32 v0, v1, v0, 0x88fffff
                                        ; implicit-def: $vgpr1
	v_lshrrev_b32_e32 v0, 21, v0
	s_and_not1_saveexec_b32 s6, s6
	s_cbranch_execnz .LBB79_2138
.LBB79_2037:
	s_or_b32 exec_lo, exec_lo, s6
	v_mov_b32_e32 v4, 0
	s_and_saveexec_b32 s6, s5
.LBB79_2038:
	v_mov_b32_e32 v4, v0
.LBB79_2039:
	s_or_b32 exec_lo, exec_lo, s6
.LBB79_2040:
	s_delay_alu instid0(SALU_CYCLE_1)
	s_or_b32 exec_lo, exec_lo, s4
	s_mov_b32 s4, 0
	global_store_b8 v[2:3], v4, off
.LBB79_2041:
	s_and_b32 vcc_lo, exec_lo, s4
	s_cbranch_vccz .LBB79_2051
; %bb.2042:
	s_wait_xcnt 0x0
	v_cndmask_b32_e64 v1, 0, 1.0, s1
	s_mov_b32 s4, exec_lo
                                        ; implicit-def: $vgpr0
	s_delay_alu instid0(VALU_DEP_1)
	v_cmpx_gt_u32_e32 0x43f00000, v1
	s_xor_b32 s4, exec_lo, s4
	s_cbranch_execz .LBB79_2048
; %bb.2043:
	s_mov_b32 s5, exec_lo
                                        ; implicit-def: $vgpr0
	v_cmpx_lt_u32_e32 0x3c7fffff, v1
	s_xor_b32 s5, exec_lo, s5
; %bb.2044:
	v_bfe_u32 v0, v1, 20, 1
	s_delay_alu instid0(VALU_DEP_1) | instskip(NEXT) | instid1(VALU_DEP_1)
	v_add3_u32 v0, v1, v0, 0x407ffff
	v_and_b32_e32 v1, 0xff00000, v0
	v_lshrrev_b32_e32 v0, 20, v0
	s_delay_alu instid0(VALU_DEP_2) | instskip(NEXT) | instid1(VALU_DEP_2)
	v_cmp_ne_u32_e32 vcc_lo, 0x7f00000, v1
                                        ; implicit-def: $vgpr1
	v_cndmask_b32_e32 v0, 0x7e, v0, vcc_lo
; %bb.2045:
	s_and_not1_saveexec_b32 s5, s5
; %bb.2046:
	v_add_f32_e32 v0, 0x46800000, v1
; %bb.2047:
	s_or_b32 exec_lo, exec_lo, s5
                                        ; implicit-def: $vgpr1
.LBB79_2048:
	s_and_not1_saveexec_b32 s4, s4
; %bb.2049:
	v_mov_b32_e32 v0, 0x7f
	v_cmp_lt_u32_e32 vcc_lo, 0x7f800000, v1
	s_delay_alu instid0(VALU_DEP_2)
	v_cndmask_b32_e32 v0, 0x7e, v0, vcc_lo
; %bb.2050:
	s_or_b32 exec_lo, exec_lo, s4
	global_store_b8 v[2:3], v0, off
.LBB79_2051:
	s_mov_b32 s4, 0
.LBB79_2052:
	s_delay_alu instid0(SALU_CYCLE_1)
	s_and_not1_b32 vcc_lo, exec_lo, s4
	s_cbranch_vccnz .LBB79_2062
; %bb.2053:
	s_wait_xcnt 0x0
	v_cndmask_b32_e64 v1, 0, 1.0, s1
	s_mov_b32 s4, exec_lo
                                        ; implicit-def: $vgpr0
	s_delay_alu instid0(VALU_DEP_1)
	v_cmpx_gt_u32_e32 0x47800000, v1
	s_xor_b32 s4, exec_lo, s4
	s_cbranch_execz .LBB79_2059
; %bb.2054:
	s_mov_b32 s5, exec_lo
                                        ; implicit-def: $vgpr0
	v_cmpx_lt_u32_e32 0x387fffff, v1
	s_xor_b32 s5, exec_lo, s5
; %bb.2055:
	v_bfe_u32 v0, v1, 21, 1
	s_delay_alu instid0(VALU_DEP_1) | instskip(NEXT) | instid1(VALU_DEP_1)
	v_add3_u32 v0, v1, v0, 0x80fffff
                                        ; implicit-def: $vgpr1
	v_lshrrev_b32_e32 v0, 21, v0
; %bb.2056:
	s_and_not1_saveexec_b32 s5, s5
; %bb.2057:
	v_add_f32_e32 v0, 0x43000000, v1
; %bb.2058:
	s_or_b32 exec_lo, exec_lo, s5
                                        ; implicit-def: $vgpr1
.LBB79_2059:
	s_and_not1_saveexec_b32 s4, s4
; %bb.2060:
	v_mov_b32_e32 v0, 0x7f
	v_cmp_lt_u32_e32 vcc_lo, 0x7f800000, v1
	s_delay_alu instid0(VALU_DEP_2)
	v_cndmask_b32_e32 v0, 0x7c, v0, vcc_lo
; %bb.2061:
	s_or_b32 exec_lo, exec_lo, s4
	global_store_b8 v[2:3], v0, off
.LBB79_2062:
	s_mov_b32 s4, 0
.LBB79_2063:
	s_delay_alu instid0(SALU_CYCLE_1)
	s_and_not1_b32 vcc_lo, exec_lo, s4
	s_mov_b32 s4, 0
	s_cbranch_vccnz .LBB79_2070
; %bb.2064:
	s_cmp_gt_i32 s7, 14
	s_mov_b32 s4, -1
	s_cbranch_scc0 .LBB79_2068
; %bb.2065:
	s_cmp_eq_u32 s7, 15
	s_mov_b32 s0, -1
	s_cbranch_scc0 .LBB79_2067
; %bb.2066:
	s_wait_xcnt 0x0
	v_cndmask_b32_e64 v0, 0, 1.0, s1
	s_mov_b32 s0, 0
	s_delay_alu instid0(VALU_DEP_1) | instskip(NEXT) | instid1(VALU_DEP_1)
	v_bfe_u32 v1, v0, 16, 1
	v_add3_u32 v0, v0, v1, 0x7fff
	global_store_d16_hi_b16 v[2:3], v0, off
.LBB79_2067:
	s_mov_b32 s4, 0
.LBB79_2068:
	s_delay_alu instid0(SALU_CYCLE_1)
	s_and_b32 vcc_lo, exec_lo, s4
	s_mov_b32 s4, 0
	s_cbranch_vccz .LBB79_2070
; %bb.2069:
	s_cmp_lg_u32 s7, 11
	s_mov_b32 s4, -1
	s_cselect_b32 s0, -1, 0
.LBB79_2070:
	s_delay_alu instid0(SALU_CYCLE_1)
	s_and_b32 vcc_lo, exec_lo, s0
	s_cbranch_vccnz .LBB79_2136
.LBB79_2071:
	s_mov_b32 s0, 0
	s_branch .LBB79_2073
.LBB79_2072:
	s_mov_b32 s0, 0
	s_mov_b32 s4, 0
                                        ; implicit-def: $sgpr1
                                        ; implicit-def: $vgpr2_vgpr3
                                        ; implicit-def: $sgpr2
.LBB79_2073:
	s_and_not1_b32 s5, s8, exec_lo
	s_and_b32 s6, s3, exec_lo
	s_and_b32 s0, s0, exec_lo
	;; [unrolled: 1-line block ×3, first 2 shown]
	s_or_b32 s8, s5, s6
.LBB79_2074:
	s_wait_xcnt 0x0
	s_or_b32 exec_lo, exec_lo, s9
	s_and_saveexec_b32 s4, s8
	s_cbranch_execz .LBB79_2077
; %bb.2075:
	; divergent unreachable
	s_or_b32 exec_lo, exec_lo, s4
	s_and_saveexec_b32 s4, s3
	s_delay_alu instid0(SALU_CYCLE_1)
	s_xor_b32 s3, exec_lo, s4
	s_cbranch_execnz .LBB79_2078
.LBB79_2076:
	s_or_b32 exec_lo, exec_lo, s3
	s_and_saveexec_b32 s3, s0
	s_cbranch_execnz .LBB79_2079
	s_branch .LBB79_2116
.LBB79_2077:
	s_or_b32 exec_lo, exec_lo, s4
	s_and_saveexec_b32 s4, s3
	s_delay_alu instid0(SALU_CYCLE_1)
	s_xor_b32 s3, exec_lo, s4
	s_cbranch_execz .LBB79_2076
.LBB79_2078:
	v_cndmask_b32_e64 v0, 0, 1, s1
	global_store_b8 v[2:3], v0, off
	s_wait_xcnt 0x0
	s_or_b32 exec_lo, exec_lo, s3
	s_and_saveexec_b32 s3, s0
	s_cbranch_execz .LBB79_2116
.LBB79_2079:
	s_sext_i32_i16 s3, s2
	s_mov_b32 s0, -1
	s_cmp_lt_i32 s3, 5
	s_cbranch_scc1 .LBB79_2100
; %bb.2080:
	s_cmp_lt_i32 s3, 8
	s_cbranch_scc1 .LBB79_2090
; %bb.2081:
	;; [unrolled: 3-line block ×3, first 2 shown]
	s_cmp_gt_i32 s3, 9
	s_cbranch_scc0 .LBB79_2084
; %bb.2083:
	v_cndmask_b32_e64 v0, 0, 1, s1
	s_wait_loadcnt 0x0
	v_mov_b32_e32 v6, 0
	s_mov_b32 s0, 0
	s_delay_alu instid0(VALU_DEP_2) | instskip(NEXT) | instid1(VALU_DEP_2)
	v_cvt_f64_u32_e32 v[4:5], v0
	v_mov_b32_e32 v7, v6
	global_store_b128 v[2:3], v[4:7], off
.LBB79_2084:
	s_and_not1_b32 vcc_lo, exec_lo, s0
	s_cbranch_vccnz .LBB79_2086
; %bb.2085:
	v_cndmask_b32_e64 v0, 0, 1.0, s1
	v_mov_b32_e32 v1, 0
	global_store_b64 v[2:3], v[0:1], off
.LBB79_2086:
	s_mov_b32 s0, 0
.LBB79_2087:
	s_delay_alu instid0(SALU_CYCLE_1)
	s_and_not1_b32 vcc_lo, exec_lo, s0
	s_cbranch_vccnz .LBB79_2089
; %bb.2088:
	s_wait_xcnt 0x0
	v_cndmask_b32_e64 v0, 0, 1.0, s1
	s_delay_alu instid0(VALU_DEP_1) | instskip(NEXT) | instid1(VALU_DEP_1)
	v_cvt_f16_f32_e32 v0, v0
	v_and_b32_e32 v0, 0xffff, v0
	global_store_b32 v[2:3], v0, off
.LBB79_2089:
	s_mov_b32 s0, 0
.LBB79_2090:
	s_delay_alu instid0(SALU_CYCLE_1)
	s_and_not1_b32 vcc_lo, exec_lo, s0
	s_cbranch_vccnz .LBB79_2099
; %bb.2091:
	s_sext_i32_i16 s3, s2
	s_mov_b32 s0, -1
	s_cmp_lt_i32 s3, 6
	s_cbranch_scc1 .LBB79_2097
; %bb.2092:
	s_cmp_gt_i32 s3, 6
	s_cbranch_scc0 .LBB79_2094
; %bb.2093:
	s_wait_xcnt 0x0
	v_cndmask_b32_e64 v0, 0, 1, s1
	s_mov_b32 s0, 0
	s_delay_alu instid0(VALU_DEP_1)
	v_cvt_f64_u32_e32 v[0:1], v0
	global_store_b64 v[2:3], v[0:1], off
.LBB79_2094:
	s_and_not1_b32 vcc_lo, exec_lo, s0
	s_cbranch_vccnz .LBB79_2096
; %bb.2095:
	s_wait_xcnt 0x0
	v_cndmask_b32_e64 v0, 0, 1.0, s1
	global_store_b32 v[2:3], v0, off
.LBB79_2096:
	s_mov_b32 s0, 0
.LBB79_2097:
	s_delay_alu instid0(SALU_CYCLE_1)
	s_and_not1_b32 vcc_lo, exec_lo, s0
	s_cbranch_vccnz .LBB79_2099
; %bb.2098:
	s_wait_xcnt 0x0
	v_cndmask_b32_e64 v0, 0, 1.0, s1
	s_delay_alu instid0(VALU_DEP_1)
	v_cvt_f16_f32_e32 v0, v0
	global_store_b16 v[2:3], v0, off
.LBB79_2099:
	s_mov_b32 s0, 0
.LBB79_2100:
	s_delay_alu instid0(SALU_CYCLE_1)
	s_and_not1_b32 vcc_lo, exec_lo, s0
	s_cbranch_vccnz .LBB79_2116
; %bb.2101:
	s_sext_i32_i16 s3, s2
	s_mov_b32 s0, -1
	s_cmp_lt_i32 s3, 2
	s_cbranch_scc1 .LBB79_2111
; %bb.2102:
	s_cmp_lt_i32 s3, 3
	s_cbranch_scc1 .LBB79_2108
; %bb.2103:
	s_cmp_gt_i32 s3, 3
	s_cbranch_scc0 .LBB79_2105
; %bb.2104:
	s_mov_b32 s0, 0
	s_wait_xcnt 0x0
	v_cndmask_b32_e64 v0, 0, 1, s1
	v_mov_b32_e32 v1, s0
	global_store_b64 v[2:3], v[0:1], off
.LBB79_2105:
	s_and_not1_b32 vcc_lo, exec_lo, s0
	s_cbranch_vccnz .LBB79_2107
; %bb.2106:
	s_wait_xcnt 0x0
	v_cndmask_b32_e64 v0, 0, 1, s1
	global_store_b32 v[2:3], v0, off
.LBB79_2107:
	s_mov_b32 s0, 0
.LBB79_2108:
	s_delay_alu instid0(SALU_CYCLE_1)
	s_and_not1_b32 vcc_lo, exec_lo, s0
	s_cbranch_vccnz .LBB79_2110
; %bb.2109:
	s_wait_xcnt 0x0
	v_cndmask_b32_e64 v0, 0, 1, s1
	global_store_b16 v[2:3], v0, off
.LBB79_2110:
	s_mov_b32 s0, 0
.LBB79_2111:
	s_delay_alu instid0(SALU_CYCLE_1)
	s_and_not1_b32 vcc_lo, exec_lo, s0
	s_cbranch_vccnz .LBB79_2116
; %bb.2112:
	s_sext_i32_i16 s0, s2
	s_delay_alu instid0(SALU_CYCLE_1)
	s_cmp_gt_i32 s0, 0
	s_mov_b32 s0, -1
	s_cbranch_scc0 .LBB79_2114
; %bb.2113:
	s_wait_xcnt 0x0
	v_cndmask_b32_e64 v0, 0, 1, s1
	s_mov_b32 s0, 0
	global_store_b8 v[2:3], v0, off
.LBB79_2114:
	s_and_not1_b32 vcc_lo, exec_lo, s0
	s_cbranch_vccnz .LBB79_2116
; %bb.2115:
	s_wait_xcnt 0x0
	v_cndmask_b32_e64 v0, 0, 1, s1
	global_store_b8 v[2:3], v0, off
	s_endpgm
.LBB79_2116:
	s_endpgm
.LBB79_2117:
	s_mov_b32 s4, 0
	s_mov_b32 s0, -1
	s_branch .LBB79_2073
.LBB79_2118:
	s_or_b32 s3, s3, exec_lo
	s_trap 2
	s_cbranch_execz .LBB79_1588
	s_branch .LBB79_1589
.LBB79_2119:
	s_and_not1_saveexec_b32 s14, s14
	s_cbranch_execz .LBB79_1668
.LBB79_2120:
	v_add_f32_e32 v1, 0x46000000, v3
	s_and_not1_b32 s13, s13, exec_lo
	s_delay_alu instid0(VALU_DEP_1) | instskip(NEXT) | instid1(VALU_DEP_1)
	v_and_b32_e32 v1, 0xff, v1
	v_cmp_ne_u32_e32 vcc_lo, 0, v1
	s_and_b32 s15, vcc_lo, exec_lo
	s_delay_alu instid0(SALU_CYCLE_1)
	s_or_b32 s13, s13, s15
	s_or_b32 exec_lo, exec_lo, s14
	v_mov_b32_e32 v5, 0
	s_and_saveexec_b32 s14, s13
	s_cbranch_execnz .LBB79_1669
	s_branch .LBB79_1670
.LBB79_2121:
	s_or_b32 s3, s3, exec_lo
	s_trap 2
	s_cbranch_execz .LBB79_1716
	s_branch .LBB79_1717
.LBB79_2122:
	s_and_not1_saveexec_b32 s13, s13
	s_cbranch_execz .LBB79_1681
.LBB79_2123:
	v_add_f32_e32 v1, 0x42800000, v3
	s_and_not1_b32 s12, s12, exec_lo
	s_delay_alu instid0(VALU_DEP_1) | instskip(NEXT) | instid1(VALU_DEP_1)
	v_and_b32_e32 v1, 0xff, v1
	v_cmp_ne_u32_e32 vcc_lo, 0, v1
	s_and_b32 s14, vcc_lo, exec_lo
	s_delay_alu instid0(SALU_CYCLE_1)
	s_or_b32 s12, s12, s14
	s_or_b32 exec_lo, exec_lo, s13
	v_mov_b32_e32 v5, 0
	s_and_saveexec_b32 s13, s12
	s_cbranch_execnz .LBB79_1682
	s_branch .LBB79_1683
.LBB79_2124:
	s_and_not1_saveexec_b32 s14, s14
	s_cbranch_execz .LBB79_1786
.LBB79_2125:
	v_add_f32_e32 v1, 0x46000000, v3
	s_and_not1_b32 s13, s13, exec_lo
	s_delay_alu instid0(VALU_DEP_1) | instskip(NEXT) | instid1(VALU_DEP_1)
	v_and_b32_e32 v1, 0xff, v1
	v_cmp_ne_u32_e32 vcc_lo, 0, v1
	s_and_b32 s15, vcc_lo, exec_lo
	s_delay_alu instid0(SALU_CYCLE_1)
	s_or_b32 s13, s13, s15
	s_or_b32 exec_lo, exec_lo, s14
	v_mov_b32_e32 v6, 0
	s_and_saveexec_b32 s14, s13
	s_cbranch_execnz .LBB79_1787
	s_branch .LBB79_1788
.LBB79_2126:
	s_or_b32 s3, s3, exec_lo
	s_trap 2
	s_cbranch_execz .LBB79_1834
	s_branch .LBB79_1835
.LBB79_2127:
	s_and_not1_saveexec_b32 s13, s13
	s_cbranch_execz .LBB79_1799
.LBB79_2128:
	v_add_f32_e32 v1, 0x42800000, v3
	s_and_not1_b32 s12, s12, exec_lo
	s_delay_alu instid0(VALU_DEP_1) | instskip(NEXT) | instid1(VALU_DEP_1)
	v_and_b32_e32 v1, 0xff, v1
	v_cmp_ne_u32_e32 vcc_lo, 0, v1
	s_and_b32 s14, vcc_lo, exec_lo
	s_delay_alu instid0(SALU_CYCLE_1)
	s_or_b32 s12, s12, s14
	s_or_b32 exec_lo, exec_lo, s13
	v_mov_b32_e32 v6, 0
	s_and_saveexec_b32 s13, s12
	s_cbranch_execnz .LBB79_1800
	s_branch .LBB79_1801
.LBB79_2129:
	s_and_not1_saveexec_b32 s14, s14
	s_cbranch_execz .LBB79_1905
.LBB79_2130:
	v_add_f32_e32 v1, 0x46000000, v4
	s_and_not1_b32 s13, s13, exec_lo
	s_delay_alu instid0(VALU_DEP_1) | instskip(NEXT) | instid1(VALU_DEP_1)
	v_and_b32_e32 v1, 0xff, v1
	v_cmp_ne_u32_e32 vcc_lo, 0, v1
	s_and_b32 s15, vcc_lo, exec_lo
	s_delay_alu instid0(SALU_CYCLE_1)
	s_or_b32 s13, s13, s15
	s_or_b32 exec_lo, exec_lo, s14
	v_mov_b32_e32 v5, 0
	s_and_saveexec_b32 s14, s13
	s_cbranch_execnz .LBB79_1906
	s_branch .LBB79_1907
.LBB79_2131:
	s_or_b32 s3, s3, exec_lo
	s_trap 2
	s_cbranch_execz .LBB79_1953
	s_branch .LBB79_1954
.LBB79_2132:
	s_and_not1_saveexec_b32 s13, s13
	s_cbranch_execz .LBB79_1918
.LBB79_2133:
	v_add_f32_e32 v1, 0x42800000, v4
	s_and_not1_b32 s12, s12, exec_lo
	s_delay_alu instid0(VALU_DEP_1) | instskip(NEXT) | instid1(VALU_DEP_1)
	v_and_b32_e32 v1, 0xff, v1
	v_cmp_ne_u32_e32 vcc_lo, 0, v1
	s_and_b32 s14, vcc_lo, exec_lo
	s_delay_alu instid0(SALU_CYCLE_1)
	s_or_b32 s12, s12, s14
	s_or_b32 exec_lo, exec_lo, s13
	v_mov_b32_e32 v5, 0
	s_and_saveexec_b32 s13, s12
	s_cbranch_execnz .LBB79_1919
	s_branch .LBB79_1920
.LBB79_2134:
	s_and_not1_saveexec_b32 s10, s10
	s_cbranch_execz .LBB79_2025
.LBB79_2135:
	v_add_f32_e32 v0, 0x46000000, v1
	s_and_not1_b32 s6, s6, exec_lo
	s_delay_alu instid0(VALU_DEP_1) | instskip(NEXT) | instid1(VALU_DEP_1)
	v_and_b32_e32 v0, 0xff, v0
	v_cmp_ne_u32_e32 vcc_lo, 0, v0
	s_and_b32 s11, vcc_lo, exec_lo
	s_delay_alu instid0(SALU_CYCLE_1)
	s_or_b32 s6, s6, s11
	s_or_b32 exec_lo, exec_lo, s10
	v_mov_b32_e32 v4, 0
	s_and_saveexec_b32 s10, s6
	s_cbranch_execnz .LBB79_2026
	s_branch .LBB79_2027
.LBB79_2136:
	s_mov_b32 s4, 0
	s_or_b32 s3, s3, exec_lo
	s_trap 2
	s_branch .LBB79_2071
.LBB79_2137:
	s_and_not1_saveexec_b32 s6, s6
	s_cbranch_execz .LBB79_2037
.LBB79_2138:
	v_add_f32_e32 v0, 0x42800000, v1
	s_and_not1_b32 s5, s5, exec_lo
	s_delay_alu instid0(VALU_DEP_1) | instskip(NEXT) | instid1(VALU_DEP_1)
	v_and_b32_e32 v0, 0xff, v0
	v_cmp_ne_u32_e32 vcc_lo, 0, v0
	s_and_b32 s10, vcc_lo, exec_lo
	s_delay_alu instid0(SALU_CYCLE_1)
	s_or_b32 s5, s5, s10
	s_or_b32 exec_lo, exec_lo, s6
	v_mov_b32_e32 v4, 0
	s_and_saveexec_b32 s6, s5
	s_cbranch_execnz .LBB79_2038
	s_branch .LBB79_2039
	.section	.rodata,"a",@progbits
	.p2align	6, 0x0
	.amdhsa_kernel _ZN2at6native32elementwise_kernel_manual_unrollILi128ELi4EZNS0_15gpu_kernel_implINS0_13AUnaryFunctorIssbNS0_12_GLOBAL__N_116CompareEqFunctorIsEEEEEEvRNS_18TensorIteratorBaseERKT_EUlibE0_EEviT1_
		.amdhsa_group_segment_fixed_size 0
		.amdhsa_private_segment_fixed_size 0
		.amdhsa_kernarg_size 368
		.amdhsa_user_sgpr_count 2
		.amdhsa_user_sgpr_dispatch_ptr 0
		.amdhsa_user_sgpr_queue_ptr 0
		.amdhsa_user_sgpr_kernarg_segment_ptr 1
		.amdhsa_user_sgpr_dispatch_id 0
		.amdhsa_user_sgpr_kernarg_preload_length 0
		.amdhsa_user_sgpr_kernarg_preload_offset 0
		.amdhsa_user_sgpr_private_segment_size 0
		.amdhsa_wavefront_size32 1
		.amdhsa_uses_dynamic_stack 0
		.amdhsa_enable_private_segment 0
		.amdhsa_system_sgpr_workgroup_id_x 1
		.amdhsa_system_sgpr_workgroup_id_y 0
		.amdhsa_system_sgpr_workgroup_id_z 0
		.amdhsa_system_sgpr_workgroup_info 0
		.amdhsa_system_vgpr_workitem_id 0
		.amdhsa_next_free_vgpr 18
		.amdhsa_next_free_sgpr 68
		.amdhsa_named_barrier_count 0
		.amdhsa_reserve_vcc 1
		.amdhsa_float_round_mode_32 0
		.amdhsa_float_round_mode_16_64 0
		.amdhsa_float_denorm_mode_32 3
		.amdhsa_float_denorm_mode_16_64 3
		.amdhsa_fp16_overflow 0
		.amdhsa_memory_ordered 1
		.amdhsa_forward_progress 1
		.amdhsa_inst_pref_size 255
		.amdhsa_round_robin_scheduling 0
		.amdhsa_exception_fp_ieee_invalid_op 0
		.amdhsa_exception_fp_denorm_src 0
		.amdhsa_exception_fp_ieee_div_zero 0
		.amdhsa_exception_fp_ieee_overflow 0
		.amdhsa_exception_fp_ieee_underflow 0
		.amdhsa_exception_fp_ieee_inexact 0
		.amdhsa_exception_int_div_zero 0
	.end_amdhsa_kernel
	.section	.text._ZN2at6native32elementwise_kernel_manual_unrollILi128ELi4EZNS0_15gpu_kernel_implINS0_13AUnaryFunctorIssbNS0_12_GLOBAL__N_116CompareEqFunctorIsEEEEEEvRNS_18TensorIteratorBaseERKT_EUlibE0_EEviT1_,"axG",@progbits,_ZN2at6native32elementwise_kernel_manual_unrollILi128ELi4EZNS0_15gpu_kernel_implINS0_13AUnaryFunctorIssbNS0_12_GLOBAL__N_116CompareEqFunctorIsEEEEEEvRNS_18TensorIteratorBaseERKT_EUlibE0_EEviT1_,comdat
.Lfunc_end79:
	.size	_ZN2at6native32elementwise_kernel_manual_unrollILi128ELi4EZNS0_15gpu_kernel_implINS0_13AUnaryFunctorIssbNS0_12_GLOBAL__N_116CompareEqFunctorIsEEEEEEvRNS_18TensorIteratorBaseERKT_EUlibE0_EEviT1_, .Lfunc_end79-_ZN2at6native32elementwise_kernel_manual_unrollILi128ELi4EZNS0_15gpu_kernel_implINS0_13AUnaryFunctorIssbNS0_12_GLOBAL__N_116CompareEqFunctorIsEEEEEEvRNS_18TensorIteratorBaseERKT_EUlibE0_EEviT1_
                                        ; -- End function
	.set _ZN2at6native32elementwise_kernel_manual_unrollILi128ELi4EZNS0_15gpu_kernel_implINS0_13AUnaryFunctorIssbNS0_12_GLOBAL__N_116CompareEqFunctorIsEEEEEEvRNS_18TensorIteratorBaseERKT_EUlibE0_EEviT1_.num_vgpr, 18
	.set _ZN2at6native32elementwise_kernel_manual_unrollILi128ELi4EZNS0_15gpu_kernel_implINS0_13AUnaryFunctorIssbNS0_12_GLOBAL__N_116CompareEqFunctorIsEEEEEEvRNS_18TensorIteratorBaseERKT_EUlibE0_EEviT1_.num_agpr, 0
	.set _ZN2at6native32elementwise_kernel_manual_unrollILi128ELi4EZNS0_15gpu_kernel_implINS0_13AUnaryFunctorIssbNS0_12_GLOBAL__N_116CompareEqFunctorIsEEEEEEvRNS_18TensorIteratorBaseERKT_EUlibE0_EEviT1_.numbered_sgpr, 68
	.set _ZN2at6native32elementwise_kernel_manual_unrollILi128ELi4EZNS0_15gpu_kernel_implINS0_13AUnaryFunctorIssbNS0_12_GLOBAL__N_116CompareEqFunctorIsEEEEEEvRNS_18TensorIteratorBaseERKT_EUlibE0_EEviT1_.num_named_barrier, 0
	.set _ZN2at6native32elementwise_kernel_manual_unrollILi128ELi4EZNS0_15gpu_kernel_implINS0_13AUnaryFunctorIssbNS0_12_GLOBAL__N_116CompareEqFunctorIsEEEEEEvRNS_18TensorIteratorBaseERKT_EUlibE0_EEviT1_.private_seg_size, 0
	.set _ZN2at6native32elementwise_kernel_manual_unrollILi128ELi4EZNS0_15gpu_kernel_implINS0_13AUnaryFunctorIssbNS0_12_GLOBAL__N_116CompareEqFunctorIsEEEEEEvRNS_18TensorIteratorBaseERKT_EUlibE0_EEviT1_.uses_vcc, 1
	.set _ZN2at6native32elementwise_kernel_manual_unrollILi128ELi4EZNS0_15gpu_kernel_implINS0_13AUnaryFunctorIssbNS0_12_GLOBAL__N_116CompareEqFunctorIsEEEEEEvRNS_18TensorIteratorBaseERKT_EUlibE0_EEviT1_.uses_flat_scratch, 0
	.set _ZN2at6native32elementwise_kernel_manual_unrollILi128ELi4EZNS0_15gpu_kernel_implINS0_13AUnaryFunctorIssbNS0_12_GLOBAL__N_116CompareEqFunctorIsEEEEEEvRNS_18TensorIteratorBaseERKT_EUlibE0_EEviT1_.has_dyn_sized_stack, 0
	.set _ZN2at6native32elementwise_kernel_manual_unrollILi128ELi4EZNS0_15gpu_kernel_implINS0_13AUnaryFunctorIssbNS0_12_GLOBAL__N_116CompareEqFunctorIsEEEEEEvRNS_18TensorIteratorBaseERKT_EUlibE0_EEviT1_.has_recursion, 0
	.set _ZN2at6native32elementwise_kernel_manual_unrollILi128ELi4EZNS0_15gpu_kernel_implINS0_13AUnaryFunctorIssbNS0_12_GLOBAL__N_116CompareEqFunctorIsEEEEEEvRNS_18TensorIteratorBaseERKT_EUlibE0_EEviT1_.has_indirect_call, 0
	.section	.AMDGPU.csdata,"",@progbits
; Kernel info:
; codeLenInByte = 39792
; TotalNumSgprs: 70
; NumVgprs: 18
; ScratchSize: 0
; MemoryBound: 1
; FloatMode: 240
; IeeeMode: 1
; LDSByteSize: 0 bytes/workgroup (compile time only)
; SGPRBlocks: 0
; VGPRBlocks: 1
; NumSGPRsForWavesPerEU: 70
; NumVGPRsForWavesPerEU: 18
; NamedBarCnt: 0
; Occupancy: 16
; WaveLimiterHint : 1
; COMPUTE_PGM_RSRC2:SCRATCH_EN: 0
; COMPUTE_PGM_RSRC2:USER_SGPR: 2
; COMPUTE_PGM_RSRC2:TRAP_HANDLER: 0
; COMPUTE_PGM_RSRC2:TGID_X_EN: 1
; COMPUTE_PGM_RSRC2:TGID_Y_EN: 0
; COMPUTE_PGM_RSRC2:TGID_Z_EN: 0
; COMPUTE_PGM_RSRC2:TIDIG_COMP_CNT: 0
	.section	.text._ZN2at6native29vectorized_elementwise_kernelILi16ENS0_13BinaryFunctorIddbNS0_12_GLOBAL__N_116CompareEqFunctorIdEEEESt5arrayIPcLm3EEEEviT0_T1_,"axG",@progbits,_ZN2at6native29vectorized_elementwise_kernelILi16ENS0_13BinaryFunctorIddbNS0_12_GLOBAL__N_116CompareEqFunctorIdEEEESt5arrayIPcLm3EEEEviT0_T1_,comdat
	.globl	_ZN2at6native29vectorized_elementwise_kernelILi16ENS0_13BinaryFunctorIddbNS0_12_GLOBAL__N_116CompareEqFunctorIdEEEESt5arrayIPcLm3EEEEviT0_T1_ ; -- Begin function _ZN2at6native29vectorized_elementwise_kernelILi16ENS0_13BinaryFunctorIddbNS0_12_GLOBAL__N_116CompareEqFunctorIdEEEESt5arrayIPcLm3EEEEviT0_T1_
	.p2align	8
	.type	_ZN2at6native29vectorized_elementwise_kernelILi16ENS0_13BinaryFunctorIddbNS0_12_GLOBAL__N_116CompareEqFunctorIdEEEESt5arrayIPcLm3EEEEviT0_T1_,@function
_ZN2at6native29vectorized_elementwise_kernelILi16ENS0_13BinaryFunctorIddbNS0_12_GLOBAL__N_116CompareEqFunctorIdEEEESt5arrayIPcLm3EEEEviT0_T1_: ; @_ZN2at6native29vectorized_elementwise_kernelILi16ENS0_13BinaryFunctorIddbNS0_12_GLOBAL__N_116CompareEqFunctorIdEEEESt5arrayIPcLm3EEEEviT0_T1_
; %bb.0:
	s_clause 0x2
	s_load_b64 s[8:9], s[0:1], 0x0
	s_load_b128 s[4:7], s[0:1], 0x8
	s_load_b64 s[10:11], s[0:1], 0x18
	s_wait_xcnt 0x0
	s_bfe_u32 s0, ttmp6, 0x4000c
	s_and_b32 s1, ttmp6, 15
	s_add_co_i32 s0, s0, 1
	s_getreg_b32 s2, hwreg(HW_REG_IB_STS2, 6, 4)
	s_mul_i32 s0, ttmp9, s0
	s_delay_alu instid0(SALU_CYCLE_1) | instskip(SKIP_2) | instid1(SALU_CYCLE_1)
	s_add_co_i32 s1, s1, s0
	s_cmp_eq_u32 s2, 0
	s_cselect_b32 s0, ttmp9, s1
	s_lshl_b32 s2, s0, 12
	s_mov_b32 s0, -1
	s_wait_kmcnt 0x0
	s_sub_co_i32 s8, s8, s2
	s_delay_alu instid0(SALU_CYCLE_1)
	s_cmp_gt_i32 s8, 0xfff
	s_cbranch_scc0 .LBB80_2
; %bb.1:
	s_ashr_i32 s3, s2, 31
	v_lshlrev_b32_e32 v1, 7, v0
	s_lshl_b64 s[12:13], s[2:3], 3
	s_cmp_eq_u32 s9, 0
	s_add_nc_u64 s[0:1], s[10:11], s[12:13]
	s_add_nc_u64 s[12:13], s[6:7], s[12:13]
	s_clause 0xf
	global_load_b128 v[2:5], v1, s[0:1] offset:16
	global_load_b128 v[6:9], v1, s[12:13] offset:16
	global_load_b128 v[10:13], v1, s[12:13]
	global_load_b128 v[14:17], v1, s[0:1]
	global_load_b128 v[18:21], v1, s[0:1] offset:48
	global_load_b128 v[22:25], v1, s[12:13] offset:48
	;; [unrolled: 1-line block ×11, first 2 shown]
	; meta instruction
	global_load_b128 v[62:65], v1, s[0:1] offset:96
	s_wait_xcnt 0x1
	s_add_nc_u64 s[12:13], s[4:5], s[2:3]
	s_wait_xcnt 0x0
	s_mov_b32 s0, 0
	s_wait_loadcnt 0xe
	v_cmp_eq_f64_e32 vcc_lo, v[6:7], v[2:3]
	v_cndmask_b32_e64 v1, 0, 1, vcc_lo
	v_cmp_neq_f64_e32 vcc_lo, v[6:7], v[2:3]
	v_cndmask_b32_e64 v2, 0, 1, vcc_lo
	v_cmp_eq_f64_e32 vcc_lo, v[8:9], v[4:5]
	v_cndmask_b32_e64 v3, 0, 1, vcc_lo
	v_cmp_neq_f64_e32 vcc_lo, v[8:9], v[4:5]
	v_cndmask_b32_e64 v4, 0, 1, vcc_lo
	s_wait_loadcnt 0xc
	v_cmp_eq_f64_e32 vcc_lo, v[10:11], v[14:15]
	v_cndmask_b32_e64 v5, 0, 1, vcc_lo
	v_cmp_neq_f64_e32 vcc_lo, v[10:11], v[14:15]
	v_cndmask_b32_e64 v6, 0, 1, vcc_lo
	v_cmp_eq_f64_e32 vcc_lo, v[12:13], v[16:17]
	v_cndmask_b32_e64 v7, 0, 1, vcc_lo
	v_cmp_neq_f64_e32 vcc_lo, v[12:13], v[16:17]
	v_cndmask_b32_e64 v8, 0, 1, vcc_lo
	;; [unrolled: 9-line block ×8, first 2 shown]
	s_cselect_b32 vcc_lo, -1, 0
	v_dual_cndmask_b32 v1, v2, v1 :: v_dual_cndmask_b32 v2, v4, v3
	v_dual_cndmask_b32 v3, v6, v5 :: v_dual_cndmask_b32 v6, v12, v11
	;; [unrolled: 1-line block ×5, first 2 shown]
	v_and_b32_e32 v2, 1, v2
	s_delay_alu instid0(VALU_DEP_3) | instskip(NEXT) | instid1(VALU_DEP_3)
	v_dual_cndmask_b32 v9, v18, v17, vcc_lo :: v_dual_bitop2_b32 v8, 1, v8 bitop3:0x40
	v_dual_cndmask_b32 v12, v24, v23, vcc_lo :: v_dual_bitop2_b32 v10, 1, v10 bitop3:0x40
	v_dual_cndmask_b32 v11, v22, v21 :: v_dual_cndmask_b32 v14, v28, v27
	v_dual_cndmask_b32 v13, v26, v25 :: v_dual_cndmask_b32 v16, v32, v31
	s_delay_alu instid0(VALU_DEP_4)
	v_lshlrev_b16 v8, 8, v8
	v_lshlrev_b16 v2, 8, v2
	;; [unrolled: 1-line block ×3, first 2 shown]
	v_and_b32_e32 v6, 1, v6
	v_and_b32_e32 v16, 1, v16
	;; [unrolled: 1-line block ×3, first 2 shown]
	v_bitop3_b16 v7, v7, v8, 1 bitop3:0xec
	v_bitop3_b16 v1, v1, v2, 1 bitop3:0xec
	v_and_b32_e32 v4, 1, v4
	v_bitop3_b16 v8, v9, v10, 1 bitop3:0xec
	v_and_b32_e32 v14, 1, v14
	v_lshlrev_b16 v6, 8, v6
	v_lshlrev_b16 v16, 8, v16
	;; [unrolled: 1-line block ×3, first 2 shown]
	v_lshlrev_b32_e32 v1, 16, v1
	v_lshlrev_b16 v4, 8, v4
	v_lshlrev_b32_e32 v8, 16, v8
	v_lshlrev_b16 v14, 8, v14
	v_bitop3_b16 v5, v5, v6, 1 bitop3:0xec
	v_bitop3_b16 v2, v15, v16, 1 bitop3:0xec
	;; [unrolled: 1-line block ×5, first 2 shown]
	v_and_b32_e32 v7, 0xffff, v7
	v_lshlrev_b32_e32 v5, 16, v5
	v_and_b32_e32 v9, 0xffff, v3
	v_and_b32_e32 v10, 0xffff, v2
	v_lshlrev_b32_e32 v4, 16, v4
	v_and_b32_e32 v6, 0xffff, v6
	v_or_b32_e32 v3, v7, v5
	v_or_b32_e32 v2, v9, v1
	s_delay_alu instid0(VALU_DEP_4) | instskip(NEXT) | instid1(VALU_DEP_4)
	v_or_b32_e32 v5, v10, v4
	v_or_b32_e32 v4, v6, v8
	global_store_b128 v0, v[2:5], s[12:13] scale_offset
.LBB80_2:
	s_and_not1_b32 vcc_lo, exec_lo, s0
	s_cbranch_vccnz .LBB80_52
; %bb.3:
	s_wait_xcnt 0x0
	v_mov_b64_e32 v[2:3], 0
	v_mov_b64_e32 v[10:11], 0
	v_mov_b64_e32 v[12:13], 0
	v_cmp_gt_i32_e32 vcc_lo, s8, v0
	v_dual_mov_b32 v67, v0 :: v_dual_bitop2_b32 v1, s2, v0 bitop3:0x54
	v_or_b32_e32 v66, 0x100, v0
	s_and_saveexec_b32 s0, vcc_lo
	s_cbranch_execz .LBB80_5
; %bb.4:
	s_clause 0x1
	global_load_b64 v[10:11], v1, s[6:7] scale_offset
	global_load_b64 v[12:13], v1, s[10:11] scale_offset
	v_or_b32_e32 v67, 0x100, v0
.LBB80_5:
	s_wait_xcnt 0x0
	s_or_b32 exec_lo, exec_lo, s0
	v_mov_b64_e32 v[14:15], 0
	s_mov_b32 s1, exec_lo
	v_cmpx_gt_i32_e64 s8, v67
	s_cbranch_execz .LBB80_7
; %bb.6:
	v_add_nc_u32_e32 v4, s2, v67
	v_add_nc_u32_e32 v67, 0x100, v67
	s_clause 0x1
	global_load_b64 v[2:3], v4, s[6:7] scale_offset
	global_load_b64 v[14:15], v4, s[10:11] scale_offset
.LBB80_7:
	s_wait_xcnt 0x0
	s_or_b32 exec_lo, exec_lo, s1
	v_mov_b64_e32 v[4:5], 0
	v_mov_b64_e32 v[18:19], 0
	v_mov_b64_e32 v[20:21], 0
	s_mov_b32 s1, exec_lo
	v_cmpx_gt_i32_e64 s8, v67
	s_cbranch_execz .LBB80_9
; %bb.8:
	v_add_nc_u32_e32 v6, s2, v67
	v_add_nc_u32_e32 v67, 0x100, v67
	s_clause 0x1
	global_load_b64 v[18:19], v6, s[6:7] scale_offset
	global_load_b64 v[20:21], v6, s[10:11] scale_offset
.LBB80_9:
	s_wait_xcnt 0x0
	s_or_b32 exec_lo, exec_lo, s1
	v_mov_b64_e32 v[22:23], 0
	s_mov_b32 s1, exec_lo
	v_cmpx_gt_i32_e64 s8, v67
	s_cbranch_execz .LBB80_11
; %bb.10:
	v_add_nc_u32_e32 v6, s2, v67
	v_add_nc_u32_e32 v67, 0x100, v67
	s_clause 0x1
	global_load_b64 v[4:5], v6, s[6:7] scale_offset
	global_load_b64 v[22:23], v6, s[10:11] scale_offset
.LBB80_11:
	s_wait_xcnt 0x0
	s_or_b32 exec_lo, exec_lo, s1
	v_mov_b64_e32 v[6:7], 0
	v_mov_b64_e32 v[26:27], 0
	v_mov_b64_e32 v[28:29], 0
	s_mov_b32 s1, exec_lo
	v_cmpx_gt_i32_e64 s8, v67
	s_cbranch_execz .LBB80_13
; %bb.12:
	v_add_nc_u32_e32 v8, s2, v67
	v_add_nc_u32_e32 v67, 0x100, v67
	s_clause 0x1
	global_load_b64 v[26:27], v8, s[6:7] scale_offset
	global_load_b64 v[28:29], v8, s[10:11] scale_offset
.LBB80_13:
	;; [unrolled: 28-line block ×7, first 2 shown]
	s_wait_xcnt 0x0
	s_or_b32 exec_lo, exec_lo, s1
	v_mov_b64_e32 v[64:65], 0
	s_mov_b32 s1, exec_lo
	v_cmpx_gt_i32_e64 s8, v67
	s_cbranch_execz .LBB80_35
; %bb.34:
	v_add_nc_u32_e32 v67, s2, v67
	s_clause 0x1
	global_load_b64 v[40:41], v67, s[6:7] scale_offset
	global_load_b64 v[64:65], v67, s[10:11] scale_offset
.LBB80_35:
	s_wait_xcnt 0x0
	s_or_b32 exec_lo, exec_lo, s1
	s_cmp_eq_u32 s9, 0
	s_cselect_b32 s0, -1, 0
	s_and_saveexec_b32 s1, vcc_lo
	s_cbranch_execnz .LBB80_53
; %bb.36:
	s_or_b32 exec_lo, exec_lo, s1
	s_delay_alu instid0(SALU_CYCLE_1)
	s_mov_b32 s1, exec_lo
	v_cmpx_gt_i32_e64 s8, v0
	s_cbranch_execnz .LBB80_54
.LBB80_37:
	s_or_b32 exec_lo, exec_lo, s1
	s_delay_alu instid0(SALU_CYCLE_1)
	s_mov_b32 s1, exec_lo
	v_cmpx_gt_i32_e64 s8, v0
	s_cbranch_execnz .LBB80_55
.LBB80_38:
	s_or_b32 exec_lo, exec_lo, s1
	s_delay_alu instid0(SALU_CYCLE_1)
	s_mov_b32 s1, exec_lo
	v_cmpx_gt_i32_e64 s8, v0
	s_cbranch_execnz .LBB80_56
.LBB80_39:
	s_or_b32 exec_lo, exec_lo, s1
	s_delay_alu instid0(SALU_CYCLE_1)
	s_mov_b32 s1, exec_lo
	v_cmpx_gt_i32_e64 s8, v0
	s_cbranch_execnz .LBB80_57
.LBB80_40:
	s_or_b32 exec_lo, exec_lo, s1
	s_delay_alu instid0(SALU_CYCLE_1)
	s_mov_b32 s1, exec_lo
	v_cmpx_gt_i32_e64 s8, v0
	s_cbranch_execnz .LBB80_58
.LBB80_41:
	s_or_b32 exec_lo, exec_lo, s1
	s_delay_alu instid0(SALU_CYCLE_1)
	s_mov_b32 s1, exec_lo
	v_cmpx_gt_i32_e64 s8, v0
	s_cbranch_execnz .LBB80_59
.LBB80_42:
	s_or_b32 exec_lo, exec_lo, s1
	s_delay_alu instid0(SALU_CYCLE_1)
	s_mov_b32 s1, exec_lo
	v_cmpx_gt_i32_e64 s8, v0
	s_cbranch_execnz .LBB80_60
.LBB80_43:
	s_or_b32 exec_lo, exec_lo, s1
	s_delay_alu instid0(SALU_CYCLE_1)
	s_mov_b32 s1, exec_lo
	v_cmpx_gt_i32_e64 s8, v0
	s_cbranch_execnz .LBB80_61
.LBB80_44:
	s_or_b32 exec_lo, exec_lo, s1
	s_delay_alu instid0(SALU_CYCLE_1)
	s_mov_b32 s1, exec_lo
	v_cmpx_gt_i32_e64 s8, v0
	s_cbranch_execnz .LBB80_62
.LBB80_45:
	s_or_b32 exec_lo, exec_lo, s1
	s_delay_alu instid0(SALU_CYCLE_1)
	s_mov_b32 s1, exec_lo
	v_cmpx_gt_i32_e64 s8, v0
	s_cbranch_execnz .LBB80_63
.LBB80_46:
	s_or_b32 exec_lo, exec_lo, s1
	s_delay_alu instid0(SALU_CYCLE_1)
	s_mov_b32 s1, exec_lo
	v_cmpx_gt_i32_e64 s8, v0
	s_cbranch_execnz .LBB80_64
.LBB80_47:
	s_or_b32 exec_lo, exec_lo, s1
	s_delay_alu instid0(SALU_CYCLE_1)
	s_mov_b32 s1, exec_lo
	v_cmpx_gt_i32_e64 s8, v0
	s_cbranch_execnz .LBB80_65
.LBB80_48:
	s_or_b32 exec_lo, exec_lo, s1
	s_delay_alu instid0(SALU_CYCLE_1)
	s_mov_b32 s1, exec_lo
	v_cmpx_gt_i32_e64 s8, v0
	s_cbranch_execnz .LBB80_66
.LBB80_49:
	s_or_b32 exec_lo, exec_lo, s1
	s_delay_alu instid0(SALU_CYCLE_1)
	s_mov_b32 s1, exec_lo
	v_cmpx_gt_i32_e64 s8, v0
	s_cbranch_execnz .LBB80_67
.LBB80_50:
	s_or_b32 exec_lo, exec_lo, s1
	s_delay_alu instid0(SALU_CYCLE_1)
	s_mov_b32 s1, exec_lo
	v_cmpx_gt_i32_e64 s8, v0
	s_cbranch_execz .LBB80_52
.LBB80_51:
	s_wait_loadcnt 0x0
	v_cmp_eq_f64_e32 vcc_lo, v[40:41], v[64:65]
	v_add_nc_u32_e32 v0, s2, v0
	v_cndmask_b32_e64 v1, 0, 1, vcc_lo
	v_cmp_neq_f64_e32 vcc_lo, v[40:41], v[64:65]
	v_cndmask_b32_e64 v2, 0, 1, vcc_lo
	s_delay_alu instid0(VALU_DEP_1) | instskip(NEXT) | instid1(VALU_DEP_1)
	v_cndmask_b32_e64 v1, v2, v1, s0
	v_and_b32_e32 v1, 1, v1
	global_store_b8 v0, v1, s[4:5]
.LBB80_52:
	s_sendmsg sendmsg(MSG_DEALLOC_VGPRS)
	s_endpgm
.LBB80_53:
	s_wait_loadcnt 0x0
	v_cmp_eq_f64_e32 vcc_lo, v[10:11], v[12:13]
	v_cndmask_b32_e64 v0, 0, 1, vcc_lo
	v_cmp_neq_f64_e32 vcc_lo, v[10:11], v[12:13]
	v_cndmask_b32_e64 v10, 0, 1, vcc_lo
	s_delay_alu instid0(VALU_DEP_1) | instskip(NEXT) | instid1(VALU_DEP_1)
	v_cndmask_b32_e64 v0, v10, v0, s0
	v_dual_mov_b32 v0, v66 :: v_dual_bitop2_b32 v10, 1, v0 bitop3:0x40
	global_store_b8 v1, v10, s[4:5]
	s_wait_xcnt 0x0
	s_or_b32 exec_lo, exec_lo, s1
	s_delay_alu instid0(SALU_CYCLE_1)
	s_mov_b32 s1, exec_lo
	v_cmpx_gt_i32_e64 s8, v0
	s_cbranch_execz .LBB80_37
.LBB80_54:
	s_wait_loadcnt 0x0
	v_cmp_eq_f64_e32 vcc_lo, v[2:3], v[14:15]
	v_cndmask_b32_e64 v1, 0, 1, vcc_lo
	v_cmp_neq_f64_e32 vcc_lo, v[2:3], v[14:15]
	v_cndmask_b32_e64 v2, 0, 1, vcc_lo
	s_delay_alu instid0(VALU_DEP_1) | instskip(SKIP_1) | instid1(VALU_DEP_2)
	v_dual_cndmask_b32 v1, v2, v1, s0 :: v_dual_add_nc_u32 v2, s2, v0
	v_add_nc_u32_e32 v0, 0x100, v0
	v_and_b32_e32 v1, 1, v1
	global_store_b8 v2, v1, s[4:5]
	s_wait_xcnt 0x0
	s_or_b32 exec_lo, exec_lo, s1
	s_delay_alu instid0(SALU_CYCLE_1)
	s_mov_b32 s1, exec_lo
	v_cmpx_gt_i32_e64 s8, v0
	s_cbranch_execz .LBB80_38
.LBB80_55:
	s_wait_loadcnt 0x0
	v_cmp_eq_f64_e32 vcc_lo, v[18:19], v[20:21]
	v_cndmask_b32_e64 v1, 0, 1, vcc_lo
	v_cmp_neq_f64_e32 vcc_lo, v[18:19], v[20:21]
	v_cndmask_b32_e64 v2, 0, 1, vcc_lo
	s_delay_alu instid0(VALU_DEP_1) | instskip(SKIP_1) | instid1(VALU_DEP_2)
	v_dual_cndmask_b32 v1, v2, v1, s0 :: v_dual_add_nc_u32 v2, s2, v0
	v_add_nc_u32_e32 v0, 0x100, v0
	v_and_b32_e32 v1, 1, v1
	global_store_b8 v2, v1, s[4:5]
	s_wait_xcnt 0x0
	s_or_b32 exec_lo, exec_lo, s1
	s_delay_alu instid0(SALU_CYCLE_1)
	s_mov_b32 s1, exec_lo
	v_cmpx_gt_i32_e64 s8, v0
	s_cbranch_execz .LBB80_39
.LBB80_56:
	s_wait_loadcnt 0x0
	v_cmp_eq_f64_e32 vcc_lo, v[4:5], v[22:23]
	v_cndmask_b32_e64 v1, 0, 1, vcc_lo
	v_cmp_neq_f64_e32 vcc_lo, v[4:5], v[22:23]
	v_cndmask_b32_e64 v2, 0, 1, vcc_lo
	s_delay_alu instid0(VALU_DEP_1) | instskip(SKIP_1) | instid1(VALU_DEP_2)
	v_dual_cndmask_b32 v1, v2, v1, s0 :: v_dual_add_nc_u32 v2, s2, v0
	v_add_nc_u32_e32 v0, 0x100, v0
	v_and_b32_e32 v1, 1, v1
	global_store_b8 v2, v1, s[4:5]
	s_wait_xcnt 0x0
	s_or_b32 exec_lo, exec_lo, s1
	s_delay_alu instid0(SALU_CYCLE_1)
	s_mov_b32 s1, exec_lo
	v_cmpx_gt_i32_e64 s8, v0
	s_cbranch_execz .LBB80_40
.LBB80_57:
	s_wait_loadcnt 0x0
	v_cmp_eq_f64_e32 vcc_lo, v[26:27], v[28:29]
	v_cndmask_b32_e64 v1, 0, 1, vcc_lo
	v_cmp_neq_f64_e32 vcc_lo, v[26:27], v[28:29]
	v_cndmask_b32_e64 v2, 0, 1, vcc_lo
	s_delay_alu instid0(VALU_DEP_1) | instskip(SKIP_1) | instid1(VALU_DEP_2)
	v_dual_cndmask_b32 v1, v2, v1, s0 :: v_dual_add_nc_u32 v2, s2, v0
	v_add_nc_u32_e32 v0, 0x100, v0
	v_and_b32_e32 v1, 1, v1
	global_store_b8 v2, v1, s[4:5]
	s_wait_xcnt 0x0
	s_or_b32 exec_lo, exec_lo, s1
	s_delay_alu instid0(SALU_CYCLE_1)
	s_mov_b32 s1, exec_lo
	v_cmpx_gt_i32_e64 s8, v0
	s_cbranch_execz .LBB80_41
.LBB80_58:
	s_wait_loadcnt 0x0
	v_cmp_eq_f64_e32 vcc_lo, v[6:7], v[30:31]
	v_cndmask_b32_e64 v1, 0, 1, vcc_lo
	v_cmp_neq_f64_e32 vcc_lo, v[6:7], v[30:31]
	v_cndmask_b32_e64 v2, 0, 1, vcc_lo
	s_delay_alu instid0(VALU_DEP_1) | instskip(SKIP_1) | instid1(VALU_DEP_2)
	v_dual_cndmask_b32 v1, v2, v1, s0 :: v_dual_add_nc_u32 v2, s2, v0
	v_add_nc_u32_e32 v0, 0x100, v0
	v_and_b32_e32 v1, 1, v1
	global_store_b8 v2, v1, s[4:5]
	s_wait_xcnt 0x0
	s_or_b32 exec_lo, exec_lo, s1
	s_delay_alu instid0(SALU_CYCLE_1)
	s_mov_b32 s1, exec_lo
	v_cmpx_gt_i32_e64 s8, v0
	s_cbranch_execz .LBB80_42
.LBB80_59:
	s_wait_loadcnt 0x0
	v_cmp_eq_f64_e32 vcc_lo, v[34:35], v[36:37]
	v_cndmask_b32_e64 v1, 0, 1, vcc_lo
	v_cmp_neq_f64_e32 vcc_lo, v[34:35], v[36:37]
	v_cndmask_b32_e64 v2, 0, 1, vcc_lo
	s_delay_alu instid0(VALU_DEP_1) | instskip(SKIP_1) | instid1(VALU_DEP_2)
	v_dual_cndmask_b32 v1, v2, v1, s0 :: v_dual_add_nc_u32 v2, s2, v0
	v_add_nc_u32_e32 v0, 0x100, v0
	v_and_b32_e32 v1, 1, v1
	global_store_b8 v2, v1, s[4:5]
	s_wait_xcnt 0x0
	s_or_b32 exec_lo, exec_lo, s1
	s_delay_alu instid0(SALU_CYCLE_1)
	s_mov_b32 s1, exec_lo
	v_cmpx_gt_i32_e64 s8, v0
	s_cbranch_execz .LBB80_43
.LBB80_60:
	s_wait_loadcnt 0x0
	v_cmp_eq_f64_e32 vcc_lo, v[8:9], v[38:39]
	v_cndmask_b32_e64 v1, 0, 1, vcc_lo
	v_cmp_neq_f64_e32 vcc_lo, v[8:9], v[38:39]
	v_cndmask_b32_e64 v2, 0, 1, vcc_lo
	s_delay_alu instid0(VALU_DEP_1) | instskip(SKIP_1) | instid1(VALU_DEP_2)
	v_dual_cndmask_b32 v1, v2, v1, s0 :: v_dual_add_nc_u32 v2, s2, v0
	v_add_nc_u32_e32 v0, 0x100, v0
	v_and_b32_e32 v1, 1, v1
	global_store_b8 v2, v1, s[4:5]
	s_wait_xcnt 0x0
	s_or_b32 exec_lo, exec_lo, s1
	s_delay_alu instid0(SALU_CYCLE_1)
	s_mov_b32 s1, exec_lo
	v_cmpx_gt_i32_e64 s8, v0
	s_cbranch_execz .LBB80_44
.LBB80_61:
	s_wait_loadcnt 0x0
	v_cmp_eq_f64_e32 vcc_lo, v[42:43], v[44:45]
	v_cndmask_b32_e64 v1, 0, 1, vcc_lo
	v_cmp_neq_f64_e32 vcc_lo, v[42:43], v[44:45]
	v_cndmask_b32_e64 v2, 0, 1, vcc_lo
	s_delay_alu instid0(VALU_DEP_1) | instskip(SKIP_1) | instid1(VALU_DEP_2)
	v_dual_cndmask_b32 v1, v2, v1, s0 :: v_dual_add_nc_u32 v2, s2, v0
	v_add_nc_u32_e32 v0, 0x100, v0
	v_and_b32_e32 v1, 1, v1
	global_store_b8 v2, v1, s[4:5]
	s_wait_xcnt 0x0
	s_or_b32 exec_lo, exec_lo, s1
	s_delay_alu instid0(SALU_CYCLE_1)
	s_mov_b32 s1, exec_lo
	v_cmpx_gt_i32_e64 s8, v0
	s_cbranch_execz .LBB80_45
.LBB80_62:
	s_wait_loadcnt 0x0
	v_cmp_eq_f64_e32 vcc_lo, v[16:17], v[46:47]
	v_cndmask_b32_e64 v1, 0, 1, vcc_lo
	v_cmp_neq_f64_e32 vcc_lo, v[16:17], v[46:47]
	v_cndmask_b32_e64 v2, 0, 1, vcc_lo
	s_delay_alu instid0(VALU_DEP_1) | instskip(SKIP_1) | instid1(VALU_DEP_2)
	v_dual_cndmask_b32 v1, v2, v1, s0 :: v_dual_add_nc_u32 v2, s2, v0
	v_add_nc_u32_e32 v0, 0x100, v0
	v_and_b32_e32 v1, 1, v1
	global_store_b8 v2, v1, s[4:5]
	s_wait_xcnt 0x0
	s_or_b32 exec_lo, exec_lo, s1
	s_delay_alu instid0(SALU_CYCLE_1)
	s_mov_b32 s1, exec_lo
	v_cmpx_gt_i32_e64 s8, v0
	s_cbranch_execz .LBB80_46
.LBB80_63:
	s_wait_loadcnt 0x0
	v_cmp_eq_f64_e32 vcc_lo, v[48:49], v[50:51]
	v_cndmask_b32_e64 v1, 0, 1, vcc_lo
	v_cmp_neq_f64_e32 vcc_lo, v[48:49], v[50:51]
	v_cndmask_b32_e64 v2, 0, 1, vcc_lo
	s_delay_alu instid0(VALU_DEP_1) | instskip(SKIP_1) | instid1(VALU_DEP_2)
	v_dual_cndmask_b32 v1, v2, v1, s0 :: v_dual_add_nc_u32 v2, s2, v0
	v_add_nc_u32_e32 v0, 0x100, v0
	v_and_b32_e32 v1, 1, v1
	global_store_b8 v2, v1, s[4:5]
	s_wait_xcnt 0x0
	s_or_b32 exec_lo, exec_lo, s1
	s_delay_alu instid0(SALU_CYCLE_1)
	s_mov_b32 s1, exec_lo
	v_cmpx_gt_i32_e64 s8, v0
	s_cbranch_execz .LBB80_47
.LBB80_64:
	s_wait_loadcnt 0x0
	v_cmp_eq_f64_e32 vcc_lo, v[24:25], v[52:53]
	v_cndmask_b32_e64 v1, 0, 1, vcc_lo
	v_cmp_neq_f64_e32 vcc_lo, v[24:25], v[52:53]
	v_cndmask_b32_e64 v2, 0, 1, vcc_lo
	s_delay_alu instid0(VALU_DEP_1) | instskip(SKIP_1) | instid1(VALU_DEP_2)
	v_dual_cndmask_b32 v1, v2, v1, s0 :: v_dual_add_nc_u32 v2, s2, v0
	v_add_nc_u32_e32 v0, 0x100, v0
	v_and_b32_e32 v1, 1, v1
	global_store_b8 v2, v1, s[4:5]
	s_wait_xcnt 0x0
	s_or_b32 exec_lo, exec_lo, s1
	s_delay_alu instid0(SALU_CYCLE_1)
	s_mov_b32 s1, exec_lo
	v_cmpx_gt_i32_e64 s8, v0
	s_cbranch_execz .LBB80_48
.LBB80_65:
	s_wait_loadcnt 0x0
	v_cmp_eq_f64_e32 vcc_lo, v[54:55], v[56:57]
	v_cndmask_b32_e64 v1, 0, 1, vcc_lo
	v_cmp_neq_f64_e32 vcc_lo, v[54:55], v[56:57]
	v_cndmask_b32_e64 v2, 0, 1, vcc_lo
	s_delay_alu instid0(VALU_DEP_1) | instskip(SKIP_1) | instid1(VALU_DEP_2)
	v_dual_cndmask_b32 v1, v2, v1, s0 :: v_dual_add_nc_u32 v2, s2, v0
	v_add_nc_u32_e32 v0, 0x100, v0
	v_and_b32_e32 v1, 1, v1
	global_store_b8 v2, v1, s[4:5]
	s_wait_xcnt 0x0
	s_or_b32 exec_lo, exec_lo, s1
	s_delay_alu instid0(SALU_CYCLE_1)
	s_mov_b32 s1, exec_lo
	v_cmpx_gt_i32_e64 s8, v0
	s_cbranch_execz .LBB80_49
.LBB80_66:
	s_wait_loadcnt 0x0
	v_cmp_eq_f64_e32 vcc_lo, v[32:33], v[58:59]
	v_cndmask_b32_e64 v1, 0, 1, vcc_lo
	v_cmp_neq_f64_e32 vcc_lo, v[32:33], v[58:59]
	v_cndmask_b32_e64 v2, 0, 1, vcc_lo
	s_delay_alu instid0(VALU_DEP_1) | instskip(SKIP_1) | instid1(VALU_DEP_2)
	v_dual_cndmask_b32 v1, v2, v1, s0 :: v_dual_add_nc_u32 v2, s2, v0
	v_add_nc_u32_e32 v0, 0x100, v0
	v_and_b32_e32 v1, 1, v1
	global_store_b8 v2, v1, s[4:5]
	s_wait_xcnt 0x0
	s_or_b32 exec_lo, exec_lo, s1
	s_delay_alu instid0(SALU_CYCLE_1)
	s_mov_b32 s1, exec_lo
	v_cmpx_gt_i32_e64 s8, v0
	s_cbranch_execz .LBB80_50
.LBB80_67:
	s_wait_loadcnt 0x0
	v_cmp_eq_f64_e32 vcc_lo, v[60:61], v[62:63]
	v_cndmask_b32_e64 v1, 0, 1, vcc_lo
	v_cmp_neq_f64_e32 vcc_lo, v[60:61], v[62:63]
	v_cndmask_b32_e64 v2, 0, 1, vcc_lo
	s_delay_alu instid0(VALU_DEP_1) | instskip(SKIP_1) | instid1(VALU_DEP_2)
	v_dual_cndmask_b32 v1, v2, v1, s0 :: v_dual_add_nc_u32 v2, s2, v0
	v_add_nc_u32_e32 v0, 0x100, v0
	v_and_b32_e32 v1, 1, v1
	global_store_b8 v2, v1, s[4:5]
	s_wait_xcnt 0x0
	s_or_b32 exec_lo, exec_lo, s1
	s_delay_alu instid0(SALU_CYCLE_1)
	s_mov_b32 s1, exec_lo
	v_cmpx_gt_i32_e64 s8, v0
	s_cbranch_execnz .LBB80_51
	s_branch .LBB80_52
	.section	.rodata,"a",@progbits
	.p2align	6, 0x0
	.amdhsa_kernel _ZN2at6native29vectorized_elementwise_kernelILi16ENS0_13BinaryFunctorIddbNS0_12_GLOBAL__N_116CompareEqFunctorIdEEEESt5arrayIPcLm3EEEEviT0_T1_
		.amdhsa_group_segment_fixed_size 0
		.amdhsa_private_segment_fixed_size 0
		.amdhsa_kernarg_size 32
		.amdhsa_user_sgpr_count 2
		.amdhsa_user_sgpr_dispatch_ptr 0
		.amdhsa_user_sgpr_queue_ptr 0
		.amdhsa_user_sgpr_kernarg_segment_ptr 1
		.amdhsa_user_sgpr_dispatch_id 0
		.amdhsa_user_sgpr_kernarg_preload_length 0
		.amdhsa_user_sgpr_kernarg_preload_offset 0
		.amdhsa_user_sgpr_private_segment_size 0
		.amdhsa_wavefront_size32 1
		.amdhsa_uses_dynamic_stack 0
		.amdhsa_enable_private_segment 0
		.amdhsa_system_sgpr_workgroup_id_x 1
		.amdhsa_system_sgpr_workgroup_id_y 0
		.amdhsa_system_sgpr_workgroup_id_z 0
		.amdhsa_system_sgpr_workgroup_info 0
		.amdhsa_system_vgpr_workitem_id 0
		.amdhsa_next_free_vgpr 68
		.amdhsa_next_free_sgpr 14
		.amdhsa_named_barrier_count 0
		.amdhsa_reserve_vcc 1
		.amdhsa_float_round_mode_32 0
		.amdhsa_float_round_mode_16_64 0
		.amdhsa_float_denorm_mode_32 3
		.amdhsa_float_denorm_mode_16_64 3
		.amdhsa_fp16_overflow 0
		.amdhsa_memory_ordered 1
		.amdhsa_forward_progress 1
		.amdhsa_inst_pref_size 33
		.amdhsa_round_robin_scheduling 0
		.amdhsa_exception_fp_ieee_invalid_op 0
		.amdhsa_exception_fp_denorm_src 0
		.amdhsa_exception_fp_ieee_div_zero 0
		.amdhsa_exception_fp_ieee_overflow 0
		.amdhsa_exception_fp_ieee_underflow 0
		.amdhsa_exception_fp_ieee_inexact 0
		.amdhsa_exception_int_div_zero 0
	.end_amdhsa_kernel
	.section	.text._ZN2at6native29vectorized_elementwise_kernelILi16ENS0_13BinaryFunctorIddbNS0_12_GLOBAL__N_116CompareEqFunctorIdEEEESt5arrayIPcLm3EEEEviT0_T1_,"axG",@progbits,_ZN2at6native29vectorized_elementwise_kernelILi16ENS0_13BinaryFunctorIddbNS0_12_GLOBAL__N_116CompareEqFunctorIdEEEESt5arrayIPcLm3EEEEviT0_T1_,comdat
.Lfunc_end80:
	.size	_ZN2at6native29vectorized_elementwise_kernelILi16ENS0_13BinaryFunctorIddbNS0_12_GLOBAL__N_116CompareEqFunctorIdEEEESt5arrayIPcLm3EEEEviT0_T1_, .Lfunc_end80-_ZN2at6native29vectorized_elementwise_kernelILi16ENS0_13BinaryFunctorIddbNS0_12_GLOBAL__N_116CompareEqFunctorIdEEEESt5arrayIPcLm3EEEEviT0_T1_
                                        ; -- End function
	.set _ZN2at6native29vectorized_elementwise_kernelILi16ENS0_13BinaryFunctorIddbNS0_12_GLOBAL__N_116CompareEqFunctorIdEEEESt5arrayIPcLm3EEEEviT0_T1_.num_vgpr, 68
	.set _ZN2at6native29vectorized_elementwise_kernelILi16ENS0_13BinaryFunctorIddbNS0_12_GLOBAL__N_116CompareEqFunctorIdEEEESt5arrayIPcLm3EEEEviT0_T1_.num_agpr, 0
	.set _ZN2at6native29vectorized_elementwise_kernelILi16ENS0_13BinaryFunctorIddbNS0_12_GLOBAL__N_116CompareEqFunctorIdEEEESt5arrayIPcLm3EEEEviT0_T1_.numbered_sgpr, 14
	.set _ZN2at6native29vectorized_elementwise_kernelILi16ENS0_13BinaryFunctorIddbNS0_12_GLOBAL__N_116CompareEqFunctorIdEEEESt5arrayIPcLm3EEEEviT0_T1_.num_named_barrier, 0
	.set _ZN2at6native29vectorized_elementwise_kernelILi16ENS0_13BinaryFunctorIddbNS0_12_GLOBAL__N_116CompareEqFunctorIdEEEESt5arrayIPcLm3EEEEviT0_T1_.private_seg_size, 0
	.set _ZN2at6native29vectorized_elementwise_kernelILi16ENS0_13BinaryFunctorIddbNS0_12_GLOBAL__N_116CompareEqFunctorIdEEEESt5arrayIPcLm3EEEEviT0_T1_.uses_vcc, 1
	.set _ZN2at6native29vectorized_elementwise_kernelILi16ENS0_13BinaryFunctorIddbNS0_12_GLOBAL__N_116CompareEqFunctorIdEEEESt5arrayIPcLm3EEEEviT0_T1_.uses_flat_scratch, 0
	.set _ZN2at6native29vectorized_elementwise_kernelILi16ENS0_13BinaryFunctorIddbNS0_12_GLOBAL__N_116CompareEqFunctorIdEEEESt5arrayIPcLm3EEEEviT0_T1_.has_dyn_sized_stack, 0
	.set _ZN2at6native29vectorized_elementwise_kernelILi16ENS0_13BinaryFunctorIddbNS0_12_GLOBAL__N_116CompareEqFunctorIdEEEESt5arrayIPcLm3EEEEviT0_T1_.has_recursion, 0
	.set _ZN2at6native29vectorized_elementwise_kernelILi16ENS0_13BinaryFunctorIddbNS0_12_GLOBAL__N_116CompareEqFunctorIdEEEESt5arrayIPcLm3EEEEviT0_T1_.has_indirect_call, 0
	.section	.AMDGPU.csdata,"",@progbits
; Kernel info:
; codeLenInByte = 4132
; TotalNumSgprs: 16
; NumVgprs: 68
; ScratchSize: 0
; MemoryBound: 1
; FloatMode: 240
; IeeeMode: 1
; LDSByteSize: 0 bytes/workgroup (compile time only)
; SGPRBlocks: 0
; VGPRBlocks: 4
; NumSGPRsForWavesPerEU: 16
; NumVGPRsForWavesPerEU: 68
; NamedBarCnt: 0
; Occupancy: 12
; WaveLimiterHint : 0
; COMPUTE_PGM_RSRC2:SCRATCH_EN: 0
; COMPUTE_PGM_RSRC2:USER_SGPR: 2
; COMPUTE_PGM_RSRC2:TRAP_HANDLER: 0
; COMPUTE_PGM_RSRC2:TGID_X_EN: 1
; COMPUTE_PGM_RSRC2:TGID_Y_EN: 0
; COMPUTE_PGM_RSRC2:TGID_Z_EN: 0
; COMPUTE_PGM_RSRC2:TIDIG_COMP_CNT: 0
	.section	.text._ZN2at6native29vectorized_elementwise_kernelILi8ENS0_13BinaryFunctorIddbNS0_12_GLOBAL__N_116CompareEqFunctorIdEEEESt5arrayIPcLm3EEEEviT0_T1_,"axG",@progbits,_ZN2at6native29vectorized_elementwise_kernelILi8ENS0_13BinaryFunctorIddbNS0_12_GLOBAL__N_116CompareEqFunctorIdEEEESt5arrayIPcLm3EEEEviT0_T1_,comdat
	.globl	_ZN2at6native29vectorized_elementwise_kernelILi8ENS0_13BinaryFunctorIddbNS0_12_GLOBAL__N_116CompareEqFunctorIdEEEESt5arrayIPcLm3EEEEviT0_T1_ ; -- Begin function _ZN2at6native29vectorized_elementwise_kernelILi8ENS0_13BinaryFunctorIddbNS0_12_GLOBAL__N_116CompareEqFunctorIdEEEESt5arrayIPcLm3EEEEviT0_T1_
	.p2align	8
	.type	_ZN2at6native29vectorized_elementwise_kernelILi8ENS0_13BinaryFunctorIddbNS0_12_GLOBAL__N_116CompareEqFunctorIdEEEESt5arrayIPcLm3EEEEviT0_T1_,@function
_ZN2at6native29vectorized_elementwise_kernelILi8ENS0_13BinaryFunctorIddbNS0_12_GLOBAL__N_116CompareEqFunctorIdEEEESt5arrayIPcLm3EEEEviT0_T1_: ; @_ZN2at6native29vectorized_elementwise_kernelILi8ENS0_13BinaryFunctorIddbNS0_12_GLOBAL__N_116CompareEqFunctorIdEEEESt5arrayIPcLm3EEEEviT0_T1_
; %bb.0:
	s_clause 0x2
	s_load_b64 s[8:9], s[0:1], 0x0
	s_load_b128 s[4:7], s[0:1], 0x8
	s_load_b64 s[10:11], s[0:1], 0x18
	s_wait_xcnt 0x0
	s_bfe_u32 s0, ttmp6, 0x4000c
	s_and_b32 s1, ttmp6, 15
	s_add_co_i32 s0, s0, 1
	s_getreg_b32 s2, hwreg(HW_REG_IB_STS2, 6, 4)
	s_mul_i32 s0, ttmp9, s0
	s_delay_alu instid0(SALU_CYCLE_1) | instskip(SKIP_2) | instid1(SALU_CYCLE_1)
	s_add_co_i32 s1, s1, s0
	s_cmp_eq_u32 s2, 0
	s_cselect_b32 s0, ttmp9, s1
	s_lshl_b32 s2, s0, 12
	s_mov_b32 s0, -1
	s_wait_kmcnt 0x0
	s_sub_co_i32 s1, s8, s2
	s_delay_alu instid0(SALU_CYCLE_1)
	s_cmp_gt_i32 s1, 0xfff
	s_cbranch_scc0 .LBB81_2
; %bb.1:
	s_ashr_i32 s3, s2, 31
	v_lshlrev_b32_e32 v1, 6, v0
	s_lshl_b64 s[12:13], s[2:3], 3
	s_cmp_eq_u32 s9, 0
	s_add_nc_u64 s[14:15], s[10:11], s[12:13]
	s_add_nc_u64 s[12:13], s[6:7], s[12:13]
	s_clause 0xf
	global_load_b128 v[2:5], v1, s[14:15]
	global_load_b128 v[6:9], v1, s[12:13]
	global_load_b128 v[10:13], v1, s[12:13] offset:16
	global_load_b128 v[14:17], v1, s[14:15] offset:16
	;; [unrolled: 1-line block ×13, first 2 shown]
	; meta instruction
	global_load_b128 v[62:65], v1, s[14:15] offset:16432
	s_wait_xcnt 0x0
	v_or3_b32 v1, 0, 0, 0
	s_add_nc_u64 s[12:13], s[4:5], s[2:3]
	s_mov_b32 s0, 0
	s_wait_loadcnt 0xe
	v_cmp_eq_f64_e32 vcc_lo, v[6:7], v[2:3]
	v_cndmask_b32_e64 v66, 0, 1, vcc_lo
	v_cmp_neq_f64_e32 vcc_lo, v[6:7], v[2:3]
	v_cndmask_b32_e64 v2, 0, 1, vcc_lo
	v_cmp_eq_f64_e32 vcc_lo, v[8:9], v[4:5]
	v_cndmask_b32_e64 v3, 0, 1, vcc_lo
	v_cmp_neq_f64_e32 vcc_lo, v[8:9], v[4:5]
	v_cndmask_b32_e64 v4, 0, 1, vcc_lo
	s_wait_loadcnt 0xc
	v_cmp_eq_f64_e32 vcc_lo, v[10:11], v[14:15]
	v_cndmask_b32_e64 v5, 0, 1, vcc_lo
	v_cmp_neq_f64_e32 vcc_lo, v[10:11], v[14:15]
	v_cndmask_b32_e64 v6, 0, 1, vcc_lo
	v_cmp_eq_f64_e32 vcc_lo, v[12:13], v[16:17]
	v_cndmask_b32_e64 v7, 0, 1, vcc_lo
	v_cmp_neq_f64_e32 vcc_lo, v[12:13], v[16:17]
	v_cndmask_b32_e64 v8, 0, 1, vcc_lo
	;; [unrolled: 9-line block ×8, first 2 shown]
	s_cselect_b32 vcc_lo, -1, 0
	v_dual_cndmask_b32 v3, v4, v3 :: v_dual_cndmask_b32 v4, v6, v5
	v_dual_cndmask_b32 v2, v2, v66 :: v_dual_cndmask_b32 v5, v8, v7
	s_delay_alu instid0(VALU_DEP_2)
	v_dual_cndmask_b32 v6, v10, v9, vcc_lo :: v_dual_bitop2_b32 v3, 1, v3 bitop3:0x40
	v_dual_cndmask_b32 v7, v12, v11 :: v_dual_cndmask_b32 v8, v14, v13
	v_dual_cndmask_b32 v9, v16, v15 :: v_dual_cndmask_b32 v10, v18, v17
	;; [unrolled: 1-line block ×5, first 2 shown]
	v_dual_cndmask_b32 v17, v32, v31, vcc_lo :: v_dual_bitop2_b32 v2, 1, v2 bitop3:0x40
	v_and_b32_e32 v4, 1, v4
	v_cmp_eq_u32_e32 vcc_lo, 1, v3
	v_and_b32_e32 v5, 1, v5
	v_and_b32_e32 v6, 1, v6
	v_and_b32_e32 v7, 1, v7
	v_and_b32_e32 v8, 1, v8
	v_cndmask_b32_e64 v3, 0, 0x100, vcc_lo
	v_cmp_eq_u32_e32 vcc_lo, 1, v4
	v_and_b32_e32 v9, 1, v9
	v_and_b32_e32 v11, 1, v11
	v_and_b32_e32 v12, 1, v12
	v_and_b32_e32 v13, 1, v13
	v_cndmask_b32_e64 v4, 0, 0x10000, vcc_lo
	;; [unrolled: 6-line block ×3, first 2 shown]
	v_cmp_eq_u32_e32 vcc_lo, 1, v6
	v_or_b32_e32 v2, v3, v2
	v_and_b32_e32 v17, 1, v17
	v_cndmask_b32_e64 v6, 0, 1, vcc_lo
	v_cmp_eq_u32_e32 vcc_lo, 1, v7
	s_delay_alu instid0(VALU_DEP_4) | instskip(SKIP_2) | instid1(VALU_DEP_3)
	v_or3_b32 v2, v2, v4, v5
	v_cndmask_b32_e64 v7, 0, 0x100, vcc_lo
	v_cmp_eq_u32_e32 vcc_lo, 1, v8
	v_or3_b32 v2, v2, 0, 0
	s_delay_alu instid0(VALU_DEP_3) | instskip(SKIP_2) | instid1(VALU_DEP_4)
	v_or3_b32 v5, v1, v6, v7
	v_cndmask_b32_e64 v8, 0, 0x10000, vcc_lo
	v_cmp_eq_u32_e32 vcc_lo, 1, v9
	v_or3_b32 v2, v2, 0, 0
	v_cndmask_b32_e64 v9, 0, 0x1000000, vcc_lo
	v_cmp_eq_u32_e32 vcc_lo, 1, v11
	v_cndmask_b32_e64 v11, 0, 0x100, vcc_lo
	v_cmp_eq_u32_e32 vcc_lo, 1, v12
	s_delay_alu instid0(VALU_DEP_2) | instskip(SKIP_4) | instid1(VALU_DEP_2)
	v_or_b32_e32 v3, v11, v10
	v_cndmask_b32_e64 v12, 0, 0x10000, vcc_lo
	v_cmp_eq_u32_e32 vcc_lo, 1, v13
	v_cndmask_b32_e64 v13, 0, 0x1000000, vcc_lo
	v_cmp_eq_u32_e32 vcc_lo, 1, v14
	v_or3_b32 v3, v3, v12, v13
	v_cndmask_b32_e64 v14, 0, 1, vcc_lo
	v_cmp_eq_u32_e32 vcc_lo, 1, v15
	s_delay_alu instid0(VALU_DEP_3) | instskip(SKIP_3) | instid1(VALU_DEP_2)
	v_or3_b32 v6, v3, 0, 0
	v_or3_b32 v3, v5, v8, v9
	v_cndmask_b32_e64 v10, 0, 0x100, vcc_lo
	v_cmp_eq_u32_e32 vcc_lo, 1, v16
	v_or3_b32 v1, v1, v14, v10
	v_cndmask_b32_e64 v11, 0, 0x10000, vcc_lo
	v_cmp_eq_u32_e32 vcc_lo, 1, v17
	v_cndmask_b32_e64 v4, 0, 0x1000000, vcc_lo
	s_delay_alu instid0(VALU_DEP_1)
	v_or3_b32 v5, v1, v11, v4
	v_or3_b32 v4, v6, 0, 0
	s_clause 0x1
	global_store_b64 v0, v[2:3], s[12:13] scale_offset
	global_store_b64 v0, v[4:5], s[12:13] offset:2048 scale_offset
.LBB81_2:
	s_and_not1_b32 vcc_lo, exec_lo, s0
	s_cbranch_vccnz .LBB81_52
; %bb.3:
	s_wait_xcnt 0x1
	v_mov_b64_e32 v[2:3], 0
	v_mov_b64_e32 v[10:11], 0
	;; [unrolled: 1-line block ×3, first 2 shown]
	v_cmp_gt_i32_e32 vcc_lo, s1, v0
	v_dual_mov_b32 v67, v0 :: v_dual_bitop2_b32 v1, s2, v0 bitop3:0x54
	v_or_b32_e32 v66, 0x100, v0
	s_wait_xcnt 0x0
	s_and_saveexec_b32 s0, vcc_lo
	s_cbranch_execz .LBB81_5
; %bb.4:
	s_clause 0x1
	global_load_b64 v[10:11], v1, s[6:7] scale_offset
	global_load_b64 v[12:13], v1, s[10:11] scale_offset
	v_or_b32_e32 v67, 0x100, v0
.LBB81_5:
	s_wait_xcnt 0x0
	s_or_b32 exec_lo, exec_lo, s0
	v_mov_b64_e32 v[14:15], 0
	s_mov_b32 s3, exec_lo
	v_cmpx_gt_i32_e64 s1, v67
	s_cbranch_execz .LBB81_7
; %bb.6:
	v_add_nc_u32_e32 v4, s2, v67
	v_add_nc_u32_e32 v67, 0x100, v67
	s_clause 0x1
	global_load_b64 v[2:3], v4, s[6:7] scale_offset
	global_load_b64 v[14:15], v4, s[10:11] scale_offset
.LBB81_7:
	s_wait_xcnt 0x0
	s_or_b32 exec_lo, exec_lo, s3
	v_mov_b64_e32 v[4:5], 0
	v_mov_b64_e32 v[18:19], 0
	v_mov_b64_e32 v[20:21], 0
	s_mov_b32 s3, exec_lo
	v_cmpx_gt_i32_e64 s1, v67
	s_cbranch_execz .LBB81_9
; %bb.8:
	v_add_nc_u32_e32 v6, s2, v67
	v_add_nc_u32_e32 v67, 0x100, v67
	s_clause 0x1
	global_load_b64 v[18:19], v6, s[6:7] scale_offset
	global_load_b64 v[20:21], v6, s[10:11] scale_offset
.LBB81_9:
	s_wait_xcnt 0x0
	s_or_b32 exec_lo, exec_lo, s3
	v_mov_b64_e32 v[22:23], 0
	s_mov_b32 s3, exec_lo
	v_cmpx_gt_i32_e64 s1, v67
	s_cbranch_execz .LBB81_11
; %bb.10:
	v_add_nc_u32_e32 v6, s2, v67
	v_add_nc_u32_e32 v67, 0x100, v67
	s_clause 0x1
	global_load_b64 v[4:5], v6, s[6:7] scale_offset
	global_load_b64 v[22:23], v6, s[10:11] scale_offset
.LBB81_11:
	s_wait_xcnt 0x0
	s_or_b32 exec_lo, exec_lo, s3
	v_mov_b64_e32 v[6:7], 0
	v_mov_b64_e32 v[26:27], 0
	v_mov_b64_e32 v[28:29], 0
	s_mov_b32 s3, exec_lo
	v_cmpx_gt_i32_e64 s1, v67
	s_cbranch_execz .LBB81_13
; %bb.12:
	v_add_nc_u32_e32 v8, s2, v67
	v_add_nc_u32_e32 v67, 0x100, v67
	s_clause 0x1
	global_load_b64 v[26:27], v8, s[6:7] scale_offset
	global_load_b64 v[28:29], v8, s[10:11] scale_offset
.LBB81_13:
	s_wait_xcnt 0x0
	s_or_b32 exec_lo, exec_lo, s3
	v_mov_b64_e32 v[30:31], 0
	s_mov_b32 s3, exec_lo
	v_cmpx_gt_i32_e64 s1, v67
	s_cbranch_execz .LBB81_15
; %bb.14:
	v_add_nc_u32_e32 v8, s2, v67
	v_add_nc_u32_e32 v67, 0x100, v67
	s_clause 0x1
	global_load_b64 v[6:7], v8, s[6:7] scale_offset
	global_load_b64 v[30:31], v8, s[10:11] scale_offset
.LBB81_15:
	s_wait_xcnt 0x0
	s_or_b32 exec_lo, exec_lo, s3
	v_mov_b64_e32 v[8:9], 0
	v_mov_b64_e32 v[34:35], 0
	v_mov_b64_e32 v[36:37], 0
	s_mov_b32 s3, exec_lo
	v_cmpx_gt_i32_e64 s1, v67
	s_cbranch_execz .LBB81_17
; %bb.16:
	v_add_nc_u32_e32 v16, s2, v67
	v_add_nc_u32_e32 v67, 0x100, v67
	s_clause 0x1
	global_load_b64 v[34:35], v16, s[6:7] scale_offset
	global_load_b64 v[36:37], v16, s[10:11] scale_offset
.LBB81_17:
	s_wait_xcnt 0x0
	s_or_b32 exec_lo, exec_lo, s3
	v_mov_b64_e32 v[38:39], 0
	s_mov_b32 s3, exec_lo
	v_cmpx_gt_i32_e64 s1, v67
	s_cbranch_execz .LBB81_19
; %bb.18:
	v_add_nc_u32_e32 v16, s2, v67
	v_add_nc_u32_e32 v67, 0x100, v67
	s_clause 0x1
	global_load_b64 v[8:9], v16, s[6:7] scale_offset
	global_load_b64 v[38:39], v16, s[10:11] scale_offset
.LBB81_19:
	s_wait_xcnt 0x0
	s_or_b32 exec_lo, exec_lo, s3
	v_mov_b64_e32 v[16:17], 0
	v_mov_b64_e32 v[42:43], 0
	v_mov_b64_e32 v[44:45], 0
	s_mov_b32 s3, exec_lo
	v_cmpx_gt_i32_e64 s1, v67
	s_cbranch_execz .LBB81_21
; %bb.20:
	v_add_nc_u32_e32 v24, s2, v67
	v_add_nc_u32_e32 v67, 0x100, v67
	s_clause 0x1
	global_load_b64 v[42:43], v24, s[6:7] scale_offset
	global_load_b64 v[44:45], v24, s[10:11] scale_offset
.LBB81_21:
	s_wait_xcnt 0x0
	s_or_b32 exec_lo, exec_lo, s3
	v_mov_b64_e32 v[46:47], 0
	s_mov_b32 s3, exec_lo
	v_cmpx_gt_i32_e64 s1, v67
	s_cbranch_execz .LBB81_23
; %bb.22:
	v_add_nc_u32_e32 v24, s2, v67
	v_add_nc_u32_e32 v67, 0x100, v67
	s_clause 0x1
	global_load_b64 v[16:17], v24, s[6:7] scale_offset
	global_load_b64 v[46:47], v24, s[10:11] scale_offset
.LBB81_23:
	s_wait_xcnt 0x0
	s_or_b32 exec_lo, exec_lo, s3
	v_mov_b64_e32 v[24:25], 0
	v_mov_b64_e32 v[48:49], 0
	v_mov_b64_e32 v[50:51], 0
	s_mov_b32 s3, exec_lo
	v_cmpx_gt_i32_e64 s1, v67
	s_cbranch_execz .LBB81_25
; %bb.24:
	v_add_nc_u32_e32 v32, s2, v67
	v_add_nc_u32_e32 v67, 0x100, v67
	s_clause 0x1
	global_load_b64 v[48:49], v32, s[6:7] scale_offset
	global_load_b64 v[50:51], v32, s[10:11] scale_offset
.LBB81_25:
	s_wait_xcnt 0x0
	s_or_b32 exec_lo, exec_lo, s3
	v_mov_b64_e32 v[52:53], 0
	s_mov_b32 s3, exec_lo
	v_cmpx_gt_i32_e64 s1, v67
	s_cbranch_execz .LBB81_27
; %bb.26:
	v_add_nc_u32_e32 v32, s2, v67
	v_add_nc_u32_e32 v67, 0x100, v67
	s_clause 0x1
	global_load_b64 v[24:25], v32, s[6:7] scale_offset
	global_load_b64 v[52:53], v32, s[10:11] scale_offset
.LBB81_27:
	s_wait_xcnt 0x0
	s_or_b32 exec_lo, exec_lo, s3
	v_mov_b64_e32 v[32:33], 0
	v_mov_b64_e32 v[54:55], 0
	v_mov_b64_e32 v[56:57], 0
	s_mov_b32 s3, exec_lo
	v_cmpx_gt_i32_e64 s1, v67
	s_cbranch_execz .LBB81_29
; %bb.28:
	v_add_nc_u32_e32 v40, s2, v67
	v_add_nc_u32_e32 v67, 0x100, v67
	s_clause 0x1
	global_load_b64 v[54:55], v40, s[6:7] scale_offset
	global_load_b64 v[56:57], v40, s[10:11] scale_offset
.LBB81_29:
	s_wait_xcnt 0x0
	s_or_b32 exec_lo, exec_lo, s3
	v_mov_b64_e32 v[58:59], 0
	s_mov_b32 s3, exec_lo
	v_cmpx_gt_i32_e64 s1, v67
	s_cbranch_execz .LBB81_31
; %bb.30:
	v_add_nc_u32_e32 v40, s2, v67
	v_add_nc_u32_e32 v67, 0x100, v67
	s_clause 0x1
	global_load_b64 v[32:33], v40, s[6:7] scale_offset
	global_load_b64 v[58:59], v40, s[10:11] scale_offset
.LBB81_31:
	s_wait_xcnt 0x0
	s_or_b32 exec_lo, exec_lo, s3
	v_mov_b64_e32 v[40:41], 0
	v_mov_b64_e32 v[60:61], 0
	v_mov_b64_e32 v[62:63], 0
	s_mov_b32 s3, exec_lo
	v_cmpx_gt_i32_e64 s1, v67
	s_cbranch_execz .LBB81_33
; %bb.32:
	v_add_nc_u32_e32 v64, s2, v67
	v_add_nc_u32_e32 v67, 0x100, v67
	s_clause 0x1
	global_load_b64 v[60:61], v64, s[6:7] scale_offset
	global_load_b64 v[62:63], v64, s[10:11] scale_offset
.LBB81_33:
	s_wait_xcnt 0x0
	s_or_b32 exec_lo, exec_lo, s3
	v_mov_b64_e32 v[64:65], 0
	s_mov_b32 s3, exec_lo
	v_cmpx_gt_i32_e64 s1, v67
	s_cbranch_execz .LBB81_35
; %bb.34:
	v_add_nc_u32_e32 v67, s2, v67
	s_clause 0x1
	global_load_b64 v[40:41], v67, s[6:7] scale_offset
	global_load_b64 v[64:65], v67, s[10:11] scale_offset
.LBB81_35:
	s_wait_xcnt 0x0
	s_or_b32 exec_lo, exec_lo, s3
	s_cmp_eq_u32 s9, 0
	s_cselect_b32 s0, -1, 0
	s_and_saveexec_b32 s3, vcc_lo
	s_cbranch_execnz .LBB81_53
; %bb.36:
	s_or_b32 exec_lo, exec_lo, s3
	s_delay_alu instid0(SALU_CYCLE_1)
	s_mov_b32 s3, exec_lo
	v_cmpx_gt_i32_e64 s1, v0
	s_cbranch_execnz .LBB81_54
.LBB81_37:
	s_or_b32 exec_lo, exec_lo, s3
	s_delay_alu instid0(SALU_CYCLE_1)
	s_mov_b32 s3, exec_lo
	v_cmpx_gt_i32_e64 s1, v0
	s_cbranch_execnz .LBB81_55
.LBB81_38:
	s_or_b32 exec_lo, exec_lo, s3
	s_delay_alu instid0(SALU_CYCLE_1)
	s_mov_b32 s3, exec_lo
	v_cmpx_gt_i32_e64 s1, v0
	s_cbranch_execnz .LBB81_56
.LBB81_39:
	s_or_b32 exec_lo, exec_lo, s3
	s_delay_alu instid0(SALU_CYCLE_1)
	s_mov_b32 s3, exec_lo
	v_cmpx_gt_i32_e64 s1, v0
	s_cbranch_execnz .LBB81_57
.LBB81_40:
	s_or_b32 exec_lo, exec_lo, s3
	s_delay_alu instid0(SALU_CYCLE_1)
	s_mov_b32 s3, exec_lo
	v_cmpx_gt_i32_e64 s1, v0
	s_cbranch_execnz .LBB81_58
.LBB81_41:
	s_or_b32 exec_lo, exec_lo, s3
	s_delay_alu instid0(SALU_CYCLE_1)
	s_mov_b32 s3, exec_lo
	v_cmpx_gt_i32_e64 s1, v0
	s_cbranch_execnz .LBB81_59
.LBB81_42:
	s_or_b32 exec_lo, exec_lo, s3
	s_delay_alu instid0(SALU_CYCLE_1)
	s_mov_b32 s3, exec_lo
	v_cmpx_gt_i32_e64 s1, v0
	s_cbranch_execnz .LBB81_60
.LBB81_43:
	s_or_b32 exec_lo, exec_lo, s3
	s_delay_alu instid0(SALU_CYCLE_1)
	s_mov_b32 s3, exec_lo
	v_cmpx_gt_i32_e64 s1, v0
	s_cbranch_execnz .LBB81_61
.LBB81_44:
	s_or_b32 exec_lo, exec_lo, s3
	s_delay_alu instid0(SALU_CYCLE_1)
	s_mov_b32 s3, exec_lo
	v_cmpx_gt_i32_e64 s1, v0
	s_cbranch_execnz .LBB81_62
.LBB81_45:
	s_or_b32 exec_lo, exec_lo, s3
	s_delay_alu instid0(SALU_CYCLE_1)
	s_mov_b32 s3, exec_lo
	v_cmpx_gt_i32_e64 s1, v0
	s_cbranch_execnz .LBB81_63
.LBB81_46:
	s_or_b32 exec_lo, exec_lo, s3
	s_delay_alu instid0(SALU_CYCLE_1)
	s_mov_b32 s3, exec_lo
	v_cmpx_gt_i32_e64 s1, v0
	s_cbranch_execnz .LBB81_64
.LBB81_47:
	s_or_b32 exec_lo, exec_lo, s3
	s_delay_alu instid0(SALU_CYCLE_1)
	s_mov_b32 s3, exec_lo
	v_cmpx_gt_i32_e64 s1, v0
	s_cbranch_execnz .LBB81_65
.LBB81_48:
	s_or_b32 exec_lo, exec_lo, s3
	s_delay_alu instid0(SALU_CYCLE_1)
	s_mov_b32 s3, exec_lo
	v_cmpx_gt_i32_e64 s1, v0
	s_cbranch_execnz .LBB81_66
.LBB81_49:
	s_or_b32 exec_lo, exec_lo, s3
	s_delay_alu instid0(SALU_CYCLE_1)
	s_mov_b32 s3, exec_lo
	v_cmpx_gt_i32_e64 s1, v0
	s_cbranch_execnz .LBB81_67
.LBB81_50:
	s_or_b32 exec_lo, exec_lo, s3
	v_cmp_gt_i32_e32 vcc_lo, s1, v0
	s_and_saveexec_b32 s1, vcc_lo
	s_cbranch_execz .LBB81_52
.LBB81_51:
	s_wait_loadcnt 0x0
	v_cmp_eq_f64_e32 vcc_lo, v[40:41], v[64:65]
	v_add_nc_u32_e32 v0, s2, v0
	v_cndmask_b32_e64 v1, 0, 1, vcc_lo
	v_cmp_neq_f64_e32 vcc_lo, v[40:41], v[64:65]
	v_cndmask_b32_e64 v2, 0, 1, vcc_lo
	s_delay_alu instid0(VALU_DEP_1) | instskip(NEXT) | instid1(VALU_DEP_1)
	v_cndmask_b32_e64 v1, v2, v1, s0
	v_and_b32_e32 v1, 1, v1
	global_store_b8 v0, v1, s[4:5]
.LBB81_52:
	s_sendmsg sendmsg(MSG_DEALLOC_VGPRS)
	s_endpgm
.LBB81_53:
	s_wait_loadcnt 0x0
	v_cmp_eq_f64_e32 vcc_lo, v[10:11], v[12:13]
	v_cndmask_b32_e64 v0, 0, 1, vcc_lo
	v_cmp_neq_f64_e32 vcc_lo, v[10:11], v[12:13]
	v_cndmask_b32_e64 v10, 0, 1, vcc_lo
	s_delay_alu instid0(VALU_DEP_1) | instskip(NEXT) | instid1(VALU_DEP_1)
	v_cndmask_b32_e64 v0, v10, v0, s0
	v_dual_mov_b32 v0, v66 :: v_dual_bitop2_b32 v10, 1, v0 bitop3:0x40
	global_store_b8 v1, v10, s[4:5]
	s_wait_xcnt 0x0
	s_or_b32 exec_lo, exec_lo, s3
	s_delay_alu instid0(SALU_CYCLE_1)
	s_mov_b32 s3, exec_lo
	v_cmpx_gt_i32_e64 s1, v0
	s_cbranch_execz .LBB81_37
.LBB81_54:
	s_wait_loadcnt 0x0
	v_cmp_eq_f64_e32 vcc_lo, v[2:3], v[14:15]
	v_cndmask_b32_e64 v1, 0, 1, vcc_lo
	v_cmp_neq_f64_e32 vcc_lo, v[2:3], v[14:15]
	v_cndmask_b32_e64 v2, 0, 1, vcc_lo
	s_delay_alu instid0(VALU_DEP_1) | instskip(SKIP_1) | instid1(VALU_DEP_2)
	v_dual_cndmask_b32 v1, v2, v1, s0 :: v_dual_add_nc_u32 v2, s2, v0
	v_add_nc_u32_e32 v0, 0x100, v0
	v_and_b32_e32 v1, 1, v1
	global_store_b8 v2, v1, s[4:5]
	s_wait_xcnt 0x0
	s_or_b32 exec_lo, exec_lo, s3
	s_delay_alu instid0(SALU_CYCLE_1)
	s_mov_b32 s3, exec_lo
	v_cmpx_gt_i32_e64 s1, v0
	s_cbranch_execz .LBB81_38
.LBB81_55:
	s_wait_loadcnt 0x0
	v_cmp_eq_f64_e32 vcc_lo, v[18:19], v[20:21]
	v_cndmask_b32_e64 v1, 0, 1, vcc_lo
	v_cmp_neq_f64_e32 vcc_lo, v[18:19], v[20:21]
	v_cndmask_b32_e64 v2, 0, 1, vcc_lo
	s_delay_alu instid0(VALU_DEP_1) | instskip(SKIP_1) | instid1(VALU_DEP_2)
	v_dual_cndmask_b32 v1, v2, v1, s0 :: v_dual_add_nc_u32 v2, s2, v0
	v_add_nc_u32_e32 v0, 0x100, v0
	v_and_b32_e32 v1, 1, v1
	global_store_b8 v2, v1, s[4:5]
	s_wait_xcnt 0x0
	s_or_b32 exec_lo, exec_lo, s3
	s_delay_alu instid0(SALU_CYCLE_1)
	s_mov_b32 s3, exec_lo
	v_cmpx_gt_i32_e64 s1, v0
	s_cbranch_execz .LBB81_39
.LBB81_56:
	s_wait_loadcnt 0x0
	v_cmp_eq_f64_e32 vcc_lo, v[4:5], v[22:23]
	v_cndmask_b32_e64 v1, 0, 1, vcc_lo
	v_cmp_neq_f64_e32 vcc_lo, v[4:5], v[22:23]
	v_cndmask_b32_e64 v2, 0, 1, vcc_lo
	s_delay_alu instid0(VALU_DEP_1) | instskip(SKIP_1) | instid1(VALU_DEP_2)
	v_dual_cndmask_b32 v1, v2, v1, s0 :: v_dual_add_nc_u32 v2, s2, v0
	v_add_nc_u32_e32 v0, 0x100, v0
	v_and_b32_e32 v1, 1, v1
	global_store_b8 v2, v1, s[4:5]
	s_wait_xcnt 0x0
	s_or_b32 exec_lo, exec_lo, s3
	s_delay_alu instid0(SALU_CYCLE_1)
	s_mov_b32 s3, exec_lo
	v_cmpx_gt_i32_e64 s1, v0
	s_cbranch_execz .LBB81_40
.LBB81_57:
	s_wait_loadcnt 0x0
	v_cmp_eq_f64_e32 vcc_lo, v[26:27], v[28:29]
	v_cndmask_b32_e64 v1, 0, 1, vcc_lo
	v_cmp_neq_f64_e32 vcc_lo, v[26:27], v[28:29]
	v_cndmask_b32_e64 v2, 0, 1, vcc_lo
	s_delay_alu instid0(VALU_DEP_1) | instskip(SKIP_1) | instid1(VALU_DEP_2)
	v_dual_cndmask_b32 v1, v2, v1, s0 :: v_dual_add_nc_u32 v2, s2, v0
	v_add_nc_u32_e32 v0, 0x100, v0
	v_and_b32_e32 v1, 1, v1
	global_store_b8 v2, v1, s[4:5]
	s_wait_xcnt 0x0
	s_or_b32 exec_lo, exec_lo, s3
	s_delay_alu instid0(SALU_CYCLE_1)
	s_mov_b32 s3, exec_lo
	v_cmpx_gt_i32_e64 s1, v0
	s_cbranch_execz .LBB81_41
.LBB81_58:
	s_wait_loadcnt 0x0
	v_cmp_eq_f64_e32 vcc_lo, v[6:7], v[30:31]
	v_cndmask_b32_e64 v1, 0, 1, vcc_lo
	v_cmp_neq_f64_e32 vcc_lo, v[6:7], v[30:31]
	v_cndmask_b32_e64 v2, 0, 1, vcc_lo
	s_delay_alu instid0(VALU_DEP_1) | instskip(SKIP_1) | instid1(VALU_DEP_2)
	v_dual_cndmask_b32 v1, v2, v1, s0 :: v_dual_add_nc_u32 v2, s2, v0
	v_add_nc_u32_e32 v0, 0x100, v0
	v_and_b32_e32 v1, 1, v1
	global_store_b8 v2, v1, s[4:5]
	s_wait_xcnt 0x0
	s_or_b32 exec_lo, exec_lo, s3
	s_delay_alu instid0(SALU_CYCLE_1)
	s_mov_b32 s3, exec_lo
	v_cmpx_gt_i32_e64 s1, v0
	s_cbranch_execz .LBB81_42
.LBB81_59:
	s_wait_loadcnt 0x0
	v_cmp_eq_f64_e32 vcc_lo, v[34:35], v[36:37]
	v_cndmask_b32_e64 v1, 0, 1, vcc_lo
	v_cmp_neq_f64_e32 vcc_lo, v[34:35], v[36:37]
	v_cndmask_b32_e64 v2, 0, 1, vcc_lo
	s_delay_alu instid0(VALU_DEP_1) | instskip(SKIP_1) | instid1(VALU_DEP_2)
	v_dual_cndmask_b32 v1, v2, v1, s0 :: v_dual_add_nc_u32 v2, s2, v0
	v_add_nc_u32_e32 v0, 0x100, v0
	v_and_b32_e32 v1, 1, v1
	global_store_b8 v2, v1, s[4:5]
	s_wait_xcnt 0x0
	s_or_b32 exec_lo, exec_lo, s3
	s_delay_alu instid0(SALU_CYCLE_1)
	s_mov_b32 s3, exec_lo
	v_cmpx_gt_i32_e64 s1, v0
	s_cbranch_execz .LBB81_43
.LBB81_60:
	s_wait_loadcnt 0x0
	v_cmp_eq_f64_e32 vcc_lo, v[8:9], v[38:39]
	v_cndmask_b32_e64 v1, 0, 1, vcc_lo
	v_cmp_neq_f64_e32 vcc_lo, v[8:9], v[38:39]
	v_cndmask_b32_e64 v2, 0, 1, vcc_lo
	s_delay_alu instid0(VALU_DEP_1) | instskip(SKIP_1) | instid1(VALU_DEP_2)
	v_dual_cndmask_b32 v1, v2, v1, s0 :: v_dual_add_nc_u32 v2, s2, v0
	v_add_nc_u32_e32 v0, 0x100, v0
	v_and_b32_e32 v1, 1, v1
	global_store_b8 v2, v1, s[4:5]
	s_wait_xcnt 0x0
	s_or_b32 exec_lo, exec_lo, s3
	s_delay_alu instid0(SALU_CYCLE_1)
	s_mov_b32 s3, exec_lo
	v_cmpx_gt_i32_e64 s1, v0
	s_cbranch_execz .LBB81_44
.LBB81_61:
	s_wait_loadcnt 0x0
	v_cmp_eq_f64_e32 vcc_lo, v[42:43], v[44:45]
	v_cndmask_b32_e64 v1, 0, 1, vcc_lo
	v_cmp_neq_f64_e32 vcc_lo, v[42:43], v[44:45]
	v_cndmask_b32_e64 v2, 0, 1, vcc_lo
	s_delay_alu instid0(VALU_DEP_1) | instskip(SKIP_1) | instid1(VALU_DEP_2)
	v_dual_cndmask_b32 v1, v2, v1, s0 :: v_dual_add_nc_u32 v2, s2, v0
	v_add_nc_u32_e32 v0, 0x100, v0
	v_and_b32_e32 v1, 1, v1
	global_store_b8 v2, v1, s[4:5]
	s_wait_xcnt 0x0
	s_or_b32 exec_lo, exec_lo, s3
	s_delay_alu instid0(SALU_CYCLE_1)
	s_mov_b32 s3, exec_lo
	v_cmpx_gt_i32_e64 s1, v0
	s_cbranch_execz .LBB81_45
.LBB81_62:
	s_wait_loadcnt 0x0
	v_cmp_eq_f64_e32 vcc_lo, v[16:17], v[46:47]
	v_cndmask_b32_e64 v1, 0, 1, vcc_lo
	v_cmp_neq_f64_e32 vcc_lo, v[16:17], v[46:47]
	v_cndmask_b32_e64 v2, 0, 1, vcc_lo
	s_delay_alu instid0(VALU_DEP_1) | instskip(SKIP_1) | instid1(VALU_DEP_2)
	v_dual_cndmask_b32 v1, v2, v1, s0 :: v_dual_add_nc_u32 v2, s2, v0
	v_add_nc_u32_e32 v0, 0x100, v0
	v_and_b32_e32 v1, 1, v1
	global_store_b8 v2, v1, s[4:5]
	s_wait_xcnt 0x0
	s_or_b32 exec_lo, exec_lo, s3
	s_delay_alu instid0(SALU_CYCLE_1)
	s_mov_b32 s3, exec_lo
	v_cmpx_gt_i32_e64 s1, v0
	s_cbranch_execz .LBB81_46
.LBB81_63:
	s_wait_loadcnt 0x0
	v_cmp_eq_f64_e32 vcc_lo, v[48:49], v[50:51]
	v_cndmask_b32_e64 v1, 0, 1, vcc_lo
	v_cmp_neq_f64_e32 vcc_lo, v[48:49], v[50:51]
	v_cndmask_b32_e64 v2, 0, 1, vcc_lo
	s_delay_alu instid0(VALU_DEP_1) | instskip(SKIP_1) | instid1(VALU_DEP_2)
	v_dual_cndmask_b32 v1, v2, v1, s0 :: v_dual_add_nc_u32 v2, s2, v0
	v_add_nc_u32_e32 v0, 0x100, v0
	v_and_b32_e32 v1, 1, v1
	global_store_b8 v2, v1, s[4:5]
	s_wait_xcnt 0x0
	s_or_b32 exec_lo, exec_lo, s3
	s_delay_alu instid0(SALU_CYCLE_1)
	s_mov_b32 s3, exec_lo
	v_cmpx_gt_i32_e64 s1, v0
	s_cbranch_execz .LBB81_47
.LBB81_64:
	s_wait_loadcnt 0x0
	v_cmp_eq_f64_e32 vcc_lo, v[24:25], v[52:53]
	v_cndmask_b32_e64 v1, 0, 1, vcc_lo
	v_cmp_neq_f64_e32 vcc_lo, v[24:25], v[52:53]
	v_cndmask_b32_e64 v2, 0, 1, vcc_lo
	s_delay_alu instid0(VALU_DEP_1) | instskip(SKIP_1) | instid1(VALU_DEP_2)
	v_dual_cndmask_b32 v1, v2, v1, s0 :: v_dual_add_nc_u32 v2, s2, v0
	v_add_nc_u32_e32 v0, 0x100, v0
	v_and_b32_e32 v1, 1, v1
	global_store_b8 v2, v1, s[4:5]
	s_wait_xcnt 0x0
	s_or_b32 exec_lo, exec_lo, s3
	s_delay_alu instid0(SALU_CYCLE_1)
	s_mov_b32 s3, exec_lo
	v_cmpx_gt_i32_e64 s1, v0
	s_cbranch_execz .LBB81_48
.LBB81_65:
	s_wait_loadcnt 0x0
	v_cmp_eq_f64_e32 vcc_lo, v[54:55], v[56:57]
	v_cndmask_b32_e64 v1, 0, 1, vcc_lo
	v_cmp_neq_f64_e32 vcc_lo, v[54:55], v[56:57]
	v_cndmask_b32_e64 v2, 0, 1, vcc_lo
	s_delay_alu instid0(VALU_DEP_1) | instskip(SKIP_1) | instid1(VALU_DEP_2)
	v_dual_cndmask_b32 v1, v2, v1, s0 :: v_dual_add_nc_u32 v2, s2, v0
	v_add_nc_u32_e32 v0, 0x100, v0
	v_and_b32_e32 v1, 1, v1
	global_store_b8 v2, v1, s[4:5]
	s_wait_xcnt 0x0
	s_or_b32 exec_lo, exec_lo, s3
	s_delay_alu instid0(SALU_CYCLE_1)
	s_mov_b32 s3, exec_lo
	v_cmpx_gt_i32_e64 s1, v0
	s_cbranch_execz .LBB81_49
.LBB81_66:
	s_wait_loadcnt 0x0
	v_cmp_eq_f64_e32 vcc_lo, v[32:33], v[58:59]
	v_cndmask_b32_e64 v1, 0, 1, vcc_lo
	v_cmp_neq_f64_e32 vcc_lo, v[32:33], v[58:59]
	v_cndmask_b32_e64 v2, 0, 1, vcc_lo
	s_delay_alu instid0(VALU_DEP_1) | instskip(SKIP_1) | instid1(VALU_DEP_2)
	v_dual_cndmask_b32 v1, v2, v1, s0 :: v_dual_add_nc_u32 v2, s2, v0
	v_add_nc_u32_e32 v0, 0x100, v0
	v_and_b32_e32 v1, 1, v1
	global_store_b8 v2, v1, s[4:5]
	s_wait_xcnt 0x0
	s_or_b32 exec_lo, exec_lo, s3
	s_delay_alu instid0(SALU_CYCLE_1)
	s_mov_b32 s3, exec_lo
	v_cmpx_gt_i32_e64 s1, v0
	s_cbranch_execz .LBB81_50
.LBB81_67:
	s_wait_loadcnt 0x0
	v_cmp_eq_f64_e32 vcc_lo, v[60:61], v[62:63]
	v_cndmask_b32_e64 v1, 0, 1, vcc_lo
	v_cmp_neq_f64_e32 vcc_lo, v[60:61], v[62:63]
	v_cndmask_b32_e64 v2, 0, 1, vcc_lo
	s_delay_alu instid0(VALU_DEP_1) | instskip(SKIP_1) | instid1(VALU_DEP_2)
	v_dual_cndmask_b32 v1, v2, v1, s0 :: v_dual_add_nc_u32 v2, s2, v0
	v_add_nc_u32_e32 v0, 0x100, v0
	v_and_b32_e32 v1, 1, v1
	global_store_b8 v2, v1, s[4:5]
	s_wait_xcnt 0x0
	s_or_b32 exec_lo, exec_lo, s3
	v_cmp_gt_i32_e32 vcc_lo, s1, v0
	s_and_saveexec_b32 s1, vcc_lo
	s_cbranch_execnz .LBB81_51
	s_branch .LBB81_52
	.section	.rodata,"a",@progbits
	.p2align	6, 0x0
	.amdhsa_kernel _ZN2at6native29vectorized_elementwise_kernelILi8ENS0_13BinaryFunctorIddbNS0_12_GLOBAL__N_116CompareEqFunctorIdEEEESt5arrayIPcLm3EEEEviT0_T1_
		.amdhsa_group_segment_fixed_size 0
		.amdhsa_private_segment_fixed_size 0
		.amdhsa_kernarg_size 32
		.amdhsa_user_sgpr_count 2
		.amdhsa_user_sgpr_dispatch_ptr 0
		.amdhsa_user_sgpr_queue_ptr 0
		.amdhsa_user_sgpr_kernarg_segment_ptr 1
		.amdhsa_user_sgpr_dispatch_id 0
		.amdhsa_user_sgpr_kernarg_preload_length 0
		.amdhsa_user_sgpr_kernarg_preload_offset 0
		.amdhsa_user_sgpr_private_segment_size 0
		.amdhsa_wavefront_size32 1
		.amdhsa_uses_dynamic_stack 0
		.amdhsa_enable_private_segment 0
		.amdhsa_system_sgpr_workgroup_id_x 1
		.amdhsa_system_sgpr_workgroup_id_y 0
		.amdhsa_system_sgpr_workgroup_id_z 0
		.amdhsa_system_sgpr_workgroup_info 0
		.amdhsa_system_vgpr_workitem_id 0
		.amdhsa_next_free_vgpr 68
		.amdhsa_next_free_sgpr 16
		.amdhsa_named_barrier_count 0
		.amdhsa_reserve_vcc 1
		.amdhsa_float_round_mode_32 0
		.amdhsa_float_round_mode_16_64 0
		.amdhsa_float_denorm_mode_32 3
		.amdhsa_float_denorm_mode_16_64 3
		.amdhsa_fp16_overflow 0
		.amdhsa_memory_ordered 1
		.amdhsa_forward_progress 1
		.amdhsa_inst_pref_size 34
		.amdhsa_round_robin_scheduling 0
		.amdhsa_exception_fp_ieee_invalid_op 0
		.amdhsa_exception_fp_denorm_src 0
		.amdhsa_exception_fp_ieee_div_zero 0
		.amdhsa_exception_fp_ieee_overflow 0
		.amdhsa_exception_fp_ieee_underflow 0
		.amdhsa_exception_fp_ieee_inexact 0
		.amdhsa_exception_int_div_zero 0
	.end_amdhsa_kernel
	.section	.text._ZN2at6native29vectorized_elementwise_kernelILi8ENS0_13BinaryFunctorIddbNS0_12_GLOBAL__N_116CompareEqFunctorIdEEEESt5arrayIPcLm3EEEEviT0_T1_,"axG",@progbits,_ZN2at6native29vectorized_elementwise_kernelILi8ENS0_13BinaryFunctorIddbNS0_12_GLOBAL__N_116CompareEqFunctorIdEEEESt5arrayIPcLm3EEEEviT0_T1_,comdat
.Lfunc_end81:
	.size	_ZN2at6native29vectorized_elementwise_kernelILi8ENS0_13BinaryFunctorIddbNS0_12_GLOBAL__N_116CompareEqFunctorIdEEEESt5arrayIPcLm3EEEEviT0_T1_, .Lfunc_end81-_ZN2at6native29vectorized_elementwise_kernelILi8ENS0_13BinaryFunctorIddbNS0_12_GLOBAL__N_116CompareEqFunctorIdEEEESt5arrayIPcLm3EEEEviT0_T1_
                                        ; -- End function
	.set _ZN2at6native29vectorized_elementwise_kernelILi8ENS0_13BinaryFunctorIddbNS0_12_GLOBAL__N_116CompareEqFunctorIdEEEESt5arrayIPcLm3EEEEviT0_T1_.num_vgpr, 68
	.set _ZN2at6native29vectorized_elementwise_kernelILi8ENS0_13BinaryFunctorIddbNS0_12_GLOBAL__N_116CompareEqFunctorIdEEEESt5arrayIPcLm3EEEEviT0_T1_.num_agpr, 0
	.set _ZN2at6native29vectorized_elementwise_kernelILi8ENS0_13BinaryFunctorIddbNS0_12_GLOBAL__N_116CompareEqFunctorIdEEEESt5arrayIPcLm3EEEEviT0_T1_.numbered_sgpr, 16
	.set _ZN2at6native29vectorized_elementwise_kernelILi8ENS0_13BinaryFunctorIddbNS0_12_GLOBAL__N_116CompareEqFunctorIdEEEESt5arrayIPcLm3EEEEviT0_T1_.num_named_barrier, 0
	.set _ZN2at6native29vectorized_elementwise_kernelILi8ENS0_13BinaryFunctorIddbNS0_12_GLOBAL__N_116CompareEqFunctorIdEEEESt5arrayIPcLm3EEEEviT0_T1_.private_seg_size, 0
	.set _ZN2at6native29vectorized_elementwise_kernelILi8ENS0_13BinaryFunctorIddbNS0_12_GLOBAL__N_116CompareEqFunctorIdEEEESt5arrayIPcLm3EEEEviT0_T1_.uses_vcc, 1
	.set _ZN2at6native29vectorized_elementwise_kernelILi8ENS0_13BinaryFunctorIddbNS0_12_GLOBAL__N_116CompareEqFunctorIdEEEESt5arrayIPcLm3EEEEviT0_T1_.uses_flat_scratch, 0
	.set _ZN2at6native29vectorized_elementwise_kernelILi8ENS0_13BinaryFunctorIddbNS0_12_GLOBAL__N_116CompareEqFunctorIdEEEESt5arrayIPcLm3EEEEviT0_T1_.has_dyn_sized_stack, 0
	.set _ZN2at6native29vectorized_elementwise_kernelILi8ENS0_13BinaryFunctorIddbNS0_12_GLOBAL__N_116CompareEqFunctorIdEEEESt5arrayIPcLm3EEEEviT0_T1_.has_recursion, 0
	.set _ZN2at6native29vectorized_elementwise_kernelILi8ENS0_13BinaryFunctorIddbNS0_12_GLOBAL__N_116CompareEqFunctorIdEEEESt5arrayIPcLm3EEEEviT0_T1_.has_indirect_call, 0
	.section	.AMDGPU.csdata,"",@progbits
; Kernel info:
; codeLenInByte = 4296
; TotalNumSgprs: 18
; NumVgprs: 68
; ScratchSize: 0
; MemoryBound: 0
; FloatMode: 240
; IeeeMode: 1
; LDSByteSize: 0 bytes/workgroup (compile time only)
; SGPRBlocks: 0
; VGPRBlocks: 4
; NumSGPRsForWavesPerEU: 18
; NumVGPRsForWavesPerEU: 68
; NamedBarCnt: 0
; Occupancy: 12
; WaveLimiterHint : 1
; COMPUTE_PGM_RSRC2:SCRATCH_EN: 0
; COMPUTE_PGM_RSRC2:USER_SGPR: 2
; COMPUTE_PGM_RSRC2:TRAP_HANDLER: 0
; COMPUTE_PGM_RSRC2:TGID_X_EN: 1
; COMPUTE_PGM_RSRC2:TGID_Y_EN: 0
; COMPUTE_PGM_RSRC2:TGID_Z_EN: 0
; COMPUTE_PGM_RSRC2:TIDIG_COMP_CNT: 0
	.section	.text._ZN2at6native29vectorized_elementwise_kernelILi4ENS0_13BinaryFunctorIddbNS0_12_GLOBAL__N_116CompareEqFunctorIdEEEESt5arrayIPcLm3EEEEviT0_T1_,"axG",@progbits,_ZN2at6native29vectorized_elementwise_kernelILi4ENS0_13BinaryFunctorIddbNS0_12_GLOBAL__N_116CompareEqFunctorIdEEEESt5arrayIPcLm3EEEEviT0_T1_,comdat
	.globl	_ZN2at6native29vectorized_elementwise_kernelILi4ENS0_13BinaryFunctorIddbNS0_12_GLOBAL__N_116CompareEqFunctorIdEEEESt5arrayIPcLm3EEEEviT0_T1_ ; -- Begin function _ZN2at6native29vectorized_elementwise_kernelILi4ENS0_13BinaryFunctorIddbNS0_12_GLOBAL__N_116CompareEqFunctorIdEEEESt5arrayIPcLm3EEEEviT0_T1_
	.p2align	8
	.type	_ZN2at6native29vectorized_elementwise_kernelILi4ENS0_13BinaryFunctorIddbNS0_12_GLOBAL__N_116CompareEqFunctorIdEEEESt5arrayIPcLm3EEEEviT0_T1_,@function
_ZN2at6native29vectorized_elementwise_kernelILi4ENS0_13BinaryFunctorIddbNS0_12_GLOBAL__N_116CompareEqFunctorIdEEEESt5arrayIPcLm3EEEEviT0_T1_: ; @_ZN2at6native29vectorized_elementwise_kernelILi4ENS0_13BinaryFunctorIddbNS0_12_GLOBAL__N_116CompareEqFunctorIdEEEESt5arrayIPcLm3EEEEviT0_T1_
; %bb.0:
	s_clause 0x2
	s_load_b64 s[8:9], s[0:1], 0x0
	s_load_b128 s[4:7], s[0:1], 0x8
	s_load_b64 s[10:11], s[0:1], 0x18
	s_wait_xcnt 0x0
	s_bfe_u32 s0, ttmp6, 0x4000c
	s_and_b32 s1, ttmp6, 15
	s_add_co_i32 s0, s0, 1
	s_getreg_b32 s2, hwreg(HW_REG_IB_STS2, 6, 4)
	s_mul_i32 s0, ttmp9, s0
	s_delay_alu instid0(SALU_CYCLE_1) | instskip(SKIP_2) | instid1(SALU_CYCLE_1)
	s_add_co_i32 s1, s1, s0
	s_cmp_eq_u32 s2, 0
	s_cselect_b32 s0, ttmp9, s1
	s_lshl_b32 s2, s0, 12
	s_mov_b32 s0, -1
	s_wait_kmcnt 0x0
	s_sub_co_i32 s1, s8, s2
	s_delay_alu instid0(SALU_CYCLE_1)
	s_cmp_gt_i32 s1, 0xfff
	s_cbranch_scc0 .LBB82_2
; %bb.1:
	s_ashr_i32 s3, s2, 31
	v_lshlrev_b32_e32 v1, 5, v0
	s_lshl_b64 s[12:13], s[2:3], 3
	s_cmp_eq_u32 s9, 0
	s_add_nc_u64 s[14:15], s[10:11], s[12:13]
	s_add_nc_u64 s[12:13], s[6:7], s[12:13]
	s_clause 0xf
	global_load_b128 v[2:5], v1, s[14:15]
	global_load_b128 v[6:9], v1, s[12:13]
	global_load_b128 v[10:13], v1, s[12:13] offset:16
	global_load_b128 v[14:17], v1, s[14:15] offset:16
	;; [unrolled: 1-line block ×13, first 2 shown]
	; meta instruction
	global_load_b128 v[62:65], v1, s[14:15] offset:24592
	s_wait_xcnt 0x1
	s_add_nc_u64 s[12:13], s[4:5], s[2:3]
	s_mov_b32 s0, 0
	s_wait_loadcnt 0xe
	v_cmp_eq_f64_e32 vcc_lo, v[6:7], v[2:3]
	s_wait_xcnt 0x0
	v_cndmask_b32_e64 v1, 0, 1, vcc_lo
	v_cmp_neq_f64_e32 vcc_lo, v[6:7], v[2:3]
	v_cndmask_b32_e64 v2, 0, 1, vcc_lo
	v_cmp_eq_f64_e32 vcc_lo, v[8:9], v[4:5]
	v_cndmask_b32_e64 v3, 0, 1, vcc_lo
	v_cmp_neq_f64_e32 vcc_lo, v[8:9], v[4:5]
	v_cndmask_b32_e64 v4, 0, 1, vcc_lo
	s_wait_loadcnt 0xc
	v_cmp_eq_f64_e32 vcc_lo, v[10:11], v[14:15]
	v_cndmask_b32_e64 v5, 0, 1, vcc_lo
	v_cmp_neq_f64_e32 vcc_lo, v[10:11], v[14:15]
	v_cndmask_b32_e64 v6, 0, 1, vcc_lo
	v_cmp_eq_f64_e32 vcc_lo, v[12:13], v[16:17]
	v_cndmask_b32_e64 v7, 0, 1, vcc_lo
	v_cmp_neq_f64_e32 vcc_lo, v[12:13], v[16:17]
	v_cndmask_b32_e64 v8, 0, 1, vcc_lo
	s_wait_loadcnt 0xa
	v_cmp_eq_f64_e32 vcc_lo, v[22:23], v[18:19]
	;; [unrolled: 9-line block ×7, first 2 shown]
	v_cndmask_b32_e64 v29, 0, 1, vcc_lo
	v_cmp_neq_f64_e32 vcc_lo, v[58:59], v[62:63]
	v_cndmask_b32_e64 v30, 0, 1, vcc_lo
	v_cmp_eq_f64_e32 vcc_lo, v[60:61], v[64:65]
	v_cndmask_b32_e64 v31, 0, 1, vcc_lo
	v_cmp_neq_f64_e32 vcc_lo, v[60:61], v[64:65]
	v_cndmask_b32_e64 v32, 0, 1, vcc_lo
	s_cselect_b32 vcc_lo, -1, 0
	v_dual_cndmask_b32 v1, v2, v1 :: v_dual_cndmask_b32 v2, v4, v3
	v_dual_cndmask_b32 v3, v6, v5 :: v_dual_cndmask_b32 v6, v12, v11
	;; [unrolled: 1-line block ×4, first 2 shown]
	s_delay_alu instid0(VALU_DEP_4)
	v_dual_cndmask_b32 v7, v14, v13, vcc_lo :: v_dual_bitop2_b32 v2, 1, v2 bitop3:0x40
	v_dual_cndmask_b32 v10, v20, v19 :: v_dual_cndmask_b32 v9, v18, v17
	v_dual_cndmask_b32 v12, v24, v23 :: v_dual_cndmask_b32 v11, v22, v21
	;; [unrolled: 1-line block ×3, first 2 shown]
	v_cndmask_b32_e32 v16, v32, v31, vcc_lo
	v_and_b32_e32 v3, 1, v3
	v_cmp_eq_u32_e32 vcc_lo, 1, v2
	v_and_b32_e32 v4, 1, v4
	v_and_b32_e32 v6, 1, v6
	;; [unrolled: 1-line block ×4, first 2 shown]
	v_cndmask_b32_e64 v2, 0, 0x100, vcc_lo
	v_cmp_eq_u32_e32 vcc_lo, 1, v3
	v_and_b32_e32 v10, 1, v10
	v_and_b32_e32 v11, 1, v11
	;; [unrolled: 1-line block ×4, first 2 shown]
	v_cndmask_b32_e64 v3, 0, 0x10000, vcc_lo
	v_cmp_eq_u32_e32 vcc_lo, 1, v4
	v_and_b32_e32 v15, 1, v15
	v_and_b32_e32 v16, 1, v16
	v_and_or_b32 v1, v1, 1, v2
	v_cndmask_b32_e64 v4, 0, 0x1000000, vcc_lo
	v_cmp_eq_u32_e32 vcc_lo, 1, v6
	s_delay_alu instid0(VALU_DEP_2) | instskip(SKIP_2) | instid1(VALU_DEP_2)
	v_or3_b32 v1, v1, v3, v4
	v_cndmask_b32_e64 v6, 0, 0x100, vcc_lo
	v_cmp_eq_u32_e32 vcc_lo, 1, v7
	v_and_or_b32 v2, v5, 1, v6
	v_cndmask_b32_e64 v7, 0, 0x10000, vcc_lo
	v_cmp_eq_u32_e32 vcc_lo, 1, v8
	v_cndmask_b32_e64 v8, 0, 0x1000000, vcc_lo
	v_cmp_eq_u32_e32 vcc_lo, 1, v10
	s_delay_alu instid0(VALU_DEP_2) | instskip(SKIP_2) | instid1(VALU_DEP_2)
	v_or3_b32 v2, v2, v7, v8
	v_cndmask_b32_e64 v10, 0, 0x100, vcc_lo
	v_cmp_eq_u32_e32 vcc_lo, 1, v11
	v_and_or_b32 v5, v9, 1, v10
	v_cndmask_b32_e64 v11, 0, 0x10000, vcc_lo
	v_cmp_eq_u32_e32 vcc_lo, 1, v12
	;; [unrolled: 9-line block ×3, first 2 shown]
	v_cndmask_b32_e64 v16, 0, 0x1000000, vcc_lo
	s_delay_alu instid0(VALU_DEP_1)
	v_or3_b32 v4, v6, v15, v16
	s_clause 0x3
	global_store_b32 v0, v1, s[12:13] scale_offset
	global_store_b32 v0, v2, s[12:13] offset:1024 scale_offset
	global_store_b32 v0, v3, s[12:13] offset:2048 scale_offset
	global_store_b32 v0, v4, s[12:13] offset:3072 scale_offset
.LBB82_2:
	s_and_not1_b32 vcc_lo, exec_lo, s0
	s_cbranch_vccnz .LBB82_52
; %bb.3:
	s_wait_xcnt 0x1
	v_mov_b64_e32 v[2:3], 0
	v_mov_b64_e32 v[10:11], 0
	;; [unrolled: 1-line block ×3, first 2 shown]
	v_cmp_gt_i32_e32 vcc_lo, s1, v0
	v_dual_mov_b32 v67, v0 :: v_dual_bitop2_b32 v1, s2, v0 bitop3:0x54
	v_or_b32_e32 v66, 0x100, v0
	s_wait_xcnt 0x0
	s_and_saveexec_b32 s0, vcc_lo
	s_cbranch_execz .LBB82_5
; %bb.4:
	s_clause 0x1
	global_load_b64 v[10:11], v1, s[6:7] scale_offset
	global_load_b64 v[12:13], v1, s[10:11] scale_offset
	v_or_b32_e32 v67, 0x100, v0
.LBB82_5:
	s_wait_xcnt 0x0
	s_or_b32 exec_lo, exec_lo, s0
	v_mov_b64_e32 v[14:15], 0
	s_mov_b32 s3, exec_lo
	v_cmpx_gt_i32_e64 s1, v67
	s_cbranch_execz .LBB82_7
; %bb.6:
	v_add_nc_u32_e32 v4, s2, v67
	v_add_nc_u32_e32 v67, 0x100, v67
	s_clause 0x1
	global_load_b64 v[2:3], v4, s[6:7] scale_offset
	global_load_b64 v[14:15], v4, s[10:11] scale_offset
.LBB82_7:
	s_wait_xcnt 0x0
	s_or_b32 exec_lo, exec_lo, s3
	v_mov_b64_e32 v[4:5], 0
	v_mov_b64_e32 v[18:19], 0
	v_mov_b64_e32 v[20:21], 0
	s_mov_b32 s3, exec_lo
	v_cmpx_gt_i32_e64 s1, v67
	s_cbranch_execz .LBB82_9
; %bb.8:
	v_add_nc_u32_e32 v6, s2, v67
	v_add_nc_u32_e32 v67, 0x100, v67
	s_clause 0x1
	global_load_b64 v[18:19], v6, s[6:7] scale_offset
	global_load_b64 v[20:21], v6, s[10:11] scale_offset
.LBB82_9:
	s_wait_xcnt 0x0
	s_or_b32 exec_lo, exec_lo, s3
	v_mov_b64_e32 v[22:23], 0
	s_mov_b32 s3, exec_lo
	v_cmpx_gt_i32_e64 s1, v67
	s_cbranch_execz .LBB82_11
; %bb.10:
	v_add_nc_u32_e32 v6, s2, v67
	v_add_nc_u32_e32 v67, 0x100, v67
	s_clause 0x1
	global_load_b64 v[4:5], v6, s[6:7] scale_offset
	global_load_b64 v[22:23], v6, s[10:11] scale_offset
.LBB82_11:
	s_wait_xcnt 0x0
	s_or_b32 exec_lo, exec_lo, s3
	v_mov_b64_e32 v[6:7], 0
	v_mov_b64_e32 v[26:27], 0
	v_mov_b64_e32 v[28:29], 0
	s_mov_b32 s3, exec_lo
	v_cmpx_gt_i32_e64 s1, v67
	s_cbranch_execz .LBB82_13
; %bb.12:
	v_add_nc_u32_e32 v8, s2, v67
	v_add_nc_u32_e32 v67, 0x100, v67
	s_clause 0x1
	global_load_b64 v[26:27], v8, s[6:7] scale_offset
	global_load_b64 v[28:29], v8, s[10:11] scale_offset
.LBB82_13:
	s_wait_xcnt 0x0
	s_or_b32 exec_lo, exec_lo, s3
	v_mov_b64_e32 v[30:31], 0
	s_mov_b32 s3, exec_lo
	v_cmpx_gt_i32_e64 s1, v67
	s_cbranch_execz .LBB82_15
; %bb.14:
	v_add_nc_u32_e32 v8, s2, v67
	v_add_nc_u32_e32 v67, 0x100, v67
	s_clause 0x1
	global_load_b64 v[6:7], v8, s[6:7] scale_offset
	global_load_b64 v[30:31], v8, s[10:11] scale_offset
.LBB82_15:
	s_wait_xcnt 0x0
	s_or_b32 exec_lo, exec_lo, s3
	v_mov_b64_e32 v[8:9], 0
	v_mov_b64_e32 v[34:35], 0
	v_mov_b64_e32 v[36:37], 0
	s_mov_b32 s3, exec_lo
	v_cmpx_gt_i32_e64 s1, v67
	s_cbranch_execz .LBB82_17
; %bb.16:
	v_add_nc_u32_e32 v16, s2, v67
	v_add_nc_u32_e32 v67, 0x100, v67
	s_clause 0x1
	global_load_b64 v[34:35], v16, s[6:7] scale_offset
	global_load_b64 v[36:37], v16, s[10:11] scale_offset
.LBB82_17:
	s_wait_xcnt 0x0
	s_or_b32 exec_lo, exec_lo, s3
	v_mov_b64_e32 v[38:39], 0
	s_mov_b32 s3, exec_lo
	v_cmpx_gt_i32_e64 s1, v67
	s_cbranch_execz .LBB82_19
; %bb.18:
	v_add_nc_u32_e32 v16, s2, v67
	v_add_nc_u32_e32 v67, 0x100, v67
	s_clause 0x1
	global_load_b64 v[8:9], v16, s[6:7] scale_offset
	global_load_b64 v[38:39], v16, s[10:11] scale_offset
.LBB82_19:
	s_wait_xcnt 0x0
	s_or_b32 exec_lo, exec_lo, s3
	v_mov_b64_e32 v[16:17], 0
	v_mov_b64_e32 v[42:43], 0
	v_mov_b64_e32 v[44:45], 0
	s_mov_b32 s3, exec_lo
	v_cmpx_gt_i32_e64 s1, v67
	s_cbranch_execz .LBB82_21
; %bb.20:
	v_add_nc_u32_e32 v24, s2, v67
	v_add_nc_u32_e32 v67, 0x100, v67
	s_clause 0x1
	global_load_b64 v[42:43], v24, s[6:7] scale_offset
	global_load_b64 v[44:45], v24, s[10:11] scale_offset
.LBB82_21:
	s_wait_xcnt 0x0
	s_or_b32 exec_lo, exec_lo, s3
	v_mov_b64_e32 v[46:47], 0
	s_mov_b32 s3, exec_lo
	v_cmpx_gt_i32_e64 s1, v67
	s_cbranch_execz .LBB82_23
; %bb.22:
	v_add_nc_u32_e32 v24, s2, v67
	v_add_nc_u32_e32 v67, 0x100, v67
	s_clause 0x1
	global_load_b64 v[16:17], v24, s[6:7] scale_offset
	global_load_b64 v[46:47], v24, s[10:11] scale_offset
.LBB82_23:
	s_wait_xcnt 0x0
	s_or_b32 exec_lo, exec_lo, s3
	v_mov_b64_e32 v[24:25], 0
	v_mov_b64_e32 v[48:49], 0
	v_mov_b64_e32 v[50:51], 0
	s_mov_b32 s3, exec_lo
	v_cmpx_gt_i32_e64 s1, v67
	s_cbranch_execz .LBB82_25
; %bb.24:
	v_add_nc_u32_e32 v32, s2, v67
	v_add_nc_u32_e32 v67, 0x100, v67
	s_clause 0x1
	global_load_b64 v[48:49], v32, s[6:7] scale_offset
	global_load_b64 v[50:51], v32, s[10:11] scale_offset
.LBB82_25:
	s_wait_xcnt 0x0
	s_or_b32 exec_lo, exec_lo, s3
	v_mov_b64_e32 v[52:53], 0
	s_mov_b32 s3, exec_lo
	v_cmpx_gt_i32_e64 s1, v67
	s_cbranch_execz .LBB82_27
; %bb.26:
	v_add_nc_u32_e32 v32, s2, v67
	v_add_nc_u32_e32 v67, 0x100, v67
	s_clause 0x1
	global_load_b64 v[24:25], v32, s[6:7] scale_offset
	global_load_b64 v[52:53], v32, s[10:11] scale_offset
.LBB82_27:
	s_wait_xcnt 0x0
	s_or_b32 exec_lo, exec_lo, s3
	v_mov_b64_e32 v[32:33], 0
	v_mov_b64_e32 v[54:55], 0
	v_mov_b64_e32 v[56:57], 0
	s_mov_b32 s3, exec_lo
	v_cmpx_gt_i32_e64 s1, v67
	s_cbranch_execz .LBB82_29
; %bb.28:
	v_add_nc_u32_e32 v40, s2, v67
	v_add_nc_u32_e32 v67, 0x100, v67
	s_clause 0x1
	global_load_b64 v[54:55], v40, s[6:7] scale_offset
	global_load_b64 v[56:57], v40, s[10:11] scale_offset
.LBB82_29:
	s_wait_xcnt 0x0
	s_or_b32 exec_lo, exec_lo, s3
	v_mov_b64_e32 v[58:59], 0
	s_mov_b32 s3, exec_lo
	v_cmpx_gt_i32_e64 s1, v67
	s_cbranch_execz .LBB82_31
; %bb.30:
	v_add_nc_u32_e32 v40, s2, v67
	v_add_nc_u32_e32 v67, 0x100, v67
	s_clause 0x1
	global_load_b64 v[32:33], v40, s[6:7] scale_offset
	global_load_b64 v[58:59], v40, s[10:11] scale_offset
.LBB82_31:
	s_wait_xcnt 0x0
	s_or_b32 exec_lo, exec_lo, s3
	v_mov_b64_e32 v[40:41], 0
	v_mov_b64_e32 v[60:61], 0
	v_mov_b64_e32 v[62:63], 0
	s_mov_b32 s3, exec_lo
	v_cmpx_gt_i32_e64 s1, v67
	s_cbranch_execz .LBB82_33
; %bb.32:
	v_add_nc_u32_e32 v64, s2, v67
	v_add_nc_u32_e32 v67, 0x100, v67
	s_clause 0x1
	global_load_b64 v[60:61], v64, s[6:7] scale_offset
	global_load_b64 v[62:63], v64, s[10:11] scale_offset
.LBB82_33:
	s_wait_xcnt 0x0
	s_or_b32 exec_lo, exec_lo, s3
	v_mov_b64_e32 v[64:65], 0
	s_mov_b32 s3, exec_lo
	v_cmpx_gt_i32_e64 s1, v67
	s_cbranch_execz .LBB82_35
; %bb.34:
	v_add_nc_u32_e32 v67, s2, v67
	s_clause 0x1
	global_load_b64 v[40:41], v67, s[6:7] scale_offset
	global_load_b64 v[64:65], v67, s[10:11] scale_offset
.LBB82_35:
	s_wait_xcnt 0x0
	s_or_b32 exec_lo, exec_lo, s3
	s_cmp_eq_u32 s9, 0
	s_cselect_b32 s0, -1, 0
	s_and_saveexec_b32 s3, vcc_lo
	s_cbranch_execnz .LBB82_53
; %bb.36:
	s_or_b32 exec_lo, exec_lo, s3
	s_delay_alu instid0(SALU_CYCLE_1)
	s_mov_b32 s3, exec_lo
	v_cmpx_gt_i32_e64 s1, v0
	s_cbranch_execnz .LBB82_54
.LBB82_37:
	s_or_b32 exec_lo, exec_lo, s3
	s_delay_alu instid0(SALU_CYCLE_1)
	s_mov_b32 s3, exec_lo
	v_cmpx_gt_i32_e64 s1, v0
	s_cbranch_execnz .LBB82_55
.LBB82_38:
	s_or_b32 exec_lo, exec_lo, s3
	s_delay_alu instid0(SALU_CYCLE_1)
	s_mov_b32 s3, exec_lo
	v_cmpx_gt_i32_e64 s1, v0
	s_cbranch_execnz .LBB82_56
.LBB82_39:
	s_or_b32 exec_lo, exec_lo, s3
	s_delay_alu instid0(SALU_CYCLE_1)
	s_mov_b32 s3, exec_lo
	v_cmpx_gt_i32_e64 s1, v0
	s_cbranch_execnz .LBB82_57
.LBB82_40:
	s_or_b32 exec_lo, exec_lo, s3
	s_delay_alu instid0(SALU_CYCLE_1)
	s_mov_b32 s3, exec_lo
	v_cmpx_gt_i32_e64 s1, v0
	s_cbranch_execnz .LBB82_58
.LBB82_41:
	s_or_b32 exec_lo, exec_lo, s3
	s_delay_alu instid0(SALU_CYCLE_1)
	s_mov_b32 s3, exec_lo
	v_cmpx_gt_i32_e64 s1, v0
	s_cbranch_execnz .LBB82_59
.LBB82_42:
	s_or_b32 exec_lo, exec_lo, s3
	s_delay_alu instid0(SALU_CYCLE_1)
	s_mov_b32 s3, exec_lo
	v_cmpx_gt_i32_e64 s1, v0
	s_cbranch_execnz .LBB82_60
.LBB82_43:
	s_or_b32 exec_lo, exec_lo, s3
	s_delay_alu instid0(SALU_CYCLE_1)
	s_mov_b32 s3, exec_lo
	v_cmpx_gt_i32_e64 s1, v0
	s_cbranch_execnz .LBB82_61
.LBB82_44:
	s_or_b32 exec_lo, exec_lo, s3
	s_delay_alu instid0(SALU_CYCLE_1)
	s_mov_b32 s3, exec_lo
	v_cmpx_gt_i32_e64 s1, v0
	s_cbranch_execnz .LBB82_62
.LBB82_45:
	s_or_b32 exec_lo, exec_lo, s3
	s_delay_alu instid0(SALU_CYCLE_1)
	s_mov_b32 s3, exec_lo
	v_cmpx_gt_i32_e64 s1, v0
	s_cbranch_execnz .LBB82_63
.LBB82_46:
	s_or_b32 exec_lo, exec_lo, s3
	s_delay_alu instid0(SALU_CYCLE_1)
	s_mov_b32 s3, exec_lo
	v_cmpx_gt_i32_e64 s1, v0
	s_cbranch_execnz .LBB82_64
.LBB82_47:
	s_or_b32 exec_lo, exec_lo, s3
	s_delay_alu instid0(SALU_CYCLE_1)
	s_mov_b32 s3, exec_lo
	v_cmpx_gt_i32_e64 s1, v0
	s_cbranch_execnz .LBB82_65
.LBB82_48:
	s_or_b32 exec_lo, exec_lo, s3
	s_delay_alu instid0(SALU_CYCLE_1)
	s_mov_b32 s3, exec_lo
	v_cmpx_gt_i32_e64 s1, v0
	s_cbranch_execnz .LBB82_66
.LBB82_49:
	s_or_b32 exec_lo, exec_lo, s3
	s_delay_alu instid0(SALU_CYCLE_1)
	s_mov_b32 s3, exec_lo
	v_cmpx_gt_i32_e64 s1, v0
	s_cbranch_execnz .LBB82_67
.LBB82_50:
	s_or_b32 exec_lo, exec_lo, s3
	v_cmp_gt_i32_e32 vcc_lo, s1, v0
	s_and_saveexec_b32 s1, vcc_lo
	s_cbranch_execz .LBB82_52
.LBB82_51:
	s_wait_loadcnt 0x0
	v_cmp_eq_f64_e32 vcc_lo, v[40:41], v[64:65]
	v_add_nc_u32_e32 v0, s2, v0
	v_cndmask_b32_e64 v1, 0, 1, vcc_lo
	v_cmp_neq_f64_e32 vcc_lo, v[40:41], v[64:65]
	v_cndmask_b32_e64 v2, 0, 1, vcc_lo
	s_delay_alu instid0(VALU_DEP_1) | instskip(NEXT) | instid1(VALU_DEP_1)
	v_cndmask_b32_e64 v1, v2, v1, s0
	v_and_b32_e32 v1, 1, v1
	global_store_b8 v0, v1, s[4:5]
.LBB82_52:
	s_sendmsg sendmsg(MSG_DEALLOC_VGPRS)
	s_endpgm
.LBB82_53:
	s_wait_loadcnt 0x0
	v_cmp_eq_f64_e32 vcc_lo, v[10:11], v[12:13]
	v_cndmask_b32_e64 v0, 0, 1, vcc_lo
	v_cmp_neq_f64_e32 vcc_lo, v[10:11], v[12:13]
	v_cndmask_b32_e64 v10, 0, 1, vcc_lo
	s_delay_alu instid0(VALU_DEP_1) | instskip(NEXT) | instid1(VALU_DEP_1)
	v_cndmask_b32_e64 v0, v10, v0, s0
	v_dual_mov_b32 v0, v66 :: v_dual_bitop2_b32 v10, 1, v0 bitop3:0x40
	global_store_b8 v1, v10, s[4:5]
	s_wait_xcnt 0x0
	s_or_b32 exec_lo, exec_lo, s3
	s_delay_alu instid0(SALU_CYCLE_1)
	s_mov_b32 s3, exec_lo
	v_cmpx_gt_i32_e64 s1, v0
	s_cbranch_execz .LBB82_37
.LBB82_54:
	s_wait_loadcnt 0x0
	v_cmp_eq_f64_e32 vcc_lo, v[2:3], v[14:15]
	v_cndmask_b32_e64 v1, 0, 1, vcc_lo
	v_cmp_neq_f64_e32 vcc_lo, v[2:3], v[14:15]
	v_cndmask_b32_e64 v2, 0, 1, vcc_lo
	s_delay_alu instid0(VALU_DEP_1) | instskip(SKIP_1) | instid1(VALU_DEP_2)
	v_dual_cndmask_b32 v1, v2, v1, s0 :: v_dual_add_nc_u32 v2, s2, v0
	v_add_nc_u32_e32 v0, 0x100, v0
	v_and_b32_e32 v1, 1, v1
	global_store_b8 v2, v1, s[4:5]
	s_wait_xcnt 0x0
	s_or_b32 exec_lo, exec_lo, s3
	s_delay_alu instid0(SALU_CYCLE_1)
	s_mov_b32 s3, exec_lo
	v_cmpx_gt_i32_e64 s1, v0
	s_cbranch_execz .LBB82_38
.LBB82_55:
	s_wait_loadcnt 0x0
	v_cmp_eq_f64_e32 vcc_lo, v[18:19], v[20:21]
	v_cndmask_b32_e64 v1, 0, 1, vcc_lo
	v_cmp_neq_f64_e32 vcc_lo, v[18:19], v[20:21]
	v_cndmask_b32_e64 v2, 0, 1, vcc_lo
	s_delay_alu instid0(VALU_DEP_1) | instskip(SKIP_1) | instid1(VALU_DEP_2)
	v_dual_cndmask_b32 v1, v2, v1, s0 :: v_dual_add_nc_u32 v2, s2, v0
	v_add_nc_u32_e32 v0, 0x100, v0
	v_and_b32_e32 v1, 1, v1
	global_store_b8 v2, v1, s[4:5]
	s_wait_xcnt 0x0
	s_or_b32 exec_lo, exec_lo, s3
	s_delay_alu instid0(SALU_CYCLE_1)
	s_mov_b32 s3, exec_lo
	v_cmpx_gt_i32_e64 s1, v0
	s_cbranch_execz .LBB82_39
.LBB82_56:
	s_wait_loadcnt 0x0
	v_cmp_eq_f64_e32 vcc_lo, v[4:5], v[22:23]
	v_cndmask_b32_e64 v1, 0, 1, vcc_lo
	v_cmp_neq_f64_e32 vcc_lo, v[4:5], v[22:23]
	v_cndmask_b32_e64 v2, 0, 1, vcc_lo
	s_delay_alu instid0(VALU_DEP_1) | instskip(SKIP_1) | instid1(VALU_DEP_2)
	v_dual_cndmask_b32 v1, v2, v1, s0 :: v_dual_add_nc_u32 v2, s2, v0
	v_add_nc_u32_e32 v0, 0x100, v0
	v_and_b32_e32 v1, 1, v1
	global_store_b8 v2, v1, s[4:5]
	s_wait_xcnt 0x0
	s_or_b32 exec_lo, exec_lo, s3
	s_delay_alu instid0(SALU_CYCLE_1)
	s_mov_b32 s3, exec_lo
	v_cmpx_gt_i32_e64 s1, v0
	s_cbranch_execz .LBB82_40
.LBB82_57:
	s_wait_loadcnt 0x0
	v_cmp_eq_f64_e32 vcc_lo, v[26:27], v[28:29]
	v_cndmask_b32_e64 v1, 0, 1, vcc_lo
	v_cmp_neq_f64_e32 vcc_lo, v[26:27], v[28:29]
	v_cndmask_b32_e64 v2, 0, 1, vcc_lo
	s_delay_alu instid0(VALU_DEP_1) | instskip(SKIP_1) | instid1(VALU_DEP_2)
	v_dual_cndmask_b32 v1, v2, v1, s0 :: v_dual_add_nc_u32 v2, s2, v0
	v_add_nc_u32_e32 v0, 0x100, v0
	v_and_b32_e32 v1, 1, v1
	global_store_b8 v2, v1, s[4:5]
	s_wait_xcnt 0x0
	s_or_b32 exec_lo, exec_lo, s3
	s_delay_alu instid0(SALU_CYCLE_1)
	s_mov_b32 s3, exec_lo
	v_cmpx_gt_i32_e64 s1, v0
	s_cbranch_execz .LBB82_41
.LBB82_58:
	s_wait_loadcnt 0x0
	v_cmp_eq_f64_e32 vcc_lo, v[6:7], v[30:31]
	v_cndmask_b32_e64 v1, 0, 1, vcc_lo
	v_cmp_neq_f64_e32 vcc_lo, v[6:7], v[30:31]
	v_cndmask_b32_e64 v2, 0, 1, vcc_lo
	s_delay_alu instid0(VALU_DEP_1) | instskip(SKIP_1) | instid1(VALU_DEP_2)
	v_dual_cndmask_b32 v1, v2, v1, s0 :: v_dual_add_nc_u32 v2, s2, v0
	v_add_nc_u32_e32 v0, 0x100, v0
	v_and_b32_e32 v1, 1, v1
	global_store_b8 v2, v1, s[4:5]
	s_wait_xcnt 0x0
	s_or_b32 exec_lo, exec_lo, s3
	s_delay_alu instid0(SALU_CYCLE_1)
	s_mov_b32 s3, exec_lo
	v_cmpx_gt_i32_e64 s1, v0
	s_cbranch_execz .LBB82_42
.LBB82_59:
	s_wait_loadcnt 0x0
	v_cmp_eq_f64_e32 vcc_lo, v[34:35], v[36:37]
	v_cndmask_b32_e64 v1, 0, 1, vcc_lo
	v_cmp_neq_f64_e32 vcc_lo, v[34:35], v[36:37]
	v_cndmask_b32_e64 v2, 0, 1, vcc_lo
	s_delay_alu instid0(VALU_DEP_1) | instskip(SKIP_1) | instid1(VALU_DEP_2)
	v_dual_cndmask_b32 v1, v2, v1, s0 :: v_dual_add_nc_u32 v2, s2, v0
	v_add_nc_u32_e32 v0, 0x100, v0
	v_and_b32_e32 v1, 1, v1
	global_store_b8 v2, v1, s[4:5]
	s_wait_xcnt 0x0
	s_or_b32 exec_lo, exec_lo, s3
	s_delay_alu instid0(SALU_CYCLE_1)
	s_mov_b32 s3, exec_lo
	v_cmpx_gt_i32_e64 s1, v0
	s_cbranch_execz .LBB82_43
.LBB82_60:
	s_wait_loadcnt 0x0
	v_cmp_eq_f64_e32 vcc_lo, v[8:9], v[38:39]
	v_cndmask_b32_e64 v1, 0, 1, vcc_lo
	v_cmp_neq_f64_e32 vcc_lo, v[8:9], v[38:39]
	v_cndmask_b32_e64 v2, 0, 1, vcc_lo
	s_delay_alu instid0(VALU_DEP_1) | instskip(SKIP_1) | instid1(VALU_DEP_2)
	v_dual_cndmask_b32 v1, v2, v1, s0 :: v_dual_add_nc_u32 v2, s2, v0
	v_add_nc_u32_e32 v0, 0x100, v0
	v_and_b32_e32 v1, 1, v1
	global_store_b8 v2, v1, s[4:5]
	s_wait_xcnt 0x0
	s_or_b32 exec_lo, exec_lo, s3
	s_delay_alu instid0(SALU_CYCLE_1)
	s_mov_b32 s3, exec_lo
	v_cmpx_gt_i32_e64 s1, v0
	s_cbranch_execz .LBB82_44
.LBB82_61:
	s_wait_loadcnt 0x0
	v_cmp_eq_f64_e32 vcc_lo, v[42:43], v[44:45]
	v_cndmask_b32_e64 v1, 0, 1, vcc_lo
	v_cmp_neq_f64_e32 vcc_lo, v[42:43], v[44:45]
	v_cndmask_b32_e64 v2, 0, 1, vcc_lo
	s_delay_alu instid0(VALU_DEP_1) | instskip(SKIP_1) | instid1(VALU_DEP_2)
	v_dual_cndmask_b32 v1, v2, v1, s0 :: v_dual_add_nc_u32 v2, s2, v0
	v_add_nc_u32_e32 v0, 0x100, v0
	v_and_b32_e32 v1, 1, v1
	global_store_b8 v2, v1, s[4:5]
	s_wait_xcnt 0x0
	s_or_b32 exec_lo, exec_lo, s3
	s_delay_alu instid0(SALU_CYCLE_1)
	s_mov_b32 s3, exec_lo
	v_cmpx_gt_i32_e64 s1, v0
	s_cbranch_execz .LBB82_45
.LBB82_62:
	s_wait_loadcnt 0x0
	v_cmp_eq_f64_e32 vcc_lo, v[16:17], v[46:47]
	v_cndmask_b32_e64 v1, 0, 1, vcc_lo
	v_cmp_neq_f64_e32 vcc_lo, v[16:17], v[46:47]
	v_cndmask_b32_e64 v2, 0, 1, vcc_lo
	s_delay_alu instid0(VALU_DEP_1) | instskip(SKIP_1) | instid1(VALU_DEP_2)
	v_dual_cndmask_b32 v1, v2, v1, s0 :: v_dual_add_nc_u32 v2, s2, v0
	v_add_nc_u32_e32 v0, 0x100, v0
	v_and_b32_e32 v1, 1, v1
	global_store_b8 v2, v1, s[4:5]
	s_wait_xcnt 0x0
	s_or_b32 exec_lo, exec_lo, s3
	s_delay_alu instid0(SALU_CYCLE_1)
	s_mov_b32 s3, exec_lo
	v_cmpx_gt_i32_e64 s1, v0
	s_cbranch_execz .LBB82_46
.LBB82_63:
	s_wait_loadcnt 0x0
	v_cmp_eq_f64_e32 vcc_lo, v[48:49], v[50:51]
	v_cndmask_b32_e64 v1, 0, 1, vcc_lo
	v_cmp_neq_f64_e32 vcc_lo, v[48:49], v[50:51]
	v_cndmask_b32_e64 v2, 0, 1, vcc_lo
	s_delay_alu instid0(VALU_DEP_1) | instskip(SKIP_1) | instid1(VALU_DEP_2)
	v_dual_cndmask_b32 v1, v2, v1, s0 :: v_dual_add_nc_u32 v2, s2, v0
	v_add_nc_u32_e32 v0, 0x100, v0
	v_and_b32_e32 v1, 1, v1
	global_store_b8 v2, v1, s[4:5]
	s_wait_xcnt 0x0
	s_or_b32 exec_lo, exec_lo, s3
	s_delay_alu instid0(SALU_CYCLE_1)
	s_mov_b32 s3, exec_lo
	v_cmpx_gt_i32_e64 s1, v0
	s_cbranch_execz .LBB82_47
.LBB82_64:
	s_wait_loadcnt 0x0
	v_cmp_eq_f64_e32 vcc_lo, v[24:25], v[52:53]
	v_cndmask_b32_e64 v1, 0, 1, vcc_lo
	v_cmp_neq_f64_e32 vcc_lo, v[24:25], v[52:53]
	v_cndmask_b32_e64 v2, 0, 1, vcc_lo
	s_delay_alu instid0(VALU_DEP_1) | instskip(SKIP_1) | instid1(VALU_DEP_2)
	v_dual_cndmask_b32 v1, v2, v1, s0 :: v_dual_add_nc_u32 v2, s2, v0
	v_add_nc_u32_e32 v0, 0x100, v0
	v_and_b32_e32 v1, 1, v1
	global_store_b8 v2, v1, s[4:5]
	s_wait_xcnt 0x0
	s_or_b32 exec_lo, exec_lo, s3
	s_delay_alu instid0(SALU_CYCLE_1)
	s_mov_b32 s3, exec_lo
	v_cmpx_gt_i32_e64 s1, v0
	s_cbranch_execz .LBB82_48
.LBB82_65:
	s_wait_loadcnt 0x0
	v_cmp_eq_f64_e32 vcc_lo, v[54:55], v[56:57]
	v_cndmask_b32_e64 v1, 0, 1, vcc_lo
	v_cmp_neq_f64_e32 vcc_lo, v[54:55], v[56:57]
	v_cndmask_b32_e64 v2, 0, 1, vcc_lo
	s_delay_alu instid0(VALU_DEP_1) | instskip(SKIP_1) | instid1(VALU_DEP_2)
	v_dual_cndmask_b32 v1, v2, v1, s0 :: v_dual_add_nc_u32 v2, s2, v0
	v_add_nc_u32_e32 v0, 0x100, v0
	v_and_b32_e32 v1, 1, v1
	global_store_b8 v2, v1, s[4:5]
	s_wait_xcnt 0x0
	s_or_b32 exec_lo, exec_lo, s3
	s_delay_alu instid0(SALU_CYCLE_1)
	s_mov_b32 s3, exec_lo
	v_cmpx_gt_i32_e64 s1, v0
	s_cbranch_execz .LBB82_49
.LBB82_66:
	s_wait_loadcnt 0x0
	v_cmp_eq_f64_e32 vcc_lo, v[32:33], v[58:59]
	v_cndmask_b32_e64 v1, 0, 1, vcc_lo
	v_cmp_neq_f64_e32 vcc_lo, v[32:33], v[58:59]
	v_cndmask_b32_e64 v2, 0, 1, vcc_lo
	s_delay_alu instid0(VALU_DEP_1) | instskip(SKIP_1) | instid1(VALU_DEP_2)
	v_dual_cndmask_b32 v1, v2, v1, s0 :: v_dual_add_nc_u32 v2, s2, v0
	v_add_nc_u32_e32 v0, 0x100, v0
	v_and_b32_e32 v1, 1, v1
	global_store_b8 v2, v1, s[4:5]
	s_wait_xcnt 0x0
	s_or_b32 exec_lo, exec_lo, s3
	s_delay_alu instid0(SALU_CYCLE_1)
	s_mov_b32 s3, exec_lo
	v_cmpx_gt_i32_e64 s1, v0
	s_cbranch_execz .LBB82_50
.LBB82_67:
	s_wait_loadcnt 0x0
	v_cmp_eq_f64_e32 vcc_lo, v[60:61], v[62:63]
	v_cndmask_b32_e64 v1, 0, 1, vcc_lo
	v_cmp_neq_f64_e32 vcc_lo, v[60:61], v[62:63]
	v_cndmask_b32_e64 v2, 0, 1, vcc_lo
	s_delay_alu instid0(VALU_DEP_1) | instskip(SKIP_1) | instid1(VALU_DEP_2)
	v_dual_cndmask_b32 v1, v2, v1, s0 :: v_dual_add_nc_u32 v2, s2, v0
	v_add_nc_u32_e32 v0, 0x100, v0
	v_and_b32_e32 v1, 1, v1
	global_store_b8 v2, v1, s[4:5]
	s_wait_xcnt 0x0
	s_or_b32 exec_lo, exec_lo, s3
	v_cmp_gt_i32_e32 vcc_lo, s1, v0
	s_and_saveexec_b32 s1, vcc_lo
	s_cbranch_execnz .LBB82_51
	s_branch .LBB82_52
	.section	.rodata,"a",@progbits
	.p2align	6, 0x0
	.amdhsa_kernel _ZN2at6native29vectorized_elementwise_kernelILi4ENS0_13BinaryFunctorIddbNS0_12_GLOBAL__N_116CompareEqFunctorIdEEEESt5arrayIPcLm3EEEEviT0_T1_
		.amdhsa_group_segment_fixed_size 0
		.amdhsa_private_segment_fixed_size 0
		.amdhsa_kernarg_size 32
		.amdhsa_user_sgpr_count 2
		.amdhsa_user_sgpr_dispatch_ptr 0
		.amdhsa_user_sgpr_queue_ptr 0
		.amdhsa_user_sgpr_kernarg_segment_ptr 1
		.amdhsa_user_sgpr_dispatch_id 0
		.amdhsa_user_sgpr_kernarg_preload_length 0
		.amdhsa_user_sgpr_kernarg_preload_offset 0
		.amdhsa_user_sgpr_private_segment_size 0
		.amdhsa_wavefront_size32 1
		.amdhsa_uses_dynamic_stack 0
		.amdhsa_enable_private_segment 0
		.amdhsa_system_sgpr_workgroup_id_x 1
		.amdhsa_system_sgpr_workgroup_id_y 0
		.amdhsa_system_sgpr_workgroup_id_z 0
		.amdhsa_system_sgpr_workgroup_info 0
		.amdhsa_system_vgpr_workitem_id 0
		.amdhsa_next_free_vgpr 68
		.amdhsa_next_free_sgpr 16
		.amdhsa_named_barrier_count 0
		.amdhsa_reserve_vcc 1
		.amdhsa_float_round_mode_32 0
		.amdhsa_float_round_mode_16_64 0
		.amdhsa_float_denorm_mode_32 3
		.amdhsa_float_denorm_mode_16_64 3
		.amdhsa_fp16_overflow 0
		.amdhsa_memory_ordered 1
		.amdhsa_forward_progress 1
		.amdhsa_inst_pref_size 34
		.amdhsa_round_robin_scheduling 0
		.amdhsa_exception_fp_ieee_invalid_op 0
		.amdhsa_exception_fp_denorm_src 0
		.amdhsa_exception_fp_ieee_div_zero 0
		.amdhsa_exception_fp_ieee_overflow 0
		.amdhsa_exception_fp_ieee_underflow 0
		.amdhsa_exception_fp_ieee_inexact 0
		.amdhsa_exception_int_div_zero 0
	.end_amdhsa_kernel
	.section	.text._ZN2at6native29vectorized_elementwise_kernelILi4ENS0_13BinaryFunctorIddbNS0_12_GLOBAL__N_116CompareEqFunctorIdEEEESt5arrayIPcLm3EEEEviT0_T1_,"axG",@progbits,_ZN2at6native29vectorized_elementwise_kernelILi4ENS0_13BinaryFunctorIddbNS0_12_GLOBAL__N_116CompareEqFunctorIdEEEESt5arrayIPcLm3EEEEviT0_T1_,comdat
.Lfunc_end82:
	.size	_ZN2at6native29vectorized_elementwise_kernelILi4ENS0_13BinaryFunctorIddbNS0_12_GLOBAL__N_116CompareEqFunctorIdEEEESt5arrayIPcLm3EEEEviT0_T1_, .Lfunc_end82-_ZN2at6native29vectorized_elementwise_kernelILi4ENS0_13BinaryFunctorIddbNS0_12_GLOBAL__N_116CompareEqFunctorIdEEEESt5arrayIPcLm3EEEEviT0_T1_
                                        ; -- End function
	.set _ZN2at6native29vectorized_elementwise_kernelILi4ENS0_13BinaryFunctorIddbNS0_12_GLOBAL__N_116CompareEqFunctorIdEEEESt5arrayIPcLm3EEEEviT0_T1_.num_vgpr, 68
	.set _ZN2at6native29vectorized_elementwise_kernelILi4ENS0_13BinaryFunctorIddbNS0_12_GLOBAL__N_116CompareEqFunctorIdEEEESt5arrayIPcLm3EEEEviT0_T1_.num_agpr, 0
	.set _ZN2at6native29vectorized_elementwise_kernelILi4ENS0_13BinaryFunctorIddbNS0_12_GLOBAL__N_116CompareEqFunctorIdEEEESt5arrayIPcLm3EEEEviT0_T1_.numbered_sgpr, 16
	.set _ZN2at6native29vectorized_elementwise_kernelILi4ENS0_13BinaryFunctorIddbNS0_12_GLOBAL__N_116CompareEqFunctorIdEEEESt5arrayIPcLm3EEEEviT0_T1_.num_named_barrier, 0
	.set _ZN2at6native29vectorized_elementwise_kernelILi4ENS0_13BinaryFunctorIddbNS0_12_GLOBAL__N_116CompareEqFunctorIdEEEESt5arrayIPcLm3EEEEviT0_T1_.private_seg_size, 0
	.set _ZN2at6native29vectorized_elementwise_kernelILi4ENS0_13BinaryFunctorIddbNS0_12_GLOBAL__N_116CompareEqFunctorIdEEEESt5arrayIPcLm3EEEEviT0_T1_.uses_vcc, 1
	.set _ZN2at6native29vectorized_elementwise_kernelILi4ENS0_13BinaryFunctorIddbNS0_12_GLOBAL__N_116CompareEqFunctorIdEEEESt5arrayIPcLm3EEEEviT0_T1_.uses_flat_scratch, 0
	.set _ZN2at6native29vectorized_elementwise_kernelILi4ENS0_13BinaryFunctorIddbNS0_12_GLOBAL__N_116CompareEqFunctorIdEEEESt5arrayIPcLm3EEEEviT0_T1_.has_dyn_sized_stack, 0
	.set _ZN2at6native29vectorized_elementwise_kernelILi4ENS0_13BinaryFunctorIddbNS0_12_GLOBAL__N_116CompareEqFunctorIdEEEESt5arrayIPcLm3EEEEviT0_T1_.has_recursion, 0
	.set _ZN2at6native29vectorized_elementwise_kernelILi4ENS0_13BinaryFunctorIddbNS0_12_GLOBAL__N_116CompareEqFunctorIdEEEESt5arrayIPcLm3EEEEviT0_T1_.has_indirect_call, 0
	.section	.AMDGPU.csdata,"",@progbits
; Kernel info:
; codeLenInByte = 4244
; TotalNumSgprs: 18
; NumVgprs: 68
; ScratchSize: 0
; MemoryBound: 0
; FloatMode: 240
; IeeeMode: 1
; LDSByteSize: 0 bytes/workgroup (compile time only)
; SGPRBlocks: 0
; VGPRBlocks: 4
; NumSGPRsForWavesPerEU: 18
; NumVGPRsForWavesPerEU: 68
; NamedBarCnt: 0
; Occupancy: 12
; WaveLimiterHint : 1
; COMPUTE_PGM_RSRC2:SCRATCH_EN: 0
; COMPUTE_PGM_RSRC2:USER_SGPR: 2
; COMPUTE_PGM_RSRC2:TRAP_HANDLER: 0
; COMPUTE_PGM_RSRC2:TGID_X_EN: 1
; COMPUTE_PGM_RSRC2:TGID_Y_EN: 0
; COMPUTE_PGM_RSRC2:TGID_Z_EN: 0
; COMPUTE_PGM_RSRC2:TIDIG_COMP_CNT: 0
	.section	.text._ZN2at6native29vectorized_elementwise_kernelILi2ENS0_13BinaryFunctorIddbNS0_12_GLOBAL__N_116CompareEqFunctorIdEEEESt5arrayIPcLm3EEEEviT0_T1_,"axG",@progbits,_ZN2at6native29vectorized_elementwise_kernelILi2ENS0_13BinaryFunctorIddbNS0_12_GLOBAL__N_116CompareEqFunctorIdEEEESt5arrayIPcLm3EEEEviT0_T1_,comdat
	.globl	_ZN2at6native29vectorized_elementwise_kernelILi2ENS0_13BinaryFunctorIddbNS0_12_GLOBAL__N_116CompareEqFunctorIdEEEESt5arrayIPcLm3EEEEviT0_T1_ ; -- Begin function _ZN2at6native29vectorized_elementwise_kernelILi2ENS0_13BinaryFunctorIddbNS0_12_GLOBAL__N_116CompareEqFunctorIdEEEESt5arrayIPcLm3EEEEviT0_T1_
	.p2align	8
	.type	_ZN2at6native29vectorized_elementwise_kernelILi2ENS0_13BinaryFunctorIddbNS0_12_GLOBAL__N_116CompareEqFunctorIdEEEESt5arrayIPcLm3EEEEviT0_T1_,@function
_ZN2at6native29vectorized_elementwise_kernelILi2ENS0_13BinaryFunctorIddbNS0_12_GLOBAL__N_116CompareEqFunctorIdEEEESt5arrayIPcLm3EEEEviT0_T1_: ; @_ZN2at6native29vectorized_elementwise_kernelILi2ENS0_13BinaryFunctorIddbNS0_12_GLOBAL__N_116CompareEqFunctorIdEEEESt5arrayIPcLm3EEEEviT0_T1_
; %bb.0:
	s_clause 0x2
	s_load_b64 s[8:9], s[0:1], 0x0
	s_load_b128 s[4:7], s[0:1], 0x8
	s_load_b64 s[10:11], s[0:1], 0x18
	s_wait_xcnt 0x0
	s_bfe_u32 s0, ttmp6, 0x4000c
	s_and_b32 s1, ttmp6, 15
	s_add_co_i32 s0, s0, 1
	s_getreg_b32 s2, hwreg(HW_REG_IB_STS2, 6, 4)
	s_mul_i32 s0, ttmp9, s0
	s_mov_b32 s12, -1
	s_add_co_i32 s1, s1, s0
	s_cmp_eq_u32 s2, 0
	s_cselect_b32 s0, ttmp9, s1
	s_delay_alu instid0(SALU_CYCLE_1) | instskip(SKIP_2) | instid1(SALU_CYCLE_1)
	s_lshl_b32 s2, s0, 12
	s_wait_kmcnt 0x0
	s_sub_co_i32 s8, s8, s2
	s_cmp_gt_i32 s8, 0xfff
	s_cbranch_scc0 .LBB83_2
; %bb.1:
	s_ashr_i32 s3, s2, 31
	s_delay_alu instid0(SALU_CYCLE_1)
	s_lshl_b64 s[0:1], s[2:3], 3
	s_cmp_eq_u32 s9, 0
	s_add_nc_u64 s[12:13], s[10:11], s[0:1]
	s_add_nc_u64 s[0:1], s[6:7], s[0:1]
	s_clause 0xf
	global_load_b128 v[2:5], v0, s[12:13] scale_offset
	global_load_b128 v[6:9], v0, s[0:1] scale_offset
	global_load_b128 v[10:13], v0, s[0:1] offset:4096 scale_offset
	global_load_b128 v[14:17], v0, s[12:13] offset:4096 scale_offset
	;; [unrolled: 1-line block ×13, first 2 shown]
	; meta instruction
	global_load_b128 v[62:65], v0, s[12:13] offset:28672 scale_offset
	s_wait_xcnt 0x1
	s_add_nc_u64 s[0:1], s[4:5], s[2:3]
	s_wait_xcnt 0x0
	s_mov_b32 s12, 0
	s_wait_loadcnt 0xe
	v_cmp_eq_f64_e32 vcc_lo, v[6:7], v[2:3]
	v_cndmask_b32_e64 v1, 0, 1, vcc_lo
	v_cmp_neq_f64_e32 vcc_lo, v[6:7], v[2:3]
	v_cndmask_b32_e64 v2, 0, 1, vcc_lo
	v_cmp_eq_f64_e32 vcc_lo, v[8:9], v[4:5]
	v_cndmask_b32_e64 v3, 0, 1, vcc_lo
	v_cmp_neq_f64_e32 vcc_lo, v[8:9], v[4:5]
	v_cndmask_b32_e64 v4, 0, 1, vcc_lo
	s_wait_loadcnt 0xc
	v_cmp_eq_f64_e32 vcc_lo, v[10:11], v[14:15]
	v_cndmask_b32_e64 v5, 0, 1, vcc_lo
	v_cmp_neq_f64_e32 vcc_lo, v[10:11], v[14:15]
	v_cndmask_b32_e64 v6, 0, 1, vcc_lo
	v_cmp_eq_f64_e32 vcc_lo, v[12:13], v[16:17]
	v_cndmask_b32_e64 v7, 0, 1, vcc_lo
	v_cmp_neq_f64_e32 vcc_lo, v[12:13], v[16:17]
	v_cndmask_b32_e64 v8, 0, 1, vcc_lo
	;; [unrolled: 9-line block ×8, first 2 shown]
	s_cselect_b32 vcc_lo, -1, 0
	v_dual_cndmask_b32 v1, v2, v1 :: v_dual_cndmask_b32 v2, v4, v3
	v_dual_cndmask_b32 v3, v6, v5 :: v_dual_cndmask_b32 v4, v8, v7
	;; [unrolled: 1-line block ×3, first 2 shown]
	s_delay_alu instid0(VALU_DEP_3)
	v_dual_cndmask_b32 v7, v14, v13, vcc_lo :: v_dual_bitop2_b32 v2, 1, v2 bitop3:0x40
	v_dual_cndmask_b32 v8, v16, v15 :: v_dual_cndmask_b32 v9, v18, v17
	v_dual_cndmask_b32 v10, v20, v19 :: v_dual_cndmask_b32 v11, v22, v21
	;; [unrolled: 1-line block ×4, first 2 shown]
	v_dual_cndmask_b32 v16, v32, v31, vcc_lo :: v_dual_bitop2_b32 v4, 1, v4 bitop3:0x40
	v_cmp_eq_u32_e32 vcc_lo, 1, v2
	v_and_b32_e32 v6, 1, v6
	v_and_b32_e32 v8, 1, v8
	;; [unrolled: 1-line block ×4, first 2 shown]
	v_cndmask_b32_e64 v2, 0, 0x100, vcc_lo
	v_cmp_eq_u32_e32 vcc_lo, 1, v4
	v_and_b32_e32 v14, 1, v14
	v_and_b32_e32 v16, 1, v16
	s_delay_alu instid0(VALU_DEP_4) | instskip(SKIP_2) | instid1(VALU_DEP_2)
	v_bitop3_b16 v1, v2, v1, 1 bitop3:0xf8
	v_cndmask_b32_e64 v4, 0, 0x100, vcc_lo
	v_cmp_eq_u32_e32 vcc_lo, 1, v6
	v_bitop3_b16 v2, v4, v3, 1 bitop3:0xf8
	v_cndmask_b32_e64 v6, 0, 0x100, vcc_lo
	v_cmp_eq_u32_e32 vcc_lo, 1, v8
	s_delay_alu instid0(VALU_DEP_2) | instskip(SKIP_2) | instid1(VALU_DEP_2)
	v_bitop3_b16 v3, v6, v5, 1 bitop3:0xf8
	v_cndmask_b32_e64 v8, 0, 0x100, vcc_lo
	v_cmp_eq_u32_e32 vcc_lo, 1, v10
	v_bitop3_b16 v4, v8, v7, 1 bitop3:0xf8
	v_cndmask_b32_e64 v10, 0, 0x100, vcc_lo
	v_cmp_eq_u32_e32 vcc_lo, 1, v12
	s_delay_alu instid0(VALU_DEP_2) | instskip(SKIP_2) | instid1(VALU_DEP_2)
	v_bitop3_b16 v5, v10, v9, 1 bitop3:0xf8
	v_cndmask_b32_e64 v12, 0, 0x100, vcc_lo
	v_cmp_eq_u32_e32 vcc_lo, 1, v14
	v_bitop3_b16 v6, v12, v11, 1 bitop3:0xf8
	v_cndmask_b32_e64 v14, 0, 0x100, vcc_lo
	v_cmp_eq_u32_e32 vcc_lo, 1, v16
	s_delay_alu instid0(VALU_DEP_2) | instskip(SKIP_1) | instid1(VALU_DEP_1)
	v_bitop3_b16 v7, v14, v13, 1 bitop3:0xf8
	v_cndmask_b32_e64 v16, 0, 0x100, vcc_lo
	v_bitop3_b16 v8, v16, v15, 1 bitop3:0xf8
	s_clause 0x7
	global_store_b16 v0, v1, s[0:1] scale_offset
	global_store_b16 v0, v2, s[0:1] offset:512 scale_offset
	global_store_b16 v0, v3, s[0:1] offset:1024 scale_offset
	;; [unrolled: 1-line block ×7, first 2 shown]
.LBB83_2:
	s_and_not1_b32 vcc_lo, exec_lo, s12
	s_cbranch_vccnz .LBB83_52
; %bb.3:
	s_wait_xcnt 0x5
	v_mov_b64_e32 v[2:3], 0
	v_mov_b64_e32 v[10:11], 0
	;; [unrolled: 1-line block ×3, first 2 shown]
	v_cmp_gt_i32_e32 vcc_lo, s8, v0
	v_dual_mov_b32 v67, v0 :: v_dual_bitop2_b32 v1, s2, v0 bitop3:0x54
	v_or_b32_e32 v66, 0x100, v0
	s_wait_xcnt 0x0
	s_and_saveexec_b32 s0, vcc_lo
	s_cbranch_execz .LBB83_5
; %bb.4:
	s_clause 0x1
	global_load_b64 v[10:11], v1, s[6:7] scale_offset
	global_load_b64 v[12:13], v1, s[10:11] scale_offset
	v_or_b32_e32 v67, 0x100, v0
.LBB83_5:
	s_wait_xcnt 0x0
	s_or_b32 exec_lo, exec_lo, s0
	v_mov_b64_e32 v[14:15], 0
	s_mov_b32 s1, exec_lo
	v_cmpx_gt_i32_e64 s8, v67
	s_cbranch_execz .LBB83_7
; %bb.6:
	v_add_nc_u32_e32 v4, s2, v67
	v_add_nc_u32_e32 v67, 0x100, v67
	s_clause 0x1
	global_load_b64 v[2:3], v4, s[6:7] scale_offset
	global_load_b64 v[14:15], v4, s[10:11] scale_offset
.LBB83_7:
	s_wait_xcnt 0x0
	s_or_b32 exec_lo, exec_lo, s1
	v_mov_b64_e32 v[4:5], 0
	v_mov_b64_e32 v[18:19], 0
	v_mov_b64_e32 v[20:21], 0
	s_mov_b32 s1, exec_lo
	v_cmpx_gt_i32_e64 s8, v67
	s_cbranch_execz .LBB83_9
; %bb.8:
	v_add_nc_u32_e32 v6, s2, v67
	v_add_nc_u32_e32 v67, 0x100, v67
	s_clause 0x1
	global_load_b64 v[18:19], v6, s[6:7] scale_offset
	global_load_b64 v[20:21], v6, s[10:11] scale_offset
.LBB83_9:
	s_wait_xcnt 0x0
	s_or_b32 exec_lo, exec_lo, s1
	v_mov_b64_e32 v[22:23], 0
	s_mov_b32 s1, exec_lo
	v_cmpx_gt_i32_e64 s8, v67
	s_cbranch_execz .LBB83_11
; %bb.10:
	v_add_nc_u32_e32 v6, s2, v67
	v_add_nc_u32_e32 v67, 0x100, v67
	s_clause 0x1
	global_load_b64 v[4:5], v6, s[6:7] scale_offset
	global_load_b64 v[22:23], v6, s[10:11] scale_offset
.LBB83_11:
	s_wait_xcnt 0x0
	s_or_b32 exec_lo, exec_lo, s1
	v_mov_b64_e32 v[6:7], 0
	v_mov_b64_e32 v[26:27], 0
	v_mov_b64_e32 v[28:29], 0
	s_mov_b32 s1, exec_lo
	v_cmpx_gt_i32_e64 s8, v67
	s_cbranch_execz .LBB83_13
; %bb.12:
	v_add_nc_u32_e32 v8, s2, v67
	v_add_nc_u32_e32 v67, 0x100, v67
	s_clause 0x1
	global_load_b64 v[26:27], v8, s[6:7] scale_offset
	global_load_b64 v[28:29], v8, s[10:11] scale_offset
.LBB83_13:
	;; [unrolled: 28-line block ×7, first 2 shown]
	s_wait_xcnt 0x0
	s_or_b32 exec_lo, exec_lo, s1
	v_mov_b64_e32 v[64:65], 0
	s_mov_b32 s1, exec_lo
	v_cmpx_gt_i32_e64 s8, v67
	s_cbranch_execz .LBB83_35
; %bb.34:
	v_add_nc_u32_e32 v67, s2, v67
	s_clause 0x1
	global_load_b64 v[40:41], v67, s[6:7] scale_offset
	global_load_b64 v[64:65], v67, s[10:11] scale_offset
.LBB83_35:
	s_wait_xcnt 0x0
	s_or_b32 exec_lo, exec_lo, s1
	s_cmp_eq_u32 s9, 0
	s_cselect_b32 s0, -1, 0
	s_and_saveexec_b32 s1, vcc_lo
	s_cbranch_execnz .LBB83_53
; %bb.36:
	s_or_b32 exec_lo, exec_lo, s1
	s_delay_alu instid0(SALU_CYCLE_1)
	s_mov_b32 s1, exec_lo
	v_cmpx_gt_i32_e64 s8, v0
	s_cbranch_execnz .LBB83_54
.LBB83_37:
	s_or_b32 exec_lo, exec_lo, s1
	s_delay_alu instid0(SALU_CYCLE_1)
	s_mov_b32 s1, exec_lo
	v_cmpx_gt_i32_e64 s8, v0
	s_cbranch_execnz .LBB83_55
.LBB83_38:
	s_or_b32 exec_lo, exec_lo, s1
	s_delay_alu instid0(SALU_CYCLE_1)
	s_mov_b32 s1, exec_lo
	v_cmpx_gt_i32_e64 s8, v0
	s_cbranch_execnz .LBB83_56
.LBB83_39:
	s_or_b32 exec_lo, exec_lo, s1
	s_delay_alu instid0(SALU_CYCLE_1)
	s_mov_b32 s1, exec_lo
	v_cmpx_gt_i32_e64 s8, v0
	s_cbranch_execnz .LBB83_57
.LBB83_40:
	s_or_b32 exec_lo, exec_lo, s1
	s_delay_alu instid0(SALU_CYCLE_1)
	s_mov_b32 s1, exec_lo
	v_cmpx_gt_i32_e64 s8, v0
	s_cbranch_execnz .LBB83_58
.LBB83_41:
	s_or_b32 exec_lo, exec_lo, s1
	s_delay_alu instid0(SALU_CYCLE_1)
	s_mov_b32 s1, exec_lo
	v_cmpx_gt_i32_e64 s8, v0
	s_cbranch_execnz .LBB83_59
.LBB83_42:
	s_or_b32 exec_lo, exec_lo, s1
	s_delay_alu instid0(SALU_CYCLE_1)
	s_mov_b32 s1, exec_lo
	v_cmpx_gt_i32_e64 s8, v0
	s_cbranch_execnz .LBB83_60
.LBB83_43:
	s_or_b32 exec_lo, exec_lo, s1
	s_delay_alu instid0(SALU_CYCLE_1)
	s_mov_b32 s1, exec_lo
	v_cmpx_gt_i32_e64 s8, v0
	s_cbranch_execnz .LBB83_61
.LBB83_44:
	s_or_b32 exec_lo, exec_lo, s1
	s_delay_alu instid0(SALU_CYCLE_1)
	s_mov_b32 s1, exec_lo
	v_cmpx_gt_i32_e64 s8, v0
	s_cbranch_execnz .LBB83_62
.LBB83_45:
	s_or_b32 exec_lo, exec_lo, s1
	s_delay_alu instid0(SALU_CYCLE_1)
	s_mov_b32 s1, exec_lo
	v_cmpx_gt_i32_e64 s8, v0
	s_cbranch_execnz .LBB83_63
.LBB83_46:
	s_or_b32 exec_lo, exec_lo, s1
	s_delay_alu instid0(SALU_CYCLE_1)
	s_mov_b32 s1, exec_lo
	v_cmpx_gt_i32_e64 s8, v0
	s_cbranch_execnz .LBB83_64
.LBB83_47:
	s_or_b32 exec_lo, exec_lo, s1
	s_delay_alu instid0(SALU_CYCLE_1)
	s_mov_b32 s1, exec_lo
	v_cmpx_gt_i32_e64 s8, v0
	s_cbranch_execnz .LBB83_65
.LBB83_48:
	s_or_b32 exec_lo, exec_lo, s1
	s_delay_alu instid0(SALU_CYCLE_1)
	s_mov_b32 s1, exec_lo
	v_cmpx_gt_i32_e64 s8, v0
	s_cbranch_execnz .LBB83_66
.LBB83_49:
	s_or_b32 exec_lo, exec_lo, s1
	s_delay_alu instid0(SALU_CYCLE_1)
	s_mov_b32 s1, exec_lo
	v_cmpx_gt_i32_e64 s8, v0
	s_cbranch_execnz .LBB83_67
.LBB83_50:
	s_or_b32 exec_lo, exec_lo, s1
	s_delay_alu instid0(SALU_CYCLE_1)
	s_mov_b32 s1, exec_lo
	v_cmpx_gt_i32_e64 s8, v0
	s_cbranch_execz .LBB83_52
.LBB83_51:
	s_wait_loadcnt 0x0
	v_cmp_eq_f64_e32 vcc_lo, v[40:41], v[64:65]
	v_add_nc_u32_e32 v0, s2, v0
	v_cndmask_b32_e64 v1, 0, 1, vcc_lo
	v_cmp_neq_f64_e32 vcc_lo, v[40:41], v[64:65]
	v_cndmask_b32_e64 v2, 0, 1, vcc_lo
	s_delay_alu instid0(VALU_DEP_1) | instskip(NEXT) | instid1(VALU_DEP_1)
	v_cndmask_b32_e64 v1, v2, v1, s0
	v_and_b32_e32 v1, 1, v1
	global_store_b8 v0, v1, s[4:5]
.LBB83_52:
	s_sendmsg sendmsg(MSG_DEALLOC_VGPRS)
	s_endpgm
.LBB83_53:
	s_wait_loadcnt 0x0
	v_cmp_eq_f64_e32 vcc_lo, v[10:11], v[12:13]
	v_cndmask_b32_e64 v0, 0, 1, vcc_lo
	v_cmp_neq_f64_e32 vcc_lo, v[10:11], v[12:13]
	v_cndmask_b32_e64 v10, 0, 1, vcc_lo
	s_delay_alu instid0(VALU_DEP_1) | instskip(NEXT) | instid1(VALU_DEP_1)
	v_cndmask_b32_e64 v0, v10, v0, s0
	v_dual_mov_b32 v0, v66 :: v_dual_bitop2_b32 v10, 1, v0 bitop3:0x40
	global_store_b8 v1, v10, s[4:5]
	s_wait_xcnt 0x0
	s_or_b32 exec_lo, exec_lo, s1
	s_delay_alu instid0(SALU_CYCLE_1)
	s_mov_b32 s1, exec_lo
	v_cmpx_gt_i32_e64 s8, v0
	s_cbranch_execz .LBB83_37
.LBB83_54:
	s_wait_loadcnt 0x0
	v_cmp_eq_f64_e32 vcc_lo, v[2:3], v[14:15]
	v_cndmask_b32_e64 v1, 0, 1, vcc_lo
	v_cmp_neq_f64_e32 vcc_lo, v[2:3], v[14:15]
	v_cndmask_b32_e64 v2, 0, 1, vcc_lo
	s_delay_alu instid0(VALU_DEP_1) | instskip(SKIP_1) | instid1(VALU_DEP_2)
	v_dual_cndmask_b32 v1, v2, v1, s0 :: v_dual_add_nc_u32 v2, s2, v0
	v_add_nc_u32_e32 v0, 0x100, v0
	v_and_b32_e32 v1, 1, v1
	global_store_b8 v2, v1, s[4:5]
	s_wait_xcnt 0x0
	s_or_b32 exec_lo, exec_lo, s1
	s_delay_alu instid0(SALU_CYCLE_1)
	s_mov_b32 s1, exec_lo
	v_cmpx_gt_i32_e64 s8, v0
	s_cbranch_execz .LBB83_38
.LBB83_55:
	s_wait_loadcnt 0x0
	v_cmp_eq_f64_e32 vcc_lo, v[18:19], v[20:21]
	v_cndmask_b32_e64 v1, 0, 1, vcc_lo
	v_cmp_neq_f64_e32 vcc_lo, v[18:19], v[20:21]
	v_cndmask_b32_e64 v2, 0, 1, vcc_lo
	s_delay_alu instid0(VALU_DEP_1) | instskip(SKIP_1) | instid1(VALU_DEP_2)
	v_dual_cndmask_b32 v1, v2, v1, s0 :: v_dual_add_nc_u32 v2, s2, v0
	v_add_nc_u32_e32 v0, 0x100, v0
	v_and_b32_e32 v1, 1, v1
	global_store_b8 v2, v1, s[4:5]
	s_wait_xcnt 0x0
	s_or_b32 exec_lo, exec_lo, s1
	s_delay_alu instid0(SALU_CYCLE_1)
	s_mov_b32 s1, exec_lo
	v_cmpx_gt_i32_e64 s8, v0
	s_cbranch_execz .LBB83_39
.LBB83_56:
	s_wait_loadcnt 0x0
	v_cmp_eq_f64_e32 vcc_lo, v[4:5], v[22:23]
	v_cndmask_b32_e64 v1, 0, 1, vcc_lo
	v_cmp_neq_f64_e32 vcc_lo, v[4:5], v[22:23]
	v_cndmask_b32_e64 v2, 0, 1, vcc_lo
	s_delay_alu instid0(VALU_DEP_1) | instskip(SKIP_1) | instid1(VALU_DEP_2)
	v_dual_cndmask_b32 v1, v2, v1, s0 :: v_dual_add_nc_u32 v2, s2, v0
	v_add_nc_u32_e32 v0, 0x100, v0
	v_and_b32_e32 v1, 1, v1
	global_store_b8 v2, v1, s[4:5]
	s_wait_xcnt 0x0
	s_or_b32 exec_lo, exec_lo, s1
	s_delay_alu instid0(SALU_CYCLE_1)
	s_mov_b32 s1, exec_lo
	v_cmpx_gt_i32_e64 s8, v0
	s_cbranch_execz .LBB83_40
.LBB83_57:
	s_wait_loadcnt 0x0
	v_cmp_eq_f64_e32 vcc_lo, v[26:27], v[28:29]
	v_cndmask_b32_e64 v1, 0, 1, vcc_lo
	v_cmp_neq_f64_e32 vcc_lo, v[26:27], v[28:29]
	v_cndmask_b32_e64 v2, 0, 1, vcc_lo
	s_delay_alu instid0(VALU_DEP_1) | instskip(SKIP_1) | instid1(VALU_DEP_2)
	v_dual_cndmask_b32 v1, v2, v1, s0 :: v_dual_add_nc_u32 v2, s2, v0
	v_add_nc_u32_e32 v0, 0x100, v0
	v_and_b32_e32 v1, 1, v1
	global_store_b8 v2, v1, s[4:5]
	s_wait_xcnt 0x0
	s_or_b32 exec_lo, exec_lo, s1
	s_delay_alu instid0(SALU_CYCLE_1)
	s_mov_b32 s1, exec_lo
	v_cmpx_gt_i32_e64 s8, v0
	s_cbranch_execz .LBB83_41
.LBB83_58:
	s_wait_loadcnt 0x0
	v_cmp_eq_f64_e32 vcc_lo, v[6:7], v[30:31]
	v_cndmask_b32_e64 v1, 0, 1, vcc_lo
	v_cmp_neq_f64_e32 vcc_lo, v[6:7], v[30:31]
	v_cndmask_b32_e64 v2, 0, 1, vcc_lo
	s_delay_alu instid0(VALU_DEP_1) | instskip(SKIP_1) | instid1(VALU_DEP_2)
	v_dual_cndmask_b32 v1, v2, v1, s0 :: v_dual_add_nc_u32 v2, s2, v0
	v_add_nc_u32_e32 v0, 0x100, v0
	v_and_b32_e32 v1, 1, v1
	global_store_b8 v2, v1, s[4:5]
	s_wait_xcnt 0x0
	s_or_b32 exec_lo, exec_lo, s1
	s_delay_alu instid0(SALU_CYCLE_1)
	s_mov_b32 s1, exec_lo
	v_cmpx_gt_i32_e64 s8, v0
	s_cbranch_execz .LBB83_42
.LBB83_59:
	s_wait_loadcnt 0x0
	v_cmp_eq_f64_e32 vcc_lo, v[34:35], v[36:37]
	v_cndmask_b32_e64 v1, 0, 1, vcc_lo
	v_cmp_neq_f64_e32 vcc_lo, v[34:35], v[36:37]
	v_cndmask_b32_e64 v2, 0, 1, vcc_lo
	s_delay_alu instid0(VALU_DEP_1) | instskip(SKIP_1) | instid1(VALU_DEP_2)
	v_dual_cndmask_b32 v1, v2, v1, s0 :: v_dual_add_nc_u32 v2, s2, v0
	v_add_nc_u32_e32 v0, 0x100, v0
	v_and_b32_e32 v1, 1, v1
	global_store_b8 v2, v1, s[4:5]
	s_wait_xcnt 0x0
	s_or_b32 exec_lo, exec_lo, s1
	s_delay_alu instid0(SALU_CYCLE_1)
	s_mov_b32 s1, exec_lo
	v_cmpx_gt_i32_e64 s8, v0
	s_cbranch_execz .LBB83_43
.LBB83_60:
	s_wait_loadcnt 0x0
	v_cmp_eq_f64_e32 vcc_lo, v[8:9], v[38:39]
	v_cndmask_b32_e64 v1, 0, 1, vcc_lo
	v_cmp_neq_f64_e32 vcc_lo, v[8:9], v[38:39]
	v_cndmask_b32_e64 v2, 0, 1, vcc_lo
	s_delay_alu instid0(VALU_DEP_1) | instskip(SKIP_1) | instid1(VALU_DEP_2)
	v_dual_cndmask_b32 v1, v2, v1, s0 :: v_dual_add_nc_u32 v2, s2, v0
	v_add_nc_u32_e32 v0, 0x100, v0
	v_and_b32_e32 v1, 1, v1
	global_store_b8 v2, v1, s[4:5]
	s_wait_xcnt 0x0
	s_or_b32 exec_lo, exec_lo, s1
	s_delay_alu instid0(SALU_CYCLE_1)
	s_mov_b32 s1, exec_lo
	v_cmpx_gt_i32_e64 s8, v0
	s_cbranch_execz .LBB83_44
.LBB83_61:
	s_wait_loadcnt 0x0
	v_cmp_eq_f64_e32 vcc_lo, v[42:43], v[44:45]
	v_cndmask_b32_e64 v1, 0, 1, vcc_lo
	v_cmp_neq_f64_e32 vcc_lo, v[42:43], v[44:45]
	v_cndmask_b32_e64 v2, 0, 1, vcc_lo
	s_delay_alu instid0(VALU_DEP_1) | instskip(SKIP_1) | instid1(VALU_DEP_2)
	v_dual_cndmask_b32 v1, v2, v1, s0 :: v_dual_add_nc_u32 v2, s2, v0
	v_add_nc_u32_e32 v0, 0x100, v0
	v_and_b32_e32 v1, 1, v1
	global_store_b8 v2, v1, s[4:5]
	s_wait_xcnt 0x0
	s_or_b32 exec_lo, exec_lo, s1
	s_delay_alu instid0(SALU_CYCLE_1)
	s_mov_b32 s1, exec_lo
	v_cmpx_gt_i32_e64 s8, v0
	s_cbranch_execz .LBB83_45
.LBB83_62:
	s_wait_loadcnt 0x0
	v_cmp_eq_f64_e32 vcc_lo, v[16:17], v[46:47]
	v_cndmask_b32_e64 v1, 0, 1, vcc_lo
	v_cmp_neq_f64_e32 vcc_lo, v[16:17], v[46:47]
	v_cndmask_b32_e64 v2, 0, 1, vcc_lo
	s_delay_alu instid0(VALU_DEP_1) | instskip(SKIP_1) | instid1(VALU_DEP_2)
	v_dual_cndmask_b32 v1, v2, v1, s0 :: v_dual_add_nc_u32 v2, s2, v0
	v_add_nc_u32_e32 v0, 0x100, v0
	v_and_b32_e32 v1, 1, v1
	global_store_b8 v2, v1, s[4:5]
	s_wait_xcnt 0x0
	s_or_b32 exec_lo, exec_lo, s1
	s_delay_alu instid0(SALU_CYCLE_1)
	s_mov_b32 s1, exec_lo
	v_cmpx_gt_i32_e64 s8, v0
	s_cbranch_execz .LBB83_46
.LBB83_63:
	s_wait_loadcnt 0x0
	v_cmp_eq_f64_e32 vcc_lo, v[48:49], v[50:51]
	v_cndmask_b32_e64 v1, 0, 1, vcc_lo
	v_cmp_neq_f64_e32 vcc_lo, v[48:49], v[50:51]
	v_cndmask_b32_e64 v2, 0, 1, vcc_lo
	s_delay_alu instid0(VALU_DEP_1) | instskip(SKIP_1) | instid1(VALU_DEP_2)
	v_dual_cndmask_b32 v1, v2, v1, s0 :: v_dual_add_nc_u32 v2, s2, v0
	v_add_nc_u32_e32 v0, 0x100, v0
	v_and_b32_e32 v1, 1, v1
	global_store_b8 v2, v1, s[4:5]
	s_wait_xcnt 0x0
	s_or_b32 exec_lo, exec_lo, s1
	s_delay_alu instid0(SALU_CYCLE_1)
	s_mov_b32 s1, exec_lo
	v_cmpx_gt_i32_e64 s8, v0
	s_cbranch_execz .LBB83_47
.LBB83_64:
	s_wait_loadcnt 0x0
	v_cmp_eq_f64_e32 vcc_lo, v[24:25], v[52:53]
	v_cndmask_b32_e64 v1, 0, 1, vcc_lo
	v_cmp_neq_f64_e32 vcc_lo, v[24:25], v[52:53]
	v_cndmask_b32_e64 v2, 0, 1, vcc_lo
	s_delay_alu instid0(VALU_DEP_1) | instskip(SKIP_1) | instid1(VALU_DEP_2)
	v_dual_cndmask_b32 v1, v2, v1, s0 :: v_dual_add_nc_u32 v2, s2, v0
	v_add_nc_u32_e32 v0, 0x100, v0
	v_and_b32_e32 v1, 1, v1
	global_store_b8 v2, v1, s[4:5]
	s_wait_xcnt 0x0
	s_or_b32 exec_lo, exec_lo, s1
	s_delay_alu instid0(SALU_CYCLE_1)
	s_mov_b32 s1, exec_lo
	v_cmpx_gt_i32_e64 s8, v0
	s_cbranch_execz .LBB83_48
.LBB83_65:
	s_wait_loadcnt 0x0
	v_cmp_eq_f64_e32 vcc_lo, v[54:55], v[56:57]
	v_cndmask_b32_e64 v1, 0, 1, vcc_lo
	v_cmp_neq_f64_e32 vcc_lo, v[54:55], v[56:57]
	v_cndmask_b32_e64 v2, 0, 1, vcc_lo
	s_delay_alu instid0(VALU_DEP_1) | instskip(SKIP_1) | instid1(VALU_DEP_2)
	v_dual_cndmask_b32 v1, v2, v1, s0 :: v_dual_add_nc_u32 v2, s2, v0
	v_add_nc_u32_e32 v0, 0x100, v0
	v_and_b32_e32 v1, 1, v1
	global_store_b8 v2, v1, s[4:5]
	s_wait_xcnt 0x0
	s_or_b32 exec_lo, exec_lo, s1
	s_delay_alu instid0(SALU_CYCLE_1)
	s_mov_b32 s1, exec_lo
	v_cmpx_gt_i32_e64 s8, v0
	s_cbranch_execz .LBB83_49
.LBB83_66:
	s_wait_loadcnt 0x0
	v_cmp_eq_f64_e32 vcc_lo, v[32:33], v[58:59]
	v_cndmask_b32_e64 v1, 0, 1, vcc_lo
	v_cmp_neq_f64_e32 vcc_lo, v[32:33], v[58:59]
	v_cndmask_b32_e64 v2, 0, 1, vcc_lo
	s_delay_alu instid0(VALU_DEP_1) | instskip(SKIP_1) | instid1(VALU_DEP_2)
	v_dual_cndmask_b32 v1, v2, v1, s0 :: v_dual_add_nc_u32 v2, s2, v0
	v_add_nc_u32_e32 v0, 0x100, v0
	v_and_b32_e32 v1, 1, v1
	global_store_b8 v2, v1, s[4:5]
	s_wait_xcnt 0x0
	s_or_b32 exec_lo, exec_lo, s1
	s_delay_alu instid0(SALU_CYCLE_1)
	s_mov_b32 s1, exec_lo
	v_cmpx_gt_i32_e64 s8, v0
	s_cbranch_execz .LBB83_50
.LBB83_67:
	s_wait_loadcnt 0x0
	v_cmp_eq_f64_e32 vcc_lo, v[60:61], v[62:63]
	v_cndmask_b32_e64 v1, 0, 1, vcc_lo
	v_cmp_neq_f64_e32 vcc_lo, v[60:61], v[62:63]
	v_cndmask_b32_e64 v2, 0, 1, vcc_lo
	s_delay_alu instid0(VALU_DEP_1) | instskip(SKIP_1) | instid1(VALU_DEP_2)
	v_dual_cndmask_b32 v1, v2, v1, s0 :: v_dual_add_nc_u32 v2, s2, v0
	v_add_nc_u32_e32 v0, 0x100, v0
	v_and_b32_e32 v1, 1, v1
	global_store_b8 v2, v1, s[4:5]
	s_wait_xcnt 0x0
	s_or_b32 exec_lo, exec_lo, s1
	s_delay_alu instid0(SALU_CYCLE_1)
	s_mov_b32 s1, exec_lo
	v_cmpx_gt_i32_e64 s8, v0
	s_cbranch_execnz .LBB83_51
	s_branch .LBB83_52
	.section	.rodata,"a",@progbits
	.p2align	6, 0x0
	.amdhsa_kernel _ZN2at6native29vectorized_elementwise_kernelILi2ENS0_13BinaryFunctorIddbNS0_12_GLOBAL__N_116CompareEqFunctorIdEEEESt5arrayIPcLm3EEEEviT0_T1_
		.amdhsa_group_segment_fixed_size 0
		.amdhsa_private_segment_fixed_size 0
		.amdhsa_kernarg_size 32
		.amdhsa_user_sgpr_count 2
		.amdhsa_user_sgpr_dispatch_ptr 0
		.amdhsa_user_sgpr_queue_ptr 0
		.amdhsa_user_sgpr_kernarg_segment_ptr 1
		.amdhsa_user_sgpr_dispatch_id 0
		.amdhsa_user_sgpr_kernarg_preload_length 0
		.amdhsa_user_sgpr_kernarg_preload_offset 0
		.amdhsa_user_sgpr_private_segment_size 0
		.amdhsa_wavefront_size32 1
		.amdhsa_uses_dynamic_stack 0
		.amdhsa_enable_private_segment 0
		.amdhsa_system_sgpr_workgroup_id_x 1
		.amdhsa_system_sgpr_workgroup_id_y 0
		.amdhsa_system_sgpr_workgroup_id_z 0
		.amdhsa_system_sgpr_workgroup_info 0
		.amdhsa_system_vgpr_workitem_id 0
		.amdhsa_next_free_vgpr 68
		.amdhsa_next_free_sgpr 14
		.amdhsa_named_barrier_count 0
		.amdhsa_reserve_vcc 1
		.amdhsa_float_round_mode_32 0
		.amdhsa_float_round_mode_16_64 0
		.amdhsa_float_denorm_mode_32 3
		.amdhsa_float_denorm_mode_16_64 3
		.amdhsa_fp16_overflow 0
		.amdhsa_memory_ordered 1
		.amdhsa_forward_progress 1
		.amdhsa_inst_pref_size 34
		.amdhsa_round_robin_scheduling 0
		.amdhsa_exception_fp_ieee_invalid_op 0
		.amdhsa_exception_fp_denorm_src 0
		.amdhsa_exception_fp_ieee_div_zero 0
		.amdhsa_exception_fp_ieee_overflow 0
		.amdhsa_exception_fp_ieee_underflow 0
		.amdhsa_exception_fp_ieee_inexact 0
		.amdhsa_exception_int_div_zero 0
	.end_amdhsa_kernel
	.section	.text._ZN2at6native29vectorized_elementwise_kernelILi2ENS0_13BinaryFunctorIddbNS0_12_GLOBAL__N_116CompareEqFunctorIdEEEESt5arrayIPcLm3EEEEviT0_T1_,"axG",@progbits,_ZN2at6native29vectorized_elementwise_kernelILi2ENS0_13BinaryFunctorIddbNS0_12_GLOBAL__N_116CompareEqFunctorIdEEEESt5arrayIPcLm3EEEEviT0_T1_,comdat
.Lfunc_end83:
	.size	_ZN2at6native29vectorized_elementwise_kernelILi2ENS0_13BinaryFunctorIddbNS0_12_GLOBAL__N_116CompareEqFunctorIdEEEESt5arrayIPcLm3EEEEviT0_T1_, .Lfunc_end83-_ZN2at6native29vectorized_elementwise_kernelILi2ENS0_13BinaryFunctorIddbNS0_12_GLOBAL__N_116CompareEqFunctorIdEEEESt5arrayIPcLm3EEEEviT0_T1_
                                        ; -- End function
	.set _ZN2at6native29vectorized_elementwise_kernelILi2ENS0_13BinaryFunctorIddbNS0_12_GLOBAL__N_116CompareEqFunctorIdEEEESt5arrayIPcLm3EEEEviT0_T1_.num_vgpr, 68
	.set _ZN2at6native29vectorized_elementwise_kernelILi2ENS0_13BinaryFunctorIddbNS0_12_GLOBAL__N_116CompareEqFunctorIdEEEESt5arrayIPcLm3EEEEviT0_T1_.num_agpr, 0
	.set _ZN2at6native29vectorized_elementwise_kernelILi2ENS0_13BinaryFunctorIddbNS0_12_GLOBAL__N_116CompareEqFunctorIdEEEESt5arrayIPcLm3EEEEviT0_T1_.numbered_sgpr, 14
	.set _ZN2at6native29vectorized_elementwise_kernelILi2ENS0_13BinaryFunctorIddbNS0_12_GLOBAL__N_116CompareEqFunctorIdEEEESt5arrayIPcLm3EEEEviT0_T1_.num_named_barrier, 0
	.set _ZN2at6native29vectorized_elementwise_kernelILi2ENS0_13BinaryFunctorIddbNS0_12_GLOBAL__N_116CompareEqFunctorIdEEEESt5arrayIPcLm3EEEEviT0_T1_.private_seg_size, 0
	.set _ZN2at6native29vectorized_elementwise_kernelILi2ENS0_13BinaryFunctorIddbNS0_12_GLOBAL__N_116CompareEqFunctorIdEEEESt5arrayIPcLm3EEEEviT0_T1_.uses_vcc, 1
	.set _ZN2at6native29vectorized_elementwise_kernelILi2ENS0_13BinaryFunctorIddbNS0_12_GLOBAL__N_116CompareEqFunctorIdEEEESt5arrayIPcLm3EEEEviT0_T1_.uses_flat_scratch, 0
	.set _ZN2at6native29vectorized_elementwise_kernelILi2ENS0_13BinaryFunctorIddbNS0_12_GLOBAL__N_116CompareEqFunctorIdEEEESt5arrayIPcLm3EEEEviT0_T1_.has_dyn_sized_stack, 0
	.set _ZN2at6native29vectorized_elementwise_kernelILi2ENS0_13BinaryFunctorIddbNS0_12_GLOBAL__N_116CompareEqFunctorIdEEEESt5arrayIPcLm3EEEEviT0_T1_.has_recursion, 0
	.set _ZN2at6native29vectorized_elementwise_kernelILi2ENS0_13BinaryFunctorIddbNS0_12_GLOBAL__N_116CompareEqFunctorIdEEEESt5arrayIPcLm3EEEEviT0_T1_.has_indirect_call, 0
	.section	.AMDGPU.csdata,"",@progbits
; Kernel info:
; codeLenInByte = 4228
; TotalNumSgprs: 16
; NumVgprs: 68
; ScratchSize: 0
; MemoryBound: 0
; FloatMode: 240
; IeeeMode: 1
; LDSByteSize: 0 bytes/workgroup (compile time only)
; SGPRBlocks: 0
; VGPRBlocks: 4
; NumSGPRsForWavesPerEU: 16
; NumVGPRsForWavesPerEU: 68
; NamedBarCnt: 0
; Occupancy: 12
; WaveLimiterHint : 1
; COMPUTE_PGM_RSRC2:SCRATCH_EN: 0
; COMPUTE_PGM_RSRC2:USER_SGPR: 2
; COMPUTE_PGM_RSRC2:TRAP_HANDLER: 0
; COMPUTE_PGM_RSRC2:TGID_X_EN: 1
; COMPUTE_PGM_RSRC2:TGID_Y_EN: 0
; COMPUTE_PGM_RSRC2:TGID_Z_EN: 0
; COMPUTE_PGM_RSRC2:TIDIG_COMP_CNT: 0
	.section	.text._ZN2at6native27unrolled_elementwise_kernelINS0_13BinaryFunctorIddbNS0_12_GLOBAL__N_116CompareEqFunctorIdEEEESt5arrayIPcLm3EELi4E23TrivialOffsetCalculatorILi2EjESA_ILi1EjENS0_6memory15LoadWithoutCastENSD_16StoreWithoutCastEEEviT_T0_T2_T3_T4_T5_,"axG",@progbits,_ZN2at6native27unrolled_elementwise_kernelINS0_13BinaryFunctorIddbNS0_12_GLOBAL__N_116CompareEqFunctorIdEEEESt5arrayIPcLm3EELi4E23TrivialOffsetCalculatorILi2EjESA_ILi1EjENS0_6memory15LoadWithoutCastENSD_16StoreWithoutCastEEEviT_T0_T2_T3_T4_T5_,comdat
	.globl	_ZN2at6native27unrolled_elementwise_kernelINS0_13BinaryFunctorIddbNS0_12_GLOBAL__N_116CompareEqFunctorIdEEEESt5arrayIPcLm3EELi4E23TrivialOffsetCalculatorILi2EjESA_ILi1EjENS0_6memory15LoadWithoutCastENSD_16StoreWithoutCastEEEviT_T0_T2_T3_T4_T5_ ; -- Begin function _ZN2at6native27unrolled_elementwise_kernelINS0_13BinaryFunctorIddbNS0_12_GLOBAL__N_116CompareEqFunctorIdEEEESt5arrayIPcLm3EELi4E23TrivialOffsetCalculatorILi2EjESA_ILi1EjENS0_6memory15LoadWithoutCastENSD_16StoreWithoutCastEEEviT_T0_T2_T3_T4_T5_
	.p2align	8
	.type	_ZN2at6native27unrolled_elementwise_kernelINS0_13BinaryFunctorIddbNS0_12_GLOBAL__N_116CompareEqFunctorIdEEEESt5arrayIPcLm3EELi4E23TrivialOffsetCalculatorILi2EjESA_ILi1EjENS0_6memory15LoadWithoutCastENSD_16StoreWithoutCastEEEviT_T0_T2_T3_T4_T5_,@function
_ZN2at6native27unrolled_elementwise_kernelINS0_13BinaryFunctorIddbNS0_12_GLOBAL__N_116CompareEqFunctorIdEEEESt5arrayIPcLm3EELi4E23TrivialOffsetCalculatorILi2EjESA_ILi1EjENS0_6memory15LoadWithoutCastENSD_16StoreWithoutCastEEEviT_T0_T2_T3_T4_T5_: ; @_ZN2at6native27unrolled_elementwise_kernelINS0_13BinaryFunctorIddbNS0_12_GLOBAL__N_116CompareEqFunctorIdEEEESt5arrayIPcLm3EELi4E23TrivialOffsetCalculatorILi2EjESA_ILi1EjENS0_6memory15LoadWithoutCastENSD_16StoreWithoutCastEEEviT_T0_T2_T3_T4_T5_
; %bb.0:
	s_load_b64 s[2:3], s[0:1], 0x0
	s_bfe_u32 s11, ttmp6, 0x4000c
	s_clause 0x1
	s_load_b128 s[4:7], s[0:1], 0x8
	s_load_b64 s[8:9], s[0:1], 0x18
	s_add_co_i32 s11, s11, 1
	s_and_b32 s10, ttmp6, 15
	s_wait_xcnt 0x0
	s_mul_i32 s1, ttmp9, s11
	s_getreg_b32 s0, hwreg(HW_REG_IB_STS2, 6, 4)
	s_add_co_i32 s10, s10, s1
	s_cmp_eq_u32 s0, 0
	v_mov_b64_e32 v[2:3], 0
	s_cselect_b32 s0, ttmp9, s10
	v_mov_b64_e32 v[6:7], 0
	s_lshl_b32 s1, s0, 10
	v_mov_b64_e32 v[8:9], 0
	v_or_b32_e32 v1, 0x100, v0
	v_dual_mov_b32 v19, v0 :: v_dual_bitop2_b32 v18, s1, v0 bitop3:0x54
	s_wait_kmcnt 0x0
	s_sub_co_i32 s2, s2, s1
	s_delay_alu instid0(SALU_CYCLE_1)
	v_cmp_gt_i32_e32 vcc_lo, s2, v0
	s_and_saveexec_b32 s0, vcc_lo
	s_cbranch_execz .LBB84_2
; %bb.1:
	s_clause 0x1
	global_load_b64 v[6:7], v18, s[6:7] scale_offset
	global_load_b64 v[8:9], v18, s[8:9] scale_offset
	v_or_b32_e32 v19, 0x100, v0
.LBB84_2:
	s_wait_xcnt 0x0
	s_or_b32 exec_lo, exec_lo, s0
	v_mov_b64_e32 v[10:11], 0
	s_mov_b32 s10, exec_lo
	v_cmpx_gt_i32_e64 s2, v19
	s_cbranch_execz .LBB84_4
; %bb.3:
	v_add_nc_u32_e32 v4, s1, v19
	v_add_nc_u32_e32 v19, 0x100, v19
	s_clause 0x1
	global_load_b64 v[2:3], v4, s[6:7] scale_offset
	global_load_b64 v[10:11], v4, s[8:9] scale_offset
.LBB84_4:
	s_wait_xcnt 0x0
	s_or_b32 exec_lo, exec_lo, s10
	v_mov_b64_e32 v[4:5], 0
	v_mov_b64_e32 v[12:13], 0
	;; [unrolled: 1-line block ×3, first 2 shown]
	s_mov_b32 s10, exec_lo
	v_cmpx_gt_i32_e64 s2, v19
	s_cbranch_execz .LBB84_6
; %bb.5:
	v_add_nc_u32_e32 v16, s1, v19
	v_add_nc_u32_e32 v19, 0x100, v19
	s_clause 0x1
	global_load_b64 v[12:13], v16, s[6:7] scale_offset
	global_load_b64 v[14:15], v16, s[8:9] scale_offset
.LBB84_6:
	s_wait_xcnt 0x0
	s_or_b32 exec_lo, exec_lo, s10
	v_mov_b64_e32 v[16:17], 0
	s_mov_b32 s10, exec_lo
	v_cmpx_gt_i32_e64 s2, v19
	s_cbranch_execz .LBB84_8
; %bb.7:
	v_add_nc_u32_e32 v19, s1, v19
	s_clause 0x1
	global_load_b64 v[4:5], v19, s[6:7] scale_offset
	global_load_b64 v[16:17], v19, s[8:9] scale_offset
.LBB84_8:
	s_wait_xcnt 0x0
	s_or_b32 exec_lo, exec_lo, s10
	s_cmp_eq_u32 s3, 0
	s_cselect_b32 s0, -1, 0
	s_and_saveexec_b32 s3, vcc_lo
	s_cbranch_execnz .LBB84_13
; %bb.9:
	s_or_b32 exec_lo, exec_lo, s3
	s_delay_alu instid0(SALU_CYCLE_1)
	s_mov_b32 s3, exec_lo
	v_cmpx_gt_i32_e64 s2, v0
	s_cbranch_execnz .LBB84_14
.LBB84_10:
	s_or_b32 exec_lo, exec_lo, s3
	s_delay_alu instid0(SALU_CYCLE_1)
	s_mov_b32 s3, exec_lo
	v_cmpx_gt_i32_e64 s2, v0
	s_cbranch_execnz .LBB84_15
.LBB84_11:
	s_or_b32 exec_lo, exec_lo, s3
	v_cmp_gt_i32_e32 vcc_lo, s2, v0
	s_and_saveexec_b32 s2, vcc_lo
	s_cbranch_execnz .LBB84_16
.LBB84_12:
	s_endpgm
.LBB84_13:
	s_wait_loadcnt 0x0
	v_cmp_eq_f64_e32 vcc_lo, v[6:7], v[8:9]
	v_cndmask_b32_e64 v0, 0, 1, vcc_lo
	v_cmp_neq_f64_e32 vcc_lo, v[6:7], v[8:9]
	v_cndmask_b32_e64 v6, 0, 1, vcc_lo
	s_delay_alu instid0(VALU_DEP_1) | instskip(NEXT) | instid1(VALU_DEP_1)
	v_cndmask_b32_e64 v0, v6, v0, s0
	v_dual_mov_b32 v0, v1 :: v_dual_bitop2_b32 v6, 1, v0 bitop3:0x40
	global_store_b8 v18, v6, s[4:5]
	s_wait_xcnt 0x0
	s_or_b32 exec_lo, exec_lo, s3
	s_delay_alu instid0(SALU_CYCLE_1)
	s_mov_b32 s3, exec_lo
	v_cmpx_gt_i32_e64 s2, v0
	s_cbranch_execz .LBB84_10
.LBB84_14:
	s_wait_loadcnt 0x0
	v_cmp_eq_f64_e32 vcc_lo, v[2:3], v[10:11]
	v_cndmask_b32_e64 v1, 0, 1, vcc_lo
	v_cmp_neq_f64_e32 vcc_lo, v[2:3], v[10:11]
	v_add_nc_u32_e32 v3, s1, v0
	v_cndmask_b32_e64 v2, 0, 1, vcc_lo
	s_delay_alu instid0(VALU_DEP_1) | instskip(SKIP_1) | instid1(VALU_DEP_1)
	v_cndmask_b32_e64 v1, v2, v1, s0
	v_add_nc_u32_e32 v2, 0x100, v0
	v_dual_mov_b32 v0, v2 :: v_dual_bitop2_b32 v1, 1, v1 bitop3:0x40
	global_store_b8 v3, v1, s[4:5]
	s_wait_xcnt 0x0
	s_or_b32 exec_lo, exec_lo, s3
	s_delay_alu instid0(SALU_CYCLE_1)
	s_mov_b32 s3, exec_lo
	v_cmpx_gt_i32_e64 s2, v0
	s_cbranch_execz .LBB84_11
.LBB84_15:
	s_wait_loadcnt 0x0
	v_cmp_eq_f64_e32 vcc_lo, v[12:13], v[14:15]
	v_add_nc_u32_e32 v3, s1, v0
	v_cndmask_b32_e64 v1, 0, 1, vcc_lo
	v_cmp_neq_f64_e32 vcc_lo, v[12:13], v[14:15]
	v_cndmask_b32_e64 v2, 0, 1, vcc_lo
	s_delay_alu instid0(VALU_DEP_1) | instskip(SKIP_1) | instid1(VALU_DEP_1)
	v_cndmask_b32_e64 v1, v2, v1, s0
	v_add_nc_u32_e32 v2, 0x100, v0
	v_dual_mov_b32 v0, v2 :: v_dual_bitop2_b32 v1, 1, v1 bitop3:0x40
	global_store_b8 v3, v1, s[4:5]
	s_wait_xcnt 0x0
	s_or_b32 exec_lo, exec_lo, s3
	v_cmp_gt_i32_e32 vcc_lo, s2, v0
	s_and_saveexec_b32 s2, vcc_lo
	s_cbranch_execz .LBB84_12
.LBB84_16:
	s_wait_loadcnt 0x0
	v_cmp_eq_f64_e32 vcc_lo, v[4:5], v[16:17]
	v_add_nc_u32_e32 v0, s1, v0
	v_cndmask_b32_e64 v1, 0, 1, vcc_lo
	v_cmp_neq_f64_e32 vcc_lo, v[4:5], v[16:17]
	v_cndmask_b32_e64 v2, 0, 1, vcc_lo
	s_delay_alu instid0(VALU_DEP_1) | instskip(NEXT) | instid1(VALU_DEP_1)
	v_cndmask_b32_e64 v1, v2, v1, s0
	v_and_b32_e32 v1, 1, v1
	global_store_b8 v0, v1, s[4:5]
	s_endpgm
	.section	.rodata,"a",@progbits
	.p2align	6, 0x0
	.amdhsa_kernel _ZN2at6native27unrolled_elementwise_kernelINS0_13BinaryFunctorIddbNS0_12_GLOBAL__N_116CompareEqFunctorIdEEEESt5arrayIPcLm3EELi4E23TrivialOffsetCalculatorILi2EjESA_ILi1EjENS0_6memory15LoadWithoutCastENSD_16StoreWithoutCastEEEviT_T0_T2_T3_T4_T5_
		.amdhsa_group_segment_fixed_size 0
		.amdhsa_private_segment_fixed_size 0
		.amdhsa_kernarg_size 36
		.amdhsa_user_sgpr_count 2
		.amdhsa_user_sgpr_dispatch_ptr 0
		.amdhsa_user_sgpr_queue_ptr 0
		.amdhsa_user_sgpr_kernarg_segment_ptr 1
		.amdhsa_user_sgpr_dispatch_id 0
		.amdhsa_user_sgpr_kernarg_preload_length 0
		.amdhsa_user_sgpr_kernarg_preload_offset 0
		.amdhsa_user_sgpr_private_segment_size 0
		.amdhsa_wavefront_size32 1
		.amdhsa_uses_dynamic_stack 0
		.amdhsa_enable_private_segment 0
		.amdhsa_system_sgpr_workgroup_id_x 1
		.amdhsa_system_sgpr_workgroup_id_y 0
		.amdhsa_system_sgpr_workgroup_id_z 0
		.amdhsa_system_sgpr_workgroup_info 0
		.amdhsa_system_vgpr_workitem_id 0
		.amdhsa_next_free_vgpr 20
		.amdhsa_next_free_sgpr 12
		.amdhsa_named_barrier_count 0
		.amdhsa_reserve_vcc 1
		.amdhsa_float_round_mode_32 0
		.amdhsa_float_round_mode_16_64 0
		.amdhsa_float_denorm_mode_32 3
		.amdhsa_float_denorm_mode_16_64 3
		.amdhsa_fp16_overflow 0
		.amdhsa_memory_ordered 1
		.amdhsa_forward_progress 1
		.amdhsa_inst_pref_size 7
		.amdhsa_round_robin_scheduling 0
		.amdhsa_exception_fp_ieee_invalid_op 0
		.amdhsa_exception_fp_denorm_src 0
		.amdhsa_exception_fp_ieee_div_zero 0
		.amdhsa_exception_fp_ieee_overflow 0
		.amdhsa_exception_fp_ieee_underflow 0
		.amdhsa_exception_fp_ieee_inexact 0
		.amdhsa_exception_int_div_zero 0
	.end_amdhsa_kernel
	.section	.text._ZN2at6native27unrolled_elementwise_kernelINS0_13BinaryFunctorIddbNS0_12_GLOBAL__N_116CompareEqFunctorIdEEEESt5arrayIPcLm3EELi4E23TrivialOffsetCalculatorILi2EjESA_ILi1EjENS0_6memory15LoadWithoutCastENSD_16StoreWithoutCastEEEviT_T0_T2_T3_T4_T5_,"axG",@progbits,_ZN2at6native27unrolled_elementwise_kernelINS0_13BinaryFunctorIddbNS0_12_GLOBAL__N_116CompareEqFunctorIdEEEESt5arrayIPcLm3EELi4E23TrivialOffsetCalculatorILi2EjESA_ILi1EjENS0_6memory15LoadWithoutCastENSD_16StoreWithoutCastEEEviT_T0_T2_T3_T4_T5_,comdat
.Lfunc_end84:
	.size	_ZN2at6native27unrolled_elementwise_kernelINS0_13BinaryFunctorIddbNS0_12_GLOBAL__N_116CompareEqFunctorIdEEEESt5arrayIPcLm3EELi4E23TrivialOffsetCalculatorILi2EjESA_ILi1EjENS0_6memory15LoadWithoutCastENSD_16StoreWithoutCastEEEviT_T0_T2_T3_T4_T5_, .Lfunc_end84-_ZN2at6native27unrolled_elementwise_kernelINS0_13BinaryFunctorIddbNS0_12_GLOBAL__N_116CompareEqFunctorIdEEEESt5arrayIPcLm3EELi4E23TrivialOffsetCalculatorILi2EjESA_ILi1EjENS0_6memory15LoadWithoutCastENSD_16StoreWithoutCastEEEviT_T0_T2_T3_T4_T5_
                                        ; -- End function
	.set _ZN2at6native27unrolled_elementwise_kernelINS0_13BinaryFunctorIddbNS0_12_GLOBAL__N_116CompareEqFunctorIdEEEESt5arrayIPcLm3EELi4E23TrivialOffsetCalculatorILi2EjESA_ILi1EjENS0_6memory15LoadWithoutCastENSD_16StoreWithoutCastEEEviT_T0_T2_T3_T4_T5_.num_vgpr, 20
	.set _ZN2at6native27unrolled_elementwise_kernelINS0_13BinaryFunctorIddbNS0_12_GLOBAL__N_116CompareEqFunctorIdEEEESt5arrayIPcLm3EELi4E23TrivialOffsetCalculatorILi2EjESA_ILi1EjENS0_6memory15LoadWithoutCastENSD_16StoreWithoutCastEEEviT_T0_T2_T3_T4_T5_.num_agpr, 0
	.set _ZN2at6native27unrolled_elementwise_kernelINS0_13BinaryFunctorIddbNS0_12_GLOBAL__N_116CompareEqFunctorIdEEEESt5arrayIPcLm3EELi4E23TrivialOffsetCalculatorILi2EjESA_ILi1EjENS0_6memory15LoadWithoutCastENSD_16StoreWithoutCastEEEviT_T0_T2_T3_T4_T5_.numbered_sgpr, 12
	.set _ZN2at6native27unrolled_elementwise_kernelINS0_13BinaryFunctorIddbNS0_12_GLOBAL__N_116CompareEqFunctorIdEEEESt5arrayIPcLm3EELi4E23TrivialOffsetCalculatorILi2EjESA_ILi1EjENS0_6memory15LoadWithoutCastENSD_16StoreWithoutCastEEEviT_T0_T2_T3_T4_T5_.num_named_barrier, 0
	.set _ZN2at6native27unrolled_elementwise_kernelINS0_13BinaryFunctorIddbNS0_12_GLOBAL__N_116CompareEqFunctorIdEEEESt5arrayIPcLm3EELi4E23TrivialOffsetCalculatorILi2EjESA_ILi1EjENS0_6memory15LoadWithoutCastENSD_16StoreWithoutCastEEEviT_T0_T2_T3_T4_T5_.private_seg_size, 0
	.set _ZN2at6native27unrolled_elementwise_kernelINS0_13BinaryFunctorIddbNS0_12_GLOBAL__N_116CompareEqFunctorIdEEEESt5arrayIPcLm3EELi4E23TrivialOffsetCalculatorILi2EjESA_ILi1EjENS0_6memory15LoadWithoutCastENSD_16StoreWithoutCastEEEviT_T0_T2_T3_T4_T5_.uses_vcc, 1
	.set _ZN2at6native27unrolled_elementwise_kernelINS0_13BinaryFunctorIddbNS0_12_GLOBAL__N_116CompareEqFunctorIdEEEESt5arrayIPcLm3EELi4E23TrivialOffsetCalculatorILi2EjESA_ILi1EjENS0_6memory15LoadWithoutCastENSD_16StoreWithoutCastEEEviT_T0_T2_T3_T4_T5_.uses_flat_scratch, 0
	.set _ZN2at6native27unrolled_elementwise_kernelINS0_13BinaryFunctorIddbNS0_12_GLOBAL__N_116CompareEqFunctorIdEEEESt5arrayIPcLm3EELi4E23TrivialOffsetCalculatorILi2EjESA_ILi1EjENS0_6memory15LoadWithoutCastENSD_16StoreWithoutCastEEEviT_T0_T2_T3_T4_T5_.has_dyn_sized_stack, 0
	.set _ZN2at6native27unrolled_elementwise_kernelINS0_13BinaryFunctorIddbNS0_12_GLOBAL__N_116CompareEqFunctorIdEEEESt5arrayIPcLm3EELi4E23TrivialOffsetCalculatorILi2EjESA_ILi1EjENS0_6memory15LoadWithoutCastENSD_16StoreWithoutCastEEEviT_T0_T2_T3_T4_T5_.has_recursion, 0
	.set _ZN2at6native27unrolled_elementwise_kernelINS0_13BinaryFunctorIddbNS0_12_GLOBAL__N_116CompareEqFunctorIdEEEESt5arrayIPcLm3EELi4E23TrivialOffsetCalculatorILi2EjESA_ILi1EjENS0_6memory15LoadWithoutCastENSD_16StoreWithoutCastEEEviT_T0_T2_T3_T4_T5_.has_indirect_call, 0
	.section	.AMDGPU.csdata,"",@progbits
; Kernel info:
; codeLenInByte = 816
; TotalNumSgprs: 14
; NumVgprs: 20
; ScratchSize: 0
; MemoryBound: 0
; FloatMode: 240
; IeeeMode: 1
; LDSByteSize: 0 bytes/workgroup (compile time only)
; SGPRBlocks: 0
; VGPRBlocks: 1
; NumSGPRsForWavesPerEU: 14
; NumVGPRsForWavesPerEU: 20
; NamedBarCnt: 0
; Occupancy: 16
; WaveLimiterHint : 0
; COMPUTE_PGM_RSRC2:SCRATCH_EN: 0
; COMPUTE_PGM_RSRC2:USER_SGPR: 2
; COMPUTE_PGM_RSRC2:TRAP_HANDLER: 0
; COMPUTE_PGM_RSRC2:TGID_X_EN: 1
; COMPUTE_PGM_RSRC2:TGID_Y_EN: 0
; COMPUTE_PGM_RSRC2:TGID_Z_EN: 0
; COMPUTE_PGM_RSRC2:TIDIG_COMP_CNT: 0
	.section	.text._ZN2at6native32elementwise_kernel_manual_unrollILi128ELi8EZNS0_22gpu_kernel_impl_nocastINS0_13BinaryFunctorIddbNS0_12_GLOBAL__N_116CompareEqFunctorIdEEEEEEvRNS_18TensorIteratorBaseERKT_EUlibE_EEviT1_,"axG",@progbits,_ZN2at6native32elementwise_kernel_manual_unrollILi128ELi8EZNS0_22gpu_kernel_impl_nocastINS0_13BinaryFunctorIddbNS0_12_GLOBAL__N_116CompareEqFunctorIdEEEEEEvRNS_18TensorIteratorBaseERKT_EUlibE_EEviT1_,comdat
	.globl	_ZN2at6native32elementwise_kernel_manual_unrollILi128ELi8EZNS0_22gpu_kernel_impl_nocastINS0_13BinaryFunctorIddbNS0_12_GLOBAL__N_116CompareEqFunctorIdEEEEEEvRNS_18TensorIteratorBaseERKT_EUlibE_EEviT1_ ; -- Begin function _ZN2at6native32elementwise_kernel_manual_unrollILi128ELi8EZNS0_22gpu_kernel_impl_nocastINS0_13BinaryFunctorIddbNS0_12_GLOBAL__N_116CompareEqFunctorIdEEEEEEvRNS_18TensorIteratorBaseERKT_EUlibE_EEviT1_
	.p2align	8
	.type	_ZN2at6native32elementwise_kernel_manual_unrollILi128ELi8EZNS0_22gpu_kernel_impl_nocastINS0_13BinaryFunctorIddbNS0_12_GLOBAL__N_116CompareEqFunctorIdEEEEEEvRNS_18TensorIteratorBaseERKT_EUlibE_EEviT1_,@function
_ZN2at6native32elementwise_kernel_manual_unrollILi128ELi8EZNS0_22gpu_kernel_impl_nocastINS0_13BinaryFunctorIddbNS0_12_GLOBAL__N_116CompareEqFunctorIdEEEEEEvRNS_18TensorIteratorBaseERKT_EUlibE_EEviT1_: ; @_ZN2at6native32elementwise_kernel_manual_unrollILi128ELi8EZNS0_22gpu_kernel_impl_nocastINS0_13BinaryFunctorIddbNS0_12_GLOBAL__N_116CompareEqFunctorIdEEEEEEvRNS_18TensorIteratorBaseERKT_EUlibE_EEviT1_
; %bb.0:
	s_clause 0x1
	s_load_b32 s26, s[0:1], 0x8
	s_load_b32 s33, s[0:1], 0x0
	s_bfe_u32 s2, ttmp6, 0x4000c
	s_and_b32 s3, ttmp6, 15
	s_add_co_i32 s2, s2, 1
	s_getreg_b32 s4, hwreg(HW_REG_IB_STS2, 6, 4)
	s_mul_i32 s2, ttmp9, s2
	s_add_nc_u64 s[20:21], s[0:1], 8
	s_add_co_i32 s3, s3, s2
	s_cmp_eq_u32 s4, 0
	s_wait_xcnt 0x0
	s_mov_b32 s0, exec_lo
	s_cselect_b32 s2, ttmp9, s3
	s_mov_b32 s3, 0
	v_lshl_or_b32 v0, s2, 10, v0
	s_delay_alu instid0(VALU_DEP_1) | instskip(SKIP_2) | instid1(SALU_CYCLE_1)
	v_or_b32_e32 v4, 0x380, v0
	s_wait_kmcnt 0x0
	s_add_co_i32 s27, s26, -1
	s_cmp_gt_u32 s27, 1
	s_cselect_b32 s28, -1, 0
	v_cmpx_le_i32_e64 s33, v4
	s_xor_b32 s29, exec_lo, s0
	s_cbranch_execz .LBB85_106
; %bb.1:
	s_clause 0x5
	s_load_b128 s[8:11], s[20:21], 0x4
	s_load_b64 s[0:1], s[20:21], 0x14
	s_load_b96 s[16:18], s[20:21], 0x198
	s_load_b128 s[12:15], s[20:21], 0xc4
	s_load_b64 s[22:23], s[20:21], 0xd4
	s_load_b128 s[4:7], s[20:21], 0x188
	s_cmp_lg_u32 s26, 0
	s_mov_b32 s25, s3
	s_cselect_b32 s34, -1, 0
	s_min_u32 s31, s27, 15
	s_cmp_gt_u32 s26, 1
	s_cselect_b32 s30, -1, 0
	s_wait_kmcnt 0x0
	s_mov_b32 s2, s9
	s_mov_b32 s24, s0
	s_cmp_eq_u32 s18, 0
	s_mov_b32 s9, exec_lo
	s_cselect_b32 s0, -1, 0
	v_cmpx_gt_i32_e64 s33, v0
	s_cbranch_execnz .LBB85_9
; %bb.2:
	s_or_b32 exec_lo, exec_lo, s9
	s_delay_alu instid0(SALU_CYCLE_1)
	s_mov_b32 s9, exec_lo
	v_cmpx_gt_i32_e64 s33, v0
	s_cbranch_execnz .LBB85_21
.LBB85_3:
	s_or_b32 exec_lo, exec_lo, s9
	s_delay_alu instid0(SALU_CYCLE_1)
	s_mov_b32 s9, exec_lo
	v_cmpx_gt_i32_e64 s33, v0
	s_cbranch_execnz .LBB85_33
.LBB85_4:
	s_or_b32 exec_lo, exec_lo, s9
	s_delay_alu instid0(SALU_CYCLE_1)
	s_mov_b32 s9, exec_lo
	v_cmpx_gt_i32_e64 s33, v0
	s_cbranch_execnz .LBB85_45
.LBB85_5:
	s_or_b32 exec_lo, exec_lo, s9
	s_delay_alu instid0(SALU_CYCLE_1)
	s_mov_b32 s9, exec_lo
	v_cmpx_gt_i32_e64 s33, v0
	s_cbranch_execnz .LBB85_57
.LBB85_6:
	s_or_b32 exec_lo, exec_lo, s9
	s_delay_alu instid0(SALU_CYCLE_1)
	s_mov_b32 s9, exec_lo
	v_cmpx_gt_i32_e64 s33, v0
	s_cbranch_execnz .LBB85_69
.LBB85_7:
	s_or_b32 exec_lo, exec_lo, s9
	s_delay_alu instid0(SALU_CYCLE_1)
	s_mov_b32 s9, exec_lo
	v_cmpx_gt_i32_e64 s33, v0
	s_cbranch_execnz .LBB85_81
.LBB85_8:
	s_or_b32 exec_lo, exec_lo, s9
	s_delay_alu instid0(SALU_CYCLE_1)
	s_mov_b32 s9, exec_lo
	v_cmpx_gt_i32_e64 s33, v0
	s_cbranch_execnz .LBB85_93
	s_branch .LBB85_105
.LBB85_9:
	s_and_not1_b32 vcc_lo, exec_lo, s28
	s_cbranch_vccnz .LBB85_15
; %bb.10:
	s_and_not1_b32 vcc_lo, exec_lo, s34
	s_cbranch_vccnz .LBB85_16
; %bb.11:
	v_dual_mov_b32 v4, 0 :: v_dual_mov_b32 v1, v0
	v_dual_mov_b32 v6, 0 :: v_dual_mov_b32 v5, 0
	s_add_co_i32 s35, s31, 1
	s_mov_b64 s[18:19], 0xffffffffffffffe8
	s_and_b32 s35, s35, 30
	s_add_nc_u64 s[18:19], s[20:21], s[18:19]
.LBB85_12:                              ; =>This Inner Loop Header: Depth=1
	s_clause 0x1
	s_load_b128 s[36:39], s[18:19], 0x1c
	s_load_b64 s[44:45], s[18:19], 0x2c
	s_add_co_i32 s35, s35, -2
	s_delay_alu instid0(SALU_CYCLE_1) | instskip(SKIP_2) | instid1(VALU_DEP_1)
	s_cmp_lg_u32 s35, 0
	s_wait_kmcnt 0x0
	v_mul_hi_u32 v2, s37, v1
	v_add_nc_u32_e32 v2, v1, v2
	s_delay_alu instid0(VALU_DEP_1) | instskip(NEXT) | instid1(VALU_DEP_1)
	v_lshrrev_b32_e32 v2, s38, v2
	v_mul_hi_u32 v3, s44, v2
	v_mul_lo_u32 v7, v2, s36
	s_clause 0x1
	s_load_b128 s[40:43], s[18:19], 0xdc
	s_load_b64 s[36:37], s[18:19], 0xec
	s_wait_xcnt 0x0
	s_add_nc_u64 s[18:19], s[18:19], 24
	s_delay_alu instid0(VALU_DEP_2) | instskip(NEXT) | instid1(VALU_DEP_2)
	v_add_nc_u32_e32 v3, v2, v3
	v_sub_nc_u32_e32 v7, v1, v7
	s_delay_alu instid0(VALU_DEP_2) | instskip(SKIP_1) | instid1(VALU_DEP_2)
	v_lshrrev_b32_e32 v1, s45, v3
	s_wait_kmcnt 0x0
	v_mad_u32 v4, v7, s40, v4
	s_delay_alu instid0(VALU_DEP_2) | instskip(SKIP_2) | instid1(VALU_DEP_3)
	v_mul_lo_u32 v3, v1, s39
	v_mad_u32 v5, v7, s42, v5
	v_mad_u32 v6, v7, s41, v6
	v_sub_nc_u32_e32 v2, v2, v3
	s_delay_alu instid0(VALU_DEP_1) | instskip(NEXT) | instid1(VALU_DEP_4)
	v_mad_u32 v4, v2, s43, v4
	v_mad_u32 v5, v2, s37, v5
	s_delay_alu instid0(VALU_DEP_4)
	v_mad_u32 v6, v2, s36, v6
	s_cbranch_scc1 .LBB85_12
; %bb.13:
	s_bitcmp1_b32 s31, 0
	s_cselect_b32 s35, -1, 0
	s_delay_alu instid0(SALU_CYCLE_1)
	s_and_b32 vcc_lo, exec_lo, s35
	s_cbranch_vccnz .LBB85_17
; %bb.14:
	s_clause 0x1
	s_load_b96 s[36:38], s[18:19], 0x1c
	s_load_b96 s[40:42], s[18:19], 0xdc
	s_wait_xcnt 0x0
	s_wait_kmcnt 0x0
	v_mul_hi_u32 v2, s37, v1
	s_delay_alu instid0(VALU_DEP_1) | instskip(NEXT) | instid1(VALU_DEP_1)
	v_add_nc_u32_e32 v2, v1, v2
	v_lshrrev_b32_e32 v2, s38, v2
	s_delay_alu instid0(VALU_DEP_1) | instskip(NEXT) | instid1(VALU_DEP_1)
	v_mul_lo_u32 v2, v2, s36
	v_sub_nc_u32_e32 v1, v1, v2
	s_delay_alu instid0(VALU_DEP_1)
	v_mad_u32 v4, v1, s40, v4
	v_mad_u32 v6, v1, s41, v6
	;; [unrolled: 1-line block ×3, first 2 shown]
	s_cbranch_execz .LBB85_18
	s_branch .LBB85_20
.LBB85_15:
                                        ; implicit-def: $vgpr5
                                        ; implicit-def: $vgpr6
                                        ; implicit-def: $vgpr4
	s_branch .LBB85_18
.LBB85_16:
	v_dual_mov_b32 v5, 0 :: v_dual_mov_b32 v6, 0
	v_mov_b32_e32 v4, 0
.LBB85_17:
	s_cbranch_execnz .LBB85_20
.LBB85_18:
	v_mov_b32_e32 v1, 0
	s_and_not1_b32 vcc_lo, exec_lo, s30
	s_delay_alu instid0(VALU_DEP_1) | instskip(NEXT) | instid1(VALU_DEP_1)
	v_mul_u64_e32 v[2:3], s[2:3], v[0:1]
	v_add_nc_u32_e32 v2, v0, v3
	s_delay_alu instid0(VALU_DEP_1) | instskip(NEXT) | instid1(VALU_DEP_1)
	v_lshrrev_b32_e32 v2, s10, v2
	v_mul_lo_u32 v3, v2, s8
	s_delay_alu instid0(VALU_DEP_1) | instskip(NEXT) | instid1(VALU_DEP_1)
	v_sub_nc_u32_e32 v3, v0, v3
	v_mul_lo_u32 v4, v3, s12
	v_mul_lo_u32 v5, v3, s14
	v_mul_lo_u32 v6, v3, s13
	s_cbranch_vccnz .LBB85_20
; %bb.19:
	v_mov_b32_e32 v3, v1
	s_delay_alu instid0(VALU_DEP_1) | instskip(NEXT) | instid1(VALU_DEP_1)
	v_mul_u64_e32 v[8:9], s[24:25], v[2:3]
	v_add_nc_u32_e32 v1, v2, v9
	s_delay_alu instid0(VALU_DEP_1) | instskip(NEXT) | instid1(VALU_DEP_1)
	v_lshrrev_b32_e32 v1, s1, v1
	v_mul_lo_u32 v1, v1, s11
	s_delay_alu instid0(VALU_DEP_1) | instskip(NEXT) | instid1(VALU_DEP_1)
	v_sub_nc_u32_e32 v1, v2, v1
	v_mad_u32 v4, v1, s15, v4
	v_mad_u32 v6, v1, s22, v6
	;; [unrolled: 1-line block ×3, first 2 shown]
.LBB85_20:
	global_load_b64 v[2:3], v6, s[6:7]
	global_load_b64 v[8:9], v5, s[16:17]
	v_add_nc_u32_e32 v0, 0x80, v0
	s_wait_loadcnt 0x0
	v_cmp_eq_f64_e32 vcc_lo, v[2:3], v[8:9]
	v_cndmask_b32_e64 v1, 0, 1, vcc_lo
	v_cmp_neq_f64_e32 vcc_lo, v[2:3], v[8:9]
	v_cndmask_b32_e64 v2, 0, 1, vcc_lo
	s_delay_alu instid0(VALU_DEP_1) | instskip(NEXT) | instid1(VALU_DEP_1)
	v_cndmask_b32_e64 v1, v2, v1, s0
	v_and_b32_e32 v1, 1, v1
	global_store_b8 v4, v1, s[4:5]
	s_wait_xcnt 0x0
	s_or_b32 exec_lo, exec_lo, s9
	s_delay_alu instid0(SALU_CYCLE_1)
	s_mov_b32 s9, exec_lo
	v_cmpx_gt_i32_e64 s33, v0
	s_cbranch_execz .LBB85_3
.LBB85_21:
	s_and_not1_b32 vcc_lo, exec_lo, s28
	s_cbranch_vccnz .LBB85_27
; %bb.22:
	s_and_not1_b32 vcc_lo, exec_lo, s34
	s_cbranch_vccnz .LBB85_28
; %bb.23:
	v_dual_mov_b32 v4, 0 :: v_dual_mov_b32 v1, v0
	v_dual_mov_b32 v6, 0 :: v_dual_mov_b32 v5, 0
	s_add_co_i32 s35, s31, 1
	s_mov_b64 s[18:19], 0xffffffffffffffe8
	s_and_b32 s35, s35, 30
	s_add_nc_u64 s[18:19], s[20:21], s[18:19]
.LBB85_24:                              ; =>This Inner Loop Header: Depth=1
	s_clause 0x1
	s_load_b128 s[36:39], s[18:19], 0x1c
	s_load_b64 s[44:45], s[18:19], 0x2c
	s_add_co_i32 s35, s35, -2
	s_delay_alu instid0(SALU_CYCLE_1) | instskip(SKIP_2) | instid1(VALU_DEP_1)
	s_cmp_eq_u32 s35, 0
	s_wait_kmcnt 0x0
	v_mul_hi_u32 v2, s37, v1
	v_add_nc_u32_e32 v2, v1, v2
	s_delay_alu instid0(VALU_DEP_1) | instskip(NEXT) | instid1(VALU_DEP_1)
	v_lshrrev_b32_e32 v2, s38, v2
	v_mul_hi_u32 v3, s44, v2
	v_mul_lo_u32 v7, v2, s36
	s_clause 0x1
	s_load_b128 s[40:43], s[18:19], 0xdc
	s_load_b64 s[36:37], s[18:19], 0xec
	s_wait_xcnt 0x0
	s_add_nc_u64 s[18:19], s[18:19], 24
	s_delay_alu instid0(VALU_DEP_2) | instskip(NEXT) | instid1(VALU_DEP_2)
	v_add_nc_u32_e32 v3, v2, v3
	v_sub_nc_u32_e32 v7, v1, v7
	s_delay_alu instid0(VALU_DEP_2) | instskip(SKIP_1) | instid1(VALU_DEP_2)
	v_lshrrev_b32_e32 v1, s45, v3
	s_wait_kmcnt 0x0
	v_mad_u32 v4, v7, s40, v4
	s_delay_alu instid0(VALU_DEP_2) | instskip(SKIP_2) | instid1(VALU_DEP_3)
	v_mul_lo_u32 v3, v1, s39
	v_mad_u32 v5, v7, s42, v5
	v_mad_u32 v6, v7, s41, v6
	v_sub_nc_u32_e32 v2, v2, v3
	s_delay_alu instid0(VALU_DEP_1) | instskip(NEXT) | instid1(VALU_DEP_4)
	v_mad_u32 v4, v2, s43, v4
	v_mad_u32 v5, v2, s37, v5
	s_delay_alu instid0(VALU_DEP_4)
	v_mad_u32 v6, v2, s36, v6
	s_cbranch_scc0 .LBB85_24
; %bb.25:
	s_bitcmp1_b32 s31, 0
	s_cselect_b32 s35, -1, 0
	s_delay_alu instid0(SALU_CYCLE_1)
	s_and_b32 vcc_lo, exec_lo, s35
	s_cbranch_vccnz .LBB85_29
; %bb.26:
	s_clause 0x1
	s_load_b96 s[36:38], s[18:19], 0x1c
	s_load_b96 s[40:42], s[18:19], 0xdc
	s_wait_kmcnt 0x0
	v_mul_hi_u32 v2, s37, v1
	s_delay_alu instid0(VALU_DEP_1) | instskip(NEXT) | instid1(VALU_DEP_1)
	v_add_nc_u32_e32 v2, v1, v2
	v_lshrrev_b32_e32 v2, s38, v2
	s_delay_alu instid0(VALU_DEP_1) | instskip(NEXT) | instid1(VALU_DEP_1)
	v_mul_lo_u32 v2, v2, s36
	v_sub_nc_u32_e32 v1, v1, v2
	s_delay_alu instid0(VALU_DEP_1)
	v_mad_u32 v4, v1, s40, v4
	v_mad_u32 v6, v1, s41, v6
	;; [unrolled: 1-line block ×3, first 2 shown]
	s_branch .LBB85_29
.LBB85_27:
                                        ; implicit-def: $vgpr5
                                        ; implicit-def: $vgpr6
                                        ; implicit-def: $vgpr4
	s_branch .LBB85_30
.LBB85_28:
	v_dual_mov_b32 v5, 0 :: v_dual_mov_b32 v6, 0
	v_mov_b32_e32 v4, 0
.LBB85_29:
	s_cbranch_execnz .LBB85_32
.LBB85_30:
	v_mov_b32_e32 v1, 0
	s_and_not1_b32 vcc_lo, exec_lo, s30
	s_delay_alu instid0(VALU_DEP_1) | instskip(NEXT) | instid1(VALU_DEP_1)
	v_mul_u64_e32 v[2:3], s[2:3], v[0:1]
	v_add_nc_u32_e32 v2, v0, v3
	s_delay_alu instid0(VALU_DEP_1) | instskip(NEXT) | instid1(VALU_DEP_1)
	v_lshrrev_b32_e32 v2, s10, v2
	v_mul_lo_u32 v3, v2, s8
	s_delay_alu instid0(VALU_DEP_1) | instskip(NEXT) | instid1(VALU_DEP_1)
	v_sub_nc_u32_e32 v3, v0, v3
	v_mul_lo_u32 v4, v3, s12
	v_mul_lo_u32 v5, v3, s14
	;; [unrolled: 1-line block ×3, first 2 shown]
	s_cbranch_vccnz .LBB85_32
; %bb.31:
	v_mov_b32_e32 v3, v1
	s_delay_alu instid0(VALU_DEP_1) | instskip(NEXT) | instid1(VALU_DEP_1)
	v_mul_u64_e32 v[8:9], s[24:25], v[2:3]
	v_add_nc_u32_e32 v1, v2, v9
	s_delay_alu instid0(VALU_DEP_1) | instskip(NEXT) | instid1(VALU_DEP_1)
	v_lshrrev_b32_e32 v1, s1, v1
	v_mul_lo_u32 v1, v1, s11
	s_delay_alu instid0(VALU_DEP_1) | instskip(NEXT) | instid1(VALU_DEP_1)
	v_sub_nc_u32_e32 v1, v2, v1
	v_mad_u32 v4, v1, s15, v4
	v_mad_u32 v6, v1, s22, v6
	;; [unrolled: 1-line block ×3, first 2 shown]
.LBB85_32:
	global_load_b64 v[2:3], v6, s[6:7]
	global_load_b64 v[8:9], v5, s[16:17]
	v_add_nc_u32_e32 v0, 0x80, v0
	s_wait_loadcnt 0x0
	v_cmp_eq_f64_e32 vcc_lo, v[2:3], v[8:9]
	v_cndmask_b32_e64 v1, 0, 1, vcc_lo
	v_cmp_neq_f64_e32 vcc_lo, v[2:3], v[8:9]
	v_cndmask_b32_e64 v2, 0, 1, vcc_lo
	s_delay_alu instid0(VALU_DEP_1) | instskip(NEXT) | instid1(VALU_DEP_1)
	v_cndmask_b32_e64 v1, v2, v1, s0
	v_and_b32_e32 v1, 1, v1
	global_store_b8 v4, v1, s[4:5]
	s_wait_xcnt 0x0
	s_or_b32 exec_lo, exec_lo, s9
	s_delay_alu instid0(SALU_CYCLE_1)
	s_mov_b32 s9, exec_lo
	v_cmpx_gt_i32_e64 s33, v0
	s_cbranch_execz .LBB85_4
.LBB85_33:
	s_and_not1_b32 vcc_lo, exec_lo, s28
	s_cbranch_vccnz .LBB85_39
; %bb.34:
	s_and_not1_b32 vcc_lo, exec_lo, s34
	s_cbranch_vccnz .LBB85_40
; %bb.35:
	v_dual_mov_b32 v4, 0 :: v_dual_mov_b32 v1, v0
	v_dual_mov_b32 v6, 0 :: v_dual_mov_b32 v5, 0
	s_add_co_i32 s35, s31, 1
	s_mov_b64 s[18:19], 0xffffffffffffffe8
	s_and_b32 s35, s35, 30
	s_add_nc_u64 s[18:19], s[20:21], s[18:19]
.LBB85_36:                              ; =>This Inner Loop Header: Depth=1
	s_clause 0x1
	s_load_b128 s[36:39], s[18:19], 0x1c
	s_load_b64 s[44:45], s[18:19], 0x2c
	s_add_co_i32 s35, s35, -2
	s_delay_alu instid0(SALU_CYCLE_1) | instskip(SKIP_2) | instid1(VALU_DEP_1)
	s_cmp_eq_u32 s35, 0
	s_wait_kmcnt 0x0
	v_mul_hi_u32 v2, s37, v1
	v_add_nc_u32_e32 v2, v1, v2
	s_delay_alu instid0(VALU_DEP_1) | instskip(NEXT) | instid1(VALU_DEP_1)
	v_lshrrev_b32_e32 v2, s38, v2
	v_mul_hi_u32 v3, s44, v2
	v_mul_lo_u32 v7, v2, s36
	s_clause 0x1
	s_load_b128 s[40:43], s[18:19], 0xdc
	s_load_b64 s[36:37], s[18:19], 0xec
	s_wait_xcnt 0x0
	s_add_nc_u64 s[18:19], s[18:19], 24
	s_delay_alu instid0(VALU_DEP_2) | instskip(NEXT) | instid1(VALU_DEP_2)
	v_add_nc_u32_e32 v3, v2, v3
	v_sub_nc_u32_e32 v7, v1, v7
	s_delay_alu instid0(VALU_DEP_2) | instskip(SKIP_1) | instid1(VALU_DEP_2)
	v_lshrrev_b32_e32 v1, s45, v3
	s_wait_kmcnt 0x0
	v_mad_u32 v4, v7, s40, v4
	s_delay_alu instid0(VALU_DEP_2) | instskip(SKIP_2) | instid1(VALU_DEP_3)
	v_mul_lo_u32 v3, v1, s39
	v_mad_u32 v5, v7, s42, v5
	v_mad_u32 v6, v7, s41, v6
	v_sub_nc_u32_e32 v2, v2, v3
	s_delay_alu instid0(VALU_DEP_1) | instskip(NEXT) | instid1(VALU_DEP_4)
	v_mad_u32 v4, v2, s43, v4
	v_mad_u32 v5, v2, s37, v5
	s_delay_alu instid0(VALU_DEP_4)
	v_mad_u32 v6, v2, s36, v6
	s_cbranch_scc0 .LBB85_36
; %bb.37:
	s_bitcmp1_b32 s31, 0
	s_cselect_b32 s35, -1, 0
	s_delay_alu instid0(SALU_CYCLE_1)
	s_and_b32 vcc_lo, exec_lo, s35
	s_cbranch_vccnz .LBB85_41
; %bb.38:
	s_clause 0x1
	s_load_b96 s[36:38], s[18:19], 0x1c
	s_load_b96 s[40:42], s[18:19], 0xdc
	s_wait_kmcnt 0x0
	v_mul_hi_u32 v2, s37, v1
	s_delay_alu instid0(VALU_DEP_1) | instskip(NEXT) | instid1(VALU_DEP_1)
	v_add_nc_u32_e32 v2, v1, v2
	v_lshrrev_b32_e32 v2, s38, v2
	s_delay_alu instid0(VALU_DEP_1) | instskip(NEXT) | instid1(VALU_DEP_1)
	v_mul_lo_u32 v2, v2, s36
	v_sub_nc_u32_e32 v1, v1, v2
	s_delay_alu instid0(VALU_DEP_1)
	v_mad_u32 v4, v1, s40, v4
	v_mad_u32 v6, v1, s41, v6
	;; [unrolled: 1-line block ×3, first 2 shown]
	s_branch .LBB85_41
.LBB85_39:
                                        ; implicit-def: $vgpr5
                                        ; implicit-def: $vgpr6
                                        ; implicit-def: $vgpr4
	s_branch .LBB85_42
.LBB85_40:
	v_dual_mov_b32 v5, 0 :: v_dual_mov_b32 v6, 0
	v_mov_b32_e32 v4, 0
.LBB85_41:
	s_cbranch_execnz .LBB85_44
.LBB85_42:
	v_mov_b32_e32 v1, 0
	s_and_not1_b32 vcc_lo, exec_lo, s30
	s_delay_alu instid0(VALU_DEP_1) | instskip(NEXT) | instid1(VALU_DEP_1)
	v_mul_u64_e32 v[2:3], s[2:3], v[0:1]
	v_add_nc_u32_e32 v2, v0, v3
	s_delay_alu instid0(VALU_DEP_1) | instskip(NEXT) | instid1(VALU_DEP_1)
	v_lshrrev_b32_e32 v2, s10, v2
	v_mul_lo_u32 v3, v2, s8
	s_delay_alu instid0(VALU_DEP_1) | instskip(NEXT) | instid1(VALU_DEP_1)
	v_sub_nc_u32_e32 v3, v0, v3
	v_mul_lo_u32 v4, v3, s12
	v_mul_lo_u32 v5, v3, s14
	;; [unrolled: 1-line block ×3, first 2 shown]
	s_cbranch_vccnz .LBB85_44
; %bb.43:
	v_mov_b32_e32 v3, v1
	s_delay_alu instid0(VALU_DEP_1) | instskip(NEXT) | instid1(VALU_DEP_1)
	v_mul_u64_e32 v[8:9], s[24:25], v[2:3]
	v_add_nc_u32_e32 v1, v2, v9
	s_delay_alu instid0(VALU_DEP_1) | instskip(NEXT) | instid1(VALU_DEP_1)
	v_lshrrev_b32_e32 v1, s1, v1
	v_mul_lo_u32 v1, v1, s11
	s_delay_alu instid0(VALU_DEP_1) | instskip(NEXT) | instid1(VALU_DEP_1)
	v_sub_nc_u32_e32 v1, v2, v1
	v_mad_u32 v4, v1, s15, v4
	v_mad_u32 v6, v1, s22, v6
	;; [unrolled: 1-line block ×3, first 2 shown]
.LBB85_44:
	global_load_b64 v[2:3], v6, s[6:7]
	global_load_b64 v[8:9], v5, s[16:17]
	v_add_nc_u32_e32 v0, 0x80, v0
	s_wait_loadcnt 0x0
	v_cmp_eq_f64_e32 vcc_lo, v[2:3], v[8:9]
	v_cndmask_b32_e64 v1, 0, 1, vcc_lo
	v_cmp_neq_f64_e32 vcc_lo, v[2:3], v[8:9]
	v_cndmask_b32_e64 v2, 0, 1, vcc_lo
	s_delay_alu instid0(VALU_DEP_1) | instskip(NEXT) | instid1(VALU_DEP_1)
	v_cndmask_b32_e64 v1, v2, v1, s0
	v_and_b32_e32 v1, 1, v1
	global_store_b8 v4, v1, s[4:5]
	s_wait_xcnt 0x0
	s_or_b32 exec_lo, exec_lo, s9
	s_delay_alu instid0(SALU_CYCLE_1)
	s_mov_b32 s9, exec_lo
	v_cmpx_gt_i32_e64 s33, v0
	s_cbranch_execz .LBB85_5
.LBB85_45:
	s_and_not1_b32 vcc_lo, exec_lo, s28
	s_cbranch_vccnz .LBB85_51
; %bb.46:
	s_and_not1_b32 vcc_lo, exec_lo, s34
	s_cbranch_vccnz .LBB85_52
; %bb.47:
	v_dual_mov_b32 v4, 0 :: v_dual_mov_b32 v1, v0
	v_dual_mov_b32 v6, 0 :: v_dual_mov_b32 v5, 0
	s_add_co_i32 s35, s31, 1
	s_mov_b64 s[18:19], 0xffffffffffffffe8
	s_and_b32 s35, s35, 30
	s_add_nc_u64 s[18:19], s[20:21], s[18:19]
.LBB85_48:                              ; =>This Inner Loop Header: Depth=1
	s_clause 0x1
	s_load_b128 s[36:39], s[18:19], 0x1c
	s_load_b64 s[44:45], s[18:19], 0x2c
	s_add_co_i32 s35, s35, -2
	s_delay_alu instid0(SALU_CYCLE_1) | instskip(SKIP_2) | instid1(VALU_DEP_1)
	s_cmp_eq_u32 s35, 0
	s_wait_kmcnt 0x0
	v_mul_hi_u32 v2, s37, v1
	v_add_nc_u32_e32 v2, v1, v2
	s_delay_alu instid0(VALU_DEP_1) | instskip(NEXT) | instid1(VALU_DEP_1)
	v_lshrrev_b32_e32 v2, s38, v2
	v_mul_hi_u32 v3, s44, v2
	v_mul_lo_u32 v7, v2, s36
	s_clause 0x1
	s_load_b128 s[40:43], s[18:19], 0xdc
	s_load_b64 s[36:37], s[18:19], 0xec
	s_wait_xcnt 0x0
	s_add_nc_u64 s[18:19], s[18:19], 24
	s_delay_alu instid0(VALU_DEP_2) | instskip(NEXT) | instid1(VALU_DEP_2)
	v_add_nc_u32_e32 v3, v2, v3
	v_sub_nc_u32_e32 v7, v1, v7
	s_delay_alu instid0(VALU_DEP_2) | instskip(SKIP_1) | instid1(VALU_DEP_2)
	v_lshrrev_b32_e32 v1, s45, v3
	s_wait_kmcnt 0x0
	v_mad_u32 v4, v7, s40, v4
	s_delay_alu instid0(VALU_DEP_2) | instskip(SKIP_2) | instid1(VALU_DEP_3)
	v_mul_lo_u32 v3, v1, s39
	v_mad_u32 v5, v7, s42, v5
	v_mad_u32 v6, v7, s41, v6
	v_sub_nc_u32_e32 v2, v2, v3
	s_delay_alu instid0(VALU_DEP_1) | instskip(NEXT) | instid1(VALU_DEP_4)
	v_mad_u32 v4, v2, s43, v4
	v_mad_u32 v5, v2, s37, v5
	s_delay_alu instid0(VALU_DEP_4)
	v_mad_u32 v6, v2, s36, v6
	s_cbranch_scc0 .LBB85_48
; %bb.49:
	s_bitcmp1_b32 s31, 0
	s_cselect_b32 s35, -1, 0
	s_delay_alu instid0(SALU_CYCLE_1)
	s_and_b32 vcc_lo, exec_lo, s35
	s_cbranch_vccnz .LBB85_53
; %bb.50:
	s_clause 0x1
	s_load_b96 s[36:38], s[18:19], 0x1c
	s_load_b96 s[40:42], s[18:19], 0xdc
	s_wait_kmcnt 0x0
	v_mul_hi_u32 v2, s37, v1
	s_delay_alu instid0(VALU_DEP_1) | instskip(NEXT) | instid1(VALU_DEP_1)
	v_add_nc_u32_e32 v2, v1, v2
	v_lshrrev_b32_e32 v2, s38, v2
	s_delay_alu instid0(VALU_DEP_1) | instskip(NEXT) | instid1(VALU_DEP_1)
	v_mul_lo_u32 v2, v2, s36
	v_sub_nc_u32_e32 v1, v1, v2
	s_delay_alu instid0(VALU_DEP_1)
	v_mad_u32 v4, v1, s40, v4
	v_mad_u32 v6, v1, s41, v6
	v_mad_u32 v5, v1, s42, v5
	s_branch .LBB85_53
.LBB85_51:
                                        ; implicit-def: $vgpr5
                                        ; implicit-def: $vgpr6
                                        ; implicit-def: $vgpr4
	s_branch .LBB85_54
.LBB85_52:
	v_dual_mov_b32 v5, 0 :: v_dual_mov_b32 v6, 0
	v_mov_b32_e32 v4, 0
.LBB85_53:
	s_cbranch_execnz .LBB85_56
.LBB85_54:
	v_mov_b32_e32 v1, 0
	s_and_not1_b32 vcc_lo, exec_lo, s30
	s_delay_alu instid0(VALU_DEP_1) | instskip(NEXT) | instid1(VALU_DEP_1)
	v_mul_u64_e32 v[2:3], s[2:3], v[0:1]
	v_add_nc_u32_e32 v2, v0, v3
	s_delay_alu instid0(VALU_DEP_1) | instskip(NEXT) | instid1(VALU_DEP_1)
	v_lshrrev_b32_e32 v2, s10, v2
	v_mul_lo_u32 v3, v2, s8
	s_delay_alu instid0(VALU_DEP_1) | instskip(NEXT) | instid1(VALU_DEP_1)
	v_sub_nc_u32_e32 v3, v0, v3
	v_mul_lo_u32 v4, v3, s12
	v_mul_lo_u32 v5, v3, s14
	;; [unrolled: 1-line block ×3, first 2 shown]
	s_cbranch_vccnz .LBB85_56
; %bb.55:
	v_mov_b32_e32 v3, v1
	s_delay_alu instid0(VALU_DEP_1) | instskip(NEXT) | instid1(VALU_DEP_1)
	v_mul_u64_e32 v[8:9], s[24:25], v[2:3]
	v_add_nc_u32_e32 v1, v2, v9
	s_delay_alu instid0(VALU_DEP_1) | instskip(NEXT) | instid1(VALU_DEP_1)
	v_lshrrev_b32_e32 v1, s1, v1
	v_mul_lo_u32 v1, v1, s11
	s_delay_alu instid0(VALU_DEP_1) | instskip(NEXT) | instid1(VALU_DEP_1)
	v_sub_nc_u32_e32 v1, v2, v1
	v_mad_u32 v4, v1, s15, v4
	v_mad_u32 v6, v1, s22, v6
	v_mad_u32 v5, v1, s23, v5
.LBB85_56:
	global_load_b64 v[2:3], v6, s[6:7]
	global_load_b64 v[8:9], v5, s[16:17]
	v_add_nc_u32_e32 v0, 0x80, v0
	s_wait_loadcnt 0x0
	v_cmp_eq_f64_e32 vcc_lo, v[2:3], v[8:9]
	v_cndmask_b32_e64 v1, 0, 1, vcc_lo
	v_cmp_neq_f64_e32 vcc_lo, v[2:3], v[8:9]
	v_cndmask_b32_e64 v2, 0, 1, vcc_lo
	s_delay_alu instid0(VALU_DEP_1) | instskip(NEXT) | instid1(VALU_DEP_1)
	v_cndmask_b32_e64 v1, v2, v1, s0
	v_and_b32_e32 v1, 1, v1
	global_store_b8 v4, v1, s[4:5]
	s_wait_xcnt 0x0
	s_or_b32 exec_lo, exec_lo, s9
	s_delay_alu instid0(SALU_CYCLE_1)
	s_mov_b32 s9, exec_lo
	v_cmpx_gt_i32_e64 s33, v0
	s_cbranch_execz .LBB85_6
.LBB85_57:
	s_and_not1_b32 vcc_lo, exec_lo, s28
	s_cbranch_vccnz .LBB85_63
; %bb.58:
	s_and_not1_b32 vcc_lo, exec_lo, s34
	s_cbranch_vccnz .LBB85_64
; %bb.59:
	v_dual_mov_b32 v4, 0 :: v_dual_mov_b32 v1, v0
	v_dual_mov_b32 v6, 0 :: v_dual_mov_b32 v5, 0
	s_add_co_i32 s35, s31, 1
	s_mov_b64 s[18:19], 0xffffffffffffffe8
	s_and_b32 s35, s35, 30
	s_add_nc_u64 s[18:19], s[20:21], s[18:19]
.LBB85_60:                              ; =>This Inner Loop Header: Depth=1
	s_clause 0x1
	s_load_b128 s[36:39], s[18:19], 0x1c
	s_load_b64 s[44:45], s[18:19], 0x2c
	s_add_co_i32 s35, s35, -2
	s_delay_alu instid0(SALU_CYCLE_1) | instskip(SKIP_2) | instid1(VALU_DEP_1)
	s_cmp_eq_u32 s35, 0
	s_wait_kmcnt 0x0
	v_mul_hi_u32 v2, s37, v1
	v_add_nc_u32_e32 v2, v1, v2
	s_delay_alu instid0(VALU_DEP_1) | instskip(NEXT) | instid1(VALU_DEP_1)
	v_lshrrev_b32_e32 v2, s38, v2
	v_mul_hi_u32 v3, s44, v2
	v_mul_lo_u32 v7, v2, s36
	s_clause 0x1
	s_load_b128 s[40:43], s[18:19], 0xdc
	s_load_b64 s[36:37], s[18:19], 0xec
	s_wait_xcnt 0x0
	s_add_nc_u64 s[18:19], s[18:19], 24
	s_delay_alu instid0(VALU_DEP_2) | instskip(NEXT) | instid1(VALU_DEP_2)
	v_add_nc_u32_e32 v3, v2, v3
	v_sub_nc_u32_e32 v7, v1, v7
	s_delay_alu instid0(VALU_DEP_2) | instskip(SKIP_1) | instid1(VALU_DEP_2)
	v_lshrrev_b32_e32 v1, s45, v3
	s_wait_kmcnt 0x0
	v_mad_u32 v4, v7, s40, v4
	s_delay_alu instid0(VALU_DEP_2) | instskip(SKIP_2) | instid1(VALU_DEP_3)
	v_mul_lo_u32 v3, v1, s39
	v_mad_u32 v5, v7, s42, v5
	v_mad_u32 v6, v7, s41, v6
	v_sub_nc_u32_e32 v2, v2, v3
	s_delay_alu instid0(VALU_DEP_1) | instskip(NEXT) | instid1(VALU_DEP_4)
	v_mad_u32 v4, v2, s43, v4
	v_mad_u32 v5, v2, s37, v5
	s_delay_alu instid0(VALU_DEP_4)
	v_mad_u32 v6, v2, s36, v6
	s_cbranch_scc0 .LBB85_60
; %bb.61:
	s_bitcmp1_b32 s31, 0
	s_cselect_b32 s35, -1, 0
	s_delay_alu instid0(SALU_CYCLE_1)
	s_and_b32 vcc_lo, exec_lo, s35
	s_cbranch_vccnz .LBB85_65
; %bb.62:
	s_clause 0x1
	s_load_b96 s[36:38], s[18:19], 0x1c
	s_load_b96 s[40:42], s[18:19], 0xdc
	s_wait_kmcnt 0x0
	v_mul_hi_u32 v2, s37, v1
	s_delay_alu instid0(VALU_DEP_1) | instskip(NEXT) | instid1(VALU_DEP_1)
	v_add_nc_u32_e32 v2, v1, v2
	v_lshrrev_b32_e32 v2, s38, v2
	s_delay_alu instid0(VALU_DEP_1) | instskip(NEXT) | instid1(VALU_DEP_1)
	v_mul_lo_u32 v2, v2, s36
	v_sub_nc_u32_e32 v1, v1, v2
	s_delay_alu instid0(VALU_DEP_1)
	v_mad_u32 v4, v1, s40, v4
	v_mad_u32 v6, v1, s41, v6
	;; [unrolled: 1-line block ×3, first 2 shown]
	s_branch .LBB85_65
.LBB85_63:
                                        ; implicit-def: $vgpr5
                                        ; implicit-def: $vgpr6
                                        ; implicit-def: $vgpr4
	s_branch .LBB85_66
.LBB85_64:
	v_dual_mov_b32 v5, 0 :: v_dual_mov_b32 v6, 0
	v_mov_b32_e32 v4, 0
.LBB85_65:
	s_cbranch_execnz .LBB85_68
.LBB85_66:
	v_mov_b32_e32 v1, 0
	s_and_not1_b32 vcc_lo, exec_lo, s30
	s_delay_alu instid0(VALU_DEP_1) | instskip(NEXT) | instid1(VALU_DEP_1)
	v_mul_u64_e32 v[2:3], s[2:3], v[0:1]
	v_add_nc_u32_e32 v2, v0, v3
	s_delay_alu instid0(VALU_DEP_1) | instskip(NEXT) | instid1(VALU_DEP_1)
	v_lshrrev_b32_e32 v2, s10, v2
	v_mul_lo_u32 v3, v2, s8
	s_delay_alu instid0(VALU_DEP_1) | instskip(NEXT) | instid1(VALU_DEP_1)
	v_sub_nc_u32_e32 v3, v0, v3
	v_mul_lo_u32 v4, v3, s12
	v_mul_lo_u32 v5, v3, s14
	;; [unrolled: 1-line block ×3, first 2 shown]
	s_cbranch_vccnz .LBB85_68
; %bb.67:
	v_mov_b32_e32 v3, v1
	s_delay_alu instid0(VALU_DEP_1) | instskip(NEXT) | instid1(VALU_DEP_1)
	v_mul_u64_e32 v[8:9], s[24:25], v[2:3]
	v_add_nc_u32_e32 v1, v2, v9
	s_delay_alu instid0(VALU_DEP_1) | instskip(NEXT) | instid1(VALU_DEP_1)
	v_lshrrev_b32_e32 v1, s1, v1
	v_mul_lo_u32 v1, v1, s11
	s_delay_alu instid0(VALU_DEP_1) | instskip(NEXT) | instid1(VALU_DEP_1)
	v_sub_nc_u32_e32 v1, v2, v1
	v_mad_u32 v4, v1, s15, v4
	v_mad_u32 v6, v1, s22, v6
	;; [unrolled: 1-line block ×3, first 2 shown]
.LBB85_68:
	global_load_b64 v[2:3], v6, s[6:7]
	global_load_b64 v[8:9], v5, s[16:17]
	v_add_nc_u32_e32 v0, 0x80, v0
	s_wait_loadcnt 0x0
	v_cmp_eq_f64_e32 vcc_lo, v[2:3], v[8:9]
	v_cndmask_b32_e64 v1, 0, 1, vcc_lo
	v_cmp_neq_f64_e32 vcc_lo, v[2:3], v[8:9]
	v_cndmask_b32_e64 v2, 0, 1, vcc_lo
	s_delay_alu instid0(VALU_DEP_1) | instskip(NEXT) | instid1(VALU_DEP_1)
	v_cndmask_b32_e64 v1, v2, v1, s0
	v_and_b32_e32 v1, 1, v1
	global_store_b8 v4, v1, s[4:5]
	s_wait_xcnt 0x0
	s_or_b32 exec_lo, exec_lo, s9
	s_delay_alu instid0(SALU_CYCLE_1)
	s_mov_b32 s9, exec_lo
	v_cmpx_gt_i32_e64 s33, v0
	s_cbranch_execz .LBB85_7
.LBB85_69:
	s_and_not1_b32 vcc_lo, exec_lo, s28
	s_cbranch_vccnz .LBB85_75
; %bb.70:
	s_and_not1_b32 vcc_lo, exec_lo, s34
	s_cbranch_vccnz .LBB85_76
; %bb.71:
	v_dual_mov_b32 v4, 0 :: v_dual_mov_b32 v1, v0
	v_dual_mov_b32 v6, 0 :: v_dual_mov_b32 v5, 0
	s_add_co_i32 s35, s31, 1
	s_mov_b64 s[18:19], 0xffffffffffffffe8
	s_and_b32 s35, s35, 30
	s_add_nc_u64 s[18:19], s[20:21], s[18:19]
.LBB85_72:                              ; =>This Inner Loop Header: Depth=1
	s_clause 0x1
	s_load_b128 s[36:39], s[18:19], 0x1c
	s_load_b64 s[44:45], s[18:19], 0x2c
	s_add_co_i32 s35, s35, -2
	s_delay_alu instid0(SALU_CYCLE_1) | instskip(SKIP_2) | instid1(VALU_DEP_1)
	s_cmp_eq_u32 s35, 0
	s_wait_kmcnt 0x0
	v_mul_hi_u32 v2, s37, v1
	v_add_nc_u32_e32 v2, v1, v2
	s_delay_alu instid0(VALU_DEP_1) | instskip(NEXT) | instid1(VALU_DEP_1)
	v_lshrrev_b32_e32 v2, s38, v2
	v_mul_hi_u32 v3, s44, v2
	v_mul_lo_u32 v7, v2, s36
	s_clause 0x1
	s_load_b128 s[40:43], s[18:19], 0xdc
	s_load_b64 s[36:37], s[18:19], 0xec
	s_wait_xcnt 0x0
	s_add_nc_u64 s[18:19], s[18:19], 24
	s_delay_alu instid0(VALU_DEP_2) | instskip(NEXT) | instid1(VALU_DEP_2)
	v_add_nc_u32_e32 v3, v2, v3
	v_sub_nc_u32_e32 v7, v1, v7
	s_delay_alu instid0(VALU_DEP_2) | instskip(SKIP_1) | instid1(VALU_DEP_2)
	v_lshrrev_b32_e32 v1, s45, v3
	s_wait_kmcnt 0x0
	v_mad_u32 v4, v7, s40, v4
	s_delay_alu instid0(VALU_DEP_2) | instskip(SKIP_2) | instid1(VALU_DEP_3)
	v_mul_lo_u32 v3, v1, s39
	v_mad_u32 v5, v7, s42, v5
	v_mad_u32 v6, v7, s41, v6
	v_sub_nc_u32_e32 v2, v2, v3
	s_delay_alu instid0(VALU_DEP_1) | instskip(NEXT) | instid1(VALU_DEP_4)
	v_mad_u32 v4, v2, s43, v4
	v_mad_u32 v5, v2, s37, v5
	s_delay_alu instid0(VALU_DEP_4)
	v_mad_u32 v6, v2, s36, v6
	s_cbranch_scc0 .LBB85_72
; %bb.73:
	s_bitcmp1_b32 s31, 0
	s_cselect_b32 s35, -1, 0
	s_delay_alu instid0(SALU_CYCLE_1)
	s_and_b32 vcc_lo, exec_lo, s35
	s_cbranch_vccnz .LBB85_77
; %bb.74:
	s_clause 0x1
	s_load_b96 s[36:38], s[18:19], 0x1c
	s_load_b96 s[40:42], s[18:19], 0xdc
	s_wait_kmcnt 0x0
	v_mul_hi_u32 v2, s37, v1
	s_delay_alu instid0(VALU_DEP_1) | instskip(NEXT) | instid1(VALU_DEP_1)
	v_add_nc_u32_e32 v2, v1, v2
	v_lshrrev_b32_e32 v2, s38, v2
	s_delay_alu instid0(VALU_DEP_1) | instskip(NEXT) | instid1(VALU_DEP_1)
	v_mul_lo_u32 v2, v2, s36
	v_sub_nc_u32_e32 v1, v1, v2
	s_delay_alu instid0(VALU_DEP_1)
	v_mad_u32 v4, v1, s40, v4
	v_mad_u32 v6, v1, s41, v6
	;; [unrolled: 1-line block ×3, first 2 shown]
	s_branch .LBB85_77
.LBB85_75:
                                        ; implicit-def: $vgpr5
                                        ; implicit-def: $vgpr6
                                        ; implicit-def: $vgpr4
	s_branch .LBB85_78
.LBB85_76:
	v_dual_mov_b32 v5, 0 :: v_dual_mov_b32 v6, 0
	v_mov_b32_e32 v4, 0
.LBB85_77:
	s_cbranch_execnz .LBB85_80
.LBB85_78:
	v_mov_b32_e32 v1, 0
	s_and_not1_b32 vcc_lo, exec_lo, s30
	s_delay_alu instid0(VALU_DEP_1) | instskip(NEXT) | instid1(VALU_DEP_1)
	v_mul_u64_e32 v[2:3], s[2:3], v[0:1]
	v_add_nc_u32_e32 v2, v0, v3
	s_delay_alu instid0(VALU_DEP_1) | instskip(NEXT) | instid1(VALU_DEP_1)
	v_lshrrev_b32_e32 v2, s10, v2
	v_mul_lo_u32 v3, v2, s8
	s_delay_alu instid0(VALU_DEP_1) | instskip(NEXT) | instid1(VALU_DEP_1)
	v_sub_nc_u32_e32 v3, v0, v3
	v_mul_lo_u32 v4, v3, s12
	v_mul_lo_u32 v5, v3, s14
	;; [unrolled: 1-line block ×3, first 2 shown]
	s_cbranch_vccnz .LBB85_80
; %bb.79:
	v_mov_b32_e32 v3, v1
	s_delay_alu instid0(VALU_DEP_1) | instskip(NEXT) | instid1(VALU_DEP_1)
	v_mul_u64_e32 v[8:9], s[24:25], v[2:3]
	v_add_nc_u32_e32 v1, v2, v9
	s_delay_alu instid0(VALU_DEP_1) | instskip(NEXT) | instid1(VALU_DEP_1)
	v_lshrrev_b32_e32 v1, s1, v1
	v_mul_lo_u32 v1, v1, s11
	s_delay_alu instid0(VALU_DEP_1) | instskip(NEXT) | instid1(VALU_DEP_1)
	v_sub_nc_u32_e32 v1, v2, v1
	v_mad_u32 v4, v1, s15, v4
	v_mad_u32 v6, v1, s22, v6
	;; [unrolled: 1-line block ×3, first 2 shown]
.LBB85_80:
	global_load_b64 v[2:3], v6, s[6:7]
	global_load_b64 v[8:9], v5, s[16:17]
	v_add_nc_u32_e32 v0, 0x80, v0
	s_wait_loadcnt 0x0
	v_cmp_eq_f64_e32 vcc_lo, v[2:3], v[8:9]
	v_cndmask_b32_e64 v1, 0, 1, vcc_lo
	v_cmp_neq_f64_e32 vcc_lo, v[2:3], v[8:9]
	v_cndmask_b32_e64 v2, 0, 1, vcc_lo
	s_delay_alu instid0(VALU_DEP_1) | instskip(NEXT) | instid1(VALU_DEP_1)
	v_cndmask_b32_e64 v1, v2, v1, s0
	v_and_b32_e32 v1, 1, v1
	global_store_b8 v4, v1, s[4:5]
	s_wait_xcnt 0x0
	s_or_b32 exec_lo, exec_lo, s9
	s_delay_alu instid0(SALU_CYCLE_1)
	s_mov_b32 s9, exec_lo
	v_cmpx_gt_i32_e64 s33, v0
	s_cbranch_execz .LBB85_8
.LBB85_81:
	s_and_not1_b32 vcc_lo, exec_lo, s28
	s_cbranch_vccnz .LBB85_87
; %bb.82:
	s_and_not1_b32 vcc_lo, exec_lo, s34
	s_cbranch_vccnz .LBB85_88
; %bb.83:
	v_dual_mov_b32 v4, 0 :: v_dual_mov_b32 v1, v0
	v_dual_mov_b32 v6, 0 :: v_dual_mov_b32 v5, 0
	s_add_co_i32 s35, s31, 1
	s_mov_b64 s[18:19], 0xffffffffffffffe8
	s_and_b32 s35, s35, 30
	s_add_nc_u64 s[18:19], s[20:21], s[18:19]
.LBB85_84:                              ; =>This Inner Loop Header: Depth=1
	s_clause 0x1
	s_load_b128 s[36:39], s[18:19], 0x1c
	s_load_b64 s[44:45], s[18:19], 0x2c
	s_add_co_i32 s35, s35, -2
	s_delay_alu instid0(SALU_CYCLE_1) | instskip(SKIP_2) | instid1(VALU_DEP_1)
	s_cmp_eq_u32 s35, 0
	s_wait_kmcnt 0x0
	v_mul_hi_u32 v2, s37, v1
	v_add_nc_u32_e32 v2, v1, v2
	s_delay_alu instid0(VALU_DEP_1) | instskip(NEXT) | instid1(VALU_DEP_1)
	v_lshrrev_b32_e32 v2, s38, v2
	v_mul_hi_u32 v3, s44, v2
	v_mul_lo_u32 v7, v2, s36
	s_clause 0x1
	s_load_b128 s[40:43], s[18:19], 0xdc
	s_load_b64 s[36:37], s[18:19], 0xec
	s_wait_xcnt 0x0
	s_add_nc_u64 s[18:19], s[18:19], 24
	s_delay_alu instid0(VALU_DEP_2) | instskip(NEXT) | instid1(VALU_DEP_2)
	v_add_nc_u32_e32 v3, v2, v3
	v_sub_nc_u32_e32 v7, v1, v7
	s_delay_alu instid0(VALU_DEP_2) | instskip(SKIP_1) | instid1(VALU_DEP_2)
	v_lshrrev_b32_e32 v1, s45, v3
	s_wait_kmcnt 0x0
	v_mad_u32 v4, v7, s40, v4
	s_delay_alu instid0(VALU_DEP_2) | instskip(SKIP_2) | instid1(VALU_DEP_3)
	v_mul_lo_u32 v3, v1, s39
	v_mad_u32 v5, v7, s42, v5
	v_mad_u32 v6, v7, s41, v6
	v_sub_nc_u32_e32 v2, v2, v3
	s_delay_alu instid0(VALU_DEP_1) | instskip(NEXT) | instid1(VALU_DEP_4)
	v_mad_u32 v4, v2, s43, v4
	v_mad_u32 v5, v2, s37, v5
	s_delay_alu instid0(VALU_DEP_4)
	v_mad_u32 v6, v2, s36, v6
	s_cbranch_scc0 .LBB85_84
; %bb.85:
	s_bitcmp1_b32 s31, 0
	s_cselect_b32 s35, -1, 0
	s_delay_alu instid0(SALU_CYCLE_1)
	s_and_b32 vcc_lo, exec_lo, s35
	s_cbranch_vccnz .LBB85_89
; %bb.86:
	s_clause 0x1
	s_load_b96 s[36:38], s[18:19], 0x1c
	s_load_b96 s[40:42], s[18:19], 0xdc
	s_wait_kmcnt 0x0
	v_mul_hi_u32 v2, s37, v1
	s_delay_alu instid0(VALU_DEP_1) | instskip(NEXT) | instid1(VALU_DEP_1)
	v_add_nc_u32_e32 v2, v1, v2
	v_lshrrev_b32_e32 v2, s38, v2
	s_delay_alu instid0(VALU_DEP_1) | instskip(NEXT) | instid1(VALU_DEP_1)
	v_mul_lo_u32 v2, v2, s36
	v_sub_nc_u32_e32 v1, v1, v2
	s_delay_alu instid0(VALU_DEP_1)
	v_mad_u32 v4, v1, s40, v4
	v_mad_u32 v6, v1, s41, v6
	;; [unrolled: 1-line block ×3, first 2 shown]
	s_branch .LBB85_89
.LBB85_87:
                                        ; implicit-def: $vgpr5
                                        ; implicit-def: $vgpr6
                                        ; implicit-def: $vgpr4
	s_branch .LBB85_90
.LBB85_88:
	v_dual_mov_b32 v5, 0 :: v_dual_mov_b32 v6, 0
	v_mov_b32_e32 v4, 0
.LBB85_89:
	s_cbranch_execnz .LBB85_92
.LBB85_90:
	v_mov_b32_e32 v1, 0
	s_and_not1_b32 vcc_lo, exec_lo, s30
	s_delay_alu instid0(VALU_DEP_1) | instskip(NEXT) | instid1(VALU_DEP_1)
	v_mul_u64_e32 v[2:3], s[2:3], v[0:1]
	v_add_nc_u32_e32 v2, v0, v3
	s_delay_alu instid0(VALU_DEP_1) | instskip(NEXT) | instid1(VALU_DEP_1)
	v_lshrrev_b32_e32 v2, s10, v2
	v_mul_lo_u32 v3, v2, s8
	s_delay_alu instid0(VALU_DEP_1) | instskip(NEXT) | instid1(VALU_DEP_1)
	v_sub_nc_u32_e32 v3, v0, v3
	v_mul_lo_u32 v4, v3, s12
	v_mul_lo_u32 v5, v3, s14
	;; [unrolled: 1-line block ×3, first 2 shown]
	s_cbranch_vccnz .LBB85_92
; %bb.91:
	v_mov_b32_e32 v3, v1
	s_delay_alu instid0(VALU_DEP_1) | instskip(NEXT) | instid1(VALU_DEP_1)
	v_mul_u64_e32 v[8:9], s[24:25], v[2:3]
	v_add_nc_u32_e32 v1, v2, v9
	s_delay_alu instid0(VALU_DEP_1) | instskip(NEXT) | instid1(VALU_DEP_1)
	v_lshrrev_b32_e32 v1, s1, v1
	v_mul_lo_u32 v1, v1, s11
	s_delay_alu instid0(VALU_DEP_1) | instskip(NEXT) | instid1(VALU_DEP_1)
	v_sub_nc_u32_e32 v1, v2, v1
	v_mad_u32 v4, v1, s15, v4
	v_mad_u32 v6, v1, s22, v6
	;; [unrolled: 1-line block ×3, first 2 shown]
.LBB85_92:
	global_load_b64 v[2:3], v6, s[6:7]
	global_load_b64 v[8:9], v5, s[16:17]
	v_add_nc_u32_e32 v0, 0x80, v0
	s_wait_loadcnt 0x0
	v_cmp_eq_f64_e32 vcc_lo, v[2:3], v[8:9]
	v_cndmask_b32_e64 v1, 0, 1, vcc_lo
	v_cmp_neq_f64_e32 vcc_lo, v[2:3], v[8:9]
	v_cndmask_b32_e64 v2, 0, 1, vcc_lo
	s_delay_alu instid0(VALU_DEP_1) | instskip(NEXT) | instid1(VALU_DEP_1)
	v_cndmask_b32_e64 v1, v2, v1, s0
	v_and_b32_e32 v1, 1, v1
	global_store_b8 v4, v1, s[4:5]
	s_wait_xcnt 0x0
	s_or_b32 exec_lo, exec_lo, s9
	s_delay_alu instid0(SALU_CYCLE_1)
	s_mov_b32 s9, exec_lo
	v_cmpx_gt_i32_e64 s33, v0
	s_cbranch_execz .LBB85_105
.LBB85_93:
	s_and_not1_b32 vcc_lo, exec_lo, s28
	s_cbranch_vccnz .LBB85_99
; %bb.94:
	s_and_not1_b32 vcc_lo, exec_lo, s34
	s_cbranch_vccnz .LBB85_100
; %bb.95:
	v_dual_mov_b32 v4, 0 :: v_dual_mov_b32 v1, v0
	v_dual_mov_b32 v6, 0 :: v_dual_mov_b32 v5, 0
	s_add_co_i32 s33, s31, 1
	s_mov_b64 s[18:19], 0xffffffffffffffe8
	s_and_b32 s33, s33, 30
	s_add_nc_u64 s[18:19], s[20:21], s[18:19]
.LBB85_96:                              ; =>This Inner Loop Header: Depth=1
	s_clause 0x1
	s_load_b128 s[36:39], s[18:19], 0x1c
	s_load_b64 s[34:35], s[18:19], 0x2c
	s_add_co_i32 s33, s33, -2
	s_delay_alu instid0(SALU_CYCLE_1) | instskip(SKIP_2) | instid1(VALU_DEP_1)
	s_cmp_eq_u32 s33, 0
	s_wait_kmcnt 0x0
	v_mul_hi_u32 v2, s37, v1
	v_add_nc_u32_e32 v2, v1, v2
	s_delay_alu instid0(VALU_DEP_1) | instskip(NEXT) | instid1(VALU_DEP_1)
	v_lshrrev_b32_e32 v2, s38, v2
	v_mul_hi_u32 v3, s34, v2
	v_mul_lo_u32 v7, v2, s36
	s_clause 0x1
	s_load_b128 s[40:43], s[18:19], 0xdc
	s_load_b64 s[36:37], s[18:19], 0xec
	s_wait_xcnt 0x0
	s_add_nc_u64 s[18:19], s[18:19], 24
	s_delay_alu instid0(VALU_DEP_2) | instskip(NEXT) | instid1(VALU_DEP_2)
	v_add_nc_u32_e32 v3, v2, v3
	v_sub_nc_u32_e32 v7, v1, v7
	s_delay_alu instid0(VALU_DEP_2) | instskip(SKIP_1) | instid1(VALU_DEP_2)
	v_lshrrev_b32_e32 v1, s35, v3
	s_wait_kmcnt 0x0
	v_mad_u32 v4, v7, s40, v4
	s_delay_alu instid0(VALU_DEP_2) | instskip(SKIP_2) | instid1(VALU_DEP_3)
	v_mul_lo_u32 v3, v1, s39
	v_mad_u32 v5, v7, s42, v5
	v_mad_u32 v6, v7, s41, v6
	v_sub_nc_u32_e32 v2, v2, v3
	s_delay_alu instid0(VALU_DEP_1) | instskip(NEXT) | instid1(VALU_DEP_4)
	v_mad_u32 v4, v2, s43, v4
	v_mad_u32 v5, v2, s37, v5
	s_delay_alu instid0(VALU_DEP_4)
	v_mad_u32 v6, v2, s36, v6
	s_cbranch_scc0 .LBB85_96
; %bb.97:
	s_bitcmp1_b32 s31, 0
	s_cselect_b32 s31, -1, 0
	s_delay_alu instid0(SALU_CYCLE_1)
	s_and_b32 vcc_lo, exec_lo, s31
	s_cbranch_vccnz .LBB85_101
; %bb.98:
	s_clause 0x1
	s_load_b96 s[36:38], s[18:19], 0x1c
	s_load_b96 s[40:42], s[18:19], 0xdc
	s_wait_kmcnt 0x0
	v_mul_hi_u32 v2, s37, v1
	s_delay_alu instid0(VALU_DEP_1) | instskip(NEXT) | instid1(VALU_DEP_1)
	v_add_nc_u32_e32 v2, v1, v2
	v_lshrrev_b32_e32 v2, s38, v2
	s_delay_alu instid0(VALU_DEP_1) | instskip(NEXT) | instid1(VALU_DEP_1)
	v_mul_lo_u32 v2, v2, s36
	v_sub_nc_u32_e32 v1, v1, v2
	s_delay_alu instid0(VALU_DEP_1)
	v_mad_u32 v4, v1, s40, v4
	v_mad_u32 v6, v1, s41, v6
	;; [unrolled: 1-line block ×3, first 2 shown]
	s_branch .LBB85_101
.LBB85_99:
                                        ; implicit-def: $vgpr5
                                        ; implicit-def: $vgpr6
                                        ; implicit-def: $vgpr4
	s_branch .LBB85_102
.LBB85_100:
	v_dual_mov_b32 v5, 0 :: v_dual_mov_b32 v6, 0
	v_mov_b32_e32 v4, 0
.LBB85_101:
	s_cbranch_execnz .LBB85_104
.LBB85_102:
	v_mov_b32_e32 v1, 0
	s_and_not1_b32 vcc_lo, exec_lo, s30
	s_delay_alu instid0(VALU_DEP_1) | instskip(NEXT) | instid1(VALU_DEP_1)
	v_mul_u64_e32 v[2:3], s[2:3], v[0:1]
	v_add_nc_u32_e32 v2, v0, v3
	s_delay_alu instid0(VALU_DEP_1) | instskip(NEXT) | instid1(VALU_DEP_1)
	v_lshrrev_b32_e32 v2, s10, v2
	v_mul_lo_u32 v3, v2, s8
	s_delay_alu instid0(VALU_DEP_1) | instskip(NEXT) | instid1(VALU_DEP_1)
	v_sub_nc_u32_e32 v0, v0, v3
	v_mul_lo_u32 v4, v0, s12
	v_mul_lo_u32 v5, v0, s14
	;; [unrolled: 1-line block ×3, first 2 shown]
	s_cbranch_vccnz .LBB85_104
; %bb.103:
	v_mov_b32_e32 v3, v1
	s_delay_alu instid0(VALU_DEP_1) | instskip(NEXT) | instid1(VALU_DEP_1)
	v_mul_u64_e32 v[0:1], s[24:25], v[2:3]
	v_add_nc_u32_e32 v0, v2, v1
	s_delay_alu instid0(VALU_DEP_1) | instskip(NEXT) | instid1(VALU_DEP_1)
	v_lshrrev_b32_e32 v0, s1, v0
	v_mul_lo_u32 v0, v0, s11
	s_delay_alu instid0(VALU_DEP_1) | instskip(NEXT) | instid1(VALU_DEP_1)
	v_sub_nc_u32_e32 v0, v2, v0
	v_mad_u32 v4, v0, s15, v4
	v_mad_u32 v6, v0, s22, v6
	;; [unrolled: 1-line block ×3, first 2 shown]
.LBB85_104:
	global_load_b64 v[0:1], v6, s[6:7]
	global_load_b64 v[2:3], v5, s[16:17]
	s_wait_loadcnt 0x0
	v_cmp_eq_f64_e32 vcc_lo, v[0:1], v[2:3]
	s_wait_xcnt 0x0
	v_cndmask_b32_e64 v5, 0, 1, vcc_lo
	v_cmp_neq_f64_e32 vcc_lo, v[0:1], v[2:3]
	v_cndmask_b32_e64 v0, 0, 1, vcc_lo
	s_delay_alu instid0(VALU_DEP_1) | instskip(NEXT) | instid1(VALU_DEP_1)
	v_cndmask_b32_e64 v0, v0, v5, s0
	v_and_b32_e32 v0, 1, v0
	global_store_b8 v4, v0, s[4:5]
.LBB85_105:
	s_wait_xcnt 0x0
	s_or_b32 exec_lo, exec_lo, s9
                                        ; implicit-def: $vgpr4
                                        ; implicit-def: $vgpr0
.LBB85_106:
	s_and_not1_saveexec_b32 s0, s29
	s_cbranch_execz .LBB85_113
; %bb.107:
	v_cndmask_b32_e64 v8, 0, 1, s28
	s_and_not1_b32 vcc_lo, exec_lo, s28
	s_cbranch_vccnz .LBB85_114
; %bb.108:
	s_cmp_lg_u32 s26, 0
	s_mov_b32 s2, 0
	s_cbranch_scc0 .LBB85_118
; %bb.109:
	s_min_u32 s3, s27, 15
	v_dual_mov_b32 v1, 0 :: v_dual_mov_b32 v5, v0
	v_dual_mov_b32 v2, 0 :: v_dual_mov_b32 v3, 0
	s_add_co_i32 s4, s3, 1
	s_mov_b64 s[0:1], 0xffffffffffffffe8
	s_and_b32 s4, s4, 30
	s_add_nc_u64 s[0:1], s[20:21], s[0:1]
.LBB85_110:                             ; =>This Inner Loop Header: Depth=1
	s_clause 0x1
	s_load_b128 s[8:11], s[0:1], 0x1c
	s_load_b64 s[6:7], s[0:1], 0x2c
	s_add_co_i32 s4, s4, -2
	s_delay_alu instid0(SALU_CYCLE_1) | instskip(SKIP_2) | instid1(VALU_DEP_1)
	s_cmp_lg_u32 s4, 0
	s_wait_kmcnt 0x0
	v_mul_hi_u32 v6, s9, v5
	v_add_nc_u32_e32 v6, v5, v6
	s_delay_alu instid0(VALU_DEP_1) | instskip(NEXT) | instid1(VALU_DEP_1)
	v_lshrrev_b32_e32 v6, s10, v6
	v_mul_hi_u32 v7, s6, v6
	v_mul_lo_u32 v9, v6, s8
	s_clause 0x1
	s_load_b128 s[12:15], s[0:1], 0xdc
	s_load_b64 s[8:9], s[0:1], 0xec
	s_wait_xcnt 0x0
	s_add_nc_u64 s[0:1], s[0:1], 24
	s_delay_alu instid0(VALU_DEP_1) | instskip(NEXT) | instid1(VALU_DEP_1)
	v_dual_add_nc_u32 v7, v6, v7 :: v_dual_sub_nc_u32 v9, v5, v9
	v_lshrrev_b32_e32 v5, s7, v7
	s_wait_kmcnt 0x0
	s_delay_alu instid0(VALU_DEP_2) | instskip(NEXT) | instid1(VALU_DEP_2)
	v_mad_u32 v1, v9, s12, v1
	v_mul_lo_u32 v7, v5, s11
	v_mad_u32 v3, v9, s14, v3
	v_mad_u32 v2, v9, s13, v2
	s_delay_alu instid0(VALU_DEP_3) | instskip(NEXT) | instid1(VALU_DEP_1)
	v_sub_nc_u32_e32 v6, v6, v7
	v_mad_u32 v1, v6, s15, v1
	s_delay_alu instid0(VALU_DEP_4) | instskip(NEXT) | instid1(VALU_DEP_4)
	v_mad_u32 v3, v6, s9, v3
	v_mad_u32 v2, v6, s8, v2
	s_cbranch_scc1 .LBB85_110
; %bb.111:
	s_bitcmp1_b32 s3, 0
	s_cselect_b32 s3, -1, 0
	s_delay_alu instid0(SALU_CYCLE_1)
	s_and_b32 vcc_lo, exec_lo, s3
	s_cbranch_vccnz .LBB85_115
; %bb.112:
	s_clause 0x1
	s_load_b96 s[4:6], s[0:1], 0x1c
	s_load_b96 s[8:10], s[0:1], 0xdc
	s_wait_kmcnt 0x0
	v_mul_hi_u32 v6, s5, v5
	s_delay_alu instid0(VALU_DEP_1) | instskip(NEXT) | instid1(VALU_DEP_1)
	v_add_nc_u32_e32 v6, v5, v6
	v_lshrrev_b32_e32 v6, s6, v6
	s_delay_alu instid0(VALU_DEP_1) | instskip(NEXT) | instid1(VALU_DEP_1)
	v_mul_lo_u32 v6, v6, s4
	v_sub_nc_u32_e32 v5, v5, v6
	s_delay_alu instid0(VALU_DEP_1)
	v_mad_u32 v1, v5, s8, v1
	v_mad_u32 v2, v5, s9, v2
	v_mad_u32 v3, v5, s10, v3
	s_and_not1_b32 vcc_lo, exec_lo, s2
	s_cbranch_vccz .LBB85_116
	s_branch .LBB85_119
.LBB85_113:
	s_endpgm
.LBB85_114:
	s_mov_b32 s2, -1
                                        ; implicit-def: $vgpr3
                                        ; implicit-def: $vgpr2
                                        ; implicit-def: $vgpr1
.LBB85_115:
	s_delay_alu instid0(SALU_CYCLE_1)
	s_and_not1_b32 vcc_lo, exec_lo, s2
	s_cbranch_vccnz .LBB85_119
.LBB85_116:
	s_clause 0x1
	s_load_b96 s[0:2], s[20:21], 0x4
	s_load_b96 s[4:6], s[20:21], 0xc4
	s_cmp_lt_u32 s26, 2
	s_wait_kmcnt 0x0
	v_mul_hi_u32 v1, s1, v0
	s_delay_alu instid0(VALU_DEP_1) | instskip(NEXT) | instid1(VALU_DEP_1)
	v_add_nc_u32_e32 v1, v0, v1
	v_lshrrev_b32_e32 v5, s2, v1
	s_delay_alu instid0(VALU_DEP_1) | instskip(NEXT) | instid1(VALU_DEP_1)
	v_mul_lo_u32 v1, v5, s0
	v_sub_nc_u32_e32 v2, v0, v1
	s_delay_alu instid0(VALU_DEP_1)
	v_mul_lo_u32 v1, v2, s4
	v_mul_lo_u32 v3, v2, s6
	;; [unrolled: 1-line block ×3, first 2 shown]
	s_cbranch_scc1 .LBB85_119
; %bb.117:
	s_clause 0x1
	s_load_b96 s[0:2], s[20:21], 0x10
	s_load_b96 s[4:6], s[20:21], 0xd0
	s_wait_kmcnt 0x0
	v_mul_hi_u32 v6, s1, v5
	s_delay_alu instid0(VALU_DEP_1) | instskip(NEXT) | instid1(VALU_DEP_1)
	v_add_nc_u32_e32 v6, v5, v6
	v_lshrrev_b32_e32 v6, s2, v6
	s_delay_alu instid0(VALU_DEP_1) | instskip(NEXT) | instid1(VALU_DEP_1)
	v_mul_lo_u32 v6, v6, s0
	v_sub_nc_u32_e32 v5, v5, v6
	s_delay_alu instid0(VALU_DEP_1)
	v_mad_u32 v1, v5, s4, v1
	v_mad_u32 v2, v5, s5, v2
	;; [unrolled: 1-line block ×3, first 2 shown]
	s_branch .LBB85_119
.LBB85_118:
	v_dual_mov_b32 v3, 0 :: v_dual_mov_b32 v2, 0
	v_mov_b32_e32 v1, 0
	s_and_not1_b32 vcc_lo, exec_lo, s2
	s_cbranch_vccz .LBB85_116
.LBB85_119:
	v_cmp_ne_u32_e32 vcc_lo, 1, v8
	v_add_nc_u32_e32 v9, 0x80, v0
	s_cbranch_vccnz .LBB85_125
; %bb.120:
	s_cmp_lg_u32 s26, 0
	s_mov_b32 s2, 0
	s_cbranch_scc0 .LBB85_129
; %bb.121:
	s_min_u32 s3, s27, 15
	v_dual_mov_b32 v5, 0 :: v_dual_mov_b32 v10, v9
	v_dual_mov_b32 v6, 0 :: v_dual_mov_b32 v7, 0
	s_add_co_i32 s4, s3, 1
	s_mov_b64 s[0:1], 0xffffffffffffffe8
	s_and_b32 s4, s4, 30
	s_add_nc_u64 s[0:1], s[20:21], s[0:1]
.LBB85_122:                             ; =>This Inner Loop Header: Depth=1
	s_clause 0x1
	s_load_b128 s[8:11], s[0:1], 0x1c
	s_load_b64 s[6:7], s[0:1], 0x2c
	s_add_co_i32 s4, s4, -2
	s_delay_alu instid0(SALU_CYCLE_1) | instskip(SKIP_2) | instid1(VALU_DEP_1)
	s_cmp_lg_u32 s4, 0
	s_wait_kmcnt 0x0
	v_mul_hi_u32 v11, s9, v10
	v_add_nc_u32_e32 v11, v10, v11
	s_delay_alu instid0(VALU_DEP_1) | instskip(NEXT) | instid1(VALU_DEP_1)
	v_lshrrev_b32_e32 v11, s10, v11
	v_mul_hi_u32 v12, s6, v11
	v_mul_lo_u32 v13, v11, s8
	s_clause 0x1
	s_load_b128 s[12:15], s[0:1], 0xdc
	s_load_b64 s[8:9], s[0:1], 0xec
	s_wait_xcnt 0x0
	s_add_nc_u64 s[0:1], s[0:1], 24
	s_delay_alu instid0(VALU_DEP_1) | instskip(NEXT) | instid1(VALU_DEP_1)
	v_dual_add_nc_u32 v12, v11, v12 :: v_dual_sub_nc_u32 v13, v10, v13
	v_lshrrev_b32_e32 v10, s7, v12
	s_wait_kmcnt 0x0
	s_delay_alu instid0(VALU_DEP_2) | instskip(NEXT) | instid1(VALU_DEP_2)
	v_mad_u32 v5, v13, s12, v5
	v_mul_lo_u32 v12, v10, s11
	v_mad_u32 v7, v13, s14, v7
	v_mad_u32 v6, v13, s13, v6
	s_delay_alu instid0(VALU_DEP_3) | instskip(NEXT) | instid1(VALU_DEP_1)
	v_sub_nc_u32_e32 v11, v11, v12
	v_mad_u32 v5, v11, s15, v5
	s_delay_alu instid0(VALU_DEP_4) | instskip(NEXT) | instid1(VALU_DEP_4)
	v_mad_u32 v7, v11, s9, v7
	v_mad_u32 v6, v11, s8, v6
	s_cbranch_scc1 .LBB85_122
; %bb.123:
	s_bitcmp1_b32 s3, 0
	s_cselect_b32 s3, -1, 0
	s_delay_alu instid0(SALU_CYCLE_1)
	s_and_b32 vcc_lo, exec_lo, s3
	s_cbranch_vccnz .LBB85_126
; %bb.124:
	s_clause 0x1
	s_load_b96 s[4:6], s[0:1], 0x1c
	s_load_b96 s[8:10], s[0:1], 0xdc
	s_wait_kmcnt 0x0
	v_mul_hi_u32 v11, s5, v10
	s_delay_alu instid0(VALU_DEP_1) | instskip(NEXT) | instid1(VALU_DEP_1)
	v_add_nc_u32_e32 v11, v10, v11
	v_lshrrev_b32_e32 v11, s6, v11
	s_delay_alu instid0(VALU_DEP_1) | instskip(NEXT) | instid1(VALU_DEP_1)
	v_mul_lo_u32 v11, v11, s4
	v_sub_nc_u32_e32 v10, v10, v11
	s_delay_alu instid0(VALU_DEP_1)
	v_mad_u32 v5, v10, s8, v5
	v_mad_u32 v6, v10, s9, v6
	v_mad_u32 v7, v10, s10, v7
	s_and_not1_b32 vcc_lo, exec_lo, s2
	s_cbranch_vccz .LBB85_127
	s_branch .LBB85_130
.LBB85_125:
	s_mov_b32 s2, -1
                                        ; implicit-def: $vgpr7
                                        ; implicit-def: $vgpr6
                                        ; implicit-def: $vgpr5
.LBB85_126:
	s_delay_alu instid0(SALU_CYCLE_1)
	s_and_not1_b32 vcc_lo, exec_lo, s2
	s_cbranch_vccnz .LBB85_130
.LBB85_127:
	s_clause 0x1
	s_load_b96 s[0:2], s[20:21], 0x4
	s_load_b96 s[4:6], s[20:21], 0xc4
	s_cmp_lt_u32 s26, 2
	s_wait_kmcnt 0x0
	v_mul_hi_u32 v5, s1, v9
	s_delay_alu instid0(VALU_DEP_1) | instskip(NEXT) | instid1(VALU_DEP_1)
	v_add_nc_u32_e32 v5, v9, v5
	v_lshrrev_b32_e32 v10, s2, v5
	s_delay_alu instid0(VALU_DEP_1) | instskip(NEXT) | instid1(VALU_DEP_1)
	v_mul_lo_u32 v5, v10, s0
	v_sub_nc_u32_e32 v6, v9, v5
	s_delay_alu instid0(VALU_DEP_1)
	v_mul_lo_u32 v5, v6, s4
	v_mul_lo_u32 v7, v6, s6
	;; [unrolled: 1-line block ×3, first 2 shown]
	s_cbranch_scc1 .LBB85_130
; %bb.128:
	s_clause 0x1
	s_load_b96 s[0:2], s[20:21], 0x10
	s_load_b96 s[4:6], s[20:21], 0xd0
	s_wait_kmcnt 0x0
	v_mul_hi_u32 v9, s1, v10
	s_delay_alu instid0(VALU_DEP_1) | instskip(NEXT) | instid1(VALU_DEP_1)
	v_add_nc_u32_e32 v9, v10, v9
	v_lshrrev_b32_e32 v9, s2, v9
	s_delay_alu instid0(VALU_DEP_1) | instskip(NEXT) | instid1(VALU_DEP_1)
	v_mul_lo_u32 v9, v9, s0
	v_sub_nc_u32_e32 v9, v10, v9
	s_delay_alu instid0(VALU_DEP_1)
	v_mad_u32 v5, v9, s4, v5
	v_mad_u32 v6, v9, s5, v6
	v_mad_u32 v7, v9, s6, v7
	s_branch .LBB85_130
.LBB85_129:
	v_dual_mov_b32 v7, 0 :: v_dual_mov_b32 v6, 0
	v_mov_b32_e32 v5, 0
	s_and_not1_b32 vcc_lo, exec_lo, s2
	s_cbranch_vccz .LBB85_127
.LBB85_130:
	v_cmp_ne_u32_e32 vcc_lo, 1, v8
	v_add_nc_u32_e32 v12, 0x100, v0
	s_cbranch_vccnz .LBB85_136
; %bb.131:
	s_cmp_lg_u32 s26, 0
	s_mov_b32 s2, 0
	s_cbranch_scc0 .LBB85_140
; %bb.132:
	s_min_u32 s3, s27, 15
	v_dual_mov_b32 v9, 0 :: v_dual_mov_b32 v13, v12
	v_dual_mov_b32 v11, 0 :: v_dual_mov_b32 v10, 0
	s_add_co_i32 s4, s3, 1
	s_mov_b64 s[0:1], 0xffffffffffffffe8
	s_and_b32 s4, s4, 30
	s_add_nc_u64 s[0:1], s[20:21], s[0:1]
.LBB85_133:                             ; =>This Inner Loop Header: Depth=1
	s_clause 0x1
	s_load_b128 s[8:11], s[0:1], 0x1c
	s_load_b64 s[6:7], s[0:1], 0x2c
	s_add_co_i32 s4, s4, -2
	s_delay_alu instid0(SALU_CYCLE_1) | instskip(SKIP_2) | instid1(VALU_DEP_1)
	s_cmp_lg_u32 s4, 0
	s_wait_kmcnt 0x0
	v_mul_hi_u32 v14, s9, v13
	v_add_nc_u32_e32 v14, v13, v14
	s_delay_alu instid0(VALU_DEP_1) | instskip(NEXT) | instid1(VALU_DEP_1)
	v_lshrrev_b32_e32 v14, s10, v14
	v_mul_hi_u32 v15, s6, v14
	v_mul_lo_u32 v16, v14, s8
	s_clause 0x1
	s_load_b128 s[12:15], s[0:1], 0xdc
	s_load_b64 s[8:9], s[0:1], 0xec
	s_wait_xcnt 0x0
	s_add_nc_u64 s[0:1], s[0:1], 24
	s_delay_alu instid0(VALU_DEP_1) | instskip(NEXT) | instid1(VALU_DEP_1)
	v_dual_add_nc_u32 v15, v14, v15 :: v_dual_sub_nc_u32 v16, v13, v16
	v_lshrrev_b32_e32 v13, s7, v15
	s_wait_kmcnt 0x0
	s_delay_alu instid0(VALU_DEP_2) | instskip(NEXT) | instid1(VALU_DEP_2)
	v_mad_u32 v9, v16, s12, v9
	v_mul_lo_u32 v15, v13, s11
	v_mad_u32 v10, v16, s14, v10
	v_mad_u32 v11, v16, s13, v11
	s_delay_alu instid0(VALU_DEP_3) | instskip(NEXT) | instid1(VALU_DEP_1)
	v_sub_nc_u32_e32 v14, v14, v15
	v_mad_u32 v9, v14, s15, v9
	s_delay_alu instid0(VALU_DEP_4) | instskip(NEXT) | instid1(VALU_DEP_4)
	v_mad_u32 v10, v14, s9, v10
	v_mad_u32 v11, v14, s8, v11
	s_cbranch_scc1 .LBB85_133
; %bb.134:
	s_bitcmp1_b32 s3, 0
	s_cselect_b32 s3, -1, 0
	s_delay_alu instid0(SALU_CYCLE_1)
	s_and_b32 vcc_lo, exec_lo, s3
	s_cbranch_vccnz .LBB85_137
; %bb.135:
	s_clause 0x1
	s_load_b96 s[4:6], s[0:1], 0x1c
	s_load_b96 s[8:10], s[0:1], 0xdc
	s_wait_kmcnt 0x0
	v_mul_hi_u32 v14, s5, v13
	s_delay_alu instid0(VALU_DEP_1) | instskip(NEXT) | instid1(VALU_DEP_1)
	v_add_nc_u32_e32 v14, v13, v14
	v_lshrrev_b32_e32 v14, s6, v14
	s_delay_alu instid0(VALU_DEP_1) | instskip(NEXT) | instid1(VALU_DEP_1)
	v_mul_lo_u32 v14, v14, s4
	v_sub_nc_u32_e32 v13, v13, v14
	s_delay_alu instid0(VALU_DEP_1)
	v_mad_u32 v9, v13, s8, v9
	v_mad_u32 v11, v13, s9, v11
	;; [unrolled: 1-line block ×3, first 2 shown]
	s_and_not1_b32 vcc_lo, exec_lo, s2
	s_cbranch_vccz .LBB85_138
	s_branch .LBB85_141
.LBB85_136:
	s_mov_b32 s2, -1
                                        ; implicit-def: $vgpr10
                                        ; implicit-def: $vgpr11
                                        ; implicit-def: $vgpr9
.LBB85_137:
	s_delay_alu instid0(SALU_CYCLE_1)
	s_and_not1_b32 vcc_lo, exec_lo, s2
	s_cbranch_vccnz .LBB85_141
.LBB85_138:
	s_clause 0x1
	s_load_b96 s[0:2], s[20:21], 0x4
	s_load_b96 s[4:6], s[20:21], 0xc4
	s_cmp_lt_u32 s26, 2
	s_wait_kmcnt 0x0
	v_mul_hi_u32 v9, s1, v12
	s_delay_alu instid0(VALU_DEP_1) | instskip(NEXT) | instid1(VALU_DEP_1)
	v_add_nc_u32_e32 v9, v12, v9
	v_lshrrev_b32_e32 v13, s2, v9
	s_delay_alu instid0(VALU_DEP_1) | instskip(NEXT) | instid1(VALU_DEP_1)
	v_mul_lo_u32 v9, v13, s0
	v_sub_nc_u32_e32 v11, v12, v9
	s_delay_alu instid0(VALU_DEP_1)
	v_mul_lo_u32 v9, v11, s4
	v_mul_lo_u32 v10, v11, s6
	v_mul_lo_u32 v11, v11, s5
	s_cbranch_scc1 .LBB85_141
; %bb.139:
	s_clause 0x1
	s_load_b96 s[0:2], s[20:21], 0x10
	s_load_b96 s[4:6], s[20:21], 0xd0
	s_wait_kmcnt 0x0
	v_mul_hi_u32 v12, s1, v13
	s_delay_alu instid0(VALU_DEP_1) | instskip(NEXT) | instid1(VALU_DEP_1)
	v_add_nc_u32_e32 v12, v13, v12
	v_lshrrev_b32_e32 v12, s2, v12
	s_delay_alu instid0(VALU_DEP_1) | instskip(NEXT) | instid1(VALU_DEP_1)
	v_mul_lo_u32 v12, v12, s0
	v_sub_nc_u32_e32 v12, v13, v12
	s_delay_alu instid0(VALU_DEP_1)
	v_mad_u32 v9, v12, s4, v9
	v_mad_u32 v11, v12, s5, v11
	v_mad_u32 v10, v12, s6, v10
	s_branch .LBB85_141
.LBB85_140:
	v_dual_mov_b32 v10, 0 :: v_dual_mov_b32 v11, 0
	v_mov_b32_e32 v9, 0
	s_and_not1_b32 vcc_lo, exec_lo, s2
	s_cbranch_vccz .LBB85_138
.LBB85_141:
	v_cmp_ne_u32_e32 vcc_lo, 1, v8
	v_add_nc_u32_e32 v15, 0x180, v0
	s_cbranch_vccnz .LBB85_147
; %bb.142:
	s_cmp_lg_u32 s26, 0
	s_mov_b32 s2, 0
	s_cbranch_scc0 .LBB85_151
; %bb.143:
	s_min_u32 s3, s27, 15
	v_dual_mov_b32 v12, 0 :: v_dual_mov_b32 v16, v15
	v_dual_mov_b32 v14, 0 :: v_dual_mov_b32 v13, 0
	s_add_co_i32 s4, s3, 1
	s_mov_b64 s[0:1], 0xffffffffffffffe8
	s_and_b32 s4, s4, 30
	s_add_nc_u64 s[0:1], s[20:21], s[0:1]
.LBB85_144:                             ; =>This Inner Loop Header: Depth=1
	s_clause 0x1
	s_load_b128 s[8:11], s[0:1], 0x1c
	s_load_b64 s[6:7], s[0:1], 0x2c
	s_add_co_i32 s4, s4, -2
	s_delay_alu instid0(SALU_CYCLE_1) | instskip(SKIP_2) | instid1(VALU_DEP_1)
	s_cmp_lg_u32 s4, 0
	s_wait_kmcnt 0x0
	v_mul_hi_u32 v17, s9, v16
	v_add_nc_u32_e32 v17, v16, v17
	s_delay_alu instid0(VALU_DEP_1) | instskip(NEXT) | instid1(VALU_DEP_1)
	v_lshrrev_b32_e32 v17, s10, v17
	v_mul_hi_u32 v18, s6, v17
	v_mul_lo_u32 v19, v17, s8
	s_clause 0x1
	s_load_b128 s[12:15], s[0:1], 0xdc
	s_load_b64 s[8:9], s[0:1], 0xec
	s_wait_xcnt 0x0
	s_add_nc_u64 s[0:1], s[0:1], 24
	s_delay_alu instid0(VALU_DEP_1) | instskip(NEXT) | instid1(VALU_DEP_1)
	v_dual_add_nc_u32 v18, v17, v18 :: v_dual_sub_nc_u32 v19, v16, v19
	v_lshrrev_b32_e32 v16, s7, v18
	s_wait_kmcnt 0x0
	s_delay_alu instid0(VALU_DEP_2) | instskip(NEXT) | instid1(VALU_DEP_2)
	v_mad_u32 v12, v19, s12, v12
	v_mul_lo_u32 v18, v16, s11
	v_mad_u32 v13, v19, s14, v13
	v_mad_u32 v14, v19, s13, v14
	s_delay_alu instid0(VALU_DEP_3) | instskip(NEXT) | instid1(VALU_DEP_1)
	v_sub_nc_u32_e32 v17, v17, v18
	v_mad_u32 v12, v17, s15, v12
	s_delay_alu instid0(VALU_DEP_4) | instskip(NEXT) | instid1(VALU_DEP_4)
	v_mad_u32 v13, v17, s9, v13
	v_mad_u32 v14, v17, s8, v14
	s_cbranch_scc1 .LBB85_144
; %bb.145:
	s_bitcmp1_b32 s3, 0
	s_cselect_b32 s3, -1, 0
	s_delay_alu instid0(SALU_CYCLE_1)
	s_and_b32 vcc_lo, exec_lo, s3
	s_cbranch_vccnz .LBB85_148
; %bb.146:
	s_clause 0x1
	s_load_b96 s[4:6], s[0:1], 0x1c
	s_load_b96 s[8:10], s[0:1], 0xdc
	s_wait_kmcnt 0x0
	v_mul_hi_u32 v17, s5, v16
	s_delay_alu instid0(VALU_DEP_1) | instskip(NEXT) | instid1(VALU_DEP_1)
	v_add_nc_u32_e32 v17, v16, v17
	v_lshrrev_b32_e32 v17, s6, v17
	s_delay_alu instid0(VALU_DEP_1) | instskip(NEXT) | instid1(VALU_DEP_1)
	v_mul_lo_u32 v17, v17, s4
	v_sub_nc_u32_e32 v16, v16, v17
	s_delay_alu instid0(VALU_DEP_1)
	v_mad_u32 v12, v16, s8, v12
	v_mad_u32 v14, v16, s9, v14
	;; [unrolled: 1-line block ×3, first 2 shown]
	s_and_not1_b32 vcc_lo, exec_lo, s2
	s_cbranch_vccz .LBB85_149
	s_branch .LBB85_152
.LBB85_147:
	s_mov_b32 s2, -1
                                        ; implicit-def: $vgpr13
                                        ; implicit-def: $vgpr14
                                        ; implicit-def: $vgpr12
.LBB85_148:
	s_delay_alu instid0(SALU_CYCLE_1)
	s_and_not1_b32 vcc_lo, exec_lo, s2
	s_cbranch_vccnz .LBB85_152
.LBB85_149:
	s_clause 0x1
	s_load_b96 s[0:2], s[20:21], 0x4
	s_load_b96 s[4:6], s[20:21], 0xc4
	s_cmp_lt_u32 s26, 2
	s_wait_kmcnt 0x0
	v_mul_hi_u32 v12, s1, v15
	s_delay_alu instid0(VALU_DEP_1) | instskip(NEXT) | instid1(VALU_DEP_1)
	v_add_nc_u32_e32 v12, v15, v12
	v_lshrrev_b32_e32 v16, s2, v12
	s_delay_alu instid0(VALU_DEP_1) | instskip(NEXT) | instid1(VALU_DEP_1)
	v_mul_lo_u32 v12, v16, s0
	v_sub_nc_u32_e32 v14, v15, v12
	s_delay_alu instid0(VALU_DEP_1)
	v_mul_lo_u32 v12, v14, s4
	v_mul_lo_u32 v13, v14, s6
	v_mul_lo_u32 v14, v14, s5
	s_cbranch_scc1 .LBB85_152
; %bb.150:
	s_clause 0x1
	s_load_b96 s[0:2], s[20:21], 0x10
	s_load_b96 s[4:6], s[20:21], 0xd0
	s_wait_kmcnt 0x0
	v_mul_hi_u32 v15, s1, v16
	s_delay_alu instid0(VALU_DEP_1) | instskip(NEXT) | instid1(VALU_DEP_1)
	v_add_nc_u32_e32 v15, v16, v15
	v_lshrrev_b32_e32 v15, s2, v15
	s_delay_alu instid0(VALU_DEP_1) | instskip(NEXT) | instid1(VALU_DEP_1)
	v_mul_lo_u32 v15, v15, s0
	v_sub_nc_u32_e32 v15, v16, v15
	s_delay_alu instid0(VALU_DEP_1)
	v_mad_u32 v12, v15, s4, v12
	v_mad_u32 v14, v15, s5, v14
	v_mad_u32 v13, v15, s6, v13
	s_branch .LBB85_152
.LBB85_151:
	v_dual_mov_b32 v13, 0 :: v_dual_mov_b32 v14, 0
	v_mov_b32_e32 v12, 0
	s_and_not1_b32 vcc_lo, exec_lo, s2
	s_cbranch_vccz .LBB85_149
.LBB85_152:
	v_cmp_ne_u32_e32 vcc_lo, 1, v8
	v_add_nc_u32_e32 v18, 0x200, v0
	s_cbranch_vccnz .LBB85_158
; %bb.153:
	s_cmp_lg_u32 s26, 0
	s_mov_b32 s2, 0
	s_cbranch_scc0 .LBB85_162
; %bb.154:
	s_min_u32 s3, s27, 15
	v_dual_mov_b32 v15, 0 :: v_dual_mov_b32 v19, v18
	v_dual_mov_b32 v16, 0 :: v_dual_mov_b32 v17, 0
	s_add_co_i32 s4, s3, 1
	s_mov_b64 s[0:1], 0xffffffffffffffe8
	s_and_b32 s4, s4, 30
	s_add_nc_u64 s[0:1], s[20:21], s[0:1]
.LBB85_155:                             ; =>This Inner Loop Header: Depth=1
	s_clause 0x1
	s_load_b128 s[8:11], s[0:1], 0x1c
	s_load_b64 s[6:7], s[0:1], 0x2c
	s_add_co_i32 s4, s4, -2
	s_delay_alu instid0(SALU_CYCLE_1) | instskip(SKIP_2) | instid1(VALU_DEP_1)
	s_cmp_lg_u32 s4, 0
	s_wait_kmcnt 0x0
	v_mul_hi_u32 v20, s9, v19
	v_add_nc_u32_e32 v20, v19, v20
	s_delay_alu instid0(VALU_DEP_1) | instskip(NEXT) | instid1(VALU_DEP_1)
	v_lshrrev_b32_e32 v20, s10, v20
	v_mul_hi_u32 v21, s6, v20
	v_mul_lo_u32 v22, v20, s8
	s_clause 0x1
	s_load_b128 s[12:15], s[0:1], 0xdc
	s_load_b64 s[8:9], s[0:1], 0xec
	s_wait_xcnt 0x0
	s_add_nc_u64 s[0:1], s[0:1], 24
	s_delay_alu instid0(VALU_DEP_1) | instskip(NEXT) | instid1(VALU_DEP_1)
	v_dual_add_nc_u32 v21, v20, v21 :: v_dual_sub_nc_u32 v22, v19, v22
	v_lshrrev_b32_e32 v19, s7, v21
	s_wait_kmcnt 0x0
	s_delay_alu instid0(VALU_DEP_2) | instskip(NEXT) | instid1(VALU_DEP_2)
	v_mad_u32 v15, v22, s12, v15
	v_mul_lo_u32 v21, v19, s11
	v_mad_u32 v17, v22, s14, v17
	v_mad_u32 v16, v22, s13, v16
	s_delay_alu instid0(VALU_DEP_3) | instskip(NEXT) | instid1(VALU_DEP_1)
	v_sub_nc_u32_e32 v20, v20, v21
	v_mad_u32 v15, v20, s15, v15
	s_delay_alu instid0(VALU_DEP_4) | instskip(NEXT) | instid1(VALU_DEP_4)
	v_mad_u32 v17, v20, s9, v17
	v_mad_u32 v16, v20, s8, v16
	s_cbranch_scc1 .LBB85_155
; %bb.156:
	s_bitcmp1_b32 s3, 0
	s_cselect_b32 s3, -1, 0
	s_delay_alu instid0(SALU_CYCLE_1)
	s_and_b32 vcc_lo, exec_lo, s3
	s_cbranch_vccnz .LBB85_159
; %bb.157:
	s_clause 0x1
	s_load_b96 s[4:6], s[0:1], 0x1c
	s_load_b96 s[8:10], s[0:1], 0xdc
	s_wait_kmcnt 0x0
	v_mul_hi_u32 v20, s5, v19
	s_delay_alu instid0(VALU_DEP_1) | instskip(NEXT) | instid1(VALU_DEP_1)
	v_add_nc_u32_e32 v20, v19, v20
	v_lshrrev_b32_e32 v20, s6, v20
	s_delay_alu instid0(VALU_DEP_1) | instskip(NEXT) | instid1(VALU_DEP_1)
	v_mul_lo_u32 v20, v20, s4
	v_sub_nc_u32_e32 v19, v19, v20
	s_delay_alu instid0(VALU_DEP_1)
	v_mad_u32 v15, v19, s8, v15
	v_mad_u32 v16, v19, s9, v16
	v_mad_u32 v17, v19, s10, v17
	s_and_not1_b32 vcc_lo, exec_lo, s2
	s_cbranch_vccz .LBB85_160
	s_branch .LBB85_163
.LBB85_158:
	s_mov_b32 s2, -1
                                        ; implicit-def: $vgpr17
                                        ; implicit-def: $vgpr16
                                        ; implicit-def: $vgpr15
.LBB85_159:
	s_delay_alu instid0(SALU_CYCLE_1)
	s_and_not1_b32 vcc_lo, exec_lo, s2
	s_cbranch_vccnz .LBB85_163
.LBB85_160:
	s_clause 0x1
	s_load_b96 s[0:2], s[20:21], 0x4
	s_load_b96 s[4:6], s[20:21], 0xc4
	s_cmp_lt_u32 s26, 2
	s_wait_kmcnt 0x0
	v_mul_hi_u32 v15, s1, v18
	s_delay_alu instid0(VALU_DEP_1) | instskip(NEXT) | instid1(VALU_DEP_1)
	v_add_nc_u32_e32 v15, v18, v15
	v_lshrrev_b32_e32 v19, s2, v15
	s_delay_alu instid0(VALU_DEP_1) | instskip(NEXT) | instid1(VALU_DEP_1)
	v_mul_lo_u32 v15, v19, s0
	v_sub_nc_u32_e32 v16, v18, v15
	s_delay_alu instid0(VALU_DEP_1)
	v_mul_lo_u32 v15, v16, s4
	v_mul_lo_u32 v17, v16, s6
	;; [unrolled: 1-line block ×3, first 2 shown]
	s_cbranch_scc1 .LBB85_163
; %bb.161:
	s_clause 0x1
	s_load_b96 s[0:2], s[20:21], 0x10
	s_load_b96 s[4:6], s[20:21], 0xd0
	s_wait_kmcnt 0x0
	v_mul_hi_u32 v18, s1, v19
	s_delay_alu instid0(VALU_DEP_1) | instskip(NEXT) | instid1(VALU_DEP_1)
	v_add_nc_u32_e32 v18, v19, v18
	v_lshrrev_b32_e32 v18, s2, v18
	s_delay_alu instid0(VALU_DEP_1) | instskip(NEXT) | instid1(VALU_DEP_1)
	v_mul_lo_u32 v18, v18, s0
	v_sub_nc_u32_e32 v18, v19, v18
	s_delay_alu instid0(VALU_DEP_1)
	v_mad_u32 v15, v18, s4, v15
	v_mad_u32 v16, v18, s5, v16
	;; [unrolled: 1-line block ×3, first 2 shown]
	s_branch .LBB85_163
.LBB85_162:
	v_dual_mov_b32 v17, 0 :: v_dual_mov_b32 v16, 0
	v_mov_b32_e32 v15, 0
	s_and_not1_b32 vcc_lo, exec_lo, s2
	s_cbranch_vccz .LBB85_160
.LBB85_163:
	v_cmp_ne_u32_e32 vcc_lo, 1, v8
	v_add_nc_u32_e32 v21, 0x280, v0
	s_cbranch_vccnz .LBB85_169
; %bb.164:
	s_cmp_lg_u32 s26, 0
	s_mov_b32 s2, 0
	s_cbranch_scc0 .LBB85_173
; %bb.165:
	s_min_u32 s3, s27, 15
	v_dual_mov_b32 v18, 0 :: v_dual_mov_b32 v22, v21
	v_dual_mov_b32 v20, 0 :: v_dual_mov_b32 v19, 0
	s_add_co_i32 s4, s3, 1
	s_mov_b64 s[0:1], 0xffffffffffffffe8
	s_and_b32 s4, s4, 30
	s_add_nc_u64 s[0:1], s[20:21], s[0:1]
.LBB85_166:                             ; =>This Inner Loop Header: Depth=1
	s_clause 0x1
	s_load_b128 s[8:11], s[0:1], 0x1c
	s_load_b64 s[6:7], s[0:1], 0x2c
	s_add_co_i32 s4, s4, -2
	s_delay_alu instid0(SALU_CYCLE_1) | instskip(SKIP_2) | instid1(VALU_DEP_1)
	s_cmp_lg_u32 s4, 0
	s_wait_kmcnt 0x0
	v_mul_hi_u32 v23, s9, v22
	v_add_nc_u32_e32 v23, v22, v23
	s_delay_alu instid0(VALU_DEP_1) | instskip(NEXT) | instid1(VALU_DEP_1)
	v_lshrrev_b32_e32 v23, s10, v23
	v_mul_hi_u32 v24, s6, v23
	v_mul_lo_u32 v25, v23, s8
	s_clause 0x1
	s_load_b128 s[12:15], s[0:1], 0xdc
	s_load_b64 s[8:9], s[0:1], 0xec
	s_wait_xcnt 0x0
	s_add_nc_u64 s[0:1], s[0:1], 24
	s_delay_alu instid0(VALU_DEP_1) | instskip(NEXT) | instid1(VALU_DEP_1)
	v_dual_add_nc_u32 v24, v23, v24 :: v_dual_sub_nc_u32 v25, v22, v25
	v_lshrrev_b32_e32 v22, s7, v24
	s_wait_kmcnt 0x0
	s_delay_alu instid0(VALU_DEP_2) | instskip(NEXT) | instid1(VALU_DEP_2)
	v_mad_u32 v18, v25, s12, v18
	v_mul_lo_u32 v24, v22, s11
	v_mad_u32 v19, v25, s14, v19
	v_mad_u32 v20, v25, s13, v20
	s_delay_alu instid0(VALU_DEP_3) | instskip(NEXT) | instid1(VALU_DEP_1)
	v_sub_nc_u32_e32 v23, v23, v24
	v_mad_u32 v18, v23, s15, v18
	s_delay_alu instid0(VALU_DEP_4) | instskip(NEXT) | instid1(VALU_DEP_4)
	v_mad_u32 v19, v23, s9, v19
	v_mad_u32 v20, v23, s8, v20
	s_cbranch_scc1 .LBB85_166
; %bb.167:
	s_bitcmp1_b32 s3, 0
	s_cselect_b32 s3, -1, 0
	s_delay_alu instid0(SALU_CYCLE_1)
	s_and_b32 vcc_lo, exec_lo, s3
	s_cbranch_vccnz .LBB85_170
; %bb.168:
	s_clause 0x1
	s_load_b96 s[4:6], s[0:1], 0x1c
	s_load_b96 s[8:10], s[0:1], 0xdc
	s_wait_kmcnt 0x0
	v_mul_hi_u32 v23, s5, v22
	s_delay_alu instid0(VALU_DEP_1) | instskip(NEXT) | instid1(VALU_DEP_1)
	v_add_nc_u32_e32 v23, v22, v23
	v_lshrrev_b32_e32 v23, s6, v23
	s_delay_alu instid0(VALU_DEP_1) | instskip(NEXT) | instid1(VALU_DEP_1)
	v_mul_lo_u32 v23, v23, s4
	v_sub_nc_u32_e32 v22, v22, v23
	s_delay_alu instid0(VALU_DEP_1)
	v_mad_u32 v18, v22, s8, v18
	v_mad_u32 v20, v22, s9, v20
	v_mad_u32 v19, v22, s10, v19
	s_and_not1_b32 vcc_lo, exec_lo, s2
	s_cbranch_vccz .LBB85_171
	s_branch .LBB85_174
.LBB85_169:
	s_mov_b32 s2, -1
                                        ; implicit-def: $vgpr19
                                        ; implicit-def: $vgpr20
                                        ; implicit-def: $vgpr18
.LBB85_170:
	s_delay_alu instid0(SALU_CYCLE_1)
	s_and_not1_b32 vcc_lo, exec_lo, s2
	s_cbranch_vccnz .LBB85_174
.LBB85_171:
	s_clause 0x1
	s_load_b96 s[0:2], s[20:21], 0x4
	s_load_b96 s[4:6], s[20:21], 0xc4
	s_cmp_lt_u32 s26, 2
	s_wait_kmcnt 0x0
	v_mul_hi_u32 v18, s1, v21
	s_delay_alu instid0(VALU_DEP_1) | instskip(NEXT) | instid1(VALU_DEP_1)
	v_add_nc_u32_e32 v18, v21, v18
	v_lshrrev_b32_e32 v22, s2, v18
	s_delay_alu instid0(VALU_DEP_1) | instskip(NEXT) | instid1(VALU_DEP_1)
	v_mul_lo_u32 v18, v22, s0
	v_sub_nc_u32_e32 v20, v21, v18
	s_delay_alu instid0(VALU_DEP_1)
	v_mul_lo_u32 v18, v20, s4
	v_mul_lo_u32 v19, v20, s6
	v_mul_lo_u32 v20, v20, s5
	s_cbranch_scc1 .LBB85_174
; %bb.172:
	s_clause 0x1
	s_load_b96 s[0:2], s[20:21], 0x10
	s_load_b96 s[4:6], s[20:21], 0xd0
	s_wait_kmcnt 0x0
	v_mul_hi_u32 v21, s1, v22
	s_delay_alu instid0(VALU_DEP_1) | instskip(NEXT) | instid1(VALU_DEP_1)
	v_add_nc_u32_e32 v21, v22, v21
	v_lshrrev_b32_e32 v21, s2, v21
	s_delay_alu instid0(VALU_DEP_1) | instskip(NEXT) | instid1(VALU_DEP_1)
	v_mul_lo_u32 v21, v21, s0
	v_sub_nc_u32_e32 v21, v22, v21
	s_delay_alu instid0(VALU_DEP_1)
	v_mad_u32 v18, v21, s4, v18
	v_mad_u32 v20, v21, s5, v20
	;; [unrolled: 1-line block ×3, first 2 shown]
	s_branch .LBB85_174
.LBB85_173:
	v_dual_mov_b32 v19, 0 :: v_dual_mov_b32 v20, 0
	v_mov_b32_e32 v18, 0
	s_and_not1_b32 vcc_lo, exec_lo, s2
	s_cbranch_vccz .LBB85_171
.LBB85_174:
	v_cmp_ne_u32_e32 vcc_lo, 1, v8
	v_add_nc_u32_e32 v23, 0x300, v0
	s_cbranch_vccnz .LBB85_180
; %bb.175:
	s_cmp_lg_u32 s26, 0
	s_mov_b32 s2, 0
	s_cbranch_scc0 .LBB85_184
; %bb.176:
	s_min_u32 s3, s27, 15
	v_dual_mov_b32 v0, 0 :: v_dual_mov_b32 v24, v23
	v_dual_mov_b32 v22, 0 :: v_dual_mov_b32 v21, 0
	s_add_co_i32 s4, s3, 1
	s_mov_b64 s[0:1], 0xffffffffffffffe8
	s_and_b32 s4, s4, 30
	s_add_nc_u64 s[0:1], s[20:21], s[0:1]
.LBB85_177:                             ; =>This Inner Loop Header: Depth=1
	s_clause 0x1
	s_load_b128 s[8:11], s[0:1], 0x1c
	s_load_b64 s[6:7], s[0:1], 0x2c
	s_add_co_i32 s4, s4, -2
	s_delay_alu instid0(SALU_CYCLE_1) | instskip(SKIP_2) | instid1(VALU_DEP_1)
	s_cmp_lg_u32 s4, 0
	s_wait_kmcnt 0x0
	v_mul_hi_u32 v25, s9, v24
	v_add_nc_u32_e32 v25, v24, v25
	s_delay_alu instid0(VALU_DEP_1) | instskip(NEXT) | instid1(VALU_DEP_1)
	v_lshrrev_b32_e32 v25, s10, v25
	v_mul_hi_u32 v26, s6, v25
	v_mul_lo_u32 v27, v25, s8
	s_clause 0x1
	s_load_b128 s[12:15], s[0:1], 0xdc
	s_load_b64 s[8:9], s[0:1], 0xec
	s_wait_xcnt 0x0
	s_add_nc_u64 s[0:1], s[0:1], 24
	s_delay_alu instid0(VALU_DEP_1) | instskip(NEXT) | instid1(VALU_DEP_1)
	v_dual_add_nc_u32 v26, v25, v26 :: v_dual_sub_nc_u32 v27, v24, v27
	v_lshrrev_b32_e32 v24, s7, v26
	s_wait_kmcnt 0x0
	s_delay_alu instid0(VALU_DEP_2) | instskip(NEXT) | instid1(VALU_DEP_2)
	v_mad_u32 v0, v27, s12, v0
	v_mul_lo_u32 v26, v24, s11
	v_mad_u32 v21, v27, s14, v21
	v_mad_u32 v22, v27, s13, v22
	s_delay_alu instid0(VALU_DEP_3) | instskip(NEXT) | instid1(VALU_DEP_1)
	v_sub_nc_u32_e32 v25, v25, v26
	v_mad_u32 v0, v25, s15, v0
	s_delay_alu instid0(VALU_DEP_4) | instskip(NEXT) | instid1(VALU_DEP_4)
	v_mad_u32 v21, v25, s9, v21
	v_mad_u32 v22, v25, s8, v22
	s_cbranch_scc1 .LBB85_177
; %bb.178:
	s_bitcmp1_b32 s3, 0
	s_cselect_b32 s3, -1, 0
	s_delay_alu instid0(SALU_CYCLE_1)
	s_and_b32 vcc_lo, exec_lo, s3
	s_cbranch_vccnz .LBB85_181
; %bb.179:
	s_clause 0x1
	s_load_b96 s[4:6], s[0:1], 0x1c
	s_load_b96 s[8:10], s[0:1], 0xdc
	s_wait_kmcnt 0x0
	v_mul_hi_u32 v25, s5, v24
	s_delay_alu instid0(VALU_DEP_1) | instskip(NEXT) | instid1(VALU_DEP_1)
	v_add_nc_u32_e32 v25, v24, v25
	v_lshrrev_b32_e32 v25, s6, v25
	s_delay_alu instid0(VALU_DEP_1) | instskip(NEXT) | instid1(VALU_DEP_1)
	v_mul_lo_u32 v25, v25, s4
	v_sub_nc_u32_e32 v24, v24, v25
	s_delay_alu instid0(VALU_DEP_1)
	v_mad_u32 v0, v24, s8, v0
	v_mad_u32 v22, v24, s9, v22
	;; [unrolled: 1-line block ×3, first 2 shown]
	s_and_not1_b32 vcc_lo, exec_lo, s2
	s_cbranch_vccz .LBB85_182
	s_branch .LBB85_185
.LBB85_180:
	s_mov_b32 s2, -1
                                        ; implicit-def: $vgpr21
                                        ; implicit-def: $vgpr22
                                        ; implicit-def: $vgpr0
.LBB85_181:
	s_delay_alu instid0(SALU_CYCLE_1)
	s_and_not1_b32 vcc_lo, exec_lo, s2
	s_cbranch_vccnz .LBB85_185
.LBB85_182:
	s_clause 0x1
	s_load_b96 s[0:2], s[20:21], 0x4
	s_load_b96 s[4:6], s[20:21], 0xc4
	s_cmp_lt_u32 s26, 2
	s_wait_kmcnt 0x0
	v_mul_hi_u32 v0, s1, v23
	s_delay_alu instid0(VALU_DEP_1) | instskip(NEXT) | instid1(VALU_DEP_1)
	v_add_nc_u32_e32 v0, v23, v0
	v_lshrrev_b32_e32 v24, s2, v0
	s_delay_alu instid0(VALU_DEP_1) | instskip(NEXT) | instid1(VALU_DEP_1)
	v_mul_lo_u32 v0, v24, s0
	v_sub_nc_u32_e32 v22, v23, v0
	s_delay_alu instid0(VALU_DEP_1)
	v_mul_lo_u32 v0, v22, s4
	v_mul_lo_u32 v21, v22, s6
	;; [unrolled: 1-line block ×3, first 2 shown]
	s_cbranch_scc1 .LBB85_185
; %bb.183:
	s_clause 0x1
	s_load_b96 s[0:2], s[20:21], 0x10
	s_load_b96 s[4:6], s[20:21], 0xd0
	s_wait_kmcnt 0x0
	v_mul_hi_u32 v23, s1, v24
	s_delay_alu instid0(VALU_DEP_1) | instskip(NEXT) | instid1(VALU_DEP_1)
	v_add_nc_u32_e32 v23, v24, v23
	v_lshrrev_b32_e32 v23, s2, v23
	s_delay_alu instid0(VALU_DEP_1) | instskip(NEXT) | instid1(VALU_DEP_1)
	v_mul_lo_u32 v23, v23, s0
	v_sub_nc_u32_e32 v23, v24, v23
	s_delay_alu instid0(VALU_DEP_1)
	v_mad_u32 v0, v23, s4, v0
	v_mad_u32 v22, v23, s5, v22
	;; [unrolled: 1-line block ×3, first 2 shown]
	s_branch .LBB85_185
.LBB85_184:
	v_dual_mov_b32 v21, 0 :: v_dual_mov_b32 v22, 0
	v_mov_b32_e32 v0, 0
	s_and_not1_b32 vcc_lo, exec_lo, s2
	s_cbranch_vccz .LBB85_182
.LBB85_185:
	v_cmp_ne_u32_e32 vcc_lo, 1, v8
	s_cbranch_vccnz .LBB85_191
; %bb.186:
	s_cmp_lg_u32 s26, 0
	s_mov_b32 s2, 0
	s_cbranch_scc0 .LBB85_195
; %bb.187:
	s_min_u32 s3, s27, 15
	v_dual_mov_b32 v8, 0 :: v_dual_mov_b32 v25, v4
	v_dual_mov_b32 v24, 0 :: v_dual_mov_b32 v23, 0
	s_add_co_i32 s4, s3, 1
	s_mov_b64 s[0:1], 0xffffffffffffffe8
	s_and_b32 s4, s4, 30
	s_add_nc_u64 s[0:1], s[20:21], s[0:1]
.LBB85_188:                             ; =>This Inner Loop Header: Depth=1
	s_clause 0x1
	s_load_b128 s[8:11], s[0:1], 0x1c
	s_load_b64 s[6:7], s[0:1], 0x2c
	s_add_co_i32 s4, s4, -2
	s_delay_alu instid0(SALU_CYCLE_1) | instskip(SKIP_2) | instid1(VALU_DEP_1)
	s_cmp_lg_u32 s4, 0
	s_wait_kmcnt 0x0
	v_mul_hi_u32 v26, s9, v25
	v_add_nc_u32_e32 v26, v25, v26
	s_delay_alu instid0(VALU_DEP_1) | instskip(NEXT) | instid1(VALU_DEP_1)
	v_lshrrev_b32_e32 v26, s10, v26
	v_mul_hi_u32 v27, s6, v26
	v_mul_lo_u32 v28, v26, s8
	s_clause 0x1
	s_load_b128 s[12:15], s[0:1], 0xdc
	s_load_b64 s[8:9], s[0:1], 0xec
	s_wait_xcnt 0x0
	s_add_nc_u64 s[0:1], s[0:1], 24
	s_delay_alu instid0(VALU_DEP_1) | instskip(NEXT) | instid1(VALU_DEP_1)
	v_dual_add_nc_u32 v27, v26, v27 :: v_dual_sub_nc_u32 v28, v25, v28
	v_lshrrev_b32_e32 v25, s7, v27
	s_wait_kmcnt 0x0
	s_delay_alu instid0(VALU_DEP_2) | instskip(NEXT) | instid1(VALU_DEP_2)
	v_mad_u32 v8, v28, s12, v8
	v_mul_lo_u32 v27, v25, s11
	v_mad_u32 v23, v28, s14, v23
	v_mad_u32 v24, v28, s13, v24
	s_delay_alu instid0(VALU_DEP_3) | instskip(NEXT) | instid1(VALU_DEP_1)
	v_sub_nc_u32_e32 v26, v26, v27
	v_mad_u32 v8, v26, s15, v8
	s_delay_alu instid0(VALU_DEP_4) | instskip(NEXT) | instid1(VALU_DEP_4)
	v_mad_u32 v23, v26, s9, v23
	v_mad_u32 v24, v26, s8, v24
	s_cbranch_scc1 .LBB85_188
; %bb.189:
	s_bitcmp1_b32 s3, 0
	s_cselect_b32 s3, -1, 0
	s_delay_alu instid0(SALU_CYCLE_1)
	s_and_b32 vcc_lo, exec_lo, s3
	s_cbranch_vccnz .LBB85_192
; %bb.190:
	s_clause 0x1
	s_load_b96 s[4:6], s[0:1], 0x1c
	s_load_b96 s[8:10], s[0:1], 0xdc
	s_wait_kmcnt 0x0
	v_mul_hi_u32 v26, s5, v25
	s_delay_alu instid0(VALU_DEP_1) | instskip(NEXT) | instid1(VALU_DEP_1)
	v_add_nc_u32_e32 v26, v25, v26
	v_lshrrev_b32_e32 v26, s6, v26
	s_delay_alu instid0(VALU_DEP_1) | instskip(NEXT) | instid1(VALU_DEP_1)
	v_mul_lo_u32 v26, v26, s4
	v_sub_nc_u32_e32 v25, v25, v26
	s_delay_alu instid0(VALU_DEP_1)
	v_mad_u32 v8, v25, s8, v8
	v_mad_u32 v24, v25, s9, v24
	v_mad_u32 v23, v25, s10, v23
	s_and_not1_b32 vcc_lo, exec_lo, s2
	s_cbranch_vccz .LBB85_193
	s_branch .LBB85_196
.LBB85_191:
	s_mov_b32 s2, -1
                                        ; implicit-def: $vgpr23
                                        ; implicit-def: $vgpr24
                                        ; implicit-def: $vgpr8
.LBB85_192:
	s_delay_alu instid0(SALU_CYCLE_1)
	s_and_not1_b32 vcc_lo, exec_lo, s2
	s_cbranch_vccnz .LBB85_196
.LBB85_193:
	s_clause 0x1
	s_load_b96 s[0:2], s[20:21], 0x4
	s_load_b96 s[4:6], s[20:21], 0xc4
	s_cmp_lt_u32 s26, 2
	s_wait_kmcnt 0x0
	v_mul_hi_u32 v8, s1, v4
	s_delay_alu instid0(VALU_DEP_1) | instskip(NEXT) | instid1(VALU_DEP_1)
	v_add_nc_u32_e32 v8, v4, v8
	v_lshrrev_b32_e32 v25, s2, v8
	s_delay_alu instid0(VALU_DEP_1) | instskip(NEXT) | instid1(VALU_DEP_1)
	v_mul_lo_u32 v8, v25, s0
	v_sub_nc_u32_e32 v4, v4, v8
	s_delay_alu instid0(VALU_DEP_1)
	v_mul_lo_u32 v8, v4, s4
	v_mul_lo_u32 v23, v4, s6
	;; [unrolled: 1-line block ×3, first 2 shown]
	s_cbranch_scc1 .LBB85_196
; %bb.194:
	s_clause 0x1
	s_load_b96 s[0:2], s[20:21], 0x10
	s_load_b96 s[4:6], s[20:21], 0xd0
	s_wait_kmcnt 0x0
	v_mul_hi_u32 v4, s1, v25
	s_delay_alu instid0(VALU_DEP_1) | instskip(NEXT) | instid1(VALU_DEP_1)
	v_add_nc_u32_e32 v4, v25, v4
	v_lshrrev_b32_e32 v4, s2, v4
	s_delay_alu instid0(VALU_DEP_1) | instskip(NEXT) | instid1(VALU_DEP_1)
	v_mul_lo_u32 v4, v4, s0
	v_sub_nc_u32_e32 v4, v25, v4
	s_delay_alu instid0(VALU_DEP_1)
	v_mad_u32 v8, v4, s4, v8
	v_mad_u32 v24, v4, s5, v24
	v_mad_u32 v23, v4, s6, v23
	s_branch .LBB85_196
.LBB85_195:
	v_dual_mov_b32 v23, 0 :: v_dual_mov_b32 v24, 0
	v_mov_b32_e32 v8, 0
	s_and_not1_b32 vcc_lo, exec_lo, s2
	s_cbranch_vccz .LBB85_193
.LBB85_196:
	s_clause 0x1
	s_load_b128 s[0:3], s[20:21], 0x188
	s_load_b96 s[4:6], s[20:21], 0x198
	s_wait_kmcnt 0x0
	global_load_b64 v[26:27], v2, s[2:3]
	global_load_b64 v[28:29], v3, s[4:5]
	;; [unrolled: 1-line block ×15, first 2 shown]
                                        ; kill: killed $vgpr20
                                        ; kill: killed $vgpr3
                                        ; kill: killed $vgpr17
                                        ; kill: killed $vgpr11
                                        ; kill: killed $vgpr22
                                        ; kill: killed $vgpr7
                                        ; kill: killed $vgpr19
                                        ; kill: killed $vgpr14
                                        ; kill: killed $sgpr2_sgpr3
                                        ; kill: killed $vgpr24
                                        ; kill: killed $vgpr10
                                        ; kill: killed $vgpr2
                                        ; kill: killed $vgpr21
                                        ; kill: killed $vgpr16
                                        ; kill: killed $vgpr13
                                        ; kill: killed $vgpr6
	global_load_b64 v[2:3], v23, s[4:5]
	s_cmp_eq_u32 s6, 0
	s_wait_loadcnt 0xe
	v_cmp_eq_f64_e32 vcc_lo, v[26:27], v[28:29]
	v_cndmask_b32_e64 v4, 0, 1, vcc_lo
	v_cmp_neq_f64_e32 vcc_lo, v[26:27], v[28:29]
	s_wait_xcnt 0xd
	v_cndmask_b32_e64 v6, 0, 1, vcc_lo
	s_wait_loadcnt 0xc
	v_cmp_eq_f64_e32 vcc_lo, v[30:31], v[32:33]
	s_wait_xcnt 0xc
	v_cndmask_b32_e64 v7, 0, 1, vcc_lo
	v_cmp_neq_f64_e32 vcc_lo, v[30:31], v[32:33]
	s_wait_xcnt 0xa
	v_cndmask_b32_e64 v10, 0, 1, vcc_lo
	s_wait_loadcnt 0xa
	v_cmp_eq_f64_e32 vcc_lo, v[34:35], v[36:37]
	v_cndmask_b32_e64 v11, 0, 1, vcc_lo
	v_cmp_neq_f64_e32 vcc_lo, v[34:35], v[36:37]
	s_wait_xcnt 0x8
	v_cndmask_b32_e64 v13, 0, 1, vcc_lo
	s_wait_loadcnt 0x8
	v_cmp_eq_f64_e32 vcc_lo, v[38:39], v[40:41]
	;; [unrolled: 6-line block ×3, first 2 shown]
	s_wait_xcnt 0x6
	v_cndmask_b32_e64 v17, 0, 1, vcc_lo
	v_cmp_neq_f64_e32 vcc_lo, v[42:43], v[44:45]
	s_wait_xcnt 0x4
	v_cndmask_b32_e64 v19, 0, 1, vcc_lo
	s_wait_loadcnt 0x4
	v_cmp_eq_f64_e32 vcc_lo, v[46:47], v[48:49]
	v_cndmask_b32_e64 v20, 0, 1, vcc_lo
	v_cmp_neq_f64_e32 vcc_lo, v[46:47], v[48:49]
	s_wait_xcnt 0x2
	v_cndmask_b32_e64 v21, 0, 1, vcc_lo
	s_wait_loadcnt 0x2
	v_cmp_eq_f64_e32 vcc_lo, v[50:51], v[52:53]
	v_cndmask_b32_e64 v22, 0, 1, vcc_lo
	v_cmp_neq_f64_e32 vcc_lo, v[50:51], v[52:53]
	s_wait_xcnt 0x0
	v_cndmask_b32_e64 v23, 0, 1, vcc_lo
	s_wait_loadcnt 0x0
	v_cmp_eq_f64_e32 vcc_lo, v[54:55], v[2:3]
	v_cndmask_b32_e64 v24, 0, 1, vcc_lo
	v_cmp_neq_f64_e32 vcc_lo, v[54:55], v[2:3]
	v_cndmask_b32_e64 v2, 0, 1, vcc_lo
	s_cselect_b32 vcc_lo, -1, 0
	v_dual_cndmask_b32 v3, v6, v4 :: v_dual_cndmask_b32 v6, v13, v11
	v_dual_cndmask_b32 v4, v10, v7 :: v_dual_cndmask_b32 v7, v16, v14
	;; [unrolled: 1-line block ×4, first 2 shown]
	s_delay_alu instid0(VALU_DEP_4) | instskip(NEXT) | instid1(VALU_DEP_4)
	v_and_b32_e32 v3, 1, v3
	v_and_b32_e32 v4, 1, v4
	;; [unrolled: 1-line block ×8, first 2 shown]
	s_clause 0x7
	global_store_b8 v1, v3, s[0:1]
	global_store_b8 v5, v4, s[0:1]
	;; [unrolled: 1-line block ×8, first 2 shown]
	s_endpgm
	.section	.rodata,"a",@progbits
	.p2align	6, 0x0
	.amdhsa_kernel _ZN2at6native32elementwise_kernel_manual_unrollILi128ELi8EZNS0_22gpu_kernel_impl_nocastINS0_13BinaryFunctorIddbNS0_12_GLOBAL__N_116CompareEqFunctorIdEEEEEEvRNS_18TensorIteratorBaseERKT_EUlibE_EEviT1_
		.amdhsa_group_segment_fixed_size 0
		.amdhsa_private_segment_fixed_size 0
		.amdhsa_kernarg_size 432
		.amdhsa_user_sgpr_count 2
		.amdhsa_user_sgpr_dispatch_ptr 0
		.amdhsa_user_sgpr_queue_ptr 0
		.amdhsa_user_sgpr_kernarg_segment_ptr 1
		.amdhsa_user_sgpr_dispatch_id 0
		.amdhsa_user_sgpr_kernarg_preload_length 0
		.amdhsa_user_sgpr_kernarg_preload_offset 0
		.amdhsa_user_sgpr_private_segment_size 0
		.amdhsa_wavefront_size32 1
		.amdhsa_uses_dynamic_stack 0
		.amdhsa_enable_private_segment 0
		.amdhsa_system_sgpr_workgroup_id_x 1
		.amdhsa_system_sgpr_workgroup_id_y 0
		.amdhsa_system_sgpr_workgroup_id_z 0
		.amdhsa_system_sgpr_workgroup_info 0
		.amdhsa_system_vgpr_workitem_id 0
		.amdhsa_next_free_vgpr 56
		.amdhsa_next_free_sgpr 46
		.amdhsa_named_barrier_count 0
		.amdhsa_reserve_vcc 1
		.amdhsa_float_round_mode_32 0
		.amdhsa_float_round_mode_16_64 0
		.amdhsa_float_denorm_mode_32 3
		.amdhsa_float_denorm_mode_16_64 3
		.amdhsa_fp16_overflow 0
		.amdhsa_memory_ordered 1
		.amdhsa_forward_progress 1
		.amdhsa_inst_pref_size 87
		.amdhsa_round_robin_scheduling 0
		.amdhsa_exception_fp_ieee_invalid_op 0
		.amdhsa_exception_fp_denorm_src 0
		.amdhsa_exception_fp_ieee_div_zero 0
		.amdhsa_exception_fp_ieee_overflow 0
		.amdhsa_exception_fp_ieee_underflow 0
		.amdhsa_exception_fp_ieee_inexact 0
		.amdhsa_exception_int_div_zero 0
	.end_amdhsa_kernel
	.section	.text._ZN2at6native32elementwise_kernel_manual_unrollILi128ELi8EZNS0_22gpu_kernel_impl_nocastINS0_13BinaryFunctorIddbNS0_12_GLOBAL__N_116CompareEqFunctorIdEEEEEEvRNS_18TensorIteratorBaseERKT_EUlibE_EEviT1_,"axG",@progbits,_ZN2at6native32elementwise_kernel_manual_unrollILi128ELi8EZNS0_22gpu_kernel_impl_nocastINS0_13BinaryFunctorIddbNS0_12_GLOBAL__N_116CompareEqFunctorIdEEEEEEvRNS_18TensorIteratorBaseERKT_EUlibE_EEviT1_,comdat
.Lfunc_end85:
	.size	_ZN2at6native32elementwise_kernel_manual_unrollILi128ELi8EZNS0_22gpu_kernel_impl_nocastINS0_13BinaryFunctorIddbNS0_12_GLOBAL__N_116CompareEqFunctorIdEEEEEEvRNS_18TensorIteratorBaseERKT_EUlibE_EEviT1_, .Lfunc_end85-_ZN2at6native32elementwise_kernel_manual_unrollILi128ELi8EZNS0_22gpu_kernel_impl_nocastINS0_13BinaryFunctorIddbNS0_12_GLOBAL__N_116CompareEqFunctorIdEEEEEEvRNS_18TensorIteratorBaseERKT_EUlibE_EEviT1_
                                        ; -- End function
	.set _ZN2at6native32elementwise_kernel_manual_unrollILi128ELi8EZNS0_22gpu_kernel_impl_nocastINS0_13BinaryFunctorIddbNS0_12_GLOBAL__N_116CompareEqFunctorIdEEEEEEvRNS_18TensorIteratorBaseERKT_EUlibE_EEviT1_.num_vgpr, 56
	.set _ZN2at6native32elementwise_kernel_manual_unrollILi128ELi8EZNS0_22gpu_kernel_impl_nocastINS0_13BinaryFunctorIddbNS0_12_GLOBAL__N_116CompareEqFunctorIdEEEEEEvRNS_18TensorIteratorBaseERKT_EUlibE_EEviT1_.num_agpr, 0
	.set _ZN2at6native32elementwise_kernel_manual_unrollILi128ELi8EZNS0_22gpu_kernel_impl_nocastINS0_13BinaryFunctorIddbNS0_12_GLOBAL__N_116CompareEqFunctorIdEEEEEEvRNS_18TensorIteratorBaseERKT_EUlibE_EEviT1_.numbered_sgpr, 46
	.set _ZN2at6native32elementwise_kernel_manual_unrollILi128ELi8EZNS0_22gpu_kernel_impl_nocastINS0_13BinaryFunctorIddbNS0_12_GLOBAL__N_116CompareEqFunctorIdEEEEEEvRNS_18TensorIteratorBaseERKT_EUlibE_EEviT1_.num_named_barrier, 0
	.set _ZN2at6native32elementwise_kernel_manual_unrollILi128ELi8EZNS0_22gpu_kernel_impl_nocastINS0_13BinaryFunctorIddbNS0_12_GLOBAL__N_116CompareEqFunctorIdEEEEEEvRNS_18TensorIteratorBaseERKT_EUlibE_EEviT1_.private_seg_size, 0
	.set _ZN2at6native32elementwise_kernel_manual_unrollILi128ELi8EZNS0_22gpu_kernel_impl_nocastINS0_13BinaryFunctorIddbNS0_12_GLOBAL__N_116CompareEqFunctorIdEEEEEEvRNS_18TensorIteratorBaseERKT_EUlibE_EEviT1_.uses_vcc, 1
	.set _ZN2at6native32elementwise_kernel_manual_unrollILi128ELi8EZNS0_22gpu_kernel_impl_nocastINS0_13BinaryFunctorIddbNS0_12_GLOBAL__N_116CompareEqFunctorIdEEEEEEvRNS_18TensorIteratorBaseERKT_EUlibE_EEviT1_.uses_flat_scratch, 0
	.set _ZN2at6native32elementwise_kernel_manual_unrollILi128ELi8EZNS0_22gpu_kernel_impl_nocastINS0_13BinaryFunctorIddbNS0_12_GLOBAL__N_116CompareEqFunctorIdEEEEEEvRNS_18TensorIteratorBaseERKT_EUlibE_EEviT1_.has_dyn_sized_stack, 0
	.set _ZN2at6native32elementwise_kernel_manual_unrollILi128ELi8EZNS0_22gpu_kernel_impl_nocastINS0_13BinaryFunctorIddbNS0_12_GLOBAL__N_116CompareEqFunctorIdEEEEEEvRNS_18TensorIteratorBaseERKT_EUlibE_EEviT1_.has_recursion, 0
	.set _ZN2at6native32elementwise_kernel_manual_unrollILi128ELi8EZNS0_22gpu_kernel_impl_nocastINS0_13BinaryFunctorIddbNS0_12_GLOBAL__N_116CompareEqFunctorIdEEEEEEvRNS_18TensorIteratorBaseERKT_EUlibE_EEviT1_.has_indirect_call, 0
	.section	.AMDGPU.csdata,"",@progbits
; Kernel info:
; codeLenInByte = 11060
; TotalNumSgprs: 48
; NumVgprs: 56
; ScratchSize: 0
; MemoryBound: 0
; FloatMode: 240
; IeeeMode: 1
; LDSByteSize: 0 bytes/workgroup (compile time only)
; SGPRBlocks: 0
; VGPRBlocks: 3
; NumSGPRsForWavesPerEU: 48
; NumVGPRsForWavesPerEU: 56
; NamedBarCnt: 0
; Occupancy: 16
; WaveLimiterHint : 1
; COMPUTE_PGM_RSRC2:SCRATCH_EN: 0
; COMPUTE_PGM_RSRC2:USER_SGPR: 2
; COMPUTE_PGM_RSRC2:TRAP_HANDLER: 0
; COMPUTE_PGM_RSRC2:TGID_X_EN: 1
; COMPUTE_PGM_RSRC2:TGID_Y_EN: 0
; COMPUTE_PGM_RSRC2:TGID_Z_EN: 0
; COMPUTE_PGM_RSRC2:TIDIG_COMP_CNT: 0
	.section	.text._ZN2at6native32elementwise_kernel_manual_unrollILi128ELi4EZNS0_15gpu_kernel_implINS0_13BinaryFunctorIddbNS0_12_GLOBAL__N_116CompareEqFunctorIdEEEEEEvRNS_18TensorIteratorBaseERKT_EUlibE_EEviT1_,"axG",@progbits,_ZN2at6native32elementwise_kernel_manual_unrollILi128ELi4EZNS0_15gpu_kernel_implINS0_13BinaryFunctorIddbNS0_12_GLOBAL__N_116CompareEqFunctorIdEEEEEEvRNS_18TensorIteratorBaseERKT_EUlibE_EEviT1_,comdat
	.globl	_ZN2at6native32elementwise_kernel_manual_unrollILi128ELi4EZNS0_15gpu_kernel_implINS0_13BinaryFunctorIddbNS0_12_GLOBAL__N_116CompareEqFunctorIdEEEEEEvRNS_18TensorIteratorBaseERKT_EUlibE_EEviT1_ ; -- Begin function _ZN2at6native32elementwise_kernel_manual_unrollILi128ELi4EZNS0_15gpu_kernel_implINS0_13BinaryFunctorIddbNS0_12_GLOBAL__N_116CompareEqFunctorIdEEEEEEvRNS_18TensorIteratorBaseERKT_EUlibE_EEviT1_
	.p2align	8
	.type	_ZN2at6native32elementwise_kernel_manual_unrollILi128ELi4EZNS0_15gpu_kernel_implINS0_13BinaryFunctorIddbNS0_12_GLOBAL__N_116CompareEqFunctorIdEEEEEEvRNS_18TensorIteratorBaseERKT_EUlibE_EEviT1_,@function
_ZN2at6native32elementwise_kernel_manual_unrollILi128ELi4EZNS0_15gpu_kernel_implINS0_13BinaryFunctorIddbNS0_12_GLOBAL__N_116CompareEqFunctorIdEEEEEEvRNS_18TensorIteratorBaseERKT_EUlibE_EEviT1_: ; @_ZN2at6native32elementwise_kernel_manual_unrollILi128ELi4EZNS0_15gpu_kernel_implINS0_13BinaryFunctorIddbNS0_12_GLOBAL__N_116CompareEqFunctorIdEEEEEEvRNS_18TensorIteratorBaseERKT_EUlibE_EEviT1_
; %bb.0:
	s_load_b32 s3, s[0:1], 0x30
	s_bfe_u32 s8, ttmp6, 0x4000c
	s_clause 0x1
	s_load_b32 s19, s[0:1], 0x0
	s_load_b128 s[4:7], s[0:1], 0x8
	s_add_co_i32 s14, s8, 1
	s_clause 0x1
	s_load_b64 s[12:13], s[0:1], 0x18
	s_load_b128 s[8:11], s[0:1], 0x20
	s_and_b32 s2, ttmp6, 15
	s_wait_xcnt 0x0
	s_mul_i32 s0, ttmp9, s14
	s_getreg_b32 s15, hwreg(HW_REG_IB_STS2, 6, 4)
	s_add_co_i32 s2, s2, s0
	s_mov_b32 s18, 0
	s_wait_kmcnt 0x0
	s_lshr_b32 s16, s3, 8
	s_lshr_b32 s14, s3, 16
	s_cmp_eq_u32 s15, 0
	s_mov_b32 s15, 0
	s_cselect_b32 s0, ttmp9, s2
	s_delay_alu instid0(SALU_CYCLE_1) | instskip(SKIP_1) | instid1(VALU_DEP_1)
	v_lshl_or_b32 v18, s0, 9, v0
	s_mov_b32 s0, exec_lo
	v_or_b32_e32 v0, 0x180, v18
	s_delay_alu instid0(VALU_DEP_1)
	v_cmpx_le_i32_e64 s19, v0
	s_xor_b32 s17, exec_lo, s0
	s_cbranch_execz .LBB86_1547
; %bb.1:
	s_cmp_eq_u32 s11, 0
	s_mov_b32 s23, 0
	s_cselect_b32 s0, -1, 0
	s_mov_b32 s1, -1
	s_mov_b32 s21, 0
	s_mov_b32 s20, 0
	s_mov_b32 s22, exec_lo
	v_cmpx_gt_i32_e64 s19, v18
	s_cbranch_execz .LBB86_382
; %bb.2:
	v_mul_lo_u32 v0, v18, s9
	s_and_b32 s1, s16, 0xff
	s_delay_alu instid0(SALU_CYCLE_1) | instskip(NEXT) | instid1(VALU_DEP_1)
	s_cmp_lt_i32 s1, 11
	v_ashrrev_i32_e32 v1, 31, v0
	s_delay_alu instid0(VALU_DEP_1)
	v_add_nc_u64_e32 v[2:3], s[6:7], v[0:1]
	s_cbranch_scc1 .LBB86_9
; %bb.3:
	s_and_b32 s2, 0xffff, s1
	s_delay_alu instid0(SALU_CYCLE_1)
	s_cmp_gt_i32 s2, 25
	s_cbranch_scc0 .LBB86_18
; %bb.4:
	s_cmp_gt_i32 s2, 28
	s_cbranch_scc0 .LBB86_28
; %bb.5:
	;; [unrolled: 3-line block ×4, first 2 shown]
	s_cmp_eq_u32 s2, 46
	s_cbranch_scc0 .LBB86_37
; %bb.8:
	global_load_b32 v0, v[2:3], off
	s_mov_b32 s18, -1
	s_wait_loadcnt 0x0
	v_lshlrev_b32_e32 v0, 16, v0
	s_delay_alu instid0(VALU_DEP_1)
	v_cvt_f64_f32_e32 v[0:1], v0
	s_branch .LBB86_39
.LBB86_9:
                                        ; implicit-def: $vgpr0_vgpr1
	s_cbranch_execnz .LBB86_105
.LBB86_10:
	s_and_not1_b32 vcc_lo, exec_lo, s18
	s_cbranch_vccnz .LBB86_152
.LBB86_11:
	s_wait_xcnt 0x0
	v_mul_lo_u32 v2, v18, s10
	s_and_b32 s1, s14, 0xff
	s_delay_alu instid0(SALU_CYCLE_1) | instskip(NEXT) | instid1(VALU_DEP_1)
	s_cmp_lt_i32 s1, 11
	v_ashrrev_i32_e32 v3, 31, v2
	s_delay_alu instid0(VALU_DEP_1)
	v_add_nc_u64_e32 v[2:3], s[12:13], v[2:3]
	s_cbranch_scc1 .LBB86_19
; %bb.12:
	s_and_b32 s2, 0xffff, s1
	s_delay_alu instid0(SALU_CYCLE_1)
	s_cmp_gt_i32 s2, 25
	s_cbranch_scc0 .LBB86_29
; %bb.13:
	s_cmp_gt_i32 s2, 28
	s_cbranch_scc0 .LBB86_32
; %bb.14:
	;; [unrolled: 3-line block ×4, first 2 shown]
	s_cmp_eq_u32 s2, 46
	s_mov_b32 s24, 0
	s_cbranch_scc0 .LBB86_153
; %bb.17:
	global_load_b32 v4, v[2:3], off
	s_mov_b32 s18, -1
	s_mov_b32 s20, 0
	s_wait_loadcnt 0x0
	v_lshlrev_b32_e32 v4, 16, v4
	s_delay_alu instid0(VALU_DEP_1)
	v_cvt_f64_f32_e32 v[4:5], v4
	s_branch .LBB86_155
.LBB86_18:
                                        ; implicit-def: $vgpr0_vgpr1
	s_cbranch_execnz .LBB86_70
	s_branch .LBB86_104
.LBB86_19:
	s_mov_b32 s20, 0
	s_mov_b32 s18, 0
                                        ; implicit-def: $vgpr4_vgpr5
	s_cbranch_execnz .LBB86_331
.LBB86_20:
	s_and_not1_b32 vcc_lo, exec_lo, s18
	s_cbranch_vccnz .LBB86_379
.LBB86_21:
	s_wait_loadcnt 0x0
	s_delay_alu instid0(VALU_DEP_1) | instskip(SKIP_2) | instid1(SALU_CYCLE_1)
	v_cmp_eq_f64_e32 vcc_lo, v[0:1], v[4:5]
	v_mul_lo_u32 v2, v18, s8
	s_and_b32 s18, s3, 0xff
	s_cmp_lt_i32 s18, 11
	v_cndmask_b32_e64 v3, 0, 1, vcc_lo
	v_cmp_neq_f64_e32 vcc_lo, v[0:1], v[4:5]
	v_cndmask_b32_e64 v0, 0, 1, vcc_lo
	s_delay_alu instid0(VALU_DEP_1) | instskip(NEXT) | instid1(VALU_DEP_1)
	v_dual_cndmask_b32 v0, v0, v3, s0 :: v_dual_ashrrev_i32 v3, 31, v2
	v_and_b32_e32 v4, 1, v0
	s_delay_alu instid0(VALU_DEP_2) | instskip(NEXT) | instid1(VALU_DEP_2)
	v_add_nc_u64_e32 v[0:1], s[4:5], v[2:3]
	v_cmp_eq_u32_e64 s1, 1, v4
	s_cbranch_scc1 .LBB86_30
; %bb.22:
	s_and_b32 s24, 0xffff, s18
	s_delay_alu instid0(SALU_CYCLE_1)
	s_cmp_gt_i32 s24, 25
	s_cbranch_scc0 .LBB86_33
; %bb.23:
	s_cmp_gt_i32 s24, 28
	s_cbranch_scc0 .LBB86_36
; %bb.24:
	;; [unrolled: 3-line block ×4, first 2 shown]
	s_mov_b32 s26, 0
	s_mov_b32 s2, -1
	s_cmp_eq_u32 s24, 46
	s_mov_b32 s25, 0
	s_cbranch_scc0 .LBB86_159
; %bb.27:
	v_cndmask_b32_e64 v2, 0, 1.0, s1
	s_mov_b32 s25, -1
	s_mov_b32 s2, 0
	s_delay_alu instid0(VALU_DEP_1) | instskip(NEXT) | instid1(VALU_DEP_1)
	v_bfe_u32 v3, v2, 16, 1
	v_add3_u32 v2, v2, v3, 0x7fff
	s_delay_alu instid0(VALU_DEP_1)
	v_lshrrev_b32_e32 v2, 16, v2
	global_store_b32 v[0:1], v2, off
	s_branch .LBB86_159
.LBB86_28:
	s_mov_b32 s20, -1
                                        ; implicit-def: $vgpr0_vgpr1
	s_branch .LBB86_51
.LBB86_29:
	s_mov_b32 s24, -1
	s_mov_b32 s20, 0
	s_mov_b32 s18, 0
                                        ; implicit-def: $vgpr4_vgpr5
	s_branch .LBB86_295
.LBB86_30:
	s_mov_b32 s24, -1
	s_mov_b32 s2, 0
	s_mov_b32 s25, 0
	s_branch .LBB86_228
.LBB86_31:
	s_mov_b32 s20, -1
                                        ; implicit-def: $vgpr0_vgpr1
	s_branch .LBB86_46
.LBB86_32:
	s_mov_b32 s24, -1
	s_mov_b32 s20, 0
	s_mov_b32 s18, 0
                                        ; implicit-def: $vgpr4_vgpr5
	s_branch .LBB86_276
.LBB86_33:
	s_mov_b32 s26, -1
	s_mov_b32 s2, 0
	s_mov_b32 s25, 0
	s_branch .LBB86_186
.LBB86_34:
	s_mov_b32 s20, -1
	s_branch .LBB86_38
.LBB86_35:
	s_mov_b32 s24, -1
	s_mov_b32 s20, 0
	s_mov_b32 s18, 0
                                        ; implicit-def: $vgpr4_vgpr5
	s_branch .LBB86_271
.LBB86_36:
	s_mov_b32 s26, -1
	s_mov_b32 s2, 0
	s_mov_b32 s25, 0
	s_branch .LBB86_169
.LBB86_37:
	s_mov_b32 s21, -1
.LBB86_38:
                                        ; implicit-def: $vgpr0_vgpr1
.LBB86_39:
	s_and_b32 vcc_lo, exec_lo, s20
	s_cbranch_vccz .LBB86_45
; %bb.40:
	s_cmp_eq_u32 s2, 44
	s_cbranch_scc0 .LBB86_44
; %bb.41:
	global_load_u8 v4, v[2:3], off
	s_mov_b32 s21, 0
	s_mov_b32 s18, -1
	s_wait_loadcnt 0x0
	v_cmp_ne_u32_e32 vcc_lo, 0xff, v4
	v_lshlrev_b32_e32 v0, 23, v4
	s_delay_alu instid0(VALU_DEP_1) | instskip(NEXT) | instid1(VALU_DEP_1)
	v_cvt_f64_f32_e32 v[0:1], v0
	v_cndmask_b32_e32 v0, 0x20000000, v0, vcc_lo
	s_delay_alu instid0(VALU_DEP_2) | instskip(SKIP_1) | instid1(VALU_DEP_2)
	v_cndmask_b32_e32 v1, 0x7ff80000, v1, vcc_lo
	v_cmp_ne_u32_e32 vcc_lo, 0, v4
	v_cndmask_b32_e32 v1, 0x38000000, v1, vcc_lo
	s_delay_alu instid0(VALU_DEP_4)
	v_cndmask_b32_e32 v0, 0, v0, vcc_lo
	s_branch .LBB86_45
.LBB86_42:
	s_mov_b32 s24, -1
	s_mov_b32 s20, 0
	s_branch .LBB86_154
.LBB86_43:
	s_mov_b32 s26, -1
	s_mov_b32 s2, 0
	s_mov_b32 s25, 0
	s_branch .LBB86_165
.LBB86_44:
	s_mov_b32 s21, -1
                                        ; implicit-def: $vgpr0_vgpr1
.LBB86_45:
	s_mov_b32 s20, 0
.LBB86_46:
	s_delay_alu instid0(SALU_CYCLE_1)
	s_and_b32 vcc_lo, exec_lo, s20
	s_cbranch_vccz .LBB86_50
; %bb.47:
	s_cmp_eq_u32 s2, 29
	s_cbranch_scc0 .LBB86_49
; %bb.48:
	global_load_b64 v[0:1], v[2:3], off
	s_mov_b32 s18, -1
	s_mov_b32 s21, 0
	s_mov_b32 s20, 0
	s_wait_loadcnt 0x0
	v_cvt_f64_u32_e32 v[4:5], v1
	v_cvt_f64_u32_e32 v[0:1], v0
	s_delay_alu instid0(VALU_DEP_2) | instskip(NEXT) | instid1(VALU_DEP_1)
	v_ldexp_f64 v[4:5], v[4:5], 32
	v_add_f64_e32 v[0:1], v[4:5], v[0:1]
	s_branch .LBB86_51
.LBB86_49:
	s_mov_b32 s21, -1
                                        ; implicit-def: $vgpr0_vgpr1
.LBB86_50:
	s_mov_b32 s20, 0
.LBB86_51:
	s_delay_alu instid0(SALU_CYCLE_1)
	s_and_b32 vcc_lo, exec_lo, s20
	s_cbranch_vccz .LBB86_69
; %bb.52:
	s_cmp_lt_i32 s2, 27
	s_cbranch_scc1 .LBB86_55
; %bb.53:
	s_cmp_gt_i32 s2, 27
	s_cbranch_scc0 .LBB86_56
; %bb.54:
	global_load_b32 v0, v[2:3], off
	s_mov_b32 s18, 0
	s_wait_loadcnt 0x0
	v_cvt_f64_u32_e32 v[0:1], v0
	s_branch .LBB86_57
.LBB86_55:
	s_mov_b32 s18, -1
                                        ; implicit-def: $vgpr0_vgpr1
	s_branch .LBB86_60
.LBB86_56:
	s_mov_b32 s18, -1
                                        ; implicit-def: $vgpr0_vgpr1
.LBB86_57:
	s_delay_alu instid0(SALU_CYCLE_1)
	s_and_not1_b32 vcc_lo, exec_lo, s18
	s_cbranch_vccnz .LBB86_59
; %bb.58:
	global_load_u16 v0, v[2:3], off
	s_wait_loadcnt 0x0
	v_cvt_f64_u32_e32 v[0:1], v0
.LBB86_59:
	s_mov_b32 s18, 0
.LBB86_60:
	s_delay_alu instid0(SALU_CYCLE_1)
	s_and_not1_b32 vcc_lo, exec_lo, s18
	s_cbranch_vccnz .LBB86_68
; %bb.61:
	global_load_u8 v4, v[2:3], off
	s_mov_b32 s18, 0
	s_mov_b32 s20, exec_lo
	s_wait_loadcnt 0x0
	v_cmpx_lt_i16_e32 0x7f, v4
	s_xor_b32 s20, exec_lo, s20
	s_cbranch_execz .LBB86_81
; %bb.62:
	s_mov_b32 s18, -1
	s_mov_b32 s24, exec_lo
	v_cmpx_eq_u16_e32 0x80, v4
; %bb.63:
	s_xor_b32 s18, exec_lo, -1
; %bb.64:
	s_or_b32 exec_lo, exec_lo, s24
	s_delay_alu instid0(SALU_CYCLE_1)
	s_and_b32 s18, s18, exec_lo
	s_or_saveexec_b32 s20, s20
	v_mov_b64_e32 v[0:1], 0x7ff8000020000000
	s_xor_b32 exec_lo, exec_lo, s20
	s_cbranch_execnz .LBB86_82
.LBB86_65:
	s_or_b32 exec_lo, exec_lo, s20
	s_and_saveexec_b32 s20, s18
	s_cbranch_execz .LBB86_67
.LBB86_66:
	v_and_b32_e32 v0, 0xffff, v4
	s_delay_alu instid0(VALU_DEP_1) | instskip(SKIP_1) | instid1(VALU_DEP_2)
	v_and_b32_e32 v1, 7, v0
	v_bfe_u32 v7, v0, 3, 4
	v_clz_i32_u32_e32 v5, v1
	s_delay_alu instid0(VALU_DEP_2) | instskip(NEXT) | instid1(VALU_DEP_2)
	v_cmp_eq_u32_e32 vcc_lo, 0, v7
	v_min_u32_e32 v5, 32, v5
	s_delay_alu instid0(VALU_DEP_1) | instskip(NEXT) | instid1(VALU_DEP_1)
	v_subrev_nc_u32_e32 v6, 28, v5
	v_dual_lshlrev_b32 v0, v6, v0 :: v_dual_sub_nc_u32 v5, 29, v5
	s_delay_alu instid0(VALU_DEP_1) | instskip(NEXT) | instid1(VALU_DEP_2)
	v_and_b32_e32 v0, 7, v0
	v_dual_cndmask_b32 v5, v7, v5 :: v_dual_lshlrev_b32 v4, 24, v4
	s_delay_alu instid0(VALU_DEP_2) | instskip(NEXT) | instid1(VALU_DEP_2)
	v_cndmask_b32_e32 v0, v1, v0, vcc_lo
	v_and_b32_e32 v1, 0x80000000, v4
	s_delay_alu instid0(VALU_DEP_3) | instskip(NEXT) | instid1(VALU_DEP_3)
	v_lshl_add_u32 v4, v5, 23, 0x3b800000
	v_lshlrev_b32_e32 v0, 20, v0
	s_delay_alu instid0(VALU_DEP_1) | instskip(NEXT) | instid1(VALU_DEP_1)
	v_or3_b32 v0, v1, v4, v0
	v_cvt_f64_f32_e32 v[0:1], v0
.LBB86_67:
	s_or_b32 exec_lo, exec_lo, s20
.LBB86_68:
	s_mov_b32 s18, -1
.LBB86_69:
	s_branch .LBB86_104
.LBB86_70:
	s_cmp_gt_i32 s2, 22
	s_cbranch_scc0 .LBB86_80
; %bb.71:
	s_cmp_lt_i32 s2, 24
	s_cbranch_scc1 .LBB86_83
; %bb.72:
	s_cmp_gt_i32 s2, 24
	s_cbranch_scc0 .LBB86_84
; %bb.73:
	global_load_u8 v4, v[2:3], off
	s_mov_b32 s18, 0
	s_mov_b32 s20, exec_lo
	s_wait_loadcnt 0x0
	v_cmpx_lt_i16_e32 0x7f, v4
	s_xor_b32 s20, exec_lo, s20
	s_cbranch_execz .LBB86_96
; %bb.74:
	s_mov_b32 s18, -1
	s_mov_b32 s24, exec_lo
	v_cmpx_eq_u16_e32 0x80, v4
; %bb.75:
	s_xor_b32 s18, exec_lo, -1
; %bb.76:
	s_or_b32 exec_lo, exec_lo, s24
	s_delay_alu instid0(SALU_CYCLE_1)
	s_and_b32 s18, s18, exec_lo
	s_or_saveexec_b32 s20, s20
	v_mov_b64_e32 v[0:1], 0x7ff8000020000000
	s_xor_b32 exec_lo, exec_lo, s20
	s_cbranch_execnz .LBB86_97
.LBB86_77:
	s_or_b32 exec_lo, exec_lo, s20
	s_and_saveexec_b32 s20, s18
	s_cbranch_execz .LBB86_79
.LBB86_78:
	v_and_b32_e32 v0, 0xffff, v4
	s_delay_alu instid0(VALU_DEP_1) | instskip(SKIP_1) | instid1(VALU_DEP_2)
	v_and_b32_e32 v1, 3, v0
	v_bfe_u32 v7, v0, 2, 5
	v_clz_i32_u32_e32 v5, v1
	s_delay_alu instid0(VALU_DEP_2) | instskip(NEXT) | instid1(VALU_DEP_2)
	v_cmp_eq_u32_e32 vcc_lo, 0, v7
	v_min_u32_e32 v5, 32, v5
	s_delay_alu instid0(VALU_DEP_1) | instskip(NEXT) | instid1(VALU_DEP_1)
	v_subrev_nc_u32_e32 v6, 29, v5
	v_dual_lshlrev_b32 v0, v6, v0 :: v_dual_sub_nc_u32 v5, 30, v5
	s_delay_alu instid0(VALU_DEP_1) | instskip(NEXT) | instid1(VALU_DEP_2)
	v_and_b32_e32 v0, 3, v0
	v_dual_cndmask_b32 v5, v7, v5 :: v_dual_lshlrev_b32 v4, 24, v4
	s_delay_alu instid0(VALU_DEP_2) | instskip(NEXT) | instid1(VALU_DEP_2)
	v_cndmask_b32_e32 v0, v1, v0, vcc_lo
	v_and_b32_e32 v1, 0x80000000, v4
	s_delay_alu instid0(VALU_DEP_3) | instskip(NEXT) | instid1(VALU_DEP_3)
	v_lshl_add_u32 v4, v5, 23, 0x37800000
	v_lshlrev_b32_e32 v0, 21, v0
	s_delay_alu instid0(VALU_DEP_1) | instskip(NEXT) | instid1(VALU_DEP_1)
	v_or3_b32 v0, v1, v4, v0
	v_cvt_f64_f32_e32 v[0:1], v0
.LBB86_79:
	s_or_b32 exec_lo, exec_lo, s20
	s_mov_b32 s18, 0
	s_branch .LBB86_85
.LBB86_80:
	s_mov_b32 s20, -1
                                        ; implicit-def: $vgpr0_vgpr1
	s_branch .LBB86_91
.LBB86_81:
	s_or_saveexec_b32 s20, s20
	v_mov_b64_e32 v[0:1], 0x7ff8000020000000
	s_xor_b32 exec_lo, exec_lo, s20
	s_cbranch_execz .LBB86_65
.LBB86_82:
	v_cmp_ne_u16_e32 vcc_lo, 0, v4
	v_mov_b64_e32 v[0:1], 0
	s_and_not1_b32 s18, s18, exec_lo
	s_and_b32 s24, vcc_lo, exec_lo
	s_delay_alu instid0(SALU_CYCLE_1)
	s_or_b32 s18, s18, s24
	s_or_b32 exec_lo, exec_lo, s20
	s_and_saveexec_b32 s20, s18
	s_cbranch_execnz .LBB86_66
	s_branch .LBB86_67
.LBB86_83:
	s_mov_b32 s18, -1
                                        ; implicit-def: $vgpr0_vgpr1
	s_branch .LBB86_88
.LBB86_84:
	s_mov_b32 s18, -1
                                        ; implicit-def: $vgpr0_vgpr1
.LBB86_85:
	s_delay_alu instid0(SALU_CYCLE_1)
	s_and_b32 vcc_lo, exec_lo, s18
	s_cbranch_vccz .LBB86_87
; %bb.86:
	global_load_u8 v0, v[2:3], off
	s_wait_loadcnt 0x0
	v_lshlrev_b32_e32 v0, 24, v0
	s_delay_alu instid0(VALU_DEP_1) | instskip(NEXT) | instid1(VALU_DEP_1)
	v_and_b32_e32 v1, 0x7f000000, v0
	v_clz_i32_u32_e32 v4, v1
	v_cmp_ne_u32_e32 vcc_lo, 0, v1
	v_add_nc_u32_e32 v6, 0x1000000, v1
	s_delay_alu instid0(VALU_DEP_3) | instskip(NEXT) | instid1(VALU_DEP_1)
	v_min_u32_e32 v4, 32, v4
	v_sub_nc_u32_e64 v4, v4, 4 clamp
	s_delay_alu instid0(VALU_DEP_1) | instskip(NEXT) | instid1(VALU_DEP_1)
	v_dual_lshlrev_b32 v5, v4, v1 :: v_dual_lshlrev_b32 v4, 23, v4
	v_lshrrev_b32_e32 v5, 4, v5
	s_delay_alu instid0(VALU_DEP_1) | instskip(NEXT) | instid1(VALU_DEP_1)
	v_dual_sub_nc_u32 v4, v5, v4 :: v_dual_ashrrev_i32 v5, 8, v6
	v_add_nc_u32_e32 v4, 0x3c000000, v4
	s_delay_alu instid0(VALU_DEP_1) | instskip(NEXT) | instid1(VALU_DEP_1)
	v_and_or_b32 v4, 0x7f800000, v5, v4
	v_cndmask_b32_e32 v1, 0, v4, vcc_lo
	s_delay_alu instid0(VALU_DEP_1) | instskip(NEXT) | instid1(VALU_DEP_1)
	v_and_or_b32 v0, 0x80000000, v0, v1
	v_cvt_f64_f32_e32 v[0:1], v0
.LBB86_87:
	s_mov_b32 s18, 0
.LBB86_88:
	s_delay_alu instid0(SALU_CYCLE_1)
	s_and_not1_b32 vcc_lo, exec_lo, s18
	s_cbranch_vccnz .LBB86_90
; %bb.89:
	global_load_u8 v0, v[2:3], off
	s_wait_loadcnt 0x0
	v_lshlrev_b32_e32 v1, 25, v0
	v_lshlrev_b16 v0, 8, v0
	s_delay_alu instid0(VALU_DEP_1) | instskip(SKIP_1) | instid1(VALU_DEP_2)
	v_and_or_b32 v5, 0x7f00, v0, 0.5
	v_bfe_i32 v0, v0, 0, 16
	v_add_f32_e32 v5, -0.5, v5
	v_lshrrev_b32_e32 v4, 4, v1
	v_cmp_gt_u32_e32 vcc_lo, 0x8000000, v1
	s_delay_alu instid0(VALU_DEP_2) | instskip(NEXT) | instid1(VALU_DEP_1)
	v_or_b32_e32 v4, 0x70000000, v4
	v_mul_f32_e32 v4, 0x7800000, v4
	s_delay_alu instid0(VALU_DEP_1) | instskip(NEXT) | instid1(VALU_DEP_1)
	v_cndmask_b32_e32 v1, v4, v5, vcc_lo
	v_and_or_b32 v0, 0x80000000, v0, v1
	s_delay_alu instid0(VALU_DEP_1)
	v_cvt_f64_f32_e32 v[0:1], v0
.LBB86_90:
	s_mov_b32 s20, 0
	s_mov_b32 s18, -1
.LBB86_91:
	s_and_not1_b32 vcc_lo, exec_lo, s20
	s_cbranch_vccnz .LBB86_104
; %bb.92:
	s_cmp_gt_i32 s2, 14
	s_cbranch_scc0 .LBB86_95
; %bb.93:
	s_cmp_eq_u32 s2, 15
	s_cbranch_scc0 .LBB86_98
; %bb.94:
	global_load_u16 v0, v[2:3], off
	s_mov_b32 s18, -1
	s_mov_b32 s21, 0
	s_wait_loadcnt 0x0
	v_lshlrev_b32_e32 v0, 16, v0
	s_delay_alu instid0(VALU_DEP_1)
	v_cvt_f64_f32_e32 v[0:1], v0
	s_branch .LBB86_99
.LBB86_95:
	s_mov_b32 s20, -1
                                        ; implicit-def: $vgpr0_vgpr1
	s_branch .LBB86_100
.LBB86_96:
	s_or_saveexec_b32 s20, s20
	v_mov_b64_e32 v[0:1], 0x7ff8000020000000
	s_xor_b32 exec_lo, exec_lo, s20
	s_cbranch_execz .LBB86_77
.LBB86_97:
	v_cmp_ne_u16_e32 vcc_lo, 0, v4
	v_mov_b64_e32 v[0:1], 0
	s_and_not1_b32 s18, s18, exec_lo
	s_and_b32 s24, vcc_lo, exec_lo
	s_delay_alu instid0(SALU_CYCLE_1)
	s_or_b32 s18, s18, s24
	s_or_b32 exec_lo, exec_lo, s20
	s_and_saveexec_b32 s20, s18
	s_cbranch_execnz .LBB86_78
	s_branch .LBB86_79
.LBB86_98:
	s_mov_b32 s21, -1
                                        ; implicit-def: $vgpr0_vgpr1
.LBB86_99:
	s_mov_b32 s20, 0
.LBB86_100:
	s_delay_alu instid0(SALU_CYCLE_1)
	s_and_b32 vcc_lo, exec_lo, s20
	s_cbranch_vccz .LBB86_104
; %bb.101:
	s_cmp_eq_u32 s2, 11
	s_cbranch_scc0 .LBB86_103
; %bb.102:
	global_load_u8 v0, v[2:3], off
	s_mov_b32 s21, 0
	s_mov_b32 s18, -1
	s_wait_loadcnt 0x0
	v_cmp_ne_u16_e32 vcc_lo, 0, v0
	v_mov_b32_e32 v0, 0
	v_cndmask_b32_e64 v1, 0, 0x3ff00000, vcc_lo
	s_branch .LBB86_104
.LBB86_103:
	s_mov_b32 s21, -1
                                        ; implicit-def: $vgpr0_vgpr1
.LBB86_104:
	s_branch .LBB86_10
.LBB86_105:
	s_and_b32 s1, 0xffff, s1
	s_delay_alu instid0(SALU_CYCLE_1)
	s_cmp_lt_i32 s1, 5
	s_cbranch_scc1 .LBB86_110
; %bb.106:
	s_cmp_lt_i32 s1, 8
	s_cbranch_scc1 .LBB86_111
; %bb.107:
	;; [unrolled: 3-line block ×3, first 2 shown]
	s_cmp_gt_i32 s1, 9
	s_cbranch_scc0 .LBB86_113
; %bb.109:
	global_load_b64 v[0:1], v[2:3], off
	s_mov_b32 s2, 0
	s_branch .LBB86_114
.LBB86_110:
                                        ; implicit-def: $vgpr0_vgpr1
	s_branch .LBB86_132
.LBB86_111:
	s_mov_b32 s2, -1
                                        ; implicit-def: $vgpr0_vgpr1
	s_branch .LBB86_120
.LBB86_112:
	s_mov_b32 s2, -1
                                        ; implicit-def: $vgpr0_vgpr1
	s_branch .LBB86_117
.LBB86_113:
	s_mov_b32 s2, -1
                                        ; implicit-def: $vgpr0_vgpr1
.LBB86_114:
	s_delay_alu instid0(SALU_CYCLE_1)
	s_and_not1_b32 vcc_lo, exec_lo, s2
	s_cbranch_vccnz .LBB86_116
; %bb.115:
	s_wait_loadcnt 0x0
	global_load_b32 v0, v[2:3], off
	s_wait_loadcnt 0x0
	v_cvt_f64_f32_e32 v[0:1], v0
.LBB86_116:
	s_mov_b32 s2, 0
.LBB86_117:
	s_delay_alu instid0(SALU_CYCLE_1)
	s_and_not1_b32 vcc_lo, exec_lo, s2
	s_cbranch_vccnz .LBB86_119
; %bb.118:
	s_wait_loadcnt 0x0
	global_load_b32 v0, v[2:3], off
	s_wait_loadcnt 0x0
	v_cvt_f32_f16_e32 v0, v0
	s_delay_alu instid0(VALU_DEP_1)
	v_cvt_f64_f32_e32 v[0:1], v0
.LBB86_119:
	s_mov_b32 s2, 0
.LBB86_120:
	s_delay_alu instid0(SALU_CYCLE_1)
	s_and_not1_b32 vcc_lo, exec_lo, s2
	s_cbranch_vccnz .LBB86_131
; %bb.121:
	s_cmp_lt_i32 s1, 6
	s_cbranch_scc1 .LBB86_124
; %bb.122:
	s_cmp_gt_i32 s1, 6
	s_cbranch_scc0 .LBB86_125
; %bb.123:
	s_wait_loadcnt 0x0
	global_load_b64 v[0:1], v[2:3], off
	s_mov_b32 s2, 0
	s_branch .LBB86_126
.LBB86_124:
	s_mov_b32 s2, -1
                                        ; implicit-def: $vgpr0_vgpr1
	s_branch .LBB86_129
.LBB86_125:
	s_mov_b32 s2, -1
                                        ; implicit-def: $vgpr0_vgpr1
.LBB86_126:
	s_delay_alu instid0(SALU_CYCLE_1)
	s_and_not1_b32 vcc_lo, exec_lo, s2
	s_cbranch_vccnz .LBB86_128
; %bb.127:
	s_wait_loadcnt 0x0
	global_load_b32 v0, v[2:3], off
	s_wait_loadcnt 0x0
	v_cvt_f64_f32_e32 v[0:1], v0
.LBB86_128:
	s_mov_b32 s2, 0
.LBB86_129:
	s_delay_alu instid0(SALU_CYCLE_1)
	s_and_not1_b32 vcc_lo, exec_lo, s2
	s_cbranch_vccnz .LBB86_131
; %bb.130:
	s_wait_loadcnt 0x0
	global_load_u16 v0, v[2:3], off
	s_wait_loadcnt 0x0
	v_cvt_f32_f16_e32 v0, v0
	s_delay_alu instid0(VALU_DEP_1)
	v_cvt_f64_f32_e32 v[0:1], v0
.LBB86_131:
	s_cbranch_execnz .LBB86_151
.LBB86_132:
	s_cmp_lt_i32 s1, 2
	s_cbranch_scc1 .LBB86_136
; %bb.133:
	s_cmp_lt_i32 s1, 3
	s_cbranch_scc1 .LBB86_137
; %bb.134:
	s_cmp_gt_i32 s1, 3
	s_cbranch_scc0 .LBB86_138
; %bb.135:
	s_wait_loadcnt 0x0
	global_load_b64 v[0:1], v[2:3], off
	s_mov_b32 s2, 0
	s_wait_loadcnt 0x0
	v_cvt_f64_i32_e32 v[4:5], v1
	v_cvt_f64_u32_e32 v[0:1], v0
	s_delay_alu instid0(VALU_DEP_2) | instskip(NEXT) | instid1(VALU_DEP_1)
	v_ldexp_f64 v[4:5], v[4:5], 32
	v_add_f64_e32 v[0:1], v[4:5], v[0:1]
	s_branch .LBB86_139
.LBB86_136:
	s_mov_b32 s2, -1
                                        ; implicit-def: $vgpr0_vgpr1
	s_branch .LBB86_145
.LBB86_137:
	s_mov_b32 s2, -1
                                        ; implicit-def: $vgpr0_vgpr1
	s_branch .LBB86_142
.LBB86_138:
	s_mov_b32 s2, -1
                                        ; implicit-def: $vgpr0_vgpr1
.LBB86_139:
	s_delay_alu instid0(SALU_CYCLE_1)
	s_and_not1_b32 vcc_lo, exec_lo, s2
	s_cbranch_vccnz .LBB86_141
; %bb.140:
	s_wait_loadcnt 0x0
	global_load_b32 v0, v[2:3], off
	s_wait_loadcnt 0x0
	v_cvt_f64_i32_e32 v[0:1], v0
.LBB86_141:
	s_mov_b32 s2, 0
.LBB86_142:
	s_delay_alu instid0(SALU_CYCLE_1)
	s_and_not1_b32 vcc_lo, exec_lo, s2
	s_cbranch_vccnz .LBB86_144
; %bb.143:
	s_wait_loadcnt 0x0
	global_load_i16 v0, v[2:3], off
	s_wait_loadcnt 0x0
	v_cvt_f64_i32_e32 v[0:1], v0
.LBB86_144:
	s_mov_b32 s2, 0
.LBB86_145:
	s_delay_alu instid0(SALU_CYCLE_1)
	s_and_not1_b32 vcc_lo, exec_lo, s2
	s_cbranch_vccnz .LBB86_151
; %bb.146:
	s_cmp_gt_i32 s1, 0
	s_mov_b32 s1, 0
	s_cbranch_scc0 .LBB86_148
; %bb.147:
	s_wait_loadcnt 0x0
	global_load_i8 v0, v[2:3], off
	s_wait_loadcnt 0x0
	v_cvt_f64_i32_e32 v[0:1], v0
	s_branch .LBB86_149
.LBB86_148:
	s_mov_b32 s1, -1
                                        ; implicit-def: $vgpr0_vgpr1
.LBB86_149:
	s_delay_alu instid0(SALU_CYCLE_1)
	s_and_not1_b32 vcc_lo, exec_lo, s1
	s_cbranch_vccnz .LBB86_151
; %bb.150:
	s_wait_loadcnt 0x0
	global_load_u8 v0, v[2:3], off
	s_wait_loadcnt 0x0
	v_cvt_f64_u32_e32 v[0:1], v0
.LBB86_151:
	s_branch .LBB86_11
.LBB86_152:
	s_mov_b32 s2, 0
	s_mov_b32 s20, 0
	s_branch .LBB86_380
.LBB86_153:
	s_mov_b32 s20, -1
.LBB86_154:
	s_mov_b32 s18, 0
                                        ; implicit-def: $vgpr4_vgpr5
.LBB86_155:
	s_and_b32 vcc_lo, exec_lo, s24
	s_cbranch_vccz .LBB86_270
; %bb.156:
	s_cmp_eq_u32 s2, 44
	s_cbranch_scc0 .LBB86_269
; %bb.157:
	global_load_u8 v6, v[2:3], off
	s_mov_b32 s20, 0
	s_mov_b32 s18, -1
	s_wait_loadcnt 0x0
	v_cmp_ne_u32_e32 vcc_lo, 0xff, v6
	v_lshlrev_b32_e32 v4, 23, v6
	s_delay_alu instid0(VALU_DEP_1) | instskip(NEXT) | instid1(VALU_DEP_1)
	v_cvt_f64_f32_e32 v[4:5], v4
	v_cndmask_b32_e32 v4, 0x20000000, v4, vcc_lo
	s_delay_alu instid0(VALU_DEP_2) | instskip(SKIP_1) | instid1(VALU_DEP_2)
	v_cndmask_b32_e32 v5, 0x7ff80000, v5, vcc_lo
	v_cmp_ne_u32_e32 vcc_lo, 0, v6
	v_cndmask_b32_e32 v5, 0x38000000, v5, vcc_lo
	s_delay_alu instid0(VALU_DEP_4)
	v_cndmask_b32_e32 v4, 0, v4, vcc_lo
	s_branch .LBB86_270
.LBB86_158:
	s_mov_b32 s26, -1
	s_mov_b32 s2, 0
	s_mov_b32 s25, 0
.LBB86_159:
	s_and_b32 vcc_lo, exec_lo, s26
	s_cbranch_vccz .LBB86_164
; %bb.160:
	s_cmp_eq_u32 s24, 44
	s_mov_b32 s2, -1
	s_cbranch_scc0 .LBB86_164
; %bb.161:
	v_cndmask_b32_e64 v4, 0, 1.0, s1
	s_mov_b32 s25, exec_lo
	s_wait_xcnt 0x0
	s_delay_alu instid0(VALU_DEP_1) | instskip(NEXT) | instid1(VALU_DEP_1)
	v_dual_mov_b32 v3, 0xff :: v_dual_lshrrev_b32 v2, 23, v4
	v_cmpx_ne_u32_e32 0xff, v2
; %bb.162:
	v_and_b32_e32 v3, 0x400000, v4
	v_and_or_b32 v4, 0x3fffff, v4, v2
	s_delay_alu instid0(VALU_DEP_2) | instskip(NEXT) | instid1(VALU_DEP_2)
	v_cmp_ne_u32_e32 vcc_lo, 0, v3
	v_cmp_ne_u32_e64 s2, 0, v4
	s_and_b32 s2, vcc_lo, s2
	s_delay_alu instid0(SALU_CYCLE_1) | instskip(NEXT) | instid1(VALU_DEP_1)
	v_cndmask_b32_e64 v3, 0, 1, s2
	v_add_nc_u32_e32 v3, v2, v3
; %bb.163:
	s_or_b32 exec_lo, exec_lo, s25
	s_mov_b32 s25, -1
	s_mov_b32 s2, 0
	global_store_b8 v[0:1], v3, off
.LBB86_164:
	s_mov_b32 s26, 0
.LBB86_165:
	s_delay_alu instid0(SALU_CYCLE_1)
	s_and_b32 vcc_lo, exec_lo, s26
	s_cbranch_vccz .LBB86_168
; %bb.166:
	s_cmp_eq_u32 s24, 29
	s_mov_b32 s2, -1
	s_cbranch_scc0 .LBB86_168
; %bb.167:
	s_mov_b32 s2, 0
	s_wait_xcnt 0x0
	v_cndmask_b32_e64 v2, 0, 1, s1
	v_mov_b32_e32 v3, s2
	s_mov_b32 s25, -1
	s_mov_b32 s26, 0
	global_store_b64 v[0:1], v[2:3], off
	s_branch .LBB86_169
.LBB86_168:
	s_mov_b32 s26, 0
.LBB86_169:
	s_delay_alu instid0(SALU_CYCLE_1)
	s_and_b32 vcc_lo, exec_lo, s26
	s_cbranch_vccz .LBB86_185
; %bb.170:
	s_cmp_lt_i32 s24, 27
	s_mov_b32 s25, -1
	s_cbranch_scc1 .LBB86_176
; %bb.171:
	s_cmp_gt_i32 s24, 27
	s_cbranch_scc0 .LBB86_173
; %bb.172:
	s_wait_xcnt 0x0
	v_cndmask_b32_e64 v2, 0, 1, s1
	s_mov_b32 s25, 0
	global_store_b32 v[0:1], v2, off
.LBB86_173:
	s_and_not1_b32 vcc_lo, exec_lo, s25
	s_cbranch_vccnz .LBB86_175
; %bb.174:
	s_wait_xcnt 0x0
	v_cndmask_b32_e64 v2, 0, 1, s1
	global_store_b16 v[0:1], v2, off
.LBB86_175:
	s_mov_b32 s25, 0
.LBB86_176:
	s_delay_alu instid0(SALU_CYCLE_1)
	s_and_not1_b32 vcc_lo, exec_lo, s25
	s_cbranch_vccnz .LBB86_184
; %bb.177:
	s_wait_xcnt 0x0
	v_cndmask_b32_e64 v3, 0, 1.0, s1
	v_mov_b32_e32 v4, 0x80
	s_mov_b32 s25, exec_lo
	s_delay_alu instid0(VALU_DEP_2)
	v_cmpx_gt_u32_e32 0x43800000, v3
	s_cbranch_execz .LBB86_183
; %bb.178:
	s_mov_b32 s26, 0
	s_mov_b32 s27, exec_lo
                                        ; implicit-def: $vgpr2
	v_cmpx_lt_u32_e32 0x3bffffff, v3
	s_xor_b32 s27, exec_lo, s27
	s_cbranch_execz .LBB86_411
; %bb.179:
	v_bfe_u32 v2, v3, 20, 1
	s_mov_b32 s26, exec_lo
	s_delay_alu instid0(VALU_DEP_1) | instskip(NEXT) | instid1(VALU_DEP_1)
	v_add3_u32 v2, v3, v2, 0x487ffff
                                        ; implicit-def: $vgpr3
	v_lshrrev_b32_e32 v2, 20, v2
	s_and_not1_saveexec_b32 s27, s27
	s_cbranch_execnz .LBB86_412
.LBB86_180:
	s_or_b32 exec_lo, exec_lo, s27
	v_mov_b32_e32 v4, 0
	s_and_saveexec_b32 s27, s26
.LBB86_181:
	v_mov_b32_e32 v4, v2
.LBB86_182:
	s_or_b32 exec_lo, exec_lo, s27
.LBB86_183:
	s_delay_alu instid0(SALU_CYCLE_1)
	s_or_b32 exec_lo, exec_lo, s25
	global_store_b8 v[0:1], v4, off
.LBB86_184:
	s_mov_b32 s25, -1
.LBB86_185:
	s_mov_b32 s26, 0
.LBB86_186:
	s_delay_alu instid0(SALU_CYCLE_1)
	s_and_b32 vcc_lo, exec_lo, s26
	s_cbranch_vccz .LBB86_227
; %bb.187:
	s_cmp_gt_i32 s24, 22
	s_mov_b32 s26, -1
	s_cbranch_scc0 .LBB86_219
; %bb.188:
	s_cmp_lt_i32 s24, 24
	s_mov_b32 s25, -1
	s_cbranch_scc1 .LBB86_208
; %bb.189:
	s_cmp_gt_i32 s24, 24
	s_cbranch_scc0 .LBB86_197
; %bb.190:
	s_wait_xcnt 0x0
	v_cndmask_b32_e64 v3, 0, 1.0, s1
	v_mov_b32_e32 v4, 0x80
	s_mov_b32 s25, exec_lo
	s_delay_alu instid0(VALU_DEP_2)
	v_cmpx_gt_u32_e32 0x47800000, v3
	s_cbranch_execz .LBB86_196
; %bb.191:
	s_mov_b32 s26, 0
	s_mov_b32 s27, exec_lo
                                        ; implicit-def: $vgpr2
	v_cmpx_lt_u32_e32 0x37ffffff, v3
	s_xor_b32 s27, exec_lo, s27
	s_cbranch_execz .LBB86_530
; %bb.192:
	v_bfe_u32 v2, v3, 21, 1
	s_mov_b32 s26, exec_lo
	s_delay_alu instid0(VALU_DEP_1) | instskip(NEXT) | instid1(VALU_DEP_1)
	v_add3_u32 v2, v3, v2, 0x88fffff
                                        ; implicit-def: $vgpr3
	v_lshrrev_b32_e32 v2, 21, v2
	s_and_not1_saveexec_b32 s27, s27
	s_cbranch_execnz .LBB86_531
.LBB86_193:
	s_or_b32 exec_lo, exec_lo, s27
	v_mov_b32_e32 v4, 0
	s_and_saveexec_b32 s27, s26
.LBB86_194:
	v_mov_b32_e32 v4, v2
.LBB86_195:
	s_or_b32 exec_lo, exec_lo, s27
.LBB86_196:
	s_delay_alu instid0(SALU_CYCLE_1)
	s_or_b32 exec_lo, exec_lo, s25
	s_mov_b32 s25, 0
	global_store_b8 v[0:1], v4, off
.LBB86_197:
	s_and_b32 vcc_lo, exec_lo, s25
	s_cbranch_vccz .LBB86_207
; %bb.198:
	s_wait_xcnt 0x0
	v_cndmask_b32_e64 v3, 0, 1.0, s1
	s_mov_b32 s25, exec_lo
                                        ; implicit-def: $vgpr2
	s_delay_alu instid0(VALU_DEP_1)
	v_cmpx_gt_u32_e32 0x43f00000, v3
	s_xor_b32 s25, exec_lo, s25
	s_cbranch_execz .LBB86_204
; %bb.199:
	s_mov_b32 s26, exec_lo
                                        ; implicit-def: $vgpr2
	v_cmpx_lt_u32_e32 0x3c7fffff, v3
	s_xor_b32 s26, exec_lo, s26
; %bb.200:
	v_bfe_u32 v2, v3, 20, 1
	s_delay_alu instid0(VALU_DEP_1) | instskip(NEXT) | instid1(VALU_DEP_1)
	v_add3_u32 v2, v3, v2, 0x407ffff
	v_and_b32_e32 v3, 0xff00000, v2
	v_lshrrev_b32_e32 v2, 20, v2
	s_delay_alu instid0(VALU_DEP_2) | instskip(NEXT) | instid1(VALU_DEP_2)
	v_cmp_ne_u32_e32 vcc_lo, 0x7f00000, v3
                                        ; implicit-def: $vgpr3
	v_cndmask_b32_e32 v2, 0x7e, v2, vcc_lo
; %bb.201:
	s_and_not1_saveexec_b32 s26, s26
; %bb.202:
	v_add_f32_e32 v2, 0x46800000, v3
; %bb.203:
	s_or_b32 exec_lo, exec_lo, s26
                                        ; implicit-def: $vgpr3
.LBB86_204:
	s_and_not1_saveexec_b32 s25, s25
; %bb.205:
	v_mov_b32_e32 v2, 0x7f
	v_cmp_lt_u32_e32 vcc_lo, 0x7f800000, v3
	s_delay_alu instid0(VALU_DEP_2)
	v_cndmask_b32_e32 v2, 0x7e, v2, vcc_lo
; %bb.206:
	s_or_b32 exec_lo, exec_lo, s25
	global_store_b8 v[0:1], v2, off
.LBB86_207:
	s_mov_b32 s25, 0
.LBB86_208:
	s_delay_alu instid0(SALU_CYCLE_1)
	s_and_not1_b32 vcc_lo, exec_lo, s25
	s_cbranch_vccnz .LBB86_218
; %bb.209:
	s_wait_xcnt 0x0
	v_cndmask_b32_e64 v3, 0, 1.0, s1
	s_mov_b32 s25, exec_lo
                                        ; implicit-def: $vgpr2
	s_delay_alu instid0(VALU_DEP_1)
	v_cmpx_gt_u32_e32 0x47800000, v3
	s_xor_b32 s25, exec_lo, s25
	s_cbranch_execz .LBB86_215
; %bb.210:
	s_mov_b32 s26, exec_lo
                                        ; implicit-def: $vgpr2
	v_cmpx_lt_u32_e32 0x387fffff, v3
	s_xor_b32 s26, exec_lo, s26
; %bb.211:
	v_bfe_u32 v2, v3, 21, 1
	s_delay_alu instid0(VALU_DEP_1) | instskip(NEXT) | instid1(VALU_DEP_1)
	v_add3_u32 v2, v3, v2, 0x80fffff
                                        ; implicit-def: $vgpr3
	v_lshrrev_b32_e32 v2, 21, v2
; %bb.212:
	s_and_not1_saveexec_b32 s26, s26
; %bb.213:
	v_add_f32_e32 v2, 0x43000000, v3
; %bb.214:
	s_or_b32 exec_lo, exec_lo, s26
                                        ; implicit-def: $vgpr3
.LBB86_215:
	s_and_not1_saveexec_b32 s25, s25
; %bb.216:
	v_mov_b32_e32 v2, 0x7f
	v_cmp_lt_u32_e32 vcc_lo, 0x7f800000, v3
	s_delay_alu instid0(VALU_DEP_2)
	v_cndmask_b32_e32 v2, 0x7c, v2, vcc_lo
; %bb.217:
	s_or_b32 exec_lo, exec_lo, s25
	global_store_b8 v[0:1], v2, off
.LBB86_218:
	s_mov_b32 s26, 0
	s_mov_b32 s25, -1
.LBB86_219:
	s_and_not1_b32 vcc_lo, exec_lo, s26
	s_cbranch_vccnz .LBB86_227
; %bb.220:
	s_cmp_gt_i32 s24, 14
	s_mov_b32 s26, -1
	s_cbranch_scc0 .LBB86_224
; %bb.221:
	s_cmp_eq_u32 s24, 15
	s_mov_b32 s2, -1
	s_cbranch_scc0 .LBB86_223
; %bb.222:
	s_wait_xcnt 0x0
	v_cndmask_b32_e64 v2, 0, 1.0, s1
	s_mov_b32 s25, -1
	s_mov_b32 s2, 0
	s_delay_alu instid0(VALU_DEP_1) | instskip(NEXT) | instid1(VALU_DEP_1)
	v_bfe_u32 v3, v2, 16, 1
	v_add3_u32 v2, v2, v3, 0x7fff
	global_store_d16_hi_b16 v[0:1], v2, off
.LBB86_223:
	s_mov_b32 s26, 0
.LBB86_224:
	s_delay_alu instid0(SALU_CYCLE_1)
	s_and_b32 vcc_lo, exec_lo, s26
	s_cbranch_vccz .LBB86_227
; %bb.225:
	s_cmp_eq_u32 s24, 11
	s_mov_b32 s2, -1
	s_cbranch_scc0 .LBB86_227
; %bb.226:
	s_wait_xcnt 0x0
	v_cndmask_b32_e64 v2, 0, 1, s1
	s_mov_b32 s25, -1
	s_mov_b32 s2, 0
	global_store_b8 v[0:1], v2, off
.LBB86_227:
	s_mov_b32 s24, 0
.LBB86_228:
	s_delay_alu instid0(SALU_CYCLE_1)
	s_and_b32 vcc_lo, exec_lo, s24
	s_cbranch_vccz .LBB86_267
; %bb.229:
	s_and_b32 s18, 0xffff, s18
	s_mov_b32 s24, -1
	s_cmp_lt_i32 s18, 5
	s_cbranch_scc1 .LBB86_250
; %bb.230:
	s_cmp_lt_i32 s18, 8
	s_cbranch_scc1 .LBB86_240
; %bb.231:
	;; [unrolled: 3-line block ×3, first 2 shown]
	s_cmp_gt_i32 s18, 9
	s_cbranch_scc0 .LBB86_234
; %bb.233:
	s_wait_xcnt 0x0
	v_cndmask_b32_e64 v2, 0, 1, s1
	v_mov_b32_e32 v4, 0
	s_mov_b32 s24, 0
	s_delay_alu instid0(VALU_DEP_2) | instskip(NEXT) | instid1(VALU_DEP_2)
	v_cvt_f64_u32_e32 v[2:3], v2
	v_mov_b32_e32 v5, v4
	global_store_b128 v[0:1], v[2:5], off
.LBB86_234:
	s_and_not1_b32 vcc_lo, exec_lo, s24
	s_cbranch_vccnz .LBB86_236
; %bb.235:
	s_wait_xcnt 0x0
	v_cndmask_b32_e64 v2, 0, 1.0, s1
	v_mov_b32_e32 v3, 0
	global_store_b64 v[0:1], v[2:3], off
.LBB86_236:
	s_mov_b32 s24, 0
.LBB86_237:
	s_delay_alu instid0(SALU_CYCLE_1)
	s_and_not1_b32 vcc_lo, exec_lo, s24
	s_cbranch_vccnz .LBB86_239
; %bb.238:
	s_wait_xcnt 0x0
	v_cndmask_b32_e64 v2, 0, 1.0, s1
	s_delay_alu instid0(VALU_DEP_1) | instskip(NEXT) | instid1(VALU_DEP_1)
	v_cvt_f16_f32_e32 v2, v2
	v_and_b32_e32 v2, 0xffff, v2
	global_store_b32 v[0:1], v2, off
.LBB86_239:
	s_mov_b32 s24, 0
.LBB86_240:
	s_delay_alu instid0(SALU_CYCLE_1)
	s_and_not1_b32 vcc_lo, exec_lo, s24
	s_cbranch_vccnz .LBB86_249
; %bb.241:
	s_cmp_lt_i32 s18, 6
	s_mov_b32 s24, -1
	s_cbranch_scc1 .LBB86_247
; %bb.242:
	s_cmp_gt_i32 s18, 6
	s_cbranch_scc0 .LBB86_244
; %bb.243:
	s_wait_xcnt 0x0
	v_cndmask_b32_e64 v2, 0, 1, s1
	s_mov_b32 s24, 0
	s_delay_alu instid0(VALU_DEP_1)
	v_cvt_f64_u32_e32 v[2:3], v2
	global_store_b64 v[0:1], v[2:3], off
.LBB86_244:
	s_and_not1_b32 vcc_lo, exec_lo, s24
	s_cbranch_vccnz .LBB86_246
; %bb.245:
	s_wait_xcnt 0x0
	v_cndmask_b32_e64 v2, 0, 1.0, s1
	global_store_b32 v[0:1], v2, off
.LBB86_246:
	s_mov_b32 s24, 0
.LBB86_247:
	s_delay_alu instid0(SALU_CYCLE_1)
	s_and_not1_b32 vcc_lo, exec_lo, s24
	s_cbranch_vccnz .LBB86_249
; %bb.248:
	s_wait_xcnt 0x0
	v_cndmask_b32_e64 v2, 0, 1.0, s1
	s_delay_alu instid0(VALU_DEP_1)
	v_cvt_f16_f32_e32 v2, v2
	global_store_b16 v[0:1], v2, off
.LBB86_249:
	s_mov_b32 s24, 0
.LBB86_250:
	s_delay_alu instid0(SALU_CYCLE_1)
	s_and_not1_b32 vcc_lo, exec_lo, s24
	s_cbranch_vccnz .LBB86_266
; %bb.251:
	s_cmp_lt_i32 s18, 2
	s_mov_b32 s24, -1
	s_cbranch_scc1 .LBB86_261
; %bb.252:
	s_cmp_lt_i32 s18, 3
	s_cbranch_scc1 .LBB86_258
; %bb.253:
	s_cmp_gt_i32 s18, 3
	s_cbranch_scc0 .LBB86_255
; %bb.254:
	s_mov_b32 s24, 0
	s_wait_xcnt 0x0
	v_cndmask_b32_e64 v2, 0, 1, s1
	v_mov_b32_e32 v3, s24
	global_store_b64 v[0:1], v[2:3], off
.LBB86_255:
	s_and_not1_b32 vcc_lo, exec_lo, s24
	s_cbranch_vccnz .LBB86_257
; %bb.256:
	s_wait_xcnt 0x0
	v_cndmask_b32_e64 v2, 0, 1, s1
	global_store_b32 v[0:1], v2, off
.LBB86_257:
	s_mov_b32 s24, 0
.LBB86_258:
	s_delay_alu instid0(SALU_CYCLE_1)
	s_and_not1_b32 vcc_lo, exec_lo, s24
	s_cbranch_vccnz .LBB86_260
; %bb.259:
	s_wait_xcnt 0x0
	v_cndmask_b32_e64 v2, 0, 1, s1
	global_store_b16 v[0:1], v2, off
.LBB86_260:
	s_mov_b32 s24, 0
.LBB86_261:
	s_delay_alu instid0(SALU_CYCLE_1)
	s_and_not1_b32 vcc_lo, exec_lo, s24
	s_cbranch_vccnz .LBB86_266
; %bb.262:
	s_wait_xcnt 0x0
	v_cndmask_b32_e64 v2, 0, 1, s1
	s_cmp_gt_i32 s18, 0
	s_mov_b32 s1, -1
	s_cbranch_scc0 .LBB86_264
; %bb.263:
	s_mov_b32 s1, 0
	global_store_b8 v[0:1], v2, off
.LBB86_264:
	s_and_not1_b32 vcc_lo, exec_lo, s1
	s_cbranch_vccnz .LBB86_266
; %bb.265:
	global_store_b8 v[0:1], v2, off
.LBB86_266:
	s_mov_b32 s25, -1
.LBB86_267:
	s_delay_alu instid0(SALU_CYCLE_1)
	s_and_not1_b32 vcc_lo, exec_lo, s25
	s_cbranch_vccnz .LBB86_380
; %bb.268:
	v_add_nc_u32_e32 v18, 0x80, v18
	s_mov_b32 s1, -1
	s_branch .LBB86_381
.LBB86_269:
	s_mov_b32 s20, -1
                                        ; implicit-def: $vgpr4_vgpr5
.LBB86_270:
	s_mov_b32 s24, 0
.LBB86_271:
	s_delay_alu instid0(SALU_CYCLE_1)
	s_and_b32 vcc_lo, exec_lo, s24
	s_cbranch_vccz .LBB86_275
; %bb.272:
	s_cmp_eq_u32 s2, 29
	s_cbranch_scc0 .LBB86_274
; %bb.273:
	global_load_b64 v[4:5], v[2:3], off
	s_mov_b32 s18, -1
	s_mov_b32 s20, 0
	s_mov_b32 s24, 0
	s_wait_loadcnt 0x0
	v_cvt_f64_u32_e32 v[6:7], v5
	v_cvt_f64_u32_e32 v[4:5], v4
	s_delay_alu instid0(VALU_DEP_2) | instskip(NEXT) | instid1(VALU_DEP_1)
	v_ldexp_f64 v[6:7], v[6:7], 32
	v_add_f64_e32 v[4:5], v[6:7], v[4:5]
	s_branch .LBB86_276
.LBB86_274:
	s_mov_b32 s20, -1
                                        ; implicit-def: $vgpr4_vgpr5
.LBB86_275:
	s_mov_b32 s24, 0
.LBB86_276:
	s_delay_alu instid0(SALU_CYCLE_1)
	s_and_b32 vcc_lo, exec_lo, s24
	s_cbranch_vccz .LBB86_294
; %bb.277:
	s_cmp_lt_i32 s2, 27
	s_cbranch_scc1 .LBB86_280
; %bb.278:
	s_cmp_gt_i32 s2, 27
	s_cbranch_scc0 .LBB86_281
; %bb.279:
	global_load_b32 v4, v[2:3], off
	s_mov_b32 s18, 0
	s_wait_loadcnt 0x0
	v_cvt_f64_u32_e32 v[4:5], v4
	s_branch .LBB86_282
.LBB86_280:
	s_mov_b32 s18, -1
                                        ; implicit-def: $vgpr4_vgpr5
	s_branch .LBB86_285
.LBB86_281:
	s_mov_b32 s18, -1
                                        ; implicit-def: $vgpr4_vgpr5
.LBB86_282:
	s_delay_alu instid0(SALU_CYCLE_1)
	s_and_not1_b32 vcc_lo, exec_lo, s18
	s_cbranch_vccnz .LBB86_284
; %bb.283:
	global_load_u16 v4, v[2:3], off
	s_wait_loadcnt 0x0
	v_cvt_f64_u32_e32 v[4:5], v4
.LBB86_284:
	s_mov_b32 s18, 0
.LBB86_285:
	s_delay_alu instid0(SALU_CYCLE_1)
	s_and_not1_b32 vcc_lo, exec_lo, s18
	s_cbranch_vccnz .LBB86_293
; %bb.286:
	global_load_u8 v6, v[2:3], off
	s_mov_b32 s18, 0
	s_mov_b32 s24, exec_lo
	s_wait_loadcnt 0x0
	v_cmpx_lt_i16_e32 0x7f, v6
	s_xor_b32 s24, exec_lo, s24
	s_cbranch_execz .LBB86_307
; %bb.287:
	s_mov_b32 s18, -1
	s_mov_b32 s25, exec_lo
	v_cmpx_eq_u16_e32 0x80, v6
; %bb.288:
	s_xor_b32 s18, exec_lo, -1
; %bb.289:
	s_or_b32 exec_lo, exec_lo, s25
	s_delay_alu instid0(SALU_CYCLE_1)
	s_and_b32 s18, s18, exec_lo
	s_or_saveexec_b32 s24, s24
	v_mov_b64_e32 v[4:5], 0x7ff8000020000000
	s_xor_b32 exec_lo, exec_lo, s24
	s_cbranch_execnz .LBB86_308
.LBB86_290:
	s_or_b32 exec_lo, exec_lo, s24
	s_and_saveexec_b32 s24, s18
	s_cbranch_execz .LBB86_292
.LBB86_291:
	v_and_b32_e32 v4, 0xffff, v6
	s_delay_alu instid0(VALU_DEP_1) | instskip(SKIP_1) | instid1(VALU_DEP_2)
	v_and_b32_e32 v5, 7, v4
	v_bfe_u32 v9, v4, 3, 4
	v_clz_i32_u32_e32 v7, v5
	s_delay_alu instid0(VALU_DEP_2) | instskip(NEXT) | instid1(VALU_DEP_2)
	v_cmp_eq_u32_e32 vcc_lo, 0, v9
	v_min_u32_e32 v7, 32, v7
	s_delay_alu instid0(VALU_DEP_1) | instskip(NEXT) | instid1(VALU_DEP_1)
	v_subrev_nc_u32_e32 v8, 28, v7
	v_dual_lshlrev_b32 v4, v8, v4 :: v_dual_sub_nc_u32 v7, 29, v7
	s_delay_alu instid0(VALU_DEP_1) | instskip(NEXT) | instid1(VALU_DEP_2)
	v_dual_lshlrev_b32 v6, 24, v6 :: v_dual_bitop2_b32 v4, 7, v4 bitop3:0x40
	v_cndmask_b32_e32 v7, v9, v7, vcc_lo
	s_delay_alu instid0(VALU_DEP_2) | instskip(NEXT) | instid1(VALU_DEP_3)
	v_cndmask_b32_e32 v4, v5, v4, vcc_lo
	v_and_b32_e32 v5, 0x80000000, v6
	s_delay_alu instid0(VALU_DEP_3) | instskip(NEXT) | instid1(VALU_DEP_3)
	v_lshl_add_u32 v6, v7, 23, 0x3b800000
	v_lshlrev_b32_e32 v4, 20, v4
	s_delay_alu instid0(VALU_DEP_1) | instskip(NEXT) | instid1(VALU_DEP_1)
	v_or3_b32 v4, v5, v6, v4
	v_cvt_f64_f32_e32 v[4:5], v4
.LBB86_292:
	s_or_b32 exec_lo, exec_lo, s24
.LBB86_293:
	s_mov_b32 s18, -1
.LBB86_294:
	s_mov_b32 s24, 0
.LBB86_295:
	s_delay_alu instid0(SALU_CYCLE_1)
	s_and_b32 vcc_lo, exec_lo, s24
	s_cbranch_vccz .LBB86_330
; %bb.296:
	s_cmp_gt_i32 s2, 22
	s_cbranch_scc0 .LBB86_306
; %bb.297:
	s_cmp_lt_i32 s2, 24
	s_cbranch_scc1 .LBB86_309
; %bb.298:
	s_cmp_gt_i32 s2, 24
	s_cbranch_scc0 .LBB86_310
; %bb.299:
	global_load_u8 v6, v[2:3], off
	s_mov_b32 s18, 0
	s_mov_b32 s24, exec_lo
	s_wait_loadcnt 0x0
	v_cmpx_lt_i16_e32 0x7f, v6
	s_xor_b32 s24, exec_lo, s24
	s_cbranch_execz .LBB86_322
; %bb.300:
	s_mov_b32 s18, -1
	s_mov_b32 s25, exec_lo
	v_cmpx_eq_u16_e32 0x80, v6
; %bb.301:
	s_xor_b32 s18, exec_lo, -1
; %bb.302:
	s_or_b32 exec_lo, exec_lo, s25
	s_delay_alu instid0(SALU_CYCLE_1)
	s_and_b32 s18, s18, exec_lo
	s_or_saveexec_b32 s24, s24
	v_mov_b64_e32 v[4:5], 0x7ff8000020000000
	s_xor_b32 exec_lo, exec_lo, s24
	s_cbranch_execnz .LBB86_323
.LBB86_303:
	s_or_b32 exec_lo, exec_lo, s24
	s_and_saveexec_b32 s24, s18
	s_cbranch_execz .LBB86_305
.LBB86_304:
	v_and_b32_e32 v4, 0xffff, v6
	s_delay_alu instid0(VALU_DEP_1) | instskip(SKIP_1) | instid1(VALU_DEP_2)
	v_and_b32_e32 v5, 3, v4
	v_bfe_u32 v9, v4, 2, 5
	v_clz_i32_u32_e32 v7, v5
	s_delay_alu instid0(VALU_DEP_2) | instskip(NEXT) | instid1(VALU_DEP_2)
	v_cmp_eq_u32_e32 vcc_lo, 0, v9
	v_min_u32_e32 v7, 32, v7
	s_delay_alu instid0(VALU_DEP_1) | instskip(NEXT) | instid1(VALU_DEP_1)
	v_subrev_nc_u32_e32 v8, 29, v7
	v_dual_lshlrev_b32 v4, v8, v4 :: v_dual_sub_nc_u32 v7, 30, v7
	s_delay_alu instid0(VALU_DEP_1) | instskip(NEXT) | instid1(VALU_DEP_2)
	v_dual_lshlrev_b32 v6, 24, v6 :: v_dual_bitop2_b32 v4, 3, v4 bitop3:0x40
	v_cndmask_b32_e32 v7, v9, v7, vcc_lo
	s_delay_alu instid0(VALU_DEP_2) | instskip(NEXT) | instid1(VALU_DEP_3)
	v_cndmask_b32_e32 v4, v5, v4, vcc_lo
	v_and_b32_e32 v5, 0x80000000, v6
	s_delay_alu instid0(VALU_DEP_3) | instskip(NEXT) | instid1(VALU_DEP_3)
	v_lshl_add_u32 v6, v7, 23, 0x37800000
	v_lshlrev_b32_e32 v4, 21, v4
	s_delay_alu instid0(VALU_DEP_1) | instskip(NEXT) | instid1(VALU_DEP_1)
	v_or3_b32 v4, v5, v6, v4
	v_cvt_f64_f32_e32 v[4:5], v4
.LBB86_305:
	s_or_b32 exec_lo, exec_lo, s24
	s_mov_b32 s18, 0
	s_branch .LBB86_311
.LBB86_306:
	s_mov_b32 s24, -1
                                        ; implicit-def: $vgpr4_vgpr5
	s_branch .LBB86_317
.LBB86_307:
	s_or_saveexec_b32 s24, s24
	v_mov_b64_e32 v[4:5], 0x7ff8000020000000
	s_xor_b32 exec_lo, exec_lo, s24
	s_cbranch_execz .LBB86_290
.LBB86_308:
	v_cmp_ne_u16_e32 vcc_lo, 0, v6
	v_mov_b64_e32 v[4:5], 0
	s_and_not1_b32 s18, s18, exec_lo
	s_and_b32 s25, vcc_lo, exec_lo
	s_delay_alu instid0(SALU_CYCLE_1)
	s_or_b32 s18, s18, s25
	s_or_b32 exec_lo, exec_lo, s24
	s_and_saveexec_b32 s24, s18
	s_cbranch_execnz .LBB86_291
	s_branch .LBB86_292
.LBB86_309:
	s_mov_b32 s18, -1
                                        ; implicit-def: $vgpr4_vgpr5
	s_branch .LBB86_314
.LBB86_310:
	s_mov_b32 s18, -1
                                        ; implicit-def: $vgpr4_vgpr5
.LBB86_311:
	s_delay_alu instid0(SALU_CYCLE_1)
	s_and_b32 vcc_lo, exec_lo, s18
	s_cbranch_vccz .LBB86_313
; %bb.312:
	global_load_u8 v4, v[2:3], off
	s_wait_loadcnt 0x0
	v_lshlrev_b32_e32 v4, 24, v4
	s_delay_alu instid0(VALU_DEP_1) | instskip(NEXT) | instid1(VALU_DEP_1)
	v_and_b32_e32 v5, 0x7f000000, v4
	v_clz_i32_u32_e32 v6, v5
	v_cmp_ne_u32_e32 vcc_lo, 0, v5
	v_add_nc_u32_e32 v8, 0x1000000, v5
	s_delay_alu instid0(VALU_DEP_3) | instskip(NEXT) | instid1(VALU_DEP_1)
	v_min_u32_e32 v6, 32, v6
	v_sub_nc_u32_e64 v6, v6, 4 clamp
	s_delay_alu instid0(VALU_DEP_1) | instskip(NEXT) | instid1(VALU_DEP_1)
	v_dual_lshlrev_b32 v7, v6, v5 :: v_dual_lshlrev_b32 v6, 23, v6
	v_lshrrev_b32_e32 v7, 4, v7
	s_delay_alu instid0(VALU_DEP_1) | instskip(NEXT) | instid1(VALU_DEP_1)
	v_dual_sub_nc_u32 v6, v7, v6 :: v_dual_ashrrev_i32 v7, 8, v8
	v_add_nc_u32_e32 v6, 0x3c000000, v6
	s_delay_alu instid0(VALU_DEP_1) | instskip(NEXT) | instid1(VALU_DEP_1)
	v_and_or_b32 v6, 0x7f800000, v7, v6
	v_cndmask_b32_e32 v5, 0, v6, vcc_lo
	s_delay_alu instid0(VALU_DEP_1) | instskip(NEXT) | instid1(VALU_DEP_1)
	v_and_or_b32 v4, 0x80000000, v4, v5
	v_cvt_f64_f32_e32 v[4:5], v4
.LBB86_313:
	s_mov_b32 s18, 0
.LBB86_314:
	s_delay_alu instid0(SALU_CYCLE_1)
	s_and_not1_b32 vcc_lo, exec_lo, s18
	s_cbranch_vccnz .LBB86_316
; %bb.315:
	global_load_u8 v4, v[2:3], off
	s_wait_loadcnt 0x0
	v_lshlrev_b32_e32 v5, 25, v4
	v_lshlrev_b16 v4, 8, v4
	s_delay_alu instid0(VALU_DEP_1) | instskip(SKIP_1) | instid1(VALU_DEP_2)
	v_and_or_b32 v7, 0x7f00, v4, 0.5
	v_bfe_i32 v4, v4, 0, 16
	v_dual_add_f32 v7, -0.5, v7 :: v_dual_lshrrev_b32 v6, 4, v5
	v_cmp_gt_u32_e32 vcc_lo, 0x8000000, v5
	s_delay_alu instid0(VALU_DEP_2) | instskip(NEXT) | instid1(VALU_DEP_1)
	v_or_b32_e32 v6, 0x70000000, v6
	v_mul_f32_e32 v6, 0x7800000, v6
	s_delay_alu instid0(VALU_DEP_1) | instskip(NEXT) | instid1(VALU_DEP_1)
	v_cndmask_b32_e32 v5, v6, v7, vcc_lo
	v_and_or_b32 v4, 0x80000000, v4, v5
	s_delay_alu instid0(VALU_DEP_1)
	v_cvt_f64_f32_e32 v[4:5], v4
.LBB86_316:
	s_mov_b32 s24, 0
	s_mov_b32 s18, -1
.LBB86_317:
	s_and_not1_b32 vcc_lo, exec_lo, s24
	s_cbranch_vccnz .LBB86_330
; %bb.318:
	s_cmp_gt_i32 s2, 14
	s_cbranch_scc0 .LBB86_321
; %bb.319:
	s_cmp_eq_u32 s2, 15
	s_cbranch_scc0 .LBB86_324
; %bb.320:
	global_load_u16 v4, v[2:3], off
	s_mov_b32 s18, -1
	s_mov_b32 s20, 0
	s_wait_loadcnt 0x0
	v_lshlrev_b32_e32 v4, 16, v4
	s_delay_alu instid0(VALU_DEP_1)
	v_cvt_f64_f32_e32 v[4:5], v4
	s_branch .LBB86_325
.LBB86_321:
	s_mov_b32 s24, -1
                                        ; implicit-def: $vgpr4_vgpr5
	s_branch .LBB86_326
.LBB86_322:
	s_or_saveexec_b32 s24, s24
	v_mov_b64_e32 v[4:5], 0x7ff8000020000000
	s_xor_b32 exec_lo, exec_lo, s24
	s_cbranch_execz .LBB86_303
.LBB86_323:
	v_cmp_ne_u16_e32 vcc_lo, 0, v6
	v_mov_b64_e32 v[4:5], 0
	s_and_not1_b32 s18, s18, exec_lo
	s_and_b32 s25, vcc_lo, exec_lo
	s_delay_alu instid0(SALU_CYCLE_1)
	s_or_b32 s18, s18, s25
	s_or_b32 exec_lo, exec_lo, s24
	s_and_saveexec_b32 s24, s18
	s_cbranch_execnz .LBB86_304
	s_branch .LBB86_305
.LBB86_324:
	s_mov_b32 s20, -1
                                        ; implicit-def: $vgpr4_vgpr5
.LBB86_325:
	s_mov_b32 s24, 0
.LBB86_326:
	s_delay_alu instid0(SALU_CYCLE_1)
	s_and_b32 vcc_lo, exec_lo, s24
	s_cbranch_vccz .LBB86_330
; %bb.327:
	s_cmp_eq_u32 s2, 11
	s_cbranch_scc0 .LBB86_329
; %bb.328:
	global_load_u8 v4, v[2:3], off
	s_mov_b32 s20, 0
	s_mov_b32 s18, -1
	s_wait_loadcnt 0x0
	v_cmp_ne_u16_e32 vcc_lo, 0, v4
	v_mov_b32_e32 v4, 0
	v_cndmask_b32_e64 v5, 0, 0x3ff00000, vcc_lo
	s_branch .LBB86_330
.LBB86_329:
	s_mov_b32 s20, -1
                                        ; implicit-def: $vgpr4_vgpr5
.LBB86_330:
	s_branch .LBB86_20
.LBB86_331:
	s_and_b32 s1, 0xffff, s1
	s_delay_alu instid0(SALU_CYCLE_1)
	s_cmp_lt_i32 s1, 5
	s_cbranch_scc1 .LBB86_336
; %bb.332:
	s_cmp_lt_i32 s1, 8
	s_cbranch_scc1 .LBB86_337
; %bb.333:
	s_cmp_lt_i32 s1, 9
	s_cbranch_scc1 .LBB86_338
; %bb.334:
	s_cmp_gt_i32 s1, 9
	s_cbranch_scc0 .LBB86_339
; %bb.335:
	global_load_b64 v[4:5], v[2:3], off
	s_mov_b32 s2, 0
	s_branch .LBB86_340
.LBB86_336:
	s_mov_b32 s2, -1
                                        ; implicit-def: $vgpr4_vgpr5
	s_branch .LBB86_358
.LBB86_337:
	s_mov_b32 s2, -1
                                        ; implicit-def: $vgpr4_vgpr5
	s_branch .LBB86_346
.LBB86_338:
	s_mov_b32 s2, -1
                                        ; implicit-def: $vgpr4_vgpr5
	s_branch .LBB86_343
.LBB86_339:
	s_mov_b32 s2, -1
                                        ; implicit-def: $vgpr4_vgpr5
.LBB86_340:
	s_delay_alu instid0(SALU_CYCLE_1)
	s_and_not1_b32 vcc_lo, exec_lo, s2
	s_cbranch_vccnz .LBB86_342
; %bb.341:
	s_wait_loadcnt 0x0
	global_load_b32 v4, v[2:3], off
	s_wait_loadcnt 0x0
	v_cvt_f64_f32_e32 v[4:5], v4
.LBB86_342:
	s_mov_b32 s2, 0
.LBB86_343:
	s_delay_alu instid0(SALU_CYCLE_1)
	s_and_not1_b32 vcc_lo, exec_lo, s2
	s_cbranch_vccnz .LBB86_345
; %bb.344:
	s_wait_loadcnt 0x0
	global_load_b32 v4, v[2:3], off
	s_wait_loadcnt 0x0
	v_cvt_f32_f16_e32 v4, v4
	s_delay_alu instid0(VALU_DEP_1)
	v_cvt_f64_f32_e32 v[4:5], v4
.LBB86_345:
	s_mov_b32 s2, 0
.LBB86_346:
	s_delay_alu instid0(SALU_CYCLE_1)
	s_and_not1_b32 vcc_lo, exec_lo, s2
	s_cbranch_vccnz .LBB86_357
; %bb.347:
	s_cmp_lt_i32 s1, 6
	s_cbranch_scc1 .LBB86_350
; %bb.348:
	s_cmp_gt_i32 s1, 6
	s_cbranch_scc0 .LBB86_351
; %bb.349:
	s_wait_loadcnt 0x0
	global_load_b64 v[4:5], v[2:3], off
	s_mov_b32 s2, 0
	s_branch .LBB86_352
.LBB86_350:
	s_mov_b32 s2, -1
                                        ; implicit-def: $vgpr4_vgpr5
	s_branch .LBB86_355
.LBB86_351:
	s_mov_b32 s2, -1
                                        ; implicit-def: $vgpr4_vgpr5
.LBB86_352:
	s_delay_alu instid0(SALU_CYCLE_1)
	s_and_not1_b32 vcc_lo, exec_lo, s2
	s_cbranch_vccnz .LBB86_354
; %bb.353:
	s_wait_loadcnt 0x0
	global_load_b32 v4, v[2:3], off
	s_wait_loadcnt 0x0
	v_cvt_f64_f32_e32 v[4:5], v4
.LBB86_354:
	s_mov_b32 s2, 0
.LBB86_355:
	s_delay_alu instid0(SALU_CYCLE_1)
	s_and_not1_b32 vcc_lo, exec_lo, s2
	s_cbranch_vccnz .LBB86_357
; %bb.356:
	s_wait_loadcnt 0x0
	global_load_u16 v4, v[2:3], off
	s_wait_loadcnt 0x0
	v_cvt_f32_f16_e32 v4, v4
	s_delay_alu instid0(VALU_DEP_1)
	v_cvt_f64_f32_e32 v[4:5], v4
.LBB86_357:
	s_mov_b32 s2, 0
.LBB86_358:
	s_delay_alu instid0(SALU_CYCLE_1)
	s_and_not1_b32 vcc_lo, exec_lo, s2
	s_cbranch_vccnz .LBB86_378
; %bb.359:
	s_cmp_lt_i32 s1, 2
	s_cbranch_scc1 .LBB86_363
; %bb.360:
	s_cmp_lt_i32 s1, 3
	s_cbranch_scc1 .LBB86_364
; %bb.361:
	s_cmp_gt_i32 s1, 3
	s_cbranch_scc0 .LBB86_365
; %bb.362:
	s_wait_loadcnt 0x0
	global_load_b64 v[4:5], v[2:3], off
	s_mov_b32 s2, 0
	s_wait_loadcnt 0x0
	v_cvt_f64_i32_e32 v[6:7], v5
	v_cvt_f64_u32_e32 v[4:5], v4
	s_delay_alu instid0(VALU_DEP_2) | instskip(NEXT) | instid1(VALU_DEP_1)
	v_ldexp_f64 v[6:7], v[6:7], 32
	v_add_f64_e32 v[4:5], v[6:7], v[4:5]
	s_branch .LBB86_366
.LBB86_363:
	s_mov_b32 s2, -1
                                        ; implicit-def: $vgpr4_vgpr5
	s_branch .LBB86_372
.LBB86_364:
	s_mov_b32 s2, -1
                                        ; implicit-def: $vgpr4_vgpr5
	s_branch .LBB86_369
.LBB86_365:
	s_mov_b32 s2, -1
                                        ; implicit-def: $vgpr4_vgpr5
.LBB86_366:
	s_delay_alu instid0(SALU_CYCLE_1)
	s_and_not1_b32 vcc_lo, exec_lo, s2
	s_cbranch_vccnz .LBB86_368
; %bb.367:
	s_wait_loadcnt 0x0
	global_load_b32 v4, v[2:3], off
	s_wait_loadcnt 0x0
	v_cvt_f64_i32_e32 v[4:5], v4
.LBB86_368:
	s_mov_b32 s2, 0
.LBB86_369:
	s_delay_alu instid0(SALU_CYCLE_1)
	s_and_not1_b32 vcc_lo, exec_lo, s2
	s_cbranch_vccnz .LBB86_371
; %bb.370:
	s_wait_loadcnt 0x0
	global_load_i16 v4, v[2:3], off
	s_wait_loadcnt 0x0
	v_cvt_f64_i32_e32 v[4:5], v4
.LBB86_371:
	s_mov_b32 s2, 0
.LBB86_372:
	s_delay_alu instid0(SALU_CYCLE_1)
	s_and_not1_b32 vcc_lo, exec_lo, s2
	s_cbranch_vccnz .LBB86_378
; %bb.373:
	s_cmp_gt_i32 s1, 0
	s_mov_b32 s1, 0
	s_cbranch_scc0 .LBB86_375
; %bb.374:
	s_wait_loadcnt 0x0
	global_load_i8 v4, v[2:3], off
	s_wait_loadcnt 0x0
	v_cvt_f64_i32_e32 v[4:5], v4
	s_branch .LBB86_376
.LBB86_375:
	s_mov_b32 s1, -1
                                        ; implicit-def: $vgpr4_vgpr5
.LBB86_376:
	s_delay_alu instid0(SALU_CYCLE_1)
	s_and_not1_b32 vcc_lo, exec_lo, s1
	s_cbranch_vccnz .LBB86_378
; %bb.377:
	global_load_u8 v2, v[2:3], off
	s_wait_loadcnt 0x0
	v_cvt_f64_u32_e32 v[4:5], v2
.LBB86_378:
	s_branch .LBB86_21
.LBB86_379:
	s_mov_b32 s2, 0
.LBB86_380:
	s_mov_b32 s1, 0
                                        ; implicit-def: $vgpr18
.LBB86_381:
	s_and_b32 s18, s2, exec_lo
	s_and_b32 s20, s20, exec_lo
	;; [unrolled: 1-line block ×3, first 2 shown]
	s_or_not1_b32 s1, s1, exec_lo
.LBB86_382:
	s_wait_xcnt 0x0
	s_or_b32 exec_lo, exec_lo, s22
	s_mov_b32 s25, 0
	s_mov_b32 s24, 0
                                        ; implicit-def: $sgpr2
                                        ; implicit-def: $vgpr2_vgpr3
                                        ; implicit-def: $vgpr0_vgpr1
	s_and_saveexec_b32 s22, s1
	s_cbranch_execz .LBB86_391
; %bb.383:
	s_mov_b32 s29, -1
	s_mov_b32 s23, s21
	s_mov_b32 s25, s20
	;; [unrolled: 1-line block ×3, first 2 shown]
	s_mov_b32 s26, exec_lo
	v_cmpx_gt_i32_e64 s19, v18
	s_cbranch_execz .LBB86_775
; %bb.384:
	s_wait_loadcnt 0x0
	v_mul_lo_u32 v0, v18, s9
	s_and_b32 s1, s16, 0xff
	s_delay_alu instid0(SALU_CYCLE_1) | instskip(NEXT) | instid1(VALU_DEP_1)
	s_cmp_lt_i32 s1, 11
	v_ashrrev_i32_e32 v1, 31, v0
	s_delay_alu instid0(VALU_DEP_1)
	v_add_nc_u64_e32 v[2:3], s[6:7], v[0:1]
	s_cbranch_scc1 .LBB86_394
; %bb.385:
	s_and_b32 s2, 0xffff, s1
	s_delay_alu instid0(SALU_CYCLE_1)
	s_cmp_gt_i32 s2, 25
	s_cbranch_scc0 .LBB86_403
; %bb.386:
	s_cmp_gt_i32 s2, 28
	s_cbranch_scc0 .LBB86_405
; %bb.387:
	;; [unrolled: 3-line block ×4, first 2 shown]
	s_cmp_eq_u32 s2, 46
	s_mov_b32 s25, 0
	s_cbranch_scc0 .LBB86_413
; %bb.390:
	global_load_b32 v0, v[2:3], off
	s_mov_b32 s24, -1
	s_mov_b32 s23, 0
	s_wait_loadcnt 0x0
	v_lshlrev_b32_e32 v0, 16, v0
	s_delay_alu instid0(VALU_DEP_1)
	v_cvt_f64_f32_e32 v[0:1], v0
	s_branch .LBB86_415
.LBB86_391:
	s_or_b32 exec_lo, exec_lo, s22
	s_mov_b32 s1, 0
	s_and_saveexec_b32 s19, s21
	s_cbranch_execnz .LBB86_1251
.LBB86_392:
	s_or_b32 exec_lo, exec_lo, s19
	s_and_saveexec_b32 s19, s23
	s_delay_alu instid0(SALU_CYCLE_1)
	s_xor_b32 s19, exec_lo, s19
	s_cbranch_execz .LBB86_1252
.LBB86_393:
	s_wait_loadcnt 0x0
	global_load_u8 v0, v[2:3], off
	s_or_b32 s24, s24, exec_lo
	s_wait_loadcnt 0x0
	v_cmp_ne_u16_e32 vcc_lo, 0, v0
	v_mov_b32_e32 v0, 0
	v_cndmask_b32_e64 v1, 0, 0x3ff00000, vcc_lo
	s_wait_xcnt 0x0
	s_or_b32 exec_lo, exec_lo, s19
	s_and_saveexec_b32 s19, s25
	s_cbranch_execz .LBB86_1298
	s_branch .LBB86_1253
.LBB86_394:
	s_mov_b32 s24, 0
	s_mov_b32 s23, s21
                                        ; implicit-def: $vgpr0_vgpr1
	s_cbranch_execnz .LBB86_481
.LBB86_395:
	s_and_not1_b32 vcc_lo, exec_lo, s24
	s_cbranch_vccnz .LBB86_529
.LBB86_396:
	s_wait_xcnt 0x0
	v_mul_lo_u32 v2, v18, s10
	s_and_b32 s1, s14, 0xff
	s_delay_alu instid0(SALU_CYCLE_1) | instskip(NEXT) | instid1(VALU_DEP_1)
	s_cmp_lt_i32 s1, 11
	v_ashrrev_i32_e32 v3, 31, v2
	s_delay_alu instid0(VALU_DEP_1)
	v_add_nc_u64_e32 v[2:3], s[12:13], v[2:3]
	s_cbranch_scc1 .LBB86_404
; %bb.397:
	s_and_b32 s2, 0xffff, s1
	s_delay_alu instid0(SALU_CYCLE_1)
	s_cmp_gt_i32 s2, 25
	s_cbranch_scc0 .LBB86_406
; %bb.398:
	s_cmp_gt_i32 s2, 28
	s_cbranch_scc0 .LBB86_408
; %bb.399:
	;; [unrolled: 3-line block ×4, first 2 shown]
	s_cmp_eq_u32 s2, 46
	s_mov_b32 s27, 0
	s_cbranch_scc0 .LBB86_532
; %bb.402:
	global_load_b32 v4, v[2:3], off
	s_mov_b32 s24, -1
	s_mov_b32 s25, 0
	s_wait_loadcnt 0x0
	v_lshlrev_b32_e32 v4, 16, v4
	s_delay_alu instid0(VALU_DEP_1)
	v_cvt_f64_f32_e32 v[4:5], v4
	s_branch .LBB86_534
.LBB86_403:
	s_mov_b32 s25, -1
	s_mov_b32 s24, 0
	s_mov_b32 s23, s21
                                        ; implicit-def: $vgpr0_vgpr1
	s_branch .LBB86_445
.LBB86_404:
	s_mov_b32 s2, -1
	s_mov_b32 s24, 0
	s_mov_b32 s25, s20
                                        ; implicit-def: $vgpr4_vgpr5
	s_branch .LBB86_599
.LBB86_405:
	s_mov_b32 s25, -1
	s_mov_b32 s24, 0
	s_mov_b32 s23, s21
                                        ; implicit-def: $vgpr0_vgpr1
	s_branch .LBB86_426
.LBB86_406:
	s_mov_b32 s27, -1
	s_mov_b32 s24, 0
	s_mov_b32 s25, s20
                                        ; implicit-def: $vgpr4_vgpr5
	s_branch .LBB86_563
.LBB86_407:
	s_mov_b32 s25, -1
	s_mov_b32 s24, 0
	s_mov_b32 s23, s21
                                        ; implicit-def: $vgpr0_vgpr1
	s_branch .LBB86_421
.LBB86_408:
	s_mov_b32 s27, -1
	s_mov_b32 s24, 0
	s_mov_b32 s25, s20
                                        ; implicit-def: $vgpr4_vgpr5
	s_branch .LBB86_544
.LBB86_409:
	s_mov_b32 s25, -1
	s_mov_b32 s24, 0
	s_mov_b32 s23, s21
	s_branch .LBB86_414
.LBB86_410:
	s_mov_b32 s27, -1
	s_mov_b32 s24, 0
	s_mov_b32 s25, s20
                                        ; implicit-def: $vgpr4_vgpr5
	s_branch .LBB86_539
.LBB86_411:
	s_and_not1_saveexec_b32 s27, s27
	s_cbranch_execz .LBB86_180
.LBB86_412:
	v_add_f32_e32 v2, 0x46000000, v3
	s_and_not1_b32 s26, s26, exec_lo
	s_delay_alu instid0(VALU_DEP_1) | instskip(NEXT) | instid1(VALU_DEP_1)
	v_and_b32_e32 v2, 0xff, v2
	v_cmp_ne_u32_e32 vcc_lo, 0, v2
	s_and_b32 s28, vcc_lo, exec_lo
	s_delay_alu instid0(SALU_CYCLE_1)
	s_or_b32 s26, s26, s28
	s_or_b32 exec_lo, exec_lo, s27
	v_mov_b32_e32 v4, 0
	s_and_saveexec_b32 s27, s26
	s_cbranch_execnz .LBB86_181
	s_branch .LBB86_182
.LBB86_413:
	s_mov_b32 s23, -1
	s_mov_b32 s24, 0
.LBB86_414:
                                        ; implicit-def: $vgpr0_vgpr1
.LBB86_415:
	s_and_b32 vcc_lo, exec_lo, s25
	s_cbranch_vccz .LBB86_420
; %bb.416:
	s_cmp_eq_u32 s2, 44
	s_cbranch_scc0 .LBB86_419
; %bb.417:
	global_load_u8 v4, v[2:3], off
	s_mov_b32 s23, 0
	s_mov_b32 s24, -1
	s_wait_loadcnt 0x0
	v_cmp_ne_u32_e32 vcc_lo, 0xff, v4
	v_lshlrev_b32_e32 v0, 23, v4
	s_delay_alu instid0(VALU_DEP_1) | instskip(NEXT) | instid1(VALU_DEP_1)
	v_cvt_f64_f32_e32 v[0:1], v0
	v_cndmask_b32_e32 v0, 0x20000000, v0, vcc_lo
	s_delay_alu instid0(VALU_DEP_2) | instskip(SKIP_1) | instid1(VALU_DEP_2)
	v_cndmask_b32_e32 v1, 0x7ff80000, v1, vcc_lo
	v_cmp_ne_u32_e32 vcc_lo, 0, v4
	v_cndmask_b32_e32 v1, 0x38000000, v1, vcc_lo
	s_delay_alu instid0(VALU_DEP_4)
	v_cndmask_b32_e32 v0, 0, v0, vcc_lo
	s_branch .LBB86_420
.LBB86_418:
	s_mov_b32 s27, -1
	s_mov_b32 s24, 0
	s_mov_b32 s25, s20
	s_branch .LBB86_533
.LBB86_419:
	s_mov_b32 s23, -1
                                        ; implicit-def: $vgpr0_vgpr1
.LBB86_420:
	s_mov_b32 s25, 0
.LBB86_421:
	s_delay_alu instid0(SALU_CYCLE_1)
	s_and_b32 vcc_lo, exec_lo, s25
	s_cbranch_vccz .LBB86_425
; %bb.422:
	s_cmp_eq_u32 s2, 29
	s_cbranch_scc0 .LBB86_424
; %bb.423:
	global_load_b64 v[0:1], v[2:3], off
	s_mov_b32 s24, -1
	s_mov_b32 s23, 0
	s_mov_b32 s25, 0
	s_wait_loadcnt 0x0
	v_cvt_f64_u32_e32 v[4:5], v1
	v_cvt_f64_u32_e32 v[0:1], v0
	s_delay_alu instid0(VALU_DEP_2) | instskip(NEXT) | instid1(VALU_DEP_1)
	v_ldexp_f64 v[4:5], v[4:5], 32
	v_add_f64_e32 v[0:1], v[4:5], v[0:1]
	s_branch .LBB86_426
.LBB86_424:
	s_mov_b32 s23, -1
                                        ; implicit-def: $vgpr0_vgpr1
.LBB86_425:
	s_mov_b32 s25, 0
.LBB86_426:
	s_delay_alu instid0(SALU_CYCLE_1)
	s_and_b32 vcc_lo, exec_lo, s25
	s_cbranch_vccz .LBB86_444
; %bb.427:
	s_cmp_lt_i32 s2, 27
	s_cbranch_scc1 .LBB86_430
; %bb.428:
	s_cmp_gt_i32 s2, 27
	s_cbranch_scc0 .LBB86_431
; %bb.429:
	global_load_b32 v0, v[2:3], off
	s_mov_b32 s24, 0
	s_wait_loadcnt 0x0
	v_cvt_f64_u32_e32 v[0:1], v0
	s_branch .LBB86_432
.LBB86_430:
	s_mov_b32 s24, -1
                                        ; implicit-def: $vgpr0_vgpr1
	s_branch .LBB86_435
.LBB86_431:
	s_mov_b32 s24, -1
                                        ; implicit-def: $vgpr0_vgpr1
.LBB86_432:
	s_delay_alu instid0(SALU_CYCLE_1)
	s_and_not1_b32 vcc_lo, exec_lo, s24
	s_cbranch_vccnz .LBB86_434
; %bb.433:
	global_load_u16 v0, v[2:3], off
	s_wait_loadcnt 0x0
	v_cvt_f64_u32_e32 v[0:1], v0
.LBB86_434:
	s_mov_b32 s24, 0
.LBB86_435:
	s_delay_alu instid0(SALU_CYCLE_1)
	s_and_not1_b32 vcc_lo, exec_lo, s24
	s_cbranch_vccnz .LBB86_443
; %bb.436:
	global_load_u8 v4, v[2:3], off
	s_mov_b32 s24, 0
	s_mov_b32 s25, exec_lo
	s_wait_loadcnt 0x0
	v_cmpx_lt_i16_e32 0x7f, v4
	s_xor_b32 s25, exec_lo, s25
	s_cbranch_execz .LBB86_457
; %bb.437:
	s_mov_b32 s24, -1
	s_mov_b32 s27, exec_lo
	v_cmpx_eq_u16_e32 0x80, v4
; %bb.438:
	s_xor_b32 s24, exec_lo, -1
; %bb.439:
	s_or_b32 exec_lo, exec_lo, s27
	s_delay_alu instid0(SALU_CYCLE_1)
	s_and_b32 s24, s24, exec_lo
	s_or_saveexec_b32 s25, s25
	v_mov_b64_e32 v[0:1], 0x7ff8000020000000
	s_xor_b32 exec_lo, exec_lo, s25
	s_cbranch_execnz .LBB86_458
.LBB86_440:
	s_or_b32 exec_lo, exec_lo, s25
	s_and_saveexec_b32 s25, s24
	s_cbranch_execz .LBB86_442
.LBB86_441:
	v_and_b32_e32 v0, 0xffff, v4
	s_delay_alu instid0(VALU_DEP_1) | instskip(SKIP_1) | instid1(VALU_DEP_2)
	v_and_b32_e32 v1, 7, v0
	v_bfe_u32 v7, v0, 3, 4
	v_clz_i32_u32_e32 v5, v1
	s_delay_alu instid0(VALU_DEP_2) | instskip(NEXT) | instid1(VALU_DEP_2)
	v_cmp_eq_u32_e32 vcc_lo, 0, v7
	v_min_u32_e32 v5, 32, v5
	s_delay_alu instid0(VALU_DEP_1) | instskip(NEXT) | instid1(VALU_DEP_1)
	v_subrev_nc_u32_e32 v6, 28, v5
	v_dual_lshlrev_b32 v0, v6, v0 :: v_dual_sub_nc_u32 v5, 29, v5
	s_delay_alu instid0(VALU_DEP_1) | instskip(NEXT) | instid1(VALU_DEP_2)
	v_and_b32_e32 v0, 7, v0
	v_dual_cndmask_b32 v5, v7, v5 :: v_dual_lshlrev_b32 v4, 24, v4
	s_delay_alu instid0(VALU_DEP_2) | instskip(NEXT) | instid1(VALU_DEP_2)
	v_cndmask_b32_e32 v0, v1, v0, vcc_lo
	v_and_b32_e32 v1, 0x80000000, v4
	s_delay_alu instid0(VALU_DEP_3) | instskip(NEXT) | instid1(VALU_DEP_3)
	v_lshl_add_u32 v4, v5, 23, 0x3b800000
	v_lshlrev_b32_e32 v0, 20, v0
	s_delay_alu instid0(VALU_DEP_1) | instskip(NEXT) | instid1(VALU_DEP_1)
	v_or3_b32 v0, v1, v4, v0
	v_cvt_f64_f32_e32 v[0:1], v0
.LBB86_442:
	s_or_b32 exec_lo, exec_lo, s25
.LBB86_443:
	s_mov_b32 s24, -1
.LBB86_444:
	s_mov_b32 s25, 0
.LBB86_445:
	s_delay_alu instid0(SALU_CYCLE_1)
	s_and_b32 vcc_lo, exec_lo, s25
	s_cbranch_vccz .LBB86_480
; %bb.446:
	s_cmp_gt_i32 s2, 22
	s_cbranch_scc0 .LBB86_456
; %bb.447:
	s_cmp_lt_i32 s2, 24
	s_cbranch_scc1 .LBB86_459
; %bb.448:
	s_cmp_gt_i32 s2, 24
	s_cbranch_scc0 .LBB86_460
; %bb.449:
	global_load_u8 v4, v[2:3], off
	s_mov_b32 s24, 0
	s_mov_b32 s25, exec_lo
	s_wait_loadcnt 0x0
	v_cmpx_lt_i16_e32 0x7f, v4
	s_xor_b32 s25, exec_lo, s25
	s_cbranch_execz .LBB86_472
; %bb.450:
	s_mov_b32 s24, -1
	s_mov_b32 s27, exec_lo
	v_cmpx_eq_u16_e32 0x80, v4
; %bb.451:
	s_xor_b32 s24, exec_lo, -1
; %bb.452:
	s_or_b32 exec_lo, exec_lo, s27
	s_delay_alu instid0(SALU_CYCLE_1)
	s_and_b32 s24, s24, exec_lo
	s_or_saveexec_b32 s25, s25
	v_mov_b64_e32 v[0:1], 0x7ff8000020000000
	s_xor_b32 exec_lo, exec_lo, s25
	s_cbranch_execnz .LBB86_473
.LBB86_453:
	s_or_b32 exec_lo, exec_lo, s25
	s_and_saveexec_b32 s25, s24
	s_cbranch_execz .LBB86_455
.LBB86_454:
	v_and_b32_e32 v0, 0xffff, v4
	s_delay_alu instid0(VALU_DEP_1) | instskip(SKIP_1) | instid1(VALU_DEP_2)
	v_and_b32_e32 v1, 3, v0
	v_bfe_u32 v7, v0, 2, 5
	v_clz_i32_u32_e32 v5, v1
	s_delay_alu instid0(VALU_DEP_2) | instskip(NEXT) | instid1(VALU_DEP_2)
	v_cmp_eq_u32_e32 vcc_lo, 0, v7
	v_min_u32_e32 v5, 32, v5
	s_delay_alu instid0(VALU_DEP_1) | instskip(NEXT) | instid1(VALU_DEP_1)
	v_subrev_nc_u32_e32 v6, 29, v5
	v_dual_lshlrev_b32 v0, v6, v0 :: v_dual_sub_nc_u32 v5, 30, v5
	s_delay_alu instid0(VALU_DEP_1) | instskip(NEXT) | instid1(VALU_DEP_2)
	v_and_b32_e32 v0, 3, v0
	v_dual_cndmask_b32 v5, v7, v5 :: v_dual_lshlrev_b32 v4, 24, v4
	s_delay_alu instid0(VALU_DEP_2) | instskip(NEXT) | instid1(VALU_DEP_2)
	v_cndmask_b32_e32 v0, v1, v0, vcc_lo
	v_and_b32_e32 v1, 0x80000000, v4
	s_delay_alu instid0(VALU_DEP_3) | instskip(NEXT) | instid1(VALU_DEP_3)
	v_lshl_add_u32 v4, v5, 23, 0x37800000
	v_lshlrev_b32_e32 v0, 21, v0
	s_delay_alu instid0(VALU_DEP_1) | instskip(NEXT) | instid1(VALU_DEP_1)
	v_or3_b32 v0, v1, v4, v0
	v_cvt_f64_f32_e32 v[0:1], v0
.LBB86_455:
	s_or_b32 exec_lo, exec_lo, s25
	s_mov_b32 s24, 0
	s_branch .LBB86_461
.LBB86_456:
	s_mov_b32 s25, -1
                                        ; implicit-def: $vgpr0_vgpr1
	s_branch .LBB86_467
.LBB86_457:
	s_or_saveexec_b32 s25, s25
	v_mov_b64_e32 v[0:1], 0x7ff8000020000000
	s_xor_b32 exec_lo, exec_lo, s25
	s_cbranch_execz .LBB86_440
.LBB86_458:
	v_cmp_ne_u16_e32 vcc_lo, 0, v4
	v_mov_b64_e32 v[0:1], 0
	s_and_not1_b32 s24, s24, exec_lo
	s_and_b32 s27, vcc_lo, exec_lo
	s_delay_alu instid0(SALU_CYCLE_1)
	s_or_b32 s24, s24, s27
	s_or_b32 exec_lo, exec_lo, s25
	s_and_saveexec_b32 s25, s24
	s_cbranch_execnz .LBB86_441
	s_branch .LBB86_442
.LBB86_459:
	s_mov_b32 s24, -1
                                        ; implicit-def: $vgpr0_vgpr1
	s_branch .LBB86_464
.LBB86_460:
	s_mov_b32 s24, -1
                                        ; implicit-def: $vgpr0_vgpr1
.LBB86_461:
	s_delay_alu instid0(SALU_CYCLE_1)
	s_and_b32 vcc_lo, exec_lo, s24
	s_cbranch_vccz .LBB86_463
; %bb.462:
	global_load_u8 v0, v[2:3], off
	s_wait_loadcnt 0x0
	v_lshlrev_b32_e32 v0, 24, v0
	s_delay_alu instid0(VALU_DEP_1) | instskip(NEXT) | instid1(VALU_DEP_1)
	v_and_b32_e32 v1, 0x7f000000, v0
	v_clz_i32_u32_e32 v4, v1
	v_cmp_ne_u32_e32 vcc_lo, 0, v1
	v_add_nc_u32_e32 v6, 0x1000000, v1
	s_delay_alu instid0(VALU_DEP_3) | instskip(NEXT) | instid1(VALU_DEP_1)
	v_min_u32_e32 v4, 32, v4
	v_sub_nc_u32_e64 v4, v4, 4 clamp
	s_delay_alu instid0(VALU_DEP_1) | instskip(NEXT) | instid1(VALU_DEP_1)
	v_dual_lshlrev_b32 v5, v4, v1 :: v_dual_lshlrev_b32 v4, 23, v4
	v_lshrrev_b32_e32 v5, 4, v5
	s_delay_alu instid0(VALU_DEP_1) | instskip(NEXT) | instid1(VALU_DEP_1)
	v_dual_sub_nc_u32 v4, v5, v4 :: v_dual_ashrrev_i32 v5, 8, v6
	v_add_nc_u32_e32 v4, 0x3c000000, v4
	s_delay_alu instid0(VALU_DEP_1) | instskip(NEXT) | instid1(VALU_DEP_1)
	v_and_or_b32 v4, 0x7f800000, v5, v4
	v_cndmask_b32_e32 v1, 0, v4, vcc_lo
	s_delay_alu instid0(VALU_DEP_1) | instskip(NEXT) | instid1(VALU_DEP_1)
	v_and_or_b32 v0, 0x80000000, v0, v1
	v_cvt_f64_f32_e32 v[0:1], v0
.LBB86_463:
	s_mov_b32 s24, 0
.LBB86_464:
	s_delay_alu instid0(SALU_CYCLE_1)
	s_and_not1_b32 vcc_lo, exec_lo, s24
	s_cbranch_vccnz .LBB86_466
; %bb.465:
	global_load_u8 v0, v[2:3], off
	s_wait_loadcnt 0x0
	v_lshlrev_b32_e32 v1, 25, v0
	v_lshlrev_b16 v0, 8, v0
	s_delay_alu instid0(VALU_DEP_1) | instskip(SKIP_1) | instid1(VALU_DEP_2)
	v_and_or_b32 v5, 0x7f00, v0, 0.5
	v_bfe_i32 v0, v0, 0, 16
	v_add_f32_e32 v5, -0.5, v5
	v_lshrrev_b32_e32 v4, 4, v1
	v_cmp_gt_u32_e32 vcc_lo, 0x8000000, v1
	s_delay_alu instid0(VALU_DEP_2) | instskip(NEXT) | instid1(VALU_DEP_1)
	v_or_b32_e32 v4, 0x70000000, v4
	v_mul_f32_e32 v4, 0x7800000, v4
	s_delay_alu instid0(VALU_DEP_1) | instskip(NEXT) | instid1(VALU_DEP_1)
	v_cndmask_b32_e32 v1, v4, v5, vcc_lo
	v_and_or_b32 v0, 0x80000000, v0, v1
	s_delay_alu instid0(VALU_DEP_1)
	v_cvt_f64_f32_e32 v[0:1], v0
.LBB86_466:
	s_mov_b32 s25, 0
	s_mov_b32 s24, -1
.LBB86_467:
	s_and_not1_b32 vcc_lo, exec_lo, s25
	s_cbranch_vccnz .LBB86_480
; %bb.468:
	s_cmp_gt_i32 s2, 14
	s_cbranch_scc0 .LBB86_471
; %bb.469:
	s_cmp_eq_u32 s2, 15
	s_cbranch_scc0 .LBB86_474
; %bb.470:
	global_load_u16 v0, v[2:3], off
	s_mov_b32 s24, -1
	s_mov_b32 s23, 0
	s_wait_loadcnt 0x0
	v_lshlrev_b32_e32 v0, 16, v0
	s_delay_alu instid0(VALU_DEP_1)
	v_cvt_f64_f32_e32 v[0:1], v0
	s_branch .LBB86_475
.LBB86_471:
	s_mov_b32 s25, -1
                                        ; implicit-def: $vgpr0_vgpr1
	s_branch .LBB86_476
.LBB86_472:
	s_or_saveexec_b32 s25, s25
	v_mov_b64_e32 v[0:1], 0x7ff8000020000000
	s_xor_b32 exec_lo, exec_lo, s25
	s_cbranch_execz .LBB86_453
.LBB86_473:
	v_cmp_ne_u16_e32 vcc_lo, 0, v4
	v_mov_b64_e32 v[0:1], 0
	s_and_not1_b32 s24, s24, exec_lo
	s_and_b32 s27, vcc_lo, exec_lo
	s_delay_alu instid0(SALU_CYCLE_1)
	s_or_b32 s24, s24, s27
	s_or_b32 exec_lo, exec_lo, s25
	s_and_saveexec_b32 s25, s24
	s_cbranch_execnz .LBB86_454
	s_branch .LBB86_455
.LBB86_474:
	s_mov_b32 s23, -1
                                        ; implicit-def: $vgpr0_vgpr1
.LBB86_475:
	s_mov_b32 s25, 0
.LBB86_476:
	s_delay_alu instid0(SALU_CYCLE_1)
	s_and_b32 vcc_lo, exec_lo, s25
	s_cbranch_vccz .LBB86_480
; %bb.477:
	s_cmp_eq_u32 s2, 11
	s_cbranch_scc0 .LBB86_479
; %bb.478:
	global_load_u8 v0, v[2:3], off
	s_mov_b32 s23, 0
	s_mov_b32 s24, -1
	s_wait_loadcnt 0x0
	v_cmp_ne_u16_e32 vcc_lo, 0, v0
	v_mov_b32_e32 v0, 0
	v_cndmask_b32_e64 v1, 0, 0x3ff00000, vcc_lo
	s_branch .LBB86_480
.LBB86_479:
	s_mov_b32 s23, -1
                                        ; implicit-def: $vgpr0_vgpr1
.LBB86_480:
	s_branch .LBB86_395
.LBB86_481:
	s_and_b32 s1, 0xffff, s1
	s_delay_alu instid0(SALU_CYCLE_1)
	s_cmp_lt_i32 s1, 5
	s_cbranch_scc1 .LBB86_486
; %bb.482:
	s_cmp_lt_i32 s1, 8
	s_cbranch_scc1 .LBB86_487
; %bb.483:
	s_cmp_lt_i32 s1, 9
	s_cbranch_scc1 .LBB86_488
; %bb.484:
	s_cmp_gt_i32 s1, 9
	s_cbranch_scc0 .LBB86_489
; %bb.485:
	global_load_b64 v[0:1], v[2:3], off
	s_mov_b32 s2, 0
	s_branch .LBB86_490
.LBB86_486:
	s_mov_b32 s2, -1
                                        ; implicit-def: $vgpr0_vgpr1
	s_branch .LBB86_508
.LBB86_487:
	s_mov_b32 s2, -1
                                        ; implicit-def: $vgpr0_vgpr1
	s_branch .LBB86_496
.LBB86_488:
	s_mov_b32 s2, -1
                                        ; implicit-def: $vgpr0_vgpr1
	s_branch .LBB86_493
.LBB86_489:
	s_mov_b32 s2, -1
                                        ; implicit-def: $vgpr0_vgpr1
.LBB86_490:
	s_delay_alu instid0(SALU_CYCLE_1)
	s_and_not1_b32 vcc_lo, exec_lo, s2
	s_cbranch_vccnz .LBB86_492
; %bb.491:
	s_wait_loadcnt 0x0
	global_load_b32 v0, v[2:3], off
	s_wait_loadcnt 0x0
	v_cvt_f64_f32_e32 v[0:1], v0
.LBB86_492:
	s_mov_b32 s2, 0
.LBB86_493:
	s_delay_alu instid0(SALU_CYCLE_1)
	s_and_not1_b32 vcc_lo, exec_lo, s2
	s_cbranch_vccnz .LBB86_495
; %bb.494:
	s_wait_loadcnt 0x0
	global_load_b32 v0, v[2:3], off
	s_wait_loadcnt 0x0
	v_cvt_f32_f16_e32 v0, v0
	s_delay_alu instid0(VALU_DEP_1)
	v_cvt_f64_f32_e32 v[0:1], v0
.LBB86_495:
	s_mov_b32 s2, 0
.LBB86_496:
	s_delay_alu instid0(SALU_CYCLE_1)
	s_and_not1_b32 vcc_lo, exec_lo, s2
	s_cbranch_vccnz .LBB86_507
; %bb.497:
	s_cmp_lt_i32 s1, 6
	s_cbranch_scc1 .LBB86_500
; %bb.498:
	s_cmp_gt_i32 s1, 6
	s_cbranch_scc0 .LBB86_501
; %bb.499:
	s_wait_loadcnt 0x0
	global_load_b64 v[0:1], v[2:3], off
	s_mov_b32 s2, 0
	s_branch .LBB86_502
.LBB86_500:
	s_mov_b32 s2, -1
                                        ; implicit-def: $vgpr0_vgpr1
	s_branch .LBB86_505
.LBB86_501:
	s_mov_b32 s2, -1
                                        ; implicit-def: $vgpr0_vgpr1
.LBB86_502:
	s_delay_alu instid0(SALU_CYCLE_1)
	s_and_not1_b32 vcc_lo, exec_lo, s2
	s_cbranch_vccnz .LBB86_504
; %bb.503:
	s_wait_loadcnt 0x0
	global_load_b32 v0, v[2:3], off
	s_wait_loadcnt 0x0
	v_cvt_f64_f32_e32 v[0:1], v0
.LBB86_504:
	s_mov_b32 s2, 0
.LBB86_505:
	s_delay_alu instid0(SALU_CYCLE_1)
	s_and_not1_b32 vcc_lo, exec_lo, s2
	s_cbranch_vccnz .LBB86_507
; %bb.506:
	s_wait_loadcnt 0x0
	global_load_u16 v0, v[2:3], off
	s_wait_loadcnt 0x0
	v_cvt_f32_f16_e32 v0, v0
	s_delay_alu instid0(VALU_DEP_1)
	v_cvt_f64_f32_e32 v[0:1], v0
.LBB86_507:
	s_mov_b32 s2, 0
.LBB86_508:
	s_delay_alu instid0(SALU_CYCLE_1)
	s_and_not1_b32 vcc_lo, exec_lo, s2
	s_cbranch_vccnz .LBB86_528
; %bb.509:
	s_cmp_lt_i32 s1, 2
	s_cbranch_scc1 .LBB86_513
; %bb.510:
	s_cmp_lt_i32 s1, 3
	s_cbranch_scc1 .LBB86_514
; %bb.511:
	s_cmp_gt_i32 s1, 3
	s_cbranch_scc0 .LBB86_515
; %bb.512:
	s_wait_loadcnt 0x0
	global_load_b64 v[0:1], v[2:3], off
	s_mov_b32 s2, 0
	s_wait_loadcnt 0x0
	v_cvt_f64_i32_e32 v[4:5], v1
	v_cvt_f64_u32_e32 v[0:1], v0
	s_delay_alu instid0(VALU_DEP_2) | instskip(NEXT) | instid1(VALU_DEP_1)
	v_ldexp_f64 v[4:5], v[4:5], 32
	v_add_f64_e32 v[0:1], v[4:5], v[0:1]
	s_branch .LBB86_516
.LBB86_513:
	s_mov_b32 s2, -1
                                        ; implicit-def: $vgpr0_vgpr1
	s_branch .LBB86_522
.LBB86_514:
	s_mov_b32 s2, -1
                                        ; implicit-def: $vgpr0_vgpr1
	s_branch .LBB86_519
.LBB86_515:
	s_mov_b32 s2, -1
                                        ; implicit-def: $vgpr0_vgpr1
.LBB86_516:
	s_delay_alu instid0(SALU_CYCLE_1)
	s_and_not1_b32 vcc_lo, exec_lo, s2
	s_cbranch_vccnz .LBB86_518
; %bb.517:
	s_wait_loadcnt 0x0
	global_load_b32 v0, v[2:3], off
	s_wait_loadcnt 0x0
	v_cvt_f64_i32_e32 v[0:1], v0
.LBB86_518:
	s_mov_b32 s2, 0
.LBB86_519:
	s_delay_alu instid0(SALU_CYCLE_1)
	s_and_not1_b32 vcc_lo, exec_lo, s2
	s_cbranch_vccnz .LBB86_521
; %bb.520:
	s_wait_loadcnt 0x0
	global_load_i16 v0, v[2:3], off
	s_wait_loadcnt 0x0
	v_cvt_f64_i32_e32 v[0:1], v0
.LBB86_521:
	s_mov_b32 s2, 0
.LBB86_522:
	s_delay_alu instid0(SALU_CYCLE_1)
	s_and_not1_b32 vcc_lo, exec_lo, s2
	s_cbranch_vccnz .LBB86_528
; %bb.523:
	s_cmp_gt_i32 s1, 0
	s_mov_b32 s1, 0
	s_cbranch_scc0 .LBB86_525
; %bb.524:
	s_wait_loadcnt 0x0
	global_load_i8 v0, v[2:3], off
	s_wait_loadcnt 0x0
	v_cvt_f64_i32_e32 v[0:1], v0
	s_branch .LBB86_526
.LBB86_525:
	s_mov_b32 s1, -1
                                        ; implicit-def: $vgpr0_vgpr1
.LBB86_526:
	s_delay_alu instid0(SALU_CYCLE_1)
	s_and_not1_b32 vcc_lo, exec_lo, s1
	s_cbranch_vccnz .LBB86_528
; %bb.527:
	s_wait_loadcnt 0x0
	global_load_u8 v0, v[2:3], off
	s_wait_loadcnt 0x0
	v_cvt_f64_u32_e32 v[0:1], v0
.LBB86_528:
	s_branch .LBB86_396
.LBB86_529:
	s_mov_b32 s1, 0
	s_mov_b32 s2, s18
	;; [unrolled: 1-line block ×3, first 2 shown]
	s_branch .LBB86_773
.LBB86_530:
	s_and_not1_saveexec_b32 s27, s27
	s_cbranch_execz .LBB86_193
.LBB86_531:
	v_add_f32_e32 v2, 0x42800000, v3
	s_and_not1_b32 s26, s26, exec_lo
	s_delay_alu instid0(VALU_DEP_1) | instskip(NEXT) | instid1(VALU_DEP_1)
	v_and_b32_e32 v2, 0xff, v2
	v_cmp_ne_u32_e32 vcc_lo, 0, v2
	s_and_b32 s28, vcc_lo, exec_lo
	s_delay_alu instid0(SALU_CYCLE_1)
	s_or_b32 s26, s26, s28
	s_or_b32 exec_lo, exec_lo, s27
	v_mov_b32_e32 v4, 0
	s_and_saveexec_b32 s27, s26
	s_cbranch_execnz .LBB86_194
	s_branch .LBB86_195
.LBB86_532:
	s_mov_b32 s25, -1
	s_mov_b32 s24, 0
.LBB86_533:
                                        ; implicit-def: $vgpr4_vgpr5
.LBB86_534:
	s_and_b32 vcc_lo, exec_lo, s27
	s_cbranch_vccz .LBB86_538
; %bb.535:
	s_cmp_eq_u32 s2, 44
	s_cbranch_scc0 .LBB86_537
; %bb.536:
	global_load_u8 v6, v[2:3], off
	s_mov_b32 s25, 0
	s_mov_b32 s24, -1
	s_wait_loadcnt 0x0
	v_cmp_ne_u32_e32 vcc_lo, 0xff, v6
	v_lshlrev_b32_e32 v4, 23, v6
	s_delay_alu instid0(VALU_DEP_1) | instskip(NEXT) | instid1(VALU_DEP_1)
	v_cvt_f64_f32_e32 v[4:5], v4
	v_cndmask_b32_e32 v4, 0x20000000, v4, vcc_lo
	s_delay_alu instid0(VALU_DEP_2) | instskip(SKIP_1) | instid1(VALU_DEP_2)
	v_cndmask_b32_e32 v5, 0x7ff80000, v5, vcc_lo
	v_cmp_ne_u32_e32 vcc_lo, 0, v6
	v_cndmask_b32_e32 v5, 0x38000000, v5, vcc_lo
	s_delay_alu instid0(VALU_DEP_4)
	v_cndmask_b32_e32 v4, 0, v4, vcc_lo
	s_branch .LBB86_538
.LBB86_537:
	s_mov_b32 s25, -1
                                        ; implicit-def: $vgpr4_vgpr5
.LBB86_538:
	s_mov_b32 s27, 0
.LBB86_539:
	s_delay_alu instid0(SALU_CYCLE_1)
	s_and_b32 vcc_lo, exec_lo, s27
	s_cbranch_vccz .LBB86_543
; %bb.540:
	s_cmp_eq_u32 s2, 29
	s_cbranch_scc0 .LBB86_542
; %bb.541:
	global_load_b64 v[4:5], v[2:3], off
	s_mov_b32 s24, -1
	s_mov_b32 s25, 0
	s_mov_b32 s27, 0
	s_wait_loadcnt 0x0
	v_cvt_f64_u32_e32 v[6:7], v5
	v_cvt_f64_u32_e32 v[4:5], v4
	s_delay_alu instid0(VALU_DEP_2) | instskip(NEXT) | instid1(VALU_DEP_1)
	v_ldexp_f64 v[6:7], v[6:7], 32
	v_add_f64_e32 v[4:5], v[6:7], v[4:5]
	s_branch .LBB86_544
.LBB86_542:
	s_mov_b32 s25, -1
                                        ; implicit-def: $vgpr4_vgpr5
.LBB86_543:
	s_mov_b32 s27, 0
.LBB86_544:
	s_delay_alu instid0(SALU_CYCLE_1)
	s_and_b32 vcc_lo, exec_lo, s27
	s_cbranch_vccz .LBB86_562
; %bb.545:
	s_cmp_lt_i32 s2, 27
	s_cbranch_scc1 .LBB86_548
; %bb.546:
	s_cmp_gt_i32 s2, 27
	s_cbranch_scc0 .LBB86_549
; %bb.547:
	global_load_b32 v4, v[2:3], off
	s_mov_b32 s24, 0
	s_wait_loadcnt 0x0
	v_cvt_f64_u32_e32 v[4:5], v4
	s_branch .LBB86_550
.LBB86_548:
	s_mov_b32 s24, -1
                                        ; implicit-def: $vgpr4_vgpr5
	s_branch .LBB86_553
.LBB86_549:
	s_mov_b32 s24, -1
                                        ; implicit-def: $vgpr4_vgpr5
.LBB86_550:
	s_delay_alu instid0(SALU_CYCLE_1)
	s_and_not1_b32 vcc_lo, exec_lo, s24
	s_cbranch_vccnz .LBB86_552
; %bb.551:
	global_load_u16 v4, v[2:3], off
	s_wait_loadcnt 0x0
	v_cvt_f64_u32_e32 v[4:5], v4
.LBB86_552:
	s_mov_b32 s24, 0
.LBB86_553:
	s_delay_alu instid0(SALU_CYCLE_1)
	s_and_not1_b32 vcc_lo, exec_lo, s24
	s_cbranch_vccnz .LBB86_561
; %bb.554:
	global_load_u8 v6, v[2:3], off
	s_mov_b32 s24, 0
	s_mov_b32 s27, exec_lo
	s_wait_loadcnt 0x0
	v_cmpx_lt_i16_e32 0x7f, v6
	s_xor_b32 s27, exec_lo, s27
	s_cbranch_execz .LBB86_575
; %bb.555:
	s_mov_b32 s24, -1
	s_mov_b32 s28, exec_lo
	v_cmpx_eq_u16_e32 0x80, v6
; %bb.556:
	s_xor_b32 s24, exec_lo, -1
; %bb.557:
	s_or_b32 exec_lo, exec_lo, s28
	s_delay_alu instid0(SALU_CYCLE_1)
	s_and_b32 s24, s24, exec_lo
	s_or_saveexec_b32 s27, s27
	v_mov_b64_e32 v[4:5], 0x7ff8000020000000
	s_xor_b32 exec_lo, exec_lo, s27
	s_cbranch_execnz .LBB86_576
.LBB86_558:
	s_or_b32 exec_lo, exec_lo, s27
	s_and_saveexec_b32 s27, s24
	s_cbranch_execz .LBB86_560
.LBB86_559:
	v_and_b32_e32 v4, 0xffff, v6
	s_delay_alu instid0(VALU_DEP_1) | instskip(SKIP_1) | instid1(VALU_DEP_2)
	v_and_b32_e32 v5, 7, v4
	v_bfe_u32 v9, v4, 3, 4
	v_clz_i32_u32_e32 v7, v5
	s_delay_alu instid0(VALU_DEP_2) | instskip(NEXT) | instid1(VALU_DEP_2)
	v_cmp_eq_u32_e32 vcc_lo, 0, v9
	v_min_u32_e32 v7, 32, v7
	s_delay_alu instid0(VALU_DEP_1) | instskip(NEXT) | instid1(VALU_DEP_1)
	v_subrev_nc_u32_e32 v8, 28, v7
	v_dual_lshlrev_b32 v4, v8, v4 :: v_dual_sub_nc_u32 v7, 29, v7
	s_delay_alu instid0(VALU_DEP_1) | instskip(NEXT) | instid1(VALU_DEP_2)
	v_dual_lshlrev_b32 v6, 24, v6 :: v_dual_bitop2_b32 v4, 7, v4 bitop3:0x40
	v_cndmask_b32_e32 v7, v9, v7, vcc_lo
	s_delay_alu instid0(VALU_DEP_2) | instskip(NEXT) | instid1(VALU_DEP_3)
	v_cndmask_b32_e32 v4, v5, v4, vcc_lo
	v_and_b32_e32 v5, 0x80000000, v6
	s_delay_alu instid0(VALU_DEP_3) | instskip(NEXT) | instid1(VALU_DEP_3)
	v_lshl_add_u32 v6, v7, 23, 0x3b800000
	v_lshlrev_b32_e32 v4, 20, v4
	s_delay_alu instid0(VALU_DEP_1) | instskip(NEXT) | instid1(VALU_DEP_1)
	v_or3_b32 v4, v5, v6, v4
	v_cvt_f64_f32_e32 v[4:5], v4
.LBB86_560:
	s_or_b32 exec_lo, exec_lo, s27
.LBB86_561:
	s_mov_b32 s24, -1
.LBB86_562:
	s_mov_b32 s27, 0
.LBB86_563:
	s_delay_alu instid0(SALU_CYCLE_1)
	s_and_b32 vcc_lo, exec_lo, s27
	s_cbranch_vccz .LBB86_598
; %bb.564:
	s_cmp_gt_i32 s2, 22
	s_cbranch_scc0 .LBB86_574
; %bb.565:
	s_cmp_lt_i32 s2, 24
	s_cbranch_scc1 .LBB86_577
; %bb.566:
	s_cmp_gt_i32 s2, 24
	s_cbranch_scc0 .LBB86_578
; %bb.567:
	global_load_u8 v6, v[2:3], off
	s_mov_b32 s24, 0
	s_mov_b32 s27, exec_lo
	s_wait_loadcnt 0x0
	v_cmpx_lt_i16_e32 0x7f, v6
	s_xor_b32 s27, exec_lo, s27
	s_cbranch_execz .LBB86_590
; %bb.568:
	s_mov_b32 s24, -1
	s_mov_b32 s28, exec_lo
	v_cmpx_eq_u16_e32 0x80, v6
; %bb.569:
	s_xor_b32 s24, exec_lo, -1
; %bb.570:
	s_or_b32 exec_lo, exec_lo, s28
	s_delay_alu instid0(SALU_CYCLE_1)
	s_and_b32 s24, s24, exec_lo
	s_or_saveexec_b32 s27, s27
	v_mov_b64_e32 v[4:5], 0x7ff8000020000000
	s_xor_b32 exec_lo, exec_lo, s27
	s_cbranch_execnz .LBB86_591
.LBB86_571:
	s_or_b32 exec_lo, exec_lo, s27
	s_and_saveexec_b32 s27, s24
	s_cbranch_execz .LBB86_573
.LBB86_572:
	v_and_b32_e32 v4, 0xffff, v6
	s_delay_alu instid0(VALU_DEP_1) | instskip(SKIP_1) | instid1(VALU_DEP_2)
	v_and_b32_e32 v5, 3, v4
	v_bfe_u32 v9, v4, 2, 5
	v_clz_i32_u32_e32 v7, v5
	s_delay_alu instid0(VALU_DEP_2) | instskip(NEXT) | instid1(VALU_DEP_2)
	v_cmp_eq_u32_e32 vcc_lo, 0, v9
	v_min_u32_e32 v7, 32, v7
	s_delay_alu instid0(VALU_DEP_1) | instskip(NEXT) | instid1(VALU_DEP_1)
	v_subrev_nc_u32_e32 v8, 29, v7
	v_dual_lshlrev_b32 v4, v8, v4 :: v_dual_sub_nc_u32 v7, 30, v7
	s_delay_alu instid0(VALU_DEP_1) | instskip(NEXT) | instid1(VALU_DEP_2)
	v_dual_lshlrev_b32 v6, 24, v6 :: v_dual_bitop2_b32 v4, 3, v4 bitop3:0x40
	v_cndmask_b32_e32 v7, v9, v7, vcc_lo
	s_delay_alu instid0(VALU_DEP_2) | instskip(NEXT) | instid1(VALU_DEP_3)
	v_cndmask_b32_e32 v4, v5, v4, vcc_lo
	v_and_b32_e32 v5, 0x80000000, v6
	s_delay_alu instid0(VALU_DEP_3) | instskip(NEXT) | instid1(VALU_DEP_3)
	v_lshl_add_u32 v6, v7, 23, 0x37800000
	v_lshlrev_b32_e32 v4, 21, v4
	s_delay_alu instid0(VALU_DEP_1) | instskip(NEXT) | instid1(VALU_DEP_1)
	v_or3_b32 v4, v5, v6, v4
	v_cvt_f64_f32_e32 v[4:5], v4
.LBB86_573:
	s_or_b32 exec_lo, exec_lo, s27
	s_mov_b32 s24, 0
	s_branch .LBB86_579
.LBB86_574:
	s_mov_b32 s27, -1
                                        ; implicit-def: $vgpr4_vgpr5
	s_branch .LBB86_585
.LBB86_575:
	s_or_saveexec_b32 s27, s27
	v_mov_b64_e32 v[4:5], 0x7ff8000020000000
	s_xor_b32 exec_lo, exec_lo, s27
	s_cbranch_execz .LBB86_558
.LBB86_576:
	v_cmp_ne_u16_e32 vcc_lo, 0, v6
	v_mov_b64_e32 v[4:5], 0
	s_and_not1_b32 s24, s24, exec_lo
	s_and_b32 s28, vcc_lo, exec_lo
	s_delay_alu instid0(SALU_CYCLE_1)
	s_or_b32 s24, s24, s28
	s_or_b32 exec_lo, exec_lo, s27
	s_and_saveexec_b32 s27, s24
	s_cbranch_execnz .LBB86_559
	s_branch .LBB86_560
.LBB86_577:
	s_mov_b32 s24, -1
                                        ; implicit-def: $vgpr4_vgpr5
	s_branch .LBB86_582
.LBB86_578:
	s_mov_b32 s24, -1
                                        ; implicit-def: $vgpr4_vgpr5
.LBB86_579:
	s_delay_alu instid0(SALU_CYCLE_1)
	s_and_b32 vcc_lo, exec_lo, s24
	s_cbranch_vccz .LBB86_581
; %bb.580:
	global_load_u8 v4, v[2:3], off
	s_wait_loadcnt 0x0
	v_lshlrev_b32_e32 v4, 24, v4
	s_delay_alu instid0(VALU_DEP_1) | instskip(NEXT) | instid1(VALU_DEP_1)
	v_and_b32_e32 v5, 0x7f000000, v4
	v_clz_i32_u32_e32 v6, v5
	v_cmp_ne_u32_e32 vcc_lo, 0, v5
	v_add_nc_u32_e32 v8, 0x1000000, v5
	s_delay_alu instid0(VALU_DEP_3) | instskip(NEXT) | instid1(VALU_DEP_1)
	v_min_u32_e32 v6, 32, v6
	v_sub_nc_u32_e64 v6, v6, 4 clamp
	s_delay_alu instid0(VALU_DEP_1) | instskip(NEXT) | instid1(VALU_DEP_1)
	v_dual_lshlrev_b32 v7, v6, v5 :: v_dual_lshlrev_b32 v6, 23, v6
	v_lshrrev_b32_e32 v7, 4, v7
	s_delay_alu instid0(VALU_DEP_1) | instskip(NEXT) | instid1(VALU_DEP_1)
	v_dual_sub_nc_u32 v6, v7, v6 :: v_dual_ashrrev_i32 v7, 8, v8
	v_add_nc_u32_e32 v6, 0x3c000000, v6
	s_delay_alu instid0(VALU_DEP_1) | instskip(NEXT) | instid1(VALU_DEP_1)
	v_and_or_b32 v6, 0x7f800000, v7, v6
	v_cndmask_b32_e32 v5, 0, v6, vcc_lo
	s_delay_alu instid0(VALU_DEP_1) | instskip(NEXT) | instid1(VALU_DEP_1)
	v_and_or_b32 v4, 0x80000000, v4, v5
	v_cvt_f64_f32_e32 v[4:5], v4
.LBB86_581:
	s_mov_b32 s24, 0
.LBB86_582:
	s_delay_alu instid0(SALU_CYCLE_1)
	s_and_not1_b32 vcc_lo, exec_lo, s24
	s_cbranch_vccnz .LBB86_584
; %bb.583:
	global_load_u8 v4, v[2:3], off
	s_wait_loadcnt 0x0
	v_lshlrev_b32_e32 v5, 25, v4
	v_lshlrev_b16 v4, 8, v4
	s_delay_alu instid0(VALU_DEP_1) | instskip(SKIP_1) | instid1(VALU_DEP_2)
	v_and_or_b32 v7, 0x7f00, v4, 0.5
	v_bfe_i32 v4, v4, 0, 16
	v_dual_add_f32 v7, -0.5, v7 :: v_dual_lshrrev_b32 v6, 4, v5
	v_cmp_gt_u32_e32 vcc_lo, 0x8000000, v5
	s_delay_alu instid0(VALU_DEP_2) | instskip(NEXT) | instid1(VALU_DEP_1)
	v_or_b32_e32 v6, 0x70000000, v6
	v_mul_f32_e32 v6, 0x7800000, v6
	s_delay_alu instid0(VALU_DEP_1) | instskip(NEXT) | instid1(VALU_DEP_1)
	v_cndmask_b32_e32 v5, v6, v7, vcc_lo
	v_and_or_b32 v4, 0x80000000, v4, v5
	s_delay_alu instid0(VALU_DEP_1)
	v_cvt_f64_f32_e32 v[4:5], v4
.LBB86_584:
	s_mov_b32 s27, 0
	s_mov_b32 s24, -1
.LBB86_585:
	s_and_not1_b32 vcc_lo, exec_lo, s27
	s_cbranch_vccnz .LBB86_598
; %bb.586:
	s_cmp_gt_i32 s2, 14
	s_cbranch_scc0 .LBB86_589
; %bb.587:
	s_cmp_eq_u32 s2, 15
	s_cbranch_scc0 .LBB86_592
; %bb.588:
	global_load_u16 v4, v[2:3], off
	s_mov_b32 s24, -1
	s_mov_b32 s25, 0
	s_wait_loadcnt 0x0
	v_lshlrev_b32_e32 v4, 16, v4
	s_delay_alu instid0(VALU_DEP_1)
	v_cvt_f64_f32_e32 v[4:5], v4
	s_branch .LBB86_593
.LBB86_589:
	s_mov_b32 s27, -1
                                        ; implicit-def: $vgpr4_vgpr5
	s_branch .LBB86_594
.LBB86_590:
	s_or_saveexec_b32 s27, s27
	v_mov_b64_e32 v[4:5], 0x7ff8000020000000
	s_xor_b32 exec_lo, exec_lo, s27
	s_cbranch_execz .LBB86_571
.LBB86_591:
	v_cmp_ne_u16_e32 vcc_lo, 0, v6
	v_mov_b64_e32 v[4:5], 0
	s_and_not1_b32 s24, s24, exec_lo
	s_and_b32 s28, vcc_lo, exec_lo
	s_delay_alu instid0(SALU_CYCLE_1)
	s_or_b32 s24, s24, s28
	s_or_b32 exec_lo, exec_lo, s27
	s_and_saveexec_b32 s27, s24
	s_cbranch_execnz .LBB86_572
	s_branch .LBB86_573
.LBB86_592:
	s_mov_b32 s25, -1
                                        ; implicit-def: $vgpr4_vgpr5
.LBB86_593:
	s_mov_b32 s27, 0
.LBB86_594:
	s_delay_alu instid0(SALU_CYCLE_1)
	s_and_b32 vcc_lo, exec_lo, s27
	s_cbranch_vccz .LBB86_598
; %bb.595:
	s_cmp_eq_u32 s2, 11
	s_cbranch_scc0 .LBB86_597
; %bb.596:
	global_load_u8 v4, v[2:3], off
	s_mov_b32 s25, 0
	s_mov_b32 s24, -1
	s_wait_loadcnt 0x0
	v_cmp_ne_u16_e32 vcc_lo, 0, v4
	v_mov_b32_e32 v4, 0
	v_cndmask_b32_e64 v5, 0, 0x3ff00000, vcc_lo
	s_branch .LBB86_598
.LBB86_597:
	s_mov_b32 s25, -1
                                        ; implicit-def: $vgpr4_vgpr5
.LBB86_598:
	s_mov_b32 s2, 0
.LBB86_599:
	s_delay_alu instid0(SALU_CYCLE_1)
	s_and_b32 vcc_lo, exec_lo, s2
	s_cbranch_vccz .LBB86_648
; %bb.600:
	s_and_b32 s1, 0xffff, s1
	s_delay_alu instid0(SALU_CYCLE_1)
	s_cmp_lt_i32 s1, 5
	s_cbranch_scc1 .LBB86_605
; %bb.601:
	s_cmp_lt_i32 s1, 8
	s_cbranch_scc1 .LBB86_606
; %bb.602:
	;; [unrolled: 3-line block ×3, first 2 shown]
	s_cmp_gt_i32 s1, 9
	s_cbranch_scc0 .LBB86_608
; %bb.604:
	global_load_b64 v[4:5], v[2:3], off
	s_mov_b32 s2, 0
	s_branch .LBB86_609
.LBB86_605:
	s_mov_b32 s2, -1
                                        ; implicit-def: $vgpr4_vgpr5
	s_branch .LBB86_627
.LBB86_606:
	s_mov_b32 s2, -1
                                        ; implicit-def: $vgpr4_vgpr5
	s_branch .LBB86_615
.LBB86_607:
	s_mov_b32 s2, -1
                                        ; implicit-def: $vgpr4_vgpr5
	s_branch .LBB86_612
.LBB86_608:
	s_mov_b32 s2, -1
                                        ; implicit-def: $vgpr4_vgpr5
.LBB86_609:
	s_delay_alu instid0(SALU_CYCLE_1)
	s_and_not1_b32 vcc_lo, exec_lo, s2
	s_cbranch_vccnz .LBB86_611
; %bb.610:
	s_wait_loadcnt 0x0
	global_load_b32 v4, v[2:3], off
	s_wait_loadcnt 0x0
	v_cvt_f64_f32_e32 v[4:5], v4
.LBB86_611:
	s_mov_b32 s2, 0
.LBB86_612:
	s_delay_alu instid0(SALU_CYCLE_1)
	s_and_not1_b32 vcc_lo, exec_lo, s2
	s_cbranch_vccnz .LBB86_614
; %bb.613:
	s_wait_loadcnt 0x0
	global_load_b32 v4, v[2:3], off
	s_wait_loadcnt 0x0
	v_cvt_f32_f16_e32 v4, v4
	s_delay_alu instid0(VALU_DEP_1)
	v_cvt_f64_f32_e32 v[4:5], v4
.LBB86_614:
	s_mov_b32 s2, 0
.LBB86_615:
	s_delay_alu instid0(SALU_CYCLE_1)
	s_and_not1_b32 vcc_lo, exec_lo, s2
	s_cbranch_vccnz .LBB86_626
; %bb.616:
	s_cmp_lt_i32 s1, 6
	s_cbranch_scc1 .LBB86_619
; %bb.617:
	s_cmp_gt_i32 s1, 6
	s_cbranch_scc0 .LBB86_620
; %bb.618:
	s_wait_loadcnt 0x0
	global_load_b64 v[4:5], v[2:3], off
	s_mov_b32 s2, 0
	s_branch .LBB86_621
.LBB86_619:
	s_mov_b32 s2, -1
                                        ; implicit-def: $vgpr4_vgpr5
	s_branch .LBB86_624
.LBB86_620:
	s_mov_b32 s2, -1
                                        ; implicit-def: $vgpr4_vgpr5
.LBB86_621:
	s_delay_alu instid0(SALU_CYCLE_1)
	s_and_not1_b32 vcc_lo, exec_lo, s2
	s_cbranch_vccnz .LBB86_623
; %bb.622:
	s_wait_loadcnt 0x0
	global_load_b32 v4, v[2:3], off
	s_wait_loadcnt 0x0
	v_cvt_f64_f32_e32 v[4:5], v4
.LBB86_623:
	s_mov_b32 s2, 0
.LBB86_624:
	s_delay_alu instid0(SALU_CYCLE_1)
	s_and_not1_b32 vcc_lo, exec_lo, s2
	s_cbranch_vccnz .LBB86_626
; %bb.625:
	s_wait_loadcnt 0x0
	global_load_u16 v4, v[2:3], off
	s_wait_loadcnt 0x0
	v_cvt_f32_f16_e32 v4, v4
	s_delay_alu instid0(VALU_DEP_1)
	v_cvt_f64_f32_e32 v[4:5], v4
.LBB86_626:
	s_mov_b32 s2, 0
.LBB86_627:
	s_delay_alu instid0(SALU_CYCLE_1)
	s_and_not1_b32 vcc_lo, exec_lo, s2
	s_cbranch_vccnz .LBB86_647
; %bb.628:
	s_cmp_lt_i32 s1, 2
	s_cbranch_scc1 .LBB86_632
; %bb.629:
	s_cmp_lt_i32 s1, 3
	s_cbranch_scc1 .LBB86_633
; %bb.630:
	s_cmp_gt_i32 s1, 3
	s_cbranch_scc0 .LBB86_634
; %bb.631:
	s_wait_loadcnt 0x0
	global_load_b64 v[4:5], v[2:3], off
	s_mov_b32 s2, 0
	s_wait_loadcnt 0x0
	v_cvt_f64_i32_e32 v[6:7], v5
	v_cvt_f64_u32_e32 v[4:5], v4
	s_delay_alu instid0(VALU_DEP_2) | instskip(NEXT) | instid1(VALU_DEP_1)
	v_ldexp_f64 v[6:7], v[6:7], 32
	v_add_f64_e32 v[4:5], v[6:7], v[4:5]
	s_branch .LBB86_635
.LBB86_632:
	s_mov_b32 s2, -1
                                        ; implicit-def: $vgpr4_vgpr5
	s_branch .LBB86_641
.LBB86_633:
	s_mov_b32 s2, -1
                                        ; implicit-def: $vgpr4_vgpr5
	s_branch .LBB86_638
.LBB86_634:
	s_mov_b32 s2, -1
                                        ; implicit-def: $vgpr4_vgpr5
.LBB86_635:
	s_delay_alu instid0(SALU_CYCLE_1)
	s_and_not1_b32 vcc_lo, exec_lo, s2
	s_cbranch_vccnz .LBB86_637
; %bb.636:
	s_wait_loadcnt 0x0
	global_load_b32 v4, v[2:3], off
	s_wait_loadcnt 0x0
	v_cvt_f64_i32_e32 v[4:5], v4
.LBB86_637:
	s_mov_b32 s2, 0
.LBB86_638:
	s_delay_alu instid0(SALU_CYCLE_1)
	s_and_not1_b32 vcc_lo, exec_lo, s2
	s_cbranch_vccnz .LBB86_640
; %bb.639:
	s_wait_loadcnt 0x0
	global_load_i16 v4, v[2:3], off
	s_wait_loadcnt 0x0
	v_cvt_f64_i32_e32 v[4:5], v4
.LBB86_640:
	s_mov_b32 s2, 0
.LBB86_641:
	s_delay_alu instid0(SALU_CYCLE_1)
	s_and_not1_b32 vcc_lo, exec_lo, s2
	s_cbranch_vccnz .LBB86_647
; %bb.642:
	s_cmp_gt_i32 s1, 0
	s_mov_b32 s1, 0
	s_cbranch_scc0 .LBB86_644
; %bb.643:
	s_wait_loadcnt 0x0
	global_load_i8 v4, v[2:3], off
	s_wait_loadcnt 0x0
	v_cvt_f64_i32_e32 v[4:5], v4
	s_branch .LBB86_645
.LBB86_644:
	s_mov_b32 s1, -1
                                        ; implicit-def: $vgpr4_vgpr5
.LBB86_645:
	s_delay_alu instid0(SALU_CYCLE_1)
	s_and_not1_b32 vcc_lo, exec_lo, s1
	s_cbranch_vccnz .LBB86_647
; %bb.646:
	global_load_u8 v2, v[2:3], off
	s_wait_loadcnt 0x0
	v_cvt_f64_u32_e32 v[4:5], v2
.LBB86_647:
	s_mov_b32 s24, -1
.LBB86_648:
	s_delay_alu instid0(SALU_CYCLE_1)
	s_and_not1_b32 vcc_lo, exec_lo, s24
	s_cbranch_vccnz .LBB86_656
; %bb.649:
	s_wait_loadcnt 0x0
	s_delay_alu instid0(VALU_DEP_1) | instskip(SKIP_3) | instid1(SALU_CYCLE_1)
	v_cmp_eq_f64_e32 vcc_lo, v[0:1], v[4:5]
	s_wait_xcnt 0x0
	v_mul_lo_u32 v2, v18, s8
	s_and_b32 s24, s3, 0xff
	s_cmp_lt_i32 s24, 11
	v_cndmask_b32_e64 v3, 0, 1, vcc_lo
	v_cmp_neq_f64_e32 vcc_lo, v[0:1], v[4:5]
	v_cndmask_b32_e64 v0, 0, 1, vcc_lo
	s_delay_alu instid0(VALU_DEP_1) | instskip(NEXT) | instid1(VALU_DEP_1)
	v_dual_cndmask_b32 v0, v0, v3, s0 :: v_dual_ashrrev_i32 v3, 31, v2
	v_and_b32_e32 v4, 1, v0
	s_delay_alu instid0(VALU_DEP_2) | instskip(NEXT) | instid1(VALU_DEP_2)
	v_add_nc_u64_e32 v[0:1], s[4:5], v[2:3]
	v_cmp_eq_u32_e64 s1, 1, v4
	s_cbranch_scc1 .LBB86_657
; %bb.650:
	s_and_b32 s27, 0xffff, s24
	s_delay_alu instid0(SALU_CYCLE_1)
	s_cmp_gt_i32 s27, 25
	s_cbranch_scc0 .LBB86_658
; %bb.651:
	s_cmp_gt_i32 s27, 28
	s_cbranch_scc0 .LBB86_659
; %bb.652:
	;; [unrolled: 3-line block ×4, first 2 shown]
	s_mov_b32 s29, 0
	s_mov_b32 s2, -1
	s_cmp_eq_u32 s27, 46
	s_mov_b32 s28, 0
	s_cbranch_scc0 .LBB86_662
; %bb.655:
	v_cndmask_b32_e64 v2, 0, 1.0, s1
	s_mov_b32 s28, -1
	s_mov_b32 s2, 0
	s_delay_alu instid0(VALU_DEP_1) | instskip(NEXT) | instid1(VALU_DEP_1)
	v_bfe_u32 v3, v2, 16, 1
	v_add3_u32 v2, v2, v3, 0x7fff
	s_delay_alu instid0(VALU_DEP_1)
	v_lshrrev_b32_e32 v2, 16, v2
	global_store_b32 v[0:1], v2, off
	s_branch .LBB86_662
.LBB86_656:
	s_mov_b32 s1, 0
	s_mov_b32 s2, s18
	s_branch .LBB86_773
.LBB86_657:
	s_mov_b32 s27, -1
	s_mov_b32 s28, 0
	s_mov_b32 s2, s18
	s_branch .LBB86_731
.LBB86_658:
	s_mov_b32 s28, 0
	s_mov_b32 s2, s18
	s_branch .LBB86_689
.LBB86_659:
	s_mov_b32 s28, 0
	s_mov_b32 s2, s18
	s_branch .LBB86_672
.LBB86_660:
	s_mov_b32 s28, 0
	s_mov_b32 s2, s18
	s_branch .LBB86_668
.LBB86_661:
	s_mov_b32 s28, 0
	s_mov_b32 s2, s18
.LBB86_662:
	s_and_b32 vcc_lo, exec_lo, s29
	s_cbranch_vccz .LBB86_667
; %bb.663:
	s_cmp_eq_u32 s27, 44
	s_mov_b32 s2, -1
	s_cbranch_scc0 .LBB86_667
; %bb.664:
	v_cndmask_b32_e64 v4, 0, 1.0, s1
	s_mov_b32 s28, exec_lo
	s_wait_xcnt 0x0
	s_delay_alu instid0(VALU_DEP_1) | instskip(NEXT) | instid1(VALU_DEP_1)
	v_dual_mov_b32 v3, 0xff :: v_dual_lshrrev_b32 v2, 23, v4
	v_cmpx_ne_u32_e32 0xff, v2
; %bb.665:
	v_and_b32_e32 v3, 0x400000, v4
	v_and_or_b32 v4, 0x3fffff, v4, v2
	s_delay_alu instid0(VALU_DEP_2) | instskip(NEXT) | instid1(VALU_DEP_2)
	v_cmp_ne_u32_e32 vcc_lo, 0, v3
	v_cmp_ne_u32_e64 s2, 0, v4
	s_and_b32 s2, vcc_lo, s2
	s_delay_alu instid0(SALU_CYCLE_1) | instskip(NEXT) | instid1(VALU_DEP_1)
	v_cndmask_b32_e64 v3, 0, 1, s2
	v_add_nc_u32_e32 v3, v2, v3
; %bb.666:
	s_or_b32 exec_lo, exec_lo, s28
	s_mov_b32 s28, -1
	s_mov_b32 s2, 0
	global_store_b8 v[0:1], v3, off
.LBB86_667:
	s_mov_b32 s29, 0
.LBB86_668:
	s_delay_alu instid0(SALU_CYCLE_1)
	s_and_b32 vcc_lo, exec_lo, s29
	s_cbranch_vccz .LBB86_671
; %bb.669:
	s_cmp_eq_u32 s27, 29
	s_mov_b32 s2, -1
	s_cbranch_scc0 .LBB86_671
; %bb.670:
	s_mov_b32 s2, 0
	s_wait_xcnt 0x0
	v_cndmask_b32_e64 v2, 0, 1, s1
	v_mov_b32_e32 v3, s2
	s_mov_b32 s28, -1
	s_mov_b32 s29, 0
	global_store_b64 v[0:1], v[2:3], off
	s_branch .LBB86_672
.LBB86_671:
	s_mov_b32 s29, 0
.LBB86_672:
	s_delay_alu instid0(SALU_CYCLE_1)
	s_and_b32 vcc_lo, exec_lo, s29
	s_cbranch_vccz .LBB86_688
; %bb.673:
	s_cmp_lt_i32 s27, 27
	s_mov_b32 s28, -1
	s_cbranch_scc1 .LBB86_679
; %bb.674:
	s_cmp_gt_i32 s27, 27
	s_cbranch_scc0 .LBB86_676
; %bb.675:
	s_wait_xcnt 0x0
	v_cndmask_b32_e64 v2, 0, 1, s1
	s_mov_b32 s28, 0
	global_store_b32 v[0:1], v2, off
.LBB86_676:
	s_and_not1_b32 vcc_lo, exec_lo, s28
	s_cbranch_vccnz .LBB86_678
; %bb.677:
	s_wait_xcnt 0x0
	v_cndmask_b32_e64 v2, 0, 1, s1
	global_store_b16 v[0:1], v2, off
.LBB86_678:
	s_mov_b32 s28, 0
.LBB86_679:
	s_delay_alu instid0(SALU_CYCLE_1)
	s_and_not1_b32 vcc_lo, exec_lo, s28
	s_cbranch_vccnz .LBB86_687
; %bb.680:
	s_wait_xcnt 0x0
	v_cndmask_b32_e64 v3, 0, 1.0, s1
	v_mov_b32_e32 v4, 0x80
	s_mov_b32 s28, exec_lo
	s_delay_alu instid0(VALU_DEP_2)
	v_cmpx_gt_u32_e32 0x43800000, v3
	s_cbranch_execz .LBB86_686
; %bb.681:
	s_mov_b32 s29, 0
	s_mov_b32 s30, exec_lo
                                        ; implicit-def: $vgpr2
	v_cmpx_lt_u32_e32 0x3bffffff, v3
	s_xor_b32 s30, exec_lo, s30
	s_cbranch_execz .LBB86_789
; %bb.682:
	v_bfe_u32 v2, v3, 20, 1
	s_mov_b32 s29, exec_lo
	s_delay_alu instid0(VALU_DEP_1) | instskip(NEXT) | instid1(VALU_DEP_1)
	v_add3_u32 v2, v3, v2, 0x487ffff
                                        ; implicit-def: $vgpr3
	v_lshrrev_b32_e32 v2, 20, v2
	s_and_not1_saveexec_b32 s30, s30
	s_cbranch_execnz .LBB86_790
.LBB86_683:
	s_or_b32 exec_lo, exec_lo, s30
	v_mov_b32_e32 v4, 0
	s_and_saveexec_b32 s30, s29
.LBB86_684:
	v_mov_b32_e32 v4, v2
.LBB86_685:
	s_or_b32 exec_lo, exec_lo, s30
.LBB86_686:
	s_delay_alu instid0(SALU_CYCLE_1)
	s_or_b32 exec_lo, exec_lo, s28
	global_store_b8 v[0:1], v4, off
.LBB86_687:
	s_mov_b32 s28, -1
.LBB86_688:
	s_mov_b32 s29, 0
.LBB86_689:
	s_delay_alu instid0(SALU_CYCLE_1)
	s_and_b32 vcc_lo, exec_lo, s29
	s_cbranch_vccz .LBB86_730
; %bb.690:
	s_cmp_gt_i32 s27, 22
	s_mov_b32 s29, -1
	s_cbranch_scc0 .LBB86_722
; %bb.691:
	s_cmp_lt_i32 s27, 24
	s_mov_b32 s28, -1
	s_cbranch_scc1 .LBB86_711
; %bb.692:
	s_cmp_gt_i32 s27, 24
	s_cbranch_scc0 .LBB86_700
; %bb.693:
	s_wait_xcnt 0x0
	v_cndmask_b32_e64 v3, 0, 1.0, s1
	v_mov_b32_e32 v4, 0x80
	s_mov_b32 s28, exec_lo
	s_delay_alu instid0(VALU_DEP_2)
	v_cmpx_gt_u32_e32 0x47800000, v3
	s_cbranch_execz .LBB86_699
; %bb.694:
	s_mov_b32 s29, 0
	s_mov_b32 s30, exec_lo
                                        ; implicit-def: $vgpr2
	v_cmpx_lt_u32_e32 0x37ffffff, v3
	s_xor_b32 s30, exec_lo, s30
	s_cbranch_execz .LBB86_921
; %bb.695:
	v_bfe_u32 v2, v3, 21, 1
	s_mov_b32 s29, exec_lo
	s_delay_alu instid0(VALU_DEP_1) | instskip(NEXT) | instid1(VALU_DEP_1)
	v_add3_u32 v2, v3, v2, 0x88fffff
                                        ; implicit-def: $vgpr3
	v_lshrrev_b32_e32 v2, 21, v2
	s_and_not1_saveexec_b32 s30, s30
	s_cbranch_execnz .LBB86_922
.LBB86_696:
	s_or_b32 exec_lo, exec_lo, s30
	v_mov_b32_e32 v4, 0
	s_and_saveexec_b32 s30, s29
.LBB86_697:
	v_mov_b32_e32 v4, v2
.LBB86_698:
	s_or_b32 exec_lo, exec_lo, s30
.LBB86_699:
	s_delay_alu instid0(SALU_CYCLE_1)
	s_or_b32 exec_lo, exec_lo, s28
	s_mov_b32 s28, 0
	global_store_b8 v[0:1], v4, off
.LBB86_700:
	s_and_b32 vcc_lo, exec_lo, s28
	s_cbranch_vccz .LBB86_710
; %bb.701:
	s_wait_xcnt 0x0
	v_cndmask_b32_e64 v3, 0, 1.0, s1
	s_mov_b32 s28, exec_lo
                                        ; implicit-def: $vgpr2
	s_delay_alu instid0(VALU_DEP_1)
	v_cmpx_gt_u32_e32 0x43f00000, v3
	s_xor_b32 s28, exec_lo, s28
	s_cbranch_execz .LBB86_707
; %bb.702:
	s_mov_b32 s29, exec_lo
                                        ; implicit-def: $vgpr2
	v_cmpx_lt_u32_e32 0x3c7fffff, v3
	s_xor_b32 s29, exec_lo, s29
; %bb.703:
	v_bfe_u32 v2, v3, 20, 1
	s_delay_alu instid0(VALU_DEP_1) | instskip(NEXT) | instid1(VALU_DEP_1)
	v_add3_u32 v2, v3, v2, 0x407ffff
	v_and_b32_e32 v3, 0xff00000, v2
	v_lshrrev_b32_e32 v2, 20, v2
	s_delay_alu instid0(VALU_DEP_2) | instskip(NEXT) | instid1(VALU_DEP_2)
	v_cmp_ne_u32_e32 vcc_lo, 0x7f00000, v3
                                        ; implicit-def: $vgpr3
	v_cndmask_b32_e32 v2, 0x7e, v2, vcc_lo
; %bb.704:
	s_and_not1_saveexec_b32 s29, s29
; %bb.705:
	v_add_f32_e32 v2, 0x46800000, v3
; %bb.706:
	s_or_b32 exec_lo, exec_lo, s29
                                        ; implicit-def: $vgpr3
.LBB86_707:
	s_and_not1_saveexec_b32 s28, s28
; %bb.708:
	v_mov_b32_e32 v2, 0x7f
	v_cmp_lt_u32_e32 vcc_lo, 0x7f800000, v3
	s_delay_alu instid0(VALU_DEP_2)
	v_cndmask_b32_e32 v2, 0x7e, v2, vcc_lo
; %bb.709:
	s_or_b32 exec_lo, exec_lo, s28
	global_store_b8 v[0:1], v2, off
.LBB86_710:
	s_mov_b32 s28, 0
.LBB86_711:
	s_delay_alu instid0(SALU_CYCLE_1)
	s_and_not1_b32 vcc_lo, exec_lo, s28
	s_cbranch_vccnz .LBB86_721
; %bb.712:
	s_wait_xcnt 0x0
	v_cndmask_b32_e64 v3, 0, 1.0, s1
	s_mov_b32 s28, exec_lo
                                        ; implicit-def: $vgpr2
	s_delay_alu instid0(VALU_DEP_1)
	v_cmpx_gt_u32_e32 0x47800000, v3
	s_xor_b32 s28, exec_lo, s28
	s_cbranch_execz .LBB86_718
; %bb.713:
	s_mov_b32 s29, exec_lo
                                        ; implicit-def: $vgpr2
	v_cmpx_lt_u32_e32 0x387fffff, v3
	s_xor_b32 s29, exec_lo, s29
; %bb.714:
	v_bfe_u32 v2, v3, 21, 1
	s_delay_alu instid0(VALU_DEP_1) | instskip(NEXT) | instid1(VALU_DEP_1)
	v_add3_u32 v2, v3, v2, 0x80fffff
                                        ; implicit-def: $vgpr3
	v_lshrrev_b32_e32 v2, 21, v2
; %bb.715:
	s_and_not1_saveexec_b32 s29, s29
; %bb.716:
	v_add_f32_e32 v2, 0x43000000, v3
; %bb.717:
	s_or_b32 exec_lo, exec_lo, s29
                                        ; implicit-def: $vgpr3
.LBB86_718:
	s_and_not1_saveexec_b32 s28, s28
; %bb.719:
	v_mov_b32_e32 v2, 0x7f
	v_cmp_lt_u32_e32 vcc_lo, 0x7f800000, v3
	s_delay_alu instid0(VALU_DEP_2)
	v_cndmask_b32_e32 v2, 0x7c, v2, vcc_lo
; %bb.720:
	s_or_b32 exec_lo, exec_lo, s28
	global_store_b8 v[0:1], v2, off
.LBB86_721:
	s_mov_b32 s29, 0
	s_mov_b32 s28, -1
.LBB86_722:
	s_and_not1_b32 vcc_lo, exec_lo, s29
	s_cbranch_vccnz .LBB86_730
; %bb.723:
	s_cmp_gt_i32 s27, 14
	s_mov_b32 s29, -1
	s_cbranch_scc0 .LBB86_727
; %bb.724:
	s_cmp_eq_u32 s27, 15
	s_mov_b32 s2, -1
	s_cbranch_scc0 .LBB86_726
; %bb.725:
	s_wait_xcnt 0x0
	v_cndmask_b32_e64 v2, 0, 1.0, s1
	s_mov_b32 s28, -1
	s_mov_b32 s2, 0
	s_delay_alu instid0(VALU_DEP_1) | instskip(NEXT) | instid1(VALU_DEP_1)
	v_bfe_u32 v3, v2, 16, 1
	v_add3_u32 v2, v2, v3, 0x7fff
	global_store_d16_hi_b16 v[0:1], v2, off
.LBB86_726:
	s_mov_b32 s29, 0
.LBB86_727:
	s_delay_alu instid0(SALU_CYCLE_1)
	s_and_b32 vcc_lo, exec_lo, s29
	s_cbranch_vccz .LBB86_730
; %bb.728:
	s_cmp_eq_u32 s27, 11
	s_mov_b32 s2, -1
	s_cbranch_scc0 .LBB86_730
; %bb.729:
	s_wait_xcnt 0x0
	v_cndmask_b32_e64 v2, 0, 1, s1
	s_mov_b32 s28, -1
	s_mov_b32 s2, 0
	global_store_b8 v[0:1], v2, off
.LBB86_730:
	s_mov_b32 s27, 0
.LBB86_731:
	s_delay_alu instid0(SALU_CYCLE_1)
	s_and_b32 vcc_lo, exec_lo, s27
	s_cbranch_vccz .LBB86_770
; %bb.732:
	s_and_b32 s24, 0xffff, s24
	s_mov_b32 s27, -1
	s_cmp_lt_i32 s24, 5
	s_cbranch_scc1 .LBB86_753
; %bb.733:
	s_cmp_lt_i32 s24, 8
	s_cbranch_scc1 .LBB86_743
; %bb.734:
	;; [unrolled: 3-line block ×3, first 2 shown]
	s_cmp_gt_i32 s24, 9
	s_cbranch_scc0 .LBB86_737
; %bb.736:
	s_wait_xcnt 0x0
	v_cndmask_b32_e64 v2, 0, 1, s1
	v_mov_b32_e32 v4, 0
	s_mov_b32 s27, 0
	s_delay_alu instid0(VALU_DEP_2) | instskip(NEXT) | instid1(VALU_DEP_2)
	v_cvt_f64_u32_e32 v[2:3], v2
	v_mov_b32_e32 v5, v4
	global_store_b128 v[0:1], v[2:5], off
.LBB86_737:
	s_and_not1_b32 vcc_lo, exec_lo, s27
	s_cbranch_vccnz .LBB86_739
; %bb.738:
	s_wait_xcnt 0x0
	v_cndmask_b32_e64 v2, 0, 1.0, s1
	v_mov_b32_e32 v3, 0
	global_store_b64 v[0:1], v[2:3], off
.LBB86_739:
	s_mov_b32 s27, 0
.LBB86_740:
	s_delay_alu instid0(SALU_CYCLE_1)
	s_and_not1_b32 vcc_lo, exec_lo, s27
	s_cbranch_vccnz .LBB86_742
; %bb.741:
	s_wait_xcnt 0x0
	v_cndmask_b32_e64 v2, 0, 1.0, s1
	s_delay_alu instid0(VALU_DEP_1) | instskip(NEXT) | instid1(VALU_DEP_1)
	v_cvt_f16_f32_e32 v2, v2
	v_and_b32_e32 v2, 0xffff, v2
	global_store_b32 v[0:1], v2, off
.LBB86_742:
	s_mov_b32 s27, 0
.LBB86_743:
	s_delay_alu instid0(SALU_CYCLE_1)
	s_and_not1_b32 vcc_lo, exec_lo, s27
	s_cbranch_vccnz .LBB86_752
; %bb.744:
	s_cmp_lt_i32 s24, 6
	s_mov_b32 s27, -1
	s_cbranch_scc1 .LBB86_750
; %bb.745:
	s_cmp_gt_i32 s24, 6
	s_cbranch_scc0 .LBB86_747
; %bb.746:
	s_wait_xcnt 0x0
	v_cndmask_b32_e64 v2, 0, 1, s1
	s_mov_b32 s27, 0
	s_delay_alu instid0(VALU_DEP_1)
	v_cvt_f64_u32_e32 v[2:3], v2
	global_store_b64 v[0:1], v[2:3], off
.LBB86_747:
	s_and_not1_b32 vcc_lo, exec_lo, s27
	s_cbranch_vccnz .LBB86_749
; %bb.748:
	s_wait_xcnt 0x0
	v_cndmask_b32_e64 v2, 0, 1.0, s1
	global_store_b32 v[0:1], v2, off
.LBB86_749:
	s_mov_b32 s27, 0
.LBB86_750:
	s_delay_alu instid0(SALU_CYCLE_1)
	s_and_not1_b32 vcc_lo, exec_lo, s27
	s_cbranch_vccnz .LBB86_752
; %bb.751:
	s_wait_xcnt 0x0
	v_cndmask_b32_e64 v2, 0, 1.0, s1
	s_delay_alu instid0(VALU_DEP_1)
	v_cvt_f16_f32_e32 v2, v2
	global_store_b16 v[0:1], v2, off
.LBB86_752:
	s_mov_b32 s27, 0
.LBB86_753:
	s_delay_alu instid0(SALU_CYCLE_1)
	s_and_not1_b32 vcc_lo, exec_lo, s27
	s_cbranch_vccnz .LBB86_769
; %bb.754:
	s_cmp_lt_i32 s24, 2
	s_mov_b32 s27, -1
	s_cbranch_scc1 .LBB86_764
; %bb.755:
	s_cmp_lt_i32 s24, 3
	s_cbranch_scc1 .LBB86_761
; %bb.756:
	s_cmp_gt_i32 s24, 3
	s_cbranch_scc0 .LBB86_758
; %bb.757:
	s_mov_b32 s27, 0
	s_wait_xcnt 0x0
	v_cndmask_b32_e64 v2, 0, 1, s1
	v_mov_b32_e32 v3, s27
	global_store_b64 v[0:1], v[2:3], off
.LBB86_758:
	s_and_not1_b32 vcc_lo, exec_lo, s27
	s_cbranch_vccnz .LBB86_760
; %bb.759:
	s_wait_xcnt 0x0
	v_cndmask_b32_e64 v2, 0, 1, s1
	global_store_b32 v[0:1], v2, off
.LBB86_760:
	s_mov_b32 s27, 0
.LBB86_761:
	s_delay_alu instid0(SALU_CYCLE_1)
	s_and_not1_b32 vcc_lo, exec_lo, s27
	s_cbranch_vccnz .LBB86_763
; %bb.762:
	s_wait_xcnt 0x0
	v_cndmask_b32_e64 v2, 0, 1, s1
	global_store_b16 v[0:1], v2, off
.LBB86_763:
	s_mov_b32 s27, 0
.LBB86_764:
	s_delay_alu instid0(SALU_CYCLE_1)
	s_and_not1_b32 vcc_lo, exec_lo, s27
	s_cbranch_vccnz .LBB86_769
; %bb.765:
	s_wait_xcnt 0x0
	v_cndmask_b32_e64 v2, 0, 1, s1
	s_cmp_gt_i32 s24, 0
	s_mov_b32 s1, -1
	s_cbranch_scc0 .LBB86_767
; %bb.766:
	s_mov_b32 s1, 0
	global_store_b8 v[0:1], v2, off
.LBB86_767:
	s_and_not1_b32 vcc_lo, exec_lo, s1
	s_cbranch_vccnz .LBB86_769
; %bb.768:
	global_store_b8 v[0:1], v2, off
.LBB86_769:
	s_mov_b32 s28, -1
.LBB86_770:
	s_delay_alu instid0(SALU_CYCLE_1)
	s_and_not1_b32 vcc_lo, exec_lo, s28
	s_cbranch_vccnz .LBB86_772
; %bb.771:
	v_add_nc_u32_e32 v18, 0x80, v18
	s_mov_b32 s1, -1
	s_branch .LBB86_774
.LBB86_772:
	s_mov_b32 s1, 0
.LBB86_773:
                                        ; implicit-def: $vgpr18
.LBB86_774:
	s_and_not1_b32 s24, s18, exec_lo
	s_and_b32 s2, s2, exec_lo
	s_and_b32 s25, s25, exec_lo
	s_or_b32 s24, s24, s2
	s_and_not1_b32 s2, s20, exec_lo
	s_and_not1_b32 s27, s21, exec_lo
	s_and_b32 s23, s23, exec_lo
	s_or_b32 s25, s2, s25
	s_or_b32 s23, s27, s23
	s_or_not1_b32 s29, s1, exec_lo
.LBB86_775:
	s_wait_xcnt 0x0
	s_or_b32 exec_lo, exec_lo, s26
	s_mov_b32 s1, 0
	s_mov_b32 s27, 0
	s_mov_b32 s28, 0
                                        ; implicit-def: $sgpr2
                                        ; implicit-def: $vgpr2_vgpr3
                                        ; implicit-def: $vgpr0_vgpr1
	s_and_saveexec_b32 s26, s29
	s_cbranch_execz .LBB86_1250
; %bb.776:
	s_mov_b32 s34, -1
	s_mov_b32 s1, s23
	s_mov_b32 s28, s25
	;; [unrolled: 1-line block ×3, first 2 shown]
	s_mov_b32 s27, exec_lo
	v_cmpx_gt_i32_e64 s19, v18
	s_cbranch_execz .LBB86_1166
; %bb.777:
	s_wait_loadcnt 0x0
	v_mul_lo_u32 v0, v18, s9
	s_and_b32 s1, s16, 0xff
	s_delay_alu instid0(SALU_CYCLE_1) | instskip(NEXT) | instid1(VALU_DEP_1)
	s_cmp_lt_i32 s1, 11
	v_ashrrev_i32_e32 v1, 31, v0
	s_delay_alu instid0(VALU_DEP_1)
	v_add_nc_u64_e32 v[2:3], s[6:7], v[0:1]
	s_cbranch_scc1 .LBB86_784
; %bb.778:
	s_and_b32 s2, 0xffff, s1
	s_delay_alu instid0(SALU_CYCLE_1)
	s_cmp_gt_i32 s2, 25
	s_cbranch_scc0 .LBB86_785
; %bb.779:
	s_cmp_gt_i32 s2, 28
	s_cbranch_scc0 .LBB86_786
; %bb.780:
	;; [unrolled: 3-line block ×4, first 2 shown]
	s_cmp_eq_u32 s2, 46
	s_mov_b32 s30, 0
	s_cbranch_scc0 .LBB86_791
; %bb.783:
	global_load_b32 v0, v[2:3], off
	s_mov_b32 s29, -1
	s_mov_b32 s28, 0
	s_wait_loadcnt 0x0
	v_lshlrev_b32_e32 v0, 16, v0
	s_delay_alu instid0(VALU_DEP_1)
	v_cvt_f64_f32_e32 v[0:1], v0
	s_branch .LBB86_793
.LBB86_784:
	s_mov_b32 s2, -1
	s_mov_b32 s29, 0
	s_mov_b32 s28, s23
                                        ; implicit-def: $vgpr0_vgpr1
	s_branch .LBB86_858
.LBB86_785:
	s_mov_b32 s30, -1
	s_mov_b32 s29, 0
	s_mov_b32 s28, s23
                                        ; implicit-def: $vgpr0_vgpr1
	s_branch .LBB86_822
.LBB86_786:
	s_mov_b32 s30, -1
	s_mov_b32 s29, 0
	s_mov_b32 s28, s23
                                        ; implicit-def: $vgpr0_vgpr1
	s_branch .LBB86_803
.LBB86_787:
	s_mov_b32 s30, -1
	s_mov_b32 s29, 0
	s_mov_b32 s28, s23
                                        ; implicit-def: $vgpr0_vgpr1
	s_branch .LBB86_798
.LBB86_788:
	s_mov_b32 s30, -1
	s_mov_b32 s29, 0
	s_mov_b32 s28, s23
	s_branch .LBB86_792
.LBB86_789:
	s_and_not1_saveexec_b32 s30, s30
	s_cbranch_execz .LBB86_683
.LBB86_790:
	v_add_f32_e32 v2, 0x46000000, v3
	s_and_not1_b32 s29, s29, exec_lo
	s_delay_alu instid0(VALU_DEP_1) | instskip(NEXT) | instid1(VALU_DEP_1)
	v_and_b32_e32 v2, 0xff, v2
	v_cmp_ne_u32_e32 vcc_lo, 0, v2
	s_and_b32 s31, vcc_lo, exec_lo
	s_delay_alu instid0(SALU_CYCLE_1)
	s_or_b32 s29, s29, s31
	s_or_b32 exec_lo, exec_lo, s30
	v_mov_b32_e32 v4, 0
	s_and_saveexec_b32 s30, s29
	s_cbranch_execnz .LBB86_684
	s_branch .LBB86_685
.LBB86_791:
	s_mov_b32 s28, -1
	s_mov_b32 s29, 0
.LBB86_792:
                                        ; implicit-def: $vgpr0_vgpr1
.LBB86_793:
	s_and_b32 vcc_lo, exec_lo, s30
	s_cbranch_vccz .LBB86_797
; %bb.794:
	s_cmp_eq_u32 s2, 44
	s_cbranch_scc0 .LBB86_796
; %bb.795:
	global_load_u8 v4, v[2:3], off
	s_mov_b32 s28, 0
	s_mov_b32 s29, -1
	s_wait_loadcnt 0x0
	v_cmp_ne_u32_e32 vcc_lo, 0xff, v4
	v_lshlrev_b32_e32 v0, 23, v4
	s_delay_alu instid0(VALU_DEP_1) | instskip(NEXT) | instid1(VALU_DEP_1)
	v_cvt_f64_f32_e32 v[0:1], v0
	v_cndmask_b32_e32 v0, 0x20000000, v0, vcc_lo
	s_delay_alu instid0(VALU_DEP_2) | instskip(SKIP_1) | instid1(VALU_DEP_2)
	v_cndmask_b32_e32 v1, 0x7ff80000, v1, vcc_lo
	v_cmp_ne_u32_e32 vcc_lo, 0, v4
	v_cndmask_b32_e32 v1, 0x38000000, v1, vcc_lo
	s_delay_alu instid0(VALU_DEP_4)
	v_cndmask_b32_e32 v0, 0, v0, vcc_lo
	s_branch .LBB86_797
.LBB86_796:
	s_mov_b32 s28, -1
                                        ; implicit-def: $vgpr0_vgpr1
.LBB86_797:
	s_mov_b32 s30, 0
.LBB86_798:
	s_delay_alu instid0(SALU_CYCLE_1)
	s_and_b32 vcc_lo, exec_lo, s30
	s_cbranch_vccz .LBB86_802
; %bb.799:
	s_cmp_eq_u32 s2, 29
	s_cbranch_scc0 .LBB86_801
; %bb.800:
	global_load_b64 v[0:1], v[2:3], off
	s_mov_b32 s29, -1
	s_mov_b32 s28, 0
	s_mov_b32 s30, 0
	s_wait_loadcnt 0x0
	v_cvt_f64_u32_e32 v[4:5], v1
	v_cvt_f64_u32_e32 v[0:1], v0
	s_delay_alu instid0(VALU_DEP_2) | instskip(NEXT) | instid1(VALU_DEP_1)
	v_ldexp_f64 v[4:5], v[4:5], 32
	v_add_f64_e32 v[0:1], v[4:5], v[0:1]
	s_branch .LBB86_803
.LBB86_801:
	s_mov_b32 s28, -1
                                        ; implicit-def: $vgpr0_vgpr1
.LBB86_802:
	s_mov_b32 s30, 0
.LBB86_803:
	s_delay_alu instid0(SALU_CYCLE_1)
	s_and_b32 vcc_lo, exec_lo, s30
	s_cbranch_vccz .LBB86_821
; %bb.804:
	s_cmp_lt_i32 s2, 27
	s_cbranch_scc1 .LBB86_807
; %bb.805:
	s_cmp_gt_i32 s2, 27
	s_cbranch_scc0 .LBB86_808
; %bb.806:
	global_load_b32 v0, v[2:3], off
	s_mov_b32 s29, 0
	s_wait_loadcnt 0x0
	v_cvt_f64_u32_e32 v[0:1], v0
	s_branch .LBB86_809
.LBB86_807:
	s_mov_b32 s29, -1
                                        ; implicit-def: $vgpr0_vgpr1
	s_branch .LBB86_812
.LBB86_808:
	s_mov_b32 s29, -1
                                        ; implicit-def: $vgpr0_vgpr1
.LBB86_809:
	s_delay_alu instid0(SALU_CYCLE_1)
	s_and_not1_b32 vcc_lo, exec_lo, s29
	s_cbranch_vccnz .LBB86_811
; %bb.810:
	global_load_u16 v0, v[2:3], off
	s_wait_loadcnt 0x0
	v_cvt_f64_u32_e32 v[0:1], v0
.LBB86_811:
	s_mov_b32 s29, 0
.LBB86_812:
	s_delay_alu instid0(SALU_CYCLE_1)
	s_and_not1_b32 vcc_lo, exec_lo, s29
	s_cbranch_vccnz .LBB86_820
; %bb.813:
	global_load_u8 v4, v[2:3], off
	s_mov_b32 s29, 0
	s_mov_b32 s30, exec_lo
	s_wait_loadcnt 0x0
	v_cmpx_lt_i16_e32 0x7f, v4
	s_xor_b32 s30, exec_lo, s30
	s_cbranch_execz .LBB86_834
; %bb.814:
	s_mov_b32 s29, -1
	s_mov_b32 s31, exec_lo
	v_cmpx_eq_u16_e32 0x80, v4
; %bb.815:
	s_xor_b32 s29, exec_lo, -1
; %bb.816:
	s_or_b32 exec_lo, exec_lo, s31
	s_delay_alu instid0(SALU_CYCLE_1)
	s_and_b32 s29, s29, exec_lo
	s_or_saveexec_b32 s30, s30
	v_mov_b64_e32 v[0:1], 0x7ff8000020000000
	s_xor_b32 exec_lo, exec_lo, s30
	s_cbranch_execnz .LBB86_835
.LBB86_817:
	s_or_b32 exec_lo, exec_lo, s30
	s_and_saveexec_b32 s30, s29
	s_cbranch_execz .LBB86_819
.LBB86_818:
	v_and_b32_e32 v0, 0xffff, v4
	s_delay_alu instid0(VALU_DEP_1) | instskip(SKIP_1) | instid1(VALU_DEP_2)
	v_and_b32_e32 v1, 7, v0
	v_bfe_u32 v7, v0, 3, 4
	v_clz_i32_u32_e32 v5, v1
	s_delay_alu instid0(VALU_DEP_2) | instskip(NEXT) | instid1(VALU_DEP_2)
	v_cmp_eq_u32_e32 vcc_lo, 0, v7
	v_min_u32_e32 v5, 32, v5
	s_delay_alu instid0(VALU_DEP_1) | instskip(NEXT) | instid1(VALU_DEP_1)
	v_subrev_nc_u32_e32 v6, 28, v5
	v_dual_lshlrev_b32 v0, v6, v0 :: v_dual_sub_nc_u32 v5, 29, v5
	s_delay_alu instid0(VALU_DEP_1) | instskip(NEXT) | instid1(VALU_DEP_2)
	v_and_b32_e32 v0, 7, v0
	v_dual_cndmask_b32 v5, v7, v5 :: v_dual_lshlrev_b32 v4, 24, v4
	s_delay_alu instid0(VALU_DEP_2) | instskip(NEXT) | instid1(VALU_DEP_2)
	v_cndmask_b32_e32 v0, v1, v0, vcc_lo
	v_and_b32_e32 v1, 0x80000000, v4
	s_delay_alu instid0(VALU_DEP_3) | instskip(NEXT) | instid1(VALU_DEP_3)
	v_lshl_add_u32 v4, v5, 23, 0x3b800000
	v_lshlrev_b32_e32 v0, 20, v0
	s_delay_alu instid0(VALU_DEP_1) | instskip(NEXT) | instid1(VALU_DEP_1)
	v_or3_b32 v0, v1, v4, v0
	v_cvt_f64_f32_e32 v[0:1], v0
.LBB86_819:
	s_or_b32 exec_lo, exec_lo, s30
.LBB86_820:
	s_mov_b32 s29, -1
.LBB86_821:
	s_mov_b32 s30, 0
.LBB86_822:
	s_delay_alu instid0(SALU_CYCLE_1)
	s_and_b32 vcc_lo, exec_lo, s30
	s_cbranch_vccz .LBB86_857
; %bb.823:
	s_cmp_gt_i32 s2, 22
	s_cbranch_scc0 .LBB86_833
; %bb.824:
	s_cmp_lt_i32 s2, 24
	s_cbranch_scc1 .LBB86_836
; %bb.825:
	s_cmp_gt_i32 s2, 24
	s_cbranch_scc0 .LBB86_837
; %bb.826:
	global_load_u8 v4, v[2:3], off
	s_mov_b32 s29, 0
	s_mov_b32 s30, exec_lo
	s_wait_loadcnt 0x0
	v_cmpx_lt_i16_e32 0x7f, v4
	s_xor_b32 s30, exec_lo, s30
	s_cbranch_execz .LBB86_849
; %bb.827:
	s_mov_b32 s29, -1
	s_mov_b32 s31, exec_lo
	v_cmpx_eq_u16_e32 0x80, v4
; %bb.828:
	s_xor_b32 s29, exec_lo, -1
; %bb.829:
	s_or_b32 exec_lo, exec_lo, s31
	s_delay_alu instid0(SALU_CYCLE_1)
	s_and_b32 s29, s29, exec_lo
	s_or_saveexec_b32 s30, s30
	v_mov_b64_e32 v[0:1], 0x7ff8000020000000
	s_xor_b32 exec_lo, exec_lo, s30
	s_cbranch_execnz .LBB86_850
.LBB86_830:
	s_or_b32 exec_lo, exec_lo, s30
	s_and_saveexec_b32 s30, s29
	s_cbranch_execz .LBB86_832
.LBB86_831:
	v_and_b32_e32 v0, 0xffff, v4
	s_delay_alu instid0(VALU_DEP_1) | instskip(SKIP_1) | instid1(VALU_DEP_2)
	v_and_b32_e32 v1, 3, v0
	v_bfe_u32 v7, v0, 2, 5
	v_clz_i32_u32_e32 v5, v1
	s_delay_alu instid0(VALU_DEP_2) | instskip(NEXT) | instid1(VALU_DEP_2)
	v_cmp_eq_u32_e32 vcc_lo, 0, v7
	v_min_u32_e32 v5, 32, v5
	s_delay_alu instid0(VALU_DEP_1) | instskip(NEXT) | instid1(VALU_DEP_1)
	v_subrev_nc_u32_e32 v6, 29, v5
	v_dual_lshlrev_b32 v0, v6, v0 :: v_dual_sub_nc_u32 v5, 30, v5
	s_delay_alu instid0(VALU_DEP_1) | instskip(NEXT) | instid1(VALU_DEP_2)
	v_and_b32_e32 v0, 3, v0
	v_dual_cndmask_b32 v5, v7, v5 :: v_dual_lshlrev_b32 v4, 24, v4
	s_delay_alu instid0(VALU_DEP_2) | instskip(NEXT) | instid1(VALU_DEP_2)
	v_cndmask_b32_e32 v0, v1, v0, vcc_lo
	v_and_b32_e32 v1, 0x80000000, v4
	s_delay_alu instid0(VALU_DEP_3) | instskip(NEXT) | instid1(VALU_DEP_3)
	v_lshl_add_u32 v4, v5, 23, 0x37800000
	v_lshlrev_b32_e32 v0, 21, v0
	s_delay_alu instid0(VALU_DEP_1) | instskip(NEXT) | instid1(VALU_DEP_1)
	v_or3_b32 v0, v1, v4, v0
	v_cvt_f64_f32_e32 v[0:1], v0
.LBB86_832:
	s_or_b32 exec_lo, exec_lo, s30
	s_mov_b32 s29, 0
	s_branch .LBB86_838
.LBB86_833:
	s_mov_b32 s30, -1
                                        ; implicit-def: $vgpr0_vgpr1
	s_branch .LBB86_844
.LBB86_834:
	s_or_saveexec_b32 s30, s30
	v_mov_b64_e32 v[0:1], 0x7ff8000020000000
	s_xor_b32 exec_lo, exec_lo, s30
	s_cbranch_execz .LBB86_817
.LBB86_835:
	v_cmp_ne_u16_e32 vcc_lo, 0, v4
	v_mov_b64_e32 v[0:1], 0
	s_and_not1_b32 s29, s29, exec_lo
	s_and_b32 s31, vcc_lo, exec_lo
	s_delay_alu instid0(SALU_CYCLE_1)
	s_or_b32 s29, s29, s31
	s_or_b32 exec_lo, exec_lo, s30
	s_and_saveexec_b32 s30, s29
	s_cbranch_execnz .LBB86_818
	s_branch .LBB86_819
.LBB86_836:
	s_mov_b32 s29, -1
                                        ; implicit-def: $vgpr0_vgpr1
	s_branch .LBB86_841
.LBB86_837:
	s_mov_b32 s29, -1
                                        ; implicit-def: $vgpr0_vgpr1
.LBB86_838:
	s_delay_alu instid0(SALU_CYCLE_1)
	s_and_b32 vcc_lo, exec_lo, s29
	s_cbranch_vccz .LBB86_840
; %bb.839:
	global_load_u8 v0, v[2:3], off
	s_wait_loadcnt 0x0
	v_lshlrev_b32_e32 v0, 24, v0
	s_delay_alu instid0(VALU_DEP_1) | instskip(NEXT) | instid1(VALU_DEP_1)
	v_and_b32_e32 v1, 0x7f000000, v0
	v_clz_i32_u32_e32 v4, v1
	v_cmp_ne_u32_e32 vcc_lo, 0, v1
	v_add_nc_u32_e32 v6, 0x1000000, v1
	s_delay_alu instid0(VALU_DEP_3) | instskip(NEXT) | instid1(VALU_DEP_1)
	v_min_u32_e32 v4, 32, v4
	v_sub_nc_u32_e64 v4, v4, 4 clamp
	s_delay_alu instid0(VALU_DEP_1) | instskip(NEXT) | instid1(VALU_DEP_1)
	v_dual_lshlrev_b32 v5, v4, v1 :: v_dual_lshlrev_b32 v4, 23, v4
	v_lshrrev_b32_e32 v5, 4, v5
	s_delay_alu instid0(VALU_DEP_1) | instskip(NEXT) | instid1(VALU_DEP_1)
	v_dual_sub_nc_u32 v4, v5, v4 :: v_dual_ashrrev_i32 v5, 8, v6
	v_add_nc_u32_e32 v4, 0x3c000000, v4
	s_delay_alu instid0(VALU_DEP_1) | instskip(NEXT) | instid1(VALU_DEP_1)
	v_and_or_b32 v4, 0x7f800000, v5, v4
	v_cndmask_b32_e32 v1, 0, v4, vcc_lo
	s_delay_alu instid0(VALU_DEP_1) | instskip(NEXT) | instid1(VALU_DEP_1)
	v_and_or_b32 v0, 0x80000000, v0, v1
	v_cvt_f64_f32_e32 v[0:1], v0
.LBB86_840:
	s_mov_b32 s29, 0
.LBB86_841:
	s_delay_alu instid0(SALU_CYCLE_1)
	s_and_not1_b32 vcc_lo, exec_lo, s29
	s_cbranch_vccnz .LBB86_843
; %bb.842:
	global_load_u8 v0, v[2:3], off
	s_wait_loadcnt 0x0
	v_lshlrev_b32_e32 v1, 25, v0
	v_lshlrev_b16 v0, 8, v0
	s_delay_alu instid0(VALU_DEP_1) | instskip(SKIP_1) | instid1(VALU_DEP_2)
	v_and_or_b32 v5, 0x7f00, v0, 0.5
	v_bfe_i32 v0, v0, 0, 16
	v_add_f32_e32 v5, -0.5, v5
	v_lshrrev_b32_e32 v4, 4, v1
	v_cmp_gt_u32_e32 vcc_lo, 0x8000000, v1
	s_delay_alu instid0(VALU_DEP_2) | instskip(NEXT) | instid1(VALU_DEP_1)
	v_or_b32_e32 v4, 0x70000000, v4
	v_mul_f32_e32 v4, 0x7800000, v4
	s_delay_alu instid0(VALU_DEP_1) | instskip(NEXT) | instid1(VALU_DEP_1)
	v_cndmask_b32_e32 v1, v4, v5, vcc_lo
	v_and_or_b32 v0, 0x80000000, v0, v1
	s_delay_alu instid0(VALU_DEP_1)
	v_cvt_f64_f32_e32 v[0:1], v0
.LBB86_843:
	s_mov_b32 s30, 0
	s_mov_b32 s29, -1
.LBB86_844:
	s_and_not1_b32 vcc_lo, exec_lo, s30
	s_cbranch_vccnz .LBB86_857
; %bb.845:
	s_cmp_gt_i32 s2, 14
	s_cbranch_scc0 .LBB86_848
; %bb.846:
	s_cmp_eq_u32 s2, 15
	s_cbranch_scc0 .LBB86_851
; %bb.847:
	global_load_u16 v0, v[2:3], off
	s_mov_b32 s29, -1
	s_mov_b32 s28, 0
	s_wait_loadcnt 0x0
	v_lshlrev_b32_e32 v0, 16, v0
	s_delay_alu instid0(VALU_DEP_1)
	v_cvt_f64_f32_e32 v[0:1], v0
	s_branch .LBB86_852
.LBB86_848:
	s_mov_b32 s30, -1
                                        ; implicit-def: $vgpr0_vgpr1
	s_branch .LBB86_853
.LBB86_849:
	s_or_saveexec_b32 s30, s30
	v_mov_b64_e32 v[0:1], 0x7ff8000020000000
	s_xor_b32 exec_lo, exec_lo, s30
	s_cbranch_execz .LBB86_830
.LBB86_850:
	v_cmp_ne_u16_e32 vcc_lo, 0, v4
	v_mov_b64_e32 v[0:1], 0
	s_and_not1_b32 s29, s29, exec_lo
	s_and_b32 s31, vcc_lo, exec_lo
	s_delay_alu instid0(SALU_CYCLE_1)
	s_or_b32 s29, s29, s31
	s_or_b32 exec_lo, exec_lo, s30
	s_and_saveexec_b32 s30, s29
	s_cbranch_execnz .LBB86_831
	s_branch .LBB86_832
.LBB86_851:
	s_mov_b32 s28, -1
                                        ; implicit-def: $vgpr0_vgpr1
.LBB86_852:
	s_mov_b32 s30, 0
.LBB86_853:
	s_delay_alu instid0(SALU_CYCLE_1)
	s_and_b32 vcc_lo, exec_lo, s30
	s_cbranch_vccz .LBB86_857
; %bb.854:
	s_cmp_eq_u32 s2, 11
	s_cbranch_scc0 .LBB86_856
; %bb.855:
	global_load_u8 v0, v[2:3], off
	s_mov_b32 s28, 0
	s_mov_b32 s29, -1
	s_wait_loadcnt 0x0
	v_cmp_ne_u16_e32 vcc_lo, 0, v0
	v_mov_b32_e32 v0, 0
	v_cndmask_b32_e64 v1, 0, 0x3ff00000, vcc_lo
	s_branch .LBB86_857
.LBB86_856:
	s_mov_b32 s28, -1
                                        ; implicit-def: $vgpr0_vgpr1
.LBB86_857:
	s_mov_b32 s2, 0
.LBB86_858:
	s_delay_alu instid0(SALU_CYCLE_1)
	s_and_b32 vcc_lo, exec_lo, s2
	s_cbranch_vccz .LBB86_907
; %bb.859:
	s_and_b32 s1, 0xffff, s1
	s_delay_alu instid0(SALU_CYCLE_1)
	s_cmp_lt_i32 s1, 5
	s_cbranch_scc1 .LBB86_864
; %bb.860:
	s_cmp_lt_i32 s1, 8
	s_cbranch_scc1 .LBB86_865
; %bb.861:
	;; [unrolled: 3-line block ×3, first 2 shown]
	s_cmp_gt_i32 s1, 9
	s_cbranch_scc0 .LBB86_867
; %bb.863:
	global_load_b64 v[0:1], v[2:3], off
	s_mov_b32 s2, 0
	s_branch .LBB86_868
.LBB86_864:
	s_mov_b32 s2, -1
                                        ; implicit-def: $vgpr0_vgpr1
	s_branch .LBB86_886
.LBB86_865:
	s_mov_b32 s2, -1
                                        ; implicit-def: $vgpr0_vgpr1
	s_branch .LBB86_874
.LBB86_866:
	s_mov_b32 s2, -1
                                        ; implicit-def: $vgpr0_vgpr1
	s_branch .LBB86_871
.LBB86_867:
	s_mov_b32 s2, -1
                                        ; implicit-def: $vgpr0_vgpr1
.LBB86_868:
	s_delay_alu instid0(SALU_CYCLE_1)
	s_and_not1_b32 vcc_lo, exec_lo, s2
	s_cbranch_vccnz .LBB86_870
; %bb.869:
	s_wait_loadcnt 0x0
	global_load_b32 v0, v[2:3], off
	s_wait_loadcnt 0x0
	v_cvt_f64_f32_e32 v[0:1], v0
.LBB86_870:
	s_mov_b32 s2, 0
.LBB86_871:
	s_delay_alu instid0(SALU_CYCLE_1)
	s_and_not1_b32 vcc_lo, exec_lo, s2
	s_cbranch_vccnz .LBB86_873
; %bb.872:
	s_wait_loadcnt 0x0
	global_load_b32 v0, v[2:3], off
	s_wait_loadcnt 0x0
	v_cvt_f32_f16_e32 v0, v0
	s_delay_alu instid0(VALU_DEP_1)
	v_cvt_f64_f32_e32 v[0:1], v0
.LBB86_873:
	s_mov_b32 s2, 0
.LBB86_874:
	s_delay_alu instid0(SALU_CYCLE_1)
	s_and_not1_b32 vcc_lo, exec_lo, s2
	s_cbranch_vccnz .LBB86_885
; %bb.875:
	s_cmp_lt_i32 s1, 6
	s_cbranch_scc1 .LBB86_878
; %bb.876:
	s_cmp_gt_i32 s1, 6
	s_cbranch_scc0 .LBB86_879
; %bb.877:
	s_wait_loadcnt 0x0
	global_load_b64 v[0:1], v[2:3], off
	s_mov_b32 s2, 0
	s_branch .LBB86_880
.LBB86_878:
	s_mov_b32 s2, -1
                                        ; implicit-def: $vgpr0_vgpr1
	s_branch .LBB86_883
.LBB86_879:
	s_mov_b32 s2, -1
                                        ; implicit-def: $vgpr0_vgpr1
.LBB86_880:
	s_delay_alu instid0(SALU_CYCLE_1)
	s_and_not1_b32 vcc_lo, exec_lo, s2
	s_cbranch_vccnz .LBB86_882
; %bb.881:
	s_wait_loadcnt 0x0
	global_load_b32 v0, v[2:3], off
	s_wait_loadcnt 0x0
	v_cvt_f64_f32_e32 v[0:1], v0
.LBB86_882:
	s_mov_b32 s2, 0
.LBB86_883:
	s_delay_alu instid0(SALU_CYCLE_1)
	s_and_not1_b32 vcc_lo, exec_lo, s2
	s_cbranch_vccnz .LBB86_885
; %bb.884:
	s_wait_loadcnt 0x0
	global_load_u16 v0, v[2:3], off
	s_wait_loadcnt 0x0
	v_cvt_f32_f16_e32 v0, v0
	s_delay_alu instid0(VALU_DEP_1)
	v_cvt_f64_f32_e32 v[0:1], v0
.LBB86_885:
	s_mov_b32 s2, 0
.LBB86_886:
	s_delay_alu instid0(SALU_CYCLE_1)
	s_and_not1_b32 vcc_lo, exec_lo, s2
	s_cbranch_vccnz .LBB86_906
; %bb.887:
	s_cmp_lt_i32 s1, 2
	s_cbranch_scc1 .LBB86_891
; %bb.888:
	s_cmp_lt_i32 s1, 3
	s_cbranch_scc1 .LBB86_892
; %bb.889:
	s_cmp_gt_i32 s1, 3
	s_cbranch_scc0 .LBB86_893
; %bb.890:
	s_wait_loadcnt 0x0
	global_load_b64 v[0:1], v[2:3], off
	s_mov_b32 s2, 0
	s_wait_loadcnt 0x0
	v_cvt_f64_i32_e32 v[4:5], v1
	v_cvt_f64_u32_e32 v[0:1], v0
	s_delay_alu instid0(VALU_DEP_2) | instskip(NEXT) | instid1(VALU_DEP_1)
	v_ldexp_f64 v[4:5], v[4:5], 32
	v_add_f64_e32 v[0:1], v[4:5], v[0:1]
	s_branch .LBB86_894
.LBB86_891:
	s_mov_b32 s2, -1
                                        ; implicit-def: $vgpr0_vgpr1
	s_branch .LBB86_900
.LBB86_892:
	s_mov_b32 s2, -1
                                        ; implicit-def: $vgpr0_vgpr1
	s_branch .LBB86_897
.LBB86_893:
	s_mov_b32 s2, -1
                                        ; implicit-def: $vgpr0_vgpr1
.LBB86_894:
	s_delay_alu instid0(SALU_CYCLE_1)
	s_and_not1_b32 vcc_lo, exec_lo, s2
	s_cbranch_vccnz .LBB86_896
; %bb.895:
	s_wait_loadcnt 0x0
	global_load_b32 v0, v[2:3], off
	s_wait_loadcnt 0x0
	v_cvt_f64_i32_e32 v[0:1], v0
.LBB86_896:
	s_mov_b32 s2, 0
.LBB86_897:
	s_delay_alu instid0(SALU_CYCLE_1)
	s_and_not1_b32 vcc_lo, exec_lo, s2
	s_cbranch_vccnz .LBB86_899
; %bb.898:
	s_wait_loadcnt 0x0
	global_load_i16 v0, v[2:3], off
	s_wait_loadcnt 0x0
	v_cvt_f64_i32_e32 v[0:1], v0
.LBB86_899:
	s_mov_b32 s2, 0
.LBB86_900:
	s_delay_alu instid0(SALU_CYCLE_1)
	s_and_not1_b32 vcc_lo, exec_lo, s2
	s_cbranch_vccnz .LBB86_906
; %bb.901:
	s_cmp_gt_i32 s1, 0
	s_mov_b32 s1, 0
	s_cbranch_scc0 .LBB86_903
; %bb.902:
	s_wait_loadcnt 0x0
	global_load_i8 v0, v[2:3], off
	s_wait_loadcnt 0x0
	v_cvt_f64_i32_e32 v[0:1], v0
	s_branch .LBB86_904
.LBB86_903:
	s_mov_b32 s1, -1
                                        ; implicit-def: $vgpr0_vgpr1
.LBB86_904:
	s_delay_alu instid0(SALU_CYCLE_1)
	s_and_not1_b32 vcc_lo, exec_lo, s1
	s_cbranch_vccnz .LBB86_906
; %bb.905:
	s_wait_loadcnt 0x0
	global_load_u8 v0, v[2:3], off
	s_wait_loadcnt 0x0
	v_cvt_f64_u32_e32 v[0:1], v0
.LBB86_906:
	s_mov_b32 s29, -1
.LBB86_907:
	s_delay_alu instid0(SALU_CYCLE_1)
	s_and_not1_b32 vcc_lo, exec_lo, s29
	s_cbranch_vccnz .LBB86_915
; %bb.908:
	s_wait_xcnt 0x0
	v_mul_lo_u32 v2, v18, s10
	s_and_b32 s1, s14, 0xff
	s_delay_alu instid0(SALU_CYCLE_1) | instskip(NEXT) | instid1(VALU_DEP_1)
	s_cmp_lt_i32 s1, 11
	v_ashrrev_i32_e32 v3, 31, v2
	s_delay_alu instid0(VALU_DEP_1)
	v_add_nc_u64_e32 v[2:3], s[12:13], v[2:3]
	s_cbranch_scc1 .LBB86_916
; %bb.909:
	s_and_b32 s2, 0xffff, s1
	s_delay_alu instid0(SALU_CYCLE_1)
	s_cmp_gt_i32 s2, 25
	s_cbranch_scc0 .LBB86_917
; %bb.910:
	s_cmp_gt_i32 s2, 28
	s_cbranch_scc0 .LBB86_918
; %bb.911:
	;; [unrolled: 3-line block ×4, first 2 shown]
	s_cmp_eq_u32 s2, 46
	s_mov_b32 s31, 0
	s_cbranch_scc0 .LBB86_923
; %bb.914:
	global_load_b32 v4, v[2:3], off
	s_mov_b32 s30, -1
	s_mov_b32 s29, 0
	s_wait_loadcnt 0x0
	v_lshlrev_b32_e32 v4, 16, v4
	s_delay_alu instid0(VALU_DEP_1)
	v_cvt_f64_f32_e32 v[4:5], v4
	s_branch .LBB86_925
.LBB86_915:
	s_mov_b32 s31, 0
	s_mov_b32 s2, s24
	;; [unrolled: 1-line block ×3, first 2 shown]
	s_branch .LBB86_1164
.LBB86_916:
	s_mov_b32 s2, -1
	s_mov_b32 s30, 0
	s_mov_b32 s29, s25
                                        ; implicit-def: $vgpr4_vgpr5
	s_branch .LBB86_990
.LBB86_917:
	s_mov_b32 s31, -1
	s_mov_b32 s30, 0
	s_mov_b32 s29, s25
                                        ; implicit-def: $vgpr4_vgpr5
	s_branch .LBB86_954
.LBB86_918:
	s_mov_b32 s31, -1
	s_mov_b32 s30, 0
	s_mov_b32 s29, s25
                                        ; implicit-def: $vgpr4_vgpr5
	s_branch .LBB86_935
.LBB86_919:
	s_mov_b32 s31, -1
	s_mov_b32 s30, 0
	s_mov_b32 s29, s25
                                        ; implicit-def: $vgpr4_vgpr5
	s_branch .LBB86_930
.LBB86_920:
	s_mov_b32 s31, -1
	s_mov_b32 s30, 0
	s_mov_b32 s29, s25
	s_branch .LBB86_924
.LBB86_921:
	s_and_not1_saveexec_b32 s30, s30
	s_cbranch_execz .LBB86_696
.LBB86_922:
	v_add_f32_e32 v2, 0x42800000, v3
	s_and_not1_b32 s29, s29, exec_lo
	s_delay_alu instid0(VALU_DEP_1) | instskip(NEXT) | instid1(VALU_DEP_1)
	v_and_b32_e32 v2, 0xff, v2
	v_cmp_ne_u32_e32 vcc_lo, 0, v2
	s_and_b32 s31, vcc_lo, exec_lo
	s_delay_alu instid0(SALU_CYCLE_1)
	s_or_b32 s29, s29, s31
	s_or_b32 exec_lo, exec_lo, s30
	v_mov_b32_e32 v4, 0
	s_and_saveexec_b32 s30, s29
	s_cbranch_execnz .LBB86_697
	s_branch .LBB86_698
.LBB86_923:
	s_mov_b32 s29, -1
	s_mov_b32 s30, 0
.LBB86_924:
                                        ; implicit-def: $vgpr4_vgpr5
.LBB86_925:
	s_and_b32 vcc_lo, exec_lo, s31
	s_cbranch_vccz .LBB86_929
; %bb.926:
	s_cmp_eq_u32 s2, 44
	s_cbranch_scc0 .LBB86_928
; %bb.927:
	global_load_u8 v6, v[2:3], off
	s_mov_b32 s29, 0
	s_mov_b32 s30, -1
	s_wait_loadcnt 0x0
	v_cmp_ne_u32_e32 vcc_lo, 0xff, v6
	v_lshlrev_b32_e32 v4, 23, v6
	s_delay_alu instid0(VALU_DEP_1) | instskip(NEXT) | instid1(VALU_DEP_1)
	v_cvt_f64_f32_e32 v[4:5], v4
	v_cndmask_b32_e32 v4, 0x20000000, v4, vcc_lo
	s_delay_alu instid0(VALU_DEP_2) | instskip(SKIP_1) | instid1(VALU_DEP_2)
	v_cndmask_b32_e32 v5, 0x7ff80000, v5, vcc_lo
	v_cmp_ne_u32_e32 vcc_lo, 0, v6
	v_cndmask_b32_e32 v5, 0x38000000, v5, vcc_lo
	s_delay_alu instid0(VALU_DEP_4)
	v_cndmask_b32_e32 v4, 0, v4, vcc_lo
	s_branch .LBB86_929
.LBB86_928:
	s_mov_b32 s29, -1
                                        ; implicit-def: $vgpr4_vgpr5
.LBB86_929:
	s_mov_b32 s31, 0
.LBB86_930:
	s_delay_alu instid0(SALU_CYCLE_1)
	s_and_b32 vcc_lo, exec_lo, s31
	s_cbranch_vccz .LBB86_934
; %bb.931:
	s_cmp_eq_u32 s2, 29
	s_cbranch_scc0 .LBB86_933
; %bb.932:
	global_load_b64 v[4:5], v[2:3], off
	s_mov_b32 s30, -1
	s_mov_b32 s29, 0
	s_mov_b32 s31, 0
	s_wait_loadcnt 0x0
	v_cvt_f64_u32_e32 v[6:7], v5
	v_cvt_f64_u32_e32 v[4:5], v4
	s_delay_alu instid0(VALU_DEP_2) | instskip(NEXT) | instid1(VALU_DEP_1)
	v_ldexp_f64 v[6:7], v[6:7], 32
	v_add_f64_e32 v[4:5], v[6:7], v[4:5]
	s_branch .LBB86_935
.LBB86_933:
	s_mov_b32 s29, -1
                                        ; implicit-def: $vgpr4_vgpr5
.LBB86_934:
	s_mov_b32 s31, 0
.LBB86_935:
	s_delay_alu instid0(SALU_CYCLE_1)
	s_and_b32 vcc_lo, exec_lo, s31
	s_cbranch_vccz .LBB86_953
; %bb.936:
	s_cmp_lt_i32 s2, 27
	s_cbranch_scc1 .LBB86_939
; %bb.937:
	s_cmp_gt_i32 s2, 27
	s_cbranch_scc0 .LBB86_940
; %bb.938:
	global_load_b32 v4, v[2:3], off
	s_mov_b32 s30, 0
	s_wait_loadcnt 0x0
	v_cvt_f64_u32_e32 v[4:5], v4
	s_branch .LBB86_941
.LBB86_939:
	s_mov_b32 s30, -1
                                        ; implicit-def: $vgpr4_vgpr5
	s_branch .LBB86_944
.LBB86_940:
	s_mov_b32 s30, -1
                                        ; implicit-def: $vgpr4_vgpr5
.LBB86_941:
	s_delay_alu instid0(SALU_CYCLE_1)
	s_and_not1_b32 vcc_lo, exec_lo, s30
	s_cbranch_vccnz .LBB86_943
; %bb.942:
	global_load_u16 v4, v[2:3], off
	s_wait_loadcnt 0x0
	v_cvt_f64_u32_e32 v[4:5], v4
.LBB86_943:
	s_mov_b32 s30, 0
.LBB86_944:
	s_delay_alu instid0(SALU_CYCLE_1)
	s_and_not1_b32 vcc_lo, exec_lo, s30
	s_cbranch_vccnz .LBB86_952
; %bb.945:
	global_load_u8 v6, v[2:3], off
	s_mov_b32 s30, 0
	s_mov_b32 s31, exec_lo
	s_wait_loadcnt 0x0
	v_cmpx_lt_i16_e32 0x7f, v6
	s_xor_b32 s31, exec_lo, s31
	s_cbranch_execz .LBB86_966
; %bb.946:
	s_mov_b32 s30, -1
	s_mov_b32 s33, exec_lo
	v_cmpx_eq_u16_e32 0x80, v6
; %bb.947:
	s_xor_b32 s30, exec_lo, -1
; %bb.948:
	s_or_b32 exec_lo, exec_lo, s33
	s_delay_alu instid0(SALU_CYCLE_1)
	s_and_b32 s30, s30, exec_lo
	s_or_saveexec_b32 s31, s31
	v_mov_b64_e32 v[4:5], 0x7ff8000020000000
	s_xor_b32 exec_lo, exec_lo, s31
	s_cbranch_execnz .LBB86_967
.LBB86_949:
	s_or_b32 exec_lo, exec_lo, s31
	s_and_saveexec_b32 s31, s30
	s_cbranch_execz .LBB86_951
.LBB86_950:
	v_and_b32_e32 v4, 0xffff, v6
	s_delay_alu instid0(VALU_DEP_1) | instskip(SKIP_1) | instid1(VALU_DEP_2)
	v_and_b32_e32 v5, 7, v4
	v_bfe_u32 v9, v4, 3, 4
	v_clz_i32_u32_e32 v7, v5
	s_delay_alu instid0(VALU_DEP_2) | instskip(NEXT) | instid1(VALU_DEP_2)
	v_cmp_eq_u32_e32 vcc_lo, 0, v9
	v_min_u32_e32 v7, 32, v7
	s_delay_alu instid0(VALU_DEP_1) | instskip(NEXT) | instid1(VALU_DEP_1)
	v_subrev_nc_u32_e32 v8, 28, v7
	v_dual_lshlrev_b32 v4, v8, v4 :: v_dual_sub_nc_u32 v7, 29, v7
	s_delay_alu instid0(VALU_DEP_1) | instskip(NEXT) | instid1(VALU_DEP_2)
	v_dual_lshlrev_b32 v6, 24, v6 :: v_dual_bitop2_b32 v4, 7, v4 bitop3:0x40
	v_cndmask_b32_e32 v7, v9, v7, vcc_lo
	s_delay_alu instid0(VALU_DEP_2) | instskip(NEXT) | instid1(VALU_DEP_3)
	v_cndmask_b32_e32 v4, v5, v4, vcc_lo
	v_and_b32_e32 v5, 0x80000000, v6
	s_delay_alu instid0(VALU_DEP_3) | instskip(NEXT) | instid1(VALU_DEP_3)
	v_lshl_add_u32 v6, v7, 23, 0x3b800000
	v_lshlrev_b32_e32 v4, 20, v4
	s_delay_alu instid0(VALU_DEP_1) | instskip(NEXT) | instid1(VALU_DEP_1)
	v_or3_b32 v4, v5, v6, v4
	v_cvt_f64_f32_e32 v[4:5], v4
.LBB86_951:
	s_or_b32 exec_lo, exec_lo, s31
.LBB86_952:
	s_mov_b32 s30, -1
.LBB86_953:
	s_mov_b32 s31, 0
.LBB86_954:
	s_delay_alu instid0(SALU_CYCLE_1)
	s_and_b32 vcc_lo, exec_lo, s31
	s_cbranch_vccz .LBB86_989
; %bb.955:
	s_cmp_gt_i32 s2, 22
	s_cbranch_scc0 .LBB86_965
; %bb.956:
	s_cmp_lt_i32 s2, 24
	s_cbranch_scc1 .LBB86_968
; %bb.957:
	s_cmp_gt_i32 s2, 24
	s_cbranch_scc0 .LBB86_969
; %bb.958:
	global_load_u8 v6, v[2:3], off
	s_mov_b32 s30, 0
	s_mov_b32 s31, exec_lo
	s_wait_loadcnt 0x0
	v_cmpx_lt_i16_e32 0x7f, v6
	s_xor_b32 s31, exec_lo, s31
	s_cbranch_execz .LBB86_981
; %bb.959:
	s_mov_b32 s30, -1
	s_mov_b32 s33, exec_lo
	v_cmpx_eq_u16_e32 0x80, v6
; %bb.960:
	s_xor_b32 s30, exec_lo, -1
; %bb.961:
	s_or_b32 exec_lo, exec_lo, s33
	s_delay_alu instid0(SALU_CYCLE_1)
	s_and_b32 s30, s30, exec_lo
	s_or_saveexec_b32 s31, s31
	v_mov_b64_e32 v[4:5], 0x7ff8000020000000
	s_xor_b32 exec_lo, exec_lo, s31
	s_cbranch_execnz .LBB86_982
.LBB86_962:
	s_or_b32 exec_lo, exec_lo, s31
	s_and_saveexec_b32 s31, s30
	s_cbranch_execz .LBB86_964
.LBB86_963:
	v_and_b32_e32 v4, 0xffff, v6
	s_delay_alu instid0(VALU_DEP_1) | instskip(SKIP_1) | instid1(VALU_DEP_2)
	v_and_b32_e32 v5, 3, v4
	v_bfe_u32 v9, v4, 2, 5
	v_clz_i32_u32_e32 v7, v5
	s_delay_alu instid0(VALU_DEP_2) | instskip(NEXT) | instid1(VALU_DEP_2)
	v_cmp_eq_u32_e32 vcc_lo, 0, v9
	v_min_u32_e32 v7, 32, v7
	s_delay_alu instid0(VALU_DEP_1) | instskip(NEXT) | instid1(VALU_DEP_1)
	v_subrev_nc_u32_e32 v8, 29, v7
	v_dual_lshlrev_b32 v4, v8, v4 :: v_dual_sub_nc_u32 v7, 30, v7
	s_delay_alu instid0(VALU_DEP_1) | instskip(NEXT) | instid1(VALU_DEP_2)
	v_dual_lshlrev_b32 v6, 24, v6 :: v_dual_bitop2_b32 v4, 3, v4 bitop3:0x40
	v_cndmask_b32_e32 v7, v9, v7, vcc_lo
	s_delay_alu instid0(VALU_DEP_2) | instskip(NEXT) | instid1(VALU_DEP_3)
	v_cndmask_b32_e32 v4, v5, v4, vcc_lo
	v_and_b32_e32 v5, 0x80000000, v6
	s_delay_alu instid0(VALU_DEP_3) | instskip(NEXT) | instid1(VALU_DEP_3)
	v_lshl_add_u32 v6, v7, 23, 0x37800000
	v_lshlrev_b32_e32 v4, 21, v4
	s_delay_alu instid0(VALU_DEP_1) | instskip(NEXT) | instid1(VALU_DEP_1)
	v_or3_b32 v4, v5, v6, v4
	v_cvt_f64_f32_e32 v[4:5], v4
.LBB86_964:
	s_or_b32 exec_lo, exec_lo, s31
	s_mov_b32 s30, 0
	s_branch .LBB86_970
.LBB86_965:
	s_mov_b32 s31, -1
                                        ; implicit-def: $vgpr4_vgpr5
	s_branch .LBB86_976
.LBB86_966:
	s_or_saveexec_b32 s31, s31
	v_mov_b64_e32 v[4:5], 0x7ff8000020000000
	s_xor_b32 exec_lo, exec_lo, s31
	s_cbranch_execz .LBB86_949
.LBB86_967:
	v_cmp_ne_u16_e32 vcc_lo, 0, v6
	v_mov_b64_e32 v[4:5], 0
	s_and_not1_b32 s30, s30, exec_lo
	s_and_b32 s33, vcc_lo, exec_lo
	s_delay_alu instid0(SALU_CYCLE_1)
	s_or_b32 s30, s30, s33
	s_or_b32 exec_lo, exec_lo, s31
	s_and_saveexec_b32 s31, s30
	s_cbranch_execnz .LBB86_950
	s_branch .LBB86_951
.LBB86_968:
	s_mov_b32 s30, -1
                                        ; implicit-def: $vgpr4_vgpr5
	s_branch .LBB86_973
.LBB86_969:
	s_mov_b32 s30, -1
                                        ; implicit-def: $vgpr4_vgpr5
.LBB86_970:
	s_delay_alu instid0(SALU_CYCLE_1)
	s_and_b32 vcc_lo, exec_lo, s30
	s_cbranch_vccz .LBB86_972
; %bb.971:
	global_load_u8 v4, v[2:3], off
	s_wait_loadcnt 0x0
	v_lshlrev_b32_e32 v4, 24, v4
	s_delay_alu instid0(VALU_DEP_1) | instskip(NEXT) | instid1(VALU_DEP_1)
	v_and_b32_e32 v5, 0x7f000000, v4
	v_clz_i32_u32_e32 v6, v5
	v_cmp_ne_u32_e32 vcc_lo, 0, v5
	v_add_nc_u32_e32 v8, 0x1000000, v5
	s_delay_alu instid0(VALU_DEP_3) | instskip(NEXT) | instid1(VALU_DEP_1)
	v_min_u32_e32 v6, 32, v6
	v_sub_nc_u32_e64 v6, v6, 4 clamp
	s_delay_alu instid0(VALU_DEP_1) | instskip(NEXT) | instid1(VALU_DEP_1)
	v_dual_lshlrev_b32 v7, v6, v5 :: v_dual_lshlrev_b32 v6, 23, v6
	v_lshrrev_b32_e32 v7, 4, v7
	s_delay_alu instid0(VALU_DEP_1) | instskip(NEXT) | instid1(VALU_DEP_1)
	v_dual_sub_nc_u32 v6, v7, v6 :: v_dual_ashrrev_i32 v7, 8, v8
	v_add_nc_u32_e32 v6, 0x3c000000, v6
	s_delay_alu instid0(VALU_DEP_1) | instskip(NEXT) | instid1(VALU_DEP_1)
	v_and_or_b32 v6, 0x7f800000, v7, v6
	v_cndmask_b32_e32 v5, 0, v6, vcc_lo
	s_delay_alu instid0(VALU_DEP_1) | instskip(NEXT) | instid1(VALU_DEP_1)
	v_and_or_b32 v4, 0x80000000, v4, v5
	v_cvt_f64_f32_e32 v[4:5], v4
.LBB86_972:
	s_mov_b32 s30, 0
.LBB86_973:
	s_delay_alu instid0(SALU_CYCLE_1)
	s_and_not1_b32 vcc_lo, exec_lo, s30
	s_cbranch_vccnz .LBB86_975
; %bb.974:
	global_load_u8 v4, v[2:3], off
	s_wait_loadcnt 0x0
	v_lshlrev_b32_e32 v5, 25, v4
	v_lshlrev_b16 v4, 8, v4
	s_delay_alu instid0(VALU_DEP_1) | instskip(SKIP_1) | instid1(VALU_DEP_2)
	v_and_or_b32 v7, 0x7f00, v4, 0.5
	v_bfe_i32 v4, v4, 0, 16
	v_dual_add_f32 v7, -0.5, v7 :: v_dual_lshrrev_b32 v6, 4, v5
	v_cmp_gt_u32_e32 vcc_lo, 0x8000000, v5
	s_delay_alu instid0(VALU_DEP_2) | instskip(NEXT) | instid1(VALU_DEP_1)
	v_or_b32_e32 v6, 0x70000000, v6
	v_mul_f32_e32 v6, 0x7800000, v6
	s_delay_alu instid0(VALU_DEP_1) | instskip(NEXT) | instid1(VALU_DEP_1)
	v_cndmask_b32_e32 v5, v6, v7, vcc_lo
	v_and_or_b32 v4, 0x80000000, v4, v5
	s_delay_alu instid0(VALU_DEP_1)
	v_cvt_f64_f32_e32 v[4:5], v4
.LBB86_975:
	s_mov_b32 s31, 0
	s_mov_b32 s30, -1
.LBB86_976:
	s_and_not1_b32 vcc_lo, exec_lo, s31
	s_cbranch_vccnz .LBB86_989
; %bb.977:
	s_cmp_gt_i32 s2, 14
	s_cbranch_scc0 .LBB86_980
; %bb.978:
	s_cmp_eq_u32 s2, 15
	s_cbranch_scc0 .LBB86_983
; %bb.979:
	global_load_u16 v4, v[2:3], off
	s_mov_b32 s30, -1
	s_mov_b32 s29, 0
	s_wait_loadcnt 0x0
	v_lshlrev_b32_e32 v4, 16, v4
	s_delay_alu instid0(VALU_DEP_1)
	v_cvt_f64_f32_e32 v[4:5], v4
	s_branch .LBB86_984
.LBB86_980:
	s_mov_b32 s31, -1
                                        ; implicit-def: $vgpr4_vgpr5
	s_branch .LBB86_985
.LBB86_981:
	s_or_saveexec_b32 s31, s31
	v_mov_b64_e32 v[4:5], 0x7ff8000020000000
	s_xor_b32 exec_lo, exec_lo, s31
	s_cbranch_execz .LBB86_962
.LBB86_982:
	v_cmp_ne_u16_e32 vcc_lo, 0, v6
	v_mov_b64_e32 v[4:5], 0
	s_and_not1_b32 s30, s30, exec_lo
	s_and_b32 s33, vcc_lo, exec_lo
	s_delay_alu instid0(SALU_CYCLE_1)
	s_or_b32 s30, s30, s33
	s_or_b32 exec_lo, exec_lo, s31
	s_and_saveexec_b32 s31, s30
	s_cbranch_execnz .LBB86_963
	s_branch .LBB86_964
.LBB86_983:
	s_mov_b32 s29, -1
                                        ; implicit-def: $vgpr4_vgpr5
.LBB86_984:
	s_mov_b32 s31, 0
.LBB86_985:
	s_delay_alu instid0(SALU_CYCLE_1)
	s_and_b32 vcc_lo, exec_lo, s31
	s_cbranch_vccz .LBB86_989
; %bb.986:
	s_cmp_eq_u32 s2, 11
	s_cbranch_scc0 .LBB86_988
; %bb.987:
	global_load_u8 v4, v[2:3], off
	s_mov_b32 s29, 0
	s_mov_b32 s30, -1
	s_wait_loadcnt 0x0
	v_cmp_ne_u16_e32 vcc_lo, 0, v4
	v_mov_b32_e32 v4, 0
	v_cndmask_b32_e64 v5, 0, 0x3ff00000, vcc_lo
	s_branch .LBB86_989
.LBB86_988:
	s_mov_b32 s29, -1
                                        ; implicit-def: $vgpr4_vgpr5
.LBB86_989:
	s_mov_b32 s2, 0
.LBB86_990:
	s_delay_alu instid0(SALU_CYCLE_1)
	s_and_b32 vcc_lo, exec_lo, s2
	s_cbranch_vccz .LBB86_1039
; %bb.991:
	s_and_b32 s1, 0xffff, s1
	s_delay_alu instid0(SALU_CYCLE_1)
	s_cmp_lt_i32 s1, 5
	s_cbranch_scc1 .LBB86_996
; %bb.992:
	s_cmp_lt_i32 s1, 8
	s_cbranch_scc1 .LBB86_997
; %bb.993:
	;; [unrolled: 3-line block ×3, first 2 shown]
	s_cmp_gt_i32 s1, 9
	s_cbranch_scc0 .LBB86_999
; %bb.995:
	global_load_b64 v[4:5], v[2:3], off
	s_mov_b32 s2, 0
	s_branch .LBB86_1000
.LBB86_996:
	s_mov_b32 s2, -1
                                        ; implicit-def: $vgpr4_vgpr5
	s_branch .LBB86_1018
.LBB86_997:
	s_mov_b32 s2, -1
                                        ; implicit-def: $vgpr4_vgpr5
	s_branch .LBB86_1006
.LBB86_998:
	s_mov_b32 s2, -1
                                        ; implicit-def: $vgpr4_vgpr5
	s_branch .LBB86_1003
.LBB86_999:
	s_mov_b32 s2, -1
                                        ; implicit-def: $vgpr4_vgpr5
.LBB86_1000:
	s_delay_alu instid0(SALU_CYCLE_1)
	s_and_not1_b32 vcc_lo, exec_lo, s2
	s_cbranch_vccnz .LBB86_1002
; %bb.1001:
	s_wait_loadcnt 0x0
	global_load_b32 v4, v[2:3], off
	s_wait_loadcnt 0x0
	v_cvt_f64_f32_e32 v[4:5], v4
.LBB86_1002:
	s_mov_b32 s2, 0
.LBB86_1003:
	s_delay_alu instid0(SALU_CYCLE_1)
	s_and_not1_b32 vcc_lo, exec_lo, s2
	s_cbranch_vccnz .LBB86_1005
; %bb.1004:
	s_wait_loadcnt 0x0
	global_load_b32 v4, v[2:3], off
	s_wait_loadcnt 0x0
	v_cvt_f32_f16_e32 v4, v4
	s_delay_alu instid0(VALU_DEP_1)
	v_cvt_f64_f32_e32 v[4:5], v4
.LBB86_1005:
	s_mov_b32 s2, 0
.LBB86_1006:
	s_delay_alu instid0(SALU_CYCLE_1)
	s_and_not1_b32 vcc_lo, exec_lo, s2
	s_cbranch_vccnz .LBB86_1017
; %bb.1007:
	s_cmp_lt_i32 s1, 6
	s_cbranch_scc1 .LBB86_1010
; %bb.1008:
	s_cmp_gt_i32 s1, 6
	s_cbranch_scc0 .LBB86_1011
; %bb.1009:
	s_wait_loadcnt 0x0
	global_load_b64 v[4:5], v[2:3], off
	s_mov_b32 s2, 0
	s_branch .LBB86_1012
.LBB86_1010:
	s_mov_b32 s2, -1
                                        ; implicit-def: $vgpr4_vgpr5
	s_branch .LBB86_1015
.LBB86_1011:
	s_mov_b32 s2, -1
                                        ; implicit-def: $vgpr4_vgpr5
.LBB86_1012:
	s_delay_alu instid0(SALU_CYCLE_1)
	s_and_not1_b32 vcc_lo, exec_lo, s2
	s_cbranch_vccnz .LBB86_1014
; %bb.1013:
	s_wait_loadcnt 0x0
	global_load_b32 v4, v[2:3], off
	s_wait_loadcnt 0x0
	v_cvt_f64_f32_e32 v[4:5], v4
.LBB86_1014:
	s_mov_b32 s2, 0
.LBB86_1015:
	s_delay_alu instid0(SALU_CYCLE_1)
	s_and_not1_b32 vcc_lo, exec_lo, s2
	s_cbranch_vccnz .LBB86_1017
; %bb.1016:
	s_wait_loadcnt 0x0
	global_load_u16 v4, v[2:3], off
	s_wait_loadcnt 0x0
	v_cvt_f32_f16_e32 v4, v4
	s_delay_alu instid0(VALU_DEP_1)
	v_cvt_f64_f32_e32 v[4:5], v4
.LBB86_1017:
	s_mov_b32 s2, 0
.LBB86_1018:
	s_delay_alu instid0(SALU_CYCLE_1)
	s_and_not1_b32 vcc_lo, exec_lo, s2
	s_cbranch_vccnz .LBB86_1038
; %bb.1019:
	s_cmp_lt_i32 s1, 2
	s_cbranch_scc1 .LBB86_1023
; %bb.1020:
	s_cmp_lt_i32 s1, 3
	s_cbranch_scc1 .LBB86_1024
; %bb.1021:
	s_cmp_gt_i32 s1, 3
	s_cbranch_scc0 .LBB86_1025
; %bb.1022:
	s_wait_loadcnt 0x0
	global_load_b64 v[4:5], v[2:3], off
	s_mov_b32 s2, 0
	s_wait_loadcnt 0x0
	v_cvt_f64_i32_e32 v[6:7], v5
	v_cvt_f64_u32_e32 v[4:5], v4
	s_delay_alu instid0(VALU_DEP_2) | instskip(NEXT) | instid1(VALU_DEP_1)
	v_ldexp_f64 v[6:7], v[6:7], 32
	v_add_f64_e32 v[4:5], v[6:7], v[4:5]
	s_branch .LBB86_1026
.LBB86_1023:
	s_mov_b32 s2, -1
                                        ; implicit-def: $vgpr4_vgpr5
	s_branch .LBB86_1032
.LBB86_1024:
	s_mov_b32 s2, -1
                                        ; implicit-def: $vgpr4_vgpr5
	s_branch .LBB86_1029
.LBB86_1025:
	s_mov_b32 s2, -1
                                        ; implicit-def: $vgpr4_vgpr5
.LBB86_1026:
	s_delay_alu instid0(SALU_CYCLE_1)
	s_and_not1_b32 vcc_lo, exec_lo, s2
	s_cbranch_vccnz .LBB86_1028
; %bb.1027:
	s_wait_loadcnt 0x0
	global_load_b32 v4, v[2:3], off
	s_wait_loadcnt 0x0
	v_cvt_f64_i32_e32 v[4:5], v4
.LBB86_1028:
	s_mov_b32 s2, 0
.LBB86_1029:
	s_delay_alu instid0(SALU_CYCLE_1)
	s_and_not1_b32 vcc_lo, exec_lo, s2
	s_cbranch_vccnz .LBB86_1031
; %bb.1030:
	s_wait_loadcnt 0x0
	global_load_i16 v4, v[2:3], off
	s_wait_loadcnt 0x0
	v_cvt_f64_i32_e32 v[4:5], v4
.LBB86_1031:
	s_mov_b32 s2, 0
.LBB86_1032:
	s_delay_alu instid0(SALU_CYCLE_1)
	s_and_not1_b32 vcc_lo, exec_lo, s2
	s_cbranch_vccnz .LBB86_1038
; %bb.1033:
	s_cmp_gt_i32 s1, 0
	s_mov_b32 s1, 0
	s_cbranch_scc0 .LBB86_1035
; %bb.1034:
	s_wait_loadcnt 0x0
	global_load_i8 v4, v[2:3], off
	s_wait_loadcnt 0x0
	v_cvt_f64_i32_e32 v[4:5], v4
	s_branch .LBB86_1036
.LBB86_1035:
	s_mov_b32 s1, -1
                                        ; implicit-def: $vgpr4_vgpr5
.LBB86_1036:
	s_delay_alu instid0(SALU_CYCLE_1)
	s_and_not1_b32 vcc_lo, exec_lo, s1
	s_cbranch_vccnz .LBB86_1038
; %bb.1037:
	global_load_u8 v2, v[2:3], off
	s_wait_loadcnt 0x0
	v_cvt_f64_u32_e32 v[4:5], v2
.LBB86_1038:
	s_mov_b32 s30, -1
.LBB86_1039:
	s_delay_alu instid0(SALU_CYCLE_1)
	s_and_not1_b32 vcc_lo, exec_lo, s30
	s_cbranch_vccnz .LBB86_1047
; %bb.1040:
	s_wait_loadcnt 0x0
	s_delay_alu instid0(VALU_DEP_1) | instskip(SKIP_3) | instid1(SALU_CYCLE_1)
	v_cmp_eq_f64_e32 vcc_lo, v[0:1], v[4:5]
	s_wait_xcnt 0x0
	v_mul_lo_u32 v2, v18, s8
	s_and_b32 s30, s3, 0xff
	s_cmp_lt_i32 s30, 11
	v_cndmask_b32_e64 v3, 0, 1, vcc_lo
	v_cmp_neq_f64_e32 vcc_lo, v[0:1], v[4:5]
	v_cndmask_b32_e64 v0, 0, 1, vcc_lo
	s_delay_alu instid0(VALU_DEP_1) | instskip(NEXT) | instid1(VALU_DEP_1)
	v_dual_cndmask_b32 v0, v0, v3, s0 :: v_dual_ashrrev_i32 v3, 31, v2
	v_and_b32_e32 v4, 1, v0
	s_delay_alu instid0(VALU_DEP_2) | instskip(NEXT) | instid1(VALU_DEP_2)
	v_add_nc_u64_e32 v[0:1], s[4:5], v[2:3]
	v_cmp_eq_u32_e64 s1, 1, v4
	s_cbranch_scc1 .LBB86_1048
; %bb.1041:
	s_and_b32 s31, 0xffff, s30
	s_delay_alu instid0(SALU_CYCLE_1)
	s_cmp_gt_i32 s31, 25
	s_cbranch_scc0 .LBB86_1049
; %bb.1042:
	s_cmp_gt_i32 s31, 28
	s_cbranch_scc0 .LBB86_1050
; %bb.1043:
	;; [unrolled: 3-line block ×4, first 2 shown]
	s_mov_b32 s34, 0
	s_mov_b32 s2, -1
	s_cmp_eq_u32 s31, 46
	s_mov_b32 s33, 0
	s_cbranch_scc0 .LBB86_1053
; %bb.1046:
	v_cndmask_b32_e64 v2, 0, 1.0, s1
	s_mov_b32 s33, -1
	s_mov_b32 s2, 0
	s_delay_alu instid0(VALU_DEP_1) | instskip(NEXT) | instid1(VALU_DEP_1)
	v_bfe_u32 v3, v2, 16, 1
	v_add3_u32 v2, v2, v3, 0x7fff
	s_delay_alu instid0(VALU_DEP_1)
	v_lshrrev_b32_e32 v2, 16, v2
	global_store_b32 v[0:1], v2, off
	s_branch .LBB86_1053
.LBB86_1047:
	s_mov_b32 s31, 0
	s_mov_b32 s2, s24
	s_branch .LBB86_1164
.LBB86_1048:
	s_mov_b32 s31, -1
	s_mov_b32 s33, 0
	s_mov_b32 s2, s24
	s_branch .LBB86_1122
.LBB86_1049:
	s_mov_b32 s33, 0
	s_mov_b32 s2, s24
	s_branch .LBB86_1080
.LBB86_1050:
	s_mov_b32 s33, 0
	s_mov_b32 s2, s24
	s_branch .LBB86_1063
.LBB86_1051:
	s_mov_b32 s33, 0
	s_mov_b32 s2, s24
	s_branch .LBB86_1059
.LBB86_1052:
	s_mov_b32 s33, 0
	s_mov_b32 s2, s24
.LBB86_1053:
	s_and_b32 vcc_lo, exec_lo, s34
	s_cbranch_vccz .LBB86_1058
; %bb.1054:
	s_cmp_eq_u32 s31, 44
	s_mov_b32 s2, -1
	s_cbranch_scc0 .LBB86_1058
; %bb.1055:
	v_cndmask_b32_e64 v4, 0, 1.0, s1
	s_mov_b32 s33, exec_lo
	s_wait_xcnt 0x0
	s_delay_alu instid0(VALU_DEP_1) | instskip(NEXT) | instid1(VALU_DEP_1)
	v_dual_mov_b32 v3, 0xff :: v_dual_lshrrev_b32 v2, 23, v4
	v_cmpx_ne_u32_e32 0xff, v2
; %bb.1056:
	v_and_b32_e32 v3, 0x400000, v4
	v_and_or_b32 v4, 0x3fffff, v4, v2
	s_delay_alu instid0(VALU_DEP_2) | instskip(NEXT) | instid1(VALU_DEP_2)
	v_cmp_ne_u32_e32 vcc_lo, 0, v3
	v_cmp_ne_u32_e64 s2, 0, v4
	s_and_b32 s2, vcc_lo, s2
	s_delay_alu instid0(SALU_CYCLE_1) | instskip(NEXT) | instid1(VALU_DEP_1)
	v_cndmask_b32_e64 v3, 0, 1, s2
	v_add_nc_u32_e32 v3, v2, v3
; %bb.1057:
	s_or_b32 exec_lo, exec_lo, s33
	s_mov_b32 s33, -1
	s_mov_b32 s2, 0
	global_store_b8 v[0:1], v3, off
.LBB86_1058:
	s_mov_b32 s34, 0
.LBB86_1059:
	s_delay_alu instid0(SALU_CYCLE_1)
	s_and_b32 vcc_lo, exec_lo, s34
	s_cbranch_vccz .LBB86_1062
; %bb.1060:
	s_cmp_eq_u32 s31, 29
	s_mov_b32 s2, -1
	s_cbranch_scc0 .LBB86_1062
; %bb.1061:
	s_mov_b32 s2, 0
	s_wait_xcnt 0x0
	v_cndmask_b32_e64 v2, 0, 1, s1
	v_mov_b32_e32 v3, s2
	s_mov_b32 s33, -1
	s_mov_b32 s34, 0
	global_store_b64 v[0:1], v[2:3], off
	s_branch .LBB86_1063
.LBB86_1062:
	s_mov_b32 s34, 0
.LBB86_1063:
	s_delay_alu instid0(SALU_CYCLE_1)
	s_and_b32 vcc_lo, exec_lo, s34
	s_cbranch_vccz .LBB86_1079
; %bb.1064:
	s_cmp_lt_i32 s31, 27
	s_mov_b32 s33, -1
	s_cbranch_scc1 .LBB86_1070
; %bb.1065:
	s_cmp_gt_i32 s31, 27
	s_cbranch_scc0 .LBB86_1067
; %bb.1066:
	s_wait_xcnt 0x0
	v_cndmask_b32_e64 v2, 0, 1, s1
	s_mov_b32 s33, 0
	global_store_b32 v[0:1], v2, off
.LBB86_1067:
	s_and_not1_b32 vcc_lo, exec_lo, s33
	s_cbranch_vccnz .LBB86_1069
; %bb.1068:
	s_wait_xcnt 0x0
	v_cndmask_b32_e64 v2, 0, 1, s1
	global_store_b16 v[0:1], v2, off
.LBB86_1069:
	s_mov_b32 s33, 0
.LBB86_1070:
	s_delay_alu instid0(SALU_CYCLE_1)
	s_and_not1_b32 vcc_lo, exec_lo, s33
	s_cbranch_vccnz .LBB86_1078
; %bb.1071:
	s_wait_xcnt 0x0
	v_cndmask_b32_e64 v3, 0, 1.0, s1
	v_mov_b32_e32 v4, 0x80
	s_mov_b32 s33, exec_lo
	s_delay_alu instid0(VALU_DEP_2)
	v_cmpx_gt_u32_e32 0x43800000, v3
	s_cbranch_execz .LBB86_1077
; %bb.1072:
	s_mov_b32 s34, 0
	s_mov_b32 s35, exec_lo
                                        ; implicit-def: $vgpr2
	v_cmpx_lt_u32_e32 0x3bffffff, v3
	s_xor_b32 s35, exec_lo, s35
	s_cbranch_execz .LBB86_1180
; %bb.1073:
	v_bfe_u32 v2, v3, 20, 1
	s_mov_b32 s34, exec_lo
	s_delay_alu instid0(VALU_DEP_1) | instskip(NEXT) | instid1(VALU_DEP_1)
	v_add3_u32 v2, v3, v2, 0x487ffff
                                        ; implicit-def: $vgpr3
	v_lshrrev_b32_e32 v2, 20, v2
	s_and_not1_saveexec_b32 s35, s35
	s_cbranch_execnz .LBB86_1181
.LBB86_1074:
	s_or_b32 exec_lo, exec_lo, s35
	v_mov_b32_e32 v4, 0
	s_and_saveexec_b32 s35, s34
.LBB86_1075:
	v_mov_b32_e32 v4, v2
.LBB86_1076:
	s_or_b32 exec_lo, exec_lo, s35
.LBB86_1077:
	s_delay_alu instid0(SALU_CYCLE_1)
	s_or_b32 exec_lo, exec_lo, s33
	global_store_b8 v[0:1], v4, off
.LBB86_1078:
	s_mov_b32 s33, -1
.LBB86_1079:
	s_mov_b32 s34, 0
.LBB86_1080:
	s_delay_alu instid0(SALU_CYCLE_1)
	s_and_b32 vcc_lo, exec_lo, s34
	s_cbranch_vccz .LBB86_1121
; %bb.1081:
	s_cmp_gt_i32 s31, 22
	s_mov_b32 s34, -1
	s_cbranch_scc0 .LBB86_1113
; %bb.1082:
	s_cmp_lt_i32 s31, 24
	s_mov_b32 s33, -1
	s_cbranch_scc1 .LBB86_1102
; %bb.1083:
	s_cmp_gt_i32 s31, 24
	s_cbranch_scc0 .LBB86_1091
; %bb.1084:
	s_wait_xcnt 0x0
	v_cndmask_b32_e64 v3, 0, 1.0, s1
	v_mov_b32_e32 v4, 0x80
	s_mov_b32 s33, exec_lo
	s_delay_alu instid0(VALU_DEP_2)
	v_cmpx_gt_u32_e32 0x47800000, v3
	s_cbranch_execz .LBB86_1090
; %bb.1085:
	s_mov_b32 s34, 0
	s_mov_b32 s35, exec_lo
                                        ; implicit-def: $vgpr2
	v_cmpx_lt_u32_e32 0x37ffffff, v3
	s_xor_b32 s35, exec_lo, s35
	s_cbranch_execz .LBB86_2208
; %bb.1086:
	v_bfe_u32 v2, v3, 21, 1
	s_mov_b32 s34, exec_lo
	s_delay_alu instid0(VALU_DEP_1) | instskip(NEXT) | instid1(VALU_DEP_1)
	v_add3_u32 v2, v3, v2, 0x88fffff
                                        ; implicit-def: $vgpr3
	v_lshrrev_b32_e32 v2, 21, v2
	s_and_not1_saveexec_b32 s35, s35
	s_cbranch_execnz .LBB86_2209
.LBB86_1087:
	s_or_b32 exec_lo, exec_lo, s35
	v_mov_b32_e32 v4, 0
	s_and_saveexec_b32 s35, s34
.LBB86_1088:
	v_mov_b32_e32 v4, v2
.LBB86_1089:
	s_or_b32 exec_lo, exec_lo, s35
.LBB86_1090:
	s_delay_alu instid0(SALU_CYCLE_1)
	s_or_b32 exec_lo, exec_lo, s33
	s_mov_b32 s33, 0
	global_store_b8 v[0:1], v4, off
.LBB86_1091:
	s_and_b32 vcc_lo, exec_lo, s33
	s_cbranch_vccz .LBB86_1101
; %bb.1092:
	s_wait_xcnt 0x0
	v_cndmask_b32_e64 v3, 0, 1.0, s1
	s_mov_b32 s33, exec_lo
                                        ; implicit-def: $vgpr2
	s_delay_alu instid0(VALU_DEP_1)
	v_cmpx_gt_u32_e32 0x43f00000, v3
	s_xor_b32 s33, exec_lo, s33
	s_cbranch_execz .LBB86_1098
; %bb.1093:
	s_mov_b32 s34, exec_lo
                                        ; implicit-def: $vgpr2
	v_cmpx_lt_u32_e32 0x3c7fffff, v3
	s_xor_b32 s34, exec_lo, s34
; %bb.1094:
	v_bfe_u32 v2, v3, 20, 1
	s_delay_alu instid0(VALU_DEP_1) | instskip(NEXT) | instid1(VALU_DEP_1)
	v_add3_u32 v2, v3, v2, 0x407ffff
	v_and_b32_e32 v3, 0xff00000, v2
	v_lshrrev_b32_e32 v2, 20, v2
	s_delay_alu instid0(VALU_DEP_2) | instskip(NEXT) | instid1(VALU_DEP_2)
	v_cmp_ne_u32_e32 vcc_lo, 0x7f00000, v3
                                        ; implicit-def: $vgpr3
	v_cndmask_b32_e32 v2, 0x7e, v2, vcc_lo
; %bb.1095:
	s_and_not1_saveexec_b32 s34, s34
; %bb.1096:
	v_add_f32_e32 v2, 0x46800000, v3
; %bb.1097:
	s_or_b32 exec_lo, exec_lo, s34
                                        ; implicit-def: $vgpr3
.LBB86_1098:
	s_and_not1_saveexec_b32 s33, s33
; %bb.1099:
	v_mov_b32_e32 v2, 0x7f
	v_cmp_lt_u32_e32 vcc_lo, 0x7f800000, v3
	s_delay_alu instid0(VALU_DEP_2)
	v_cndmask_b32_e32 v2, 0x7e, v2, vcc_lo
; %bb.1100:
	s_or_b32 exec_lo, exec_lo, s33
	global_store_b8 v[0:1], v2, off
.LBB86_1101:
	s_mov_b32 s33, 0
.LBB86_1102:
	s_delay_alu instid0(SALU_CYCLE_1)
	s_and_not1_b32 vcc_lo, exec_lo, s33
	s_cbranch_vccnz .LBB86_1112
; %bb.1103:
	s_wait_xcnt 0x0
	v_cndmask_b32_e64 v3, 0, 1.0, s1
	s_mov_b32 s33, exec_lo
                                        ; implicit-def: $vgpr2
	s_delay_alu instid0(VALU_DEP_1)
	v_cmpx_gt_u32_e32 0x47800000, v3
	s_xor_b32 s33, exec_lo, s33
	s_cbranch_execz .LBB86_1109
; %bb.1104:
	s_mov_b32 s34, exec_lo
                                        ; implicit-def: $vgpr2
	v_cmpx_lt_u32_e32 0x387fffff, v3
	s_xor_b32 s34, exec_lo, s34
; %bb.1105:
	v_bfe_u32 v2, v3, 21, 1
	s_delay_alu instid0(VALU_DEP_1) | instskip(NEXT) | instid1(VALU_DEP_1)
	v_add3_u32 v2, v3, v2, 0x80fffff
                                        ; implicit-def: $vgpr3
	v_lshrrev_b32_e32 v2, 21, v2
; %bb.1106:
	s_and_not1_saveexec_b32 s34, s34
; %bb.1107:
	v_add_f32_e32 v2, 0x43000000, v3
; %bb.1108:
	s_or_b32 exec_lo, exec_lo, s34
                                        ; implicit-def: $vgpr3
.LBB86_1109:
	s_and_not1_saveexec_b32 s33, s33
; %bb.1110:
	v_mov_b32_e32 v2, 0x7f
	v_cmp_lt_u32_e32 vcc_lo, 0x7f800000, v3
	s_delay_alu instid0(VALU_DEP_2)
	v_cndmask_b32_e32 v2, 0x7c, v2, vcc_lo
; %bb.1111:
	s_or_b32 exec_lo, exec_lo, s33
	global_store_b8 v[0:1], v2, off
.LBB86_1112:
	s_mov_b32 s34, 0
	s_mov_b32 s33, -1
.LBB86_1113:
	s_and_not1_b32 vcc_lo, exec_lo, s34
	s_cbranch_vccnz .LBB86_1121
; %bb.1114:
	s_cmp_gt_i32 s31, 14
	s_mov_b32 s34, -1
	s_cbranch_scc0 .LBB86_1118
; %bb.1115:
	s_cmp_eq_u32 s31, 15
	s_mov_b32 s2, -1
	s_cbranch_scc0 .LBB86_1117
; %bb.1116:
	s_wait_xcnt 0x0
	v_cndmask_b32_e64 v2, 0, 1.0, s1
	s_mov_b32 s33, -1
	s_mov_b32 s2, 0
	s_delay_alu instid0(VALU_DEP_1) | instskip(NEXT) | instid1(VALU_DEP_1)
	v_bfe_u32 v3, v2, 16, 1
	v_add3_u32 v2, v2, v3, 0x7fff
	global_store_d16_hi_b16 v[0:1], v2, off
.LBB86_1117:
	s_mov_b32 s34, 0
.LBB86_1118:
	s_delay_alu instid0(SALU_CYCLE_1)
	s_and_b32 vcc_lo, exec_lo, s34
	s_cbranch_vccz .LBB86_1121
; %bb.1119:
	s_cmp_eq_u32 s31, 11
	s_mov_b32 s2, -1
	s_cbranch_scc0 .LBB86_1121
; %bb.1120:
	s_wait_xcnt 0x0
	v_cndmask_b32_e64 v2, 0, 1, s1
	s_mov_b32 s33, -1
	s_mov_b32 s2, 0
	global_store_b8 v[0:1], v2, off
.LBB86_1121:
	s_mov_b32 s31, 0
.LBB86_1122:
	s_delay_alu instid0(SALU_CYCLE_1)
	s_and_b32 vcc_lo, exec_lo, s31
	s_cbranch_vccz .LBB86_1161
; %bb.1123:
	s_and_b32 s30, 0xffff, s30
	s_mov_b32 s31, -1
	s_cmp_lt_i32 s30, 5
	s_cbranch_scc1 .LBB86_1144
; %bb.1124:
	s_cmp_lt_i32 s30, 8
	s_cbranch_scc1 .LBB86_1134
; %bb.1125:
	;; [unrolled: 3-line block ×3, first 2 shown]
	s_cmp_gt_i32 s30, 9
	s_cbranch_scc0 .LBB86_1128
; %bb.1127:
	s_wait_xcnt 0x0
	v_cndmask_b32_e64 v2, 0, 1, s1
	v_mov_b32_e32 v4, 0
	s_mov_b32 s31, 0
	s_delay_alu instid0(VALU_DEP_2) | instskip(NEXT) | instid1(VALU_DEP_2)
	v_cvt_f64_u32_e32 v[2:3], v2
	v_mov_b32_e32 v5, v4
	global_store_b128 v[0:1], v[2:5], off
.LBB86_1128:
	s_and_not1_b32 vcc_lo, exec_lo, s31
	s_cbranch_vccnz .LBB86_1130
; %bb.1129:
	s_wait_xcnt 0x0
	v_cndmask_b32_e64 v2, 0, 1.0, s1
	v_mov_b32_e32 v3, 0
	global_store_b64 v[0:1], v[2:3], off
.LBB86_1130:
	s_mov_b32 s31, 0
.LBB86_1131:
	s_delay_alu instid0(SALU_CYCLE_1)
	s_and_not1_b32 vcc_lo, exec_lo, s31
	s_cbranch_vccnz .LBB86_1133
; %bb.1132:
	s_wait_xcnt 0x0
	v_cndmask_b32_e64 v2, 0, 1.0, s1
	s_delay_alu instid0(VALU_DEP_1) | instskip(NEXT) | instid1(VALU_DEP_1)
	v_cvt_f16_f32_e32 v2, v2
	v_and_b32_e32 v2, 0xffff, v2
	global_store_b32 v[0:1], v2, off
.LBB86_1133:
	s_mov_b32 s31, 0
.LBB86_1134:
	s_delay_alu instid0(SALU_CYCLE_1)
	s_and_not1_b32 vcc_lo, exec_lo, s31
	s_cbranch_vccnz .LBB86_1143
; %bb.1135:
	s_cmp_lt_i32 s30, 6
	s_mov_b32 s31, -1
	s_cbranch_scc1 .LBB86_1141
; %bb.1136:
	s_cmp_gt_i32 s30, 6
	s_cbranch_scc0 .LBB86_1138
; %bb.1137:
	s_wait_xcnt 0x0
	v_cndmask_b32_e64 v2, 0, 1, s1
	s_mov_b32 s31, 0
	s_delay_alu instid0(VALU_DEP_1)
	v_cvt_f64_u32_e32 v[2:3], v2
	global_store_b64 v[0:1], v[2:3], off
.LBB86_1138:
	s_and_not1_b32 vcc_lo, exec_lo, s31
	s_cbranch_vccnz .LBB86_1140
; %bb.1139:
	s_wait_xcnt 0x0
	v_cndmask_b32_e64 v2, 0, 1.0, s1
	global_store_b32 v[0:1], v2, off
.LBB86_1140:
	s_mov_b32 s31, 0
.LBB86_1141:
	s_delay_alu instid0(SALU_CYCLE_1)
	s_and_not1_b32 vcc_lo, exec_lo, s31
	s_cbranch_vccnz .LBB86_1143
; %bb.1142:
	s_wait_xcnt 0x0
	v_cndmask_b32_e64 v2, 0, 1.0, s1
	s_delay_alu instid0(VALU_DEP_1)
	v_cvt_f16_f32_e32 v2, v2
	global_store_b16 v[0:1], v2, off
.LBB86_1143:
	s_mov_b32 s31, 0
.LBB86_1144:
	s_delay_alu instid0(SALU_CYCLE_1)
	s_and_not1_b32 vcc_lo, exec_lo, s31
	s_cbranch_vccnz .LBB86_1160
; %bb.1145:
	s_cmp_lt_i32 s30, 2
	s_mov_b32 s31, -1
	s_cbranch_scc1 .LBB86_1155
; %bb.1146:
	s_cmp_lt_i32 s30, 3
	s_cbranch_scc1 .LBB86_1152
; %bb.1147:
	s_cmp_gt_i32 s30, 3
	s_cbranch_scc0 .LBB86_1149
; %bb.1148:
	s_mov_b32 s31, 0
	s_wait_xcnt 0x0
	v_cndmask_b32_e64 v2, 0, 1, s1
	v_mov_b32_e32 v3, s31
	global_store_b64 v[0:1], v[2:3], off
.LBB86_1149:
	s_and_not1_b32 vcc_lo, exec_lo, s31
	s_cbranch_vccnz .LBB86_1151
; %bb.1150:
	s_wait_xcnt 0x0
	v_cndmask_b32_e64 v2, 0, 1, s1
	global_store_b32 v[0:1], v2, off
.LBB86_1151:
	s_mov_b32 s31, 0
.LBB86_1152:
	s_delay_alu instid0(SALU_CYCLE_1)
	s_and_not1_b32 vcc_lo, exec_lo, s31
	s_cbranch_vccnz .LBB86_1154
; %bb.1153:
	s_wait_xcnt 0x0
	v_cndmask_b32_e64 v2, 0, 1, s1
	global_store_b16 v[0:1], v2, off
.LBB86_1154:
	s_mov_b32 s31, 0
.LBB86_1155:
	s_delay_alu instid0(SALU_CYCLE_1)
	s_and_not1_b32 vcc_lo, exec_lo, s31
	s_cbranch_vccnz .LBB86_1160
; %bb.1156:
	s_wait_xcnt 0x0
	v_cndmask_b32_e64 v2, 0, 1, s1
	s_cmp_gt_i32 s30, 0
	s_mov_b32 s1, -1
	s_cbranch_scc0 .LBB86_1158
; %bb.1157:
	s_mov_b32 s1, 0
	global_store_b8 v[0:1], v2, off
.LBB86_1158:
	s_and_not1_b32 vcc_lo, exec_lo, s1
	s_cbranch_vccnz .LBB86_1160
; %bb.1159:
	global_store_b8 v[0:1], v2, off
.LBB86_1160:
	s_mov_b32 s33, -1
.LBB86_1161:
	s_delay_alu instid0(SALU_CYCLE_1)
	s_and_not1_b32 vcc_lo, exec_lo, s33
	s_cbranch_vccnz .LBB86_1163
; %bb.1162:
	v_add_nc_u32_e32 v18, 0x80, v18
	s_mov_b32 s31, -1
	s_branch .LBB86_1165
.LBB86_1163:
	s_mov_b32 s31, 0
.LBB86_1164:
                                        ; implicit-def: $vgpr18
.LBB86_1165:
	s_and_not1_b32 s1, s24, exec_lo
	s_and_b32 s2, s2, exec_lo
	s_and_b32 s33, s28, exec_lo
	s_or_b32 s30, s1, s2
	s_and_not1_b32 s1, s25, exec_lo
	s_and_b32 s2, s29, exec_lo
	s_and_not1_b32 s29, s23, exec_lo
	s_or_b32 s28, s1, s2
	s_or_b32 s1, s29, s33
	s_or_not1_b32 s34, s31, exec_lo
.LBB86_1166:
	s_wait_xcnt 0x0
	s_or_b32 exec_lo, exec_lo, s27
	s_mov_b32 s29, 0
	s_mov_b32 s31, 0
	;; [unrolled: 1-line block ×3, first 2 shown]
                                        ; implicit-def: $sgpr2
                                        ; implicit-def: $vgpr2_vgpr3
                                        ; implicit-def: $vgpr0_vgpr1
	s_and_saveexec_b32 s27, s34
	s_cbranch_execz .LBB86_1249
; %bb.1167:
	v_cmp_gt_i32_e32 vcc_lo, s19, v18
	s_mov_b32 s35, s1
	s_mov_b32 s34, 0
	;; [unrolled: 1-line block ×3, first 2 shown]
                                        ; implicit-def: $sgpr2
                                        ; implicit-def: $vgpr2_vgpr3
                                        ; implicit-def: $vgpr0_vgpr1
	s_and_saveexec_b32 s19, vcc_lo
	s_cbranch_execz .LBB86_1248
; %bb.1168:
	s_wait_loadcnt 0x0
	v_mul_lo_u32 v0, v18, s9
	s_and_b32 s2, s16, 0xff
	s_delay_alu instid0(SALU_CYCLE_1) | instskip(NEXT) | instid1(VALU_DEP_1)
	s_cmp_lt_i32 s2, 11
	v_ashrrev_i32_e32 v1, 31, v0
	s_delay_alu instid0(VALU_DEP_1)
	v_add_nc_u64_e32 v[2:3], s[6:7], v[0:1]
	s_cbranch_scc1 .LBB86_1175
; %bb.1169:
	s_and_b32 s29, 0xffff, s2
	s_delay_alu instid0(SALU_CYCLE_1)
	s_cmp_gt_i32 s29, 25
	s_cbranch_scc0 .LBB86_1176
; %bb.1170:
	s_cmp_gt_i32 s29, 28
	s_cbranch_scc0 .LBB86_1177
; %bb.1171:
	;; [unrolled: 3-line block ×4, first 2 shown]
	s_cmp_eq_u32 s29, 46
	s_mov_b32 s35, 0
	s_cbranch_scc0 .LBB86_1182
; %bb.1174:
	global_load_b32 v0, v[2:3], off
	s_mov_b32 s34, -1
	s_wait_loadcnt 0x0
	v_lshlrev_b32_e32 v0, 16, v0
	s_delay_alu instid0(VALU_DEP_1)
	v_cvt_f64_f32_e32 v[0:1], v0
	s_branch .LBB86_1184
.LBB86_1175:
	s_mov_b32 s29, -1
	s_mov_b32 s31, s1
                                        ; implicit-def: $vgpr0_vgpr1
	s_branch .LBB86_1247
.LBB86_1176:
	s_mov_b32 s35, -1
	s_mov_b32 s31, s1
                                        ; implicit-def: $vgpr0_vgpr1
	s_branch .LBB86_1213
.LBB86_1177:
	s_mov_b32 s35, -1
	s_mov_b32 s31, s1
                                        ; implicit-def: $vgpr0_vgpr1
	s_branch .LBB86_1194
.LBB86_1178:
	s_mov_b32 s35, -1
	s_mov_b32 s31, s1
                                        ; implicit-def: $vgpr0_vgpr1
	s_branch .LBB86_1189
.LBB86_1179:
	s_mov_b32 s35, -1
	s_mov_b32 s31, s1
	s_branch .LBB86_1183
.LBB86_1180:
	s_and_not1_saveexec_b32 s35, s35
	s_cbranch_execz .LBB86_1074
.LBB86_1181:
	v_add_f32_e32 v2, 0x46000000, v3
	s_and_not1_b32 s34, s34, exec_lo
	s_delay_alu instid0(VALU_DEP_1) | instskip(NEXT) | instid1(VALU_DEP_1)
	v_and_b32_e32 v2, 0xff, v2
	v_cmp_ne_u32_e32 vcc_lo, 0, v2
	s_and_b32 s36, vcc_lo, exec_lo
	s_delay_alu instid0(SALU_CYCLE_1)
	s_or_b32 s34, s34, s36
	s_or_b32 exec_lo, exec_lo, s35
	v_mov_b32_e32 v4, 0
	s_and_saveexec_b32 s35, s34
	s_cbranch_execnz .LBB86_1075
	s_branch .LBB86_1076
.LBB86_1182:
	s_mov_b32 s31, -1
.LBB86_1183:
                                        ; implicit-def: $vgpr0_vgpr1
.LBB86_1184:
	s_and_b32 vcc_lo, exec_lo, s35
	s_cbranch_vccz .LBB86_1188
; %bb.1185:
	s_cmp_eq_u32 s29, 44
	s_cbranch_scc0 .LBB86_1187
; %bb.1186:
	global_load_u8 v4, v[2:3], off
	s_mov_b32 s31, 0
	s_mov_b32 s34, -1
	s_wait_loadcnt 0x0
	v_cmp_ne_u32_e32 vcc_lo, 0xff, v4
	v_lshlrev_b32_e32 v0, 23, v4
	s_delay_alu instid0(VALU_DEP_1) | instskip(NEXT) | instid1(VALU_DEP_1)
	v_cvt_f64_f32_e32 v[0:1], v0
	v_cndmask_b32_e32 v0, 0x20000000, v0, vcc_lo
	s_delay_alu instid0(VALU_DEP_2) | instskip(SKIP_1) | instid1(VALU_DEP_2)
	v_cndmask_b32_e32 v1, 0x7ff80000, v1, vcc_lo
	v_cmp_ne_u32_e32 vcc_lo, 0, v4
	v_cndmask_b32_e32 v1, 0x38000000, v1, vcc_lo
	s_delay_alu instid0(VALU_DEP_4)
	v_cndmask_b32_e32 v0, 0, v0, vcc_lo
	s_branch .LBB86_1188
.LBB86_1187:
	s_mov_b32 s31, -1
                                        ; implicit-def: $vgpr0_vgpr1
.LBB86_1188:
	s_mov_b32 s35, 0
.LBB86_1189:
	s_delay_alu instid0(SALU_CYCLE_1)
	s_and_b32 vcc_lo, exec_lo, s35
	s_cbranch_vccz .LBB86_1193
; %bb.1190:
	s_cmp_eq_u32 s29, 29
	s_cbranch_scc0 .LBB86_1192
; %bb.1191:
	global_load_b64 v[0:1], v[2:3], off
	s_mov_b32 s31, 0
	s_mov_b32 s34, -1
	s_mov_b32 s35, 0
	s_wait_loadcnt 0x0
	v_cvt_f64_u32_e32 v[4:5], v1
	v_cvt_f64_u32_e32 v[0:1], v0
	s_delay_alu instid0(VALU_DEP_2) | instskip(NEXT) | instid1(VALU_DEP_1)
	v_ldexp_f64 v[4:5], v[4:5], 32
	v_add_f64_e32 v[0:1], v[4:5], v[0:1]
	s_branch .LBB86_1194
.LBB86_1192:
	s_mov_b32 s31, -1
                                        ; implicit-def: $vgpr0_vgpr1
.LBB86_1193:
	s_mov_b32 s35, 0
.LBB86_1194:
	s_delay_alu instid0(SALU_CYCLE_1)
	s_and_b32 vcc_lo, exec_lo, s35
	s_cbranch_vccz .LBB86_1212
; %bb.1195:
	s_cmp_lt_i32 s29, 27
	s_cbranch_scc1 .LBB86_1198
; %bb.1196:
	s_cmp_gt_i32 s29, 27
	s_cbranch_scc0 .LBB86_1199
; %bb.1197:
	global_load_b32 v0, v[2:3], off
	s_mov_b32 s34, 0
	s_wait_loadcnt 0x0
	v_cvt_f64_u32_e32 v[0:1], v0
	s_branch .LBB86_1200
.LBB86_1198:
	s_mov_b32 s34, -1
                                        ; implicit-def: $vgpr0_vgpr1
	s_branch .LBB86_1203
.LBB86_1199:
	s_mov_b32 s34, -1
                                        ; implicit-def: $vgpr0_vgpr1
.LBB86_1200:
	s_delay_alu instid0(SALU_CYCLE_1)
	s_and_not1_b32 vcc_lo, exec_lo, s34
	s_cbranch_vccnz .LBB86_1202
; %bb.1201:
	global_load_u16 v0, v[2:3], off
	s_wait_loadcnt 0x0
	v_cvt_f64_u32_e32 v[0:1], v0
.LBB86_1202:
	s_mov_b32 s34, 0
.LBB86_1203:
	s_delay_alu instid0(SALU_CYCLE_1)
	s_and_not1_b32 vcc_lo, exec_lo, s34
	s_cbranch_vccnz .LBB86_1211
; %bb.1204:
	global_load_u8 v4, v[2:3], off
	s_mov_b32 s34, 0
	s_mov_b32 s35, exec_lo
	s_wait_loadcnt 0x0
	v_cmpx_lt_i16_e32 0x7f, v4
	s_xor_b32 s35, exec_lo, s35
	s_cbranch_execz .LBB86_1225
; %bb.1205:
	s_mov_b32 s34, -1
	s_mov_b32 s36, exec_lo
	v_cmpx_eq_u16_e32 0x80, v4
; %bb.1206:
	s_xor_b32 s34, exec_lo, -1
; %bb.1207:
	s_or_b32 exec_lo, exec_lo, s36
	s_delay_alu instid0(SALU_CYCLE_1)
	s_and_b32 s34, s34, exec_lo
	s_or_saveexec_b32 s35, s35
	v_mov_b64_e32 v[0:1], 0x7ff8000020000000
	s_xor_b32 exec_lo, exec_lo, s35
	s_cbranch_execnz .LBB86_1226
.LBB86_1208:
	s_or_b32 exec_lo, exec_lo, s35
	s_and_saveexec_b32 s35, s34
	s_cbranch_execz .LBB86_1210
.LBB86_1209:
	v_and_b32_e32 v0, 0xffff, v4
	s_delay_alu instid0(VALU_DEP_1) | instskip(SKIP_1) | instid1(VALU_DEP_2)
	v_and_b32_e32 v1, 7, v0
	v_bfe_u32 v7, v0, 3, 4
	v_clz_i32_u32_e32 v5, v1
	s_delay_alu instid0(VALU_DEP_2) | instskip(NEXT) | instid1(VALU_DEP_2)
	v_cmp_eq_u32_e32 vcc_lo, 0, v7
	v_min_u32_e32 v5, 32, v5
	s_delay_alu instid0(VALU_DEP_1) | instskip(NEXT) | instid1(VALU_DEP_1)
	v_subrev_nc_u32_e32 v6, 28, v5
	v_dual_lshlrev_b32 v0, v6, v0 :: v_dual_sub_nc_u32 v5, 29, v5
	s_delay_alu instid0(VALU_DEP_1) | instskip(NEXT) | instid1(VALU_DEP_2)
	v_and_b32_e32 v0, 7, v0
	v_dual_cndmask_b32 v5, v7, v5 :: v_dual_lshlrev_b32 v4, 24, v4
	s_delay_alu instid0(VALU_DEP_2) | instskip(NEXT) | instid1(VALU_DEP_2)
	v_cndmask_b32_e32 v0, v1, v0, vcc_lo
	v_and_b32_e32 v1, 0x80000000, v4
	s_delay_alu instid0(VALU_DEP_3) | instskip(NEXT) | instid1(VALU_DEP_3)
	v_lshl_add_u32 v4, v5, 23, 0x3b800000
	v_lshlrev_b32_e32 v0, 20, v0
	s_delay_alu instid0(VALU_DEP_1) | instskip(NEXT) | instid1(VALU_DEP_1)
	v_or3_b32 v0, v1, v4, v0
	v_cvt_f64_f32_e32 v[0:1], v0
.LBB86_1210:
	s_or_b32 exec_lo, exec_lo, s35
.LBB86_1211:
	s_mov_b32 s34, -1
.LBB86_1212:
	s_mov_b32 s35, 0
.LBB86_1213:
	s_delay_alu instid0(SALU_CYCLE_1)
	s_and_b32 vcc_lo, exec_lo, s35
	s_cbranch_vccz .LBB86_1246
; %bb.1214:
	s_cmp_gt_i32 s29, 22
	s_cbranch_scc0 .LBB86_1224
; %bb.1215:
	s_cmp_lt_i32 s29, 24
	s_cbranch_scc1 .LBB86_1227
; %bb.1216:
	s_cmp_gt_i32 s29, 24
	s_cbranch_scc0 .LBB86_1228
; %bb.1217:
	global_load_u8 v4, v[2:3], off
	s_mov_b32 s34, exec_lo
	s_wait_loadcnt 0x0
	v_cmpx_lt_i16_e32 0x7f, v4
	s_xor_b32 s34, exec_lo, s34
	s_cbranch_execz .LBB86_1240
; %bb.1218:
	s_mov_b32 s33, -1
	s_mov_b32 s35, exec_lo
	v_cmpx_eq_u16_e32 0x80, v4
; %bb.1219:
	s_xor_b32 s33, exec_lo, -1
; %bb.1220:
	s_or_b32 exec_lo, exec_lo, s35
	s_delay_alu instid0(SALU_CYCLE_1)
	s_and_b32 s33, s33, exec_lo
	s_or_saveexec_b32 s34, s34
	v_mov_b64_e32 v[0:1], 0x7ff8000020000000
	s_xor_b32 exec_lo, exec_lo, s34
	s_cbranch_execnz .LBB86_1241
.LBB86_1221:
	s_or_b32 exec_lo, exec_lo, s34
	s_and_saveexec_b32 s34, s33
	s_cbranch_execz .LBB86_1223
.LBB86_1222:
	v_and_b32_e32 v0, 0xffff, v4
	s_delay_alu instid0(VALU_DEP_1) | instskip(SKIP_1) | instid1(VALU_DEP_2)
	v_and_b32_e32 v1, 3, v0
	v_bfe_u32 v7, v0, 2, 5
	v_clz_i32_u32_e32 v5, v1
	s_delay_alu instid0(VALU_DEP_2) | instskip(NEXT) | instid1(VALU_DEP_2)
	v_cmp_eq_u32_e32 vcc_lo, 0, v7
	v_min_u32_e32 v5, 32, v5
	s_delay_alu instid0(VALU_DEP_1) | instskip(NEXT) | instid1(VALU_DEP_1)
	v_subrev_nc_u32_e32 v6, 29, v5
	v_dual_lshlrev_b32 v0, v6, v0 :: v_dual_sub_nc_u32 v5, 30, v5
	s_delay_alu instid0(VALU_DEP_1) | instskip(NEXT) | instid1(VALU_DEP_2)
	v_and_b32_e32 v0, 3, v0
	v_dual_cndmask_b32 v5, v7, v5 :: v_dual_lshlrev_b32 v4, 24, v4
	s_delay_alu instid0(VALU_DEP_2) | instskip(NEXT) | instid1(VALU_DEP_2)
	v_cndmask_b32_e32 v0, v1, v0, vcc_lo
	v_and_b32_e32 v1, 0x80000000, v4
	s_delay_alu instid0(VALU_DEP_3) | instskip(NEXT) | instid1(VALU_DEP_3)
	v_lshl_add_u32 v4, v5, 23, 0x37800000
	v_lshlrev_b32_e32 v0, 21, v0
	s_delay_alu instid0(VALU_DEP_1) | instskip(NEXT) | instid1(VALU_DEP_1)
	v_or3_b32 v0, v1, v4, v0
	v_cvt_f64_f32_e32 v[0:1], v0
.LBB86_1223:
	s_or_b32 exec_lo, exec_lo, s34
	s_mov_b32 s33, 0
	s_branch .LBB86_1229
.LBB86_1224:
	s_mov_b32 s33, -1
                                        ; implicit-def: $vgpr0_vgpr1
	s_branch .LBB86_1235
.LBB86_1225:
	s_or_saveexec_b32 s35, s35
	v_mov_b64_e32 v[0:1], 0x7ff8000020000000
	s_xor_b32 exec_lo, exec_lo, s35
	s_cbranch_execz .LBB86_1208
.LBB86_1226:
	v_cmp_ne_u16_e32 vcc_lo, 0, v4
	v_mov_b64_e32 v[0:1], 0
	s_and_not1_b32 s34, s34, exec_lo
	s_and_b32 s36, vcc_lo, exec_lo
	s_delay_alu instid0(SALU_CYCLE_1)
	s_or_b32 s34, s34, s36
	s_or_b32 exec_lo, exec_lo, s35
	s_and_saveexec_b32 s35, s34
	s_cbranch_execnz .LBB86_1209
	s_branch .LBB86_1210
.LBB86_1227:
	s_mov_b32 s33, -1
                                        ; implicit-def: $vgpr0_vgpr1
	s_branch .LBB86_1232
.LBB86_1228:
	s_mov_b32 s33, -1
                                        ; implicit-def: $vgpr0_vgpr1
.LBB86_1229:
	s_delay_alu instid0(SALU_CYCLE_1)
	s_and_b32 vcc_lo, exec_lo, s33
	s_cbranch_vccz .LBB86_1231
; %bb.1230:
	global_load_u8 v0, v[2:3], off
	s_wait_loadcnt 0x0
	v_lshlrev_b32_e32 v0, 24, v0
	s_delay_alu instid0(VALU_DEP_1) | instskip(NEXT) | instid1(VALU_DEP_1)
	v_and_b32_e32 v1, 0x7f000000, v0
	v_clz_i32_u32_e32 v4, v1
	v_cmp_ne_u32_e32 vcc_lo, 0, v1
	v_add_nc_u32_e32 v6, 0x1000000, v1
	s_delay_alu instid0(VALU_DEP_3) | instskip(NEXT) | instid1(VALU_DEP_1)
	v_min_u32_e32 v4, 32, v4
	v_sub_nc_u32_e64 v4, v4, 4 clamp
	s_delay_alu instid0(VALU_DEP_1) | instskip(NEXT) | instid1(VALU_DEP_1)
	v_dual_lshlrev_b32 v5, v4, v1 :: v_dual_lshlrev_b32 v4, 23, v4
	v_lshrrev_b32_e32 v5, 4, v5
	s_delay_alu instid0(VALU_DEP_1) | instskip(NEXT) | instid1(VALU_DEP_1)
	v_dual_sub_nc_u32 v4, v5, v4 :: v_dual_ashrrev_i32 v5, 8, v6
	v_add_nc_u32_e32 v4, 0x3c000000, v4
	s_delay_alu instid0(VALU_DEP_1) | instskip(NEXT) | instid1(VALU_DEP_1)
	v_and_or_b32 v4, 0x7f800000, v5, v4
	v_cndmask_b32_e32 v1, 0, v4, vcc_lo
	s_delay_alu instid0(VALU_DEP_1) | instskip(NEXT) | instid1(VALU_DEP_1)
	v_and_or_b32 v0, 0x80000000, v0, v1
	v_cvt_f64_f32_e32 v[0:1], v0
.LBB86_1231:
	s_mov_b32 s33, 0
.LBB86_1232:
	s_delay_alu instid0(SALU_CYCLE_1)
	s_and_not1_b32 vcc_lo, exec_lo, s33
	s_cbranch_vccnz .LBB86_1234
; %bb.1233:
	global_load_u8 v0, v[2:3], off
	s_wait_loadcnt 0x0
	v_lshlrev_b32_e32 v1, 25, v0
	v_lshlrev_b16 v0, 8, v0
	s_delay_alu instid0(VALU_DEP_1) | instskip(SKIP_1) | instid1(VALU_DEP_2)
	v_and_or_b32 v5, 0x7f00, v0, 0.5
	v_bfe_i32 v0, v0, 0, 16
	v_add_f32_e32 v5, -0.5, v5
	v_lshrrev_b32_e32 v4, 4, v1
	v_cmp_gt_u32_e32 vcc_lo, 0x8000000, v1
	s_delay_alu instid0(VALU_DEP_2) | instskip(NEXT) | instid1(VALU_DEP_1)
	v_or_b32_e32 v4, 0x70000000, v4
	v_mul_f32_e32 v4, 0x7800000, v4
	s_delay_alu instid0(VALU_DEP_1) | instskip(NEXT) | instid1(VALU_DEP_1)
	v_cndmask_b32_e32 v1, v4, v5, vcc_lo
	v_and_or_b32 v0, 0x80000000, v0, v1
	s_delay_alu instid0(VALU_DEP_1)
	v_cvt_f64_f32_e32 v[0:1], v0
.LBB86_1234:
	s_mov_b32 s33, 0
	s_mov_b32 s34, -1
.LBB86_1235:
	s_and_not1_b32 vcc_lo, exec_lo, s33
	s_mov_b32 s33, 0
	s_cbranch_vccnz .LBB86_1246
; %bb.1236:
	s_cmp_gt_i32 s29, 14
	s_cbranch_scc0 .LBB86_1239
; %bb.1237:
	s_cmp_eq_u32 s29, 15
	s_cbranch_scc0 .LBB86_1242
; %bb.1238:
	global_load_u16 v0, v[2:3], off
	s_mov_b32 s31, 0
	s_mov_b32 s34, -1
	s_wait_loadcnt 0x0
	v_lshlrev_b32_e32 v0, 16, v0
	s_delay_alu instid0(VALU_DEP_1)
	v_cvt_f64_f32_e32 v[0:1], v0
	s_branch .LBB86_1244
.LBB86_1239:
	s_mov_b32 s33, -1
	s_branch .LBB86_1243
.LBB86_1240:
	s_or_saveexec_b32 s34, s34
	v_mov_b64_e32 v[0:1], 0x7ff8000020000000
	s_xor_b32 exec_lo, exec_lo, s34
	s_cbranch_execz .LBB86_1221
.LBB86_1241:
	v_cmp_ne_u16_e32 vcc_lo, 0, v4
	v_mov_b64_e32 v[0:1], 0
	s_and_not1_b32 s33, s33, exec_lo
	s_and_b32 s35, vcc_lo, exec_lo
	s_delay_alu instid0(SALU_CYCLE_1)
	s_or_b32 s33, s33, s35
	s_or_b32 exec_lo, exec_lo, s34
	s_and_saveexec_b32 s34, s33
	s_cbranch_execnz .LBB86_1222
	s_branch .LBB86_1223
.LBB86_1242:
	s_mov_b32 s31, -1
.LBB86_1243:
                                        ; implicit-def: $vgpr0_vgpr1
.LBB86_1244:
	s_and_b32 vcc_lo, exec_lo, s33
	s_mov_b32 s33, 0
	s_cbranch_vccz .LBB86_1246
; %bb.1245:
	s_cmp_lg_u32 s29, 11
	s_mov_b32 s33, -1
	s_cselect_b32 s29, -1, 0
	s_and_not1_b32 s31, s31, exec_lo
	s_and_b32 s29, s29, exec_lo
	s_delay_alu instid0(SALU_CYCLE_1)
	s_or_b32 s31, s31, s29
.LBB86_1246:
	s_mov_b32 s29, 0
.LBB86_1247:
	s_and_not1_b32 s35, s1, exec_lo
	s_and_b32 s31, s31, exec_lo
	s_and_b32 s36, s34, exec_lo
	;; [unrolled: 1-line block ×4, first 2 shown]
	s_or_b32 s35, s35, s31
.LBB86_1248:
	s_wait_xcnt 0x0
	s_or_b32 exec_lo, exec_lo, s19
	s_delay_alu instid0(SALU_CYCLE_1)
	s_and_not1_b32 s1, s1, exec_lo
	s_and_b32 s19, s35, exec_lo
	s_and_b32 s33, s36, exec_lo
	;; [unrolled: 1-line block ×4, first 2 shown]
	s_or_b32 s1, s1, s19
.LBB86_1249:
	s_or_b32 exec_lo, exec_lo, s27
	s_delay_alu instid0(SALU_CYCLE_1)
	s_and_not1_b32 s19, s24, exec_lo
	s_and_b32 s24, s30, exec_lo
	s_and_not1_b32 s25, s25, exec_lo
	s_and_b32 s27, s28, exec_lo
	s_or_b32 s24, s19, s24
	s_and_not1_b32 s19, s23, exec_lo
	s_and_b32 s23, s1, exec_lo
	s_or_b32 s25, s25, s27
	s_and_b32 s28, s33, exec_lo
	s_and_b32 s27, s31, exec_lo
	;; [unrolled: 1-line block ×3, first 2 shown]
	s_or_b32 s23, s19, s23
.LBB86_1250:
	s_or_b32 exec_lo, exec_lo, s26
	s_delay_alu instid0(SALU_CYCLE_1)
	s_and_not1_b32 s18, s18, exec_lo
	s_and_b32 s19, s24, exec_lo
	s_and_not1_b32 s20, s20, exec_lo
	s_and_b32 s24, s25, exec_lo
	s_or_b32 s18, s18, s19
	s_and_not1_b32 s19, s21, exec_lo
	s_and_b32 s21, s23, exec_lo
	s_or_b32 s20, s20, s24
	s_and_b32 s24, s28, exec_lo
	s_and_b32 s25, s27, exec_lo
	;; [unrolled: 1-line block ×3, first 2 shown]
	s_or_b32 s21, s19, s21
	s_or_b32 exec_lo, exec_lo, s22
	s_mov_b32 s1, 0
	s_and_saveexec_b32 s19, s21
	s_cbranch_execz .LBB86_392
.LBB86_1251:
	s_mov_b32 s1, exec_lo
	s_and_not1_b32 s23, s23, exec_lo
	s_trap 2
	s_or_b32 exec_lo, exec_lo, s19
	s_and_saveexec_b32 s19, s23
	s_delay_alu instid0(SALU_CYCLE_1)
	s_xor_b32 s19, exec_lo, s19
	s_cbranch_execnz .LBB86_393
.LBB86_1252:
	s_or_b32 exec_lo, exec_lo, s19
	s_and_saveexec_b32 s19, s25
	s_cbranch_execz .LBB86_1298
.LBB86_1253:
	s_sext_i32_i16 s21, s2
	s_delay_alu instid0(SALU_CYCLE_1)
	s_cmp_lt_i32 s21, 5
	s_cbranch_scc1 .LBB86_1258
; %bb.1254:
	s_cmp_lt_i32 s21, 8
	s_cbranch_scc1 .LBB86_1259
; %bb.1255:
	;; [unrolled: 3-line block ×3, first 2 shown]
	s_cmp_gt_i32 s21, 9
	s_cbranch_scc0 .LBB86_1261
; %bb.1257:
	s_wait_loadcnt 0x0
	global_load_b64 v[0:1], v[2:3], off
	s_mov_b32 s21, 0
	s_branch .LBB86_1262
.LBB86_1258:
                                        ; implicit-def: $vgpr0_vgpr1
	s_branch .LBB86_1279
.LBB86_1259:
                                        ; implicit-def: $vgpr0_vgpr1
	s_branch .LBB86_1268
.LBB86_1260:
	s_mov_b32 s21, -1
                                        ; implicit-def: $vgpr0_vgpr1
	s_branch .LBB86_1265
.LBB86_1261:
	s_mov_b32 s21, -1
                                        ; implicit-def: $vgpr0_vgpr1
.LBB86_1262:
	s_delay_alu instid0(SALU_CYCLE_1)
	s_and_not1_b32 vcc_lo, exec_lo, s21
	s_cbranch_vccnz .LBB86_1264
; %bb.1263:
	s_wait_loadcnt 0x0
	global_load_b32 v0, v[2:3], off
	s_wait_loadcnt 0x0
	v_cvt_f64_f32_e32 v[0:1], v0
.LBB86_1264:
	s_mov_b32 s21, 0
.LBB86_1265:
	s_delay_alu instid0(SALU_CYCLE_1)
	s_and_not1_b32 vcc_lo, exec_lo, s21
	s_cbranch_vccnz .LBB86_1267
; %bb.1266:
	s_wait_loadcnt 0x0
	global_load_b32 v0, v[2:3], off
	s_wait_loadcnt 0x0
	v_cvt_f32_f16_e32 v0, v0
	s_delay_alu instid0(VALU_DEP_1)
	v_cvt_f64_f32_e32 v[0:1], v0
.LBB86_1267:
	s_cbranch_execnz .LBB86_1278
.LBB86_1268:
	s_sext_i32_i16 s21, s2
	s_delay_alu instid0(SALU_CYCLE_1)
	s_cmp_lt_i32 s21, 6
	s_cbranch_scc1 .LBB86_1271
; %bb.1269:
	s_cmp_gt_i32 s21, 6
	s_cbranch_scc0 .LBB86_1272
; %bb.1270:
	s_wait_loadcnt 0x0
	global_load_b64 v[0:1], v[2:3], off
	s_mov_b32 s21, 0
	s_branch .LBB86_1273
.LBB86_1271:
	s_mov_b32 s21, -1
                                        ; implicit-def: $vgpr0_vgpr1
	s_branch .LBB86_1276
.LBB86_1272:
	s_mov_b32 s21, -1
                                        ; implicit-def: $vgpr0_vgpr1
.LBB86_1273:
	s_delay_alu instid0(SALU_CYCLE_1)
	s_and_not1_b32 vcc_lo, exec_lo, s21
	s_cbranch_vccnz .LBB86_1275
; %bb.1274:
	s_wait_loadcnt 0x0
	global_load_b32 v0, v[2:3], off
	s_wait_loadcnt 0x0
	v_cvt_f64_f32_e32 v[0:1], v0
.LBB86_1275:
	s_mov_b32 s21, 0
.LBB86_1276:
	s_delay_alu instid0(SALU_CYCLE_1)
	s_and_not1_b32 vcc_lo, exec_lo, s21
	s_cbranch_vccnz .LBB86_1278
; %bb.1277:
	s_wait_loadcnt 0x0
	global_load_u16 v0, v[2:3], off
	s_wait_loadcnt 0x0
	v_cvt_f32_f16_e32 v0, v0
	s_delay_alu instid0(VALU_DEP_1)
	v_cvt_f64_f32_e32 v[0:1], v0
.LBB86_1278:
	s_cbranch_execnz .LBB86_1297
.LBB86_1279:
	s_sext_i32_i16 s21, s2
	s_delay_alu instid0(SALU_CYCLE_1)
	s_cmp_lt_i32 s21, 2
	s_cbranch_scc1 .LBB86_1283
; %bb.1280:
	s_cmp_lt_i32 s21, 3
	s_cbranch_scc1 .LBB86_1284
; %bb.1281:
	s_cmp_gt_i32 s21, 3
	s_cbranch_scc0 .LBB86_1285
; %bb.1282:
	s_wait_loadcnt 0x0
	global_load_b64 v[0:1], v[2:3], off
	s_mov_b32 s21, 0
	s_wait_loadcnt 0x0
	v_cvt_f64_i32_e32 v[4:5], v1
	v_cvt_f64_u32_e32 v[0:1], v0
	s_delay_alu instid0(VALU_DEP_2) | instskip(NEXT) | instid1(VALU_DEP_1)
	v_ldexp_f64 v[4:5], v[4:5], 32
	v_add_f64_e32 v[0:1], v[4:5], v[0:1]
	s_branch .LBB86_1286
.LBB86_1283:
                                        ; implicit-def: $vgpr0_vgpr1
	s_branch .LBB86_1292
.LBB86_1284:
	s_mov_b32 s21, -1
                                        ; implicit-def: $vgpr0_vgpr1
	s_branch .LBB86_1289
.LBB86_1285:
	s_mov_b32 s21, -1
                                        ; implicit-def: $vgpr0_vgpr1
.LBB86_1286:
	s_delay_alu instid0(SALU_CYCLE_1)
	s_and_not1_b32 vcc_lo, exec_lo, s21
	s_cbranch_vccnz .LBB86_1288
; %bb.1287:
	s_wait_loadcnt 0x0
	global_load_b32 v0, v[2:3], off
	s_wait_loadcnt 0x0
	v_cvt_f64_i32_e32 v[0:1], v0
.LBB86_1288:
	s_mov_b32 s21, 0
.LBB86_1289:
	s_delay_alu instid0(SALU_CYCLE_1)
	s_and_not1_b32 vcc_lo, exec_lo, s21
	s_cbranch_vccnz .LBB86_1291
; %bb.1290:
	s_wait_loadcnt 0x0
	global_load_i16 v0, v[2:3], off
	s_wait_loadcnt 0x0
	v_cvt_f64_i32_e32 v[0:1], v0
.LBB86_1291:
	s_cbranch_execnz .LBB86_1297
.LBB86_1292:
	s_sext_i32_i16 s2, s2
	s_delay_alu instid0(SALU_CYCLE_1)
	s_cmp_gt_i32 s2, 0
	s_mov_b32 s2, 0
	s_cbranch_scc0 .LBB86_1294
; %bb.1293:
	s_wait_loadcnt 0x0
	global_load_i8 v0, v[2:3], off
	s_wait_loadcnt 0x0
	v_cvt_f64_i32_e32 v[0:1], v0
	s_branch .LBB86_1295
.LBB86_1294:
	s_mov_b32 s2, -1
                                        ; implicit-def: $vgpr0_vgpr1
.LBB86_1295:
	s_delay_alu instid0(SALU_CYCLE_1)
	s_and_not1_b32 vcc_lo, exec_lo, s2
	s_cbranch_vccnz .LBB86_1297
; %bb.1296:
	s_wait_loadcnt 0x0
	global_load_u8 v0, v[2:3], off
	s_wait_loadcnt 0x0
	v_cvt_f64_u32_e32 v[0:1], v0
.LBB86_1297:
	s_or_b32 s24, s24, exec_lo
.LBB86_1298:
	s_wait_xcnt 0x0
	s_or_b32 exec_lo, exec_lo, s19
	s_mov_b32 s22, 0
	s_mov_b32 s25, 0
	;; [unrolled: 1-line block ×3, first 2 shown]
                                        ; implicit-def: $sgpr2
                                        ; implicit-def: $vgpr2_vgpr3
                                        ; implicit-def: $vgpr4_vgpr5
	s_and_saveexec_b32 s19, s24
	s_cbranch_execz .LBB86_1306
; %bb.1299:
	v_mul_lo_u32 v2, v18, s10
	s_and_b32 s2, s14, 0xff
	s_delay_alu instid0(SALU_CYCLE_1) | instskip(NEXT) | instid1(VALU_DEP_1)
	s_cmp_lt_i32 s2, 11
	v_ashrrev_i32_e32 v3, 31, v2
	s_delay_alu instid0(VALU_DEP_1)
	v_add_nc_u64_e32 v[2:3], s[12:13], v[2:3]
	s_cbranch_scc1 .LBB86_1309
; %bb.1300:
	s_and_b32 s21, 0xffff, s2
	s_mov_b32 s23, 0
	s_cmp_gt_i32 s21, 25
	s_cbranch_scc0 .LBB86_1310
; %bb.1301:
	s_cmp_gt_i32 s21, 28
	s_cbranch_scc0 .LBB86_1311
; %bb.1302:
	;; [unrolled: 3-line block ×4, first 2 shown]
	s_cmp_eq_u32 s21, 46
	s_cbranch_scc0 .LBB86_1314
; %bb.1305:
	s_wait_loadcnt 0x0
	global_load_b32 v4, v[2:3], off
	s_mov_b32 s24, -1
	s_wait_loadcnt 0x0
	v_lshlrev_b32_e32 v4, 16, v4
	s_delay_alu instid0(VALU_DEP_1)
	v_cvt_f64_f32_e32 v[4:5], v4
	s_branch .LBB86_1316
.LBB86_1306:
	s_or_b32 exec_lo, exec_lo, s19
	s_and_saveexec_b32 s19, s20
	s_cbranch_execnz .LBB86_1379
.LBB86_1307:
	s_or_b32 exec_lo, exec_lo, s19
	s_and_saveexec_b32 s19, s22
	s_delay_alu instid0(SALU_CYCLE_1)
	s_xor_b32 s19, exec_lo, s19
	s_cbranch_execz .LBB86_1380
.LBB86_1308:
	s_wait_loadcnt 0x0
	global_load_u8 v4, v[2:3], off
	s_or_b32 s21, s21, exec_lo
	s_wait_loadcnt 0x0
	v_cmp_ne_u16_e32 vcc_lo, 0, v4
	v_mov_b32_e32 v4, 0
	v_cndmask_b32_e64 v5, 0, 0x3ff00000, vcc_lo
	s_wait_xcnt 0x0
	s_or_b32 exec_lo, exec_lo, s19
	s_and_saveexec_b32 s19, s25
	s_cbranch_execz .LBB86_1426
	s_branch .LBB86_1381
.LBB86_1309:
	s_mov_b32 s25, -1
	s_mov_b32 s24, 0
	s_mov_b32 s23, 0
	;; [unrolled: 1-line block ×3, first 2 shown]
                                        ; implicit-def: $vgpr4_vgpr5
	s_branch .LBB86_1378
.LBB86_1310:
	s_mov_b32 s24, 0
	s_mov_b32 s22, s20
                                        ; implicit-def: $vgpr4_vgpr5
	s_cbranch_execnz .LBB86_1345
	s_branch .LBB86_1377
.LBB86_1311:
	s_mov_b32 s25, -1
	s_mov_b32 s24, 0
	s_mov_b32 s22, s20
                                        ; implicit-def: $vgpr4_vgpr5
	s_branch .LBB86_1326
.LBB86_1312:
	s_mov_b32 s25, -1
	s_mov_b32 s24, 0
	s_mov_b32 s22, s20
                                        ; implicit-def: $vgpr4_vgpr5
	s_branch .LBB86_1321
.LBB86_1313:
	s_mov_b32 s25, -1
	s_mov_b32 s24, 0
	s_mov_b32 s22, s20
	s_branch .LBB86_1315
.LBB86_1314:
	s_mov_b32 s22, -1
	s_mov_b32 s24, 0
.LBB86_1315:
                                        ; implicit-def: $vgpr4_vgpr5
.LBB86_1316:
	s_and_b32 vcc_lo, exec_lo, s25
	s_cbranch_vccz .LBB86_1320
; %bb.1317:
	s_cmp_eq_u32 s21, 44
	s_cbranch_scc0 .LBB86_1319
; %bb.1318:
	global_load_u8 v6, v[2:3], off
	s_mov_b32 s22, 0
	s_mov_b32 s24, -1
	s_wait_loadcnt 0x0
	v_cmp_ne_u32_e32 vcc_lo, 0xff, v6
	v_lshlrev_b32_e32 v4, 23, v6
	s_delay_alu instid0(VALU_DEP_1) | instskip(NEXT) | instid1(VALU_DEP_1)
	v_cvt_f64_f32_e32 v[4:5], v4
	v_cndmask_b32_e32 v4, 0x20000000, v4, vcc_lo
	s_delay_alu instid0(VALU_DEP_2) | instskip(SKIP_1) | instid1(VALU_DEP_2)
	v_cndmask_b32_e32 v5, 0x7ff80000, v5, vcc_lo
	v_cmp_ne_u32_e32 vcc_lo, 0, v6
	v_cndmask_b32_e32 v5, 0x38000000, v5, vcc_lo
	s_delay_alu instid0(VALU_DEP_4)
	v_cndmask_b32_e32 v4, 0, v4, vcc_lo
	s_branch .LBB86_1320
.LBB86_1319:
	s_mov_b32 s22, -1
                                        ; implicit-def: $vgpr4_vgpr5
.LBB86_1320:
	s_mov_b32 s25, 0
.LBB86_1321:
	s_delay_alu instid0(SALU_CYCLE_1)
	s_and_b32 vcc_lo, exec_lo, s25
	s_cbranch_vccz .LBB86_1325
; %bb.1322:
	s_cmp_eq_u32 s21, 29
	s_cbranch_scc0 .LBB86_1324
; %bb.1323:
	s_wait_loadcnt 0x0
	global_load_b64 v[4:5], v[2:3], off
	s_mov_b32 s22, 0
	s_mov_b32 s24, -1
	s_mov_b32 s25, 0
	s_wait_loadcnt 0x0
	v_cvt_f64_u32_e32 v[6:7], v5
	v_cvt_f64_u32_e32 v[4:5], v4
	s_delay_alu instid0(VALU_DEP_2) | instskip(NEXT) | instid1(VALU_DEP_1)
	v_ldexp_f64 v[6:7], v[6:7], 32
	v_add_f64_e32 v[4:5], v[6:7], v[4:5]
	s_branch .LBB86_1326
.LBB86_1324:
	s_mov_b32 s22, -1
                                        ; implicit-def: $vgpr4_vgpr5
.LBB86_1325:
	s_mov_b32 s25, 0
.LBB86_1326:
	s_delay_alu instid0(SALU_CYCLE_1)
	s_and_b32 vcc_lo, exec_lo, s25
	s_cbranch_vccz .LBB86_1344
; %bb.1327:
	s_cmp_lt_i32 s21, 27
	s_cbranch_scc1 .LBB86_1330
; %bb.1328:
	s_cmp_gt_i32 s21, 27
	s_cbranch_scc0 .LBB86_1331
; %bb.1329:
	s_wait_loadcnt 0x0
	global_load_b32 v4, v[2:3], off
	s_mov_b32 s24, 0
	s_wait_loadcnt 0x0
	v_cvt_f64_u32_e32 v[4:5], v4
	s_branch .LBB86_1332
.LBB86_1330:
	s_mov_b32 s24, -1
                                        ; implicit-def: $vgpr4_vgpr5
	s_branch .LBB86_1335
.LBB86_1331:
	s_mov_b32 s24, -1
                                        ; implicit-def: $vgpr4_vgpr5
.LBB86_1332:
	s_delay_alu instid0(SALU_CYCLE_1)
	s_and_not1_b32 vcc_lo, exec_lo, s24
	s_cbranch_vccnz .LBB86_1334
; %bb.1333:
	s_wait_loadcnt 0x0
	global_load_u16 v4, v[2:3], off
	s_wait_loadcnt 0x0
	v_cvt_f64_u32_e32 v[4:5], v4
.LBB86_1334:
	s_mov_b32 s24, 0
.LBB86_1335:
	s_delay_alu instid0(SALU_CYCLE_1)
	s_and_not1_b32 vcc_lo, exec_lo, s24
	s_cbranch_vccnz .LBB86_1343
; %bb.1336:
	global_load_u8 v6, v[2:3], off
	s_mov_b32 s24, 0
	s_mov_b32 s25, exec_lo
	s_wait_loadcnt 0x0
	v_cmpx_lt_i16_e32 0x7f, v6
	s_xor_b32 s25, exec_lo, s25
	s_cbranch_execz .LBB86_1356
; %bb.1337:
	s_mov_b32 s24, -1
	s_mov_b32 s26, exec_lo
	v_cmpx_eq_u16_e32 0x80, v6
; %bb.1338:
	s_xor_b32 s24, exec_lo, -1
; %bb.1339:
	s_or_b32 exec_lo, exec_lo, s26
	s_delay_alu instid0(SALU_CYCLE_1)
	s_and_b32 s24, s24, exec_lo
	s_or_saveexec_b32 s25, s25
	v_mov_b64_e32 v[4:5], 0x7ff8000020000000
	s_xor_b32 exec_lo, exec_lo, s25
	s_cbranch_execnz .LBB86_1357
.LBB86_1340:
	s_or_b32 exec_lo, exec_lo, s25
	s_and_saveexec_b32 s25, s24
	s_cbranch_execz .LBB86_1342
.LBB86_1341:
	v_and_b32_e32 v4, 0xffff, v6
	s_delay_alu instid0(VALU_DEP_1) | instskip(SKIP_1) | instid1(VALU_DEP_2)
	v_and_b32_e32 v5, 7, v4
	v_bfe_u32 v9, v4, 3, 4
	v_clz_i32_u32_e32 v7, v5
	s_delay_alu instid0(VALU_DEP_2) | instskip(NEXT) | instid1(VALU_DEP_2)
	v_cmp_eq_u32_e32 vcc_lo, 0, v9
	v_min_u32_e32 v7, 32, v7
	s_delay_alu instid0(VALU_DEP_1) | instskip(NEXT) | instid1(VALU_DEP_1)
	v_subrev_nc_u32_e32 v8, 28, v7
	v_dual_lshlrev_b32 v4, v8, v4 :: v_dual_sub_nc_u32 v7, 29, v7
	s_delay_alu instid0(VALU_DEP_1) | instskip(NEXT) | instid1(VALU_DEP_2)
	v_dual_lshlrev_b32 v6, 24, v6 :: v_dual_bitop2_b32 v4, 7, v4 bitop3:0x40
	v_cndmask_b32_e32 v7, v9, v7, vcc_lo
	s_delay_alu instid0(VALU_DEP_2) | instskip(NEXT) | instid1(VALU_DEP_3)
	v_cndmask_b32_e32 v4, v5, v4, vcc_lo
	v_and_b32_e32 v5, 0x80000000, v6
	s_delay_alu instid0(VALU_DEP_3) | instskip(NEXT) | instid1(VALU_DEP_3)
	v_lshl_add_u32 v6, v7, 23, 0x3b800000
	v_lshlrev_b32_e32 v4, 20, v4
	s_delay_alu instid0(VALU_DEP_1) | instskip(NEXT) | instid1(VALU_DEP_1)
	v_or3_b32 v4, v5, v6, v4
	v_cvt_f64_f32_e32 v[4:5], v4
.LBB86_1342:
	s_or_b32 exec_lo, exec_lo, s25
.LBB86_1343:
	s_mov_b32 s24, -1
.LBB86_1344:
	s_branch .LBB86_1377
.LBB86_1345:
	s_cmp_gt_i32 s21, 22
	s_cbranch_scc0 .LBB86_1355
; %bb.1346:
	s_cmp_lt_i32 s21, 24
	s_cbranch_scc1 .LBB86_1358
; %bb.1347:
	s_cmp_gt_i32 s21, 24
	s_cbranch_scc0 .LBB86_1359
; %bb.1348:
	global_load_u8 v6, v[2:3], off
	s_mov_b32 s24, exec_lo
	s_wait_loadcnt 0x0
	v_cmpx_lt_i16_e32 0x7f, v6
	s_xor_b32 s24, exec_lo, s24
	s_cbranch_execz .LBB86_1371
; %bb.1349:
	s_mov_b32 s23, -1
	s_mov_b32 s25, exec_lo
	v_cmpx_eq_u16_e32 0x80, v6
; %bb.1350:
	s_xor_b32 s23, exec_lo, -1
; %bb.1351:
	s_or_b32 exec_lo, exec_lo, s25
	s_delay_alu instid0(SALU_CYCLE_1)
	s_and_b32 s23, s23, exec_lo
	s_or_saveexec_b32 s24, s24
	v_mov_b64_e32 v[4:5], 0x7ff8000020000000
	s_xor_b32 exec_lo, exec_lo, s24
	s_cbranch_execnz .LBB86_1372
.LBB86_1352:
	s_or_b32 exec_lo, exec_lo, s24
	s_and_saveexec_b32 s24, s23
	s_cbranch_execz .LBB86_1354
.LBB86_1353:
	v_and_b32_e32 v4, 0xffff, v6
	s_delay_alu instid0(VALU_DEP_1) | instskip(SKIP_1) | instid1(VALU_DEP_2)
	v_and_b32_e32 v5, 3, v4
	v_bfe_u32 v9, v4, 2, 5
	v_clz_i32_u32_e32 v7, v5
	s_delay_alu instid0(VALU_DEP_2) | instskip(NEXT) | instid1(VALU_DEP_2)
	v_cmp_eq_u32_e32 vcc_lo, 0, v9
	v_min_u32_e32 v7, 32, v7
	s_delay_alu instid0(VALU_DEP_1) | instskip(NEXT) | instid1(VALU_DEP_1)
	v_subrev_nc_u32_e32 v8, 29, v7
	v_dual_lshlrev_b32 v4, v8, v4 :: v_dual_sub_nc_u32 v7, 30, v7
	s_delay_alu instid0(VALU_DEP_1) | instskip(NEXT) | instid1(VALU_DEP_2)
	v_dual_lshlrev_b32 v6, 24, v6 :: v_dual_bitop2_b32 v4, 3, v4 bitop3:0x40
	v_cndmask_b32_e32 v7, v9, v7, vcc_lo
	s_delay_alu instid0(VALU_DEP_2) | instskip(NEXT) | instid1(VALU_DEP_3)
	v_cndmask_b32_e32 v4, v5, v4, vcc_lo
	v_and_b32_e32 v5, 0x80000000, v6
	s_delay_alu instid0(VALU_DEP_3) | instskip(NEXT) | instid1(VALU_DEP_3)
	v_lshl_add_u32 v6, v7, 23, 0x37800000
	v_lshlrev_b32_e32 v4, 21, v4
	s_delay_alu instid0(VALU_DEP_1) | instskip(NEXT) | instid1(VALU_DEP_1)
	v_or3_b32 v4, v5, v6, v4
	v_cvt_f64_f32_e32 v[4:5], v4
.LBB86_1354:
	s_or_b32 exec_lo, exec_lo, s24
	s_mov_b32 s23, 0
	s_branch .LBB86_1360
.LBB86_1355:
	s_mov_b32 s23, -1
                                        ; implicit-def: $vgpr4_vgpr5
	s_branch .LBB86_1366
.LBB86_1356:
	s_or_saveexec_b32 s25, s25
	v_mov_b64_e32 v[4:5], 0x7ff8000020000000
	s_xor_b32 exec_lo, exec_lo, s25
	s_cbranch_execz .LBB86_1340
.LBB86_1357:
	v_cmp_ne_u16_e32 vcc_lo, 0, v6
	v_mov_b64_e32 v[4:5], 0
	s_and_not1_b32 s24, s24, exec_lo
	s_and_b32 s26, vcc_lo, exec_lo
	s_delay_alu instid0(SALU_CYCLE_1)
	s_or_b32 s24, s24, s26
	s_or_b32 exec_lo, exec_lo, s25
	s_and_saveexec_b32 s25, s24
	s_cbranch_execnz .LBB86_1341
	s_branch .LBB86_1342
.LBB86_1358:
	s_mov_b32 s23, -1
                                        ; implicit-def: $vgpr4_vgpr5
	s_branch .LBB86_1363
.LBB86_1359:
	s_mov_b32 s23, -1
                                        ; implicit-def: $vgpr4_vgpr5
.LBB86_1360:
	s_delay_alu instid0(SALU_CYCLE_1)
	s_and_b32 vcc_lo, exec_lo, s23
	s_cbranch_vccz .LBB86_1362
; %bb.1361:
	s_wait_loadcnt 0x0
	global_load_u8 v4, v[2:3], off
	s_wait_loadcnt 0x0
	v_lshlrev_b32_e32 v4, 24, v4
	s_delay_alu instid0(VALU_DEP_1) | instskip(NEXT) | instid1(VALU_DEP_1)
	v_and_b32_e32 v5, 0x7f000000, v4
	v_clz_i32_u32_e32 v6, v5
	v_cmp_ne_u32_e32 vcc_lo, 0, v5
	v_add_nc_u32_e32 v8, 0x1000000, v5
	s_delay_alu instid0(VALU_DEP_3) | instskip(NEXT) | instid1(VALU_DEP_1)
	v_min_u32_e32 v6, 32, v6
	v_sub_nc_u32_e64 v6, v6, 4 clamp
	s_delay_alu instid0(VALU_DEP_1) | instskip(NEXT) | instid1(VALU_DEP_1)
	v_dual_lshlrev_b32 v7, v6, v5 :: v_dual_lshlrev_b32 v6, 23, v6
	v_lshrrev_b32_e32 v7, 4, v7
	s_delay_alu instid0(VALU_DEP_1) | instskip(NEXT) | instid1(VALU_DEP_1)
	v_dual_sub_nc_u32 v6, v7, v6 :: v_dual_ashrrev_i32 v7, 8, v8
	v_add_nc_u32_e32 v6, 0x3c000000, v6
	s_delay_alu instid0(VALU_DEP_1) | instskip(NEXT) | instid1(VALU_DEP_1)
	v_and_or_b32 v6, 0x7f800000, v7, v6
	v_cndmask_b32_e32 v5, 0, v6, vcc_lo
	s_delay_alu instid0(VALU_DEP_1) | instskip(NEXT) | instid1(VALU_DEP_1)
	v_and_or_b32 v4, 0x80000000, v4, v5
	v_cvt_f64_f32_e32 v[4:5], v4
.LBB86_1362:
	s_mov_b32 s23, 0
.LBB86_1363:
	s_delay_alu instid0(SALU_CYCLE_1)
	s_and_not1_b32 vcc_lo, exec_lo, s23
	s_cbranch_vccnz .LBB86_1365
; %bb.1364:
	s_wait_loadcnt 0x0
	global_load_u8 v4, v[2:3], off
	s_wait_loadcnt 0x0
	v_lshlrev_b32_e32 v5, 25, v4
	v_lshlrev_b16 v4, 8, v4
	s_delay_alu instid0(VALU_DEP_1) | instskip(SKIP_1) | instid1(VALU_DEP_2)
	v_and_or_b32 v7, 0x7f00, v4, 0.5
	v_bfe_i32 v4, v4, 0, 16
	v_dual_add_f32 v7, -0.5, v7 :: v_dual_lshrrev_b32 v6, 4, v5
	v_cmp_gt_u32_e32 vcc_lo, 0x8000000, v5
	s_delay_alu instid0(VALU_DEP_2) | instskip(NEXT) | instid1(VALU_DEP_1)
	v_or_b32_e32 v6, 0x70000000, v6
	v_mul_f32_e32 v6, 0x7800000, v6
	s_delay_alu instid0(VALU_DEP_1) | instskip(NEXT) | instid1(VALU_DEP_1)
	v_cndmask_b32_e32 v5, v6, v7, vcc_lo
	v_and_or_b32 v4, 0x80000000, v4, v5
	s_delay_alu instid0(VALU_DEP_1)
	v_cvt_f64_f32_e32 v[4:5], v4
.LBB86_1365:
	s_mov_b32 s23, 0
	s_mov_b32 s24, -1
.LBB86_1366:
	s_and_not1_b32 vcc_lo, exec_lo, s23
	s_mov_b32 s23, 0
	s_cbranch_vccnz .LBB86_1377
; %bb.1367:
	s_cmp_gt_i32 s21, 14
	s_cbranch_scc0 .LBB86_1370
; %bb.1368:
	s_cmp_eq_u32 s21, 15
	s_cbranch_scc0 .LBB86_1373
; %bb.1369:
	s_wait_loadcnt 0x0
	global_load_u16 v4, v[2:3], off
	s_mov_b32 s22, 0
	s_mov_b32 s24, -1
	s_wait_loadcnt 0x0
	v_lshlrev_b32_e32 v4, 16, v4
	s_delay_alu instid0(VALU_DEP_1)
	v_cvt_f64_f32_e32 v[4:5], v4
	s_branch .LBB86_1375
.LBB86_1370:
	s_mov_b32 s23, -1
	s_branch .LBB86_1374
.LBB86_1371:
	s_or_saveexec_b32 s24, s24
	v_mov_b64_e32 v[4:5], 0x7ff8000020000000
	s_xor_b32 exec_lo, exec_lo, s24
	s_cbranch_execz .LBB86_1352
.LBB86_1372:
	v_cmp_ne_u16_e32 vcc_lo, 0, v6
	v_mov_b64_e32 v[4:5], 0
	s_and_not1_b32 s23, s23, exec_lo
	s_and_b32 s25, vcc_lo, exec_lo
	s_delay_alu instid0(SALU_CYCLE_1)
	s_or_b32 s23, s23, s25
	s_or_b32 exec_lo, exec_lo, s24
	s_and_saveexec_b32 s24, s23
	s_cbranch_execnz .LBB86_1353
	s_branch .LBB86_1354
.LBB86_1373:
	s_mov_b32 s22, -1
.LBB86_1374:
                                        ; implicit-def: $vgpr4_vgpr5
.LBB86_1375:
	s_and_b32 vcc_lo, exec_lo, s23
	s_mov_b32 s23, 0
	s_cbranch_vccz .LBB86_1377
; %bb.1376:
	s_cmp_lg_u32 s21, 11
	s_mov_b32 s23, -1
	s_cselect_b32 s21, -1, 0
	s_and_not1_b32 s22, s22, exec_lo
	s_and_b32 s21, s21, exec_lo
	s_delay_alu instid0(SALU_CYCLE_1)
	s_or_b32 s22, s22, s21
.LBB86_1377:
	s_mov_b32 s25, 0
.LBB86_1378:
	s_and_b32 s21, s24, exec_lo
	s_and_not1_b32 s20, s20, exec_lo
	s_and_b32 s24, s22, exec_lo
	s_and_b32 s25, s25, exec_lo
	;; [unrolled: 1-line block ×3, first 2 shown]
	s_or_b32 s20, s20, s24
	s_wait_xcnt 0x0
	s_or_b32 exec_lo, exec_lo, s19
	s_and_saveexec_b32 s19, s20
	s_cbranch_execz .LBB86_1307
.LBB86_1379:
	s_or_b32 s1, s1, exec_lo
	s_and_not1_b32 s22, s22, exec_lo
	s_trap 2
	s_or_b32 exec_lo, exec_lo, s19
	s_and_saveexec_b32 s19, s22
	s_delay_alu instid0(SALU_CYCLE_1)
	s_xor_b32 s19, exec_lo, s19
	s_cbranch_execnz .LBB86_1308
.LBB86_1380:
	s_or_b32 exec_lo, exec_lo, s19
	s_and_saveexec_b32 s19, s25
	s_cbranch_execz .LBB86_1426
.LBB86_1381:
	s_sext_i32_i16 s20, s2
	s_delay_alu instid0(SALU_CYCLE_1)
	s_cmp_lt_i32 s20, 5
	s_cbranch_scc1 .LBB86_1386
; %bb.1382:
	s_cmp_lt_i32 s20, 8
	s_cbranch_scc1 .LBB86_1387
; %bb.1383:
	;; [unrolled: 3-line block ×3, first 2 shown]
	s_cmp_gt_i32 s20, 9
	s_cbranch_scc0 .LBB86_1389
; %bb.1385:
	s_wait_loadcnt 0x0
	global_load_b64 v[4:5], v[2:3], off
	s_mov_b32 s20, 0
	s_branch .LBB86_1390
.LBB86_1386:
                                        ; implicit-def: $vgpr4_vgpr5
	s_branch .LBB86_1407
.LBB86_1387:
                                        ; implicit-def: $vgpr4_vgpr5
	s_branch .LBB86_1396
.LBB86_1388:
	s_mov_b32 s20, -1
                                        ; implicit-def: $vgpr4_vgpr5
	s_branch .LBB86_1393
.LBB86_1389:
	s_mov_b32 s20, -1
                                        ; implicit-def: $vgpr4_vgpr5
.LBB86_1390:
	s_delay_alu instid0(SALU_CYCLE_1)
	s_and_not1_b32 vcc_lo, exec_lo, s20
	s_cbranch_vccnz .LBB86_1392
; %bb.1391:
	s_wait_loadcnt 0x0
	global_load_b32 v4, v[2:3], off
	s_wait_loadcnt 0x0
	v_cvt_f64_f32_e32 v[4:5], v4
.LBB86_1392:
	s_mov_b32 s20, 0
.LBB86_1393:
	s_delay_alu instid0(SALU_CYCLE_1)
	s_and_not1_b32 vcc_lo, exec_lo, s20
	s_cbranch_vccnz .LBB86_1395
; %bb.1394:
	s_wait_loadcnt 0x0
	global_load_b32 v4, v[2:3], off
	s_wait_loadcnt 0x0
	v_cvt_f32_f16_e32 v4, v4
	s_delay_alu instid0(VALU_DEP_1)
	v_cvt_f64_f32_e32 v[4:5], v4
.LBB86_1395:
	s_cbranch_execnz .LBB86_1406
.LBB86_1396:
	s_sext_i32_i16 s20, s2
	s_delay_alu instid0(SALU_CYCLE_1)
	s_cmp_lt_i32 s20, 6
	s_cbranch_scc1 .LBB86_1399
; %bb.1397:
	s_cmp_gt_i32 s20, 6
	s_cbranch_scc0 .LBB86_1400
; %bb.1398:
	s_wait_loadcnt 0x0
	global_load_b64 v[4:5], v[2:3], off
	s_mov_b32 s20, 0
	s_branch .LBB86_1401
.LBB86_1399:
	s_mov_b32 s20, -1
                                        ; implicit-def: $vgpr4_vgpr5
	s_branch .LBB86_1404
.LBB86_1400:
	s_mov_b32 s20, -1
                                        ; implicit-def: $vgpr4_vgpr5
.LBB86_1401:
	s_delay_alu instid0(SALU_CYCLE_1)
	s_and_not1_b32 vcc_lo, exec_lo, s20
	s_cbranch_vccnz .LBB86_1403
; %bb.1402:
	s_wait_loadcnt 0x0
	global_load_b32 v4, v[2:3], off
	s_wait_loadcnt 0x0
	v_cvt_f64_f32_e32 v[4:5], v4
.LBB86_1403:
	s_mov_b32 s20, 0
.LBB86_1404:
	s_delay_alu instid0(SALU_CYCLE_1)
	s_and_not1_b32 vcc_lo, exec_lo, s20
	s_cbranch_vccnz .LBB86_1406
; %bb.1405:
	s_wait_loadcnt 0x0
	global_load_u16 v4, v[2:3], off
	s_wait_loadcnt 0x0
	v_cvt_f32_f16_e32 v4, v4
	s_delay_alu instid0(VALU_DEP_1)
	v_cvt_f64_f32_e32 v[4:5], v4
.LBB86_1406:
	s_cbranch_execnz .LBB86_1425
.LBB86_1407:
	s_sext_i32_i16 s20, s2
	s_delay_alu instid0(SALU_CYCLE_1)
	s_cmp_lt_i32 s20, 2
	s_cbranch_scc1 .LBB86_1411
; %bb.1408:
	s_cmp_lt_i32 s20, 3
	s_cbranch_scc1 .LBB86_1412
; %bb.1409:
	s_cmp_gt_i32 s20, 3
	s_cbranch_scc0 .LBB86_1413
; %bb.1410:
	s_wait_loadcnt 0x0
	global_load_b64 v[4:5], v[2:3], off
	s_mov_b32 s20, 0
	s_wait_loadcnt 0x0
	v_cvt_f64_i32_e32 v[6:7], v5
	v_cvt_f64_u32_e32 v[4:5], v4
	s_delay_alu instid0(VALU_DEP_2) | instskip(NEXT) | instid1(VALU_DEP_1)
	v_ldexp_f64 v[6:7], v[6:7], 32
	v_add_f64_e32 v[4:5], v[6:7], v[4:5]
	s_branch .LBB86_1414
.LBB86_1411:
                                        ; implicit-def: $vgpr4_vgpr5
	s_branch .LBB86_1420
.LBB86_1412:
	s_mov_b32 s20, -1
                                        ; implicit-def: $vgpr4_vgpr5
	s_branch .LBB86_1417
.LBB86_1413:
	s_mov_b32 s20, -1
                                        ; implicit-def: $vgpr4_vgpr5
.LBB86_1414:
	s_delay_alu instid0(SALU_CYCLE_1)
	s_and_not1_b32 vcc_lo, exec_lo, s20
	s_cbranch_vccnz .LBB86_1416
; %bb.1415:
	s_wait_loadcnt 0x0
	global_load_b32 v4, v[2:3], off
	s_wait_loadcnt 0x0
	v_cvt_f64_i32_e32 v[4:5], v4
.LBB86_1416:
	s_mov_b32 s20, 0
.LBB86_1417:
	s_delay_alu instid0(SALU_CYCLE_1)
	s_and_not1_b32 vcc_lo, exec_lo, s20
	s_cbranch_vccnz .LBB86_1419
; %bb.1418:
	s_wait_loadcnt 0x0
	global_load_i16 v4, v[2:3], off
	s_wait_loadcnt 0x0
	v_cvt_f64_i32_e32 v[4:5], v4
.LBB86_1419:
	s_cbranch_execnz .LBB86_1425
.LBB86_1420:
	s_sext_i32_i16 s2, s2
	s_delay_alu instid0(SALU_CYCLE_1)
	s_cmp_gt_i32 s2, 0
	s_mov_b32 s2, 0
	s_cbranch_scc0 .LBB86_1422
; %bb.1421:
	s_wait_loadcnt 0x0
	global_load_i8 v4, v[2:3], off
	s_wait_loadcnt 0x0
	v_cvt_f64_i32_e32 v[4:5], v4
	s_branch .LBB86_1423
.LBB86_1422:
	s_mov_b32 s2, -1
                                        ; implicit-def: $vgpr4_vgpr5
.LBB86_1423:
	s_delay_alu instid0(SALU_CYCLE_1)
	s_and_not1_b32 vcc_lo, exec_lo, s2
	s_cbranch_vccnz .LBB86_1425
; %bb.1424:
	global_load_u8 v2, v[2:3], off
	s_wait_loadcnt 0x0
	v_cvt_f64_u32_e32 v[4:5], v2
.LBB86_1425:
	s_or_b32 s21, s21, exec_lo
.LBB86_1426:
	s_wait_xcnt 0x0
	s_or_b32 exec_lo, exec_lo, s19
	s_mov_b32 s23, 0
	s_mov_b32 s22, 0
                                        ; implicit-def: $sgpr2
                                        ; implicit-def: $sgpr19
                                        ; implicit-def: $vgpr2_vgpr3
	s_and_saveexec_b32 s20, s21
	s_cbranch_execz .LBB86_1434
; %bb.1427:
	s_wait_loadcnt 0x0
	s_delay_alu instid0(VALU_DEP_1) | instskip(SKIP_2) | instid1(SALU_CYCLE_1)
	v_cmp_eq_f64_e32 vcc_lo, v[0:1], v[4:5]
	v_mul_lo_u32 v2, v18, s8
	s_and_b32 s19, s3, 0xff
	s_cmp_lt_i32 s19, 11
	v_cndmask_b32_e64 v3, 0, 1, vcc_lo
	v_cmp_neq_f64_e32 vcc_lo, v[0:1], v[4:5]
	v_cndmask_b32_e64 v0, 0, 1, vcc_lo
	s_delay_alu instid0(VALU_DEP_1) | instskip(NEXT) | instid1(VALU_DEP_1)
	v_dual_cndmask_b32 v0, v0, v3, s0 :: v_dual_ashrrev_i32 v3, 31, v2
	v_and_b32_e32 v0, 1, v0
	s_delay_alu instid0(VALU_DEP_2) | instskip(NEXT) | instid1(VALU_DEP_2)
	v_add_nc_u64_e32 v[2:3], s[4:5], v[2:3]
	v_cmp_eq_u32_e64 s2, 1, v0
	s_cbranch_scc1 .LBB86_1437
; %bb.1428:
	s_and_b32 s21, 0xffff, s19
	s_mov_b32 s22, -1
	s_cmp_gt_i32 s21, 25
	s_mov_b32 s0, s18
	s_cbranch_scc0 .LBB86_1465
; %bb.1429:
	s_cmp_gt_i32 s21, 28
	s_mov_b32 s0, s18
	s_cbranch_scc0 .LBB86_1449
; %bb.1430:
	;; [unrolled: 4-line block ×4, first 2 shown]
	s_cmp_eq_u32 s21, 46
	s_mov_b32 s0, -1
	s_cbranch_scc0 .LBB86_1438
; %bb.1433:
	v_cndmask_b32_e64 v0, 0, 1.0, s2
	s_mov_b32 s0, 0
	s_mov_b32 s22, 0
	s_delay_alu instid0(VALU_DEP_1) | instskip(NEXT) | instid1(VALU_DEP_1)
	v_bfe_u32 v1, v0, 16, 1
	v_add3_u32 v0, v0, v1, 0x7fff
	s_delay_alu instid0(VALU_DEP_1)
	v_lshrrev_b32_e32 v0, 16, v0
	global_store_b32 v[2:3], v0, off
	s_branch .LBB86_1439
.LBB86_1434:
	s_or_b32 exec_lo, exec_lo, s20
	s_and_saveexec_b32 s0, s18
	s_cbranch_execnz .LBB86_1507
.LBB86_1435:
	s_or_b32 exec_lo, exec_lo, s0
	s_and_saveexec_b32 s0, s23
	s_delay_alu instid0(SALU_CYCLE_1)
	s_xor_b32 s0, exec_lo, s0
	s_cbranch_execz .LBB86_1508
.LBB86_1436:
	s_wait_loadcnt 0x0
	v_cndmask_b32_e64 v0, 0, 1, s2
	global_store_b8 v[2:3], v0, off
	s_wait_xcnt 0x0
	s_or_b32 exec_lo, exec_lo, s0
	s_and_saveexec_b32 s0, s22
	s_delay_alu instid0(SALU_CYCLE_1)
	s_xor_b32 s0, exec_lo, s0
	s_cbranch_execz .LBB86_1546
	s_branch .LBB86_1509
.LBB86_1437:
	s_mov_b32 s22, -1
	s_mov_b32 s0, s18
	s_branch .LBB86_1506
.LBB86_1438:
	s_mov_b32 s22, 0
.LBB86_1439:
	s_delay_alu instid0(SALU_CYCLE_1)
	s_and_b32 vcc_lo, exec_lo, s22
	s_cbranch_vccz .LBB86_1444
; %bb.1440:
	s_cmp_eq_u32 s21, 44
	s_mov_b32 s0, -1
	s_cbranch_scc0 .LBB86_1444
; %bb.1441:
	v_cndmask_b32_e64 v4, 0, 1.0, s2
	s_mov_b32 s22, exec_lo
	s_wait_xcnt 0x0
	s_delay_alu instid0(VALU_DEP_1) | instskip(NEXT) | instid1(VALU_DEP_1)
	v_dual_mov_b32 v1, 0xff :: v_dual_lshrrev_b32 v0, 23, v4
	v_cmpx_ne_u32_e32 0xff, v0
; %bb.1442:
	v_and_b32_e32 v1, 0x400000, v4
	v_and_or_b32 v4, 0x3fffff, v4, v0
	s_delay_alu instid0(VALU_DEP_2) | instskip(NEXT) | instid1(VALU_DEP_2)
	v_cmp_ne_u32_e32 vcc_lo, 0, v1
	v_cmp_ne_u32_e64 s0, 0, v4
	s_and_b32 s0, vcc_lo, s0
	s_delay_alu instid0(SALU_CYCLE_1) | instskip(NEXT) | instid1(VALU_DEP_1)
	v_cndmask_b32_e64 v1, 0, 1, s0
	v_add_nc_u32_e32 v1, v0, v1
; %bb.1443:
	s_or_b32 exec_lo, exec_lo, s22
	s_mov_b32 s0, 0
	global_store_b8 v[2:3], v1, off
.LBB86_1444:
	s_mov_b32 s22, 0
.LBB86_1445:
	s_delay_alu instid0(SALU_CYCLE_1)
	s_and_b32 vcc_lo, exec_lo, s22
	s_cbranch_vccz .LBB86_1448
; %bb.1446:
	s_cmp_eq_u32 s21, 29
	s_mov_b32 s0, -1
	s_cbranch_scc0 .LBB86_1448
; %bb.1447:
	s_mov_b32 s0, 0
	s_wait_xcnt 0x0
	v_cndmask_b32_e64 v0, 0, 1, s2
	v_mov_b32_e32 v1, s0
	s_mov_b32 s22, 0
	global_store_b64 v[2:3], v[0:1], off
	s_branch .LBB86_1449
.LBB86_1448:
	s_mov_b32 s22, 0
.LBB86_1449:
	s_delay_alu instid0(SALU_CYCLE_1)
	s_and_b32 vcc_lo, exec_lo, s22
	s_cbranch_vccz .LBB86_1464
; %bb.1450:
	s_cmp_lt_i32 s21, 27
	s_mov_b32 s22, -1
	s_cbranch_scc1 .LBB86_1456
; %bb.1451:
	s_wait_xcnt 0x0
	v_cndmask_b32_e64 v0, 0, 1, s2
	s_cmp_gt_i32 s21, 27
	s_cbranch_scc0 .LBB86_1453
; %bb.1452:
	s_mov_b32 s22, 0
	global_store_b32 v[2:3], v0, off
.LBB86_1453:
	s_and_not1_b32 vcc_lo, exec_lo, s22
	s_cbranch_vccnz .LBB86_1455
; %bb.1454:
	global_store_b16 v[2:3], v0, off
.LBB86_1455:
	s_mov_b32 s22, 0
.LBB86_1456:
	s_delay_alu instid0(SALU_CYCLE_1)
	s_and_not1_b32 vcc_lo, exec_lo, s22
	s_cbranch_vccnz .LBB86_1464
; %bb.1457:
	s_wait_xcnt 0x0
	v_cndmask_b32_e64 v1, 0, 1.0, s2
	v_mov_b32_e32 v4, 0x80
	s_mov_b32 s22, exec_lo
	s_delay_alu instid0(VALU_DEP_2)
	v_cmpx_gt_u32_e32 0x43800000, v1
	s_cbranch_execz .LBB86_1463
; %bb.1458:
	s_mov_b32 s24, exec_lo
                                        ; implicit-def: $vgpr0
	v_cmpx_lt_u32_e32 0x3bffffff, v1
	s_xor_b32 s24, exec_lo, s24
	s_cbranch_execz .LBB86_1561
; %bb.1459:
	v_bfe_u32 v0, v1, 20, 1
	s_mov_b32 s23, exec_lo
	s_delay_alu instid0(VALU_DEP_1) | instskip(NEXT) | instid1(VALU_DEP_1)
	v_add3_u32 v0, v1, v0, 0x487ffff
                                        ; implicit-def: $vgpr1
	v_lshrrev_b32_e32 v0, 20, v0
	s_and_not1_saveexec_b32 s24, s24
	s_cbranch_execnz .LBB86_1562
.LBB86_1460:
	s_or_b32 exec_lo, exec_lo, s24
	v_mov_b32_e32 v4, 0
	s_and_saveexec_b32 s24, s23
.LBB86_1461:
	v_mov_b32_e32 v4, v0
.LBB86_1462:
	s_or_b32 exec_lo, exec_lo, s24
.LBB86_1463:
	s_delay_alu instid0(SALU_CYCLE_1)
	s_or_b32 exec_lo, exec_lo, s22
	global_store_b8 v[2:3], v4, off
.LBB86_1464:
	s_mov_b32 s22, 0
.LBB86_1465:
	s_delay_alu instid0(SALU_CYCLE_1)
	s_and_b32 vcc_lo, exec_lo, s22
	s_mov_b32 s22, 0
	s_cbranch_vccz .LBB86_1505
; %bb.1466:
	s_cmp_gt_i32 s21, 22
	s_mov_b32 s23, -1
	s_cbranch_scc0 .LBB86_1498
; %bb.1467:
	s_cmp_lt_i32 s21, 24
	s_cbranch_scc1 .LBB86_1487
; %bb.1468:
	s_cmp_gt_i32 s21, 24
	s_cbranch_scc0 .LBB86_1476
; %bb.1469:
	s_wait_xcnt 0x0
	v_cndmask_b32_e64 v1, 0, 1.0, s2
	v_mov_b32_e32 v4, 0x80
	s_mov_b32 s23, exec_lo
	s_delay_alu instid0(VALU_DEP_2)
	v_cmpx_gt_u32_e32 0x47800000, v1
	s_cbranch_execz .LBB86_1475
; %bb.1470:
	s_mov_b32 s24, 0
	s_mov_b32 s25, exec_lo
                                        ; implicit-def: $vgpr0
	v_cmpx_lt_u32_e32 0x37ffffff, v1
	s_xor_b32 s25, exec_lo, s25
	s_cbranch_execz .LBB86_1687
; %bb.1471:
	v_bfe_u32 v0, v1, 21, 1
	s_mov_b32 s24, exec_lo
	s_delay_alu instid0(VALU_DEP_1) | instskip(NEXT) | instid1(VALU_DEP_1)
	v_add3_u32 v0, v1, v0, 0x88fffff
                                        ; implicit-def: $vgpr1
	v_lshrrev_b32_e32 v0, 21, v0
	s_and_not1_saveexec_b32 s25, s25
	s_cbranch_execnz .LBB86_1688
.LBB86_1472:
	s_or_b32 exec_lo, exec_lo, s25
	v_mov_b32_e32 v4, 0
	s_and_saveexec_b32 s25, s24
.LBB86_1473:
	v_mov_b32_e32 v4, v0
.LBB86_1474:
	s_or_b32 exec_lo, exec_lo, s25
.LBB86_1475:
	s_delay_alu instid0(SALU_CYCLE_1)
	s_or_b32 exec_lo, exec_lo, s23
	s_mov_b32 s23, 0
	global_store_b8 v[2:3], v4, off
.LBB86_1476:
	s_and_b32 vcc_lo, exec_lo, s23
	s_cbranch_vccz .LBB86_1486
; %bb.1477:
	s_wait_xcnt 0x0
	v_cndmask_b32_e64 v1, 0, 1.0, s2
	s_mov_b32 s23, exec_lo
                                        ; implicit-def: $vgpr0
	s_delay_alu instid0(VALU_DEP_1)
	v_cmpx_gt_u32_e32 0x43f00000, v1
	s_xor_b32 s23, exec_lo, s23
	s_cbranch_execz .LBB86_1483
; %bb.1478:
	s_mov_b32 s24, exec_lo
                                        ; implicit-def: $vgpr0
	v_cmpx_lt_u32_e32 0x3c7fffff, v1
	s_xor_b32 s24, exec_lo, s24
; %bb.1479:
	v_bfe_u32 v0, v1, 20, 1
	s_delay_alu instid0(VALU_DEP_1) | instskip(NEXT) | instid1(VALU_DEP_1)
	v_add3_u32 v0, v1, v0, 0x407ffff
	v_and_b32_e32 v1, 0xff00000, v0
	v_lshrrev_b32_e32 v0, 20, v0
	s_delay_alu instid0(VALU_DEP_2) | instskip(NEXT) | instid1(VALU_DEP_2)
	v_cmp_ne_u32_e32 vcc_lo, 0x7f00000, v1
                                        ; implicit-def: $vgpr1
	v_cndmask_b32_e32 v0, 0x7e, v0, vcc_lo
; %bb.1480:
	s_and_not1_saveexec_b32 s24, s24
; %bb.1481:
	v_add_f32_e32 v0, 0x46800000, v1
; %bb.1482:
	s_or_b32 exec_lo, exec_lo, s24
                                        ; implicit-def: $vgpr1
.LBB86_1483:
	s_and_not1_saveexec_b32 s23, s23
; %bb.1484:
	v_mov_b32_e32 v0, 0x7f
	v_cmp_lt_u32_e32 vcc_lo, 0x7f800000, v1
	s_delay_alu instid0(VALU_DEP_2)
	v_cndmask_b32_e32 v0, 0x7e, v0, vcc_lo
; %bb.1485:
	s_or_b32 exec_lo, exec_lo, s23
	global_store_b8 v[2:3], v0, off
.LBB86_1486:
	s_mov_b32 s23, 0
.LBB86_1487:
	s_delay_alu instid0(SALU_CYCLE_1)
	s_and_not1_b32 vcc_lo, exec_lo, s23
	s_cbranch_vccnz .LBB86_1497
; %bb.1488:
	s_wait_xcnt 0x0
	v_cndmask_b32_e64 v1, 0, 1.0, s2
	s_mov_b32 s23, exec_lo
                                        ; implicit-def: $vgpr0
	s_delay_alu instid0(VALU_DEP_1)
	v_cmpx_gt_u32_e32 0x47800000, v1
	s_xor_b32 s23, exec_lo, s23
	s_cbranch_execz .LBB86_1494
; %bb.1489:
	s_mov_b32 s24, exec_lo
                                        ; implicit-def: $vgpr0
	v_cmpx_lt_u32_e32 0x387fffff, v1
	s_xor_b32 s24, exec_lo, s24
; %bb.1490:
	v_bfe_u32 v0, v1, 21, 1
	s_delay_alu instid0(VALU_DEP_1) | instskip(NEXT) | instid1(VALU_DEP_1)
	v_add3_u32 v0, v1, v0, 0x80fffff
                                        ; implicit-def: $vgpr1
	v_lshrrev_b32_e32 v0, 21, v0
; %bb.1491:
	s_and_not1_saveexec_b32 s24, s24
; %bb.1492:
	v_add_f32_e32 v0, 0x43000000, v1
; %bb.1493:
	s_or_b32 exec_lo, exec_lo, s24
                                        ; implicit-def: $vgpr1
.LBB86_1494:
	s_and_not1_saveexec_b32 s23, s23
; %bb.1495:
	v_mov_b32_e32 v0, 0x7f
	v_cmp_lt_u32_e32 vcc_lo, 0x7f800000, v1
	s_delay_alu instid0(VALU_DEP_2)
	v_cndmask_b32_e32 v0, 0x7c, v0, vcc_lo
; %bb.1496:
	s_or_b32 exec_lo, exec_lo, s23
	global_store_b8 v[2:3], v0, off
.LBB86_1497:
	s_mov_b32 s23, 0
.LBB86_1498:
	s_delay_alu instid0(SALU_CYCLE_1)
	s_and_not1_b32 vcc_lo, exec_lo, s23
	s_mov_b32 s23, 0
	s_cbranch_vccnz .LBB86_1506
; %bb.1499:
	s_cmp_gt_i32 s21, 14
	s_mov_b32 s23, -1
	s_cbranch_scc0 .LBB86_1503
; %bb.1500:
	s_cmp_eq_u32 s21, 15
	s_mov_b32 s0, -1
	s_cbranch_scc0 .LBB86_1502
; %bb.1501:
	s_wait_xcnt 0x0
	v_cndmask_b32_e64 v0, 0, 1.0, s2
	s_mov_b32 s0, 0
	s_delay_alu instid0(VALU_DEP_1) | instskip(NEXT) | instid1(VALU_DEP_1)
	v_bfe_u32 v1, v0, 16, 1
	v_add3_u32 v0, v0, v1, 0x7fff
	global_store_d16_hi_b16 v[2:3], v0, off
.LBB86_1502:
	s_mov_b32 s23, 0
.LBB86_1503:
	s_delay_alu instid0(SALU_CYCLE_1)
	s_and_b32 vcc_lo, exec_lo, s23
	s_mov_b32 s23, 0
	s_cbranch_vccz .LBB86_1506
; %bb.1504:
	s_cmp_lg_u32 s21, 11
	s_mov_b32 s23, -1
	s_cselect_b32 s21, -1, 0
	s_and_not1_b32 s0, s0, exec_lo
	s_and_b32 s21, s21, exec_lo
	s_delay_alu instid0(SALU_CYCLE_1)
	s_or_b32 s0, s0, s21
	s_branch .LBB86_1506
.LBB86_1505:
	s_mov_b32 s23, 0
.LBB86_1506:
	s_and_not1_b32 s18, s18, exec_lo
	s_and_b32 s0, s0, exec_lo
	s_and_b32 s22, s22, exec_lo
	;; [unrolled: 1-line block ×3, first 2 shown]
	s_or_b32 s18, s18, s0
	s_wait_xcnt 0x0
	s_or_b32 exec_lo, exec_lo, s20
	s_and_saveexec_b32 s0, s18
	s_cbranch_execz .LBB86_1435
.LBB86_1507:
	s_or_b32 s1, s1, exec_lo
	s_and_not1_b32 s23, s23, exec_lo
	s_trap 2
	s_or_b32 exec_lo, exec_lo, s0
	s_and_saveexec_b32 s0, s23
	s_delay_alu instid0(SALU_CYCLE_1)
	s_xor_b32 s0, exec_lo, s0
	s_cbranch_execnz .LBB86_1436
.LBB86_1508:
	s_or_b32 exec_lo, exec_lo, s0
	s_and_saveexec_b32 s0, s22
	s_delay_alu instid0(SALU_CYCLE_1)
	s_xor_b32 s0, exec_lo, s0
	s_cbranch_execz .LBB86_1546
.LBB86_1509:
	s_sext_i32_i16 s20, s19
	s_mov_b32 s18, -1
	s_cmp_lt_i32 s20, 5
	s_cbranch_scc1 .LBB86_1530
; %bb.1510:
	s_cmp_lt_i32 s20, 8
	s_cbranch_scc1 .LBB86_1520
; %bb.1511:
	;; [unrolled: 3-line block ×3, first 2 shown]
	s_cmp_gt_i32 s20, 9
	s_cbranch_scc0 .LBB86_1514
; %bb.1513:
	s_wait_loadcnt 0x0
	v_cndmask_b32_e64 v0, 0, 1, s2
	v_mov_b32_e32 v6, 0
	s_mov_b32 s18, 0
	s_delay_alu instid0(VALU_DEP_2) | instskip(NEXT) | instid1(VALU_DEP_2)
	v_cvt_f64_u32_e32 v[4:5], v0
	v_mov_b32_e32 v7, v6
	global_store_b128 v[2:3], v[4:7], off
.LBB86_1514:
	s_and_not1_b32 vcc_lo, exec_lo, s18
	s_cbranch_vccnz .LBB86_1516
; %bb.1515:
	s_wait_loadcnt 0x0
	v_cndmask_b32_e64 v0, 0, 1.0, s2
	v_mov_b32_e32 v1, 0
	global_store_b64 v[2:3], v[0:1], off
.LBB86_1516:
	s_mov_b32 s18, 0
.LBB86_1517:
	s_delay_alu instid0(SALU_CYCLE_1)
	s_and_not1_b32 vcc_lo, exec_lo, s18
	s_cbranch_vccnz .LBB86_1519
; %bb.1518:
	s_wait_loadcnt 0x0
	v_cndmask_b32_e64 v0, 0, 1.0, s2
	s_delay_alu instid0(VALU_DEP_1) | instskip(NEXT) | instid1(VALU_DEP_1)
	v_cvt_f16_f32_e32 v0, v0
	v_and_b32_e32 v0, 0xffff, v0
	global_store_b32 v[2:3], v0, off
.LBB86_1519:
	s_mov_b32 s18, 0
.LBB86_1520:
	s_delay_alu instid0(SALU_CYCLE_1)
	s_and_not1_b32 vcc_lo, exec_lo, s18
	s_cbranch_vccnz .LBB86_1529
; %bb.1521:
	s_sext_i32_i16 s20, s19
	s_mov_b32 s18, -1
	s_cmp_lt_i32 s20, 6
	s_cbranch_scc1 .LBB86_1527
; %bb.1522:
	s_cmp_gt_i32 s20, 6
	s_cbranch_scc0 .LBB86_1524
; %bb.1523:
	s_wait_loadcnt 0x0
	v_cndmask_b32_e64 v0, 0, 1, s2
	s_mov_b32 s18, 0
	s_delay_alu instid0(VALU_DEP_1)
	v_cvt_f64_u32_e32 v[0:1], v0
	global_store_b64 v[2:3], v[0:1], off
.LBB86_1524:
	s_and_not1_b32 vcc_lo, exec_lo, s18
	s_cbranch_vccnz .LBB86_1526
; %bb.1525:
	s_wait_loadcnt 0x0
	v_cndmask_b32_e64 v0, 0, 1.0, s2
	global_store_b32 v[2:3], v0, off
.LBB86_1526:
	s_mov_b32 s18, 0
.LBB86_1527:
	s_delay_alu instid0(SALU_CYCLE_1)
	s_and_not1_b32 vcc_lo, exec_lo, s18
	s_cbranch_vccnz .LBB86_1529
; %bb.1528:
	s_wait_loadcnt 0x0
	v_cndmask_b32_e64 v0, 0, 1.0, s2
	s_delay_alu instid0(VALU_DEP_1)
	v_cvt_f16_f32_e32 v0, v0
	global_store_b16 v[2:3], v0, off
.LBB86_1529:
	s_mov_b32 s18, 0
.LBB86_1530:
	s_delay_alu instid0(SALU_CYCLE_1)
	s_and_not1_b32 vcc_lo, exec_lo, s18
	s_cbranch_vccnz .LBB86_1546
; %bb.1531:
	s_sext_i32_i16 s20, s19
	s_mov_b32 s18, -1
	s_cmp_lt_i32 s20, 2
	s_cbranch_scc1 .LBB86_1541
; %bb.1532:
	s_cmp_lt_i32 s20, 3
	s_cbranch_scc1 .LBB86_1538
; %bb.1533:
	s_cmp_gt_i32 s20, 3
	s_cbranch_scc0 .LBB86_1535
; %bb.1534:
	s_mov_b32 s18, 0
	s_wait_loadcnt 0x0
	v_cndmask_b32_e64 v0, 0, 1, s2
	v_mov_b32_e32 v1, s18
	global_store_b64 v[2:3], v[0:1], off
.LBB86_1535:
	s_and_not1_b32 vcc_lo, exec_lo, s18
	s_cbranch_vccnz .LBB86_1537
; %bb.1536:
	s_wait_loadcnt 0x0
	v_cndmask_b32_e64 v0, 0, 1, s2
	global_store_b32 v[2:3], v0, off
.LBB86_1537:
	s_mov_b32 s18, 0
.LBB86_1538:
	s_delay_alu instid0(SALU_CYCLE_1)
	s_and_not1_b32 vcc_lo, exec_lo, s18
	s_cbranch_vccnz .LBB86_1540
; %bb.1539:
	s_wait_loadcnt 0x0
	v_cndmask_b32_e64 v0, 0, 1, s2
	global_store_b16 v[2:3], v0, off
.LBB86_1540:
	s_mov_b32 s18, 0
.LBB86_1541:
	s_delay_alu instid0(SALU_CYCLE_1)
	s_and_not1_b32 vcc_lo, exec_lo, s18
	s_cbranch_vccnz .LBB86_1546
; %bb.1542:
	s_wait_loadcnt 0x0
	v_cndmask_b32_e64 v0, 0, 1, s2
	s_sext_i32_i16 s18, s19
	s_mov_b32 s2, -1
	s_cmp_gt_i32 s18, 0
	s_cbranch_scc0 .LBB86_1544
; %bb.1543:
	s_mov_b32 s2, 0
	global_store_b8 v[2:3], v0, off
.LBB86_1544:
	s_and_not1_b32 vcc_lo, exec_lo, s2
	s_cbranch_vccnz .LBB86_1546
; %bb.1545:
	global_store_b8 v[2:3], v0, off
.LBB86_1546:
	s_wait_xcnt 0x0
	s_or_b32 exec_lo, exec_lo, s0
	s_delay_alu instid0(SALU_CYCLE_1)
	s_and_b32 s18, s1, exec_lo
                                        ; implicit-def: $vgpr18
.LBB86_1547:
	s_or_saveexec_b32 s17, s17
	s_mov_b32 s0, 0
                                        ; implicit-def: $sgpr1
                                        ; implicit-def: $sgpr19
                                        ; implicit-def: $vgpr0_vgpr1
	s_xor_b32 exec_lo, exec_lo, s17
	s_cbranch_execz .LBB86_3024
; %bb.1548:
	s_wait_loadcnt 0x0
	v_mul_lo_u32 v4, s9, v18
	s_and_b32 s0, s16, 0xff
	s_delay_alu instid0(SALU_CYCLE_1) | instskip(NEXT) | instid1(VALU_DEP_1)
	s_cmp_lt_i32 s0, 11
	v_ashrrev_i32_e32 v5, 31, v4
	s_delay_alu instid0(VALU_DEP_1)
	v_add_nc_u64_e32 v[2:3], s[6:7], v[4:5]
	s_cbranch_scc1 .LBB86_1555
; %bb.1549:
	s_and_b32 s1, 0xffff, s0
	s_mov_b32 s16, 0
	s_cmp_gt_i32 s1, 25
	s_cbranch_scc0 .LBB86_1557
; %bb.1550:
	s_cmp_gt_i32 s1, 28
	s_cbranch_scc0 .LBB86_1558
; %bb.1551:
	;; [unrolled: 3-line block ×4, first 2 shown]
	s_cmp_eq_u32 s1, 46
	s_cbranch_scc0 .LBB86_1563
; %bb.1554:
	global_load_b32 v0, v[2:3], off
	s_mov_b32 s2, 0
	s_mov_b32 s19, -1
	s_wait_loadcnt 0x0
	v_lshlrev_b32_e32 v0, 16, v0
	s_delay_alu instid0(VALU_DEP_1)
	v_cvt_f64_f32_e32 v[0:1], v0
	s_branch .LBB86_1565
.LBB86_1555:
	s_mov_b32 s19, 0
	s_mov_b32 s15, s18
                                        ; implicit-def: $vgpr0_vgpr1
	s_cbranch_execnz .LBB86_1628
.LBB86_1556:
	s_and_not1_b32 vcc_lo, exec_lo, s19
	s_cbranch_vccz .LBB86_1673
	s_branch .LBB86_3022
.LBB86_1557:
	s_mov_b32 s19, 0
	s_mov_b32 s2, 0
                                        ; implicit-def: $vgpr0_vgpr1
	s_cbranch_execnz .LBB86_1593
	s_branch .LBB86_1624
.LBB86_1558:
	s_mov_b32 s15, -1
	s_mov_b32 s19, 0
	s_mov_b32 s2, 0
                                        ; implicit-def: $vgpr0_vgpr1
	s_branch .LBB86_1574
.LBB86_1559:
	s_mov_b32 s19, 0
	s_mov_b32 s2, 0
                                        ; implicit-def: $vgpr0_vgpr1
	s_cbranch_execnz .LBB86_1570
	s_branch .LBB86_1573
.LBB86_1560:
	s_mov_b32 s15, -1
	s_mov_b32 s19, 0
	s_mov_b32 s2, 0
	s_branch .LBB86_1564
.LBB86_1561:
	s_and_not1_saveexec_b32 s24, s24
	s_cbranch_execz .LBB86_1460
.LBB86_1562:
	v_add_f32_e32 v0, 0x46000000, v1
	s_and_not1_b32 s23, s23, exec_lo
	s_delay_alu instid0(VALU_DEP_1) | instskip(NEXT) | instid1(VALU_DEP_1)
	v_and_b32_e32 v0, 0xff, v0
	v_cmp_ne_u32_e32 vcc_lo, 0, v0
	s_and_b32 s25, vcc_lo, exec_lo
	s_delay_alu instid0(SALU_CYCLE_1)
	s_or_b32 s23, s23, s25
	s_or_b32 exec_lo, exec_lo, s24
	v_mov_b32_e32 v4, 0
	s_and_saveexec_b32 s24, s23
	s_cbranch_execnz .LBB86_1461
	s_branch .LBB86_1462
.LBB86_1563:
	s_mov_b32 s2, -1
	s_mov_b32 s19, 0
.LBB86_1564:
                                        ; implicit-def: $vgpr0_vgpr1
.LBB86_1565:
	s_and_b32 vcc_lo, exec_lo, s15
	s_cbranch_vccz .LBB86_1568
; %bb.1566:
	s_cmp_eq_u32 s1, 44
	s_cbranch_scc0 .LBB86_1569
; %bb.1567:
	global_load_u8 v5, v[2:3], off
	s_mov_b32 s2, 0
	s_mov_b32 s19, -1
	s_wait_loadcnt 0x0
	v_lshlrev_b32_e32 v0, 23, v5
	v_cmp_ne_u32_e32 vcc_lo, 0xff, v5
	s_delay_alu instid0(VALU_DEP_2) | instskip(NEXT) | instid1(VALU_DEP_1)
	v_cvt_f64_f32_e32 v[0:1], v0
	v_cndmask_b32_e32 v0, 0x20000000, v0, vcc_lo
	s_delay_alu instid0(VALU_DEP_2) | instskip(SKIP_1) | instid1(VALU_DEP_2)
	v_cndmask_b32_e32 v1, 0x7ff80000, v1, vcc_lo
	v_cmp_ne_u32_e32 vcc_lo, 0, v5
	v_cndmask_b32_e32 v1, 0x38000000, v1, vcc_lo
	s_delay_alu instid0(VALU_DEP_4)
	v_cndmask_b32_e32 v0, 0, v0, vcc_lo
.LBB86_1568:
	s_branch .LBB86_1573
.LBB86_1569:
	s_mov_b32 s2, -1
                                        ; implicit-def: $vgpr0_vgpr1
	s_branch .LBB86_1573
.LBB86_1570:
	s_cmp_eq_u32 s1, 29
	s_cbranch_scc0 .LBB86_1572
; %bb.1571:
	global_load_b64 v[0:1], v[2:3], off
	s_mov_b32 s2, 0
	s_mov_b32 s19, -1
	s_mov_b32 s15, 0
	s_wait_loadcnt 0x0
	v_cvt_f64_u32_e32 v[6:7], v1
	v_cvt_f64_u32_e32 v[0:1], v0
	s_delay_alu instid0(VALU_DEP_2) | instskip(NEXT) | instid1(VALU_DEP_1)
	v_ldexp_f64 v[6:7], v[6:7], 32
	v_add_f64_e32 v[0:1], v[6:7], v[0:1]
	s_branch .LBB86_1574
.LBB86_1572:
	s_mov_b32 s2, -1
                                        ; implicit-def: $vgpr0_vgpr1
.LBB86_1573:
	s_mov_b32 s15, 0
.LBB86_1574:
	s_delay_alu instid0(SALU_CYCLE_1)
	s_and_b32 vcc_lo, exec_lo, s15
	s_cbranch_vccz .LBB86_1592
; %bb.1575:
	s_cmp_lt_i32 s1, 27
	s_cbranch_scc1 .LBB86_1578
; %bb.1576:
	s_cmp_gt_i32 s1, 27
	s_cbranch_scc0 .LBB86_1579
; %bb.1577:
	global_load_b32 v0, v[2:3], off
	s_mov_b32 s15, 0
	s_wait_loadcnt 0x0
	v_cvt_f64_u32_e32 v[0:1], v0
	s_branch .LBB86_1580
.LBB86_1578:
	s_mov_b32 s15, -1
                                        ; implicit-def: $vgpr0_vgpr1
	s_branch .LBB86_1583
.LBB86_1579:
	s_mov_b32 s15, -1
                                        ; implicit-def: $vgpr0_vgpr1
.LBB86_1580:
	s_delay_alu instid0(SALU_CYCLE_1)
	s_and_not1_b32 vcc_lo, exec_lo, s15
	s_cbranch_vccnz .LBB86_1582
; %bb.1581:
	global_load_u16 v0, v[2:3], off
	s_wait_loadcnt 0x0
	v_cvt_f64_u32_e32 v[0:1], v0
.LBB86_1582:
	s_mov_b32 s15, 0
.LBB86_1583:
	s_delay_alu instid0(SALU_CYCLE_1)
	s_and_not1_b32 vcc_lo, exec_lo, s15
	s_cbranch_vccnz .LBB86_1591
; %bb.1584:
	global_load_u8 v5, v[2:3], off
	s_mov_b32 s15, 0
	s_mov_b32 s19, exec_lo
	s_wait_loadcnt 0x0
	v_cmpx_lt_i16_e32 0x7f, v5
	s_xor_b32 s19, exec_lo, s19
	s_cbranch_execz .LBB86_1604
; %bb.1585:
	s_mov_b32 s15, -1
	s_mov_b32 s20, exec_lo
	v_cmpx_eq_u16_e32 0x80, v5
; %bb.1586:
	s_xor_b32 s15, exec_lo, -1
; %bb.1587:
	s_or_b32 exec_lo, exec_lo, s20
	s_delay_alu instid0(SALU_CYCLE_1)
	s_and_b32 s15, s15, exec_lo
	s_or_saveexec_b32 s19, s19
	v_mov_b64_e32 v[0:1], 0x7ff8000020000000
	s_xor_b32 exec_lo, exec_lo, s19
	s_cbranch_execnz .LBB86_1605
.LBB86_1588:
	s_or_b32 exec_lo, exec_lo, s19
	s_and_saveexec_b32 s19, s15
	s_cbranch_execz .LBB86_1590
.LBB86_1589:
	v_and_b32_e32 v0, 0xffff, v5
	s_delay_alu instid0(VALU_DEP_1) | instskip(SKIP_1) | instid1(VALU_DEP_2)
	v_and_b32_e32 v1, 7, v0
	v_bfe_u32 v8, v0, 3, 4
	v_clz_i32_u32_e32 v6, v1
	s_delay_alu instid0(VALU_DEP_2) | instskip(NEXT) | instid1(VALU_DEP_2)
	v_cmp_eq_u32_e32 vcc_lo, 0, v8
	v_min_u32_e32 v6, 32, v6
	s_delay_alu instid0(VALU_DEP_1) | instskip(NEXT) | instid1(VALU_DEP_1)
	v_subrev_nc_u32_e32 v7, 28, v6
	v_dual_lshlrev_b32 v0, v7, v0 :: v_dual_sub_nc_u32 v6, 29, v6
	s_delay_alu instid0(VALU_DEP_1) | instskip(NEXT) | instid1(VALU_DEP_1)
	v_dual_lshlrev_b32 v5, 24, v5 :: v_dual_bitop2_b32 v0, 7, v0 bitop3:0x40
	v_dual_cndmask_b32 v6, v8, v6, vcc_lo :: v_dual_cndmask_b32 v0, v1, v0, vcc_lo
	s_delay_alu instid0(VALU_DEP_2) | instskip(NEXT) | instid1(VALU_DEP_2)
	v_and_b32_e32 v1, 0x80000000, v5
	v_lshl_add_u32 v5, v6, 23, 0x3b800000
	s_delay_alu instid0(VALU_DEP_3) | instskip(NEXT) | instid1(VALU_DEP_1)
	v_lshlrev_b32_e32 v0, 20, v0
	v_or3_b32 v0, v1, v5, v0
	s_delay_alu instid0(VALU_DEP_1)
	v_cvt_f64_f32_e32 v[0:1], v0
.LBB86_1590:
	s_or_b32 exec_lo, exec_lo, s19
.LBB86_1591:
	s_mov_b32 s19, -1
.LBB86_1592:
	s_branch .LBB86_1624
.LBB86_1593:
	s_cmp_gt_i32 s1, 22
	s_cbranch_scc0 .LBB86_1603
; %bb.1594:
	s_cmp_lt_i32 s1, 24
	s_cbranch_scc1 .LBB86_1606
; %bb.1595:
	s_cmp_gt_i32 s1, 24
	s_cbranch_scc0 .LBB86_1607
; %bb.1596:
	global_load_u8 v5, v[2:3], off
	s_mov_b32 s15, 0
	s_mov_b32 s16, exec_lo
	s_wait_loadcnt 0x0
	v_cmpx_lt_i16_e32 0x7f, v5
	s_xor_b32 s16, exec_lo, s16
	s_cbranch_execz .LBB86_1618
; %bb.1597:
	s_mov_b32 s15, -1
	s_mov_b32 s19, exec_lo
	v_cmpx_eq_u16_e32 0x80, v5
; %bb.1598:
	s_xor_b32 s15, exec_lo, -1
; %bb.1599:
	s_or_b32 exec_lo, exec_lo, s19
	s_delay_alu instid0(SALU_CYCLE_1)
	s_and_b32 s15, s15, exec_lo
	s_or_saveexec_b32 s16, s16
	v_mov_b64_e32 v[0:1], 0x7ff8000020000000
	s_xor_b32 exec_lo, exec_lo, s16
	s_cbranch_execnz .LBB86_1619
.LBB86_1600:
	s_or_b32 exec_lo, exec_lo, s16
	s_and_saveexec_b32 s16, s15
	s_cbranch_execz .LBB86_1602
.LBB86_1601:
	v_and_b32_e32 v0, 0xffff, v5
	s_delay_alu instid0(VALU_DEP_1) | instskip(SKIP_1) | instid1(VALU_DEP_2)
	v_and_b32_e32 v1, 3, v0
	v_bfe_u32 v8, v0, 2, 5
	v_clz_i32_u32_e32 v6, v1
	s_delay_alu instid0(VALU_DEP_2) | instskip(NEXT) | instid1(VALU_DEP_2)
	v_cmp_eq_u32_e32 vcc_lo, 0, v8
	v_min_u32_e32 v6, 32, v6
	s_delay_alu instid0(VALU_DEP_1) | instskip(NEXT) | instid1(VALU_DEP_1)
	v_subrev_nc_u32_e32 v7, 29, v6
	v_dual_lshlrev_b32 v0, v7, v0 :: v_dual_sub_nc_u32 v6, 30, v6
	s_delay_alu instid0(VALU_DEP_1) | instskip(NEXT) | instid1(VALU_DEP_1)
	v_dual_lshlrev_b32 v5, 24, v5 :: v_dual_bitop2_b32 v0, 3, v0 bitop3:0x40
	v_dual_cndmask_b32 v6, v8, v6, vcc_lo :: v_dual_cndmask_b32 v0, v1, v0, vcc_lo
	s_delay_alu instid0(VALU_DEP_2) | instskip(NEXT) | instid1(VALU_DEP_2)
	v_and_b32_e32 v1, 0x80000000, v5
	v_lshl_add_u32 v5, v6, 23, 0x37800000
	s_delay_alu instid0(VALU_DEP_3) | instskip(NEXT) | instid1(VALU_DEP_1)
	v_lshlrev_b32_e32 v0, 21, v0
	v_or3_b32 v0, v1, v5, v0
	s_delay_alu instid0(VALU_DEP_1)
	v_cvt_f64_f32_e32 v[0:1], v0
.LBB86_1602:
	s_or_b32 exec_lo, exec_lo, s16
	s_mov_b32 s15, 0
	s_branch .LBB86_1608
.LBB86_1603:
                                        ; implicit-def: $vgpr0_vgpr1
	s_mov_b32 s16, 0
	s_branch .LBB86_1614
.LBB86_1604:
	s_or_saveexec_b32 s19, s19
	v_mov_b64_e32 v[0:1], 0x7ff8000020000000
	s_xor_b32 exec_lo, exec_lo, s19
	s_cbranch_execz .LBB86_1588
.LBB86_1605:
	v_cmp_ne_u16_e32 vcc_lo, 0, v5
	v_mov_b64_e32 v[0:1], 0
	s_and_not1_b32 s15, s15, exec_lo
	s_and_b32 s20, vcc_lo, exec_lo
	s_delay_alu instid0(SALU_CYCLE_1)
	s_or_b32 s15, s15, s20
	s_or_b32 exec_lo, exec_lo, s19
	s_and_saveexec_b32 s19, s15
	s_cbranch_execnz .LBB86_1589
	s_branch .LBB86_1590
.LBB86_1606:
	s_mov_b32 s15, -1
                                        ; implicit-def: $vgpr0_vgpr1
	s_branch .LBB86_1611
.LBB86_1607:
	s_mov_b32 s15, -1
                                        ; implicit-def: $vgpr0_vgpr1
.LBB86_1608:
	s_delay_alu instid0(SALU_CYCLE_1)
	s_and_b32 vcc_lo, exec_lo, s15
	s_cbranch_vccz .LBB86_1610
; %bb.1609:
	global_load_u8 v0, v[2:3], off
	s_wait_loadcnt 0x0
	v_lshlrev_b32_e32 v0, 24, v0
	s_delay_alu instid0(VALU_DEP_1) | instskip(NEXT) | instid1(VALU_DEP_1)
	v_and_b32_e32 v1, 0x7f000000, v0
	v_clz_i32_u32_e32 v5, v1
	v_add_nc_u32_e32 v7, 0x1000000, v1
	v_cmp_ne_u32_e32 vcc_lo, 0, v1
	s_delay_alu instid0(VALU_DEP_3) | instskip(NEXT) | instid1(VALU_DEP_1)
	v_min_u32_e32 v5, 32, v5
	v_sub_nc_u32_e64 v5, v5, 4 clamp
	s_delay_alu instid0(VALU_DEP_1) | instskip(NEXT) | instid1(VALU_DEP_1)
	v_lshlrev_b32_e32 v6, v5, v1
	v_dual_lshlrev_b32 v5, 23, v5 :: v_dual_lshrrev_b32 v6, 4, v6
	s_delay_alu instid0(VALU_DEP_1) | instskip(NEXT) | instid1(VALU_DEP_1)
	v_dual_sub_nc_u32 v5, v6, v5 :: v_dual_ashrrev_i32 v6, 8, v7
	v_add_nc_u32_e32 v5, 0x3c000000, v5
	s_delay_alu instid0(VALU_DEP_1) | instskip(NEXT) | instid1(VALU_DEP_1)
	v_and_or_b32 v5, 0x7f800000, v6, v5
	v_cndmask_b32_e32 v1, 0, v5, vcc_lo
	s_delay_alu instid0(VALU_DEP_1) | instskip(NEXT) | instid1(VALU_DEP_1)
	v_and_or_b32 v0, 0x80000000, v0, v1
	v_cvt_f64_f32_e32 v[0:1], v0
.LBB86_1610:
	s_mov_b32 s15, 0
.LBB86_1611:
	s_delay_alu instid0(SALU_CYCLE_1)
	s_and_not1_b32 vcc_lo, exec_lo, s15
	s_cbranch_vccnz .LBB86_1613
; %bb.1612:
	global_load_u8 v0, v[2:3], off
	s_wait_loadcnt 0x0
	v_lshlrev_b32_e32 v1, 25, v0
	v_lshlrev_b16 v0, 8, v0
	s_delay_alu instid0(VALU_DEP_1) | instskip(SKIP_1) | instid1(VALU_DEP_2)
	v_and_or_b32 v6, 0x7f00, v0, 0.5
	v_bfe_i32 v0, v0, 0, 16
	v_dual_add_f32 v6, -0.5, v6 :: v_dual_lshrrev_b32 v5, 4, v1
	v_cmp_gt_u32_e32 vcc_lo, 0x8000000, v1
	s_delay_alu instid0(VALU_DEP_2) | instskip(NEXT) | instid1(VALU_DEP_1)
	v_or_b32_e32 v5, 0x70000000, v5
	v_mul_f32_e32 v5, 0x7800000, v5
	s_delay_alu instid0(VALU_DEP_1) | instskip(NEXT) | instid1(VALU_DEP_1)
	v_cndmask_b32_e32 v1, v5, v6, vcc_lo
	v_and_or_b32 v0, 0x80000000, v0, v1
	s_delay_alu instid0(VALU_DEP_1)
	v_cvt_f64_f32_e32 v[0:1], v0
.LBB86_1613:
	s_mov_b32 s19, -1
	s_mov_b32 s16, 0
	s_cbranch_execnz .LBB86_1624
.LBB86_1614:
	s_cmp_gt_i32 s1, 14
	s_cbranch_scc0 .LBB86_1617
; %bb.1615:
	s_cmp_eq_u32 s1, 15
	s_cbranch_scc0 .LBB86_1620
; %bb.1616:
	global_load_u16 v0, v[2:3], off
	s_mov_b32 s2, 0
	s_mov_b32 s19, -1
	s_wait_loadcnt 0x0
	v_lshlrev_b32_e32 v0, 16, v0
	s_delay_alu instid0(VALU_DEP_1)
	v_cvt_f64_f32_e32 v[0:1], v0
	s_branch .LBB86_1621
.LBB86_1617:
	s_mov_b32 s15, -1
                                        ; implicit-def: $vgpr0_vgpr1
	s_branch .LBB86_1622
.LBB86_1618:
	s_or_saveexec_b32 s16, s16
	v_mov_b64_e32 v[0:1], 0x7ff8000020000000
	s_xor_b32 exec_lo, exec_lo, s16
	s_cbranch_execz .LBB86_1600
.LBB86_1619:
	v_cmp_ne_u16_e32 vcc_lo, 0, v5
	v_mov_b64_e32 v[0:1], 0
	s_and_not1_b32 s15, s15, exec_lo
	s_and_b32 s19, vcc_lo, exec_lo
	s_delay_alu instid0(SALU_CYCLE_1)
	s_or_b32 s15, s15, s19
	s_or_b32 exec_lo, exec_lo, s16
	s_and_saveexec_b32 s16, s15
	s_cbranch_execnz .LBB86_1601
	s_branch .LBB86_1602
.LBB86_1620:
	s_mov_b32 s2, -1
                                        ; implicit-def: $vgpr0_vgpr1
.LBB86_1621:
	s_mov_b32 s15, 0
.LBB86_1622:
	s_delay_alu instid0(SALU_CYCLE_1)
	s_and_b32 vcc_lo, exec_lo, s15
	s_cbranch_vccz .LBB86_1624
; %bb.1623:
	s_cmp_lg_u32 s1, 11
	s_mov_b32 s16, -1
	s_cselect_b32 s2, -1, 0
.LBB86_1624:
	s_delay_alu instid0(SALU_CYCLE_1)
	s_and_b32 vcc_lo, exec_lo, s2
	s_mov_b32 s15, s18
	s_cbranch_vccnz .LBB86_1685
; %bb.1625:
	s_and_not1_b32 vcc_lo, exec_lo, s16
	s_cbranch_vccnz .LBB86_1627
.LBB86_1626:
	global_load_u8 v0, v[2:3], off
	s_mov_b32 s19, -1
	s_wait_loadcnt 0x0
	v_cmp_ne_u16_e32 vcc_lo, 0, v0
	v_mov_b32_e32 v0, 0
	v_cndmask_b32_e64 v1, 0, 0x3ff00000, vcc_lo
.LBB86_1627:
	s_branch .LBB86_1556
.LBB86_1628:
	s_and_b32 s1, 0xffff, s0
	s_delay_alu instid0(SALU_CYCLE_1)
	s_cmp_lt_i32 s1, 5
	s_cbranch_scc1 .LBB86_1633
; %bb.1629:
	s_cmp_lt_i32 s1, 8
	s_cbranch_scc1 .LBB86_1634
; %bb.1630:
	;; [unrolled: 3-line block ×3, first 2 shown]
	s_cmp_gt_i32 s1, 9
	s_cbranch_scc0 .LBB86_1636
; %bb.1632:
	global_load_b64 v[0:1], v[2:3], off
	s_mov_b32 s2, 0
	s_branch .LBB86_1637
.LBB86_1633:
                                        ; implicit-def: $vgpr0_vgpr1
	s_branch .LBB86_1654
.LBB86_1634:
                                        ; implicit-def: $vgpr0_vgpr1
	s_branch .LBB86_1643
.LBB86_1635:
	s_mov_b32 s2, -1
                                        ; implicit-def: $vgpr0_vgpr1
	s_branch .LBB86_1640
.LBB86_1636:
	s_mov_b32 s2, -1
                                        ; implicit-def: $vgpr0_vgpr1
.LBB86_1637:
	s_delay_alu instid0(SALU_CYCLE_1)
	s_and_not1_b32 vcc_lo, exec_lo, s2
	s_cbranch_vccnz .LBB86_1639
; %bb.1638:
	s_wait_loadcnt 0x0
	global_load_b32 v0, v[2:3], off
	s_wait_loadcnt 0x0
	v_cvt_f64_f32_e32 v[0:1], v0
.LBB86_1639:
	s_mov_b32 s2, 0
.LBB86_1640:
	s_delay_alu instid0(SALU_CYCLE_1)
	s_and_not1_b32 vcc_lo, exec_lo, s2
	s_cbranch_vccnz .LBB86_1642
; %bb.1641:
	s_wait_loadcnt 0x0
	global_load_b32 v0, v[2:3], off
	s_wait_loadcnt 0x0
	v_cvt_f32_f16_e32 v0, v0
	s_delay_alu instid0(VALU_DEP_1)
	v_cvt_f64_f32_e32 v[0:1], v0
.LBB86_1642:
	s_cbranch_execnz .LBB86_1653
.LBB86_1643:
	s_cmp_lt_i32 s1, 6
	s_cbranch_scc1 .LBB86_1646
; %bb.1644:
	s_cmp_gt_i32 s1, 6
	s_cbranch_scc0 .LBB86_1647
; %bb.1645:
	s_wait_loadcnt 0x0
	global_load_b64 v[0:1], v[2:3], off
	s_mov_b32 s2, 0
	s_branch .LBB86_1648
.LBB86_1646:
	s_mov_b32 s2, -1
                                        ; implicit-def: $vgpr0_vgpr1
	s_branch .LBB86_1651
.LBB86_1647:
	s_mov_b32 s2, -1
                                        ; implicit-def: $vgpr0_vgpr1
.LBB86_1648:
	s_delay_alu instid0(SALU_CYCLE_1)
	s_and_not1_b32 vcc_lo, exec_lo, s2
	s_cbranch_vccnz .LBB86_1650
; %bb.1649:
	s_wait_loadcnt 0x0
	global_load_b32 v0, v[2:3], off
	s_wait_loadcnt 0x0
	v_cvt_f64_f32_e32 v[0:1], v0
.LBB86_1650:
	s_mov_b32 s2, 0
.LBB86_1651:
	s_delay_alu instid0(SALU_CYCLE_1)
	s_and_not1_b32 vcc_lo, exec_lo, s2
	s_cbranch_vccnz .LBB86_1653
; %bb.1652:
	s_wait_loadcnt 0x0
	global_load_u16 v0, v[2:3], off
	s_wait_loadcnt 0x0
	v_cvt_f32_f16_e32 v0, v0
	s_delay_alu instid0(VALU_DEP_1)
	v_cvt_f64_f32_e32 v[0:1], v0
.LBB86_1653:
	s_cbranch_execnz .LBB86_1672
.LBB86_1654:
	s_cmp_lt_i32 s1, 2
	s_cbranch_scc1 .LBB86_1658
; %bb.1655:
	s_cmp_lt_i32 s1, 3
	s_cbranch_scc1 .LBB86_1659
; %bb.1656:
	s_cmp_gt_i32 s1, 3
	s_cbranch_scc0 .LBB86_1660
; %bb.1657:
	s_wait_loadcnt 0x0
	global_load_b64 v[0:1], v[2:3], off
	s_mov_b32 s2, 0
	s_wait_loadcnt 0x0
	v_cvt_f64_i32_e32 v[6:7], v1
	v_cvt_f64_u32_e32 v[0:1], v0
	s_delay_alu instid0(VALU_DEP_2) | instskip(NEXT) | instid1(VALU_DEP_1)
	v_ldexp_f64 v[6:7], v[6:7], 32
	v_add_f64_e32 v[0:1], v[6:7], v[0:1]
	s_branch .LBB86_1661
.LBB86_1658:
                                        ; implicit-def: $vgpr0_vgpr1
	s_branch .LBB86_1667
.LBB86_1659:
	s_mov_b32 s2, -1
                                        ; implicit-def: $vgpr0_vgpr1
	s_branch .LBB86_1664
.LBB86_1660:
	s_mov_b32 s2, -1
                                        ; implicit-def: $vgpr0_vgpr1
.LBB86_1661:
	s_delay_alu instid0(SALU_CYCLE_1)
	s_and_not1_b32 vcc_lo, exec_lo, s2
	s_cbranch_vccnz .LBB86_1663
; %bb.1662:
	s_wait_loadcnt 0x0
	global_load_b32 v0, v[2:3], off
	s_wait_loadcnt 0x0
	v_cvt_f64_i32_e32 v[0:1], v0
.LBB86_1663:
	s_mov_b32 s2, 0
.LBB86_1664:
	s_delay_alu instid0(SALU_CYCLE_1)
	s_and_not1_b32 vcc_lo, exec_lo, s2
	s_cbranch_vccnz .LBB86_1666
; %bb.1665:
	s_wait_loadcnt 0x0
	global_load_i16 v0, v[2:3], off
	s_wait_loadcnt 0x0
	v_cvt_f64_i32_e32 v[0:1], v0
.LBB86_1666:
	s_cbranch_execnz .LBB86_1672
.LBB86_1667:
	s_cmp_gt_i32 s1, 0
	s_mov_b32 s1, 0
	s_cbranch_scc0 .LBB86_1669
; %bb.1668:
	s_wait_loadcnt 0x0
	global_load_i8 v0, v[2:3], off
	s_wait_loadcnt 0x0
	v_cvt_f64_i32_e32 v[0:1], v0
	s_branch .LBB86_1670
.LBB86_1669:
	s_mov_b32 s1, -1
                                        ; implicit-def: $vgpr0_vgpr1
.LBB86_1670:
	s_delay_alu instid0(SALU_CYCLE_1)
	s_and_not1_b32 vcc_lo, exec_lo, s1
	s_cbranch_vccnz .LBB86_1672
; %bb.1671:
	s_wait_loadcnt 0x0
	global_load_u8 v0, v[2:3], off
	s_wait_loadcnt 0x0
	v_cvt_f64_u32_e32 v[0:1], v0
.LBB86_1672:
.LBB86_1673:
	v_mul_lo_u32 v6, s10, v18
	s_and_b32 s1, s14, 0xff
	s_delay_alu instid0(SALU_CYCLE_1) | instskip(NEXT) | instid1(VALU_DEP_1)
	s_cmp_lt_i32 s1, 11
	v_ashrrev_i32_e32 v7, 31, v6
	s_delay_alu instid0(VALU_DEP_1)
	v_add_nc_u64_e32 v[8:9], s[12:13], v[6:7]
	s_cbranch_scc1 .LBB86_1680
; %bb.1674:
	s_and_b32 s2, 0xffff, s1
	s_mov_b32 s16, 0
	s_cmp_gt_i32 s2, 25
	s_cbranch_scc0 .LBB86_1682
; %bb.1675:
	s_cmp_gt_i32 s2, 28
	s_cbranch_scc0 .LBB86_1683
; %bb.1676:
	;; [unrolled: 3-line block ×4, first 2 shown]
	s_cmp_eq_u32 s2, 46
	s_mov_b32 s20, 0
	s_cbranch_scc0 .LBB86_1689
; %bb.1679:
	global_load_b32 v2, v[8:9], off
	s_mov_b32 s14, 0
	s_mov_b32 s19, -1
	s_wait_loadcnt 0x0
	v_lshlrev_b32_e32 v2, 16, v2
	s_delay_alu instid0(VALU_DEP_1)
	v_cvt_f64_f32_e32 v[2:3], v2
	s_branch .LBB86_1691
.LBB86_1680:
	s_mov_b32 s19, 0
                                        ; implicit-def: $vgpr2_vgpr3
	s_cbranch_execnz .LBB86_1756
.LBB86_1681:
	s_and_not1_b32 vcc_lo, exec_lo, s19
	s_cbranch_vccnz .LBB86_3022
	s_branch .LBB86_1803
.LBB86_1682:
	s_mov_b32 s19, 0
	s_mov_b32 s14, 0
                                        ; implicit-def: $vgpr2_vgpr3
	s_cbranch_execnz .LBB86_1720
	s_branch .LBB86_1752
.LBB86_1683:
	s_mov_b32 s20, -1
	s_mov_b32 s19, 0
	s_mov_b32 s14, 0
                                        ; implicit-def: $vgpr2_vgpr3
	s_branch .LBB86_1701
.LBB86_1684:
	s_mov_b32 s20, -1
	s_mov_b32 s19, 0
	s_mov_b32 s14, 0
                                        ; implicit-def: $vgpr2_vgpr3
	s_branch .LBB86_1696
.LBB86_1685:
	s_or_b32 s15, s18, exec_lo
	s_trap 2
	s_cbranch_execz .LBB86_1626
	s_branch .LBB86_1627
.LBB86_1686:
	s_mov_b32 s20, -1
	s_mov_b32 s19, 0
	s_mov_b32 s14, 0
	s_branch .LBB86_1690
.LBB86_1687:
	s_and_not1_saveexec_b32 s25, s25
	s_cbranch_execz .LBB86_1472
.LBB86_1688:
	v_add_f32_e32 v0, 0x42800000, v1
	s_and_not1_b32 s24, s24, exec_lo
	s_delay_alu instid0(VALU_DEP_1) | instskip(NEXT) | instid1(VALU_DEP_1)
	v_and_b32_e32 v0, 0xff, v0
	v_cmp_ne_u32_e32 vcc_lo, 0, v0
	s_and_b32 s26, vcc_lo, exec_lo
	s_delay_alu instid0(SALU_CYCLE_1)
	s_or_b32 s24, s24, s26
	s_or_b32 exec_lo, exec_lo, s25
	v_mov_b32_e32 v4, 0
	s_and_saveexec_b32 s25, s24
	s_cbranch_execnz .LBB86_1473
	s_branch .LBB86_1474
.LBB86_1689:
	s_mov_b32 s14, -1
	s_mov_b32 s19, 0
.LBB86_1690:
                                        ; implicit-def: $vgpr2_vgpr3
.LBB86_1691:
	s_and_b32 vcc_lo, exec_lo, s20
	s_cbranch_vccz .LBB86_1695
; %bb.1692:
	s_cmp_eq_u32 s2, 44
	s_cbranch_scc0 .LBB86_1694
; %bb.1693:
	global_load_u8 v5, v[8:9], off
	s_mov_b32 s14, 0
	s_mov_b32 s19, -1
	s_wait_loadcnt 0x0
	v_cmp_ne_u32_e32 vcc_lo, 0xff, v5
	s_wait_xcnt 0x1
	v_lshlrev_b32_e32 v2, 23, v5
	s_delay_alu instid0(VALU_DEP_1) | instskip(NEXT) | instid1(VALU_DEP_1)
	v_cvt_f64_f32_e32 v[2:3], v2
	v_cndmask_b32_e32 v2, 0x20000000, v2, vcc_lo
	s_delay_alu instid0(VALU_DEP_2) | instskip(SKIP_1) | instid1(VALU_DEP_2)
	v_cndmask_b32_e32 v3, 0x7ff80000, v3, vcc_lo
	v_cmp_ne_u32_e32 vcc_lo, 0, v5
	v_cndmask_b32_e32 v3, 0x38000000, v3, vcc_lo
	s_delay_alu instid0(VALU_DEP_4)
	v_cndmask_b32_e32 v2, 0, v2, vcc_lo
	s_branch .LBB86_1695
.LBB86_1694:
	s_mov_b32 s14, -1
                                        ; implicit-def: $vgpr2_vgpr3
.LBB86_1695:
	s_mov_b32 s20, 0
.LBB86_1696:
	s_delay_alu instid0(SALU_CYCLE_1)
	s_and_b32 vcc_lo, exec_lo, s20
	s_cbranch_vccz .LBB86_1700
; %bb.1697:
	s_cmp_eq_u32 s2, 29
	s_cbranch_scc0 .LBB86_1699
; %bb.1698:
	global_load_b64 v[2:3], v[8:9], off
	s_mov_b32 s14, 0
	s_mov_b32 s19, -1
	s_mov_b32 s20, 0
	s_wait_loadcnt 0x0
	v_cvt_f64_u32_e32 v[10:11], v3
	v_cvt_f64_u32_e32 v[2:3], v2
	s_delay_alu instid0(VALU_DEP_2) | instskip(NEXT) | instid1(VALU_DEP_1)
	v_ldexp_f64 v[10:11], v[10:11], 32
	v_add_f64_e32 v[2:3], v[10:11], v[2:3]
	s_branch .LBB86_1701
.LBB86_1699:
	s_mov_b32 s14, -1
                                        ; implicit-def: $vgpr2_vgpr3
.LBB86_1700:
	s_mov_b32 s20, 0
.LBB86_1701:
	s_delay_alu instid0(SALU_CYCLE_1)
	s_and_b32 vcc_lo, exec_lo, s20
	s_cbranch_vccz .LBB86_1719
; %bb.1702:
	s_cmp_lt_i32 s2, 27
	s_cbranch_scc1 .LBB86_1705
; %bb.1703:
	s_cmp_gt_i32 s2, 27
	s_cbranch_scc0 .LBB86_1706
; %bb.1704:
	global_load_b32 v2, v[8:9], off
	s_mov_b32 s19, 0
	s_wait_loadcnt 0x0
	v_cvt_f64_u32_e32 v[2:3], v2
	s_branch .LBB86_1707
.LBB86_1705:
	s_mov_b32 s19, -1
                                        ; implicit-def: $vgpr2_vgpr3
	s_branch .LBB86_1710
.LBB86_1706:
	s_mov_b32 s19, -1
                                        ; implicit-def: $vgpr2_vgpr3
.LBB86_1707:
	s_delay_alu instid0(SALU_CYCLE_1)
	s_and_not1_b32 vcc_lo, exec_lo, s19
	s_cbranch_vccnz .LBB86_1709
; %bb.1708:
	global_load_u16 v2, v[8:9], off
	s_wait_loadcnt 0x0
	v_cvt_f64_u32_e32 v[2:3], v2
.LBB86_1709:
	s_mov_b32 s19, 0
.LBB86_1710:
	s_delay_alu instid0(SALU_CYCLE_1)
	s_and_not1_b32 vcc_lo, exec_lo, s19
	s_cbranch_vccnz .LBB86_1718
; %bb.1711:
	global_load_u8 v5, v[8:9], off
	s_mov_b32 s19, 0
	s_mov_b32 s20, exec_lo
	s_wait_loadcnt 0x0
	v_cmpx_lt_i16_e32 0x7f, v5
	s_xor_b32 s20, exec_lo, s20
	s_cbranch_execz .LBB86_1731
; %bb.1712:
	s_mov_b32 s19, -1
	s_mov_b32 s21, exec_lo
	v_cmpx_eq_u16_e32 0x80, v5
; %bb.1713:
	s_xor_b32 s19, exec_lo, -1
; %bb.1714:
	s_or_b32 exec_lo, exec_lo, s21
	s_delay_alu instid0(SALU_CYCLE_1)
	s_and_b32 s19, s19, exec_lo
	s_or_saveexec_b32 s20, s20
	v_mov_b64_e32 v[2:3], 0x7ff8000020000000
	s_xor_b32 exec_lo, exec_lo, s20
	s_cbranch_execnz .LBB86_1732
.LBB86_1715:
	s_or_b32 exec_lo, exec_lo, s20
	s_and_saveexec_b32 s20, s19
	s_cbranch_execz .LBB86_1717
.LBB86_1716:
	v_and_b32_e32 v2, 0xffff, v5
	s_delay_alu instid0(VALU_DEP_1) | instskip(SKIP_1) | instid1(VALU_DEP_2)
	v_and_b32_e32 v3, 7, v2
	v_bfe_u32 v11, v2, 3, 4
	v_clz_i32_u32_e32 v7, v3
	s_delay_alu instid0(VALU_DEP_2) | instskip(NEXT) | instid1(VALU_DEP_2)
	v_cmp_eq_u32_e32 vcc_lo, 0, v11
	v_min_u32_e32 v7, 32, v7
	s_delay_alu instid0(VALU_DEP_1) | instskip(NEXT) | instid1(VALU_DEP_1)
	v_subrev_nc_u32_e32 v10, 28, v7
	v_dual_lshlrev_b32 v2, v10, v2 :: v_dual_sub_nc_u32 v7, 29, v7
	s_delay_alu instid0(VALU_DEP_1) | instskip(NEXT) | instid1(VALU_DEP_2)
	v_dual_lshlrev_b32 v5, 24, v5 :: v_dual_bitop2_b32 v2, 7, v2 bitop3:0x40
	v_cndmask_b32_e32 v7, v11, v7, vcc_lo
	s_delay_alu instid0(VALU_DEP_2) | instskip(NEXT) | instid1(VALU_DEP_3)
	v_cndmask_b32_e32 v2, v3, v2, vcc_lo
	v_and_b32_e32 v3, 0x80000000, v5
	s_delay_alu instid0(VALU_DEP_3) | instskip(NEXT) | instid1(VALU_DEP_3)
	v_lshl_add_u32 v5, v7, 23, 0x3b800000
	v_lshlrev_b32_e32 v2, 20, v2
	s_delay_alu instid0(VALU_DEP_1) | instskip(NEXT) | instid1(VALU_DEP_1)
	v_or3_b32 v2, v3, v5, v2
	v_cvt_f64_f32_e32 v[2:3], v2
.LBB86_1717:
	s_or_b32 exec_lo, exec_lo, s20
.LBB86_1718:
	s_mov_b32 s19, -1
.LBB86_1719:
	s_branch .LBB86_1752
.LBB86_1720:
	s_cmp_gt_i32 s2, 22
	s_cbranch_scc0 .LBB86_1730
; %bb.1721:
	s_cmp_lt_i32 s2, 24
	s_cbranch_scc1 .LBB86_1733
; %bb.1722:
	s_cmp_gt_i32 s2, 24
	s_cbranch_scc0 .LBB86_1734
; %bb.1723:
	global_load_u8 v5, v[8:9], off
	s_mov_b32 s19, exec_lo
	s_wait_loadcnt 0x0
	v_cmpx_lt_i16_e32 0x7f, v5
	s_xor_b32 s19, exec_lo, s19
	s_cbranch_execz .LBB86_1746
; %bb.1724:
	s_mov_b32 s16, -1
	s_mov_b32 s20, exec_lo
	v_cmpx_eq_u16_e32 0x80, v5
; %bb.1725:
	s_xor_b32 s16, exec_lo, -1
; %bb.1726:
	s_or_b32 exec_lo, exec_lo, s20
	s_delay_alu instid0(SALU_CYCLE_1)
	s_and_b32 s16, s16, exec_lo
	s_or_saveexec_b32 s19, s19
	v_mov_b64_e32 v[2:3], 0x7ff8000020000000
	s_xor_b32 exec_lo, exec_lo, s19
	s_cbranch_execnz .LBB86_1747
.LBB86_1727:
	s_or_b32 exec_lo, exec_lo, s19
	s_and_saveexec_b32 s19, s16
	s_cbranch_execz .LBB86_1729
.LBB86_1728:
	v_and_b32_e32 v2, 0xffff, v5
	s_delay_alu instid0(VALU_DEP_1) | instskip(SKIP_1) | instid1(VALU_DEP_2)
	v_and_b32_e32 v3, 3, v2
	v_bfe_u32 v11, v2, 2, 5
	v_clz_i32_u32_e32 v7, v3
	s_delay_alu instid0(VALU_DEP_2) | instskip(NEXT) | instid1(VALU_DEP_2)
	v_cmp_eq_u32_e32 vcc_lo, 0, v11
	v_min_u32_e32 v7, 32, v7
	s_delay_alu instid0(VALU_DEP_1) | instskip(NEXT) | instid1(VALU_DEP_1)
	v_subrev_nc_u32_e32 v10, 29, v7
	v_dual_lshlrev_b32 v2, v10, v2 :: v_dual_sub_nc_u32 v7, 30, v7
	s_delay_alu instid0(VALU_DEP_1) | instskip(NEXT) | instid1(VALU_DEP_2)
	v_dual_lshlrev_b32 v5, 24, v5 :: v_dual_bitop2_b32 v2, 3, v2 bitop3:0x40
	v_cndmask_b32_e32 v7, v11, v7, vcc_lo
	s_delay_alu instid0(VALU_DEP_2) | instskip(NEXT) | instid1(VALU_DEP_3)
	v_cndmask_b32_e32 v2, v3, v2, vcc_lo
	v_and_b32_e32 v3, 0x80000000, v5
	s_delay_alu instid0(VALU_DEP_3) | instskip(NEXT) | instid1(VALU_DEP_3)
	v_lshl_add_u32 v5, v7, 23, 0x37800000
	v_lshlrev_b32_e32 v2, 21, v2
	s_delay_alu instid0(VALU_DEP_1) | instskip(NEXT) | instid1(VALU_DEP_1)
	v_or3_b32 v2, v3, v5, v2
	v_cvt_f64_f32_e32 v[2:3], v2
.LBB86_1729:
	s_or_b32 exec_lo, exec_lo, s19
	s_mov_b32 s16, 0
	s_branch .LBB86_1735
.LBB86_1730:
	s_mov_b32 s16, -1
                                        ; implicit-def: $vgpr2_vgpr3
	s_branch .LBB86_1741
.LBB86_1731:
	s_or_saveexec_b32 s20, s20
	v_mov_b64_e32 v[2:3], 0x7ff8000020000000
	s_xor_b32 exec_lo, exec_lo, s20
	s_cbranch_execz .LBB86_1715
.LBB86_1732:
	v_cmp_ne_u16_e32 vcc_lo, 0, v5
	v_mov_b64_e32 v[2:3], 0
	s_and_not1_b32 s19, s19, exec_lo
	s_and_b32 s21, vcc_lo, exec_lo
	s_delay_alu instid0(SALU_CYCLE_1)
	s_or_b32 s19, s19, s21
	s_or_b32 exec_lo, exec_lo, s20
	s_and_saveexec_b32 s20, s19
	s_cbranch_execnz .LBB86_1716
	s_branch .LBB86_1717
.LBB86_1733:
	s_mov_b32 s16, -1
                                        ; implicit-def: $vgpr2_vgpr3
	s_branch .LBB86_1738
.LBB86_1734:
	s_mov_b32 s16, -1
                                        ; implicit-def: $vgpr2_vgpr3
.LBB86_1735:
	s_delay_alu instid0(SALU_CYCLE_1)
	s_and_b32 vcc_lo, exec_lo, s16
	s_cbranch_vccz .LBB86_1737
; %bb.1736:
	global_load_u8 v2, v[8:9], off
	s_wait_loadcnt 0x0
	v_lshlrev_b32_e32 v2, 24, v2
	s_delay_alu instid0(VALU_DEP_1) | instskip(NEXT) | instid1(VALU_DEP_1)
	v_and_b32_e32 v3, 0x7f000000, v2
	v_clz_i32_u32_e32 v5, v3
	v_cmp_ne_u32_e32 vcc_lo, 0, v3
	v_add_nc_u32_e32 v10, 0x1000000, v3
	s_delay_alu instid0(VALU_DEP_3) | instskip(NEXT) | instid1(VALU_DEP_1)
	v_min_u32_e32 v5, 32, v5
	v_sub_nc_u32_e64 v5, v5, 4 clamp
	s_delay_alu instid0(VALU_DEP_1) | instskip(NEXT) | instid1(VALU_DEP_1)
	v_dual_lshlrev_b32 v7, v5, v3 :: v_dual_lshlrev_b32 v5, 23, v5
	v_lshrrev_b32_e32 v7, 4, v7
	s_delay_alu instid0(VALU_DEP_1) | instskip(NEXT) | instid1(VALU_DEP_1)
	v_dual_sub_nc_u32 v5, v7, v5 :: v_dual_ashrrev_i32 v7, 8, v10
	v_add_nc_u32_e32 v5, 0x3c000000, v5
	s_delay_alu instid0(VALU_DEP_1) | instskip(NEXT) | instid1(VALU_DEP_1)
	v_and_or_b32 v5, 0x7f800000, v7, v5
	v_cndmask_b32_e32 v3, 0, v5, vcc_lo
	s_delay_alu instid0(VALU_DEP_1) | instskip(NEXT) | instid1(VALU_DEP_1)
	v_and_or_b32 v2, 0x80000000, v2, v3
	v_cvt_f64_f32_e32 v[2:3], v2
.LBB86_1737:
	s_mov_b32 s16, 0
.LBB86_1738:
	s_delay_alu instid0(SALU_CYCLE_1)
	s_and_not1_b32 vcc_lo, exec_lo, s16
	s_cbranch_vccnz .LBB86_1740
; %bb.1739:
	global_load_u8 v2, v[8:9], off
	s_wait_loadcnt 0x0
	v_lshlrev_b32_e32 v3, 25, v2
	v_lshlrev_b16 v2, 8, v2
	s_delay_alu instid0(VALU_DEP_1) | instskip(SKIP_1) | instid1(VALU_DEP_2)
	v_and_or_b32 v7, 0x7f00, v2, 0.5
	v_bfe_i32 v2, v2, 0, 16
	v_add_f32_e32 v7, -0.5, v7
	v_lshrrev_b32_e32 v5, 4, v3
	v_cmp_gt_u32_e32 vcc_lo, 0x8000000, v3
	s_delay_alu instid0(VALU_DEP_2) | instskip(NEXT) | instid1(VALU_DEP_1)
	v_or_b32_e32 v5, 0x70000000, v5
	v_mul_f32_e32 v5, 0x7800000, v5
	s_delay_alu instid0(VALU_DEP_1) | instskip(NEXT) | instid1(VALU_DEP_1)
	v_cndmask_b32_e32 v3, v5, v7, vcc_lo
	v_and_or_b32 v2, 0x80000000, v2, v3
	s_delay_alu instid0(VALU_DEP_1)
	v_cvt_f64_f32_e32 v[2:3], v2
.LBB86_1740:
	s_mov_b32 s16, 0
	s_mov_b32 s19, -1
.LBB86_1741:
	s_and_not1_b32 vcc_lo, exec_lo, s16
	s_mov_b32 s16, 0
	s_cbranch_vccnz .LBB86_1752
; %bb.1742:
	s_cmp_gt_i32 s2, 14
	s_cbranch_scc0 .LBB86_1745
; %bb.1743:
	s_cmp_eq_u32 s2, 15
	s_cbranch_scc0 .LBB86_1748
; %bb.1744:
	global_load_u16 v2, v[8:9], off
	s_mov_b32 s14, 0
	s_mov_b32 s19, -1
	s_wait_loadcnt 0x0
	v_lshlrev_b32_e32 v2, 16, v2
	s_delay_alu instid0(VALU_DEP_1)
	v_cvt_f64_f32_e32 v[2:3], v2
	s_branch .LBB86_1750
.LBB86_1745:
	s_mov_b32 s16, -1
	s_branch .LBB86_1749
.LBB86_1746:
	s_or_saveexec_b32 s19, s19
	v_mov_b64_e32 v[2:3], 0x7ff8000020000000
	s_xor_b32 exec_lo, exec_lo, s19
	s_cbranch_execz .LBB86_1727
.LBB86_1747:
	v_cmp_ne_u16_e32 vcc_lo, 0, v5
	v_mov_b64_e32 v[2:3], 0
	s_and_not1_b32 s16, s16, exec_lo
	s_and_b32 s20, vcc_lo, exec_lo
	s_delay_alu instid0(SALU_CYCLE_1)
	s_or_b32 s16, s16, s20
	s_or_b32 exec_lo, exec_lo, s19
	s_and_saveexec_b32 s19, s16
	s_cbranch_execnz .LBB86_1728
	s_branch .LBB86_1729
.LBB86_1748:
	s_mov_b32 s14, -1
.LBB86_1749:
                                        ; implicit-def: $vgpr2_vgpr3
.LBB86_1750:
	s_and_b32 vcc_lo, exec_lo, s16
	s_mov_b32 s16, 0
	s_cbranch_vccz .LBB86_1752
; %bb.1751:
	s_cmp_lg_u32 s2, 11
	s_mov_b32 s16, -1
	s_cselect_b32 s14, -1, 0
.LBB86_1752:
	s_delay_alu instid0(SALU_CYCLE_1)
	s_and_b32 vcc_lo, exec_lo, s14
	s_cbranch_vccnz .LBB86_1815
; %bb.1753:
	s_and_not1_b32 vcc_lo, exec_lo, s16
	s_cbranch_vccnz .LBB86_1755
.LBB86_1754:
	global_load_u8 v2, v[8:9], off
	s_mov_b32 s19, -1
	s_wait_loadcnt 0x0
	v_cmp_ne_u16_e32 vcc_lo, 0, v2
	v_mov_b32_e32 v2, 0
	v_cndmask_b32_e64 v3, 0, 0x3ff00000, vcc_lo
.LBB86_1755:
	s_branch .LBB86_1681
.LBB86_1756:
	s_and_b32 s2, 0xffff, s1
	s_delay_alu instid0(SALU_CYCLE_1)
	s_cmp_lt_i32 s2, 5
	s_cbranch_scc1 .LBB86_1761
; %bb.1757:
	s_cmp_lt_i32 s2, 8
	s_cbranch_scc1 .LBB86_1762
; %bb.1758:
	;; [unrolled: 3-line block ×3, first 2 shown]
	s_cmp_gt_i32 s2, 9
	s_cbranch_scc0 .LBB86_1764
; %bb.1760:
	global_load_b64 v[2:3], v[8:9], off
	s_mov_b32 s14, 0
	s_branch .LBB86_1765
.LBB86_1761:
                                        ; implicit-def: $vgpr2_vgpr3
	s_branch .LBB86_1783
.LBB86_1762:
	s_mov_b32 s14, -1
                                        ; implicit-def: $vgpr2_vgpr3
	s_branch .LBB86_1771
.LBB86_1763:
	s_mov_b32 s14, -1
                                        ; implicit-def: $vgpr2_vgpr3
	s_branch .LBB86_1768
.LBB86_1764:
	s_mov_b32 s14, -1
                                        ; implicit-def: $vgpr2_vgpr3
.LBB86_1765:
	s_delay_alu instid0(SALU_CYCLE_1)
	s_and_not1_b32 vcc_lo, exec_lo, s14
	s_cbranch_vccnz .LBB86_1767
; %bb.1766:
	s_wait_loadcnt 0x0
	global_load_b32 v2, v[8:9], off
	s_wait_loadcnt 0x0
	v_cvt_f64_f32_e32 v[2:3], v2
.LBB86_1767:
	s_mov_b32 s14, 0
.LBB86_1768:
	s_delay_alu instid0(SALU_CYCLE_1)
	s_and_not1_b32 vcc_lo, exec_lo, s14
	s_cbranch_vccnz .LBB86_1770
; %bb.1769:
	s_wait_loadcnt 0x0
	global_load_b32 v2, v[8:9], off
	s_wait_loadcnt 0x0
	v_cvt_f32_f16_e32 v2, v2
	s_delay_alu instid0(VALU_DEP_1)
	v_cvt_f64_f32_e32 v[2:3], v2
.LBB86_1770:
	s_mov_b32 s14, 0
.LBB86_1771:
	s_delay_alu instid0(SALU_CYCLE_1)
	s_and_not1_b32 vcc_lo, exec_lo, s14
	s_cbranch_vccnz .LBB86_1782
; %bb.1772:
	s_cmp_lt_i32 s2, 6
	s_cbranch_scc1 .LBB86_1775
; %bb.1773:
	s_cmp_gt_i32 s2, 6
	s_cbranch_scc0 .LBB86_1776
; %bb.1774:
	s_wait_loadcnt 0x0
	global_load_b64 v[2:3], v[8:9], off
	s_mov_b32 s14, 0
	s_branch .LBB86_1777
.LBB86_1775:
	s_mov_b32 s14, -1
                                        ; implicit-def: $vgpr2_vgpr3
	s_branch .LBB86_1780
.LBB86_1776:
	s_mov_b32 s14, -1
                                        ; implicit-def: $vgpr2_vgpr3
.LBB86_1777:
	s_delay_alu instid0(SALU_CYCLE_1)
	s_and_not1_b32 vcc_lo, exec_lo, s14
	s_cbranch_vccnz .LBB86_1779
; %bb.1778:
	s_wait_loadcnt 0x0
	global_load_b32 v2, v[8:9], off
	s_wait_loadcnt 0x0
	v_cvt_f64_f32_e32 v[2:3], v2
.LBB86_1779:
	s_mov_b32 s14, 0
.LBB86_1780:
	s_delay_alu instid0(SALU_CYCLE_1)
	s_and_not1_b32 vcc_lo, exec_lo, s14
	s_cbranch_vccnz .LBB86_1782
; %bb.1781:
	s_wait_loadcnt 0x0
	global_load_u16 v2, v[8:9], off
	s_wait_loadcnt 0x0
	v_cvt_f32_f16_e32 v2, v2
	s_delay_alu instid0(VALU_DEP_1)
	v_cvt_f64_f32_e32 v[2:3], v2
.LBB86_1782:
	s_cbranch_execnz .LBB86_1802
.LBB86_1783:
	s_cmp_lt_i32 s2, 2
	s_cbranch_scc1 .LBB86_1787
; %bb.1784:
	s_cmp_lt_i32 s2, 3
	s_cbranch_scc1 .LBB86_1788
; %bb.1785:
	s_cmp_gt_i32 s2, 3
	s_cbranch_scc0 .LBB86_1789
; %bb.1786:
	s_wait_loadcnt 0x0
	global_load_b64 v[2:3], v[8:9], off
	s_mov_b32 s14, 0
	s_wait_loadcnt 0x0
	v_cvt_f64_i32_e32 v[10:11], v3
	v_cvt_f64_u32_e32 v[2:3], v2
	s_delay_alu instid0(VALU_DEP_2) | instskip(NEXT) | instid1(VALU_DEP_1)
	v_ldexp_f64 v[10:11], v[10:11], 32
	v_add_f64_e32 v[2:3], v[10:11], v[2:3]
	s_branch .LBB86_1790
.LBB86_1787:
	s_mov_b32 s14, -1
                                        ; implicit-def: $vgpr2_vgpr3
	s_branch .LBB86_1796
.LBB86_1788:
	s_mov_b32 s14, -1
                                        ; implicit-def: $vgpr2_vgpr3
	s_branch .LBB86_1793
.LBB86_1789:
	s_mov_b32 s14, -1
                                        ; implicit-def: $vgpr2_vgpr3
.LBB86_1790:
	s_delay_alu instid0(SALU_CYCLE_1)
	s_and_not1_b32 vcc_lo, exec_lo, s14
	s_cbranch_vccnz .LBB86_1792
; %bb.1791:
	s_wait_loadcnt 0x0
	global_load_b32 v2, v[8:9], off
	s_wait_loadcnt 0x0
	v_cvt_f64_i32_e32 v[2:3], v2
.LBB86_1792:
	s_mov_b32 s14, 0
.LBB86_1793:
	s_delay_alu instid0(SALU_CYCLE_1)
	s_and_not1_b32 vcc_lo, exec_lo, s14
	s_cbranch_vccnz .LBB86_1795
; %bb.1794:
	s_wait_loadcnt 0x0
	global_load_i16 v2, v[8:9], off
	s_wait_loadcnt 0x0
	v_cvt_f64_i32_e32 v[2:3], v2
.LBB86_1795:
	s_mov_b32 s14, 0
.LBB86_1796:
	s_delay_alu instid0(SALU_CYCLE_1)
	s_and_not1_b32 vcc_lo, exec_lo, s14
	s_cbranch_vccnz .LBB86_1802
; %bb.1797:
	s_cmp_gt_i32 s2, 0
	s_mov_b32 s2, 0
	s_cbranch_scc0 .LBB86_1799
; %bb.1798:
	s_wait_loadcnt 0x0
	global_load_i8 v2, v[8:9], off
	s_wait_loadcnt 0x0
	v_cvt_f64_i32_e32 v[2:3], v2
	s_branch .LBB86_1800
.LBB86_1799:
	s_mov_b32 s2, -1
                                        ; implicit-def: $vgpr2_vgpr3
.LBB86_1800:
	s_delay_alu instid0(SALU_CYCLE_1)
	s_and_not1_b32 vcc_lo, exec_lo, s2
	s_cbranch_vccnz .LBB86_1802
; %bb.1801:
	s_wait_loadcnt 0x0
	global_load_u8 v2, v[8:9], off
	s_wait_loadcnt 0x0
	v_cvt_f64_u32_e32 v[2:3], v2
.LBB86_1802:
.LBB86_1803:
	s_lshl_b32 s2, s9, 7
	s_cmp_lt_i32 s0, 11
	s_wait_xcnt 0x0
	v_add_nc_u32_e32 v8, s2, v4
	s_delay_alu instid0(VALU_DEP_1) | instskip(NEXT) | instid1(VALU_DEP_1)
	v_ashrrev_i32_e32 v9, 31, v8
	v_add_nc_u64_e32 v[10:11], s[6:7], v[8:9]
	s_cbranch_scc1 .LBB86_1810
; %bb.1804:
	s_and_b32 s9, 0xffff, s0
	s_mov_b32 s16, 0
	s_cmp_gt_i32 s9, 25
	s_cbranch_scc0 .LBB86_1812
; %bb.1805:
	s_cmp_gt_i32 s9, 28
	s_cbranch_scc0 .LBB86_1813
; %bb.1806:
	;; [unrolled: 3-line block ×4, first 2 shown]
	s_cmp_eq_u32 s9, 46
	s_mov_b32 s20, 0
	s_cbranch_scc0 .LBB86_1817
; %bb.1809:
	global_load_b32 v4, v[10:11], off
	s_mov_b32 s14, 0
	s_mov_b32 s19, -1
	s_wait_loadcnt 0x0
	v_lshlrev_b32_e32 v4, 16, v4
	s_delay_alu instid0(VALU_DEP_1)
	v_cvt_f64_f32_e32 v[4:5], v4
	s_branch .LBB86_1819
.LBB86_1810:
	s_mov_b32 s19, 0
                                        ; implicit-def: $vgpr4_vgpr5
	s_cbranch_execnz .LBB86_1885
.LBB86_1811:
	s_and_not1_b32 vcc_lo, exec_lo, s19
	s_cbranch_vccnz .LBB86_3022
	s_branch .LBB86_1933
.LBB86_1812:
	s_mov_b32 s20, -1
	s_mov_b32 s19, 0
	s_mov_b32 s14, 0
                                        ; implicit-def: $vgpr4_vgpr5
	s_branch .LBB86_1848
.LBB86_1813:
	s_mov_b32 s20, -1
	s_mov_b32 s19, 0
	s_mov_b32 s14, 0
                                        ; implicit-def: $vgpr4_vgpr5
	s_branch .LBB86_1829
.LBB86_1814:
	s_mov_b32 s20, -1
	s_mov_b32 s19, 0
	s_mov_b32 s14, 0
                                        ; implicit-def: $vgpr4_vgpr5
	s_branch .LBB86_1824
.LBB86_1815:
	s_or_b32 s15, s15, exec_lo
	s_trap 2
	s_cbranch_execz .LBB86_1754
	s_branch .LBB86_1755
.LBB86_1816:
	s_mov_b32 s20, -1
	s_mov_b32 s19, 0
	s_mov_b32 s14, 0
	s_branch .LBB86_1818
.LBB86_1817:
	s_mov_b32 s14, -1
	s_mov_b32 s19, 0
.LBB86_1818:
                                        ; implicit-def: $vgpr4_vgpr5
.LBB86_1819:
	s_and_b32 vcc_lo, exec_lo, s20
	s_cbranch_vccz .LBB86_1823
; %bb.1820:
	s_cmp_eq_u32 s9, 44
	s_cbranch_scc0 .LBB86_1822
; %bb.1821:
	global_load_u8 v7, v[10:11], off
	s_mov_b32 s14, 0
	s_mov_b32 s19, -1
	s_wait_loadcnt 0x0
	v_cmp_ne_u32_e32 vcc_lo, 0xff, v7
	v_lshlrev_b32_e32 v4, 23, v7
	s_delay_alu instid0(VALU_DEP_1) | instskip(NEXT) | instid1(VALU_DEP_1)
	v_cvt_f64_f32_e32 v[4:5], v4
	v_cndmask_b32_e32 v4, 0x20000000, v4, vcc_lo
	s_delay_alu instid0(VALU_DEP_2) | instskip(SKIP_1) | instid1(VALU_DEP_2)
	v_cndmask_b32_e32 v5, 0x7ff80000, v5, vcc_lo
	v_cmp_ne_u32_e32 vcc_lo, 0, v7
	v_cndmask_b32_e32 v5, 0x38000000, v5, vcc_lo
	s_delay_alu instid0(VALU_DEP_4)
	v_cndmask_b32_e32 v4, 0, v4, vcc_lo
	s_branch .LBB86_1823
.LBB86_1822:
	s_mov_b32 s14, -1
                                        ; implicit-def: $vgpr4_vgpr5
.LBB86_1823:
	s_mov_b32 s20, 0
.LBB86_1824:
	s_delay_alu instid0(SALU_CYCLE_1)
	s_and_b32 vcc_lo, exec_lo, s20
	s_cbranch_vccz .LBB86_1828
; %bb.1825:
	s_cmp_eq_u32 s9, 29
	s_cbranch_scc0 .LBB86_1827
; %bb.1826:
	global_load_b64 v[4:5], v[10:11], off
	s_mov_b32 s14, 0
	s_mov_b32 s19, -1
	s_mov_b32 s20, 0
	s_wait_loadcnt 0x0
	v_cvt_f64_u32_e32 v[12:13], v5
	v_cvt_f64_u32_e32 v[4:5], v4
	s_delay_alu instid0(VALU_DEP_2) | instskip(NEXT) | instid1(VALU_DEP_1)
	v_ldexp_f64 v[12:13], v[12:13], 32
	v_add_f64_e32 v[4:5], v[12:13], v[4:5]
	s_branch .LBB86_1829
.LBB86_1827:
	s_mov_b32 s14, -1
                                        ; implicit-def: $vgpr4_vgpr5
.LBB86_1828:
	s_mov_b32 s20, 0
.LBB86_1829:
	s_delay_alu instid0(SALU_CYCLE_1)
	s_and_b32 vcc_lo, exec_lo, s20
	s_cbranch_vccz .LBB86_1847
; %bb.1830:
	s_cmp_lt_i32 s9, 27
	s_cbranch_scc1 .LBB86_1833
; %bb.1831:
	s_cmp_gt_i32 s9, 27
	s_cbranch_scc0 .LBB86_1834
; %bb.1832:
	global_load_b32 v4, v[10:11], off
	s_mov_b32 s19, 0
	s_wait_loadcnt 0x0
	v_cvt_f64_u32_e32 v[4:5], v4
	s_branch .LBB86_1835
.LBB86_1833:
	s_mov_b32 s19, -1
                                        ; implicit-def: $vgpr4_vgpr5
	s_branch .LBB86_1838
.LBB86_1834:
	s_mov_b32 s19, -1
                                        ; implicit-def: $vgpr4_vgpr5
.LBB86_1835:
	s_delay_alu instid0(SALU_CYCLE_1)
	s_and_not1_b32 vcc_lo, exec_lo, s19
	s_cbranch_vccnz .LBB86_1837
; %bb.1836:
	global_load_u16 v4, v[10:11], off
	s_wait_loadcnt 0x0
	v_cvt_f64_u32_e32 v[4:5], v4
.LBB86_1837:
	s_mov_b32 s19, 0
.LBB86_1838:
	s_delay_alu instid0(SALU_CYCLE_1)
	s_and_not1_b32 vcc_lo, exec_lo, s19
	s_cbranch_vccnz .LBB86_1846
; %bb.1839:
	global_load_u8 v7, v[10:11], off
	s_mov_b32 s19, 0
	s_mov_b32 s20, exec_lo
	s_wait_loadcnt 0x0
	v_cmpx_lt_i16_e32 0x7f, v7
	s_xor_b32 s20, exec_lo, s20
	s_cbranch_execz .LBB86_1860
; %bb.1840:
	s_mov_b32 s19, -1
	s_mov_b32 s21, exec_lo
	v_cmpx_eq_u16_e32 0x80, v7
; %bb.1841:
	s_xor_b32 s19, exec_lo, -1
; %bb.1842:
	s_or_b32 exec_lo, exec_lo, s21
	s_delay_alu instid0(SALU_CYCLE_1)
	s_and_b32 s19, s19, exec_lo
	s_or_saveexec_b32 s20, s20
	v_mov_b64_e32 v[4:5], 0x7ff8000020000000
	s_xor_b32 exec_lo, exec_lo, s20
	s_cbranch_execnz .LBB86_1861
.LBB86_1843:
	s_or_b32 exec_lo, exec_lo, s20
	s_and_saveexec_b32 s20, s19
	s_cbranch_execz .LBB86_1845
.LBB86_1844:
	v_and_b32_e32 v4, 0xffff, v7
	s_delay_alu instid0(VALU_DEP_1) | instskip(SKIP_1) | instid1(VALU_DEP_2)
	v_and_b32_e32 v5, 7, v4
	v_bfe_u32 v13, v4, 3, 4
	v_clz_i32_u32_e32 v9, v5
	s_delay_alu instid0(VALU_DEP_2) | instskip(NEXT) | instid1(VALU_DEP_2)
	v_cmp_eq_u32_e32 vcc_lo, 0, v13
	v_min_u32_e32 v9, 32, v9
	s_delay_alu instid0(VALU_DEP_1) | instskip(NEXT) | instid1(VALU_DEP_1)
	v_subrev_nc_u32_e32 v12, 28, v9
	v_dual_lshlrev_b32 v4, v12, v4 :: v_dual_sub_nc_u32 v9, 29, v9
	s_delay_alu instid0(VALU_DEP_1) | instskip(NEXT) | instid1(VALU_DEP_2)
	v_dual_lshlrev_b32 v7, 24, v7 :: v_dual_bitop2_b32 v4, 7, v4 bitop3:0x40
	v_cndmask_b32_e32 v9, v13, v9, vcc_lo
	s_delay_alu instid0(VALU_DEP_2) | instskip(NEXT) | instid1(VALU_DEP_3)
	v_cndmask_b32_e32 v4, v5, v4, vcc_lo
	v_and_b32_e32 v5, 0x80000000, v7
	s_delay_alu instid0(VALU_DEP_3) | instskip(NEXT) | instid1(VALU_DEP_3)
	v_lshl_add_u32 v7, v9, 23, 0x3b800000
	v_lshlrev_b32_e32 v4, 20, v4
	s_delay_alu instid0(VALU_DEP_1) | instskip(NEXT) | instid1(VALU_DEP_1)
	v_or3_b32 v4, v5, v7, v4
	v_cvt_f64_f32_e32 v[4:5], v4
.LBB86_1845:
	s_or_b32 exec_lo, exec_lo, s20
.LBB86_1846:
	s_mov_b32 s19, -1
.LBB86_1847:
	s_mov_b32 s20, 0
.LBB86_1848:
	s_delay_alu instid0(SALU_CYCLE_1)
	s_and_b32 vcc_lo, exec_lo, s20
	s_cbranch_vccz .LBB86_1881
; %bb.1849:
	s_cmp_gt_i32 s9, 22
	s_cbranch_scc0 .LBB86_1859
; %bb.1850:
	s_cmp_lt_i32 s9, 24
	s_cbranch_scc1 .LBB86_1862
; %bb.1851:
	s_cmp_gt_i32 s9, 24
	s_cbranch_scc0 .LBB86_1863
; %bb.1852:
	global_load_u8 v7, v[10:11], off
	s_mov_b32 s19, exec_lo
	s_wait_loadcnt 0x0
	v_cmpx_lt_i16_e32 0x7f, v7
	s_xor_b32 s19, exec_lo, s19
	s_cbranch_execz .LBB86_1875
; %bb.1853:
	s_mov_b32 s16, -1
	s_mov_b32 s20, exec_lo
	v_cmpx_eq_u16_e32 0x80, v7
; %bb.1854:
	s_xor_b32 s16, exec_lo, -1
; %bb.1855:
	s_or_b32 exec_lo, exec_lo, s20
	s_delay_alu instid0(SALU_CYCLE_1)
	s_and_b32 s16, s16, exec_lo
	s_or_saveexec_b32 s19, s19
	v_mov_b64_e32 v[4:5], 0x7ff8000020000000
	s_xor_b32 exec_lo, exec_lo, s19
	s_cbranch_execnz .LBB86_1876
.LBB86_1856:
	s_or_b32 exec_lo, exec_lo, s19
	s_and_saveexec_b32 s19, s16
	s_cbranch_execz .LBB86_1858
.LBB86_1857:
	v_and_b32_e32 v4, 0xffff, v7
	s_delay_alu instid0(VALU_DEP_1) | instskip(SKIP_1) | instid1(VALU_DEP_2)
	v_and_b32_e32 v5, 3, v4
	v_bfe_u32 v13, v4, 2, 5
	v_clz_i32_u32_e32 v9, v5
	s_delay_alu instid0(VALU_DEP_2) | instskip(NEXT) | instid1(VALU_DEP_2)
	v_cmp_eq_u32_e32 vcc_lo, 0, v13
	v_min_u32_e32 v9, 32, v9
	s_delay_alu instid0(VALU_DEP_1) | instskip(NEXT) | instid1(VALU_DEP_1)
	v_subrev_nc_u32_e32 v12, 29, v9
	v_dual_lshlrev_b32 v4, v12, v4 :: v_dual_sub_nc_u32 v9, 30, v9
	s_delay_alu instid0(VALU_DEP_1) | instskip(NEXT) | instid1(VALU_DEP_2)
	v_dual_lshlrev_b32 v7, 24, v7 :: v_dual_bitop2_b32 v4, 3, v4 bitop3:0x40
	v_cndmask_b32_e32 v9, v13, v9, vcc_lo
	s_delay_alu instid0(VALU_DEP_2) | instskip(NEXT) | instid1(VALU_DEP_3)
	v_cndmask_b32_e32 v4, v5, v4, vcc_lo
	v_and_b32_e32 v5, 0x80000000, v7
	s_delay_alu instid0(VALU_DEP_3) | instskip(NEXT) | instid1(VALU_DEP_3)
	v_lshl_add_u32 v7, v9, 23, 0x37800000
	v_lshlrev_b32_e32 v4, 21, v4
	s_delay_alu instid0(VALU_DEP_1) | instskip(NEXT) | instid1(VALU_DEP_1)
	v_or3_b32 v4, v5, v7, v4
	v_cvt_f64_f32_e32 v[4:5], v4
.LBB86_1858:
	s_or_b32 exec_lo, exec_lo, s19
	s_mov_b32 s16, 0
	s_branch .LBB86_1864
.LBB86_1859:
	s_mov_b32 s16, -1
                                        ; implicit-def: $vgpr4_vgpr5
	s_branch .LBB86_1870
.LBB86_1860:
	s_or_saveexec_b32 s20, s20
	v_mov_b64_e32 v[4:5], 0x7ff8000020000000
	s_xor_b32 exec_lo, exec_lo, s20
	s_cbranch_execz .LBB86_1843
.LBB86_1861:
	v_cmp_ne_u16_e32 vcc_lo, 0, v7
	v_mov_b64_e32 v[4:5], 0
	s_and_not1_b32 s19, s19, exec_lo
	s_and_b32 s21, vcc_lo, exec_lo
	s_delay_alu instid0(SALU_CYCLE_1)
	s_or_b32 s19, s19, s21
	s_or_b32 exec_lo, exec_lo, s20
	s_and_saveexec_b32 s20, s19
	s_cbranch_execnz .LBB86_1844
	s_branch .LBB86_1845
.LBB86_1862:
	s_mov_b32 s16, -1
                                        ; implicit-def: $vgpr4_vgpr5
	s_branch .LBB86_1867
.LBB86_1863:
	s_mov_b32 s16, -1
                                        ; implicit-def: $vgpr4_vgpr5
.LBB86_1864:
	s_delay_alu instid0(SALU_CYCLE_1)
	s_and_b32 vcc_lo, exec_lo, s16
	s_cbranch_vccz .LBB86_1866
; %bb.1865:
	global_load_u8 v4, v[10:11], off
	s_wait_loadcnt 0x0
	v_lshlrev_b32_e32 v4, 24, v4
	s_delay_alu instid0(VALU_DEP_1) | instskip(NEXT) | instid1(VALU_DEP_1)
	v_and_b32_e32 v5, 0x7f000000, v4
	v_clz_i32_u32_e32 v7, v5
	v_cmp_ne_u32_e32 vcc_lo, 0, v5
	v_add_nc_u32_e32 v12, 0x1000000, v5
	s_delay_alu instid0(VALU_DEP_3) | instskip(NEXT) | instid1(VALU_DEP_1)
	v_min_u32_e32 v7, 32, v7
	v_sub_nc_u32_e64 v7, v7, 4 clamp
	s_delay_alu instid0(VALU_DEP_1) | instskip(NEXT) | instid1(VALU_DEP_1)
	v_dual_lshlrev_b32 v9, v7, v5 :: v_dual_lshlrev_b32 v7, 23, v7
	v_lshrrev_b32_e32 v9, 4, v9
	s_delay_alu instid0(VALU_DEP_1) | instskip(NEXT) | instid1(VALU_DEP_1)
	v_dual_sub_nc_u32 v7, v9, v7 :: v_dual_ashrrev_i32 v9, 8, v12
	v_add_nc_u32_e32 v7, 0x3c000000, v7
	s_delay_alu instid0(VALU_DEP_1) | instskip(NEXT) | instid1(VALU_DEP_1)
	v_and_or_b32 v7, 0x7f800000, v9, v7
	v_cndmask_b32_e32 v5, 0, v7, vcc_lo
	s_delay_alu instid0(VALU_DEP_1) | instskip(NEXT) | instid1(VALU_DEP_1)
	v_and_or_b32 v4, 0x80000000, v4, v5
	v_cvt_f64_f32_e32 v[4:5], v4
.LBB86_1866:
	s_mov_b32 s16, 0
.LBB86_1867:
	s_delay_alu instid0(SALU_CYCLE_1)
	s_and_not1_b32 vcc_lo, exec_lo, s16
	s_cbranch_vccnz .LBB86_1869
; %bb.1868:
	global_load_u8 v4, v[10:11], off
	s_wait_loadcnt 0x0
	v_lshlrev_b32_e32 v5, 25, v4
	v_lshlrev_b16 v4, 8, v4
	s_delay_alu instid0(VALU_DEP_1) | instskip(SKIP_1) | instid1(VALU_DEP_2)
	v_and_or_b32 v9, 0x7f00, v4, 0.5
	v_bfe_i32 v4, v4, 0, 16
	v_add_f32_e32 v9, -0.5, v9
	v_lshrrev_b32_e32 v7, 4, v5
	v_cmp_gt_u32_e32 vcc_lo, 0x8000000, v5
	s_delay_alu instid0(VALU_DEP_2) | instskip(NEXT) | instid1(VALU_DEP_1)
	v_or_b32_e32 v7, 0x70000000, v7
	v_mul_f32_e32 v7, 0x7800000, v7
	s_delay_alu instid0(VALU_DEP_1) | instskip(NEXT) | instid1(VALU_DEP_1)
	v_cndmask_b32_e32 v5, v7, v9, vcc_lo
	v_and_or_b32 v4, 0x80000000, v4, v5
	s_delay_alu instid0(VALU_DEP_1)
	v_cvt_f64_f32_e32 v[4:5], v4
.LBB86_1869:
	s_mov_b32 s16, 0
	s_mov_b32 s19, -1
.LBB86_1870:
	s_and_not1_b32 vcc_lo, exec_lo, s16
	s_mov_b32 s16, 0
	s_cbranch_vccnz .LBB86_1881
; %bb.1871:
	s_cmp_gt_i32 s9, 14
	s_cbranch_scc0 .LBB86_1874
; %bb.1872:
	s_cmp_eq_u32 s9, 15
	s_cbranch_scc0 .LBB86_1877
; %bb.1873:
	global_load_u16 v4, v[10:11], off
	s_mov_b32 s14, 0
	s_mov_b32 s19, -1
	s_wait_loadcnt 0x0
	v_lshlrev_b32_e32 v4, 16, v4
	s_delay_alu instid0(VALU_DEP_1)
	v_cvt_f64_f32_e32 v[4:5], v4
	s_branch .LBB86_1879
.LBB86_1874:
	s_mov_b32 s16, -1
	s_branch .LBB86_1878
.LBB86_1875:
	s_or_saveexec_b32 s19, s19
	v_mov_b64_e32 v[4:5], 0x7ff8000020000000
	s_xor_b32 exec_lo, exec_lo, s19
	s_cbranch_execz .LBB86_1856
.LBB86_1876:
	v_cmp_ne_u16_e32 vcc_lo, 0, v7
	v_mov_b64_e32 v[4:5], 0
	s_and_not1_b32 s16, s16, exec_lo
	s_and_b32 s20, vcc_lo, exec_lo
	s_delay_alu instid0(SALU_CYCLE_1)
	s_or_b32 s16, s16, s20
	s_or_b32 exec_lo, exec_lo, s19
	s_and_saveexec_b32 s19, s16
	s_cbranch_execnz .LBB86_1857
	s_branch .LBB86_1858
.LBB86_1877:
	s_mov_b32 s14, -1
.LBB86_1878:
                                        ; implicit-def: $vgpr4_vgpr5
.LBB86_1879:
	s_and_b32 vcc_lo, exec_lo, s16
	s_mov_b32 s16, 0
	s_cbranch_vccz .LBB86_1881
; %bb.1880:
	s_cmp_lg_u32 s9, 11
	s_mov_b32 s16, -1
	s_cselect_b32 s14, -1, 0
.LBB86_1881:
	s_delay_alu instid0(SALU_CYCLE_1)
	s_and_b32 vcc_lo, exec_lo, s14
	s_cbranch_vccnz .LBB86_1944
; %bb.1882:
	s_and_not1_b32 vcc_lo, exec_lo, s16
	s_cbranch_vccnz .LBB86_1884
.LBB86_1883:
	global_load_u8 v4, v[10:11], off
	s_mov_b32 s19, -1
	s_wait_loadcnt 0x0
	v_cmp_ne_u16_e32 vcc_lo, 0, v4
	v_mov_b32_e32 v4, 0
	v_cndmask_b32_e64 v5, 0, 0x3ff00000, vcc_lo
.LBB86_1884:
	s_branch .LBB86_1811
.LBB86_1885:
	s_and_b32 s9, 0xffff, s0
	s_delay_alu instid0(SALU_CYCLE_1)
	s_cmp_lt_i32 s9, 5
	s_cbranch_scc1 .LBB86_1890
; %bb.1886:
	s_cmp_lt_i32 s9, 8
	s_cbranch_scc1 .LBB86_1891
; %bb.1887:
	;; [unrolled: 3-line block ×3, first 2 shown]
	s_cmp_gt_i32 s9, 9
	s_cbranch_scc0 .LBB86_1893
; %bb.1889:
	global_load_b64 v[4:5], v[10:11], off
	s_mov_b32 s14, 0
	s_branch .LBB86_1894
.LBB86_1890:
	s_mov_b32 s14, -1
                                        ; implicit-def: $vgpr4_vgpr5
	s_branch .LBB86_1912
.LBB86_1891:
	s_mov_b32 s14, -1
                                        ; implicit-def: $vgpr4_vgpr5
	s_branch .LBB86_1900
.LBB86_1892:
	s_mov_b32 s14, -1
                                        ; implicit-def: $vgpr4_vgpr5
	s_branch .LBB86_1897
.LBB86_1893:
	s_mov_b32 s14, -1
                                        ; implicit-def: $vgpr4_vgpr5
.LBB86_1894:
	s_delay_alu instid0(SALU_CYCLE_1)
	s_and_not1_b32 vcc_lo, exec_lo, s14
	s_cbranch_vccnz .LBB86_1896
; %bb.1895:
	s_wait_loadcnt 0x0
	global_load_b32 v4, v[10:11], off
	s_wait_loadcnt 0x0
	v_cvt_f64_f32_e32 v[4:5], v4
.LBB86_1896:
	s_mov_b32 s14, 0
.LBB86_1897:
	s_delay_alu instid0(SALU_CYCLE_1)
	s_and_not1_b32 vcc_lo, exec_lo, s14
	s_cbranch_vccnz .LBB86_1899
; %bb.1898:
	s_wait_loadcnt 0x0
	global_load_b32 v4, v[10:11], off
	s_wait_loadcnt 0x0
	v_cvt_f32_f16_e32 v4, v4
	s_delay_alu instid0(VALU_DEP_1)
	v_cvt_f64_f32_e32 v[4:5], v4
.LBB86_1899:
	s_mov_b32 s14, 0
.LBB86_1900:
	s_delay_alu instid0(SALU_CYCLE_1)
	s_and_not1_b32 vcc_lo, exec_lo, s14
	s_cbranch_vccnz .LBB86_1911
; %bb.1901:
	s_cmp_lt_i32 s9, 6
	s_cbranch_scc1 .LBB86_1904
; %bb.1902:
	s_cmp_gt_i32 s9, 6
	s_cbranch_scc0 .LBB86_1905
; %bb.1903:
	s_wait_loadcnt 0x0
	global_load_b64 v[4:5], v[10:11], off
	s_mov_b32 s14, 0
	s_branch .LBB86_1906
.LBB86_1904:
	s_mov_b32 s14, -1
                                        ; implicit-def: $vgpr4_vgpr5
	s_branch .LBB86_1909
.LBB86_1905:
	s_mov_b32 s14, -1
                                        ; implicit-def: $vgpr4_vgpr5
.LBB86_1906:
	s_delay_alu instid0(SALU_CYCLE_1)
	s_and_not1_b32 vcc_lo, exec_lo, s14
	s_cbranch_vccnz .LBB86_1908
; %bb.1907:
	s_wait_loadcnt 0x0
	global_load_b32 v4, v[10:11], off
	s_wait_loadcnt 0x0
	v_cvt_f64_f32_e32 v[4:5], v4
.LBB86_1908:
	s_mov_b32 s14, 0
.LBB86_1909:
	s_delay_alu instid0(SALU_CYCLE_1)
	s_and_not1_b32 vcc_lo, exec_lo, s14
	s_cbranch_vccnz .LBB86_1911
; %bb.1910:
	s_wait_loadcnt 0x0
	global_load_u16 v4, v[10:11], off
	s_wait_loadcnt 0x0
	v_cvt_f32_f16_e32 v4, v4
	s_delay_alu instid0(VALU_DEP_1)
	v_cvt_f64_f32_e32 v[4:5], v4
.LBB86_1911:
	s_mov_b32 s14, 0
.LBB86_1912:
	s_delay_alu instid0(SALU_CYCLE_1)
	s_and_not1_b32 vcc_lo, exec_lo, s14
	s_cbranch_vccnz .LBB86_1932
; %bb.1913:
	s_cmp_lt_i32 s9, 2
	s_cbranch_scc1 .LBB86_1917
; %bb.1914:
	s_cmp_lt_i32 s9, 3
	s_cbranch_scc1 .LBB86_1918
; %bb.1915:
	s_cmp_gt_i32 s9, 3
	s_cbranch_scc0 .LBB86_1919
; %bb.1916:
	s_wait_loadcnt 0x0
	global_load_b64 v[4:5], v[10:11], off
	s_mov_b32 s14, 0
	s_wait_loadcnt 0x0
	v_cvt_f64_i32_e32 v[12:13], v5
	v_cvt_f64_u32_e32 v[4:5], v4
	s_delay_alu instid0(VALU_DEP_2) | instskip(NEXT) | instid1(VALU_DEP_1)
	v_ldexp_f64 v[12:13], v[12:13], 32
	v_add_f64_e32 v[4:5], v[12:13], v[4:5]
	s_branch .LBB86_1920
.LBB86_1917:
	s_mov_b32 s14, -1
                                        ; implicit-def: $vgpr4_vgpr5
	s_branch .LBB86_1926
.LBB86_1918:
	s_mov_b32 s14, -1
                                        ; implicit-def: $vgpr4_vgpr5
	s_branch .LBB86_1923
.LBB86_1919:
	s_mov_b32 s14, -1
                                        ; implicit-def: $vgpr4_vgpr5
.LBB86_1920:
	s_delay_alu instid0(SALU_CYCLE_1)
	s_and_not1_b32 vcc_lo, exec_lo, s14
	s_cbranch_vccnz .LBB86_1922
; %bb.1921:
	s_wait_loadcnt 0x0
	global_load_b32 v4, v[10:11], off
	s_wait_loadcnt 0x0
	v_cvt_f64_i32_e32 v[4:5], v4
.LBB86_1922:
	s_mov_b32 s14, 0
.LBB86_1923:
	s_delay_alu instid0(SALU_CYCLE_1)
	s_and_not1_b32 vcc_lo, exec_lo, s14
	s_cbranch_vccnz .LBB86_1925
; %bb.1924:
	s_wait_loadcnt 0x0
	global_load_i16 v4, v[10:11], off
	s_wait_loadcnt 0x0
	v_cvt_f64_i32_e32 v[4:5], v4
.LBB86_1925:
	s_mov_b32 s14, 0
.LBB86_1926:
	s_delay_alu instid0(SALU_CYCLE_1)
	s_and_not1_b32 vcc_lo, exec_lo, s14
	s_cbranch_vccnz .LBB86_1932
; %bb.1927:
	s_cmp_gt_i32 s9, 0
	s_mov_b32 s9, 0
	s_cbranch_scc0 .LBB86_1929
; %bb.1928:
	s_wait_loadcnt 0x0
	global_load_i8 v4, v[10:11], off
	s_wait_loadcnt 0x0
	v_cvt_f64_i32_e32 v[4:5], v4
	s_branch .LBB86_1930
.LBB86_1929:
	s_mov_b32 s9, -1
                                        ; implicit-def: $vgpr4_vgpr5
.LBB86_1930:
	s_delay_alu instid0(SALU_CYCLE_1)
	s_and_not1_b32 vcc_lo, exec_lo, s9
	s_cbranch_vccnz .LBB86_1932
; %bb.1931:
	s_wait_loadcnt 0x0
	global_load_u8 v4, v[10:11], off
	s_wait_loadcnt 0x0
	v_cvt_f64_u32_e32 v[4:5], v4
.LBB86_1932:
.LBB86_1933:
	s_lshl_b32 s9, s10, 7
	s_cmp_lt_i32 s1, 11
	s_wait_xcnt 0x0
	v_add_nc_u32_e32 v10, s9, v6
	s_delay_alu instid0(VALU_DEP_1) | instskip(NEXT) | instid1(VALU_DEP_1)
	v_ashrrev_i32_e32 v11, 31, v10
	v_add_nc_u64_e32 v[12:13], s[12:13], v[10:11]
	s_cbranch_scc1 .LBB86_1940
; %bb.1934:
	s_and_b32 s10, 0xffff, s1
	s_mov_b32 s16, 0
	s_cmp_gt_i32 s10, 25
	s_cbranch_scc0 .LBB86_1941
; %bb.1935:
	s_cmp_gt_i32 s10, 28
	s_cbranch_scc0 .LBB86_1942
; %bb.1936:
	;; [unrolled: 3-line block ×4, first 2 shown]
	s_cmp_eq_u32 s10, 46
	s_mov_b32 s20, 0
	s_cbranch_scc0 .LBB86_1946
; %bb.1939:
	global_load_b32 v6, v[12:13], off
	s_mov_b32 s14, 0
	s_mov_b32 s19, -1
	s_wait_loadcnt 0x0
	v_lshlrev_b32_e32 v6, 16, v6
	s_delay_alu instid0(VALU_DEP_1)
	v_cvt_f64_f32_e32 v[6:7], v6
	s_branch .LBB86_1948
.LBB86_1940:
	s_mov_b32 s10, -1
	s_mov_b32 s19, 0
                                        ; implicit-def: $vgpr6_vgpr7
	s_branch .LBB86_2014
.LBB86_1941:
	s_mov_b32 s20, -1
	s_mov_b32 s19, 0
	s_mov_b32 s14, 0
                                        ; implicit-def: $vgpr6_vgpr7
	s_branch .LBB86_1977
.LBB86_1942:
	s_mov_b32 s20, -1
	s_mov_b32 s19, 0
	s_mov_b32 s14, 0
                                        ; implicit-def: $vgpr6_vgpr7
	s_branch .LBB86_1958
.LBB86_1943:
	s_mov_b32 s20, -1
	s_mov_b32 s19, 0
	s_mov_b32 s14, 0
                                        ; implicit-def: $vgpr6_vgpr7
	s_branch .LBB86_1953
.LBB86_1944:
	s_or_b32 s15, s15, exec_lo
	s_trap 2
	s_cbranch_execz .LBB86_1883
	s_branch .LBB86_1884
.LBB86_1945:
	s_mov_b32 s20, -1
	s_mov_b32 s19, 0
	s_mov_b32 s14, 0
	s_branch .LBB86_1947
.LBB86_1946:
	s_mov_b32 s14, -1
	s_mov_b32 s19, 0
.LBB86_1947:
                                        ; implicit-def: $vgpr6_vgpr7
.LBB86_1948:
	s_and_b32 vcc_lo, exec_lo, s20
	s_cbranch_vccz .LBB86_1952
; %bb.1949:
	s_cmp_eq_u32 s10, 44
	s_cbranch_scc0 .LBB86_1951
; %bb.1950:
	global_load_u8 v9, v[12:13], off
	s_mov_b32 s14, 0
	s_mov_b32 s19, -1
	s_wait_loadcnt 0x0
	v_cmp_ne_u32_e32 vcc_lo, 0xff, v9
	v_lshlrev_b32_e32 v6, 23, v9
	s_delay_alu instid0(VALU_DEP_1) | instskip(NEXT) | instid1(VALU_DEP_1)
	v_cvt_f64_f32_e32 v[6:7], v6
	v_cndmask_b32_e32 v6, 0x20000000, v6, vcc_lo
	s_delay_alu instid0(VALU_DEP_2) | instskip(SKIP_1) | instid1(VALU_DEP_2)
	v_cndmask_b32_e32 v7, 0x7ff80000, v7, vcc_lo
	v_cmp_ne_u32_e32 vcc_lo, 0, v9
	v_cndmask_b32_e32 v7, 0x38000000, v7, vcc_lo
	s_delay_alu instid0(VALU_DEP_4)
	v_cndmask_b32_e32 v6, 0, v6, vcc_lo
	s_branch .LBB86_1952
.LBB86_1951:
	s_mov_b32 s14, -1
                                        ; implicit-def: $vgpr6_vgpr7
.LBB86_1952:
	s_mov_b32 s20, 0
.LBB86_1953:
	s_delay_alu instid0(SALU_CYCLE_1)
	s_and_b32 vcc_lo, exec_lo, s20
	s_cbranch_vccz .LBB86_1957
; %bb.1954:
	s_cmp_eq_u32 s10, 29
	s_cbranch_scc0 .LBB86_1956
; %bb.1955:
	global_load_b64 v[6:7], v[12:13], off
	s_mov_b32 s14, 0
	s_mov_b32 s19, -1
	s_mov_b32 s20, 0
	s_wait_loadcnt 0x0
	v_cvt_f64_u32_e32 v[14:15], v7
	v_cvt_f64_u32_e32 v[6:7], v6
	s_delay_alu instid0(VALU_DEP_2) | instskip(NEXT) | instid1(VALU_DEP_1)
	v_ldexp_f64 v[14:15], v[14:15], 32
	v_add_f64_e32 v[6:7], v[14:15], v[6:7]
	s_branch .LBB86_1958
.LBB86_1956:
	s_mov_b32 s14, -1
                                        ; implicit-def: $vgpr6_vgpr7
.LBB86_1957:
	s_mov_b32 s20, 0
.LBB86_1958:
	s_delay_alu instid0(SALU_CYCLE_1)
	s_and_b32 vcc_lo, exec_lo, s20
	s_cbranch_vccz .LBB86_1976
; %bb.1959:
	s_cmp_lt_i32 s10, 27
	s_cbranch_scc1 .LBB86_1962
; %bb.1960:
	s_cmp_gt_i32 s10, 27
	s_cbranch_scc0 .LBB86_1963
; %bb.1961:
	global_load_b32 v6, v[12:13], off
	s_mov_b32 s19, 0
	s_wait_loadcnt 0x0
	v_cvt_f64_u32_e32 v[6:7], v6
	s_branch .LBB86_1964
.LBB86_1962:
	s_mov_b32 s19, -1
                                        ; implicit-def: $vgpr6_vgpr7
	s_branch .LBB86_1967
.LBB86_1963:
	s_mov_b32 s19, -1
                                        ; implicit-def: $vgpr6_vgpr7
.LBB86_1964:
	s_delay_alu instid0(SALU_CYCLE_1)
	s_and_not1_b32 vcc_lo, exec_lo, s19
	s_cbranch_vccnz .LBB86_1966
; %bb.1965:
	global_load_u16 v6, v[12:13], off
	s_wait_loadcnt 0x0
	v_cvt_f64_u32_e32 v[6:7], v6
.LBB86_1966:
	s_mov_b32 s19, 0
.LBB86_1967:
	s_delay_alu instid0(SALU_CYCLE_1)
	s_and_not1_b32 vcc_lo, exec_lo, s19
	s_cbranch_vccnz .LBB86_1975
; %bb.1968:
	global_load_u8 v9, v[12:13], off
	s_mov_b32 s19, 0
	s_mov_b32 s20, exec_lo
	s_wait_loadcnt 0x0
	v_cmpx_lt_i16_e32 0x7f, v9
	s_xor_b32 s20, exec_lo, s20
	s_cbranch_execz .LBB86_1989
; %bb.1969:
	s_mov_b32 s19, -1
	s_mov_b32 s21, exec_lo
	v_cmpx_eq_u16_e32 0x80, v9
; %bb.1970:
	s_xor_b32 s19, exec_lo, -1
; %bb.1971:
	s_or_b32 exec_lo, exec_lo, s21
	s_delay_alu instid0(SALU_CYCLE_1)
	s_and_b32 s19, s19, exec_lo
	s_or_saveexec_b32 s20, s20
	v_mov_b64_e32 v[6:7], 0x7ff8000020000000
	s_xor_b32 exec_lo, exec_lo, s20
	s_cbranch_execnz .LBB86_1990
.LBB86_1972:
	s_or_b32 exec_lo, exec_lo, s20
	s_and_saveexec_b32 s20, s19
	s_cbranch_execz .LBB86_1974
.LBB86_1973:
	v_and_b32_e32 v6, 0xffff, v9
	s_delay_alu instid0(VALU_DEP_1) | instskip(SKIP_1) | instid1(VALU_DEP_2)
	v_and_b32_e32 v7, 7, v6
	v_bfe_u32 v15, v6, 3, 4
	v_clz_i32_u32_e32 v11, v7
	s_delay_alu instid0(VALU_DEP_2) | instskip(NEXT) | instid1(VALU_DEP_2)
	v_cmp_eq_u32_e32 vcc_lo, 0, v15
	v_min_u32_e32 v11, 32, v11
	s_delay_alu instid0(VALU_DEP_1) | instskip(NEXT) | instid1(VALU_DEP_1)
	v_subrev_nc_u32_e32 v14, 28, v11
	v_dual_lshlrev_b32 v6, v14, v6 :: v_dual_sub_nc_u32 v11, 29, v11
	s_delay_alu instid0(VALU_DEP_1) | instskip(NEXT) | instid1(VALU_DEP_2)
	v_dual_lshlrev_b32 v9, 24, v9 :: v_dual_bitop2_b32 v6, 7, v6 bitop3:0x40
	v_cndmask_b32_e32 v11, v15, v11, vcc_lo
	s_delay_alu instid0(VALU_DEP_2) | instskip(NEXT) | instid1(VALU_DEP_3)
	v_cndmask_b32_e32 v6, v7, v6, vcc_lo
	v_and_b32_e32 v7, 0x80000000, v9
	s_delay_alu instid0(VALU_DEP_3) | instskip(NEXT) | instid1(VALU_DEP_3)
	v_lshl_add_u32 v9, v11, 23, 0x3b800000
	v_lshlrev_b32_e32 v6, 20, v6
	s_delay_alu instid0(VALU_DEP_1) | instskip(NEXT) | instid1(VALU_DEP_1)
	v_or3_b32 v6, v7, v9, v6
	v_cvt_f64_f32_e32 v[6:7], v6
.LBB86_1974:
	s_or_b32 exec_lo, exec_lo, s20
.LBB86_1975:
	s_mov_b32 s19, -1
.LBB86_1976:
	s_mov_b32 s20, 0
.LBB86_1977:
	s_delay_alu instid0(SALU_CYCLE_1)
	s_and_b32 vcc_lo, exec_lo, s20
	s_cbranch_vccz .LBB86_2010
; %bb.1978:
	s_cmp_gt_i32 s10, 22
	s_cbranch_scc0 .LBB86_1988
; %bb.1979:
	s_cmp_lt_i32 s10, 24
	s_cbranch_scc1 .LBB86_1991
; %bb.1980:
	s_cmp_gt_i32 s10, 24
	s_cbranch_scc0 .LBB86_1992
; %bb.1981:
	global_load_u8 v9, v[12:13], off
	s_mov_b32 s19, exec_lo
	s_wait_loadcnt 0x0
	v_cmpx_lt_i16_e32 0x7f, v9
	s_xor_b32 s19, exec_lo, s19
	s_cbranch_execz .LBB86_2004
; %bb.1982:
	s_mov_b32 s16, -1
	s_mov_b32 s20, exec_lo
	v_cmpx_eq_u16_e32 0x80, v9
; %bb.1983:
	s_xor_b32 s16, exec_lo, -1
; %bb.1984:
	s_or_b32 exec_lo, exec_lo, s20
	s_delay_alu instid0(SALU_CYCLE_1)
	s_and_b32 s16, s16, exec_lo
	s_or_saveexec_b32 s19, s19
	v_mov_b64_e32 v[6:7], 0x7ff8000020000000
	s_xor_b32 exec_lo, exec_lo, s19
	s_cbranch_execnz .LBB86_2005
.LBB86_1985:
	s_or_b32 exec_lo, exec_lo, s19
	s_and_saveexec_b32 s19, s16
	s_cbranch_execz .LBB86_1987
.LBB86_1986:
	v_and_b32_e32 v6, 0xffff, v9
	s_delay_alu instid0(VALU_DEP_1) | instskip(SKIP_1) | instid1(VALU_DEP_2)
	v_and_b32_e32 v7, 3, v6
	v_bfe_u32 v15, v6, 2, 5
	v_clz_i32_u32_e32 v11, v7
	s_delay_alu instid0(VALU_DEP_2) | instskip(NEXT) | instid1(VALU_DEP_2)
	v_cmp_eq_u32_e32 vcc_lo, 0, v15
	v_min_u32_e32 v11, 32, v11
	s_delay_alu instid0(VALU_DEP_1) | instskip(NEXT) | instid1(VALU_DEP_1)
	v_subrev_nc_u32_e32 v14, 29, v11
	v_dual_lshlrev_b32 v6, v14, v6 :: v_dual_sub_nc_u32 v11, 30, v11
	s_delay_alu instid0(VALU_DEP_1) | instskip(NEXT) | instid1(VALU_DEP_2)
	v_dual_lshlrev_b32 v9, 24, v9 :: v_dual_bitop2_b32 v6, 3, v6 bitop3:0x40
	v_cndmask_b32_e32 v11, v15, v11, vcc_lo
	s_delay_alu instid0(VALU_DEP_2) | instskip(NEXT) | instid1(VALU_DEP_3)
	v_cndmask_b32_e32 v6, v7, v6, vcc_lo
	v_and_b32_e32 v7, 0x80000000, v9
	s_delay_alu instid0(VALU_DEP_3) | instskip(NEXT) | instid1(VALU_DEP_3)
	v_lshl_add_u32 v9, v11, 23, 0x37800000
	v_lshlrev_b32_e32 v6, 21, v6
	s_delay_alu instid0(VALU_DEP_1) | instskip(NEXT) | instid1(VALU_DEP_1)
	v_or3_b32 v6, v7, v9, v6
	v_cvt_f64_f32_e32 v[6:7], v6
.LBB86_1987:
	s_or_b32 exec_lo, exec_lo, s19
	s_mov_b32 s16, 0
	s_branch .LBB86_1993
.LBB86_1988:
	s_mov_b32 s16, -1
                                        ; implicit-def: $vgpr6_vgpr7
	s_branch .LBB86_1999
.LBB86_1989:
	s_or_saveexec_b32 s20, s20
	v_mov_b64_e32 v[6:7], 0x7ff8000020000000
	s_xor_b32 exec_lo, exec_lo, s20
	s_cbranch_execz .LBB86_1972
.LBB86_1990:
	v_cmp_ne_u16_e32 vcc_lo, 0, v9
	v_mov_b64_e32 v[6:7], 0
	s_and_not1_b32 s19, s19, exec_lo
	s_and_b32 s21, vcc_lo, exec_lo
	s_delay_alu instid0(SALU_CYCLE_1)
	s_or_b32 s19, s19, s21
	s_or_b32 exec_lo, exec_lo, s20
	s_and_saveexec_b32 s20, s19
	s_cbranch_execnz .LBB86_1973
	s_branch .LBB86_1974
.LBB86_1991:
	s_mov_b32 s16, -1
                                        ; implicit-def: $vgpr6_vgpr7
	s_branch .LBB86_1996
.LBB86_1992:
	s_mov_b32 s16, -1
                                        ; implicit-def: $vgpr6_vgpr7
.LBB86_1993:
	s_delay_alu instid0(SALU_CYCLE_1)
	s_and_b32 vcc_lo, exec_lo, s16
	s_cbranch_vccz .LBB86_1995
; %bb.1994:
	global_load_u8 v6, v[12:13], off
	s_wait_loadcnt 0x0
	v_lshlrev_b32_e32 v6, 24, v6
	s_delay_alu instid0(VALU_DEP_1) | instskip(NEXT) | instid1(VALU_DEP_1)
	v_and_b32_e32 v7, 0x7f000000, v6
	v_clz_i32_u32_e32 v9, v7
	v_cmp_ne_u32_e32 vcc_lo, 0, v7
	v_add_nc_u32_e32 v14, 0x1000000, v7
	s_delay_alu instid0(VALU_DEP_3) | instskip(NEXT) | instid1(VALU_DEP_1)
	v_min_u32_e32 v9, 32, v9
	v_sub_nc_u32_e64 v9, v9, 4 clamp
	s_delay_alu instid0(VALU_DEP_1) | instskip(NEXT) | instid1(VALU_DEP_1)
	v_dual_lshlrev_b32 v11, v9, v7 :: v_dual_lshlrev_b32 v9, 23, v9
	v_lshrrev_b32_e32 v11, 4, v11
	s_delay_alu instid0(VALU_DEP_1) | instskip(NEXT) | instid1(VALU_DEP_1)
	v_dual_sub_nc_u32 v9, v11, v9 :: v_dual_ashrrev_i32 v11, 8, v14
	v_add_nc_u32_e32 v9, 0x3c000000, v9
	s_delay_alu instid0(VALU_DEP_1) | instskip(NEXT) | instid1(VALU_DEP_1)
	v_and_or_b32 v9, 0x7f800000, v11, v9
	v_cndmask_b32_e32 v7, 0, v9, vcc_lo
	s_delay_alu instid0(VALU_DEP_1) | instskip(NEXT) | instid1(VALU_DEP_1)
	v_and_or_b32 v6, 0x80000000, v6, v7
	v_cvt_f64_f32_e32 v[6:7], v6
.LBB86_1995:
	s_mov_b32 s16, 0
.LBB86_1996:
	s_delay_alu instid0(SALU_CYCLE_1)
	s_and_not1_b32 vcc_lo, exec_lo, s16
	s_cbranch_vccnz .LBB86_1998
; %bb.1997:
	global_load_u8 v6, v[12:13], off
	s_wait_loadcnt 0x0
	v_lshlrev_b32_e32 v7, 25, v6
	v_lshlrev_b16 v6, 8, v6
	s_delay_alu instid0(VALU_DEP_1) | instskip(SKIP_1) | instid1(VALU_DEP_2)
	v_and_or_b32 v11, 0x7f00, v6, 0.5
	v_bfe_i32 v6, v6, 0, 16
	v_add_f32_e32 v11, -0.5, v11
	v_lshrrev_b32_e32 v9, 4, v7
	v_cmp_gt_u32_e32 vcc_lo, 0x8000000, v7
	s_delay_alu instid0(VALU_DEP_2) | instskip(NEXT) | instid1(VALU_DEP_1)
	v_or_b32_e32 v9, 0x70000000, v9
	v_mul_f32_e32 v9, 0x7800000, v9
	s_delay_alu instid0(VALU_DEP_1) | instskip(NEXT) | instid1(VALU_DEP_1)
	v_cndmask_b32_e32 v7, v9, v11, vcc_lo
	v_and_or_b32 v6, 0x80000000, v6, v7
	s_delay_alu instid0(VALU_DEP_1)
	v_cvt_f64_f32_e32 v[6:7], v6
.LBB86_1998:
	s_mov_b32 s16, 0
	s_mov_b32 s19, -1
.LBB86_1999:
	s_and_not1_b32 vcc_lo, exec_lo, s16
	s_mov_b32 s16, 0
	s_cbranch_vccnz .LBB86_2010
; %bb.2000:
	s_cmp_gt_i32 s10, 14
	s_cbranch_scc0 .LBB86_2003
; %bb.2001:
	s_cmp_eq_u32 s10, 15
	s_cbranch_scc0 .LBB86_2006
; %bb.2002:
	global_load_u16 v6, v[12:13], off
	s_mov_b32 s14, 0
	s_mov_b32 s19, -1
	s_wait_loadcnt 0x0
	v_lshlrev_b32_e32 v6, 16, v6
	s_delay_alu instid0(VALU_DEP_1)
	v_cvt_f64_f32_e32 v[6:7], v6
	s_branch .LBB86_2008
.LBB86_2003:
	s_mov_b32 s16, -1
	s_branch .LBB86_2007
.LBB86_2004:
	s_or_saveexec_b32 s19, s19
	v_mov_b64_e32 v[6:7], 0x7ff8000020000000
	s_xor_b32 exec_lo, exec_lo, s19
	s_cbranch_execz .LBB86_1985
.LBB86_2005:
	v_cmp_ne_u16_e32 vcc_lo, 0, v9
	v_mov_b64_e32 v[6:7], 0
	s_and_not1_b32 s16, s16, exec_lo
	s_and_b32 s20, vcc_lo, exec_lo
	s_delay_alu instid0(SALU_CYCLE_1)
	s_or_b32 s16, s16, s20
	s_or_b32 exec_lo, exec_lo, s19
	s_and_saveexec_b32 s19, s16
	s_cbranch_execnz .LBB86_1986
	s_branch .LBB86_1987
.LBB86_2006:
	s_mov_b32 s14, -1
.LBB86_2007:
                                        ; implicit-def: $vgpr6_vgpr7
.LBB86_2008:
	s_and_b32 vcc_lo, exec_lo, s16
	s_mov_b32 s16, 0
	s_cbranch_vccz .LBB86_2010
; %bb.2009:
	s_cmp_lg_u32 s10, 11
	s_mov_b32 s16, -1
	s_cselect_b32 s14, -1, 0
.LBB86_2010:
	s_delay_alu instid0(SALU_CYCLE_1)
	s_and_b32 vcc_lo, exec_lo, s14
	s_cbranch_vccnz .LBB86_2075
; %bb.2011:
	s_and_not1_b32 vcc_lo, exec_lo, s16
	s_cbranch_vccnz .LBB86_2013
.LBB86_2012:
	global_load_u8 v6, v[12:13], off
	s_mov_b32 s19, -1
	s_wait_loadcnt 0x0
	v_cmp_ne_u16_e32 vcc_lo, 0, v6
	v_mov_b32_e32 v6, 0
	v_cndmask_b32_e64 v7, 0, 0x3ff00000, vcc_lo
.LBB86_2013:
	s_mov_b32 s10, 0
.LBB86_2014:
	s_delay_alu instid0(SALU_CYCLE_1)
	s_and_b32 vcc_lo, exec_lo, s10
	s_cbranch_vccz .LBB86_2063
; %bb.2015:
	s_and_b32 s10, 0xffff, s1
	s_delay_alu instid0(SALU_CYCLE_1)
	s_cmp_lt_i32 s10, 5
	s_cbranch_scc1 .LBB86_2020
; %bb.2016:
	s_cmp_lt_i32 s10, 8
	s_cbranch_scc1 .LBB86_2021
; %bb.2017:
	;; [unrolled: 3-line block ×3, first 2 shown]
	s_cmp_gt_i32 s10, 9
	s_cbranch_scc0 .LBB86_2023
; %bb.2019:
	global_load_b64 v[6:7], v[12:13], off
	s_mov_b32 s14, 0
	s_branch .LBB86_2024
.LBB86_2020:
	s_mov_b32 s14, -1
                                        ; implicit-def: $vgpr6_vgpr7
	s_branch .LBB86_2042
.LBB86_2021:
	s_mov_b32 s14, -1
                                        ; implicit-def: $vgpr6_vgpr7
	s_branch .LBB86_2030
.LBB86_2022:
	s_mov_b32 s14, -1
                                        ; implicit-def: $vgpr6_vgpr7
	s_branch .LBB86_2027
.LBB86_2023:
	s_mov_b32 s14, -1
                                        ; implicit-def: $vgpr6_vgpr7
.LBB86_2024:
	s_delay_alu instid0(SALU_CYCLE_1)
	s_and_not1_b32 vcc_lo, exec_lo, s14
	s_cbranch_vccnz .LBB86_2026
; %bb.2025:
	s_wait_loadcnt 0x0
	global_load_b32 v6, v[12:13], off
	s_wait_loadcnt 0x0
	v_cvt_f64_f32_e32 v[6:7], v6
.LBB86_2026:
	s_mov_b32 s14, 0
.LBB86_2027:
	s_delay_alu instid0(SALU_CYCLE_1)
	s_and_not1_b32 vcc_lo, exec_lo, s14
	s_cbranch_vccnz .LBB86_2029
; %bb.2028:
	s_wait_loadcnt 0x0
	global_load_b32 v6, v[12:13], off
	s_wait_loadcnt 0x0
	v_cvt_f32_f16_e32 v6, v6
	s_delay_alu instid0(VALU_DEP_1)
	v_cvt_f64_f32_e32 v[6:7], v6
.LBB86_2029:
	s_mov_b32 s14, 0
.LBB86_2030:
	s_delay_alu instid0(SALU_CYCLE_1)
	s_and_not1_b32 vcc_lo, exec_lo, s14
	s_cbranch_vccnz .LBB86_2041
; %bb.2031:
	s_cmp_lt_i32 s10, 6
	s_cbranch_scc1 .LBB86_2034
; %bb.2032:
	s_cmp_gt_i32 s10, 6
	s_cbranch_scc0 .LBB86_2035
; %bb.2033:
	s_wait_loadcnt 0x0
	global_load_b64 v[6:7], v[12:13], off
	s_mov_b32 s14, 0
	s_branch .LBB86_2036
.LBB86_2034:
	s_mov_b32 s14, -1
                                        ; implicit-def: $vgpr6_vgpr7
	s_branch .LBB86_2039
.LBB86_2035:
	s_mov_b32 s14, -1
                                        ; implicit-def: $vgpr6_vgpr7
.LBB86_2036:
	s_delay_alu instid0(SALU_CYCLE_1)
	s_and_not1_b32 vcc_lo, exec_lo, s14
	s_cbranch_vccnz .LBB86_2038
; %bb.2037:
	s_wait_loadcnt 0x0
	global_load_b32 v6, v[12:13], off
	s_wait_loadcnt 0x0
	v_cvt_f64_f32_e32 v[6:7], v6
.LBB86_2038:
	s_mov_b32 s14, 0
.LBB86_2039:
	s_delay_alu instid0(SALU_CYCLE_1)
	s_and_not1_b32 vcc_lo, exec_lo, s14
	s_cbranch_vccnz .LBB86_2041
; %bb.2040:
	s_wait_loadcnt 0x0
	global_load_u16 v6, v[12:13], off
	s_wait_loadcnt 0x0
	v_cvt_f32_f16_e32 v6, v6
	s_delay_alu instid0(VALU_DEP_1)
	v_cvt_f64_f32_e32 v[6:7], v6
.LBB86_2041:
	s_mov_b32 s14, 0
.LBB86_2042:
	s_delay_alu instid0(SALU_CYCLE_1)
	s_and_not1_b32 vcc_lo, exec_lo, s14
	s_cbranch_vccnz .LBB86_2062
; %bb.2043:
	s_cmp_lt_i32 s10, 2
	s_cbranch_scc1 .LBB86_2047
; %bb.2044:
	s_cmp_lt_i32 s10, 3
	s_cbranch_scc1 .LBB86_2048
; %bb.2045:
	s_cmp_gt_i32 s10, 3
	s_cbranch_scc0 .LBB86_2049
; %bb.2046:
	s_wait_loadcnt 0x0
	global_load_b64 v[6:7], v[12:13], off
	s_mov_b32 s14, 0
	s_wait_loadcnt 0x0
	v_cvt_f64_i32_e32 v[14:15], v7
	v_cvt_f64_u32_e32 v[6:7], v6
	s_delay_alu instid0(VALU_DEP_2) | instskip(NEXT) | instid1(VALU_DEP_1)
	v_ldexp_f64 v[14:15], v[14:15], 32
	v_add_f64_e32 v[6:7], v[14:15], v[6:7]
	s_branch .LBB86_2050
.LBB86_2047:
	s_mov_b32 s14, -1
                                        ; implicit-def: $vgpr6_vgpr7
	s_branch .LBB86_2056
.LBB86_2048:
	s_mov_b32 s14, -1
                                        ; implicit-def: $vgpr6_vgpr7
	s_branch .LBB86_2053
.LBB86_2049:
	s_mov_b32 s14, -1
                                        ; implicit-def: $vgpr6_vgpr7
.LBB86_2050:
	s_delay_alu instid0(SALU_CYCLE_1)
	s_and_not1_b32 vcc_lo, exec_lo, s14
	s_cbranch_vccnz .LBB86_2052
; %bb.2051:
	s_wait_loadcnt 0x0
	global_load_b32 v6, v[12:13], off
	s_wait_loadcnt 0x0
	v_cvt_f64_i32_e32 v[6:7], v6
.LBB86_2052:
	s_mov_b32 s14, 0
.LBB86_2053:
	s_delay_alu instid0(SALU_CYCLE_1)
	s_and_not1_b32 vcc_lo, exec_lo, s14
	s_cbranch_vccnz .LBB86_2055
; %bb.2054:
	s_wait_loadcnt 0x0
	global_load_i16 v6, v[12:13], off
	s_wait_loadcnt 0x0
	v_cvt_f64_i32_e32 v[6:7], v6
.LBB86_2055:
	s_mov_b32 s14, 0
.LBB86_2056:
	s_delay_alu instid0(SALU_CYCLE_1)
	s_and_not1_b32 vcc_lo, exec_lo, s14
	s_cbranch_vccnz .LBB86_2062
; %bb.2057:
	s_cmp_gt_i32 s10, 0
	s_mov_b32 s10, 0
	s_cbranch_scc0 .LBB86_2059
; %bb.2058:
	s_wait_loadcnt 0x0
	global_load_i8 v6, v[12:13], off
	s_wait_loadcnt 0x0
	v_cvt_f64_i32_e32 v[6:7], v6
	s_branch .LBB86_2060
.LBB86_2059:
	s_mov_b32 s10, -1
                                        ; implicit-def: $vgpr6_vgpr7
.LBB86_2060:
	s_delay_alu instid0(SALU_CYCLE_1)
	s_and_not1_b32 vcc_lo, exec_lo, s10
	s_cbranch_vccnz .LBB86_2062
; %bb.2061:
	s_wait_loadcnt 0x0
	global_load_u8 v6, v[12:13], off
	s_wait_loadcnt 0x0
	v_cvt_f64_u32_e32 v[6:7], v6
.LBB86_2062:
	s_mov_b32 s19, -1
.LBB86_2063:
	s_delay_alu instid0(SALU_CYCLE_1)
	s_and_not1_b32 vcc_lo, exec_lo, s19
	s_cbranch_vccnz .LBB86_3022
; %bb.2064:
	s_wait_xcnt 0x0
	v_add_nc_u32_e32 v12, s2, v8
	s_cmp_lt_i32 s0, 11
	s_delay_alu instid0(VALU_DEP_1) | instskip(NEXT) | instid1(VALU_DEP_1)
	v_ashrrev_i32_e32 v13, 31, v12
	v_add_nc_u64_e32 v[14:15], s[6:7], v[12:13]
	s_cbranch_scc1 .LBB86_2071
; %bb.2065:
	s_and_b32 s10, 0xffff, s0
	s_mov_b32 s16, 0
	s_cmp_gt_i32 s10, 25
	s_cbranch_scc0 .LBB86_2072
; %bb.2066:
	s_cmp_gt_i32 s10, 28
	s_cbranch_scc0 .LBB86_2073
; %bb.2067:
	;; [unrolled: 3-line block ×4, first 2 shown]
	s_cmp_eq_u32 s10, 46
	s_mov_b32 s20, 0
	s_cbranch_scc0 .LBB86_2077
; %bb.2070:
	global_load_b32 v8, v[14:15], off
	s_mov_b32 s14, 0
	s_mov_b32 s19, -1
	s_wait_loadcnt 0x0
	v_lshlrev_b32_e32 v8, 16, v8
	s_delay_alu instid0(VALU_DEP_1)
	v_cvt_f64_f32_e32 v[8:9], v8
	s_branch .LBB86_2079
.LBB86_2071:
	s_mov_b32 s10, -1
	s_mov_b32 s19, 0
                                        ; implicit-def: $vgpr8_vgpr9
	s_branch .LBB86_2145
.LBB86_2072:
	s_mov_b32 s20, -1
	s_mov_b32 s19, 0
	s_mov_b32 s14, 0
                                        ; implicit-def: $vgpr8_vgpr9
	s_branch .LBB86_2108
.LBB86_2073:
	s_mov_b32 s20, -1
	s_mov_b32 s19, 0
	s_mov_b32 s14, 0
                                        ; implicit-def: $vgpr8_vgpr9
	s_branch .LBB86_2089
.LBB86_2074:
	s_mov_b32 s20, -1
	s_mov_b32 s19, 0
	s_mov_b32 s14, 0
                                        ; implicit-def: $vgpr8_vgpr9
	s_branch .LBB86_2084
.LBB86_2075:
	s_or_b32 s15, s15, exec_lo
	s_trap 2
	s_cbranch_execz .LBB86_2012
	s_branch .LBB86_2013
.LBB86_2076:
	s_mov_b32 s20, -1
	s_mov_b32 s19, 0
	s_mov_b32 s14, 0
	s_branch .LBB86_2078
.LBB86_2077:
	s_mov_b32 s14, -1
	s_mov_b32 s19, 0
.LBB86_2078:
                                        ; implicit-def: $vgpr8_vgpr9
.LBB86_2079:
	s_and_b32 vcc_lo, exec_lo, s20
	s_cbranch_vccz .LBB86_2083
; %bb.2080:
	s_cmp_eq_u32 s10, 44
	s_cbranch_scc0 .LBB86_2082
; %bb.2081:
	global_load_u8 v11, v[14:15], off
	s_mov_b32 s14, 0
	s_mov_b32 s19, -1
	s_wait_loadcnt 0x0
	v_cmp_ne_u32_e32 vcc_lo, 0xff, v11
	v_lshlrev_b32_e32 v8, 23, v11
	s_delay_alu instid0(VALU_DEP_1) | instskip(NEXT) | instid1(VALU_DEP_1)
	v_cvt_f64_f32_e32 v[8:9], v8
	v_cndmask_b32_e32 v8, 0x20000000, v8, vcc_lo
	s_delay_alu instid0(VALU_DEP_2) | instskip(SKIP_1) | instid1(VALU_DEP_2)
	v_cndmask_b32_e32 v9, 0x7ff80000, v9, vcc_lo
	v_cmp_ne_u32_e32 vcc_lo, 0, v11
	v_cndmask_b32_e32 v9, 0x38000000, v9, vcc_lo
	s_delay_alu instid0(VALU_DEP_4)
	v_cndmask_b32_e32 v8, 0, v8, vcc_lo
	s_branch .LBB86_2083
.LBB86_2082:
	s_mov_b32 s14, -1
                                        ; implicit-def: $vgpr8_vgpr9
.LBB86_2083:
	s_mov_b32 s20, 0
.LBB86_2084:
	s_delay_alu instid0(SALU_CYCLE_1)
	s_and_b32 vcc_lo, exec_lo, s20
	s_cbranch_vccz .LBB86_2088
; %bb.2085:
	s_cmp_eq_u32 s10, 29
	s_cbranch_scc0 .LBB86_2087
; %bb.2086:
	global_load_b64 v[8:9], v[14:15], off
	s_mov_b32 s14, 0
	s_mov_b32 s19, -1
	s_mov_b32 s20, 0
	s_wait_loadcnt 0x0
	v_cvt_f64_u32_e32 v[16:17], v9
	v_cvt_f64_u32_e32 v[8:9], v8
	s_delay_alu instid0(VALU_DEP_2) | instskip(NEXT) | instid1(VALU_DEP_1)
	v_ldexp_f64 v[16:17], v[16:17], 32
	v_add_f64_e32 v[8:9], v[16:17], v[8:9]
	s_branch .LBB86_2089
.LBB86_2087:
	s_mov_b32 s14, -1
                                        ; implicit-def: $vgpr8_vgpr9
.LBB86_2088:
	s_mov_b32 s20, 0
.LBB86_2089:
	s_delay_alu instid0(SALU_CYCLE_1)
	s_and_b32 vcc_lo, exec_lo, s20
	s_cbranch_vccz .LBB86_2107
; %bb.2090:
	s_cmp_lt_i32 s10, 27
	s_cbranch_scc1 .LBB86_2093
; %bb.2091:
	s_cmp_gt_i32 s10, 27
	s_cbranch_scc0 .LBB86_2094
; %bb.2092:
	global_load_b32 v8, v[14:15], off
	s_mov_b32 s19, 0
	s_wait_loadcnt 0x0
	v_cvt_f64_u32_e32 v[8:9], v8
	s_branch .LBB86_2095
.LBB86_2093:
	s_mov_b32 s19, -1
                                        ; implicit-def: $vgpr8_vgpr9
	s_branch .LBB86_2098
.LBB86_2094:
	s_mov_b32 s19, -1
                                        ; implicit-def: $vgpr8_vgpr9
.LBB86_2095:
	s_delay_alu instid0(SALU_CYCLE_1)
	s_and_not1_b32 vcc_lo, exec_lo, s19
	s_cbranch_vccnz .LBB86_2097
; %bb.2096:
	global_load_u16 v8, v[14:15], off
	s_wait_loadcnt 0x0
	v_cvt_f64_u32_e32 v[8:9], v8
.LBB86_2097:
	s_mov_b32 s19, 0
.LBB86_2098:
	s_delay_alu instid0(SALU_CYCLE_1)
	s_and_not1_b32 vcc_lo, exec_lo, s19
	s_cbranch_vccnz .LBB86_2106
; %bb.2099:
	global_load_u8 v11, v[14:15], off
	s_mov_b32 s19, 0
	s_mov_b32 s20, exec_lo
	s_wait_loadcnt 0x0
	v_cmpx_lt_i16_e32 0x7f, v11
	s_xor_b32 s20, exec_lo, s20
	s_cbranch_execz .LBB86_2120
; %bb.2100:
	s_mov_b32 s19, -1
	s_mov_b32 s21, exec_lo
	v_cmpx_eq_u16_e32 0x80, v11
; %bb.2101:
	s_xor_b32 s19, exec_lo, -1
; %bb.2102:
	s_or_b32 exec_lo, exec_lo, s21
	s_delay_alu instid0(SALU_CYCLE_1)
	s_and_b32 s19, s19, exec_lo
	s_or_saveexec_b32 s20, s20
	v_mov_b64_e32 v[8:9], 0x7ff8000020000000
	s_xor_b32 exec_lo, exec_lo, s20
	s_cbranch_execnz .LBB86_2121
.LBB86_2103:
	s_or_b32 exec_lo, exec_lo, s20
	s_and_saveexec_b32 s20, s19
	s_cbranch_execz .LBB86_2105
.LBB86_2104:
	v_and_b32_e32 v8, 0xffff, v11
	s_delay_alu instid0(VALU_DEP_1) | instskip(SKIP_1) | instid1(VALU_DEP_2)
	v_and_b32_e32 v9, 7, v8
	v_bfe_u32 v17, v8, 3, 4
	v_clz_i32_u32_e32 v13, v9
	s_delay_alu instid0(VALU_DEP_2) | instskip(NEXT) | instid1(VALU_DEP_2)
	v_cmp_eq_u32_e32 vcc_lo, 0, v17
	v_min_u32_e32 v13, 32, v13
	s_delay_alu instid0(VALU_DEP_1) | instskip(NEXT) | instid1(VALU_DEP_1)
	v_subrev_nc_u32_e32 v16, 28, v13
	v_dual_lshlrev_b32 v8, v16, v8 :: v_dual_sub_nc_u32 v13, 29, v13
	s_delay_alu instid0(VALU_DEP_1) | instskip(NEXT) | instid1(VALU_DEP_2)
	v_dual_lshlrev_b32 v11, 24, v11 :: v_dual_bitop2_b32 v8, 7, v8 bitop3:0x40
	v_cndmask_b32_e32 v13, v17, v13, vcc_lo
	s_delay_alu instid0(VALU_DEP_2) | instskip(NEXT) | instid1(VALU_DEP_3)
	v_cndmask_b32_e32 v8, v9, v8, vcc_lo
	v_and_b32_e32 v9, 0x80000000, v11
	s_delay_alu instid0(VALU_DEP_3) | instskip(NEXT) | instid1(VALU_DEP_3)
	v_lshl_add_u32 v11, v13, 23, 0x3b800000
	v_lshlrev_b32_e32 v8, 20, v8
	s_delay_alu instid0(VALU_DEP_1) | instskip(NEXT) | instid1(VALU_DEP_1)
	v_or3_b32 v8, v9, v11, v8
	v_cvt_f64_f32_e32 v[8:9], v8
.LBB86_2105:
	s_or_b32 exec_lo, exec_lo, s20
.LBB86_2106:
	s_mov_b32 s19, -1
.LBB86_2107:
	s_mov_b32 s20, 0
.LBB86_2108:
	s_delay_alu instid0(SALU_CYCLE_1)
	s_and_b32 vcc_lo, exec_lo, s20
	s_cbranch_vccz .LBB86_2141
; %bb.2109:
	s_cmp_gt_i32 s10, 22
	s_cbranch_scc0 .LBB86_2119
; %bb.2110:
	s_cmp_lt_i32 s10, 24
	s_cbranch_scc1 .LBB86_2122
; %bb.2111:
	s_cmp_gt_i32 s10, 24
	s_cbranch_scc0 .LBB86_2123
; %bb.2112:
	global_load_u8 v11, v[14:15], off
	s_mov_b32 s19, exec_lo
	s_wait_loadcnt 0x0
	v_cmpx_lt_i16_e32 0x7f, v11
	s_xor_b32 s19, exec_lo, s19
	s_cbranch_execz .LBB86_2135
; %bb.2113:
	s_mov_b32 s16, -1
	s_mov_b32 s20, exec_lo
	v_cmpx_eq_u16_e32 0x80, v11
; %bb.2114:
	s_xor_b32 s16, exec_lo, -1
; %bb.2115:
	s_or_b32 exec_lo, exec_lo, s20
	s_delay_alu instid0(SALU_CYCLE_1)
	s_and_b32 s16, s16, exec_lo
	s_or_saveexec_b32 s19, s19
	v_mov_b64_e32 v[8:9], 0x7ff8000020000000
	s_xor_b32 exec_lo, exec_lo, s19
	s_cbranch_execnz .LBB86_2136
.LBB86_2116:
	s_or_b32 exec_lo, exec_lo, s19
	s_and_saveexec_b32 s19, s16
	s_cbranch_execz .LBB86_2118
.LBB86_2117:
	v_and_b32_e32 v8, 0xffff, v11
	s_delay_alu instid0(VALU_DEP_1) | instskip(SKIP_1) | instid1(VALU_DEP_2)
	v_and_b32_e32 v9, 3, v8
	v_bfe_u32 v17, v8, 2, 5
	v_clz_i32_u32_e32 v13, v9
	s_delay_alu instid0(VALU_DEP_2) | instskip(NEXT) | instid1(VALU_DEP_2)
	v_cmp_eq_u32_e32 vcc_lo, 0, v17
	v_min_u32_e32 v13, 32, v13
	s_delay_alu instid0(VALU_DEP_1) | instskip(NEXT) | instid1(VALU_DEP_1)
	v_subrev_nc_u32_e32 v16, 29, v13
	v_dual_lshlrev_b32 v8, v16, v8 :: v_dual_sub_nc_u32 v13, 30, v13
	s_delay_alu instid0(VALU_DEP_1) | instskip(NEXT) | instid1(VALU_DEP_2)
	v_dual_lshlrev_b32 v11, 24, v11 :: v_dual_bitop2_b32 v8, 3, v8 bitop3:0x40
	v_cndmask_b32_e32 v13, v17, v13, vcc_lo
	s_delay_alu instid0(VALU_DEP_2) | instskip(NEXT) | instid1(VALU_DEP_3)
	v_cndmask_b32_e32 v8, v9, v8, vcc_lo
	v_and_b32_e32 v9, 0x80000000, v11
	s_delay_alu instid0(VALU_DEP_3) | instskip(NEXT) | instid1(VALU_DEP_3)
	v_lshl_add_u32 v11, v13, 23, 0x37800000
	v_lshlrev_b32_e32 v8, 21, v8
	s_delay_alu instid0(VALU_DEP_1) | instskip(NEXT) | instid1(VALU_DEP_1)
	v_or3_b32 v8, v9, v11, v8
	v_cvt_f64_f32_e32 v[8:9], v8
.LBB86_2118:
	s_or_b32 exec_lo, exec_lo, s19
	s_mov_b32 s16, 0
	s_branch .LBB86_2124
.LBB86_2119:
	s_mov_b32 s16, -1
                                        ; implicit-def: $vgpr8_vgpr9
	s_branch .LBB86_2130
.LBB86_2120:
	s_or_saveexec_b32 s20, s20
	v_mov_b64_e32 v[8:9], 0x7ff8000020000000
	s_xor_b32 exec_lo, exec_lo, s20
	s_cbranch_execz .LBB86_2103
.LBB86_2121:
	v_cmp_ne_u16_e32 vcc_lo, 0, v11
	v_mov_b64_e32 v[8:9], 0
	s_and_not1_b32 s19, s19, exec_lo
	s_and_b32 s21, vcc_lo, exec_lo
	s_delay_alu instid0(SALU_CYCLE_1)
	s_or_b32 s19, s19, s21
	s_or_b32 exec_lo, exec_lo, s20
	s_and_saveexec_b32 s20, s19
	s_cbranch_execnz .LBB86_2104
	s_branch .LBB86_2105
.LBB86_2122:
	s_mov_b32 s16, -1
                                        ; implicit-def: $vgpr8_vgpr9
	s_branch .LBB86_2127
.LBB86_2123:
	s_mov_b32 s16, -1
                                        ; implicit-def: $vgpr8_vgpr9
.LBB86_2124:
	s_delay_alu instid0(SALU_CYCLE_1)
	s_and_b32 vcc_lo, exec_lo, s16
	s_cbranch_vccz .LBB86_2126
; %bb.2125:
	global_load_u8 v8, v[14:15], off
	s_wait_loadcnt 0x0
	v_lshlrev_b32_e32 v8, 24, v8
	s_delay_alu instid0(VALU_DEP_1) | instskip(NEXT) | instid1(VALU_DEP_1)
	v_and_b32_e32 v9, 0x7f000000, v8
	v_clz_i32_u32_e32 v11, v9
	v_cmp_ne_u32_e32 vcc_lo, 0, v9
	v_add_nc_u32_e32 v16, 0x1000000, v9
	s_delay_alu instid0(VALU_DEP_3) | instskip(NEXT) | instid1(VALU_DEP_1)
	v_min_u32_e32 v11, 32, v11
	v_sub_nc_u32_e64 v11, v11, 4 clamp
	s_delay_alu instid0(VALU_DEP_1) | instskip(NEXT) | instid1(VALU_DEP_1)
	v_dual_lshlrev_b32 v13, v11, v9 :: v_dual_lshlrev_b32 v11, 23, v11
	v_lshrrev_b32_e32 v13, 4, v13
	s_delay_alu instid0(VALU_DEP_1) | instskip(NEXT) | instid1(VALU_DEP_1)
	v_dual_sub_nc_u32 v11, v13, v11 :: v_dual_ashrrev_i32 v13, 8, v16
	v_add_nc_u32_e32 v11, 0x3c000000, v11
	s_delay_alu instid0(VALU_DEP_1) | instskip(NEXT) | instid1(VALU_DEP_1)
	v_and_or_b32 v11, 0x7f800000, v13, v11
	v_cndmask_b32_e32 v9, 0, v11, vcc_lo
	s_delay_alu instid0(VALU_DEP_1) | instskip(NEXT) | instid1(VALU_DEP_1)
	v_and_or_b32 v8, 0x80000000, v8, v9
	v_cvt_f64_f32_e32 v[8:9], v8
.LBB86_2126:
	s_mov_b32 s16, 0
.LBB86_2127:
	s_delay_alu instid0(SALU_CYCLE_1)
	s_and_not1_b32 vcc_lo, exec_lo, s16
	s_cbranch_vccnz .LBB86_2129
; %bb.2128:
	global_load_u8 v8, v[14:15], off
	s_wait_loadcnt 0x0
	v_lshlrev_b32_e32 v9, 25, v8
	v_lshlrev_b16 v8, 8, v8
	s_delay_alu instid0(VALU_DEP_1) | instskip(SKIP_1) | instid1(VALU_DEP_2)
	v_and_or_b32 v13, 0x7f00, v8, 0.5
	v_bfe_i32 v8, v8, 0, 16
	v_add_f32_e32 v13, -0.5, v13
	v_lshrrev_b32_e32 v11, 4, v9
	v_cmp_gt_u32_e32 vcc_lo, 0x8000000, v9
	s_delay_alu instid0(VALU_DEP_2) | instskip(NEXT) | instid1(VALU_DEP_1)
	v_or_b32_e32 v11, 0x70000000, v11
	v_mul_f32_e32 v11, 0x7800000, v11
	s_delay_alu instid0(VALU_DEP_1) | instskip(NEXT) | instid1(VALU_DEP_1)
	v_cndmask_b32_e32 v9, v11, v13, vcc_lo
	v_and_or_b32 v8, 0x80000000, v8, v9
	s_delay_alu instid0(VALU_DEP_1)
	v_cvt_f64_f32_e32 v[8:9], v8
.LBB86_2129:
	s_mov_b32 s16, 0
	s_mov_b32 s19, -1
.LBB86_2130:
	s_and_not1_b32 vcc_lo, exec_lo, s16
	s_mov_b32 s16, 0
	s_cbranch_vccnz .LBB86_2141
; %bb.2131:
	s_cmp_gt_i32 s10, 14
	s_cbranch_scc0 .LBB86_2134
; %bb.2132:
	s_cmp_eq_u32 s10, 15
	s_cbranch_scc0 .LBB86_2137
; %bb.2133:
	global_load_u16 v8, v[14:15], off
	s_mov_b32 s14, 0
	s_mov_b32 s19, -1
	s_wait_loadcnt 0x0
	v_lshlrev_b32_e32 v8, 16, v8
	s_delay_alu instid0(VALU_DEP_1)
	v_cvt_f64_f32_e32 v[8:9], v8
	s_branch .LBB86_2139
.LBB86_2134:
	s_mov_b32 s16, -1
	s_branch .LBB86_2138
.LBB86_2135:
	s_or_saveexec_b32 s19, s19
	v_mov_b64_e32 v[8:9], 0x7ff8000020000000
	s_xor_b32 exec_lo, exec_lo, s19
	s_cbranch_execz .LBB86_2116
.LBB86_2136:
	v_cmp_ne_u16_e32 vcc_lo, 0, v11
	v_mov_b64_e32 v[8:9], 0
	s_and_not1_b32 s16, s16, exec_lo
	s_and_b32 s20, vcc_lo, exec_lo
	s_delay_alu instid0(SALU_CYCLE_1)
	s_or_b32 s16, s16, s20
	s_or_b32 exec_lo, exec_lo, s19
	s_and_saveexec_b32 s19, s16
	s_cbranch_execnz .LBB86_2117
	s_branch .LBB86_2118
.LBB86_2137:
	s_mov_b32 s14, -1
.LBB86_2138:
                                        ; implicit-def: $vgpr8_vgpr9
.LBB86_2139:
	s_and_b32 vcc_lo, exec_lo, s16
	s_mov_b32 s16, 0
	s_cbranch_vccz .LBB86_2141
; %bb.2140:
	s_cmp_lg_u32 s10, 11
	s_mov_b32 s16, -1
	s_cselect_b32 s14, -1, 0
.LBB86_2141:
	s_delay_alu instid0(SALU_CYCLE_1)
	s_and_b32 vcc_lo, exec_lo, s14
	s_cbranch_vccnz .LBB86_2206
; %bb.2142:
	s_and_not1_b32 vcc_lo, exec_lo, s16
	s_cbranch_vccnz .LBB86_2144
.LBB86_2143:
	global_load_u8 v8, v[14:15], off
	s_mov_b32 s19, -1
	s_wait_loadcnt 0x0
	v_cmp_ne_u16_e32 vcc_lo, 0, v8
	v_mov_b32_e32 v8, 0
	v_cndmask_b32_e64 v9, 0, 0x3ff00000, vcc_lo
.LBB86_2144:
	s_mov_b32 s10, 0
.LBB86_2145:
	s_delay_alu instid0(SALU_CYCLE_1)
	s_and_b32 vcc_lo, exec_lo, s10
	s_cbranch_vccz .LBB86_2194
; %bb.2146:
	s_and_b32 s10, 0xffff, s0
	s_delay_alu instid0(SALU_CYCLE_1)
	s_cmp_lt_i32 s10, 5
	s_cbranch_scc1 .LBB86_2151
; %bb.2147:
	s_cmp_lt_i32 s10, 8
	s_cbranch_scc1 .LBB86_2152
; %bb.2148:
	;; [unrolled: 3-line block ×3, first 2 shown]
	s_cmp_gt_i32 s10, 9
	s_cbranch_scc0 .LBB86_2154
; %bb.2150:
	global_load_b64 v[8:9], v[14:15], off
	s_mov_b32 s14, 0
	s_branch .LBB86_2155
.LBB86_2151:
	s_mov_b32 s14, -1
                                        ; implicit-def: $vgpr8_vgpr9
	s_branch .LBB86_2173
.LBB86_2152:
	s_mov_b32 s14, -1
                                        ; implicit-def: $vgpr8_vgpr9
	s_branch .LBB86_2161
.LBB86_2153:
	s_mov_b32 s14, -1
                                        ; implicit-def: $vgpr8_vgpr9
	s_branch .LBB86_2158
.LBB86_2154:
	s_mov_b32 s14, -1
                                        ; implicit-def: $vgpr8_vgpr9
.LBB86_2155:
	s_delay_alu instid0(SALU_CYCLE_1)
	s_and_not1_b32 vcc_lo, exec_lo, s14
	s_cbranch_vccnz .LBB86_2157
; %bb.2156:
	s_wait_loadcnt 0x0
	global_load_b32 v8, v[14:15], off
	s_wait_loadcnt 0x0
	v_cvt_f64_f32_e32 v[8:9], v8
.LBB86_2157:
	s_mov_b32 s14, 0
.LBB86_2158:
	s_delay_alu instid0(SALU_CYCLE_1)
	s_and_not1_b32 vcc_lo, exec_lo, s14
	s_cbranch_vccnz .LBB86_2160
; %bb.2159:
	s_wait_loadcnt 0x0
	global_load_b32 v8, v[14:15], off
	s_wait_loadcnt 0x0
	v_cvt_f32_f16_e32 v8, v8
	s_delay_alu instid0(VALU_DEP_1)
	v_cvt_f64_f32_e32 v[8:9], v8
.LBB86_2160:
	s_mov_b32 s14, 0
.LBB86_2161:
	s_delay_alu instid0(SALU_CYCLE_1)
	s_and_not1_b32 vcc_lo, exec_lo, s14
	s_cbranch_vccnz .LBB86_2172
; %bb.2162:
	s_cmp_lt_i32 s10, 6
	s_cbranch_scc1 .LBB86_2165
; %bb.2163:
	s_cmp_gt_i32 s10, 6
	s_cbranch_scc0 .LBB86_2166
; %bb.2164:
	s_wait_loadcnt 0x0
	global_load_b64 v[8:9], v[14:15], off
	s_mov_b32 s14, 0
	s_branch .LBB86_2167
.LBB86_2165:
	s_mov_b32 s14, -1
                                        ; implicit-def: $vgpr8_vgpr9
	s_branch .LBB86_2170
.LBB86_2166:
	s_mov_b32 s14, -1
                                        ; implicit-def: $vgpr8_vgpr9
.LBB86_2167:
	s_delay_alu instid0(SALU_CYCLE_1)
	s_and_not1_b32 vcc_lo, exec_lo, s14
	s_cbranch_vccnz .LBB86_2169
; %bb.2168:
	s_wait_loadcnt 0x0
	global_load_b32 v8, v[14:15], off
	s_wait_loadcnt 0x0
	v_cvt_f64_f32_e32 v[8:9], v8
.LBB86_2169:
	s_mov_b32 s14, 0
.LBB86_2170:
	s_delay_alu instid0(SALU_CYCLE_1)
	s_and_not1_b32 vcc_lo, exec_lo, s14
	s_cbranch_vccnz .LBB86_2172
; %bb.2171:
	s_wait_loadcnt 0x0
	global_load_u16 v8, v[14:15], off
	s_wait_loadcnt 0x0
	v_cvt_f32_f16_e32 v8, v8
	s_delay_alu instid0(VALU_DEP_1)
	v_cvt_f64_f32_e32 v[8:9], v8
.LBB86_2172:
	s_mov_b32 s14, 0
.LBB86_2173:
	s_delay_alu instid0(SALU_CYCLE_1)
	s_and_not1_b32 vcc_lo, exec_lo, s14
	s_cbranch_vccnz .LBB86_2193
; %bb.2174:
	s_cmp_lt_i32 s10, 2
	s_cbranch_scc1 .LBB86_2178
; %bb.2175:
	s_cmp_lt_i32 s10, 3
	s_cbranch_scc1 .LBB86_2179
; %bb.2176:
	s_cmp_gt_i32 s10, 3
	s_cbranch_scc0 .LBB86_2180
; %bb.2177:
	s_wait_loadcnt 0x0
	global_load_b64 v[8:9], v[14:15], off
	s_mov_b32 s14, 0
	s_wait_loadcnt 0x0
	v_cvt_f64_i32_e32 v[16:17], v9
	v_cvt_f64_u32_e32 v[8:9], v8
	s_delay_alu instid0(VALU_DEP_2) | instskip(NEXT) | instid1(VALU_DEP_1)
	v_ldexp_f64 v[16:17], v[16:17], 32
	v_add_f64_e32 v[8:9], v[16:17], v[8:9]
	s_branch .LBB86_2181
.LBB86_2178:
	s_mov_b32 s14, -1
                                        ; implicit-def: $vgpr8_vgpr9
	s_branch .LBB86_2187
.LBB86_2179:
	s_mov_b32 s14, -1
                                        ; implicit-def: $vgpr8_vgpr9
	s_branch .LBB86_2184
.LBB86_2180:
	s_mov_b32 s14, -1
                                        ; implicit-def: $vgpr8_vgpr9
.LBB86_2181:
	s_delay_alu instid0(SALU_CYCLE_1)
	s_and_not1_b32 vcc_lo, exec_lo, s14
	s_cbranch_vccnz .LBB86_2183
; %bb.2182:
	s_wait_loadcnt 0x0
	global_load_b32 v8, v[14:15], off
	s_wait_loadcnt 0x0
	v_cvt_f64_i32_e32 v[8:9], v8
.LBB86_2183:
	s_mov_b32 s14, 0
.LBB86_2184:
	s_delay_alu instid0(SALU_CYCLE_1)
	s_and_not1_b32 vcc_lo, exec_lo, s14
	s_cbranch_vccnz .LBB86_2186
; %bb.2185:
	s_wait_loadcnt 0x0
	global_load_i16 v8, v[14:15], off
	s_wait_loadcnt 0x0
	v_cvt_f64_i32_e32 v[8:9], v8
.LBB86_2186:
	s_mov_b32 s14, 0
.LBB86_2187:
	s_delay_alu instid0(SALU_CYCLE_1)
	s_and_not1_b32 vcc_lo, exec_lo, s14
	s_cbranch_vccnz .LBB86_2193
; %bb.2188:
	s_cmp_gt_i32 s10, 0
	s_mov_b32 s10, 0
	s_cbranch_scc0 .LBB86_2190
; %bb.2189:
	s_wait_loadcnt 0x0
	global_load_i8 v8, v[14:15], off
	s_wait_loadcnt 0x0
	v_cvt_f64_i32_e32 v[8:9], v8
	s_branch .LBB86_2191
.LBB86_2190:
	s_mov_b32 s10, -1
                                        ; implicit-def: $vgpr8_vgpr9
.LBB86_2191:
	s_delay_alu instid0(SALU_CYCLE_1)
	s_and_not1_b32 vcc_lo, exec_lo, s10
	s_cbranch_vccnz .LBB86_2193
; %bb.2192:
	s_wait_loadcnt 0x0
	global_load_u8 v8, v[14:15], off
	s_wait_loadcnt 0x0
	v_cvt_f64_u32_e32 v[8:9], v8
.LBB86_2193:
	s_mov_b32 s19, -1
.LBB86_2194:
	s_delay_alu instid0(SALU_CYCLE_1)
	s_and_not1_b32 vcc_lo, exec_lo, s19
	s_cbranch_vccnz .LBB86_3022
; %bb.2195:
	s_wait_xcnt 0x0
	v_add_nc_u32_e32 v14, s9, v10
	s_cmp_lt_i32 s1, 11
	s_delay_alu instid0(VALU_DEP_1) | instskip(NEXT) | instid1(VALU_DEP_1)
	v_ashrrev_i32_e32 v15, 31, v14
	v_add_nc_u64_e32 v[16:17], s[12:13], v[14:15]
	s_cbranch_scc1 .LBB86_2202
; %bb.2196:
	s_and_b32 s10, 0xffff, s1
	s_mov_b32 s16, 0
	s_cmp_gt_i32 s10, 25
	s_cbranch_scc0 .LBB86_2203
; %bb.2197:
	s_cmp_gt_i32 s10, 28
	s_cbranch_scc0 .LBB86_2204
; %bb.2198:
	;; [unrolled: 3-line block ×4, first 2 shown]
	s_cmp_eq_u32 s10, 46
	s_mov_b32 s20, 0
	s_cbranch_scc0 .LBB86_2210
; %bb.2201:
	global_load_b32 v10, v[16:17], off
	s_mov_b32 s14, 0
	s_mov_b32 s19, -1
	s_wait_loadcnt 0x0
	v_lshlrev_b32_e32 v10, 16, v10
	s_delay_alu instid0(VALU_DEP_1)
	v_cvt_f64_f32_e32 v[10:11], v10
	s_branch .LBB86_2212
.LBB86_2202:
	s_mov_b32 s10, -1
	s_mov_b32 s19, 0
                                        ; implicit-def: $vgpr10_vgpr11
	s_branch .LBB86_2278
.LBB86_2203:
	s_mov_b32 s20, -1
	s_mov_b32 s19, 0
	s_mov_b32 s14, 0
                                        ; implicit-def: $vgpr10_vgpr11
	s_branch .LBB86_2241
.LBB86_2204:
	s_mov_b32 s20, -1
	s_mov_b32 s19, 0
	s_mov_b32 s14, 0
                                        ; implicit-def: $vgpr10_vgpr11
	s_branch .LBB86_2222
.LBB86_2205:
	s_mov_b32 s20, -1
	s_mov_b32 s19, 0
	s_mov_b32 s14, 0
                                        ; implicit-def: $vgpr10_vgpr11
	s_branch .LBB86_2217
.LBB86_2206:
	s_or_b32 s15, s15, exec_lo
	s_trap 2
	s_cbranch_execz .LBB86_2143
	s_branch .LBB86_2144
.LBB86_2207:
	s_mov_b32 s20, -1
	s_mov_b32 s19, 0
	s_mov_b32 s14, 0
	s_branch .LBB86_2211
.LBB86_2208:
	s_and_not1_saveexec_b32 s35, s35
	s_cbranch_execz .LBB86_1087
.LBB86_2209:
	v_add_f32_e32 v2, 0x42800000, v3
	s_and_not1_b32 s34, s34, exec_lo
	s_delay_alu instid0(VALU_DEP_1) | instskip(NEXT) | instid1(VALU_DEP_1)
	v_and_b32_e32 v2, 0xff, v2
	v_cmp_ne_u32_e32 vcc_lo, 0, v2
	s_and_b32 s36, vcc_lo, exec_lo
	s_delay_alu instid0(SALU_CYCLE_1)
	s_or_b32 s34, s34, s36
	s_or_b32 exec_lo, exec_lo, s35
	v_mov_b32_e32 v4, 0
	s_and_saveexec_b32 s35, s34
	s_cbranch_execnz .LBB86_1088
	s_branch .LBB86_1089
.LBB86_2210:
	s_mov_b32 s14, -1
	s_mov_b32 s19, 0
.LBB86_2211:
                                        ; implicit-def: $vgpr10_vgpr11
.LBB86_2212:
	s_and_b32 vcc_lo, exec_lo, s20
	s_cbranch_vccz .LBB86_2216
; %bb.2213:
	s_cmp_eq_u32 s10, 44
	s_cbranch_scc0 .LBB86_2215
; %bb.2214:
	global_load_u8 v13, v[16:17], off
	s_mov_b32 s14, 0
	s_mov_b32 s19, -1
	s_wait_loadcnt 0x0
	v_cmp_ne_u32_e32 vcc_lo, 0xff, v13
	v_lshlrev_b32_e32 v10, 23, v13
	s_delay_alu instid0(VALU_DEP_1) | instskip(NEXT) | instid1(VALU_DEP_1)
	v_cvt_f64_f32_e32 v[10:11], v10
	v_cndmask_b32_e32 v10, 0x20000000, v10, vcc_lo
	s_delay_alu instid0(VALU_DEP_2) | instskip(SKIP_1) | instid1(VALU_DEP_2)
	v_cndmask_b32_e32 v11, 0x7ff80000, v11, vcc_lo
	v_cmp_ne_u32_e32 vcc_lo, 0, v13
	v_cndmask_b32_e32 v11, 0x38000000, v11, vcc_lo
	s_delay_alu instid0(VALU_DEP_4)
	v_cndmask_b32_e32 v10, 0, v10, vcc_lo
	s_branch .LBB86_2216
.LBB86_2215:
	s_mov_b32 s14, -1
                                        ; implicit-def: $vgpr10_vgpr11
.LBB86_2216:
	s_mov_b32 s20, 0
.LBB86_2217:
	s_delay_alu instid0(SALU_CYCLE_1)
	s_and_b32 vcc_lo, exec_lo, s20
	s_cbranch_vccz .LBB86_2221
; %bb.2218:
	s_cmp_eq_u32 s10, 29
	s_cbranch_scc0 .LBB86_2220
; %bb.2219:
	global_load_b64 v[10:11], v[16:17], off
	s_mov_b32 s14, 0
	s_mov_b32 s19, -1
	s_mov_b32 s20, 0
	s_wait_loadcnt 0x0
	v_cvt_f64_u32_e32 v[20:21], v11
	v_cvt_f64_u32_e32 v[10:11], v10
	s_delay_alu instid0(VALU_DEP_2) | instskip(NEXT) | instid1(VALU_DEP_1)
	v_ldexp_f64 v[20:21], v[20:21], 32
	v_add_f64_e32 v[10:11], v[20:21], v[10:11]
	s_branch .LBB86_2222
.LBB86_2220:
	s_mov_b32 s14, -1
                                        ; implicit-def: $vgpr10_vgpr11
.LBB86_2221:
	s_mov_b32 s20, 0
.LBB86_2222:
	s_delay_alu instid0(SALU_CYCLE_1)
	s_and_b32 vcc_lo, exec_lo, s20
	s_cbranch_vccz .LBB86_2240
; %bb.2223:
	s_cmp_lt_i32 s10, 27
	s_cbranch_scc1 .LBB86_2226
; %bb.2224:
	s_cmp_gt_i32 s10, 27
	s_cbranch_scc0 .LBB86_2227
; %bb.2225:
	global_load_b32 v10, v[16:17], off
	s_mov_b32 s19, 0
	s_wait_loadcnt 0x0
	v_cvt_f64_u32_e32 v[10:11], v10
	s_branch .LBB86_2228
.LBB86_2226:
	s_mov_b32 s19, -1
                                        ; implicit-def: $vgpr10_vgpr11
	s_branch .LBB86_2231
.LBB86_2227:
	s_mov_b32 s19, -1
                                        ; implicit-def: $vgpr10_vgpr11
.LBB86_2228:
	s_delay_alu instid0(SALU_CYCLE_1)
	s_and_not1_b32 vcc_lo, exec_lo, s19
	s_cbranch_vccnz .LBB86_2230
; %bb.2229:
	global_load_u16 v10, v[16:17], off
	s_wait_loadcnt 0x0
	v_cvt_f64_u32_e32 v[10:11], v10
.LBB86_2230:
	s_mov_b32 s19, 0
.LBB86_2231:
	s_delay_alu instid0(SALU_CYCLE_1)
	s_and_not1_b32 vcc_lo, exec_lo, s19
	s_cbranch_vccnz .LBB86_2239
; %bb.2232:
	global_load_u8 v13, v[16:17], off
	s_mov_b32 s19, 0
	s_mov_b32 s20, exec_lo
	s_wait_loadcnt 0x0
	v_cmpx_lt_i16_e32 0x7f, v13
	s_xor_b32 s20, exec_lo, s20
	s_cbranch_execz .LBB86_2253
; %bb.2233:
	s_mov_b32 s19, -1
	s_mov_b32 s21, exec_lo
	v_cmpx_eq_u16_e32 0x80, v13
; %bb.2234:
	s_xor_b32 s19, exec_lo, -1
; %bb.2235:
	s_or_b32 exec_lo, exec_lo, s21
	s_delay_alu instid0(SALU_CYCLE_1)
	s_and_b32 s19, s19, exec_lo
	s_or_saveexec_b32 s20, s20
	v_mov_b64_e32 v[10:11], 0x7ff8000020000000
	s_xor_b32 exec_lo, exec_lo, s20
	s_cbranch_execnz .LBB86_2254
.LBB86_2236:
	s_or_b32 exec_lo, exec_lo, s20
	s_and_saveexec_b32 s20, s19
	s_cbranch_execz .LBB86_2238
.LBB86_2237:
	v_and_b32_e32 v10, 0xffff, v13
	s_delay_alu instid0(VALU_DEP_1) | instskip(SKIP_1) | instid1(VALU_DEP_2)
	v_and_b32_e32 v11, 7, v10
	v_bfe_u32 v20, v10, 3, 4
	v_clz_i32_u32_e32 v15, v11
	s_delay_alu instid0(VALU_DEP_2) | instskip(NEXT) | instid1(VALU_DEP_2)
	v_cmp_eq_u32_e32 vcc_lo, 0, v20
	v_min_u32_e32 v15, 32, v15
	s_delay_alu instid0(VALU_DEP_1) | instskip(NEXT) | instid1(VALU_DEP_1)
	v_subrev_nc_u32_e32 v19, 28, v15
	v_dual_lshlrev_b32 v10, v19, v10 :: v_dual_sub_nc_u32 v15, 29, v15
	s_delay_alu instid0(VALU_DEP_1) | instskip(NEXT) | instid1(VALU_DEP_1)
	v_dual_lshlrev_b32 v13, 24, v13 :: v_dual_bitop2_b32 v10, 7, v10 bitop3:0x40
	v_dual_cndmask_b32 v15, v20, v15 :: v_dual_cndmask_b32 v10, v11, v10
	s_delay_alu instid0(VALU_DEP_2) | instskip(NEXT) | instid1(VALU_DEP_2)
	v_and_b32_e32 v11, 0x80000000, v13
	v_lshl_add_u32 v13, v15, 23, 0x3b800000
	s_delay_alu instid0(VALU_DEP_3) | instskip(NEXT) | instid1(VALU_DEP_1)
	v_lshlrev_b32_e32 v10, 20, v10
	v_or3_b32 v10, v11, v13, v10
	s_delay_alu instid0(VALU_DEP_1)
	v_cvt_f64_f32_e32 v[10:11], v10
.LBB86_2238:
	s_or_b32 exec_lo, exec_lo, s20
.LBB86_2239:
	s_mov_b32 s19, -1
.LBB86_2240:
	s_mov_b32 s20, 0
.LBB86_2241:
	s_delay_alu instid0(SALU_CYCLE_1)
	s_and_b32 vcc_lo, exec_lo, s20
	s_cbranch_vccz .LBB86_2274
; %bb.2242:
	s_cmp_gt_i32 s10, 22
	s_cbranch_scc0 .LBB86_2252
; %bb.2243:
	s_cmp_lt_i32 s10, 24
	s_cbranch_scc1 .LBB86_2255
; %bb.2244:
	s_cmp_gt_i32 s10, 24
	s_cbranch_scc0 .LBB86_2256
; %bb.2245:
	global_load_u8 v13, v[16:17], off
	s_mov_b32 s19, exec_lo
	s_wait_loadcnt 0x0
	v_cmpx_lt_i16_e32 0x7f, v13
	s_xor_b32 s19, exec_lo, s19
	s_cbranch_execz .LBB86_2268
; %bb.2246:
	s_mov_b32 s16, -1
	s_mov_b32 s20, exec_lo
	v_cmpx_eq_u16_e32 0x80, v13
; %bb.2247:
	s_xor_b32 s16, exec_lo, -1
; %bb.2248:
	s_or_b32 exec_lo, exec_lo, s20
	s_delay_alu instid0(SALU_CYCLE_1)
	s_and_b32 s16, s16, exec_lo
	s_or_saveexec_b32 s19, s19
	v_mov_b64_e32 v[10:11], 0x7ff8000020000000
	s_xor_b32 exec_lo, exec_lo, s19
	s_cbranch_execnz .LBB86_2269
.LBB86_2249:
	s_or_b32 exec_lo, exec_lo, s19
	s_and_saveexec_b32 s19, s16
	s_cbranch_execz .LBB86_2251
.LBB86_2250:
	v_and_b32_e32 v10, 0xffff, v13
	s_delay_alu instid0(VALU_DEP_1) | instskip(SKIP_1) | instid1(VALU_DEP_2)
	v_and_b32_e32 v11, 3, v10
	v_bfe_u32 v20, v10, 2, 5
	v_clz_i32_u32_e32 v15, v11
	s_delay_alu instid0(VALU_DEP_2) | instskip(NEXT) | instid1(VALU_DEP_2)
	v_cmp_eq_u32_e32 vcc_lo, 0, v20
	v_min_u32_e32 v15, 32, v15
	s_delay_alu instid0(VALU_DEP_1) | instskip(NEXT) | instid1(VALU_DEP_1)
	v_subrev_nc_u32_e32 v19, 29, v15
	v_dual_lshlrev_b32 v10, v19, v10 :: v_dual_sub_nc_u32 v15, 30, v15
	s_delay_alu instid0(VALU_DEP_1) | instskip(NEXT) | instid1(VALU_DEP_1)
	v_dual_lshlrev_b32 v13, 24, v13 :: v_dual_bitop2_b32 v10, 3, v10 bitop3:0x40
	v_dual_cndmask_b32 v15, v20, v15 :: v_dual_cndmask_b32 v10, v11, v10
	s_delay_alu instid0(VALU_DEP_2) | instskip(NEXT) | instid1(VALU_DEP_2)
	v_and_b32_e32 v11, 0x80000000, v13
	v_lshl_add_u32 v13, v15, 23, 0x37800000
	s_delay_alu instid0(VALU_DEP_3) | instskip(NEXT) | instid1(VALU_DEP_1)
	v_lshlrev_b32_e32 v10, 21, v10
	v_or3_b32 v10, v11, v13, v10
	s_delay_alu instid0(VALU_DEP_1)
	v_cvt_f64_f32_e32 v[10:11], v10
.LBB86_2251:
	s_or_b32 exec_lo, exec_lo, s19
	s_mov_b32 s16, 0
	s_branch .LBB86_2257
.LBB86_2252:
	s_mov_b32 s16, -1
                                        ; implicit-def: $vgpr10_vgpr11
	s_branch .LBB86_2263
.LBB86_2253:
	s_or_saveexec_b32 s20, s20
	v_mov_b64_e32 v[10:11], 0x7ff8000020000000
	s_xor_b32 exec_lo, exec_lo, s20
	s_cbranch_execz .LBB86_2236
.LBB86_2254:
	v_cmp_ne_u16_e32 vcc_lo, 0, v13
	v_mov_b64_e32 v[10:11], 0
	s_and_not1_b32 s19, s19, exec_lo
	s_and_b32 s21, vcc_lo, exec_lo
	s_delay_alu instid0(SALU_CYCLE_1)
	s_or_b32 s19, s19, s21
	s_or_b32 exec_lo, exec_lo, s20
	s_and_saveexec_b32 s20, s19
	s_cbranch_execnz .LBB86_2237
	s_branch .LBB86_2238
.LBB86_2255:
	s_mov_b32 s16, -1
                                        ; implicit-def: $vgpr10_vgpr11
	s_branch .LBB86_2260
.LBB86_2256:
	s_mov_b32 s16, -1
                                        ; implicit-def: $vgpr10_vgpr11
.LBB86_2257:
	s_delay_alu instid0(SALU_CYCLE_1)
	s_and_b32 vcc_lo, exec_lo, s16
	s_cbranch_vccz .LBB86_2259
; %bb.2258:
	global_load_u8 v10, v[16:17], off
	s_wait_loadcnt 0x0
	v_lshlrev_b32_e32 v10, 24, v10
	s_delay_alu instid0(VALU_DEP_1) | instskip(NEXT) | instid1(VALU_DEP_1)
	v_and_b32_e32 v11, 0x7f000000, v10
	v_clz_i32_u32_e32 v13, v11
	v_add_nc_u32_e32 v19, 0x1000000, v11
	v_cmp_ne_u32_e32 vcc_lo, 0, v11
	s_delay_alu instid0(VALU_DEP_3) | instskip(NEXT) | instid1(VALU_DEP_1)
	v_min_u32_e32 v13, 32, v13
	v_sub_nc_u32_e64 v13, v13, 4 clamp
	s_delay_alu instid0(VALU_DEP_1) | instskip(NEXT) | instid1(VALU_DEP_1)
	v_dual_lshlrev_b32 v15, v13, v11 :: v_dual_lshlrev_b32 v13, 23, v13
	v_lshrrev_b32_e32 v15, 4, v15
	s_delay_alu instid0(VALU_DEP_1) | instskip(NEXT) | instid1(VALU_DEP_1)
	v_dual_sub_nc_u32 v13, v15, v13 :: v_dual_ashrrev_i32 v15, 8, v19
	v_add_nc_u32_e32 v13, 0x3c000000, v13
	s_delay_alu instid0(VALU_DEP_1) | instskip(NEXT) | instid1(VALU_DEP_1)
	v_and_or_b32 v13, 0x7f800000, v15, v13
	v_cndmask_b32_e32 v11, 0, v13, vcc_lo
	s_delay_alu instid0(VALU_DEP_1) | instskip(NEXT) | instid1(VALU_DEP_1)
	v_and_or_b32 v10, 0x80000000, v10, v11
	v_cvt_f64_f32_e32 v[10:11], v10
.LBB86_2259:
	s_mov_b32 s16, 0
.LBB86_2260:
	s_delay_alu instid0(SALU_CYCLE_1)
	s_and_not1_b32 vcc_lo, exec_lo, s16
	s_cbranch_vccnz .LBB86_2262
; %bb.2261:
	global_load_u8 v10, v[16:17], off
	s_wait_loadcnt 0x0
	v_lshlrev_b32_e32 v11, 25, v10
	v_lshlrev_b16 v10, 8, v10
	s_delay_alu instid0(VALU_DEP_1) | instskip(SKIP_1) | instid1(VALU_DEP_2)
	v_and_or_b32 v15, 0x7f00, v10, 0.5
	v_bfe_i32 v10, v10, 0, 16
	v_add_f32_e32 v15, -0.5, v15
	v_lshrrev_b32_e32 v13, 4, v11
	v_cmp_gt_u32_e32 vcc_lo, 0x8000000, v11
	s_delay_alu instid0(VALU_DEP_2) | instskip(NEXT) | instid1(VALU_DEP_1)
	v_or_b32_e32 v13, 0x70000000, v13
	v_mul_f32_e32 v13, 0x7800000, v13
	s_delay_alu instid0(VALU_DEP_1) | instskip(NEXT) | instid1(VALU_DEP_1)
	v_cndmask_b32_e32 v11, v13, v15, vcc_lo
	v_and_or_b32 v10, 0x80000000, v10, v11
	s_delay_alu instid0(VALU_DEP_1)
	v_cvt_f64_f32_e32 v[10:11], v10
.LBB86_2262:
	s_mov_b32 s16, 0
	s_mov_b32 s19, -1
.LBB86_2263:
	s_and_not1_b32 vcc_lo, exec_lo, s16
	s_mov_b32 s16, 0
	s_cbranch_vccnz .LBB86_2274
; %bb.2264:
	s_cmp_gt_i32 s10, 14
	s_cbranch_scc0 .LBB86_2267
; %bb.2265:
	s_cmp_eq_u32 s10, 15
	s_cbranch_scc0 .LBB86_2270
; %bb.2266:
	global_load_u16 v10, v[16:17], off
	s_mov_b32 s14, 0
	s_mov_b32 s19, -1
	s_wait_loadcnt 0x0
	v_lshlrev_b32_e32 v10, 16, v10
	s_delay_alu instid0(VALU_DEP_1)
	v_cvt_f64_f32_e32 v[10:11], v10
	s_branch .LBB86_2272
.LBB86_2267:
	s_mov_b32 s16, -1
	s_branch .LBB86_2271
.LBB86_2268:
	s_or_saveexec_b32 s19, s19
	v_mov_b64_e32 v[10:11], 0x7ff8000020000000
	s_xor_b32 exec_lo, exec_lo, s19
	s_cbranch_execz .LBB86_2249
.LBB86_2269:
	v_cmp_ne_u16_e32 vcc_lo, 0, v13
	v_mov_b64_e32 v[10:11], 0
	s_and_not1_b32 s16, s16, exec_lo
	s_and_b32 s20, vcc_lo, exec_lo
	s_delay_alu instid0(SALU_CYCLE_1)
	s_or_b32 s16, s16, s20
	s_or_b32 exec_lo, exec_lo, s19
	s_and_saveexec_b32 s19, s16
	s_cbranch_execnz .LBB86_2250
	s_branch .LBB86_2251
.LBB86_2270:
	s_mov_b32 s14, -1
.LBB86_2271:
                                        ; implicit-def: $vgpr10_vgpr11
.LBB86_2272:
	s_and_b32 vcc_lo, exec_lo, s16
	s_mov_b32 s16, 0
	s_cbranch_vccz .LBB86_2274
; %bb.2273:
	s_cmp_lg_u32 s10, 11
	s_mov_b32 s16, -1
	s_cselect_b32 s14, -1, 0
.LBB86_2274:
	s_delay_alu instid0(SALU_CYCLE_1)
	s_and_b32 vcc_lo, exec_lo, s14
	s_cbranch_vccnz .LBB86_2339
; %bb.2275:
	s_and_not1_b32 vcc_lo, exec_lo, s16
	s_cbranch_vccnz .LBB86_2277
.LBB86_2276:
	global_load_u8 v10, v[16:17], off
	s_mov_b32 s19, -1
	s_wait_loadcnt 0x0
	v_cmp_ne_u16_e32 vcc_lo, 0, v10
	v_mov_b32_e32 v10, 0
	v_cndmask_b32_e64 v11, 0, 0x3ff00000, vcc_lo
.LBB86_2277:
	s_mov_b32 s10, 0
.LBB86_2278:
	s_delay_alu instid0(SALU_CYCLE_1)
	s_and_b32 vcc_lo, exec_lo, s10
	s_cbranch_vccz .LBB86_2327
; %bb.2279:
	s_and_b32 s10, 0xffff, s1
	s_delay_alu instid0(SALU_CYCLE_1)
	s_cmp_lt_i32 s10, 5
	s_cbranch_scc1 .LBB86_2284
; %bb.2280:
	s_cmp_lt_i32 s10, 8
	s_cbranch_scc1 .LBB86_2285
; %bb.2281:
	;; [unrolled: 3-line block ×3, first 2 shown]
	s_cmp_gt_i32 s10, 9
	s_cbranch_scc0 .LBB86_2287
; %bb.2283:
	global_load_b64 v[10:11], v[16:17], off
	s_mov_b32 s14, 0
	s_branch .LBB86_2288
.LBB86_2284:
	s_mov_b32 s14, -1
                                        ; implicit-def: $vgpr10_vgpr11
	s_branch .LBB86_2306
.LBB86_2285:
	s_mov_b32 s14, -1
                                        ; implicit-def: $vgpr10_vgpr11
	s_branch .LBB86_2294
.LBB86_2286:
	s_mov_b32 s14, -1
                                        ; implicit-def: $vgpr10_vgpr11
	s_branch .LBB86_2291
.LBB86_2287:
	s_mov_b32 s14, -1
                                        ; implicit-def: $vgpr10_vgpr11
.LBB86_2288:
	s_delay_alu instid0(SALU_CYCLE_1)
	s_and_not1_b32 vcc_lo, exec_lo, s14
	s_cbranch_vccnz .LBB86_2290
; %bb.2289:
	s_wait_loadcnt 0x0
	global_load_b32 v10, v[16:17], off
	s_wait_loadcnt 0x0
	v_cvt_f64_f32_e32 v[10:11], v10
.LBB86_2290:
	s_mov_b32 s14, 0
.LBB86_2291:
	s_delay_alu instid0(SALU_CYCLE_1)
	s_and_not1_b32 vcc_lo, exec_lo, s14
	s_cbranch_vccnz .LBB86_2293
; %bb.2292:
	s_wait_loadcnt 0x0
	global_load_b32 v10, v[16:17], off
	s_wait_loadcnt 0x0
	v_cvt_f32_f16_e32 v10, v10
	s_delay_alu instid0(VALU_DEP_1)
	v_cvt_f64_f32_e32 v[10:11], v10
.LBB86_2293:
	s_mov_b32 s14, 0
.LBB86_2294:
	s_delay_alu instid0(SALU_CYCLE_1)
	s_and_not1_b32 vcc_lo, exec_lo, s14
	s_cbranch_vccnz .LBB86_2305
; %bb.2295:
	s_cmp_lt_i32 s10, 6
	s_cbranch_scc1 .LBB86_2298
; %bb.2296:
	s_cmp_gt_i32 s10, 6
	s_cbranch_scc0 .LBB86_2299
; %bb.2297:
	s_wait_loadcnt 0x0
	global_load_b64 v[10:11], v[16:17], off
	s_mov_b32 s14, 0
	s_branch .LBB86_2300
.LBB86_2298:
	s_mov_b32 s14, -1
                                        ; implicit-def: $vgpr10_vgpr11
	s_branch .LBB86_2303
.LBB86_2299:
	s_mov_b32 s14, -1
                                        ; implicit-def: $vgpr10_vgpr11
.LBB86_2300:
	s_delay_alu instid0(SALU_CYCLE_1)
	s_and_not1_b32 vcc_lo, exec_lo, s14
	s_cbranch_vccnz .LBB86_2302
; %bb.2301:
	s_wait_loadcnt 0x0
	global_load_b32 v10, v[16:17], off
	s_wait_loadcnt 0x0
	v_cvt_f64_f32_e32 v[10:11], v10
.LBB86_2302:
	s_mov_b32 s14, 0
.LBB86_2303:
	s_delay_alu instid0(SALU_CYCLE_1)
	s_and_not1_b32 vcc_lo, exec_lo, s14
	s_cbranch_vccnz .LBB86_2305
; %bb.2304:
	s_wait_loadcnt 0x0
	global_load_u16 v10, v[16:17], off
	s_wait_loadcnt 0x0
	v_cvt_f32_f16_e32 v10, v10
	s_delay_alu instid0(VALU_DEP_1)
	v_cvt_f64_f32_e32 v[10:11], v10
.LBB86_2305:
	s_mov_b32 s14, 0
.LBB86_2306:
	s_delay_alu instid0(SALU_CYCLE_1)
	s_and_not1_b32 vcc_lo, exec_lo, s14
	s_cbranch_vccnz .LBB86_2326
; %bb.2307:
	s_cmp_lt_i32 s10, 2
	s_cbranch_scc1 .LBB86_2311
; %bb.2308:
	s_cmp_lt_i32 s10, 3
	s_cbranch_scc1 .LBB86_2312
; %bb.2309:
	s_cmp_gt_i32 s10, 3
	s_cbranch_scc0 .LBB86_2313
; %bb.2310:
	s_wait_loadcnt 0x0
	global_load_b64 v[10:11], v[16:17], off
	s_mov_b32 s14, 0
	s_wait_loadcnt 0x0
	v_cvt_f64_i32_e32 v[20:21], v11
	v_cvt_f64_u32_e32 v[10:11], v10
	s_delay_alu instid0(VALU_DEP_2) | instskip(NEXT) | instid1(VALU_DEP_1)
	v_ldexp_f64 v[20:21], v[20:21], 32
	v_add_f64_e32 v[10:11], v[20:21], v[10:11]
	s_branch .LBB86_2314
.LBB86_2311:
	s_mov_b32 s14, -1
                                        ; implicit-def: $vgpr10_vgpr11
	s_branch .LBB86_2320
.LBB86_2312:
	s_mov_b32 s14, -1
                                        ; implicit-def: $vgpr10_vgpr11
	s_branch .LBB86_2317
.LBB86_2313:
	s_mov_b32 s14, -1
                                        ; implicit-def: $vgpr10_vgpr11
.LBB86_2314:
	s_delay_alu instid0(SALU_CYCLE_1)
	s_and_not1_b32 vcc_lo, exec_lo, s14
	s_cbranch_vccnz .LBB86_2316
; %bb.2315:
	s_wait_loadcnt 0x0
	global_load_b32 v10, v[16:17], off
	s_wait_loadcnt 0x0
	v_cvt_f64_i32_e32 v[10:11], v10
.LBB86_2316:
	s_mov_b32 s14, 0
.LBB86_2317:
	s_delay_alu instid0(SALU_CYCLE_1)
	s_and_not1_b32 vcc_lo, exec_lo, s14
	s_cbranch_vccnz .LBB86_2319
; %bb.2318:
	s_wait_loadcnt 0x0
	global_load_i16 v10, v[16:17], off
	s_wait_loadcnt 0x0
	v_cvt_f64_i32_e32 v[10:11], v10
.LBB86_2319:
	s_mov_b32 s14, 0
.LBB86_2320:
	s_delay_alu instid0(SALU_CYCLE_1)
	s_and_not1_b32 vcc_lo, exec_lo, s14
	s_cbranch_vccnz .LBB86_2326
; %bb.2321:
	s_cmp_gt_i32 s10, 0
	s_mov_b32 s10, 0
	s_cbranch_scc0 .LBB86_2323
; %bb.2322:
	s_wait_loadcnt 0x0
	global_load_i8 v10, v[16:17], off
	s_wait_loadcnt 0x0
	v_cvt_f64_i32_e32 v[10:11], v10
	s_branch .LBB86_2324
.LBB86_2323:
	s_mov_b32 s10, -1
                                        ; implicit-def: $vgpr10_vgpr11
.LBB86_2324:
	s_delay_alu instid0(SALU_CYCLE_1)
	s_and_not1_b32 vcc_lo, exec_lo, s10
	s_cbranch_vccnz .LBB86_2326
; %bb.2325:
	s_wait_loadcnt 0x0
	global_load_u8 v10, v[16:17], off
	s_wait_loadcnt 0x0
	v_cvt_f64_u32_e32 v[10:11], v10
.LBB86_2326:
	s_mov_b32 s19, -1
.LBB86_2327:
	s_delay_alu instid0(SALU_CYCLE_1)
	s_and_not1_b32 vcc_lo, exec_lo, s19
	s_cbranch_vccnz .LBB86_3022
; %bb.2328:
	v_add_nc_u32_e32 v12, s2, v12
	s_cmp_lt_i32 s0, 11
	s_delay_alu instid0(VALU_DEP_1) | instskip(SKIP_1) | instid1(VALU_DEP_1)
	v_ashrrev_i32_e32 v13, 31, v12
	s_wait_xcnt 0x0
	v_add_nc_u64_e32 v[16:17], s[6:7], v[12:13]
	s_cbranch_scc1 .LBB86_2335
; %bb.2329:
	s_and_b32 s2, 0xffff, s0
	s_mov_b32 s7, 0
	s_cmp_gt_i32 s2, 25
	s_cbranch_scc0 .LBB86_2336
; %bb.2330:
	s_cmp_gt_i32 s2, 28
	s_cbranch_scc0 .LBB86_2337
; %bb.2331:
	;; [unrolled: 3-line block ×4, first 2 shown]
	s_cmp_eq_u32 s2, 46
	s_mov_b32 s14, 0
	s_cbranch_scc0 .LBB86_2341
; %bb.2334:
	global_load_b32 v12, v[16:17], off
	s_mov_b32 s6, 0
	s_mov_b32 s10, -1
	s_wait_loadcnt 0x0
	v_lshlrev_b32_e32 v12, 16, v12
	s_delay_alu instid0(VALU_DEP_1)
	v_cvt_f64_f32_e32 v[12:13], v12
	s_branch .LBB86_2343
.LBB86_2335:
	s_mov_b32 s2, -1
	s_mov_b32 s10, 0
                                        ; implicit-def: $vgpr12_vgpr13
	s_branch .LBB86_2409
.LBB86_2336:
	s_mov_b32 s14, -1
	s_mov_b32 s10, 0
	s_mov_b32 s6, 0
                                        ; implicit-def: $vgpr12_vgpr13
	s_branch .LBB86_2372
.LBB86_2337:
	s_mov_b32 s14, -1
	s_mov_b32 s10, 0
	s_mov_b32 s6, 0
                                        ; implicit-def: $vgpr12_vgpr13
	s_branch .LBB86_2353
.LBB86_2338:
	s_mov_b32 s14, -1
	s_mov_b32 s10, 0
	s_mov_b32 s6, 0
                                        ; implicit-def: $vgpr12_vgpr13
	s_branch .LBB86_2348
.LBB86_2339:
	s_or_b32 s15, s15, exec_lo
	s_trap 2
	s_cbranch_execz .LBB86_2276
	s_branch .LBB86_2277
.LBB86_2340:
	s_mov_b32 s14, -1
	s_mov_b32 s10, 0
	s_mov_b32 s6, 0
	s_branch .LBB86_2342
.LBB86_2341:
	s_mov_b32 s6, -1
	s_mov_b32 s10, 0
.LBB86_2342:
                                        ; implicit-def: $vgpr12_vgpr13
.LBB86_2343:
	s_and_b32 vcc_lo, exec_lo, s14
	s_cbranch_vccz .LBB86_2347
; %bb.2344:
	s_cmp_eq_u32 s2, 44
	s_cbranch_scc0 .LBB86_2346
; %bb.2345:
	global_load_u8 v15, v[16:17], off
	s_mov_b32 s6, 0
	s_mov_b32 s10, -1
	s_wait_loadcnt 0x0
	v_cmp_ne_u32_e32 vcc_lo, 0xff, v15
	v_lshlrev_b32_e32 v12, 23, v15
	s_delay_alu instid0(VALU_DEP_1) | instskip(NEXT) | instid1(VALU_DEP_1)
	v_cvt_f64_f32_e32 v[12:13], v12
	v_cndmask_b32_e32 v12, 0x20000000, v12, vcc_lo
	s_delay_alu instid0(VALU_DEP_2) | instskip(SKIP_1) | instid1(VALU_DEP_2)
	v_cndmask_b32_e32 v13, 0x7ff80000, v13, vcc_lo
	v_cmp_ne_u32_e32 vcc_lo, 0, v15
	v_cndmask_b32_e32 v13, 0x38000000, v13, vcc_lo
	s_delay_alu instid0(VALU_DEP_4)
	v_cndmask_b32_e32 v12, 0, v12, vcc_lo
	s_branch .LBB86_2347
.LBB86_2346:
	s_mov_b32 s6, -1
                                        ; implicit-def: $vgpr12_vgpr13
.LBB86_2347:
	s_mov_b32 s14, 0
.LBB86_2348:
	s_delay_alu instid0(SALU_CYCLE_1)
	s_and_b32 vcc_lo, exec_lo, s14
	s_cbranch_vccz .LBB86_2352
; %bb.2349:
	s_cmp_eq_u32 s2, 29
	s_cbranch_scc0 .LBB86_2351
; %bb.2350:
	global_load_b64 v[12:13], v[16:17], off
	s_mov_b32 s6, 0
	s_mov_b32 s10, -1
	s_mov_b32 s14, 0
	s_wait_loadcnt 0x0
	v_cvt_f64_u32_e32 v[20:21], v13
	v_cvt_f64_u32_e32 v[12:13], v12
	s_delay_alu instid0(VALU_DEP_2) | instskip(NEXT) | instid1(VALU_DEP_1)
	v_ldexp_f64 v[20:21], v[20:21], 32
	v_add_f64_e32 v[12:13], v[20:21], v[12:13]
	s_branch .LBB86_2353
.LBB86_2351:
	s_mov_b32 s6, -1
                                        ; implicit-def: $vgpr12_vgpr13
.LBB86_2352:
	s_mov_b32 s14, 0
.LBB86_2353:
	s_delay_alu instid0(SALU_CYCLE_1)
	s_and_b32 vcc_lo, exec_lo, s14
	s_cbranch_vccz .LBB86_2371
; %bb.2354:
	s_cmp_lt_i32 s2, 27
	s_cbranch_scc1 .LBB86_2357
; %bb.2355:
	s_cmp_gt_i32 s2, 27
	s_cbranch_scc0 .LBB86_2358
; %bb.2356:
	global_load_b32 v12, v[16:17], off
	s_mov_b32 s10, 0
	s_wait_loadcnt 0x0
	v_cvt_f64_u32_e32 v[12:13], v12
	s_branch .LBB86_2359
.LBB86_2357:
	s_mov_b32 s10, -1
                                        ; implicit-def: $vgpr12_vgpr13
	s_branch .LBB86_2362
.LBB86_2358:
	s_mov_b32 s10, -1
                                        ; implicit-def: $vgpr12_vgpr13
.LBB86_2359:
	s_delay_alu instid0(SALU_CYCLE_1)
	s_and_not1_b32 vcc_lo, exec_lo, s10
	s_cbranch_vccnz .LBB86_2361
; %bb.2360:
	global_load_u16 v12, v[16:17], off
	s_wait_loadcnt 0x0
	v_cvt_f64_u32_e32 v[12:13], v12
.LBB86_2361:
	s_mov_b32 s10, 0
.LBB86_2362:
	s_delay_alu instid0(SALU_CYCLE_1)
	s_and_not1_b32 vcc_lo, exec_lo, s10
	s_cbranch_vccnz .LBB86_2370
; %bb.2363:
	global_load_u8 v15, v[16:17], off
	s_mov_b32 s10, 0
	s_mov_b32 s14, exec_lo
	s_wait_loadcnt 0x0
	v_cmpx_lt_i16_e32 0x7f, v15
	s_xor_b32 s14, exec_lo, s14
	s_cbranch_execz .LBB86_2384
; %bb.2364:
	s_mov_b32 s10, -1
	s_mov_b32 s16, exec_lo
	v_cmpx_eq_u16_e32 0x80, v15
; %bb.2365:
	s_xor_b32 s10, exec_lo, -1
; %bb.2366:
	s_or_b32 exec_lo, exec_lo, s16
	s_delay_alu instid0(SALU_CYCLE_1)
	s_and_b32 s10, s10, exec_lo
	s_or_saveexec_b32 s14, s14
	v_mov_b64_e32 v[12:13], 0x7ff8000020000000
	s_xor_b32 exec_lo, exec_lo, s14
	s_cbranch_execnz .LBB86_2385
.LBB86_2367:
	s_or_b32 exec_lo, exec_lo, s14
	s_and_saveexec_b32 s14, s10
	s_cbranch_execz .LBB86_2369
.LBB86_2368:
	v_and_b32_e32 v12, 0xffff, v15
	s_delay_alu instid0(VALU_DEP_1) | instskip(SKIP_1) | instid1(VALU_DEP_2)
	v_and_b32_e32 v13, 7, v12
	v_bfe_u32 v21, v12, 3, 4
	v_clz_i32_u32_e32 v19, v13
	s_delay_alu instid0(VALU_DEP_2) | instskip(NEXT) | instid1(VALU_DEP_2)
	v_cmp_eq_u32_e32 vcc_lo, 0, v21
	v_min_u32_e32 v19, 32, v19
	s_delay_alu instid0(VALU_DEP_1) | instskip(NEXT) | instid1(VALU_DEP_1)
	v_subrev_nc_u32_e32 v20, 28, v19
	v_dual_lshlrev_b32 v12, v20, v12 :: v_dual_sub_nc_u32 v19, 29, v19
	s_delay_alu instid0(VALU_DEP_1) | instskip(NEXT) | instid1(VALU_DEP_1)
	v_dual_lshlrev_b32 v15, 24, v15 :: v_dual_bitop2_b32 v12, 7, v12 bitop3:0x40
	v_cndmask_b32_e32 v12, v13, v12, vcc_lo
	s_delay_alu instid0(VALU_DEP_3) | instskip(NEXT) | instid1(VALU_DEP_3)
	v_cndmask_b32_e32 v19, v21, v19, vcc_lo
	v_and_b32_e32 v13, 0x80000000, v15
	s_delay_alu instid0(VALU_DEP_3) | instskip(NEXT) | instid1(VALU_DEP_3)
	v_lshlrev_b32_e32 v12, 20, v12
	v_lshl_add_u32 v15, v19, 23, 0x3b800000
	s_delay_alu instid0(VALU_DEP_1) | instskip(NEXT) | instid1(VALU_DEP_1)
	v_or3_b32 v12, v13, v15, v12
	v_cvt_f64_f32_e32 v[12:13], v12
.LBB86_2369:
	s_or_b32 exec_lo, exec_lo, s14
.LBB86_2370:
	s_mov_b32 s10, -1
.LBB86_2371:
	s_mov_b32 s14, 0
.LBB86_2372:
	s_delay_alu instid0(SALU_CYCLE_1)
	s_and_b32 vcc_lo, exec_lo, s14
	s_cbranch_vccz .LBB86_2405
; %bb.2373:
	s_cmp_gt_i32 s2, 22
	s_cbranch_scc0 .LBB86_2383
; %bb.2374:
	s_cmp_lt_i32 s2, 24
	s_cbranch_scc1 .LBB86_2386
; %bb.2375:
	s_cmp_gt_i32 s2, 24
	s_cbranch_scc0 .LBB86_2387
; %bb.2376:
	global_load_u8 v15, v[16:17], off
	s_mov_b32 s10, exec_lo
	s_wait_loadcnt 0x0
	v_cmpx_lt_i16_e32 0x7f, v15
	s_xor_b32 s10, exec_lo, s10
	s_cbranch_execz .LBB86_2399
; %bb.2377:
	s_mov_b32 s7, -1
	s_mov_b32 s14, exec_lo
	v_cmpx_eq_u16_e32 0x80, v15
; %bb.2378:
	s_xor_b32 s7, exec_lo, -1
; %bb.2379:
	s_or_b32 exec_lo, exec_lo, s14
	s_delay_alu instid0(SALU_CYCLE_1)
	s_and_b32 s7, s7, exec_lo
	s_or_saveexec_b32 s10, s10
	v_mov_b64_e32 v[12:13], 0x7ff8000020000000
	s_xor_b32 exec_lo, exec_lo, s10
	s_cbranch_execnz .LBB86_2400
.LBB86_2380:
	s_or_b32 exec_lo, exec_lo, s10
	s_and_saveexec_b32 s10, s7
	s_cbranch_execz .LBB86_2382
.LBB86_2381:
	v_and_b32_e32 v12, 0xffff, v15
	s_delay_alu instid0(VALU_DEP_1) | instskip(SKIP_1) | instid1(VALU_DEP_2)
	v_and_b32_e32 v13, 3, v12
	v_bfe_u32 v21, v12, 2, 5
	v_clz_i32_u32_e32 v19, v13
	s_delay_alu instid0(VALU_DEP_2) | instskip(NEXT) | instid1(VALU_DEP_2)
	v_cmp_eq_u32_e32 vcc_lo, 0, v21
	v_min_u32_e32 v19, 32, v19
	s_delay_alu instid0(VALU_DEP_1) | instskip(NEXT) | instid1(VALU_DEP_1)
	v_subrev_nc_u32_e32 v20, 29, v19
	v_dual_lshlrev_b32 v12, v20, v12 :: v_dual_sub_nc_u32 v19, 30, v19
	s_delay_alu instid0(VALU_DEP_1) | instskip(NEXT) | instid1(VALU_DEP_1)
	v_dual_lshlrev_b32 v15, 24, v15 :: v_dual_bitop2_b32 v12, 3, v12 bitop3:0x40
	v_cndmask_b32_e32 v12, v13, v12, vcc_lo
	s_delay_alu instid0(VALU_DEP_3) | instskip(NEXT) | instid1(VALU_DEP_3)
	v_cndmask_b32_e32 v19, v21, v19, vcc_lo
	v_and_b32_e32 v13, 0x80000000, v15
	s_delay_alu instid0(VALU_DEP_3) | instskip(NEXT) | instid1(VALU_DEP_3)
	v_lshlrev_b32_e32 v12, 21, v12
	v_lshl_add_u32 v15, v19, 23, 0x37800000
	s_delay_alu instid0(VALU_DEP_1) | instskip(NEXT) | instid1(VALU_DEP_1)
	v_or3_b32 v12, v13, v15, v12
	v_cvt_f64_f32_e32 v[12:13], v12
.LBB86_2382:
	s_or_b32 exec_lo, exec_lo, s10
	s_mov_b32 s7, 0
	s_branch .LBB86_2388
.LBB86_2383:
	s_mov_b32 s7, -1
                                        ; implicit-def: $vgpr12_vgpr13
	s_branch .LBB86_2394
.LBB86_2384:
	s_or_saveexec_b32 s14, s14
	v_mov_b64_e32 v[12:13], 0x7ff8000020000000
	s_xor_b32 exec_lo, exec_lo, s14
	s_cbranch_execz .LBB86_2367
.LBB86_2385:
	v_cmp_ne_u16_e32 vcc_lo, 0, v15
	v_mov_b64_e32 v[12:13], 0
	s_and_not1_b32 s10, s10, exec_lo
	s_and_b32 s16, vcc_lo, exec_lo
	s_delay_alu instid0(SALU_CYCLE_1)
	s_or_b32 s10, s10, s16
	s_or_b32 exec_lo, exec_lo, s14
	s_and_saveexec_b32 s14, s10
	s_cbranch_execnz .LBB86_2368
	s_branch .LBB86_2369
.LBB86_2386:
	s_mov_b32 s7, -1
                                        ; implicit-def: $vgpr12_vgpr13
	s_branch .LBB86_2391
.LBB86_2387:
	s_mov_b32 s7, -1
                                        ; implicit-def: $vgpr12_vgpr13
.LBB86_2388:
	s_delay_alu instid0(SALU_CYCLE_1)
	s_and_b32 vcc_lo, exec_lo, s7
	s_cbranch_vccz .LBB86_2390
; %bb.2389:
	global_load_u8 v12, v[16:17], off
	s_wait_loadcnt 0x0
	v_lshlrev_b32_e32 v12, 24, v12
	s_delay_alu instid0(VALU_DEP_1) | instskip(NEXT) | instid1(VALU_DEP_1)
	v_and_b32_e32 v13, 0x7f000000, v12
	v_clz_i32_u32_e32 v15, v13
	v_cmp_ne_u32_e32 vcc_lo, 0, v13
	v_add_nc_u32_e32 v20, 0x1000000, v13
	s_delay_alu instid0(VALU_DEP_3) | instskip(NEXT) | instid1(VALU_DEP_1)
	v_min_u32_e32 v15, 32, v15
	v_sub_nc_u32_e64 v15, v15, 4 clamp
	s_delay_alu instid0(VALU_DEP_1) | instskip(NEXT) | instid1(VALU_DEP_1)
	v_dual_lshlrev_b32 v19, v15, v13 :: v_dual_lshlrev_b32 v15, 23, v15
	v_lshrrev_b32_e32 v19, 4, v19
	s_delay_alu instid0(VALU_DEP_1) | instskip(NEXT) | instid1(VALU_DEP_1)
	v_dual_sub_nc_u32 v15, v19, v15 :: v_dual_ashrrev_i32 v19, 8, v20
	v_add_nc_u32_e32 v15, 0x3c000000, v15
	s_delay_alu instid0(VALU_DEP_1) | instskip(NEXT) | instid1(VALU_DEP_1)
	v_and_or_b32 v15, 0x7f800000, v19, v15
	v_cndmask_b32_e32 v13, 0, v15, vcc_lo
	s_delay_alu instid0(VALU_DEP_1) | instskip(NEXT) | instid1(VALU_DEP_1)
	v_and_or_b32 v12, 0x80000000, v12, v13
	v_cvt_f64_f32_e32 v[12:13], v12
.LBB86_2390:
	s_mov_b32 s7, 0
.LBB86_2391:
	s_delay_alu instid0(SALU_CYCLE_1)
	s_and_not1_b32 vcc_lo, exec_lo, s7
	s_cbranch_vccnz .LBB86_2393
; %bb.2392:
	global_load_u8 v12, v[16:17], off
	s_wait_loadcnt 0x0
	v_lshlrev_b32_e32 v13, 25, v12
	v_lshlrev_b16 v12, 8, v12
	s_delay_alu instid0(VALU_DEP_1) | instskip(SKIP_1) | instid1(VALU_DEP_2)
	v_and_or_b32 v19, 0x7f00, v12, 0.5
	v_bfe_i32 v12, v12, 0, 16
	v_dual_add_f32 v19, -0.5, v19 :: v_dual_lshrrev_b32 v15, 4, v13
	v_cmp_gt_u32_e32 vcc_lo, 0x8000000, v13
	s_delay_alu instid0(VALU_DEP_2) | instskip(NEXT) | instid1(VALU_DEP_1)
	v_or_b32_e32 v15, 0x70000000, v15
	v_mul_f32_e32 v15, 0x7800000, v15
	s_delay_alu instid0(VALU_DEP_1) | instskip(NEXT) | instid1(VALU_DEP_1)
	v_cndmask_b32_e32 v13, v15, v19, vcc_lo
	v_and_or_b32 v12, 0x80000000, v12, v13
	s_delay_alu instid0(VALU_DEP_1)
	v_cvt_f64_f32_e32 v[12:13], v12
.LBB86_2393:
	s_mov_b32 s7, 0
	s_mov_b32 s10, -1
.LBB86_2394:
	s_and_not1_b32 vcc_lo, exec_lo, s7
	s_mov_b32 s7, 0
	s_cbranch_vccnz .LBB86_2405
; %bb.2395:
	s_cmp_gt_i32 s2, 14
	s_cbranch_scc0 .LBB86_2398
; %bb.2396:
	s_cmp_eq_u32 s2, 15
	s_cbranch_scc0 .LBB86_2401
; %bb.2397:
	global_load_u16 v12, v[16:17], off
	s_mov_b32 s6, 0
	s_mov_b32 s10, -1
	s_wait_loadcnt 0x0
	v_lshlrev_b32_e32 v12, 16, v12
	s_delay_alu instid0(VALU_DEP_1)
	v_cvt_f64_f32_e32 v[12:13], v12
	s_branch .LBB86_2403
.LBB86_2398:
	s_mov_b32 s7, -1
	s_branch .LBB86_2402
.LBB86_2399:
	s_or_saveexec_b32 s10, s10
	v_mov_b64_e32 v[12:13], 0x7ff8000020000000
	s_xor_b32 exec_lo, exec_lo, s10
	s_cbranch_execz .LBB86_2380
.LBB86_2400:
	v_cmp_ne_u16_e32 vcc_lo, 0, v15
	v_mov_b64_e32 v[12:13], 0
	s_and_not1_b32 s7, s7, exec_lo
	s_and_b32 s14, vcc_lo, exec_lo
	s_delay_alu instid0(SALU_CYCLE_1)
	s_or_b32 s7, s7, s14
	s_or_b32 exec_lo, exec_lo, s10
	s_and_saveexec_b32 s10, s7
	s_cbranch_execnz .LBB86_2381
	s_branch .LBB86_2382
.LBB86_2401:
	s_mov_b32 s6, -1
.LBB86_2402:
                                        ; implicit-def: $vgpr12_vgpr13
.LBB86_2403:
	s_and_b32 vcc_lo, exec_lo, s7
	s_mov_b32 s7, 0
	s_cbranch_vccz .LBB86_2405
; %bb.2404:
	s_cmp_lg_u32 s2, 11
	s_mov_b32 s7, -1
	s_cselect_b32 s6, -1, 0
.LBB86_2405:
	s_delay_alu instid0(SALU_CYCLE_1)
	s_and_b32 vcc_lo, exec_lo, s6
	s_cbranch_vccnz .LBB86_2470
; %bb.2406:
	s_and_not1_b32 vcc_lo, exec_lo, s7
	s_cbranch_vccnz .LBB86_2408
.LBB86_2407:
	global_load_u8 v12, v[16:17], off
	s_mov_b32 s10, -1
	s_wait_loadcnt 0x0
	v_cmp_ne_u16_e32 vcc_lo, 0, v12
	v_mov_b32_e32 v12, 0
	v_cndmask_b32_e64 v13, 0, 0x3ff00000, vcc_lo
.LBB86_2408:
	s_mov_b32 s2, 0
.LBB86_2409:
	s_delay_alu instid0(SALU_CYCLE_1)
	s_and_b32 vcc_lo, exec_lo, s2
	s_cbranch_vccz .LBB86_2458
; %bb.2410:
	s_and_b32 s0, 0xffff, s0
	s_delay_alu instid0(SALU_CYCLE_1)
	s_cmp_lt_i32 s0, 5
	s_cbranch_scc1 .LBB86_2415
; %bb.2411:
	s_cmp_lt_i32 s0, 8
	s_cbranch_scc1 .LBB86_2416
; %bb.2412:
	s_cmp_lt_i32 s0, 9
	s_cbranch_scc1 .LBB86_2417
; %bb.2413:
	s_cmp_gt_i32 s0, 9
	s_cbranch_scc0 .LBB86_2418
; %bb.2414:
	global_load_b64 v[12:13], v[16:17], off
	s_mov_b32 s2, 0
	s_branch .LBB86_2419
.LBB86_2415:
	s_mov_b32 s2, -1
                                        ; implicit-def: $vgpr12_vgpr13
	s_branch .LBB86_2437
.LBB86_2416:
	s_mov_b32 s2, -1
                                        ; implicit-def: $vgpr12_vgpr13
	s_branch .LBB86_2425
.LBB86_2417:
	s_mov_b32 s2, -1
                                        ; implicit-def: $vgpr12_vgpr13
	s_branch .LBB86_2422
.LBB86_2418:
	s_mov_b32 s2, -1
                                        ; implicit-def: $vgpr12_vgpr13
.LBB86_2419:
	s_delay_alu instid0(SALU_CYCLE_1)
	s_and_not1_b32 vcc_lo, exec_lo, s2
	s_cbranch_vccnz .LBB86_2421
; %bb.2420:
	s_wait_loadcnt 0x0
	global_load_b32 v12, v[16:17], off
	s_wait_loadcnt 0x0
	v_cvt_f64_f32_e32 v[12:13], v12
.LBB86_2421:
	s_mov_b32 s2, 0
.LBB86_2422:
	s_delay_alu instid0(SALU_CYCLE_1)
	s_and_not1_b32 vcc_lo, exec_lo, s2
	s_cbranch_vccnz .LBB86_2424
; %bb.2423:
	s_wait_loadcnt 0x0
	global_load_b32 v12, v[16:17], off
	s_wait_loadcnt 0x0
	v_cvt_f32_f16_e32 v12, v12
	s_delay_alu instid0(VALU_DEP_1)
	v_cvt_f64_f32_e32 v[12:13], v12
.LBB86_2424:
	s_mov_b32 s2, 0
.LBB86_2425:
	s_delay_alu instid0(SALU_CYCLE_1)
	s_and_not1_b32 vcc_lo, exec_lo, s2
	s_cbranch_vccnz .LBB86_2436
; %bb.2426:
	s_cmp_lt_i32 s0, 6
	s_cbranch_scc1 .LBB86_2429
; %bb.2427:
	s_cmp_gt_i32 s0, 6
	s_cbranch_scc0 .LBB86_2430
; %bb.2428:
	s_wait_loadcnt 0x0
	global_load_b64 v[12:13], v[16:17], off
	s_mov_b32 s2, 0
	s_branch .LBB86_2431
.LBB86_2429:
	s_mov_b32 s2, -1
                                        ; implicit-def: $vgpr12_vgpr13
	s_branch .LBB86_2434
.LBB86_2430:
	s_mov_b32 s2, -1
                                        ; implicit-def: $vgpr12_vgpr13
.LBB86_2431:
	s_delay_alu instid0(SALU_CYCLE_1)
	s_and_not1_b32 vcc_lo, exec_lo, s2
	s_cbranch_vccnz .LBB86_2433
; %bb.2432:
	s_wait_loadcnt 0x0
	global_load_b32 v12, v[16:17], off
	s_wait_loadcnt 0x0
	v_cvt_f64_f32_e32 v[12:13], v12
.LBB86_2433:
	s_mov_b32 s2, 0
.LBB86_2434:
	s_delay_alu instid0(SALU_CYCLE_1)
	s_and_not1_b32 vcc_lo, exec_lo, s2
	s_cbranch_vccnz .LBB86_2436
; %bb.2435:
	s_wait_loadcnt 0x0
	global_load_u16 v12, v[16:17], off
	s_wait_loadcnt 0x0
	v_cvt_f32_f16_e32 v12, v12
	s_delay_alu instid0(VALU_DEP_1)
	v_cvt_f64_f32_e32 v[12:13], v12
.LBB86_2436:
	s_mov_b32 s2, 0
.LBB86_2437:
	s_delay_alu instid0(SALU_CYCLE_1)
	s_and_not1_b32 vcc_lo, exec_lo, s2
	s_cbranch_vccnz .LBB86_2457
; %bb.2438:
	s_cmp_lt_i32 s0, 2
	s_cbranch_scc1 .LBB86_2442
; %bb.2439:
	s_cmp_lt_i32 s0, 3
	s_cbranch_scc1 .LBB86_2443
; %bb.2440:
	s_cmp_gt_i32 s0, 3
	s_cbranch_scc0 .LBB86_2444
; %bb.2441:
	s_wait_loadcnt 0x0
	global_load_b64 v[12:13], v[16:17], off
	s_mov_b32 s2, 0
	s_wait_loadcnt 0x0
	v_cvt_f64_i32_e32 v[20:21], v13
	v_cvt_f64_u32_e32 v[12:13], v12
	s_delay_alu instid0(VALU_DEP_2) | instskip(NEXT) | instid1(VALU_DEP_1)
	v_ldexp_f64 v[20:21], v[20:21], 32
	v_add_f64_e32 v[12:13], v[20:21], v[12:13]
	s_branch .LBB86_2445
.LBB86_2442:
	s_mov_b32 s2, -1
                                        ; implicit-def: $vgpr12_vgpr13
	s_branch .LBB86_2451
.LBB86_2443:
	s_mov_b32 s2, -1
                                        ; implicit-def: $vgpr12_vgpr13
	s_branch .LBB86_2448
.LBB86_2444:
	s_mov_b32 s2, -1
                                        ; implicit-def: $vgpr12_vgpr13
.LBB86_2445:
	s_delay_alu instid0(SALU_CYCLE_1)
	s_and_not1_b32 vcc_lo, exec_lo, s2
	s_cbranch_vccnz .LBB86_2447
; %bb.2446:
	s_wait_loadcnt 0x0
	global_load_b32 v12, v[16:17], off
	s_wait_loadcnt 0x0
	v_cvt_f64_i32_e32 v[12:13], v12
.LBB86_2447:
	s_mov_b32 s2, 0
.LBB86_2448:
	s_delay_alu instid0(SALU_CYCLE_1)
	s_and_not1_b32 vcc_lo, exec_lo, s2
	s_cbranch_vccnz .LBB86_2450
; %bb.2449:
	s_wait_loadcnt 0x0
	global_load_i16 v12, v[16:17], off
	s_wait_loadcnt 0x0
	v_cvt_f64_i32_e32 v[12:13], v12
.LBB86_2450:
	s_mov_b32 s2, 0
.LBB86_2451:
	s_delay_alu instid0(SALU_CYCLE_1)
	s_and_not1_b32 vcc_lo, exec_lo, s2
	s_cbranch_vccnz .LBB86_2457
; %bb.2452:
	s_cmp_gt_i32 s0, 0
	s_mov_b32 s0, 0
	s_cbranch_scc0 .LBB86_2454
; %bb.2453:
	s_wait_loadcnt 0x0
	global_load_i8 v12, v[16:17], off
	s_wait_loadcnt 0x0
	v_cvt_f64_i32_e32 v[12:13], v12
	s_branch .LBB86_2455
.LBB86_2454:
	s_mov_b32 s0, -1
                                        ; implicit-def: $vgpr12_vgpr13
.LBB86_2455:
	s_delay_alu instid0(SALU_CYCLE_1)
	s_and_not1_b32 vcc_lo, exec_lo, s0
	s_cbranch_vccnz .LBB86_2457
; %bb.2456:
	s_wait_loadcnt 0x0
	global_load_u8 v12, v[16:17], off
	s_wait_loadcnt 0x0
	v_cvt_f64_u32_e32 v[12:13], v12
.LBB86_2457:
	s_mov_b32 s10, -1
.LBB86_2458:
	s_delay_alu instid0(SALU_CYCLE_1)
	s_and_not1_b32 vcc_lo, exec_lo, s10
	s_cbranch_vccnz .LBB86_3022
; %bb.2459:
	v_add_nc_u32_e32 v14, s9, v14
	s_cmp_lt_i32 s1, 11
	s_delay_alu instid0(VALU_DEP_1) | instskip(SKIP_1) | instid1(VALU_DEP_1)
	v_ashrrev_i32_e32 v15, 31, v14
	s_wait_xcnt 0x0
	v_add_nc_u64_e32 v[16:17], s[12:13], v[14:15]
	s_cbranch_scc1 .LBB86_2466
; %bb.2460:
	s_and_b32 s0, 0xffff, s1
	s_mov_b32 s6, 0
	s_cmp_gt_i32 s0, 25
	s_cbranch_scc0 .LBB86_2467
; %bb.2461:
	s_cmp_gt_i32 s0, 28
	s_cbranch_scc0 .LBB86_2468
; %bb.2462:
	;; [unrolled: 3-line block ×4, first 2 shown]
	s_cmp_eq_u32 s0, 46
	s_mov_b32 s9, 0
	s_cbranch_scc0 .LBB86_2472
; %bb.2465:
	global_load_b32 v14, v[16:17], off
	s_mov_b32 s2, 0
	s_mov_b32 s7, -1
	s_wait_loadcnt 0x0
	v_lshlrev_b32_e32 v14, 16, v14
	s_delay_alu instid0(VALU_DEP_1)
	v_cvt_f64_f32_e32 v[14:15], v14
	s_branch .LBB86_2474
.LBB86_2466:
	s_mov_b32 s0, -1
	s_mov_b32 s7, 0
                                        ; implicit-def: $vgpr14_vgpr15
	s_branch .LBB86_2540
.LBB86_2467:
	s_mov_b32 s9, -1
	s_mov_b32 s7, 0
	s_mov_b32 s2, 0
                                        ; implicit-def: $vgpr14_vgpr15
	s_branch .LBB86_2503
.LBB86_2468:
	s_mov_b32 s9, -1
	s_mov_b32 s7, 0
	s_mov_b32 s2, 0
                                        ; implicit-def: $vgpr14_vgpr15
	s_branch .LBB86_2484
.LBB86_2469:
	s_mov_b32 s9, -1
	s_mov_b32 s7, 0
	s_mov_b32 s2, 0
                                        ; implicit-def: $vgpr14_vgpr15
	s_branch .LBB86_2479
.LBB86_2470:
	s_or_b32 s15, s15, exec_lo
	s_trap 2
	s_cbranch_execz .LBB86_2407
	s_branch .LBB86_2408
.LBB86_2471:
	s_mov_b32 s9, -1
	s_mov_b32 s7, 0
	s_mov_b32 s2, 0
	s_branch .LBB86_2473
.LBB86_2472:
	s_mov_b32 s2, -1
	s_mov_b32 s7, 0
.LBB86_2473:
                                        ; implicit-def: $vgpr14_vgpr15
.LBB86_2474:
	s_and_b32 vcc_lo, exec_lo, s9
	s_cbranch_vccz .LBB86_2478
; %bb.2475:
	s_cmp_eq_u32 s0, 44
	s_cbranch_scc0 .LBB86_2477
; %bb.2476:
	global_load_u8 v19, v[16:17], off
	s_mov_b32 s2, 0
	s_mov_b32 s7, -1
	s_wait_loadcnt 0x0
	v_lshlrev_b32_e32 v14, 23, v19
	v_cmp_ne_u32_e32 vcc_lo, 0xff, v19
	s_delay_alu instid0(VALU_DEP_2) | instskip(NEXT) | instid1(VALU_DEP_1)
	v_cvt_f64_f32_e32 v[14:15], v14
	v_cndmask_b32_e32 v14, 0x20000000, v14, vcc_lo
	s_delay_alu instid0(VALU_DEP_2) | instskip(SKIP_1) | instid1(VALU_DEP_2)
	v_cndmask_b32_e32 v15, 0x7ff80000, v15, vcc_lo
	v_cmp_ne_u32_e32 vcc_lo, 0, v19
	v_cndmask_b32_e32 v15, 0x38000000, v15, vcc_lo
	s_delay_alu instid0(VALU_DEP_4)
	v_cndmask_b32_e32 v14, 0, v14, vcc_lo
	s_branch .LBB86_2478
.LBB86_2477:
	s_mov_b32 s2, -1
                                        ; implicit-def: $vgpr14_vgpr15
.LBB86_2478:
	s_mov_b32 s9, 0
.LBB86_2479:
	s_delay_alu instid0(SALU_CYCLE_1)
	s_and_b32 vcc_lo, exec_lo, s9
	s_cbranch_vccz .LBB86_2483
; %bb.2480:
	s_cmp_eq_u32 s0, 29
	s_cbranch_scc0 .LBB86_2482
; %bb.2481:
	global_load_b64 v[14:15], v[16:17], off
	s_mov_b32 s2, 0
	s_mov_b32 s7, -1
	s_mov_b32 s9, 0
	s_wait_loadcnt 0x0
	v_cvt_f64_u32_e32 v[20:21], v15
	v_cvt_f64_u32_e32 v[14:15], v14
	s_delay_alu instid0(VALU_DEP_2) | instskip(NEXT) | instid1(VALU_DEP_1)
	v_ldexp_f64 v[20:21], v[20:21], 32
	v_add_f64_e32 v[14:15], v[20:21], v[14:15]
	s_branch .LBB86_2484
.LBB86_2482:
	s_mov_b32 s2, -1
                                        ; implicit-def: $vgpr14_vgpr15
.LBB86_2483:
	s_mov_b32 s9, 0
.LBB86_2484:
	s_delay_alu instid0(SALU_CYCLE_1)
	s_and_b32 vcc_lo, exec_lo, s9
	s_cbranch_vccz .LBB86_2502
; %bb.2485:
	s_cmp_lt_i32 s0, 27
	s_cbranch_scc1 .LBB86_2488
; %bb.2486:
	s_cmp_gt_i32 s0, 27
	s_cbranch_scc0 .LBB86_2489
; %bb.2487:
	global_load_b32 v14, v[16:17], off
	s_mov_b32 s7, 0
	s_wait_loadcnt 0x0
	v_cvt_f64_u32_e32 v[14:15], v14
	s_branch .LBB86_2490
.LBB86_2488:
	s_mov_b32 s7, -1
                                        ; implicit-def: $vgpr14_vgpr15
	s_branch .LBB86_2493
.LBB86_2489:
	s_mov_b32 s7, -1
                                        ; implicit-def: $vgpr14_vgpr15
.LBB86_2490:
	s_delay_alu instid0(SALU_CYCLE_1)
	s_and_not1_b32 vcc_lo, exec_lo, s7
	s_cbranch_vccnz .LBB86_2492
; %bb.2491:
	global_load_u16 v14, v[16:17], off
	s_wait_loadcnt 0x0
	v_cvt_f64_u32_e32 v[14:15], v14
.LBB86_2492:
	s_mov_b32 s7, 0
.LBB86_2493:
	s_delay_alu instid0(SALU_CYCLE_1)
	s_and_not1_b32 vcc_lo, exec_lo, s7
	s_cbranch_vccnz .LBB86_2501
; %bb.2494:
	global_load_u8 v19, v[16:17], off
	s_mov_b32 s7, 0
	s_mov_b32 s9, exec_lo
	s_wait_loadcnt 0x0
	v_cmpx_lt_i16_e32 0x7f, v19
	s_xor_b32 s9, exec_lo, s9
	s_cbranch_execz .LBB86_2515
; %bb.2495:
	s_mov_b32 s7, -1
	s_mov_b32 s10, exec_lo
	v_cmpx_eq_u16_e32 0x80, v19
; %bb.2496:
	s_xor_b32 s7, exec_lo, -1
; %bb.2497:
	s_or_b32 exec_lo, exec_lo, s10
	s_delay_alu instid0(SALU_CYCLE_1)
	s_and_b32 s7, s7, exec_lo
	s_or_saveexec_b32 s9, s9
	v_mov_b64_e32 v[14:15], 0x7ff8000020000000
	s_xor_b32 exec_lo, exec_lo, s9
	s_cbranch_execnz .LBB86_2516
.LBB86_2498:
	s_or_b32 exec_lo, exec_lo, s9
	s_and_saveexec_b32 s9, s7
	s_cbranch_execz .LBB86_2500
.LBB86_2499:
	v_and_b32_e32 v14, 0xffff, v19
	s_delay_alu instid0(VALU_DEP_1) | instskip(SKIP_1) | instid1(VALU_DEP_2)
	v_and_b32_e32 v15, 7, v14
	v_bfe_u32 v22, v14, 3, 4
	v_clz_i32_u32_e32 v20, v15
	s_delay_alu instid0(VALU_DEP_2) | instskip(NEXT) | instid1(VALU_DEP_2)
	v_cmp_eq_u32_e32 vcc_lo, 0, v22
	v_min_u32_e32 v20, 32, v20
	s_delay_alu instid0(VALU_DEP_1) | instskip(NEXT) | instid1(VALU_DEP_1)
	v_subrev_nc_u32_e32 v21, 28, v20
	v_dual_lshlrev_b32 v14, v21, v14 :: v_dual_sub_nc_u32 v20, 29, v20
	s_delay_alu instid0(VALU_DEP_1) | instskip(NEXT) | instid1(VALU_DEP_1)
	v_dual_lshlrev_b32 v19, 24, v19 :: v_dual_bitop2_b32 v14, 7, v14 bitop3:0x40
	v_dual_cndmask_b32 v20, v22, v20, vcc_lo :: v_dual_cndmask_b32 v14, v15, v14, vcc_lo
	s_delay_alu instid0(VALU_DEP_2) | instskip(NEXT) | instid1(VALU_DEP_2)
	v_and_b32_e32 v15, 0x80000000, v19
	v_lshl_add_u32 v19, v20, 23, 0x3b800000
	s_delay_alu instid0(VALU_DEP_3) | instskip(NEXT) | instid1(VALU_DEP_1)
	v_lshlrev_b32_e32 v14, 20, v14
	v_or3_b32 v14, v15, v19, v14
	s_delay_alu instid0(VALU_DEP_1)
	v_cvt_f64_f32_e32 v[14:15], v14
.LBB86_2500:
	s_or_b32 exec_lo, exec_lo, s9
.LBB86_2501:
	s_mov_b32 s7, -1
.LBB86_2502:
	s_mov_b32 s9, 0
.LBB86_2503:
	s_delay_alu instid0(SALU_CYCLE_1)
	s_and_b32 vcc_lo, exec_lo, s9
	s_cbranch_vccz .LBB86_2536
; %bb.2504:
	s_cmp_gt_i32 s0, 22
	s_cbranch_scc0 .LBB86_2514
; %bb.2505:
	s_cmp_lt_i32 s0, 24
	s_cbranch_scc1 .LBB86_2517
; %bb.2506:
	s_cmp_gt_i32 s0, 24
	s_cbranch_scc0 .LBB86_2518
; %bb.2507:
	global_load_u8 v19, v[16:17], off
	s_mov_b32 s7, exec_lo
	s_wait_loadcnt 0x0
	v_cmpx_lt_i16_e32 0x7f, v19
	s_xor_b32 s7, exec_lo, s7
	s_cbranch_execz .LBB86_2530
; %bb.2508:
	s_mov_b32 s6, -1
	s_mov_b32 s9, exec_lo
	v_cmpx_eq_u16_e32 0x80, v19
; %bb.2509:
	s_xor_b32 s6, exec_lo, -1
; %bb.2510:
	s_or_b32 exec_lo, exec_lo, s9
	s_delay_alu instid0(SALU_CYCLE_1)
	s_and_b32 s6, s6, exec_lo
	s_or_saveexec_b32 s7, s7
	v_mov_b64_e32 v[14:15], 0x7ff8000020000000
	s_xor_b32 exec_lo, exec_lo, s7
	s_cbranch_execnz .LBB86_2531
.LBB86_2511:
	s_or_b32 exec_lo, exec_lo, s7
	s_and_saveexec_b32 s7, s6
	s_cbranch_execz .LBB86_2513
.LBB86_2512:
	v_and_b32_e32 v14, 0xffff, v19
	s_delay_alu instid0(VALU_DEP_1) | instskip(SKIP_1) | instid1(VALU_DEP_2)
	v_and_b32_e32 v15, 3, v14
	v_bfe_u32 v22, v14, 2, 5
	v_clz_i32_u32_e32 v20, v15
	s_delay_alu instid0(VALU_DEP_2) | instskip(NEXT) | instid1(VALU_DEP_2)
	v_cmp_eq_u32_e32 vcc_lo, 0, v22
	v_min_u32_e32 v20, 32, v20
	s_delay_alu instid0(VALU_DEP_1) | instskip(NEXT) | instid1(VALU_DEP_1)
	v_subrev_nc_u32_e32 v21, 29, v20
	v_dual_lshlrev_b32 v14, v21, v14 :: v_dual_sub_nc_u32 v20, 30, v20
	s_delay_alu instid0(VALU_DEP_1) | instskip(NEXT) | instid1(VALU_DEP_1)
	v_dual_lshlrev_b32 v19, 24, v19 :: v_dual_bitop2_b32 v14, 3, v14 bitop3:0x40
	v_dual_cndmask_b32 v20, v22, v20, vcc_lo :: v_dual_cndmask_b32 v14, v15, v14, vcc_lo
	s_delay_alu instid0(VALU_DEP_2) | instskip(NEXT) | instid1(VALU_DEP_2)
	v_and_b32_e32 v15, 0x80000000, v19
	v_lshl_add_u32 v19, v20, 23, 0x37800000
	s_delay_alu instid0(VALU_DEP_3) | instskip(NEXT) | instid1(VALU_DEP_1)
	v_lshlrev_b32_e32 v14, 21, v14
	v_or3_b32 v14, v15, v19, v14
	s_delay_alu instid0(VALU_DEP_1)
	v_cvt_f64_f32_e32 v[14:15], v14
.LBB86_2513:
	s_or_b32 exec_lo, exec_lo, s7
	s_mov_b32 s6, 0
	s_branch .LBB86_2519
.LBB86_2514:
	s_mov_b32 s6, -1
                                        ; implicit-def: $vgpr14_vgpr15
	s_branch .LBB86_2525
.LBB86_2515:
	s_or_saveexec_b32 s9, s9
	v_mov_b64_e32 v[14:15], 0x7ff8000020000000
	s_xor_b32 exec_lo, exec_lo, s9
	s_cbranch_execz .LBB86_2498
.LBB86_2516:
	v_cmp_ne_u16_e32 vcc_lo, 0, v19
	v_mov_b64_e32 v[14:15], 0
	s_and_not1_b32 s7, s7, exec_lo
	s_and_b32 s10, vcc_lo, exec_lo
	s_delay_alu instid0(SALU_CYCLE_1)
	s_or_b32 s7, s7, s10
	s_or_b32 exec_lo, exec_lo, s9
	s_and_saveexec_b32 s9, s7
	s_cbranch_execnz .LBB86_2499
	s_branch .LBB86_2500
.LBB86_2517:
	s_mov_b32 s6, -1
                                        ; implicit-def: $vgpr14_vgpr15
	s_branch .LBB86_2522
.LBB86_2518:
	s_mov_b32 s6, -1
                                        ; implicit-def: $vgpr14_vgpr15
.LBB86_2519:
	s_delay_alu instid0(SALU_CYCLE_1)
	s_and_b32 vcc_lo, exec_lo, s6
	s_cbranch_vccz .LBB86_2521
; %bb.2520:
	global_load_u8 v14, v[16:17], off
	s_wait_loadcnt 0x0
	v_lshlrev_b32_e32 v14, 24, v14
	s_delay_alu instid0(VALU_DEP_1) | instskip(NEXT) | instid1(VALU_DEP_1)
	v_and_b32_e32 v15, 0x7f000000, v14
	v_clz_i32_u32_e32 v19, v15
	v_add_nc_u32_e32 v21, 0x1000000, v15
	v_cmp_ne_u32_e32 vcc_lo, 0, v15
	s_delay_alu instid0(VALU_DEP_3) | instskip(NEXT) | instid1(VALU_DEP_1)
	v_min_u32_e32 v19, 32, v19
	v_sub_nc_u32_e64 v19, v19, 4 clamp
	s_delay_alu instid0(VALU_DEP_1) | instskip(NEXT) | instid1(VALU_DEP_1)
	v_lshlrev_b32_e32 v20, v19, v15
	v_dual_lshlrev_b32 v19, 23, v19 :: v_dual_lshrrev_b32 v20, 4, v20
	s_delay_alu instid0(VALU_DEP_1) | instskip(NEXT) | instid1(VALU_DEP_1)
	v_dual_sub_nc_u32 v19, v20, v19 :: v_dual_ashrrev_i32 v20, 8, v21
	v_add_nc_u32_e32 v19, 0x3c000000, v19
	s_delay_alu instid0(VALU_DEP_1) | instskip(NEXT) | instid1(VALU_DEP_1)
	v_and_or_b32 v19, 0x7f800000, v20, v19
	v_cndmask_b32_e32 v15, 0, v19, vcc_lo
	s_delay_alu instid0(VALU_DEP_1) | instskip(NEXT) | instid1(VALU_DEP_1)
	v_and_or_b32 v14, 0x80000000, v14, v15
	v_cvt_f64_f32_e32 v[14:15], v14
.LBB86_2521:
	s_mov_b32 s6, 0
.LBB86_2522:
	s_delay_alu instid0(SALU_CYCLE_1)
	s_and_not1_b32 vcc_lo, exec_lo, s6
	s_cbranch_vccnz .LBB86_2524
; %bb.2523:
	global_load_u8 v14, v[16:17], off
	s_wait_loadcnt 0x0
	v_lshlrev_b32_e32 v15, 25, v14
	v_lshlrev_b16 v14, 8, v14
	s_delay_alu instid0(VALU_DEP_1) | instskip(SKIP_1) | instid1(VALU_DEP_2)
	v_and_or_b32 v20, 0x7f00, v14, 0.5
	v_bfe_i32 v14, v14, 0, 16
	v_dual_add_f32 v20, -0.5, v20 :: v_dual_lshrrev_b32 v19, 4, v15
	v_cmp_gt_u32_e32 vcc_lo, 0x8000000, v15
	s_delay_alu instid0(VALU_DEP_2) | instskip(NEXT) | instid1(VALU_DEP_1)
	v_or_b32_e32 v19, 0x70000000, v19
	v_mul_f32_e32 v19, 0x7800000, v19
	s_delay_alu instid0(VALU_DEP_1) | instskip(NEXT) | instid1(VALU_DEP_1)
	v_cndmask_b32_e32 v15, v19, v20, vcc_lo
	v_and_or_b32 v14, 0x80000000, v14, v15
	s_delay_alu instid0(VALU_DEP_1)
	v_cvt_f64_f32_e32 v[14:15], v14
.LBB86_2524:
	s_mov_b32 s6, 0
	s_mov_b32 s7, -1
.LBB86_2525:
	s_and_not1_b32 vcc_lo, exec_lo, s6
	s_mov_b32 s6, 0
	s_cbranch_vccnz .LBB86_2536
; %bb.2526:
	s_cmp_gt_i32 s0, 14
	s_cbranch_scc0 .LBB86_2529
; %bb.2527:
	s_cmp_eq_u32 s0, 15
	s_cbranch_scc0 .LBB86_2532
; %bb.2528:
	global_load_u16 v14, v[16:17], off
	s_mov_b32 s2, 0
	s_mov_b32 s7, -1
	s_wait_loadcnt 0x0
	v_lshlrev_b32_e32 v14, 16, v14
	s_delay_alu instid0(VALU_DEP_1)
	v_cvt_f64_f32_e32 v[14:15], v14
	s_branch .LBB86_2534
.LBB86_2529:
	s_mov_b32 s6, -1
	s_branch .LBB86_2533
.LBB86_2530:
	s_or_saveexec_b32 s7, s7
	v_mov_b64_e32 v[14:15], 0x7ff8000020000000
	s_xor_b32 exec_lo, exec_lo, s7
	s_cbranch_execz .LBB86_2511
.LBB86_2531:
	v_cmp_ne_u16_e32 vcc_lo, 0, v19
	v_mov_b64_e32 v[14:15], 0
	s_and_not1_b32 s6, s6, exec_lo
	s_and_b32 s9, vcc_lo, exec_lo
	s_delay_alu instid0(SALU_CYCLE_1)
	s_or_b32 s6, s6, s9
	s_or_b32 exec_lo, exec_lo, s7
	s_and_saveexec_b32 s7, s6
	s_cbranch_execnz .LBB86_2512
	s_branch .LBB86_2513
.LBB86_2532:
	s_mov_b32 s2, -1
.LBB86_2533:
                                        ; implicit-def: $vgpr14_vgpr15
.LBB86_2534:
	s_and_b32 vcc_lo, exec_lo, s6
	s_mov_b32 s6, 0
	s_cbranch_vccz .LBB86_2536
; %bb.2535:
	s_cmp_lg_u32 s0, 11
	s_mov_b32 s6, -1
	s_cselect_b32 s2, -1, 0
.LBB86_2536:
	s_delay_alu instid0(SALU_CYCLE_1)
	s_and_b32 vcc_lo, exec_lo, s2
	s_cbranch_vccnz .LBB86_3068
; %bb.2537:
	s_and_not1_b32 vcc_lo, exec_lo, s6
	s_cbranch_vccnz .LBB86_2539
.LBB86_2538:
	global_load_u8 v14, v[16:17], off
	s_mov_b32 s7, -1
	s_wait_loadcnt 0x0
	v_cmp_ne_u16_e32 vcc_lo, 0, v14
	v_mov_b32_e32 v14, 0
	v_cndmask_b32_e64 v15, 0, 0x3ff00000, vcc_lo
.LBB86_2539:
	s_mov_b32 s0, 0
.LBB86_2540:
	s_delay_alu instid0(SALU_CYCLE_1)
	s_and_b32 vcc_lo, exec_lo, s0
	s_cbranch_vccz .LBB86_2589
; %bb.2541:
	s_and_b32 s0, 0xffff, s1
	s_delay_alu instid0(SALU_CYCLE_1)
	s_cmp_lt_i32 s0, 5
	s_cbranch_scc1 .LBB86_2546
; %bb.2542:
	s_cmp_lt_i32 s0, 8
	s_cbranch_scc1 .LBB86_2547
; %bb.2543:
	;; [unrolled: 3-line block ×3, first 2 shown]
	s_cmp_gt_i32 s0, 9
	s_cbranch_scc0 .LBB86_2549
; %bb.2545:
	global_load_b64 v[14:15], v[16:17], off
	s_mov_b32 s1, 0
	s_branch .LBB86_2550
.LBB86_2546:
	s_mov_b32 s1, -1
                                        ; implicit-def: $vgpr14_vgpr15
	s_branch .LBB86_2568
.LBB86_2547:
	s_mov_b32 s1, -1
                                        ; implicit-def: $vgpr14_vgpr15
	s_branch .LBB86_2556
.LBB86_2548:
	s_mov_b32 s1, -1
                                        ; implicit-def: $vgpr14_vgpr15
	s_branch .LBB86_2553
.LBB86_2549:
	s_mov_b32 s1, -1
                                        ; implicit-def: $vgpr14_vgpr15
.LBB86_2550:
	s_delay_alu instid0(SALU_CYCLE_1)
	s_and_not1_b32 vcc_lo, exec_lo, s1
	s_cbranch_vccnz .LBB86_2552
; %bb.2551:
	s_wait_loadcnt 0x0
	global_load_b32 v14, v[16:17], off
	s_wait_loadcnt 0x0
	v_cvt_f64_f32_e32 v[14:15], v14
.LBB86_2552:
	s_mov_b32 s1, 0
.LBB86_2553:
	s_delay_alu instid0(SALU_CYCLE_1)
	s_and_not1_b32 vcc_lo, exec_lo, s1
	s_cbranch_vccnz .LBB86_2555
; %bb.2554:
	s_wait_loadcnt 0x0
	global_load_b32 v14, v[16:17], off
	s_wait_loadcnt 0x0
	v_cvt_f32_f16_e32 v14, v14
	s_delay_alu instid0(VALU_DEP_1)
	v_cvt_f64_f32_e32 v[14:15], v14
.LBB86_2555:
	s_mov_b32 s1, 0
.LBB86_2556:
	s_delay_alu instid0(SALU_CYCLE_1)
	s_and_not1_b32 vcc_lo, exec_lo, s1
	s_cbranch_vccnz .LBB86_2567
; %bb.2557:
	s_cmp_lt_i32 s0, 6
	s_cbranch_scc1 .LBB86_2560
; %bb.2558:
	s_cmp_gt_i32 s0, 6
	s_cbranch_scc0 .LBB86_2561
; %bb.2559:
	s_wait_loadcnt 0x0
	global_load_b64 v[14:15], v[16:17], off
	s_mov_b32 s1, 0
	s_branch .LBB86_2562
.LBB86_2560:
	s_mov_b32 s1, -1
                                        ; implicit-def: $vgpr14_vgpr15
	s_branch .LBB86_2565
.LBB86_2561:
	s_mov_b32 s1, -1
                                        ; implicit-def: $vgpr14_vgpr15
.LBB86_2562:
	s_delay_alu instid0(SALU_CYCLE_1)
	s_and_not1_b32 vcc_lo, exec_lo, s1
	s_cbranch_vccnz .LBB86_2564
; %bb.2563:
	s_wait_loadcnt 0x0
	global_load_b32 v14, v[16:17], off
	s_wait_loadcnt 0x0
	v_cvt_f64_f32_e32 v[14:15], v14
.LBB86_2564:
	s_mov_b32 s1, 0
.LBB86_2565:
	s_delay_alu instid0(SALU_CYCLE_1)
	s_and_not1_b32 vcc_lo, exec_lo, s1
	s_cbranch_vccnz .LBB86_2567
; %bb.2566:
	s_wait_loadcnt 0x0
	global_load_u16 v14, v[16:17], off
	s_wait_loadcnt 0x0
	v_cvt_f32_f16_e32 v14, v14
	s_delay_alu instid0(VALU_DEP_1)
	v_cvt_f64_f32_e32 v[14:15], v14
.LBB86_2567:
	s_mov_b32 s1, 0
.LBB86_2568:
	s_delay_alu instid0(SALU_CYCLE_1)
	s_and_not1_b32 vcc_lo, exec_lo, s1
	s_cbranch_vccnz .LBB86_2588
; %bb.2569:
	s_cmp_lt_i32 s0, 2
	s_cbranch_scc1 .LBB86_2573
; %bb.2570:
	s_cmp_lt_i32 s0, 3
	s_cbranch_scc1 .LBB86_2574
; %bb.2571:
	s_cmp_gt_i32 s0, 3
	s_cbranch_scc0 .LBB86_2575
; %bb.2572:
	s_wait_loadcnt 0x0
	global_load_b64 v[14:15], v[16:17], off
	s_mov_b32 s1, 0
	s_wait_loadcnt 0x0
	v_cvt_f64_i32_e32 v[20:21], v15
	v_cvt_f64_u32_e32 v[14:15], v14
	s_delay_alu instid0(VALU_DEP_2) | instskip(NEXT) | instid1(VALU_DEP_1)
	v_ldexp_f64 v[20:21], v[20:21], 32
	v_add_f64_e32 v[14:15], v[20:21], v[14:15]
	s_branch .LBB86_2576
.LBB86_2573:
	s_mov_b32 s1, -1
                                        ; implicit-def: $vgpr14_vgpr15
	s_branch .LBB86_2582
.LBB86_2574:
	s_mov_b32 s1, -1
                                        ; implicit-def: $vgpr14_vgpr15
	s_branch .LBB86_2579
.LBB86_2575:
	s_mov_b32 s1, -1
                                        ; implicit-def: $vgpr14_vgpr15
.LBB86_2576:
	s_delay_alu instid0(SALU_CYCLE_1)
	s_and_not1_b32 vcc_lo, exec_lo, s1
	s_cbranch_vccnz .LBB86_2578
; %bb.2577:
	s_wait_loadcnt 0x0
	global_load_b32 v14, v[16:17], off
	s_wait_loadcnt 0x0
	v_cvt_f64_i32_e32 v[14:15], v14
.LBB86_2578:
	s_mov_b32 s1, 0
.LBB86_2579:
	s_delay_alu instid0(SALU_CYCLE_1)
	s_and_not1_b32 vcc_lo, exec_lo, s1
	s_cbranch_vccnz .LBB86_2581
; %bb.2580:
	s_wait_loadcnt 0x0
	global_load_i16 v14, v[16:17], off
	s_wait_loadcnt 0x0
	v_cvt_f64_i32_e32 v[14:15], v14
.LBB86_2581:
	s_mov_b32 s1, 0
.LBB86_2582:
	s_delay_alu instid0(SALU_CYCLE_1)
	s_and_not1_b32 vcc_lo, exec_lo, s1
	s_cbranch_vccnz .LBB86_2588
; %bb.2583:
	s_cmp_gt_i32 s0, 0
	s_mov_b32 s0, 0
	s_cbranch_scc0 .LBB86_2585
; %bb.2584:
	s_wait_loadcnt 0x0
	global_load_i8 v14, v[16:17], off
	s_wait_loadcnt 0x0
	v_cvt_f64_i32_e32 v[14:15], v14
	s_branch .LBB86_2586
.LBB86_2585:
	s_mov_b32 s0, -1
                                        ; implicit-def: $vgpr14_vgpr15
.LBB86_2586:
	s_delay_alu instid0(SALU_CYCLE_1)
	s_and_not1_b32 vcc_lo, exec_lo, s0
	s_cbranch_vccnz .LBB86_2588
; %bb.2587:
	s_wait_loadcnt 0x0
	global_load_u8 v14, v[16:17], off
	s_wait_loadcnt 0x0
	v_cvt_f64_u32_e32 v[14:15], v14
.LBB86_2588:
	s_mov_b32 s7, -1
.LBB86_2589:
	s_delay_alu instid0(SALU_CYCLE_1)
	s_and_not1_b32 vcc_lo, exec_lo, s7
	s_cbranch_vccnz .LBB86_3022
; %bb.2590:
	s_wait_loadcnt 0x0
	v_cmp_eq_f64_e32 vcc_lo, v[0:1], v[2:3]
	s_wait_xcnt 0x0
	v_mul_lo_u32 v16, s8, v18
	s_cmp_eq_u32 s11, 0
	s_mov_b32 s7, 0
	s_cselect_b32 s0, -1, 0
	s_and_b32 s19, s3, 0xff
	s_mov_b32 s2, -1
	s_cmp_lt_i32 s19, 11
	v_cndmask_b32_e64 v17, 0, 1, vcc_lo
	v_cmp_neq_f64_e32 vcc_lo, v[0:1], v[2:3]
	v_cndmask_b32_e64 v0, 0, 1, vcc_lo
	s_delay_alu instid0(VALU_DEP_1) | instskip(NEXT) | instid1(VALU_DEP_1)
	v_dual_cndmask_b32 v0, v0, v17, s0 :: v_dual_ashrrev_i32 v17, 31, v16
	v_and_b32_e32 v2, 1, v0
	s_delay_alu instid0(VALU_DEP_2) | instskip(NEXT) | instid1(VALU_DEP_2)
	v_add_nc_u64_e32 v[0:1], s[4:5], v[16:17]
	v_cmp_eq_u32_e64 s1, 1, v2
	s_cbranch_scc1 .LBB86_2669
; %bb.2591:
	s_and_b32 s3, 0xffff, s19
	s_mov_b32 s9, -1
	s_mov_b32 s6, 0
	s_cmp_gt_i32 s3, 25
	s_mov_b32 s2, 0
	s_cbranch_scc0 .LBB86_2624
; %bb.2592:
	s_cmp_gt_i32 s3, 28
	s_cbranch_scc0 .LBB86_2607
; %bb.2593:
	s_cmp_gt_i32 s3, 43
	;; [unrolled: 3-line block ×3, first 2 shown]
	s_cbranch_scc0 .LBB86_2597
; %bb.2595:
	s_mov_b32 s2, -1
	s_mov_b32 s9, 0
	s_cmp_eq_u32 s3, 46
	s_cbranch_scc0 .LBB86_2597
; %bb.2596:
	v_cndmask_b32_e64 v2, 0, 1.0, s1
	s_mov_b32 s2, 0
	s_mov_b32 s7, -1
	s_delay_alu instid0(VALU_DEP_1) | instskip(NEXT) | instid1(VALU_DEP_1)
	v_bfe_u32 v3, v2, 16, 1
	v_add3_u32 v2, v2, v3, 0x7fff
	s_delay_alu instid0(VALU_DEP_1)
	v_lshrrev_b32_e32 v2, 16, v2
	global_store_b32 v[0:1], v2, off
.LBB86_2597:
	s_and_b32 vcc_lo, exec_lo, s9
	s_cbranch_vccz .LBB86_2602
; %bb.2598:
	s_cmp_eq_u32 s3, 44
	s_mov_b32 s2, -1
	s_cbranch_scc0 .LBB86_2602
; %bb.2599:
	v_cndmask_b32_e64 v17, 0, 1.0, s1
	s_mov_b32 s7, exec_lo
	s_wait_xcnt 0x0
	s_delay_alu instid0(VALU_DEP_1) | instskip(NEXT) | instid1(VALU_DEP_1)
	v_dual_mov_b32 v3, 0xff :: v_dual_lshrrev_b32 v2, 23, v17
	v_cmpx_ne_u32_e32 0xff, v2
; %bb.2600:
	v_and_b32_e32 v3, 0x400000, v17
	v_and_or_b32 v17, 0x3fffff, v17, v2
	s_delay_alu instid0(VALU_DEP_2) | instskip(NEXT) | instid1(VALU_DEP_2)
	v_cmp_ne_u32_e32 vcc_lo, 0, v3
	v_cmp_ne_u32_e64 s2, 0, v17
	s_and_b32 s2, vcc_lo, s2
	s_delay_alu instid0(SALU_CYCLE_1) | instskip(NEXT) | instid1(VALU_DEP_1)
	v_cndmask_b32_e64 v3, 0, 1, s2
	v_add_nc_u32_e32 v3, v2, v3
; %bb.2601:
	s_or_b32 exec_lo, exec_lo, s7
	s_mov_b32 s2, 0
	s_mov_b32 s7, -1
	global_store_b8 v[0:1], v3, off
.LBB86_2602:
	s_mov_b32 s9, 0
.LBB86_2603:
	s_delay_alu instid0(SALU_CYCLE_1)
	s_and_b32 vcc_lo, exec_lo, s9
	s_cbranch_vccz .LBB86_2606
; %bb.2604:
	s_cmp_eq_u32 s3, 29
	s_mov_b32 s2, -1
	s_cbranch_scc0 .LBB86_2606
; %bb.2605:
	s_mov_b32 s2, 0
	s_wait_xcnt 0x0
	v_cndmask_b32_e64 v2, 0, 1, s1
	v_mov_b32_e32 v3, s2
	s_mov_b32 s7, -1
	global_store_b64 v[0:1], v[2:3], off
.LBB86_2606:
	s_mov_b32 s9, 0
.LBB86_2607:
	s_delay_alu instid0(SALU_CYCLE_1)
	s_and_b32 vcc_lo, exec_lo, s9
	s_cbranch_vccz .LBB86_2623
; %bb.2608:
	s_cmp_lt_i32 s3, 27
	s_mov_b32 s7, -1
	s_cbranch_scc1 .LBB86_2614
; %bb.2609:
	s_cmp_gt_i32 s3, 27
	s_cbranch_scc0 .LBB86_2611
; %bb.2610:
	s_wait_xcnt 0x0
	v_cndmask_b32_e64 v2, 0, 1, s1
	s_mov_b32 s7, 0
	global_store_b32 v[0:1], v2, off
.LBB86_2611:
	s_and_not1_b32 vcc_lo, exec_lo, s7
	s_cbranch_vccnz .LBB86_2613
; %bb.2612:
	s_wait_xcnt 0x0
	v_cndmask_b32_e64 v2, 0, 1, s1
	global_store_b16 v[0:1], v2, off
.LBB86_2613:
	s_mov_b32 s7, 0
.LBB86_2614:
	s_delay_alu instid0(SALU_CYCLE_1)
	s_and_not1_b32 vcc_lo, exec_lo, s7
	s_cbranch_vccnz .LBB86_2622
; %bb.2615:
	s_wait_xcnt 0x0
	v_cndmask_b32_e64 v3, 0, 1.0, s1
	v_mov_b32_e32 v17, 0x80
	s_mov_b32 s7, exec_lo
	s_delay_alu instid0(VALU_DEP_2)
	v_cmpx_gt_u32_e32 0x43800000, v3
	s_cbranch_execz .LBB86_2621
; %bb.2616:
	s_mov_b32 s9, 0
	s_mov_b32 s10, exec_lo
                                        ; implicit-def: $vgpr2
	v_cmpx_lt_u32_e32 0x3bffffff, v3
	s_xor_b32 s10, exec_lo, s10
	s_cbranch_execz .LBB86_3069
; %bb.2617:
	v_bfe_u32 v2, v3, 20, 1
	s_mov_b32 s9, exec_lo
	s_delay_alu instid0(VALU_DEP_1) | instskip(NEXT) | instid1(VALU_DEP_1)
	v_add3_u32 v2, v3, v2, 0x487ffff
                                        ; implicit-def: $vgpr3
	v_lshrrev_b32_e32 v2, 20, v2
	s_and_not1_saveexec_b32 s10, s10
	s_cbranch_execnz .LBB86_3070
.LBB86_2618:
	s_or_b32 exec_lo, exec_lo, s10
	v_mov_b32_e32 v17, 0
	s_and_saveexec_b32 s10, s9
.LBB86_2619:
	v_mov_b32_e32 v17, v2
.LBB86_2620:
	s_or_b32 exec_lo, exec_lo, s10
.LBB86_2621:
	s_delay_alu instid0(SALU_CYCLE_1)
	s_or_b32 exec_lo, exec_lo, s7
	global_store_b8 v[0:1], v17, off
.LBB86_2622:
	s_mov_b32 s7, -1
.LBB86_2623:
	s_mov_b32 s9, 0
.LBB86_2624:
	s_delay_alu instid0(SALU_CYCLE_1)
	s_and_b32 vcc_lo, exec_lo, s9
	s_cbranch_vccz .LBB86_2664
; %bb.2625:
	s_cmp_gt_i32 s3, 22
	s_mov_b32 s6, -1
	s_cbranch_scc0 .LBB86_2657
; %bb.2626:
	s_cmp_lt_i32 s3, 24
	s_cbranch_scc1 .LBB86_2646
; %bb.2627:
	s_cmp_gt_i32 s3, 24
	s_cbranch_scc0 .LBB86_2635
; %bb.2628:
	s_wait_xcnt 0x0
	v_cndmask_b32_e64 v3, 0, 1.0, s1
	v_mov_b32_e32 v17, 0x80
	s_mov_b32 s6, exec_lo
	s_delay_alu instid0(VALU_DEP_2)
	v_cmpx_gt_u32_e32 0x47800000, v3
	s_cbranch_execz .LBB86_2634
; %bb.2629:
	s_mov_b32 s7, 0
	s_mov_b32 s9, exec_lo
                                        ; implicit-def: $vgpr2
	v_cmpx_lt_u32_e32 0x37ffffff, v3
	s_xor_b32 s9, exec_lo, s9
	s_cbranch_execz .LBB86_3072
; %bb.2630:
	v_bfe_u32 v2, v3, 21, 1
	s_mov_b32 s7, exec_lo
	s_delay_alu instid0(VALU_DEP_1) | instskip(NEXT) | instid1(VALU_DEP_1)
	v_add3_u32 v2, v3, v2, 0x88fffff
                                        ; implicit-def: $vgpr3
	v_lshrrev_b32_e32 v2, 21, v2
	s_and_not1_saveexec_b32 s9, s9
	s_cbranch_execnz .LBB86_3073
.LBB86_2631:
	s_or_b32 exec_lo, exec_lo, s9
	v_mov_b32_e32 v17, 0
	s_and_saveexec_b32 s9, s7
.LBB86_2632:
	v_mov_b32_e32 v17, v2
.LBB86_2633:
	s_or_b32 exec_lo, exec_lo, s9
.LBB86_2634:
	s_delay_alu instid0(SALU_CYCLE_1)
	s_or_b32 exec_lo, exec_lo, s6
	s_mov_b32 s6, 0
	global_store_b8 v[0:1], v17, off
.LBB86_2635:
	s_and_b32 vcc_lo, exec_lo, s6
	s_cbranch_vccz .LBB86_2645
; %bb.2636:
	s_wait_xcnt 0x0
	v_cndmask_b32_e64 v3, 0, 1.0, s1
	s_mov_b32 s6, exec_lo
                                        ; implicit-def: $vgpr2
	s_delay_alu instid0(VALU_DEP_1)
	v_cmpx_gt_u32_e32 0x43f00000, v3
	s_xor_b32 s6, exec_lo, s6
	s_cbranch_execz .LBB86_2642
; %bb.2637:
	s_mov_b32 s7, exec_lo
                                        ; implicit-def: $vgpr2
	v_cmpx_lt_u32_e32 0x3c7fffff, v3
	s_xor_b32 s7, exec_lo, s7
; %bb.2638:
	v_bfe_u32 v2, v3, 20, 1
	s_delay_alu instid0(VALU_DEP_1) | instskip(NEXT) | instid1(VALU_DEP_1)
	v_add3_u32 v2, v3, v2, 0x407ffff
	v_and_b32_e32 v3, 0xff00000, v2
	v_lshrrev_b32_e32 v2, 20, v2
	s_delay_alu instid0(VALU_DEP_2) | instskip(NEXT) | instid1(VALU_DEP_2)
	v_cmp_ne_u32_e32 vcc_lo, 0x7f00000, v3
                                        ; implicit-def: $vgpr3
	v_cndmask_b32_e32 v2, 0x7e, v2, vcc_lo
; %bb.2639:
	s_and_not1_saveexec_b32 s7, s7
; %bb.2640:
	v_add_f32_e32 v2, 0x46800000, v3
; %bb.2641:
	s_or_b32 exec_lo, exec_lo, s7
                                        ; implicit-def: $vgpr3
.LBB86_2642:
	s_and_not1_saveexec_b32 s6, s6
; %bb.2643:
	v_mov_b32_e32 v2, 0x7f
	v_cmp_lt_u32_e32 vcc_lo, 0x7f800000, v3
	s_delay_alu instid0(VALU_DEP_2)
	v_cndmask_b32_e32 v2, 0x7e, v2, vcc_lo
; %bb.2644:
	s_or_b32 exec_lo, exec_lo, s6
	global_store_b8 v[0:1], v2, off
.LBB86_2645:
	s_mov_b32 s6, 0
.LBB86_2646:
	s_delay_alu instid0(SALU_CYCLE_1)
	s_and_not1_b32 vcc_lo, exec_lo, s6
	s_cbranch_vccnz .LBB86_2656
; %bb.2647:
	s_wait_xcnt 0x0
	v_cndmask_b32_e64 v3, 0, 1.0, s1
	s_mov_b32 s6, exec_lo
                                        ; implicit-def: $vgpr2
	s_delay_alu instid0(VALU_DEP_1)
	v_cmpx_gt_u32_e32 0x47800000, v3
	s_xor_b32 s6, exec_lo, s6
	s_cbranch_execz .LBB86_2653
; %bb.2648:
	s_mov_b32 s7, exec_lo
                                        ; implicit-def: $vgpr2
	v_cmpx_lt_u32_e32 0x387fffff, v3
	s_xor_b32 s7, exec_lo, s7
; %bb.2649:
	v_bfe_u32 v2, v3, 21, 1
	s_delay_alu instid0(VALU_DEP_1) | instskip(NEXT) | instid1(VALU_DEP_1)
	v_add3_u32 v2, v3, v2, 0x80fffff
                                        ; implicit-def: $vgpr3
	v_lshrrev_b32_e32 v2, 21, v2
; %bb.2650:
	s_and_not1_saveexec_b32 s7, s7
; %bb.2651:
	v_add_f32_e32 v2, 0x43000000, v3
; %bb.2652:
	s_or_b32 exec_lo, exec_lo, s7
                                        ; implicit-def: $vgpr3
.LBB86_2653:
	s_and_not1_saveexec_b32 s6, s6
; %bb.2654:
	v_mov_b32_e32 v2, 0x7f
	v_cmp_lt_u32_e32 vcc_lo, 0x7f800000, v3
	s_delay_alu instid0(VALU_DEP_2)
	v_cndmask_b32_e32 v2, 0x7c, v2, vcc_lo
; %bb.2655:
	s_or_b32 exec_lo, exec_lo, s6
	global_store_b8 v[0:1], v2, off
.LBB86_2656:
	s_mov_b32 s6, 0
	s_mov_b32 s7, -1
.LBB86_2657:
	s_and_not1_b32 vcc_lo, exec_lo, s6
	s_mov_b32 s6, 0
	s_cbranch_vccnz .LBB86_2664
; %bb.2658:
	s_cmp_gt_i32 s3, 14
	s_mov_b32 s6, -1
	s_cbranch_scc0 .LBB86_2662
; %bb.2659:
	s_cmp_eq_u32 s3, 15
	s_mov_b32 s2, -1
	s_cbranch_scc0 .LBB86_2661
; %bb.2660:
	s_wait_xcnt 0x0
	v_cndmask_b32_e64 v2, 0, 1.0, s1
	s_mov_b32 s2, 0
	s_mov_b32 s7, -1
	s_delay_alu instid0(VALU_DEP_1) | instskip(NEXT) | instid1(VALU_DEP_1)
	v_bfe_u32 v3, v2, 16, 1
	v_add3_u32 v2, v2, v3, 0x7fff
	global_store_d16_hi_b16 v[0:1], v2, off
.LBB86_2661:
	s_mov_b32 s6, 0
.LBB86_2662:
	s_delay_alu instid0(SALU_CYCLE_1)
	s_and_b32 vcc_lo, exec_lo, s6
	s_mov_b32 s6, 0
	s_cbranch_vccz .LBB86_2664
; %bb.2663:
	s_cmp_lg_u32 s3, 11
	s_mov_b32 s6, -1
	s_cselect_b32 s2, -1, 0
.LBB86_2664:
	s_delay_alu instid0(SALU_CYCLE_1)
	s_and_b32 vcc_lo, exec_lo, s2
	s_cbranch_vccnz .LBB86_3071
; %bb.2665:
	s_and_not1_b32 vcc_lo, exec_lo, s6
	s_cbranch_vccnz .LBB86_2667
.LBB86_2666:
	s_wait_xcnt 0x0
	v_cndmask_b32_e64 v2, 0, 1, s1
	s_mov_b32 s7, -1
	global_store_b8 v[0:1], v2, off
.LBB86_2667:
.LBB86_2668:
	s_and_not1_b32 vcc_lo, exec_lo, s7
	s_cbranch_vccnz .LBB86_3022
	s_branch .LBB86_2708
.LBB86_2669:
	s_and_b32 vcc_lo, exec_lo, s2
	s_cbranch_vccz .LBB86_2668
; %bb.2670:
	s_and_b32 s2, 0xffff, s19
	s_mov_b32 s3, -1
	s_cmp_lt_i32 s2, 5
	s_cbranch_scc1 .LBB86_2691
; %bb.2671:
	s_cmp_lt_i32 s2, 8
	s_cbranch_scc1 .LBB86_2681
; %bb.2672:
	;; [unrolled: 3-line block ×3, first 2 shown]
	s_cmp_gt_i32 s2, 9
	s_cbranch_scc0 .LBB86_2675
; %bb.2674:
	s_wait_xcnt 0x0
	v_cndmask_b32_e64 v2, 0, 1, s1
	v_mov_b32_e32 v20, 0
	s_mov_b32 s3, 0
	s_delay_alu instid0(VALU_DEP_2) | instskip(NEXT) | instid1(VALU_DEP_2)
	v_cvt_f64_u32_e32 v[18:19], v2
	v_mov_b32_e32 v21, v20
	global_store_b128 v[0:1], v[18:21], off
.LBB86_2675:
	s_and_not1_b32 vcc_lo, exec_lo, s3
	s_cbranch_vccnz .LBB86_2677
; %bb.2676:
	s_wait_xcnt 0x0
	v_cndmask_b32_e64 v2, 0, 1.0, s1
	v_mov_b32_e32 v3, 0
	global_store_b64 v[0:1], v[2:3], off
.LBB86_2677:
	s_mov_b32 s3, 0
.LBB86_2678:
	s_delay_alu instid0(SALU_CYCLE_1)
	s_and_not1_b32 vcc_lo, exec_lo, s3
	s_cbranch_vccnz .LBB86_2680
; %bb.2679:
	s_wait_xcnt 0x0
	v_cndmask_b32_e64 v2, 0, 1.0, s1
	s_delay_alu instid0(VALU_DEP_1) | instskip(NEXT) | instid1(VALU_DEP_1)
	v_cvt_f16_f32_e32 v2, v2
	v_and_b32_e32 v2, 0xffff, v2
	global_store_b32 v[0:1], v2, off
.LBB86_2680:
	s_mov_b32 s3, 0
.LBB86_2681:
	s_delay_alu instid0(SALU_CYCLE_1)
	s_and_not1_b32 vcc_lo, exec_lo, s3
	s_cbranch_vccnz .LBB86_2690
; %bb.2682:
	s_cmp_lt_i32 s2, 6
	s_mov_b32 s3, -1
	s_cbranch_scc1 .LBB86_2688
; %bb.2683:
	s_cmp_gt_i32 s2, 6
	s_cbranch_scc0 .LBB86_2685
; %bb.2684:
	s_wait_xcnt 0x0
	v_cndmask_b32_e64 v2, 0, 1, s1
	s_mov_b32 s3, 0
	s_delay_alu instid0(VALU_DEP_1)
	v_cvt_f64_u32_e32 v[2:3], v2
	global_store_b64 v[0:1], v[2:3], off
.LBB86_2685:
	s_and_not1_b32 vcc_lo, exec_lo, s3
	s_cbranch_vccnz .LBB86_2687
; %bb.2686:
	s_wait_xcnt 0x0
	v_cndmask_b32_e64 v2, 0, 1.0, s1
	global_store_b32 v[0:1], v2, off
.LBB86_2687:
	s_mov_b32 s3, 0
.LBB86_2688:
	s_delay_alu instid0(SALU_CYCLE_1)
	s_and_not1_b32 vcc_lo, exec_lo, s3
	s_cbranch_vccnz .LBB86_2690
; %bb.2689:
	s_wait_xcnt 0x0
	v_cndmask_b32_e64 v2, 0, 1.0, s1
	s_delay_alu instid0(VALU_DEP_1)
	v_cvt_f16_f32_e32 v2, v2
	global_store_b16 v[0:1], v2, off
.LBB86_2690:
	s_mov_b32 s3, 0
.LBB86_2691:
	s_delay_alu instid0(SALU_CYCLE_1)
	s_and_not1_b32 vcc_lo, exec_lo, s3
	s_cbranch_vccnz .LBB86_2707
; %bb.2692:
	s_cmp_lt_i32 s2, 2
	s_mov_b32 s3, -1
	s_cbranch_scc1 .LBB86_2702
; %bb.2693:
	s_cmp_lt_i32 s2, 3
	s_cbranch_scc1 .LBB86_2699
; %bb.2694:
	s_cmp_gt_i32 s2, 3
	s_cbranch_scc0 .LBB86_2696
; %bb.2695:
	s_mov_b32 s3, 0
	s_wait_xcnt 0x0
	v_cndmask_b32_e64 v2, 0, 1, s1
	v_mov_b32_e32 v3, s3
	global_store_b64 v[0:1], v[2:3], off
.LBB86_2696:
	s_and_not1_b32 vcc_lo, exec_lo, s3
	s_cbranch_vccnz .LBB86_2698
; %bb.2697:
	s_wait_xcnt 0x0
	v_cndmask_b32_e64 v2, 0, 1, s1
	global_store_b32 v[0:1], v2, off
.LBB86_2698:
	s_mov_b32 s3, 0
.LBB86_2699:
	s_delay_alu instid0(SALU_CYCLE_1)
	s_and_not1_b32 vcc_lo, exec_lo, s3
	s_cbranch_vccnz .LBB86_2701
; %bb.2700:
	s_wait_xcnt 0x0
	v_cndmask_b32_e64 v2, 0, 1, s1
	global_store_b16 v[0:1], v2, off
.LBB86_2701:
	s_mov_b32 s3, 0
.LBB86_2702:
	s_delay_alu instid0(SALU_CYCLE_1)
	s_and_not1_b32 vcc_lo, exec_lo, s3
	s_cbranch_vccnz .LBB86_2707
; %bb.2703:
	s_wait_xcnt 0x0
	v_cndmask_b32_e64 v2, 0, 1, s1
	s_cmp_gt_i32 s2, 0
	s_mov_b32 s1, -1
	s_cbranch_scc0 .LBB86_2705
; %bb.2704:
	s_mov_b32 s1, 0
	global_store_b8 v[0:1], v2, off
.LBB86_2705:
	s_and_not1_b32 vcc_lo, exec_lo, s1
	s_cbranch_vccnz .LBB86_2707
; %bb.2706:
	global_store_b8 v[0:1], v2, off
.LBB86_2707:
.LBB86_2708:
	v_cmp_eq_f64_e32 vcc_lo, v[4:5], v[6:7]
	s_lshl_b32 s3, s8, 7
	s_cmp_lt_i32 s19, 11
	s_wait_xcnt 0x0
	v_cndmask_b32_e64 v1, 0, 1, vcc_lo
	v_cmp_neq_f64_e32 vcc_lo, v[4:5], v[6:7]
	v_cndmask_b32_e64 v2, 0, 1, vcc_lo
	s_delay_alu instid0(VALU_DEP_1) | instskip(NEXT) | instid1(VALU_DEP_1)
	v_dual_add_nc_u32 v0, s3, v16 :: v_dual_cndmask_b32 v2, v2, v1, s0
	v_dual_ashrrev_i32 v1, 31, v0 :: v_dual_bitop2_b32 v4, 1, v2 bitop3:0x40
	s_delay_alu instid0(VALU_DEP_1) | instskip(NEXT) | instid1(VALU_DEP_2)
	v_add_nc_u64_e32 v[2:3], s[4:5], v[0:1]
	v_cmp_eq_u32_e64 s1, 1, v4
	s_cbranch_scc1 .LBB86_2786
; %bb.2709:
	s_and_b32 s6, 0xffff, s19
	s_mov_b32 s9, -1
	s_mov_b32 s7, 0
	s_cmp_gt_i32 s6, 25
	s_mov_b32 s8, 0
	s_mov_b32 s2, 0
	s_cbranch_scc0 .LBB86_2742
; %bb.2710:
	s_cmp_gt_i32 s6, 28
	s_cbranch_scc0 .LBB86_2725
; %bb.2711:
	s_cmp_gt_i32 s6, 43
	;; [unrolled: 3-line block ×3, first 2 shown]
	s_cbranch_scc0 .LBB86_2715
; %bb.2713:
	s_mov_b32 s2, -1
	s_mov_b32 s9, 0
	s_cmp_eq_u32 s6, 46
	s_cbranch_scc0 .LBB86_2715
; %bb.2714:
	v_cndmask_b32_e64 v1, 0, 1.0, s1
	s_mov_b32 s2, 0
	s_mov_b32 s8, -1
	s_delay_alu instid0(VALU_DEP_1) | instskip(NEXT) | instid1(VALU_DEP_1)
	v_bfe_u32 v4, v1, 16, 1
	v_add3_u32 v1, v1, v4, 0x7fff
	s_delay_alu instid0(VALU_DEP_1)
	v_lshrrev_b32_e32 v1, 16, v1
	global_store_b32 v[2:3], v1, off
.LBB86_2715:
	s_and_b32 vcc_lo, exec_lo, s9
	s_cbranch_vccz .LBB86_2720
; %bb.2716:
	s_cmp_eq_u32 s6, 44
	s_mov_b32 s2, -1
	s_cbranch_scc0 .LBB86_2720
; %bb.2717:
	v_cndmask_b32_e64 v5, 0, 1.0, s1
	s_mov_b32 s8, exec_lo
	s_wait_xcnt 0x0
	s_delay_alu instid0(VALU_DEP_1) | instskip(NEXT) | instid1(VALU_DEP_1)
	v_dual_mov_b32 v4, 0xff :: v_dual_lshrrev_b32 v1, 23, v5
	v_cmpx_ne_u32_e32 0xff, v1
; %bb.2718:
	v_and_b32_e32 v4, 0x400000, v5
	v_and_or_b32 v5, 0x3fffff, v5, v1
	s_delay_alu instid0(VALU_DEP_2) | instskip(NEXT) | instid1(VALU_DEP_2)
	v_cmp_ne_u32_e32 vcc_lo, 0, v4
	v_cmp_ne_u32_e64 s2, 0, v5
	s_and_b32 s2, vcc_lo, s2
	s_delay_alu instid0(SALU_CYCLE_1) | instskip(NEXT) | instid1(VALU_DEP_1)
	v_cndmask_b32_e64 v4, 0, 1, s2
	v_add_nc_u32_e32 v4, v1, v4
; %bb.2719:
	s_or_b32 exec_lo, exec_lo, s8
	s_mov_b32 s2, 0
	s_mov_b32 s8, -1
	global_store_b8 v[2:3], v4, off
.LBB86_2720:
	s_mov_b32 s9, 0
.LBB86_2721:
	s_delay_alu instid0(SALU_CYCLE_1)
	s_and_b32 vcc_lo, exec_lo, s9
	s_cbranch_vccz .LBB86_2724
; %bb.2722:
	s_cmp_eq_u32 s6, 29
	s_mov_b32 s2, -1
	s_cbranch_scc0 .LBB86_2724
; %bb.2723:
	s_mov_b32 s2, 0
	s_wait_xcnt 0x0
	v_cndmask_b32_e64 v4, 0, 1, s1
	v_mov_b32_e32 v5, s2
	s_mov_b32 s8, -1
	global_store_b64 v[2:3], v[4:5], off
.LBB86_2724:
	s_mov_b32 s9, 0
.LBB86_2725:
	s_delay_alu instid0(SALU_CYCLE_1)
	s_and_b32 vcc_lo, exec_lo, s9
	s_cbranch_vccz .LBB86_2741
; %bb.2726:
	s_cmp_lt_i32 s6, 27
	s_mov_b32 s8, -1
	s_cbranch_scc1 .LBB86_2732
; %bb.2727:
	s_cmp_gt_i32 s6, 27
	s_cbranch_scc0 .LBB86_2729
; %bb.2728:
	s_wait_xcnt 0x0
	v_cndmask_b32_e64 v1, 0, 1, s1
	s_mov_b32 s8, 0
	global_store_b32 v[2:3], v1, off
.LBB86_2729:
	s_and_not1_b32 vcc_lo, exec_lo, s8
	s_cbranch_vccnz .LBB86_2731
; %bb.2730:
	s_wait_xcnt 0x0
	v_cndmask_b32_e64 v1, 0, 1, s1
	global_store_b16 v[2:3], v1, off
.LBB86_2731:
	s_mov_b32 s8, 0
.LBB86_2732:
	s_delay_alu instid0(SALU_CYCLE_1)
	s_and_not1_b32 vcc_lo, exec_lo, s8
	s_cbranch_vccnz .LBB86_2740
; %bb.2733:
	s_wait_xcnt 0x0
	v_cndmask_b32_e64 v4, 0, 1.0, s1
	v_mov_b32_e32 v5, 0x80
	s_mov_b32 s8, exec_lo
	s_delay_alu instid0(VALU_DEP_2)
	v_cmpx_gt_u32_e32 0x43800000, v4
	s_cbranch_execz .LBB86_2739
; %bb.2734:
	s_mov_b32 s9, 0
	s_mov_b32 s10, exec_lo
                                        ; implicit-def: $vgpr1
	v_cmpx_lt_u32_e32 0x3bffffff, v4
	s_xor_b32 s10, exec_lo, s10
	s_cbranch_execz .LBB86_3074
; %bb.2735:
	v_bfe_u32 v1, v4, 20, 1
	s_mov_b32 s9, exec_lo
	s_delay_alu instid0(VALU_DEP_1) | instskip(NEXT) | instid1(VALU_DEP_1)
	v_add3_u32 v1, v4, v1, 0x487ffff
                                        ; implicit-def: $vgpr4
	v_lshrrev_b32_e32 v1, 20, v1
	s_and_not1_saveexec_b32 s10, s10
	s_cbranch_execnz .LBB86_3075
.LBB86_2736:
	s_or_b32 exec_lo, exec_lo, s10
	v_mov_b32_e32 v5, 0
	s_and_saveexec_b32 s10, s9
.LBB86_2737:
	v_mov_b32_e32 v5, v1
.LBB86_2738:
	s_or_b32 exec_lo, exec_lo, s10
.LBB86_2739:
	s_delay_alu instid0(SALU_CYCLE_1)
	s_or_b32 exec_lo, exec_lo, s8
	global_store_b8 v[2:3], v5, off
.LBB86_2740:
	s_mov_b32 s8, -1
.LBB86_2741:
	s_mov_b32 s9, 0
.LBB86_2742:
	s_delay_alu instid0(SALU_CYCLE_1)
	s_and_b32 vcc_lo, exec_lo, s9
	s_cbranch_vccz .LBB86_2782
; %bb.2743:
	s_cmp_gt_i32 s6, 22
	s_mov_b32 s7, -1
	s_cbranch_scc0 .LBB86_2775
; %bb.2744:
	s_cmp_lt_i32 s6, 24
	s_cbranch_scc1 .LBB86_2764
; %bb.2745:
	s_cmp_gt_i32 s6, 24
	s_cbranch_scc0 .LBB86_2753
; %bb.2746:
	s_wait_xcnt 0x0
	v_cndmask_b32_e64 v4, 0, 1.0, s1
	v_mov_b32_e32 v5, 0x80
	s_mov_b32 s7, exec_lo
	s_delay_alu instid0(VALU_DEP_2)
	v_cmpx_gt_u32_e32 0x47800000, v4
	s_cbranch_execz .LBB86_2752
; %bb.2747:
	s_mov_b32 s8, 0
	s_mov_b32 s9, exec_lo
                                        ; implicit-def: $vgpr1
	v_cmpx_lt_u32_e32 0x37ffffff, v4
	s_xor_b32 s9, exec_lo, s9
	s_cbranch_execz .LBB86_3077
; %bb.2748:
	v_bfe_u32 v1, v4, 21, 1
	s_mov_b32 s8, exec_lo
	s_delay_alu instid0(VALU_DEP_1) | instskip(NEXT) | instid1(VALU_DEP_1)
	v_add3_u32 v1, v4, v1, 0x88fffff
                                        ; implicit-def: $vgpr4
	v_lshrrev_b32_e32 v1, 21, v1
	s_and_not1_saveexec_b32 s9, s9
	s_cbranch_execnz .LBB86_3078
.LBB86_2749:
	s_or_b32 exec_lo, exec_lo, s9
	v_mov_b32_e32 v5, 0
	s_and_saveexec_b32 s9, s8
.LBB86_2750:
	v_mov_b32_e32 v5, v1
.LBB86_2751:
	s_or_b32 exec_lo, exec_lo, s9
.LBB86_2752:
	s_delay_alu instid0(SALU_CYCLE_1)
	s_or_b32 exec_lo, exec_lo, s7
	s_mov_b32 s7, 0
	global_store_b8 v[2:3], v5, off
.LBB86_2753:
	s_and_b32 vcc_lo, exec_lo, s7
	s_cbranch_vccz .LBB86_2763
; %bb.2754:
	s_wait_xcnt 0x0
	v_cndmask_b32_e64 v4, 0, 1.0, s1
	s_mov_b32 s7, exec_lo
                                        ; implicit-def: $vgpr1
	s_delay_alu instid0(VALU_DEP_1)
	v_cmpx_gt_u32_e32 0x43f00000, v4
	s_xor_b32 s7, exec_lo, s7
	s_cbranch_execz .LBB86_2760
; %bb.2755:
	s_mov_b32 s8, exec_lo
                                        ; implicit-def: $vgpr1
	v_cmpx_lt_u32_e32 0x3c7fffff, v4
	s_xor_b32 s8, exec_lo, s8
; %bb.2756:
	v_bfe_u32 v1, v4, 20, 1
	s_delay_alu instid0(VALU_DEP_1) | instskip(NEXT) | instid1(VALU_DEP_1)
	v_add3_u32 v1, v4, v1, 0x407ffff
	v_and_b32_e32 v4, 0xff00000, v1
	v_lshrrev_b32_e32 v1, 20, v1
	s_delay_alu instid0(VALU_DEP_2) | instskip(NEXT) | instid1(VALU_DEP_2)
	v_cmp_ne_u32_e32 vcc_lo, 0x7f00000, v4
                                        ; implicit-def: $vgpr4
	v_cndmask_b32_e32 v1, 0x7e, v1, vcc_lo
; %bb.2757:
	s_and_not1_saveexec_b32 s8, s8
; %bb.2758:
	v_add_f32_e32 v1, 0x46800000, v4
; %bb.2759:
	s_or_b32 exec_lo, exec_lo, s8
                                        ; implicit-def: $vgpr4
.LBB86_2760:
	s_and_not1_saveexec_b32 s7, s7
; %bb.2761:
	v_mov_b32_e32 v1, 0x7f
	v_cmp_lt_u32_e32 vcc_lo, 0x7f800000, v4
	s_delay_alu instid0(VALU_DEP_2)
	v_cndmask_b32_e32 v1, 0x7e, v1, vcc_lo
; %bb.2762:
	s_or_b32 exec_lo, exec_lo, s7
	global_store_b8 v[2:3], v1, off
.LBB86_2763:
	s_mov_b32 s7, 0
.LBB86_2764:
	s_delay_alu instid0(SALU_CYCLE_1)
	s_and_not1_b32 vcc_lo, exec_lo, s7
	s_cbranch_vccnz .LBB86_2774
; %bb.2765:
	s_wait_xcnt 0x0
	v_cndmask_b32_e64 v4, 0, 1.0, s1
	s_mov_b32 s7, exec_lo
                                        ; implicit-def: $vgpr1
	s_delay_alu instid0(VALU_DEP_1)
	v_cmpx_gt_u32_e32 0x47800000, v4
	s_xor_b32 s7, exec_lo, s7
	s_cbranch_execz .LBB86_2771
; %bb.2766:
	s_mov_b32 s8, exec_lo
                                        ; implicit-def: $vgpr1
	v_cmpx_lt_u32_e32 0x387fffff, v4
	s_xor_b32 s8, exec_lo, s8
; %bb.2767:
	v_bfe_u32 v1, v4, 21, 1
	s_delay_alu instid0(VALU_DEP_1) | instskip(NEXT) | instid1(VALU_DEP_1)
	v_add3_u32 v1, v4, v1, 0x80fffff
                                        ; implicit-def: $vgpr4
	v_lshrrev_b32_e32 v1, 21, v1
; %bb.2768:
	s_and_not1_saveexec_b32 s8, s8
; %bb.2769:
	v_add_f32_e32 v1, 0x43000000, v4
; %bb.2770:
	s_or_b32 exec_lo, exec_lo, s8
                                        ; implicit-def: $vgpr4
.LBB86_2771:
	s_and_not1_saveexec_b32 s7, s7
; %bb.2772:
	v_mov_b32_e32 v1, 0x7f
	v_cmp_lt_u32_e32 vcc_lo, 0x7f800000, v4
	s_delay_alu instid0(VALU_DEP_2)
	v_cndmask_b32_e32 v1, 0x7c, v1, vcc_lo
; %bb.2773:
	s_or_b32 exec_lo, exec_lo, s7
	global_store_b8 v[2:3], v1, off
.LBB86_2774:
	s_mov_b32 s7, 0
	s_mov_b32 s8, -1
.LBB86_2775:
	s_and_not1_b32 vcc_lo, exec_lo, s7
	s_mov_b32 s7, 0
	s_cbranch_vccnz .LBB86_2782
; %bb.2776:
	s_cmp_gt_i32 s6, 14
	s_mov_b32 s7, -1
	s_cbranch_scc0 .LBB86_2780
; %bb.2777:
	s_cmp_eq_u32 s6, 15
	s_mov_b32 s2, -1
	s_cbranch_scc0 .LBB86_2779
; %bb.2778:
	s_wait_xcnt 0x0
	v_cndmask_b32_e64 v1, 0, 1.0, s1
	s_mov_b32 s2, 0
	s_mov_b32 s8, -1
	s_delay_alu instid0(VALU_DEP_1) | instskip(NEXT) | instid1(VALU_DEP_1)
	v_bfe_u32 v4, v1, 16, 1
	v_add3_u32 v1, v1, v4, 0x7fff
	global_store_d16_hi_b16 v[2:3], v1, off
.LBB86_2779:
	s_mov_b32 s7, 0
.LBB86_2780:
	s_delay_alu instid0(SALU_CYCLE_1)
	s_and_b32 vcc_lo, exec_lo, s7
	s_mov_b32 s7, 0
	s_cbranch_vccz .LBB86_2782
; %bb.2781:
	s_cmp_lg_u32 s6, 11
	s_mov_b32 s7, -1
	s_cselect_b32 s2, -1, 0
.LBB86_2782:
	s_delay_alu instid0(SALU_CYCLE_1)
	s_and_b32 vcc_lo, exec_lo, s2
	s_cbranch_vccnz .LBB86_3076
; %bb.2783:
	s_and_not1_b32 vcc_lo, exec_lo, s7
	s_cbranch_vccnz .LBB86_2785
.LBB86_2784:
	s_wait_xcnt 0x0
	v_cndmask_b32_e64 v1, 0, 1, s1
	s_mov_b32 s8, -1
	global_store_b8 v[2:3], v1, off
.LBB86_2785:
	s_mov_b32 s2, 0
	s_branch .LBB86_2787
.LBB86_2786:
	s_mov_b32 s2, -1
	s_mov_b32 s8, 0
.LBB86_2787:
	s_and_b32 vcc_lo, exec_lo, s2
	s_cbranch_vccz .LBB86_2826
; %bb.2788:
	s_and_b32 s2, 0xffff, s19
	s_mov_b32 s6, -1
	s_cmp_lt_i32 s2, 5
	s_cbranch_scc1 .LBB86_2809
; %bb.2789:
	s_cmp_lt_i32 s2, 8
	s_cbranch_scc1 .LBB86_2799
; %bb.2790:
	;; [unrolled: 3-line block ×3, first 2 shown]
	s_cmp_gt_i32 s2, 9
	s_cbranch_scc0 .LBB86_2793
; %bb.2792:
	s_wait_xcnt 0x0
	v_cndmask_b32_e64 v1, 0, 1, s1
	v_mov_b32_e32 v6, 0
	s_mov_b32 s6, 0
	s_delay_alu instid0(VALU_DEP_2) | instskip(NEXT) | instid1(VALU_DEP_2)
	v_cvt_f64_u32_e32 v[4:5], v1
	v_mov_b32_e32 v7, v6
	global_store_b128 v[2:3], v[4:7], off
.LBB86_2793:
	s_and_not1_b32 vcc_lo, exec_lo, s6
	s_cbranch_vccnz .LBB86_2795
; %bb.2794:
	s_wait_xcnt 0x0
	v_cndmask_b32_e64 v4, 0, 1.0, s1
	v_mov_b32_e32 v5, 0
	global_store_b64 v[2:3], v[4:5], off
.LBB86_2795:
	s_mov_b32 s6, 0
.LBB86_2796:
	s_delay_alu instid0(SALU_CYCLE_1)
	s_and_not1_b32 vcc_lo, exec_lo, s6
	s_cbranch_vccnz .LBB86_2798
; %bb.2797:
	s_wait_xcnt 0x0
	v_cndmask_b32_e64 v1, 0, 1.0, s1
	s_delay_alu instid0(VALU_DEP_1) | instskip(NEXT) | instid1(VALU_DEP_1)
	v_cvt_f16_f32_e32 v1, v1
	v_and_b32_e32 v1, 0xffff, v1
	global_store_b32 v[2:3], v1, off
.LBB86_2798:
	s_mov_b32 s6, 0
.LBB86_2799:
	s_delay_alu instid0(SALU_CYCLE_1)
	s_and_not1_b32 vcc_lo, exec_lo, s6
	s_cbranch_vccnz .LBB86_2808
; %bb.2800:
	s_cmp_lt_i32 s2, 6
	s_mov_b32 s6, -1
	s_cbranch_scc1 .LBB86_2806
; %bb.2801:
	s_cmp_gt_i32 s2, 6
	s_cbranch_scc0 .LBB86_2803
; %bb.2802:
	s_wait_xcnt 0x0
	v_cndmask_b32_e64 v1, 0, 1, s1
	s_mov_b32 s6, 0
	s_delay_alu instid0(VALU_DEP_1)
	v_cvt_f64_u32_e32 v[4:5], v1
	global_store_b64 v[2:3], v[4:5], off
.LBB86_2803:
	s_and_not1_b32 vcc_lo, exec_lo, s6
	s_cbranch_vccnz .LBB86_2805
; %bb.2804:
	s_wait_xcnt 0x0
	v_cndmask_b32_e64 v1, 0, 1.0, s1
	global_store_b32 v[2:3], v1, off
.LBB86_2805:
	s_mov_b32 s6, 0
.LBB86_2806:
	s_delay_alu instid0(SALU_CYCLE_1)
	s_and_not1_b32 vcc_lo, exec_lo, s6
	s_cbranch_vccnz .LBB86_2808
; %bb.2807:
	s_wait_xcnt 0x0
	v_cndmask_b32_e64 v1, 0, 1.0, s1
	s_delay_alu instid0(VALU_DEP_1)
	v_cvt_f16_f32_e32 v1, v1
	global_store_b16 v[2:3], v1, off
.LBB86_2808:
	s_mov_b32 s6, 0
.LBB86_2809:
	s_delay_alu instid0(SALU_CYCLE_1)
	s_and_not1_b32 vcc_lo, exec_lo, s6
	s_cbranch_vccnz .LBB86_2825
; %bb.2810:
	s_cmp_lt_i32 s2, 2
	s_mov_b32 s6, -1
	s_cbranch_scc1 .LBB86_2820
; %bb.2811:
	s_cmp_lt_i32 s2, 3
	s_cbranch_scc1 .LBB86_2817
; %bb.2812:
	s_cmp_gt_i32 s2, 3
	s_cbranch_scc0 .LBB86_2814
; %bb.2813:
	s_mov_b32 s6, 0
	s_wait_xcnt 0x0
	v_cndmask_b32_e64 v4, 0, 1, s1
	v_mov_b32_e32 v5, s6
	global_store_b64 v[2:3], v[4:5], off
.LBB86_2814:
	s_and_not1_b32 vcc_lo, exec_lo, s6
	s_cbranch_vccnz .LBB86_2816
; %bb.2815:
	s_wait_xcnt 0x0
	v_cndmask_b32_e64 v1, 0, 1, s1
	global_store_b32 v[2:3], v1, off
.LBB86_2816:
	s_mov_b32 s6, 0
.LBB86_2817:
	s_delay_alu instid0(SALU_CYCLE_1)
	s_and_not1_b32 vcc_lo, exec_lo, s6
	s_cbranch_vccnz .LBB86_2819
; %bb.2818:
	s_wait_xcnt 0x0
	v_cndmask_b32_e64 v1, 0, 1, s1
	global_store_b16 v[2:3], v1, off
.LBB86_2819:
	s_mov_b32 s6, 0
.LBB86_2820:
	s_delay_alu instid0(SALU_CYCLE_1)
	s_and_not1_b32 vcc_lo, exec_lo, s6
	s_cbranch_vccnz .LBB86_2825
; %bb.2821:
	s_wait_xcnt 0x0
	v_cndmask_b32_e64 v1, 0, 1, s1
	s_cmp_gt_i32 s2, 0
	s_mov_b32 s1, -1
	s_cbranch_scc0 .LBB86_2823
; %bb.2822:
	s_mov_b32 s1, 0
	global_store_b8 v[2:3], v1, off
.LBB86_2823:
	s_and_not1_b32 vcc_lo, exec_lo, s1
	s_cbranch_vccnz .LBB86_2825
; %bb.2824:
	global_store_b8 v[2:3], v1, off
.LBB86_2825:
	s_mov_b32 s8, -1
.LBB86_2826:
	s_delay_alu instid0(SALU_CYCLE_1)
	s_and_not1_b32 vcc_lo, exec_lo, s8
	s_cbranch_vccnz .LBB86_3022
; %bb.2827:
	v_cmp_eq_f64_e32 vcc_lo, v[8:9], v[10:11]
	s_cmp_lt_i32 s19, 11
	s_wait_xcnt 0x0
	v_cndmask_b32_e64 v1, 0, 1, vcc_lo
	v_cmp_neq_f64_e32 vcc_lo, v[8:9], v[10:11]
	v_cndmask_b32_e64 v2, 0, 1, vcc_lo
	s_delay_alu instid0(VALU_DEP_1) | instskip(NEXT) | instid1(VALU_DEP_1)
	v_dual_add_nc_u32 v0, s3, v0 :: v_dual_cndmask_b32 v2, v2, v1, s0
	v_dual_ashrrev_i32 v1, 31, v0 :: v_dual_bitop2_b32 v4, 1, v2 bitop3:0x40
	s_delay_alu instid0(VALU_DEP_1) | instskip(NEXT) | instid1(VALU_DEP_2)
	v_add_nc_u64_e32 v[2:3], s[4:5], v[0:1]
	v_cmp_eq_u32_e64 s1, 1, v4
	s_cbranch_scc1 .LBB86_2905
; %bb.2828:
	s_and_b32 s6, 0xffff, s19
	s_mov_b32 s9, -1
	s_mov_b32 s7, 0
	s_cmp_gt_i32 s6, 25
	s_mov_b32 s8, 0
	s_mov_b32 s2, 0
	s_cbranch_scc0 .LBB86_2861
; %bb.2829:
	s_cmp_gt_i32 s6, 28
	s_cbranch_scc0 .LBB86_2844
; %bb.2830:
	s_cmp_gt_i32 s6, 43
	s_cbranch_scc0 .LBB86_2840
; %bb.2831:
	s_cmp_gt_i32 s6, 45
	s_cbranch_scc0 .LBB86_2834
; %bb.2832:
	s_mov_b32 s2, -1
	s_mov_b32 s9, 0
	s_cmp_eq_u32 s6, 46
	s_cbranch_scc0 .LBB86_2834
; %bb.2833:
	v_cndmask_b32_e64 v1, 0, 1.0, s1
	s_mov_b32 s2, 0
	s_mov_b32 s8, -1
	s_delay_alu instid0(VALU_DEP_1) | instskip(NEXT) | instid1(VALU_DEP_1)
	v_bfe_u32 v4, v1, 16, 1
	v_add3_u32 v1, v1, v4, 0x7fff
	s_delay_alu instid0(VALU_DEP_1)
	v_lshrrev_b32_e32 v1, 16, v1
	global_store_b32 v[2:3], v1, off
.LBB86_2834:
	s_and_b32 vcc_lo, exec_lo, s9
	s_cbranch_vccz .LBB86_2839
; %bb.2835:
	s_cmp_eq_u32 s6, 44
	s_mov_b32 s2, -1
	s_cbranch_scc0 .LBB86_2839
; %bb.2836:
	v_cndmask_b32_e64 v5, 0, 1.0, s1
	s_mov_b32 s8, exec_lo
	s_wait_xcnt 0x0
	s_delay_alu instid0(VALU_DEP_1) | instskip(NEXT) | instid1(VALU_DEP_1)
	v_dual_mov_b32 v4, 0xff :: v_dual_lshrrev_b32 v1, 23, v5
	v_cmpx_ne_u32_e32 0xff, v1
; %bb.2837:
	v_and_b32_e32 v4, 0x400000, v5
	v_and_or_b32 v5, 0x3fffff, v5, v1
	s_delay_alu instid0(VALU_DEP_2) | instskip(NEXT) | instid1(VALU_DEP_2)
	v_cmp_ne_u32_e32 vcc_lo, 0, v4
	v_cmp_ne_u32_e64 s2, 0, v5
	s_and_b32 s2, vcc_lo, s2
	s_delay_alu instid0(SALU_CYCLE_1) | instskip(NEXT) | instid1(VALU_DEP_1)
	v_cndmask_b32_e64 v4, 0, 1, s2
	v_add_nc_u32_e32 v4, v1, v4
; %bb.2838:
	s_or_b32 exec_lo, exec_lo, s8
	s_mov_b32 s2, 0
	s_mov_b32 s8, -1
	global_store_b8 v[2:3], v4, off
.LBB86_2839:
	s_mov_b32 s9, 0
.LBB86_2840:
	s_delay_alu instid0(SALU_CYCLE_1)
	s_and_b32 vcc_lo, exec_lo, s9
	s_cbranch_vccz .LBB86_2843
; %bb.2841:
	s_cmp_eq_u32 s6, 29
	s_mov_b32 s2, -1
	s_cbranch_scc0 .LBB86_2843
; %bb.2842:
	s_mov_b32 s2, 0
	s_wait_xcnt 0x0
	v_cndmask_b32_e64 v4, 0, 1, s1
	v_mov_b32_e32 v5, s2
	s_mov_b32 s8, -1
	global_store_b64 v[2:3], v[4:5], off
.LBB86_2843:
	s_mov_b32 s9, 0
.LBB86_2844:
	s_delay_alu instid0(SALU_CYCLE_1)
	s_and_b32 vcc_lo, exec_lo, s9
	s_cbranch_vccz .LBB86_2860
; %bb.2845:
	s_cmp_lt_i32 s6, 27
	s_mov_b32 s8, -1
	s_cbranch_scc1 .LBB86_2851
; %bb.2846:
	s_cmp_gt_i32 s6, 27
	s_cbranch_scc0 .LBB86_2848
; %bb.2847:
	s_wait_xcnt 0x0
	v_cndmask_b32_e64 v1, 0, 1, s1
	s_mov_b32 s8, 0
	global_store_b32 v[2:3], v1, off
.LBB86_2848:
	s_and_not1_b32 vcc_lo, exec_lo, s8
	s_cbranch_vccnz .LBB86_2850
; %bb.2849:
	s_wait_xcnt 0x0
	v_cndmask_b32_e64 v1, 0, 1, s1
	global_store_b16 v[2:3], v1, off
.LBB86_2850:
	s_mov_b32 s8, 0
.LBB86_2851:
	s_delay_alu instid0(SALU_CYCLE_1)
	s_and_not1_b32 vcc_lo, exec_lo, s8
	s_cbranch_vccnz .LBB86_2859
; %bb.2852:
	s_wait_xcnt 0x0
	v_cndmask_b32_e64 v4, 0, 1.0, s1
	v_mov_b32_e32 v5, 0x80
	s_mov_b32 s8, exec_lo
	s_delay_alu instid0(VALU_DEP_2)
	v_cmpx_gt_u32_e32 0x43800000, v4
	s_cbranch_execz .LBB86_2858
; %bb.2853:
	s_mov_b32 s9, 0
	s_mov_b32 s10, exec_lo
                                        ; implicit-def: $vgpr1
	v_cmpx_lt_u32_e32 0x3bffffff, v4
	s_xor_b32 s10, exec_lo, s10
	s_cbranch_execz .LBB86_3079
; %bb.2854:
	v_bfe_u32 v1, v4, 20, 1
	s_mov_b32 s9, exec_lo
	s_delay_alu instid0(VALU_DEP_1) | instskip(NEXT) | instid1(VALU_DEP_1)
	v_add3_u32 v1, v4, v1, 0x487ffff
                                        ; implicit-def: $vgpr4
	v_lshrrev_b32_e32 v1, 20, v1
	s_and_not1_saveexec_b32 s10, s10
	s_cbranch_execnz .LBB86_3080
.LBB86_2855:
	s_or_b32 exec_lo, exec_lo, s10
	v_mov_b32_e32 v5, 0
	s_and_saveexec_b32 s10, s9
.LBB86_2856:
	v_mov_b32_e32 v5, v1
.LBB86_2857:
	s_or_b32 exec_lo, exec_lo, s10
.LBB86_2858:
	s_delay_alu instid0(SALU_CYCLE_1)
	s_or_b32 exec_lo, exec_lo, s8
	global_store_b8 v[2:3], v5, off
.LBB86_2859:
	s_mov_b32 s8, -1
.LBB86_2860:
	s_mov_b32 s9, 0
.LBB86_2861:
	s_delay_alu instid0(SALU_CYCLE_1)
	s_and_b32 vcc_lo, exec_lo, s9
	s_cbranch_vccz .LBB86_2901
; %bb.2862:
	s_cmp_gt_i32 s6, 22
	s_mov_b32 s7, -1
	s_cbranch_scc0 .LBB86_2894
; %bb.2863:
	s_cmp_lt_i32 s6, 24
	s_cbranch_scc1 .LBB86_2883
; %bb.2864:
	s_cmp_gt_i32 s6, 24
	s_cbranch_scc0 .LBB86_2872
; %bb.2865:
	s_wait_xcnt 0x0
	v_cndmask_b32_e64 v4, 0, 1.0, s1
	v_mov_b32_e32 v5, 0x80
	s_mov_b32 s7, exec_lo
	s_delay_alu instid0(VALU_DEP_2)
	v_cmpx_gt_u32_e32 0x47800000, v4
	s_cbranch_execz .LBB86_2871
; %bb.2866:
	s_mov_b32 s8, 0
	s_mov_b32 s9, exec_lo
                                        ; implicit-def: $vgpr1
	v_cmpx_lt_u32_e32 0x37ffffff, v4
	s_xor_b32 s9, exec_lo, s9
	s_cbranch_execz .LBB86_3082
; %bb.2867:
	v_bfe_u32 v1, v4, 21, 1
	s_mov_b32 s8, exec_lo
	s_delay_alu instid0(VALU_DEP_1) | instskip(NEXT) | instid1(VALU_DEP_1)
	v_add3_u32 v1, v4, v1, 0x88fffff
                                        ; implicit-def: $vgpr4
	v_lshrrev_b32_e32 v1, 21, v1
	s_and_not1_saveexec_b32 s9, s9
	s_cbranch_execnz .LBB86_3083
.LBB86_2868:
	s_or_b32 exec_lo, exec_lo, s9
	v_mov_b32_e32 v5, 0
	s_and_saveexec_b32 s9, s8
.LBB86_2869:
	v_mov_b32_e32 v5, v1
.LBB86_2870:
	s_or_b32 exec_lo, exec_lo, s9
.LBB86_2871:
	s_delay_alu instid0(SALU_CYCLE_1)
	s_or_b32 exec_lo, exec_lo, s7
	s_mov_b32 s7, 0
	global_store_b8 v[2:3], v5, off
.LBB86_2872:
	s_and_b32 vcc_lo, exec_lo, s7
	s_cbranch_vccz .LBB86_2882
; %bb.2873:
	s_wait_xcnt 0x0
	v_cndmask_b32_e64 v4, 0, 1.0, s1
	s_mov_b32 s7, exec_lo
                                        ; implicit-def: $vgpr1
	s_delay_alu instid0(VALU_DEP_1)
	v_cmpx_gt_u32_e32 0x43f00000, v4
	s_xor_b32 s7, exec_lo, s7
	s_cbranch_execz .LBB86_2879
; %bb.2874:
	s_mov_b32 s8, exec_lo
                                        ; implicit-def: $vgpr1
	v_cmpx_lt_u32_e32 0x3c7fffff, v4
	s_xor_b32 s8, exec_lo, s8
; %bb.2875:
	v_bfe_u32 v1, v4, 20, 1
	s_delay_alu instid0(VALU_DEP_1) | instskip(NEXT) | instid1(VALU_DEP_1)
	v_add3_u32 v1, v4, v1, 0x407ffff
	v_and_b32_e32 v4, 0xff00000, v1
	v_lshrrev_b32_e32 v1, 20, v1
	s_delay_alu instid0(VALU_DEP_2) | instskip(NEXT) | instid1(VALU_DEP_2)
	v_cmp_ne_u32_e32 vcc_lo, 0x7f00000, v4
                                        ; implicit-def: $vgpr4
	v_cndmask_b32_e32 v1, 0x7e, v1, vcc_lo
; %bb.2876:
	s_and_not1_saveexec_b32 s8, s8
; %bb.2877:
	v_add_f32_e32 v1, 0x46800000, v4
; %bb.2878:
	s_or_b32 exec_lo, exec_lo, s8
                                        ; implicit-def: $vgpr4
.LBB86_2879:
	s_and_not1_saveexec_b32 s7, s7
; %bb.2880:
	v_mov_b32_e32 v1, 0x7f
	v_cmp_lt_u32_e32 vcc_lo, 0x7f800000, v4
	s_delay_alu instid0(VALU_DEP_2)
	v_cndmask_b32_e32 v1, 0x7e, v1, vcc_lo
; %bb.2881:
	s_or_b32 exec_lo, exec_lo, s7
	global_store_b8 v[2:3], v1, off
.LBB86_2882:
	s_mov_b32 s7, 0
.LBB86_2883:
	s_delay_alu instid0(SALU_CYCLE_1)
	s_and_not1_b32 vcc_lo, exec_lo, s7
	s_cbranch_vccnz .LBB86_2893
; %bb.2884:
	s_wait_xcnt 0x0
	v_cndmask_b32_e64 v4, 0, 1.0, s1
	s_mov_b32 s7, exec_lo
                                        ; implicit-def: $vgpr1
	s_delay_alu instid0(VALU_DEP_1)
	v_cmpx_gt_u32_e32 0x47800000, v4
	s_xor_b32 s7, exec_lo, s7
	s_cbranch_execz .LBB86_2890
; %bb.2885:
	s_mov_b32 s8, exec_lo
                                        ; implicit-def: $vgpr1
	v_cmpx_lt_u32_e32 0x387fffff, v4
	s_xor_b32 s8, exec_lo, s8
; %bb.2886:
	v_bfe_u32 v1, v4, 21, 1
	s_delay_alu instid0(VALU_DEP_1) | instskip(NEXT) | instid1(VALU_DEP_1)
	v_add3_u32 v1, v4, v1, 0x80fffff
                                        ; implicit-def: $vgpr4
	v_lshrrev_b32_e32 v1, 21, v1
; %bb.2887:
	s_and_not1_saveexec_b32 s8, s8
; %bb.2888:
	v_add_f32_e32 v1, 0x43000000, v4
; %bb.2889:
	s_or_b32 exec_lo, exec_lo, s8
                                        ; implicit-def: $vgpr4
.LBB86_2890:
	s_and_not1_saveexec_b32 s7, s7
; %bb.2891:
	v_mov_b32_e32 v1, 0x7f
	v_cmp_lt_u32_e32 vcc_lo, 0x7f800000, v4
	s_delay_alu instid0(VALU_DEP_2)
	v_cndmask_b32_e32 v1, 0x7c, v1, vcc_lo
; %bb.2892:
	s_or_b32 exec_lo, exec_lo, s7
	global_store_b8 v[2:3], v1, off
.LBB86_2893:
	s_mov_b32 s7, 0
	s_mov_b32 s8, -1
.LBB86_2894:
	s_and_not1_b32 vcc_lo, exec_lo, s7
	s_mov_b32 s7, 0
	s_cbranch_vccnz .LBB86_2901
; %bb.2895:
	s_cmp_gt_i32 s6, 14
	s_mov_b32 s7, -1
	s_cbranch_scc0 .LBB86_2899
; %bb.2896:
	s_cmp_eq_u32 s6, 15
	s_mov_b32 s2, -1
	s_cbranch_scc0 .LBB86_2898
; %bb.2897:
	s_wait_xcnt 0x0
	v_cndmask_b32_e64 v1, 0, 1.0, s1
	s_mov_b32 s2, 0
	s_mov_b32 s8, -1
	s_delay_alu instid0(VALU_DEP_1) | instskip(NEXT) | instid1(VALU_DEP_1)
	v_bfe_u32 v4, v1, 16, 1
	v_add3_u32 v1, v1, v4, 0x7fff
	global_store_d16_hi_b16 v[2:3], v1, off
.LBB86_2898:
	s_mov_b32 s7, 0
.LBB86_2899:
	s_delay_alu instid0(SALU_CYCLE_1)
	s_and_b32 vcc_lo, exec_lo, s7
	s_mov_b32 s7, 0
	s_cbranch_vccz .LBB86_2901
; %bb.2900:
	s_cmp_lg_u32 s6, 11
	s_mov_b32 s7, -1
	s_cselect_b32 s2, -1, 0
.LBB86_2901:
	s_delay_alu instid0(SALU_CYCLE_1)
	s_and_b32 vcc_lo, exec_lo, s2
	s_cbranch_vccnz .LBB86_3081
; %bb.2902:
	s_and_not1_b32 vcc_lo, exec_lo, s7
	s_cbranch_vccnz .LBB86_2904
.LBB86_2903:
	s_wait_xcnt 0x0
	v_cndmask_b32_e64 v1, 0, 1, s1
	s_mov_b32 s8, -1
	global_store_b8 v[2:3], v1, off
.LBB86_2904:
	s_mov_b32 s2, 0
	s_branch .LBB86_2906
.LBB86_2905:
	s_mov_b32 s2, -1
	s_mov_b32 s8, 0
.LBB86_2906:
	s_and_b32 vcc_lo, exec_lo, s2
	s_cbranch_vccz .LBB86_2945
; %bb.2907:
	s_and_b32 s2, 0xffff, s19
	s_mov_b32 s6, -1
	s_cmp_lt_i32 s2, 5
	s_cbranch_scc1 .LBB86_2928
; %bb.2908:
	s_cmp_lt_i32 s2, 8
	s_cbranch_scc1 .LBB86_2918
; %bb.2909:
	;; [unrolled: 3-line block ×3, first 2 shown]
	s_cmp_gt_i32 s2, 9
	s_cbranch_scc0 .LBB86_2912
; %bb.2911:
	s_wait_xcnt 0x0
	v_cndmask_b32_e64 v1, 0, 1, s1
	v_mov_b32_e32 v6, 0
	s_mov_b32 s6, 0
	s_delay_alu instid0(VALU_DEP_2) | instskip(NEXT) | instid1(VALU_DEP_2)
	v_cvt_f64_u32_e32 v[4:5], v1
	v_mov_b32_e32 v7, v6
	global_store_b128 v[2:3], v[4:7], off
.LBB86_2912:
	s_and_not1_b32 vcc_lo, exec_lo, s6
	s_cbranch_vccnz .LBB86_2914
; %bb.2913:
	s_wait_xcnt 0x0
	v_cndmask_b32_e64 v4, 0, 1.0, s1
	v_mov_b32_e32 v5, 0
	global_store_b64 v[2:3], v[4:5], off
.LBB86_2914:
	s_mov_b32 s6, 0
.LBB86_2915:
	s_delay_alu instid0(SALU_CYCLE_1)
	s_and_not1_b32 vcc_lo, exec_lo, s6
	s_cbranch_vccnz .LBB86_2917
; %bb.2916:
	s_wait_xcnt 0x0
	v_cndmask_b32_e64 v1, 0, 1.0, s1
	s_delay_alu instid0(VALU_DEP_1) | instskip(NEXT) | instid1(VALU_DEP_1)
	v_cvt_f16_f32_e32 v1, v1
	v_and_b32_e32 v1, 0xffff, v1
	global_store_b32 v[2:3], v1, off
.LBB86_2917:
	s_mov_b32 s6, 0
.LBB86_2918:
	s_delay_alu instid0(SALU_CYCLE_1)
	s_and_not1_b32 vcc_lo, exec_lo, s6
	s_cbranch_vccnz .LBB86_2927
; %bb.2919:
	s_cmp_lt_i32 s2, 6
	s_mov_b32 s6, -1
	s_cbranch_scc1 .LBB86_2925
; %bb.2920:
	s_cmp_gt_i32 s2, 6
	s_cbranch_scc0 .LBB86_2922
; %bb.2921:
	s_wait_xcnt 0x0
	v_cndmask_b32_e64 v1, 0, 1, s1
	s_mov_b32 s6, 0
	s_delay_alu instid0(VALU_DEP_1)
	v_cvt_f64_u32_e32 v[4:5], v1
	global_store_b64 v[2:3], v[4:5], off
.LBB86_2922:
	s_and_not1_b32 vcc_lo, exec_lo, s6
	s_cbranch_vccnz .LBB86_2924
; %bb.2923:
	s_wait_xcnt 0x0
	v_cndmask_b32_e64 v1, 0, 1.0, s1
	global_store_b32 v[2:3], v1, off
.LBB86_2924:
	s_mov_b32 s6, 0
.LBB86_2925:
	s_delay_alu instid0(SALU_CYCLE_1)
	s_and_not1_b32 vcc_lo, exec_lo, s6
	s_cbranch_vccnz .LBB86_2927
; %bb.2926:
	s_wait_xcnt 0x0
	v_cndmask_b32_e64 v1, 0, 1.0, s1
	s_delay_alu instid0(VALU_DEP_1)
	v_cvt_f16_f32_e32 v1, v1
	global_store_b16 v[2:3], v1, off
.LBB86_2927:
	s_mov_b32 s6, 0
.LBB86_2928:
	s_delay_alu instid0(SALU_CYCLE_1)
	s_and_not1_b32 vcc_lo, exec_lo, s6
	s_cbranch_vccnz .LBB86_2944
; %bb.2929:
	s_cmp_lt_i32 s2, 2
	s_mov_b32 s6, -1
	s_cbranch_scc1 .LBB86_2939
; %bb.2930:
	s_cmp_lt_i32 s2, 3
	s_cbranch_scc1 .LBB86_2936
; %bb.2931:
	s_cmp_gt_i32 s2, 3
	s_cbranch_scc0 .LBB86_2933
; %bb.2932:
	s_mov_b32 s6, 0
	s_wait_xcnt 0x0
	v_cndmask_b32_e64 v4, 0, 1, s1
	v_mov_b32_e32 v5, s6
	global_store_b64 v[2:3], v[4:5], off
.LBB86_2933:
	s_and_not1_b32 vcc_lo, exec_lo, s6
	s_cbranch_vccnz .LBB86_2935
; %bb.2934:
	s_wait_xcnt 0x0
	v_cndmask_b32_e64 v1, 0, 1, s1
	global_store_b32 v[2:3], v1, off
.LBB86_2935:
	s_mov_b32 s6, 0
.LBB86_2936:
	s_delay_alu instid0(SALU_CYCLE_1)
	s_and_not1_b32 vcc_lo, exec_lo, s6
	s_cbranch_vccnz .LBB86_2938
; %bb.2937:
	s_wait_xcnt 0x0
	v_cndmask_b32_e64 v1, 0, 1, s1
	global_store_b16 v[2:3], v1, off
.LBB86_2938:
	s_mov_b32 s6, 0
.LBB86_2939:
	s_delay_alu instid0(SALU_CYCLE_1)
	s_and_not1_b32 vcc_lo, exec_lo, s6
	s_cbranch_vccnz .LBB86_2944
; %bb.2940:
	s_wait_xcnt 0x0
	v_cndmask_b32_e64 v1, 0, 1, s1
	s_cmp_gt_i32 s2, 0
	s_mov_b32 s1, -1
	s_cbranch_scc0 .LBB86_2942
; %bb.2941:
	s_mov_b32 s1, 0
	global_store_b8 v[2:3], v1, off
.LBB86_2942:
	s_and_not1_b32 vcc_lo, exec_lo, s1
	s_cbranch_vccnz .LBB86_2944
; %bb.2943:
	global_store_b8 v[2:3], v1, off
.LBB86_2944:
	s_mov_b32 s8, -1
.LBB86_2945:
	s_delay_alu instid0(SALU_CYCLE_1)
	s_and_not1_b32 vcc_lo, exec_lo, s8
	s_cbranch_vccnz .LBB86_3022
; %bb.2946:
	v_cmp_eq_f64_e32 vcc_lo, v[12:13], v[14:15]
	s_cmp_lt_i32 s19, 11
	s_wait_xcnt 0x0
	v_cndmask_b32_e64 v1, 0, 1, vcc_lo
	v_cmp_neq_f64_e32 vcc_lo, v[12:13], v[14:15]
	v_cndmask_b32_e64 v2, 0, 1, vcc_lo
	s_delay_alu instid0(VALU_DEP_1) | instskip(NEXT) | instid1(VALU_DEP_1)
	v_dual_add_nc_u32 v0, s3, v0 :: v_dual_cndmask_b32 v2, v2, v1, s0
	v_dual_ashrrev_i32 v1, 31, v0 :: v_dual_bitop2_b32 v2, 1, v2 bitop3:0x40
	s_delay_alu instid0(VALU_DEP_1) | instskip(NEXT) | instid1(VALU_DEP_2)
	v_add_nc_u64_e32 v[0:1], s[4:5], v[0:1]
	v_cmp_eq_u32_e64 s1, 1, v2
	s_cbranch_scc1 .LBB86_3067
; %bb.2947:
	s_and_b32 s2, 0xffff, s19
	s_mov_b32 s4, -1
	s_mov_b32 s3, 0
	s_cmp_gt_i32 s2, 25
	s_mov_b32 s0, 0
	s_cbranch_scc0 .LBB86_2980
; %bb.2948:
	s_cmp_gt_i32 s2, 28
	s_cbranch_scc0 .LBB86_2964
; %bb.2949:
	s_cmp_gt_i32 s2, 43
	;; [unrolled: 3-line block ×3, first 2 shown]
	s_cbranch_scc0 .LBB86_2954
; %bb.2951:
	s_cmp_eq_u32 s2, 46
	s_mov_b32 s0, -1
	s_cbranch_scc0 .LBB86_2953
; %bb.2952:
	v_cndmask_b32_e64 v2, 0, 1.0, s1
	s_mov_b32 s0, 0
	s_delay_alu instid0(VALU_DEP_1) | instskip(NEXT) | instid1(VALU_DEP_1)
	v_bfe_u32 v3, v2, 16, 1
	v_add3_u32 v2, v2, v3, 0x7fff
	s_delay_alu instid0(VALU_DEP_1)
	v_lshrrev_b32_e32 v2, 16, v2
	global_store_b32 v[0:1], v2, off
.LBB86_2953:
	s_mov_b32 s4, 0
.LBB86_2954:
	s_delay_alu instid0(SALU_CYCLE_1)
	s_and_b32 vcc_lo, exec_lo, s4
	s_cbranch_vccz .LBB86_2959
; %bb.2955:
	s_cmp_eq_u32 s2, 44
	s_mov_b32 s0, -1
	s_cbranch_scc0 .LBB86_2959
; %bb.2956:
	v_cndmask_b32_e64 v4, 0, 1.0, s1
	s_mov_b32 s4, exec_lo
	s_wait_xcnt 0x0
	s_delay_alu instid0(VALU_DEP_1) | instskip(NEXT) | instid1(VALU_DEP_1)
	v_dual_mov_b32 v3, 0xff :: v_dual_lshrrev_b32 v2, 23, v4
	v_cmpx_ne_u32_e32 0xff, v2
; %bb.2957:
	v_and_b32_e32 v3, 0x400000, v4
	v_and_or_b32 v4, 0x3fffff, v4, v2
	s_delay_alu instid0(VALU_DEP_2) | instskip(NEXT) | instid1(VALU_DEP_2)
	v_cmp_ne_u32_e32 vcc_lo, 0, v3
	v_cmp_ne_u32_e64 s0, 0, v4
	s_and_b32 s0, vcc_lo, s0
	s_delay_alu instid0(SALU_CYCLE_1) | instskip(NEXT) | instid1(VALU_DEP_1)
	v_cndmask_b32_e64 v3, 0, 1, s0
	v_add_nc_u32_e32 v3, v2, v3
; %bb.2958:
	s_or_b32 exec_lo, exec_lo, s4
	s_mov_b32 s0, 0
	global_store_b8 v[0:1], v3, off
.LBB86_2959:
	s_mov_b32 s4, 0
.LBB86_2960:
	s_delay_alu instid0(SALU_CYCLE_1)
	s_and_b32 vcc_lo, exec_lo, s4
	s_cbranch_vccz .LBB86_2963
; %bb.2961:
	s_cmp_eq_u32 s2, 29
	s_mov_b32 s0, -1
	s_cbranch_scc0 .LBB86_2963
; %bb.2962:
	s_mov_b32 s0, 0
	s_wait_xcnt 0x0
	v_cndmask_b32_e64 v2, 0, 1, s1
	v_mov_b32_e32 v3, s0
	global_store_b64 v[0:1], v[2:3], off
.LBB86_2963:
	s_mov_b32 s4, 0
.LBB86_2964:
	s_delay_alu instid0(SALU_CYCLE_1)
	s_and_b32 vcc_lo, exec_lo, s4
	s_cbranch_vccz .LBB86_2979
; %bb.2965:
	s_cmp_lt_i32 s2, 27
	s_mov_b32 s4, -1
	s_cbranch_scc1 .LBB86_2971
; %bb.2966:
	s_wait_xcnt 0x0
	v_cndmask_b32_e64 v2, 0, 1, s1
	s_cmp_gt_i32 s2, 27
	s_cbranch_scc0 .LBB86_2968
; %bb.2967:
	s_mov_b32 s4, 0
	global_store_b32 v[0:1], v2, off
.LBB86_2968:
	s_and_not1_b32 vcc_lo, exec_lo, s4
	s_cbranch_vccnz .LBB86_2970
; %bb.2969:
	global_store_b16 v[0:1], v2, off
.LBB86_2970:
	s_mov_b32 s4, 0
.LBB86_2971:
	s_delay_alu instid0(SALU_CYCLE_1)
	s_and_not1_b32 vcc_lo, exec_lo, s4
	s_cbranch_vccnz .LBB86_2979
; %bb.2972:
	s_wait_xcnt 0x0
	v_cndmask_b32_e64 v3, 0, 1.0, s1
	v_mov_b32_e32 v4, 0x80
	s_mov_b32 s4, exec_lo
	s_delay_alu instid0(VALU_DEP_2)
	v_cmpx_gt_u32_e32 0x43800000, v3
	s_cbranch_execz .LBB86_2978
; %bb.2973:
	s_mov_b32 s5, 0
	s_mov_b32 s6, exec_lo
                                        ; implicit-def: $vgpr2
	v_cmpx_lt_u32_e32 0x3bffffff, v3
	s_xor_b32 s6, exec_lo, s6
	s_cbranch_execz .LBB86_3084
; %bb.2974:
	v_bfe_u32 v2, v3, 20, 1
	s_mov_b32 s5, exec_lo
	s_delay_alu instid0(VALU_DEP_1) | instskip(NEXT) | instid1(VALU_DEP_1)
	v_add3_u32 v2, v3, v2, 0x487ffff
                                        ; implicit-def: $vgpr3
	v_lshrrev_b32_e32 v2, 20, v2
	s_and_not1_saveexec_b32 s6, s6
	s_cbranch_execnz .LBB86_3085
.LBB86_2975:
	s_or_b32 exec_lo, exec_lo, s6
	v_mov_b32_e32 v4, 0
	s_and_saveexec_b32 s6, s5
.LBB86_2976:
	v_mov_b32_e32 v4, v2
.LBB86_2977:
	s_or_b32 exec_lo, exec_lo, s6
.LBB86_2978:
	s_delay_alu instid0(SALU_CYCLE_1)
	s_or_b32 exec_lo, exec_lo, s4
	global_store_b8 v[0:1], v4, off
.LBB86_2979:
	s_mov_b32 s4, 0
.LBB86_2980:
	s_delay_alu instid0(SALU_CYCLE_1)
	s_and_b32 vcc_lo, exec_lo, s4
	s_cbranch_vccz .LBB86_3020
; %bb.2981:
	s_cmp_gt_i32 s2, 22
	s_mov_b32 s3, -1
	s_cbranch_scc0 .LBB86_3013
; %bb.2982:
	s_cmp_lt_i32 s2, 24
	s_cbranch_scc1 .LBB86_3002
; %bb.2983:
	s_cmp_gt_i32 s2, 24
	s_cbranch_scc0 .LBB86_2991
; %bb.2984:
	s_wait_xcnt 0x0
	v_cndmask_b32_e64 v3, 0, 1.0, s1
	v_mov_b32_e32 v4, 0x80
	s_mov_b32 s3, exec_lo
	s_delay_alu instid0(VALU_DEP_2)
	v_cmpx_gt_u32_e32 0x47800000, v3
	s_cbranch_execz .LBB86_2990
; %bb.2985:
	s_mov_b32 s4, 0
	s_mov_b32 s5, exec_lo
                                        ; implicit-def: $vgpr2
	v_cmpx_lt_u32_e32 0x37ffffff, v3
	s_xor_b32 s5, exec_lo, s5
	s_cbranch_execz .LBB86_3087
; %bb.2986:
	v_bfe_u32 v2, v3, 21, 1
	s_mov_b32 s4, exec_lo
	s_delay_alu instid0(VALU_DEP_1) | instskip(NEXT) | instid1(VALU_DEP_1)
	v_add3_u32 v2, v3, v2, 0x88fffff
                                        ; implicit-def: $vgpr3
	v_lshrrev_b32_e32 v2, 21, v2
	s_and_not1_saveexec_b32 s5, s5
	s_cbranch_execnz .LBB86_3088
.LBB86_2987:
	s_or_b32 exec_lo, exec_lo, s5
	v_mov_b32_e32 v4, 0
	s_and_saveexec_b32 s5, s4
.LBB86_2988:
	v_mov_b32_e32 v4, v2
.LBB86_2989:
	s_or_b32 exec_lo, exec_lo, s5
.LBB86_2990:
	s_delay_alu instid0(SALU_CYCLE_1)
	s_or_b32 exec_lo, exec_lo, s3
	s_mov_b32 s3, 0
	global_store_b8 v[0:1], v4, off
.LBB86_2991:
	s_and_b32 vcc_lo, exec_lo, s3
	s_cbranch_vccz .LBB86_3001
; %bb.2992:
	s_wait_xcnt 0x0
	v_cndmask_b32_e64 v3, 0, 1.0, s1
	s_mov_b32 s3, exec_lo
                                        ; implicit-def: $vgpr2
	s_delay_alu instid0(VALU_DEP_1)
	v_cmpx_gt_u32_e32 0x43f00000, v3
	s_xor_b32 s3, exec_lo, s3
	s_cbranch_execz .LBB86_2998
; %bb.2993:
	s_mov_b32 s4, exec_lo
                                        ; implicit-def: $vgpr2
	v_cmpx_lt_u32_e32 0x3c7fffff, v3
	s_xor_b32 s4, exec_lo, s4
; %bb.2994:
	v_bfe_u32 v2, v3, 20, 1
	s_delay_alu instid0(VALU_DEP_1) | instskip(NEXT) | instid1(VALU_DEP_1)
	v_add3_u32 v2, v3, v2, 0x407ffff
	v_and_b32_e32 v3, 0xff00000, v2
	v_lshrrev_b32_e32 v2, 20, v2
	s_delay_alu instid0(VALU_DEP_2) | instskip(NEXT) | instid1(VALU_DEP_2)
	v_cmp_ne_u32_e32 vcc_lo, 0x7f00000, v3
                                        ; implicit-def: $vgpr3
	v_cndmask_b32_e32 v2, 0x7e, v2, vcc_lo
; %bb.2995:
	s_and_not1_saveexec_b32 s4, s4
; %bb.2996:
	v_add_f32_e32 v2, 0x46800000, v3
; %bb.2997:
	s_or_b32 exec_lo, exec_lo, s4
                                        ; implicit-def: $vgpr3
.LBB86_2998:
	s_and_not1_saveexec_b32 s3, s3
; %bb.2999:
	v_mov_b32_e32 v2, 0x7f
	v_cmp_lt_u32_e32 vcc_lo, 0x7f800000, v3
	s_delay_alu instid0(VALU_DEP_2)
	v_cndmask_b32_e32 v2, 0x7e, v2, vcc_lo
; %bb.3000:
	s_or_b32 exec_lo, exec_lo, s3
	global_store_b8 v[0:1], v2, off
.LBB86_3001:
	s_mov_b32 s3, 0
.LBB86_3002:
	s_delay_alu instid0(SALU_CYCLE_1)
	s_and_not1_b32 vcc_lo, exec_lo, s3
	s_cbranch_vccnz .LBB86_3012
; %bb.3003:
	s_wait_xcnt 0x0
	v_cndmask_b32_e64 v3, 0, 1.0, s1
	s_mov_b32 s3, exec_lo
                                        ; implicit-def: $vgpr2
	s_delay_alu instid0(VALU_DEP_1)
	v_cmpx_gt_u32_e32 0x47800000, v3
	s_xor_b32 s3, exec_lo, s3
	s_cbranch_execz .LBB86_3009
; %bb.3004:
	s_mov_b32 s4, exec_lo
                                        ; implicit-def: $vgpr2
	v_cmpx_lt_u32_e32 0x387fffff, v3
	s_xor_b32 s4, exec_lo, s4
; %bb.3005:
	v_bfe_u32 v2, v3, 21, 1
	s_delay_alu instid0(VALU_DEP_1) | instskip(NEXT) | instid1(VALU_DEP_1)
	v_add3_u32 v2, v3, v2, 0x80fffff
                                        ; implicit-def: $vgpr3
	v_lshrrev_b32_e32 v2, 21, v2
; %bb.3006:
	s_and_not1_saveexec_b32 s4, s4
; %bb.3007:
	v_add_f32_e32 v2, 0x43000000, v3
; %bb.3008:
	s_or_b32 exec_lo, exec_lo, s4
                                        ; implicit-def: $vgpr3
.LBB86_3009:
	s_and_not1_saveexec_b32 s3, s3
; %bb.3010:
	v_mov_b32_e32 v2, 0x7f
	v_cmp_lt_u32_e32 vcc_lo, 0x7f800000, v3
	s_delay_alu instid0(VALU_DEP_2)
	v_cndmask_b32_e32 v2, 0x7c, v2, vcc_lo
; %bb.3011:
	s_or_b32 exec_lo, exec_lo, s3
	global_store_b8 v[0:1], v2, off
.LBB86_3012:
	s_mov_b32 s3, 0
.LBB86_3013:
	s_delay_alu instid0(SALU_CYCLE_1)
	s_and_not1_b32 vcc_lo, exec_lo, s3
	s_mov_b32 s3, 0
	s_cbranch_vccnz .LBB86_3020
; %bb.3014:
	s_cmp_gt_i32 s2, 14
	s_mov_b32 s3, -1
	s_cbranch_scc0 .LBB86_3018
; %bb.3015:
	s_cmp_eq_u32 s2, 15
	s_mov_b32 s0, -1
	s_cbranch_scc0 .LBB86_3017
; %bb.3016:
	s_wait_xcnt 0x0
	v_cndmask_b32_e64 v2, 0, 1.0, s1
	s_mov_b32 s0, 0
	s_delay_alu instid0(VALU_DEP_1) | instskip(NEXT) | instid1(VALU_DEP_1)
	v_bfe_u32 v3, v2, 16, 1
	v_add3_u32 v2, v2, v3, 0x7fff
	global_store_d16_hi_b16 v[0:1], v2, off
.LBB86_3017:
	s_mov_b32 s3, 0
.LBB86_3018:
	s_delay_alu instid0(SALU_CYCLE_1)
	s_and_b32 vcc_lo, exec_lo, s3
	s_mov_b32 s3, 0
	s_cbranch_vccz .LBB86_3020
; %bb.3019:
	s_cmp_lg_u32 s2, 11
	s_mov_b32 s3, -1
	s_cselect_b32 s0, -1, 0
.LBB86_3020:
	s_delay_alu instid0(SALU_CYCLE_1)
	s_and_b32 vcc_lo, exec_lo, s0
	s_cbranch_vccnz .LBB86_3086
.LBB86_3021:
	s_mov_b32 s0, 0
	s_branch .LBB86_3023
.LBB86_3022:
	s_mov_b32 s0, 0
	s_mov_b32 s3, 0
                                        ; implicit-def: $sgpr1
                                        ; implicit-def: $sgpr19
                                        ; implicit-def: $vgpr0_vgpr1
.LBB86_3023:
	s_and_not1_b32 s2, s18, exec_lo
	s_and_b32 s4, s15, exec_lo
	s_and_b32 s0, s0, exec_lo
	;; [unrolled: 1-line block ×3, first 2 shown]
	s_or_b32 s18, s2, s4
.LBB86_3024:
	s_wait_xcnt 0x0
	s_or_b32 exec_lo, exec_lo, s17
	s_and_saveexec_b32 s2, s18
	s_cbranch_execz .LBB86_3027
; %bb.3025:
	; divergent unreachable
	s_or_b32 exec_lo, exec_lo, s2
	s_and_saveexec_b32 s2, s15
	s_delay_alu instid0(SALU_CYCLE_1)
	s_xor_b32 s2, exec_lo, s2
	s_cbranch_execnz .LBB86_3028
.LBB86_3026:
	s_or_b32 exec_lo, exec_lo, s2
	s_and_saveexec_b32 s2, s0
	s_cbranch_execnz .LBB86_3029
	s_branch .LBB86_3066
.LBB86_3027:
	s_or_b32 exec_lo, exec_lo, s2
	s_and_saveexec_b32 s2, s15
	s_delay_alu instid0(SALU_CYCLE_1)
	s_xor_b32 s2, exec_lo, s2
	s_cbranch_execz .LBB86_3026
.LBB86_3028:
	s_wait_loadcnt 0x0
	v_cndmask_b32_e64 v2, 0, 1, s1
	global_store_b8 v[0:1], v2, off
	s_wait_xcnt 0x0
	s_or_b32 exec_lo, exec_lo, s2
	s_and_saveexec_b32 s2, s0
	s_cbranch_execz .LBB86_3066
.LBB86_3029:
	s_sext_i32_i16 s2, s19
	s_mov_b32 s0, -1
	s_cmp_lt_i32 s2, 5
	s_cbranch_scc1 .LBB86_3050
; %bb.3030:
	s_cmp_lt_i32 s2, 8
	s_cbranch_scc1 .LBB86_3040
; %bb.3031:
	;; [unrolled: 3-line block ×3, first 2 shown]
	s_cmp_gt_i32 s2, 9
	s_cbranch_scc0 .LBB86_3034
; %bb.3033:
	s_wait_loadcnt 0x0
	v_cndmask_b32_e64 v2, 0, 1, s1
	v_mov_b32_e32 v4, 0
	s_mov_b32 s0, 0
	s_delay_alu instid0(VALU_DEP_2) | instskip(NEXT) | instid1(VALU_DEP_2)
	v_cvt_f64_u32_e32 v[2:3], v2
	v_mov_b32_e32 v5, v4
	global_store_b128 v[0:1], v[2:5], off
.LBB86_3034:
	s_and_not1_b32 vcc_lo, exec_lo, s0
	s_cbranch_vccnz .LBB86_3036
; %bb.3035:
	s_wait_loadcnt 0x0
	v_cndmask_b32_e64 v2, 0, 1.0, s1
	v_mov_b32_e32 v3, 0
	global_store_b64 v[0:1], v[2:3], off
.LBB86_3036:
	s_mov_b32 s0, 0
.LBB86_3037:
	s_delay_alu instid0(SALU_CYCLE_1)
	s_and_not1_b32 vcc_lo, exec_lo, s0
	s_cbranch_vccnz .LBB86_3039
; %bb.3038:
	s_wait_loadcnt 0x0
	v_cndmask_b32_e64 v2, 0, 1.0, s1
	s_delay_alu instid0(VALU_DEP_1) | instskip(NEXT) | instid1(VALU_DEP_1)
	v_cvt_f16_f32_e32 v2, v2
	v_and_b32_e32 v2, 0xffff, v2
	global_store_b32 v[0:1], v2, off
.LBB86_3039:
	s_mov_b32 s0, 0
.LBB86_3040:
	s_delay_alu instid0(SALU_CYCLE_1)
	s_and_not1_b32 vcc_lo, exec_lo, s0
	s_cbranch_vccnz .LBB86_3049
; %bb.3041:
	s_sext_i32_i16 s2, s19
	s_mov_b32 s0, -1
	s_cmp_lt_i32 s2, 6
	s_cbranch_scc1 .LBB86_3047
; %bb.3042:
	s_cmp_gt_i32 s2, 6
	s_cbranch_scc0 .LBB86_3044
; %bb.3043:
	s_wait_loadcnt 0x0
	v_cndmask_b32_e64 v2, 0, 1, s1
	s_mov_b32 s0, 0
	s_delay_alu instid0(VALU_DEP_1)
	v_cvt_f64_u32_e32 v[2:3], v2
	global_store_b64 v[0:1], v[2:3], off
.LBB86_3044:
	s_and_not1_b32 vcc_lo, exec_lo, s0
	s_cbranch_vccnz .LBB86_3046
; %bb.3045:
	s_wait_loadcnt 0x0
	v_cndmask_b32_e64 v2, 0, 1.0, s1
	global_store_b32 v[0:1], v2, off
.LBB86_3046:
	s_mov_b32 s0, 0
.LBB86_3047:
	s_delay_alu instid0(SALU_CYCLE_1)
	s_and_not1_b32 vcc_lo, exec_lo, s0
	s_cbranch_vccnz .LBB86_3049
; %bb.3048:
	s_wait_loadcnt 0x0
	v_cndmask_b32_e64 v2, 0, 1.0, s1
	s_delay_alu instid0(VALU_DEP_1)
	v_cvt_f16_f32_e32 v2, v2
	global_store_b16 v[0:1], v2, off
.LBB86_3049:
	s_mov_b32 s0, 0
.LBB86_3050:
	s_delay_alu instid0(SALU_CYCLE_1)
	s_and_not1_b32 vcc_lo, exec_lo, s0
	s_cbranch_vccnz .LBB86_3066
; %bb.3051:
	s_sext_i32_i16 s2, s19
	s_mov_b32 s0, -1
	s_cmp_lt_i32 s2, 2
	s_cbranch_scc1 .LBB86_3061
; %bb.3052:
	s_cmp_lt_i32 s2, 3
	s_cbranch_scc1 .LBB86_3058
; %bb.3053:
	s_cmp_gt_i32 s2, 3
	s_cbranch_scc0 .LBB86_3055
; %bb.3054:
	s_mov_b32 s0, 0
	s_wait_loadcnt 0x0
	v_cndmask_b32_e64 v2, 0, 1, s1
	v_mov_b32_e32 v3, s0
	global_store_b64 v[0:1], v[2:3], off
.LBB86_3055:
	s_and_not1_b32 vcc_lo, exec_lo, s0
	s_cbranch_vccnz .LBB86_3057
; %bb.3056:
	s_wait_loadcnt 0x0
	v_cndmask_b32_e64 v2, 0, 1, s1
	global_store_b32 v[0:1], v2, off
.LBB86_3057:
	s_mov_b32 s0, 0
.LBB86_3058:
	s_delay_alu instid0(SALU_CYCLE_1)
	s_and_not1_b32 vcc_lo, exec_lo, s0
	s_cbranch_vccnz .LBB86_3060
; %bb.3059:
	s_wait_loadcnt 0x0
	v_cndmask_b32_e64 v2, 0, 1, s1
	global_store_b16 v[0:1], v2, off
.LBB86_3060:
	s_mov_b32 s0, 0
.LBB86_3061:
	s_delay_alu instid0(SALU_CYCLE_1)
	s_and_not1_b32 vcc_lo, exec_lo, s0
	s_cbranch_vccnz .LBB86_3066
; %bb.3062:
	s_wait_loadcnt 0x0
	v_cndmask_b32_e64 v2, 0, 1, s1
	s_sext_i32_i16 s0, s19
	s_delay_alu instid0(SALU_CYCLE_1)
	s_cmp_gt_i32 s0, 0
	s_mov_b32 s0, -1
	s_cbranch_scc0 .LBB86_3064
; %bb.3063:
	s_mov_b32 s0, 0
	global_store_b8 v[0:1], v2, off
.LBB86_3064:
	s_and_not1_b32 vcc_lo, exec_lo, s0
	s_cbranch_vccnz .LBB86_3066
; %bb.3065:
	global_store_b8 v[0:1], v2, off
	s_endpgm
.LBB86_3066:
	s_endpgm
.LBB86_3067:
	s_mov_b32 s3, 0
	s_mov_b32 s0, -1
	s_branch .LBB86_3023
.LBB86_3068:
	s_or_b32 s15, s15, exec_lo
	s_trap 2
	s_cbranch_execz .LBB86_2538
	s_branch .LBB86_2539
.LBB86_3069:
	s_and_not1_saveexec_b32 s10, s10
	s_cbranch_execz .LBB86_2618
.LBB86_3070:
	v_add_f32_e32 v2, 0x46000000, v3
	s_and_not1_b32 s9, s9, exec_lo
	s_delay_alu instid0(VALU_DEP_1) | instskip(NEXT) | instid1(VALU_DEP_1)
	v_and_b32_e32 v2, 0xff, v2
	v_cmp_ne_u32_e32 vcc_lo, 0, v2
	s_and_b32 s11, vcc_lo, exec_lo
	s_delay_alu instid0(SALU_CYCLE_1)
	s_or_b32 s9, s9, s11
	s_or_b32 exec_lo, exec_lo, s10
	v_mov_b32_e32 v17, 0
	s_and_saveexec_b32 s10, s9
	s_cbranch_execnz .LBB86_2619
	s_branch .LBB86_2620
.LBB86_3071:
	s_or_b32 s15, s15, exec_lo
	s_trap 2
	s_cbranch_execz .LBB86_2666
	s_branch .LBB86_2667
.LBB86_3072:
	s_and_not1_saveexec_b32 s9, s9
	s_cbranch_execz .LBB86_2631
.LBB86_3073:
	v_add_f32_e32 v2, 0x42800000, v3
	s_and_not1_b32 s7, s7, exec_lo
	s_delay_alu instid0(VALU_DEP_1) | instskip(NEXT) | instid1(VALU_DEP_1)
	v_and_b32_e32 v2, 0xff, v2
	v_cmp_ne_u32_e32 vcc_lo, 0, v2
	s_and_b32 s10, vcc_lo, exec_lo
	s_delay_alu instid0(SALU_CYCLE_1)
	s_or_b32 s7, s7, s10
	s_or_b32 exec_lo, exec_lo, s9
	v_mov_b32_e32 v17, 0
	s_and_saveexec_b32 s9, s7
	s_cbranch_execnz .LBB86_2632
	s_branch .LBB86_2633
.LBB86_3074:
	s_and_not1_saveexec_b32 s10, s10
	s_cbranch_execz .LBB86_2736
.LBB86_3075:
	v_add_f32_e32 v1, 0x46000000, v4
	s_and_not1_b32 s9, s9, exec_lo
	s_delay_alu instid0(VALU_DEP_1) | instskip(NEXT) | instid1(VALU_DEP_1)
	v_and_b32_e32 v1, 0xff, v1
	v_cmp_ne_u32_e32 vcc_lo, 0, v1
	s_and_b32 s11, vcc_lo, exec_lo
	s_delay_alu instid0(SALU_CYCLE_1)
	s_or_b32 s9, s9, s11
	s_or_b32 exec_lo, exec_lo, s10
	v_mov_b32_e32 v5, 0
	s_and_saveexec_b32 s10, s9
	s_cbranch_execnz .LBB86_2737
	s_branch .LBB86_2738
.LBB86_3076:
	s_or_b32 s15, s15, exec_lo
	s_trap 2
	s_cbranch_execz .LBB86_2784
	s_branch .LBB86_2785
.LBB86_3077:
	s_and_not1_saveexec_b32 s9, s9
	s_cbranch_execz .LBB86_2749
.LBB86_3078:
	v_add_f32_e32 v1, 0x42800000, v4
	s_and_not1_b32 s8, s8, exec_lo
	s_delay_alu instid0(VALU_DEP_1) | instskip(NEXT) | instid1(VALU_DEP_1)
	v_and_b32_e32 v1, 0xff, v1
	v_cmp_ne_u32_e32 vcc_lo, 0, v1
	s_and_b32 s10, vcc_lo, exec_lo
	s_delay_alu instid0(SALU_CYCLE_1)
	s_or_b32 s8, s8, s10
	s_or_b32 exec_lo, exec_lo, s9
	v_mov_b32_e32 v5, 0
	s_and_saveexec_b32 s9, s8
	s_cbranch_execnz .LBB86_2750
	s_branch .LBB86_2751
.LBB86_3079:
	s_and_not1_saveexec_b32 s10, s10
	s_cbranch_execz .LBB86_2855
.LBB86_3080:
	v_add_f32_e32 v1, 0x46000000, v4
	s_and_not1_b32 s9, s9, exec_lo
	s_delay_alu instid0(VALU_DEP_1) | instskip(NEXT) | instid1(VALU_DEP_1)
	v_and_b32_e32 v1, 0xff, v1
	v_cmp_ne_u32_e32 vcc_lo, 0, v1
	s_and_b32 s11, vcc_lo, exec_lo
	s_delay_alu instid0(SALU_CYCLE_1)
	s_or_b32 s9, s9, s11
	s_or_b32 exec_lo, exec_lo, s10
	v_mov_b32_e32 v5, 0
	s_and_saveexec_b32 s10, s9
	s_cbranch_execnz .LBB86_2856
	s_branch .LBB86_2857
.LBB86_3081:
	s_or_b32 s15, s15, exec_lo
	s_trap 2
	s_cbranch_execz .LBB86_2903
	s_branch .LBB86_2904
.LBB86_3082:
	s_and_not1_saveexec_b32 s9, s9
	s_cbranch_execz .LBB86_2868
.LBB86_3083:
	v_add_f32_e32 v1, 0x42800000, v4
	s_and_not1_b32 s8, s8, exec_lo
	s_delay_alu instid0(VALU_DEP_1) | instskip(NEXT) | instid1(VALU_DEP_1)
	v_and_b32_e32 v1, 0xff, v1
	v_cmp_ne_u32_e32 vcc_lo, 0, v1
	s_and_b32 s10, vcc_lo, exec_lo
	s_delay_alu instid0(SALU_CYCLE_1)
	s_or_b32 s8, s8, s10
	s_or_b32 exec_lo, exec_lo, s9
	v_mov_b32_e32 v5, 0
	s_and_saveexec_b32 s9, s8
	s_cbranch_execnz .LBB86_2869
	s_branch .LBB86_2870
.LBB86_3084:
	s_and_not1_saveexec_b32 s6, s6
	s_cbranch_execz .LBB86_2975
.LBB86_3085:
	v_add_f32_e32 v2, 0x46000000, v3
	s_and_not1_b32 s5, s5, exec_lo
	s_delay_alu instid0(VALU_DEP_1) | instskip(NEXT) | instid1(VALU_DEP_1)
	v_and_b32_e32 v2, 0xff, v2
	v_cmp_ne_u32_e32 vcc_lo, 0, v2
	s_and_b32 s7, vcc_lo, exec_lo
	s_delay_alu instid0(SALU_CYCLE_1)
	s_or_b32 s5, s5, s7
	s_or_b32 exec_lo, exec_lo, s6
	v_mov_b32_e32 v4, 0
	s_and_saveexec_b32 s6, s5
	s_cbranch_execnz .LBB86_2976
	s_branch .LBB86_2977
.LBB86_3086:
	s_mov_b32 s3, 0
	s_or_b32 s15, s15, exec_lo
	s_trap 2
	s_branch .LBB86_3021
.LBB86_3087:
	s_and_not1_saveexec_b32 s5, s5
	s_cbranch_execz .LBB86_2987
.LBB86_3088:
	v_add_f32_e32 v2, 0x42800000, v3
	s_and_not1_b32 s4, s4, exec_lo
	s_delay_alu instid0(VALU_DEP_1) | instskip(NEXT) | instid1(VALU_DEP_1)
	v_and_b32_e32 v2, 0xff, v2
	v_cmp_ne_u32_e32 vcc_lo, 0, v2
	s_and_b32 s6, vcc_lo, exec_lo
	s_delay_alu instid0(SALU_CYCLE_1)
	s_or_b32 s4, s4, s6
	s_or_b32 exec_lo, exec_lo, s5
	v_mov_b32_e32 v4, 0
	s_and_saveexec_b32 s5, s4
	s_cbranch_execnz .LBB86_2988
	s_branch .LBB86_2989
	.section	.rodata,"a",@progbits
	.p2align	6, 0x0
	.amdhsa_kernel _ZN2at6native32elementwise_kernel_manual_unrollILi128ELi4EZNS0_15gpu_kernel_implINS0_13BinaryFunctorIddbNS0_12_GLOBAL__N_116CompareEqFunctorIdEEEEEEvRNS_18TensorIteratorBaseERKT_EUlibE_EEviT1_
		.amdhsa_group_segment_fixed_size 0
		.amdhsa_private_segment_fixed_size 0
		.amdhsa_kernarg_size 56
		.amdhsa_user_sgpr_count 2
		.amdhsa_user_sgpr_dispatch_ptr 0
		.amdhsa_user_sgpr_queue_ptr 0
		.amdhsa_user_sgpr_kernarg_segment_ptr 1
		.amdhsa_user_sgpr_dispatch_id 0
		.amdhsa_user_sgpr_kernarg_preload_length 0
		.amdhsa_user_sgpr_kernarg_preload_offset 0
		.amdhsa_user_sgpr_private_segment_size 0
		.amdhsa_wavefront_size32 1
		.amdhsa_uses_dynamic_stack 0
		.amdhsa_enable_private_segment 0
		.amdhsa_system_sgpr_workgroup_id_x 1
		.amdhsa_system_sgpr_workgroup_id_y 0
		.amdhsa_system_sgpr_workgroup_id_z 0
		.amdhsa_system_sgpr_workgroup_info 0
		.amdhsa_system_vgpr_workitem_id 0
		.amdhsa_next_free_vgpr 23
		.amdhsa_next_free_sgpr 37
		.amdhsa_named_barrier_count 0
		.amdhsa_reserve_vcc 1
		.amdhsa_float_round_mode_32 0
		.amdhsa_float_round_mode_16_64 0
		.amdhsa_float_denorm_mode_32 3
		.amdhsa_float_denorm_mode_16_64 3
		.amdhsa_fp16_overflow 0
		.amdhsa_memory_ordered 1
		.amdhsa_forward_progress 1
		.amdhsa_inst_pref_size 255
		.amdhsa_round_robin_scheduling 0
		.amdhsa_exception_fp_ieee_invalid_op 0
		.amdhsa_exception_fp_denorm_src 0
		.amdhsa_exception_fp_ieee_div_zero 0
		.amdhsa_exception_fp_ieee_overflow 0
		.amdhsa_exception_fp_ieee_underflow 0
		.amdhsa_exception_fp_ieee_inexact 0
		.amdhsa_exception_int_div_zero 0
	.end_amdhsa_kernel
	.section	.text._ZN2at6native32elementwise_kernel_manual_unrollILi128ELi4EZNS0_15gpu_kernel_implINS0_13BinaryFunctorIddbNS0_12_GLOBAL__N_116CompareEqFunctorIdEEEEEEvRNS_18TensorIteratorBaseERKT_EUlibE_EEviT1_,"axG",@progbits,_ZN2at6native32elementwise_kernel_manual_unrollILi128ELi4EZNS0_15gpu_kernel_implINS0_13BinaryFunctorIddbNS0_12_GLOBAL__N_116CompareEqFunctorIdEEEEEEvRNS_18TensorIteratorBaseERKT_EUlibE_EEviT1_,comdat
.Lfunc_end86:
	.size	_ZN2at6native32elementwise_kernel_manual_unrollILi128ELi4EZNS0_15gpu_kernel_implINS0_13BinaryFunctorIddbNS0_12_GLOBAL__N_116CompareEqFunctorIdEEEEEEvRNS_18TensorIteratorBaseERKT_EUlibE_EEviT1_, .Lfunc_end86-_ZN2at6native32elementwise_kernel_manual_unrollILi128ELi4EZNS0_15gpu_kernel_implINS0_13BinaryFunctorIddbNS0_12_GLOBAL__N_116CompareEqFunctorIdEEEEEEvRNS_18TensorIteratorBaseERKT_EUlibE_EEviT1_
                                        ; -- End function
	.set _ZN2at6native32elementwise_kernel_manual_unrollILi128ELi4EZNS0_15gpu_kernel_implINS0_13BinaryFunctorIddbNS0_12_GLOBAL__N_116CompareEqFunctorIdEEEEEEvRNS_18TensorIteratorBaseERKT_EUlibE_EEviT1_.num_vgpr, 23
	.set _ZN2at6native32elementwise_kernel_manual_unrollILi128ELi4EZNS0_15gpu_kernel_implINS0_13BinaryFunctorIddbNS0_12_GLOBAL__N_116CompareEqFunctorIdEEEEEEvRNS_18TensorIteratorBaseERKT_EUlibE_EEviT1_.num_agpr, 0
	.set _ZN2at6native32elementwise_kernel_manual_unrollILi128ELi4EZNS0_15gpu_kernel_implINS0_13BinaryFunctorIddbNS0_12_GLOBAL__N_116CompareEqFunctorIdEEEEEEvRNS_18TensorIteratorBaseERKT_EUlibE_EEviT1_.numbered_sgpr, 37
	.set _ZN2at6native32elementwise_kernel_manual_unrollILi128ELi4EZNS0_15gpu_kernel_implINS0_13BinaryFunctorIddbNS0_12_GLOBAL__N_116CompareEqFunctorIdEEEEEEvRNS_18TensorIteratorBaseERKT_EUlibE_EEviT1_.num_named_barrier, 0
	.set _ZN2at6native32elementwise_kernel_manual_unrollILi128ELi4EZNS0_15gpu_kernel_implINS0_13BinaryFunctorIddbNS0_12_GLOBAL__N_116CompareEqFunctorIdEEEEEEvRNS_18TensorIteratorBaseERKT_EUlibE_EEviT1_.private_seg_size, 0
	.set _ZN2at6native32elementwise_kernel_manual_unrollILi128ELi4EZNS0_15gpu_kernel_implINS0_13BinaryFunctorIddbNS0_12_GLOBAL__N_116CompareEqFunctorIdEEEEEEvRNS_18TensorIteratorBaseERKT_EUlibE_EEviT1_.uses_vcc, 1
	.set _ZN2at6native32elementwise_kernel_manual_unrollILi128ELi4EZNS0_15gpu_kernel_implINS0_13BinaryFunctorIddbNS0_12_GLOBAL__N_116CompareEqFunctorIdEEEEEEvRNS_18TensorIteratorBaseERKT_EUlibE_EEviT1_.uses_flat_scratch, 0
	.set _ZN2at6native32elementwise_kernel_manual_unrollILi128ELi4EZNS0_15gpu_kernel_implINS0_13BinaryFunctorIddbNS0_12_GLOBAL__N_116CompareEqFunctorIdEEEEEEvRNS_18TensorIteratorBaseERKT_EUlibE_EEviT1_.has_dyn_sized_stack, 0
	.set _ZN2at6native32elementwise_kernel_manual_unrollILi128ELi4EZNS0_15gpu_kernel_implINS0_13BinaryFunctorIddbNS0_12_GLOBAL__N_116CompareEqFunctorIdEEEEEEvRNS_18TensorIteratorBaseERKT_EUlibE_EEviT1_.has_recursion, 0
	.set _ZN2at6native32elementwise_kernel_manual_unrollILi128ELi4EZNS0_15gpu_kernel_implINS0_13BinaryFunctorIddbNS0_12_GLOBAL__N_116CompareEqFunctorIdEEEEEEvRNS_18TensorIteratorBaseERKT_EUlibE_EEviT1_.has_indirect_call, 0
	.section	.AMDGPU.csdata,"",@progbits
; Kernel info:
; codeLenInByte = 55324
; TotalNumSgprs: 39
; NumVgprs: 23
; ScratchSize: 0
; MemoryBound: 1
; FloatMode: 240
; IeeeMode: 1
; LDSByteSize: 0 bytes/workgroup (compile time only)
; SGPRBlocks: 0
; VGPRBlocks: 1
; NumSGPRsForWavesPerEU: 39
; NumVGPRsForWavesPerEU: 23
; NamedBarCnt: 0
; Occupancy: 16
; WaveLimiterHint : 0
; COMPUTE_PGM_RSRC2:SCRATCH_EN: 0
; COMPUTE_PGM_RSRC2:USER_SGPR: 2
; COMPUTE_PGM_RSRC2:TRAP_HANDLER: 0
; COMPUTE_PGM_RSRC2:TGID_X_EN: 1
; COMPUTE_PGM_RSRC2:TGID_Y_EN: 0
; COMPUTE_PGM_RSRC2:TGID_Z_EN: 0
; COMPUTE_PGM_RSRC2:TIDIG_COMP_CNT: 0
	.section	.text._ZN2at6native32elementwise_kernel_manual_unrollILi128ELi4EZNS0_15gpu_kernel_implINS0_13BinaryFunctorIddbNS0_12_GLOBAL__N_116CompareEqFunctorIdEEEEEEvRNS_18TensorIteratorBaseERKT_EUlibE0_EEviT1_,"axG",@progbits,_ZN2at6native32elementwise_kernel_manual_unrollILi128ELi4EZNS0_15gpu_kernel_implINS0_13BinaryFunctorIddbNS0_12_GLOBAL__N_116CompareEqFunctorIdEEEEEEvRNS_18TensorIteratorBaseERKT_EUlibE0_EEviT1_,comdat
	.globl	_ZN2at6native32elementwise_kernel_manual_unrollILi128ELi4EZNS0_15gpu_kernel_implINS0_13BinaryFunctorIddbNS0_12_GLOBAL__N_116CompareEqFunctorIdEEEEEEvRNS_18TensorIteratorBaseERKT_EUlibE0_EEviT1_ ; -- Begin function _ZN2at6native32elementwise_kernel_manual_unrollILi128ELi4EZNS0_15gpu_kernel_implINS0_13BinaryFunctorIddbNS0_12_GLOBAL__N_116CompareEqFunctorIdEEEEEEvRNS_18TensorIteratorBaseERKT_EUlibE0_EEviT1_
	.p2align	8
	.type	_ZN2at6native32elementwise_kernel_manual_unrollILi128ELi4EZNS0_15gpu_kernel_implINS0_13BinaryFunctorIddbNS0_12_GLOBAL__N_116CompareEqFunctorIdEEEEEEvRNS_18TensorIteratorBaseERKT_EUlibE0_EEviT1_,@function
_ZN2at6native32elementwise_kernel_manual_unrollILi128ELi4EZNS0_15gpu_kernel_implINS0_13BinaryFunctorIddbNS0_12_GLOBAL__N_116CompareEqFunctorIdEEEEEEvRNS_18TensorIteratorBaseERKT_EUlibE0_EEviT1_: ; @_ZN2at6native32elementwise_kernel_manual_unrollILi128ELi4EZNS0_15gpu_kernel_implINS0_13BinaryFunctorIddbNS0_12_GLOBAL__N_116CompareEqFunctorIdEEEEEEvRNS_18TensorIteratorBaseERKT_EUlibE0_EEviT1_
; %bb.0:
	s_clause 0x1
	s_load_b32 s30, s[0:1], 0x8
	s_load_b32 s39, s[0:1], 0x0
	s_bfe_u32 s2, ttmp6, 0x4000c
	s_and_b32 s3, ttmp6, 15
	s_add_co_i32 s2, s2, 1
	s_getreg_b32 s4, hwreg(HW_REG_IB_STS2, 6, 4)
	s_mul_i32 s2, ttmp9, s2
	s_mov_b32 s33, 0
	s_add_co_i32 s3, s3, s2
	s_cmp_eq_u32 s4, 0
	s_mov_b32 s29, -1
	s_cselect_b32 s2, ttmp9, s3
	s_add_nc_u64 s[20:21], s[0:1], 8
	v_lshl_or_b32 v0, s2, 9, v0
	s_mov_b32 s3, 0
	s_wait_xcnt 0x0
	s_mov_b32 s0, exec_lo
	s_delay_alu instid0(VALU_DEP_1) | instskip(SKIP_2) | instid1(SALU_CYCLE_1)
	v_or_b32_e32 v1, 0x180, v0
	s_wait_kmcnt 0x0
	s_add_co_i32 s31, s30, -1
	s_cmp_gt_u32 s31, 1
	s_cselect_b32 s34, -1, 0
	v_cmpx_le_i32_e64 s39, v1
	s_xor_b32 s35, exec_lo, s0
	s_cbranch_execz .LBB87_1593
; %bb.1:
	s_clause 0x4
	s_load_b128 s[12:15], s[20:21], 0x4
	s_load_b256 s[4:11], s[20:21], 0x188
	s_load_b64 s[2:3], s[20:21], 0x14
	s_load_b128 s[16:19], s[20:21], 0xc4
	s_load_b64 s[24:25], s[20:21], 0xd4
	s_cmp_lg_u32 s30, 0
	s_mov_b32 s23, 0
	s_cselect_b32 s40, -1, 0
	s_min_u32 s38, s31, 15
	s_cmp_gt_u32 s30, 1
	s_mov_b32 s27, s23
	s_cselect_b32 s37, -1, 0
	s_mov_b32 s42, s23
	s_mov_b32 s41, s23
	s_mov_b32 s43, exec_lo
	s_wait_kmcnt 0x0
	s_mov_b32 s22, s13
	s_lshr_b32 s36, s11, 8
	s_lshr_b32 s13, s11, 16
	s_cmp_eq_u32 s10, 0
	s_mov_b32 s26, s2
	s_cselect_b32 s0, -1, 0
	s_mov_b32 s10, s23
	v_cmpx_gt_i32_e64 s39, v0
	s_cbranch_execz .LBB87_393
; %bb.2:
	s_and_not1_b32 vcc_lo, exec_lo, s34
	s_cbranch_vccnz .LBB87_8
; %bb.3:
	s_and_not1_b32 vcc_lo, exec_lo, s40
	s_cbranch_vccnz .LBB87_9
; %bb.4:
	v_dual_mov_b32 v2, 0 :: v_dual_mov_b32 v1, v0
	v_dual_mov_b32 v4, 0 :: v_dual_mov_b32 v6, 0
	s_add_co_i32 s1, s38, 1
	s_mov_b64 s[28:29], 0xffffffffffffffe8
	s_and_b32 s1, s1, 30
	s_add_nc_u64 s[28:29], s[20:21], s[28:29]
.LBB87_5:                               ; =>This Inner Loop Header: Depth=1
	s_clause 0x1
	s_load_b128 s[44:47], s[28:29], 0x1c
	s_load_b64 s[52:53], s[28:29], 0x2c
	s_add_co_i32 s1, s1, -2
	s_delay_alu instid0(SALU_CYCLE_1) | instskip(SKIP_2) | instid1(VALU_DEP_1)
	s_cmp_lg_u32 s1, 0
	s_wait_kmcnt 0x0
	v_mul_hi_u32 v3, s45, v1
	v_add_nc_u32_e32 v3, v1, v3
	s_delay_alu instid0(VALU_DEP_1) | instskip(NEXT) | instid1(VALU_DEP_1)
	v_lshrrev_b32_e32 v3, s46, v3
	v_mul_hi_u32 v5, s52, v3
	v_mul_lo_u32 v7, v3, s44
	s_clause 0x1
	s_load_b128 s[48:51], s[28:29], 0xdc
	s_load_b64 s[44:45], s[28:29], 0xec
	s_wait_xcnt 0x0
	s_add_nc_u64 s[28:29], s[28:29], 24
	s_delay_alu instid0(VALU_DEP_1) | instskip(NEXT) | instid1(VALU_DEP_1)
	v_dual_add_nc_u32 v5, v3, v5 :: v_dual_sub_nc_u32 v7, v1, v7
	v_lshrrev_b32_e32 v1, s53, v5
	s_wait_kmcnt 0x0
	s_delay_alu instid0(VALU_DEP_2) | instskip(NEXT) | instid1(VALU_DEP_2)
	v_mad_u32 v2, v7, s48, v2
	v_mul_lo_u32 v5, v1, s47
	v_mad_u32 v6, v7, s50, v6
	v_mad_u32 v4, v7, s49, v4
	s_delay_alu instid0(VALU_DEP_3) | instskip(NEXT) | instid1(VALU_DEP_1)
	v_sub_nc_u32_e32 v3, v3, v5
	v_mad_u32 v2, v3, s51, v2
	s_delay_alu instid0(VALU_DEP_4) | instskip(NEXT) | instid1(VALU_DEP_4)
	v_mad_u32 v6, v3, s45, v6
	v_mad_u32 v4, v3, s44, v4
	s_cbranch_scc1 .LBB87_5
; %bb.6:
	s_bitcmp1_b32 s38, 0
	s_cselect_b32 s1, -1, 0
	s_delay_alu instid0(SALU_CYCLE_1)
	s_and_b32 vcc_lo, exec_lo, s1
	s_cbranch_vccnz .LBB87_10
; %bb.7:
	s_clause 0x1
	s_load_b96 s[44:46], s[28:29], 0x1c
	s_load_b96 s[48:50], s[28:29], 0xdc
	s_wait_kmcnt 0x0
	v_mul_hi_u32 v3, s45, v1
	s_delay_alu instid0(VALU_DEP_1) | instskip(NEXT) | instid1(VALU_DEP_1)
	v_add_nc_u32_e32 v3, v1, v3
	v_lshrrev_b32_e32 v3, s46, v3
	s_delay_alu instid0(VALU_DEP_1) | instskip(NEXT) | instid1(VALU_DEP_1)
	v_mul_lo_u32 v3, v3, s44
	v_sub_nc_u32_e32 v1, v1, v3
	s_delay_alu instid0(VALU_DEP_1)
	v_mad_u32 v2, v1, s48, v2
	v_mad_u32 v4, v1, s49, v4
	;; [unrolled: 1-line block ×3, first 2 shown]
	s_cbranch_execz .LBB87_11
	s_branch .LBB87_13
.LBB87_8:
                                        ; implicit-def: $vgpr6
                                        ; implicit-def: $vgpr4
                                        ; implicit-def: $vgpr2
	s_branch .LBB87_11
.LBB87_9:
	v_dual_mov_b32 v6, 0 :: v_dual_mov_b32 v4, 0
	v_mov_b32_e32 v2, 0
.LBB87_10:
	s_cbranch_execnz .LBB87_13
.LBB87_11:
	v_mov_b32_e32 v1, 0
	s_and_not1_b32 vcc_lo, exec_lo, s37
	s_delay_alu instid0(VALU_DEP_1) | instskip(NEXT) | instid1(VALU_DEP_1)
	v_mul_u64_e32 v[2:3], s[22:23], v[0:1]
	v_add_nc_u32_e32 v2, v0, v3
	s_delay_alu instid0(VALU_DEP_1) | instskip(NEXT) | instid1(VALU_DEP_1)
	v_lshrrev_b32_e32 v8, s14, v2
	v_mul_lo_u32 v2, v8, s12
	s_delay_alu instid0(VALU_DEP_1) | instskip(NEXT) | instid1(VALU_DEP_1)
	v_sub_nc_u32_e32 v3, v0, v2
	v_mul_lo_u32 v2, v3, s16
	v_mul_lo_u32 v6, v3, s18
	;; [unrolled: 1-line block ×3, first 2 shown]
	s_cbranch_vccnz .LBB87_13
; %bb.12:
	v_mov_b32_e32 v9, v1
	s_delay_alu instid0(VALU_DEP_1) | instskip(NEXT) | instid1(VALU_DEP_1)
	v_mul_u64_e32 v[10:11], s[26:27], v[8:9]
	v_add_nc_u32_e32 v1, v8, v11
	s_delay_alu instid0(VALU_DEP_1) | instskip(NEXT) | instid1(VALU_DEP_1)
	v_lshrrev_b32_e32 v1, s3, v1
	v_mul_lo_u32 v1, v1, s15
	s_delay_alu instid0(VALU_DEP_1) | instskip(NEXT) | instid1(VALU_DEP_1)
	v_sub_nc_u32_e32 v1, v8, v1
	v_mad_u32 v2, v1, s19, v2
	v_mad_u32 v4, v1, s24, v4
	;; [unrolled: 1-line block ×3, first 2 shown]
.LBB87_13:
	v_mov_b32_e32 v5, 0
	s_and_b32 s1, s36, 0xff
	s_delay_alu instid0(SALU_CYCLE_1) | instskip(NEXT) | instid1(VALU_DEP_1)
	s_cmp_lt_i32 s1, 11
	v_add_nc_u64_e32 v[8:9], s[6:7], v[4:5]
	s_cbranch_scc1 .LBB87_20
; %bb.14:
	s_and_b32 s2, 0xffff, s1
	s_delay_alu instid0(SALU_CYCLE_1)
	s_cmp_gt_i32 s2, 25
	s_cbranch_scc0 .LBB87_29
; %bb.15:
	s_cmp_gt_i32 s2, 28
	s_cbranch_scc0 .LBB87_39
; %bb.16:
	;; [unrolled: 3-line block ×4, first 2 shown]
	s_cmp_eq_u32 s2, 46
	s_mov_b32 s29, 0
	s_cbranch_scc0 .LBB87_48
; %bb.19:
	global_load_b32 v1, v[8:9], off
	s_mov_b32 s10, -1
	s_mov_b32 s28, 0
	s_wait_loadcnt 0x0
	v_lshlrev_b32_e32 v1, 16, v1
	s_delay_alu instid0(VALU_DEP_1)
	v_cvt_f64_f32_e32 v[4:5], v1
	s_branch .LBB87_50
.LBB87_20:
	s_mov_b32 s28, 0
	s_mov_b32 s10, 0
                                        ; implicit-def: $vgpr4_vgpr5
	s_cbranch_execnz .LBB87_116
.LBB87_21:
	s_and_not1_b32 vcc_lo, exec_lo, s10
	s_cbranch_vccnz .LBB87_163
.LBB87_22:
	v_mov_b32_e32 v7, 0
	s_and_b32 s1, s13, 0xff
	s_delay_alu instid0(SALU_CYCLE_1) | instskip(NEXT) | instid1(VALU_DEP_1)
	s_cmp_lt_i32 s1, 11
	v_add_nc_u64_e32 v[6:7], s[8:9], v[6:7]
	s_cbranch_scc1 .LBB87_30
; %bb.23:
	s_and_b32 s2, 0xffff, s1
	s_delay_alu instid0(SALU_CYCLE_1)
	s_cmp_gt_i32 s2, 25
	s_cbranch_scc0 .LBB87_40
; %bb.24:
	s_cmp_gt_i32 s2, 28
	s_cbranch_scc0 .LBB87_43
; %bb.25:
	;; [unrolled: 3-line block ×4, first 2 shown]
	s_cmp_eq_u32 s2, 46
	s_mov_b32 s41, 0
	s_cbranch_scc0 .LBB87_164
; %bb.28:
	global_load_b32 v1, v[6:7], off
	s_mov_b32 s10, -1
	s_mov_b32 s29, 0
	s_wait_loadcnt 0x0
	v_lshlrev_b32_e32 v1, 16, v1
	s_delay_alu instid0(VALU_DEP_1)
	v_cvt_f64_f32_e32 v[8:9], v1
	s_branch .LBB87_166
.LBB87_29:
	s_mov_b32 s28, 0
	s_mov_b32 s10, 0
                                        ; implicit-def: $vgpr4_vgpr5
	s_cbranch_execnz .LBB87_81
	s_branch .LBB87_115
.LBB87_30:
	s_mov_b32 s29, 0
	s_mov_b32 s10, 0
                                        ; implicit-def: $vgpr8_vgpr9
	s_cbranch_execnz .LBB87_342
.LBB87_31:
	s_and_not1_b32 vcc_lo, exec_lo, s10
	s_cbranch_vccnz .LBB87_390
.LBB87_32:
	s_wait_loadcnt 0x0
	s_delay_alu instid0(VALU_DEP_1) | instskip(SKIP_1) | instid1(SALU_CYCLE_1)
	v_cmp_eq_f64_e32 vcc_lo, v[4:5], v[8:9]
	s_and_b32 s10, s11, 0xff
	s_cmp_lt_i32 s10, 11
	v_cndmask_b32_e64 v1, 0, 1, vcc_lo
	v_cmp_neq_f64_e32 vcc_lo, v[4:5], v[8:9]
	v_cndmask_b32_e64 v3, 0, 1, vcc_lo
	s_delay_alu instid0(VALU_DEP_1) | instskip(NEXT) | instid1(VALU_DEP_1)
	v_dual_cndmask_b32 v1, v3, v1, s0 :: v_dual_mov_b32 v3, 0
	v_and_b32_e32 v1, 1, v1
	s_delay_alu instid0(VALU_DEP_2) | instskip(NEXT) | instid1(VALU_DEP_2)
	v_add_nc_u64_e32 v[2:3], s[4:5], v[2:3]
	v_cmp_eq_u32_e64 s1, 1, v1
	s_cbranch_scc1 .LBB87_41
; %bb.33:
	s_and_b32 s41, 0xffff, s10
	s_delay_alu instid0(SALU_CYCLE_1)
	s_cmp_gt_i32 s41, 25
	s_cbranch_scc0 .LBB87_44
; %bb.34:
	s_cmp_gt_i32 s41, 28
	s_cbranch_scc0 .LBB87_47
; %bb.35:
	;; [unrolled: 3-line block ×4, first 2 shown]
	s_mov_b32 s44, 0
	s_mov_b32 s2, -1
	s_cmp_eq_u32 s41, 46
	s_mov_b32 s42, 0
	s_cbranch_scc0 .LBB87_170
; %bb.38:
	v_cndmask_b32_e64 v1, 0, 1.0, s1
	s_mov_b32 s42, -1
	s_mov_b32 s2, 0
	s_delay_alu instid0(VALU_DEP_1) | instskip(NEXT) | instid1(VALU_DEP_1)
	v_bfe_u32 v4, v1, 16, 1
	v_add3_u32 v1, v1, v4, 0x7fff
	s_delay_alu instid0(VALU_DEP_1)
	v_lshrrev_b32_e32 v1, 16, v1
	global_store_b32 v[2:3], v1, off
	s_branch .LBB87_170
.LBB87_39:
	s_mov_b32 s29, -1
	s_mov_b32 s28, 0
	s_mov_b32 s10, 0
                                        ; implicit-def: $vgpr4_vgpr5
	s_branch .LBB87_62
.LBB87_40:
	s_mov_b32 s41, -1
	s_mov_b32 s29, 0
	s_mov_b32 s10, 0
                                        ; implicit-def: $vgpr8_vgpr9
	s_branch .LBB87_306
.LBB87_41:
	s_mov_b32 s41, -1
	s_mov_b32 s2, 0
	s_mov_b32 s42, 0
	s_branch .LBB87_239
.LBB87_42:
	s_mov_b32 s29, -1
	s_mov_b32 s28, 0
	s_mov_b32 s10, 0
                                        ; implicit-def: $vgpr4_vgpr5
	s_branch .LBB87_57
.LBB87_43:
	s_mov_b32 s41, -1
	s_mov_b32 s29, 0
	s_mov_b32 s10, 0
                                        ; implicit-def: $vgpr8_vgpr9
	s_branch .LBB87_287
.LBB87_44:
	s_mov_b32 s44, -1
	s_mov_b32 s2, 0
	s_mov_b32 s42, 0
	s_branch .LBB87_197
.LBB87_45:
	s_mov_b32 s29, -1
	s_mov_b32 s28, 0
	s_branch .LBB87_49
.LBB87_46:
	s_mov_b32 s41, -1
	s_mov_b32 s29, 0
	s_mov_b32 s10, 0
                                        ; implicit-def: $vgpr8_vgpr9
	s_branch .LBB87_282
.LBB87_47:
	s_mov_b32 s44, -1
	s_mov_b32 s2, 0
	s_mov_b32 s42, 0
	s_branch .LBB87_180
.LBB87_48:
	s_mov_b32 s28, -1
.LBB87_49:
	s_mov_b32 s10, 0
                                        ; implicit-def: $vgpr4_vgpr5
.LBB87_50:
	s_and_b32 vcc_lo, exec_lo, s29
	s_cbranch_vccz .LBB87_56
; %bb.51:
	s_cmp_eq_u32 s2, 44
	s_cbranch_scc0 .LBB87_55
; %bb.52:
	global_load_u8 v1, v[8:9], off
	s_mov_b32 s28, 0
	s_mov_b32 s10, -1
	s_wait_loadcnt 0x0
	v_lshlrev_b32_e32 v3, 23, v1
	v_cmp_ne_u32_e32 vcc_lo, 0xff, v1
	s_delay_alu instid0(VALU_DEP_2) | instskip(NEXT) | instid1(VALU_DEP_1)
	v_cvt_f64_f32_e32 v[4:5], v3
	v_cndmask_b32_e32 v3, 0x20000000, v4, vcc_lo
	s_delay_alu instid0(VALU_DEP_2) | instskip(SKIP_1) | instid1(VALU_DEP_2)
	v_cndmask_b32_e32 v4, 0x7ff80000, v5, vcc_lo
	v_cmp_ne_u32_e32 vcc_lo, 0, v1
	v_cndmask_b32_e32 v5, 0x38000000, v4, vcc_lo
	s_delay_alu instid0(VALU_DEP_4)
	v_cndmask_b32_e32 v4, 0, v3, vcc_lo
	s_branch .LBB87_56
.LBB87_53:
	s_mov_b32 s41, -1
	s_mov_b32 s29, 0
	s_branch .LBB87_165
.LBB87_54:
	s_mov_b32 s44, -1
	s_mov_b32 s2, 0
	s_mov_b32 s42, 0
	s_branch .LBB87_176
.LBB87_55:
	s_mov_b32 s28, -1
                                        ; implicit-def: $vgpr4_vgpr5
.LBB87_56:
	s_mov_b32 s29, 0
.LBB87_57:
	s_delay_alu instid0(SALU_CYCLE_1)
	s_and_b32 vcc_lo, exec_lo, s29
	s_cbranch_vccz .LBB87_61
; %bb.58:
	s_cmp_eq_u32 s2, 29
	s_cbranch_scc0 .LBB87_60
; %bb.59:
	global_load_b64 v[4:5], v[8:9], off
	s_mov_b32 s10, -1
	s_mov_b32 s28, 0
	s_mov_b32 s29, 0
	s_wait_loadcnt 0x0
	v_cvt_f64_u32_e32 v[10:11], v5
	v_cvt_f64_u32_e32 v[4:5], v4
	s_delay_alu instid0(VALU_DEP_2) | instskip(NEXT) | instid1(VALU_DEP_1)
	v_ldexp_f64 v[10:11], v[10:11], 32
	v_add_f64_e32 v[4:5], v[10:11], v[4:5]
	s_branch .LBB87_62
.LBB87_60:
	s_mov_b32 s28, -1
                                        ; implicit-def: $vgpr4_vgpr5
.LBB87_61:
	s_mov_b32 s29, 0
.LBB87_62:
	s_delay_alu instid0(SALU_CYCLE_1)
	s_and_b32 vcc_lo, exec_lo, s29
	s_cbranch_vccz .LBB87_80
; %bb.63:
	s_cmp_lt_i32 s2, 27
	s_cbranch_scc1 .LBB87_66
; %bb.64:
	s_cmp_gt_i32 s2, 27
	s_cbranch_scc0 .LBB87_67
; %bb.65:
	global_load_b32 v1, v[8:9], off
	s_mov_b32 s10, 0
	s_wait_loadcnt 0x0
	v_cvt_f64_u32_e32 v[4:5], v1
	s_branch .LBB87_68
.LBB87_66:
	s_mov_b32 s10, -1
                                        ; implicit-def: $vgpr4_vgpr5
	s_branch .LBB87_71
.LBB87_67:
	s_mov_b32 s10, -1
                                        ; implicit-def: $vgpr4_vgpr5
.LBB87_68:
	s_delay_alu instid0(SALU_CYCLE_1)
	s_and_not1_b32 vcc_lo, exec_lo, s10
	s_cbranch_vccnz .LBB87_70
; %bb.69:
	global_load_u16 v1, v[8:9], off
	s_wait_loadcnt 0x0
	v_cvt_f64_u32_e32 v[4:5], v1
.LBB87_70:
	s_mov_b32 s10, 0
.LBB87_71:
	s_delay_alu instid0(SALU_CYCLE_1)
	s_and_not1_b32 vcc_lo, exec_lo, s10
	s_cbranch_vccnz .LBB87_79
; %bb.72:
	global_load_u8 v1, v[8:9], off
	s_mov_b32 s10, 0
	s_mov_b32 s29, exec_lo
	s_wait_loadcnt 0x0
	v_cmpx_lt_i16_e32 0x7f, v1
	s_xor_b32 s29, exec_lo, s29
	s_cbranch_execz .LBB87_92
; %bb.73:
	s_mov_b32 s10, -1
	s_mov_b32 s41, exec_lo
	v_cmpx_eq_u16_e32 0x80, v1
; %bb.74:
	s_xor_b32 s10, exec_lo, -1
; %bb.75:
	s_or_b32 exec_lo, exec_lo, s41
	s_delay_alu instid0(SALU_CYCLE_1)
	s_and_b32 s10, s10, exec_lo
	s_or_saveexec_b32 s29, s29
	v_mov_b64_e32 v[4:5], 0x7ff8000020000000
	s_xor_b32 exec_lo, exec_lo, s29
	s_cbranch_execnz .LBB87_93
.LBB87_76:
	s_or_b32 exec_lo, exec_lo, s29
	s_and_saveexec_b32 s29, s10
	s_cbranch_execz .LBB87_78
.LBB87_77:
	v_and_b32_e32 v3, 0xffff, v1
	s_delay_alu instid0(VALU_DEP_1) | instskip(SKIP_1) | instid1(VALU_DEP_2)
	v_and_b32_e32 v4, 7, v3
	v_bfe_u32 v10, v3, 3, 4
	v_clz_i32_u32_e32 v5, v4
	s_delay_alu instid0(VALU_DEP_2) | instskip(NEXT) | instid1(VALU_DEP_2)
	v_cmp_eq_u32_e32 vcc_lo, 0, v10
	v_min_u32_e32 v5, 32, v5
	s_delay_alu instid0(VALU_DEP_1) | instskip(NEXT) | instid1(VALU_DEP_1)
	v_subrev_nc_u32_e32 v7, 28, v5
	v_dual_lshlrev_b32 v3, v7, v3 :: v_dual_sub_nc_u32 v5, 29, v5
	s_delay_alu instid0(VALU_DEP_1) | instskip(NEXT) | instid1(VALU_DEP_1)
	v_dual_lshlrev_b32 v1, 24, v1 :: v_dual_bitop2_b32 v3, 7, v3 bitop3:0x40
	v_dual_cndmask_b32 v3, v4, v3, vcc_lo :: v_dual_cndmask_b32 v5, v10, v5, vcc_lo
	s_delay_alu instid0(VALU_DEP_2) | instskip(NEXT) | instid1(VALU_DEP_2)
	v_and_b32_e32 v1, 0x80000000, v1
	v_lshlrev_b32_e32 v3, 20, v3
	s_delay_alu instid0(VALU_DEP_3) | instskip(NEXT) | instid1(VALU_DEP_1)
	v_lshl_add_u32 v4, v5, 23, 0x3b800000
	v_or3_b32 v1, v1, v4, v3
	s_delay_alu instid0(VALU_DEP_1)
	v_cvt_f64_f32_e32 v[4:5], v1
.LBB87_78:
	s_or_b32 exec_lo, exec_lo, s29
.LBB87_79:
	s_mov_b32 s10, -1
.LBB87_80:
	s_branch .LBB87_115
.LBB87_81:
	s_cmp_gt_i32 s2, 22
	s_cbranch_scc0 .LBB87_91
; %bb.82:
	s_cmp_lt_i32 s2, 24
	s_cbranch_scc1 .LBB87_94
; %bb.83:
	s_cmp_gt_i32 s2, 24
	s_cbranch_scc0 .LBB87_95
; %bb.84:
	global_load_u8 v1, v[8:9], off
	s_mov_b32 s10, 0
	s_mov_b32 s29, exec_lo
	s_wait_loadcnt 0x0
	v_cmpx_lt_i16_e32 0x7f, v1
	s_xor_b32 s29, exec_lo, s29
	s_cbranch_execz .LBB87_107
; %bb.85:
	s_mov_b32 s10, -1
	s_mov_b32 s41, exec_lo
	v_cmpx_eq_u16_e32 0x80, v1
; %bb.86:
	s_xor_b32 s10, exec_lo, -1
; %bb.87:
	s_or_b32 exec_lo, exec_lo, s41
	s_delay_alu instid0(SALU_CYCLE_1)
	s_and_b32 s10, s10, exec_lo
	s_or_saveexec_b32 s29, s29
	v_mov_b64_e32 v[4:5], 0x7ff8000020000000
	s_xor_b32 exec_lo, exec_lo, s29
	s_cbranch_execnz .LBB87_108
.LBB87_88:
	s_or_b32 exec_lo, exec_lo, s29
	s_and_saveexec_b32 s29, s10
	s_cbranch_execz .LBB87_90
.LBB87_89:
	v_and_b32_e32 v3, 0xffff, v1
	s_delay_alu instid0(VALU_DEP_1) | instskip(SKIP_1) | instid1(VALU_DEP_2)
	v_and_b32_e32 v4, 3, v3
	v_bfe_u32 v10, v3, 2, 5
	v_clz_i32_u32_e32 v5, v4
	s_delay_alu instid0(VALU_DEP_2) | instskip(NEXT) | instid1(VALU_DEP_2)
	v_cmp_eq_u32_e32 vcc_lo, 0, v10
	v_min_u32_e32 v5, 32, v5
	s_delay_alu instid0(VALU_DEP_1) | instskip(NEXT) | instid1(VALU_DEP_1)
	v_subrev_nc_u32_e32 v7, 29, v5
	v_dual_lshlrev_b32 v3, v7, v3 :: v_dual_sub_nc_u32 v5, 30, v5
	s_delay_alu instid0(VALU_DEP_1) | instskip(NEXT) | instid1(VALU_DEP_1)
	v_dual_lshlrev_b32 v1, 24, v1 :: v_dual_bitop2_b32 v3, 3, v3 bitop3:0x40
	v_dual_cndmask_b32 v3, v4, v3, vcc_lo :: v_dual_cndmask_b32 v5, v10, v5, vcc_lo
	s_delay_alu instid0(VALU_DEP_2) | instskip(NEXT) | instid1(VALU_DEP_2)
	v_and_b32_e32 v1, 0x80000000, v1
	v_lshlrev_b32_e32 v3, 21, v3
	s_delay_alu instid0(VALU_DEP_3) | instskip(NEXT) | instid1(VALU_DEP_1)
	v_lshl_add_u32 v4, v5, 23, 0x37800000
	v_or3_b32 v1, v1, v4, v3
	s_delay_alu instid0(VALU_DEP_1)
	v_cvt_f64_f32_e32 v[4:5], v1
.LBB87_90:
	s_or_b32 exec_lo, exec_lo, s29
	s_mov_b32 s10, 0
	s_branch .LBB87_96
.LBB87_91:
	s_mov_b32 s29, -1
                                        ; implicit-def: $vgpr4_vgpr5
	s_branch .LBB87_102
.LBB87_92:
	s_or_saveexec_b32 s29, s29
	v_mov_b64_e32 v[4:5], 0x7ff8000020000000
	s_xor_b32 exec_lo, exec_lo, s29
	s_cbranch_execz .LBB87_76
.LBB87_93:
	v_cmp_ne_u16_e32 vcc_lo, 0, v1
	v_mov_b64_e32 v[4:5], 0
	s_and_not1_b32 s10, s10, exec_lo
	s_and_b32 s41, vcc_lo, exec_lo
	s_delay_alu instid0(SALU_CYCLE_1)
	s_or_b32 s10, s10, s41
	s_or_b32 exec_lo, exec_lo, s29
	s_and_saveexec_b32 s29, s10
	s_cbranch_execnz .LBB87_77
	s_branch .LBB87_78
.LBB87_94:
	s_mov_b32 s10, -1
                                        ; implicit-def: $vgpr4_vgpr5
	s_branch .LBB87_99
.LBB87_95:
	s_mov_b32 s10, -1
                                        ; implicit-def: $vgpr4_vgpr5
.LBB87_96:
	s_delay_alu instid0(SALU_CYCLE_1)
	s_and_b32 vcc_lo, exec_lo, s10
	s_cbranch_vccz .LBB87_98
; %bb.97:
	global_load_u8 v1, v[8:9], off
	s_wait_loadcnt 0x0
	v_lshlrev_b32_e32 v1, 24, v1
	s_delay_alu instid0(VALU_DEP_1) | instskip(NEXT) | instid1(VALU_DEP_1)
	v_and_b32_e32 v3, 0x7f000000, v1
	v_clz_i32_u32_e32 v4, v3
	v_add_nc_u32_e32 v7, 0x1000000, v3
	v_cmp_ne_u32_e32 vcc_lo, 0, v3
	s_delay_alu instid0(VALU_DEP_3) | instskip(NEXT) | instid1(VALU_DEP_1)
	v_min_u32_e32 v4, 32, v4
	v_sub_nc_u32_e64 v4, v4, 4 clamp
	s_delay_alu instid0(VALU_DEP_1) | instskip(NEXT) | instid1(VALU_DEP_1)
	v_dual_lshlrev_b32 v5, v4, v3 :: v_dual_lshlrev_b32 v4, 23, v4
	v_lshrrev_b32_e32 v5, 4, v5
	s_delay_alu instid0(VALU_DEP_1) | instskip(NEXT) | instid1(VALU_DEP_1)
	v_dual_sub_nc_u32 v4, v5, v4 :: v_dual_ashrrev_i32 v5, 8, v7
	v_add_nc_u32_e32 v4, 0x3c000000, v4
	s_delay_alu instid0(VALU_DEP_1) | instskip(NEXT) | instid1(VALU_DEP_1)
	v_and_or_b32 v4, 0x7f800000, v5, v4
	v_cndmask_b32_e32 v3, 0, v4, vcc_lo
	s_delay_alu instid0(VALU_DEP_1) | instskip(NEXT) | instid1(VALU_DEP_1)
	v_and_or_b32 v1, 0x80000000, v1, v3
	v_cvt_f64_f32_e32 v[4:5], v1
.LBB87_98:
	s_mov_b32 s10, 0
.LBB87_99:
	s_delay_alu instid0(SALU_CYCLE_1)
	s_and_not1_b32 vcc_lo, exec_lo, s10
	s_cbranch_vccnz .LBB87_101
; %bb.100:
	global_load_u8 v1, v[8:9], off
	s_wait_loadcnt 0x0
	v_lshlrev_b32_e32 v3, 25, v1
	v_lshlrev_b16 v1, 8, v1
	s_delay_alu instid0(VALU_DEP_1) | instskip(NEXT) | instid1(VALU_DEP_3)
	v_and_or_b32 v5, 0x7f00, v1, 0.5
	v_lshrrev_b32_e32 v4, 4, v3
	v_bfe_i32 v1, v1, 0, 16
	s_delay_alu instid0(VALU_DEP_3) | instskip(NEXT) | instid1(VALU_DEP_3)
	v_add_f32_e32 v5, -0.5, v5
	v_or_b32_e32 v4, 0x70000000, v4
	s_delay_alu instid0(VALU_DEP_1) | instskip(SKIP_1) | instid1(VALU_DEP_2)
	v_mul_f32_e32 v4, 0x7800000, v4
	v_cmp_gt_u32_e32 vcc_lo, 0x8000000, v3
	v_cndmask_b32_e32 v3, v4, v5, vcc_lo
	s_delay_alu instid0(VALU_DEP_1) | instskip(NEXT) | instid1(VALU_DEP_1)
	v_and_or_b32 v1, 0x80000000, v1, v3
	v_cvt_f64_f32_e32 v[4:5], v1
.LBB87_101:
	s_mov_b32 s29, 0
	s_mov_b32 s10, -1
.LBB87_102:
	s_and_not1_b32 vcc_lo, exec_lo, s29
	s_cbranch_vccnz .LBB87_115
; %bb.103:
	s_cmp_gt_i32 s2, 14
	s_cbranch_scc0 .LBB87_106
; %bb.104:
	s_cmp_eq_u32 s2, 15
	s_cbranch_scc0 .LBB87_109
; %bb.105:
	global_load_u16 v1, v[8:9], off
	s_mov_b32 s10, -1
	s_mov_b32 s28, 0
	s_wait_loadcnt 0x0
	v_lshlrev_b32_e32 v1, 16, v1
	s_delay_alu instid0(VALU_DEP_1)
	v_cvt_f64_f32_e32 v[4:5], v1
	s_branch .LBB87_110
.LBB87_106:
	s_mov_b32 s29, -1
                                        ; implicit-def: $vgpr4_vgpr5
	s_branch .LBB87_111
.LBB87_107:
	s_or_saveexec_b32 s29, s29
	v_mov_b64_e32 v[4:5], 0x7ff8000020000000
	s_xor_b32 exec_lo, exec_lo, s29
	s_cbranch_execz .LBB87_88
.LBB87_108:
	v_cmp_ne_u16_e32 vcc_lo, 0, v1
	v_mov_b64_e32 v[4:5], 0
	s_and_not1_b32 s10, s10, exec_lo
	s_and_b32 s41, vcc_lo, exec_lo
	s_delay_alu instid0(SALU_CYCLE_1)
	s_or_b32 s10, s10, s41
	s_or_b32 exec_lo, exec_lo, s29
	s_and_saveexec_b32 s29, s10
	s_cbranch_execnz .LBB87_89
	s_branch .LBB87_90
.LBB87_109:
	s_mov_b32 s28, -1
                                        ; implicit-def: $vgpr4_vgpr5
.LBB87_110:
	s_mov_b32 s29, 0
.LBB87_111:
	s_delay_alu instid0(SALU_CYCLE_1)
	s_and_b32 vcc_lo, exec_lo, s29
	s_cbranch_vccz .LBB87_115
; %bb.112:
	s_cmp_eq_u32 s2, 11
	s_cbranch_scc0 .LBB87_114
; %bb.113:
	global_load_u8 v1, v[8:9], off
	v_mov_b32_e32 v4, 0
	s_mov_b32 s28, 0
	s_mov_b32 s10, -1
	s_wait_loadcnt 0x0
	v_cmp_ne_u16_e32 vcc_lo, 0, v1
	v_cndmask_b32_e64 v5, 0, 0x3ff00000, vcc_lo
	s_branch .LBB87_115
.LBB87_114:
	s_mov_b32 s28, -1
                                        ; implicit-def: $vgpr4_vgpr5
.LBB87_115:
	s_branch .LBB87_21
.LBB87_116:
	s_and_b32 s1, 0xffff, s1
	s_delay_alu instid0(SALU_CYCLE_1)
	s_cmp_lt_i32 s1, 5
	s_cbranch_scc1 .LBB87_121
; %bb.117:
	s_cmp_lt_i32 s1, 8
	s_cbranch_scc1 .LBB87_122
; %bb.118:
	;; [unrolled: 3-line block ×3, first 2 shown]
	s_cmp_gt_i32 s1, 9
	s_cbranch_scc0 .LBB87_124
; %bb.120:
	global_load_b64 v[4:5], v[8:9], off
	s_mov_b32 s2, 0
	s_branch .LBB87_125
.LBB87_121:
                                        ; implicit-def: $vgpr4_vgpr5
	s_branch .LBB87_143
.LBB87_122:
	s_mov_b32 s2, -1
                                        ; implicit-def: $vgpr4_vgpr5
	s_branch .LBB87_131
.LBB87_123:
	s_mov_b32 s2, -1
                                        ; implicit-def: $vgpr4_vgpr5
	s_branch .LBB87_128
.LBB87_124:
	s_mov_b32 s2, -1
                                        ; implicit-def: $vgpr4_vgpr5
.LBB87_125:
	s_delay_alu instid0(SALU_CYCLE_1)
	s_and_not1_b32 vcc_lo, exec_lo, s2
	s_cbranch_vccnz .LBB87_127
; %bb.126:
	global_load_b32 v1, v[8:9], off
	s_wait_loadcnt 0x0
	v_cvt_f64_f32_e32 v[4:5], v1
.LBB87_127:
	s_mov_b32 s2, 0
.LBB87_128:
	s_delay_alu instid0(SALU_CYCLE_1)
	s_and_not1_b32 vcc_lo, exec_lo, s2
	s_cbranch_vccnz .LBB87_130
; %bb.129:
	global_load_b32 v1, v[8:9], off
	s_wait_loadcnt 0x0
	v_cvt_f32_f16_e32 v1, v1
	s_delay_alu instid0(VALU_DEP_1)
	v_cvt_f64_f32_e32 v[4:5], v1
.LBB87_130:
	s_mov_b32 s2, 0
.LBB87_131:
	s_delay_alu instid0(SALU_CYCLE_1)
	s_and_not1_b32 vcc_lo, exec_lo, s2
	s_cbranch_vccnz .LBB87_142
; %bb.132:
	s_cmp_lt_i32 s1, 6
	s_cbranch_scc1 .LBB87_135
; %bb.133:
	s_cmp_gt_i32 s1, 6
	s_cbranch_scc0 .LBB87_136
; %bb.134:
	s_wait_loadcnt 0x0
	global_load_b64 v[4:5], v[8:9], off
	s_mov_b32 s2, 0
	s_branch .LBB87_137
.LBB87_135:
	s_mov_b32 s2, -1
                                        ; implicit-def: $vgpr4_vgpr5
	s_branch .LBB87_140
.LBB87_136:
	s_mov_b32 s2, -1
                                        ; implicit-def: $vgpr4_vgpr5
.LBB87_137:
	s_delay_alu instid0(SALU_CYCLE_1)
	s_and_not1_b32 vcc_lo, exec_lo, s2
	s_cbranch_vccnz .LBB87_139
; %bb.138:
	global_load_b32 v1, v[8:9], off
	s_wait_loadcnt 0x0
	v_cvt_f64_f32_e32 v[4:5], v1
.LBB87_139:
	s_mov_b32 s2, 0
.LBB87_140:
	s_delay_alu instid0(SALU_CYCLE_1)
	s_and_not1_b32 vcc_lo, exec_lo, s2
	s_cbranch_vccnz .LBB87_142
; %bb.141:
	global_load_u16 v1, v[8:9], off
	s_wait_loadcnt 0x0
	v_cvt_f32_f16_e32 v1, v1
	s_delay_alu instid0(VALU_DEP_1)
	v_cvt_f64_f32_e32 v[4:5], v1
.LBB87_142:
	s_cbranch_execnz .LBB87_162
.LBB87_143:
	s_cmp_lt_i32 s1, 2
	s_cbranch_scc1 .LBB87_147
; %bb.144:
	s_cmp_lt_i32 s1, 3
	s_cbranch_scc1 .LBB87_148
; %bb.145:
	s_cmp_gt_i32 s1, 3
	s_cbranch_scc0 .LBB87_149
; %bb.146:
	s_wait_loadcnt 0x0
	global_load_b64 v[4:5], v[8:9], off
	s_mov_b32 s2, 0
	s_wait_loadcnt 0x0
	v_cvt_f64_i32_e32 v[10:11], v5
	v_cvt_f64_u32_e32 v[4:5], v4
	s_delay_alu instid0(VALU_DEP_2) | instskip(NEXT) | instid1(VALU_DEP_1)
	v_ldexp_f64 v[10:11], v[10:11], 32
	v_add_f64_e32 v[4:5], v[10:11], v[4:5]
	s_branch .LBB87_150
.LBB87_147:
	s_mov_b32 s2, -1
                                        ; implicit-def: $vgpr4_vgpr5
	s_branch .LBB87_156
.LBB87_148:
	s_mov_b32 s2, -1
                                        ; implicit-def: $vgpr4_vgpr5
	s_branch .LBB87_153
.LBB87_149:
	s_mov_b32 s2, -1
                                        ; implicit-def: $vgpr4_vgpr5
.LBB87_150:
	s_delay_alu instid0(SALU_CYCLE_1)
	s_and_not1_b32 vcc_lo, exec_lo, s2
	s_cbranch_vccnz .LBB87_152
; %bb.151:
	global_load_b32 v1, v[8:9], off
	s_wait_loadcnt 0x0
	v_cvt_f64_i32_e32 v[4:5], v1
.LBB87_152:
	s_mov_b32 s2, 0
.LBB87_153:
	s_delay_alu instid0(SALU_CYCLE_1)
	s_and_not1_b32 vcc_lo, exec_lo, s2
	s_cbranch_vccnz .LBB87_155
; %bb.154:
	global_load_i16 v1, v[8:9], off
	s_wait_loadcnt 0x0
	v_cvt_f64_i32_e32 v[4:5], v1
.LBB87_155:
	s_mov_b32 s2, 0
.LBB87_156:
	s_delay_alu instid0(SALU_CYCLE_1)
	s_and_not1_b32 vcc_lo, exec_lo, s2
	s_cbranch_vccnz .LBB87_162
; %bb.157:
	s_cmp_gt_i32 s1, 0
	s_mov_b32 s1, 0
	s_cbranch_scc0 .LBB87_159
; %bb.158:
	global_load_i8 v1, v[8:9], off
	s_wait_loadcnt 0x0
	v_cvt_f64_i32_e32 v[4:5], v1
	s_branch .LBB87_160
.LBB87_159:
	s_mov_b32 s1, -1
                                        ; implicit-def: $vgpr4_vgpr5
.LBB87_160:
	s_delay_alu instid0(SALU_CYCLE_1)
	s_and_not1_b32 vcc_lo, exec_lo, s1
	s_cbranch_vccnz .LBB87_162
; %bb.161:
	global_load_u8 v1, v[8:9], off
	s_wait_loadcnt 0x0
	v_cvt_f64_u32_e32 v[4:5], v1
.LBB87_162:
	s_branch .LBB87_22
.LBB87_163:
	s_mov_b32 s2, 0
	s_mov_b32 s29, 0
	s_branch .LBB87_391
.LBB87_164:
	s_mov_b32 s29, -1
.LBB87_165:
	s_mov_b32 s10, 0
                                        ; implicit-def: $vgpr8_vgpr9
.LBB87_166:
	s_and_b32 vcc_lo, exec_lo, s41
	s_cbranch_vccz .LBB87_281
; %bb.167:
	s_cmp_eq_u32 s2, 44
	s_cbranch_scc0 .LBB87_280
; %bb.168:
	global_load_u8 v1, v[6:7], off
	s_mov_b32 s29, 0
	s_mov_b32 s10, -1
	s_wait_loadcnt 0x0
	v_lshlrev_b32_e32 v3, 23, v1
	v_cmp_ne_u32_e32 vcc_lo, 0xff, v1
	s_delay_alu instid0(VALU_DEP_2) | instskip(NEXT) | instid1(VALU_DEP_1)
	v_cvt_f64_f32_e32 v[8:9], v3
	v_cndmask_b32_e32 v3, 0x20000000, v8, vcc_lo
	s_delay_alu instid0(VALU_DEP_2) | instskip(SKIP_1) | instid1(VALU_DEP_2)
	v_cndmask_b32_e32 v8, 0x7ff80000, v9, vcc_lo
	v_cmp_ne_u32_e32 vcc_lo, 0, v1
	v_cndmask_b32_e32 v9, 0x38000000, v8, vcc_lo
	s_delay_alu instid0(VALU_DEP_4)
	v_cndmask_b32_e32 v8, 0, v3, vcc_lo
	s_branch .LBB87_281
.LBB87_169:
	s_mov_b32 s44, -1
	s_mov_b32 s2, 0
	s_mov_b32 s42, 0
.LBB87_170:
	s_and_b32 vcc_lo, exec_lo, s44
	s_cbranch_vccz .LBB87_175
; %bb.171:
	s_cmp_eq_u32 s41, 44
	s_mov_b32 s2, -1
	s_cbranch_scc0 .LBB87_175
; %bb.172:
	v_cndmask_b32_e64 v5, 0, 1.0, s1
	s_mov_b32 s42, exec_lo
	s_wait_xcnt 0x0
	s_delay_alu instid0(VALU_DEP_1) | instskip(NEXT) | instid1(VALU_DEP_1)
	v_dual_mov_b32 v4, 0xff :: v_dual_lshrrev_b32 v1, 23, v5
	v_cmpx_ne_u32_e32 0xff, v1
; %bb.173:
	v_and_b32_e32 v4, 0x400000, v5
	v_and_or_b32 v5, 0x3fffff, v5, v1
	s_delay_alu instid0(VALU_DEP_2) | instskip(NEXT) | instid1(VALU_DEP_2)
	v_cmp_ne_u32_e32 vcc_lo, 0, v4
	v_cmp_ne_u32_e64 s2, 0, v5
	s_and_b32 s2, vcc_lo, s2
	s_delay_alu instid0(SALU_CYCLE_1) | instskip(NEXT) | instid1(VALU_DEP_1)
	v_cndmask_b32_e64 v4, 0, 1, s2
	v_add_nc_u32_e32 v4, v1, v4
; %bb.174:
	s_or_b32 exec_lo, exec_lo, s42
	s_mov_b32 s42, -1
	s_mov_b32 s2, 0
	global_store_b8 v[2:3], v4, off
.LBB87_175:
	s_mov_b32 s44, 0
.LBB87_176:
	s_delay_alu instid0(SALU_CYCLE_1)
	s_and_b32 vcc_lo, exec_lo, s44
	s_cbranch_vccz .LBB87_179
; %bb.177:
	s_cmp_eq_u32 s41, 29
	s_mov_b32 s2, -1
	s_cbranch_scc0 .LBB87_179
; %bb.178:
	s_mov_b32 s2, 0
	s_wait_xcnt 0x0
	v_cndmask_b32_e64 v4, 0, 1, s1
	v_mov_b32_e32 v5, s2
	s_mov_b32 s42, -1
	s_mov_b32 s44, 0
	global_store_b64 v[2:3], v[4:5], off
	s_branch .LBB87_180
.LBB87_179:
	s_mov_b32 s44, 0
.LBB87_180:
	s_delay_alu instid0(SALU_CYCLE_1)
	s_and_b32 vcc_lo, exec_lo, s44
	s_cbranch_vccz .LBB87_196
; %bb.181:
	s_cmp_lt_i32 s41, 27
	s_mov_b32 s42, -1
	s_cbranch_scc1 .LBB87_187
; %bb.182:
	s_cmp_gt_i32 s41, 27
	s_cbranch_scc0 .LBB87_184
; %bb.183:
	s_wait_xcnt 0x0
	v_cndmask_b32_e64 v1, 0, 1, s1
	s_mov_b32 s42, 0
	global_store_b32 v[2:3], v1, off
.LBB87_184:
	s_and_not1_b32 vcc_lo, exec_lo, s42
	s_cbranch_vccnz .LBB87_186
; %bb.185:
	s_wait_xcnt 0x0
	v_cndmask_b32_e64 v1, 0, 1, s1
	global_store_b16 v[2:3], v1, off
.LBB87_186:
	s_mov_b32 s42, 0
.LBB87_187:
	s_delay_alu instid0(SALU_CYCLE_1)
	s_and_not1_b32 vcc_lo, exec_lo, s42
	s_cbranch_vccnz .LBB87_195
; %bb.188:
	s_wait_xcnt 0x0
	v_cndmask_b32_e64 v4, 0, 1.0, s1
	v_mov_b32_e32 v5, 0x80
	s_mov_b32 s42, exec_lo
	s_delay_alu instid0(VALU_DEP_2)
	v_cmpx_gt_u32_e32 0x43800000, v4
	s_cbranch_execz .LBB87_194
; %bb.189:
	s_mov_b32 s44, 0
	s_mov_b32 s45, exec_lo
                                        ; implicit-def: $vgpr1
	v_cmpx_lt_u32_e32 0x3bffffff, v4
	s_xor_b32 s45, exec_lo, s45
	s_cbranch_execz .LBB87_433
; %bb.190:
	v_bfe_u32 v1, v4, 20, 1
	s_mov_b32 s44, exec_lo
	s_delay_alu instid0(VALU_DEP_1) | instskip(NEXT) | instid1(VALU_DEP_1)
	v_add3_u32 v1, v4, v1, 0x487ffff
                                        ; implicit-def: $vgpr4
	v_lshrrev_b32_e32 v1, 20, v1
	s_and_not1_saveexec_b32 s45, s45
	s_cbranch_execnz .LBB87_434
.LBB87_191:
	s_or_b32 exec_lo, exec_lo, s45
	v_mov_b32_e32 v5, 0
	s_and_saveexec_b32 s45, s44
.LBB87_192:
	v_mov_b32_e32 v5, v1
.LBB87_193:
	s_or_b32 exec_lo, exec_lo, s45
.LBB87_194:
	s_delay_alu instid0(SALU_CYCLE_1)
	s_or_b32 exec_lo, exec_lo, s42
	global_store_b8 v[2:3], v5, off
.LBB87_195:
	s_mov_b32 s42, -1
.LBB87_196:
	s_mov_b32 s44, 0
.LBB87_197:
	s_delay_alu instid0(SALU_CYCLE_1)
	s_and_b32 vcc_lo, exec_lo, s44
	s_cbranch_vccz .LBB87_238
; %bb.198:
	s_cmp_gt_i32 s41, 22
	s_mov_b32 s44, -1
	s_cbranch_scc0 .LBB87_230
; %bb.199:
	s_cmp_lt_i32 s41, 24
	s_mov_b32 s42, -1
	s_cbranch_scc1 .LBB87_219
; %bb.200:
	s_cmp_gt_i32 s41, 24
	s_cbranch_scc0 .LBB87_208
; %bb.201:
	s_wait_xcnt 0x0
	v_cndmask_b32_e64 v4, 0, 1.0, s1
	v_mov_b32_e32 v5, 0x80
	s_mov_b32 s42, exec_lo
	s_delay_alu instid0(VALU_DEP_2)
	v_cmpx_gt_u32_e32 0x47800000, v4
	s_cbranch_execz .LBB87_207
; %bb.202:
	s_mov_b32 s44, 0
	s_mov_b32 s45, exec_lo
                                        ; implicit-def: $vgpr1
	v_cmpx_lt_u32_e32 0x37ffffff, v4
	s_xor_b32 s45, exec_lo, s45
	s_cbranch_execz .LBB87_552
; %bb.203:
	v_bfe_u32 v1, v4, 21, 1
	s_mov_b32 s44, exec_lo
	s_delay_alu instid0(VALU_DEP_1) | instskip(NEXT) | instid1(VALU_DEP_1)
	v_add3_u32 v1, v4, v1, 0x88fffff
                                        ; implicit-def: $vgpr4
	v_lshrrev_b32_e32 v1, 21, v1
	s_and_not1_saveexec_b32 s45, s45
	s_cbranch_execnz .LBB87_553
.LBB87_204:
	s_or_b32 exec_lo, exec_lo, s45
	v_mov_b32_e32 v5, 0
	s_and_saveexec_b32 s45, s44
.LBB87_205:
	v_mov_b32_e32 v5, v1
.LBB87_206:
	s_or_b32 exec_lo, exec_lo, s45
.LBB87_207:
	s_delay_alu instid0(SALU_CYCLE_1)
	s_or_b32 exec_lo, exec_lo, s42
	s_mov_b32 s42, 0
	global_store_b8 v[2:3], v5, off
.LBB87_208:
	s_and_b32 vcc_lo, exec_lo, s42
	s_cbranch_vccz .LBB87_218
; %bb.209:
	s_wait_xcnt 0x0
	v_cndmask_b32_e64 v4, 0, 1.0, s1
	s_mov_b32 s42, exec_lo
                                        ; implicit-def: $vgpr1
	s_delay_alu instid0(VALU_DEP_1)
	v_cmpx_gt_u32_e32 0x43f00000, v4
	s_xor_b32 s42, exec_lo, s42
	s_cbranch_execz .LBB87_215
; %bb.210:
	s_mov_b32 s44, exec_lo
                                        ; implicit-def: $vgpr1
	v_cmpx_lt_u32_e32 0x3c7fffff, v4
	s_xor_b32 s44, exec_lo, s44
; %bb.211:
	v_bfe_u32 v1, v4, 20, 1
	s_delay_alu instid0(VALU_DEP_1) | instskip(NEXT) | instid1(VALU_DEP_1)
	v_add3_u32 v1, v4, v1, 0x407ffff
	v_and_b32_e32 v4, 0xff00000, v1
	v_lshrrev_b32_e32 v1, 20, v1
	s_delay_alu instid0(VALU_DEP_2) | instskip(NEXT) | instid1(VALU_DEP_2)
	v_cmp_ne_u32_e32 vcc_lo, 0x7f00000, v4
                                        ; implicit-def: $vgpr4
	v_cndmask_b32_e32 v1, 0x7e, v1, vcc_lo
; %bb.212:
	s_and_not1_saveexec_b32 s44, s44
; %bb.213:
	v_add_f32_e32 v1, 0x46800000, v4
; %bb.214:
	s_or_b32 exec_lo, exec_lo, s44
                                        ; implicit-def: $vgpr4
.LBB87_215:
	s_and_not1_saveexec_b32 s42, s42
; %bb.216:
	v_mov_b32_e32 v1, 0x7f
	v_cmp_lt_u32_e32 vcc_lo, 0x7f800000, v4
	s_delay_alu instid0(VALU_DEP_2)
	v_cndmask_b32_e32 v1, 0x7e, v1, vcc_lo
; %bb.217:
	s_or_b32 exec_lo, exec_lo, s42
	global_store_b8 v[2:3], v1, off
.LBB87_218:
	s_mov_b32 s42, 0
.LBB87_219:
	s_delay_alu instid0(SALU_CYCLE_1)
	s_and_not1_b32 vcc_lo, exec_lo, s42
	s_cbranch_vccnz .LBB87_229
; %bb.220:
	s_wait_xcnt 0x0
	v_cndmask_b32_e64 v4, 0, 1.0, s1
	s_mov_b32 s42, exec_lo
                                        ; implicit-def: $vgpr1
	s_delay_alu instid0(VALU_DEP_1)
	v_cmpx_gt_u32_e32 0x47800000, v4
	s_xor_b32 s42, exec_lo, s42
	s_cbranch_execz .LBB87_226
; %bb.221:
	s_mov_b32 s44, exec_lo
                                        ; implicit-def: $vgpr1
	v_cmpx_lt_u32_e32 0x387fffff, v4
	s_xor_b32 s44, exec_lo, s44
; %bb.222:
	v_bfe_u32 v1, v4, 21, 1
	s_delay_alu instid0(VALU_DEP_1) | instskip(NEXT) | instid1(VALU_DEP_1)
	v_add3_u32 v1, v4, v1, 0x80fffff
                                        ; implicit-def: $vgpr4
	v_lshrrev_b32_e32 v1, 21, v1
; %bb.223:
	s_and_not1_saveexec_b32 s44, s44
; %bb.224:
	v_add_f32_e32 v1, 0x43000000, v4
; %bb.225:
	s_or_b32 exec_lo, exec_lo, s44
                                        ; implicit-def: $vgpr4
.LBB87_226:
	s_and_not1_saveexec_b32 s42, s42
; %bb.227:
	v_mov_b32_e32 v1, 0x7f
	v_cmp_lt_u32_e32 vcc_lo, 0x7f800000, v4
	s_delay_alu instid0(VALU_DEP_2)
	v_cndmask_b32_e32 v1, 0x7c, v1, vcc_lo
; %bb.228:
	s_or_b32 exec_lo, exec_lo, s42
	global_store_b8 v[2:3], v1, off
.LBB87_229:
	s_mov_b32 s44, 0
	s_mov_b32 s42, -1
.LBB87_230:
	s_and_not1_b32 vcc_lo, exec_lo, s44
	s_cbranch_vccnz .LBB87_238
; %bb.231:
	s_cmp_gt_i32 s41, 14
	s_mov_b32 s44, -1
	s_cbranch_scc0 .LBB87_235
; %bb.232:
	s_cmp_eq_u32 s41, 15
	s_mov_b32 s2, -1
	s_cbranch_scc0 .LBB87_234
; %bb.233:
	s_wait_xcnt 0x0
	v_cndmask_b32_e64 v1, 0, 1.0, s1
	s_mov_b32 s42, -1
	s_mov_b32 s2, 0
	s_delay_alu instid0(VALU_DEP_1) | instskip(NEXT) | instid1(VALU_DEP_1)
	v_bfe_u32 v4, v1, 16, 1
	v_add3_u32 v1, v1, v4, 0x7fff
	global_store_d16_hi_b16 v[2:3], v1, off
.LBB87_234:
	s_mov_b32 s44, 0
.LBB87_235:
	s_delay_alu instid0(SALU_CYCLE_1)
	s_and_b32 vcc_lo, exec_lo, s44
	s_cbranch_vccz .LBB87_238
; %bb.236:
	s_cmp_eq_u32 s41, 11
	s_mov_b32 s2, -1
	s_cbranch_scc0 .LBB87_238
; %bb.237:
	s_wait_xcnt 0x0
	v_cndmask_b32_e64 v1, 0, 1, s1
	s_mov_b32 s42, -1
	s_mov_b32 s2, 0
	global_store_b8 v[2:3], v1, off
.LBB87_238:
	s_mov_b32 s41, 0
.LBB87_239:
	s_delay_alu instid0(SALU_CYCLE_1)
	s_and_b32 vcc_lo, exec_lo, s41
	s_cbranch_vccz .LBB87_278
; %bb.240:
	s_and_b32 s10, 0xffff, s10
	s_mov_b32 s41, -1
	s_cmp_lt_i32 s10, 5
	s_cbranch_scc1 .LBB87_261
; %bb.241:
	s_cmp_lt_i32 s10, 8
	s_cbranch_scc1 .LBB87_251
; %bb.242:
	;; [unrolled: 3-line block ×3, first 2 shown]
	s_cmp_gt_i32 s10, 9
	s_cbranch_scc0 .LBB87_245
; %bb.244:
	s_wait_xcnt 0x0
	v_cndmask_b32_e64 v1, 0, 1, s1
	v_mov_b32_e32 v6, 0
	s_mov_b32 s41, 0
	s_delay_alu instid0(VALU_DEP_2) | instskip(NEXT) | instid1(VALU_DEP_2)
	v_cvt_f64_u32_e32 v[4:5], v1
	v_mov_b32_e32 v7, v6
	global_store_b128 v[2:3], v[4:7], off
.LBB87_245:
	s_and_not1_b32 vcc_lo, exec_lo, s41
	s_cbranch_vccnz .LBB87_247
; %bb.246:
	s_wait_xcnt 0x0
	v_cndmask_b32_e64 v4, 0, 1.0, s1
	v_mov_b32_e32 v5, 0
	global_store_b64 v[2:3], v[4:5], off
.LBB87_247:
	s_mov_b32 s41, 0
.LBB87_248:
	s_delay_alu instid0(SALU_CYCLE_1)
	s_and_not1_b32 vcc_lo, exec_lo, s41
	s_cbranch_vccnz .LBB87_250
; %bb.249:
	s_wait_xcnt 0x0
	v_cndmask_b32_e64 v1, 0, 1.0, s1
	s_delay_alu instid0(VALU_DEP_1) | instskip(NEXT) | instid1(VALU_DEP_1)
	v_cvt_f16_f32_e32 v1, v1
	v_and_b32_e32 v1, 0xffff, v1
	global_store_b32 v[2:3], v1, off
.LBB87_250:
	s_mov_b32 s41, 0
.LBB87_251:
	s_delay_alu instid0(SALU_CYCLE_1)
	s_and_not1_b32 vcc_lo, exec_lo, s41
	s_cbranch_vccnz .LBB87_260
; %bb.252:
	s_cmp_lt_i32 s10, 6
	s_mov_b32 s41, -1
	s_cbranch_scc1 .LBB87_258
; %bb.253:
	s_cmp_gt_i32 s10, 6
	s_cbranch_scc0 .LBB87_255
; %bb.254:
	s_wait_xcnt 0x0
	v_cndmask_b32_e64 v1, 0, 1, s1
	s_mov_b32 s41, 0
	s_delay_alu instid0(VALU_DEP_1)
	v_cvt_f64_u32_e32 v[4:5], v1
	global_store_b64 v[2:3], v[4:5], off
.LBB87_255:
	s_and_not1_b32 vcc_lo, exec_lo, s41
	s_cbranch_vccnz .LBB87_257
; %bb.256:
	s_wait_xcnt 0x0
	v_cndmask_b32_e64 v1, 0, 1.0, s1
	global_store_b32 v[2:3], v1, off
.LBB87_257:
	s_mov_b32 s41, 0
.LBB87_258:
	s_delay_alu instid0(SALU_CYCLE_1)
	s_and_not1_b32 vcc_lo, exec_lo, s41
	s_cbranch_vccnz .LBB87_260
; %bb.259:
	s_wait_xcnt 0x0
	v_cndmask_b32_e64 v1, 0, 1.0, s1
	s_delay_alu instid0(VALU_DEP_1)
	v_cvt_f16_f32_e32 v1, v1
	global_store_b16 v[2:3], v1, off
.LBB87_260:
	s_mov_b32 s41, 0
.LBB87_261:
	s_delay_alu instid0(SALU_CYCLE_1)
	s_and_not1_b32 vcc_lo, exec_lo, s41
	s_cbranch_vccnz .LBB87_277
; %bb.262:
	s_cmp_lt_i32 s10, 2
	s_mov_b32 s41, -1
	s_cbranch_scc1 .LBB87_272
; %bb.263:
	s_cmp_lt_i32 s10, 3
	s_cbranch_scc1 .LBB87_269
; %bb.264:
	s_cmp_gt_i32 s10, 3
	s_cbranch_scc0 .LBB87_266
; %bb.265:
	s_mov_b32 s41, 0
	s_wait_xcnt 0x0
	v_cndmask_b32_e64 v4, 0, 1, s1
	v_mov_b32_e32 v5, s41
	global_store_b64 v[2:3], v[4:5], off
.LBB87_266:
	s_and_not1_b32 vcc_lo, exec_lo, s41
	s_cbranch_vccnz .LBB87_268
; %bb.267:
	s_wait_xcnt 0x0
	v_cndmask_b32_e64 v1, 0, 1, s1
	global_store_b32 v[2:3], v1, off
.LBB87_268:
	s_mov_b32 s41, 0
.LBB87_269:
	s_delay_alu instid0(SALU_CYCLE_1)
	s_and_not1_b32 vcc_lo, exec_lo, s41
	s_cbranch_vccnz .LBB87_271
; %bb.270:
	s_wait_xcnt 0x0
	v_cndmask_b32_e64 v1, 0, 1, s1
	global_store_b16 v[2:3], v1, off
.LBB87_271:
	s_mov_b32 s41, 0
.LBB87_272:
	s_delay_alu instid0(SALU_CYCLE_1)
	s_and_not1_b32 vcc_lo, exec_lo, s41
	s_cbranch_vccnz .LBB87_277
; %bb.273:
	s_cmp_gt_i32 s10, 0
	s_mov_b32 s10, -1
	s_cbranch_scc0 .LBB87_275
; %bb.274:
	s_wait_xcnt 0x0
	v_cndmask_b32_e64 v1, 0, 1, s1
	s_mov_b32 s10, 0
	global_store_b8 v[2:3], v1, off
.LBB87_275:
	s_and_not1_b32 vcc_lo, exec_lo, s10
	s_cbranch_vccnz .LBB87_277
; %bb.276:
	s_wait_xcnt 0x0
	v_cndmask_b32_e64 v1, 0, 1, s1
	global_store_b8 v[2:3], v1, off
.LBB87_277:
	s_mov_b32 s42, -1
.LBB87_278:
	s_delay_alu instid0(SALU_CYCLE_1)
	s_and_not1_b32 vcc_lo, exec_lo, s42
	s_cbranch_vccnz .LBB87_391
; %bb.279:
	v_add_nc_u32_e32 v0, 0x80, v0
	s_mov_b32 s1, -1
	s_branch .LBB87_392
.LBB87_280:
	s_mov_b32 s29, -1
                                        ; implicit-def: $vgpr8_vgpr9
.LBB87_281:
	s_mov_b32 s41, 0
.LBB87_282:
	s_delay_alu instid0(SALU_CYCLE_1)
	s_and_b32 vcc_lo, exec_lo, s41
	s_cbranch_vccz .LBB87_286
; %bb.283:
	s_cmp_eq_u32 s2, 29
	s_cbranch_scc0 .LBB87_285
; %bb.284:
	global_load_b64 v[8:9], v[6:7], off
	s_mov_b32 s10, -1
	s_mov_b32 s29, 0
	s_mov_b32 s41, 0
	s_wait_loadcnt 0x0
	v_cvt_f64_u32_e32 v[10:11], v9
	v_cvt_f64_u32_e32 v[8:9], v8
	s_delay_alu instid0(VALU_DEP_2) | instskip(NEXT) | instid1(VALU_DEP_1)
	v_ldexp_f64 v[10:11], v[10:11], 32
	v_add_f64_e32 v[8:9], v[10:11], v[8:9]
	s_branch .LBB87_287
.LBB87_285:
	s_mov_b32 s29, -1
                                        ; implicit-def: $vgpr8_vgpr9
.LBB87_286:
	s_mov_b32 s41, 0
.LBB87_287:
	s_delay_alu instid0(SALU_CYCLE_1)
	s_and_b32 vcc_lo, exec_lo, s41
	s_cbranch_vccz .LBB87_305
; %bb.288:
	s_cmp_lt_i32 s2, 27
	s_cbranch_scc1 .LBB87_291
; %bb.289:
	s_cmp_gt_i32 s2, 27
	s_cbranch_scc0 .LBB87_292
; %bb.290:
	global_load_b32 v1, v[6:7], off
	s_mov_b32 s10, 0
	s_wait_loadcnt 0x0
	v_cvt_f64_u32_e32 v[8:9], v1
	s_branch .LBB87_293
.LBB87_291:
	s_mov_b32 s10, -1
                                        ; implicit-def: $vgpr8_vgpr9
	s_branch .LBB87_296
.LBB87_292:
	s_mov_b32 s10, -1
                                        ; implicit-def: $vgpr8_vgpr9
.LBB87_293:
	s_delay_alu instid0(SALU_CYCLE_1)
	s_and_not1_b32 vcc_lo, exec_lo, s10
	s_cbranch_vccnz .LBB87_295
; %bb.294:
	global_load_u16 v1, v[6:7], off
	s_wait_loadcnt 0x0
	v_cvt_f64_u32_e32 v[8:9], v1
.LBB87_295:
	s_mov_b32 s10, 0
.LBB87_296:
	s_delay_alu instid0(SALU_CYCLE_1)
	s_and_not1_b32 vcc_lo, exec_lo, s10
	s_cbranch_vccnz .LBB87_304
; %bb.297:
	global_load_u8 v1, v[6:7], off
	s_mov_b32 s10, 0
	s_mov_b32 s41, exec_lo
	s_wait_loadcnt 0x0
	v_cmpx_lt_i16_e32 0x7f, v1
	s_xor_b32 s41, exec_lo, s41
	s_cbranch_execz .LBB87_318
; %bb.298:
	s_mov_b32 s10, -1
	s_mov_b32 s42, exec_lo
	v_cmpx_eq_u16_e32 0x80, v1
; %bb.299:
	s_xor_b32 s10, exec_lo, -1
; %bb.300:
	s_or_b32 exec_lo, exec_lo, s42
	s_delay_alu instid0(SALU_CYCLE_1)
	s_and_b32 s10, s10, exec_lo
	s_or_saveexec_b32 s41, s41
	v_mov_b64_e32 v[8:9], 0x7ff8000020000000
	s_xor_b32 exec_lo, exec_lo, s41
	s_cbranch_execnz .LBB87_319
.LBB87_301:
	s_or_b32 exec_lo, exec_lo, s41
	s_and_saveexec_b32 s41, s10
	s_cbranch_execz .LBB87_303
.LBB87_302:
	v_and_b32_e32 v3, 0xffff, v1
	s_delay_alu instid0(VALU_DEP_1) | instskip(SKIP_1) | instid1(VALU_DEP_2)
	v_and_b32_e32 v8, 7, v3
	v_bfe_u32 v11, v3, 3, 4
	v_clz_i32_u32_e32 v9, v8
	s_delay_alu instid0(VALU_DEP_2) | instskip(NEXT) | instid1(VALU_DEP_2)
	v_cmp_eq_u32_e32 vcc_lo, 0, v11
	v_min_u32_e32 v9, 32, v9
	s_delay_alu instid0(VALU_DEP_1) | instskip(NEXT) | instid1(VALU_DEP_1)
	v_subrev_nc_u32_e32 v10, 28, v9
	v_dual_lshlrev_b32 v3, v10, v3 :: v_dual_sub_nc_u32 v9, 29, v9
	s_delay_alu instid0(VALU_DEP_1) | instskip(NEXT) | instid1(VALU_DEP_1)
	v_dual_lshlrev_b32 v1, 24, v1 :: v_dual_bitop2_b32 v3, 7, v3 bitop3:0x40
	v_dual_cndmask_b32 v3, v8, v3, vcc_lo :: v_dual_cndmask_b32 v9, v11, v9, vcc_lo
	s_delay_alu instid0(VALU_DEP_2) | instskip(NEXT) | instid1(VALU_DEP_2)
	v_and_b32_e32 v1, 0x80000000, v1
	v_lshlrev_b32_e32 v3, 20, v3
	s_delay_alu instid0(VALU_DEP_3) | instskip(NEXT) | instid1(VALU_DEP_1)
	v_lshl_add_u32 v8, v9, 23, 0x3b800000
	v_or3_b32 v1, v1, v8, v3
	s_delay_alu instid0(VALU_DEP_1)
	v_cvt_f64_f32_e32 v[8:9], v1
.LBB87_303:
	s_or_b32 exec_lo, exec_lo, s41
.LBB87_304:
	s_mov_b32 s10, -1
.LBB87_305:
	s_mov_b32 s41, 0
.LBB87_306:
	s_delay_alu instid0(SALU_CYCLE_1)
	s_and_b32 vcc_lo, exec_lo, s41
	s_cbranch_vccz .LBB87_341
; %bb.307:
	s_cmp_gt_i32 s2, 22
	s_cbranch_scc0 .LBB87_317
; %bb.308:
	s_cmp_lt_i32 s2, 24
	s_cbranch_scc1 .LBB87_320
; %bb.309:
	s_cmp_gt_i32 s2, 24
	s_cbranch_scc0 .LBB87_321
; %bb.310:
	global_load_u8 v1, v[6:7], off
	s_mov_b32 s10, 0
	s_mov_b32 s41, exec_lo
	s_wait_loadcnt 0x0
	v_cmpx_lt_i16_e32 0x7f, v1
	s_xor_b32 s41, exec_lo, s41
	s_cbranch_execz .LBB87_333
; %bb.311:
	s_mov_b32 s10, -1
	s_mov_b32 s42, exec_lo
	v_cmpx_eq_u16_e32 0x80, v1
; %bb.312:
	s_xor_b32 s10, exec_lo, -1
; %bb.313:
	s_or_b32 exec_lo, exec_lo, s42
	s_delay_alu instid0(SALU_CYCLE_1)
	s_and_b32 s10, s10, exec_lo
	s_or_saveexec_b32 s41, s41
	v_mov_b64_e32 v[8:9], 0x7ff8000020000000
	s_xor_b32 exec_lo, exec_lo, s41
	s_cbranch_execnz .LBB87_334
.LBB87_314:
	s_or_b32 exec_lo, exec_lo, s41
	s_and_saveexec_b32 s41, s10
	s_cbranch_execz .LBB87_316
.LBB87_315:
	v_and_b32_e32 v3, 0xffff, v1
	s_delay_alu instid0(VALU_DEP_1) | instskip(SKIP_1) | instid1(VALU_DEP_2)
	v_and_b32_e32 v8, 3, v3
	v_bfe_u32 v11, v3, 2, 5
	v_clz_i32_u32_e32 v9, v8
	s_delay_alu instid0(VALU_DEP_2) | instskip(NEXT) | instid1(VALU_DEP_2)
	v_cmp_eq_u32_e32 vcc_lo, 0, v11
	v_min_u32_e32 v9, 32, v9
	s_delay_alu instid0(VALU_DEP_1) | instskip(NEXT) | instid1(VALU_DEP_1)
	v_subrev_nc_u32_e32 v10, 29, v9
	v_dual_lshlrev_b32 v3, v10, v3 :: v_dual_sub_nc_u32 v9, 30, v9
	s_delay_alu instid0(VALU_DEP_1) | instskip(NEXT) | instid1(VALU_DEP_1)
	v_dual_lshlrev_b32 v1, 24, v1 :: v_dual_bitop2_b32 v3, 3, v3 bitop3:0x40
	v_dual_cndmask_b32 v3, v8, v3, vcc_lo :: v_dual_cndmask_b32 v9, v11, v9, vcc_lo
	s_delay_alu instid0(VALU_DEP_2) | instskip(NEXT) | instid1(VALU_DEP_2)
	v_and_b32_e32 v1, 0x80000000, v1
	v_lshlrev_b32_e32 v3, 21, v3
	s_delay_alu instid0(VALU_DEP_3) | instskip(NEXT) | instid1(VALU_DEP_1)
	v_lshl_add_u32 v8, v9, 23, 0x37800000
	v_or3_b32 v1, v1, v8, v3
	s_delay_alu instid0(VALU_DEP_1)
	v_cvt_f64_f32_e32 v[8:9], v1
.LBB87_316:
	s_or_b32 exec_lo, exec_lo, s41
	s_mov_b32 s10, 0
	s_branch .LBB87_322
.LBB87_317:
	s_mov_b32 s41, -1
                                        ; implicit-def: $vgpr8_vgpr9
	s_branch .LBB87_328
.LBB87_318:
	s_or_saveexec_b32 s41, s41
	v_mov_b64_e32 v[8:9], 0x7ff8000020000000
	s_xor_b32 exec_lo, exec_lo, s41
	s_cbranch_execz .LBB87_301
.LBB87_319:
	v_cmp_ne_u16_e32 vcc_lo, 0, v1
	v_mov_b64_e32 v[8:9], 0
	s_and_not1_b32 s10, s10, exec_lo
	s_and_b32 s42, vcc_lo, exec_lo
	s_delay_alu instid0(SALU_CYCLE_1)
	s_or_b32 s10, s10, s42
	s_or_b32 exec_lo, exec_lo, s41
	s_and_saveexec_b32 s41, s10
	s_cbranch_execnz .LBB87_302
	s_branch .LBB87_303
.LBB87_320:
	s_mov_b32 s10, -1
                                        ; implicit-def: $vgpr8_vgpr9
	s_branch .LBB87_325
.LBB87_321:
	s_mov_b32 s10, -1
                                        ; implicit-def: $vgpr8_vgpr9
.LBB87_322:
	s_delay_alu instid0(SALU_CYCLE_1)
	s_and_b32 vcc_lo, exec_lo, s10
	s_cbranch_vccz .LBB87_324
; %bb.323:
	global_load_u8 v1, v[6:7], off
	s_wait_loadcnt 0x0
	v_lshlrev_b32_e32 v1, 24, v1
	s_delay_alu instid0(VALU_DEP_1) | instskip(NEXT) | instid1(VALU_DEP_1)
	v_and_b32_e32 v3, 0x7f000000, v1
	v_clz_i32_u32_e32 v8, v3
	v_cmp_ne_u32_e32 vcc_lo, 0, v3
	v_add_nc_u32_e32 v10, 0x1000000, v3
	s_delay_alu instid0(VALU_DEP_3) | instskip(NEXT) | instid1(VALU_DEP_1)
	v_min_u32_e32 v8, 32, v8
	v_sub_nc_u32_e64 v8, v8, 4 clamp
	s_delay_alu instid0(VALU_DEP_1) | instskip(NEXT) | instid1(VALU_DEP_1)
	v_dual_lshlrev_b32 v9, v8, v3 :: v_dual_lshlrev_b32 v8, 23, v8
	v_lshrrev_b32_e32 v9, 4, v9
	s_delay_alu instid0(VALU_DEP_1) | instskip(NEXT) | instid1(VALU_DEP_1)
	v_dual_sub_nc_u32 v8, v9, v8 :: v_dual_ashrrev_i32 v9, 8, v10
	v_add_nc_u32_e32 v8, 0x3c000000, v8
	s_delay_alu instid0(VALU_DEP_1) | instskip(NEXT) | instid1(VALU_DEP_1)
	v_and_or_b32 v8, 0x7f800000, v9, v8
	v_cndmask_b32_e32 v3, 0, v8, vcc_lo
	s_delay_alu instid0(VALU_DEP_1) | instskip(NEXT) | instid1(VALU_DEP_1)
	v_and_or_b32 v1, 0x80000000, v1, v3
	v_cvt_f64_f32_e32 v[8:9], v1
.LBB87_324:
	s_mov_b32 s10, 0
.LBB87_325:
	s_delay_alu instid0(SALU_CYCLE_1)
	s_and_not1_b32 vcc_lo, exec_lo, s10
	s_cbranch_vccnz .LBB87_327
; %bb.326:
	global_load_u8 v1, v[6:7], off
	s_wait_loadcnt 0x0
	v_lshlrev_b32_e32 v3, 25, v1
	v_lshlrev_b16 v1, 8, v1
	s_delay_alu instid0(VALU_DEP_1) | instskip(NEXT) | instid1(VALU_DEP_3)
	v_and_or_b32 v9, 0x7f00, v1, 0.5
	v_lshrrev_b32_e32 v8, 4, v3
	v_bfe_i32 v1, v1, 0, 16
	s_delay_alu instid0(VALU_DEP_3) | instskip(NEXT) | instid1(VALU_DEP_3)
	v_add_f32_e32 v9, -0.5, v9
	v_or_b32_e32 v8, 0x70000000, v8
	s_delay_alu instid0(VALU_DEP_1) | instskip(SKIP_1) | instid1(VALU_DEP_2)
	v_mul_f32_e32 v8, 0x7800000, v8
	v_cmp_gt_u32_e32 vcc_lo, 0x8000000, v3
	v_cndmask_b32_e32 v3, v8, v9, vcc_lo
	s_delay_alu instid0(VALU_DEP_1) | instskip(NEXT) | instid1(VALU_DEP_1)
	v_and_or_b32 v1, 0x80000000, v1, v3
	v_cvt_f64_f32_e32 v[8:9], v1
.LBB87_327:
	s_mov_b32 s41, 0
	s_mov_b32 s10, -1
.LBB87_328:
	s_and_not1_b32 vcc_lo, exec_lo, s41
	s_cbranch_vccnz .LBB87_341
; %bb.329:
	s_cmp_gt_i32 s2, 14
	s_cbranch_scc0 .LBB87_332
; %bb.330:
	s_cmp_eq_u32 s2, 15
	s_cbranch_scc0 .LBB87_335
; %bb.331:
	global_load_u16 v1, v[6:7], off
	s_mov_b32 s10, -1
	s_mov_b32 s29, 0
	s_wait_loadcnt 0x0
	v_lshlrev_b32_e32 v1, 16, v1
	s_delay_alu instid0(VALU_DEP_1)
	v_cvt_f64_f32_e32 v[8:9], v1
	s_branch .LBB87_336
.LBB87_332:
	s_mov_b32 s41, -1
                                        ; implicit-def: $vgpr8_vgpr9
	s_branch .LBB87_337
.LBB87_333:
	s_or_saveexec_b32 s41, s41
	v_mov_b64_e32 v[8:9], 0x7ff8000020000000
	s_xor_b32 exec_lo, exec_lo, s41
	s_cbranch_execz .LBB87_314
.LBB87_334:
	v_cmp_ne_u16_e32 vcc_lo, 0, v1
	v_mov_b64_e32 v[8:9], 0
	s_and_not1_b32 s10, s10, exec_lo
	s_and_b32 s42, vcc_lo, exec_lo
	s_delay_alu instid0(SALU_CYCLE_1)
	s_or_b32 s10, s10, s42
	s_or_b32 exec_lo, exec_lo, s41
	s_and_saveexec_b32 s41, s10
	s_cbranch_execnz .LBB87_315
	s_branch .LBB87_316
.LBB87_335:
	s_mov_b32 s29, -1
                                        ; implicit-def: $vgpr8_vgpr9
.LBB87_336:
	s_mov_b32 s41, 0
.LBB87_337:
	s_delay_alu instid0(SALU_CYCLE_1)
	s_and_b32 vcc_lo, exec_lo, s41
	s_cbranch_vccz .LBB87_341
; %bb.338:
	s_cmp_eq_u32 s2, 11
	s_cbranch_scc0 .LBB87_340
; %bb.339:
	global_load_u8 v1, v[6:7], off
	s_wait_xcnt 0x1
	v_mov_b32_e32 v8, 0
	s_mov_b32 s29, 0
	s_mov_b32 s10, -1
	s_wait_loadcnt 0x0
	v_cmp_ne_u16_e32 vcc_lo, 0, v1
	v_cndmask_b32_e64 v9, 0, 0x3ff00000, vcc_lo
	s_branch .LBB87_341
.LBB87_340:
	s_mov_b32 s29, -1
                                        ; implicit-def: $vgpr8_vgpr9
.LBB87_341:
	s_branch .LBB87_31
.LBB87_342:
	s_and_b32 s1, 0xffff, s1
	s_delay_alu instid0(SALU_CYCLE_1)
	s_cmp_lt_i32 s1, 5
	s_cbranch_scc1 .LBB87_347
; %bb.343:
	s_cmp_lt_i32 s1, 8
	s_cbranch_scc1 .LBB87_348
; %bb.344:
	;; [unrolled: 3-line block ×3, first 2 shown]
	s_cmp_gt_i32 s1, 9
	s_cbranch_scc0 .LBB87_350
; %bb.346:
	global_load_b64 v[8:9], v[6:7], off
	s_mov_b32 s2, 0
	s_branch .LBB87_351
.LBB87_347:
	s_mov_b32 s2, -1
                                        ; implicit-def: $vgpr8_vgpr9
	s_branch .LBB87_369
.LBB87_348:
	s_mov_b32 s2, -1
                                        ; implicit-def: $vgpr8_vgpr9
	s_branch .LBB87_357
.LBB87_349:
	s_mov_b32 s2, -1
                                        ; implicit-def: $vgpr8_vgpr9
	s_branch .LBB87_354
.LBB87_350:
	s_mov_b32 s2, -1
                                        ; implicit-def: $vgpr8_vgpr9
.LBB87_351:
	s_delay_alu instid0(SALU_CYCLE_1)
	s_and_not1_b32 vcc_lo, exec_lo, s2
	s_cbranch_vccnz .LBB87_353
; %bb.352:
	global_load_b32 v1, v[6:7], off
	s_wait_loadcnt 0x0
	v_cvt_f64_f32_e32 v[8:9], v1
.LBB87_353:
	s_mov_b32 s2, 0
.LBB87_354:
	s_delay_alu instid0(SALU_CYCLE_1)
	s_and_not1_b32 vcc_lo, exec_lo, s2
	s_cbranch_vccnz .LBB87_356
; %bb.355:
	global_load_b32 v1, v[6:7], off
	s_wait_loadcnt 0x0
	v_cvt_f32_f16_e32 v1, v1
	s_delay_alu instid0(VALU_DEP_1)
	v_cvt_f64_f32_e32 v[8:9], v1
.LBB87_356:
	s_mov_b32 s2, 0
.LBB87_357:
	s_delay_alu instid0(SALU_CYCLE_1)
	s_and_not1_b32 vcc_lo, exec_lo, s2
	s_cbranch_vccnz .LBB87_368
; %bb.358:
	s_cmp_lt_i32 s1, 6
	s_cbranch_scc1 .LBB87_361
; %bb.359:
	s_cmp_gt_i32 s1, 6
	s_cbranch_scc0 .LBB87_362
; %bb.360:
	s_wait_loadcnt 0x0
	global_load_b64 v[8:9], v[6:7], off
	s_mov_b32 s2, 0
	s_branch .LBB87_363
.LBB87_361:
	s_mov_b32 s2, -1
                                        ; implicit-def: $vgpr8_vgpr9
	s_branch .LBB87_366
.LBB87_362:
	s_mov_b32 s2, -1
                                        ; implicit-def: $vgpr8_vgpr9
.LBB87_363:
	s_delay_alu instid0(SALU_CYCLE_1)
	s_and_not1_b32 vcc_lo, exec_lo, s2
	s_cbranch_vccnz .LBB87_365
; %bb.364:
	global_load_b32 v1, v[6:7], off
	s_wait_loadcnt 0x0
	v_cvt_f64_f32_e32 v[8:9], v1
.LBB87_365:
	s_mov_b32 s2, 0
.LBB87_366:
	s_delay_alu instid0(SALU_CYCLE_1)
	s_and_not1_b32 vcc_lo, exec_lo, s2
	s_cbranch_vccnz .LBB87_368
; %bb.367:
	global_load_u16 v1, v[6:7], off
	s_wait_loadcnt 0x0
	v_cvt_f32_f16_e32 v1, v1
	s_delay_alu instid0(VALU_DEP_1)
	v_cvt_f64_f32_e32 v[8:9], v1
.LBB87_368:
	s_mov_b32 s2, 0
.LBB87_369:
	s_delay_alu instid0(SALU_CYCLE_1)
	s_and_not1_b32 vcc_lo, exec_lo, s2
	s_cbranch_vccnz .LBB87_389
; %bb.370:
	s_cmp_lt_i32 s1, 2
	s_cbranch_scc1 .LBB87_374
; %bb.371:
	s_cmp_lt_i32 s1, 3
	s_cbranch_scc1 .LBB87_375
; %bb.372:
	s_cmp_gt_i32 s1, 3
	s_cbranch_scc0 .LBB87_376
; %bb.373:
	s_wait_loadcnt 0x0
	global_load_b64 v[8:9], v[6:7], off
	s_mov_b32 s2, 0
	s_wait_loadcnt 0x0
	v_cvt_f64_i32_e32 v[10:11], v9
	v_cvt_f64_u32_e32 v[8:9], v8
	s_delay_alu instid0(VALU_DEP_2) | instskip(NEXT) | instid1(VALU_DEP_1)
	v_ldexp_f64 v[10:11], v[10:11], 32
	v_add_f64_e32 v[8:9], v[10:11], v[8:9]
	s_branch .LBB87_377
.LBB87_374:
	s_mov_b32 s2, -1
                                        ; implicit-def: $vgpr8_vgpr9
	s_branch .LBB87_383
.LBB87_375:
	s_mov_b32 s2, -1
                                        ; implicit-def: $vgpr8_vgpr9
	s_branch .LBB87_380
.LBB87_376:
	s_mov_b32 s2, -1
                                        ; implicit-def: $vgpr8_vgpr9
.LBB87_377:
	s_delay_alu instid0(SALU_CYCLE_1)
	s_and_not1_b32 vcc_lo, exec_lo, s2
	s_cbranch_vccnz .LBB87_379
; %bb.378:
	global_load_b32 v1, v[6:7], off
	s_wait_loadcnt 0x0
	v_cvt_f64_i32_e32 v[8:9], v1
.LBB87_379:
	s_mov_b32 s2, 0
.LBB87_380:
	s_delay_alu instid0(SALU_CYCLE_1)
	s_and_not1_b32 vcc_lo, exec_lo, s2
	s_cbranch_vccnz .LBB87_382
; %bb.381:
	global_load_i16 v1, v[6:7], off
	s_wait_loadcnt 0x0
	v_cvt_f64_i32_e32 v[8:9], v1
.LBB87_382:
	s_mov_b32 s2, 0
.LBB87_383:
	s_delay_alu instid0(SALU_CYCLE_1)
	s_and_not1_b32 vcc_lo, exec_lo, s2
	s_cbranch_vccnz .LBB87_389
; %bb.384:
	s_cmp_gt_i32 s1, 0
	s_mov_b32 s1, 0
	s_cbranch_scc0 .LBB87_386
; %bb.385:
	global_load_i8 v1, v[6:7], off
	s_wait_loadcnt 0x0
	v_cvt_f64_i32_e32 v[8:9], v1
	s_branch .LBB87_387
.LBB87_386:
	s_mov_b32 s1, -1
                                        ; implicit-def: $vgpr8_vgpr9
.LBB87_387:
	s_delay_alu instid0(SALU_CYCLE_1)
	s_and_not1_b32 vcc_lo, exec_lo, s1
	s_cbranch_vccnz .LBB87_389
; %bb.388:
	global_load_u8 v1, v[6:7], off
	s_wait_loadcnt 0x0
	v_cvt_f64_u32_e32 v[8:9], v1
.LBB87_389:
	s_branch .LBB87_32
.LBB87_390:
	s_mov_b32 s2, 0
.LBB87_391:
	s_mov_b32 s1, 0
                                        ; implicit-def: $vgpr0
.LBB87_392:
	s_and_b32 s10, s2, exec_lo
	s_and_b32 s41, s29, exec_lo
	;; [unrolled: 1-line block ×3, first 2 shown]
	s_or_not1_b32 s29, s1, exec_lo
.LBB87_393:
	s_wait_xcnt 0x0
	s_or_b32 exec_lo, exec_lo, s43
	s_mov_b32 s45, 0
	s_mov_b32 s28, 0
                                        ; implicit-def: $sgpr2
                                        ; implicit-def: $vgpr8_vgpr9
                                        ; implicit-def: $vgpr6
                                        ; implicit-def: $vgpr2
                                        ; implicit-def: $vgpr4_vgpr5
	s_and_saveexec_b32 s43, s29
	s_cbranch_execz .LBB87_401
; %bb.394:
	s_mov_b32 s48, -1
	s_mov_b32 s44, s42
	s_mov_b32 s46, s41
	;; [unrolled: 1-line block ×3, first 2 shown]
	s_mov_b32 s47, exec_lo
	v_cmpx_gt_i32_e64 s39, v0
	s_cbranch_execz .LBB87_797
; %bb.395:
	s_and_not1_b32 vcc_lo, exec_lo, s34
	s_cbranch_vccnz .LBB87_404
; %bb.396:
	s_and_not1_b32 vcc_lo, exec_lo, s40
	s_cbranch_vccnz .LBB87_405
; %bb.397:
	v_dual_mov_b32 v2, 0 :: v_dual_mov_b32 v1, v0
	s_wait_loadcnt 0x0
	v_dual_mov_b32 v4, 0 :: v_dual_mov_b32 v6, 0
	s_add_co_i32 s1, s38, 1
	s_mov_b64 s[28:29], 0xffffffffffffffe8
	s_and_b32 s1, s1, 30
	s_add_nc_u64 s[28:29], s[20:21], s[28:29]
.LBB87_398:                             ; =>This Inner Loop Header: Depth=1
	s_clause 0x1
	s_load_b128 s[48:51], s[28:29], 0x1c
	s_load_b64 s[44:45], s[28:29], 0x2c
	s_add_co_i32 s1, s1, -2
	s_delay_alu instid0(SALU_CYCLE_1) | instskip(SKIP_2) | instid1(VALU_DEP_1)
	s_cmp_eq_u32 s1, 0
	s_wait_kmcnt 0x0
	v_mul_hi_u32 v3, s49, v1
	v_add_nc_u32_e32 v3, v1, v3
	s_delay_alu instid0(VALU_DEP_1) | instskip(NEXT) | instid1(VALU_DEP_1)
	v_lshrrev_b32_e32 v3, s50, v3
	v_mul_hi_u32 v5, s44, v3
	v_mul_lo_u32 v7, v3, s48
	s_clause 0x1
	s_load_b128 s[52:55], s[28:29], 0xdc
	s_load_b64 s[48:49], s[28:29], 0xec
	s_wait_xcnt 0x0
	s_add_nc_u64 s[28:29], s[28:29], 24
	s_delay_alu instid0(VALU_DEP_1) | instskip(NEXT) | instid1(VALU_DEP_1)
	v_dual_add_nc_u32 v5, v3, v5 :: v_dual_sub_nc_u32 v7, v1, v7
	v_lshrrev_b32_e32 v1, s45, v5
	s_wait_kmcnt 0x0
	s_delay_alu instid0(VALU_DEP_2) | instskip(NEXT) | instid1(VALU_DEP_2)
	v_mad_u32 v2, v7, s52, v2
	v_mul_lo_u32 v5, v1, s51
	v_mad_u32 v6, v7, s54, v6
	v_mad_u32 v4, v7, s53, v4
	s_delay_alu instid0(VALU_DEP_3) | instskip(NEXT) | instid1(VALU_DEP_1)
	v_sub_nc_u32_e32 v3, v3, v5
	v_mad_u32 v2, v3, s55, v2
	s_delay_alu instid0(VALU_DEP_4) | instskip(NEXT) | instid1(VALU_DEP_4)
	v_mad_u32 v6, v3, s49, v6
	v_mad_u32 v4, v3, s48, v4
	s_cbranch_scc0 .LBB87_398
; %bb.399:
	s_bitcmp1_b32 s38, 0
	s_cselect_b32 s1, -1, 0
	s_delay_alu instid0(SALU_CYCLE_1)
	s_and_b32 vcc_lo, exec_lo, s1
	s_cbranch_vccnz .LBB87_406
; %bb.400:
	s_clause 0x1
	s_load_b96 s[44:46], s[28:29], 0x1c
	s_load_b96 s[48:50], s[28:29], 0xdc
	s_wait_kmcnt 0x0
	v_mul_hi_u32 v3, s45, v1
	s_delay_alu instid0(VALU_DEP_1) | instskip(NEXT) | instid1(VALU_DEP_1)
	v_add_nc_u32_e32 v3, v1, v3
	v_lshrrev_b32_e32 v3, s46, v3
	s_delay_alu instid0(VALU_DEP_1) | instskip(NEXT) | instid1(VALU_DEP_1)
	v_mul_lo_u32 v3, v3, s44
	v_sub_nc_u32_e32 v1, v1, v3
	s_delay_alu instid0(VALU_DEP_1)
	v_mad_u32 v2, v1, s48, v2
	v_mad_u32 v4, v1, s49, v4
	v_mad_u32 v6, v1, s50, v6
	s_branch .LBB87_406
.LBB87_401:
	s_or_b32 exec_lo, exec_lo, s43
	s_mov_b32 s1, 0
	s_and_saveexec_b32 s3, s42
	s_cbranch_execnz .LBB87_1297
.LBB87_402:
	s_or_b32 exec_lo, exec_lo, s3
	s_and_saveexec_b32 s3, s23
	s_delay_alu instid0(SALU_CYCLE_1)
	s_xor_b32 s3, exec_lo, s3
	s_cbranch_execz .LBB87_1298
.LBB87_403:
	s_wait_loadcnt 0x0
	global_load_u8 v0, v[8:9], off
	v_mov_b32_e32 v4, 0
	s_or_b32 s28, s28, exec_lo
	s_wait_loadcnt 0x0
	v_cmp_ne_u16_e32 vcc_lo, 0, v0
	v_cndmask_b32_e64 v5, 0, 0x3ff00000, vcc_lo
	s_wait_xcnt 0x0
	s_or_b32 exec_lo, exec_lo, s3
	s_and_saveexec_b32 s3, s45
	s_cbranch_execz .LBB87_1344
	s_branch .LBB87_1299
.LBB87_404:
                                        ; implicit-def: $vgpr6
                                        ; implicit-def: $vgpr4
                                        ; implicit-def: $vgpr2
	s_branch .LBB87_407
.LBB87_405:
	s_wait_loadcnt 0x0
	v_dual_mov_b32 v6, 0 :: v_dual_mov_b32 v4, 0
	v_mov_b32_e32 v2, 0
.LBB87_406:
	s_cbranch_execnz .LBB87_409
.LBB87_407:
	v_mov_b32_e32 v1, 0
	s_and_not1_b32 vcc_lo, exec_lo, s37
	s_delay_alu instid0(VALU_DEP_1) | instskip(NEXT) | instid1(VALU_DEP_1)
	v_mul_u64_e32 v[2:3], s[22:23], v[0:1]
	v_add_nc_u32_e32 v2, v0, v3
	s_wait_loadcnt 0x0
	s_delay_alu instid0(VALU_DEP_1) | instskip(NEXT) | instid1(VALU_DEP_1)
	v_lshrrev_b32_e32 v8, s14, v2
	v_mul_lo_u32 v2, v8, s12
	s_delay_alu instid0(VALU_DEP_1) | instskip(NEXT) | instid1(VALU_DEP_1)
	v_sub_nc_u32_e32 v3, v0, v2
	v_mul_lo_u32 v2, v3, s16
	v_mul_lo_u32 v6, v3, s18
	;; [unrolled: 1-line block ×3, first 2 shown]
	s_cbranch_vccnz .LBB87_409
; %bb.408:
	v_mov_b32_e32 v9, v1
	s_delay_alu instid0(VALU_DEP_1) | instskip(NEXT) | instid1(VALU_DEP_1)
	v_mul_u64_e32 v[10:11], s[26:27], v[8:9]
	v_add_nc_u32_e32 v1, v8, v11
	s_delay_alu instid0(VALU_DEP_1) | instskip(NEXT) | instid1(VALU_DEP_1)
	v_lshrrev_b32_e32 v1, s3, v1
	v_mul_lo_u32 v1, v1, s15
	s_delay_alu instid0(VALU_DEP_1) | instskip(NEXT) | instid1(VALU_DEP_1)
	v_sub_nc_u32_e32 v1, v8, v1
	v_mad_u32 v2, v1, s19, v2
	v_mad_u32 v4, v1, s24, v4
	;; [unrolled: 1-line block ×3, first 2 shown]
.LBB87_409:
	s_wait_loadcnt 0x0
	v_mov_b32_e32 v5, 0
	s_and_b32 s1, s36, 0xff
	s_delay_alu instid0(SALU_CYCLE_1) | instskip(NEXT) | instid1(VALU_DEP_1)
	s_cmp_lt_i32 s1, 11
	v_add_nc_u64_e32 v[8:9], s[6:7], v[4:5]
	s_cbranch_scc1 .LBB87_416
; %bb.410:
	s_and_b32 s2, 0xffff, s1
	s_delay_alu instid0(SALU_CYCLE_1)
	s_cmp_gt_i32 s2, 25
	s_cbranch_scc0 .LBB87_425
; %bb.411:
	s_cmp_gt_i32 s2, 28
	s_cbranch_scc0 .LBB87_427
; %bb.412:
	;; [unrolled: 3-line block ×4, first 2 shown]
	s_cmp_eq_u32 s2, 46
	s_mov_b32 s44, 0
	s_cbranch_scc0 .LBB87_435
; %bb.415:
	global_load_b32 v1, v[8:9], off
	s_mov_b32 s29, -1
	s_mov_b32 s28, 0
	s_wait_loadcnt 0x0
	v_lshlrev_b32_e32 v1, 16, v1
	s_delay_alu instid0(VALU_DEP_1)
	v_cvt_f64_f32_e32 v[4:5], v1
	s_branch .LBB87_437
.LBB87_416:
	s_mov_b32 s29, 0
	s_mov_b32 s28, s42
                                        ; implicit-def: $vgpr4_vgpr5
	s_cbranch_execnz .LBB87_503
.LBB87_417:
	s_and_not1_b32 vcc_lo, exec_lo, s29
	s_cbranch_vccnz .LBB87_551
.LBB87_418:
	v_mov_b32_e32 v7, 0
	s_and_b32 s1, s13, 0xff
	s_delay_alu instid0(SALU_CYCLE_1) | instskip(NEXT) | instid1(VALU_DEP_1)
	s_cmp_lt_i32 s1, 11
	v_add_nc_u64_e32 v[6:7], s[8:9], v[6:7]
	s_cbranch_scc1 .LBB87_426
; %bb.419:
	s_and_b32 s2, 0xffff, s1
	s_delay_alu instid0(SALU_CYCLE_1)
	s_cmp_gt_i32 s2, 25
	s_cbranch_scc0 .LBB87_428
; %bb.420:
	s_cmp_gt_i32 s2, 28
	s_cbranch_scc0 .LBB87_430
; %bb.421:
	;; [unrolled: 3-line block ×4, first 2 shown]
	s_cmp_eq_u32 s2, 46
	s_mov_b32 s45, 0
	s_cbranch_scc0 .LBB87_554
; %bb.424:
	global_load_b32 v1, v[6:7], off
	s_mov_b32 s44, -1
	s_mov_b32 s29, 0
	s_wait_loadcnt 0x0
	v_lshlrev_b32_e32 v1, 16, v1
	s_wait_xcnt 0x1
	s_delay_alu instid0(VALU_DEP_1)
	v_cvt_f64_f32_e32 v[8:9], v1
	s_branch .LBB87_556
.LBB87_425:
	s_mov_b32 s44, -1
	s_mov_b32 s29, 0
	s_mov_b32 s28, s42
                                        ; implicit-def: $vgpr4_vgpr5
	s_branch .LBB87_467
.LBB87_426:
	s_mov_b32 s2, -1
	s_mov_b32 s44, 0
	s_mov_b32 s29, s41
                                        ; implicit-def: $vgpr8_vgpr9
	s_branch .LBB87_621
.LBB87_427:
	s_mov_b32 s44, -1
	s_mov_b32 s29, 0
	s_mov_b32 s28, s42
                                        ; implicit-def: $vgpr4_vgpr5
	s_branch .LBB87_448
.LBB87_428:
	s_mov_b32 s45, -1
	s_mov_b32 s44, 0
	s_mov_b32 s29, s41
                                        ; implicit-def: $vgpr8_vgpr9
	s_branch .LBB87_585
.LBB87_429:
	s_mov_b32 s44, -1
	s_mov_b32 s29, 0
	s_mov_b32 s28, s42
                                        ; implicit-def: $vgpr4_vgpr5
	s_branch .LBB87_443
.LBB87_430:
	s_mov_b32 s45, -1
	s_mov_b32 s44, 0
	s_mov_b32 s29, s41
                                        ; implicit-def: $vgpr8_vgpr9
	s_branch .LBB87_566
.LBB87_431:
	s_mov_b32 s44, -1
	s_mov_b32 s29, 0
	s_mov_b32 s28, s42
	s_branch .LBB87_436
.LBB87_432:
	s_mov_b32 s45, -1
	s_mov_b32 s44, 0
	s_mov_b32 s29, s41
                                        ; implicit-def: $vgpr8_vgpr9
	s_branch .LBB87_561
.LBB87_433:
	s_and_not1_saveexec_b32 s45, s45
	s_cbranch_execz .LBB87_191
.LBB87_434:
	v_add_f32_e32 v1, 0x46000000, v4
	s_and_not1_b32 s44, s44, exec_lo
	s_delay_alu instid0(VALU_DEP_1) | instskip(NEXT) | instid1(VALU_DEP_1)
	v_and_b32_e32 v1, 0xff, v1
	v_cmp_ne_u32_e32 vcc_lo, 0, v1
	s_and_b32 s46, vcc_lo, exec_lo
	s_delay_alu instid0(SALU_CYCLE_1)
	s_or_b32 s44, s44, s46
	s_or_b32 exec_lo, exec_lo, s45
	v_mov_b32_e32 v5, 0
	s_and_saveexec_b32 s45, s44
	s_cbranch_execnz .LBB87_192
	s_branch .LBB87_193
.LBB87_435:
	s_mov_b32 s28, -1
	s_mov_b32 s29, 0
.LBB87_436:
                                        ; implicit-def: $vgpr4_vgpr5
.LBB87_437:
	s_and_b32 vcc_lo, exec_lo, s44
	s_cbranch_vccz .LBB87_442
; %bb.438:
	s_cmp_eq_u32 s2, 44
	s_cbranch_scc0 .LBB87_441
; %bb.439:
	global_load_u8 v1, v[8:9], off
	s_mov_b32 s28, 0
	s_mov_b32 s29, -1
	s_wait_loadcnt 0x0
	v_lshlrev_b32_e32 v3, 23, v1
	v_cmp_ne_u32_e32 vcc_lo, 0xff, v1
	s_delay_alu instid0(VALU_DEP_2) | instskip(NEXT) | instid1(VALU_DEP_1)
	v_cvt_f64_f32_e32 v[4:5], v3
	v_cndmask_b32_e32 v3, 0x20000000, v4, vcc_lo
	s_delay_alu instid0(VALU_DEP_2) | instskip(SKIP_1) | instid1(VALU_DEP_2)
	v_cndmask_b32_e32 v4, 0x7ff80000, v5, vcc_lo
	v_cmp_ne_u32_e32 vcc_lo, 0, v1
	v_cndmask_b32_e32 v5, 0x38000000, v4, vcc_lo
	s_delay_alu instid0(VALU_DEP_4)
	v_cndmask_b32_e32 v4, 0, v3, vcc_lo
	s_branch .LBB87_442
.LBB87_440:
	s_mov_b32 s45, -1
	s_mov_b32 s44, 0
	s_mov_b32 s29, s41
	s_branch .LBB87_555
.LBB87_441:
	s_mov_b32 s28, -1
                                        ; implicit-def: $vgpr4_vgpr5
.LBB87_442:
	s_mov_b32 s44, 0
.LBB87_443:
	s_delay_alu instid0(SALU_CYCLE_1)
	s_and_b32 vcc_lo, exec_lo, s44
	s_cbranch_vccz .LBB87_447
; %bb.444:
	s_cmp_eq_u32 s2, 29
	s_cbranch_scc0 .LBB87_446
; %bb.445:
	global_load_b64 v[4:5], v[8:9], off
	s_mov_b32 s29, -1
	s_mov_b32 s28, 0
	s_mov_b32 s44, 0
	s_wait_loadcnt 0x0
	v_cvt_f64_u32_e32 v[10:11], v5
	v_cvt_f64_u32_e32 v[4:5], v4
	s_delay_alu instid0(VALU_DEP_2) | instskip(NEXT) | instid1(VALU_DEP_1)
	v_ldexp_f64 v[10:11], v[10:11], 32
	v_add_f64_e32 v[4:5], v[10:11], v[4:5]
	s_branch .LBB87_448
.LBB87_446:
	s_mov_b32 s28, -1
                                        ; implicit-def: $vgpr4_vgpr5
.LBB87_447:
	s_mov_b32 s44, 0
.LBB87_448:
	s_delay_alu instid0(SALU_CYCLE_1)
	s_and_b32 vcc_lo, exec_lo, s44
	s_cbranch_vccz .LBB87_466
; %bb.449:
	s_cmp_lt_i32 s2, 27
	s_cbranch_scc1 .LBB87_452
; %bb.450:
	s_cmp_gt_i32 s2, 27
	s_cbranch_scc0 .LBB87_453
; %bb.451:
	global_load_b32 v1, v[8:9], off
	s_mov_b32 s29, 0
	s_wait_loadcnt 0x0
	v_cvt_f64_u32_e32 v[4:5], v1
	s_branch .LBB87_454
.LBB87_452:
	s_mov_b32 s29, -1
                                        ; implicit-def: $vgpr4_vgpr5
	s_branch .LBB87_457
.LBB87_453:
	s_mov_b32 s29, -1
                                        ; implicit-def: $vgpr4_vgpr5
.LBB87_454:
	s_delay_alu instid0(SALU_CYCLE_1)
	s_and_not1_b32 vcc_lo, exec_lo, s29
	s_cbranch_vccnz .LBB87_456
; %bb.455:
	global_load_u16 v1, v[8:9], off
	s_wait_loadcnt 0x0
	v_cvt_f64_u32_e32 v[4:5], v1
.LBB87_456:
	s_mov_b32 s29, 0
.LBB87_457:
	s_delay_alu instid0(SALU_CYCLE_1)
	s_and_not1_b32 vcc_lo, exec_lo, s29
	s_cbranch_vccnz .LBB87_465
; %bb.458:
	global_load_u8 v1, v[8:9], off
	s_mov_b32 s29, 0
	s_mov_b32 s44, exec_lo
	s_wait_loadcnt 0x0
	v_cmpx_lt_i16_e32 0x7f, v1
	s_xor_b32 s44, exec_lo, s44
	s_cbranch_execz .LBB87_479
; %bb.459:
	s_mov_b32 s29, -1
	s_mov_b32 s45, exec_lo
	v_cmpx_eq_u16_e32 0x80, v1
; %bb.460:
	s_xor_b32 s29, exec_lo, -1
; %bb.461:
	s_or_b32 exec_lo, exec_lo, s45
	s_delay_alu instid0(SALU_CYCLE_1)
	s_and_b32 s29, s29, exec_lo
	s_or_saveexec_b32 s44, s44
	v_mov_b64_e32 v[4:5], 0x7ff8000020000000
	s_xor_b32 exec_lo, exec_lo, s44
	s_cbranch_execnz .LBB87_480
.LBB87_462:
	s_or_b32 exec_lo, exec_lo, s44
	s_and_saveexec_b32 s44, s29
	s_cbranch_execz .LBB87_464
.LBB87_463:
	v_and_b32_e32 v3, 0xffff, v1
	s_delay_alu instid0(VALU_DEP_1) | instskip(SKIP_1) | instid1(VALU_DEP_2)
	v_and_b32_e32 v4, 7, v3
	v_bfe_u32 v10, v3, 3, 4
	v_clz_i32_u32_e32 v5, v4
	s_delay_alu instid0(VALU_DEP_2) | instskip(NEXT) | instid1(VALU_DEP_2)
	v_cmp_eq_u32_e32 vcc_lo, 0, v10
	v_min_u32_e32 v5, 32, v5
	s_delay_alu instid0(VALU_DEP_1) | instskip(NEXT) | instid1(VALU_DEP_1)
	v_subrev_nc_u32_e32 v7, 28, v5
	v_dual_lshlrev_b32 v3, v7, v3 :: v_dual_sub_nc_u32 v5, 29, v5
	s_delay_alu instid0(VALU_DEP_1) | instskip(NEXT) | instid1(VALU_DEP_1)
	v_dual_lshlrev_b32 v1, 24, v1 :: v_dual_bitop2_b32 v3, 7, v3 bitop3:0x40
	v_dual_cndmask_b32 v3, v4, v3, vcc_lo :: v_dual_cndmask_b32 v5, v10, v5, vcc_lo
	s_delay_alu instid0(VALU_DEP_2) | instskip(NEXT) | instid1(VALU_DEP_2)
	v_and_b32_e32 v1, 0x80000000, v1
	v_lshlrev_b32_e32 v3, 20, v3
	s_delay_alu instid0(VALU_DEP_3) | instskip(NEXT) | instid1(VALU_DEP_1)
	v_lshl_add_u32 v4, v5, 23, 0x3b800000
	v_or3_b32 v1, v1, v4, v3
	s_delay_alu instid0(VALU_DEP_1)
	v_cvt_f64_f32_e32 v[4:5], v1
.LBB87_464:
	s_or_b32 exec_lo, exec_lo, s44
.LBB87_465:
	s_mov_b32 s29, -1
.LBB87_466:
	s_mov_b32 s44, 0
.LBB87_467:
	s_delay_alu instid0(SALU_CYCLE_1)
	s_and_b32 vcc_lo, exec_lo, s44
	s_cbranch_vccz .LBB87_502
; %bb.468:
	s_cmp_gt_i32 s2, 22
	s_cbranch_scc0 .LBB87_478
; %bb.469:
	s_cmp_lt_i32 s2, 24
	s_cbranch_scc1 .LBB87_481
; %bb.470:
	s_cmp_gt_i32 s2, 24
	s_cbranch_scc0 .LBB87_482
; %bb.471:
	global_load_u8 v1, v[8:9], off
	s_mov_b32 s29, 0
	s_mov_b32 s44, exec_lo
	s_wait_loadcnt 0x0
	v_cmpx_lt_i16_e32 0x7f, v1
	s_xor_b32 s44, exec_lo, s44
	s_cbranch_execz .LBB87_494
; %bb.472:
	s_mov_b32 s29, -1
	s_mov_b32 s45, exec_lo
	v_cmpx_eq_u16_e32 0x80, v1
; %bb.473:
	s_xor_b32 s29, exec_lo, -1
; %bb.474:
	s_or_b32 exec_lo, exec_lo, s45
	s_delay_alu instid0(SALU_CYCLE_1)
	s_and_b32 s29, s29, exec_lo
	s_or_saveexec_b32 s44, s44
	v_mov_b64_e32 v[4:5], 0x7ff8000020000000
	s_xor_b32 exec_lo, exec_lo, s44
	s_cbranch_execnz .LBB87_495
.LBB87_475:
	s_or_b32 exec_lo, exec_lo, s44
	s_and_saveexec_b32 s44, s29
	s_cbranch_execz .LBB87_477
.LBB87_476:
	v_and_b32_e32 v3, 0xffff, v1
	s_delay_alu instid0(VALU_DEP_1) | instskip(SKIP_1) | instid1(VALU_DEP_2)
	v_and_b32_e32 v4, 3, v3
	v_bfe_u32 v10, v3, 2, 5
	v_clz_i32_u32_e32 v5, v4
	s_delay_alu instid0(VALU_DEP_2) | instskip(NEXT) | instid1(VALU_DEP_2)
	v_cmp_eq_u32_e32 vcc_lo, 0, v10
	v_min_u32_e32 v5, 32, v5
	s_delay_alu instid0(VALU_DEP_1) | instskip(NEXT) | instid1(VALU_DEP_1)
	v_subrev_nc_u32_e32 v7, 29, v5
	v_dual_lshlrev_b32 v3, v7, v3 :: v_dual_sub_nc_u32 v5, 30, v5
	s_delay_alu instid0(VALU_DEP_1) | instskip(NEXT) | instid1(VALU_DEP_1)
	v_dual_lshlrev_b32 v1, 24, v1 :: v_dual_bitop2_b32 v3, 3, v3 bitop3:0x40
	v_dual_cndmask_b32 v3, v4, v3, vcc_lo :: v_dual_cndmask_b32 v5, v10, v5, vcc_lo
	s_delay_alu instid0(VALU_DEP_2) | instskip(NEXT) | instid1(VALU_DEP_2)
	v_and_b32_e32 v1, 0x80000000, v1
	v_lshlrev_b32_e32 v3, 21, v3
	s_delay_alu instid0(VALU_DEP_3) | instskip(NEXT) | instid1(VALU_DEP_1)
	v_lshl_add_u32 v4, v5, 23, 0x37800000
	v_or3_b32 v1, v1, v4, v3
	s_delay_alu instid0(VALU_DEP_1)
	v_cvt_f64_f32_e32 v[4:5], v1
.LBB87_477:
	s_or_b32 exec_lo, exec_lo, s44
	s_mov_b32 s29, 0
	s_branch .LBB87_483
.LBB87_478:
	s_mov_b32 s44, -1
                                        ; implicit-def: $vgpr4_vgpr5
	s_branch .LBB87_489
.LBB87_479:
	s_or_saveexec_b32 s44, s44
	v_mov_b64_e32 v[4:5], 0x7ff8000020000000
	s_xor_b32 exec_lo, exec_lo, s44
	s_cbranch_execz .LBB87_462
.LBB87_480:
	v_cmp_ne_u16_e32 vcc_lo, 0, v1
	v_mov_b64_e32 v[4:5], 0
	s_and_not1_b32 s29, s29, exec_lo
	s_and_b32 s45, vcc_lo, exec_lo
	s_delay_alu instid0(SALU_CYCLE_1)
	s_or_b32 s29, s29, s45
	s_or_b32 exec_lo, exec_lo, s44
	s_and_saveexec_b32 s44, s29
	s_cbranch_execnz .LBB87_463
	s_branch .LBB87_464
.LBB87_481:
	s_mov_b32 s29, -1
                                        ; implicit-def: $vgpr4_vgpr5
	s_branch .LBB87_486
.LBB87_482:
	s_mov_b32 s29, -1
                                        ; implicit-def: $vgpr4_vgpr5
.LBB87_483:
	s_delay_alu instid0(SALU_CYCLE_1)
	s_and_b32 vcc_lo, exec_lo, s29
	s_cbranch_vccz .LBB87_485
; %bb.484:
	global_load_u8 v1, v[8:9], off
	s_wait_loadcnt 0x0
	v_lshlrev_b32_e32 v1, 24, v1
	s_delay_alu instid0(VALU_DEP_1) | instskip(NEXT) | instid1(VALU_DEP_1)
	v_and_b32_e32 v3, 0x7f000000, v1
	v_clz_i32_u32_e32 v4, v3
	v_add_nc_u32_e32 v7, 0x1000000, v3
	v_cmp_ne_u32_e32 vcc_lo, 0, v3
	s_delay_alu instid0(VALU_DEP_3) | instskip(NEXT) | instid1(VALU_DEP_1)
	v_min_u32_e32 v4, 32, v4
	v_sub_nc_u32_e64 v4, v4, 4 clamp
	s_delay_alu instid0(VALU_DEP_1) | instskip(NEXT) | instid1(VALU_DEP_1)
	v_dual_lshlrev_b32 v5, v4, v3 :: v_dual_lshlrev_b32 v4, 23, v4
	v_lshrrev_b32_e32 v5, 4, v5
	s_delay_alu instid0(VALU_DEP_1) | instskip(NEXT) | instid1(VALU_DEP_1)
	v_dual_sub_nc_u32 v4, v5, v4 :: v_dual_ashrrev_i32 v5, 8, v7
	v_add_nc_u32_e32 v4, 0x3c000000, v4
	s_delay_alu instid0(VALU_DEP_1) | instskip(NEXT) | instid1(VALU_DEP_1)
	v_and_or_b32 v4, 0x7f800000, v5, v4
	v_cndmask_b32_e32 v3, 0, v4, vcc_lo
	s_delay_alu instid0(VALU_DEP_1) | instskip(NEXT) | instid1(VALU_DEP_1)
	v_and_or_b32 v1, 0x80000000, v1, v3
	v_cvt_f64_f32_e32 v[4:5], v1
.LBB87_485:
	s_mov_b32 s29, 0
.LBB87_486:
	s_delay_alu instid0(SALU_CYCLE_1)
	s_and_not1_b32 vcc_lo, exec_lo, s29
	s_cbranch_vccnz .LBB87_488
; %bb.487:
	global_load_u8 v1, v[8:9], off
	s_wait_loadcnt 0x0
	v_lshlrev_b32_e32 v3, 25, v1
	v_lshlrev_b16 v1, 8, v1
	s_delay_alu instid0(VALU_DEP_1) | instskip(NEXT) | instid1(VALU_DEP_3)
	v_and_or_b32 v5, 0x7f00, v1, 0.5
	v_lshrrev_b32_e32 v4, 4, v3
	v_bfe_i32 v1, v1, 0, 16
	s_delay_alu instid0(VALU_DEP_3) | instskip(NEXT) | instid1(VALU_DEP_3)
	v_add_f32_e32 v5, -0.5, v5
	v_or_b32_e32 v4, 0x70000000, v4
	s_delay_alu instid0(VALU_DEP_1) | instskip(SKIP_1) | instid1(VALU_DEP_2)
	v_mul_f32_e32 v4, 0x7800000, v4
	v_cmp_gt_u32_e32 vcc_lo, 0x8000000, v3
	v_cndmask_b32_e32 v3, v4, v5, vcc_lo
	s_delay_alu instid0(VALU_DEP_1) | instskip(NEXT) | instid1(VALU_DEP_1)
	v_and_or_b32 v1, 0x80000000, v1, v3
	v_cvt_f64_f32_e32 v[4:5], v1
.LBB87_488:
	s_mov_b32 s44, 0
	s_mov_b32 s29, -1
.LBB87_489:
	s_and_not1_b32 vcc_lo, exec_lo, s44
	s_cbranch_vccnz .LBB87_502
; %bb.490:
	s_cmp_gt_i32 s2, 14
	s_cbranch_scc0 .LBB87_493
; %bb.491:
	s_cmp_eq_u32 s2, 15
	s_cbranch_scc0 .LBB87_496
; %bb.492:
	global_load_u16 v1, v[8:9], off
	s_mov_b32 s29, -1
	s_mov_b32 s28, 0
	s_wait_loadcnt 0x0
	v_lshlrev_b32_e32 v1, 16, v1
	s_delay_alu instid0(VALU_DEP_1)
	v_cvt_f64_f32_e32 v[4:5], v1
	s_branch .LBB87_497
.LBB87_493:
	s_mov_b32 s44, -1
                                        ; implicit-def: $vgpr4_vgpr5
	s_branch .LBB87_498
.LBB87_494:
	s_or_saveexec_b32 s44, s44
	v_mov_b64_e32 v[4:5], 0x7ff8000020000000
	s_xor_b32 exec_lo, exec_lo, s44
	s_cbranch_execz .LBB87_475
.LBB87_495:
	v_cmp_ne_u16_e32 vcc_lo, 0, v1
	v_mov_b64_e32 v[4:5], 0
	s_and_not1_b32 s29, s29, exec_lo
	s_and_b32 s45, vcc_lo, exec_lo
	s_delay_alu instid0(SALU_CYCLE_1)
	s_or_b32 s29, s29, s45
	s_or_b32 exec_lo, exec_lo, s44
	s_and_saveexec_b32 s44, s29
	s_cbranch_execnz .LBB87_476
	s_branch .LBB87_477
.LBB87_496:
	s_mov_b32 s28, -1
                                        ; implicit-def: $vgpr4_vgpr5
.LBB87_497:
	s_mov_b32 s44, 0
.LBB87_498:
	s_delay_alu instid0(SALU_CYCLE_1)
	s_and_b32 vcc_lo, exec_lo, s44
	s_cbranch_vccz .LBB87_502
; %bb.499:
	s_cmp_eq_u32 s2, 11
	s_cbranch_scc0 .LBB87_501
; %bb.500:
	global_load_u8 v1, v[8:9], off
	v_mov_b32_e32 v4, 0
	s_mov_b32 s28, 0
	s_mov_b32 s29, -1
	s_wait_loadcnt 0x0
	v_cmp_ne_u16_e32 vcc_lo, 0, v1
	v_cndmask_b32_e64 v5, 0, 0x3ff00000, vcc_lo
	s_branch .LBB87_502
.LBB87_501:
	s_mov_b32 s28, -1
                                        ; implicit-def: $vgpr4_vgpr5
.LBB87_502:
	s_branch .LBB87_417
.LBB87_503:
	s_and_b32 s1, 0xffff, s1
	s_delay_alu instid0(SALU_CYCLE_1)
	s_cmp_lt_i32 s1, 5
	s_cbranch_scc1 .LBB87_508
; %bb.504:
	s_cmp_lt_i32 s1, 8
	s_cbranch_scc1 .LBB87_509
; %bb.505:
	s_cmp_lt_i32 s1, 9
	s_cbranch_scc1 .LBB87_510
; %bb.506:
	s_cmp_gt_i32 s1, 9
	s_cbranch_scc0 .LBB87_511
; %bb.507:
	global_load_b64 v[4:5], v[8:9], off
	s_mov_b32 s2, 0
	s_branch .LBB87_512
.LBB87_508:
	s_mov_b32 s2, -1
                                        ; implicit-def: $vgpr4_vgpr5
	s_branch .LBB87_530
.LBB87_509:
	s_mov_b32 s2, -1
                                        ; implicit-def: $vgpr4_vgpr5
	s_branch .LBB87_518
.LBB87_510:
	s_mov_b32 s2, -1
                                        ; implicit-def: $vgpr4_vgpr5
	s_branch .LBB87_515
.LBB87_511:
	s_mov_b32 s2, -1
                                        ; implicit-def: $vgpr4_vgpr5
.LBB87_512:
	s_delay_alu instid0(SALU_CYCLE_1)
	s_and_not1_b32 vcc_lo, exec_lo, s2
	s_cbranch_vccnz .LBB87_514
; %bb.513:
	global_load_b32 v1, v[8:9], off
	s_wait_loadcnt 0x0
	v_cvt_f64_f32_e32 v[4:5], v1
.LBB87_514:
	s_mov_b32 s2, 0
.LBB87_515:
	s_delay_alu instid0(SALU_CYCLE_1)
	s_and_not1_b32 vcc_lo, exec_lo, s2
	s_cbranch_vccnz .LBB87_517
; %bb.516:
	global_load_b32 v1, v[8:9], off
	s_wait_loadcnt 0x0
	v_cvt_f32_f16_e32 v1, v1
	s_delay_alu instid0(VALU_DEP_1)
	v_cvt_f64_f32_e32 v[4:5], v1
.LBB87_517:
	s_mov_b32 s2, 0
.LBB87_518:
	s_delay_alu instid0(SALU_CYCLE_1)
	s_and_not1_b32 vcc_lo, exec_lo, s2
	s_cbranch_vccnz .LBB87_529
; %bb.519:
	s_cmp_lt_i32 s1, 6
	s_cbranch_scc1 .LBB87_522
; %bb.520:
	s_cmp_gt_i32 s1, 6
	s_cbranch_scc0 .LBB87_523
; %bb.521:
	s_wait_loadcnt 0x0
	global_load_b64 v[4:5], v[8:9], off
	s_mov_b32 s2, 0
	s_branch .LBB87_524
.LBB87_522:
	s_mov_b32 s2, -1
                                        ; implicit-def: $vgpr4_vgpr5
	s_branch .LBB87_527
.LBB87_523:
	s_mov_b32 s2, -1
                                        ; implicit-def: $vgpr4_vgpr5
.LBB87_524:
	s_delay_alu instid0(SALU_CYCLE_1)
	s_and_not1_b32 vcc_lo, exec_lo, s2
	s_cbranch_vccnz .LBB87_526
; %bb.525:
	global_load_b32 v1, v[8:9], off
	s_wait_loadcnt 0x0
	v_cvt_f64_f32_e32 v[4:5], v1
.LBB87_526:
	s_mov_b32 s2, 0
.LBB87_527:
	s_delay_alu instid0(SALU_CYCLE_1)
	s_and_not1_b32 vcc_lo, exec_lo, s2
	s_cbranch_vccnz .LBB87_529
; %bb.528:
	global_load_u16 v1, v[8:9], off
	s_wait_loadcnt 0x0
	v_cvt_f32_f16_e32 v1, v1
	s_delay_alu instid0(VALU_DEP_1)
	v_cvt_f64_f32_e32 v[4:5], v1
.LBB87_529:
	s_mov_b32 s2, 0
.LBB87_530:
	s_delay_alu instid0(SALU_CYCLE_1)
	s_and_not1_b32 vcc_lo, exec_lo, s2
	s_cbranch_vccnz .LBB87_550
; %bb.531:
	s_cmp_lt_i32 s1, 2
	s_cbranch_scc1 .LBB87_535
; %bb.532:
	s_cmp_lt_i32 s1, 3
	s_cbranch_scc1 .LBB87_536
; %bb.533:
	s_cmp_gt_i32 s1, 3
	s_cbranch_scc0 .LBB87_537
; %bb.534:
	s_wait_loadcnt 0x0
	global_load_b64 v[4:5], v[8:9], off
	s_mov_b32 s2, 0
	s_wait_loadcnt 0x0
	v_cvt_f64_i32_e32 v[10:11], v5
	v_cvt_f64_u32_e32 v[4:5], v4
	s_delay_alu instid0(VALU_DEP_2) | instskip(NEXT) | instid1(VALU_DEP_1)
	v_ldexp_f64 v[10:11], v[10:11], 32
	v_add_f64_e32 v[4:5], v[10:11], v[4:5]
	s_branch .LBB87_538
.LBB87_535:
	s_mov_b32 s2, -1
                                        ; implicit-def: $vgpr4_vgpr5
	s_branch .LBB87_544
.LBB87_536:
	s_mov_b32 s2, -1
                                        ; implicit-def: $vgpr4_vgpr5
	s_branch .LBB87_541
.LBB87_537:
	s_mov_b32 s2, -1
                                        ; implicit-def: $vgpr4_vgpr5
.LBB87_538:
	s_delay_alu instid0(SALU_CYCLE_1)
	s_and_not1_b32 vcc_lo, exec_lo, s2
	s_cbranch_vccnz .LBB87_540
; %bb.539:
	global_load_b32 v1, v[8:9], off
	s_wait_loadcnt 0x0
	v_cvt_f64_i32_e32 v[4:5], v1
.LBB87_540:
	s_mov_b32 s2, 0
.LBB87_541:
	s_delay_alu instid0(SALU_CYCLE_1)
	s_and_not1_b32 vcc_lo, exec_lo, s2
	s_cbranch_vccnz .LBB87_543
; %bb.542:
	global_load_i16 v1, v[8:9], off
	s_wait_loadcnt 0x0
	v_cvt_f64_i32_e32 v[4:5], v1
.LBB87_543:
	s_mov_b32 s2, 0
.LBB87_544:
	s_delay_alu instid0(SALU_CYCLE_1)
	s_and_not1_b32 vcc_lo, exec_lo, s2
	s_cbranch_vccnz .LBB87_550
; %bb.545:
	s_cmp_gt_i32 s1, 0
	s_mov_b32 s1, 0
	s_cbranch_scc0 .LBB87_547
; %bb.546:
	global_load_i8 v1, v[8:9], off
	s_wait_loadcnt 0x0
	v_cvt_f64_i32_e32 v[4:5], v1
	s_branch .LBB87_548
.LBB87_547:
	s_mov_b32 s1, -1
                                        ; implicit-def: $vgpr4_vgpr5
.LBB87_548:
	s_delay_alu instid0(SALU_CYCLE_1)
	s_and_not1_b32 vcc_lo, exec_lo, s1
	s_cbranch_vccnz .LBB87_550
; %bb.549:
	global_load_u8 v1, v[8:9], off
	s_wait_loadcnt 0x0
	v_cvt_f64_u32_e32 v[4:5], v1
.LBB87_550:
	s_branch .LBB87_418
.LBB87_551:
	s_mov_b32 s1, 0
	s_mov_b32 s2, s10
	;; [unrolled: 1-line block ×3, first 2 shown]
	s_branch .LBB87_795
.LBB87_552:
	s_and_not1_saveexec_b32 s45, s45
	s_cbranch_execz .LBB87_204
.LBB87_553:
	v_add_f32_e32 v1, 0x42800000, v4
	s_and_not1_b32 s44, s44, exec_lo
	s_delay_alu instid0(VALU_DEP_1) | instskip(NEXT) | instid1(VALU_DEP_1)
	v_and_b32_e32 v1, 0xff, v1
	v_cmp_ne_u32_e32 vcc_lo, 0, v1
	s_and_b32 s46, vcc_lo, exec_lo
	s_delay_alu instid0(SALU_CYCLE_1)
	s_or_b32 s44, s44, s46
	s_or_b32 exec_lo, exec_lo, s45
	v_mov_b32_e32 v5, 0
	s_and_saveexec_b32 s45, s44
	s_cbranch_execnz .LBB87_205
	s_branch .LBB87_206
.LBB87_554:
	s_mov_b32 s29, -1
	s_mov_b32 s44, 0
.LBB87_555:
                                        ; implicit-def: $vgpr8_vgpr9
.LBB87_556:
	s_and_b32 vcc_lo, exec_lo, s45
	s_cbranch_vccz .LBB87_560
; %bb.557:
	s_cmp_eq_u32 s2, 44
	s_cbranch_scc0 .LBB87_559
; %bb.558:
	global_load_u8 v1, v[6:7], off
	s_mov_b32 s29, 0
	s_mov_b32 s44, -1
	s_wait_loadcnt 0x0
	v_lshlrev_b32_e32 v3, 23, v1
	v_cmp_ne_u32_e32 vcc_lo, 0xff, v1
	s_wait_xcnt 0x1
	s_delay_alu instid0(VALU_DEP_2) | instskip(NEXT) | instid1(VALU_DEP_1)
	v_cvt_f64_f32_e32 v[8:9], v3
	v_cndmask_b32_e32 v3, 0x20000000, v8, vcc_lo
	s_delay_alu instid0(VALU_DEP_2) | instskip(SKIP_1) | instid1(VALU_DEP_2)
	v_cndmask_b32_e32 v8, 0x7ff80000, v9, vcc_lo
	v_cmp_ne_u32_e32 vcc_lo, 0, v1
	v_cndmask_b32_e32 v9, 0x38000000, v8, vcc_lo
	s_delay_alu instid0(VALU_DEP_4)
	v_cndmask_b32_e32 v8, 0, v3, vcc_lo
	s_branch .LBB87_560
.LBB87_559:
	s_mov_b32 s29, -1
                                        ; implicit-def: $vgpr8_vgpr9
.LBB87_560:
	s_mov_b32 s45, 0
.LBB87_561:
	s_delay_alu instid0(SALU_CYCLE_1)
	s_and_b32 vcc_lo, exec_lo, s45
	s_cbranch_vccz .LBB87_565
; %bb.562:
	s_cmp_eq_u32 s2, 29
	s_cbranch_scc0 .LBB87_564
; %bb.563:
	global_load_b64 v[8:9], v[6:7], off
	s_mov_b32 s44, -1
	s_mov_b32 s29, 0
	s_mov_b32 s45, 0
	s_wait_loadcnt 0x0
	v_cvt_f64_u32_e32 v[10:11], v9
	v_cvt_f64_u32_e32 v[8:9], v8
	s_delay_alu instid0(VALU_DEP_2) | instskip(NEXT) | instid1(VALU_DEP_1)
	v_ldexp_f64 v[10:11], v[10:11], 32
	v_add_f64_e32 v[8:9], v[10:11], v[8:9]
	s_branch .LBB87_566
.LBB87_564:
	s_mov_b32 s29, -1
                                        ; implicit-def: $vgpr8_vgpr9
.LBB87_565:
	s_mov_b32 s45, 0
.LBB87_566:
	s_delay_alu instid0(SALU_CYCLE_1)
	s_and_b32 vcc_lo, exec_lo, s45
	s_cbranch_vccz .LBB87_584
; %bb.567:
	s_cmp_lt_i32 s2, 27
	s_cbranch_scc1 .LBB87_570
; %bb.568:
	s_cmp_gt_i32 s2, 27
	s_cbranch_scc0 .LBB87_571
; %bb.569:
	global_load_b32 v1, v[6:7], off
	s_mov_b32 s44, 0
	s_wait_loadcnt 0x0
	s_wait_xcnt 0x1
	v_cvt_f64_u32_e32 v[8:9], v1
	s_branch .LBB87_572
.LBB87_570:
	s_mov_b32 s44, -1
                                        ; implicit-def: $vgpr8_vgpr9
	s_branch .LBB87_575
.LBB87_571:
	s_mov_b32 s44, -1
                                        ; implicit-def: $vgpr8_vgpr9
.LBB87_572:
	s_delay_alu instid0(SALU_CYCLE_1)
	s_and_not1_b32 vcc_lo, exec_lo, s44
	s_cbranch_vccnz .LBB87_574
; %bb.573:
	global_load_u16 v1, v[6:7], off
	s_wait_loadcnt 0x0
	s_wait_xcnt 0x1
	v_cvt_f64_u32_e32 v[8:9], v1
.LBB87_574:
	s_mov_b32 s44, 0
.LBB87_575:
	s_delay_alu instid0(SALU_CYCLE_1)
	s_and_not1_b32 vcc_lo, exec_lo, s44
	s_cbranch_vccnz .LBB87_583
; %bb.576:
	global_load_u8 v1, v[6:7], off
	s_mov_b32 s44, 0
	s_mov_b32 s45, exec_lo
	s_wait_loadcnt 0x0
	v_cmpx_lt_i16_e32 0x7f, v1
	s_xor_b32 s45, exec_lo, s45
	s_cbranch_execz .LBB87_597
; %bb.577:
	s_mov_b32 s44, -1
	s_mov_b32 s46, exec_lo
	v_cmpx_eq_u16_e32 0x80, v1
; %bb.578:
	s_xor_b32 s44, exec_lo, -1
; %bb.579:
	s_or_b32 exec_lo, exec_lo, s46
	s_delay_alu instid0(SALU_CYCLE_1)
	s_and_b32 s44, s44, exec_lo
	s_or_saveexec_b32 s45, s45
	v_mov_b64_e32 v[8:9], 0x7ff8000020000000
	s_xor_b32 exec_lo, exec_lo, s45
	s_cbranch_execnz .LBB87_598
.LBB87_580:
	s_or_b32 exec_lo, exec_lo, s45
	s_and_saveexec_b32 s45, s44
	s_cbranch_execz .LBB87_582
.LBB87_581:
	v_and_b32_e32 v3, 0xffff, v1
	s_delay_alu instid0(VALU_DEP_1) | instskip(SKIP_1) | instid1(VALU_DEP_2)
	v_and_b32_e32 v8, 7, v3
	v_bfe_u32 v11, v3, 3, 4
	v_clz_i32_u32_e32 v9, v8
	s_delay_alu instid0(VALU_DEP_2) | instskip(NEXT) | instid1(VALU_DEP_2)
	v_cmp_eq_u32_e32 vcc_lo, 0, v11
	v_min_u32_e32 v9, 32, v9
	s_delay_alu instid0(VALU_DEP_1) | instskip(NEXT) | instid1(VALU_DEP_1)
	v_subrev_nc_u32_e32 v10, 28, v9
	v_dual_lshlrev_b32 v3, v10, v3 :: v_dual_sub_nc_u32 v9, 29, v9
	s_delay_alu instid0(VALU_DEP_1) | instskip(NEXT) | instid1(VALU_DEP_1)
	v_dual_lshlrev_b32 v1, 24, v1 :: v_dual_bitop2_b32 v3, 7, v3 bitop3:0x40
	v_dual_cndmask_b32 v3, v8, v3, vcc_lo :: v_dual_cndmask_b32 v9, v11, v9, vcc_lo
	s_delay_alu instid0(VALU_DEP_2) | instskip(NEXT) | instid1(VALU_DEP_2)
	v_and_b32_e32 v1, 0x80000000, v1
	v_lshlrev_b32_e32 v3, 20, v3
	s_delay_alu instid0(VALU_DEP_3) | instskip(NEXT) | instid1(VALU_DEP_1)
	v_lshl_add_u32 v8, v9, 23, 0x3b800000
	v_or3_b32 v1, v1, v8, v3
	s_delay_alu instid0(VALU_DEP_1)
	v_cvt_f64_f32_e32 v[8:9], v1
.LBB87_582:
	s_or_b32 exec_lo, exec_lo, s45
.LBB87_583:
	s_mov_b32 s44, -1
.LBB87_584:
	s_mov_b32 s45, 0
.LBB87_585:
	s_delay_alu instid0(SALU_CYCLE_1)
	s_and_b32 vcc_lo, exec_lo, s45
	s_cbranch_vccz .LBB87_620
; %bb.586:
	s_cmp_gt_i32 s2, 22
	s_cbranch_scc0 .LBB87_596
; %bb.587:
	s_cmp_lt_i32 s2, 24
	s_cbranch_scc1 .LBB87_599
; %bb.588:
	s_cmp_gt_i32 s2, 24
	s_cbranch_scc0 .LBB87_600
; %bb.589:
	global_load_u8 v1, v[6:7], off
	s_mov_b32 s44, 0
	s_mov_b32 s45, exec_lo
	s_wait_loadcnt 0x0
	v_cmpx_lt_i16_e32 0x7f, v1
	s_xor_b32 s45, exec_lo, s45
	s_cbranch_execz .LBB87_612
; %bb.590:
	s_mov_b32 s44, -1
	s_mov_b32 s46, exec_lo
	v_cmpx_eq_u16_e32 0x80, v1
; %bb.591:
	s_xor_b32 s44, exec_lo, -1
; %bb.592:
	s_or_b32 exec_lo, exec_lo, s46
	s_delay_alu instid0(SALU_CYCLE_1)
	s_and_b32 s44, s44, exec_lo
	s_or_saveexec_b32 s45, s45
	v_mov_b64_e32 v[8:9], 0x7ff8000020000000
	s_xor_b32 exec_lo, exec_lo, s45
	s_cbranch_execnz .LBB87_613
.LBB87_593:
	s_or_b32 exec_lo, exec_lo, s45
	s_and_saveexec_b32 s45, s44
	s_cbranch_execz .LBB87_595
.LBB87_594:
	v_and_b32_e32 v3, 0xffff, v1
	s_delay_alu instid0(VALU_DEP_1) | instskip(SKIP_1) | instid1(VALU_DEP_2)
	v_and_b32_e32 v8, 3, v3
	v_bfe_u32 v11, v3, 2, 5
	v_clz_i32_u32_e32 v9, v8
	s_delay_alu instid0(VALU_DEP_2) | instskip(NEXT) | instid1(VALU_DEP_2)
	v_cmp_eq_u32_e32 vcc_lo, 0, v11
	v_min_u32_e32 v9, 32, v9
	s_delay_alu instid0(VALU_DEP_1) | instskip(NEXT) | instid1(VALU_DEP_1)
	v_subrev_nc_u32_e32 v10, 29, v9
	v_dual_lshlrev_b32 v3, v10, v3 :: v_dual_sub_nc_u32 v9, 30, v9
	s_delay_alu instid0(VALU_DEP_1) | instskip(NEXT) | instid1(VALU_DEP_1)
	v_dual_lshlrev_b32 v1, 24, v1 :: v_dual_bitop2_b32 v3, 3, v3 bitop3:0x40
	v_dual_cndmask_b32 v3, v8, v3, vcc_lo :: v_dual_cndmask_b32 v9, v11, v9, vcc_lo
	s_delay_alu instid0(VALU_DEP_2) | instskip(NEXT) | instid1(VALU_DEP_2)
	v_and_b32_e32 v1, 0x80000000, v1
	v_lshlrev_b32_e32 v3, 21, v3
	s_delay_alu instid0(VALU_DEP_3) | instskip(NEXT) | instid1(VALU_DEP_1)
	v_lshl_add_u32 v8, v9, 23, 0x37800000
	v_or3_b32 v1, v1, v8, v3
	s_delay_alu instid0(VALU_DEP_1)
	v_cvt_f64_f32_e32 v[8:9], v1
.LBB87_595:
	s_or_b32 exec_lo, exec_lo, s45
	s_mov_b32 s44, 0
	s_branch .LBB87_601
.LBB87_596:
	s_mov_b32 s45, -1
                                        ; implicit-def: $vgpr8_vgpr9
	s_branch .LBB87_607
.LBB87_597:
	s_or_saveexec_b32 s45, s45
	v_mov_b64_e32 v[8:9], 0x7ff8000020000000
	s_xor_b32 exec_lo, exec_lo, s45
	s_cbranch_execz .LBB87_580
.LBB87_598:
	v_cmp_ne_u16_e32 vcc_lo, 0, v1
	v_mov_b64_e32 v[8:9], 0
	s_and_not1_b32 s44, s44, exec_lo
	s_and_b32 s46, vcc_lo, exec_lo
	s_delay_alu instid0(SALU_CYCLE_1)
	s_or_b32 s44, s44, s46
	s_or_b32 exec_lo, exec_lo, s45
	s_and_saveexec_b32 s45, s44
	s_cbranch_execnz .LBB87_581
	s_branch .LBB87_582
.LBB87_599:
	s_mov_b32 s44, -1
                                        ; implicit-def: $vgpr8_vgpr9
	s_branch .LBB87_604
.LBB87_600:
	s_mov_b32 s44, -1
                                        ; implicit-def: $vgpr8_vgpr9
.LBB87_601:
	s_delay_alu instid0(SALU_CYCLE_1)
	s_and_b32 vcc_lo, exec_lo, s44
	s_cbranch_vccz .LBB87_603
; %bb.602:
	global_load_u8 v1, v[6:7], off
	s_wait_loadcnt 0x0
	v_lshlrev_b32_e32 v1, 24, v1
	s_delay_alu instid0(VALU_DEP_1) | instskip(SKIP_1) | instid1(VALU_DEP_1)
	v_and_b32_e32 v3, 0x7f000000, v1
	s_wait_xcnt 0x1
	v_clz_i32_u32_e32 v8, v3
	v_cmp_ne_u32_e32 vcc_lo, 0, v3
	v_add_nc_u32_e32 v10, 0x1000000, v3
	s_delay_alu instid0(VALU_DEP_3) | instskip(NEXT) | instid1(VALU_DEP_1)
	v_min_u32_e32 v8, 32, v8
	v_sub_nc_u32_e64 v8, v8, 4 clamp
	s_delay_alu instid0(VALU_DEP_1) | instskip(NEXT) | instid1(VALU_DEP_1)
	v_dual_lshlrev_b32 v9, v8, v3 :: v_dual_lshlrev_b32 v8, 23, v8
	v_lshrrev_b32_e32 v9, 4, v9
	s_delay_alu instid0(VALU_DEP_1) | instskip(NEXT) | instid1(VALU_DEP_1)
	v_dual_sub_nc_u32 v8, v9, v8 :: v_dual_ashrrev_i32 v9, 8, v10
	v_add_nc_u32_e32 v8, 0x3c000000, v8
	s_delay_alu instid0(VALU_DEP_1) | instskip(NEXT) | instid1(VALU_DEP_1)
	v_and_or_b32 v8, 0x7f800000, v9, v8
	v_cndmask_b32_e32 v3, 0, v8, vcc_lo
	s_delay_alu instid0(VALU_DEP_1) | instskip(NEXT) | instid1(VALU_DEP_1)
	v_and_or_b32 v1, 0x80000000, v1, v3
	v_cvt_f64_f32_e32 v[8:9], v1
.LBB87_603:
	s_mov_b32 s44, 0
.LBB87_604:
	s_delay_alu instid0(SALU_CYCLE_1)
	s_and_not1_b32 vcc_lo, exec_lo, s44
	s_cbranch_vccnz .LBB87_606
; %bb.605:
	global_load_u8 v1, v[6:7], off
	s_wait_loadcnt 0x0
	v_lshlrev_b32_e32 v3, 25, v1
	v_lshlrev_b16 v1, 8, v1
	s_wait_xcnt 0x1
	s_delay_alu instid0(VALU_DEP_1) | instskip(NEXT) | instid1(VALU_DEP_3)
	v_and_or_b32 v9, 0x7f00, v1, 0.5
	v_lshrrev_b32_e32 v8, 4, v3
	v_bfe_i32 v1, v1, 0, 16
	s_delay_alu instid0(VALU_DEP_3) | instskip(NEXT) | instid1(VALU_DEP_3)
	v_add_f32_e32 v9, -0.5, v9
	v_or_b32_e32 v8, 0x70000000, v8
	s_delay_alu instid0(VALU_DEP_1) | instskip(SKIP_1) | instid1(VALU_DEP_2)
	v_mul_f32_e32 v8, 0x7800000, v8
	v_cmp_gt_u32_e32 vcc_lo, 0x8000000, v3
	v_cndmask_b32_e32 v3, v8, v9, vcc_lo
	s_delay_alu instid0(VALU_DEP_1) | instskip(NEXT) | instid1(VALU_DEP_1)
	v_and_or_b32 v1, 0x80000000, v1, v3
	v_cvt_f64_f32_e32 v[8:9], v1
.LBB87_606:
	s_mov_b32 s45, 0
	s_mov_b32 s44, -1
.LBB87_607:
	s_and_not1_b32 vcc_lo, exec_lo, s45
	s_cbranch_vccnz .LBB87_620
; %bb.608:
	s_cmp_gt_i32 s2, 14
	s_cbranch_scc0 .LBB87_611
; %bb.609:
	s_cmp_eq_u32 s2, 15
	s_cbranch_scc0 .LBB87_614
; %bb.610:
	global_load_u16 v1, v[6:7], off
	s_mov_b32 s44, -1
	s_mov_b32 s29, 0
	s_wait_loadcnt 0x0
	v_lshlrev_b32_e32 v1, 16, v1
	s_wait_xcnt 0x1
	s_delay_alu instid0(VALU_DEP_1)
	v_cvt_f64_f32_e32 v[8:9], v1
	s_branch .LBB87_615
.LBB87_611:
	s_mov_b32 s45, -1
                                        ; implicit-def: $vgpr8_vgpr9
	s_branch .LBB87_616
.LBB87_612:
	s_or_saveexec_b32 s45, s45
	v_mov_b64_e32 v[8:9], 0x7ff8000020000000
	s_xor_b32 exec_lo, exec_lo, s45
	s_cbranch_execz .LBB87_593
.LBB87_613:
	v_cmp_ne_u16_e32 vcc_lo, 0, v1
	v_mov_b64_e32 v[8:9], 0
	s_and_not1_b32 s44, s44, exec_lo
	s_and_b32 s46, vcc_lo, exec_lo
	s_delay_alu instid0(SALU_CYCLE_1)
	s_or_b32 s44, s44, s46
	s_or_b32 exec_lo, exec_lo, s45
	s_and_saveexec_b32 s45, s44
	s_cbranch_execnz .LBB87_594
	s_branch .LBB87_595
.LBB87_614:
	s_mov_b32 s29, -1
                                        ; implicit-def: $vgpr8_vgpr9
.LBB87_615:
	s_mov_b32 s45, 0
.LBB87_616:
	s_delay_alu instid0(SALU_CYCLE_1)
	s_and_b32 vcc_lo, exec_lo, s45
	s_cbranch_vccz .LBB87_620
; %bb.617:
	s_cmp_eq_u32 s2, 11
	s_cbranch_scc0 .LBB87_619
; %bb.618:
	global_load_u8 v1, v[6:7], off
	s_wait_xcnt 0x1
	v_mov_b32_e32 v8, 0
	s_mov_b32 s29, 0
	s_mov_b32 s44, -1
	s_wait_loadcnt 0x0
	v_cmp_ne_u16_e32 vcc_lo, 0, v1
	v_cndmask_b32_e64 v9, 0, 0x3ff00000, vcc_lo
	s_branch .LBB87_620
.LBB87_619:
	s_mov_b32 s29, -1
                                        ; implicit-def: $vgpr8_vgpr9
.LBB87_620:
	s_mov_b32 s2, 0
.LBB87_621:
	s_delay_alu instid0(SALU_CYCLE_1)
	s_and_b32 vcc_lo, exec_lo, s2
	s_cbranch_vccz .LBB87_670
; %bb.622:
	s_and_b32 s1, 0xffff, s1
	s_delay_alu instid0(SALU_CYCLE_1)
	s_cmp_lt_i32 s1, 5
	s_cbranch_scc1 .LBB87_627
; %bb.623:
	s_cmp_lt_i32 s1, 8
	s_cbranch_scc1 .LBB87_628
; %bb.624:
	;; [unrolled: 3-line block ×3, first 2 shown]
	s_cmp_gt_i32 s1, 9
	s_cbranch_scc0 .LBB87_630
; %bb.626:
	global_load_b64 v[8:9], v[6:7], off
	s_mov_b32 s2, 0
	s_branch .LBB87_631
.LBB87_627:
	s_mov_b32 s2, -1
                                        ; implicit-def: $vgpr8_vgpr9
	s_branch .LBB87_649
.LBB87_628:
	s_mov_b32 s2, -1
                                        ; implicit-def: $vgpr8_vgpr9
	s_branch .LBB87_637
.LBB87_629:
	s_mov_b32 s2, -1
                                        ; implicit-def: $vgpr8_vgpr9
	s_branch .LBB87_634
.LBB87_630:
	s_mov_b32 s2, -1
                                        ; implicit-def: $vgpr8_vgpr9
.LBB87_631:
	s_delay_alu instid0(SALU_CYCLE_1)
	s_and_not1_b32 vcc_lo, exec_lo, s2
	s_cbranch_vccnz .LBB87_633
; %bb.632:
	global_load_b32 v1, v[6:7], off
	s_wait_loadcnt 0x0
	s_wait_xcnt 0x1
	v_cvt_f64_f32_e32 v[8:9], v1
.LBB87_633:
	s_mov_b32 s2, 0
.LBB87_634:
	s_delay_alu instid0(SALU_CYCLE_1)
	s_and_not1_b32 vcc_lo, exec_lo, s2
	s_cbranch_vccnz .LBB87_636
; %bb.635:
	global_load_b32 v1, v[6:7], off
	s_wait_loadcnt 0x0
	v_cvt_f32_f16_e32 v1, v1
	s_wait_xcnt 0x1
	s_delay_alu instid0(VALU_DEP_1)
	v_cvt_f64_f32_e32 v[8:9], v1
.LBB87_636:
	s_mov_b32 s2, 0
.LBB87_637:
	s_delay_alu instid0(SALU_CYCLE_1)
	s_and_not1_b32 vcc_lo, exec_lo, s2
	s_cbranch_vccnz .LBB87_648
; %bb.638:
	s_cmp_lt_i32 s1, 6
	s_cbranch_scc1 .LBB87_641
; %bb.639:
	s_cmp_gt_i32 s1, 6
	s_cbranch_scc0 .LBB87_642
; %bb.640:
	s_wait_loadcnt 0x0
	global_load_b64 v[8:9], v[6:7], off
	s_mov_b32 s2, 0
	s_branch .LBB87_643
.LBB87_641:
	s_mov_b32 s2, -1
                                        ; implicit-def: $vgpr8_vgpr9
	s_branch .LBB87_646
.LBB87_642:
	s_mov_b32 s2, -1
                                        ; implicit-def: $vgpr8_vgpr9
.LBB87_643:
	s_delay_alu instid0(SALU_CYCLE_1)
	s_and_not1_b32 vcc_lo, exec_lo, s2
	s_cbranch_vccnz .LBB87_645
; %bb.644:
	global_load_b32 v1, v[6:7], off
	s_wait_loadcnt 0x0
	s_wait_xcnt 0x1
	v_cvt_f64_f32_e32 v[8:9], v1
.LBB87_645:
	s_mov_b32 s2, 0
.LBB87_646:
	s_delay_alu instid0(SALU_CYCLE_1)
	s_and_not1_b32 vcc_lo, exec_lo, s2
	s_cbranch_vccnz .LBB87_648
; %bb.647:
	global_load_u16 v1, v[6:7], off
	s_wait_loadcnt 0x0
	v_cvt_f32_f16_e32 v1, v1
	s_wait_xcnt 0x1
	s_delay_alu instid0(VALU_DEP_1)
	v_cvt_f64_f32_e32 v[8:9], v1
.LBB87_648:
	s_mov_b32 s2, 0
.LBB87_649:
	s_delay_alu instid0(SALU_CYCLE_1)
	s_and_not1_b32 vcc_lo, exec_lo, s2
	s_cbranch_vccnz .LBB87_669
; %bb.650:
	s_cmp_lt_i32 s1, 2
	s_cbranch_scc1 .LBB87_654
; %bb.651:
	s_cmp_lt_i32 s1, 3
	s_cbranch_scc1 .LBB87_655
; %bb.652:
	s_cmp_gt_i32 s1, 3
	s_cbranch_scc0 .LBB87_656
; %bb.653:
	s_wait_loadcnt 0x0
	global_load_b64 v[8:9], v[6:7], off
	s_mov_b32 s2, 0
	s_wait_loadcnt 0x0
	v_cvt_f64_i32_e32 v[10:11], v9
	v_cvt_f64_u32_e32 v[8:9], v8
	s_delay_alu instid0(VALU_DEP_2) | instskip(NEXT) | instid1(VALU_DEP_1)
	v_ldexp_f64 v[10:11], v[10:11], 32
	v_add_f64_e32 v[8:9], v[10:11], v[8:9]
	s_branch .LBB87_657
.LBB87_654:
	s_mov_b32 s2, -1
                                        ; implicit-def: $vgpr8_vgpr9
	s_branch .LBB87_663
.LBB87_655:
	s_mov_b32 s2, -1
                                        ; implicit-def: $vgpr8_vgpr9
	s_branch .LBB87_660
.LBB87_656:
	s_mov_b32 s2, -1
                                        ; implicit-def: $vgpr8_vgpr9
.LBB87_657:
	s_delay_alu instid0(SALU_CYCLE_1)
	s_and_not1_b32 vcc_lo, exec_lo, s2
	s_cbranch_vccnz .LBB87_659
; %bb.658:
	global_load_b32 v1, v[6:7], off
	s_wait_loadcnt 0x0
	s_wait_xcnt 0x1
	v_cvt_f64_i32_e32 v[8:9], v1
.LBB87_659:
	s_mov_b32 s2, 0
.LBB87_660:
	s_delay_alu instid0(SALU_CYCLE_1)
	s_and_not1_b32 vcc_lo, exec_lo, s2
	s_cbranch_vccnz .LBB87_662
; %bb.661:
	global_load_i16 v1, v[6:7], off
	s_wait_loadcnt 0x0
	s_wait_xcnt 0x1
	v_cvt_f64_i32_e32 v[8:9], v1
.LBB87_662:
	s_mov_b32 s2, 0
.LBB87_663:
	s_delay_alu instid0(SALU_CYCLE_1)
	s_and_not1_b32 vcc_lo, exec_lo, s2
	s_cbranch_vccnz .LBB87_669
; %bb.664:
	s_cmp_gt_i32 s1, 0
	s_mov_b32 s1, 0
	s_cbranch_scc0 .LBB87_666
; %bb.665:
	global_load_i8 v1, v[6:7], off
	s_wait_loadcnt 0x0
	s_wait_xcnt 0x1
	v_cvt_f64_i32_e32 v[8:9], v1
	s_branch .LBB87_667
.LBB87_666:
	s_mov_b32 s1, -1
                                        ; implicit-def: $vgpr8_vgpr9
.LBB87_667:
	s_delay_alu instid0(SALU_CYCLE_1)
	s_and_not1_b32 vcc_lo, exec_lo, s1
	s_cbranch_vccnz .LBB87_669
; %bb.668:
	global_load_u8 v1, v[6:7], off
	s_wait_loadcnt 0x0
	s_wait_xcnt 0x1
	v_cvt_f64_u32_e32 v[8:9], v1
.LBB87_669:
	s_mov_b32 s44, -1
.LBB87_670:
	s_delay_alu instid0(SALU_CYCLE_1)
	s_and_not1_b32 vcc_lo, exec_lo, s44
	s_cbranch_vccnz .LBB87_678
; %bb.671:
	s_wait_loadcnt 0x0
	s_delay_alu instid0(VALU_DEP_1) | instskip(SKIP_1) | instid1(SALU_CYCLE_1)
	v_cmp_eq_f64_e32 vcc_lo, v[4:5], v[8:9]
	s_and_b32 s44, s11, 0xff
	s_cmp_lt_i32 s44, 11
	v_cndmask_b32_e64 v1, 0, 1, vcc_lo
	v_cmp_neq_f64_e32 vcc_lo, v[4:5], v[8:9]
	v_cndmask_b32_e64 v3, 0, 1, vcc_lo
	s_delay_alu instid0(VALU_DEP_1) | instskip(NEXT) | instid1(VALU_DEP_1)
	v_dual_cndmask_b32 v1, v3, v1, s0 :: v_dual_mov_b32 v3, 0
	v_and_b32_e32 v1, 1, v1
	s_delay_alu instid0(VALU_DEP_2) | instskip(NEXT) | instid1(VALU_DEP_2)
	v_add_nc_u64_e32 v[2:3], s[4:5], v[2:3]
	v_cmp_eq_u32_e64 s1, 1, v1
	s_cbranch_scc1 .LBB87_679
; %bb.672:
	s_and_b32 s45, 0xffff, s44
	s_delay_alu instid0(SALU_CYCLE_1)
	s_cmp_gt_i32 s45, 25
	s_cbranch_scc0 .LBB87_680
; %bb.673:
	s_cmp_gt_i32 s45, 28
	s_cbranch_scc0 .LBB87_681
; %bb.674:
	;; [unrolled: 3-line block ×4, first 2 shown]
	s_mov_b32 s48, 0
	s_mov_b32 s2, -1
	s_cmp_eq_u32 s45, 46
	s_mov_b32 s46, 0
	s_cbranch_scc0 .LBB87_684
; %bb.677:
	v_cndmask_b32_e64 v1, 0, 1.0, s1
	s_mov_b32 s46, -1
	s_mov_b32 s2, 0
	s_delay_alu instid0(VALU_DEP_1) | instskip(NEXT) | instid1(VALU_DEP_1)
	v_bfe_u32 v4, v1, 16, 1
	v_add3_u32 v1, v1, v4, 0x7fff
	s_delay_alu instid0(VALU_DEP_1)
	v_lshrrev_b32_e32 v1, 16, v1
	global_store_b32 v[2:3], v1, off
	s_branch .LBB87_684
.LBB87_678:
	s_mov_b32 s1, 0
	s_mov_b32 s2, s10
	s_branch .LBB87_795
.LBB87_679:
	s_mov_b32 s45, -1
	s_mov_b32 s46, 0
	s_mov_b32 s2, s10
	s_branch .LBB87_753
.LBB87_680:
	s_mov_b32 s48, -1
	s_mov_b32 s46, 0
	s_mov_b32 s2, s10
	s_branch .LBB87_711
.LBB87_681:
	s_mov_b32 s48, -1
	s_mov_b32 s46, 0
	s_mov_b32 s2, s10
	s_branch .LBB87_694
.LBB87_682:
	s_mov_b32 s48, -1
	s_mov_b32 s46, 0
	s_mov_b32 s2, s10
	s_branch .LBB87_690
.LBB87_683:
	s_mov_b32 s48, -1
	s_mov_b32 s46, 0
	s_mov_b32 s2, s10
.LBB87_684:
	s_and_b32 vcc_lo, exec_lo, s48
	s_cbranch_vccz .LBB87_689
; %bb.685:
	s_cmp_eq_u32 s45, 44
	s_mov_b32 s2, -1
	s_cbranch_scc0 .LBB87_689
; %bb.686:
	v_cndmask_b32_e64 v5, 0, 1.0, s1
	s_mov_b32 s46, exec_lo
	s_wait_xcnt 0x0
	s_delay_alu instid0(VALU_DEP_1) | instskip(NEXT) | instid1(VALU_DEP_1)
	v_dual_mov_b32 v4, 0xff :: v_dual_lshrrev_b32 v1, 23, v5
	v_cmpx_ne_u32_e32 0xff, v1
; %bb.687:
	v_and_b32_e32 v4, 0x400000, v5
	v_and_or_b32 v5, 0x3fffff, v5, v1
	s_delay_alu instid0(VALU_DEP_2) | instskip(NEXT) | instid1(VALU_DEP_2)
	v_cmp_ne_u32_e32 vcc_lo, 0, v4
	v_cmp_ne_u32_e64 s2, 0, v5
	s_and_b32 s2, vcc_lo, s2
	s_delay_alu instid0(SALU_CYCLE_1) | instskip(NEXT) | instid1(VALU_DEP_1)
	v_cndmask_b32_e64 v4, 0, 1, s2
	v_add_nc_u32_e32 v4, v1, v4
; %bb.688:
	s_or_b32 exec_lo, exec_lo, s46
	s_mov_b32 s46, -1
	s_mov_b32 s2, 0
	global_store_b8 v[2:3], v4, off
.LBB87_689:
	s_mov_b32 s48, 0
.LBB87_690:
	s_delay_alu instid0(SALU_CYCLE_1)
	s_and_b32 vcc_lo, exec_lo, s48
	s_cbranch_vccz .LBB87_693
; %bb.691:
	s_cmp_eq_u32 s45, 29
	s_mov_b32 s2, -1
	s_cbranch_scc0 .LBB87_693
; %bb.692:
	s_mov_b32 s2, 0
	s_wait_xcnt 0x0
	v_cndmask_b32_e64 v4, 0, 1, s1
	v_mov_b32_e32 v5, s2
	s_mov_b32 s46, -1
	s_mov_b32 s48, 0
	global_store_b64 v[2:3], v[4:5], off
	s_branch .LBB87_694
.LBB87_693:
	s_mov_b32 s48, 0
.LBB87_694:
	s_delay_alu instid0(SALU_CYCLE_1)
	s_and_b32 vcc_lo, exec_lo, s48
	s_cbranch_vccz .LBB87_710
; %bb.695:
	s_cmp_lt_i32 s45, 27
	s_mov_b32 s46, -1
	s_cbranch_scc1 .LBB87_701
; %bb.696:
	s_cmp_gt_i32 s45, 27
	s_cbranch_scc0 .LBB87_698
; %bb.697:
	s_wait_xcnt 0x0
	v_cndmask_b32_e64 v1, 0, 1, s1
	s_mov_b32 s46, 0
	global_store_b32 v[2:3], v1, off
.LBB87_698:
	s_and_not1_b32 vcc_lo, exec_lo, s46
	s_cbranch_vccnz .LBB87_700
; %bb.699:
	s_wait_xcnt 0x0
	v_cndmask_b32_e64 v1, 0, 1, s1
	global_store_b16 v[2:3], v1, off
.LBB87_700:
	s_mov_b32 s46, 0
.LBB87_701:
	s_delay_alu instid0(SALU_CYCLE_1)
	s_and_not1_b32 vcc_lo, exec_lo, s46
	s_cbranch_vccnz .LBB87_709
; %bb.702:
	s_wait_xcnt 0x0
	v_cndmask_b32_e64 v4, 0, 1.0, s1
	v_mov_b32_e32 v5, 0x80
	s_mov_b32 s46, exec_lo
	s_delay_alu instid0(VALU_DEP_2)
	v_cmpx_gt_u32_e32 0x43800000, v4
	s_cbranch_execz .LBB87_708
; %bb.703:
	s_mov_b32 s48, 0
	s_mov_b32 s49, exec_lo
                                        ; implicit-def: $vgpr1
	v_cmpx_lt_u32_e32 0x3bffffff, v4
	s_xor_b32 s49, exec_lo, s49
	s_cbranch_execz .LBB87_823
; %bb.704:
	v_bfe_u32 v1, v4, 20, 1
	s_mov_b32 s48, exec_lo
	s_delay_alu instid0(VALU_DEP_1) | instskip(NEXT) | instid1(VALU_DEP_1)
	v_add3_u32 v1, v4, v1, 0x487ffff
                                        ; implicit-def: $vgpr4
	v_lshrrev_b32_e32 v1, 20, v1
	s_and_not1_saveexec_b32 s49, s49
	s_cbranch_execnz .LBB87_824
.LBB87_705:
	s_or_b32 exec_lo, exec_lo, s49
	v_mov_b32_e32 v5, 0
	s_and_saveexec_b32 s49, s48
.LBB87_706:
	v_mov_b32_e32 v5, v1
.LBB87_707:
	s_or_b32 exec_lo, exec_lo, s49
.LBB87_708:
	s_delay_alu instid0(SALU_CYCLE_1)
	s_or_b32 exec_lo, exec_lo, s46
	global_store_b8 v[2:3], v5, off
.LBB87_709:
	s_mov_b32 s46, -1
.LBB87_710:
	s_mov_b32 s48, 0
.LBB87_711:
	s_delay_alu instid0(SALU_CYCLE_1)
	s_and_b32 vcc_lo, exec_lo, s48
	s_cbranch_vccz .LBB87_752
; %bb.712:
	s_cmp_gt_i32 s45, 22
	s_mov_b32 s48, -1
	s_cbranch_scc0 .LBB87_744
; %bb.713:
	s_cmp_lt_i32 s45, 24
	s_mov_b32 s46, -1
	s_cbranch_scc1 .LBB87_733
; %bb.714:
	s_cmp_gt_i32 s45, 24
	s_cbranch_scc0 .LBB87_722
; %bb.715:
	s_wait_xcnt 0x0
	v_cndmask_b32_e64 v4, 0, 1.0, s1
	v_mov_b32_e32 v5, 0x80
	s_mov_b32 s46, exec_lo
	s_delay_alu instid0(VALU_DEP_2)
	v_cmpx_gt_u32_e32 0x47800000, v4
	s_cbranch_execz .LBB87_721
; %bb.716:
	s_mov_b32 s48, 0
	s_mov_b32 s49, exec_lo
                                        ; implicit-def: $vgpr1
	v_cmpx_lt_u32_e32 0x37ffffff, v4
	s_xor_b32 s49, exec_lo, s49
	s_cbranch_execz .LBB87_955
; %bb.717:
	v_bfe_u32 v1, v4, 21, 1
	s_mov_b32 s48, exec_lo
	s_delay_alu instid0(VALU_DEP_1) | instskip(NEXT) | instid1(VALU_DEP_1)
	v_add3_u32 v1, v4, v1, 0x88fffff
                                        ; implicit-def: $vgpr4
	v_lshrrev_b32_e32 v1, 21, v1
	s_and_not1_saveexec_b32 s49, s49
	s_cbranch_execnz .LBB87_956
.LBB87_718:
	s_or_b32 exec_lo, exec_lo, s49
	v_mov_b32_e32 v5, 0
	s_and_saveexec_b32 s49, s48
.LBB87_719:
	v_mov_b32_e32 v5, v1
.LBB87_720:
	s_or_b32 exec_lo, exec_lo, s49
.LBB87_721:
	s_delay_alu instid0(SALU_CYCLE_1)
	s_or_b32 exec_lo, exec_lo, s46
	s_mov_b32 s46, 0
	global_store_b8 v[2:3], v5, off
.LBB87_722:
	s_and_b32 vcc_lo, exec_lo, s46
	s_cbranch_vccz .LBB87_732
; %bb.723:
	s_wait_xcnt 0x0
	v_cndmask_b32_e64 v4, 0, 1.0, s1
	s_mov_b32 s46, exec_lo
                                        ; implicit-def: $vgpr1
	s_delay_alu instid0(VALU_DEP_1)
	v_cmpx_gt_u32_e32 0x43f00000, v4
	s_xor_b32 s46, exec_lo, s46
	s_cbranch_execz .LBB87_729
; %bb.724:
	s_mov_b32 s48, exec_lo
                                        ; implicit-def: $vgpr1
	v_cmpx_lt_u32_e32 0x3c7fffff, v4
	s_xor_b32 s48, exec_lo, s48
; %bb.725:
	v_bfe_u32 v1, v4, 20, 1
	s_delay_alu instid0(VALU_DEP_1) | instskip(NEXT) | instid1(VALU_DEP_1)
	v_add3_u32 v1, v4, v1, 0x407ffff
	v_and_b32_e32 v4, 0xff00000, v1
	v_lshrrev_b32_e32 v1, 20, v1
	s_delay_alu instid0(VALU_DEP_2) | instskip(NEXT) | instid1(VALU_DEP_2)
	v_cmp_ne_u32_e32 vcc_lo, 0x7f00000, v4
                                        ; implicit-def: $vgpr4
	v_cndmask_b32_e32 v1, 0x7e, v1, vcc_lo
; %bb.726:
	s_and_not1_saveexec_b32 s48, s48
; %bb.727:
	v_add_f32_e32 v1, 0x46800000, v4
; %bb.728:
	s_or_b32 exec_lo, exec_lo, s48
                                        ; implicit-def: $vgpr4
.LBB87_729:
	s_and_not1_saveexec_b32 s46, s46
; %bb.730:
	v_mov_b32_e32 v1, 0x7f
	v_cmp_lt_u32_e32 vcc_lo, 0x7f800000, v4
	s_delay_alu instid0(VALU_DEP_2)
	v_cndmask_b32_e32 v1, 0x7e, v1, vcc_lo
; %bb.731:
	s_or_b32 exec_lo, exec_lo, s46
	global_store_b8 v[2:3], v1, off
.LBB87_732:
	s_mov_b32 s46, 0
.LBB87_733:
	s_delay_alu instid0(SALU_CYCLE_1)
	s_and_not1_b32 vcc_lo, exec_lo, s46
	s_cbranch_vccnz .LBB87_743
; %bb.734:
	s_wait_xcnt 0x0
	v_cndmask_b32_e64 v4, 0, 1.0, s1
	s_mov_b32 s46, exec_lo
                                        ; implicit-def: $vgpr1
	s_delay_alu instid0(VALU_DEP_1)
	v_cmpx_gt_u32_e32 0x47800000, v4
	s_xor_b32 s46, exec_lo, s46
	s_cbranch_execz .LBB87_740
; %bb.735:
	s_mov_b32 s48, exec_lo
                                        ; implicit-def: $vgpr1
	v_cmpx_lt_u32_e32 0x387fffff, v4
	s_xor_b32 s48, exec_lo, s48
; %bb.736:
	v_bfe_u32 v1, v4, 21, 1
	s_delay_alu instid0(VALU_DEP_1) | instskip(NEXT) | instid1(VALU_DEP_1)
	v_add3_u32 v1, v4, v1, 0x80fffff
                                        ; implicit-def: $vgpr4
	v_lshrrev_b32_e32 v1, 21, v1
; %bb.737:
	s_and_not1_saveexec_b32 s48, s48
; %bb.738:
	v_add_f32_e32 v1, 0x43000000, v4
; %bb.739:
	s_or_b32 exec_lo, exec_lo, s48
                                        ; implicit-def: $vgpr4
.LBB87_740:
	s_and_not1_saveexec_b32 s46, s46
; %bb.741:
	v_mov_b32_e32 v1, 0x7f
	v_cmp_lt_u32_e32 vcc_lo, 0x7f800000, v4
	s_delay_alu instid0(VALU_DEP_2)
	v_cndmask_b32_e32 v1, 0x7c, v1, vcc_lo
; %bb.742:
	s_or_b32 exec_lo, exec_lo, s46
	global_store_b8 v[2:3], v1, off
.LBB87_743:
	s_mov_b32 s48, 0
	s_mov_b32 s46, -1
.LBB87_744:
	s_and_not1_b32 vcc_lo, exec_lo, s48
	s_cbranch_vccnz .LBB87_752
; %bb.745:
	s_cmp_gt_i32 s45, 14
	s_mov_b32 s48, -1
	s_cbranch_scc0 .LBB87_749
; %bb.746:
	s_cmp_eq_u32 s45, 15
	s_mov_b32 s2, -1
	s_cbranch_scc0 .LBB87_748
; %bb.747:
	s_wait_xcnt 0x0
	v_cndmask_b32_e64 v1, 0, 1.0, s1
	s_mov_b32 s46, -1
	s_mov_b32 s2, 0
	s_delay_alu instid0(VALU_DEP_1) | instskip(NEXT) | instid1(VALU_DEP_1)
	v_bfe_u32 v4, v1, 16, 1
	v_add3_u32 v1, v1, v4, 0x7fff
	global_store_d16_hi_b16 v[2:3], v1, off
.LBB87_748:
	s_mov_b32 s48, 0
.LBB87_749:
	s_delay_alu instid0(SALU_CYCLE_1)
	s_and_b32 vcc_lo, exec_lo, s48
	s_cbranch_vccz .LBB87_752
; %bb.750:
	s_cmp_eq_u32 s45, 11
	s_mov_b32 s2, -1
	s_cbranch_scc0 .LBB87_752
; %bb.751:
	s_wait_xcnt 0x0
	v_cndmask_b32_e64 v1, 0, 1, s1
	s_mov_b32 s46, -1
	s_mov_b32 s2, 0
	global_store_b8 v[2:3], v1, off
.LBB87_752:
	s_mov_b32 s45, 0
.LBB87_753:
	s_delay_alu instid0(SALU_CYCLE_1)
	s_and_b32 vcc_lo, exec_lo, s45
	s_cbranch_vccz .LBB87_792
; %bb.754:
	s_and_b32 s44, 0xffff, s44
	s_mov_b32 s45, -1
	s_cmp_lt_i32 s44, 5
	s_cbranch_scc1 .LBB87_775
; %bb.755:
	s_cmp_lt_i32 s44, 8
	s_cbranch_scc1 .LBB87_765
; %bb.756:
	;; [unrolled: 3-line block ×3, first 2 shown]
	s_cmp_gt_i32 s44, 9
	s_cbranch_scc0 .LBB87_759
; %bb.758:
	s_wait_xcnt 0x0
	v_cndmask_b32_e64 v1, 0, 1, s1
	v_mov_b32_e32 v6, 0
	s_mov_b32 s45, 0
	s_delay_alu instid0(VALU_DEP_2) | instskip(NEXT) | instid1(VALU_DEP_2)
	v_cvt_f64_u32_e32 v[4:5], v1
	v_mov_b32_e32 v7, v6
	global_store_b128 v[2:3], v[4:7], off
.LBB87_759:
	s_and_not1_b32 vcc_lo, exec_lo, s45
	s_cbranch_vccnz .LBB87_761
; %bb.760:
	s_wait_xcnt 0x0
	v_cndmask_b32_e64 v4, 0, 1.0, s1
	v_mov_b32_e32 v5, 0
	global_store_b64 v[2:3], v[4:5], off
.LBB87_761:
	s_mov_b32 s45, 0
.LBB87_762:
	s_delay_alu instid0(SALU_CYCLE_1)
	s_and_not1_b32 vcc_lo, exec_lo, s45
	s_cbranch_vccnz .LBB87_764
; %bb.763:
	s_wait_xcnt 0x0
	v_cndmask_b32_e64 v1, 0, 1.0, s1
	s_delay_alu instid0(VALU_DEP_1) | instskip(NEXT) | instid1(VALU_DEP_1)
	v_cvt_f16_f32_e32 v1, v1
	v_and_b32_e32 v1, 0xffff, v1
	global_store_b32 v[2:3], v1, off
.LBB87_764:
	s_mov_b32 s45, 0
.LBB87_765:
	s_delay_alu instid0(SALU_CYCLE_1)
	s_and_not1_b32 vcc_lo, exec_lo, s45
	s_cbranch_vccnz .LBB87_774
; %bb.766:
	s_cmp_lt_i32 s44, 6
	s_mov_b32 s45, -1
	s_cbranch_scc1 .LBB87_772
; %bb.767:
	s_cmp_gt_i32 s44, 6
	s_cbranch_scc0 .LBB87_769
; %bb.768:
	s_wait_xcnt 0x0
	v_cndmask_b32_e64 v1, 0, 1, s1
	s_mov_b32 s45, 0
	s_delay_alu instid0(VALU_DEP_1)
	v_cvt_f64_u32_e32 v[4:5], v1
	global_store_b64 v[2:3], v[4:5], off
.LBB87_769:
	s_and_not1_b32 vcc_lo, exec_lo, s45
	s_cbranch_vccnz .LBB87_771
; %bb.770:
	s_wait_xcnt 0x0
	v_cndmask_b32_e64 v1, 0, 1.0, s1
	global_store_b32 v[2:3], v1, off
.LBB87_771:
	s_mov_b32 s45, 0
.LBB87_772:
	s_delay_alu instid0(SALU_CYCLE_1)
	s_and_not1_b32 vcc_lo, exec_lo, s45
	s_cbranch_vccnz .LBB87_774
; %bb.773:
	s_wait_xcnt 0x0
	v_cndmask_b32_e64 v1, 0, 1.0, s1
	s_delay_alu instid0(VALU_DEP_1)
	v_cvt_f16_f32_e32 v1, v1
	global_store_b16 v[2:3], v1, off
.LBB87_774:
	s_mov_b32 s45, 0
.LBB87_775:
	s_delay_alu instid0(SALU_CYCLE_1)
	s_and_not1_b32 vcc_lo, exec_lo, s45
	s_cbranch_vccnz .LBB87_791
; %bb.776:
	s_cmp_lt_i32 s44, 2
	s_mov_b32 s45, -1
	s_cbranch_scc1 .LBB87_786
; %bb.777:
	s_cmp_lt_i32 s44, 3
	s_cbranch_scc1 .LBB87_783
; %bb.778:
	s_cmp_gt_i32 s44, 3
	s_cbranch_scc0 .LBB87_780
; %bb.779:
	s_mov_b32 s45, 0
	s_wait_xcnt 0x0
	v_cndmask_b32_e64 v4, 0, 1, s1
	v_mov_b32_e32 v5, s45
	global_store_b64 v[2:3], v[4:5], off
.LBB87_780:
	s_and_not1_b32 vcc_lo, exec_lo, s45
	s_cbranch_vccnz .LBB87_782
; %bb.781:
	s_wait_xcnt 0x0
	v_cndmask_b32_e64 v1, 0, 1, s1
	global_store_b32 v[2:3], v1, off
.LBB87_782:
	s_mov_b32 s45, 0
.LBB87_783:
	s_delay_alu instid0(SALU_CYCLE_1)
	s_and_not1_b32 vcc_lo, exec_lo, s45
	s_cbranch_vccnz .LBB87_785
; %bb.784:
	s_wait_xcnt 0x0
	v_cndmask_b32_e64 v1, 0, 1, s1
	global_store_b16 v[2:3], v1, off
.LBB87_785:
	s_mov_b32 s45, 0
.LBB87_786:
	s_delay_alu instid0(SALU_CYCLE_1)
	s_and_not1_b32 vcc_lo, exec_lo, s45
	s_cbranch_vccnz .LBB87_791
; %bb.787:
	s_wait_xcnt 0x0
	v_cndmask_b32_e64 v1, 0, 1, s1
	s_cmp_gt_i32 s44, 0
	s_mov_b32 s1, -1
	s_cbranch_scc0 .LBB87_789
; %bb.788:
	s_mov_b32 s1, 0
	global_store_b8 v[2:3], v1, off
.LBB87_789:
	s_and_not1_b32 vcc_lo, exec_lo, s1
	s_cbranch_vccnz .LBB87_791
; %bb.790:
	global_store_b8 v[2:3], v1, off
.LBB87_791:
	s_mov_b32 s46, -1
.LBB87_792:
	s_delay_alu instid0(SALU_CYCLE_1)
	s_and_not1_b32 vcc_lo, exec_lo, s46
	s_cbranch_vccnz .LBB87_794
; %bb.793:
	v_add_nc_u32_e32 v0, 0x80, v0
	s_mov_b32 s1, -1
	s_branch .LBB87_796
.LBB87_794:
	s_mov_b32 s1, 0
.LBB87_795:
                                        ; implicit-def: $vgpr0
.LBB87_796:
	s_and_not1_b32 s44, s10, exec_lo
	s_and_b32 s2, s2, exec_lo
	s_and_b32 s29, s29, exec_lo
	s_or_b32 s45, s44, s2
	s_and_not1_b32 s2, s41, exec_lo
	s_and_not1_b32 s44, s42, exec_lo
	s_and_b32 s28, s28, exec_lo
	s_or_b32 s46, s2, s29
	s_or_b32 s44, s44, s28
	s_or_not1_b32 s48, s1, exec_lo
.LBB87_797:
	s_wait_xcnt 0x0
	s_or_b32 exec_lo, exec_lo, s47
	s_mov_b32 s1, 0
	s_mov_b32 s29, 0
	;; [unrolled: 1-line block ×3, first 2 shown]
                                        ; implicit-def: $sgpr2
                                        ; implicit-def: $vgpr8_vgpr9
                                        ; implicit-def: $vgpr6
                                        ; implicit-def: $vgpr2
                                        ; implicit-def: $vgpr4_vgpr5
	s_and_saveexec_b32 s47, s48
	s_cbranch_execz .LBB87_1296
; %bb.798:
	s_mov_b32 s52, -1
	s_mov_b32 s1, s44
	s_mov_b32 s50, s46
	;; [unrolled: 1-line block ×3, first 2 shown]
	s_mov_b32 s48, exec_lo
	v_cmpx_gt_i32_e64 s39, v0
	s_cbranch_execz .LBB87_1200
; %bb.799:
	s_and_not1_b32 vcc_lo, exec_lo, s34
	s_cbranch_vccnz .LBB87_805
; %bb.800:
	s_and_not1_b32 vcc_lo, exec_lo, s40
	s_cbranch_vccnz .LBB87_806
; %bb.801:
	v_dual_mov_b32 v2, 0 :: v_dual_mov_b32 v1, v0
	s_wait_loadcnt 0x0
	v_dual_mov_b32 v4, 0 :: v_dual_mov_b32 v6, 0
	s_add_co_i32 s1, s38, 1
	s_mov_b64 s[28:29], 0xffffffffffffffe8
	s_and_b32 s1, s1, 30
	s_add_nc_u64 s[28:29], s[20:21], s[28:29]
.LBB87_802:                             ; =>This Inner Loop Header: Depth=1
	s_clause 0x1
	s_load_b128 s[52:55], s[28:29], 0x1c
	s_load_b64 s[50:51], s[28:29], 0x2c
	s_add_co_i32 s1, s1, -2
	s_delay_alu instid0(SALU_CYCLE_1) | instskip(SKIP_2) | instid1(VALU_DEP_1)
	s_cmp_eq_u32 s1, 0
	s_wait_kmcnt 0x0
	v_mul_hi_u32 v3, s53, v1
	v_add_nc_u32_e32 v3, v1, v3
	s_delay_alu instid0(VALU_DEP_1) | instskip(NEXT) | instid1(VALU_DEP_1)
	v_lshrrev_b32_e32 v3, s54, v3
	v_mul_hi_u32 v5, s50, v3
	v_mul_lo_u32 v7, v3, s52
	s_clause 0x1
	s_load_b128 s[56:59], s[28:29], 0xdc
	s_load_b64 s[52:53], s[28:29], 0xec
	s_wait_xcnt 0x0
	s_add_nc_u64 s[28:29], s[28:29], 24
	s_delay_alu instid0(VALU_DEP_1) | instskip(NEXT) | instid1(VALU_DEP_1)
	v_dual_add_nc_u32 v5, v3, v5 :: v_dual_sub_nc_u32 v7, v1, v7
	v_lshrrev_b32_e32 v1, s51, v5
	s_wait_kmcnt 0x0
	s_delay_alu instid0(VALU_DEP_2) | instskip(NEXT) | instid1(VALU_DEP_2)
	v_mad_u32 v2, v7, s56, v2
	v_mul_lo_u32 v5, v1, s55
	v_mad_u32 v6, v7, s58, v6
	v_mad_u32 v4, v7, s57, v4
	s_delay_alu instid0(VALU_DEP_3) | instskip(NEXT) | instid1(VALU_DEP_1)
	v_sub_nc_u32_e32 v3, v3, v5
	v_mad_u32 v2, v3, s59, v2
	s_delay_alu instid0(VALU_DEP_4) | instskip(NEXT) | instid1(VALU_DEP_4)
	v_mad_u32 v6, v3, s53, v6
	v_mad_u32 v4, v3, s52, v4
	s_cbranch_scc0 .LBB87_802
; %bb.803:
	s_bitcmp1_b32 s38, 0
	s_cselect_b32 s1, -1, 0
	s_delay_alu instid0(SALU_CYCLE_1)
	s_and_b32 vcc_lo, exec_lo, s1
	s_cbranch_vccnz .LBB87_807
; %bb.804:
	s_clause 0x1
	s_load_b96 s[52:54], s[28:29], 0x1c
	s_load_b96 s[56:58], s[28:29], 0xdc
	s_wait_kmcnt 0x0
	v_mul_hi_u32 v3, s53, v1
	s_delay_alu instid0(VALU_DEP_1) | instskip(NEXT) | instid1(VALU_DEP_1)
	v_add_nc_u32_e32 v3, v1, v3
	v_lshrrev_b32_e32 v3, s54, v3
	s_delay_alu instid0(VALU_DEP_1) | instskip(NEXT) | instid1(VALU_DEP_1)
	v_mul_lo_u32 v3, v3, s52
	v_sub_nc_u32_e32 v1, v1, v3
	s_delay_alu instid0(VALU_DEP_1)
	v_mad_u32 v2, v1, s56, v2
	v_mad_u32 v4, v1, s57, v4
	;; [unrolled: 1-line block ×3, first 2 shown]
	s_branch .LBB87_807
.LBB87_805:
	s_mov_b32 s1, -1
                                        ; implicit-def: $vgpr6
                                        ; implicit-def: $vgpr4
                                        ; implicit-def: $vgpr2
	s_branch .LBB87_808
.LBB87_806:
	s_wait_loadcnt 0x0
	v_dual_mov_b32 v6, 0 :: v_dual_mov_b32 v4, 0
	v_mov_b32_e32 v2, 0
.LBB87_807:
	s_mov_b32 s1, 0
.LBB87_808:
	s_delay_alu instid0(SALU_CYCLE_1)
	s_and_not1_b32 vcc_lo, exec_lo, s1
	s_cbranch_vccnz .LBB87_811
; %bb.809:
	v_mov_b32_e32 v1, 0
	s_and_not1_b32 vcc_lo, exec_lo, s37
	s_delay_alu instid0(VALU_DEP_1) | instskip(NEXT) | instid1(VALU_DEP_1)
	v_mul_u64_e32 v[2:3], s[22:23], v[0:1]
	v_add_nc_u32_e32 v2, v0, v3
	s_wait_loadcnt 0x0
	s_delay_alu instid0(VALU_DEP_1) | instskip(NEXT) | instid1(VALU_DEP_1)
	v_lshrrev_b32_e32 v8, s14, v2
	v_mul_lo_u32 v2, v8, s12
	s_delay_alu instid0(VALU_DEP_1) | instskip(NEXT) | instid1(VALU_DEP_1)
	v_sub_nc_u32_e32 v3, v0, v2
	v_mul_lo_u32 v2, v3, s16
	v_mul_lo_u32 v6, v3, s18
	;; [unrolled: 1-line block ×3, first 2 shown]
	s_cbranch_vccnz .LBB87_811
; %bb.810:
	v_mov_b32_e32 v9, v1
	s_delay_alu instid0(VALU_DEP_1) | instskip(NEXT) | instid1(VALU_DEP_1)
	v_mul_u64_e32 v[10:11], s[26:27], v[8:9]
	v_add_nc_u32_e32 v1, v8, v11
	s_delay_alu instid0(VALU_DEP_1) | instskip(NEXT) | instid1(VALU_DEP_1)
	v_lshrrev_b32_e32 v1, s3, v1
	v_mul_lo_u32 v1, v1, s15
	s_delay_alu instid0(VALU_DEP_1) | instskip(NEXT) | instid1(VALU_DEP_1)
	v_sub_nc_u32_e32 v1, v8, v1
	v_mad_u32 v2, v1, s19, v2
	v_mad_u32 v4, v1, s24, v4
	;; [unrolled: 1-line block ×3, first 2 shown]
.LBB87_811:
	s_wait_loadcnt 0x0
	v_mov_b32_e32 v5, 0
	s_and_b32 s1, s36, 0xff
	s_delay_alu instid0(SALU_CYCLE_1) | instskip(NEXT) | instid1(VALU_DEP_1)
	s_cmp_lt_i32 s1, 11
	v_add_nc_u64_e32 v[8:9], s[6:7], v[4:5]
	s_cbranch_scc1 .LBB87_818
; %bb.812:
	s_and_b32 s2, 0xffff, s1
	s_delay_alu instid0(SALU_CYCLE_1)
	s_cmp_gt_i32 s2, 25
	s_cbranch_scc0 .LBB87_819
; %bb.813:
	s_cmp_gt_i32 s2, 28
	s_cbranch_scc0 .LBB87_820
; %bb.814:
	;; [unrolled: 3-line block ×4, first 2 shown]
	s_cmp_eq_u32 s2, 46
	s_mov_b32 s49, 0
	s_cbranch_scc0 .LBB87_825
; %bb.817:
	global_load_b32 v1, v[8:9], off
	s_mov_b32 s29, -1
	s_mov_b32 s28, 0
	s_wait_loadcnt 0x0
	v_lshlrev_b32_e32 v1, 16, v1
	s_delay_alu instid0(VALU_DEP_1)
	v_cvt_f64_f32_e32 v[4:5], v1
	s_branch .LBB87_827
.LBB87_818:
	s_mov_b32 s2, -1
	s_mov_b32 s29, 0
	s_mov_b32 s28, s44
                                        ; implicit-def: $vgpr4_vgpr5
	s_branch .LBB87_892
.LBB87_819:
	s_mov_b32 s49, -1
	s_mov_b32 s29, 0
	s_mov_b32 s28, s44
                                        ; implicit-def: $vgpr4_vgpr5
	s_branch .LBB87_856
.LBB87_820:
	s_mov_b32 s49, -1
	s_mov_b32 s29, 0
	s_mov_b32 s28, s44
                                        ; implicit-def: $vgpr4_vgpr5
	s_branch .LBB87_837
.LBB87_821:
	s_mov_b32 s49, -1
	s_mov_b32 s29, 0
	s_mov_b32 s28, s44
                                        ; implicit-def: $vgpr4_vgpr5
	s_branch .LBB87_832
.LBB87_822:
	s_mov_b32 s49, -1
	s_mov_b32 s29, 0
	s_mov_b32 s28, s44
	s_branch .LBB87_826
.LBB87_823:
	s_and_not1_saveexec_b32 s49, s49
	s_cbranch_execz .LBB87_705
.LBB87_824:
	v_add_f32_e32 v1, 0x46000000, v4
	s_and_not1_b32 s48, s48, exec_lo
	s_delay_alu instid0(VALU_DEP_1) | instskip(NEXT) | instid1(VALU_DEP_1)
	v_and_b32_e32 v1, 0xff, v1
	v_cmp_ne_u32_e32 vcc_lo, 0, v1
	s_and_b32 s50, vcc_lo, exec_lo
	s_delay_alu instid0(SALU_CYCLE_1)
	s_or_b32 s48, s48, s50
	s_or_b32 exec_lo, exec_lo, s49
	v_mov_b32_e32 v5, 0
	s_and_saveexec_b32 s49, s48
	s_cbranch_execnz .LBB87_706
	s_branch .LBB87_707
.LBB87_825:
	s_mov_b32 s28, -1
	s_mov_b32 s29, 0
.LBB87_826:
                                        ; implicit-def: $vgpr4_vgpr5
.LBB87_827:
	s_and_b32 vcc_lo, exec_lo, s49
	s_cbranch_vccz .LBB87_831
; %bb.828:
	s_cmp_eq_u32 s2, 44
	s_cbranch_scc0 .LBB87_830
; %bb.829:
	global_load_u8 v1, v[8:9], off
	s_mov_b32 s28, 0
	s_mov_b32 s29, -1
	s_wait_loadcnt 0x0
	v_lshlrev_b32_e32 v3, 23, v1
	v_cmp_ne_u32_e32 vcc_lo, 0xff, v1
	s_delay_alu instid0(VALU_DEP_2) | instskip(NEXT) | instid1(VALU_DEP_1)
	v_cvt_f64_f32_e32 v[4:5], v3
	v_cndmask_b32_e32 v3, 0x20000000, v4, vcc_lo
	s_delay_alu instid0(VALU_DEP_2) | instskip(SKIP_1) | instid1(VALU_DEP_2)
	v_cndmask_b32_e32 v4, 0x7ff80000, v5, vcc_lo
	v_cmp_ne_u32_e32 vcc_lo, 0, v1
	v_cndmask_b32_e32 v5, 0x38000000, v4, vcc_lo
	s_delay_alu instid0(VALU_DEP_4)
	v_cndmask_b32_e32 v4, 0, v3, vcc_lo
	s_branch .LBB87_831
.LBB87_830:
	s_mov_b32 s28, -1
                                        ; implicit-def: $vgpr4_vgpr5
.LBB87_831:
	s_mov_b32 s49, 0
.LBB87_832:
	s_delay_alu instid0(SALU_CYCLE_1)
	s_and_b32 vcc_lo, exec_lo, s49
	s_cbranch_vccz .LBB87_836
; %bb.833:
	s_cmp_eq_u32 s2, 29
	s_cbranch_scc0 .LBB87_835
; %bb.834:
	global_load_b64 v[4:5], v[8:9], off
	s_mov_b32 s29, -1
	s_mov_b32 s28, 0
	s_mov_b32 s49, 0
	s_wait_loadcnt 0x0
	v_cvt_f64_u32_e32 v[10:11], v5
	v_cvt_f64_u32_e32 v[4:5], v4
	s_delay_alu instid0(VALU_DEP_2) | instskip(NEXT) | instid1(VALU_DEP_1)
	v_ldexp_f64 v[10:11], v[10:11], 32
	v_add_f64_e32 v[4:5], v[10:11], v[4:5]
	s_branch .LBB87_837
.LBB87_835:
	s_mov_b32 s28, -1
                                        ; implicit-def: $vgpr4_vgpr5
.LBB87_836:
	s_mov_b32 s49, 0
.LBB87_837:
	s_delay_alu instid0(SALU_CYCLE_1)
	s_and_b32 vcc_lo, exec_lo, s49
	s_cbranch_vccz .LBB87_855
; %bb.838:
	s_cmp_lt_i32 s2, 27
	s_cbranch_scc1 .LBB87_841
; %bb.839:
	s_cmp_gt_i32 s2, 27
	s_cbranch_scc0 .LBB87_842
; %bb.840:
	global_load_b32 v1, v[8:9], off
	s_mov_b32 s29, 0
	s_wait_loadcnt 0x0
	v_cvt_f64_u32_e32 v[4:5], v1
	s_branch .LBB87_843
.LBB87_841:
	s_mov_b32 s29, -1
                                        ; implicit-def: $vgpr4_vgpr5
	s_branch .LBB87_846
.LBB87_842:
	s_mov_b32 s29, -1
                                        ; implicit-def: $vgpr4_vgpr5
.LBB87_843:
	s_delay_alu instid0(SALU_CYCLE_1)
	s_and_not1_b32 vcc_lo, exec_lo, s29
	s_cbranch_vccnz .LBB87_845
; %bb.844:
	global_load_u16 v1, v[8:9], off
	s_wait_loadcnt 0x0
	v_cvt_f64_u32_e32 v[4:5], v1
.LBB87_845:
	s_mov_b32 s29, 0
.LBB87_846:
	s_delay_alu instid0(SALU_CYCLE_1)
	s_and_not1_b32 vcc_lo, exec_lo, s29
	s_cbranch_vccnz .LBB87_854
; %bb.847:
	global_load_u8 v1, v[8:9], off
	s_mov_b32 s29, 0
	s_mov_b32 s49, exec_lo
	s_wait_loadcnt 0x0
	v_cmpx_lt_i16_e32 0x7f, v1
	s_xor_b32 s49, exec_lo, s49
	s_cbranch_execz .LBB87_868
; %bb.848:
	s_mov_b32 s29, -1
	s_mov_b32 s50, exec_lo
	v_cmpx_eq_u16_e32 0x80, v1
; %bb.849:
	s_xor_b32 s29, exec_lo, -1
; %bb.850:
	s_or_b32 exec_lo, exec_lo, s50
	s_delay_alu instid0(SALU_CYCLE_1)
	s_and_b32 s29, s29, exec_lo
	s_or_saveexec_b32 s49, s49
	v_mov_b64_e32 v[4:5], 0x7ff8000020000000
	s_xor_b32 exec_lo, exec_lo, s49
	s_cbranch_execnz .LBB87_869
.LBB87_851:
	s_or_b32 exec_lo, exec_lo, s49
	s_and_saveexec_b32 s49, s29
	s_cbranch_execz .LBB87_853
.LBB87_852:
	v_and_b32_e32 v3, 0xffff, v1
	s_delay_alu instid0(VALU_DEP_1) | instskip(SKIP_1) | instid1(VALU_DEP_2)
	v_and_b32_e32 v4, 7, v3
	v_bfe_u32 v10, v3, 3, 4
	v_clz_i32_u32_e32 v5, v4
	s_delay_alu instid0(VALU_DEP_2) | instskip(NEXT) | instid1(VALU_DEP_2)
	v_cmp_eq_u32_e32 vcc_lo, 0, v10
	v_min_u32_e32 v5, 32, v5
	s_delay_alu instid0(VALU_DEP_1) | instskip(NEXT) | instid1(VALU_DEP_1)
	v_subrev_nc_u32_e32 v7, 28, v5
	v_dual_lshlrev_b32 v3, v7, v3 :: v_dual_sub_nc_u32 v5, 29, v5
	s_delay_alu instid0(VALU_DEP_1) | instskip(NEXT) | instid1(VALU_DEP_1)
	v_dual_lshlrev_b32 v1, 24, v1 :: v_dual_bitop2_b32 v3, 7, v3 bitop3:0x40
	v_dual_cndmask_b32 v3, v4, v3, vcc_lo :: v_dual_cndmask_b32 v5, v10, v5, vcc_lo
	s_delay_alu instid0(VALU_DEP_2) | instskip(NEXT) | instid1(VALU_DEP_2)
	v_and_b32_e32 v1, 0x80000000, v1
	v_lshlrev_b32_e32 v3, 20, v3
	s_delay_alu instid0(VALU_DEP_3) | instskip(NEXT) | instid1(VALU_DEP_1)
	v_lshl_add_u32 v4, v5, 23, 0x3b800000
	v_or3_b32 v1, v1, v4, v3
	s_delay_alu instid0(VALU_DEP_1)
	v_cvt_f64_f32_e32 v[4:5], v1
.LBB87_853:
	s_or_b32 exec_lo, exec_lo, s49
.LBB87_854:
	s_mov_b32 s29, -1
.LBB87_855:
	s_mov_b32 s49, 0
.LBB87_856:
	s_delay_alu instid0(SALU_CYCLE_1)
	s_and_b32 vcc_lo, exec_lo, s49
	s_cbranch_vccz .LBB87_891
; %bb.857:
	s_cmp_gt_i32 s2, 22
	s_cbranch_scc0 .LBB87_867
; %bb.858:
	s_cmp_lt_i32 s2, 24
	s_cbranch_scc1 .LBB87_870
; %bb.859:
	s_cmp_gt_i32 s2, 24
	s_cbranch_scc0 .LBB87_871
; %bb.860:
	global_load_u8 v1, v[8:9], off
	s_mov_b32 s29, 0
	s_mov_b32 s49, exec_lo
	s_wait_loadcnt 0x0
	v_cmpx_lt_i16_e32 0x7f, v1
	s_xor_b32 s49, exec_lo, s49
	s_cbranch_execz .LBB87_883
; %bb.861:
	s_mov_b32 s29, -1
	s_mov_b32 s50, exec_lo
	v_cmpx_eq_u16_e32 0x80, v1
; %bb.862:
	s_xor_b32 s29, exec_lo, -1
; %bb.863:
	s_or_b32 exec_lo, exec_lo, s50
	s_delay_alu instid0(SALU_CYCLE_1)
	s_and_b32 s29, s29, exec_lo
	s_or_saveexec_b32 s49, s49
	v_mov_b64_e32 v[4:5], 0x7ff8000020000000
	s_xor_b32 exec_lo, exec_lo, s49
	s_cbranch_execnz .LBB87_884
.LBB87_864:
	s_or_b32 exec_lo, exec_lo, s49
	s_and_saveexec_b32 s49, s29
	s_cbranch_execz .LBB87_866
.LBB87_865:
	v_and_b32_e32 v3, 0xffff, v1
	s_delay_alu instid0(VALU_DEP_1) | instskip(SKIP_1) | instid1(VALU_DEP_2)
	v_and_b32_e32 v4, 3, v3
	v_bfe_u32 v10, v3, 2, 5
	v_clz_i32_u32_e32 v5, v4
	s_delay_alu instid0(VALU_DEP_2) | instskip(NEXT) | instid1(VALU_DEP_2)
	v_cmp_eq_u32_e32 vcc_lo, 0, v10
	v_min_u32_e32 v5, 32, v5
	s_delay_alu instid0(VALU_DEP_1) | instskip(NEXT) | instid1(VALU_DEP_1)
	v_subrev_nc_u32_e32 v7, 29, v5
	v_dual_lshlrev_b32 v3, v7, v3 :: v_dual_sub_nc_u32 v5, 30, v5
	s_delay_alu instid0(VALU_DEP_1) | instskip(NEXT) | instid1(VALU_DEP_1)
	v_dual_lshlrev_b32 v1, 24, v1 :: v_dual_bitop2_b32 v3, 3, v3 bitop3:0x40
	v_dual_cndmask_b32 v3, v4, v3, vcc_lo :: v_dual_cndmask_b32 v5, v10, v5, vcc_lo
	s_delay_alu instid0(VALU_DEP_2) | instskip(NEXT) | instid1(VALU_DEP_2)
	v_and_b32_e32 v1, 0x80000000, v1
	v_lshlrev_b32_e32 v3, 21, v3
	s_delay_alu instid0(VALU_DEP_3) | instskip(NEXT) | instid1(VALU_DEP_1)
	v_lshl_add_u32 v4, v5, 23, 0x37800000
	v_or3_b32 v1, v1, v4, v3
	s_delay_alu instid0(VALU_DEP_1)
	v_cvt_f64_f32_e32 v[4:5], v1
.LBB87_866:
	s_or_b32 exec_lo, exec_lo, s49
	s_mov_b32 s29, 0
	s_branch .LBB87_872
.LBB87_867:
	s_mov_b32 s49, -1
                                        ; implicit-def: $vgpr4_vgpr5
	s_branch .LBB87_878
.LBB87_868:
	s_or_saveexec_b32 s49, s49
	v_mov_b64_e32 v[4:5], 0x7ff8000020000000
	s_xor_b32 exec_lo, exec_lo, s49
	s_cbranch_execz .LBB87_851
.LBB87_869:
	v_cmp_ne_u16_e32 vcc_lo, 0, v1
	v_mov_b64_e32 v[4:5], 0
	s_and_not1_b32 s29, s29, exec_lo
	s_and_b32 s50, vcc_lo, exec_lo
	s_delay_alu instid0(SALU_CYCLE_1)
	s_or_b32 s29, s29, s50
	s_or_b32 exec_lo, exec_lo, s49
	s_and_saveexec_b32 s49, s29
	s_cbranch_execnz .LBB87_852
	s_branch .LBB87_853
.LBB87_870:
	s_mov_b32 s29, -1
                                        ; implicit-def: $vgpr4_vgpr5
	s_branch .LBB87_875
.LBB87_871:
	s_mov_b32 s29, -1
                                        ; implicit-def: $vgpr4_vgpr5
.LBB87_872:
	s_delay_alu instid0(SALU_CYCLE_1)
	s_and_b32 vcc_lo, exec_lo, s29
	s_cbranch_vccz .LBB87_874
; %bb.873:
	global_load_u8 v1, v[8:9], off
	s_wait_loadcnt 0x0
	v_lshlrev_b32_e32 v1, 24, v1
	s_delay_alu instid0(VALU_DEP_1) | instskip(NEXT) | instid1(VALU_DEP_1)
	v_and_b32_e32 v3, 0x7f000000, v1
	v_clz_i32_u32_e32 v4, v3
	v_add_nc_u32_e32 v7, 0x1000000, v3
	v_cmp_ne_u32_e32 vcc_lo, 0, v3
	s_delay_alu instid0(VALU_DEP_3) | instskip(NEXT) | instid1(VALU_DEP_1)
	v_min_u32_e32 v4, 32, v4
	v_sub_nc_u32_e64 v4, v4, 4 clamp
	s_delay_alu instid0(VALU_DEP_1) | instskip(NEXT) | instid1(VALU_DEP_1)
	v_dual_lshlrev_b32 v5, v4, v3 :: v_dual_lshlrev_b32 v4, 23, v4
	v_lshrrev_b32_e32 v5, 4, v5
	s_delay_alu instid0(VALU_DEP_1) | instskip(NEXT) | instid1(VALU_DEP_1)
	v_dual_sub_nc_u32 v4, v5, v4 :: v_dual_ashrrev_i32 v5, 8, v7
	v_add_nc_u32_e32 v4, 0x3c000000, v4
	s_delay_alu instid0(VALU_DEP_1) | instskip(NEXT) | instid1(VALU_DEP_1)
	v_and_or_b32 v4, 0x7f800000, v5, v4
	v_cndmask_b32_e32 v3, 0, v4, vcc_lo
	s_delay_alu instid0(VALU_DEP_1) | instskip(NEXT) | instid1(VALU_DEP_1)
	v_and_or_b32 v1, 0x80000000, v1, v3
	v_cvt_f64_f32_e32 v[4:5], v1
.LBB87_874:
	s_mov_b32 s29, 0
.LBB87_875:
	s_delay_alu instid0(SALU_CYCLE_1)
	s_and_not1_b32 vcc_lo, exec_lo, s29
	s_cbranch_vccnz .LBB87_877
; %bb.876:
	global_load_u8 v1, v[8:9], off
	s_wait_loadcnt 0x0
	v_lshlrev_b32_e32 v3, 25, v1
	v_lshlrev_b16 v1, 8, v1
	s_delay_alu instid0(VALU_DEP_1) | instskip(NEXT) | instid1(VALU_DEP_3)
	v_and_or_b32 v5, 0x7f00, v1, 0.5
	v_lshrrev_b32_e32 v4, 4, v3
	v_bfe_i32 v1, v1, 0, 16
	s_delay_alu instid0(VALU_DEP_3) | instskip(NEXT) | instid1(VALU_DEP_3)
	v_add_f32_e32 v5, -0.5, v5
	v_or_b32_e32 v4, 0x70000000, v4
	s_delay_alu instid0(VALU_DEP_1) | instskip(SKIP_1) | instid1(VALU_DEP_2)
	v_mul_f32_e32 v4, 0x7800000, v4
	v_cmp_gt_u32_e32 vcc_lo, 0x8000000, v3
	v_cndmask_b32_e32 v3, v4, v5, vcc_lo
	s_delay_alu instid0(VALU_DEP_1) | instskip(NEXT) | instid1(VALU_DEP_1)
	v_and_or_b32 v1, 0x80000000, v1, v3
	v_cvt_f64_f32_e32 v[4:5], v1
.LBB87_877:
	s_mov_b32 s49, 0
	s_mov_b32 s29, -1
.LBB87_878:
	s_and_not1_b32 vcc_lo, exec_lo, s49
	s_cbranch_vccnz .LBB87_891
; %bb.879:
	s_cmp_gt_i32 s2, 14
	s_cbranch_scc0 .LBB87_882
; %bb.880:
	s_cmp_eq_u32 s2, 15
	s_cbranch_scc0 .LBB87_885
; %bb.881:
	global_load_u16 v1, v[8:9], off
	s_mov_b32 s29, -1
	s_mov_b32 s28, 0
	s_wait_loadcnt 0x0
	v_lshlrev_b32_e32 v1, 16, v1
	s_delay_alu instid0(VALU_DEP_1)
	v_cvt_f64_f32_e32 v[4:5], v1
	s_branch .LBB87_886
.LBB87_882:
	s_mov_b32 s49, -1
                                        ; implicit-def: $vgpr4_vgpr5
	s_branch .LBB87_887
.LBB87_883:
	s_or_saveexec_b32 s49, s49
	v_mov_b64_e32 v[4:5], 0x7ff8000020000000
	s_xor_b32 exec_lo, exec_lo, s49
	s_cbranch_execz .LBB87_864
.LBB87_884:
	v_cmp_ne_u16_e32 vcc_lo, 0, v1
	v_mov_b64_e32 v[4:5], 0
	s_and_not1_b32 s29, s29, exec_lo
	s_and_b32 s50, vcc_lo, exec_lo
	s_delay_alu instid0(SALU_CYCLE_1)
	s_or_b32 s29, s29, s50
	s_or_b32 exec_lo, exec_lo, s49
	s_and_saveexec_b32 s49, s29
	s_cbranch_execnz .LBB87_865
	s_branch .LBB87_866
.LBB87_885:
	s_mov_b32 s28, -1
                                        ; implicit-def: $vgpr4_vgpr5
.LBB87_886:
	s_mov_b32 s49, 0
.LBB87_887:
	s_delay_alu instid0(SALU_CYCLE_1)
	s_and_b32 vcc_lo, exec_lo, s49
	s_cbranch_vccz .LBB87_891
; %bb.888:
	s_cmp_eq_u32 s2, 11
	s_cbranch_scc0 .LBB87_890
; %bb.889:
	global_load_u8 v1, v[8:9], off
	v_mov_b32_e32 v4, 0
	s_mov_b32 s28, 0
	s_mov_b32 s29, -1
	s_wait_loadcnt 0x0
	v_cmp_ne_u16_e32 vcc_lo, 0, v1
	v_cndmask_b32_e64 v5, 0, 0x3ff00000, vcc_lo
	s_branch .LBB87_891
.LBB87_890:
	s_mov_b32 s28, -1
                                        ; implicit-def: $vgpr4_vgpr5
.LBB87_891:
	s_mov_b32 s2, 0
.LBB87_892:
	s_delay_alu instid0(SALU_CYCLE_1)
	s_and_b32 vcc_lo, exec_lo, s2
	s_cbranch_vccz .LBB87_941
; %bb.893:
	s_and_b32 s1, 0xffff, s1
	s_delay_alu instid0(SALU_CYCLE_1)
	s_cmp_lt_i32 s1, 5
	s_cbranch_scc1 .LBB87_898
; %bb.894:
	s_cmp_lt_i32 s1, 8
	s_cbranch_scc1 .LBB87_899
; %bb.895:
	s_cmp_lt_i32 s1, 9
	s_cbranch_scc1 .LBB87_900
; %bb.896:
	s_cmp_gt_i32 s1, 9
	s_cbranch_scc0 .LBB87_901
; %bb.897:
	global_load_b64 v[4:5], v[8:9], off
	s_mov_b32 s2, 0
	s_branch .LBB87_902
.LBB87_898:
	s_mov_b32 s2, -1
                                        ; implicit-def: $vgpr4_vgpr5
	s_branch .LBB87_920
.LBB87_899:
	s_mov_b32 s2, -1
                                        ; implicit-def: $vgpr4_vgpr5
	s_branch .LBB87_908
.LBB87_900:
	s_mov_b32 s2, -1
                                        ; implicit-def: $vgpr4_vgpr5
	s_branch .LBB87_905
.LBB87_901:
	s_mov_b32 s2, -1
                                        ; implicit-def: $vgpr4_vgpr5
.LBB87_902:
	s_delay_alu instid0(SALU_CYCLE_1)
	s_and_not1_b32 vcc_lo, exec_lo, s2
	s_cbranch_vccnz .LBB87_904
; %bb.903:
	global_load_b32 v1, v[8:9], off
	s_wait_loadcnt 0x0
	v_cvt_f64_f32_e32 v[4:5], v1
.LBB87_904:
	s_mov_b32 s2, 0
.LBB87_905:
	s_delay_alu instid0(SALU_CYCLE_1)
	s_and_not1_b32 vcc_lo, exec_lo, s2
	s_cbranch_vccnz .LBB87_907
; %bb.906:
	global_load_b32 v1, v[8:9], off
	s_wait_loadcnt 0x0
	v_cvt_f32_f16_e32 v1, v1
	s_delay_alu instid0(VALU_DEP_1)
	v_cvt_f64_f32_e32 v[4:5], v1
.LBB87_907:
	s_mov_b32 s2, 0
.LBB87_908:
	s_delay_alu instid0(SALU_CYCLE_1)
	s_and_not1_b32 vcc_lo, exec_lo, s2
	s_cbranch_vccnz .LBB87_919
; %bb.909:
	s_cmp_lt_i32 s1, 6
	s_cbranch_scc1 .LBB87_912
; %bb.910:
	s_cmp_gt_i32 s1, 6
	s_cbranch_scc0 .LBB87_913
; %bb.911:
	s_wait_loadcnt 0x0
	global_load_b64 v[4:5], v[8:9], off
	s_mov_b32 s2, 0
	s_branch .LBB87_914
.LBB87_912:
	s_mov_b32 s2, -1
                                        ; implicit-def: $vgpr4_vgpr5
	s_branch .LBB87_917
.LBB87_913:
	s_mov_b32 s2, -1
                                        ; implicit-def: $vgpr4_vgpr5
.LBB87_914:
	s_delay_alu instid0(SALU_CYCLE_1)
	s_and_not1_b32 vcc_lo, exec_lo, s2
	s_cbranch_vccnz .LBB87_916
; %bb.915:
	global_load_b32 v1, v[8:9], off
	s_wait_loadcnt 0x0
	v_cvt_f64_f32_e32 v[4:5], v1
.LBB87_916:
	s_mov_b32 s2, 0
.LBB87_917:
	s_delay_alu instid0(SALU_CYCLE_1)
	s_and_not1_b32 vcc_lo, exec_lo, s2
	s_cbranch_vccnz .LBB87_919
; %bb.918:
	global_load_u16 v1, v[8:9], off
	s_wait_loadcnt 0x0
	v_cvt_f32_f16_e32 v1, v1
	s_delay_alu instid0(VALU_DEP_1)
	v_cvt_f64_f32_e32 v[4:5], v1
.LBB87_919:
	s_mov_b32 s2, 0
.LBB87_920:
	s_delay_alu instid0(SALU_CYCLE_1)
	s_and_not1_b32 vcc_lo, exec_lo, s2
	s_cbranch_vccnz .LBB87_940
; %bb.921:
	s_cmp_lt_i32 s1, 2
	s_cbranch_scc1 .LBB87_925
; %bb.922:
	s_cmp_lt_i32 s1, 3
	s_cbranch_scc1 .LBB87_926
; %bb.923:
	s_cmp_gt_i32 s1, 3
	s_cbranch_scc0 .LBB87_927
; %bb.924:
	s_wait_loadcnt 0x0
	global_load_b64 v[4:5], v[8:9], off
	s_mov_b32 s2, 0
	s_wait_loadcnt 0x0
	v_cvt_f64_i32_e32 v[10:11], v5
	v_cvt_f64_u32_e32 v[4:5], v4
	s_delay_alu instid0(VALU_DEP_2) | instskip(NEXT) | instid1(VALU_DEP_1)
	v_ldexp_f64 v[10:11], v[10:11], 32
	v_add_f64_e32 v[4:5], v[10:11], v[4:5]
	s_branch .LBB87_928
.LBB87_925:
	s_mov_b32 s2, -1
                                        ; implicit-def: $vgpr4_vgpr5
	s_branch .LBB87_934
.LBB87_926:
	s_mov_b32 s2, -1
                                        ; implicit-def: $vgpr4_vgpr5
	s_branch .LBB87_931
.LBB87_927:
	s_mov_b32 s2, -1
                                        ; implicit-def: $vgpr4_vgpr5
.LBB87_928:
	s_delay_alu instid0(SALU_CYCLE_1)
	s_and_not1_b32 vcc_lo, exec_lo, s2
	s_cbranch_vccnz .LBB87_930
; %bb.929:
	global_load_b32 v1, v[8:9], off
	s_wait_loadcnt 0x0
	v_cvt_f64_i32_e32 v[4:5], v1
.LBB87_930:
	s_mov_b32 s2, 0
.LBB87_931:
	s_delay_alu instid0(SALU_CYCLE_1)
	s_and_not1_b32 vcc_lo, exec_lo, s2
	s_cbranch_vccnz .LBB87_933
; %bb.932:
	global_load_i16 v1, v[8:9], off
	s_wait_loadcnt 0x0
	v_cvt_f64_i32_e32 v[4:5], v1
.LBB87_933:
	s_mov_b32 s2, 0
.LBB87_934:
	s_delay_alu instid0(SALU_CYCLE_1)
	s_and_not1_b32 vcc_lo, exec_lo, s2
	s_cbranch_vccnz .LBB87_940
; %bb.935:
	s_cmp_gt_i32 s1, 0
	s_mov_b32 s1, 0
	s_cbranch_scc0 .LBB87_937
; %bb.936:
	global_load_i8 v1, v[8:9], off
	s_wait_loadcnt 0x0
	v_cvt_f64_i32_e32 v[4:5], v1
	s_branch .LBB87_938
.LBB87_937:
	s_mov_b32 s1, -1
                                        ; implicit-def: $vgpr4_vgpr5
.LBB87_938:
	s_delay_alu instid0(SALU_CYCLE_1)
	s_and_not1_b32 vcc_lo, exec_lo, s1
	s_cbranch_vccnz .LBB87_940
; %bb.939:
	global_load_u8 v1, v[8:9], off
	s_wait_loadcnt 0x0
	v_cvt_f64_u32_e32 v[4:5], v1
.LBB87_940:
	s_mov_b32 s29, -1
.LBB87_941:
	s_delay_alu instid0(SALU_CYCLE_1)
	s_and_not1_b32 vcc_lo, exec_lo, s29
	s_cbranch_vccnz .LBB87_949
; %bb.942:
	v_mov_b32_e32 v7, 0
	s_and_b32 s1, s13, 0xff
	s_delay_alu instid0(SALU_CYCLE_1) | instskip(NEXT) | instid1(VALU_DEP_1)
	s_cmp_lt_i32 s1, 11
	v_add_nc_u64_e32 v[6:7], s[8:9], v[6:7]
	s_cbranch_scc1 .LBB87_950
; %bb.943:
	s_and_b32 s2, 0xffff, s1
	s_delay_alu instid0(SALU_CYCLE_1)
	s_cmp_gt_i32 s2, 25
	s_cbranch_scc0 .LBB87_951
; %bb.944:
	s_cmp_gt_i32 s2, 28
	s_cbranch_scc0 .LBB87_952
; %bb.945:
	;; [unrolled: 3-line block ×4, first 2 shown]
	s_cmp_eq_u32 s2, 46
	s_mov_b32 s50, 0
	s_cbranch_scc0 .LBB87_957
; %bb.948:
	global_load_b32 v1, v[6:7], off
	s_mov_b32 s49, -1
	s_mov_b32 s29, 0
	s_wait_loadcnt 0x0
	v_lshlrev_b32_e32 v1, 16, v1
	s_wait_xcnt 0x1
	s_delay_alu instid0(VALU_DEP_1)
	v_cvt_f64_f32_e32 v[8:9], v1
	s_branch .LBB87_959
.LBB87_949:
	s_mov_b32 s51, 0
	s_mov_b32 s2, s45
	;; [unrolled: 1-line block ×3, first 2 shown]
	s_branch .LBB87_1198
.LBB87_950:
	s_mov_b32 s2, -1
	s_mov_b32 s49, 0
	s_mov_b32 s29, s46
                                        ; implicit-def: $vgpr8_vgpr9
	s_branch .LBB87_1024
.LBB87_951:
	s_mov_b32 s50, -1
	s_mov_b32 s49, 0
	s_mov_b32 s29, s46
                                        ; implicit-def: $vgpr8_vgpr9
	s_branch .LBB87_988
.LBB87_952:
	s_mov_b32 s50, -1
	s_mov_b32 s49, 0
	s_mov_b32 s29, s46
                                        ; implicit-def: $vgpr8_vgpr9
	s_branch .LBB87_969
.LBB87_953:
	s_mov_b32 s50, -1
	s_mov_b32 s49, 0
	s_mov_b32 s29, s46
                                        ; implicit-def: $vgpr8_vgpr9
	s_branch .LBB87_964
.LBB87_954:
	s_mov_b32 s50, -1
	s_mov_b32 s49, 0
	s_mov_b32 s29, s46
	s_branch .LBB87_958
.LBB87_955:
	s_and_not1_saveexec_b32 s49, s49
	s_cbranch_execz .LBB87_718
.LBB87_956:
	v_add_f32_e32 v1, 0x42800000, v4
	s_and_not1_b32 s48, s48, exec_lo
	s_delay_alu instid0(VALU_DEP_1) | instskip(NEXT) | instid1(VALU_DEP_1)
	v_and_b32_e32 v1, 0xff, v1
	v_cmp_ne_u32_e32 vcc_lo, 0, v1
	s_and_b32 s50, vcc_lo, exec_lo
	s_delay_alu instid0(SALU_CYCLE_1)
	s_or_b32 s48, s48, s50
	s_or_b32 exec_lo, exec_lo, s49
	v_mov_b32_e32 v5, 0
	s_and_saveexec_b32 s49, s48
	s_cbranch_execnz .LBB87_719
	s_branch .LBB87_720
.LBB87_957:
	s_mov_b32 s29, -1
	s_mov_b32 s49, 0
.LBB87_958:
                                        ; implicit-def: $vgpr8_vgpr9
.LBB87_959:
	s_and_b32 vcc_lo, exec_lo, s50
	s_cbranch_vccz .LBB87_963
; %bb.960:
	s_cmp_eq_u32 s2, 44
	s_cbranch_scc0 .LBB87_962
; %bb.961:
	global_load_u8 v1, v[6:7], off
	s_mov_b32 s29, 0
	s_mov_b32 s49, -1
	s_wait_loadcnt 0x0
	v_lshlrev_b32_e32 v3, 23, v1
	v_cmp_ne_u32_e32 vcc_lo, 0xff, v1
	s_wait_xcnt 0x1
	s_delay_alu instid0(VALU_DEP_2) | instskip(NEXT) | instid1(VALU_DEP_1)
	v_cvt_f64_f32_e32 v[8:9], v3
	v_cndmask_b32_e32 v3, 0x20000000, v8, vcc_lo
	s_delay_alu instid0(VALU_DEP_2) | instskip(SKIP_1) | instid1(VALU_DEP_2)
	v_cndmask_b32_e32 v8, 0x7ff80000, v9, vcc_lo
	v_cmp_ne_u32_e32 vcc_lo, 0, v1
	v_cndmask_b32_e32 v9, 0x38000000, v8, vcc_lo
	s_delay_alu instid0(VALU_DEP_4)
	v_cndmask_b32_e32 v8, 0, v3, vcc_lo
	s_branch .LBB87_963
.LBB87_962:
	s_mov_b32 s29, -1
                                        ; implicit-def: $vgpr8_vgpr9
.LBB87_963:
	s_mov_b32 s50, 0
.LBB87_964:
	s_delay_alu instid0(SALU_CYCLE_1)
	s_and_b32 vcc_lo, exec_lo, s50
	s_cbranch_vccz .LBB87_968
; %bb.965:
	s_cmp_eq_u32 s2, 29
	s_cbranch_scc0 .LBB87_967
; %bb.966:
	global_load_b64 v[8:9], v[6:7], off
	s_mov_b32 s49, -1
	s_mov_b32 s29, 0
	s_mov_b32 s50, 0
	s_wait_loadcnt 0x0
	v_cvt_f64_u32_e32 v[10:11], v9
	v_cvt_f64_u32_e32 v[8:9], v8
	s_delay_alu instid0(VALU_DEP_2) | instskip(NEXT) | instid1(VALU_DEP_1)
	v_ldexp_f64 v[10:11], v[10:11], 32
	v_add_f64_e32 v[8:9], v[10:11], v[8:9]
	s_branch .LBB87_969
.LBB87_967:
	s_mov_b32 s29, -1
                                        ; implicit-def: $vgpr8_vgpr9
.LBB87_968:
	s_mov_b32 s50, 0
.LBB87_969:
	s_delay_alu instid0(SALU_CYCLE_1)
	s_and_b32 vcc_lo, exec_lo, s50
	s_cbranch_vccz .LBB87_987
; %bb.970:
	s_cmp_lt_i32 s2, 27
	s_cbranch_scc1 .LBB87_973
; %bb.971:
	s_cmp_gt_i32 s2, 27
	s_cbranch_scc0 .LBB87_974
; %bb.972:
	global_load_b32 v1, v[6:7], off
	s_mov_b32 s49, 0
	s_wait_loadcnt 0x0
	s_wait_xcnt 0x1
	v_cvt_f64_u32_e32 v[8:9], v1
	s_branch .LBB87_975
.LBB87_973:
	s_mov_b32 s49, -1
                                        ; implicit-def: $vgpr8_vgpr9
	s_branch .LBB87_978
.LBB87_974:
	s_mov_b32 s49, -1
                                        ; implicit-def: $vgpr8_vgpr9
.LBB87_975:
	s_delay_alu instid0(SALU_CYCLE_1)
	s_and_not1_b32 vcc_lo, exec_lo, s49
	s_cbranch_vccnz .LBB87_977
; %bb.976:
	global_load_u16 v1, v[6:7], off
	s_wait_loadcnt 0x0
	s_wait_xcnt 0x1
	v_cvt_f64_u32_e32 v[8:9], v1
.LBB87_977:
	s_mov_b32 s49, 0
.LBB87_978:
	s_delay_alu instid0(SALU_CYCLE_1)
	s_and_not1_b32 vcc_lo, exec_lo, s49
	s_cbranch_vccnz .LBB87_986
; %bb.979:
	global_load_u8 v1, v[6:7], off
	s_mov_b32 s49, 0
	s_mov_b32 s50, exec_lo
	s_wait_loadcnt 0x0
	v_cmpx_lt_i16_e32 0x7f, v1
	s_xor_b32 s50, exec_lo, s50
	s_cbranch_execz .LBB87_1000
; %bb.980:
	s_mov_b32 s49, -1
	s_mov_b32 s51, exec_lo
	v_cmpx_eq_u16_e32 0x80, v1
; %bb.981:
	s_xor_b32 s49, exec_lo, -1
; %bb.982:
	s_or_b32 exec_lo, exec_lo, s51
	s_delay_alu instid0(SALU_CYCLE_1)
	s_and_b32 s49, s49, exec_lo
	s_or_saveexec_b32 s50, s50
	v_mov_b64_e32 v[8:9], 0x7ff8000020000000
	s_xor_b32 exec_lo, exec_lo, s50
	s_cbranch_execnz .LBB87_1001
.LBB87_983:
	s_or_b32 exec_lo, exec_lo, s50
	s_and_saveexec_b32 s50, s49
	s_cbranch_execz .LBB87_985
.LBB87_984:
	v_and_b32_e32 v3, 0xffff, v1
	s_delay_alu instid0(VALU_DEP_1) | instskip(SKIP_1) | instid1(VALU_DEP_2)
	v_and_b32_e32 v8, 7, v3
	v_bfe_u32 v11, v3, 3, 4
	v_clz_i32_u32_e32 v9, v8
	s_delay_alu instid0(VALU_DEP_2) | instskip(NEXT) | instid1(VALU_DEP_2)
	v_cmp_eq_u32_e32 vcc_lo, 0, v11
	v_min_u32_e32 v9, 32, v9
	s_delay_alu instid0(VALU_DEP_1) | instskip(NEXT) | instid1(VALU_DEP_1)
	v_subrev_nc_u32_e32 v10, 28, v9
	v_dual_lshlrev_b32 v3, v10, v3 :: v_dual_sub_nc_u32 v9, 29, v9
	s_delay_alu instid0(VALU_DEP_1) | instskip(NEXT) | instid1(VALU_DEP_1)
	v_dual_lshlrev_b32 v1, 24, v1 :: v_dual_bitop2_b32 v3, 7, v3 bitop3:0x40
	v_dual_cndmask_b32 v3, v8, v3, vcc_lo :: v_dual_cndmask_b32 v9, v11, v9, vcc_lo
	s_delay_alu instid0(VALU_DEP_2) | instskip(NEXT) | instid1(VALU_DEP_2)
	v_and_b32_e32 v1, 0x80000000, v1
	v_lshlrev_b32_e32 v3, 20, v3
	s_delay_alu instid0(VALU_DEP_3) | instskip(NEXT) | instid1(VALU_DEP_1)
	v_lshl_add_u32 v8, v9, 23, 0x3b800000
	v_or3_b32 v1, v1, v8, v3
	s_delay_alu instid0(VALU_DEP_1)
	v_cvt_f64_f32_e32 v[8:9], v1
.LBB87_985:
	s_or_b32 exec_lo, exec_lo, s50
.LBB87_986:
	s_mov_b32 s49, -1
.LBB87_987:
	s_mov_b32 s50, 0
.LBB87_988:
	s_delay_alu instid0(SALU_CYCLE_1)
	s_and_b32 vcc_lo, exec_lo, s50
	s_cbranch_vccz .LBB87_1023
; %bb.989:
	s_cmp_gt_i32 s2, 22
	s_cbranch_scc0 .LBB87_999
; %bb.990:
	s_cmp_lt_i32 s2, 24
	s_cbranch_scc1 .LBB87_1002
; %bb.991:
	s_cmp_gt_i32 s2, 24
	s_cbranch_scc0 .LBB87_1003
; %bb.992:
	global_load_u8 v1, v[6:7], off
	s_mov_b32 s49, 0
	s_mov_b32 s50, exec_lo
	s_wait_loadcnt 0x0
	v_cmpx_lt_i16_e32 0x7f, v1
	s_xor_b32 s50, exec_lo, s50
	s_cbranch_execz .LBB87_1015
; %bb.993:
	s_mov_b32 s49, -1
	s_mov_b32 s51, exec_lo
	v_cmpx_eq_u16_e32 0x80, v1
; %bb.994:
	s_xor_b32 s49, exec_lo, -1
; %bb.995:
	s_or_b32 exec_lo, exec_lo, s51
	s_delay_alu instid0(SALU_CYCLE_1)
	s_and_b32 s49, s49, exec_lo
	s_or_saveexec_b32 s50, s50
	v_mov_b64_e32 v[8:9], 0x7ff8000020000000
	s_xor_b32 exec_lo, exec_lo, s50
	s_cbranch_execnz .LBB87_1016
.LBB87_996:
	s_or_b32 exec_lo, exec_lo, s50
	s_and_saveexec_b32 s50, s49
	s_cbranch_execz .LBB87_998
.LBB87_997:
	v_and_b32_e32 v3, 0xffff, v1
	s_delay_alu instid0(VALU_DEP_1) | instskip(SKIP_1) | instid1(VALU_DEP_2)
	v_and_b32_e32 v8, 3, v3
	v_bfe_u32 v11, v3, 2, 5
	v_clz_i32_u32_e32 v9, v8
	s_delay_alu instid0(VALU_DEP_2) | instskip(NEXT) | instid1(VALU_DEP_2)
	v_cmp_eq_u32_e32 vcc_lo, 0, v11
	v_min_u32_e32 v9, 32, v9
	s_delay_alu instid0(VALU_DEP_1) | instskip(NEXT) | instid1(VALU_DEP_1)
	v_subrev_nc_u32_e32 v10, 29, v9
	v_dual_lshlrev_b32 v3, v10, v3 :: v_dual_sub_nc_u32 v9, 30, v9
	s_delay_alu instid0(VALU_DEP_1) | instskip(NEXT) | instid1(VALU_DEP_1)
	v_dual_lshlrev_b32 v1, 24, v1 :: v_dual_bitop2_b32 v3, 3, v3 bitop3:0x40
	v_dual_cndmask_b32 v3, v8, v3, vcc_lo :: v_dual_cndmask_b32 v9, v11, v9, vcc_lo
	s_delay_alu instid0(VALU_DEP_2) | instskip(NEXT) | instid1(VALU_DEP_2)
	v_and_b32_e32 v1, 0x80000000, v1
	v_lshlrev_b32_e32 v3, 21, v3
	s_delay_alu instid0(VALU_DEP_3) | instskip(NEXT) | instid1(VALU_DEP_1)
	v_lshl_add_u32 v8, v9, 23, 0x37800000
	v_or3_b32 v1, v1, v8, v3
	s_delay_alu instid0(VALU_DEP_1)
	v_cvt_f64_f32_e32 v[8:9], v1
.LBB87_998:
	s_or_b32 exec_lo, exec_lo, s50
	s_mov_b32 s49, 0
	s_branch .LBB87_1004
.LBB87_999:
	s_mov_b32 s50, -1
                                        ; implicit-def: $vgpr8_vgpr9
	s_branch .LBB87_1010
.LBB87_1000:
	s_or_saveexec_b32 s50, s50
	v_mov_b64_e32 v[8:9], 0x7ff8000020000000
	s_xor_b32 exec_lo, exec_lo, s50
	s_cbranch_execz .LBB87_983
.LBB87_1001:
	v_cmp_ne_u16_e32 vcc_lo, 0, v1
	v_mov_b64_e32 v[8:9], 0
	s_and_not1_b32 s49, s49, exec_lo
	s_and_b32 s51, vcc_lo, exec_lo
	s_delay_alu instid0(SALU_CYCLE_1)
	s_or_b32 s49, s49, s51
	s_or_b32 exec_lo, exec_lo, s50
	s_and_saveexec_b32 s50, s49
	s_cbranch_execnz .LBB87_984
	s_branch .LBB87_985
.LBB87_1002:
	s_mov_b32 s49, -1
                                        ; implicit-def: $vgpr8_vgpr9
	s_branch .LBB87_1007
.LBB87_1003:
	s_mov_b32 s49, -1
                                        ; implicit-def: $vgpr8_vgpr9
.LBB87_1004:
	s_delay_alu instid0(SALU_CYCLE_1)
	s_and_b32 vcc_lo, exec_lo, s49
	s_cbranch_vccz .LBB87_1006
; %bb.1005:
	global_load_u8 v1, v[6:7], off
	s_wait_loadcnt 0x0
	v_lshlrev_b32_e32 v1, 24, v1
	s_delay_alu instid0(VALU_DEP_1) | instskip(SKIP_1) | instid1(VALU_DEP_1)
	v_and_b32_e32 v3, 0x7f000000, v1
	s_wait_xcnt 0x1
	v_clz_i32_u32_e32 v8, v3
	v_cmp_ne_u32_e32 vcc_lo, 0, v3
	v_add_nc_u32_e32 v10, 0x1000000, v3
	s_delay_alu instid0(VALU_DEP_3) | instskip(NEXT) | instid1(VALU_DEP_1)
	v_min_u32_e32 v8, 32, v8
	v_sub_nc_u32_e64 v8, v8, 4 clamp
	s_delay_alu instid0(VALU_DEP_1) | instskip(NEXT) | instid1(VALU_DEP_1)
	v_dual_lshlrev_b32 v9, v8, v3 :: v_dual_lshlrev_b32 v8, 23, v8
	v_lshrrev_b32_e32 v9, 4, v9
	s_delay_alu instid0(VALU_DEP_1) | instskip(NEXT) | instid1(VALU_DEP_1)
	v_dual_sub_nc_u32 v8, v9, v8 :: v_dual_ashrrev_i32 v9, 8, v10
	v_add_nc_u32_e32 v8, 0x3c000000, v8
	s_delay_alu instid0(VALU_DEP_1) | instskip(NEXT) | instid1(VALU_DEP_1)
	v_and_or_b32 v8, 0x7f800000, v9, v8
	v_cndmask_b32_e32 v3, 0, v8, vcc_lo
	s_delay_alu instid0(VALU_DEP_1) | instskip(NEXT) | instid1(VALU_DEP_1)
	v_and_or_b32 v1, 0x80000000, v1, v3
	v_cvt_f64_f32_e32 v[8:9], v1
.LBB87_1006:
	s_mov_b32 s49, 0
.LBB87_1007:
	s_delay_alu instid0(SALU_CYCLE_1)
	s_and_not1_b32 vcc_lo, exec_lo, s49
	s_cbranch_vccnz .LBB87_1009
; %bb.1008:
	global_load_u8 v1, v[6:7], off
	s_wait_loadcnt 0x0
	v_lshlrev_b32_e32 v3, 25, v1
	v_lshlrev_b16 v1, 8, v1
	s_wait_xcnt 0x1
	s_delay_alu instid0(VALU_DEP_1) | instskip(NEXT) | instid1(VALU_DEP_3)
	v_and_or_b32 v9, 0x7f00, v1, 0.5
	v_lshrrev_b32_e32 v8, 4, v3
	v_bfe_i32 v1, v1, 0, 16
	s_delay_alu instid0(VALU_DEP_3) | instskip(NEXT) | instid1(VALU_DEP_3)
	v_add_f32_e32 v9, -0.5, v9
	v_or_b32_e32 v8, 0x70000000, v8
	s_delay_alu instid0(VALU_DEP_1) | instskip(SKIP_1) | instid1(VALU_DEP_2)
	v_mul_f32_e32 v8, 0x7800000, v8
	v_cmp_gt_u32_e32 vcc_lo, 0x8000000, v3
	v_cndmask_b32_e32 v3, v8, v9, vcc_lo
	s_delay_alu instid0(VALU_DEP_1) | instskip(NEXT) | instid1(VALU_DEP_1)
	v_and_or_b32 v1, 0x80000000, v1, v3
	v_cvt_f64_f32_e32 v[8:9], v1
.LBB87_1009:
	s_mov_b32 s50, 0
	s_mov_b32 s49, -1
.LBB87_1010:
	s_and_not1_b32 vcc_lo, exec_lo, s50
	s_cbranch_vccnz .LBB87_1023
; %bb.1011:
	s_cmp_gt_i32 s2, 14
	s_cbranch_scc0 .LBB87_1014
; %bb.1012:
	s_cmp_eq_u32 s2, 15
	s_cbranch_scc0 .LBB87_1017
; %bb.1013:
	global_load_u16 v1, v[6:7], off
	s_mov_b32 s49, -1
	s_mov_b32 s29, 0
	s_wait_loadcnt 0x0
	v_lshlrev_b32_e32 v1, 16, v1
	s_wait_xcnt 0x1
	s_delay_alu instid0(VALU_DEP_1)
	v_cvt_f64_f32_e32 v[8:9], v1
	s_branch .LBB87_1018
.LBB87_1014:
	s_mov_b32 s50, -1
                                        ; implicit-def: $vgpr8_vgpr9
	s_branch .LBB87_1019
.LBB87_1015:
	s_or_saveexec_b32 s50, s50
	v_mov_b64_e32 v[8:9], 0x7ff8000020000000
	s_xor_b32 exec_lo, exec_lo, s50
	s_cbranch_execz .LBB87_996
.LBB87_1016:
	v_cmp_ne_u16_e32 vcc_lo, 0, v1
	v_mov_b64_e32 v[8:9], 0
	s_and_not1_b32 s49, s49, exec_lo
	s_and_b32 s51, vcc_lo, exec_lo
	s_delay_alu instid0(SALU_CYCLE_1)
	s_or_b32 s49, s49, s51
	s_or_b32 exec_lo, exec_lo, s50
	s_and_saveexec_b32 s50, s49
	s_cbranch_execnz .LBB87_997
	s_branch .LBB87_998
.LBB87_1017:
	s_mov_b32 s29, -1
                                        ; implicit-def: $vgpr8_vgpr9
.LBB87_1018:
	s_mov_b32 s50, 0
.LBB87_1019:
	s_delay_alu instid0(SALU_CYCLE_1)
	s_and_b32 vcc_lo, exec_lo, s50
	s_cbranch_vccz .LBB87_1023
; %bb.1020:
	s_cmp_eq_u32 s2, 11
	s_cbranch_scc0 .LBB87_1022
; %bb.1021:
	global_load_u8 v1, v[6:7], off
	s_wait_xcnt 0x1
	v_mov_b32_e32 v8, 0
	s_mov_b32 s29, 0
	s_mov_b32 s49, -1
	s_wait_loadcnt 0x0
	v_cmp_ne_u16_e32 vcc_lo, 0, v1
	v_cndmask_b32_e64 v9, 0, 0x3ff00000, vcc_lo
	s_branch .LBB87_1023
.LBB87_1022:
	s_mov_b32 s29, -1
                                        ; implicit-def: $vgpr8_vgpr9
.LBB87_1023:
	s_mov_b32 s2, 0
.LBB87_1024:
	s_delay_alu instid0(SALU_CYCLE_1)
	s_and_b32 vcc_lo, exec_lo, s2
	s_cbranch_vccz .LBB87_1073
; %bb.1025:
	s_and_b32 s1, 0xffff, s1
	s_delay_alu instid0(SALU_CYCLE_1)
	s_cmp_lt_i32 s1, 5
	s_cbranch_scc1 .LBB87_1030
; %bb.1026:
	s_cmp_lt_i32 s1, 8
	s_cbranch_scc1 .LBB87_1031
; %bb.1027:
	;; [unrolled: 3-line block ×3, first 2 shown]
	s_cmp_gt_i32 s1, 9
	s_cbranch_scc0 .LBB87_1033
; %bb.1029:
	global_load_b64 v[8:9], v[6:7], off
	s_mov_b32 s2, 0
	s_branch .LBB87_1034
.LBB87_1030:
	s_mov_b32 s2, -1
                                        ; implicit-def: $vgpr8_vgpr9
	s_branch .LBB87_1052
.LBB87_1031:
	s_mov_b32 s2, -1
                                        ; implicit-def: $vgpr8_vgpr9
	s_branch .LBB87_1040
.LBB87_1032:
	s_mov_b32 s2, -1
                                        ; implicit-def: $vgpr8_vgpr9
	s_branch .LBB87_1037
.LBB87_1033:
	s_mov_b32 s2, -1
                                        ; implicit-def: $vgpr8_vgpr9
.LBB87_1034:
	s_delay_alu instid0(SALU_CYCLE_1)
	s_and_not1_b32 vcc_lo, exec_lo, s2
	s_cbranch_vccnz .LBB87_1036
; %bb.1035:
	global_load_b32 v1, v[6:7], off
	s_wait_loadcnt 0x0
	s_wait_xcnt 0x1
	v_cvt_f64_f32_e32 v[8:9], v1
.LBB87_1036:
	s_mov_b32 s2, 0
.LBB87_1037:
	s_delay_alu instid0(SALU_CYCLE_1)
	s_and_not1_b32 vcc_lo, exec_lo, s2
	s_cbranch_vccnz .LBB87_1039
; %bb.1038:
	global_load_b32 v1, v[6:7], off
	s_wait_loadcnt 0x0
	v_cvt_f32_f16_e32 v1, v1
	s_wait_xcnt 0x1
	s_delay_alu instid0(VALU_DEP_1)
	v_cvt_f64_f32_e32 v[8:9], v1
.LBB87_1039:
	s_mov_b32 s2, 0
.LBB87_1040:
	s_delay_alu instid0(SALU_CYCLE_1)
	s_and_not1_b32 vcc_lo, exec_lo, s2
	s_cbranch_vccnz .LBB87_1051
; %bb.1041:
	s_cmp_lt_i32 s1, 6
	s_cbranch_scc1 .LBB87_1044
; %bb.1042:
	s_cmp_gt_i32 s1, 6
	s_cbranch_scc0 .LBB87_1045
; %bb.1043:
	s_wait_loadcnt 0x0
	global_load_b64 v[8:9], v[6:7], off
	s_mov_b32 s2, 0
	s_branch .LBB87_1046
.LBB87_1044:
	s_mov_b32 s2, -1
                                        ; implicit-def: $vgpr8_vgpr9
	s_branch .LBB87_1049
.LBB87_1045:
	s_mov_b32 s2, -1
                                        ; implicit-def: $vgpr8_vgpr9
.LBB87_1046:
	s_delay_alu instid0(SALU_CYCLE_1)
	s_and_not1_b32 vcc_lo, exec_lo, s2
	s_cbranch_vccnz .LBB87_1048
; %bb.1047:
	global_load_b32 v1, v[6:7], off
	s_wait_loadcnt 0x0
	s_wait_xcnt 0x1
	v_cvt_f64_f32_e32 v[8:9], v1
.LBB87_1048:
	s_mov_b32 s2, 0
.LBB87_1049:
	s_delay_alu instid0(SALU_CYCLE_1)
	s_and_not1_b32 vcc_lo, exec_lo, s2
	s_cbranch_vccnz .LBB87_1051
; %bb.1050:
	global_load_u16 v1, v[6:7], off
	s_wait_loadcnt 0x0
	v_cvt_f32_f16_e32 v1, v1
	s_wait_xcnt 0x1
	s_delay_alu instid0(VALU_DEP_1)
	v_cvt_f64_f32_e32 v[8:9], v1
.LBB87_1051:
	s_mov_b32 s2, 0
.LBB87_1052:
	s_delay_alu instid0(SALU_CYCLE_1)
	s_and_not1_b32 vcc_lo, exec_lo, s2
	s_cbranch_vccnz .LBB87_1072
; %bb.1053:
	s_cmp_lt_i32 s1, 2
	s_cbranch_scc1 .LBB87_1057
; %bb.1054:
	s_cmp_lt_i32 s1, 3
	s_cbranch_scc1 .LBB87_1058
; %bb.1055:
	s_cmp_gt_i32 s1, 3
	s_cbranch_scc0 .LBB87_1059
; %bb.1056:
	s_wait_loadcnt 0x0
	global_load_b64 v[8:9], v[6:7], off
	s_mov_b32 s2, 0
	s_wait_loadcnt 0x0
	v_cvt_f64_i32_e32 v[10:11], v9
	v_cvt_f64_u32_e32 v[8:9], v8
	s_delay_alu instid0(VALU_DEP_2) | instskip(NEXT) | instid1(VALU_DEP_1)
	v_ldexp_f64 v[10:11], v[10:11], 32
	v_add_f64_e32 v[8:9], v[10:11], v[8:9]
	s_branch .LBB87_1060
.LBB87_1057:
	s_mov_b32 s2, -1
                                        ; implicit-def: $vgpr8_vgpr9
	s_branch .LBB87_1066
.LBB87_1058:
	s_mov_b32 s2, -1
                                        ; implicit-def: $vgpr8_vgpr9
	s_branch .LBB87_1063
.LBB87_1059:
	s_mov_b32 s2, -1
                                        ; implicit-def: $vgpr8_vgpr9
.LBB87_1060:
	s_delay_alu instid0(SALU_CYCLE_1)
	s_and_not1_b32 vcc_lo, exec_lo, s2
	s_cbranch_vccnz .LBB87_1062
; %bb.1061:
	global_load_b32 v1, v[6:7], off
	s_wait_loadcnt 0x0
	s_wait_xcnt 0x1
	v_cvt_f64_i32_e32 v[8:9], v1
.LBB87_1062:
	s_mov_b32 s2, 0
.LBB87_1063:
	s_delay_alu instid0(SALU_CYCLE_1)
	s_and_not1_b32 vcc_lo, exec_lo, s2
	s_cbranch_vccnz .LBB87_1065
; %bb.1064:
	global_load_i16 v1, v[6:7], off
	s_wait_loadcnt 0x0
	s_wait_xcnt 0x1
	v_cvt_f64_i32_e32 v[8:9], v1
.LBB87_1065:
	s_mov_b32 s2, 0
.LBB87_1066:
	s_delay_alu instid0(SALU_CYCLE_1)
	s_and_not1_b32 vcc_lo, exec_lo, s2
	s_cbranch_vccnz .LBB87_1072
; %bb.1067:
	s_cmp_gt_i32 s1, 0
	s_mov_b32 s1, 0
	s_cbranch_scc0 .LBB87_1069
; %bb.1068:
	global_load_i8 v1, v[6:7], off
	s_wait_loadcnt 0x0
	s_wait_xcnt 0x1
	v_cvt_f64_i32_e32 v[8:9], v1
	s_branch .LBB87_1070
.LBB87_1069:
	s_mov_b32 s1, -1
                                        ; implicit-def: $vgpr8_vgpr9
.LBB87_1070:
	s_delay_alu instid0(SALU_CYCLE_1)
	s_and_not1_b32 vcc_lo, exec_lo, s1
	s_cbranch_vccnz .LBB87_1072
; %bb.1071:
	global_load_u8 v1, v[6:7], off
	s_wait_loadcnt 0x0
	s_wait_xcnt 0x1
	v_cvt_f64_u32_e32 v[8:9], v1
.LBB87_1072:
	s_mov_b32 s49, -1
.LBB87_1073:
	s_delay_alu instid0(SALU_CYCLE_1)
	s_and_not1_b32 vcc_lo, exec_lo, s49
	s_cbranch_vccnz .LBB87_1081
; %bb.1074:
	s_wait_loadcnt 0x0
	s_delay_alu instid0(VALU_DEP_1) | instskip(SKIP_1) | instid1(SALU_CYCLE_1)
	v_cmp_eq_f64_e32 vcc_lo, v[4:5], v[8:9]
	s_and_b32 s49, s11, 0xff
	s_cmp_lt_i32 s49, 11
	v_cndmask_b32_e64 v1, 0, 1, vcc_lo
	v_cmp_neq_f64_e32 vcc_lo, v[4:5], v[8:9]
	v_cndmask_b32_e64 v3, 0, 1, vcc_lo
	s_delay_alu instid0(VALU_DEP_1) | instskip(NEXT) | instid1(VALU_DEP_1)
	v_dual_cndmask_b32 v1, v3, v1, s0 :: v_dual_mov_b32 v3, 0
	v_and_b32_e32 v1, 1, v1
	s_delay_alu instid0(VALU_DEP_2) | instskip(NEXT) | instid1(VALU_DEP_2)
	v_add_nc_u64_e32 v[2:3], s[4:5], v[2:3]
	v_cmp_eq_u32_e64 s1, 1, v1
	s_cbranch_scc1 .LBB87_1082
; %bb.1075:
	s_and_b32 s50, 0xffff, s49
	s_delay_alu instid0(SALU_CYCLE_1)
	s_cmp_gt_i32 s50, 25
	s_cbranch_scc0 .LBB87_1083
; %bb.1076:
	s_cmp_gt_i32 s50, 28
	s_cbranch_scc0 .LBB87_1084
; %bb.1077:
	;; [unrolled: 3-line block ×4, first 2 shown]
	s_mov_b32 s52, 0
	s_mov_b32 s2, -1
	s_cmp_eq_u32 s50, 46
	s_mov_b32 s51, 0
	s_cbranch_scc0 .LBB87_1087
; %bb.1080:
	v_cndmask_b32_e64 v1, 0, 1.0, s1
	s_mov_b32 s51, -1
	s_mov_b32 s2, 0
	s_delay_alu instid0(VALU_DEP_1) | instskip(NEXT) | instid1(VALU_DEP_1)
	v_bfe_u32 v4, v1, 16, 1
	v_add3_u32 v1, v1, v4, 0x7fff
	s_delay_alu instid0(VALU_DEP_1)
	v_lshrrev_b32_e32 v1, 16, v1
	global_store_b32 v[2:3], v1, off
	s_branch .LBB87_1087
.LBB87_1081:
	s_mov_b32 s51, 0
	s_mov_b32 s2, s45
	s_branch .LBB87_1198
.LBB87_1082:
	s_mov_b32 s50, -1
	s_mov_b32 s51, 0
	s_mov_b32 s2, s45
	s_branch .LBB87_1156
.LBB87_1083:
	s_mov_b32 s52, -1
	s_mov_b32 s51, 0
	s_mov_b32 s2, s45
	s_branch .LBB87_1114
.LBB87_1084:
	s_mov_b32 s52, -1
	s_mov_b32 s51, 0
	s_mov_b32 s2, s45
	s_branch .LBB87_1097
.LBB87_1085:
	s_mov_b32 s52, -1
	s_mov_b32 s51, 0
	s_mov_b32 s2, s45
	s_branch .LBB87_1093
.LBB87_1086:
	s_mov_b32 s52, -1
	s_mov_b32 s51, 0
	s_mov_b32 s2, s45
.LBB87_1087:
	s_and_b32 vcc_lo, exec_lo, s52
	s_cbranch_vccz .LBB87_1092
; %bb.1088:
	s_cmp_eq_u32 s50, 44
	s_mov_b32 s2, -1
	s_cbranch_scc0 .LBB87_1092
; %bb.1089:
	v_cndmask_b32_e64 v5, 0, 1.0, s1
	s_mov_b32 s51, exec_lo
	s_wait_xcnt 0x0
	s_delay_alu instid0(VALU_DEP_1) | instskip(NEXT) | instid1(VALU_DEP_1)
	v_dual_mov_b32 v4, 0xff :: v_dual_lshrrev_b32 v1, 23, v5
	v_cmpx_ne_u32_e32 0xff, v1
; %bb.1090:
	v_and_b32_e32 v4, 0x400000, v5
	v_and_or_b32 v5, 0x3fffff, v5, v1
	s_delay_alu instid0(VALU_DEP_2) | instskip(NEXT) | instid1(VALU_DEP_2)
	v_cmp_ne_u32_e32 vcc_lo, 0, v4
	v_cmp_ne_u32_e64 s2, 0, v5
	s_and_b32 s2, vcc_lo, s2
	s_delay_alu instid0(SALU_CYCLE_1) | instskip(NEXT) | instid1(VALU_DEP_1)
	v_cndmask_b32_e64 v4, 0, 1, s2
	v_add_nc_u32_e32 v4, v1, v4
; %bb.1091:
	s_or_b32 exec_lo, exec_lo, s51
	s_mov_b32 s51, -1
	s_mov_b32 s2, 0
	global_store_b8 v[2:3], v4, off
.LBB87_1092:
	s_mov_b32 s52, 0
.LBB87_1093:
	s_delay_alu instid0(SALU_CYCLE_1)
	s_and_b32 vcc_lo, exec_lo, s52
	s_cbranch_vccz .LBB87_1096
; %bb.1094:
	s_cmp_eq_u32 s50, 29
	s_mov_b32 s2, -1
	s_cbranch_scc0 .LBB87_1096
; %bb.1095:
	s_mov_b32 s2, 0
	s_wait_xcnt 0x0
	v_cndmask_b32_e64 v4, 0, 1, s1
	v_mov_b32_e32 v5, s2
	s_mov_b32 s51, -1
	s_mov_b32 s52, 0
	global_store_b64 v[2:3], v[4:5], off
	s_branch .LBB87_1097
.LBB87_1096:
	s_mov_b32 s52, 0
.LBB87_1097:
	s_delay_alu instid0(SALU_CYCLE_1)
	s_and_b32 vcc_lo, exec_lo, s52
	s_cbranch_vccz .LBB87_1113
; %bb.1098:
	s_cmp_lt_i32 s50, 27
	s_mov_b32 s51, -1
	s_cbranch_scc1 .LBB87_1104
; %bb.1099:
	s_cmp_gt_i32 s50, 27
	s_cbranch_scc0 .LBB87_1101
; %bb.1100:
	s_wait_xcnt 0x0
	v_cndmask_b32_e64 v1, 0, 1, s1
	s_mov_b32 s51, 0
	global_store_b32 v[2:3], v1, off
.LBB87_1101:
	s_and_not1_b32 vcc_lo, exec_lo, s51
	s_cbranch_vccnz .LBB87_1103
; %bb.1102:
	s_wait_xcnt 0x0
	v_cndmask_b32_e64 v1, 0, 1, s1
	global_store_b16 v[2:3], v1, off
.LBB87_1103:
	s_mov_b32 s51, 0
.LBB87_1104:
	s_delay_alu instid0(SALU_CYCLE_1)
	s_and_not1_b32 vcc_lo, exec_lo, s51
	s_cbranch_vccnz .LBB87_1112
; %bb.1105:
	s_wait_xcnt 0x0
	v_cndmask_b32_e64 v4, 0, 1.0, s1
	v_mov_b32_e32 v5, 0x80
	s_mov_b32 s51, exec_lo
	s_delay_alu instid0(VALU_DEP_2)
	v_cmpx_gt_u32_e32 0x43800000, v4
	s_cbranch_execz .LBB87_1111
; %bb.1106:
	s_mov_b32 s52, 0
	s_mov_b32 s53, exec_lo
                                        ; implicit-def: $vgpr1
	v_cmpx_lt_u32_e32 0x3bffffff, v4
	s_xor_b32 s53, exec_lo, s53
	s_cbranch_execz .LBB87_1226
; %bb.1107:
	v_bfe_u32 v1, v4, 20, 1
	s_mov_b32 s52, exec_lo
	s_delay_alu instid0(VALU_DEP_1) | instskip(NEXT) | instid1(VALU_DEP_1)
	v_add3_u32 v1, v4, v1, 0x487ffff
                                        ; implicit-def: $vgpr4
	v_lshrrev_b32_e32 v1, 20, v1
	s_and_not1_saveexec_b32 s53, s53
	s_cbranch_execnz .LBB87_1227
.LBB87_1108:
	s_or_b32 exec_lo, exec_lo, s53
	v_mov_b32_e32 v5, 0
	s_and_saveexec_b32 s53, s52
.LBB87_1109:
	v_mov_b32_e32 v5, v1
.LBB87_1110:
	s_or_b32 exec_lo, exec_lo, s53
.LBB87_1111:
	s_delay_alu instid0(SALU_CYCLE_1)
	s_or_b32 exec_lo, exec_lo, s51
	global_store_b8 v[2:3], v5, off
.LBB87_1112:
	s_mov_b32 s51, -1
.LBB87_1113:
	s_mov_b32 s52, 0
.LBB87_1114:
	s_delay_alu instid0(SALU_CYCLE_1)
	s_and_b32 vcc_lo, exec_lo, s52
	s_cbranch_vccz .LBB87_1155
; %bb.1115:
	s_cmp_gt_i32 s50, 22
	s_mov_b32 s52, -1
	s_cbranch_scc0 .LBB87_1147
; %bb.1116:
	s_cmp_lt_i32 s50, 24
	s_mov_b32 s51, -1
	s_cbranch_scc1 .LBB87_1136
; %bb.1117:
	s_cmp_gt_i32 s50, 24
	s_cbranch_scc0 .LBB87_1125
; %bb.1118:
	s_wait_xcnt 0x0
	v_cndmask_b32_e64 v4, 0, 1.0, s1
	v_mov_b32_e32 v5, 0x80
	s_mov_b32 s51, exec_lo
	s_delay_alu instid0(VALU_DEP_2)
	v_cmpx_gt_u32_e32 0x47800000, v4
	s_cbranch_execz .LBB87_1124
; %bb.1119:
	s_mov_b32 s52, 0
	s_mov_b32 s53, exec_lo
                                        ; implicit-def: $vgpr1
	v_cmpx_lt_u32_e32 0x37ffffff, v4
	s_xor_b32 s53, exec_lo, s53
	s_cbranch_execz .LBB87_2298
; %bb.1120:
	v_bfe_u32 v1, v4, 21, 1
	s_mov_b32 s52, exec_lo
	s_delay_alu instid0(VALU_DEP_1) | instskip(NEXT) | instid1(VALU_DEP_1)
	v_add3_u32 v1, v4, v1, 0x88fffff
                                        ; implicit-def: $vgpr4
	v_lshrrev_b32_e32 v1, 21, v1
	s_and_not1_saveexec_b32 s53, s53
	s_cbranch_execnz .LBB87_2299
.LBB87_1121:
	s_or_b32 exec_lo, exec_lo, s53
	v_mov_b32_e32 v5, 0
	s_and_saveexec_b32 s53, s52
.LBB87_1122:
	v_mov_b32_e32 v5, v1
.LBB87_1123:
	s_or_b32 exec_lo, exec_lo, s53
.LBB87_1124:
	s_delay_alu instid0(SALU_CYCLE_1)
	s_or_b32 exec_lo, exec_lo, s51
	s_mov_b32 s51, 0
	global_store_b8 v[2:3], v5, off
.LBB87_1125:
	s_and_b32 vcc_lo, exec_lo, s51
	s_cbranch_vccz .LBB87_1135
; %bb.1126:
	s_wait_xcnt 0x0
	v_cndmask_b32_e64 v4, 0, 1.0, s1
	s_mov_b32 s51, exec_lo
                                        ; implicit-def: $vgpr1
	s_delay_alu instid0(VALU_DEP_1)
	v_cmpx_gt_u32_e32 0x43f00000, v4
	s_xor_b32 s51, exec_lo, s51
	s_cbranch_execz .LBB87_1132
; %bb.1127:
	s_mov_b32 s52, exec_lo
                                        ; implicit-def: $vgpr1
	v_cmpx_lt_u32_e32 0x3c7fffff, v4
	s_xor_b32 s52, exec_lo, s52
; %bb.1128:
	v_bfe_u32 v1, v4, 20, 1
	s_delay_alu instid0(VALU_DEP_1) | instskip(NEXT) | instid1(VALU_DEP_1)
	v_add3_u32 v1, v4, v1, 0x407ffff
	v_and_b32_e32 v4, 0xff00000, v1
	v_lshrrev_b32_e32 v1, 20, v1
	s_delay_alu instid0(VALU_DEP_2) | instskip(NEXT) | instid1(VALU_DEP_2)
	v_cmp_ne_u32_e32 vcc_lo, 0x7f00000, v4
                                        ; implicit-def: $vgpr4
	v_cndmask_b32_e32 v1, 0x7e, v1, vcc_lo
; %bb.1129:
	s_and_not1_saveexec_b32 s52, s52
; %bb.1130:
	v_add_f32_e32 v1, 0x46800000, v4
; %bb.1131:
	s_or_b32 exec_lo, exec_lo, s52
                                        ; implicit-def: $vgpr4
.LBB87_1132:
	s_and_not1_saveexec_b32 s51, s51
; %bb.1133:
	v_mov_b32_e32 v1, 0x7f
	v_cmp_lt_u32_e32 vcc_lo, 0x7f800000, v4
	s_delay_alu instid0(VALU_DEP_2)
	v_cndmask_b32_e32 v1, 0x7e, v1, vcc_lo
; %bb.1134:
	s_or_b32 exec_lo, exec_lo, s51
	global_store_b8 v[2:3], v1, off
.LBB87_1135:
	s_mov_b32 s51, 0
.LBB87_1136:
	s_delay_alu instid0(SALU_CYCLE_1)
	s_and_not1_b32 vcc_lo, exec_lo, s51
	s_cbranch_vccnz .LBB87_1146
; %bb.1137:
	s_wait_xcnt 0x0
	v_cndmask_b32_e64 v4, 0, 1.0, s1
	s_mov_b32 s51, exec_lo
                                        ; implicit-def: $vgpr1
	s_delay_alu instid0(VALU_DEP_1)
	v_cmpx_gt_u32_e32 0x47800000, v4
	s_xor_b32 s51, exec_lo, s51
	s_cbranch_execz .LBB87_1143
; %bb.1138:
	s_mov_b32 s52, exec_lo
                                        ; implicit-def: $vgpr1
	v_cmpx_lt_u32_e32 0x387fffff, v4
	s_xor_b32 s52, exec_lo, s52
; %bb.1139:
	v_bfe_u32 v1, v4, 21, 1
	s_delay_alu instid0(VALU_DEP_1) | instskip(NEXT) | instid1(VALU_DEP_1)
	v_add3_u32 v1, v4, v1, 0x80fffff
                                        ; implicit-def: $vgpr4
	v_lshrrev_b32_e32 v1, 21, v1
; %bb.1140:
	s_and_not1_saveexec_b32 s52, s52
; %bb.1141:
	v_add_f32_e32 v1, 0x43000000, v4
; %bb.1142:
	s_or_b32 exec_lo, exec_lo, s52
                                        ; implicit-def: $vgpr4
.LBB87_1143:
	s_and_not1_saveexec_b32 s51, s51
; %bb.1144:
	v_mov_b32_e32 v1, 0x7f
	v_cmp_lt_u32_e32 vcc_lo, 0x7f800000, v4
	s_delay_alu instid0(VALU_DEP_2)
	v_cndmask_b32_e32 v1, 0x7c, v1, vcc_lo
; %bb.1145:
	s_or_b32 exec_lo, exec_lo, s51
	global_store_b8 v[2:3], v1, off
.LBB87_1146:
	s_mov_b32 s52, 0
	s_mov_b32 s51, -1
.LBB87_1147:
	s_and_not1_b32 vcc_lo, exec_lo, s52
	s_cbranch_vccnz .LBB87_1155
; %bb.1148:
	s_cmp_gt_i32 s50, 14
	s_mov_b32 s52, -1
	s_cbranch_scc0 .LBB87_1152
; %bb.1149:
	s_cmp_eq_u32 s50, 15
	s_mov_b32 s2, -1
	s_cbranch_scc0 .LBB87_1151
; %bb.1150:
	s_wait_xcnt 0x0
	v_cndmask_b32_e64 v1, 0, 1.0, s1
	s_mov_b32 s51, -1
	s_mov_b32 s2, 0
	s_delay_alu instid0(VALU_DEP_1) | instskip(NEXT) | instid1(VALU_DEP_1)
	v_bfe_u32 v4, v1, 16, 1
	v_add3_u32 v1, v1, v4, 0x7fff
	global_store_d16_hi_b16 v[2:3], v1, off
.LBB87_1151:
	s_mov_b32 s52, 0
.LBB87_1152:
	s_delay_alu instid0(SALU_CYCLE_1)
	s_and_b32 vcc_lo, exec_lo, s52
	s_cbranch_vccz .LBB87_1155
; %bb.1153:
	s_cmp_eq_u32 s50, 11
	s_mov_b32 s2, -1
	s_cbranch_scc0 .LBB87_1155
; %bb.1154:
	s_wait_xcnt 0x0
	v_cndmask_b32_e64 v1, 0, 1, s1
	s_mov_b32 s51, -1
	s_mov_b32 s2, 0
	global_store_b8 v[2:3], v1, off
.LBB87_1155:
	s_mov_b32 s50, 0
.LBB87_1156:
	s_delay_alu instid0(SALU_CYCLE_1)
	s_and_b32 vcc_lo, exec_lo, s50
	s_cbranch_vccz .LBB87_1195
; %bb.1157:
	s_and_b32 s49, 0xffff, s49
	s_mov_b32 s50, -1
	s_cmp_lt_i32 s49, 5
	s_cbranch_scc1 .LBB87_1178
; %bb.1158:
	s_cmp_lt_i32 s49, 8
	s_cbranch_scc1 .LBB87_1168
; %bb.1159:
	;; [unrolled: 3-line block ×3, first 2 shown]
	s_cmp_gt_i32 s49, 9
	s_cbranch_scc0 .LBB87_1162
; %bb.1161:
	s_wait_xcnt 0x0
	v_cndmask_b32_e64 v1, 0, 1, s1
	v_mov_b32_e32 v6, 0
	s_mov_b32 s50, 0
	s_delay_alu instid0(VALU_DEP_2) | instskip(NEXT) | instid1(VALU_DEP_2)
	v_cvt_f64_u32_e32 v[4:5], v1
	v_mov_b32_e32 v7, v6
	global_store_b128 v[2:3], v[4:7], off
.LBB87_1162:
	s_and_not1_b32 vcc_lo, exec_lo, s50
	s_cbranch_vccnz .LBB87_1164
; %bb.1163:
	s_wait_xcnt 0x0
	v_cndmask_b32_e64 v4, 0, 1.0, s1
	v_mov_b32_e32 v5, 0
	global_store_b64 v[2:3], v[4:5], off
.LBB87_1164:
	s_mov_b32 s50, 0
.LBB87_1165:
	s_delay_alu instid0(SALU_CYCLE_1)
	s_and_not1_b32 vcc_lo, exec_lo, s50
	s_cbranch_vccnz .LBB87_1167
; %bb.1166:
	s_wait_xcnt 0x0
	v_cndmask_b32_e64 v1, 0, 1.0, s1
	s_delay_alu instid0(VALU_DEP_1) | instskip(NEXT) | instid1(VALU_DEP_1)
	v_cvt_f16_f32_e32 v1, v1
	v_and_b32_e32 v1, 0xffff, v1
	global_store_b32 v[2:3], v1, off
.LBB87_1167:
	s_mov_b32 s50, 0
.LBB87_1168:
	s_delay_alu instid0(SALU_CYCLE_1)
	s_and_not1_b32 vcc_lo, exec_lo, s50
	s_cbranch_vccnz .LBB87_1177
; %bb.1169:
	s_cmp_lt_i32 s49, 6
	s_mov_b32 s50, -1
	s_cbranch_scc1 .LBB87_1175
; %bb.1170:
	s_cmp_gt_i32 s49, 6
	s_cbranch_scc0 .LBB87_1172
; %bb.1171:
	s_wait_xcnt 0x0
	v_cndmask_b32_e64 v1, 0, 1, s1
	s_mov_b32 s50, 0
	s_delay_alu instid0(VALU_DEP_1)
	v_cvt_f64_u32_e32 v[4:5], v1
	global_store_b64 v[2:3], v[4:5], off
.LBB87_1172:
	s_and_not1_b32 vcc_lo, exec_lo, s50
	s_cbranch_vccnz .LBB87_1174
; %bb.1173:
	s_wait_xcnt 0x0
	v_cndmask_b32_e64 v1, 0, 1.0, s1
	global_store_b32 v[2:3], v1, off
.LBB87_1174:
	s_mov_b32 s50, 0
.LBB87_1175:
	s_delay_alu instid0(SALU_CYCLE_1)
	s_and_not1_b32 vcc_lo, exec_lo, s50
	s_cbranch_vccnz .LBB87_1177
; %bb.1176:
	s_wait_xcnt 0x0
	v_cndmask_b32_e64 v1, 0, 1.0, s1
	s_delay_alu instid0(VALU_DEP_1)
	v_cvt_f16_f32_e32 v1, v1
	global_store_b16 v[2:3], v1, off
.LBB87_1177:
	s_mov_b32 s50, 0
.LBB87_1178:
	s_delay_alu instid0(SALU_CYCLE_1)
	s_and_not1_b32 vcc_lo, exec_lo, s50
	s_cbranch_vccnz .LBB87_1194
; %bb.1179:
	s_cmp_lt_i32 s49, 2
	s_mov_b32 s50, -1
	s_cbranch_scc1 .LBB87_1189
; %bb.1180:
	s_cmp_lt_i32 s49, 3
	s_cbranch_scc1 .LBB87_1186
; %bb.1181:
	s_cmp_gt_i32 s49, 3
	s_cbranch_scc0 .LBB87_1183
; %bb.1182:
	s_mov_b32 s50, 0
	s_wait_xcnt 0x0
	v_cndmask_b32_e64 v4, 0, 1, s1
	v_mov_b32_e32 v5, s50
	global_store_b64 v[2:3], v[4:5], off
.LBB87_1183:
	s_and_not1_b32 vcc_lo, exec_lo, s50
	s_cbranch_vccnz .LBB87_1185
; %bb.1184:
	s_wait_xcnt 0x0
	v_cndmask_b32_e64 v1, 0, 1, s1
	global_store_b32 v[2:3], v1, off
.LBB87_1185:
	s_mov_b32 s50, 0
.LBB87_1186:
	s_delay_alu instid0(SALU_CYCLE_1)
	s_and_not1_b32 vcc_lo, exec_lo, s50
	s_cbranch_vccnz .LBB87_1188
; %bb.1187:
	s_wait_xcnt 0x0
	v_cndmask_b32_e64 v1, 0, 1, s1
	global_store_b16 v[2:3], v1, off
.LBB87_1188:
	s_mov_b32 s50, 0
.LBB87_1189:
	s_delay_alu instid0(SALU_CYCLE_1)
	s_and_not1_b32 vcc_lo, exec_lo, s50
	s_cbranch_vccnz .LBB87_1194
; %bb.1190:
	s_wait_xcnt 0x0
	v_cndmask_b32_e64 v1, 0, 1, s1
	s_cmp_gt_i32 s49, 0
	s_mov_b32 s1, -1
	s_cbranch_scc0 .LBB87_1192
; %bb.1191:
	s_mov_b32 s1, 0
	global_store_b8 v[2:3], v1, off
.LBB87_1192:
	s_and_not1_b32 vcc_lo, exec_lo, s1
	s_cbranch_vccnz .LBB87_1194
; %bb.1193:
	global_store_b8 v[2:3], v1, off
.LBB87_1194:
	s_mov_b32 s51, -1
.LBB87_1195:
	s_delay_alu instid0(SALU_CYCLE_1)
	s_and_not1_b32 vcc_lo, exec_lo, s51
	s_cbranch_vccnz .LBB87_1197
; %bb.1196:
	v_add_nc_u32_e32 v0, 0x80, v0
	s_mov_b32 s51, -1
	s_branch .LBB87_1199
.LBB87_1197:
	s_mov_b32 s51, 0
.LBB87_1198:
                                        ; implicit-def: $vgpr0
.LBB87_1199:
	s_and_not1_b32 s1, s45, exec_lo
	s_and_b32 s2, s2, exec_lo
	s_and_b32 s28, s28, exec_lo
	s_or_b32 s49, s1, s2
	s_and_not1_b32 s1, s46, exec_lo
	s_and_b32 s2, s29, exec_lo
	s_and_not1_b32 s29, s44, exec_lo
	s_or_b32 s50, s1, s2
	s_or_b32 s1, s29, s28
	s_or_not1_b32 s52, s51, exec_lo
.LBB87_1200:
	s_wait_xcnt 0x0
	s_or_b32 exec_lo, exec_lo, s48
	s_mov_b32 s51, 0
	s_mov_b32 s29, 0
	;; [unrolled: 1-line block ×3, first 2 shown]
                                        ; implicit-def: $sgpr2
                                        ; implicit-def: $vgpr8_vgpr9
                                        ; implicit-def: $vgpr6
                                        ; implicit-def: $vgpr2
                                        ; implicit-def: $vgpr4_vgpr5
	s_and_saveexec_b32 s48, s52
	s_cbranch_execz .LBB87_1295
; %bb.1201:
	v_cmp_gt_i32_e32 vcc_lo, s39, v0
	s_mov_b32 s52, s1
                                        ; implicit-def: $sgpr2
                                        ; implicit-def: $vgpr8_vgpr9
                                        ; implicit-def: $vgpr6
                                        ; implicit-def: $vgpr2
                                        ; implicit-def: $vgpr4_vgpr5
	s_and_saveexec_b32 s39, vcc_lo
	s_cbranch_execz .LBB87_1294
; %bb.1202:
	s_and_not1_b32 vcc_lo, exec_lo, s34
	s_cbranch_vccnz .LBB87_1208
; %bb.1203:
	s_and_not1_b32 vcc_lo, exec_lo, s40
	s_cbranch_vccnz .LBB87_1209
; %bb.1204:
	v_dual_mov_b32 v2, 0 :: v_dual_mov_b32 v1, v0
	s_wait_loadcnt 0x0
	v_dual_mov_b32 v4, 0 :: v_dual_mov_b32 v6, 0
	s_add_co_i32 s2, s38, 1
	s_mov_b64 s[28:29], 0xffffffffffffffe8
	s_and_b32 s2, s2, 30
	s_add_nc_u64 s[28:29], s[20:21], s[28:29]
.LBB87_1205:                            ; =>This Inner Loop Header: Depth=1
	s_clause 0x1
	s_load_b128 s[52:55], s[28:29], 0x1c
	s_load_b64 s[60:61], s[28:29], 0x2c
	s_add_co_i32 s2, s2, -2
	s_delay_alu instid0(SALU_CYCLE_1) | instskip(SKIP_2) | instid1(VALU_DEP_1)
	s_cmp_eq_u32 s2, 0
	s_wait_kmcnt 0x0
	v_mul_hi_u32 v3, s53, v1
	v_add_nc_u32_e32 v3, v1, v3
	s_delay_alu instid0(VALU_DEP_1) | instskip(NEXT) | instid1(VALU_DEP_1)
	v_lshrrev_b32_e32 v3, s54, v3
	v_mul_hi_u32 v5, s60, v3
	v_mul_lo_u32 v7, v3, s52
	s_clause 0x1
	s_load_b128 s[56:59], s[28:29], 0xdc
	s_load_b64 s[52:53], s[28:29], 0xec
	s_wait_xcnt 0x0
	s_add_nc_u64 s[28:29], s[28:29], 24
	s_delay_alu instid0(VALU_DEP_1) | instskip(NEXT) | instid1(VALU_DEP_1)
	v_dual_add_nc_u32 v5, v3, v5 :: v_dual_sub_nc_u32 v7, v1, v7
	v_lshrrev_b32_e32 v1, s61, v5
	s_wait_kmcnt 0x0
	s_delay_alu instid0(VALU_DEP_2) | instskip(NEXT) | instid1(VALU_DEP_2)
	v_mad_u32 v2, v7, s56, v2
	v_mul_lo_u32 v5, v1, s55
	v_mad_u32 v6, v7, s58, v6
	v_mad_u32 v4, v7, s57, v4
	s_delay_alu instid0(VALU_DEP_3) | instskip(NEXT) | instid1(VALU_DEP_1)
	v_sub_nc_u32_e32 v3, v3, v5
	v_mad_u32 v2, v3, s59, v2
	s_delay_alu instid0(VALU_DEP_4) | instskip(NEXT) | instid1(VALU_DEP_4)
	v_mad_u32 v6, v3, s53, v6
	v_mad_u32 v4, v3, s52, v4
	s_cbranch_scc0 .LBB87_1205
; %bb.1206:
	s_bitcmp1_b32 s38, 0
	s_cselect_b32 s2, -1, 0
	s_delay_alu instid0(SALU_CYCLE_1)
	s_and_b32 vcc_lo, exec_lo, s2
	s_cbranch_vccnz .LBB87_1210
; %bb.1207:
	s_clause 0x1
	s_load_b96 s[52:54], s[28:29], 0x1c
	s_load_b96 s[56:58], s[28:29], 0xdc
	s_wait_kmcnt 0x0
	v_mul_hi_u32 v3, s53, v1
	s_delay_alu instid0(VALU_DEP_1) | instskip(NEXT) | instid1(VALU_DEP_1)
	v_add_nc_u32_e32 v3, v1, v3
	v_lshrrev_b32_e32 v3, s54, v3
	s_delay_alu instid0(VALU_DEP_1) | instskip(NEXT) | instid1(VALU_DEP_1)
	v_mul_lo_u32 v3, v3, s52
	v_sub_nc_u32_e32 v1, v1, v3
	s_delay_alu instid0(VALU_DEP_1)
	v_mad_u32 v2, v1, s56, v2
	v_mad_u32 v4, v1, s57, v4
	;; [unrolled: 1-line block ×3, first 2 shown]
	s_branch .LBB87_1210
.LBB87_1208:
	s_mov_b32 s2, -1
                                        ; implicit-def: $vgpr6
                                        ; implicit-def: $vgpr4
                                        ; implicit-def: $vgpr2
	s_branch .LBB87_1211
.LBB87_1209:
	s_wait_loadcnt 0x0
	v_dual_mov_b32 v6, 0 :: v_dual_mov_b32 v4, 0
	v_mov_b32_e32 v2, 0
.LBB87_1210:
	s_mov_b32 s2, 0
.LBB87_1211:
	s_delay_alu instid0(SALU_CYCLE_1)
	s_and_not1_b32 vcc_lo, exec_lo, s2
	s_cbranch_vccnz .LBB87_1214
; %bb.1212:
	v_mov_b32_e32 v1, 0
	s_and_not1_b32 vcc_lo, exec_lo, s37
	s_delay_alu instid0(VALU_DEP_1) | instskip(NEXT) | instid1(VALU_DEP_1)
	v_mul_u64_e32 v[2:3], s[22:23], v[0:1]
	v_add_nc_u32_e32 v2, v0, v3
	s_wait_loadcnt 0x0
	s_delay_alu instid0(VALU_DEP_1) | instskip(NEXT) | instid1(VALU_DEP_1)
	v_lshrrev_b32_e32 v8, s14, v2
	v_mul_lo_u32 v2, v8, s12
	s_delay_alu instid0(VALU_DEP_1) | instskip(NEXT) | instid1(VALU_DEP_1)
	v_sub_nc_u32_e32 v0, v0, v2
	v_mul_lo_u32 v2, v0, s16
	v_mul_lo_u32 v6, v0, s18
	;; [unrolled: 1-line block ×3, first 2 shown]
	s_cbranch_vccnz .LBB87_1214
; %bb.1213:
	v_mov_b32_e32 v9, v1
	s_delay_alu instid0(VALU_DEP_1) | instskip(NEXT) | instid1(VALU_DEP_1)
	v_mul_u64_e32 v[0:1], s[26:27], v[8:9]
	v_add_nc_u32_e32 v0, v8, v1
	s_delay_alu instid0(VALU_DEP_1) | instskip(NEXT) | instid1(VALU_DEP_1)
	v_lshrrev_b32_e32 v0, s3, v0
	v_mul_lo_u32 v0, v0, s15
	s_delay_alu instid0(VALU_DEP_1) | instskip(NEXT) | instid1(VALU_DEP_1)
	v_sub_nc_u32_e32 v0, v8, v0
	v_mad_u32 v2, v0, s19, v2
	v_mad_u32 v4, v0, s24, v4
	;; [unrolled: 1-line block ×3, first 2 shown]
.LBB87_1214:
	s_wait_loadcnt 0x0
	v_mov_b32_e32 v5, 0
	s_and_b32 s2, s36, 0xff
	s_delay_alu instid0(SALU_CYCLE_1) | instskip(NEXT) | instid1(VALU_DEP_1)
	s_cmp_lt_i32 s2, 11
	v_add_nc_u64_e32 v[8:9], s[6:7], v[4:5]
	s_cbranch_scc1 .LBB87_1221
; %bb.1215:
	s_and_b32 s3, 0xffff, s2
	s_mov_b32 s7, 0
	s_cmp_gt_i32 s3, 25
	s_cbranch_scc0 .LBB87_1222
; %bb.1216:
	s_cmp_gt_i32 s3, 28
	s_cbranch_scc0 .LBB87_1223
; %bb.1217:
	;; [unrolled: 3-line block ×4, first 2 shown]
	s_cmp_eq_u32 s3, 46
	s_mov_b32 s14, 0
	s_cbranch_scc0 .LBB87_1228
; %bb.1220:
	global_load_b32 v0, v[8:9], off
	s_mov_b32 s6, 0
	s_mov_b32 s12, -1
	s_wait_loadcnt 0x0
	v_lshlrev_b32_e32 v0, 16, v0
	s_delay_alu instid0(VALU_DEP_1)
	v_cvt_f64_f32_e32 v[4:5], v0
	s_branch .LBB87_1230
.LBB87_1221:
	s_mov_b32 s3, -1
	s_mov_b32 s12, 0
	s_mov_b32 s7, 0
	;; [unrolled: 1-line block ×3, first 2 shown]
                                        ; implicit-def: $vgpr4_vgpr5
	s_branch .LBB87_1293
.LBB87_1222:
	s_mov_b32 s14, -1
	s_mov_b32 s12, 0
	s_mov_b32 s6, s1
                                        ; implicit-def: $vgpr4_vgpr5
	s_branch .LBB87_1259
.LBB87_1223:
	s_mov_b32 s14, -1
	s_mov_b32 s12, 0
	s_mov_b32 s6, s1
                                        ; implicit-def: $vgpr4_vgpr5
	s_branch .LBB87_1240
.LBB87_1224:
	s_mov_b32 s14, -1
	s_mov_b32 s12, 0
	s_mov_b32 s6, s1
                                        ; implicit-def: $vgpr4_vgpr5
	s_branch .LBB87_1235
.LBB87_1225:
	s_mov_b32 s14, -1
	s_mov_b32 s12, 0
	s_mov_b32 s6, s1
	s_branch .LBB87_1229
.LBB87_1226:
	s_and_not1_saveexec_b32 s53, s53
	s_cbranch_execz .LBB87_1108
.LBB87_1227:
	v_add_f32_e32 v1, 0x46000000, v4
	s_and_not1_b32 s52, s52, exec_lo
	s_delay_alu instid0(VALU_DEP_1) | instskip(NEXT) | instid1(VALU_DEP_1)
	v_and_b32_e32 v1, 0xff, v1
	v_cmp_ne_u32_e32 vcc_lo, 0, v1
	s_and_b32 s54, vcc_lo, exec_lo
	s_delay_alu instid0(SALU_CYCLE_1)
	s_or_b32 s52, s52, s54
	s_or_b32 exec_lo, exec_lo, s53
	v_mov_b32_e32 v5, 0
	s_and_saveexec_b32 s53, s52
	s_cbranch_execnz .LBB87_1109
	s_branch .LBB87_1110
.LBB87_1228:
	s_mov_b32 s6, -1
	s_mov_b32 s12, 0
.LBB87_1229:
                                        ; implicit-def: $vgpr4_vgpr5
.LBB87_1230:
	s_and_b32 vcc_lo, exec_lo, s14
	s_cbranch_vccz .LBB87_1234
; %bb.1231:
	s_cmp_eq_u32 s3, 44
	s_cbranch_scc0 .LBB87_1233
; %bb.1232:
	global_load_u8 v3, v[8:9], off
	s_mov_b32 s6, 0
	s_mov_b32 s12, -1
	s_wait_loadcnt 0x0
	v_cmp_ne_u32_e32 vcc_lo, 0xff, v3
	v_lshlrev_b32_e32 v0, 23, v3
	s_delay_alu instid0(VALU_DEP_1) | instskip(NEXT) | instid1(VALU_DEP_1)
	v_cvt_f64_f32_e32 v[0:1], v0
	v_cndmask_b32_e32 v0, 0x20000000, v0, vcc_lo
	s_delay_alu instid0(VALU_DEP_2) | instskip(SKIP_1) | instid1(VALU_DEP_2)
	v_cndmask_b32_e32 v1, 0x7ff80000, v1, vcc_lo
	v_cmp_ne_u32_e32 vcc_lo, 0, v3
	v_cndmask_b32_e32 v5, 0x38000000, v1, vcc_lo
	s_delay_alu instid0(VALU_DEP_4)
	v_cndmask_b32_e32 v4, 0, v0, vcc_lo
	s_branch .LBB87_1234
.LBB87_1233:
	s_mov_b32 s6, -1
                                        ; implicit-def: $vgpr4_vgpr5
.LBB87_1234:
	s_mov_b32 s14, 0
.LBB87_1235:
	s_delay_alu instid0(SALU_CYCLE_1)
	s_and_b32 vcc_lo, exec_lo, s14
	s_cbranch_vccz .LBB87_1239
; %bb.1236:
	s_cmp_eq_u32 s3, 29
	s_cbranch_scc0 .LBB87_1238
; %bb.1237:
	global_load_b64 v[0:1], v[8:9], off
	s_mov_b32 s6, 0
	s_mov_b32 s12, -1
	s_mov_b32 s14, 0
	s_wait_loadcnt 0x0
	v_cvt_f64_u32_e32 v[4:5], v1
	v_cvt_f64_u32_e32 v[0:1], v0
	s_delay_alu instid0(VALU_DEP_2) | instskip(NEXT) | instid1(VALU_DEP_1)
	v_ldexp_f64 v[4:5], v[4:5], 32
	v_add_f64_e32 v[4:5], v[4:5], v[0:1]
	s_branch .LBB87_1240
.LBB87_1238:
	s_mov_b32 s6, -1
                                        ; implicit-def: $vgpr4_vgpr5
.LBB87_1239:
	s_mov_b32 s14, 0
.LBB87_1240:
	s_delay_alu instid0(SALU_CYCLE_1)
	s_and_b32 vcc_lo, exec_lo, s14
	s_cbranch_vccz .LBB87_1258
; %bb.1241:
	s_cmp_lt_i32 s3, 27
	s_cbranch_scc1 .LBB87_1244
; %bb.1242:
	s_cmp_gt_i32 s3, 27
	s_cbranch_scc0 .LBB87_1245
; %bb.1243:
	global_load_b32 v0, v[8:9], off
	s_mov_b32 s12, 0
	s_wait_loadcnt 0x0
	v_cvt_f64_u32_e32 v[4:5], v0
	s_branch .LBB87_1246
.LBB87_1244:
	s_mov_b32 s12, -1
                                        ; implicit-def: $vgpr4_vgpr5
	s_branch .LBB87_1249
.LBB87_1245:
	s_mov_b32 s12, -1
                                        ; implicit-def: $vgpr4_vgpr5
.LBB87_1246:
	s_delay_alu instid0(SALU_CYCLE_1)
	s_and_not1_b32 vcc_lo, exec_lo, s12
	s_cbranch_vccnz .LBB87_1248
; %bb.1247:
	global_load_u16 v0, v[8:9], off
	s_wait_loadcnt 0x0
	v_cvt_f64_u32_e32 v[4:5], v0
.LBB87_1248:
	s_mov_b32 s12, 0
.LBB87_1249:
	s_delay_alu instid0(SALU_CYCLE_1)
	s_and_not1_b32 vcc_lo, exec_lo, s12
	s_cbranch_vccnz .LBB87_1257
; %bb.1250:
	global_load_u8 v0, v[8:9], off
	s_mov_b32 s12, 0
	s_mov_b32 s14, exec_lo
	s_wait_loadcnt 0x0
	v_cmpx_lt_i16_e32 0x7f, v0
	s_xor_b32 s14, exec_lo, s14
	s_cbranch_execz .LBB87_1271
; %bb.1251:
	s_mov_b32 s12, -1
	s_mov_b32 s15, exec_lo
	v_cmpx_eq_u16_e32 0x80, v0
; %bb.1252:
	s_xor_b32 s12, exec_lo, -1
; %bb.1253:
	s_or_b32 exec_lo, exec_lo, s15
	s_delay_alu instid0(SALU_CYCLE_1)
	s_and_b32 s12, s12, exec_lo
	s_or_saveexec_b32 s14, s14
	v_mov_b64_e32 v[4:5], 0x7ff8000020000000
	s_xor_b32 exec_lo, exec_lo, s14
	s_cbranch_execnz .LBB87_1272
.LBB87_1254:
	s_or_b32 exec_lo, exec_lo, s14
	s_and_saveexec_b32 s14, s12
	s_cbranch_execz .LBB87_1256
.LBB87_1255:
	v_and_b32_e32 v1, 0xffff, v0
	s_delay_alu instid0(VALU_DEP_1) | instskip(SKIP_1) | instid1(VALU_DEP_2)
	v_and_b32_e32 v3, 7, v1
	v_bfe_u32 v7, v1, 3, 4
	v_clz_i32_u32_e32 v4, v3
	s_delay_alu instid0(VALU_DEP_2) | instskip(NEXT) | instid1(VALU_DEP_2)
	v_cmp_eq_u32_e32 vcc_lo, 0, v7
	v_min_u32_e32 v4, 32, v4
	s_delay_alu instid0(VALU_DEP_1) | instskip(NEXT) | instid1(VALU_DEP_1)
	v_subrev_nc_u32_e32 v5, 28, v4
	v_dual_lshlrev_b32 v1, v5, v1 :: v_dual_sub_nc_u32 v4, 29, v4
	s_delay_alu instid0(VALU_DEP_1) | instskip(NEXT) | instid1(VALU_DEP_1)
	v_dual_lshlrev_b32 v0, 24, v0 :: v_dual_bitop2_b32 v1, 7, v1 bitop3:0x40
	v_cndmask_b32_e32 v1, v3, v1, vcc_lo
	s_delay_alu instid0(VALU_DEP_3) | instskip(NEXT) | instid1(VALU_DEP_3)
	v_cndmask_b32_e32 v4, v7, v4, vcc_lo
	v_and_b32_e32 v0, 0x80000000, v0
	s_delay_alu instid0(VALU_DEP_3) | instskip(NEXT) | instid1(VALU_DEP_3)
	v_lshlrev_b32_e32 v1, 20, v1
	v_lshl_add_u32 v3, v4, 23, 0x3b800000
	s_delay_alu instid0(VALU_DEP_1) | instskip(NEXT) | instid1(VALU_DEP_1)
	v_or3_b32 v0, v0, v3, v1
	v_cvt_f64_f32_e32 v[4:5], v0
.LBB87_1256:
	s_or_b32 exec_lo, exec_lo, s14
.LBB87_1257:
	s_mov_b32 s12, -1
.LBB87_1258:
	s_mov_b32 s14, 0
.LBB87_1259:
	s_delay_alu instid0(SALU_CYCLE_1)
	s_and_b32 vcc_lo, exec_lo, s14
	s_cbranch_vccz .LBB87_1292
; %bb.1260:
	s_cmp_gt_i32 s3, 22
	s_cbranch_scc0 .LBB87_1270
; %bb.1261:
	s_cmp_lt_i32 s3, 24
	s_cbranch_scc1 .LBB87_1273
; %bb.1262:
	s_cmp_gt_i32 s3, 24
	s_cbranch_scc0 .LBB87_1274
; %bb.1263:
	global_load_u8 v0, v[8:9], off
	s_mov_b32 s12, exec_lo
	s_wait_loadcnt 0x0
	v_cmpx_lt_i16_e32 0x7f, v0
	s_xor_b32 s12, exec_lo, s12
	s_cbranch_execz .LBB87_1286
; %bb.1264:
	s_mov_b32 s7, -1
	s_mov_b32 s14, exec_lo
	v_cmpx_eq_u16_e32 0x80, v0
; %bb.1265:
	s_xor_b32 s7, exec_lo, -1
; %bb.1266:
	s_or_b32 exec_lo, exec_lo, s14
	s_delay_alu instid0(SALU_CYCLE_1)
	s_and_b32 s7, s7, exec_lo
	s_or_saveexec_b32 s12, s12
	v_mov_b64_e32 v[4:5], 0x7ff8000020000000
	s_xor_b32 exec_lo, exec_lo, s12
	s_cbranch_execnz .LBB87_1287
.LBB87_1267:
	s_or_b32 exec_lo, exec_lo, s12
	s_and_saveexec_b32 s12, s7
	s_cbranch_execz .LBB87_1269
.LBB87_1268:
	v_and_b32_e32 v1, 0xffff, v0
	s_delay_alu instid0(VALU_DEP_1) | instskip(SKIP_1) | instid1(VALU_DEP_2)
	v_and_b32_e32 v3, 3, v1
	v_bfe_u32 v7, v1, 2, 5
	v_clz_i32_u32_e32 v4, v3
	s_delay_alu instid0(VALU_DEP_2) | instskip(NEXT) | instid1(VALU_DEP_2)
	v_cmp_eq_u32_e32 vcc_lo, 0, v7
	v_min_u32_e32 v4, 32, v4
	s_delay_alu instid0(VALU_DEP_1) | instskip(NEXT) | instid1(VALU_DEP_1)
	v_subrev_nc_u32_e32 v5, 29, v4
	v_dual_lshlrev_b32 v1, v5, v1 :: v_dual_sub_nc_u32 v4, 30, v4
	s_delay_alu instid0(VALU_DEP_1) | instskip(NEXT) | instid1(VALU_DEP_1)
	v_dual_lshlrev_b32 v0, 24, v0 :: v_dual_bitop2_b32 v1, 3, v1 bitop3:0x40
	v_cndmask_b32_e32 v1, v3, v1, vcc_lo
	s_delay_alu instid0(VALU_DEP_3) | instskip(NEXT) | instid1(VALU_DEP_3)
	v_cndmask_b32_e32 v4, v7, v4, vcc_lo
	v_and_b32_e32 v0, 0x80000000, v0
	s_delay_alu instid0(VALU_DEP_3) | instskip(NEXT) | instid1(VALU_DEP_3)
	v_lshlrev_b32_e32 v1, 21, v1
	v_lshl_add_u32 v3, v4, 23, 0x37800000
	s_delay_alu instid0(VALU_DEP_1) | instskip(NEXT) | instid1(VALU_DEP_1)
	v_or3_b32 v0, v0, v3, v1
	v_cvt_f64_f32_e32 v[4:5], v0
.LBB87_1269:
	s_or_b32 exec_lo, exec_lo, s12
	s_mov_b32 s7, 0
	s_branch .LBB87_1275
.LBB87_1270:
	s_mov_b32 s7, -1
                                        ; implicit-def: $vgpr4_vgpr5
	s_branch .LBB87_1281
.LBB87_1271:
	s_or_saveexec_b32 s14, s14
	v_mov_b64_e32 v[4:5], 0x7ff8000020000000
	s_xor_b32 exec_lo, exec_lo, s14
	s_cbranch_execz .LBB87_1254
.LBB87_1272:
	v_cmp_ne_u16_e32 vcc_lo, 0, v0
	v_mov_b64_e32 v[4:5], 0
	s_and_not1_b32 s12, s12, exec_lo
	s_and_b32 s15, vcc_lo, exec_lo
	s_delay_alu instid0(SALU_CYCLE_1)
	s_or_b32 s12, s12, s15
	s_or_b32 exec_lo, exec_lo, s14
	s_and_saveexec_b32 s14, s12
	s_cbranch_execnz .LBB87_1255
	s_branch .LBB87_1256
.LBB87_1273:
	s_mov_b32 s7, -1
                                        ; implicit-def: $vgpr4_vgpr5
	s_branch .LBB87_1278
.LBB87_1274:
	s_mov_b32 s7, -1
                                        ; implicit-def: $vgpr4_vgpr5
.LBB87_1275:
	s_delay_alu instid0(SALU_CYCLE_1)
	s_and_b32 vcc_lo, exec_lo, s7
	s_cbranch_vccz .LBB87_1277
; %bb.1276:
	global_load_u8 v0, v[8:9], off
	s_wait_loadcnt 0x0
	v_lshlrev_b32_e32 v0, 24, v0
	s_delay_alu instid0(VALU_DEP_1) | instskip(NEXT) | instid1(VALU_DEP_1)
	v_and_b32_e32 v1, 0x7f000000, v0
	v_clz_i32_u32_e32 v3, v1
	v_add_nc_u32_e32 v5, 0x1000000, v1
	v_cmp_ne_u32_e32 vcc_lo, 0, v1
	s_delay_alu instid0(VALU_DEP_3) | instskip(NEXT) | instid1(VALU_DEP_1)
	v_min_u32_e32 v3, 32, v3
	v_sub_nc_u32_e64 v3, v3, 4 clamp
	s_delay_alu instid0(VALU_DEP_1) | instskip(NEXT) | instid1(VALU_DEP_1)
	v_dual_lshlrev_b32 v4, v3, v1 :: v_dual_lshlrev_b32 v3, 23, v3
	v_lshrrev_b32_e32 v4, 4, v4
	s_delay_alu instid0(VALU_DEP_1) | instskip(NEXT) | instid1(VALU_DEP_1)
	v_dual_sub_nc_u32 v3, v4, v3 :: v_dual_ashrrev_i32 v4, 8, v5
	v_add_nc_u32_e32 v3, 0x3c000000, v3
	s_delay_alu instid0(VALU_DEP_1) | instskip(NEXT) | instid1(VALU_DEP_1)
	v_and_or_b32 v3, 0x7f800000, v4, v3
	v_cndmask_b32_e32 v1, 0, v3, vcc_lo
	s_delay_alu instid0(VALU_DEP_1) | instskip(NEXT) | instid1(VALU_DEP_1)
	v_and_or_b32 v0, 0x80000000, v0, v1
	v_cvt_f64_f32_e32 v[4:5], v0
.LBB87_1277:
	s_mov_b32 s7, 0
.LBB87_1278:
	s_delay_alu instid0(SALU_CYCLE_1)
	s_and_not1_b32 vcc_lo, exec_lo, s7
	s_cbranch_vccnz .LBB87_1280
; %bb.1279:
	global_load_u8 v0, v[8:9], off
	s_wait_loadcnt 0x0
	v_lshlrev_b32_e32 v1, 25, v0
	v_lshlrev_b16 v0, 8, v0
	s_delay_alu instid0(VALU_DEP_2) | instskip(NEXT) | instid1(VALU_DEP_2)
	v_cmp_gt_u32_e32 vcc_lo, 0x8000000, v1
	v_and_or_b32 v4, 0x7f00, v0, 0.5
	v_lshrrev_b32_e32 v3, 4, v1
	v_bfe_i32 v0, v0, 0, 16
	s_delay_alu instid0(VALU_DEP_3) | instskip(NEXT) | instid1(VALU_DEP_3)
	v_add_f32_e32 v4, -0.5, v4
	v_or_b32_e32 v3, 0x70000000, v3
	s_delay_alu instid0(VALU_DEP_1) | instskip(NEXT) | instid1(VALU_DEP_1)
	v_mul_f32_e32 v3, 0x7800000, v3
	v_cndmask_b32_e32 v1, v3, v4, vcc_lo
	s_delay_alu instid0(VALU_DEP_1) | instskip(NEXT) | instid1(VALU_DEP_1)
	v_and_or_b32 v0, 0x80000000, v0, v1
	v_cvt_f64_f32_e32 v[4:5], v0
.LBB87_1280:
	s_mov_b32 s7, 0
	s_mov_b32 s12, -1
.LBB87_1281:
	s_and_not1_b32 vcc_lo, exec_lo, s7
	s_mov_b32 s7, 0
	s_cbranch_vccnz .LBB87_1292
; %bb.1282:
	s_cmp_gt_i32 s3, 14
	s_cbranch_scc0 .LBB87_1285
; %bb.1283:
	s_cmp_eq_u32 s3, 15
	s_cbranch_scc0 .LBB87_1288
; %bb.1284:
	global_load_u16 v0, v[8:9], off
	s_mov_b32 s6, 0
	s_mov_b32 s12, -1
	s_wait_loadcnt 0x0
	v_lshlrev_b32_e32 v0, 16, v0
	s_delay_alu instid0(VALU_DEP_1)
	v_cvt_f64_f32_e32 v[4:5], v0
	s_branch .LBB87_1290
.LBB87_1285:
	s_mov_b32 s7, -1
	s_branch .LBB87_1289
.LBB87_1286:
	s_or_saveexec_b32 s12, s12
	v_mov_b64_e32 v[4:5], 0x7ff8000020000000
	s_xor_b32 exec_lo, exec_lo, s12
	s_cbranch_execz .LBB87_1267
.LBB87_1287:
	v_cmp_ne_u16_e32 vcc_lo, 0, v0
	v_mov_b64_e32 v[4:5], 0
	s_and_not1_b32 s7, s7, exec_lo
	s_and_b32 s14, vcc_lo, exec_lo
	s_delay_alu instid0(SALU_CYCLE_1)
	s_or_b32 s7, s7, s14
	s_or_b32 exec_lo, exec_lo, s12
	s_and_saveexec_b32 s12, s7
	s_cbranch_execnz .LBB87_1268
	s_branch .LBB87_1269
.LBB87_1288:
	s_mov_b32 s6, -1
.LBB87_1289:
                                        ; implicit-def: $vgpr4_vgpr5
.LBB87_1290:
	s_and_b32 vcc_lo, exec_lo, s7
	s_mov_b32 s7, 0
	s_cbranch_vccz .LBB87_1292
; %bb.1291:
	s_cmp_lg_u32 s3, 11
	s_mov_b32 s7, -1
	s_cselect_b32 s3, -1, 0
	s_and_not1_b32 s6, s6, exec_lo
	s_and_b32 s3, s3, exec_lo
	s_delay_alu instid0(SALU_CYCLE_1)
	s_or_b32 s6, s6, s3
.LBB87_1292:
	s_mov_b32 s3, 0
.LBB87_1293:
	s_delay_alu instid0(SALU_CYCLE_1)
	s_and_b32 s29, s3, exec_lo
	s_and_not1_b32 s3, s1, exec_lo
	s_and_b32 s6, s6, exec_lo
	s_and_b32 s28, s12, exec_lo
	;; [unrolled: 1-line block ×3, first 2 shown]
	s_or_b32 s52, s3, s6
.LBB87_1294:
	s_wait_xcnt 0x0
	s_or_b32 exec_lo, exec_lo, s39
	s_delay_alu instid0(SALU_CYCLE_1)
	s_and_not1_b32 s1, s1, exec_lo
	s_and_b32 s3, s52, exec_lo
	s_and_b32 s28, s28, exec_lo
	;; [unrolled: 1-line block ×4, first 2 shown]
	s_or_b32 s1, s1, s3
.LBB87_1295:
	s_or_b32 exec_lo, exec_lo, s48
	s_delay_alu instid0(SALU_CYCLE_1)
	s_and_not1_b32 s3, s45, exec_lo
	s_and_b32 s6, s49, exec_lo
	s_and_not1_b32 s7, s46, exec_lo
	s_and_b32 s12, s50, exec_lo
	s_or_b32 s45, s3, s6
	s_and_not1_b32 s3, s44, exec_lo
	s_and_b32 s6, s1, exec_lo
	s_or_b32 s46, s7, s12
	s_and_b32 s28, s28, exec_lo
	s_and_b32 s29, s29, exec_lo
	;; [unrolled: 1-line block ×3, first 2 shown]
	s_or_b32 s44, s3, s6
.LBB87_1296:
	s_or_b32 exec_lo, exec_lo, s47
	s_delay_alu instid0(SALU_CYCLE_1)
	s_and_not1_b32 s3, s10, exec_lo
	s_and_b32 s6, s45, exec_lo
	s_and_not1_b32 s7, s41, exec_lo
	s_and_b32 s12, s46, exec_lo
	s_or_b32 s10, s3, s6
	s_and_not1_b32 s3, s42, exec_lo
	s_and_b32 s6, s44, exec_lo
	s_or_b32 s41, s7, s12
	s_and_b32 s28, s28, exec_lo
	s_and_b32 s45, s29, exec_lo
	s_and_b32 s23, s1, exec_lo
	s_or_b32 s42, s3, s6
	s_or_b32 exec_lo, exec_lo, s43
	s_mov_b32 s1, 0
	s_and_saveexec_b32 s3, s42
	s_cbranch_execz .LBB87_402
.LBB87_1297:
	s_mov_b32 s1, exec_lo
	s_and_not1_b32 s23, s23, exec_lo
	s_trap 2
	s_or_b32 exec_lo, exec_lo, s3
	s_and_saveexec_b32 s3, s23
	s_delay_alu instid0(SALU_CYCLE_1)
	s_xor_b32 s3, exec_lo, s3
	s_cbranch_execnz .LBB87_403
.LBB87_1298:
	s_or_b32 exec_lo, exec_lo, s3
	s_and_saveexec_b32 s3, s45
	s_cbranch_execz .LBB87_1344
.LBB87_1299:
	s_sext_i32_i16 s6, s2
	s_delay_alu instid0(SALU_CYCLE_1)
	s_cmp_lt_i32 s6, 5
	s_cbranch_scc1 .LBB87_1304
; %bb.1300:
	s_cmp_lt_i32 s6, 8
	s_cbranch_scc1 .LBB87_1305
; %bb.1301:
	;; [unrolled: 3-line block ×3, first 2 shown]
	s_cmp_gt_i32 s6, 9
	s_cbranch_scc0 .LBB87_1307
; %bb.1303:
	s_wait_loadcnt 0x0
	global_load_b64 v[4:5], v[8:9], off
	s_mov_b32 s6, 0
	s_branch .LBB87_1308
.LBB87_1304:
                                        ; implicit-def: $vgpr4_vgpr5
	s_branch .LBB87_1325
.LBB87_1305:
                                        ; implicit-def: $vgpr4_vgpr5
	s_branch .LBB87_1314
.LBB87_1306:
	s_mov_b32 s6, -1
                                        ; implicit-def: $vgpr4_vgpr5
	s_branch .LBB87_1311
.LBB87_1307:
	s_mov_b32 s6, -1
                                        ; implicit-def: $vgpr4_vgpr5
.LBB87_1308:
	s_delay_alu instid0(SALU_CYCLE_1)
	s_and_not1_b32 vcc_lo, exec_lo, s6
	s_cbranch_vccnz .LBB87_1310
; %bb.1309:
	s_wait_loadcnt 0x0
	global_load_b32 v0, v[8:9], off
	s_wait_loadcnt 0x0
	v_cvt_f64_f32_e32 v[4:5], v0
.LBB87_1310:
	s_mov_b32 s6, 0
.LBB87_1311:
	s_delay_alu instid0(SALU_CYCLE_1)
	s_and_not1_b32 vcc_lo, exec_lo, s6
	s_cbranch_vccnz .LBB87_1313
; %bb.1312:
	s_wait_loadcnt 0x0
	global_load_b32 v0, v[8:9], off
	s_wait_loadcnt 0x0
	v_cvt_f32_f16_e32 v0, v0
	s_delay_alu instid0(VALU_DEP_1)
	v_cvt_f64_f32_e32 v[4:5], v0
.LBB87_1313:
	s_cbranch_execnz .LBB87_1324
.LBB87_1314:
	s_sext_i32_i16 s6, s2
	s_delay_alu instid0(SALU_CYCLE_1)
	s_cmp_lt_i32 s6, 6
	s_cbranch_scc1 .LBB87_1317
; %bb.1315:
	s_cmp_gt_i32 s6, 6
	s_cbranch_scc0 .LBB87_1318
; %bb.1316:
	s_wait_loadcnt 0x0
	global_load_b64 v[4:5], v[8:9], off
	s_mov_b32 s6, 0
	s_branch .LBB87_1319
.LBB87_1317:
	s_mov_b32 s6, -1
                                        ; implicit-def: $vgpr4_vgpr5
	s_branch .LBB87_1322
.LBB87_1318:
	s_mov_b32 s6, -1
                                        ; implicit-def: $vgpr4_vgpr5
.LBB87_1319:
	s_delay_alu instid0(SALU_CYCLE_1)
	s_and_not1_b32 vcc_lo, exec_lo, s6
	s_cbranch_vccnz .LBB87_1321
; %bb.1320:
	s_wait_loadcnt 0x0
	global_load_b32 v0, v[8:9], off
	s_wait_loadcnt 0x0
	v_cvt_f64_f32_e32 v[4:5], v0
.LBB87_1321:
	s_mov_b32 s6, 0
.LBB87_1322:
	s_delay_alu instid0(SALU_CYCLE_1)
	s_and_not1_b32 vcc_lo, exec_lo, s6
	s_cbranch_vccnz .LBB87_1324
; %bb.1323:
	s_wait_loadcnt 0x0
	global_load_u16 v0, v[8:9], off
	s_wait_loadcnt 0x0
	v_cvt_f32_f16_e32 v0, v0
	s_delay_alu instid0(VALU_DEP_1)
	v_cvt_f64_f32_e32 v[4:5], v0
.LBB87_1324:
	s_cbranch_execnz .LBB87_1343
.LBB87_1325:
	s_sext_i32_i16 s6, s2
	s_delay_alu instid0(SALU_CYCLE_1)
	s_cmp_lt_i32 s6, 2
	s_cbranch_scc1 .LBB87_1329
; %bb.1326:
	s_cmp_lt_i32 s6, 3
	s_cbranch_scc1 .LBB87_1330
; %bb.1327:
	s_cmp_gt_i32 s6, 3
	s_cbranch_scc0 .LBB87_1331
; %bb.1328:
	s_wait_loadcnt 0x0
	global_load_b64 v[0:1], v[8:9], off
	s_mov_b32 s6, 0
	s_wait_loadcnt 0x0
	v_cvt_f64_i32_e32 v[4:5], v1
	v_cvt_f64_u32_e32 v[0:1], v0
	s_delay_alu instid0(VALU_DEP_2) | instskip(NEXT) | instid1(VALU_DEP_1)
	v_ldexp_f64 v[4:5], v[4:5], 32
	v_add_f64_e32 v[4:5], v[4:5], v[0:1]
	s_branch .LBB87_1332
.LBB87_1329:
                                        ; implicit-def: $vgpr4_vgpr5
	s_branch .LBB87_1338
.LBB87_1330:
	s_mov_b32 s6, -1
                                        ; implicit-def: $vgpr4_vgpr5
	s_branch .LBB87_1335
.LBB87_1331:
	s_mov_b32 s6, -1
                                        ; implicit-def: $vgpr4_vgpr5
.LBB87_1332:
	s_delay_alu instid0(SALU_CYCLE_1)
	s_and_not1_b32 vcc_lo, exec_lo, s6
	s_cbranch_vccnz .LBB87_1334
; %bb.1333:
	s_wait_loadcnt 0x0
	global_load_b32 v0, v[8:9], off
	s_wait_loadcnt 0x0
	v_cvt_f64_i32_e32 v[4:5], v0
.LBB87_1334:
	s_mov_b32 s6, 0
.LBB87_1335:
	s_delay_alu instid0(SALU_CYCLE_1)
	s_and_not1_b32 vcc_lo, exec_lo, s6
	s_cbranch_vccnz .LBB87_1337
; %bb.1336:
	s_wait_loadcnt 0x0
	global_load_i16 v0, v[8:9], off
	s_wait_loadcnt 0x0
	v_cvt_f64_i32_e32 v[4:5], v0
.LBB87_1337:
	s_cbranch_execnz .LBB87_1343
.LBB87_1338:
	s_sext_i32_i16 s2, s2
	s_delay_alu instid0(SALU_CYCLE_1)
	s_cmp_gt_i32 s2, 0
	s_mov_b32 s2, 0
	s_cbranch_scc0 .LBB87_1340
; %bb.1339:
	s_wait_loadcnt 0x0
	global_load_i8 v0, v[8:9], off
	s_wait_loadcnt 0x0
	v_cvt_f64_i32_e32 v[4:5], v0
	s_branch .LBB87_1341
.LBB87_1340:
	s_mov_b32 s2, -1
                                        ; implicit-def: $vgpr4_vgpr5
.LBB87_1341:
	s_delay_alu instid0(SALU_CYCLE_1)
	s_and_not1_b32 vcc_lo, exec_lo, s2
	s_cbranch_vccnz .LBB87_1343
; %bb.1342:
	s_wait_loadcnt 0x0
	global_load_u8 v0, v[8:9], off
	s_wait_loadcnt 0x0
	v_cvt_f64_u32_e32 v[4:5], v0
.LBB87_1343:
	s_or_b32 s28, s28, exec_lo
.LBB87_1344:
	s_wait_xcnt 0x0
	s_or_b32 exec_lo, exec_lo, s3
	s_mov_b32 s7, 0
	s_mov_b32 s6, 0
	;; [unrolled: 1-line block ×3, first 2 shown]
                                        ; implicit-def: $sgpr2
                                        ; implicit-def: $vgpr0_vgpr1
                                        ; implicit-def: $vgpr8_vgpr9
	s_and_saveexec_b32 s3, s28
	s_cbranch_execz .LBB87_1352
; %bb.1345:
	v_mov_b32_e32 v7, 0
	s_and_b32 s2, s13, 0xff
	s_delay_alu instid0(SALU_CYCLE_1) | instskip(NEXT) | instid1(VALU_DEP_1)
	s_cmp_lt_i32 s2, 11
	v_add_nc_u64_e32 v[0:1], s[8:9], v[6:7]
	s_cbranch_scc1 .LBB87_1355
; %bb.1346:
	s_and_b32 s6, 0xffff, s2
	s_mov_b32 s8, 0
	s_cmp_gt_i32 s6, 25
	s_cbranch_scc0 .LBB87_1356
; %bb.1347:
	s_cmp_gt_i32 s6, 28
	s_cbranch_scc0 .LBB87_1357
; %bb.1348:
	;; [unrolled: 3-line block ×4, first 2 shown]
	s_cmp_eq_u32 s6, 46
	s_cbranch_scc0 .LBB87_1360
; %bb.1351:
	global_load_b32 v3, v[0:1], off
	s_mov_b32 s9, -1
	s_wait_loadcnt 0x0
	v_lshlrev_b32_e32 v3, 16, v3
	s_delay_alu instid0(VALU_DEP_1)
	v_cvt_f64_f32_e32 v[8:9], v3
	s_branch .LBB87_1362
.LBB87_1352:
	s_or_b32 exec_lo, exec_lo, s3
	s_and_saveexec_b32 s3, s41
	s_cbranch_execnz .LBB87_1425
.LBB87_1353:
	s_or_b32 exec_lo, exec_lo, s3
	s_and_saveexec_b32 s3, s7
	s_delay_alu instid0(SALU_CYCLE_1)
	s_xor_b32 s3, exec_lo, s3
	s_cbranch_execz .LBB87_1426
.LBB87_1354:
	global_load_u8 v3, v[0:1], off
	s_wait_loadcnt 0x1
	v_mov_b32_e32 v8, 0
	s_or_b32 s12, s12, exec_lo
	s_wait_loadcnt 0x0
	v_cmp_ne_u16_e32 vcc_lo, 0, v3
	v_cndmask_b32_e64 v9, 0, 0x3ff00000, vcc_lo
	s_wait_xcnt 0x0
	s_or_b32 exec_lo, exec_lo, s3
	s_and_saveexec_b32 s3, s6
	s_cbranch_execz .LBB87_1472
	s_branch .LBB87_1427
.LBB87_1355:
	s_mov_b32 s6, -1
	s_mov_b32 s9, 0
	s_mov_b32 s8, 0
	;; [unrolled: 1-line block ×3, first 2 shown]
                                        ; implicit-def: $vgpr8_vgpr9
	s_branch .LBB87_1424
.LBB87_1356:
	s_mov_b32 s9, 0
	s_mov_b32 s7, s41
                                        ; implicit-def: $vgpr8_vgpr9
	s_cbranch_execnz .LBB87_1391
	s_branch .LBB87_1423
.LBB87_1357:
	s_mov_b32 s12, -1
	s_mov_b32 s9, 0
	s_mov_b32 s7, s41
                                        ; implicit-def: $vgpr8_vgpr9
	s_branch .LBB87_1372
.LBB87_1358:
	s_mov_b32 s12, -1
	s_mov_b32 s9, 0
	s_mov_b32 s7, s41
                                        ; implicit-def: $vgpr8_vgpr9
	s_branch .LBB87_1367
.LBB87_1359:
	s_mov_b32 s12, -1
	s_mov_b32 s9, 0
	s_mov_b32 s7, s41
	s_branch .LBB87_1361
.LBB87_1360:
	s_mov_b32 s7, -1
	s_mov_b32 s9, 0
.LBB87_1361:
                                        ; implicit-def: $vgpr8_vgpr9
.LBB87_1362:
	s_and_b32 vcc_lo, exec_lo, s12
	s_cbranch_vccz .LBB87_1366
; %bb.1363:
	s_cmp_eq_u32 s6, 44
	s_cbranch_scc0 .LBB87_1365
; %bb.1364:
	global_load_u8 v3, v[0:1], off
	s_mov_b32 s7, 0
	s_mov_b32 s9, -1
	s_wait_loadcnt 0x0
	v_lshlrev_b32_e32 v6, 23, v3
	v_cmp_ne_u32_e32 vcc_lo, 0xff, v3
	s_delay_alu instid0(VALU_DEP_2) | instskip(NEXT) | instid1(VALU_DEP_1)
	v_cvt_f64_f32_e32 v[6:7], v6
	v_cndmask_b32_e32 v6, 0x20000000, v6, vcc_lo
	s_delay_alu instid0(VALU_DEP_2) | instskip(SKIP_1) | instid1(VALU_DEP_2)
	v_cndmask_b32_e32 v7, 0x7ff80000, v7, vcc_lo
	v_cmp_ne_u32_e32 vcc_lo, 0, v3
	v_cndmask_b32_e32 v9, 0x38000000, v7, vcc_lo
	s_delay_alu instid0(VALU_DEP_4)
	v_cndmask_b32_e32 v8, 0, v6, vcc_lo
	s_branch .LBB87_1366
.LBB87_1365:
	s_mov_b32 s7, -1
                                        ; implicit-def: $vgpr8_vgpr9
.LBB87_1366:
	s_mov_b32 s12, 0
.LBB87_1367:
	s_delay_alu instid0(SALU_CYCLE_1)
	s_and_b32 vcc_lo, exec_lo, s12
	s_cbranch_vccz .LBB87_1371
; %bb.1368:
	s_cmp_eq_u32 s6, 29
	s_cbranch_scc0 .LBB87_1370
; %bb.1369:
	global_load_b64 v[6:7], v[0:1], off
	s_mov_b32 s7, 0
	s_mov_b32 s9, -1
	s_mov_b32 s12, 0
	s_wait_loadcnt 0x0
	v_cvt_f64_u32_e32 v[8:9], v7
	v_cvt_f64_u32_e32 v[6:7], v6
	s_delay_alu instid0(VALU_DEP_2) | instskip(NEXT) | instid1(VALU_DEP_1)
	v_ldexp_f64 v[8:9], v[8:9], 32
	v_add_f64_e32 v[8:9], v[8:9], v[6:7]
	s_branch .LBB87_1372
.LBB87_1370:
	s_mov_b32 s7, -1
                                        ; implicit-def: $vgpr8_vgpr9
.LBB87_1371:
	s_mov_b32 s12, 0
.LBB87_1372:
	s_delay_alu instid0(SALU_CYCLE_1)
	s_and_b32 vcc_lo, exec_lo, s12
	s_cbranch_vccz .LBB87_1390
; %bb.1373:
	s_cmp_lt_i32 s6, 27
	s_cbranch_scc1 .LBB87_1376
; %bb.1374:
	s_cmp_gt_i32 s6, 27
	s_cbranch_scc0 .LBB87_1377
; %bb.1375:
	global_load_b32 v3, v[0:1], off
	s_mov_b32 s9, 0
	s_wait_loadcnt 0x0
	v_cvt_f64_u32_e32 v[8:9], v3
	s_branch .LBB87_1378
.LBB87_1376:
	s_mov_b32 s9, -1
                                        ; implicit-def: $vgpr8_vgpr9
	s_branch .LBB87_1381
.LBB87_1377:
	s_mov_b32 s9, -1
                                        ; implicit-def: $vgpr8_vgpr9
.LBB87_1378:
	s_delay_alu instid0(SALU_CYCLE_1)
	s_and_not1_b32 vcc_lo, exec_lo, s9
	s_cbranch_vccnz .LBB87_1380
; %bb.1379:
	global_load_u16 v3, v[0:1], off
	s_wait_loadcnt 0x0
	v_cvt_f64_u32_e32 v[8:9], v3
.LBB87_1380:
	s_mov_b32 s9, 0
.LBB87_1381:
	s_delay_alu instid0(SALU_CYCLE_1)
	s_and_not1_b32 vcc_lo, exec_lo, s9
	s_cbranch_vccnz .LBB87_1389
; %bb.1382:
	global_load_u8 v3, v[0:1], off
	s_mov_b32 s9, 0
	s_mov_b32 s12, exec_lo
	s_wait_loadcnt 0x0
	v_cmpx_lt_i16_e32 0x7f, v3
	s_xor_b32 s12, exec_lo, s12
	s_cbranch_execz .LBB87_1402
; %bb.1383:
	s_mov_b32 s9, -1
	s_mov_b32 s13, exec_lo
	v_cmpx_eq_u16_e32 0x80, v3
; %bb.1384:
	s_xor_b32 s9, exec_lo, -1
; %bb.1385:
	s_or_b32 exec_lo, exec_lo, s13
	s_delay_alu instid0(SALU_CYCLE_1)
	s_and_b32 s9, s9, exec_lo
	s_or_saveexec_b32 s12, s12
	v_mov_b64_e32 v[8:9], 0x7ff8000020000000
	s_xor_b32 exec_lo, exec_lo, s12
	s_cbranch_execnz .LBB87_1403
.LBB87_1386:
	s_or_b32 exec_lo, exec_lo, s12
	s_and_saveexec_b32 s12, s9
	s_cbranch_execz .LBB87_1388
.LBB87_1387:
	v_and_b32_e32 v6, 0xffff, v3
	s_delay_alu instid0(VALU_DEP_1) | instskip(SKIP_1) | instid1(VALU_DEP_2)
	v_and_b32_e32 v7, 7, v6
	v_bfe_u32 v10, v6, 3, 4
	v_clz_i32_u32_e32 v8, v7
	s_delay_alu instid0(VALU_DEP_2) | instskip(NEXT) | instid1(VALU_DEP_2)
	v_cmp_eq_u32_e32 vcc_lo, 0, v10
	v_min_u32_e32 v8, 32, v8
	s_delay_alu instid0(VALU_DEP_1) | instskip(NEXT) | instid1(VALU_DEP_1)
	v_subrev_nc_u32_e32 v9, 28, v8
	v_dual_lshlrev_b32 v6, v9, v6 :: v_dual_sub_nc_u32 v8, 29, v8
	s_delay_alu instid0(VALU_DEP_1) | instskip(NEXT) | instid1(VALU_DEP_1)
	v_dual_lshlrev_b32 v3, 24, v3 :: v_dual_bitop2_b32 v6, 7, v6 bitop3:0x40
	v_dual_cndmask_b32 v8, v10, v8, vcc_lo :: v_dual_cndmask_b32 v6, v7, v6, vcc_lo
	s_delay_alu instid0(VALU_DEP_2) | instskip(NEXT) | instid1(VALU_DEP_2)
	v_and_b32_e32 v3, 0x80000000, v3
	v_lshl_add_u32 v7, v8, 23, 0x3b800000
	s_delay_alu instid0(VALU_DEP_3) | instskip(NEXT) | instid1(VALU_DEP_1)
	v_lshlrev_b32_e32 v6, 20, v6
	v_or3_b32 v3, v3, v7, v6
	s_delay_alu instid0(VALU_DEP_1)
	v_cvt_f64_f32_e32 v[8:9], v3
.LBB87_1388:
	s_or_b32 exec_lo, exec_lo, s12
.LBB87_1389:
	s_mov_b32 s9, -1
.LBB87_1390:
	s_branch .LBB87_1423
.LBB87_1391:
	s_cmp_gt_i32 s6, 22
	s_cbranch_scc0 .LBB87_1401
; %bb.1392:
	s_cmp_lt_i32 s6, 24
	s_cbranch_scc1 .LBB87_1404
; %bb.1393:
	s_cmp_gt_i32 s6, 24
	s_cbranch_scc0 .LBB87_1405
; %bb.1394:
	global_load_u8 v3, v[0:1], off
	s_mov_b32 s9, exec_lo
	s_wait_loadcnt 0x0
	v_cmpx_lt_i16_e32 0x7f, v3
	s_xor_b32 s9, exec_lo, s9
	s_cbranch_execz .LBB87_1417
; %bb.1395:
	s_mov_b32 s8, -1
	s_mov_b32 s12, exec_lo
	v_cmpx_eq_u16_e32 0x80, v3
; %bb.1396:
	s_xor_b32 s8, exec_lo, -1
; %bb.1397:
	s_or_b32 exec_lo, exec_lo, s12
	s_delay_alu instid0(SALU_CYCLE_1)
	s_and_b32 s8, s8, exec_lo
	s_or_saveexec_b32 s9, s9
	v_mov_b64_e32 v[8:9], 0x7ff8000020000000
	s_xor_b32 exec_lo, exec_lo, s9
	s_cbranch_execnz .LBB87_1418
.LBB87_1398:
	s_or_b32 exec_lo, exec_lo, s9
	s_and_saveexec_b32 s9, s8
	s_cbranch_execz .LBB87_1400
.LBB87_1399:
	v_and_b32_e32 v6, 0xffff, v3
	s_delay_alu instid0(VALU_DEP_1) | instskip(SKIP_1) | instid1(VALU_DEP_2)
	v_and_b32_e32 v7, 3, v6
	v_bfe_u32 v10, v6, 2, 5
	v_clz_i32_u32_e32 v8, v7
	s_delay_alu instid0(VALU_DEP_2) | instskip(NEXT) | instid1(VALU_DEP_2)
	v_cmp_eq_u32_e32 vcc_lo, 0, v10
	v_min_u32_e32 v8, 32, v8
	s_delay_alu instid0(VALU_DEP_1) | instskip(NEXT) | instid1(VALU_DEP_1)
	v_subrev_nc_u32_e32 v9, 29, v8
	v_dual_lshlrev_b32 v6, v9, v6 :: v_dual_sub_nc_u32 v8, 30, v8
	s_delay_alu instid0(VALU_DEP_1) | instskip(NEXT) | instid1(VALU_DEP_1)
	v_dual_lshlrev_b32 v3, 24, v3 :: v_dual_bitop2_b32 v6, 3, v6 bitop3:0x40
	v_dual_cndmask_b32 v8, v10, v8, vcc_lo :: v_dual_cndmask_b32 v6, v7, v6, vcc_lo
	s_delay_alu instid0(VALU_DEP_2) | instskip(NEXT) | instid1(VALU_DEP_2)
	v_and_b32_e32 v3, 0x80000000, v3
	v_lshl_add_u32 v7, v8, 23, 0x37800000
	s_delay_alu instid0(VALU_DEP_3) | instskip(NEXT) | instid1(VALU_DEP_1)
	v_lshlrev_b32_e32 v6, 21, v6
	v_or3_b32 v3, v3, v7, v6
	s_delay_alu instid0(VALU_DEP_1)
	v_cvt_f64_f32_e32 v[8:9], v3
.LBB87_1400:
	s_or_b32 exec_lo, exec_lo, s9
	s_mov_b32 s8, 0
	s_branch .LBB87_1406
.LBB87_1401:
	s_mov_b32 s8, -1
                                        ; implicit-def: $vgpr8_vgpr9
	s_branch .LBB87_1412
.LBB87_1402:
	s_or_saveexec_b32 s12, s12
	v_mov_b64_e32 v[8:9], 0x7ff8000020000000
	s_xor_b32 exec_lo, exec_lo, s12
	s_cbranch_execz .LBB87_1386
.LBB87_1403:
	v_cmp_ne_u16_e32 vcc_lo, 0, v3
	v_mov_b64_e32 v[8:9], 0
	s_and_not1_b32 s9, s9, exec_lo
	s_and_b32 s13, vcc_lo, exec_lo
	s_delay_alu instid0(SALU_CYCLE_1)
	s_or_b32 s9, s9, s13
	s_or_b32 exec_lo, exec_lo, s12
	s_and_saveexec_b32 s12, s9
	s_cbranch_execnz .LBB87_1387
	s_branch .LBB87_1388
.LBB87_1404:
	s_mov_b32 s8, -1
                                        ; implicit-def: $vgpr8_vgpr9
	s_branch .LBB87_1409
.LBB87_1405:
	s_mov_b32 s8, -1
                                        ; implicit-def: $vgpr8_vgpr9
.LBB87_1406:
	s_delay_alu instid0(SALU_CYCLE_1)
	s_and_b32 vcc_lo, exec_lo, s8
	s_cbranch_vccz .LBB87_1408
; %bb.1407:
	global_load_u8 v3, v[0:1], off
	s_wait_loadcnt 0x0
	v_lshlrev_b32_e32 v3, 24, v3
	s_delay_alu instid0(VALU_DEP_1) | instskip(NEXT) | instid1(VALU_DEP_1)
	v_and_b32_e32 v6, 0x7f000000, v3
	v_clz_i32_u32_e32 v7, v6
	v_cmp_ne_u32_e32 vcc_lo, 0, v6
	v_add_nc_u32_e32 v9, 0x1000000, v6
	s_delay_alu instid0(VALU_DEP_3) | instskip(NEXT) | instid1(VALU_DEP_1)
	v_min_u32_e32 v7, 32, v7
	v_sub_nc_u32_e64 v7, v7, 4 clamp
	s_delay_alu instid0(VALU_DEP_1) | instskip(NEXT) | instid1(VALU_DEP_1)
	v_dual_lshlrev_b32 v8, v7, v6 :: v_dual_lshlrev_b32 v7, 23, v7
	v_lshrrev_b32_e32 v8, 4, v8
	s_delay_alu instid0(VALU_DEP_1) | instskip(NEXT) | instid1(VALU_DEP_1)
	v_dual_sub_nc_u32 v7, v8, v7 :: v_dual_ashrrev_i32 v8, 8, v9
	v_add_nc_u32_e32 v7, 0x3c000000, v7
	s_delay_alu instid0(VALU_DEP_1) | instskip(NEXT) | instid1(VALU_DEP_1)
	v_and_or_b32 v7, 0x7f800000, v8, v7
	v_cndmask_b32_e32 v6, 0, v7, vcc_lo
	s_delay_alu instid0(VALU_DEP_1) | instskip(NEXT) | instid1(VALU_DEP_1)
	v_and_or_b32 v3, 0x80000000, v3, v6
	v_cvt_f64_f32_e32 v[8:9], v3
.LBB87_1408:
	s_mov_b32 s8, 0
.LBB87_1409:
	s_delay_alu instid0(SALU_CYCLE_1)
	s_and_not1_b32 vcc_lo, exec_lo, s8
	s_cbranch_vccnz .LBB87_1411
; %bb.1410:
	global_load_u8 v3, v[0:1], off
	s_wait_loadcnt 0x0
	v_lshlrev_b32_e32 v6, 25, v3
	v_lshlrev_b16 v3, 8, v3
	s_delay_alu instid0(VALU_DEP_1) | instskip(SKIP_1) | instid1(VALU_DEP_2)
	v_and_or_b32 v8, 0x7f00, v3, 0.5
	v_bfe_i32 v3, v3, 0, 16
	v_dual_add_f32 v8, -0.5, v8 :: v_dual_lshrrev_b32 v7, 4, v6
	v_cmp_gt_u32_e32 vcc_lo, 0x8000000, v6
	s_delay_alu instid0(VALU_DEP_2) | instskip(NEXT) | instid1(VALU_DEP_1)
	v_or_b32_e32 v7, 0x70000000, v7
	v_mul_f32_e32 v7, 0x7800000, v7
	s_delay_alu instid0(VALU_DEP_1) | instskip(NEXT) | instid1(VALU_DEP_1)
	v_cndmask_b32_e32 v6, v7, v8, vcc_lo
	v_and_or_b32 v3, 0x80000000, v3, v6
	s_delay_alu instid0(VALU_DEP_1)
	v_cvt_f64_f32_e32 v[8:9], v3
.LBB87_1411:
	s_mov_b32 s8, 0
	s_mov_b32 s9, -1
.LBB87_1412:
	s_and_not1_b32 vcc_lo, exec_lo, s8
	s_mov_b32 s8, 0
	s_cbranch_vccnz .LBB87_1423
; %bb.1413:
	s_cmp_gt_i32 s6, 14
	s_cbranch_scc0 .LBB87_1416
; %bb.1414:
	s_cmp_eq_u32 s6, 15
	s_cbranch_scc0 .LBB87_1419
; %bb.1415:
	global_load_u16 v3, v[0:1], off
	s_mov_b32 s7, 0
	s_mov_b32 s9, -1
	s_wait_loadcnt 0x0
	v_lshlrev_b32_e32 v3, 16, v3
	s_delay_alu instid0(VALU_DEP_1)
	v_cvt_f64_f32_e32 v[8:9], v3
	s_branch .LBB87_1421
.LBB87_1416:
	s_mov_b32 s8, -1
	s_branch .LBB87_1420
.LBB87_1417:
	s_or_saveexec_b32 s9, s9
	v_mov_b64_e32 v[8:9], 0x7ff8000020000000
	s_xor_b32 exec_lo, exec_lo, s9
	s_cbranch_execz .LBB87_1398
.LBB87_1418:
	v_cmp_ne_u16_e32 vcc_lo, 0, v3
	v_mov_b64_e32 v[8:9], 0
	s_and_not1_b32 s8, s8, exec_lo
	s_and_b32 s12, vcc_lo, exec_lo
	s_delay_alu instid0(SALU_CYCLE_1)
	s_or_b32 s8, s8, s12
	s_or_b32 exec_lo, exec_lo, s9
	s_and_saveexec_b32 s9, s8
	s_cbranch_execnz .LBB87_1399
	s_branch .LBB87_1400
.LBB87_1419:
	s_mov_b32 s7, -1
.LBB87_1420:
                                        ; implicit-def: $vgpr8_vgpr9
.LBB87_1421:
	s_and_b32 vcc_lo, exec_lo, s8
	s_mov_b32 s8, 0
	s_cbranch_vccz .LBB87_1423
; %bb.1422:
	s_cmp_lg_u32 s6, 11
	s_mov_b32 s8, -1
	s_cselect_b32 s6, -1, 0
	s_and_not1_b32 s7, s7, exec_lo
	s_and_b32 s6, s6, exec_lo
	s_delay_alu instid0(SALU_CYCLE_1)
	s_or_b32 s7, s7, s6
.LBB87_1423:
	s_mov_b32 s6, 0
.LBB87_1424:
	s_and_b32 s12, s9, exec_lo
	s_and_not1_b32 s9, s41, exec_lo
	s_and_b32 s13, s7, exec_lo
	s_and_b32 s6, s6, exec_lo
	;; [unrolled: 1-line block ×3, first 2 shown]
	s_or_b32 s41, s9, s13
	s_wait_xcnt 0x0
	s_or_b32 exec_lo, exec_lo, s3
	s_and_saveexec_b32 s3, s41
	s_cbranch_execz .LBB87_1353
.LBB87_1425:
	s_or_b32 s1, s1, exec_lo
	s_and_not1_b32 s7, s7, exec_lo
	s_trap 2
	s_or_b32 exec_lo, exec_lo, s3
	s_and_saveexec_b32 s3, s7
	s_delay_alu instid0(SALU_CYCLE_1)
	s_xor_b32 s3, exec_lo, s3
	s_cbranch_execnz .LBB87_1354
.LBB87_1426:
	s_or_b32 exec_lo, exec_lo, s3
	s_and_saveexec_b32 s3, s6
	s_cbranch_execz .LBB87_1472
.LBB87_1427:
	s_sext_i32_i16 s6, s2
	s_delay_alu instid0(SALU_CYCLE_1)
	s_cmp_lt_i32 s6, 5
	s_cbranch_scc1 .LBB87_1432
; %bb.1428:
	s_cmp_lt_i32 s6, 8
	s_cbranch_scc1 .LBB87_1433
; %bb.1429:
	;; [unrolled: 3-line block ×3, first 2 shown]
	s_cmp_gt_i32 s6, 9
	s_cbranch_scc0 .LBB87_1435
; %bb.1431:
	s_wait_loadcnt 0x0
	global_load_b64 v[8:9], v[0:1], off
	s_mov_b32 s6, 0
	s_branch .LBB87_1436
.LBB87_1432:
                                        ; implicit-def: $vgpr8_vgpr9
	s_branch .LBB87_1453
.LBB87_1433:
                                        ; implicit-def: $vgpr8_vgpr9
	s_branch .LBB87_1442
.LBB87_1434:
	s_mov_b32 s6, -1
                                        ; implicit-def: $vgpr8_vgpr9
	s_branch .LBB87_1439
.LBB87_1435:
	s_mov_b32 s6, -1
                                        ; implicit-def: $vgpr8_vgpr9
.LBB87_1436:
	s_delay_alu instid0(SALU_CYCLE_1)
	s_and_not1_b32 vcc_lo, exec_lo, s6
	s_cbranch_vccnz .LBB87_1438
; %bb.1437:
	global_load_b32 v3, v[0:1], off
	s_wait_loadcnt 0x0
	v_cvt_f64_f32_e32 v[8:9], v3
.LBB87_1438:
	s_mov_b32 s6, 0
.LBB87_1439:
	s_delay_alu instid0(SALU_CYCLE_1)
	s_and_not1_b32 vcc_lo, exec_lo, s6
	s_cbranch_vccnz .LBB87_1441
; %bb.1440:
	global_load_b32 v3, v[0:1], off
	s_wait_loadcnt 0x0
	v_cvt_f32_f16_e32 v3, v3
	s_delay_alu instid0(VALU_DEP_1)
	v_cvt_f64_f32_e32 v[8:9], v3
.LBB87_1441:
	s_cbranch_execnz .LBB87_1452
.LBB87_1442:
	s_sext_i32_i16 s6, s2
	s_delay_alu instid0(SALU_CYCLE_1)
	s_cmp_lt_i32 s6, 6
	s_cbranch_scc1 .LBB87_1445
; %bb.1443:
	s_cmp_gt_i32 s6, 6
	s_cbranch_scc0 .LBB87_1446
; %bb.1444:
	s_wait_loadcnt 0x0
	global_load_b64 v[8:9], v[0:1], off
	s_mov_b32 s6, 0
	s_branch .LBB87_1447
.LBB87_1445:
	s_mov_b32 s6, -1
                                        ; implicit-def: $vgpr8_vgpr9
	s_branch .LBB87_1450
.LBB87_1446:
	s_mov_b32 s6, -1
                                        ; implicit-def: $vgpr8_vgpr9
.LBB87_1447:
	s_delay_alu instid0(SALU_CYCLE_1)
	s_and_not1_b32 vcc_lo, exec_lo, s6
	s_cbranch_vccnz .LBB87_1449
; %bb.1448:
	global_load_b32 v3, v[0:1], off
	s_wait_loadcnt 0x0
	v_cvt_f64_f32_e32 v[8:9], v3
.LBB87_1449:
	s_mov_b32 s6, 0
.LBB87_1450:
	s_delay_alu instid0(SALU_CYCLE_1)
	s_and_not1_b32 vcc_lo, exec_lo, s6
	s_cbranch_vccnz .LBB87_1452
; %bb.1451:
	global_load_u16 v3, v[0:1], off
	s_wait_loadcnt 0x0
	v_cvt_f32_f16_e32 v3, v3
	s_delay_alu instid0(VALU_DEP_1)
	v_cvt_f64_f32_e32 v[8:9], v3
.LBB87_1452:
	s_cbranch_execnz .LBB87_1471
.LBB87_1453:
	s_sext_i32_i16 s6, s2
	s_delay_alu instid0(SALU_CYCLE_1)
	s_cmp_lt_i32 s6, 2
	s_cbranch_scc1 .LBB87_1457
; %bb.1454:
	s_cmp_lt_i32 s6, 3
	s_cbranch_scc1 .LBB87_1458
; %bb.1455:
	s_cmp_gt_i32 s6, 3
	s_cbranch_scc0 .LBB87_1459
; %bb.1456:
	global_load_b64 v[6:7], v[0:1], off
	s_mov_b32 s6, 0
	s_wait_loadcnt 0x0
	v_cvt_f64_i32_e32 v[8:9], v7
	v_cvt_f64_u32_e32 v[6:7], v6
	s_delay_alu instid0(VALU_DEP_2) | instskip(NEXT) | instid1(VALU_DEP_1)
	v_ldexp_f64 v[8:9], v[8:9], 32
	v_add_f64_e32 v[8:9], v[8:9], v[6:7]
	s_branch .LBB87_1460
.LBB87_1457:
                                        ; implicit-def: $vgpr8_vgpr9
	s_branch .LBB87_1466
.LBB87_1458:
	s_mov_b32 s6, -1
                                        ; implicit-def: $vgpr8_vgpr9
	s_branch .LBB87_1463
.LBB87_1459:
	s_mov_b32 s6, -1
                                        ; implicit-def: $vgpr8_vgpr9
.LBB87_1460:
	s_delay_alu instid0(SALU_CYCLE_1)
	s_and_not1_b32 vcc_lo, exec_lo, s6
	s_cbranch_vccnz .LBB87_1462
; %bb.1461:
	global_load_b32 v3, v[0:1], off
	s_wait_loadcnt 0x0
	v_cvt_f64_i32_e32 v[8:9], v3
.LBB87_1462:
	s_mov_b32 s6, 0
.LBB87_1463:
	s_delay_alu instid0(SALU_CYCLE_1)
	s_and_not1_b32 vcc_lo, exec_lo, s6
	s_cbranch_vccnz .LBB87_1465
; %bb.1464:
	global_load_i16 v3, v[0:1], off
	s_wait_loadcnt 0x0
	v_cvt_f64_i32_e32 v[8:9], v3
.LBB87_1465:
	s_cbranch_execnz .LBB87_1471
.LBB87_1466:
	s_sext_i32_i16 s2, s2
	s_delay_alu instid0(SALU_CYCLE_1)
	s_cmp_gt_i32 s2, 0
	s_mov_b32 s2, 0
	s_cbranch_scc0 .LBB87_1468
; %bb.1467:
	global_load_i8 v3, v[0:1], off
	s_wait_loadcnt 0x0
	v_cvt_f64_i32_e32 v[8:9], v3
	s_branch .LBB87_1469
.LBB87_1468:
	s_mov_b32 s2, -1
                                        ; implicit-def: $vgpr8_vgpr9
.LBB87_1469:
	s_delay_alu instid0(SALU_CYCLE_1)
	s_and_not1_b32 vcc_lo, exec_lo, s2
	s_cbranch_vccnz .LBB87_1471
; %bb.1470:
	global_load_u8 v0, v[0:1], off
	s_wait_loadcnt 0x0
	v_cvt_f64_u32_e32 v[8:9], v0
.LBB87_1471:
	s_or_b32 s12, s12, exec_lo
.LBB87_1472:
	s_wait_xcnt 0x0
	s_or_b32 exec_lo, exec_lo, s3
	s_mov_b32 s8, 0
	s_mov_b32 s7, 0
                                        ; implicit-def: $sgpr2
                                        ; implicit-def: $sgpr3
                                        ; implicit-def: $vgpr0_vgpr1
	s_and_saveexec_b32 s6, s12
	s_cbranch_execz .LBB87_1480
; %bb.1473:
	s_wait_loadcnt 0x0
	s_delay_alu instid0(VALU_DEP_1)
	v_cmp_eq_f64_e32 vcc_lo, v[4:5], v[8:9]
	s_and_b32 s3, s11, 0xff
	v_mov_b32_e32 v3, 0
	s_cmp_lt_i32 s3, 11
	v_cndmask_b32_e64 v0, 0, 1, vcc_lo
	v_cmp_neq_f64_e32 vcc_lo, v[4:5], v[8:9]
	v_cndmask_b32_e64 v1, 0, 1, vcc_lo
	s_delay_alu instid0(VALU_DEP_1) | instskip(NEXT) | instid1(VALU_DEP_1)
	v_cndmask_b32_e64 v0, v1, v0, s0
	v_and_b32_e32 v4, 1, v0
	v_add_nc_u64_e32 v[0:1], s[4:5], v[2:3]
	s_delay_alu instid0(VALU_DEP_2)
	v_cmp_eq_u32_e64 s2, 1, v4
	s_cbranch_scc1 .LBB87_1483
; %bb.1474:
	s_and_b32 s4, 0xffff, s3
	s_mov_b32 s5, -1
	s_cmp_gt_i32 s4, 25
	s_mov_b32 s0, s10
	s_cbranch_scc0 .LBB87_1511
; %bb.1475:
	s_cmp_gt_i32 s4, 28
	s_mov_b32 s0, s10
	s_cbranch_scc0 .LBB87_1495
; %bb.1476:
	;; [unrolled: 4-line block ×4, first 2 shown]
	s_cmp_eq_u32 s4, 46
	s_mov_b32 s0, -1
	s_cbranch_scc0 .LBB87_1484
; %bb.1479:
	v_cndmask_b32_e64 v2, 0, 1.0, s2
	s_mov_b32 s0, 0
	s_mov_b32 s5, 0
	s_delay_alu instid0(VALU_DEP_1) | instskip(NEXT) | instid1(VALU_DEP_1)
	v_bfe_u32 v3, v2, 16, 1
	v_add3_u32 v2, v2, v3, 0x7fff
	s_delay_alu instid0(VALU_DEP_1)
	v_lshrrev_b32_e32 v2, 16, v2
	global_store_b32 v[0:1], v2, off
	s_branch .LBB87_1485
.LBB87_1480:
	s_or_b32 exec_lo, exec_lo, s6
	s_and_saveexec_b32 s0, s10
	s_cbranch_execnz .LBB87_1553
.LBB87_1481:
	s_or_b32 exec_lo, exec_lo, s0
	s_and_saveexec_b32 s0, s8
	s_delay_alu instid0(SALU_CYCLE_1)
	s_xor_b32 s0, exec_lo, s0
	s_cbranch_execz .LBB87_1554
.LBB87_1482:
	v_cndmask_b32_e64 v2, 0, 1, s2
	global_store_b8 v[0:1], v2, off
	s_wait_xcnt 0x0
	s_or_b32 exec_lo, exec_lo, s0
	s_and_saveexec_b32 s0, s7
	s_delay_alu instid0(SALU_CYCLE_1)
	s_xor_b32 s0, exec_lo, s0
	s_cbranch_execz .LBB87_1592
	s_branch .LBB87_1555
.LBB87_1483:
	s_mov_b32 s5, -1
	s_mov_b32 s0, s10
	s_branch .LBB87_1552
.LBB87_1484:
	s_mov_b32 s5, 0
.LBB87_1485:
	s_delay_alu instid0(SALU_CYCLE_1)
	s_and_b32 vcc_lo, exec_lo, s5
	s_cbranch_vccz .LBB87_1490
; %bb.1486:
	s_cmp_eq_u32 s4, 44
	s_mov_b32 s0, -1
	s_cbranch_scc0 .LBB87_1490
; %bb.1487:
	v_cndmask_b32_e64 v4, 0, 1.0, s2
	s_mov_b32 s5, exec_lo
	s_wait_xcnt 0x0
	s_delay_alu instid0(VALU_DEP_1) | instskip(NEXT) | instid1(VALU_DEP_1)
	v_dual_mov_b32 v3, 0xff :: v_dual_lshrrev_b32 v2, 23, v4
	v_cmpx_ne_u32_e32 0xff, v2
; %bb.1488:
	v_and_b32_e32 v3, 0x400000, v4
	v_and_or_b32 v4, 0x3fffff, v4, v2
	s_delay_alu instid0(VALU_DEP_2) | instskip(NEXT) | instid1(VALU_DEP_2)
	v_cmp_ne_u32_e32 vcc_lo, 0, v3
	v_cmp_ne_u32_e64 s0, 0, v4
	s_and_b32 s0, vcc_lo, s0
	s_delay_alu instid0(SALU_CYCLE_1) | instskip(NEXT) | instid1(VALU_DEP_1)
	v_cndmask_b32_e64 v3, 0, 1, s0
	v_add_nc_u32_e32 v3, v2, v3
; %bb.1489:
	s_or_b32 exec_lo, exec_lo, s5
	s_mov_b32 s0, 0
	global_store_b8 v[0:1], v3, off
.LBB87_1490:
	s_mov_b32 s5, 0
.LBB87_1491:
	s_delay_alu instid0(SALU_CYCLE_1)
	s_and_b32 vcc_lo, exec_lo, s5
	s_cbranch_vccz .LBB87_1494
; %bb.1492:
	s_cmp_eq_u32 s4, 29
	s_mov_b32 s0, -1
	s_cbranch_scc0 .LBB87_1494
; %bb.1493:
	s_mov_b32 s0, 0
	s_wait_xcnt 0x0
	v_cndmask_b32_e64 v2, 0, 1, s2
	v_mov_b32_e32 v3, s0
	s_mov_b32 s5, 0
	global_store_b64 v[0:1], v[2:3], off
	s_branch .LBB87_1495
.LBB87_1494:
	s_mov_b32 s5, 0
.LBB87_1495:
	s_delay_alu instid0(SALU_CYCLE_1)
	s_and_b32 vcc_lo, exec_lo, s5
	s_cbranch_vccz .LBB87_1510
; %bb.1496:
	s_cmp_lt_i32 s4, 27
	s_mov_b32 s5, -1
	s_cbranch_scc1 .LBB87_1502
; %bb.1497:
	s_cmp_gt_i32 s4, 27
	s_cbranch_scc0 .LBB87_1499
; %bb.1498:
	s_wait_xcnt 0x0
	v_cndmask_b32_e64 v2, 0, 1, s2
	s_mov_b32 s5, 0
	global_store_b32 v[0:1], v2, off
.LBB87_1499:
	s_and_not1_b32 vcc_lo, exec_lo, s5
	s_cbranch_vccnz .LBB87_1501
; %bb.1500:
	s_wait_xcnt 0x0
	v_cndmask_b32_e64 v2, 0, 1, s2
	global_store_b16 v[0:1], v2, off
.LBB87_1501:
	s_mov_b32 s5, 0
.LBB87_1502:
	s_delay_alu instid0(SALU_CYCLE_1)
	s_and_not1_b32 vcc_lo, exec_lo, s5
	s_cbranch_vccnz .LBB87_1510
; %bb.1503:
	s_wait_xcnt 0x0
	v_cndmask_b32_e64 v3, 0, 1.0, s2
	v_mov_b32_e32 v4, 0x80
	s_mov_b32 s5, exec_lo
	s_delay_alu instid0(VALU_DEP_2)
	v_cmpx_gt_u32_e32 0x43800000, v3
	s_cbranch_execz .LBB87_1509
; %bb.1504:
	s_mov_b32 s8, exec_lo
                                        ; implicit-def: $vgpr2
	v_cmpx_lt_u32_e32 0x3bffffff, v3
	s_xor_b32 s8, exec_lo, s8
	s_cbranch_execz .LBB87_1651
; %bb.1505:
	v_bfe_u32 v2, v3, 20, 1
	s_mov_b32 s7, exec_lo
	s_delay_alu instid0(VALU_DEP_1) | instskip(NEXT) | instid1(VALU_DEP_1)
	v_add3_u32 v2, v3, v2, 0x487ffff
                                        ; implicit-def: $vgpr3
	v_lshrrev_b32_e32 v2, 20, v2
	s_and_not1_saveexec_b32 s8, s8
	s_cbranch_execnz .LBB87_1652
.LBB87_1506:
	s_or_b32 exec_lo, exec_lo, s8
	v_mov_b32_e32 v4, 0
	s_and_saveexec_b32 s8, s7
.LBB87_1507:
	v_mov_b32_e32 v4, v2
.LBB87_1508:
	s_or_b32 exec_lo, exec_lo, s8
.LBB87_1509:
	s_delay_alu instid0(SALU_CYCLE_1)
	s_or_b32 exec_lo, exec_lo, s5
	global_store_b8 v[0:1], v4, off
.LBB87_1510:
	s_mov_b32 s5, 0
.LBB87_1511:
	s_delay_alu instid0(SALU_CYCLE_1)
	s_and_b32 vcc_lo, exec_lo, s5
	s_mov_b32 s5, 0
	s_cbranch_vccz .LBB87_1551
; %bb.1512:
	s_cmp_gt_i32 s4, 22
	s_mov_b32 s7, -1
	s_cbranch_scc0 .LBB87_1544
; %bb.1513:
	s_cmp_lt_i32 s4, 24
	s_cbranch_scc1 .LBB87_1533
; %bb.1514:
	s_cmp_gt_i32 s4, 24
	s_cbranch_scc0 .LBB87_1522
; %bb.1515:
	s_wait_xcnt 0x0
	v_cndmask_b32_e64 v3, 0, 1.0, s2
	v_mov_b32_e32 v4, 0x80
	s_mov_b32 s7, exec_lo
	s_delay_alu instid0(VALU_DEP_2)
	v_cmpx_gt_u32_e32 0x47800000, v3
	s_cbranch_execz .LBB87_1521
; %bb.1516:
	s_mov_b32 s8, 0
	s_mov_b32 s9, exec_lo
                                        ; implicit-def: $vgpr2
	v_cmpx_lt_u32_e32 0x37ffffff, v3
	s_xor_b32 s9, exec_lo, s9
	s_cbranch_execz .LBB87_1777
; %bb.1517:
	v_bfe_u32 v2, v3, 21, 1
	s_mov_b32 s8, exec_lo
	s_delay_alu instid0(VALU_DEP_1) | instskip(NEXT) | instid1(VALU_DEP_1)
	v_add3_u32 v2, v3, v2, 0x88fffff
                                        ; implicit-def: $vgpr3
	v_lshrrev_b32_e32 v2, 21, v2
	s_and_not1_saveexec_b32 s9, s9
	s_cbranch_execnz .LBB87_1778
.LBB87_1518:
	s_or_b32 exec_lo, exec_lo, s9
	v_mov_b32_e32 v4, 0
	s_and_saveexec_b32 s9, s8
.LBB87_1519:
	v_mov_b32_e32 v4, v2
.LBB87_1520:
	s_or_b32 exec_lo, exec_lo, s9
.LBB87_1521:
	s_delay_alu instid0(SALU_CYCLE_1)
	s_or_b32 exec_lo, exec_lo, s7
	s_mov_b32 s7, 0
	global_store_b8 v[0:1], v4, off
.LBB87_1522:
	s_and_b32 vcc_lo, exec_lo, s7
	s_cbranch_vccz .LBB87_1532
; %bb.1523:
	s_wait_xcnt 0x0
	v_cndmask_b32_e64 v3, 0, 1.0, s2
	s_mov_b32 s7, exec_lo
                                        ; implicit-def: $vgpr2
	s_delay_alu instid0(VALU_DEP_1)
	v_cmpx_gt_u32_e32 0x43f00000, v3
	s_xor_b32 s7, exec_lo, s7
	s_cbranch_execz .LBB87_1529
; %bb.1524:
	s_mov_b32 s8, exec_lo
                                        ; implicit-def: $vgpr2
	v_cmpx_lt_u32_e32 0x3c7fffff, v3
	s_xor_b32 s8, exec_lo, s8
; %bb.1525:
	v_bfe_u32 v2, v3, 20, 1
	s_delay_alu instid0(VALU_DEP_1) | instskip(NEXT) | instid1(VALU_DEP_1)
	v_add3_u32 v2, v3, v2, 0x407ffff
	v_and_b32_e32 v3, 0xff00000, v2
	v_lshrrev_b32_e32 v2, 20, v2
	s_delay_alu instid0(VALU_DEP_2) | instskip(NEXT) | instid1(VALU_DEP_2)
	v_cmp_ne_u32_e32 vcc_lo, 0x7f00000, v3
                                        ; implicit-def: $vgpr3
	v_cndmask_b32_e32 v2, 0x7e, v2, vcc_lo
; %bb.1526:
	s_and_not1_saveexec_b32 s8, s8
; %bb.1527:
	v_add_f32_e32 v2, 0x46800000, v3
; %bb.1528:
	s_or_b32 exec_lo, exec_lo, s8
                                        ; implicit-def: $vgpr3
.LBB87_1529:
	s_and_not1_saveexec_b32 s7, s7
; %bb.1530:
	v_mov_b32_e32 v2, 0x7f
	v_cmp_lt_u32_e32 vcc_lo, 0x7f800000, v3
	s_delay_alu instid0(VALU_DEP_2)
	v_cndmask_b32_e32 v2, 0x7e, v2, vcc_lo
; %bb.1531:
	s_or_b32 exec_lo, exec_lo, s7
	global_store_b8 v[0:1], v2, off
.LBB87_1532:
	s_mov_b32 s7, 0
.LBB87_1533:
	s_delay_alu instid0(SALU_CYCLE_1)
	s_and_not1_b32 vcc_lo, exec_lo, s7
	s_cbranch_vccnz .LBB87_1543
; %bb.1534:
	s_wait_xcnt 0x0
	v_cndmask_b32_e64 v3, 0, 1.0, s2
	s_mov_b32 s7, exec_lo
                                        ; implicit-def: $vgpr2
	s_delay_alu instid0(VALU_DEP_1)
	v_cmpx_gt_u32_e32 0x47800000, v3
	s_xor_b32 s7, exec_lo, s7
	s_cbranch_execz .LBB87_1540
; %bb.1535:
	s_mov_b32 s8, exec_lo
                                        ; implicit-def: $vgpr2
	v_cmpx_lt_u32_e32 0x387fffff, v3
	s_xor_b32 s8, exec_lo, s8
; %bb.1536:
	v_bfe_u32 v2, v3, 21, 1
	s_delay_alu instid0(VALU_DEP_1) | instskip(NEXT) | instid1(VALU_DEP_1)
	v_add3_u32 v2, v3, v2, 0x80fffff
                                        ; implicit-def: $vgpr3
	v_lshrrev_b32_e32 v2, 21, v2
; %bb.1537:
	s_and_not1_saveexec_b32 s8, s8
; %bb.1538:
	v_add_f32_e32 v2, 0x43000000, v3
; %bb.1539:
	s_or_b32 exec_lo, exec_lo, s8
                                        ; implicit-def: $vgpr3
.LBB87_1540:
	s_and_not1_saveexec_b32 s7, s7
; %bb.1541:
	v_mov_b32_e32 v2, 0x7f
	v_cmp_lt_u32_e32 vcc_lo, 0x7f800000, v3
	s_delay_alu instid0(VALU_DEP_2)
	v_cndmask_b32_e32 v2, 0x7c, v2, vcc_lo
; %bb.1542:
	s_or_b32 exec_lo, exec_lo, s7
	global_store_b8 v[0:1], v2, off
.LBB87_1543:
	s_mov_b32 s7, 0
.LBB87_1544:
	s_delay_alu instid0(SALU_CYCLE_1)
	s_and_not1_b32 vcc_lo, exec_lo, s7
	s_mov_b32 s8, 0
	s_cbranch_vccnz .LBB87_1552
; %bb.1545:
	s_cmp_gt_i32 s4, 14
	s_mov_b32 s7, -1
	s_cbranch_scc0 .LBB87_1549
; %bb.1546:
	s_cmp_eq_u32 s4, 15
	s_mov_b32 s0, -1
	s_cbranch_scc0 .LBB87_1548
; %bb.1547:
	s_wait_xcnt 0x0
	v_cndmask_b32_e64 v2, 0, 1.0, s2
	s_mov_b32 s0, 0
	s_delay_alu instid0(VALU_DEP_1) | instskip(NEXT) | instid1(VALU_DEP_1)
	v_bfe_u32 v3, v2, 16, 1
	v_add3_u32 v2, v2, v3, 0x7fff
	global_store_d16_hi_b16 v[0:1], v2, off
.LBB87_1548:
	s_mov_b32 s7, 0
.LBB87_1549:
	s_delay_alu instid0(SALU_CYCLE_1)
	s_and_b32 vcc_lo, exec_lo, s7
	s_cbranch_vccz .LBB87_1552
; %bb.1550:
	s_cmp_lg_u32 s4, 11
	s_mov_b32 s8, -1
	s_cselect_b32 s4, -1, 0
	s_and_not1_b32 s0, s0, exec_lo
	s_and_b32 s4, s4, exec_lo
	s_delay_alu instid0(SALU_CYCLE_1)
	s_or_b32 s0, s0, s4
	s_branch .LBB87_1552
.LBB87_1551:
	s_mov_b32 s8, 0
.LBB87_1552:
	s_and_not1_b32 s4, s10, exec_lo
	s_and_b32 s0, s0, exec_lo
	s_and_b32 s7, s5, exec_lo
	;; [unrolled: 1-line block ×3, first 2 shown]
	s_or_b32 s10, s4, s0
	s_wait_xcnt 0x0
	s_or_b32 exec_lo, exec_lo, s6
	s_and_saveexec_b32 s0, s10
	s_cbranch_execz .LBB87_1481
.LBB87_1553:
	s_or_b32 s1, s1, exec_lo
	s_and_not1_b32 s8, s8, exec_lo
	s_trap 2
	s_or_b32 exec_lo, exec_lo, s0
	s_and_saveexec_b32 s0, s8
	s_delay_alu instid0(SALU_CYCLE_1)
	s_xor_b32 s0, exec_lo, s0
	s_cbranch_execnz .LBB87_1482
.LBB87_1554:
	s_or_b32 exec_lo, exec_lo, s0
	s_and_saveexec_b32 s0, s7
	s_delay_alu instid0(SALU_CYCLE_1)
	s_xor_b32 s0, exec_lo, s0
	s_cbranch_execz .LBB87_1592
.LBB87_1555:
	s_sext_i32_i16 s5, s3
	s_mov_b32 s4, -1
	s_cmp_lt_i32 s5, 5
	s_cbranch_scc1 .LBB87_1576
; %bb.1556:
	s_cmp_lt_i32 s5, 8
	s_cbranch_scc1 .LBB87_1566
; %bb.1557:
	;; [unrolled: 3-line block ×3, first 2 shown]
	s_cmp_gt_i32 s5, 9
	s_cbranch_scc0 .LBB87_1560
; %bb.1559:
	v_cndmask_b32_e64 v2, 0, 1, s2
	s_wait_loadcnt 0x0
	v_mov_b32_e32 v4, 0
	s_mov_b32 s4, 0
	s_delay_alu instid0(VALU_DEP_2) | instskip(NEXT) | instid1(VALU_DEP_2)
	v_cvt_f64_u32_e32 v[2:3], v2
	v_mov_b32_e32 v5, v4
	global_store_b128 v[0:1], v[2:5], off
.LBB87_1560:
	s_and_not1_b32 vcc_lo, exec_lo, s4
	s_cbranch_vccnz .LBB87_1562
; %bb.1561:
	s_wait_xcnt 0x0
	v_cndmask_b32_e64 v2, 0, 1.0, s2
	v_mov_b32_e32 v3, 0
	global_store_b64 v[0:1], v[2:3], off
.LBB87_1562:
	s_mov_b32 s4, 0
.LBB87_1563:
	s_delay_alu instid0(SALU_CYCLE_1)
	s_and_not1_b32 vcc_lo, exec_lo, s4
	s_cbranch_vccnz .LBB87_1565
; %bb.1564:
	s_wait_xcnt 0x0
	v_cndmask_b32_e64 v2, 0, 1.0, s2
	s_delay_alu instid0(VALU_DEP_1) | instskip(NEXT) | instid1(VALU_DEP_1)
	v_cvt_f16_f32_e32 v2, v2
	v_and_b32_e32 v2, 0xffff, v2
	global_store_b32 v[0:1], v2, off
.LBB87_1565:
	s_mov_b32 s4, 0
.LBB87_1566:
	s_delay_alu instid0(SALU_CYCLE_1)
	s_and_not1_b32 vcc_lo, exec_lo, s4
	s_cbranch_vccnz .LBB87_1575
; %bb.1567:
	s_sext_i32_i16 s5, s3
	s_mov_b32 s4, -1
	s_cmp_lt_i32 s5, 6
	s_cbranch_scc1 .LBB87_1573
; %bb.1568:
	s_cmp_gt_i32 s5, 6
	s_cbranch_scc0 .LBB87_1570
; %bb.1569:
	s_wait_xcnt 0x0
	v_cndmask_b32_e64 v2, 0, 1, s2
	s_mov_b32 s4, 0
	s_delay_alu instid0(VALU_DEP_1)
	v_cvt_f64_u32_e32 v[2:3], v2
	global_store_b64 v[0:1], v[2:3], off
.LBB87_1570:
	s_and_not1_b32 vcc_lo, exec_lo, s4
	s_cbranch_vccnz .LBB87_1572
; %bb.1571:
	s_wait_xcnt 0x0
	v_cndmask_b32_e64 v2, 0, 1.0, s2
	global_store_b32 v[0:1], v2, off
.LBB87_1572:
	s_mov_b32 s4, 0
.LBB87_1573:
	s_delay_alu instid0(SALU_CYCLE_1)
	s_and_not1_b32 vcc_lo, exec_lo, s4
	s_cbranch_vccnz .LBB87_1575
; %bb.1574:
	s_wait_xcnt 0x0
	v_cndmask_b32_e64 v2, 0, 1.0, s2
	s_delay_alu instid0(VALU_DEP_1)
	v_cvt_f16_f32_e32 v2, v2
	global_store_b16 v[0:1], v2, off
.LBB87_1575:
	s_mov_b32 s4, 0
.LBB87_1576:
	s_delay_alu instid0(SALU_CYCLE_1)
	s_and_not1_b32 vcc_lo, exec_lo, s4
	s_cbranch_vccnz .LBB87_1592
; %bb.1577:
	s_sext_i32_i16 s5, s3
	s_mov_b32 s4, -1
	s_cmp_lt_i32 s5, 2
	s_cbranch_scc1 .LBB87_1587
; %bb.1578:
	s_cmp_lt_i32 s5, 3
	s_cbranch_scc1 .LBB87_1584
; %bb.1579:
	s_cmp_gt_i32 s5, 3
	s_cbranch_scc0 .LBB87_1581
; %bb.1580:
	s_mov_b32 s4, 0
	s_wait_xcnt 0x0
	v_cndmask_b32_e64 v2, 0, 1, s2
	v_mov_b32_e32 v3, s4
	global_store_b64 v[0:1], v[2:3], off
.LBB87_1581:
	s_and_not1_b32 vcc_lo, exec_lo, s4
	s_cbranch_vccnz .LBB87_1583
; %bb.1582:
	s_wait_xcnt 0x0
	v_cndmask_b32_e64 v2, 0, 1, s2
	global_store_b32 v[0:1], v2, off
.LBB87_1583:
	s_mov_b32 s4, 0
.LBB87_1584:
	s_delay_alu instid0(SALU_CYCLE_1)
	s_and_not1_b32 vcc_lo, exec_lo, s4
	s_cbranch_vccnz .LBB87_1586
; %bb.1585:
	s_wait_xcnt 0x0
	v_cndmask_b32_e64 v2, 0, 1, s2
	global_store_b16 v[0:1], v2, off
.LBB87_1586:
	s_mov_b32 s4, 0
.LBB87_1587:
	s_delay_alu instid0(SALU_CYCLE_1)
	s_and_not1_b32 vcc_lo, exec_lo, s4
	s_cbranch_vccnz .LBB87_1592
; %bb.1588:
	s_wait_xcnt 0x0
	v_cndmask_b32_e64 v2, 0, 1, s2
	s_sext_i32_i16 s3, s3
	s_mov_b32 s2, -1
	s_cmp_gt_i32 s3, 0
	s_cbranch_scc0 .LBB87_1590
; %bb.1589:
	s_mov_b32 s2, 0
	global_store_b8 v[0:1], v2, off
.LBB87_1590:
	s_and_not1_b32 vcc_lo, exec_lo, s2
	s_cbranch_vccnz .LBB87_1592
; %bb.1591:
	global_store_b8 v[0:1], v2, off
.LBB87_1592:
	s_wait_xcnt 0x0
	s_or_b32 exec_lo, exec_lo, s0
	s_delay_alu instid0(SALU_CYCLE_1)
	s_and_b32 s3, s1, exec_lo
                                        ; implicit-def: $vgpr1
                                        ; implicit-def: $vgpr0
.LBB87_1593:
	s_or_saveexec_b32 s8, s35
	s_mov_b32 s0, 0
                                        ; implicit-def: $sgpr1
                                        ; implicit-def: $vgpr2_vgpr3
                                        ; implicit-def: $sgpr6
	s_xor_b32 exec_lo, exec_lo, s8
	s_cbranch_execz .LBB87_3114
; %bb.1594:
	v_cndmask_b32_e64 v3, 0, 1, s34
	s_and_not1_b32 vcc_lo, exec_lo, s34
	s_cbranch_vccnz .LBB87_1600
; %bb.1595:
	s_cmp_lg_u32 s30, 0
	s_mov_b32 s2, 0
	s_cbranch_scc0 .LBB87_1604
; %bb.1596:
	s_min_u32 s4, s31, 15
	v_dual_mov_b32 v6, 0 :: v_dual_mov_b32 v2, v0
	s_wait_loadcnt 0x0
	v_dual_mov_b32 v8, 0 :: v_dual_mov_b32 v12, 0
	s_add_co_i32 s5, s4, 1
	s_mov_b64 s[0:1], 0xffffffffffffffe8
	s_and_b32 s5, s5, 30
	s_add_nc_u64 s[0:1], s[20:21], s[0:1]
.LBB87_1597:                            ; =>This Inner Loop Header: Depth=1
	s_clause 0x3
	s_load_b128 s[12:15], s[0:1], 0x1c
	s_load_b64 s[6:7], s[0:1], 0x2c
	s_load_b128 s[16:19], s[0:1], 0xdc
	s_load_b64 s[10:11], s[0:1], 0xec
	s_add_co_i32 s5, s5, -2
	s_wait_xcnt 0x0
	s_add_nc_u64 s[0:1], s[0:1], 24
	s_cmp_lg_u32 s5, 0
	s_wait_kmcnt 0x0
	v_mul_hi_u32 v4, s13, v2
	s_delay_alu instid0(VALU_DEP_1) | instskip(NEXT) | instid1(VALU_DEP_1)
	v_add_nc_u32_e32 v4, v2, v4
	v_lshrrev_b32_e32 v4, s14, v4
	s_delay_alu instid0(VALU_DEP_1) | instskip(SKIP_1) | instid1(VALU_DEP_1)
	v_mul_hi_u32 v5, s6, v4
	v_mul_lo_u32 v7, v4, s12
	v_dual_add_nc_u32 v5, v4, v5 :: v_dual_sub_nc_u32 v7, v2, v7
	s_delay_alu instid0(VALU_DEP_1) | instskip(NEXT) | instid1(VALU_DEP_2)
	v_lshrrev_b32_e32 v2, s7, v5
	v_mad_u32 v6, v7, s16, v6
	v_mad_u32 v9, v7, s18, v12
	;; [unrolled: 1-line block ×3, first 2 shown]
	s_delay_alu instid0(VALU_DEP_4) | instskip(NEXT) | instid1(VALU_DEP_1)
	v_mul_lo_u32 v5, v2, s15
	v_sub_nc_u32_e32 v4, v4, v5
	s_delay_alu instid0(VALU_DEP_1)
	v_mad_u32 v6, v4, s19, v6
	v_mad_u32 v12, v4, s11, v9
	;; [unrolled: 1-line block ×3, first 2 shown]
	s_cbranch_scc1 .LBB87_1597
; %bb.1598:
	s_bitcmp1_b32 s4, 0
	s_cselect_b32 s4, -1, 0
	s_delay_alu instid0(SALU_CYCLE_1)
	s_and_b32 vcc_lo, exec_lo, s4
	s_cbranch_vccnz .LBB87_1601
; %bb.1599:
	s_clause 0x1
	s_load_b96 s[4:6], s[0:1], 0x1c
	s_load_b96 s[12:14], s[0:1], 0xdc
	s_wait_kmcnt 0x0
	v_mul_hi_u32 v4, s5, v2
	s_delay_alu instid0(VALU_DEP_1) | instskip(NEXT) | instid1(VALU_DEP_1)
	v_add_nc_u32_e32 v4, v2, v4
	v_lshrrev_b32_e32 v4, s6, v4
	s_delay_alu instid0(VALU_DEP_1) | instskip(NEXT) | instid1(VALU_DEP_1)
	v_mul_lo_u32 v4, v4, s4
	v_sub_nc_u32_e32 v2, v2, v4
	s_delay_alu instid0(VALU_DEP_1)
	v_mad_u32 v6, v2, s12, v6
	v_mad_u32 v8, v2, s13, v8
	;; [unrolled: 1-line block ×3, first 2 shown]
	s_and_not1_b32 vcc_lo, exec_lo, s2
	s_cbranch_vccz .LBB87_1602
	s_branch .LBB87_1605
.LBB87_1600:
	s_mov_b32 s2, -1
                                        ; implicit-def: $vgpr12
                                        ; implicit-def: $vgpr8
                                        ; implicit-def: $vgpr6
.LBB87_1601:
	s_delay_alu instid0(SALU_CYCLE_1)
	s_and_not1_b32 vcc_lo, exec_lo, s2
	s_cbranch_vccnz .LBB87_1605
.LBB87_1602:
	s_clause 0x1
	s_load_b96 s[0:2], s[20:21], 0x4
	s_load_b96 s[4:6], s[20:21], 0xc4
	s_cmp_lt_u32 s30, 2
	s_wait_kmcnt 0x0
	v_mul_hi_u32 v2, s1, v0
	s_delay_alu instid0(VALU_DEP_1) | instskip(NEXT) | instid1(VALU_DEP_1)
	v_add_nc_u32_e32 v2, v0, v2
	v_lshrrev_b32_e32 v2, s2, v2
	s_wait_loadcnt 0x0
	s_delay_alu instid0(VALU_DEP_1) | instskip(NEXT) | instid1(VALU_DEP_1)
	v_mul_lo_u32 v4, v2, s0
	v_sub_nc_u32_e32 v4, v0, v4
	s_delay_alu instid0(VALU_DEP_1)
	v_mul_lo_u32 v6, v4, s4
	v_mul_lo_u32 v12, v4, s6
	;; [unrolled: 1-line block ×3, first 2 shown]
	s_cbranch_scc1 .LBB87_1605
; %bb.1603:
	s_clause 0x1
	s_load_b96 s[0:2], s[20:21], 0x10
	s_load_b96 s[4:6], s[20:21], 0xd0
	s_wait_kmcnt 0x0
	v_mul_hi_u32 v4, s1, v2
	s_delay_alu instid0(VALU_DEP_1) | instskip(NEXT) | instid1(VALU_DEP_1)
	v_add_nc_u32_e32 v4, v2, v4
	v_lshrrev_b32_e32 v4, s2, v4
	s_delay_alu instid0(VALU_DEP_1) | instskip(NEXT) | instid1(VALU_DEP_1)
	v_mul_lo_u32 v4, v4, s0
	v_sub_nc_u32_e32 v2, v2, v4
	s_delay_alu instid0(VALU_DEP_1)
	v_mad_u32 v6, v2, s4, v6
	v_mad_u32 v8, v2, s5, v8
	;; [unrolled: 1-line block ×3, first 2 shown]
	s_branch .LBB87_1605
.LBB87_1604:
	s_wait_loadcnt 0x0
	v_dual_mov_b32 v12, 0 :: v_dual_mov_b32 v8, 0
	v_mov_b32_e32 v6, 0
	s_and_not1_b32 vcc_lo, exec_lo, s2
	s_cbranch_vccz .LBB87_1602
.LBB87_1605:
	v_cmp_ne_u32_e32 vcc_lo, 1, v3
	v_add_nc_u32_e32 v2, 0x80, v0
	s_cbranch_vccnz .LBB87_1611
; %bb.1606:
	s_cmp_lg_u32 s30, 0
	s_mov_b32 s2, 0
	s_cbranch_scc0 .LBB87_1615
; %bb.1607:
	s_min_u32 s4, s31, 15
	s_wait_loadcnt 0x0
	v_dual_mov_b32 v4, 0 :: v_dual_mov_b32 v5, v2
	v_dual_mov_b32 v14, 0 :: v_dual_mov_b32 v18, 0
	s_add_co_i32 s5, s4, 1
	s_mov_b64 s[0:1], 0xffffffffffffffe8
	s_and_b32 s5, s5, 30
	s_add_nc_u64 s[0:1], s[20:21], s[0:1]
.LBB87_1608:                            ; =>This Inner Loop Header: Depth=1
	s_clause 0x3
	s_load_b128 s[12:15], s[0:1], 0x1c
	s_load_b64 s[6:7], s[0:1], 0x2c
	s_load_b128 s[16:19], s[0:1], 0xdc
	s_load_b64 s[10:11], s[0:1], 0xec
	s_add_co_i32 s5, s5, -2
	s_wait_xcnt 0x0
	s_add_nc_u64 s[0:1], s[0:1], 24
	s_cmp_lg_u32 s5, 0
	s_wait_kmcnt 0x0
	v_mul_hi_u32 v7, s13, v5
	s_delay_alu instid0(VALU_DEP_1) | instskip(NEXT) | instid1(VALU_DEP_1)
	v_add_nc_u32_e32 v7, v5, v7
	v_lshrrev_b32_e32 v7, s14, v7
	s_delay_alu instid0(VALU_DEP_1) | instskip(SKIP_1) | instid1(VALU_DEP_1)
	v_mul_hi_u32 v9, s6, v7
	v_mul_lo_u32 v10, v7, s12
	v_dual_add_nc_u32 v9, v7, v9 :: v_dual_sub_nc_u32 v10, v5, v10
	s_delay_alu instid0(VALU_DEP_1) | instskip(NEXT) | instid1(VALU_DEP_2)
	v_lshrrev_b32_e32 v5, s7, v9
	v_mad_u32 v4, v10, s16, v4
	v_mad_u32 v11, v10, s18, v18
	v_mad_u32 v10, v10, s17, v14
	s_delay_alu instid0(VALU_DEP_4) | instskip(NEXT) | instid1(VALU_DEP_1)
	v_mul_lo_u32 v9, v5, s15
	v_sub_nc_u32_e32 v7, v7, v9
	s_delay_alu instid0(VALU_DEP_1)
	v_mad_u32 v4, v7, s19, v4
	v_mad_u32 v18, v7, s11, v11
	;; [unrolled: 1-line block ×3, first 2 shown]
	s_cbranch_scc1 .LBB87_1608
; %bb.1609:
	s_bitcmp1_b32 s4, 0
	s_cselect_b32 s4, -1, 0
	s_delay_alu instid0(SALU_CYCLE_1)
	s_and_b32 vcc_lo, exec_lo, s4
	s_cbranch_vccnz .LBB87_1612
; %bb.1610:
	s_clause 0x1
	s_load_b96 s[4:6], s[0:1], 0x1c
	s_load_b96 s[12:14], s[0:1], 0xdc
	s_wait_kmcnt 0x0
	v_mul_hi_u32 v7, s5, v5
	s_delay_alu instid0(VALU_DEP_1) | instskip(NEXT) | instid1(VALU_DEP_1)
	v_add_nc_u32_e32 v7, v5, v7
	v_lshrrev_b32_e32 v7, s6, v7
	s_delay_alu instid0(VALU_DEP_1) | instskip(NEXT) | instid1(VALU_DEP_1)
	v_mul_lo_u32 v7, v7, s4
	v_sub_nc_u32_e32 v5, v5, v7
	s_delay_alu instid0(VALU_DEP_1)
	v_mad_u32 v4, v5, s12, v4
	v_mad_u32 v14, v5, s13, v14
	;; [unrolled: 1-line block ×3, first 2 shown]
	s_and_not1_b32 vcc_lo, exec_lo, s2
	s_cbranch_vccz .LBB87_1613
	s_branch .LBB87_1616
.LBB87_1611:
	s_mov_b32 s2, -1
                                        ; implicit-def: $vgpr18
                                        ; implicit-def: $vgpr14
                                        ; implicit-def: $vgpr4
.LBB87_1612:
	s_delay_alu instid0(SALU_CYCLE_1)
	s_and_not1_b32 vcc_lo, exec_lo, s2
	s_cbranch_vccnz .LBB87_1616
.LBB87_1613:
	s_clause 0x1
	s_load_b96 s[0:2], s[20:21], 0x4
	s_load_b96 s[4:6], s[20:21], 0xc4
	s_cmp_lt_u32 s30, 2
	s_wait_loadcnt 0x0
	s_wait_kmcnt 0x0
	v_mul_hi_u32 v4, s1, v2
	s_delay_alu instid0(VALU_DEP_1) | instskip(NEXT) | instid1(VALU_DEP_1)
	v_add_nc_u32_e32 v4, v2, v4
	v_lshrrev_b32_e32 v5, s2, v4
	s_delay_alu instid0(VALU_DEP_1) | instskip(NEXT) | instid1(VALU_DEP_1)
	v_mul_lo_u32 v4, v5, s0
	v_sub_nc_u32_e32 v2, v2, v4
	s_delay_alu instid0(VALU_DEP_1)
	v_mul_lo_u32 v4, v2, s4
	v_mul_lo_u32 v18, v2, s6
	;; [unrolled: 1-line block ×3, first 2 shown]
	s_cbranch_scc1 .LBB87_1616
; %bb.1614:
	s_clause 0x1
	s_load_b96 s[0:2], s[20:21], 0x10
	s_load_b96 s[4:6], s[20:21], 0xd0
	s_wait_kmcnt 0x0
	v_mul_hi_u32 v2, s1, v5
	s_delay_alu instid0(VALU_DEP_1) | instskip(NEXT) | instid1(VALU_DEP_1)
	v_add_nc_u32_e32 v2, v5, v2
	v_lshrrev_b32_e32 v2, s2, v2
	s_delay_alu instid0(VALU_DEP_1) | instskip(NEXT) | instid1(VALU_DEP_1)
	v_mul_lo_u32 v2, v2, s0
	v_sub_nc_u32_e32 v2, v5, v2
	s_delay_alu instid0(VALU_DEP_1)
	v_mad_u32 v4, v2, s4, v4
	v_mad_u32 v14, v2, s5, v14
	v_mad_u32 v18, v2, s6, v18
	s_branch .LBB87_1616
.LBB87_1615:
	v_dual_mov_b32 v18, 0 :: v_dual_mov_b32 v14, 0
	s_wait_loadcnt 0x0
	v_mov_b32_e32 v4, 0
	s_and_not1_b32 vcc_lo, exec_lo, s2
	s_cbranch_vccz .LBB87_1613
.LBB87_1616:
	v_cmp_ne_u32_e32 vcc_lo, 1, v3
	v_add_nc_u32_e32 v0, 0x100, v0
	s_cbranch_vccnz .LBB87_1622
; %bb.1617:
	s_cmp_lg_u32 s30, 0
	s_mov_b32 s2, 0
	s_cbranch_scc0 .LBB87_1626
; %bb.1618:
	s_min_u32 s4, s31, 15
	s_wait_loadcnt 0x0
	v_dual_mov_b32 v2, 0 :: v_dual_mov_b32 v5, v0
	v_dual_mov_b32 v20, 0 :: v_dual_mov_b32 v22, 0
	s_add_co_i32 s5, s4, 1
	s_mov_b64 s[0:1], 0xffffffffffffffe8
	s_and_b32 s5, s5, 30
	s_add_nc_u64 s[0:1], s[20:21], s[0:1]
.LBB87_1619:                            ; =>This Inner Loop Header: Depth=1
	s_clause 0x3
	s_load_b128 s[12:15], s[0:1], 0x1c
	s_load_b64 s[6:7], s[0:1], 0x2c
	s_load_b128 s[16:19], s[0:1], 0xdc
	s_load_b64 s[10:11], s[0:1], 0xec
	s_add_co_i32 s5, s5, -2
	s_wait_xcnt 0x0
	s_add_nc_u64 s[0:1], s[0:1], 24
	s_cmp_lg_u32 s5, 0
	s_wait_kmcnt 0x0
	v_mul_hi_u32 v7, s13, v5
	s_delay_alu instid0(VALU_DEP_1) | instskip(NEXT) | instid1(VALU_DEP_1)
	v_add_nc_u32_e32 v7, v5, v7
	v_lshrrev_b32_e32 v7, s14, v7
	s_delay_alu instid0(VALU_DEP_1) | instskip(SKIP_1) | instid1(VALU_DEP_1)
	v_mul_hi_u32 v9, s6, v7
	v_mul_lo_u32 v10, v7, s12
	v_dual_add_nc_u32 v9, v7, v9 :: v_dual_sub_nc_u32 v10, v5, v10
	s_delay_alu instid0(VALU_DEP_1) | instskip(NEXT) | instid1(VALU_DEP_2)
	v_lshrrev_b32_e32 v5, s7, v9
	v_mad_u32 v2, v10, s16, v2
	v_mad_u32 v11, v10, s18, v22
	;; [unrolled: 1-line block ×3, first 2 shown]
	s_delay_alu instid0(VALU_DEP_4) | instskip(NEXT) | instid1(VALU_DEP_1)
	v_mul_lo_u32 v9, v5, s15
	v_sub_nc_u32_e32 v7, v7, v9
	s_delay_alu instid0(VALU_DEP_1)
	v_mad_u32 v2, v7, s19, v2
	v_mad_u32 v22, v7, s11, v11
	;; [unrolled: 1-line block ×3, first 2 shown]
	s_cbranch_scc1 .LBB87_1619
; %bb.1620:
	s_bitcmp1_b32 s4, 0
	s_cselect_b32 s4, -1, 0
	s_delay_alu instid0(SALU_CYCLE_1)
	s_and_b32 vcc_lo, exec_lo, s4
	s_cbranch_vccnz .LBB87_1623
; %bb.1621:
	s_clause 0x1
	s_load_b96 s[4:6], s[0:1], 0x1c
	s_load_b96 s[12:14], s[0:1], 0xdc
	s_wait_kmcnt 0x0
	v_mul_hi_u32 v7, s5, v5
	s_delay_alu instid0(VALU_DEP_1) | instskip(NEXT) | instid1(VALU_DEP_1)
	v_add_nc_u32_e32 v7, v5, v7
	v_lshrrev_b32_e32 v7, s6, v7
	s_delay_alu instid0(VALU_DEP_1) | instskip(NEXT) | instid1(VALU_DEP_1)
	v_mul_lo_u32 v7, v7, s4
	v_sub_nc_u32_e32 v5, v5, v7
	s_delay_alu instid0(VALU_DEP_1)
	v_mad_u32 v2, v5, s12, v2
	v_mad_u32 v20, v5, s13, v20
	;; [unrolled: 1-line block ×3, first 2 shown]
	s_and_not1_b32 vcc_lo, exec_lo, s2
	s_cbranch_vccz .LBB87_1624
	s_branch .LBB87_1627
.LBB87_1622:
	s_mov_b32 s2, -1
                                        ; implicit-def: $vgpr22
                                        ; implicit-def: $vgpr20
                                        ; implicit-def: $vgpr2
.LBB87_1623:
	s_delay_alu instid0(SALU_CYCLE_1)
	s_and_not1_b32 vcc_lo, exec_lo, s2
	s_cbranch_vccnz .LBB87_1627
.LBB87_1624:
	s_clause 0x1
	s_load_b96 s[0:2], s[20:21], 0x4
	s_load_b96 s[4:6], s[20:21], 0xc4
	s_cmp_lt_u32 s30, 2
	s_wait_kmcnt 0x0
	v_mul_hi_u32 v2, s1, v0
	s_delay_alu instid0(VALU_DEP_1) | instskip(SKIP_1) | instid1(VALU_DEP_1)
	v_add_nc_u32_e32 v2, v0, v2
	s_wait_loadcnt 0x0
	v_lshrrev_b32_e32 v5, s2, v2
	s_delay_alu instid0(VALU_DEP_1) | instskip(NEXT) | instid1(VALU_DEP_1)
	v_mul_lo_u32 v2, v5, s0
	v_sub_nc_u32_e32 v0, v0, v2
	s_delay_alu instid0(VALU_DEP_1)
	v_mul_lo_u32 v2, v0, s4
	v_mul_lo_u32 v22, v0, s6
	;; [unrolled: 1-line block ×3, first 2 shown]
	s_cbranch_scc1 .LBB87_1627
; %bb.1625:
	s_clause 0x1
	s_load_b96 s[0:2], s[20:21], 0x10
	s_load_b96 s[4:6], s[20:21], 0xd0
	s_wait_kmcnt 0x0
	v_mul_hi_u32 v0, s1, v5
	s_delay_alu instid0(VALU_DEP_1) | instskip(NEXT) | instid1(VALU_DEP_1)
	v_add_nc_u32_e32 v0, v5, v0
	v_lshrrev_b32_e32 v0, s2, v0
	s_delay_alu instid0(VALU_DEP_1) | instskip(NEXT) | instid1(VALU_DEP_1)
	v_mul_lo_u32 v0, v0, s0
	v_sub_nc_u32_e32 v0, v5, v0
	s_delay_alu instid0(VALU_DEP_1)
	v_mad_u32 v2, v0, s4, v2
	v_mad_u32 v20, v0, s5, v20
	;; [unrolled: 1-line block ×3, first 2 shown]
	s_branch .LBB87_1627
.LBB87_1626:
	v_dual_mov_b32 v22, 0 :: v_dual_mov_b32 v20, 0
	v_mov_b32_e32 v2, 0
	s_and_not1_b32 vcc_lo, exec_lo, s2
	s_cbranch_vccz .LBB87_1624
.LBB87_1627:
	v_cmp_ne_u32_e32 vcc_lo, 1, v3
	s_cbranch_vccnz .LBB87_1633
; %bb.1628:
	s_cmp_lg_u32 s30, 0
	s_mov_b32 s2, 0
	s_cbranch_scc0 .LBB87_1637
; %bb.1629:
	s_min_u32 s4, s31, 15
	v_dual_mov_b32 v0, 0 :: v_dual_mov_b32 v3, v1
	v_dual_mov_b32 v16, 0 :: v_dual_mov_b32 v10, 0
	s_add_co_i32 s5, s4, 1
	s_mov_b64 s[0:1], 0xffffffffffffffe8
	s_and_b32 s5, s5, 30
	s_add_nc_u64 s[0:1], s[20:21], s[0:1]
.LBB87_1630:                            ; =>This Inner Loop Header: Depth=1
	s_clause 0x3
	s_load_b128 s[12:15], s[0:1], 0x1c
	s_load_b64 s[6:7], s[0:1], 0x2c
	s_load_b128 s[16:19], s[0:1], 0xdc
	s_load_b64 s[10:11], s[0:1], 0xec
	s_add_co_i32 s5, s5, -2
	s_wait_xcnt 0x0
	s_add_nc_u64 s[0:1], s[0:1], 24
	s_cmp_lg_u32 s5, 0
	s_wait_loadcnt 0x0
	s_wait_kmcnt 0x0
	v_mul_hi_u32 v5, s13, v3
	s_delay_alu instid0(VALU_DEP_1) | instskip(NEXT) | instid1(VALU_DEP_1)
	v_add_nc_u32_e32 v5, v3, v5
	v_lshrrev_b32_e32 v5, s14, v5
	s_delay_alu instid0(VALU_DEP_1) | instskip(SKIP_1) | instid1(VALU_DEP_1)
	v_mul_hi_u32 v7, s6, v5
	v_mul_lo_u32 v9, v5, s12
	v_dual_add_nc_u32 v7, v5, v7 :: v_dual_sub_nc_u32 v9, v3, v9
	s_delay_alu instid0(VALU_DEP_1) | instskip(NEXT) | instid1(VALU_DEP_2)
	v_lshrrev_b32_e32 v3, s7, v7
	v_mad_u32 v0, v9, s16, v0
	v_mad_u32 v10, v9, s18, v10
	;; [unrolled: 1-line block ×3, first 2 shown]
	s_delay_alu instid0(VALU_DEP_4) | instskip(NEXT) | instid1(VALU_DEP_1)
	v_mul_lo_u32 v7, v3, s15
	v_sub_nc_u32_e32 v5, v5, v7
	s_delay_alu instid0(VALU_DEP_1)
	v_mad_u32 v0, v5, s19, v0
	v_mad_u32 v10, v5, s11, v10
	;; [unrolled: 1-line block ×3, first 2 shown]
	s_cbranch_scc1 .LBB87_1630
; %bb.1631:
	s_bitcmp1_b32 s4, 0
	s_cselect_b32 s4, -1, 0
	s_delay_alu instid0(SALU_CYCLE_1)
	s_and_b32 vcc_lo, exec_lo, s4
	s_cbranch_vccnz .LBB87_1634
; %bb.1632:
	s_clause 0x1
	s_load_b96 s[4:6], s[0:1], 0x1c
	s_load_b96 s[12:14], s[0:1], 0xdc
	s_wait_kmcnt 0x0
	v_mul_hi_u32 v5, s5, v3
	s_delay_alu instid0(VALU_DEP_1) | instskip(NEXT) | instid1(VALU_DEP_1)
	v_add_nc_u32_e32 v5, v3, v5
	v_lshrrev_b32_e32 v5, s6, v5
	s_delay_alu instid0(VALU_DEP_1) | instskip(NEXT) | instid1(VALU_DEP_1)
	v_mul_lo_u32 v5, v5, s4
	v_sub_nc_u32_e32 v3, v3, v5
	s_delay_alu instid0(VALU_DEP_1)
	v_mad_u32 v0, v3, s12, v0
	v_mad_u32 v16, v3, s13, v16
	;; [unrolled: 1-line block ×3, first 2 shown]
	s_and_not1_b32 vcc_lo, exec_lo, s2
	s_cbranch_vccz .LBB87_1635
	s_branch .LBB87_1638
.LBB87_1633:
	s_mov_b32 s2, -1
                                        ; implicit-def: $vgpr10
                                        ; implicit-def: $vgpr16
                                        ; implicit-def: $vgpr0
.LBB87_1634:
	s_delay_alu instid0(SALU_CYCLE_1)
	s_and_not1_b32 vcc_lo, exec_lo, s2
	s_cbranch_vccnz .LBB87_1638
.LBB87_1635:
	s_clause 0x1
	s_load_b96 s[0:2], s[20:21], 0x4
	s_load_b96 s[4:6], s[20:21], 0xc4
	s_cmp_lt_u32 s30, 2
	s_wait_kmcnt 0x0
	v_mul_hi_u32 v0, s1, v1
	s_delay_alu instid0(VALU_DEP_1) | instskip(NEXT) | instid1(VALU_DEP_1)
	v_add_nc_u32_e32 v0, v1, v0
	v_lshrrev_b32_e32 v3, s2, v0
	s_delay_alu instid0(VALU_DEP_1) | instskip(NEXT) | instid1(VALU_DEP_1)
	v_mul_lo_u32 v0, v3, s0
	v_sub_nc_u32_e32 v1, v1, v0
	s_delay_alu instid0(VALU_DEP_1)
	v_mul_lo_u32 v0, v1, s4
	v_mul_lo_u32 v10, v1, s6
	;; [unrolled: 1-line block ×3, first 2 shown]
	s_cbranch_scc1 .LBB87_1638
; %bb.1636:
	s_clause 0x1
	s_load_b96 s[0:2], s[20:21], 0x10
	s_load_b96 s[4:6], s[20:21], 0xd0
	s_wait_kmcnt 0x0
	v_mul_hi_u32 v1, s1, v3
	s_delay_alu instid0(VALU_DEP_1) | instskip(NEXT) | instid1(VALU_DEP_1)
	v_add_nc_u32_e32 v1, v3, v1
	v_lshrrev_b32_e32 v1, s2, v1
	s_delay_alu instid0(VALU_DEP_1) | instskip(NEXT) | instid1(VALU_DEP_1)
	v_mul_lo_u32 v1, v1, s0
	v_sub_nc_u32_e32 v1, v3, v1
	s_delay_alu instid0(VALU_DEP_1)
	v_mad_u32 v0, v1, s4, v0
	v_mad_u32 v16, v1, s5, v16
	v_mad_u32 v10, v1, s6, v10
	s_branch .LBB87_1638
.LBB87_1637:
	v_dual_mov_b32 v10, 0 :: v_dual_mov_b32 v16, 0
	v_mov_b32_e32 v0, 0
	s_and_not1_b32 vcc_lo, exec_lo, s2
	s_cbranch_vccz .LBB87_1635
.LBB87_1638:
	s_wait_loadcnt 0x0
	v_mov_b32_e32 v9, 0
	s_load_b128 s[4:7], s[20:21], 0x188
	global_load_u8 v1, v9, s[20:21] offset:421
	s_wait_kmcnt 0x0
	v_add_nc_u64_e32 v[24:25], s[6:7], v[8:9]
	s_wait_loadcnt 0x0
	v_and_b32_e32 v3, 0xffff, v1
	v_readfirstlane_b32 s2, v1
	s_delay_alu instid0(VALU_DEP_2)
	v_cmp_gt_i32_e32 vcc_lo, 11, v3
	s_cbranch_vccnz .LBB87_1645
; %bb.1639:
	s_and_b32 s0, 0xffff, s2
	s_mov_b32 s10, 0
	s_cmp_gt_i32 s0, 25
	s_cbranch_scc0 .LBB87_1647
; %bb.1640:
	s_cmp_gt_i32 s0, 28
	s_cbranch_scc0 .LBB87_1648
; %bb.1641:
	;; [unrolled: 3-line block ×4, first 2 shown]
	s_cmp_eq_u32 s0, 46
	s_mov_b32 s9, 0
	s_cbranch_scc0 .LBB87_1653
; %bb.1644:
	global_load_b32 v1, v[24:25], off
	s_mov_b32 s1, 0
	s_mov_b32 s11, -1
	s_wait_loadcnt 0x0
	v_lshlrev_b32_e32 v1, 16, v1
	s_wait_xcnt 0x1
	s_delay_alu instid0(VALU_DEP_1)
	v_cvt_f64_f32_e32 v[8:9], v1
	s_branch .LBB87_1655
.LBB87_1645:
	s_mov_b32 s11, 0
	s_mov_b32 s9, s3
                                        ; implicit-def: $vgpr8_vgpr9
	s_cbranch_execnz .LBB87_1718
.LBB87_1646:
	s_and_not1_b32 vcc_lo, exec_lo, s11
	s_cbranch_vccz .LBB87_1763
	s_branch .LBB87_3112
.LBB87_1647:
	s_mov_b32 s11, 0
	s_mov_b32 s1, 0
                                        ; implicit-def: $vgpr8_vgpr9
	s_cbranch_execnz .LBB87_1683
	s_branch .LBB87_1714
.LBB87_1648:
	s_mov_b32 s9, -1
	s_mov_b32 s11, 0
	s_mov_b32 s1, 0
                                        ; implicit-def: $vgpr8_vgpr9
	s_branch .LBB87_1664
.LBB87_1649:
	s_mov_b32 s11, 0
	s_mov_b32 s1, 0
                                        ; implicit-def: $vgpr8_vgpr9
	s_cbranch_execnz .LBB87_1660
	s_branch .LBB87_1663
.LBB87_1650:
	s_mov_b32 s9, -1
	s_mov_b32 s11, 0
	s_mov_b32 s1, 0
	s_branch .LBB87_1654
.LBB87_1651:
	s_and_not1_saveexec_b32 s8, s8
	s_cbranch_execz .LBB87_1506
.LBB87_1652:
	v_add_f32_e32 v2, 0x46000000, v3
	s_and_not1_b32 s7, s7, exec_lo
	s_delay_alu instid0(VALU_DEP_1) | instskip(NEXT) | instid1(VALU_DEP_1)
	v_and_b32_e32 v2, 0xff, v2
	v_cmp_ne_u32_e32 vcc_lo, 0, v2
	s_and_b32 s9, vcc_lo, exec_lo
	s_delay_alu instid0(SALU_CYCLE_1)
	s_or_b32 s7, s7, s9
	s_or_b32 exec_lo, exec_lo, s8
	v_mov_b32_e32 v4, 0
	s_and_saveexec_b32 s8, s7
	s_cbranch_execnz .LBB87_1507
	s_branch .LBB87_1508
.LBB87_1653:
	s_mov_b32 s1, -1
	s_mov_b32 s11, 0
.LBB87_1654:
                                        ; implicit-def: $vgpr8_vgpr9
.LBB87_1655:
	s_and_b32 vcc_lo, exec_lo, s9
	s_cbranch_vccz .LBB87_1658
; %bb.1656:
	s_cmp_eq_u32 s0, 44
	s_cbranch_scc0 .LBB87_1659
; %bb.1657:
	global_load_u8 v1, v[24:25], off
	s_mov_b32 s1, 0
	s_mov_b32 s11, -1
	s_wait_loadcnt 0x0
	v_lshlrev_b32_e32 v3, 23, v1
	v_cmp_ne_u32_e32 vcc_lo, 0xff, v1
	s_wait_xcnt 0x1
	s_delay_alu instid0(VALU_DEP_2) | instskip(NEXT) | instid1(VALU_DEP_1)
	v_cvt_f64_f32_e32 v[8:9], v3
	v_cndmask_b32_e32 v3, 0x20000000, v8, vcc_lo
	s_delay_alu instid0(VALU_DEP_2) | instskip(SKIP_1) | instid1(VALU_DEP_2)
	v_cndmask_b32_e32 v5, 0x7ff80000, v9, vcc_lo
	v_cmp_ne_u32_e32 vcc_lo, 0, v1
	v_cndmask_b32_e32 v9, 0x38000000, v5, vcc_lo
	s_delay_alu instid0(VALU_DEP_4)
	v_cndmask_b32_e32 v8, 0, v3, vcc_lo
.LBB87_1658:
	s_branch .LBB87_1663
.LBB87_1659:
	s_mov_b32 s1, -1
                                        ; implicit-def: $vgpr8_vgpr9
	s_branch .LBB87_1663
.LBB87_1660:
	s_cmp_eq_u32 s0, 29
	s_cbranch_scc0 .LBB87_1662
; %bb.1661:
	global_load_b64 v[8:9], v[24:25], off
	s_mov_b32 s1, 0
	s_mov_b32 s11, -1
	s_mov_b32 s9, 0
	s_wait_loadcnt 0x0
	v_cvt_f64_u32_e32 v[26:27], v9
	v_cvt_f64_u32_e32 v[8:9], v8
	s_delay_alu instid0(VALU_DEP_2) | instskip(NEXT) | instid1(VALU_DEP_1)
	v_ldexp_f64 v[26:27], v[26:27], 32
	v_add_f64_e32 v[8:9], v[26:27], v[8:9]
	s_branch .LBB87_1664
.LBB87_1662:
	s_mov_b32 s1, -1
                                        ; implicit-def: $vgpr8_vgpr9
.LBB87_1663:
	s_mov_b32 s9, 0
.LBB87_1664:
	s_delay_alu instid0(SALU_CYCLE_1)
	s_and_b32 vcc_lo, exec_lo, s9
	s_cbranch_vccz .LBB87_1682
; %bb.1665:
	s_cmp_lt_i32 s0, 27
	s_cbranch_scc1 .LBB87_1668
; %bb.1666:
	s_cmp_gt_i32 s0, 27
	s_cbranch_scc0 .LBB87_1669
; %bb.1667:
	global_load_b32 v1, v[24:25], off
	s_mov_b32 s9, 0
	s_wait_loadcnt 0x0
	s_wait_xcnt 0x1
	v_cvt_f64_u32_e32 v[8:9], v1
	s_branch .LBB87_1670
.LBB87_1668:
	s_mov_b32 s9, -1
                                        ; implicit-def: $vgpr8_vgpr9
	s_branch .LBB87_1673
.LBB87_1669:
	s_mov_b32 s9, -1
                                        ; implicit-def: $vgpr8_vgpr9
.LBB87_1670:
	s_delay_alu instid0(SALU_CYCLE_1)
	s_and_not1_b32 vcc_lo, exec_lo, s9
	s_cbranch_vccnz .LBB87_1672
; %bb.1671:
	global_load_u16 v1, v[24:25], off
	s_wait_loadcnt 0x0
	s_wait_xcnt 0x1
	v_cvt_f64_u32_e32 v[8:9], v1
.LBB87_1672:
	s_mov_b32 s9, 0
.LBB87_1673:
	s_delay_alu instid0(SALU_CYCLE_1)
	s_and_not1_b32 vcc_lo, exec_lo, s9
	s_cbranch_vccnz .LBB87_1681
; %bb.1674:
	global_load_u8 v1, v[24:25], off
	s_mov_b32 s9, 0
	s_mov_b32 s11, exec_lo
	s_wait_loadcnt 0x0
	v_cmpx_lt_i16_e32 0x7f, v1
	s_xor_b32 s11, exec_lo, s11
	s_cbranch_execz .LBB87_1694
; %bb.1675:
	s_mov_b32 s9, -1
	s_mov_b32 s12, exec_lo
	v_cmpx_eq_u16_e32 0x80, v1
; %bb.1676:
	s_xor_b32 s9, exec_lo, -1
; %bb.1677:
	s_or_b32 exec_lo, exec_lo, s12
	s_delay_alu instid0(SALU_CYCLE_1)
	s_and_b32 s9, s9, exec_lo
	s_or_saveexec_b32 s11, s11
	v_mov_b64_e32 v[8:9], 0x7ff8000020000000
	s_xor_b32 exec_lo, exec_lo, s11
	s_cbranch_execnz .LBB87_1695
.LBB87_1678:
	s_or_b32 exec_lo, exec_lo, s11
	s_and_saveexec_b32 s11, s9
	s_cbranch_execz .LBB87_1680
.LBB87_1679:
	v_and_b32_e32 v3, 0xffff, v1
	s_delay_alu instid0(VALU_DEP_1) | instskip(SKIP_1) | instid1(VALU_DEP_2)
	v_dual_lshlrev_b32 v1, 24, v1 :: v_dual_bitop2_b32 v5, 7, v3 bitop3:0x40
	v_bfe_u32 v9, v3, 3, 4
	v_and_b32_e32 v1, 0x80000000, v1
	s_delay_alu instid0(VALU_DEP_3) | instskip(NEXT) | instid1(VALU_DEP_3)
	v_clz_i32_u32_e32 v7, v5
	v_cmp_eq_u32_e32 vcc_lo, 0, v9
	s_delay_alu instid0(VALU_DEP_2) | instskip(NEXT) | instid1(VALU_DEP_1)
	v_min_u32_e32 v7, 32, v7
	v_subrev_nc_u32_e32 v8, 28, v7
	v_sub_nc_u32_e32 v7, 29, v7
	s_delay_alu instid0(VALU_DEP_2) | instskip(NEXT) | instid1(VALU_DEP_2)
	v_lshlrev_b32_e32 v3, v8, v3
	v_cndmask_b32_e32 v7, v9, v7, vcc_lo
	s_delay_alu instid0(VALU_DEP_2) | instskip(NEXT) | instid1(VALU_DEP_1)
	v_and_b32_e32 v3, 7, v3
	v_cndmask_b32_e32 v3, v5, v3, vcc_lo
	s_delay_alu instid0(VALU_DEP_3) | instskip(NEXT) | instid1(VALU_DEP_2)
	v_lshl_add_u32 v5, v7, 23, 0x3b800000
	v_lshlrev_b32_e32 v3, 20, v3
	s_delay_alu instid0(VALU_DEP_1) | instskip(NEXT) | instid1(VALU_DEP_1)
	v_or3_b32 v1, v1, v5, v3
	v_cvt_f64_f32_e32 v[8:9], v1
.LBB87_1680:
	s_or_b32 exec_lo, exec_lo, s11
.LBB87_1681:
	s_mov_b32 s11, -1
.LBB87_1682:
	s_branch .LBB87_1714
.LBB87_1683:
	s_cmp_gt_i32 s0, 22
	s_cbranch_scc0 .LBB87_1693
; %bb.1684:
	s_cmp_lt_i32 s0, 24
	s_cbranch_scc1 .LBB87_1696
; %bb.1685:
	s_cmp_gt_i32 s0, 24
	s_cbranch_scc0 .LBB87_1697
; %bb.1686:
	global_load_u8 v1, v[24:25], off
	s_mov_b32 s9, 0
	s_mov_b32 s10, exec_lo
	s_wait_loadcnt 0x0
	v_cmpx_lt_i16_e32 0x7f, v1
	s_xor_b32 s10, exec_lo, s10
	s_cbranch_execz .LBB87_1708
; %bb.1687:
	s_mov_b32 s9, -1
	s_mov_b32 s11, exec_lo
	v_cmpx_eq_u16_e32 0x80, v1
; %bb.1688:
	s_xor_b32 s9, exec_lo, -1
; %bb.1689:
	s_or_b32 exec_lo, exec_lo, s11
	s_delay_alu instid0(SALU_CYCLE_1)
	s_and_b32 s9, s9, exec_lo
	s_or_saveexec_b32 s10, s10
	v_mov_b64_e32 v[8:9], 0x7ff8000020000000
	s_xor_b32 exec_lo, exec_lo, s10
	s_cbranch_execnz .LBB87_1709
.LBB87_1690:
	s_or_b32 exec_lo, exec_lo, s10
	s_and_saveexec_b32 s10, s9
	s_cbranch_execz .LBB87_1692
.LBB87_1691:
	v_and_b32_e32 v3, 0xffff, v1
	s_delay_alu instid0(VALU_DEP_1) | instskip(SKIP_1) | instid1(VALU_DEP_2)
	v_dual_lshlrev_b32 v1, 24, v1 :: v_dual_bitop2_b32 v5, 3, v3 bitop3:0x40
	v_bfe_u32 v9, v3, 2, 5
	v_and_b32_e32 v1, 0x80000000, v1
	s_delay_alu instid0(VALU_DEP_3) | instskip(NEXT) | instid1(VALU_DEP_3)
	v_clz_i32_u32_e32 v7, v5
	v_cmp_eq_u32_e32 vcc_lo, 0, v9
	s_delay_alu instid0(VALU_DEP_2) | instskip(NEXT) | instid1(VALU_DEP_1)
	v_min_u32_e32 v7, 32, v7
	v_subrev_nc_u32_e32 v8, 29, v7
	v_sub_nc_u32_e32 v7, 30, v7
	s_delay_alu instid0(VALU_DEP_2) | instskip(NEXT) | instid1(VALU_DEP_2)
	v_lshlrev_b32_e32 v3, v8, v3
	v_cndmask_b32_e32 v7, v9, v7, vcc_lo
	s_delay_alu instid0(VALU_DEP_2) | instskip(NEXT) | instid1(VALU_DEP_1)
	v_and_b32_e32 v3, 3, v3
	v_cndmask_b32_e32 v3, v5, v3, vcc_lo
	s_delay_alu instid0(VALU_DEP_3) | instskip(NEXT) | instid1(VALU_DEP_2)
	v_lshl_add_u32 v5, v7, 23, 0x37800000
	v_lshlrev_b32_e32 v3, 21, v3
	s_delay_alu instid0(VALU_DEP_1) | instskip(NEXT) | instid1(VALU_DEP_1)
	v_or3_b32 v1, v1, v5, v3
	v_cvt_f64_f32_e32 v[8:9], v1
.LBB87_1692:
	s_or_b32 exec_lo, exec_lo, s10
	s_mov_b32 s9, 0
	s_branch .LBB87_1698
.LBB87_1693:
                                        ; implicit-def: $vgpr8_vgpr9
	s_mov_b32 s10, 0
	s_branch .LBB87_1704
.LBB87_1694:
	s_or_saveexec_b32 s11, s11
	v_mov_b64_e32 v[8:9], 0x7ff8000020000000
	s_xor_b32 exec_lo, exec_lo, s11
	s_cbranch_execz .LBB87_1678
.LBB87_1695:
	v_cmp_ne_u16_e32 vcc_lo, 0, v1
	v_mov_b64_e32 v[8:9], 0
	s_and_not1_b32 s9, s9, exec_lo
	s_and_b32 s12, vcc_lo, exec_lo
	s_delay_alu instid0(SALU_CYCLE_1)
	s_or_b32 s9, s9, s12
	s_or_b32 exec_lo, exec_lo, s11
	s_and_saveexec_b32 s11, s9
	s_cbranch_execnz .LBB87_1679
	s_branch .LBB87_1680
.LBB87_1696:
	s_mov_b32 s9, -1
                                        ; implicit-def: $vgpr8_vgpr9
	s_branch .LBB87_1701
.LBB87_1697:
	s_mov_b32 s9, -1
                                        ; implicit-def: $vgpr8_vgpr9
.LBB87_1698:
	s_delay_alu instid0(SALU_CYCLE_1)
	s_and_b32 vcc_lo, exec_lo, s9
	s_cbranch_vccz .LBB87_1700
; %bb.1699:
	global_load_u8 v1, v[24:25], off
	s_wait_loadcnt 0x0
	v_lshlrev_b32_e32 v1, 24, v1
	s_delay_alu instid0(VALU_DEP_1) | instskip(NEXT) | instid1(VALU_DEP_1)
	v_and_b32_e32 v3, 0x7f000000, v1
	v_clz_i32_u32_e32 v5, v3
	v_cmp_ne_u32_e32 vcc_lo, 0, v3
	v_add_nc_u32_e32 v8, 0x1000000, v3
	s_delay_alu instid0(VALU_DEP_3) | instskip(NEXT) | instid1(VALU_DEP_1)
	v_min_u32_e32 v5, 32, v5
	v_sub_nc_u32_e64 v5, v5, 4 clamp
	s_delay_alu instid0(VALU_DEP_1) | instskip(NEXT) | instid1(VALU_DEP_1)
	v_dual_lshlrev_b32 v7, v5, v3 :: v_dual_lshlrev_b32 v5, 23, v5
	v_lshrrev_b32_e32 v7, 4, v7
	s_delay_alu instid0(VALU_DEP_1) | instskip(NEXT) | instid1(VALU_DEP_1)
	v_dual_sub_nc_u32 v5, v7, v5 :: v_dual_ashrrev_i32 v7, 8, v8
	v_add_nc_u32_e32 v5, 0x3c000000, v5
	s_delay_alu instid0(VALU_DEP_1) | instskip(NEXT) | instid1(VALU_DEP_1)
	v_and_or_b32 v5, 0x7f800000, v7, v5
	v_cndmask_b32_e32 v3, 0, v5, vcc_lo
	s_delay_alu instid0(VALU_DEP_1) | instskip(SKIP_1) | instid1(VALU_DEP_1)
	v_and_or_b32 v1, 0x80000000, v1, v3
	s_wait_xcnt 0x1
	v_cvt_f64_f32_e32 v[8:9], v1
.LBB87_1700:
	s_mov_b32 s9, 0
.LBB87_1701:
	s_delay_alu instid0(SALU_CYCLE_1)
	s_and_not1_b32 vcc_lo, exec_lo, s9
	s_cbranch_vccnz .LBB87_1703
; %bb.1702:
	global_load_u8 v1, v[24:25], off
	s_wait_loadcnt 0x0
	v_lshlrev_b32_e32 v3, 25, v1
	v_lshlrev_b16 v1, 8, v1
	s_delay_alu instid0(VALU_DEP_1) | instskip(SKIP_1) | instid1(VALU_DEP_2)
	v_and_or_b32 v7, 0x7f00, v1, 0.5
	v_bfe_i32 v1, v1, 0, 16
	v_add_f32_e32 v7, -0.5, v7
	v_lshrrev_b32_e32 v5, 4, v3
	v_cmp_gt_u32_e32 vcc_lo, 0x8000000, v3
	s_delay_alu instid0(VALU_DEP_2) | instskip(NEXT) | instid1(VALU_DEP_1)
	v_or_b32_e32 v5, 0x70000000, v5
	v_mul_f32_e32 v5, 0x7800000, v5
	s_delay_alu instid0(VALU_DEP_1) | instskip(NEXT) | instid1(VALU_DEP_1)
	v_cndmask_b32_e32 v3, v5, v7, vcc_lo
	v_and_or_b32 v1, 0x80000000, v1, v3
	s_wait_xcnt 0x1
	s_delay_alu instid0(VALU_DEP_1)
	v_cvt_f64_f32_e32 v[8:9], v1
.LBB87_1703:
	s_mov_b32 s11, -1
	s_mov_b32 s10, 0
	s_cbranch_execnz .LBB87_1714
.LBB87_1704:
	s_cmp_gt_i32 s0, 14
	s_cbranch_scc0 .LBB87_1707
; %bb.1705:
	s_cmp_eq_u32 s0, 15
	s_cbranch_scc0 .LBB87_1710
; %bb.1706:
	global_load_u16 v1, v[24:25], off
	s_mov_b32 s1, 0
	s_mov_b32 s11, -1
	s_wait_loadcnt 0x0
	v_lshlrev_b32_e32 v1, 16, v1
	s_wait_xcnt 0x1
	s_delay_alu instid0(VALU_DEP_1)
	v_cvt_f64_f32_e32 v[8:9], v1
	s_branch .LBB87_1711
.LBB87_1707:
	s_mov_b32 s9, -1
                                        ; implicit-def: $vgpr8_vgpr9
	s_branch .LBB87_1712
.LBB87_1708:
	s_or_saveexec_b32 s10, s10
	v_mov_b64_e32 v[8:9], 0x7ff8000020000000
	s_xor_b32 exec_lo, exec_lo, s10
	s_cbranch_execz .LBB87_1690
.LBB87_1709:
	v_cmp_ne_u16_e32 vcc_lo, 0, v1
	v_mov_b64_e32 v[8:9], 0
	s_and_not1_b32 s9, s9, exec_lo
	s_and_b32 s11, vcc_lo, exec_lo
	s_delay_alu instid0(SALU_CYCLE_1)
	s_or_b32 s9, s9, s11
	s_or_b32 exec_lo, exec_lo, s10
	s_and_saveexec_b32 s10, s9
	s_cbranch_execnz .LBB87_1691
	s_branch .LBB87_1692
.LBB87_1710:
	s_mov_b32 s1, -1
                                        ; implicit-def: $vgpr8_vgpr9
.LBB87_1711:
	s_mov_b32 s9, 0
.LBB87_1712:
	s_delay_alu instid0(SALU_CYCLE_1)
	s_and_b32 vcc_lo, exec_lo, s9
	s_cbranch_vccz .LBB87_1714
; %bb.1713:
	s_cmp_lg_u32 s0, 11
	s_mov_b32 s10, -1
	s_cselect_b32 s1, -1, 0
.LBB87_1714:
	s_delay_alu instid0(SALU_CYCLE_1)
	s_and_b32 vcc_lo, exec_lo, s1
	s_mov_b32 s9, s3
	s_cbranch_vccnz .LBB87_1775
; %bb.1715:
	s_and_not1_b32 vcc_lo, exec_lo, s10
	s_cbranch_vccnz .LBB87_1717
.LBB87_1716:
	global_load_u8 v1, v[24:25], off
	v_mov_b32_e32 v8, 0
	s_mov_b32 s11, -1
	s_wait_loadcnt 0x0
	v_cmp_ne_u16_e32 vcc_lo, 0, v1
	s_wait_xcnt 0x1
	v_cndmask_b32_e64 v9, 0, 0x3ff00000, vcc_lo
.LBB87_1717:
	s_branch .LBB87_1646
.LBB87_1718:
	s_and_b32 s0, 0xffff, s2
	s_delay_alu instid0(SALU_CYCLE_1)
	s_cmp_lt_i32 s0, 5
	s_cbranch_scc1 .LBB87_1723
; %bb.1719:
	s_cmp_lt_i32 s0, 8
	s_cbranch_scc1 .LBB87_1724
; %bb.1720:
	;; [unrolled: 3-line block ×3, first 2 shown]
	s_cmp_gt_i32 s0, 9
	s_cbranch_scc0 .LBB87_1726
; %bb.1722:
	global_load_b64 v[8:9], v[24:25], off
	s_mov_b32 s1, 0
	s_branch .LBB87_1727
.LBB87_1723:
                                        ; implicit-def: $vgpr8_vgpr9
	s_branch .LBB87_1744
.LBB87_1724:
                                        ; implicit-def: $vgpr8_vgpr9
	s_branch .LBB87_1733
.LBB87_1725:
	s_mov_b32 s1, -1
                                        ; implicit-def: $vgpr8_vgpr9
	s_branch .LBB87_1730
.LBB87_1726:
	s_mov_b32 s1, -1
                                        ; implicit-def: $vgpr8_vgpr9
.LBB87_1727:
	s_delay_alu instid0(SALU_CYCLE_1)
	s_and_not1_b32 vcc_lo, exec_lo, s1
	s_cbranch_vccnz .LBB87_1729
; %bb.1728:
	global_load_b32 v1, v[24:25], off
	s_wait_loadcnt 0x0
	s_wait_xcnt 0x1
	v_cvt_f64_f32_e32 v[8:9], v1
.LBB87_1729:
	s_mov_b32 s1, 0
.LBB87_1730:
	s_delay_alu instid0(SALU_CYCLE_1)
	s_and_not1_b32 vcc_lo, exec_lo, s1
	s_cbranch_vccnz .LBB87_1732
; %bb.1731:
	global_load_b32 v1, v[24:25], off
	s_wait_loadcnt 0x0
	v_cvt_f32_f16_e32 v1, v1
	s_wait_xcnt 0x1
	s_delay_alu instid0(VALU_DEP_1)
	v_cvt_f64_f32_e32 v[8:9], v1
.LBB87_1732:
	s_cbranch_execnz .LBB87_1743
.LBB87_1733:
	s_cmp_lt_i32 s0, 6
	s_cbranch_scc1 .LBB87_1736
; %bb.1734:
	s_cmp_gt_i32 s0, 6
	s_cbranch_scc0 .LBB87_1737
; %bb.1735:
	s_wait_loadcnt 0x0
	global_load_b64 v[8:9], v[24:25], off
	s_mov_b32 s1, 0
	s_branch .LBB87_1738
.LBB87_1736:
	s_mov_b32 s1, -1
                                        ; implicit-def: $vgpr8_vgpr9
	s_branch .LBB87_1741
.LBB87_1737:
	s_mov_b32 s1, -1
                                        ; implicit-def: $vgpr8_vgpr9
.LBB87_1738:
	s_delay_alu instid0(SALU_CYCLE_1)
	s_and_not1_b32 vcc_lo, exec_lo, s1
	s_cbranch_vccnz .LBB87_1740
; %bb.1739:
	global_load_b32 v1, v[24:25], off
	s_wait_loadcnt 0x0
	s_wait_xcnt 0x1
	v_cvt_f64_f32_e32 v[8:9], v1
.LBB87_1740:
	s_mov_b32 s1, 0
.LBB87_1741:
	s_delay_alu instid0(SALU_CYCLE_1)
	s_and_not1_b32 vcc_lo, exec_lo, s1
	s_cbranch_vccnz .LBB87_1743
; %bb.1742:
	global_load_u16 v1, v[24:25], off
	s_wait_loadcnt 0x0
	v_cvt_f32_f16_e32 v1, v1
	s_wait_xcnt 0x1
	s_delay_alu instid0(VALU_DEP_1)
	v_cvt_f64_f32_e32 v[8:9], v1
.LBB87_1743:
	s_cbranch_execnz .LBB87_1762
.LBB87_1744:
	s_cmp_lt_i32 s0, 2
	s_cbranch_scc1 .LBB87_1748
; %bb.1745:
	s_cmp_lt_i32 s0, 3
	s_cbranch_scc1 .LBB87_1749
; %bb.1746:
	s_cmp_gt_i32 s0, 3
	s_cbranch_scc0 .LBB87_1750
; %bb.1747:
	s_wait_loadcnt 0x0
	global_load_b64 v[8:9], v[24:25], off
	s_mov_b32 s1, 0
	s_wait_loadcnt 0x0
	v_cvt_f64_i32_e32 v[26:27], v9
	v_cvt_f64_u32_e32 v[8:9], v8
	s_delay_alu instid0(VALU_DEP_2) | instskip(NEXT) | instid1(VALU_DEP_1)
	v_ldexp_f64 v[26:27], v[26:27], 32
	v_add_f64_e32 v[8:9], v[26:27], v[8:9]
	s_branch .LBB87_1751
.LBB87_1748:
                                        ; implicit-def: $vgpr8_vgpr9
	s_branch .LBB87_1757
.LBB87_1749:
	s_mov_b32 s1, -1
                                        ; implicit-def: $vgpr8_vgpr9
	s_branch .LBB87_1754
.LBB87_1750:
	s_mov_b32 s1, -1
                                        ; implicit-def: $vgpr8_vgpr9
.LBB87_1751:
	s_delay_alu instid0(SALU_CYCLE_1)
	s_and_not1_b32 vcc_lo, exec_lo, s1
	s_cbranch_vccnz .LBB87_1753
; %bb.1752:
	global_load_b32 v1, v[24:25], off
	s_wait_loadcnt 0x0
	s_wait_xcnt 0x1
	v_cvt_f64_i32_e32 v[8:9], v1
.LBB87_1753:
	s_mov_b32 s1, 0
.LBB87_1754:
	s_delay_alu instid0(SALU_CYCLE_1)
	s_and_not1_b32 vcc_lo, exec_lo, s1
	s_cbranch_vccnz .LBB87_1756
; %bb.1755:
	global_load_i16 v1, v[24:25], off
	s_wait_loadcnt 0x0
	s_wait_xcnt 0x1
	v_cvt_f64_i32_e32 v[8:9], v1
.LBB87_1756:
	s_cbranch_execnz .LBB87_1762
.LBB87_1757:
	s_cmp_gt_i32 s0, 0
	s_mov_b32 s0, 0
	s_cbranch_scc0 .LBB87_1759
; %bb.1758:
	global_load_i8 v1, v[24:25], off
	s_wait_loadcnt 0x0
	s_wait_xcnt 0x1
	v_cvt_f64_i32_e32 v[8:9], v1
	s_branch .LBB87_1760
.LBB87_1759:
	s_mov_b32 s0, -1
                                        ; implicit-def: $vgpr8_vgpr9
.LBB87_1760:
	s_delay_alu instid0(SALU_CYCLE_1)
	s_and_not1_b32 vcc_lo, exec_lo, s0
	s_cbranch_vccnz .LBB87_1762
; %bb.1761:
	global_load_u8 v1, v[24:25], off
	s_wait_loadcnt 0x0
	s_wait_xcnt 0x1
	v_cvt_f64_u32_e32 v[8:9], v1
.LBB87_1762:
.LBB87_1763:
	v_mov_b32_e32 v13, 0
	s_load_b64 s[0:1], s[20:21], 0x198
	global_load_u8 v1, v13, s[20:21] offset:422
	s_wait_kmcnt 0x0
	v_add_nc_u64_e32 v[24:25], s[0:1], v[12:13]
	s_wait_loadcnt 0x0
	v_and_b32_e32 v3, 0xffff, v1
	v_readfirstlane_b32 s10, v1
	s_delay_alu instid0(VALU_DEP_2)
	v_cmp_gt_i32_e32 vcc_lo, 11, v3
	s_cbranch_vccnz .LBB87_1770
; %bb.1764:
	s_and_b32 s11, 0xffff, s10
	s_mov_b32 s13, 0
	s_cmp_gt_i32 s11, 25
	s_cbranch_scc0 .LBB87_1772
; %bb.1765:
	s_cmp_gt_i32 s11, 28
	s_cbranch_scc0 .LBB87_1773
; %bb.1766:
	;; [unrolled: 3-line block ×4, first 2 shown]
	s_cmp_eq_u32 s11, 46
	s_mov_b32 s15, 0
	s_cbranch_scc0 .LBB87_1779
; %bb.1769:
	global_load_b32 v1, v[24:25], off
	s_mov_b32 s12, 0
	s_mov_b32 s14, -1
	s_wait_loadcnt 0x0
	v_lshlrev_b32_e32 v1, 16, v1
	s_wait_xcnt 0x1
	s_delay_alu instid0(VALU_DEP_1)
	v_cvt_f64_f32_e32 v[12:13], v1
	s_branch .LBB87_1781
.LBB87_1770:
	s_mov_b32 s14, 0
                                        ; implicit-def: $vgpr12_vgpr13
	s_cbranch_execnz .LBB87_1846
.LBB87_1771:
	s_and_not1_b32 vcc_lo, exec_lo, s14
	s_cbranch_vccnz .LBB87_3112
	s_branch .LBB87_1893
.LBB87_1772:
	s_mov_b32 s14, 0
	s_mov_b32 s12, 0
                                        ; implicit-def: $vgpr12_vgpr13
	s_cbranch_execnz .LBB87_1810
	s_branch .LBB87_1842
.LBB87_1773:
	s_mov_b32 s15, -1
	s_mov_b32 s14, 0
	s_mov_b32 s12, 0
                                        ; implicit-def: $vgpr12_vgpr13
	s_branch .LBB87_1791
.LBB87_1774:
	s_mov_b32 s15, -1
	s_mov_b32 s14, 0
	s_mov_b32 s12, 0
                                        ; implicit-def: $vgpr12_vgpr13
	s_branch .LBB87_1786
.LBB87_1775:
	s_or_b32 s9, s3, exec_lo
	s_trap 2
	s_cbranch_execz .LBB87_1716
	s_branch .LBB87_1717
.LBB87_1776:
	s_mov_b32 s15, -1
	s_mov_b32 s14, 0
	s_mov_b32 s12, 0
	s_branch .LBB87_1780
.LBB87_1777:
	s_and_not1_saveexec_b32 s9, s9
	s_cbranch_execz .LBB87_1518
.LBB87_1778:
	v_add_f32_e32 v2, 0x42800000, v3
	s_and_not1_b32 s8, s8, exec_lo
	s_delay_alu instid0(VALU_DEP_1) | instskip(NEXT) | instid1(VALU_DEP_1)
	v_and_b32_e32 v2, 0xff, v2
	v_cmp_ne_u32_e32 vcc_lo, 0, v2
	s_and_b32 s11, vcc_lo, exec_lo
	s_delay_alu instid0(SALU_CYCLE_1)
	s_or_b32 s8, s8, s11
	s_or_b32 exec_lo, exec_lo, s9
	v_mov_b32_e32 v4, 0
	s_and_saveexec_b32 s9, s8
	s_cbranch_execnz .LBB87_1519
	s_branch .LBB87_1520
.LBB87_1779:
	s_mov_b32 s12, -1
	s_mov_b32 s14, 0
.LBB87_1780:
                                        ; implicit-def: $vgpr12_vgpr13
.LBB87_1781:
	s_and_b32 vcc_lo, exec_lo, s15
	s_cbranch_vccz .LBB87_1785
; %bb.1782:
	s_cmp_eq_u32 s11, 44
	s_cbranch_scc0 .LBB87_1784
; %bb.1783:
	global_load_u8 v1, v[24:25], off
	s_mov_b32 s12, 0
	s_mov_b32 s14, -1
	s_wait_loadcnt 0x0
	v_lshlrev_b32_e32 v3, 23, v1
	v_cmp_ne_u32_e32 vcc_lo, 0xff, v1
	s_wait_xcnt 0x1
	s_delay_alu instid0(VALU_DEP_2) | instskip(NEXT) | instid1(VALU_DEP_1)
	v_cvt_f64_f32_e32 v[12:13], v3
	v_cndmask_b32_e32 v3, 0x20000000, v12, vcc_lo
	s_delay_alu instid0(VALU_DEP_2) | instskip(SKIP_1) | instid1(VALU_DEP_2)
	v_cndmask_b32_e32 v5, 0x7ff80000, v13, vcc_lo
	v_cmp_ne_u32_e32 vcc_lo, 0, v1
	v_cndmask_b32_e32 v13, 0x38000000, v5, vcc_lo
	s_delay_alu instid0(VALU_DEP_4)
	v_cndmask_b32_e32 v12, 0, v3, vcc_lo
	s_branch .LBB87_1785
.LBB87_1784:
	s_mov_b32 s12, -1
                                        ; implicit-def: $vgpr12_vgpr13
.LBB87_1785:
	s_mov_b32 s15, 0
.LBB87_1786:
	s_delay_alu instid0(SALU_CYCLE_1)
	s_and_b32 vcc_lo, exec_lo, s15
	s_cbranch_vccz .LBB87_1790
; %bb.1787:
	s_cmp_eq_u32 s11, 29
	s_cbranch_scc0 .LBB87_1789
; %bb.1788:
	global_load_b64 v[12:13], v[24:25], off
	s_mov_b32 s12, 0
	s_mov_b32 s14, -1
	s_mov_b32 s15, 0
	s_wait_loadcnt 0x0
	v_cvt_f64_u32_e32 v[26:27], v13
	v_cvt_f64_u32_e32 v[12:13], v12
	s_delay_alu instid0(VALU_DEP_2) | instskip(NEXT) | instid1(VALU_DEP_1)
	v_ldexp_f64 v[26:27], v[26:27], 32
	v_add_f64_e32 v[12:13], v[26:27], v[12:13]
	s_branch .LBB87_1791
.LBB87_1789:
	s_mov_b32 s12, -1
                                        ; implicit-def: $vgpr12_vgpr13
.LBB87_1790:
	s_mov_b32 s15, 0
.LBB87_1791:
	s_delay_alu instid0(SALU_CYCLE_1)
	s_and_b32 vcc_lo, exec_lo, s15
	s_cbranch_vccz .LBB87_1809
; %bb.1792:
	s_cmp_lt_i32 s11, 27
	s_cbranch_scc1 .LBB87_1795
; %bb.1793:
	s_cmp_gt_i32 s11, 27
	s_cbranch_scc0 .LBB87_1796
; %bb.1794:
	global_load_b32 v1, v[24:25], off
	s_mov_b32 s14, 0
	s_wait_loadcnt 0x0
	s_wait_xcnt 0x1
	v_cvt_f64_u32_e32 v[12:13], v1
	s_branch .LBB87_1797
.LBB87_1795:
	s_mov_b32 s14, -1
                                        ; implicit-def: $vgpr12_vgpr13
	s_branch .LBB87_1800
.LBB87_1796:
	s_mov_b32 s14, -1
                                        ; implicit-def: $vgpr12_vgpr13
.LBB87_1797:
	s_delay_alu instid0(SALU_CYCLE_1)
	s_and_not1_b32 vcc_lo, exec_lo, s14
	s_cbranch_vccnz .LBB87_1799
; %bb.1798:
	global_load_u16 v1, v[24:25], off
	s_wait_loadcnt 0x0
	s_wait_xcnt 0x1
	v_cvt_f64_u32_e32 v[12:13], v1
.LBB87_1799:
	s_mov_b32 s14, 0
.LBB87_1800:
	s_delay_alu instid0(SALU_CYCLE_1)
	s_and_not1_b32 vcc_lo, exec_lo, s14
	s_cbranch_vccnz .LBB87_1808
; %bb.1801:
	global_load_u8 v1, v[24:25], off
	s_mov_b32 s14, 0
	s_mov_b32 s15, exec_lo
	s_wait_loadcnt 0x0
	v_cmpx_lt_i16_e32 0x7f, v1
	s_xor_b32 s15, exec_lo, s15
	s_cbranch_execz .LBB87_1821
; %bb.1802:
	s_mov_b32 s14, -1
	s_mov_b32 s16, exec_lo
	v_cmpx_eq_u16_e32 0x80, v1
; %bb.1803:
	s_xor_b32 s14, exec_lo, -1
; %bb.1804:
	s_or_b32 exec_lo, exec_lo, s16
	s_delay_alu instid0(SALU_CYCLE_1)
	s_and_b32 s14, s14, exec_lo
	s_or_saveexec_b32 s15, s15
	v_mov_b64_e32 v[12:13], 0x7ff8000020000000
	s_xor_b32 exec_lo, exec_lo, s15
	s_cbranch_execnz .LBB87_1822
.LBB87_1805:
	s_or_b32 exec_lo, exec_lo, s15
	s_and_saveexec_b32 s15, s14
	s_cbranch_execz .LBB87_1807
.LBB87_1806:
	v_and_b32_e32 v3, 0xffff, v1
	s_delay_alu instid0(VALU_DEP_1) | instskip(SKIP_1) | instid1(VALU_DEP_2)
	v_dual_lshlrev_b32 v1, 24, v1 :: v_dual_bitop2_b32 v5, 7, v3 bitop3:0x40
	v_bfe_u32 v12, v3, 3, 4
	v_and_b32_e32 v1, 0x80000000, v1
	s_delay_alu instid0(VALU_DEP_3) | instskip(NEXT) | instid1(VALU_DEP_3)
	v_clz_i32_u32_e32 v7, v5
	v_cmp_eq_u32_e32 vcc_lo, 0, v12
	s_delay_alu instid0(VALU_DEP_2) | instskip(NEXT) | instid1(VALU_DEP_1)
	v_min_u32_e32 v7, 32, v7
	v_subrev_nc_u32_e32 v11, 28, v7
	v_sub_nc_u32_e32 v7, 29, v7
	s_delay_alu instid0(VALU_DEP_2) | instskip(NEXT) | instid1(VALU_DEP_2)
	v_lshlrev_b32_e32 v3, v11, v3
	v_cndmask_b32_e32 v7, v12, v7, vcc_lo
	s_delay_alu instid0(VALU_DEP_2) | instskip(NEXT) | instid1(VALU_DEP_1)
	v_and_b32_e32 v3, 7, v3
	v_cndmask_b32_e32 v3, v5, v3, vcc_lo
	s_delay_alu instid0(VALU_DEP_3) | instskip(NEXT) | instid1(VALU_DEP_2)
	v_lshl_add_u32 v5, v7, 23, 0x3b800000
	v_lshlrev_b32_e32 v3, 20, v3
	s_delay_alu instid0(VALU_DEP_1) | instskip(NEXT) | instid1(VALU_DEP_1)
	v_or3_b32 v1, v1, v5, v3
	v_cvt_f64_f32_e32 v[12:13], v1
.LBB87_1807:
	s_or_b32 exec_lo, exec_lo, s15
.LBB87_1808:
	s_mov_b32 s14, -1
.LBB87_1809:
	s_branch .LBB87_1842
.LBB87_1810:
	s_cmp_gt_i32 s11, 22
	s_cbranch_scc0 .LBB87_1820
; %bb.1811:
	s_cmp_lt_i32 s11, 24
	s_cbranch_scc1 .LBB87_1823
; %bb.1812:
	s_cmp_gt_i32 s11, 24
	s_cbranch_scc0 .LBB87_1824
; %bb.1813:
	global_load_u8 v1, v[24:25], off
	s_mov_b32 s14, exec_lo
	s_wait_loadcnt 0x0
	v_cmpx_lt_i16_e32 0x7f, v1
	s_xor_b32 s14, exec_lo, s14
	s_cbranch_execz .LBB87_1836
; %bb.1814:
	s_mov_b32 s13, -1
	s_mov_b32 s15, exec_lo
	v_cmpx_eq_u16_e32 0x80, v1
; %bb.1815:
	s_xor_b32 s13, exec_lo, -1
; %bb.1816:
	s_or_b32 exec_lo, exec_lo, s15
	s_delay_alu instid0(SALU_CYCLE_1)
	s_and_b32 s13, s13, exec_lo
	s_or_saveexec_b32 s14, s14
	v_mov_b64_e32 v[12:13], 0x7ff8000020000000
	s_xor_b32 exec_lo, exec_lo, s14
	s_cbranch_execnz .LBB87_1837
.LBB87_1817:
	s_or_b32 exec_lo, exec_lo, s14
	s_and_saveexec_b32 s14, s13
	s_cbranch_execz .LBB87_1819
.LBB87_1818:
	v_and_b32_e32 v3, 0xffff, v1
	s_delay_alu instid0(VALU_DEP_1) | instskip(SKIP_1) | instid1(VALU_DEP_2)
	v_dual_lshlrev_b32 v1, 24, v1 :: v_dual_bitop2_b32 v5, 3, v3 bitop3:0x40
	v_bfe_u32 v12, v3, 2, 5
	v_and_b32_e32 v1, 0x80000000, v1
	s_delay_alu instid0(VALU_DEP_3) | instskip(NEXT) | instid1(VALU_DEP_3)
	v_clz_i32_u32_e32 v7, v5
	v_cmp_eq_u32_e32 vcc_lo, 0, v12
	s_delay_alu instid0(VALU_DEP_2) | instskip(NEXT) | instid1(VALU_DEP_1)
	v_min_u32_e32 v7, 32, v7
	v_subrev_nc_u32_e32 v11, 29, v7
	v_sub_nc_u32_e32 v7, 30, v7
	s_delay_alu instid0(VALU_DEP_2) | instskip(NEXT) | instid1(VALU_DEP_2)
	v_lshlrev_b32_e32 v3, v11, v3
	v_cndmask_b32_e32 v7, v12, v7, vcc_lo
	s_delay_alu instid0(VALU_DEP_2) | instskip(NEXT) | instid1(VALU_DEP_1)
	v_and_b32_e32 v3, 3, v3
	v_cndmask_b32_e32 v3, v5, v3, vcc_lo
	s_delay_alu instid0(VALU_DEP_3) | instskip(NEXT) | instid1(VALU_DEP_2)
	v_lshl_add_u32 v5, v7, 23, 0x37800000
	v_lshlrev_b32_e32 v3, 21, v3
	s_delay_alu instid0(VALU_DEP_1) | instskip(NEXT) | instid1(VALU_DEP_1)
	v_or3_b32 v1, v1, v5, v3
	v_cvt_f64_f32_e32 v[12:13], v1
.LBB87_1819:
	s_or_b32 exec_lo, exec_lo, s14
	s_mov_b32 s13, 0
	s_branch .LBB87_1825
.LBB87_1820:
	s_mov_b32 s13, -1
                                        ; implicit-def: $vgpr12_vgpr13
	s_branch .LBB87_1831
.LBB87_1821:
	s_or_saveexec_b32 s15, s15
	v_mov_b64_e32 v[12:13], 0x7ff8000020000000
	s_xor_b32 exec_lo, exec_lo, s15
	s_cbranch_execz .LBB87_1805
.LBB87_1822:
	v_cmp_ne_u16_e32 vcc_lo, 0, v1
	v_mov_b64_e32 v[12:13], 0
	s_and_not1_b32 s14, s14, exec_lo
	s_and_b32 s16, vcc_lo, exec_lo
	s_delay_alu instid0(SALU_CYCLE_1)
	s_or_b32 s14, s14, s16
	s_or_b32 exec_lo, exec_lo, s15
	s_and_saveexec_b32 s15, s14
	s_cbranch_execnz .LBB87_1806
	s_branch .LBB87_1807
.LBB87_1823:
	s_mov_b32 s13, -1
                                        ; implicit-def: $vgpr12_vgpr13
	s_branch .LBB87_1828
.LBB87_1824:
	s_mov_b32 s13, -1
                                        ; implicit-def: $vgpr12_vgpr13
.LBB87_1825:
	s_delay_alu instid0(SALU_CYCLE_1)
	s_and_b32 vcc_lo, exec_lo, s13
	s_cbranch_vccz .LBB87_1827
; %bb.1826:
	global_load_u8 v1, v[24:25], off
	s_wait_loadcnt 0x0
	v_lshlrev_b32_e32 v1, 24, v1
	s_delay_alu instid0(VALU_DEP_1) | instskip(NEXT) | instid1(VALU_DEP_1)
	v_and_b32_e32 v3, 0x7f000000, v1
	v_clz_i32_u32_e32 v5, v3
	v_add_nc_u32_e32 v11, 0x1000000, v3
	v_cmp_ne_u32_e32 vcc_lo, 0, v3
	s_delay_alu instid0(VALU_DEP_3) | instskip(NEXT) | instid1(VALU_DEP_1)
	v_min_u32_e32 v5, 32, v5
	v_sub_nc_u32_e64 v5, v5, 4 clamp
	s_delay_alu instid0(VALU_DEP_1) | instskip(NEXT) | instid1(VALU_DEP_1)
	v_dual_lshlrev_b32 v7, v5, v3 :: v_dual_lshlrev_b32 v5, 23, v5
	v_lshrrev_b32_e32 v7, 4, v7
	s_delay_alu instid0(VALU_DEP_1) | instskip(NEXT) | instid1(VALU_DEP_1)
	v_dual_sub_nc_u32 v5, v7, v5 :: v_dual_ashrrev_i32 v7, 8, v11
	v_add_nc_u32_e32 v5, 0x3c000000, v5
	s_delay_alu instid0(VALU_DEP_1) | instskip(NEXT) | instid1(VALU_DEP_1)
	v_and_or_b32 v5, 0x7f800000, v7, v5
	v_cndmask_b32_e32 v3, 0, v5, vcc_lo
	s_delay_alu instid0(VALU_DEP_1) | instskip(SKIP_1) | instid1(VALU_DEP_1)
	v_and_or_b32 v1, 0x80000000, v1, v3
	s_wait_xcnt 0x1
	v_cvt_f64_f32_e32 v[12:13], v1
.LBB87_1827:
	s_mov_b32 s13, 0
.LBB87_1828:
	s_delay_alu instid0(SALU_CYCLE_1)
	s_and_not1_b32 vcc_lo, exec_lo, s13
	s_cbranch_vccnz .LBB87_1830
; %bb.1829:
	global_load_u8 v1, v[24:25], off
	s_wait_loadcnt 0x0
	v_lshlrev_b32_e32 v3, 25, v1
	v_lshlrev_b16 v1, 8, v1
	s_delay_alu instid0(VALU_DEP_1) | instskip(SKIP_1) | instid1(VALU_DEP_2)
	v_and_or_b32 v7, 0x7f00, v1, 0.5
	v_bfe_i32 v1, v1, 0, 16
	v_add_f32_e32 v7, -0.5, v7
	v_lshrrev_b32_e32 v5, 4, v3
	v_cmp_gt_u32_e32 vcc_lo, 0x8000000, v3
	s_delay_alu instid0(VALU_DEP_2) | instskip(NEXT) | instid1(VALU_DEP_1)
	v_or_b32_e32 v5, 0x70000000, v5
	v_mul_f32_e32 v5, 0x7800000, v5
	s_delay_alu instid0(VALU_DEP_1) | instskip(NEXT) | instid1(VALU_DEP_1)
	v_cndmask_b32_e32 v3, v5, v7, vcc_lo
	v_and_or_b32 v1, 0x80000000, v1, v3
	s_wait_xcnt 0x1
	s_delay_alu instid0(VALU_DEP_1)
	v_cvt_f64_f32_e32 v[12:13], v1
.LBB87_1830:
	s_mov_b32 s13, 0
	s_mov_b32 s14, -1
.LBB87_1831:
	s_and_not1_b32 vcc_lo, exec_lo, s13
	s_mov_b32 s13, 0
	s_cbranch_vccnz .LBB87_1842
; %bb.1832:
	s_cmp_gt_i32 s11, 14
	s_cbranch_scc0 .LBB87_1835
; %bb.1833:
	s_cmp_eq_u32 s11, 15
	s_cbranch_scc0 .LBB87_1838
; %bb.1834:
	global_load_u16 v1, v[24:25], off
	s_mov_b32 s12, 0
	s_mov_b32 s14, -1
	s_wait_loadcnt 0x0
	v_lshlrev_b32_e32 v1, 16, v1
	s_wait_xcnt 0x1
	s_delay_alu instid0(VALU_DEP_1)
	v_cvt_f64_f32_e32 v[12:13], v1
	s_branch .LBB87_1840
.LBB87_1835:
	s_mov_b32 s13, -1
	s_branch .LBB87_1839
.LBB87_1836:
	s_or_saveexec_b32 s14, s14
	v_mov_b64_e32 v[12:13], 0x7ff8000020000000
	s_xor_b32 exec_lo, exec_lo, s14
	s_cbranch_execz .LBB87_1817
.LBB87_1837:
	v_cmp_ne_u16_e32 vcc_lo, 0, v1
	v_mov_b64_e32 v[12:13], 0
	s_and_not1_b32 s13, s13, exec_lo
	s_and_b32 s15, vcc_lo, exec_lo
	s_delay_alu instid0(SALU_CYCLE_1)
	s_or_b32 s13, s13, s15
	s_or_b32 exec_lo, exec_lo, s14
	s_and_saveexec_b32 s14, s13
	s_cbranch_execnz .LBB87_1818
	s_branch .LBB87_1819
.LBB87_1838:
	s_mov_b32 s12, -1
.LBB87_1839:
                                        ; implicit-def: $vgpr12_vgpr13
.LBB87_1840:
	s_and_b32 vcc_lo, exec_lo, s13
	s_mov_b32 s13, 0
	s_cbranch_vccz .LBB87_1842
; %bb.1841:
	s_cmp_lg_u32 s11, 11
	s_mov_b32 s13, -1
	s_cselect_b32 s12, -1, 0
.LBB87_1842:
	s_delay_alu instid0(SALU_CYCLE_1)
	s_and_b32 vcc_lo, exec_lo, s12
	s_cbranch_vccnz .LBB87_1905
; %bb.1843:
	s_and_not1_b32 vcc_lo, exec_lo, s13
	s_cbranch_vccnz .LBB87_1845
.LBB87_1844:
	global_load_u8 v1, v[24:25], off
	v_mov_b32_e32 v12, 0
	s_mov_b32 s14, -1
	s_wait_loadcnt 0x0
	v_cmp_ne_u16_e32 vcc_lo, 0, v1
	s_wait_xcnt 0x1
	v_cndmask_b32_e64 v13, 0, 0x3ff00000, vcc_lo
.LBB87_1845:
	s_branch .LBB87_1771
.LBB87_1846:
	s_and_b32 s11, 0xffff, s10
	s_delay_alu instid0(SALU_CYCLE_1)
	s_cmp_lt_i32 s11, 5
	s_cbranch_scc1 .LBB87_1851
; %bb.1847:
	s_cmp_lt_i32 s11, 8
	s_cbranch_scc1 .LBB87_1852
; %bb.1848:
	s_cmp_lt_i32 s11, 9
	s_cbranch_scc1 .LBB87_1853
; %bb.1849:
	s_cmp_gt_i32 s11, 9
	s_cbranch_scc0 .LBB87_1854
; %bb.1850:
	global_load_b64 v[12:13], v[24:25], off
	s_mov_b32 s12, 0
	s_branch .LBB87_1855
.LBB87_1851:
                                        ; implicit-def: $vgpr12_vgpr13
	s_branch .LBB87_1873
.LBB87_1852:
	s_mov_b32 s12, -1
                                        ; implicit-def: $vgpr12_vgpr13
	s_branch .LBB87_1861
.LBB87_1853:
	s_mov_b32 s12, -1
                                        ; implicit-def: $vgpr12_vgpr13
	s_branch .LBB87_1858
.LBB87_1854:
	s_mov_b32 s12, -1
                                        ; implicit-def: $vgpr12_vgpr13
.LBB87_1855:
	s_delay_alu instid0(SALU_CYCLE_1)
	s_and_not1_b32 vcc_lo, exec_lo, s12
	s_cbranch_vccnz .LBB87_1857
; %bb.1856:
	global_load_b32 v1, v[24:25], off
	s_wait_loadcnt 0x0
	s_wait_xcnt 0x1
	v_cvt_f64_f32_e32 v[12:13], v1
.LBB87_1857:
	s_mov_b32 s12, 0
.LBB87_1858:
	s_delay_alu instid0(SALU_CYCLE_1)
	s_and_not1_b32 vcc_lo, exec_lo, s12
	s_cbranch_vccnz .LBB87_1860
; %bb.1859:
	global_load_b32 v1, v[24:25], off
	s_wait_loadcnt 0x0
	v_cvt_f32_f16_e32 v1, v1
	s_wait_xcnt 0x1
	s_delay_alu instid0(VALU_DEP_1)
	v_cvt_f64_f32_e32 v[12:13], v1
.LBB87_1860:
	s_mov_b32 s12, 0
.LBB87_1861:
	s_delay_alu instid0(SALU_CYCLE_1)
	s_and_not1_b32 vcc_lo, exec_lo, s12
	s_cbranch_vccnz .LBB87_1872
; %bb.1862:
	s_cmp_lt_i32 s11, 6
	s_cbranch_scc1 .LBB87_1865
; %bb.1863:
	s_cmp_gt_i32 s11, 6
	s_cbranch_scc0 .LBB87_1866
; %bb.1864:
	s_wait_loadcnt 0x0
	global_load_b64 v[12:13], v[24:25], off
	s_mov_b32 s12, 0
	s_branch .LBB87_1867
.LBB87_1865:
	s_mov_b32 s12, -1
                                        ; implicit-def: $vgpr12_vgpr13
	s_branch .LBB87_1870
.LBB87_1866:
	s_mov_b32 s12, -1
                                        ; implicit-def: $vgpr12_vgpr13
.LBB87_1867:
	s_delay_alu instid0(SALU_CYCLE_1)
	s_and_not1_b32 vcc_lo, exec_lo, s12
	s_cbranch_vccnz .LBB87_1869
; %bb.1868:
	global_load_b32 v1, v[24:25], off
	s_wait_loadcnt 0x0
	s_wait_xcnt 0x1
	v_cvt_f64_f32_e32 v[12:13], v1
.LBB87_1869:
	s_mov_b32 s12, 0
.LBB87_1870:
	s_delay_alu instid0(SALU_CYCLE_1)
	s_and_not1_b32 vcc_lo, exec_lo, s12
	s_cbranch_vccnz .LBB87_1872
; %bb.1871:
	global_load_u16 v1, v[24:25], off
	s_wait_loadcnt 0x0
	v_cvt_f32_f16_e32 v1, v1
	s_wait_xcnt 0x1
	s_delay_alu instid0(VALU_DEP_1)
	v_cvt_f64_f32_e32 v[12:13], v1
.LBB87_1872:
	s_cbranch_execnz .LBB87_1892
.LBB87_1873:
	s_cmp_lt_i32 s11, 2
	s_cbranch_scc1 .LBB87_1877
; %bb.1874:
	s_cmp_lt_i32 s11, 3
	s_cbranch_scc1 .LBB87_1878
; %bb.1875:
	s_cmp_gt_i32 s11, 3
	s_cbranch_scc0 .LBB87_1879
; %bb.1876:
	s_wait_loadcnt 0x0
	global_load_b64 v[12:13], v[24:25], off
	s_mov_b32 s12, 0
	s_wait_loadcnt 0x0
	v_cvt_f64_i32_e32 v[26:27], v13
	v_cvt_f64_u32_e32 v[12:13], v12
	s_delay_alu instid0(VALU_DEP_2) | instskip(NEXT) | instid1(VALU_DEP_1)
	v_ldexp_f64 v[26:27], v[26:27], 32
	v_add_f64_e32 v[12:13], v[26:27], v[12:13]
	s_branch .LBB87_1880
.LBB87_1877:
	s_mov_b32 s12, -1
                                        ; implicit-def: $vgpr12_vgpr13
	s_branch .LBB87_1886
.LBB87_1878:
	s_mov_b32 s12, -1
                                        ; implicit-def: $vgpr12_vgpr13
	s_branch .LBB87_1883
.LBB87_1879:
	s_mov_b32 s12, -1
                                        ; implicit-def: $vgpr12_vgpr13
.LBB87_1880:
	s_delay_alu instid0(SALU_CYCLE_1)
	s_and_not1_b32 vcc_lo, exec_lo, s12
	s_cbranch_vccnz .LBB87_1882
; %bb.1881:
	global_load_b32 v1, v[24:25], off
	s_wait_loadcnt 0x0
	s_wait_xcnt 0x1
	v_cvt_f64_i32_e32 v[12:13], v1
.LBB87_1882:
	s_mov_b32 s12, 0
.LBB87_1883:
	s_delay_alu instid0(SALU_CYCLE_1)
	s_and_not1_b32 vcc_lo, exec_lo, s12
	s_cbranch_vccnz .LBB87_1885
; %bb.1884:
	global_load_i16 v1, v[24:25], off
	s_wait_loadcnt 0x0
	s_wait_xcnt 0x1
	v_cvt_f64_i32_e32 v[12:13], v1
.LBB87_1885:
	s_mov_b32 s12, 0
.LBB87_1886:
	s_delay_alu instid0(SALU_CYCLE_1)
	s_and_not1_b32 vcc_lo, exec_lo, s12
	s_cbranch_vccnz .LBB87_1892
; %bb.1887:
	s_cmp_gt_i32 s11, 0
	s_mov_b32 s11, 0
	s_cbranch_scc0 .LBB87_1889
; %bb.1888:
	global_load_i8 v1, v[24:25], off
	s_wait_loadcnt 0x0
	s_wait_xcnt 0x1
	v_cvt_f64_i32_e32 v[12:13], v1
	s_branch .LBB87_1890
.LBB87_1889:
	s_mov_b32 s11, -1
                                        ; implicit-def: $vgpr12_vgpr13
.LBB87_1890:
	s_delay_alu instid0(SALU_CYCLE_1)
	s_and_not1_b32 vcc_lo, exec_lo, s11
	s_cbranch_vccnz .LBB87_1892
; %bb.1891:
	global_load_u8 v1, v[24:25], off
	s_wait_loadcnt 0x0
	s_wait_xcnt 0x1
	v_cvt_f64_u32_e32 v[12:13], v1
.LBB87_1892:
.LBB87_1893:
	v_mov_b32_e32 v15, 0
	s_and_b32 s2, 0xffff, s2
	s_delay_alu instid0(SALU_CYCLE_1) | instskip(SKIP_1) | instid1(VALU_DEP_1)
	s_cmp_lt_i32 s2, 11
	s_wait_xcnt 0x0
	v_add_nc_u64_e32 v[24:25], s[6:7], v[14:15]
	s_cbranch_scc1 .LBB87_1900
; %bb.1894:
	s_cmp_gt_i32 s2, 25
	s_mov_b32 s12, 0
	s_cbranch_scc0 .LBB87_1902
; %bb.1895:
	s_cmp_gt_i32 s2, 28
	s_cbranch_scc0 .LBB87_1903
; %bb.1896:
	s_cmp_gt_i32 s2, 43
	;; [unrolled: 3-line block ×3, first 2 shown]
	s_cbranch_scc0 .LBB87_1906
; %bb.1898:
	s_cmp_eq_u32 s2, 46
	s_mov_b32 s14, 0
	s_cbranch_scc0 .LBB87_1907
; %bb.1899:
	global_load_b32 v1, v[24:25], off
	s_mov_b32 s11, 0
	s_mov_b32 s13, -1
	s_wait_loadcnt 0x0
	v_lshlrev_b32_e32 v1, 16, v1
	s_delay_alu instid0(VALU_DEP_1)
	v_cvt_f64_f32_e32 v[14:15], v1
	s_branch .LBB87_1909
.LBB87_1900:
	s_mov_b32 s13, 0
                                        ; implicit-def: $vgpr14_vgpr15
	s_cbranch_execnz .LBB87_1975
.LBB87_1901:
	s_and_not1_b32 vcc_lo, exec_lo, s13
	s_cbranch_vccnz .LBB87_3112
	s_branch .LBB87_2023
.LBB87_1902:
	s_mov_b32 s14, -1
	s_mov_b32 s13, 0
	s_mov_b32 s11, 0
                                        ; implicit-def: $vgpr14_vgpr15
	s_branch .LBB87_1938
.LBB87_1903:
	s_mov_b32 s14, -1
	s_mov_b32 s13, 0
	s_mov_b32 s11, 0
                                        ; implicit-def: $vgpr14_vgpr15
	s_branch .LBB87_1919
.LBB87_1904:
	s_mov_b32 s14, -1
	s_mov_b32 s13, 0
	s_mov_b32 s11, 0
                                        ; implicit-def: $vgpr14_vgpr15
	s_branch .LBB87_1914
.LBB87_1905:
	s_or_b32 s9, s9, exec_lo
	s_trap 2
	s_cbranch_execz .LBB87_1844
	s_branch .LBB87_1845
.LBB87_1906:
	s_mov_b32 s14, -1
	s_mov_b32 s13, 0
	s_mov_b32 s11, 0
	s_branch .LBB87_1908
.LBB87_1907:
	s_mov_b32 s11, -1
	s_mov_b32 s13, 0
.LBB87_1908:
                                        ; implicit-def: $vgpr14_vgpr15
.LBB87_1909:
	s_and_b32 vcc_lo, exec_lo, s14
	s_cbranch_vccz .LBB87_1913
; %bb.1910:
	s_cmp_eq_u32 s2, 44
	s_cbranch_scc0 .LBB87_1912
; %bb.1911:
	global_load_u8 v1, v[24:25], off
	s_mov_b32 s11, 0
	s_mov_b32 s13, -1
	s_wait_loadcnt 0x0
	v_lshlrev_b32_e32 v3, 23, v1
	v_cmp_ne_u32_e32 vcc_lo, 0xff, v1
	s_delay_alu instid0(VALU_DEP_2) | instskip(NEXT) | instid1(VALU_DEP_1)
	v_cvt_f64_f32_e32 v[14:15], v3
	v_cndmask_b32_e32 v3, 0x20000000, v14, vcc_lo
	s_delay_alu instid0(VALU_DEP_2) | instskip(SKIP_1) | instid1(VALU_DEP_2)
	v_cndmask_b32_e32 v5, 0x7ff80000, v15, vcc_lo
	v_cmp_ne_u32_e32 vcc_lo, 0, v1
	v_cndmask_b32_e32 v15, 0x38000000, v5, vcc_lo
	s_delay_alu instid0(VALU_DEP_4)
	v_cndmask_b32_e32 v14, 0, v3, vcc_lo
	s_branch .LBB87_1913
.LBB87_1912:
	s_mov_b32 s11, -1
                                        ; implicit-def: $vgpr14_vgpr15
.LBB87_1913:
	s_mov_b32 s14, 0
.LBB87_1914:
	s_delay_alu instid0(SALU_CYCLE_1)
	s_and_b32 vcc_lo, exec_lo, s14
	s_cbranch_vccz .LBB87_1918
; %bb.1915:
	s_cmp_eq_u32 s2, 29
	s_cbranch_scc0 .LBB87_1917
; %bb.1916:
	global_load_b64 v[14:15], v[24:25], off
	s_mov_b32 s11, 0
	s_mov_b32 s13, -1
	s_mov_b32 s14, 0
	s_wait_loadcnt 0x0
	v_cvt_f64_u32_e32 v[26:27], v15
	v_cvt_f64_u32_e32 v[14:15], v14
	s_delay_alu instid0(VALU_DEP_2) | instskip(NEXT) | instid1(VALU_DEP_1)
	v_ldexp_f64 v[26:27], v[26:27], 32
	v_add_f64_e32 v[14:15], v[26:27], v[14:15]
	s_branch .LBB87_1919
.LBB87_1917:
	s_mov_b32 s11, -1
                                        ; implicit-def: $vgpr14_vgpr15
.LBB87_1918:
	s_mov_b32 s14, 0
.LBB87_1919:
	s_delay_alu instid0(SALU_CYCLE_1)
	s_and_b32 vcc_lo, exec_lo, s14
	s_cbranch_vccz .LBB87_1937
; %bb.1920:
	s_cmp_lt_i32 s2, 27
	s_cbranch_scc1 .LBB87_1923
; %bb.1921:
	s_cmp_gt_i32 s2, 27
	s_cbranch_scc0 .LBB87_1924
; %bb.1922:
	global_load_b32 v1, v[24:25], off
	s_mov_b32 s13, 0
	s_wait_loadcnt 0x0
	v_cvt_f64_u32_e32 v[14:15], v1
	s_branch .LBB87_1925
.LBB87_1923:
	s_mov_b32 s13, -1
                                        ; implicit-def: $vgpr14_vgpr15
	s_branch .LBB87_1928
.LBB87_1924:
	s_mov_b32 s13, -1
                                        ; implicit-def: $vgpr14_vgpr15
.LBB87_1925:
	s_delay_alu instid0(SALU_CYCLE_1)
	s_and_not1_b32 vcc_lo, exec_lo, s13
	s_cbranch_vccnz .LBB87_1927
; %bb.1926:
	global_load_u16 v1, v[24:25], off
	s_wait_loadcnt 0x0
	v_cvt_f64_u32_e32 v[14:15], v1
.LBB87_1927:
	s_mov_b32 s13, 0
.LBB87_1928:
	s_delay_alu instid0(SALU_CYCLE_1)
	s_and_not1_b32 vcc_lo, exec_lo, s13
	s_cbranch_vccnz .LBB87_1936
; %bb.1929:
	global_load_u8 v1, v[24:25], off
	s_mov_b32 s13, 0
	s_mov_b32 s14, exec_lo
	s_wait_loadcnt 0x0
	v_cmpx_lt_i16_e32 0x7f, v1
	s_xor_b32 s14, exec_lo, s14
	s_cbranch_execz .LBB87_1950
; %bb.1930:
	s_mov_b32 s13, -1
	s_mov_b32 s15, exec_lo
	v_cmpx_eq_u16_e32 0x80, v1
; %bb.1931:
	s_xor_b32 s13, exec_lo, -1
; %bb.1932:
	s_or_b32 exec_lo, exec_lo, s15
	s_delay_alu instid0(SALU_CYCLE_1)
	s_and_b32 s13, s13, exec_lo
	s_or_saveexec_b32 s14, s14
	v_mov_b64_e32 v[14:15], 0x7ff8000020000000
	s_xor_b32 exec_lo, exec_lo, s14
	s_cbranch_execnz .LBB87_1951
.LBB87_1933:
	s_or_b32 exec_lo, exec_lo, s14
	s_and_saveexec_b32 s14, s13
	s_cbranch_execz .LBB87_1935
.LBB87_1934:
	v_and_b32_e32 v3, 0xffff, v1
	s_delay_alu instid0(VALU_DEP_1) | instskip(SKIP_1) | instid1(VALU_DEP_2)
	v_dual_lshlrev_b32 v1, 24, v1 :: v_dual_bitop2_b32 v5, 7, v3 bitop3:0x40
	v_bfe_u32 v14, v3, 3, 4
	v_and_b32_e32 v1, 0x80000000, v1
	s_delay_alu instid0(VALU_DEP_3) | instskip(NEXT) | instid1(VALU_DEP_3)
	v_clz_i32_u32_e32 v7, v5
	v_cmp_eq_u32_e32 vcc_lo, 0, v14
	s_delay_alu instid0(VALU_DEP_2) | instskip(NEXT) | instid1(VALU_DEP_1)
	v_min_u32_e32 v7, 32, v7
	v_subrev_nc_u32_e32 v11, 28, v7
	v_sub_nc_u32_e32 v7, 29, v7
	s_delay_alu instid0(VALU_DEP_2) | instskip(NEXT) | instid1(VALU_DEP_2)
	v_lshlrev_b32_e32 v3, v11, v3
	v_cndmask_b32_e32 v7, v14, v7, vcc_lo
	s_delay_alu instid0(VALU_DEP_2) | instskip(NEXT) | instid1(VALU_DEP_1)
	v_and_b32_e32 v3, 7, v3
	v_cndmask_b32_e32 v3, v5, v3, vcc_lo
	s_delay_alu instid0(VALU_DEP_3) | instskip(NEXT) | instid1(VALU_DEP_2)
	v_lshl_add_u32 v5, v7, 23, 0x3b800000
	v_lshlrev_b32_e32 v3, 20, v3
	s_delay_alu instid0(VALU_DEP_1) | instskip(NEXT) | instid1(VALU_DEP_1)
	v_or3_b32 v1, v1, v5, v3
	v_cvt_f64_f32_e32 v[14:15], v1
.LBB87_1935:
	s_or_b32 exec_lo, exec_lo, s14
.LBB87_1936:
	s_mov_b32 s13, -1
.LBB87_1937:
	s_mov_b32 s14, 0
.LBB87_1938:
	s_delay_alu instid0(SALU_CYCLE_1)
	s_and_b32 vcc_lo, exec_lo, s14
	s_cbranch_vccz .LBB87_1971
; %bb.1939:
	s_cmp_gt_i32 s2, 22
	s_cbranch_scc0 .LBB87_1949
; %bb.1940:
	s_cmp_lt_i32 s2, 24
	s_cbranch_scc1 .LBB87_1952
; %bb.1941:
	s_cmp_gt_i32 s2, 24
	s_cbranch_scc0 .LBB87_1953
; %bb.1942:
	global_load_u8 v1, v[24:25], off
	s_mov_b32 s13, exec_lo
	s_wait_loadcnt 0x0
	v_cmpx_lt_i16_e32 0x7f, v1
	s_xor_b32 s13, exec_lo, s13
	s_cbranch_execz .LBB87_1965
; %bb.1943:
	s_mov_b32 s12, -1
	s_mov_b32 s14, exec_lo
	v_cmpx_eq_u16_e32 0x80, v1
; %bb.1944:
	s_xor_b32 s12, exec_lo, -1
; %bb.1945:
	s_or_b32 exec_lo, exec_lo, s14
	s_delay_alu instid0(SALU_CYCLE_1)
	s_and_b32 s12, s12, exec_lo
	s_or_saveexec_b32 s13, s13
	v_mov_b64_e32 v[14:15], 0x7ff8000020000000
	s_xor_b32 exec_lo, exec_lo, s13
	s_cbranch_execnz .LBB87_1966
.LBB87_1946:
	s_or_b32 exec_lo, exec_lo, s13
	s_and_saveexec_b32 s13, s12
	s_cbranch_execz .LBB87_1948
.LBB87_1947:
	v_and_b32_e32 v3, 0xffff, v1
	s_delay_alu instid0(VALU_DEP_1) | instskip(SKIP_1) | instid1(VALU_DEP_2)
	v_dual_lshlrev_b32 v1, 24, v1 :: v_dual_bitop2_b32 v5, 3, v3 bitop3:0x40
	v_bfe_u32 v14, v3, 2, 5
	v_and_b32_e32 v1, 0x80000000, v1
	s_delay_alu instid0(VALU_DEP_3) | instskip(NEXT) | instid1(VALU_DEP_3)
	v_clz_i32_u32_e32 v7, v5
	v_cmp_eq_u32_e32 vcc_lo, 0, v14
	s_delay_alu instid0(VALU_DEP_2) | instskip(NEXT) | instid1(VALU_DEP_1)
	v_min_u32_e32 v7, 32, v7
	v_subrev_nc_u32_e32 v11, 29, v7
	v_sub_nc_u32_e32 v7, 30, v7
	s_delay_alu instid0(VALU_DEP_2) | instskip(NEXT) | instid1(VALU_DEP_2)
	v_lshlrev_b32_e32 v3, v11, v3
	v_cndmask_b32_e32 v7, v14, v7, vcc_lo
	s_delay_alu instid0(VALU_DEP_2) | instskip(NEXT) | instid1(VALU_DEP_1)
	v_and_b32_e32 v3, 3, v3
	v_cndmask_b32_e32 v3, v5, v3, vcc_lo
	s_delay_alu instid0(VALU_DEP_3) | instskip(NEXT) | instid1(VALU_DEP_2)
	v_lshl_add_u32 v5, v7, 23, 0x37800000
	v_lshlrev_b32_e32 v3, 21, v3
	s_delay_alu instid0(VALU_DEP_1) | instskip(NEXT) | instid1(VALU_DEP_1)
	v_or3_b32 v1, v1, v5, v3
	v_cvt_f64_f32_e32 v[14:15], v1
.LBB87_1948:
	s_or_b32 exec_lo, exec_lo, s13
	s_mov_b32 s12, 0
	s_branch .LBB87_1954
.LBB87_1949:
	s_mov_b32 s12, -1
                                        ; implicit-def: $vgpr14_vgpr15
	s_branch .LBB87_1960
.LBB87_1950:
	s_or_saveexec_b32 s14, s14
	v_mov_b64_e32 v[14:15], 0x7ff8000020000000
	s_xor_b32 exec_lo, exec_lo, s14
	s_cbranch_execz .LBB87_1933
.LBB87_1951:
	v_cmp_ne_u16_e32 vcc_lo, 0, v1
	v_mov_b64_e32 v[14:15], 0
	s_and_not1_b32 s13, s13, exec_lo
	s_and_b32 s15, vcc_lo, exec_lo
	s_delay_alu instid0(SALU_CYCLE_1)
	s_or_b32 s13, s13, s15
	s_or_b32 exec_lo, exec_lo, s14
	s_and_saveexec_b32 s14, s13
	s_cbranch_execnz .LBB87_1934
	s_branch .LBB87_1935
.LBB87_1952:
	s_mov_b32 s12, -1
                                        ; implicit-def: $vgpr14_vgpr15
	s_branch .LBB87_1957
.LBB87_1953:
	s_mov_b32 s12, -1
                                        ; implicit-def: $vgpr14_vgpr15
.LBB87_1954:
	s_delay_alu instid0(SALU_CYCLE_1)
	s_and_b32 vcc_lo, exec_lo, s12
	s_cbranch_vccz .LBB87_1956
; %bb.1955:
	global_load_u8 v1, v[24:25], off
	s_wait_loadcnt 0x0
	v_lshlrev_b32_e32 v1, 24, v1
	s_delay_alu instid0(VALU_DEP_1) | instskip(NEXT) | instid1(VALU_DEP_1)
	v_and_b32_e32 v3, 0x7f000000, v1
	v_clz_i32_u32_e32 v5, v3
	v_add_nc_u32_e32 v11, 0x1000000, v3
	v_cmp_ne_u32_e32 vcc_lo, 0, v3
	s_delay_alu instid0(VALU_DEP_3) | instskip(NEXT) | instid1(VALU_DEP_1)
	v_min_u32_e32 v5, 32, v5
	v_sub_nc_u32_e64 v5, v5, 4 clamp
	s_delay_alu instid0(VALU_DEP_1) | instskip(NEXT) | instid1(VALU_DEP_1)
	v_dual_lshlrev_b32 v7, v5, v3 :: v_dual_lshlrev_b32 v5, 23, v5
	v_lshrrev_b32_e32 v7, 4, v7
	s_delay_alu instid0(VALU_DEP_1) | instskip(NEXT) | instid1(VALU_DEP_1)
	v_dual_sub_nc_u32 v5, v7, v5 :: v_dual_ashrrev_i32 v7, 8, v11
	v_add_nc_u32_e32 v5, 0x3c000000, v5
	s_delay_alu instid0(VALU_DEP_1) | instskip(NEXT) | instid1(VALU_DEP_1)
	v_and_or_b32 v5, 0x7f800000, v7, v5
	v_cndmask_b32_e32 v3, 0, v5, vcc_lo
	s_delay_alu instid0(VALU_DEP_1) | instskip(NEXT) | instid1(VALU_DEP_1)
	v_and_or_b32 v1, 0x80000000, v1, v3
	v_cvt_f64_f32_e32 v[14:15], v1
.LBB87_1956:
	s_mov_b32 s12, 0
.LBB87_1957:
	s_delay_alu instid0(SALU_CYCLE_1)
	s_and_not1_b32 vcc_lo, exec_lo, s12
	s_cbranch_vccnz .LBB87_1959
; %bb.1958:
	global_load_u8 v1, v[24:25], off
	s_wait_loadcnt 0x0
	v_lshlrev_b32_e32 v3, 25, v1
	v_lshlrev_b16 v1, 8, v1
	s_delay_alu instid0(VALU_DEP_1) | instskip(SKIP_1) | instid1(VALU_DEP_2)
	v_and_or_b32 v7, 0x7f00, v1, 0.5
	v_bfe_i32 v1, v1, 0, 16
	v_add_f32_e32 v7, -0.5, v7
	v_lshrrev_b32_e32 v5, 4, v3
	v_cmp_gt_u32_e32 vcc_lo, 0x8000000, v3
	s_delay_alu instid0(VALU_DEP_2) | instskip(NEXT) | instid1(VALU_DEP_1)
	v_or_b32_e32 v5, 0x70000000, v5
	v_mul_f32_e32 v5, 0x7800000, v5
	s_delay_alu instid0(VALU_DEP_1) | instskip(NEXT) | instid1(VALU_DEP_1)
	v_cndmask_b32_e32 v3, v5, v7, vcc_lo
	v_and_or_b32 v1, 0x80000000, v1, v3
	s_delay_alu instid0(VALU_DEP_1)
	v_cvt_f64_f32_e32 v[14:15], v1
.LBB87_1959:
	s_mov_b32 s12, 0
	s_mov_b32 s13, -1
.LBB87_1960:
	s_and_not1_b32 vcc_lo, exec_lo, s12
	s_mov_b32 s12, 0
	s_cbranch_vccnz .LBB87_1971
; %bb.1961:
	s_cmp_gt_i32 s2, 14
	s_cbranch_scc0 .LBB87_1964
; %bb.1962:
	s_cmp_eq_u32 s2, 15
	s_cbranch_scc0 .LBB87_1967
; %bb.1963:
	global_load_u16 v1, v[24:25], off
	s_mov_b32 s11, 0
	s_mov_b32 s13, -1
	s_wait_loadcnt 0x0
	v_lshlrev_b32_e32 v1, 16, v1
	s_delay_alu instid0(VALU_DEP_1)
	v_cvt_f64_f32_e32 v[14:15], v1
	s_branch .LBB87_1969
.LBB87_1964:
	s_mov_b32 s12, -1
	s_branch .LBB87_1968
.LBB87_1965:
	s_or_saveexec_b32 s13, s13
	v_mov_b64_e32 v[14:15], 0x7ff8000020000000
	s_xor_b32 exec_lo, exec_lo, s13
	s_cbranch_execz .LBB87_1946
.LBB87_1966:
	v_cmp_ne_u16_e32 vcc_lo, 0, v1
	v_mov_b64_e32 v[14:15], 0
	s_and_not1_b32 s12, s12, exec_lo
	s_and_b32 s14, vcc_lo, exec_lo
	s_delay_alu instid0(SALU_CYCLE_1)
	s_or_b32 s12, s12, s14
	s_or_b32 exec_lo, exec_lo, s13
	s_and_saveexec_b32 s13, s12
	s_cbranch_execnz .LBB87_1947
	s_branch .LBB87_1948
.LBB87_1967:
	s_mov_b32 s11, -1
.LBB87_1968:
                                        ; implicit-def: $vgpr14_vgpr15
.LBB87_1969:
	s_and_b32 vcc_lo, exec_lo, s12
	s_mov_b32 s12, 0
	s_cbranch_vccz .LBB87_1971
; %bb.1970:
	s_cmp_lg_u32 s2, 11
	s_mov_b32 s12, -1
	s_cselect_b32 s11, -1, 0
.LBB87_1971:
	s_delay_alu instid0(SALU_CYCLE_1)
	s_and_b32 vcc_lo, exec_lo, s11
	s_cbranch_vccnz .LBB87_2034
; %bb.1972:
	s_and_not1_b32 vcc_lo, exec_lo, s12
	s_cbranch_vccnz .LBB87_1974
.LBB87_1973:
	global_load_u8 v1, v[24:25], off
	v_mov_b32_e32 v14, 0
	s_mov_b32 s13, -1
	s_wait_loadcnt 0x0
	v_cmp_ne_u16_e32 vcc_lo, 0, v1
	v_cndmask_b32_e64 v15, 0, 0x3ff00000, vcc_lo
.LBB87_1974:
	s_branch .LBB87_1901
.LBB87_1975:
	s_cmp_lt_i32 s2, 5
	s_cbranch_scc1 .LBB87_1980
; %bb.1976:
	s_cmp_lt_i32 s2, 8
	s_cbranch_scc1 .LBB87_1981
; %bb.1977:
	;; [unrolled: 3-line block ×3, first 2 shown]
	s_cmp_gt_i32 s2, 9
	s_cbranch_scc0 .LBB87_1983
; %bb.1979:
	global_load_b64 v[14:15], v[24:25], off
	s_mov_b32 s11, 0
	s_branch .LBB87_1984
.LBB87_1980:
	s_mov_b32 s11, -1
                                        ; implicit-def: $vgpr14_vgpr15
	s_branch .LBB87_2002
.LBB87_1981:
	s_mov_b32 s11, -1
                                        ; implicit-def: $vgpr14_vgpr15
	s_branch .LBB87_1990
.LBB87_1982:
	s_mov_b32 s11, -1
                                        ; implicit-def: $vgpr14_vgpr15
	s_branch .LBB87_1987
.LBB87_1983:
	s_mov_b32 s11, -1
                                        ; implicit-def: $vgpr14_vgpr15
.LBB87_1984:
	s_delay_alu instid0(SALU_CYCLE_1)
	s_and_not1_b32 vcc_lo, exec_lo, s11
	s_cbranch_vccnz .LBB87_1986
; %bb.1985:
	global_load_b32 v1, v[24:25], off
	s_wait_loadcnt 0x0
	v_cvt_f64_f32_e32 v[14:15], v1
.LBB87_1986:
	s_mov_b32 s11, 0
.LBB87_1987:
	s_delay_alu instid0(SALU_CYCLE_1)
	s_and_not1_b32 vcc_lo, exec_lo, s11
	s_cbranch_vccnz .LBB87_1989
; %bb.1988:
	global_load_b32 v1, v[24:25], off
	s_wait_loadcnt 0x0
	v_cvt_f32_f16_e32 v1, v1
	s_delay_alu instid0(VALU_DEP_1)
	v_cvt_f64_f32_e32 v[14:15], v1
.LBB87_1989:
	s_mov_b32 s11, 0
.LBB87_1990:
	s_delay_alu instid0(SALU_CYCLE_1)
	s_and_not1_b32 vcc_lo, exec_lo, s11
	s_cbranch_vccnz .LBB87_2001
; %bb.1991:
	s_cmp_lt_i32 s2, 6
	s_cbranch_scc1 .LBB87_1994
; %bb.1992:
	s_cmp_gt_i32 s2, 6
	s_cbranch_scc0 .LBB87_1995
; %bb.1993:
	s_wait_loadcnt 0x0
	global_load_b64 v[14:15], v[24:25], off
	s_mov_b32 s11, 0
	s_branch .LBB87_1996
.LBB87_1994:
	s_mov_b32 s11, -1
                                        ; implicit-def: $vgpr14_vgpr15
	s_branch .LBB87_1999
.LBB87_1995:
	s_mov_b32 s11, -1
                                        ; implicit-def: $vgpr14_vgpr15
.LBB87_1996:
	s_delay_alu instid0(SALU_CYCLE_1)
	s_and_not1_b32 vcc_lo, exec_lo, s11
	s_cbranch_vccnz .LBB87_1998
; %bb.1997:
	global_load_b32 v1, v[24:25], off
	s_wait_loadcnt 0x0
	v_cvt_f64_f32_e32 v[14:15], v1
.LBB87_1998:
	s_mov_b32 s11, 0
.LBB87_1999:
	s_delay_alu instid0(SALU_CYCLE_1)
	s_and_not1_b32 vcc_lo, exec_lo, s11
	s_cbranch_vccnz .LBB87_2001
; %bb.2000:
	global_load_u16 v1, v[24:25], off
	s_wait_loadcnt 0x0
	v_cvt_f32_f16_e32 v1, v1
	s_delay_alu instid0(VALU_DEP_1)
	v_cvt_f64_f32_e32 v[14:15], v1
.LBB87_2001:
	s_mov_b32 s11, 0
.LBB87_2002:
	s_delay_alu instid0(SALU_CYCLE_1)
	s_and_not1_b32 vcc_lo, exec_lo, s11
	s_cbranch_vccnz .LBB87_2022
; %bb.2003:
	s_cmp_lt_i32 s2, 2
	s_cbranch_scc1 .LBB87_2007
; %bb.2004:
	s_cmp_lt_i32 s2, 3
	s_cbranch_scc1 .LBB87_2008
; %bb.2005:
	s_cmp_gt_i32 s2, 3
	s_cbranch_scc0 .LBB87_2009
; %bb.2006:
	s_wait_loadcnt 0x0
	global_load_b64 v[14:15], v[24:25], off
	s_mov_b32 s11, 0
	s_wait_loadcnt 0x0
	v_cvt_f64_i32_e32 v[26:27], v15
	v_cvt_f64_u32_e32 v[14:15], v14
	s_delay_alu instid0(VALU_DEP_2) | instskip(NEXT) | instid1(VALU_DEP_1)
	v_ldexp_f64 v[26:27], v[26:27], 32
	v_add_f64_e32 v[14:15], v[26:27], v[14:15]
	s_branch .LBB87_2010
.LBB87_2007:
	s_mov_b32 s11, -1
                                        ; implicit-def: $vgpr14_vgpr15
	s_branch .LBB87_2016
.LBB87_2008:
	s_mov_b32 s11, -1
                                        ; implicit-def: $vgpr14_vgpr15
	s_branch .LBB87_2013
.LBB87_2009:
	s_mov_b32 s11, -1
                                        ; implicit-def: $vgpr14_vgpr15
.LBB87_2010:
	s_delay_alu instid0(SALU_CYCLE_1)
	s_and_not1_b32 vcc_lo, exec_lo, s11
	s_cbranch_vccnz .LBB87_2012
; %bb.2011:
	global_load_b32 v1, v[24:25], off
	s_wait_loadcnt 0x0
	v_cvt_f64_i32_e32 v[14:15], v1
.LBB87_2012:
	s_mov_b32 s11, 0
.LBB87_2013:
	s_delay_alu instid0(SALU_CYCLE_1)
	s_and_not1_b32 vcc_lo, exec_lo, s11
	s_cbranch_vccnz .LBB87_2015
; %bb.2014:
	global_load_i16 v1, v[24:25], off
	s_wait_loadcnt 0x0
	v_cvt_f64_i32_e32 v[14:15], v1
.LBB87_2015:
	s_mov_b32 s11, 0
.LBB87_2016:
	s_delay_alu instid0(SALU_CYCLE_1)
	s_and_not1_b32 vcc_lo, exec_lo, s11
	s_cbranch_vccnz .LBB87_2022
; %bb.2017:
	s_cmp_gt_i32 s2, 0
	s_mov_b32 s11, 0
	s_cbranch_scc0 .LBB87_2019
; %bb.2018:
	global_load_i8 v1, v[24:25], off
	s_wait_loadcnt 0x0
	v_cvt_f64_i32_e32 v[14:15], v1
	s_branch .LBB87_2020
.LBB87_2019:
	s_mov_b32 s11, -1
                                        ; implicit-def: $vgpr14_vgpr15
.LBB87_2020:
	s_delay_alu instid0(SALU_CYCLE_1)
	s_and_not1_b32 vcc_lo, exec_lo, s11
	s_cbranch_vccnz .LBB87_2022
; %bb.2021:
	global_load_u8 v1, v[24:25], off
	s_wait_loadcnt 0x0
	v_cvt_f64_u32_e32 v[14:15], v1
.LBB87_2022:
.LBB87_2023:
	v_mov_b32_e32 v19, 0
	s_and_b32 s10, 0xffff, s10
	s_delay_alu instid0(SALU_CYCLE_1) | instskip(SKIP_1) | instid1(VALU_DEP_1)
	s_cmp_lt_i32 s10, 11
	s_wait_xcnt 0x0
	v_add_nc_u64_e32 v[24:25], s[0:1], v[18:19]
	s_cbranch_scc1 .LBB87_2030
; %bb.2024:
	s_cmp_gt_i32 s10, 25
	s_mov_b32 s12, 0
	s_cbranch_scc0 .LBB87_2031
; %bb.2025:
	s_cmp_gt_i32 s10, 28
	s_cbranch_scc0 .LBB87_2032
; %bb.2026:
	s_cmp_gt_i32 s10, 43
	;; [unrolled: 3-line block ×3, first 2 shown]
	s_cbranch_scc0 .LBB87_2035
; %bb.2028:
	s_cmp_eq_u32 s10, 46
	s_mov_b32 s14, 0
	s_cbranch_scc0 .LBB87_2036
; %bb.2029:
	global_load_b32 v1, v[24:25], off
	s_mov_b32 s11, 0
	s_mov_b32 s13, -1
	s_wait_loadcnt 0x0
	v_lshlrev_b32_e32 v1, 16, v1
	s_delay_alu instid0(VALU_DEP_1)
	v_cvt_f64_f32_e32 v[18:19], v1
	s_branch .LBB87_2038
.LBB87_2030:
	s_mov_b32 s11, -1
	s_mov_b32 s13, 0
                                        ; implicit-def: $vgpr18_vgpr19
	s_branch .LBB87_2104
.LBB87_2031:
	s_mov_b32 s14, -1
	s_mov_b32 s13, 0
	s_mov_b32 s11, 0
                                        ; implicit-def: $vgpr18_vgpr19
	s_branch .LBB87_2067
.LBB87_2032:
	s_mov_b32 s14, -1
	s_mov_b32 s13, 0
	s_mov_b32 s11, 0
                                        ; implicit-def: $vgpr18_vgpr19
	s_branch .LBB87_2048
.LBB87_2033:
	s_mov_b32 s14, -1
	s_mov_b32 s13, 0
	s_mov_b32 s11, 0
                                        ; implicit-def: $vgpr18_vgpr19
	s_branch .LBB87_2043
.LBB87_2034:
	s_or_b32 s9, s9, exec_lo
	s_trap 2
	s_cbranch_execz .LBB87_1973
	s_branch .LBB87_1974
.LBB87_2035:
	s_mov_b32 s14, -1
	s_mov_b32 s13, 0
	s_mov_b32 s11, 0
	s_branch .LBB87_2037
.LBB87_2036:
	s_mov_b32 s11, -1
	s_mov_b32 s13, 0
.LBB87_2037:
                                        ; implicit-def: $vgpr18_vgpr19
.LBB87_2038:
	s_and_b32 vcc_lo, exec_lo, s14
	s_cbranch_vccz .LBB87_2042
; %bb.2039:
	s_cmp_eq_u32 s10, 44
	s_cbranch_scc0 .LBB87_2041
; %bb.2040:
	global_load_u8 v1, v[24:25], off
	s_mov_b32 s11, 0
	s_mov_b32 s13, -1
	s_wait_loadcnt 0x0
	v_lshlrev_b32_e32 v3, 23, v1
	v_cmp_ne_u32_e32 vcc_lo, 0xff, v1
	s_delay_alu instid0(VALU_DEP_2) | instskip(NEXT) | instid1(VALU_DEP_1)
	v_cvt_f64_f32_e32 v[18:19], v3
	v_cndmask_b32_e32 v3, 0x20000000, v18, vcc_lo
	s_delay_alu instid0(VALU_DEP_2) | instskip(SKIP_1) | instid1(VALU_DEP_2)
	v_cndmask_b32_e32 v5, 0x7ff80000, v19, vcc_lo
	v_cmp_ne_u32_e32 vcc_lo, 0, v1
	v_cndmask_b32_e32 v19, 0x38000000, v5, vcc_lo
	s_delay_alu instid0(VALU_DEP_4)
	v_cndmask_b32_e32 v18, 0, v3, vcc_lo
	s_branch .LBB87_2042
.LBB87_2041:
	s_mov_b32 s11, -1
                                        ; implicit-def: $vgpr18_vgpr19
.LBB87_2042:
	s_mov_b32 s14, 0
.LBB87_2043:
	s_delay_alu instid0(SALU_CYCLE_1)
	s_and_b32 vcc_lo, exec_lo, s14
	s_cbranch_vccz .LBB87_2047
; %bb.2044:
	s_cmp_eq_u32 s10, 29
	s_cbranch_scc0 .LBB87_2046
; %bb.2045:
	global_load_b64 v[18:19], v[24:25], off
	s_mov_b32 s11, 0
	s_mov_b32 s13, -1
	s_mov_b32 s14, 0
	s_wait_loadcnt 0x0
	v_cvt_f64_u32_e32 v[26:27], v19
	v_cvt_f64_u32_e32 v[18:19], v18
	s_delay_alu instid0(VALU_DEP_2) | instskip(NEXT) | instid1(VALU_DEP_1)
	v_ldexp_f64 v[26:27], v[26:27], 32
	v_add_f64_e32 v[18:19], v[26:27], v[18:19]
	s_branch .LBB87_2048
.LBB87_2046:
	s_mov_b32 s11, -1
                                        ; implicit-def: $vgpr18_vgpr19
.LBB87_2047:
	s_mov_b32 s14, 0
.LBB87_2048:
	s_delay_alu instid0(SALU_CYCLE_1)
	s_and_b32 vcc_lo, exec_lo, s14
	s_cbranch_vccz .LBB87_2066
; %bb.2049:
	s_cmp_lt_i32 s10, 27
	s_cbranch_scc1 .LBB87_2052
; %bb.2050:
	s_cmp_gt_i32 s10, 27
	s_cbranch_scc0 .LBB87_2053
; %bb.2051:
	global_load_b32 v1, v[24:25], off
	s_mov_b32 s13, 0
	s_wait_loadcnt 0x0
	v_cvt_f64_u32_e32 v[18:19], v1
	s_branch .LBB87_2054
.LBB87_2052:
	s_mov_b32 s13, -1
                                        ; implicit-def: $vgpr18_vgpr19
	s_branch .LBB87_2057
.LBB87_2053:
	s_mov_b32 s13, -1
                                        ; implicit-def: $vgpr18_vgpr19
.LBB87_2054:
	s_delay_alu instid0(SALU_CYCLE_1)
	s_and_not1_b32 vcc_lo, exec_lo, s13
	s_cbranch_vccnz .LBB87_2056
; %bb.2055:
	global_load_u16 v1, v[24:25], off
	s_wait_loadcnt 0x0
	v_cvt_f64_u32_e32 v[18:19], v1
.LBB87_2056:
	s_mov_b32 s13, 0
.LBB87_2057:
	s_delay_alu instid0(SALU_CYCLE_1)
	s_and_not1_b32 vcc_lo, exec_lo, s13
	s_cbranch_vccnz .LBB87_2065
; %bb.2058:
	global_load_u8 v1, v[24:25], off
	s_mov_b32 s13, 0
	s_mov_b32 s14, exec_lo
	s_wait_loadcnt 0x0
	v_cmpx_lt_i16_e32 0x7f, v1
	s_xor_b32 s14, exec_lo, s14
	s_cbranch_execz .LBB87_2079
; %bb.2059:
	s_mov_b32 s13, -1
	s_mov_b32 s15, exec_lo
	v_cmpx_eq_u16_e32 0x80, v1
; %bb.2060:
	s_xor_b32 s13, exec_lo, -1
; %bb.2061:
	s_or_b32 exec_lo, exec_lo, s15
	s_delay_alu instid0(SALU_CYCLE_1)
	s_and_b32 s13, s13, exec_lo
	s_or_saveexec_b32 s14, s14
	v_mov_b64_e32 v[18:19], 0x7ff8000020000000
	s_xor_b32 exec_lo, exec_lo, s14
	s_cbranch_execnz .LBB87_2080
.LBB87_2062:
	s_or_b32 exec_lo, exec_lo, s14
	s_and_saveexec_b32 s14, s13
	s_cbranch_execz .LBB87_2064
.LBB87_2063:
	v_and_b32_e32 v3, 0xffff, v1
	s_delay_alu instid0(VALU_DEP_1) | instskip(SKIP_1) | instid1(VALU_DEP_2)
	v_dual_lshlrev_b32 v1, 24, v1 :: v_dual_bitop2_b32 v5, 7, v3 bitop3:0x40
	v_bfe_u32 v17, v3, 3, 4
	v_and_b32_e32 v1, 0x80000000, v1
	s_delay_alu instid0(VALU_DEP_3) | instskip(NEXT) | instid1(VALU_DEP_3)
	v_clz_i32_u32_e32 v7, v5
	v_cmp_eq_u32_e32 vcc_lo, 0, v17
	s_delay_alu instid0(VALU_DEP_2) | instskip(NEXT) | instid1(VALU_DEP_1)
	v_min_u32_e32 v7, 32, v7
	v_subrev_nc_u32_e32 v11, 28, v7
	v_sub_nc_u32_e32 v7, 29, v7
	s_delay_alu instid0(VALU_DEP_2) | instskip(NEXT) | instid1(VALU_DEP_2)
	v_lshlrev_b32_e32 v3, v11, v3
	v_cndmask_b32_e32 v7, v17, v7, vcc_lo
	s_delay_alu instid0(VALU_DEP_2) | instskip(NEXT) | instid1(VALU_DEP_1)
	v_and_b32_e32 v3, 7, v3
	v_cndmask_b32_e32 v3, v5, v3, vcc_lo
	s_delay_alu instid0(VALU_DEP_3) | instskip(NEXT) | instid1(VALU_DEP_2)
	v_lshl_add_u32 v5, v7, 23, 0x3b800000
	v_lshlrev_b32_e32 v3, 20, v3
	s_delay_alu instid0(VALU_DEP_1) | instskip(NEXT) | instid1(VALU_DEP_1)
	v_or3_b32 v1, v1, v5, v3
	v_cvt_f64_f32_e32 v[18:19], v1
.LBB87_2064:
	s_or_b32 exec_lo, exec_lo, s14
.LBB87_2065:
	s_mov_b32 s13, -1
.LBB87_2066:
	s_mov_b32 s14, 0
.LBB87_2067:
	s_delay_alu instid0(SALU_CYCLE_1)
	s_and_b32 vcc_lo, exec_lo, s14
	s_cbranch_vccz .LBB87_2100
; %bb.2068:
	s_cmp_gt_i32 s10, 22
	s_cbranch_scc0 .LBB87_2078
; %bb.2069:
	s_cmp_lt_i32 s10, 24
	s_cbranch_scc1 .LBB87_2081
; %bb.2070:
	s_cmp_gt_i32 s10, 24
	s_cbranch_scc0 .LBB87_2082
; %bb.2071:
	global_load_u8 v1, v[24:25], off
	s_mov_b32 s13, exec_lo
	s_wait_loadcnt 0x0
	v_cmpx_lt_i16_e32 0x7f, v1
	s_xor_b32 s13, exec_lo, s13
	s_cbranch_execz .LBB87_2094
; %bb.2072:
	s_mov_b32 s12, -1
	s_mov_b32 s14, exec_lo
	v_cmpx_eq_u16_e32 0x80, v1
; %bb.2073:
	s_xor_b32 s12, exec_lo, -1
; %bb.2074:
	s_or_b32 exec_lo, exec_lo, s14
	s_delay_alu instid0(SALU_CYCLE_1)
	s_and_b32 s12, s12, exec_lo
	s_or_saveexec_b32 s13, s13
	v_mov_b64_e32 v[18:19], 0x7ff8000020000000
	s_xor_b32 exec_lo, exec_lo, s13
	s_cbranch_execnz .LBB87_2095
.LBB87_2075:
	s_or_b32 exec_lo, exec_lo, s13
	s_and_saveexec_b32 s13, s12
	s_cbranch_execz .LBB87_2077
.LBB87_2076:
	v_and_b32_e32 v3, 0xffff, v1
	s_delay_alu instid0(VALU_DEP_1) | instskip(SKIP_1) | instid1(VALU_DEP_2)
	v_dual_lshlrev_b32 v1, 24, v1 :: v_dual_bitop2_b32 v5, 3, v3 bitop3:0x40
	v_bfe_u32 v17, v3, 2, 5
	v_and_b32_e32 v1, 0x80000000, v1
	s_delay_alu instid0(VALU_DEP_3) | instskip(NEXT) | instid1(VALU_DEP_3)
	v_clz_i32_u32_e32 v7, v5
	v_cmp_eq_u32_e32 vcc_lo, 0, v17
	s_delay_alu instid0(VALU_DEP_2) | instskip(NEXT) | instid1(VALU_DEP_1)
	v_min_u32_e32 v7, 32, v7
	v_subrev_nc_u32_e32 v11, 29, v7
	v_sub_nc_u32_e32 v7, 30, v7
	s_delay_alu instid0(VALU_DEP_2) | instskip(NEXT) | instid1(VALU_DEP_2)
	v_lshlrev_b32_e32 v3, v11, v3
	v_cndmask_b32_e32 v7, v17, v7, vcc_lo
	s_delay_alu instid0(VALU_DEP_2) | instskip(NEXT) | instid1(VALU_DEP_1)
	v_and_b32_e32 v3, 3, v3
	v_cndmask_b32_e32 v3, v5, v3, vcc_lo
	s_delay_alu instid0(VALU_DEP_3) | instskip(NEXT) | instid1(VALU_DEP_2)
	v_lshl_add_u32 v5, v7, 23, 0x37800000
	v_lshlrev_b32_e32 v3, 21, v3
	s_delay_alu instid0(VALU_DEP_1) | instskip(NEXT) | instid1(VALU_DEP_1)
	v_or3_b32 v1, v1, v5, v3
	v_cvt_f64_f32_e32 v[18:19], v1
.LBB87_2077:
	s_or_b32 exec_lo, exec_lo, s13
	s_mov_b32 s12, 0
	s_branch .LBB87_2083
.LBB87_2078:
	s_mov_b32 s12, -1
                                        ; implicit-def: $vgpr18_vgpr19
	s_branch .LBB87_2089
.LBB87_2079:
	s_or_saveexec_b32 s14, s14
	v_mov_b64_e32 v[18:19], 0x7ff8000020000000
	s_xor_b32 exec_lo, exec_lo, s14
	s_cbranch_execz .LBB87_2062
.LBB87_2080:
	v_cmp_ne_u16_e32 vcc_lo, 0, v1
	v_mov_b64_e32 v[18:19], 0
	s_and_not1_b32 s13, s13, exec_lo
	s_and_b32 s15, vcc_lo, exec_lo
	s_delay_alu instid0(SALU_CYCLE_1)
	s_or_b32 s13, s13, s15
	s_or_b32 exec_lo, exec_lo, s14
	s_and_saveexec_b32 s14, s13
	s_cbranch_execnz .LBB87_2063
	s_branch .LBB87_2064
.LBB87_2081:
	s_mov_b32 s12, -1
                                        ; implicit-def: $vgpr18_vgpr19
	s_branch .LBB87_2086
.LBB87_2082:
	s_mov_b32 s12, -1
                                        ; implicit-def: $vgpr18_vgpr19
.LBB87_2083:
	s_delay_alu instid0(SALU_CYCLE_1)
	s_and_b32 vcc_lo, exec_lo, s12
	s_cbranch_vccz .LBB87_2085
; %bb.2084:
	global_load_u8 v1, v[24:25], off
	s_wait_loadcnt 0x0
	v_lshlrev_b32_e32 v1, 24, v1
	s_delay_alu instid0(VALU_DEP_1) | instskip(NEXT) | instid1(VALU_DEP_1)
	v_and_b32_e32 v3, 0x7f000000, v1
	v_clz_i32_u32_e32 v5, v3
	v_add_nc_u32_e32 v11, 0x1000000, v3
	v_cmp_ne_u32_e32 vcc_lo, 0, v3
	s_delay_alu instid0(VALU_DEP_3) | instskip(NEXT) | instid1(VALU_DEP_1)
	v_min_u32_e32 v5, 32, v5
	v_sub_nc_u32_e64 v5, v5, 4 clamp
	s_delay_alu instid0(VALU_DEP_1) | instskip(NEXT) | instid1(VALU_DEP_1)
	v_dual_lshlrev_b32 v7, v5, v3 :: v_dual_lshlrev_b32 v5, 23, v5
	v_lshrrev_b32_e32 v7, 4, v7
	s_delay_alu instid0(VALU_DEP_1) | instskip(NEXT) | instid1(VALU_DEP_1)
	v_dual_sub_nc_u32 v5, v7, v5 :: v_dual_ashrrev_i32 v7, 8, v11
	v_add_nc_u32_e32 v5, 0x3c000000, v5
	s_delay_alu instid0(VALU_DEP_1) | instskip(NEXT) | instid1(VALU_DEP_1)
	v_and_or_b32 v5, 0x7f800000, v7, v5
	v_cndmask_b32_e32 v3, 0, v5, vcc_lo
	s_delay_alu instid0(VALU_DEP_1) | instskip(NEXT) | instid1(VALU_DEP_1)
	v_and_or_b32 v1, 0x80000000, v1, v3
	v_cvt_f64_f32_e32 v[18:19], v1
.LBB87_2085:
	s_mov_b32 s12, 0
.LBB87_2086:
	s_delay_alu instid0(SALU_CYCLE_1)
	s_and_not1_b32 vcc_lo, exec_lo, s12
	s_cbranch_vccnz .LBB87_2088
; %bb.2087:
	global_load_u8 v1, v[24:25], off
	s_wait_loadcnt 0x0
	v_lshlrev_b32_e32 v3, 25, v1
	v_lshlrev_b16 v1, 8, v1
	s_delay_alu instid0(VALU_DEP_1) | instskip(SKIP_1) | instid1(VALU_DEP_2)
	v_and_or_b32 v7, 0x7f00, v1, 0.5
	v_bfe_i32 v1, v1, 0, 16
	v_add_f32_e32 v7, -0.5, v7
	v_lshrrev_b32_e32 v5, 4, v3
	v_cmp_gt_u32_e32 vcc_lo, 0x8000000, v3
	s_delay_alu instid0(VALU_DEP_2) | instskip(NEXT) | instid1(VALU_DEP_1)
	v_or_b32_e32 v5, 0x70000000, v5
	v_mul_f32_e32 v5, 0x7800000, v5
	s_delay_alu instid0(VALU_DEP_1) | instskip(NEXT) | instid1(VALU_DEP_1)
	v_cndmask_b32_e32 v3, v5, v7, vcc_lo
	v_and_or_b32 v1, 0x80000000, v1, v3
	s_delay_alu instid0(VALU_DEP_1)
	v_cvt_f64_f32_e32 v[18:19], v1
.LBB87_2088:
	s_mov_b32 s12, 0
	s_mov_b32 s13, -1
.LBB87_2089:
	s_and_not1_b32 vcc_lo, exec_lo, s12
	s_mov_b32 s12, 0
	s_cbranch_vccnz .LBB87_2100
; %bb.2090:
	s_cmp_gt_i32 s10, 14
	s_cbranch_scc0 .LBB87_2093
; %bb.2091:
	s_cmp_eq_u32 s10, 15
	s_cbranch_scc0 .LBB87_2096
; %bb.2092:
	global_load_u16 v1, v[24:25], off
	s_mov_b32 s11, 0
	s_mov_b32 s13, -1
	s_wait_loadcnt 0x0
	v_lshlrev_b32_e32 v1, 16, v1
	s_delay_alu instid0(VALU_DEP_1)
	v_cvt_f64_f32_e32 v[18:19], v1
	s_branch .LBB87_2098
.LBB87_2093:
	s_mov_b32 s12, -1
	s_branch .LBB87_2097
.LBB87_2094:
	s_or_saveexec_b32 s13, s13
	v_mov_b64_e32 v[18:19], 0x7ff8000020000000
	s_xor_b32 exec_lo, exec_lo, s13
	s_cbranch_execz .LBB87_2075
.LBB87_2095:
	v_cmp_ne_u16_e32 vcc_lo, 0, v1
	v_mov_b64_e32 v[18:19], 0
	s_and_not1_b32 s12, s12, exec_lo
	s_and_b32 s14, vcc_lo, exec_lo
	s_delay_alu instid0(SALU_CYCLE_1)
	s_or_b32 s12, s12, s14
	s_or_b32 exec_lo, exec_lo, s13
	s_and_saveexec_b32 s13, s12
	s_cbranch_execnz .LBB87_2076
	s_branch .LBB87_2077
.LBB87_2096:
	s_mov_b32 s11, -1
.LBB87_2097:
                                        ; implicit-def: $vgpr18_vgpr19
.LBB87_2098:
	s_and_b32 vcc_lo, exec_lo, s12
	s_mov_b32 s12, 0
	s_cbranch_vccz .LBB87_2100
; %bb.2099:
	s_cmp_lg_u32 s10, 11
	s_mov_b32 s12, -1
	s_cselect_b32 s11, -1, 0
.LBB87_2100:
	s_delay_alu instid0(SALU_CYCLE_1)
	s_and_b32 vcc_lo, exec_lo, s11
	s_cbranch_vccnz .LBB87_2165
; %bb.2101:
	s_and_not1_b32 vcc_lo, exec_lo, s12
	s_cbranch_vccnz .LBB87_2103
.LBB87_2102:
	global_load_u8 v1, v[24:25], off
	v_mov_b32_e32 v18, 0
	s_mov_b32 s13, -1
	s_wait_loadcnt 0x0
	v_cmp_ne_u16_e32 vcc_lo, 0, v1
	v_cndmask_b32_e64 v19, 0, 0x3ff00000, vcc_lo
.LBB87_2103:
	s_mov_b32 s11, 0
.LBB87_2104:
	s_delay_alu instid0(SALU_CYCLE_1)
	s_and_b32 vcc_lo, exec_lo, s11
	s_cbranch_vccz .LBB87_2153
; %bb.2105:
	s_cmp_lt_i32 s10, 5
	s_cbranch_scc1 .LBB87_2110
; %bb.2106:
	s_cmp_lt_i32 s10, 8
	s_cbranch_scc1 .LBB87_2111
	;; [unrolled: 3-line block ×3, first 2 shown]
; %bb.2108:
	s_cmp_gt_i32 s10, 9
	s_cbranch_scc0 .LBB87_2113
; %bb.2109:
	global_load_b64 v[18:19], v[24:25], off
	s_mov_b32 s11, 0
	s_branch .LBB87_2114
.LBB87_2110:
	s_mov_b32 s11, -1
                                        ; implicit-def: $vgpr18_vgpr19
	s_branch .LBB87_2132
.LBB87_2111:
	s_mov_b32 s11, -1
                                        ; implicit-def: $vgpr18_vgpr19
	s_branch .LBB87_2120
.LBB87_2112:
	s_mov_b32 s11, -1
                                        ; implicit-def: $vgpr18_vgpr19
	s_branch .LBB87_2117
.LBB87_2113:
	s_mov_b32 s11, -1
                                        ; implicit-def: $vgpr18_vgpr19
.LBB87_2114:
	s_delay_alu instid0(SALU_CYCLE_1)
	s_and_not1_b32 vcc_lo, exec_lo, s11
	s_cbranch_vccnz .LBB87_2116
; %bb.2115:
	global_load_b32 v1, v[24:25], off
	s_wait_loadcnt 0x0
	v_cvt_f64_f32_e32 v[18:19], v1
.LBB87_2116:
	s_mov_b32 s11, 0
.LBB87_2117:
	s_delay_alu instid0(SALU_CYCLE_1)
	s_and_not1_b32 vcc_lo, exec_lo, s11
	s_cbranch_vccnz .LBB87_2119
; %bb.2118:
	global_load_b32 v1, v[24:25], off
	s_wait_loadcnt 0x0
	v_cvt_f32_f16_e32 v1, v1
	s_delay_alu instid0(VALU_DEP_1)
	v_cvt_f64_f32_e32 v[18:19], v1
.LBB87_2119:
	s_mov_b32 s11, 0
.LBB87_2120:
	s_delay_alu instid0(SALU_CYCLE_1)
	s_and_not1_b32 vcc_lo, exec_lo, s11
	s_cbranch_vccnz .LBB87_2131
; %bb.2121:
	s_cmp_lt_i32 s10, 6
	s_cbranch_scc1 .LBB87_2124
; %bb.2122:
	s_cmp_gt_i32 s10, 6
	s_cbranch_scc0 .LBB87_2125
; %bb.2123:
	s_wait_loadcnt 0x0
	global_load_b64 v[18:19], v[24:25], off
	s_mov_b32 s11, 0
	s_branch .LBB87_2126
.LBB87_2124:
	s_mov_b32 s11, -1
                                        ; implicit-def: $vgpr18_vgpr19
	s_branch .LBB87_2129
.LBB87_2125:
	s_mov_b32 s11, -1
                                        ; implicit-def: $vgpr18_vgpr19
.LBB87_2126:
	s_delay_alu instid0(SALU_CYCLE_1)
	s_and_not1_b32 vcc_lo, exec_lo, s11
	s_cbranch_vccnz .LBB87_2128
; %bb.2127:
	global_load_b32 v1, v[24:25], off
	s_wait_loadcnt 0x0
	v_cvt_f64_f32_e32 v[18:19], v1
.LBB87_2128:
	s_mov_b32 s11, 0
.LBB87_2129:
	s_delay_alu instid0(SALU_CYCLE_1)
	s_and_not1_b32 vcc_lo, exec_lo, s11
	s_cbranch_vccnz .LBB87_2131
; %bb.2130:
	global_load_u16 v1, v[24:25], off
	s_wait_loadcnt 0x0
	v_cvt_f32_f16_e32 v1, v1
	s_delay_alu instid0(VALU_DEP_1)
	v_cvt_f64_f32_e32 v[18:19], v1
.LBB87_2131:
	s_mov_b32 s11, 0
.LBB87_2132:
	s_delay_alu instid0(SALU_CYCLE_1)
	s_and_not1_b32 vcc_lo, exec_lo, s11
	s_cbranch_vccnz .LBB87_2152
; %bb.2133:
	s_cmp_lt_i32 s10, 2
	s_cbranch_scc1 .LBB87_2137
; %bb.2134:
	s_cmp_lt_i32 s10, 3
	s_cbranch_scc1 .LBB87_2138
; %bb.2135:
	s_cmp_gt_i32 s10, 3
	s_cbranch_scc0 .LBB87_2139
; %bb.2136:
	s_wait_loadcnt 0x0
	global_load_b64 v[18:19], v[24:25], off
	s_mov_b32 s11, 0
	s_wait_loadcnt 0x0
	v_cvt_f64_i32_e32 v[26:27], v19
	v_cvt_f64_u32_e32 v[18:19], v18
	s_delay_alu instid0(VALU_DEP_2) | instskip(NEXT) | instid1(VALU_DEP_1)
	v_ldexp_f64 v[26:27], v[26:27], 32
	v_add_f64_e32 v[18:19], v[26:27], v[18:19]
	s_branch .LBB87_2140
.LBB87_2137:
	s_mov_b32 s11, -1
                                        ; implicit-def: $vgpr18_vgpr19
	s_branch .LBB87_2146
.LBB87_2138:
	s_mov_b32 s11, -1
                                        ; implicit-def: $vgpr18_vgpr19
	s_branch .LBB87_2143
.LBB87_2139:
	s_mov_b32 s11, -1
                                        ; implicit-def: $vgpr18_vgpr19
.LBB87_2140:
	s_delay_alu instid0(SALU_CYCLE_1)
	s_and_not1_b32 vcc_lo, exec_lo, s11
	s_cbranch_vccnz .LBB87_2142
; %bb.2141:
	global_load_b32 v1, v[24:25], off
	s_wait_loadcnt 0x0
	v_cvt_f64_i32_e32 v[18:19], v1
.LBB87_2142:
	s_mov_b32 s11, 0
.LBB87_2143:
	s_delay_alu instid0(SALU_CYCLE_1)
	s_and_not1_b32 vcc_lo, exec_lo, s11
	s_cbranch_vccnz .LBB87_2145
; %bb.2144:
	global_load_i16 v1, v[24:25], off
	s_wait_loadcnt 0x0
	v_cvt_f64_i32_e32 v[18:19], v1
.LBB87_2145:
	s_mov_b32 s11, 0
.LBB87_2146:
	s_delay_alu instid0(SALU_CYCLE_1)
	s_and_not1_b32 vcc_lo, exec_lo, s11
	s_cbranch_vccnz .LBB87_2152
; %bb.2147:
	s_cmp_gt_i32 s10, 0
	s_mov_b32 s11, 0
	s_cbranch_scc0 .LBB87_2149
; %bb.2148:
	global_load_i8 v1, v[24:25], off
	s_wait_loadcnt 0x0
	v_cvt_f64_i32_e32 v[18:19], v1
	s_branch .LBB87_2150
.LBB87_2149:
	s_mov_b32 s11, -1
                                        ; implicit-def: $vgpr18_vgpr19
.LBB87_2150:
	s_delay_alu instid0(SALU_CYCLE_1)
	s_and_not1_b32 vcc_lo, exec_lo, s11
	s_cbranch_vccnz .LBB87_2152
; %bb.2151:
	global_load_u8 v1, v[24:25], off
	s_wait_loadcnt 0x0
	v_cvt_f64_u32_e32 v[18:19], v1
.LBB87_2152:
	s_mov_b32 s13, -1
.LBB87_2153:
	s_delay_alu instid0(SALU_CYCLE_1)
	s_and_not1_b32 vcc_lo, exec_lo, s13
	s_cbranch_vccnz .LBB87_3112
; %bb.2154:
	v_mov_b32_e32 v21, 0
	s_cmp_lt_i32 s2, 11
	s_wait_xcnt 0x0
	s_delay_alu instid0(VALU_DEP_1)
	v_add_nc_u64_e32 v[24:25], s[6:7], v[20:21]
	s_cbranch_scc1 .LBB87_2161
; %bb.2155:
	s_cmp_gt_i32 s2, 25
	s_mov_b32 s12, 0
	s_cbranch_scc0 .LBB87_2162
; %bb.2156:
	s_cmp_gt_i32 s2, 28
	s_cbranch_scc0 .LBB87_2163
; %bb.2157:
	s_cmp_gt_i32 s2, 43
	;; [unrolled: 3-line block ×3, first 2 shown]
	s_cbranch_scc0 .LBB87_2166
; %bb.2159:
	s_cmp_eq_u32 s2, 46
	s_mov_b32 s14, 0
	s_cbranch_scc0 .LBB87_2167
; %bb.2160:
	global_load_b32 v1, v[24:25], off
	s_mov_b32 s11, 0
	s_mov_b32 s13, -1
	s_wait_loadcnt 0x0
	v_lshlrev_b32_e32 v1, 16, v1
	s_delay_alu instid0(VALU_DEP_1)
	v_cvt_f64_f32_e32 v[20:21], v1
	s_branch .LBB87_2169
.LBB87_2161:
	s_mov_b32 s11, -1
	s_mov_b32 s13, 0
                                        ; implicit-def: $vgpr20_vgpr21
	s_branch .LBB87_2235
.LBB87_2162:
	s_mov_b32 s14, -1
	s_mov_b32 s13, 0
	s_mov_b32 s11, 0
                                        ; implicit-def: $vgpr20_vgpr21
	s_branch .LBB87_2198
.LBB87_2163:
	s_mov_b32 s14, -1
	s_mov_b32 s13, 0
	s_mov_b32 s11, 0
                                        ; implicit-def: $vgpr20_vgpr21
	s_branch .LBB87_2179
.LBB87_2164:
	s_mov_b32 s14, -1
	s_mov_b32 s13, 0
	s_mov_b32 s11, 0
                                        ; implicit-def: $vgpr20_vgpr21
	s_branch .LBB87_2174
.LBB87_2165:
	s_or_b32 s9, s9, exec_lo
	s_trap 2
	s_cbranch_execz .LBB87_2102
	s_branch .LBB87_2103
.LBB87_2166:
	s_mov_b32 s14, -1
	s_mov_b32 s13, 0
	s_mov_b32 s11, 0
	s_branch .LBB87_2168
.LBB87_2167:
	s_mov_b32 s11, -1
	s_mov_b32 s13, 0
.LBB87_2168:
                                        ; implicit-def: $vgpr20_vgpr21
.LBB87_2169:
	s_and_b32 vcc_lo, exec_lo, s14
	s_cbranch_vccz .LBB87_2173
; %bb.2170:
	s_cmp_eq_u32 s2, 44
	s_cbranch_scc0 .LBB87_2172
; %bb.2171:
	global_load_u8 v1, v[24:25], off
	s_mov_b32 s11, 0
	s_mov_b32 s13, -1
	s_wait_loadcnt 0x0
	v_lshlrev_b32_e32 v3, 23, v1
	v_cmp_ne_u32_e32 vcc_lo, 0xff, v1
	s_delay_alu instid0(VALU_DEP_2) | instskip(NEXT) | instid1(VALU_DEP_1)
	v_cvt_f64_f32_e32 v[20:21], v3
	v_cndmask_b32_e32 v3, 0x20000000, v20, vcc_lo
	s_delay_alu instid0(VALU_DEP_2) | instskip(SKIP_1) | instid1(VALU_DEP_2)
	v_cndmask_b32_e32 v5, 0x7ff80000, v21, vcc_lo
	v_cmp_ne_u32_e32 vcc_lo, 0, v1
	v_cndmask_b32_e32 v21, 0x38000000, v5, vcc_lo
	s_delay_alu instid0(VALU_DEP_4)
	v_cndmask_b32_e32 v20, 0, v3, vcc_lo
	s_branch .LBB87_2173
.LBB87_2172:
	s_mov_b32 s11, -1
                                        ; implicit-def: $vgpr20_vgpr21
.LBB87_2173:
	s_mov_b32 s14, 0
.LBB87_2174:
	s_delay_alu instid0(SALU_CYCLE_1)
	s_and_b32 vcc_lo, exec_lo, s14
	s_cbranch_vccz .LBB87_2178
; %bb.2175:
	s_cmp_eq_u32 s2, 29
	s_cbranch_scc0 .LBB87_2177
; %bb.2176:
	global_load_b64 v[20:21], v[24:25], off
	s_mov_b32 s11, 0
	s_mov_b32 s13, -1
	s_mov_b32 s14, 0
	s_wait_loadcnt 0x0
	v_cvt_f64_u32_e32 v[26:27], v21
	v_cvt_f64_u32_e32 v[20:21], v20
	s_delay_alu instid0(VALU_DEP_2) | instskip(NEXT) | instid1(VALU_DEP_1)
	v_ldexp_f64 v[26:27], v[26:27], 32
	v_add_f64_e32 v[20:21], v[26:27], v[20:21]
	s_branch .LBB87_2179
.LBB87_2177:
	s_mov_b32 s11, -1
                                        ; implicit-def: $vgpr20_vgpr21
.LBB87_2178:
	s_mov_b32 s14, 0
.LBB87_2179:
	s_delay_alu instid0(SALU_CYCLE_1)
	s_and_b32 vcc_lo, exec_lo, s14
	s_cbranch_vccz .LBB87_2197
; %bb.2180:
	s_cmp_lt_i32 s2, 27
	s_cbranch_scc1 .LBB87_2183
; %bb.2181:
	s_cmp_gt_i32 s2, 27
	s_cbranch_scc0 .LBB87_2184
; %bb.2182:
	global_load_b32 v1, v[24:25], off
	s_mov_b32 s13, 0
	s_wait_loadcnt 0x0
	v_cvt_f64_u32_e32 v[20:21], v1
	s_branch .LBB87_2185
.LBB87_2183:
	s_mov_b32 s13, -1
                                        ; implicit-def: $vgpr20_vgpr21
	s_branch .LBB87_2188
.LBB87_2184:
	s_mov_b32 s13, -1
                                        ; implicit-def: $vgpr20_vgpr21
.LBB87_2185:
	s_delay_alu instid0(SALU_CYCLE_1)
	s_and_not1_b32 vcc_lo, exec_lo, s13
	s_cbranch_vccnz .LBB87_2187
; %bb.2186:
	global_load_u16 v1, v[24:25], off
	s_wait_loadcnt 0x0
	v_cvt_f64_u32_e32 v[20:21], v1
.LBB87_2187:
	s_mov_b32 s13, 0
.LBB87_2188:
	s_delay_alu instid0(SALU_CYCLE_1)
	s_and_not1_b32 vcc_lo, exec_lo, s13
	s_cbranch_vccnz .LBB87_2196
; %bb.2189:
	global_load_u8 v1, v[24:25], off
	s_mov_b32 s13, 0
	s_mov_b32 s14, exec_lo
	s_wait_loadcnt 0x0
	v_cmpx_lt_i16_e32 0x7f, v1
	s_xor_b32 s14, exec_lo, s14
	s_cbranch_execz .LBB87_2210
; %bb.2190:
	s_mov_b32 s13, -1
	s_mov_b32 s15, exec_lo
	v_cmpx_eq_u16_e32 0x80, v1
; %bb.2191:
	s_xor_b32 s13, exec_lo, -1
; %bb.2192:
	s_or_b32 exec_lo, exec_lo, s15
	s_delay_alu instid0(SALU_CYCLE_1)
	s_and_b32 s13, s13, exec_lo
	s_or_saveexec_b32 s14, s14
	v_mov_b64_e32 v[20:21], 0x7ff8000020000000
	s_xor_b32 exec_lo, exec_lo, s14
	s_cbranch_execnz .LBB87_2211
.LBB87_2193:
	s_or_b32 exec_lo, exec_lo, s14
	s_and_saveexec_b32 s14, s13
	s_cbranch_execz .LBB87_2195
.LBB87_2194:
	v_and_b32_e32 v3, 0xffff, v1
	s_delay_alu instid0(VALU_DEP_1) | instskip(SKIP_1) | instid1(VALU_DEP_2)
	v_dual_lshlrev_b32 v1, 24, v1 :: v_dual_bitop2_b32 v5, 7, v3 bitop3:0x40
	v_bfe_u32 v17, v3, 3, 4
	v_and_b32_e32 v1, 0x80000000, v1
	s_delay_alu instid0(VALU_DEP_3) | instskip(NEXT) | instid1(VALU_DEP_3)
	v_clz_i32_u32_e32 v7, v5
	v_cmp_eq_u32_e32 vcc_lo, 0, v17
	s_delay_alu instid0(VALU_DEP_2) | instskip(NEXT) | instid1(VALU_DEP_1)
	v_min_u32_e32 v7, 32, v7
	v_subrev_nc_u32_e32 v11, 28, v7
	v_sub_nc_u32_e32 v7, 29, v7
	s_delay_alu instid0(VALU_DEP_2) | instskip(NEXT) | instid1(VALU_DEP_2)
	v_lshlrev_b32_e32 v3, v11, v3
	v_cndmask_b32_e32 v7, v17, v7, vcc_lo
	s_delay_alu instid0(VALU_DEP_2) | instskip(NEXT) | instid1(VALU_DEP_1)
	v_and_b32_e32 v3, 7, v3
	v_cndmask_b32_e32 v3, v5, v3, vcc_lo
	s_delay_alu instid0(VALU_DEP_3) | instskip(NEXT) | instid1(VALU_DEP_2)
	v_lshl_add_u32 v5, v7, 23, 0x3b800000
	v_lshlrev_b32_e32 v3, 20, v3
	s_delay_alu instid0(VALU_DEP_1) | instskip(NEXT) | instid1(VALU_DEP_1)
	v_or3_b32 v1, v1, v5, v3
	v_cvt_f64_f32_e32 v[20:21], v1
.LBB87_2195:
	s_or_b32 exec_lo, exec_lo, s14
.LBB87_2196:
	s_mov_b32 s13, -1
.LBB87_2197:
	s_mov_b32 s14, 0
.LBB87_2198:
	s_delay_alu instid0(SALU_CYCLE_1)
	s_and_b32 vcc_lo, exec_lo, s14
	s_cbranch_vccz .LBB87_2231
; %bb.2199:
	s_cmp_gt_i32 s2, 22
	s_cbranch_scc0 .LBB87_2209
; %bb.2200:
	s_cmp_lt_i32 s2, 24
	s_cbranch_scc1 .LBB87_2212
; %bb.2201:
	s_cmp_gt_i32 s2, 24
	s_cbranch_scc0 .LBB87_2213
; %bb.2202:
	global_load_u8 v1, v[24:25], off
	s_mov_b32 s13, exec_lo
	s_wait_loadcnt 0x0
	v_cmpx_lt_i16_e32 0x7f, v1
	s_xor_b32 s13, exec_lo, s13
	s_cbranch_execz .LBB87_2225
; %bb.2203:
	s_mov_b32 s12, -1
	s_mov_b32 s14, exec_lo
	v_cmpx_eq_u16_e32 0x80, v1
; %bb.2204:
	s_xor_b32 s12, exec_lo, -1
; %bb.2205:
	s_or_b32 exec_lo, exec_lo, s14
	s_delay_alu instid0(SALU_CYCLE_1)
	s_and_b32 s12, s12, exec_lo
	s_or_saveexec_b32 s13, s13
	v_mov_b64_e32 v[20:21], 0x7ff8000020000000
	s_xor_b32 exec_lo, exec_lo, s13
	s_cbranch_execnz .LBB87_2226
.LBB87_2206:
	s_or_b32 exec_lo, exec_lo, s13
	s_and_saveexec_b32 s13, s12
	s_cbranch_execz .LBB87_2208
.LBB87_2207:
	v_and_b32_e32 v3, 0xffff, v1
	s_delay_alu instid0(VALU_DEP_1) | instskip(SKIP_1) | instid1(VALU_DEP_2)
	v_dual_lshlrev_b32 v1, 24, v1 :: v_dual_bitop2_b32 v5, 3, v3 bitop3:0x40
	v_bfe_u32 v17, v3, 2, 5
	v_and_b32_e32 v1, 0x80000000, v1
	s_delay_alu instid0(VALU_DEP_3) | instskip(NEXT) | instid1(VALU_DEP_3)
	v_clz_i32_u32_e32 v7, v5
	v_cmp_eq_u32_e32 vcc_lo, 0, v17
	s_delay_alu instid0(VALU_DEP_2) | instskip(NEXT) | instid1(VALU_DEP_1)
	v_min_u32_e32 v7, 32, v7
	v_subrev_nc_u32_e32 v11, 29, v7
	v_sub_nc_u32_e32 v7, 30, v7
	s_delay_alu instid0(VALU_DEP_2) | instskip(NEXT) | instid1(VALU_DEP_2)
	v_lshlrev_b32_e32 v3, v11, v3
	v_cndmask_b32_e32 v7, v17, v7, vcc_lo
	s_delay_alu instid0(VALU_DEP_2) | instskip(NEXT) | instid1(VALU_DEP_1)
	v_and_b32_e32 v3, 3, v3
	v_cndmask_b32_e32 v3, v5, v3, vcc_lo
	s_delay_alu instid0(VALU_DEP_3) | instskip(NEXT) | instid1(VALU_DEP_2)
	v_lshl_add_u32 v5, v7, 23, 0x37800000
	v_lshlrev_b32_e32 v3, 21, v3
	s_delay_alu instid0(VALU_DEP_1) | instskip(NEXT) | instid1(VALU_DEP_1)
	v_or3_b32 v1, v1, v5, v3
	v_cvt_f64_f32_e32 v[20:21], v1
.LBB87_2208:
	s_or_b32 exec_lo, exec_lo, s13
	s_mov_b32 s12, 0
	s_branch .LBB87_2214
.LBB87_2209:
	s_mov_b32 s12, -1
                                        ; implicit-def: $vgpr20_vgpr21
	s_branch .LBB87_2220
.LBB87_2210:
	s_or_saveexec_b32 s14, s14
	v_mov_b64_e32 v[20:21], 0x7ff8000020000000
	s_xor_b32 exec_lo, exec_lo, s14
	s_cbranch_execz .LBB87_2193
.LBB87_2211:
	v_cmp_ne_u16_e32 vcc_lo, 0, v1
	v_mov_b64_e32 v[20:21], 0
	s_and_not1_b32 s13, s13, exec_lo
	s_and_b32 s15, vcc_lo, exec_lo
	s_delay_alu instid0(SALU_CYCLE_1)
	s_or_b32 s13, s13, s15
	s_or_b32 exec_lo, exec_lo, s14
	s_and_saveexec_b32 s14, s13
	s_cbranch_execnz .LBB87_2194
	s_branch .LBB87_2195
.LBB87_2212:
	s_mov_b32 s12, -1
                                        ; implicit-def: $vgpr20_vgpr21
	s_branch .LBB87_2217
.LBB87_2213:
	s_mov_b32 s12, -1
                                        ; implicit-def: $vgpr20_vgpr21
.LBB87_2214:
	s_delay_alu instid0(SALU_CYCLE_1)
	s_and_b32 vcc_lo, exec_lo, s12
	s_cbranch_vccz .LBB87_2216
; %bb.2215:
	global_load_u8 v1, v[24:25], off
	s_wait_loadcnt 0x0
	v_lshlrev_b32_e32 v1, 24, v1
	s_delay_alu instid0(VALU_DEP_1) | instskip(NEXT) | instid1(VALU_DEP_1)
	v_and_b32_e32 v3, 0x7f000000, v1
	v_clz_i32_u32_e32 v5, v3
	v_add_nc_u32_e32 v11, 0x1000000, v3
	v_cmp_ne_u32_e32 vcc_lo, 0, v3
	s_delay_alu instid0(VALU_DEP_3) | instskip(NEXT) | instid1(VALU_DEP_1)
	v_min_u32_e32 v5, 32, v5
	v_sub_nc_u32_e64 v5, v5, 4 clamp
	s_delay_alu instid0(VALU_DEP_1) | instskip(NEXT) | instid1(VALU_DEP_1)
	v_dual_lshlrev_b32 v7, v5, v3 :: v_dual_lshlrev_b32 v5, 23, v5
	v_lshrrev_b32_e32 v7, 4, v7
	s_delay_alu instid0(VALU_DEP_1) | instskip(NEXT) | instid1(VALU_DEP_1)
	v_dual_sub_nc_u32 v5, v7, v5 :: v_dual_ashrrev_i32 v7, 8, v11
	v_add_nc_u32_e32 v5, 0x3c000000, v5
	s_delay_alu instid0(VALU_DEP_1) | instskip(NEXT) | instid1(VALU_DEP_1)
	v_and_or_b32 v5, 0x7f800000, v7, v5
	v_cndmask_b32_e32 v3, 0, v5, vcc_lo
	s_delay_alu instid0(VALU_DEP_1) | instskip(NEXT) | instid1(VALU_DEP_1)
	v_and_or_b32 v1, 0x80000000, v1, v3
	v_cvt_f64_f32_e32 v[20:21], v1
.LBB87_2216:
	s_mov_b32 s12, 0
.LBB87_2217:
	s_delay_alu instid0(SALU_CYCLE_1)
	s_and_not1_b32 vcc_lo, exec_lo, s12
	s_cbranch_vccnz .LBB87_2219
; %bb.2218:
	global_load_u8 v1, v[24:25], off
	s_wait_loadcnt 0x0
	v_lshlrev_b32_e32 v3, 25, v1
	v_lshlrev_b16 v1, 8, v1
	s_delay_alu instid0(VALU_DEP_1) | instskip(SKIP_1) | instid1(VALU_DEP_2)
	v_and_or_b32 v7, 0x7f00, v1, 0.5
	v_bfe_i32 v1, v1, 0, 16
	v_add_f32_e32 v7, -0.5, v7
	v_lshrrev_b32_e32 v5, 4, v3
	v_cmp_gt_u32_e32 vcc_lo, 0x8000000, v3
	s_delay_alu instid0(VALU_DEP_2) | instskip(NEXT) | instid1(VALU_DEP_1)
	v_or_b32_e32 v5, 0x70000000, v5
	v_mul_f32_e32 v5, 0x7800000, v5
	s_delay_alu instid0(VALU_DEP_1) | instskip(NEXT) | instid1(VALU_DEP_1)
	v_cndmask_b32_e32 v3, v5, v7, vcc_lo
	v_and_or_b32 v1, 0x80000000, v1, v3
	s_delay_alu instid0(VALU_DEP_1)
	v_cvt_f64_f32_e32 v[20:21], v1
.LBB87_2219:
	s_mov_b32 s12, 0
	s_mov_b32 s13, -1
.LBB87_2220:
	s_and_not1_b32 vcc_lo, exec_lo, s12
	s_mov_b32 s12, 0
	s_cbranch_vccnz .LBB87_2231
; %bb.2221:
	s_cmp_gt_i32 s2, 14
	s_cbranch_scc0 .LBB87_2224
; %bb.2222:
	s_cmp_eq_u32 s2, 15
	s_cbranch_scc0 .LBB87_2227
; %bb.2223:
	global_load_u16 v1, v[24:25], off
	s_mov_b32 s11, 0
	s_mov_b32 s13, -1
	s_wait_loadcnt 0x0
	v_lshlrev_b32_e32 v1, 16, v1
	s_delay_alu instid0(VALU_DEP_1)
	v_cvt_f64_f32_e32 v[20:21], v1
	s_branch .LBB87_2229
.LBB87_2224:
	s_mov_b32 s12, -1
	s_branch .LBB87_2228
.LBB87_2225:
	s_or_saveexec_b32 s13, s13
	v_mov_b64_e32 v[20:21], 0x7ff8000020000000
	s_xor_b32 exec_lo, exec_lo, s13
	s_cbranch_execz .LBB87_2206
.LBB87_2226:
	v_cmp_ne_u16_e32 vcc_lo, 0, v1
	v_mov_b64_e32 v[20:21], 0
	s_and_not1_b32 s12, s12, exec_lo
	s_and_b32 s14, vcc_lo, exec_lo
	s_delay_alu instid0(SALU_CYCLE_1)
	s_or_b32 s12, s12, s14
	s_or_b32 exec_lo, exec_lo, s13
	s_and_saveexec_b32 s13, s12
	s_cbranch_execnz .LBB87_2207
	s_branch .LBB87_2208
.LBB87_2227:
	s_mov_b32 s11, -1
.LBB87_2228:
                                        ; implicit-def: $vgpr20_vgpr21
.LBB87_2229:
	s_and_b32 vcc_lo, exec_lo, s12
	s_mov_b32 s12, 0
	s_cbranch_vccz .LBB87_2231
; %bb.2230:
	s_cmp_lg_u32 s2, 11
	s_mov_b32 s12, -1
	s_cselect_b32 s11, -1, 0
.LBB87_2231:
	s_delay_alu instid0(SALU_CYCLE_1)
	s_and_b32 vcc_lo, exec_lo, s11
	s_cbranch_vccnz .LBB87_2296
; %bb.2232:
	s_and_not1_b32 vcc_lo, exec_lo, s12
	s_cbranch_vccnz .LBB87_2234
.LBB87_2233:
	global_load_u8 v1, v[24:25], off
	v_mov_b32_e32 v20, 0
	s_mov_b32 s13, -1
	s_wait_loadcnt 0x0
	v_cmp_ne_u16_e32 vcc_lo, 0, v1
	v_cndmask_b32_e64 v21, 0, 0x3ff00000, vcc_lo
.LBB87_2234:
	s_mov_b32 s11, 0
.LBB87_2235:
	s_delay_alu instid0(SALU_CYCLE_1)
	s_and_b32 vcc_lo, exec_lo, s11
	s_cbranch_vccz .LBB87_2284
; %bb.2236:
	s_cmp_lt_i32 s2, 5
	s_cbranch_scc1 .LBB87_2241
; %bb.2237:
	s_cmp_lt_i32 s2, 8
	s_cbranch_scc1 .LBB87_2242
	;; [unrolled: 3-line block ×3, first 2 shown]
; %bb.2239:
	s_cmp_gt_i32 s2, 9
	s_cbranch_scc0 .LBB87_2244
; %bb.2240:
	global_load_b64 v[20:21], v[24:25], off
	s_mov_b32 s11, 0
	s_branch .LBB87_2245
.LBB87_2241:
	s_mov_b32 s11, -1
                                        ; implicit-def: $vgpr20_vgpr21
	s_branch .LBB87_2263
.LBB87_2242:
	s_mov_b32 s11, -1
                                        ; implicit-def: $vgpr20_vgpr21
	s_branch .LBB87_2251
.LBB87_2243:
	s_mov_b32 s11, -1
                                        ; implicit-def: $vgpr20_vgpr21
	s_branch .LBB87_2248
.LBB87_2244:
	s_mov_b32 s11, -1
                                        ; implicit-def: $vgpr20_vgpr21
.LBB87_2245:
	s_delay_alu instid0(SALU_CYCLE_1)
	s_and_not1_b32 vcc_lo, exec_lo, s11
	s_cbranch_vccnz .LBB87_2247
; %bb.2246:
	global_load_b32 v1, v[24:25], off
	s_wait_loadcnt 0x0
	v_cvt_f64_f32_e32 v[20:21], v1
.LBB87_2247:
	s_mov_b32 s11, 0
.LBB87_2248:
	s_delay_alu instid0(SALU_CYCLE_1)
	s_and_not1_b32 vcc_lo, exec_lo, s11
	s_cbranch_vccnz .LBB87_2250
; %bb.2249:
	global_load_b32 v1, v[24:25], off
	s_wait_loadcnt 0x0
	v_cvt_f32_f16_e32 v1, v1
	s_delay_alu instid0(VALU_DEP_1)
	v_cvt_f64_f32_e32 v[20:21], v1
.LBB87_2250:
	s_mov_b32 s11, 0
.LBB87_2251:
	s_delay_alu instid0(SALU_CYCLE_1)
	s_and_not1_b32 vcc_lo, exec_lo, s11
	s_cbranch_vccnz .LBB87_2262
; %bb.2252:
	s_cmp_lt_i32 s2, 6
	s_cbranch_scc1 .LBB87_2255
; %bb.2253:
	s_cmp_gt_i32 s2, 6
	s_cbranch_scc0 .LBB87_2256
; %bb.2254:
	s_wait_loadcnt 0x0
	global_load_b64 v[20:21], v[24:25], off
	s_mov_b32 s11, 0
	s_branch .LBB87_2257
.LBB87_2255:
	s_mov_b32 s11, -1
                                        ; implicit-def: $vgpr20_vgpr21
	s_branch .LBB87_2260
.LBB87_2256:
	s_mov_b32 s11, -1
                                        ; implicit-def: $vgpr20_vgpr21
.LBB87_2257:
	s_delay_alu instid0(SALU_CYCLE_1)
	s_and_not1_b32 vcc_lo, exec_lo, s11
	s_cbranch_vccnz .LBB87_2259
; %bb.2258:
	global_load_b32 v1, v[24:25], off
	s_wait_loadcnt 0x0
	v_cvt_f64_f32_e32 v[20:21], v1
.LBB87_2259:
	s_mov_b32 s11, 0
.LBB87_2260:
	s_delay_alu instid0(SALU_CYCLE_1)
	s_and_not1_b32 vcc_lo, exec_lo, s11
	s_cbranch_vccnz .LBB87_2262
; %bb.2261:
	global_load_u16 v1, v[24:25], off
	s_wait_loadcnt 0x0
	v_cvt_f32_f16_e32 v1, v1
	s_delay_alu instid0(VALU_DEP_1)
	v_cvt_f64_f32_e32 v[20:21], v1
.LBB87_2262:
	s_mov_b32 s11, 0
.LBB87_2263:
	s_delay_alu instid0(SALU_CYCLE_1)
	s_and_not1_b32 vcc_lo, exec_lo, s11
	s_cbranch_vccnz .LBB87_2283
; %bb.2264:
	s_cmp_lt_i32 s2, 2
	s_cbranch_scc1 .LBB87_2268
; %bb.2265:
	s_cmp_lt_i32 s2, 3
	s_cbranch_scc1 .LBB87_2269
; %bb.2266:
	s_cmp_gt_i32 s2, 3
	s_cbranch_scc0 .LBB87_2270
; %bb.2267:
	s_wait_loadcnt 0x0
	global_load_b64 v[20:21], v[24:25], off
	s_mov_b32 s11, 0
	s_wait_loadcnt 0x0
	v_cvt_f64_i32_e32 v[26:27], v21
	v_cvt_f64_u32_e32 v[20:21], v20
	s_delay_alu instid0(VALU_DEP_2) | instskip(NEXT) | instid1(VALU_DEP_1)
	v_ldexp_f64 v[26:27], v[26:27], 32
	v_add_f64_e32 v[20:21], v[26:27], v[20:21]
	s_branch .LBB87_2271
.LBB87_2268:
	s_mov_b32 s11, -1
                                        ; implicit-def: $vgpr20_vgpr21
	s_branch .LBB87_2277
.LBB87_2269:
	s_mov_b32 s11, -1
                                        ; implicit-def: $vgpr20_vgpr21
	s_branch .LBB87_2274
.LBB87_2270:
	s_mov_b32 s11, -1
                                        ; implicit-def: $vgpr20_vgpr21
.LBB87_2271:
	s_delay_alu instid0(SALU_CYCLE_1)
	s_and_not1_b32 vcc_lo, exec_lo, s11
	s_cbranch_vccnz .LBB87_2273
; %bb.2272:
	global_load_b32 v1, v[24:25], off
	s_wait_loadcnt 0x0
	v_cvt_f64_i32_e32 v[20:21], v1
.LBB87_2273:
	s_mov_b32 s11, 0
.LBB87_2274:
	s_delay_alu instid0(SALU_CYCLE_1)
	s_and_not1_b32 vcc_lo, exec_lo, s11
	s_cbranch_vccnz .LBB87_2276
; %bb.2275:
	global_load_i16 v1, v[24:25], off
	s_wait_loadcnt 0x0
	v_cvt_f64_i32_e32 v[20:21], v1
.LBB87_2276:
	s_mov_b32 s11, 0
.LBB87_2277:
	s_delay_alu instid0(SALU_CYCLE_1)
	s_and_not1_b32 vcc_lo, exec_lo, s11
	s_cbranch_vccnz .LBB87_2283
; %bb.2278:
	s_cmp_gt_i32 s2, 0
	s_mov_b32 s11, 0
	s_cbranch_scc0 .LBB87_2280
; %bb.2279:
	global_load_i8 v1, v[24:25], off
	s_wait_loadcnt 0x0
	v_cvt_f64_i32_e32 v[20:21], v1
	s_branch .LBB87_2281
.LBB87_2280:
	s_mov_b32 s11, -1
                                        ; implicit-def: $vgpr20_vgpr21
.LBB87_2281:
	s_delay_alu instid0(SALU_CYCLE_1)
	s_and_not1_b32 vcc_lo, exec_lo, s11
	s_cbranch_vccnz .LBB87_2283
; %bb.2282:
	global_load_u8 v1, v[24:25], off
	s_wait_loadcnt 0x0
	v_cvt_f64_u32_e32 v[20:21], v1
.LBB87_2283:
	s_mov_b32 s13, -1
.LBB87_2284:
	s_delay_alu instid0(SALU_CYCLE_1)
	s_and_not1_b32 vcc_lo, exec_lo, s13
	s_cbranch_vccnz .LBB87_3112
; %bb.2285:
	v_mov_b32_e32 v23, 0
	s_cmp_lt_i32 s10, 11
	s_wait_xcnt 0x0
	s_delay_alu instid0(VALU_DEP_1)
	v_add_nc_u64_e32 v[24:25], s[0:1], v[22:23]
	s_cbranch_scc1 .LBB87_2292
; %bb.2286:
	s_cmp_gt_i32 s10, 25
	s_mov_b32 s12, 0
	s_cbranch_scc0 .LBB87_2293
; %bb.2287:
	s_cmp_gt_i32 s10, 28
	s_cbranch_scc0 .LBB87_2294
; %bb.2288:
	s_cmp_gt_i32 s10, 43
	;; [unrolled: 3-line block ×3, first 2 shown]
	s_cbranch_scc0 .LBB87_2297
; %bb.2290:
	s_cmp_eq_u32 s10, 46
	s_mov_b32 s14, 0
	s_cbranch_scc0 .LBB87_2300
; %bb.2291:
	global_load_b32 v1, v[24:25], off
	s_mov_b32 s11, 0
	s_mov_b32 s13, -1
	s_wait_loadcnt 0x0
	v_lshlrev_b32_e32 v1, 16, v1
	s_delay_alu instid0(VALU_DEP_1)
	v_cvt_f64_f32_e32 v[22:23], v1
	s_branch .LBB87_2302
.LBB87_2292:
	s_mov_b32 s11, -1
	s_mov_b32 s13, 0
                                        ; implicit-def: $vgpr22_vgpr23
	s_branch .LBB87_2368
.LBB87_2293:
	s_mov_b32 s14, -1
	s_mov_b32 s13, 0
	s_mov_b32 s11, 0
                                        ; implicit-def: $vgpr22_vgpr23
	s_branch .LBB87_2331
.LBB87_2294:
	s_mov_b32 s14, -1
	s_mov_b32 s13, 0
	s_mov_b32 s11, 0
                                        ; implicit-def: $vgpr22_vgpr23
	s_branch .LBB87_2312
.LBB87_2295:
	s_mov_b32 s14, -1
	s_mov_b32 s13, 0
	s_mov_b32 s11, 0
                                        ; implicit-def: $vgpr22_vgpr23
	s_branch .LBB87_2307
.LBB87_2296:
	s_or_b32 s9, s9, exec_lo
	s_trap 2
	s_cbranch_execz .LBB87_2233
	s_branch .LBB87_2234
.LBB87_2297:
	s_mov_b32 s14, -1
	s_mov_b32 s13, 0
	s_mov_b32 s11, 0
	s_branch .LBB87_2301
.LBB87_2298:
	s_and_not1_saveexec_b32 s53, s53
	s_cbranch_execz .LBB87_1121
.LBB87_2299:
	v_add_f32_e32 v1, 0x42800000, v4
	s_and_not1_b32 s52, s52, exec_lo
	s_delay_alu instid0(VALU_DEP_1) | instskip(NEXT) | instid1(VALU_DEP_1)
	v_and_b32_e32 v1, 0xff, v1
	v_cmp_ne_u32_e32 vcc_lo, 0, v1
	s_and_b32 s54, vcc_lo, exec_lo
	s_delay_alu instid0(SALU_CYCLE_1)
	s_or_b32 s52, s52, s54
	s_or_b32 exec_lo, exec_lo, s53
	v_mov_b32_e32 v5, 0
	s_and_saveexec_b32 s53, s52
	s_cbranch_execnz .LBB87_1122
	s_branch .LBB87_1123
.LBB87_2300:
	s_mov_b32 s11, -1
	s_mov_b32 s13, 0
.LBB87_2301:
                                        ; implicit-def: $vgpr22_vgpr23
.LBB87_2302:
	s_and_b32 vcc_lo, exec_lo, s14
	s_cbranch_vccz .LBB87_2306
; %bb.2303:
	s_cmp_eq_u32 s10, 44
	s_cbranch_scc0 .LBB87_2305
; %bb.2304:
	global_load_u8 v1, v[24:25], off
	s_mov_b32 s11, 0
	s_mov_b32 s13, -1
	s_wait_loadcnt 0x0
	v_lshlrev_b32_e32 v3, 23, v1
	v_cmp_ne_u32_e32 vcc_lo, 0xff, v1
	s_delay_alu instid0(VALU_DEP_2) | instskip(NEXT) | instid1(VALU_DEP_1)
	v_cvt_f64_f32_e32 v[22:23], v3
	v_cndmask_b32_e32 v3, 0x20000000, v22, vcc_lo
	s_delay_alu instid0(VALU_DEP_2) | instskip(SKIP_1) | instid1(VALU_DEP_2)
	v_cndmask_b32_e32 v5, 0x7ff80000, v23, vcc_lo
	v_cmp_ne_u32_e32 vcc_lo, 0, v1
	v_cndmask_b32_e32 v23, 0x38000000, v5, vcc_lo
	s_delay_alu instid0(VALU_DEP_4)
	v_cndmask_b32_e32 v22, 0, v3, vcc_lo
	s_branch .LBB87_2306
.LBB87_2305:
	s_mov_b32 s11, -1
                                        ; implicit-def: $vgpr22_vgpr23
.LBB87_2306:
	s_mov_b32 s14, 0
.LBB87_2307:
	s_delay_alu instid0(SALU_CYCLE_1)
	s_and_b32 vcc_lo, exec_lo, s14
	s_cbranch_vccz .LBB87_2311
; %bb.2308:
	s_cmp_eq_u32 s10, 29
	s_cbranch_scc0 .LBB87_2310
; %bb.2309:
	global_load_b64 v[22:23], v[24:25], off
	s_mov_b32 s11, 0
	s_mov_b32 s13, -1
	s_mov_b32 s14, 0
	s_wait_loadcnt 0x0
	v_cvt_f64_u32_e32 v[26:27], v23
	v_cvt_f64_u32_e32 v[22:23], v22
	s_delay_alu instid0(VALU_DEP_2) | instskip(NEXT) | instid1(VALU_DEP_1)
	v_ldexp_f64 v[26:27], v[26:27], 32
	v_add_f64_e32 v[22:23], v[26:27], v[22:23]
	s_branch .LBB87_2312
.LBB87_2310:
	s_mov_b32 s11, -1
                                        ; implicit-def: $vgpr22_vgpr23
.LBB87_2311:
	s_mov_b32 s14, 0
.LBB87_2312:
	s_delay_alu instid0(SALU_CYCLE_1)
	s_and_b32 vcc_lo, exec_lo, s14
	s_cbranch_vccz .LBB87_2330
; %bb.2313:
	s_cmp_lt_i32 s10, 27
	s_cbranch_scc1 .LBB87_2316
; %bb.2314:
	s_cmp_gt_i32 s10, 27
	s_cbranch_scc0 .LBB87_2317
; %bb.2315:
	global_load_b32 v1, v[24:25], off
	s_mov_b32 s13, 0
	s_wait_loadcnt 0x0
	v_cvt_f64_u32_e32 v[22:23], v1
	s_branch .LBB87_2318
.LBB87_2316:
	s_mov_b32 s13, -1
                                        ; implicit-def: $vgpr22_vgpr23
	s_branch .LBB87_2321
.LBB87_2317:
	s_mov_b32 s13, -1
                                        ; implicit-def: $vgpr22_vgpr23
.LBB87_2318:
	s_delay_alu instid0(SALU_CYCLE_1)
	s_and_not1_b32 vcc_lo, exec_lo, s13
	s_cbranch_vccnz .LBB87_2320
; %bb.2319:
	global_load_u16 v1, v[24:25], off
	s_wait_loadcnt 0x0
	v_cvt_f64_u32_e32 v[22:23], v1
.LBB87_2320:
	s_mov_b32 s13, 0
.LBB87_2321:
	s_delay_alu instid0(SALU_CYCLE_1)
	s_and_not1_b32 vcc_lo, exec_lo, s13
	s_cbranch_vccnz .LBB87_2329
; %bb.2322:
	global_load_u8 v1, v[24:25], off
	s_mov_b32 s13, 0
	s_mov_b32 s14, exec_lo
	s_wait_loadcnt 0x0
	v_cmpx_lt_i16_e32 0x7f, v1
	s_xor_b32 s14, exec_lo, s14
	s_cbranch_execz .LBB87_2343
; %bb.2323:
	s_mov_b32 s13, -1
	s_mov_b32 s15, exec_lo
	v_cmpx_eq_u16_e32 0x80, v1
; %bb.2324:
	s_xor_b32 s13, exec_lo, -1
; %bb.2325:
	s_or_b32 exec_lo, exec_lo, s15
	s_delay_alu instid0(SALU_CYCLE_1)
	s_and_b32 s13, s13, exec_lo
	s_or_saveexec_b32 s14, s14
	v_mov_b64_e32 v[22:23], 0x7ff8000020000000
	s_xor_b32 exec_lo, exec_lo, s14
	s_cbranch_execnz .LBB87_2344
.LBB87_2326:
	s_or_b32 exec_lo, exec_lo, s14
	s_and_saveexec_b32 s14, s13
	s_cbranch_execz .LBB87_2328
.LBB87_2327:
	v_and_b32_e32 v3, 0xffff, v1
	s_delay_alu instid0(VALU_DEP_1) | instskip(SKIP_1) | instid1(VALU_DEP_2)
	v_dual_lshlrev_b32 v1, 24, v1 :: v_dual_bitop2_b32 v5, 7, v3 bitop3:0x40
	v_bfe_u32 v17, v3, 3, 4
	v_and_b32_e32 v1, 0x80000000, v1
	s_delay_alu instid0(VALU_DEP_3) | instskip(NEXT) | instid1(VALU_DEP_3)
	v_clz_i32_u32_e32 v7, v5
	v_cmp_eq_u32_e32 vcc_lo, 0, v17
	s_delay_alu instid0(VALU_DEP_2) | instskip(NEXT) | instid1(VALU_DEP_1)
	v_min_u32_e32 v7, 32, v7
	v_subrev_nc_u32_e32 v11, 28, v7
	v_sub_nc_u32_e32 v7, 29, v7
	s_delay_alu instid0(VALU_DEP_2) | instskip(NEXT) | instid1(VALU_DEP_2)
	v_lshlrev_b32_e32 v3, v11, v3
	v_cndmask_b32_e32 v7, v17, v7, vcc_lo
	s_delay_alu instid0(VALU_DEP_2) | instskip(NEXT) | instid1(VALU_DEP_1)
	v_and_b32_e32 v3, 7, v3
	v_cndmask_b32_e32 v3, v5, v3, vcc_lo
	s_delay_alu instid0(VALU_DEP_3) | instskip(NEXT) | instid1(VALU_DEP_2)
	v_lshl_add_u32 v5, v7, 23, 0x3b800000
	v_lshlrev_b32_e32 v3, 20, v3
	s_delay_alu instid0(VALU_DEP_1) | instskip(NEXT) | instid1(VALU_DEP_1)
	v_or3_b32 v1, v1, v5, v3
	v_cvt_f64_f32_e32 v[22:23], v1
.LBB87_2328:
	s_or_b32 exec_lo, exec_lo, s14
.LBB87_2329:
	s_mov_b32 s13, -1
.LBB87_2330:
	s_mov_b32 s14, 0
.LBB87_2331:
	s_delay_alu instid0(SALU_CYCLE_1)
	s_and_b32 vcc_lo, exec_lo, s14
	s_cbranch_vccz .LBB87_2364
; %bb.2332:
	s_cmp_gt_i32 s10, 22
	s_cbranch_scc0 .LBB87_2342
; %bb.2333:
	s_cmp_lt_i32 s10, 24
	s_cbranch_scc1 .LBB87_2345
; %bb.2334:
	s_cmp_gt_i32 s10, 24
	s_cbranch_scc0 .LBB87_2346
; %bb.2335:
	global_load_u8 v1, v[24:25], off
	s_mov_b32 s13, exec_lo
	s_wait_loadcnt 0x0
	v_cmpx_lt_i16_e32 0x7f, v1
	s_xor_b32 s13, exec_lo, s13
	s_cbranch_execz .LBB87_2358
; %bb.2336:
	s_mov_b32 s12, -1
	s_mov_b32 s14, exec_lo
	v_cmpx_eq_u16_e32 0x80, v1
; %bb.2337:
	s_xor_b32 s12, exec_lo, -1
; %bb.2338:
	s_or_b32 exec_lo, exec_lo, s14
	s_delay_alu instid0(SALU_CYCLE_1)
	s_and_b32 s12, s12, exec_lo
	s_or_saveexec_b32 s13, s13
	v_mov_b64_e32 v[22:23], 0x7ff8000020000000
	s_xor_b32 exec_lo, exec_lo, s13
	s_cbranch_execnz .LBB87_2359
.LBB87_2339:
	s_or_b32 exec_lo, exec_lo, s13
	s_and_saveexec_b32 s13, s12
	s_cbranch_execz .LBB87_2341
.LBB87_2340:
	v_and_b32_e32 v3, 0xffff, v1
	s_delay_alu instid0(VALU_DEP_1) | instskip(SKIP_1) | instid1(VALU_DEP_2)
	v_dual_lshlrev_b32 v1, 24, v1 :: v_dual_bitop2_b32 v5, 3, v3 bitop3:0x40
	v_bfe_u32 v17, v3, 2, 5
	v_and_b32_e32 v1, 0x80000000, v1
	s_delay_alu instid0(VALU_DEP_3) | instskip(NEXT) | instid1(VALU_DEP_3)
	v_clz_i32_u32_e32 v7, v5
	v_cmp_eq_u32_e32 vcc_lo, 0, v17
	s_delay_alu instid0(VALU_DEP_2) | instskip(NEXT) | instid1(VALU_DEP_1)
	v_min_u32_e32 v7, 32, v7
	v_subrev_nc_u32_e32 v11, 29, v7
	v_sub_nc_u32_e32 v7, 30, v7
	s_delay_alu instid0(VALU_DEP_2) | instskip(NEXT) | instid1(VALU_DEP_2)
	v_lshlrev_b32_e32 v3, v11, v3
	v_cndmask_b32_e32 v7, v17, v7, vcc_lo
	s_delay_alu instid0(VALU_DEP_2) | instskip(NEXT) | instid1(VALU_DEP_1)
	v_and_b32_e32 v3, 3, v3
	v_cndmask_b32_e32 v3, v5, v3, vcc_lo
	s_delay_alu instid0(VALU_DEP_3) | instskip(NEXT) | instid1(VALU_DEP_2)
	v_lshl_add_u32 v5, v7, 23, 0x37800000
	v_lshlrev_b32_e32 v3, 21, v3
	s_delay_alu instid0(VALU_DEP_1) | instskip(NEXT) | instid1(VALU_DEP_1)
	v_or3_b32 v1, v1, v5, v3
	v_cvt_f64_f32_e32 v[22:23], v1
.LBB87_2341:
	s_or_b32 exec_lo, exec_lo, s13
	s_mov_b32 s12, 0
	s_branch .LBB87_2347
.LBB87_2342:
	s_mov_b32 s12, -1
                                        ; implicit-def: $vgpr22_vgpr23
	s_branch .LBB87_2353
.LBB87_2343:
	s_or_saveexec_b32 s14, s14
	v_mov_b64_e32 v[22:23], 0x7ff8000020000000
	s_xor_b32 exec_lo, exec_lo, s14
	s_cbranch_execz .LBB87_2326
.LBB87_2344:
	v_cmp_ne_u16_e32 vcc_lo, 0, v1
	v_mov_b64_e32 v[22:23], 0
	s_and_not1_b32 s13, s13, exec_lo
	s_and_b32 s15, vcc_lo, exec_lo
	s_delay_alu instid0(SALU_CYCLE_1)
	s_or_b32 s13, s13, s15
	s_or_b32 exec_lo, exec_lo, s14
	s_and_saveexec_b32 s14, s13
	s_cbranch_execnz .LBB87_2327
	s_branch .LBB87_2328
.LBB87_2345:
	s_mov_b32 s12, -1
                                        ; implicit-def: $vgpr22_vgpr23
	s_branch .LBB87_2350
.LBB87_2346:
	s_mov_b32 s12, -1
                                        ; implicit-def: $vgpr22_vgpr23
.LBB87_2347:
	s_delay_alu instid0(SALU_CYCLE_1)
	s_and_b32 vcc_lo, exec_lo, s12
	s_cbranch_vccz .LBB87_2349
; %bb.2348:
	global_load_u8 v1, v[24:25], off
	s_wait_loadcnt 0x0
	v_lshlrev_b32_e32 v1, 24, v1
	s_delay_alu instid0(VALU_DEP_1) | instskip(NEXT) | instid1(VALU_DEP_1)
	v_and_b32_e32 v3, 0x7f000000, v1
	v_clz_i32_u32_e32 v5, v3
	v_add_nc_u32_e32 v11, 0x1000000, v3
	v_cmp_ne_u32_e32 vcc_lo, 0, v3
	s_delay_alu instid0(VALU_DEP_3) | instskip(NEXT) | instid1(VALU_DEP_1)
	v_min_u32_e32 v5, 32, v5
	v_sub_nc_u32_e64 v5, v5, 4 clamp
	s_delay_alu instid0(VALU_DEP_1) | instskip(NEXT) | instid1(VALU_DEP_1)
	v_dual_lshlrev_b32 v7, v5, v3 :: v_dual_lshlrev_b32 v5, 23, v5
	v_lshrrev_b32_e32 v7, 4, v7
	s_delay_alu instid0(VALU_DEP_1) | instskip(NEXT) | instid1(VALU_DEP_1)
	v_dual_sub_nc_u32 v5, v7, v5 :: v_dual_ashrrev_i32 v7, 8, v11
	v_add_nc_u32_e32 v5, 0x3c000000, v5
	s_delay_alu instid0(VALU_DEP_1) | instskip(NEXT) | instid1(VALU_DEP_1)
	v_and_or_b32 v5, 0x7f800000, v7, v5
	v_cndmask_b32_e32 v3, 0, v5, vcc_lo
	s_delay_alu instid0(VALU_DEP_1) | instskip(NEXT) | instid1(VALU_DEP_1)
	v_and_or_b32 v1, 0x80000000, v1, v3
	v_cvt_f64_f32_e32 v[22:23], v1
.LBB87_2349:
	s_mov_b32 s12, 0
.LBB87_2350:
	s_delay_alu instid0(SALU_CYCLE_1)
	s_and_not1_b32 vcc_lo, exec_lo, s12
	s_cbranch_vccnz .LBB87_2352
; %bb.2351:
	global_load_u8 v1, v[24:25], off
	s_wait_loadcnt 0x0
	v_lshlrev_b32_e32 v3, 25, v1
	v_lshlrev_b16 v1, 8, v1
	s_delay_alu instid0(VALU_DEP_1) | instskip(SKIP_1) | instid1(VALU_DEP_2)
	v_and_or_b32 v7, 0x7f00, v1, 0.5
	v_bfe_i32 v1, v1, 0, 16
	v_add_f32_e32 v7, -0.5, v7
	v_lshrrev_b32_e32 v5, 4, v3
	v_cmp_gt_u32_e32 vcc_lo, 0x8000000, v3
	s_delay_alu instid0(VALU_DEP_2) | instskip(NEXT) | instid1(VALU_DEP_1)
	v_or_b32_e32 v5, 0x70000000, v5
	v_mul_f32_e32 v5, 0x7800000, v5
	s_delay_alu instid0(VALU_DEP_1) | instskip(NEXT) | instid1(VALU_DEP_1)
	v_cndmask_b32_e32 v3, v5, v7, vcc_lo
	v_and_or_b32 v1, 0x80000000, v1, v3
	s_delay_alu instid0(VALU_DEP_1)
	v_cvt_f64_f32_e32 v[22:23], v1
.LBB87_2352:
	s_mov_b32 s12, 0
	s_mov_b32 s13, -1
.LBB87_2353:
	s_and_not1_b32 vcc_lo, exec_lo, s12
	s_mov_b32 s12, 0
	s_cbranch_vccnz .LBB87_2364
; %bb.2354:
	s_cmp_gt_i32 s10, 14
	s_cbranch_scc0 .LBB87_2357
; %bb.2355:
	s_cmp_eq_u32 s10, 15
	s_cbranch_scc0 .LBB87_2360
; %bb.2356:
	global_load_u16 v1, v[24:25], off
	s_mov_b32 s11, 0
	s_mov_b32 s13, -1
	s_wait_loadcnt 0x0
	v_lshlrev_b32_e32 v1, 16, v1
	s_delay_alu instid0(VALU_DEP_1)
	v_cvt_f64_f32_e32 v[22:23], v1
	s_branch .LBB87_2362
.LBB87_2357:
	s_mov_b32 s12, -1
	s_branch .LBB87_2361
.LBB87_2358:
	s_or_saveexec_b32 s13, s13
	v_mov_b64_e32 v[22:23], 0x7ff8000020000000
	s_xor_b32 exec_lo, exec_lo, s13
	s_cbranch_execz .LBB87_2339
.LBB87_2359:
	v_cmp_ne_u16_e32 vcc_lo, 0, v1
	v_mov_b64_e32 v[22:23], 0
	s_and_not1_b32 s12, s12, exec_lo
	s_and_b32 s14, vcc_lo, exec_lo
	s_delay_alu instid0(SALU_CYCLE_1)
	s_or_b32 s12, s12, s14
	s_or_b32 exec_lo, exec_lo, s13
	s_and_saveexec_b32 s13, s12
	s_cbranch_execnz .LBB87_2340
	s_branch .LBB87_2341
.LBB87_2360:
	s_mov_b32 s11, -1
.LBB87_2361:
                                        ; implicit-def: $vgpr22_vgpr23
.LBB87_2362:
	s_and_b32 vcc_lo, exec_lo, s12
	s_mov_b32 s12, 0
	s_cbranch_vccz .LBB87_2364
; %bb.2363:
	s_cmp_lg_u32 s10, 11
	s_mov_b32 s12, -1
	s_cselect_b32 s11, -1, 0
.LBB87_2364:
	s_delay_alu instid0(SALU_CYCLE_1)
	s_and_b32 vcc_lo, exec_lo, s11
	s_cbranch_vccnz .LBB87_2429
; %bb.2365:
	s_and_not1_b32 vcc_lo, exec_lo, s12
	s_cbranch_vccnz .LBB87_2367
.LBB87_2366:
	global_load_u8 v1, v[24:25], off
	v_mov_b32_e32 v22, 0
	s_mov_b32 s13, -1
	s_wait_loadcnt 0x0
	v_cmp_ne_u16_e32 vcc_lo, 0, v1
	v_cndmask_b32_e64 v23, 0, 0x3ff00000, vcc_lo
.LBB87_2367:
	s_mov_b32 s11, 0
.LBB87_2368:
	s_delay_alu instid0(SALU_CYCLE_1)
	s_and_b32 vcc_lo, exec_lo, s11
	s_cbranch_vccz .LBB87_2417
; %bb.2369:
	s_cmp_lt_i32 s10, 5
	s_cbranch_scc1 .LBB87_2374
; %bb.2370:
	s_cmp_lt_i32 s10, 8
	s_cbranch_scc1 .LBB87_2375
	;; [unrolled: 3-line block ×3, first 2 shown]
; %bb.2372:
	s_cmp_gt_i32 s10, 9
	s_cbranch_scc0 .LBB87_2377
; %bb.2373:
	global_load_b64 v[22:23], v[24:25], off
	s_mov_b32 s11, 0
	s_branch .LBB87_2378
.LBB87_2374:
	s_mov_b32 s11, -1
                                        ; implicit-def: $vgpr22_vgpr23
	s_branch .LBB87_2396
.LBB87_2375:
	s_mov_b32 s11, -1
                                        ; implicit-def: $vgpr22_vgpr23
	s_branch .LBB87_2384
.LBB87_2376:
	s_mov_b32 s11, -1
                                        ; implicit-def: $vgpr22_vgpr23
	s_branch .LBB87_2381
.LBB87_2377:
	s_mov_b32 s11, -1
                                        ; implicit-def: $vgpr22_vgpr23
.LBB87_2378:
	s_delay_alu instid0(SALU_CYCLE_1)
	s_and_not1_b32 vcc_lo, exec_lo, s11
	s_cbranch_vccnz .LBB87_2380
; %bb.2379:
	global_load_b32 v1, v[24:25], off
	s_wait_loadcnt 0x0
	v_cvt_f64_f32_e32 v[22:23], v1
.LBB87_2380:
	s_mov_b32 s11, 0
.LBB87_2381:
	s_delay_alu instid0(SALU_CYCLE_1)
	s_and_not1_b32 vcc_lo, exec_lo, s11
	s_cbranch_vccnz .LBB87_2383
; %bb.2382:
	global_load_b32 v1, v[24:25], off
	s_wait_loadcnt 0x0
	v_cvt_f32_f16_e32 v1, v1
	s_delay_alu instid0(VALU_DEP_1)
	v_cvt_f64_f32_e32 v[22:23], v1
.LBB87_2383:
	s_mov_b32 s11, 0
.LBB87_2384:
	s_delay_alu instid0(SALU_CYCLE_1)
	s_and_not1_b32 vcc_lo, exec_lo, s11
	s_cbranch_vccnz .LBB87_2395
; %bb.2385:
	s_cmp_lt_i32 s10, 6
	s_cbranch_scc1 .LBB87_2388
; %bb.2386:
	s_cmp_gt_i32 s10, 6
	s_cbranch_scc0 .LBB87_2389
; %bb.2387:
	s_wait_loadcnt 0x0
	global_load_b64 v[22:23], v[24:25], off
	s_mov_b32 s11, 0
	s_branch .LBB87_2390
.LBB87_2388:
	s_mov_b32 s11, -1
                                        ; implicit-def: $vgpr22_vgpr23
	s_branch .LBB87_2393
.LBB87_2389:
	s_mov_b32 s11, -1
                                        ; implicit-def: $vgpr22_vgpr23
.LBB87_2390:
	s_delay_alu instid0(SALU_CYCLE_1)
	s_and_not1_b32 vcc_lo, exec_lo, s11
	s_cbranch_vccnz .LBB87_2392
; %bb.2391:
	global_load_b32 v1, v[24:25], off
	s_wait_loadcnt 0x0
	v_cvt_f64_f32_e32 v[22:23], v1
.LBB87_2392:
	s_mov_b32 s11, 0
.LBB87_2393:
	s_delay_alu instid0(SALU_CYCLE_1)
	s_and_not1_b32 vcc_lo, exec_lo, s11
	s_cbranch_vccnz .LBB87_2395
; %bb.2394:
	global_load_u16 v1, v[24:25], off
	s_wait_loadcnt 0x0
	v_cvt_f32_f16_e32 v1, v1
	s_delay_alu instid0(VALU_DEP_1)
	v_cvt_f64_f32_e32 v[22:23], v1
.LBB87_2395:
	s_mov_b32 s11, 0
.LBB87_2396:
	s_delay_alu instid0(SALU_CYCLE_1)
	s_and_not1_b32 vcc_lo, exec_lo, s11
	s_cbranch_vccnz .LBB87_2416
; %bb.2397:
	s_cmp_lt_i32 s10, 2
	s_cbranch_scc1 .LBB87_2401
; %bb.2398:
	s_cmp_lt_i32 s10, 3
	s_cbranch_scc1 .LBB87_2402
; %bb.2399:
	s_cmp_gt_i32 s10, 3
	s_cbranch_scc0 .LBB87_2403
; %bb.2400:
	s_wait_loadcnt 0x0
	global_load_b64 v[22:23], v[24:25], off
	s_mov_b32 s11, 0
	s_wait_loadcnt 0x0
	v_cvt_f64_i32_e32 v[26:27], v23
	v_cvt_f64_u32_e32 v[22:23], v22
	s_delay_alu instid0(VALU_DEP_2) | instskip(NEXT) | instid1(VALU_DEP_1)
	v_ldexp_f64 v[26:27], v[26:27], 32
	v_add_f64_e32 v[22:23], v[26:27], v[22:23]
	s_branch .LBB87_2404
.LBB87_2401:
	s_mov_b32 s11, -1
                                        ; implicit-def: $vgpr22_vgpr23
	s_branch .LBB87_2410
.LBB87_2402:
	s_mov_b32 s11, -1
                                        ; implicit-def: $vgpr22_vgpr23
	s_branch .LBB87_2407
.LBB87_2403:
	s_mov_b32 s11, -1
                                        ; implicit-def: $vgpr22_vgpr23
.LBB87_2404:
	s_delay_alu instid0(SALU_CYCLE_1)
	s_and_not1_b32 vcc_lo, exec_lo, s11
	s_cbranch_vccnz .LBB87_2406
; %bb.2405:
	global_load_b32 v1, v[24:25], off
	s_wait_loadcnt 0x0
	v_cvt_f64_i32_e32 v[22:23], v1
.LBB87_2406:
	s_mov_b32 s11, 0
.LBB87_2407:
	s_delay_alu instid0(SALU_CYCLE_1)
	s_and_not1_b32 vcc_lo, exec_lo, s11
	s_cbranch_vccnz .LBB87_2409
; %bb.2408:
	global_load_i16 v1, v[24:25], off
	s_wait_loadcnt 0x0
	v_cvt_f64_i32_e32 v[22:23], v1
.LBB87_2409:
	s_mov_b32 s11, 0
.LBB87_2410:
	s_delay_alu instid0(SALU_CYCLE_1)
	s_and_not1_b32 vcc_lo, exec_lo, s11
	s_cbranch_vccnz .LBB87_2416
; %bb.2411:
	s_cmp_gt_i32 s10, 0
	s_mov_b32 s11, 0
	s_cbranch_scc0 .LBB87_2413
; %bb.2412:
	global_load_i8 v1, v[24:25], off
	s_wait_loadcnt 0x0
	v_cvt_f64_i32_e32 v[22:23], v1
	s_branch .LBB87_2414
.LBB87_2413:
	s_mov_b32 s11, -1
                                        ; implicit-def: $vgpr22_vgpr23
.LBB87_2414:
	s_delay_alu instid0(SALU_CYCLE_1)
	s_and_not1_b32 vcc_lo, exec_lo, s11
	s_cbranch_vccnz .LBB87_2416
; %bb.2415:
	global_load_u8 v1, v[24:25], off
	s_wait_loadcnt 0x0
	v_cvt_f64_u32_e32 v[22:23], v1
.LBB87_2416:
	s_mov_b32 s13, -1
.LBB87_2417:
	s_delay_alu instid0(SALU_CYCLE_1)
	s_and_not1_b32 vcc_lo, exec_lo, s13
	s_cbranch_vccnz .LBB87_3112
; %bb.2418:
	v_mov_b32_e32 v17, 0
	s_cmp_lt_i32 s2, 11
	s_wait_xcnt 0x0
	s_delay_alu instid0(VALU_DEP_1)
	v_add_nc_u64_e32 v[24:25], s[6:7], v[16:17]
	s_cbranch_scc1 .LBB87_2425
; %bb.2419:
	s_cmp_gt_i32 s2, 25
	s_mov_b32 s7, 0
	s_cbranch_scc0 .LBB87_2426
; %bb.2420:
	s_cmp_gt_i32 s2, 28
	s_cbranch_scc0 .LBB87_2427
; %bb.2421:
	s_cmp_gt_i32 s2, 43
	;; [unrolled: 3-line block ×3, first 2 shown]
	s_cbranch_scc0 .LBB87_2430
; %bb.2423:
	s_cmp_eq_u32 s2, 46
	s_mov_b32 s12, 0
	s_cbranch_scc0 .LBB87_2431
; %bb.2424:
	global_load_b32 v1, v[24:25], off
	s_mov_b32 s6, 0
	s_mov_b32 s11, -1
	s_wait_loadcnt 0x0
	v_lshlrev_b32_e32 v1, 16, v1
	s_delay_alu instid0(VALU_DEP_1)
	v_cvt_f64_f32_e32 v[16:17], v1
	s_branch .LBB87_2433
.LBB87_2425:
	s_mov_b32 s6, -1
	s_mov_b32 s11, 0
                                        ; implicit-def: $vgpr16_vgpr17
	s_branch .LBB87_2499
.LBB87_2426:
	s_mov_b32 s12, -1
	s_mov_b32 s11, 0
	s_mov_b32 s6, 0
                                        ; implicit-def: $vgpr16_vgpr17
	s_branch .LBB87_2462
.LBB87_2427:
	s_mov_b32 s12, -1
	s_mov_b32 s11, 0
	s_mov_b32 s6, 0
                                        ; implicit-def: $vgpr16_vgpr17
	s_branch .LBB87_2443
.LBB87_2428:
	s_mov_b32 s12, -1
	s_mov_b32 s11, 0
	s_mov_b32 s6, 0
                                        ; implicit-def: $vgpr16_vgpr17
	s_branch .LBB87_2438
.LBB87_2429:
	s_or_b32 s9, s9, exec_lo
	s_trap 2
	s_cbranch_execz .LBB87_2366
	s_branch .LBB87_2367
.LBB87_2430:
	s_mov_b32 s12, -1
	s_mov_b32 s11, 0
	s_mov_b32 s6, 0
	s_branch .LBB87_2432
.LBB87_2431:
	s_mov_b32 s6, -1
	s_mov_b32 s11, 0
.LBB87_2432:
                                        ; implicit-def: $vgpr16_vgpr17
.LBB87_2433:
	s_and_b32 vcc_lo, exec_lo, s12
	s_cbranch_vccz .LBB87_2437
; %bb.2434:
	s_cmp_eq_u32 s2, 44
	s_cbranch_scc0 .LBB87_2436
; %bb.2435:
	global_load_u8 v1, v[24:25], off
	s_mov_b32 s6, 0
	s_mov_b32 s11, -1
	s_wait_loadcnt 0x0
	v_lshlrev_b32_e32 v3, 23, v1
	v_cmp_ne_u32_e32 vcc_lo, 0xff, v1
	s_delay_alu instid0(VALU_DEP_2) | instskip(NEXT) | instid1(VALU_DEP_1)
	v_cvt_f64_f32_e32 v[16:17], v3
	v_cndmask_b32_e32 v3, 0x20000000, v16, vcc_lo
	s_delay_alu instid0(VALU_DEP_2) | instskip(SKIP_1) | instid1(VALU_DEP_2)
	v_cndmask_b32_e32 v5, 0x7ff80000, v17, vcc_lo
	v_cmp_ne_u32_e32 vcc_lo, 0, v1
	v_cndmask_b32_e32 v17, 0x38000000, v5, vcc_lo
	s_delay_alu instid0(VALU_DEP_4)
	v_cndmask_b32_e32 v16, 0, v3, vcc_lo
	s_branch .LBB87_2437
.LBB87_2436:
	s_mov_b32 s6, -1
                                        ; implicit-def: $vgpr16_vgpr17
.LBB87_2437:
	s_mov_b32 s12, 0
.LBB87_2438:
	s_delay_alu instid0(SALU_CYCLE_1)
	s_and_b32 vcc_lo, exec_lo, s12
	s_cbranch_vccz .LBB87_2442
; %bb.2439:
	s_cmp_eq_u32 s2, 29
	s_cbranch_scc0 .LBB87_2441
; %bb.2440:
	global_load_b64 v[16:17], v[24:25], off
	s_mov_b32 s6, 0
	s_mov_b32 s11, -1
	s_mov_b32 s12, 0
	s_wait_loadcnt 0x0
	v_cvt_f64_u32_e32 v[26:27], v17
	v_cvt_f64_u32_e32 v[16:17], v16
	s_delay_alu instid0(VALU_DEP_2) | instskip(NEXT) | instid1(VALU_DEP_1)
	v_ldexp_f64 v[26:27], v[26:27], 32
	v_add_f64_e32 v[16:17], v[26:27], v[16:17]
	s_branch .LBB87_2443
.LBB87_2441:
	s_mov_b32 s6, -1
                                        ; implicit-def: $vgpr16_vgpr17
.LBB87_2442:
	s_mov_b32 s12, 0
.LBB87_2443:
	s_delay_alu instid0(SALU_CYCLE_1)
	s_and_b32 vcc_lo, exec_lo, s12
	s_cbranch_vccz .LBB87_2461
; %bb.2444:
	s_cmp_lt_i32 s2, 27
	s_cbranch_scc1 .LBB87_2447
; %bb.2445:
	s_cmp_gt_i32 s2, 27
	s_cbranch_scc0 .LBB87_2448
; %bb.2446:
	global_load_b32 v1, v[24:25], off
	s_mov_b32 s11, 0
	s_wait_loadcnt 0x0
	v_cvt_f64_u32_e32 v[16:17], v1
	s_branch .LBB87_2449
.LBB87_2447:
	s_mov_b32 s11, -1
                                        ; implicit-def: $vgpr16_vgpr17
	s_branch .LBB87_2452
.LBB87_2448:
	s_mov_b32 s11, -1
                                        ; implicit-def: $vgpr16_vgpr17
.LBB87_2449:
	s_delay_alu instid0(SALU_CYCLE_1)
	s_and_not1_b32 vcc_lo, exec_lo, s11
	s_cbranch_vccnz .LBB87_2451
; %bb.2450:
	global_load_u16 v1, v[24:25], off
	s_wait_loadcnt 0x0
	v_cvt_f64_u32_e32 v[16:17], v1
.LBB87_2451:
	s_mov_b32 s11, 0
.LBB87_2452:
	s_delay_alu instid0(SALU_CYCLE_1)
	s_and_not1_b32 vcc_lo, exec_lo, s11
	s_cbranch_vccnz .LBB87_2460
; %bb.2453:
	global_load_u8 v1, v[24:25], off
	s_mov_b32 s11, 0
	s_mov_b32 s12, exec_lo
	s_wait_loadcnt 0x0
	v_cmpx_lt_i16_e32 0x7f, v1
	s_xor_b32 s12, exec_lo, s12
	s_cbranch_execz .LBB87_2474
; %bb.2454:
	s_mov_b32 s11, -1
	s_mov_b32 s13, exec_lo
	v_cmpx_eq_u16_e32 0x80, v1
; %bb.2455:
	s_xor_b32 s11, exec_lo, -1
; %bb.2456:
	s_or_b32 exec_lo, exec_lo, s13
	s_delay_alu instid0(SALU_CYCLE_1)
	s_and_b32 s11, s11, exec_lo
	s_or_saveexec_b32 s12, s12
	v_mov_b64_e32 v[16:17], 0x7ff8000020000000
	s_xor_b32 exec_lo, exec_lo, s12
	s_cbranch_execnz .LBB87_2475
.LBB87_2457:
	s_or_b32 exec_lo, exec_lo, s12
	s_and_saveexec_b32 s12, s11
	s_cbranch_execz .LBB87_2459
.LBB87_2458:
	v_and_b32_e32 v3, 0xffff, v1
	s_delay_alu instid0(VALU_DEP_1) | instskip(SKIP_1) | instid1(VALU_DEP_2)
	v_dual_lshlrev_b32 v1, 24, v1 :: v_dual_bitop2_b32 v5, 7, v3 bitop3:0x40
	v_bfe_u32 v16, v3, 3, 4
	v_and_b32_e32 v1, 0x80000000, v1
	s_delay_alu instid0(VALU_DEP_3) | instskip(NEXT) | instid1(VALU_DEP_3)
	v_clz_i32_u32_e32 v7, v5
	v_cmp_eq_u32_e32 vcc_lo, 0, v16
	s_delay_alu instid0(VALU_DEP_2) | instskip(NEXT) | instid1(VALU_DEP_1)
	v_min_u32_e32 v7, 32, v7
	v_subrev_nc_u32_e32 v11, 28, v7
	v_sub_nc_u32_e32 v7, 29, v7
	s_delay_alu instid0(VALU_DEP_2) | instskip(NEXT) | instid1(VALU_DEP_2)
	v_lshlrev_b32_e32 v3, v11, v3
	v_cndmask_b32_e32 v7, v16, v7, vcc_lo
	s_delay_alu instid0(VALU_DEP_2) | instskip(NEXT) | instid1(VALU_DEP_1)
	v_and_b32_e32 v3, 7, v3
	v_cndmask_b32_e32 v3, v5, v3, vcc_lo
	s_delay_alu instid0(VALU_DEP_3) | instskip(NEXT) | instid1(VALU_DEP_2)
	v_lshl_add_u32 v5, v7, 23, 0x3b800000
	v_lshlrev_b32_e32 v3, 20, v3
	s_delay_alu instid0(VALU_DEP_1) | instskip(NEXT) | instid1(VALU_DEP_1)
	v_or3_b32 v1, v1, v5, v3
	v_cvt_f64_f32_e32 v[16:17], v1
.LBB87_2459:
	s_or_b32 exec_lo, exec_lo, s12
.LBB87_2460:
	s_mov_b32 s11, -1
.LBB87_2461:
	s_mov_b32 s12, 0
.LBB87_2462:
	s_delay_alu instid0(SALU_CYCLE_1)
	s_and_b32 vcc_lo, exec_lo, s12
	s_cbranch_vccz .LBB87_2495
; %bb.2463:
	s_cmp_gt_i32 s2, 22
	s_cbranch_scc0 .LBB87_2473
; %bb.2464:
	s_cmp_lt_i32 s2, 24
	s_cbranch_scc1 .LBB87_2476
; %bb.2465:
	s_cmp_gt_i32 s2, 24
	s_cbranch_scc0 .LBB87_2477
; %bb.2466:
	global_load_u8 v1, v[24:25], off
	s_mov_b32 s11, exec_lo
	s_wait_loadcnt 0x0
	v_cmpx_lt_i16_e32 0x7f, v1
	s_xor_b32 s11, exec_lo, s11
	s_cbranch_execz .LBB87_2489
; %bb.2467:
	s_mov_b32 s7, -1
	s_mov_b32 s12, exec_lo
	v_cmpx_eq_u16_e32 0x80, v1
; %bb.2468:
	s_xor_b32 s7, exec_lo, -1
; %bb.2469:
	s_or_b32 exec_lo, exec_lo, s12
	s_delay_alu instid0(SALU_CYCLE_1)
	s_and_b32 s7, s7, exec_lo
	s_or_saveexec_b32 s11, s11
	v_mov_b64_e32 v[16:17], 0x7ff8000020000000
	s_xor_b32 exec_lo, exec_lo, s11
	s_cbranch_execnz .LBB87_2490
.LBB87_2470:
	s_or_b32 exec_lo, exec_lo, s11
	s_and_saveexec_b32 s11, s7
	s_cbranch_execz .LBB87_2472
.LBB87_2471:
	v_and_b32_e32 v3, 0xffff, v1
	s_delay_alu instid0(VALU_DEP_1) | instskip(SKIP_1) | instid1(VALU_DEP_2)
	v_dual_lshlrev_b32 v1, 24, v1 :: v_dual_bitop2_b32 v5, 3, v3 bitop3:0x40
	v_bfe_u32 v16, v3, 2, 5
	v_and_b32_e32 v1, 0x80000000, v1
	s_delay_alu instid0(VALU_DEP_3) | instskip(NEXT) | instid1(VALU_DEP_3)
	v_clz_i32_u32_e32 v7, v5
	v_cmp_eq_u32_e32 vcc_lo, 0, v16
	s_delay_alu instid0(VALU_DEP_2) | instskip(NEXT) | instid1(VALU_DEP_1)
	v_min_u32_e32 v7, 32, v7
	v_subrev_nc_u32_e32 v11, 29, v7
	v_sub_nc_u32_e32 v7, 30, v7
	s_delay_alu instid0(VALU_DEP_2) | instskip(NEXT) | instid1(VALU_DEP_2)
	v_lshlrev_b32_e32 v3, v11, v3
	v_cndmask_b32_e32 v7, v16, v7, vcc_lo
	s_delay_alu instid0(VALU_DEP_2) | instskip(NEXT) | instid1(VALU_DEP_1)
	v_and_b32_e32 v3, 3, v3
	v_cndmask_b32_e32 v3, v5, v3, vcc_lo
	s_delay_alu instid0(VALU_DEP_3) | instskip(NEXT) | instid1(VALU_DEP_2)
	v_lshl_add_u32 v5, v7, 23, 0x37800000
	v_lshlrev_b32_e32 v3, 21, v3
	s_delay_alu instid0(VALU_DEP_1) | instskip(NEXT) | instid1(VALU_DEP_1)
	v_or3_b32 v1, v1, v5, v3
	v_cvt_f64_f32_e32 v[16:17], v1
.LBB87_2472:
	s_or_b32 exec_lo, exec_lo, s11
	s_mov_b32 s7, 0
	s_branch .LBB87_2478
.LBB87_2473:
	s_mov_b32 s7, -1
                                        ; implicit-def: $vgpr16_vgpr17
	s_branch .LBB87_2484
.LBB87_2474:
	s_or_saveexec_b32 s12, s12
	v_mov_b64_e32 v[16:17], 0x7ff8000020000000
	s_xor_b32 exec_lo, exec_lo, s12
	s_cbranch_execz .LBB87_2457
.LBB87_2475:
	v_cmp_ne_u16_e32 vcc_lo, 0, v1
	v_mov_b64_e32 v[16:17], 0
	s_and_not1_b32 s11, s11, exec_lo
	s_and_b32 s13, vcc_lo, exec_lo
	s_delay_alu instid0(SALU_CYCLE_1)
	s_or_b32 s11, s11, s13
	s_or_b32 exec_lo, exec_lo, s12
	s_and_saveexec_b32 s12, s11
	s_cbranch_execnz .LBB87_2458
	s_branch .LBB87_2459
.LBB87_2476:
	s_mov_b32 s7, -1
                                        ; implicit-def: $vgpr16_vgpr17
	s_branch .LBB87_2481
.LBB87_2477:
	s_mov_b32 s7, -1
                                        ; implicit-def: $vgpr16_vgpr17
.LBB87_2478:
	s_delay_alu instid0(SALU_CYCLE_1)
	s_and_b32 vcc_lo, exec_lo, s7
	s_cbranch_vccz .LBB87_2480
; %bb.2479:
	global_load_u8 v1, v[24:25], off
	s_wait_loadcnt 0x0
	v_lshlrev_b32_e32 v1, 24, v1
	s_delay_alu instid0(VALU_DEP_1) | instskip(NEXT) | instid1(VALU_DEP_1)
	v_and_b32_e32 v3, 0x7f000000, v1
	v_clz_i32_u32_e32 v5, v3
	v_add_nc_u32_e32 v11, 0x1000000, v3
	v_cmp_ne_u32_e32 vcc_lo, 0, v3
	s_delay_alu instid0(VALU_DEP_3) | instskip(NEXT) | instid1(VALU_DEP_1)
	v_min_u32_e32 v5, 32, v5
	v_sub_nc_u32_e64 v5, v5, 4 clamp
	s_delay_alu instid0(VALU_DEP_1) | instskip(NEXT) | instid1(VALU_DEP_1)
	v_dual_lshlrev_b32 v7, v5, v3 :: v_dual_lshlrev_b32 v5, 23, v5
	v_lshrrev_b32_e32 v7, 4, v7
	s_delay_alu instid0(VALU_DEP_1) | instskip(NEXT) | instid1(VALU_DEP_1)
	v_dual_sub_nc_u32 v5, v7, v5 :: v_dual_ashrrev_i32 v7, 8, v11
	v_add_nc_u32_e32 v5, 0x3c000000, v5
	s_delay_alu instid0(VALU_DEP_1) | instskip(NEXT) | instid1(VALU_DEP_1)
	v_and_or_b32 v5, 0x7f800000, v7, v5
	v_cndmask_b32_e32 v3, 0, v5, vcc_lo
	s_delay_alu instid0(VALU_DEP_1) | instskip(NEXT) | instid1(VALU_DEP_1)
	v_and_or_b32 v1, 0x80000000, v1, v3
	v_cvt_f64_f32_e32 v[16:17], v1
.LBB87_2480:
	s_mov_b32 s7, 0
.LBB87_2481:
	s_delay_alu instid0(SALU_CYCLE_1)
	s_and_not1_b32 vcc_lo, exec_lo, s7
	s_cbranch_vccnz .LBB87_2483
; %bb.2482:
	global_load_u8 v1, v[24:25], off
	s_wait_loadcnt 0x0
	v_lshlrev_b32_e32 v3, 25, v1
	v_lshlrev_b16 v1, 8, v1
	s_delay_alu instid0(VALU_DEP_1) | instskip(SKIP_1) | instid1(VALU_DEP_2)
	v_and_or_b32 v7, 0x7f00, v1, 0.5
	v_bfe_i32 v1, v1, 0, 16
	v_add_f32_e32 v7, -0.5, v7
	v_lshrrev_b32_e32 v5, 4, v3
	v_cmp_gt_u32_e32 vcc_lo, 0x8000000, v3
	s_delay_alu instid0(VALU_DEP_2) | instskip(NEXT) | instid1(VALU_DEP_1)
	v_or_b32_e32 v5, 0x70000000, v5
	v_mul_f32_e32 v5, 0x7800000, v5
	s_delay_alu instid0(VALU_DEP_1) | instskip(NEXT) | instid1(VALU_DEP_1)
	v_cndmask_b32_e32 v3, v5, v7, vcc_lo
	v_and_or_b32 v1, 0x80000000, v1, v3
	s_delay_alu instid0(VALU_DEP_1)
	v_cvt_f64_f32_e32 v[16:17], v1
.LBB87_2483:
	s_mov_b32 s7, 0
	s_mov_b32 s11, -1
.LBB87_2484:
	s_and_not1_b32 vcc_lo, exec_lo, s7
	s_mov_b32 s7, 0
	s_cbranch_vccnz .LBB87_2495
; %bb.2485:
	s_cmp_gt_i32 s2, 14
	s_cbranch_scc0 .LBB87_2488
; %bb.2486:
	s_cmp_eq_u32 s2, 15
	s_cbranch_scc0 .LBB87_2491
; %bb.2487:
	global_load_u16 v1, v[24:25], off
	s_mov_b32 s6, 0
	s_mov_b32 s11, -1
	s_wait_loadcnt 0x0
	v_lshlrev_b32_e32 v1, 16, v1
	s_delay_alu instid0(VALU_DEP_1)
	v_cvt_f64_f32_e32 v[16:17], v1
	s_branch .LBB87_2493
.LBB87_2488:
	s_mov_b32 s7, -1
	s_branch .LBB87_2492
.LBB87_2489:
	s_or_saveexec_b32 s11, s11
	v_mov_b64_e32 v[16:17], 0x7ff8000020000000
	s_xor_b32 exec_lo, exec_lo, s11
	s_cbranch_execz .LBB87_2470
.LBB87_2490:
	v_cmp_ne_u16_e32 vcc_lo, 0, v1
	v_mov_b64_e32 v[16:17], 0
	s_and_not1_b32 s7, s7, exec_lo
	s_and_b32 s12, vcc_lo, exec_lo
	s_delay_alu instid0(SALU_CYCLE_1)
	s_or_b32 s7, s7, s12
	s_or_b32 exec_lo, exec_lo, s11
	s_and_saveexec_b32 s11, s7
	s_cbranch_execnz .LBB87_2471
	s_branch .LBB87_2472
.LBB87_2491:
	s_mov_b32 s6, -1
.LBB87_2492:
                                        ; implicit-def: $vgpr16_vgpr17
.LBB87_2493:
	s_and_b32 vcc_lo, exec_lo, s7
	s_mov_b32 s7, 0
	s_cbranch_vccz .LBB87_2495
; %bb.2494:
	s_cmp_lg_u32 s2, 11
	s_mov_b32 s7, -1
	s_cselect_b32 s6, -1, 0
.LBB87_2495:
	s_delay_alu instid0(SALU_CYCLE_1)
	s_and_b32 vcc_lo, exec_lo, s6
	s_cbranch_vccnz .LBB87_2560
; %bb.2496:
	s_and_not1_b32 vcc_lo, exec_lo, s7
	s_cbranch_vccnz .LBB87_2498
.LBB87_2497:
	global_load_u8 v1, v[24:25], off
	v_mov_b32_e32 v16, 0
	s_mov_b32 s11, -1
	s_wait_loadcnt 0x0
	v_cmp_ne_u16_e32 vcc_lo, 0, v1
	v_cndmask_b32_e64 v17, 0, 0x3ff00000, vcc_lo
.LBB87_2498:
	s_mov_b32 s6, 0
.LBB87_2499:
	s_delay_alu instid0(SALU_CYCLE_1)
	s_and_b32 vcc_lo, exec_lo, s6
	s_cbranch_vccz .LBB87_2548
; %bb.2500:
	s_cmp_lt_i32 s2, 5
	s_cbranch_scc1 .LBB87_2505
; %bb.2501:
	s_cmp_lt_i32 s2, 8
	s_cbranch_scc1 .LBB87_2506
	;; [unrolled: 3-line block ×3, first 2 shown]
; %bb.2503:
	s_cmp_gt_i32 s2, 9
	s_cbranch_scc0 .LBB87_2508
; %bb.2504:
	global_load_b64 v[16:17], v[24:25], off
	s_mov_b32 s6, 0
	s_branch .LBB87_2509
.LBB87_2505:
	s_mov_b32 s6, -1
                                        ; implicit-def: $vgpr16_vgpr17
	s_branch .LBB87_2527
.LBB87_2506:
	s_mov_b32 s6, -1
                                        ; implicit-def: $vgpr16_vgpr17
	s_branch .LBB87_2515
.LBB87_2507:
	s_mov_b32 s6, -1
                                        ; implicit-def: $vgpr16_vgpr17
	s_branch .LBB87_2512
.LBB87_2508:
	s_mov_b32 s6, -1
                                        ; implicit-def: $vgpr16_vgpr17
.LBB87_2509:
	s_delay_alu instid0(SALU_CYCLE_1)
	s_and_not1_b32 vcc_lo, exec_lo, s6
	s_cbranch_vccnz .LBB87_2511
; %bb.2510:
	global_load_b32 v1, v[24:25], off
	s_wait_loadcnt 0x0
	v_cvt_f64_f32_e32 v[16:17], v1
.LBB87_2511:
	s_mov_b32 s6, 0
.LBB87_2512:
	s_delay_alu instid0(SALU_CYCLE_1)
	s_and_not1_b32 vcc_lo, exec_lo, s6
	s_cbranch_vccnz .LBB87_2514
; %bb.2513:
	global_load_b32 v1, v[24:25], off
	s_wait_loadcnt 0x0
	v_cvt_f32_f16_e32 v1, v1
	s_delay_alu instid0(VALU_DEP_1)
	v_cvt_f64_f32_e32 v[16:17], v1
.LBB87_2514:
	s_mov_b32 s6, 0
.LBB87_2515:
	s_delay_alu instid0(SALU_CYCLE_1)
	s_and_not1_b32 vcc_lo, exec_lo, s6
	s_cbranch_vccnz .LBB87_2526
; %bb.2516:
	s_cmp_lt_i32 s2, 6
	s_cbranch_scc1 .LBB87_2519
; %bb.2517:
	s_cmp_gt_i32 s2, 6
	s_cbranch_scc0 .LBB87_2520
; %bb.2518:
	s_wait_loadcnt 0x0
	global_load_b64 v[16:17], v[24:25], off
	s_mov_b32 s6, 0
	s_branch .LBB87_2521
.LBB87_2519:
	s_mov_b32 s6, -1
                                        ; implicit-def: $vgpr16_vgpr17
	s_branch .LBB87_2524
.LBB87_2520:
	s_mov_b32 s6, -1
                                        ; implicit-def: $vgpr16_vgpr17
.LBB87_2521:
	s_delay_alu instid0(SALU_CYCLE_1)
	s_and_not1_b32 vcc_lo, exec_lo, s6
	s_cbranch_vccnz .LBB87_2523
; %bb.2522:
	global_load_b32 v1, v[24:25], off
	s_wait_loadcnt 0x0
	v_cvt_f64_f32_e32 v[16:17], v1
.LBB87_2523:
	s_mov_b32 s6, 0
.LBB87_2524:
	s_delay_alu instid0(SALU_CYCLE_1)
	s_and_not1_b32 vcc_lo, exec_lo, s6
	s_cbranch_vccnz .LBB87_2526
; %bb.2525:
	global_load_u16 v1, v[24:25], off
	s_wait_loadcnt 0x0
	v_cvt_f32_f16_e32 v1, v1
	s_delay_alu instid0(VALU_DEP_1)
	v_cvt_f64_f32_e32 v[16:17], v1
.LBB87_2526:
	s_mov_b32 s6, 0
.LBB87_2527:
	s_delay_alu instid0(SALU_CYCLE_1)
	s_and_not1_b32 vcc_lo, exec_lo, s6
	s_cbranch_vccnz .LBB87_2547
; %bb.2528:
	s_cmp_lt_i32 s2, 2
	s_cbranch_scc1 .LBB87_2532
; %bb.2529:
	s_cmp_lt_i32 s2, 3
	s_cbranch_scc1 .LBB87_2533
; %bb.2530:
	s_cmp_gt_i32 s2, 3
	s_cbranch_scc0 .LBB87_2534
; %bb.2531:
	s_wait_loadcnt 0x0
	global_load_b64 v[16:17], v[24:25], off
	s_mov_b32 s6, 0
	s_wait_loadcnt 0x0
	v_cvt_f64_i32_e32 v[26:27], v17
	v_cvt_f64_u32_e32 v[16:17], v16
	s_delay_alu instid0(VALU_DEP_2) | instskip(NEXT) | instid1(VALU_DEP_1)
	v_ldexp_f64 v[26:27], v[26:27], 32
	v_add_f64_e32 v[16:17], v[26:27], v[16:17]
	s_branch .LBB87_2535
.LBB87_2532:
	s_mov_b32 s6, -1
                                        ; implicit-def: $vgpr16_vgpr17
	s_branch .LBB87_2541
.LBB87_2533:
	s_mov_b32 s6, -1
                                        ; implicit-def: $vgpr16_vgpr17
	s_branch .LBB87_2538
.LBB87_2534:
	s_mov_b32 s6, -1
                                        ; implicit-def: $vgpr16_vgpr17
.LBB87_2535:
	s_delay_alu instid0(SALU_CYCLE_1)
	s_and_not1_b32 vcc_lo, exec_lo, s6
	s_cbranch_vccnz .LBB87_2537
; %bb.2536:
	global_load_b32 v1, v[24:25], off
	s_wait_loadcnt 0x0
	v_cvt_f64_i32_e32 v[16:17], v1
.LBB87_2537:
	s_mov_b32 s6, 0
.LBB87_2538:
	s_delay_alu instid0(SALU_CYCLE_1)
	s_and_not1_b32 vcc_lo, exec_lo, s6
	s_cbranch_vccnz .LBB87_2540
; %bb.2539:
	global_load_i16 v1, v[24:25], off
	s_wait_loadcnt 0x0
	v_cvt_f64_i32_e32 v[16:17], v1
.LBB87_2540:
	s_mov_b32 s6, 0
.LBB87_2541:
	s_delay_alu instid0(SALU_CYCLE_1)
	s_and_not1_b32 vcc_lo, exec_lo, s6
	s_cbranch_vccnz .LBB87_2547
; %bb.2542:
	s_cmp_gt_i32 s2, 0
	s_mov_b32 s2, 0
	s_cbranch_scc0 .LBB87_2544
; %bb.2543:
	global_load_i8 v1, v[24:25], off
	s_wait_loadcnt 0x0
	v_cvt_f64_i32_e32 v[16:17], v1
	s_branch .LBB87_2545
.LBB87_2544:
	s_mov_b32 s2, -1
                                        ; implicit-def: $vgpr16_vgpr17
.LBB87_2545:
	s_delay_alu instid0(SALU_CYCLE_1)
	s_and_not1_b32 vcc_lo, exec_lo, s2
	s_cbranch_vccnz .LBB87_2547
; %bb.2546:
	global_load_u8 v1, v[24:25], off
	s_wait_loadcnt 0x0
	v_cvt_f64_u32_e32 v[16:17], v1
.LBB87_2547:
	s_mov_b32 s11, -1
.LBB87_2548:
	s_delay_alu instid0(SALU_CYCLE_1)
	s_and_not1_b32 vcc_lo, exec_lo, s11
	s_cbranch_vccnz .LBB87_3112
; %bb.2549:
	v_mov_b32_e32 v11, 0
	s_cmp_lt_i32 s10, 11
	s_wait_xcnt 0x0
	s_delay_alu instid0(VALU_DEP_1)
	v_add_nc_u64_e32 v[24:25], s[0:1], v[10:11]
	s_cbranch_scc1 .LBB87_2556
; %bb.2550:
	s_cmp_gt_i32 s10, 25
	s_mov_b32 s1, 0
	s_cbranch_scc0 .LBB87_2557
; %bb.2551:
	s_cmp_gt_i32 s10, 28
	s_cbranch_scc0 .LBB87_2558
; %bb.2552:
	s_cmp_gt_i32 s10, 43
	;; [unrolled: 3-line block ×3, first 2 shown]
	s_cbranch_scc0 .LBB87_2561
; %bb.2554:
	s_cmp_eq_u32 s10, 46
	s_mov_b32 s6, 0
	s_cbranch_scc0 .LBB87_2562
; %bb.2555:
	global_load_b32 v1, v[24:25], off
	s_mov_b32 s0, 0
	s_mov_b32 s2, -1
	s_wait_loadcnt 0x0
	v_lshlrev_b32_e32 v1, 16, v1
	s_delay_alu instid0(VALU_DEP_1)
	v_cvt_f64_f32_e32 v[10:11], v1
	s_branch .LBB87_2564
.LBB87_2556:
	s_mov_b32 s0, -1
	s_mov_b32 s2, 0
                                        ; implicit-def: $vgpr10_vgpr11
	s_branch .LBB87_2630
.LBB87_2557:
	s_mov_b32 s6, -1
	s_mov_b32 s2, 0
	s_mov_b32 s0, 0
                                        ; implicit-def: $vgpr10_vgpr11
	s_branch .LBB87_2593
.LBB87_2558:
	s_mov_b32 s6, -1
	s_mov_b32 s2, 0
	s_mov_b32 s0, 0
                                        ; implicit-def: $vgpr10_vgpr11
	s_branch .LBB87_2574
.LBB87_2559:
	s_mov_b32 s6, -1
	s_mov_b32 s2, 0
	s_mov_b32 s0, 0
                                        ; implicit-def: $vgpr10_vgpr11
	s_branch .LBB87_2569
.LBB87_2560:
	s_or_b32 s9, s9, exec_lo
	s_trap 2
	s_cbranch_execz .LBB87_2497
	s_branch .LBB87_2498
.LBB87_2561:
	s_mov_b32 s6, -1
	s_mov_b32 s2, 0
	s_mov_b32 s0, 0
	s_branch .LBB87_2563
.LBB87_2562:
	s_mov_b32 s0, -1
	s_mov_b32 s2, 0
.LBB87_2563:
                                        ; implicit-def: $vgpr10_vgpr11
.LBB87_2564:
	s_and_b32 vcc_lo, exec_lo, s6
	s_cbranch_vccz .LBB87_2568
; %bb.2565:
	s_cmp_eq_u32 s10, 44
	s_cbranch_scc0 .LBB87_2567
; %bb.2566:
	global_load_u8 v1, v[24:25], off
	s_mov_b32 s0, 0
	s_mov_b32 s2, -1
	s_wait_loadcnt 0x0
	v_lshlrev_b32_e32 v3, 23, v1
	v_cmp_ne_u32_e32 vcc_lo, 0xff, v1
	s_delay_alu instid0(VALU_DEP_2) | instskip(NEXT) | instid1(VALU_DEP_1)
	v_cvt_f64_f32_e32 v[10:11], v3
	v_cndmask_b32_e32 v3, 0x20000000, v10, vcc_lo
	s_delay_alu instid0(VALU_DEP_2) | instskip(SKIP_1) | instid1(VALU_DEP_2)
	v_cndmask_b32_e32 v5, 0x7ff80000, v11, vcc_lo
	v_cmp_ne_u32_e32 vcc_lo, 0, v1
	v_cndmask_b32_e32 v11, 0x38000000, v5, vcc_lo
	s_delay_alu instid0(VALU_DEP_4)
	v_cndmask_b32_e32 v10, 0, v3, vcc_lo
	s_branch .LBB87_2568
.LBB87_2567:
	s_mov_b32 s0, -1
                                        ; implicit-def: $vgpr10_vgpr11
.LBB87_2568:
	s_mov_b32 s6, 0
.LBB87_2569:
	s_delay_alu instid0(SALU_CYCLE_1)
	s_and_b32 vcc_lo, exec_lo, s6
	s_cbranch_vccz .LBB87_2573
; %bb.2570:
	s_cmp_eq_u32 s10, 29
	s_cbranch_scc0 .LBB87_2572
; %bb.2571:
	global_load_b64 v[10:11], v[24:25], off
	s_mov_b32 s0, 0
	s_mov_b32 s2, -1
	s_mov_b32 s6, 0
	s_wait_loadcnt 0x0
	v_cvt_f64_u32_e32 v[26:27], v11
	v_cvt_f64_u32_e32 v[10:11], v10
	s_delay_alu instid0(VALU_DEP_2) | instskip(NEXT) | instid1(VALU_DEP_1)
	v_ldexp_f64 v[26:27], v[26:27], 32
	v_add_f64_e32 v[10:11], v[26:27], v[10:11]
	s_branch .LBB87_2574
.LBB87_2572:
	s_mov_b32 s0, -1
                                        ; implicit-def: $vgpr10_vgpr11
.LBB87_2573:
	s_mov_b32 s6, 0
.LBB87_2574:
	s_delay_alu instid0(SALU_CYCLE_1)
	s_and_b32 vcc_lo, exec_lo, s6
	s_cbranch_vccz .LBB87_2592
; %bb.2575:
	s_cmp_lt_i32 s10, 27
	s_cbranch_scc1 .LBB87_2578
; %bb.2576:
	s_cmp_gt_i32 s10, 27
	s_cbranch_scc0 .LBB87_2579
; %bb.2577:
	global_load_b32 v1, v[24:25], off
	s_mov_b32 s2, 0
	s_wait_loadcnt 0x0
	v_cvt_f64_u32_e32 v[10:11], v1
	s_branch .LBB87_2580
.LBB87_2578:
	s_mov_b32 s2, -1
                                        ; implicit-def: $vgpr10_vgpr11
	s_branch .LBB87_2583
.LBB87_2579:
	s_mov_b32 s2, -1
                                        ; implicit-def: $vgpr10_vgpr11
.LBB87_2580:
	s_delay_alu instid0(SALU_CYCLE_1)
	s_and_not1_b32 vcc_lo, exec_lo, s2
	s_cbranch_vccnz .LBB87_2582
; %bb.2581:
	global_load_u16 v1, v[24:25], off
	s_wait_loadcnt 0x0
	v_cvt_f64_u32_e32 v[10:11], v1
.LBB87_2582:
	s_mov_b32 s2, 0
.LBB87_2583:
	s_delay_alu instid0(SALU_CYCLE_1)
	s_and_not1_b32 vcc_lo, exec_lo, s2
	s_cbranch_vccnz .LBB87_2591
; %bb.2584:
	global_load_u8 v1, v[24:25], off
	s_mov_b32 s2, 0
	s_mov_b32 s6, exec_lo
	s_wait_loadcnt 0x0
	v_cmpx_lt_i16_e32 0x7f, v1
	s_xor_b32 s6, exec_lo, s6
	s_cbranch_execz .LBB87_2605
; %bb.2585:
	s_mov_b32 s2, -1
	s_mov_b32 s7, exec_lo
	v_cmpx_eq_u16_e32 0x80, v1
; %bb.2586:
	s_xor_b32 s2, exec_lo, -1
; %bb.2587:
	s_or_b32 exec_lo, exec_lo, s7
	s_delay_alu instid0(SALU_CYCLE_1)
	s_and_b32 s2, s2, exec_lo
	s_or_saveexec_b32 s6, s6
	v_mov_b64_e32 v[10:11], 0x7ff8000020000000
	s_xor_b32 exec_lo, exec_lo, s6
	s_cbranch_execnz .LBB87_2606
.LBB87_2588:
	s_or_b32 exec_lo, exec_lo, s6
	s_and_saveexec_b32 s6, s2
	s_cbranch_execz .LBB87_2590
.LBB87_2589:
	v_and_b32_e32 v3, 0xffff, v1
	s_delay_alu instid0(VALU_DEP_1) | instskip(SKIP_1) | instid1(VALU_DEP_2)
	v_dual_lshlrev_b32 v1, 24, v1 :: v_dual_bitop2_b32 v5, 7, v3 bitop3:0x40
	v_bfe_u32 v11, v3, 3, 4
	v_and_b32_e32 v1, 0x80000000, v1
	s_delay_alu instid0(VALU_DEP_3) | instskip(NEXT) | instid1(VALU_DEP_3)
	v_clz_i32_u32_e32 v7, v5
	v_cmp_eq_u32_e32 vcc_lo, 0, v11
	s_delay_alu instid0(VALU_DEP_2) | instskip(NEXT) | instid1(VALU_DEP_1)
	v_min_u32_e32 v7, 32, v7
	v_subrev_nc_u32_e32 v10, 28, v7
	v_sub_nc_u32_e32 v7, 29, v7
	s_delay_alu instid0(VALU_DEP_2) | instskip(NEXT) | instid1(VALU_DEP_2)
	v_lshlrev_b32_e32 v3, v10, v3
	v_cndmask_b32_e32 v7, v11, v7, vcc_lo
	s_delay_alu instid0(VALU_DEP_2) | instskip(NEXT) | instid1(VALU_DEP_1)
	v_and_b32_e32 v3, 7, v3
	v_cndmask_b32_e32 v3, v5, v3, vcc_lo
	s_delay_alu instid0(VALU_DEP_3) | instskip(NEXT) | instid1(VALU_DEP_2)
	v_lshl_add_u32 v5, v7, 23, 0x3b800000
	v_lshlrev_b32_e32 v3, 20, v3
	s_delay_alu instid0(VALU_DEP_1) | instskip(NEXT) | instid1(VALU_DEP_1)
	v_or3_b32 v1, v1, v5, v3
	v_cvt_f64_f32_e32 v[10:11], v1
.LBB87_2590:
	s_or_b32 exec_lo, exec_lo, s6
.LBB87_2591:
	s_mov_b32 s2, -1
.LBB87_2592:
	s_mov_b32 s6, 0
.LBB87_2593:
	s_delay_alu instid0(SALU_CYCLE_1)
	s_and_b32 vcc_lo, exec_lo, s6
	s_cbranch_vccz .LBB87_2626
; %bb.2594:
	s_cmp_gt_i32 s10, 22
	s_cbranch_scc0 .LBB87_2604
; %bb.2595:
	s_cmp_lt_i32 s10, 24
	s_cbranch_scc1 .LBB87_2607
; %bb.2596:
	s_cmp_gt_i32 s10, 24
	s_cbranch_scc0 .LBB87_2608
; %bb.2597:
	global_load_u8 v1, v[24:25], off
	s_mov_b32 s2, exec_lo
	s_wait_loadcnt 0x0
	v_cmpx_lt_i16_e32 0x7f, v1
	s_xor_b32 s2, exec_lo, s2
	s_cbranch_execz .LBB87_2620
; %bb.2598:
	s_mov_b32 s1, -1
	s_mov_b32 s6, exec_lo
	v_cmpx_eq_u16_e32 0x80, v1
; %bb.2599:
	s_xor_b32 s1, exec_lo, -1
; %bb.2600:
	s_or_b32 exec_lo, exec_lo, s6
	s_delay_alu instid0(SALU_CYCLE_1)
	s_and_b32 s1, s1, exec_lo
	s_or_saveexec_b32 s2, s2
	v_mov_b64_e32 v[10:11], 0x7ff8000020000000
	s_xor_b32 exec_lo, exec_lo, s2
	s_cbranch_execnz .LBB87_2621
.LBB87_2601:
	s_or_b32 exec_lo, exec_lo, s2
	s_and_saveexec_b32 s2, s1
	s_cbranch_execz .LBB87_2603
.LBB87_2602:
	v_and_b32_e32 v3, 0xffff, v1
	s_delay_alu instid0(VALU_DEP_1) | instskip(SKIP_1) | instid1(VALU_DEP_2)
	v_dual_lshlrev_b32 v1, 24, v1 :: v_dual_bitop2_b32 v5, 3, v3 bitop3:0x40
	v_bfe_u32 v11, v3, 2, 5
	v_and_b32_e32 v1, 0x80000000, v1
	s_delay_alu instid0(VALU_DEP_3) | instskip(NEXT) | instid1(VALU_DEP_3)
	v_clz_i32_u32_e32 v7, v5
	v_cmp_eq_u32_e32 vcc_lo, 0, v11
	s_delay_alu instid0(VALU_DEP_2) | instskip(NEXT) | instid1(VALU_DEP_1)
	v_min_u32_e32 v7, 32, v7
	v_subrev_nc_u32_e32 v10, 29, v7
	v_sub_nc_u32_e32 v7, 30, v7
	s_delay_alu instid0(VALU_DEP_2) | instskip(NEXT) | instid1(VALU_DEP_2)
	v_lshlrev_b32_e32 v3, v10, v3
	v_cndmask_b32_e32 v7, v11, v7, vcc_lo
	s_delay_alu instid0(VALU_DEP_2) | instskip(NEXT) | instid1(VALU_DEP_1)
	v_and_b32_e32 v3, 3, v3
	v_cndmask_b32_e32 v3, v5, v3, vcc_lo
	s_delay_alu instid0(VALU_DEP_3) | instskip(NEXT) | instid1(VALU_DEP_2)
	v_lshl_add_u32 v5, v7, 23, 0x37800000
	v_lshlrev_b32_e32 v3, 21, v3
	s_delay_alu instid0(VALU_DEP_1) | instskip(NEXT) | instid1(VALU_DEP_1)
	v_or3_b32 v1, v1, v5, v3
	v_cvt_f64_f32_e32 v[10:11], v1
.LBB87_2603:
	s_or_b32 exec_lo, exec_lo, s2
	s_mov_b32 s1, 0
	s_branch .LBB87_2609
.LBB87_2604:
	s_mov_b32 s1, -1
                                        ; implicit-def: $vgpr10_vgpr11
	s_branch .LBB87_2615
.LBB87_2605:
	s_or_saveexec_b32 s6, s6
	v_mov_b64_e32 v[10:11], 0x7ff8000020000000
	s_xor_b32 exec_lo, exec_lo, s6
	s_cbranch_execz .LBB87_2588
.LBB87_2606:
	v_cmp_ne_u16_e32 vcc_lo, 0, v1
	v_mov_b64_e32 v[10:11], 0
	s_and_not1_b32 s2, s2, exec_lo
	s_and_b32 s7, vcc_lo, exec_lo
	s_delay_alu instid0(SALU_CYCLE_1)
	s_or_b32 s2, s2, s7
	s_or_b32 exec_lo, exec_lo, s6
	s_and_saveexec_b32 s6, s2
	s_cbranch_execnz .LBB87_2589
	s_branch .LBB87_2590
.LBB87_2607:
	s_mov_b32 s1, -1
                                        ; implicit-def: $vgpr10_vgpr11
	s_branch .LBB87_2612
.LBB87_2608:
	s_mov_b32 s1, -1
                                        ; implicit-def: $vgpr10_vgpr11
.LBB87_2609:
	s_delay_alu instid0(SALU_CYCLE_1)
	s_and_b32 vcc_lo, exec_lo, s1
	s_cbranch_vccz .LBB87_2611
; %bb.2610:
	global_load_u8 v1, v[24:25], off
	s_wait_loadcnt 0x0
	v_lshlrev_b32_e32 v1, 24, v1
	s_delay_alu instid0(VALU_DEP_1) | instskip(NEXT) | instid1(VALU_DEP_1)
	v_and_b32_e32 v3, 0x7f000000, v1
	v_clz_i32_u32_e32 v5, v3
	v_cmp_ne_u32_e32 vcc_lo, 0, v3
	v_add_nc_u32_e32 v10, 0x1000000, v3
	s_delay_alu instid0(VALU_DEP_3) | instskip(NEXT) | instid1(VALU_DEP_1)
	v_min_u32_e32 v5, 32, v5
	v_sub_nc_u32_e64 v5, v5, 4 clamp
	s_delay_alu instid0(VALU_DEP_1) | instskip(NEXT) | instid1(VALU_DEP_1)
	v_dual_lshlrev_b32 v7, v5, v3 :: v_dual_lshlrev_b32 v5, 23, v5
	v_lshrrev_b32_e32 v7, 4, v7
	s_delay_alu instid0(VALU_DEP_1) | instskip(NEXT) | instid1(VALU_DEP_1)
	v_dual_sub_nc_u32 v5, v7, v5 :: v_dual_ashrrev_i32 v7, 8, v10
	v_add_nc_u32_e32 v5, 0x3c000000, v5
	s_delay_alu instid0(VALU_DEP_1) | instskip(NEXT) | instid1(VALU_DEP_1)
	v_and_or_b32 v5, 0x7f800000, v7, v5
	v_cndmask_b32_e32 v3, 0, v5, vcc_lo
	s_delay_alu instid0(VALU_DEP_1) | instskip(NEXT) | instid1(VALU_DEP_1)
	v_and_or_b32 v1, 0x80000000, v1, v3
	v_cvt_f64_f32_e32 v[10:11], v1
.LBB87_2611:
	s_mov_b32 s1, 0
.LBB87_2612:
	s_delay_alu instid0(SALU_CYCLE_1)
	s_and_not1_b32 vcc_lo, exec_lo, s1
	s_cbranch_vccnz .LBB87_2614
; %bb.2613:
	global_load_u8 v1, v[24:25], off
	s_wait_loadcnt 0x0
	v_lshlrev_b32_e32 v3, 25, v1
	v_lshlrev_b16 v1, 8, v1
	s_delay_alu instid0(VALU_DEP_1) | instskip(SKIP_1) | instid1(VALU_DEP_2)
	v_and_or_b32 v7, 0x7f00, v1, 0.5
	v_bfe_i32 v1, v1, 0, 16
	v_add_f32_e32 v7, -0.5, v7
	v_lshrrev_b32_e32 v5, 4, v3
	v_cmp_gt_u32_e32 vcc_lo, 0x8000000, v3
	s_delay_alu instid0(VALU_DEP_2) | instskip(NEXT) | instid1(VALU_DEP_1)
	v_or_b32_e32 v5, 0x70000000, v5
	v_mul_f32_e32 v5, 0x7800000, v5
	s_delay_alu instid0(VALU_DEP_1) | instskip(NEXT) | instid1(VALU_DEP_1)
	v_cndmask_b32_e32 v3, v5, v7, vcc_lo
	v_and_or_b32 v1, 0x80000000, v1, v3
	s_delay_alu instid0(VALU_DEP_1)
	v_cvt_f64_f32_e32 v[10:11], v1
.LBB87_2614:
	s_mov_b32 s1, 0
	s_mov_b32 s2, -1
.LBB87_2615:
	s_and_not1_b32 vcc_lo, exec_lo, s1
	s_mov_b32 s1, 0
	s_cbranch_vccnz .LBB87_2626
; %bb.2616:
	s_cmp_gt_i32 s10, 14
	s_cbranch_scc0 .LBB87_2619
; %bb.2617:
	s_cmp_eq_u32 s10, 15
	s_cbranch_scc0 .LBB87_2622
; %bb.2618:
	global_load_u16 v1, v[24:25], off
	s_mov_b32 s0, 0
	s_mov_b32 s2, -1
	s_wait_loadcnt 0x0
	v_lshlrev_b32_e32 v1, 16, v1
	s_delay_alu instid0(VALU_DEP_1)
	v_cvt_f64_f32_e32 v[10:11], v1
	s_branch .LBB87_2624
.LBB87_2619:
	s_mov_b32 s1, -1
	s_branch .LBB87_2623
.LBB87_2620:
	s_or_saveexec_b32 s2, s2
	v_mov_b64_e32 v[10:11], 0x7ff8000020000000
	s_xor_b32 exec_lo, exec_lo, s2
	s_cbranch_execz .LBB87_2601
.LBB87_2621:
	v_cmp_ne_u16_e32 vcc_lo, 0, v1
	v_mov_b64_e32 v[10:11], 0
	s_and_not1_b32 s1, s1, exec_lo
	s_and_b32 s6, vcc_lo, exec_lo
	s_delay_alu instid0(SALU_CYCLE_1)
	s_or_b32 s1, s1, s6
	s_or_b32 exec_lo, exec_lo, s2
	s_and_saveexec_b32 s2, s1
	s_cbranch_execnz .LBB87_2602
	s_branch .LBB87_2603
.LBB87_2622:
	s_mov_b32 s0, -1
.LBB87_2623:
                                        ; implicit-def: $vgpr10_vgpr11
.LBB87_2624:
	s_and_b32 vcc_lo, exec_lo, s1
	s_mov_b32 s1, 0
	s_cbranch_vccz .LBB87_2626
; %bb.2625:
	s_cmp_lg_u32 s10, 11
	s_mov_b32 s1, -1
	s_cselect_b32 s0, -1, 0
.LBB87_2626:
	s_delay_alu instid0(SALU_CYCLE_1)
	s_and_b32 vcc_lo, exec_lo, s0
	s_cbranch_vccnz .LBB87_3158
; %bb.2627:
	s_and_not1_b32 vcc_lo, exec_lo, s1
	s_cbranch_vccnz .LBB87_2629
.LBB87_2628:
	global_load_u8 v1, v[24:25], off
	v_mov_b32_e32 v10, 0
	s_mov_b32 s2, -1
	s_wait_loadcnt 0x0
	v_cmp_ne_u16_e32 vcc_lo, 0, v1
	v_cndmask_b32_e64 v11, 0, 0x3ff00000, vcc_lo
.LBB87_2629:
	s_mov_b32 s0, 0
.LBB87_2630:
	s_delay_alu instid0(SALU_CYCLE_1)
	s_and_b32 vcc_lo, exec_lo, s0
	s_cbranch_vccz .LBB87_2679
; %bb.2631:
	s_cmp_lt_i32 s10, 5
	s_cbranch_scc1 .LBB87_2636
; %bb.2632:
	s_cmp_lt_i32 s10, 8
	s_cbranch_scc1 .LBB87_2637
	;; [unrolled: 3-line block ×3, first 2 shown]
; %bb.2634:
	s_cmp_gt_i32 s10, 9
	s_cbranch_scc0 .LBB87_2639
; %bb.2635:
	global_load_b64 v[10:11], v[24:25], off
	s_mov_b32 s0, 0
	s_branch .LBB87_2640
.LBB87_2636:
	s_mov_b32 s0, -1
                                        ; implicit-def: $vgpr10_vgpr11
	s_branch .LBB87_2658
.LBB87_2637:
	s_mov_b32 s0, -1
                                        ; implicit-def: $vgpr10_vgpr11
	s_branch .LBB87_2646
.LBB87_2638:
	s_mov_b32 s0, -1
                                        ; implicit-def: $vgpr10_vgpr11
	s_branch .LBB87_2643
.LBB87_2639:
	s_mov_b32 s0, -1
                                        ; implicit-def: $vgpr10_vgpr11
.LBB87_2640:
	s_delay_alu instid0(SALU_CYCLE_1)
	s_and_not1_b32 vcc_lo, exec_lo, s0
	s_cbranch_vccnz .LBB87_2642
; %bb.2641:
	global_load_b32 v1, v[24:25], off
	s_wait_loadcnt 0x0
	v_cvt_f64_f32_e32 v[10:11], v1
.LBB87_2642:
	s_mov_b32 s0, 0
.LBB87_2643:
	s_delay_alu instid0(SALU_CYCLE_1)
	s_and_not1_b32 vcc_lo, exec_lo, s0
	s_cbranch_vccnz .LBB87_2645
; %bb.2644:
	global_load_b32 v1, v[24:25], off
	s_wait_loadcnt 0x0
	v_cvt_f32_f16_e32 v1, v1
	s_delay_alu instid0(VALU_DEP_1)
	v_cvt_f64_f32_e32 v[10:11], v1
.LBB87_2645:
	s_mov_b32 s0, 0
.LBB87_2646:
	s_delay_alu instid0(SALU_CYCLE_1)
	s_and_not1_b32 vcc_lo, exec_lo, s0
	s_cbranch_vccnz .LBB87_2657
; %bb.2647:
	s_cmp_lt_i32 s10, 6
	s_cbranch_scc1 .LBB87_2650
; %bb.2648:
	s_cmp_gt_i32 s10, 6
	s_cbranch_scc0 .LBB87_2651
; %bb.2649:
	s_wait_loadcnt 0x0
	global_load_b64 v[10:11], v[24:25], off
	s_mov_b32 s0, 0
	s_branch .LBB87_2652
.LBB87_2650:
	s_mov_b32 s0, -1
                                        ; implicit-def: $vgpr10_vgpr11
	s_branch .LBB87_2655
.LBB87_2651:
	s_mov_b32 s0, -1
                                        ; implicit-def: $vgpr10_vgpr11
.LBB87_2652:
	s_delay_alu instid0(SALU_CYCLE_1)
	s_and_not1_b32 vcc_lo, exec_lo, s0
	s_cbranch_vccnz .LBB87_2654
; %bb.2653:
	global_load_b32 v1, v[24:25], off
	s_wait_loadcnt 0x0
	v_cvt_f64_f32_e32 v[10:11], v1
.LBB87_2654:
	s_mov_b32 s0, 0
.LBB87_2655:
	s_delay_alu instid0(SALU_CYCLE_1)
	s_and_not1_b32 vcc_lo, exec_lo, s0
	s_cbranch_vccnz .LBB87_2657
; %bb.2656:
	global_load_u16 v1, v[24:25], off
	s_wait_loadcnt 0x0
	v_cvt_f32_f16_e32 v1, v1
	s_delay_alu instid0(VALU_DEP_1)
	v_cvt_f64_f32_e32 v[10:11], v1
.LBB87_2657:
	s_mov_b32 s0, 0
.LBB87_2658:
	s_delay_alu instid0(SALU_CYCLE_1)
	s_and_not1_b32 vcc_lo, exec_lo, s0
	s_cbranch_vccnz .LBB87_2678
; %bb.2659:
	s_cmp_lt_i32 s10, 2
	s_cbranch_scc1 .LBB87_2663
; %bb.2660:
	s_cmp_lt_i32 s10, 3
	s_cbranch_scc1 .LBB87_2664
; %bb.2661:
	s_cmp_gt_i32 s10, 3
	s_cbranch_scc0 .LBB87_2665
; %bb.2662:
	s_wait_loadcnt 0x0
	global_load_b64 v[10:11], v[24:25], off
	s_mov_b32 s0, 0
	s_wait_loadcnt 0x0
	v_cvt_f64_i32_e32 v[26:27], v11
	v_cvt_f64_u32_e32 v[10:11], v10
	s_delay_alu instid0(VALU_DEP_2) | instskip(NEXT) | instid1(VALU_DEP_1)
	v_ldexp_f64 v[26:27], v[26:27], 32
	v_add_f64_e32 v[10:11], v[26:27], v[10:11]
	s_branch .LBB87_2666
.LBB87_2663:
	s_mov_b32 s0, -1
                                        ; implicit-def: $vgpr10_vgpr11
	s_branch .LBB87_2672
.LBB87_2664:
	s_mov_b32 s0, -1
                                        ; implicit-def: $vgpr10_vgpr11
	s_branch .LBB87_2669
.LBB87_2665:
	s_mov_b32 s0, -1
                                        ; implicit-def: $vgpr10_vgpr11
.LBB87_2666:
	s_delay_alu instid0(SALU_CYCLE_1)
	s_and_not1_b32 vcc_lo, exec_lo, s0
	s_cbranch_vccnz .LBB87_2668
; %bb.2667:
	global_load_b32 v1, v[24:25], off
	s_wait_loadcnt 0x0
	v_cvt_f64_i32_e32 v[10:11], v1
.LBB87_2668:
	s_mov_b32 s0, 0
.LBB87_2669:
	s_delay_alu instid0(SALU_CYCLE_1)
	s_and_not1_b32 vcc_lo, exec_lo, s0
	s_cbranch_vccnz .LBB87_2671
; %bb.2670:
	global_load_i16 v1, v[24:25], off
	s_wait_loadcnt 0x0
	v_cvt_f64_i32_e32 v[10:11], v1
.LBB87_2671:
	s_mov_b32 s0, 0
.LBB87_2672:
	s_delay_alu instid0(SALU_CYCLE_1)
	s_and_not1_b32 vcc_lo, exec_lo, s0
	s_cbranch_vccnz .LBB87_2678
; %bb.2673:
	s_cmp_gt_i32 s10, 0
	s_mov_b32 s0, 0
	s_cbranch_scc0 .LBB87_2675
; %bb.2674:
	global_load_i8 v1, v[24:25], off
	s_wait_loadcnt 0x0
	v_cvt_f64_i32_e32 v[10:11], v1
	s_branch .LBB87_2676
.LBB87_2675:
	s_mov_b32 s0, -1
                                        ; implicit-def: $vgpr10_vgpr11
.LBB87_2676:
	s_delay_alu instid0(SALU_CYCLE_1)
	s_and_not1_b32 vcc_lo, exec_lo, s0
	s_cbranch_vccnz .LBB87_2678
; %bb.2677:
	global_load_u8 v1, v[24:25], off
	s_wait_loadcnt 0x0
	v_cvt_f64_u32_e32 v[10:11], v1
.LBB87_2678:
	s_mov_b32 s2, -1
.LBB87_2679:
	s_delay_alu instid0(SALU_CYCLE_1)
	s_and_not1_b32 vcc_lo, exec_lo, s2
	s_cbranch_vccnz .LBB87_3112
; %bb.2680:
	s_wait_loadcnt 0x0
	v_cmp_eq_f64_e32 vcc_lo, v[8:9], v[12:13]
	s_load_b64 s[0:1], s[20:21], 0x1a0
	s_mov_b32 s11, 0
	s_mov_b32 s2, -1
	v_mov_b32_e32 v7, 0
	s_delay_alu instid0(VALU_DEP_1) | instskip(SKIP_4) | instid1(SALU_CYCLE_1)
	v_add_nc_u64_e32 v[6:7], s[4:5], v[6:7]
	s_wait_kmcnt 0x0
	s_cmp_eq_u32 s0, 0
	s_cselect_b32 s0, -1, 0
	s_and_b32 s6, s1, 0xff
	s_cmp_lt_i32 s6, 11
	v_cndmask_b32_e64 v1, 0, 1, vcc_lo
	v_cmp_neq_f64_e32 vcc_lo, v[8:9], v[12:13]
	v_cndmask_b32_e64 v3, 0, 1, vcc_lo
	s_delay_alu instid0(VALU_DEP_1) | instskip(NEXT) | instid1(VALU_DEP_1)
	v_cndmask_b32_e64 v1, v3, v1, s0
	v_and_b32_e32 v1, 1, v1
	s_delay_alu instid0(VALU_DEP_1)
	v_cmp_eq_u32_e64 s1, 1, v1
	s_cbranch_scc1 .LBB87_2759
; %bb.2681:
	s_and_b32 s7, 0xffff, s6
	s_mov_b32 s12, -1
	s_mov_b32 s10, 0
	s_cmp_gt_i32 s7, 25
	s_mov_b32 s2, 0
	s_cbranch_scc0 .LBB87_2714
; %bb.2682:
	s_cmp_gt_i32 s7, 28
	s_cbranch_scc0 .LBB87_2697
; %bb.2683:
	s_cmp_gt_i32 s7, 43
	;; [unrolled: 3-line block ×3, first 2 shown]
	s_cbranch_scc0 .LBB87_2687
; %bb.2685:
	s_mov_b32 s2, -1
	s_mov_b32 s12, 0
	s_cmp_eq_u32 s7, 46
	s_cbranch_scc0 .LBB87_2687
; %bb.2686:
	v_cndmask_b32_e64 v1, 0, 1.0, s1
	s_mov_b32 s2, 0
	s_mov_b32 s11, -1
	s_delay_alu instid0(VALU_DEP_1) | instskip(NEXT) | instid1(VALU_DEP_1)
	v_bfe_u32 v3, v1, 16, 1
	v_add3_u32 v1, v1, v3, 0x7fff
	s_delay_alu instid0(VALU_DEP_1)
	v_lshrrev_b32_e32 v1, 16, v1
	global_store_b32 v[6:7], v1, off
.LBB87_2687:
	s_and_b32 vcc_lo, exec_lo, s12
	s_cbranch_vccz .LBB87_2692
; %bb.2688:
	s_cmp_eq_u32 s7, 44
	s_mov_b32 s2, -1
	s_cbranch_scc0 .LBB87_2692
; %bb.2689:
	v_cndmask_b32_e64 v5, 0, 1.0, s1
	v_mov_b32_e32 v3, 0xff
	s_mov_b32 s11, exec_lo
	s_wait_xcnt 0x0
	s_delay_alu instid0(VALU_DEP_2) | instskip(NEXT) | instid1(VALU_DEP_1)
	v_lshrrev_b32_e32 v1, 23, v5
	v_cmpx_ne_u32_e32 0xff, v1
; %bb.2690:
	v_and_b32_e32 v3, 0x400000, v5
	v_and_or_b32 v5, 0x3fffff, v5, v1
	s_delay_alu instid0(VALU_DEP_2) | instskip(NEXT) | instid1(VALU_DEP_2)
	v_cmp_ne_u32_e32 vcc_lo, 0, v3
	v_cmp_ne_u32_e64 s2, 0, v5
	s_and_b32 s2, vcc_lo, s2
	s_delay_alu instid0(SALU_CYCLE_1) | instskip(NEXT) | instid1(VALU_DEP_1)
	v_cndmask_b32_e64 v3, 0, 1, s2
	v_add_nc_u32_e32 v3, v1, v3
; %bb.2691:
	s_or_b32 exec_lo, exec_lo, s11
	s_mov_b32 s2, 0
	s_mov_b32 s11, -1
	global_store_b8 v[6:7], v3, off
.LBB87_2692:
	s_mov_b32 s12, 0
.LBB87_2693:
	s_delay_alu instid0(SALU_CYCLE_1)
	s_and_b32 vcc_lo, exec_lo, s12
	s_cbranch_vccz .LBB87_2696
; %bb.2694:
	s_cmp_eq_u32 s7, 29
	s_mov_b32 s2, -1
	s_cbranch_scc0 .LBB87_2696
; %bb.2695:
	s_mov_b32 s2, 0
	v_cndmask_b32_e64 v8, 0, 1, s1
	v_mov_b32_e32 v9, s2
	s_mov_b32 s11, -1
	global_store_b64 v[6:7], v[8:9], off
.LBB87_2696:
	s_mov_b32 s12, 0
.LBB87_2697:
	s_delay_alu instid0(SALU_CYCLE_1)
	s_and_b32 vcc_lo, exec_lo, s12
	s_cbranch_vccz .LBB87_2713
; %bb.2698:
	s_cmp_lt_i32 s7, 27
	s_mov_b32 s11, -1
	s_cbranch_scc1 .LBB87_2704
; %bb.2699:
	s_cmp_gt_i32 s7, 27
	s_cbranch_scc0 .LBB87_2701
; %bb.2700:
	s_wait_xcnt 0x0
	v_cndmask_b32_e64 v1, 0, 1, s1
	s_mov_b32 s11, 0
	global_store_b32 v[6:7], v1, off
.LBB87_2701:
	s_and_not1_b32 vcc_lo, exec_lo, s11
	s_cbranch_vccnz .LBB87_2703
; %bb.2702:
	s_wait_xcnt 0x0
	v_cndmask_b32_e64 v1, 0, 1, s1
	global_store_b16 v[6:7], v1, off
.LBB87_2703:
	s_mov_b32 s11, 0
.LBB87_2704:
	s_delay_alu instid0(SALU_CYCLE_1)
	s_and_not1_b32 vcc_lo, exec_lo, s11
	s_cbranch_vccnz .LBB87_2712
; %bb.2705:
	s_wait_xcnt 0x0
	v_cndmask_b32_e64 v3, 0, 1.0, s1
	v_mov_b32_e32 v5, 0x80
	s_mov_b32 s11, exec_lo
	s_delay_alu instid0(VALU_DEP_2)
	v_cmpx_gt_u32_e32 0x43800000, v3
	s_cbranch_execz .LBB87_2711
; %bb.2706:
	s_mov_b32 s12, 0
	s_mov_b32 s13, exec_lo
                                        ; implicit-def: $vgpr1
	v_cmpx_lt_u32_e32 0x3bffffff, v3
	s_xor_b32 s13, exec_lo, s13
	s_cbranch_execz .LBB87_3159
; %bb.2707:
	v_bfe_u32 v1, v3, 20, 1
	s_mov_b32 s12, exec_lo
	s_delay_alu instid0(VALU_DEP_1) | instskip(NEXT) | instid1(VALU_DEP_1)
	v_add3_u32 v1, v3, v1, 0x487ffff
                                        ; implicit-def: $vgpr3
	v_lshrrev_b32_e32 v1, 20, v1
	s_and_not1_saveexec_b32 s13, s13
	s_cbranch_execnz .LBB87_3160
.LBB87_2708:
	s_or_b32 exec_lo, exec_lo, s13
	v_mov_b32_e32 v5, 0
	s_and_saveexec_b32 s13, s12
.LBB87_2709:
	v_mov_b32_e32 v5, v1
.LBB87_2710:
	s_or_b32 exec_lo, exec_lo, s13
.LBB87_2711:
	s_delay_alu instid0(SALU_CYCLE_1)
	s_or_b32 exec_lo, exec_lo, s11
	global_store_b8 v[6:7], v5, off
.LBB87_2712:
	s_mov_b32 s11, -1
.LBB87_2713:
	s_mov_b32 s12, 0
.LBB87_2714:
	s_delay_alu instid0(SALU_CYCLE_1)
	s_and_b32 vcc_lo, exec_lo, s12
	s_cbranch_vccz .LBB87_2754
; %bb.2715:
	s_cmp_gt_i32 s7, 22
	s_mov_b32 s10, -1
	s_cbranch_scc0 .LBB87_2747
; %bb.2716:
	s_cmp_lt_i32 s7, 24
	s_cbranch_scc1 .LBB87_2736
; %bb.2717:
	s_cmp_gt_i32 s7, 24
	s_cbranch_scc0 .LBB87_2725
; %bb.2718:
	s_wait_xcnt 0x0
	v_cndmask_b32_e64 v3, 0, 1.0, s1
	v_mov_b32_e32 v5, 0x80
	s_mov_b32 s10, exec_lo
	s_delay_alu instid0(VALU_DEP_2)
	v_cmpx_gt_u32_e32 0x47800000, v3
	s_cbranch_execz .LBB87_2724
; %bb.2719:
	s_mov_b32 s11, 0
	s_mov_b32 s12, exec_lo
                                        ; implicit-def: $vgpr1
	v_cmpx_lt_u32_e32 0x37ffffff, v3
	s_xor_b32 s12, exec_lo, s12
	s_cbranch_execz .LBB87_3162
; %bb.2720:
	v_bfe_u32 v1, v3, 21, 1
	s_mov_b32 s11, exec_lo
	s_delay_alu instid0(VALU_DEP_1) | instskip(NEXT) | instid1(VALU_DEP_1)
	v_add3_u32 v1, v3, v1, 0x88fffff
                                        ; implicit-def: $vgpr3
	v_lshrrev_b32_e32 v1, 21, v1
	s_and_not1_saveexec_b32 s12, s12
	s_cbranch_execnz .LBB87_3163
.LBB87_2721:
	s_or_b32 exec_lo, exec_lo, s12
	v_mov_b32_e32 v5, 0
	s_and_saveexec_b32 s12, s11
.LBB87_2722:
	v_mov_b32_e32 v5, v1
.LBB87_2723:
	s_or_b32 exec_lo, exec_lo, s12
.LBB87_2724:
	s_delay_alu instid0(SALU_CYCLE_1)
	s_or_b32 exec_lo, exec_lo, s10
	s_mov_b32 s10, 0
	global_store_b8 v[6:7], v5, off
.LBB87_2725:
	s_and_b32 vcc_lo, exec_lo, s10
	s_cbranch_vccz .LBB87_2735
; %bb.2726:
	s_wait_xcnt 0x0
	v_cndmask_b32_e64 v3, 0, 1.0, s1
	s_mov_b32 s10, exec_lo
                                        ; implicit-def: $vgpr1
	s_delay_alu instid0(VALU_DEP_1)
	v_cmpx_gt_u32_e32 0x43f00000, v3
	s_xor_b32 s10, exec_lo, s10
	s_cbranch_execz .LBB87_2732
; %bb.2727:
	s_mov_b32 s11, exec_lo
                                        ; implicit-def: $vgpr1
	v_cmpx_lt_u32_e32 0x3c7fffff, v3
	s_xor_b32 s11, exec_lo, s11
; %bb.2728:
	v_bfe_u32 v1, v3, 20, 1
	s_delay_alu instid0(VALU_DEP_1) | instskip(NEXT) | instid1(VALU_DEP_1)
	v_add3_u32 v1, v3, v1, 0x407ffff
	v_and_b32_e32 v3, 0xff00000, v1
	v_lshrrev_b32_e32 v1, 20, v1
	s_delay_alu instid0(VALU_DEP_2) | instskip(NEXT) | instid1(VALU_DEP_2)
	v_cmp_ne_u32_e32 vcc_lo, 0x7f00000, v3
                                        ; implicit-def: $vgpr3
	v_cndmask_b32_e32 v1, 0x7e, v1, vcc_lo
; %bb.2729:
	s_and_not1_saveexec_b32 s11, s11
; %bb.2730:
	v_add_f32_e32 v1, 0x46800000, v3
; %bb.2731:
	s_or_b32 exec_lo, exec_lo, s11
                                        ; implicit-def: $vgpr3
.LBB87_2732:
	s_and_not1_saveexec_b32 s10, s10
; %bb.2733:
	v_mov_b32_e32 v1, 0x7f
	v_cmp_lt_u32_e32 vcc_lo, 0x7f800000, v3
	s_delay_alu instid0(VALU_DEP_2)
	v_cndmask_b32_e32 v1, 0x7e, v1, vcc_lo
; %bb.2734:
	s_or_b32 exec_lo, exec_lo, s10
	global_store_b8 v[6:7], v1, off
.LBB87_2735:
	s_mov_b32 s10, 0
.LBB87_2736:
	s_delay_alu instid0(SALU_CYCLE_1)
	s_and_not1_b32 vcc_lo, exec_lo, s10
	s_cbranch_vccnz .LBB87_2746
; %bb.2737:
	s_wait_xcnt 0x0
	v_cndmask_b32_e64 v3, 0, 1.0, s1
	s_mov_b32 s10, exec_lo
                                        ; implicit-def: $vgpr1
	s_delay_alu instid0(VALU_DEP_1)
	v_cmpx_gt_u32_e32 0x47800000, v3
	s_xor_b32 s10, exec_lo, s10
	s_cbranch_execz .LBB87_2743
; %bb.2738:
	s_mov_b32 s11, exec_lo
                                        ; implicit-def: $vgpr1
	v_cmpx_lt_u32_e32 0x387fffff, v3
	s_xor_b32 s11, exec_lo, s11
; %bb.2739:
	v_bfe_u32 v1, v3, 21, 1
	s_delay_alu instid0(VALU_DEP_1) | instskip(NEXT) | instid1(VALU_DEP_1)
	v_add3_u32 v1, v3, v1, 0x80fffff
                                        ; implicit-def: $vgpr3
	v_lshrrev_b32_e32 v1, 21, v1
; %bb.2740:
	s_and_not1_saveexec_b32 s11, s11
; %bb.2741:
	v_add_f32_e32 v1, 0x43000000, v3
; %bb.2742:
	s_or_b32 exec_lo, exec_lo, s11
                                        ; implicit-def: $vgpr3
.LBB87_2743:
	s_and_not1_saveexec_b32 s10, s10
; %bb.2744:
	v_mov_b32_e32 v1, 0x7f
	v_cmp_lt_u32_e32 vcc_lo, 0x7f800000, v3
	s_delay_alu instid0(VALU_DEP_2)
	v_cndmask_b32_e32 v1, 0x7c, v1, vcc_lo
; %bb.2745:
	s_or_b32 exec_lo, exec_lo, s10
	global_store_b8 v[6:7], v1, off
.LBB87_2746:
	s_mov_b32 s10, 0
	s_mov_b32 s11, -1
.LBB87_2747:
	s_and_not1_b32 vcc_lo, exec_lo, s10
	s_mov_b32 s10, 0
	s_cbranch_vccnz .LBB87_2754
; %bb.2748:
	s_cmp_gt_i32 s7, 14
	s_mov_b32 s10, -1
	s_cbranch_scc0 .LBB87_2752
; %bb.2749:
	s_cmp_eq_u32 s7, 15
	s_mov_b32 s2, -1
	s_cbranch_scc0 .LBB87_2751
; %bb.2750:
	s_wait_xcnt 0x0
	v_cndmask_b32_e64 v1, 0, 1.0, s1
	s_mov_b32 s2, 0
	s_mov_b32 s11, -1
	s_delay_alu instid0(VALU_DEP_1) | instskip(NEXT) | instid1(VALU_DEP_1)
	v_bfe_u32 v3, v1, 16, 1
	v_add3_u32 v1, v1, v3, 0x7fff
	global_store_d16_hi_b16 v[6:7], v1, off
.LBB87_2751:
	s_mov_b32 s10, 0
.LBB87_2752:
	s_delay_alu instid0(SALU_CYCLE_1)
	s_and_b32 vcc_lo, exec_lo, s10
	s_mov_b32 s10, 0
	s_cbranch_vccz .LBB87_2754
; %bb.2753:
	s_cmp_lg_u32 s7, 11
	s_mov_b32 s10, -1
	s_cselect_b32 s2, -1, 0
.LBB87_2754:
	s_delay_alu instid0(SALU_CYCLE_1)
	s_and_b32 vcc_lo, exec_lo, s2
	s_cbranch_vccnz .LBB87_3161
; %bb.2755:
	s_and_not1_b32 vcc_lo, exec_lo, s10
	s_cbranch_vccnz .LBB87_2757
.LBB87_2756:
	s_wait_xcnt 0x0
	v_cndmask_b32_e64 v1, 0, 1, s1
	s_mov_b32 s11, -1
	global_store_b8 v[6:7], v1, off
.LBB87_2757:
.LBB87_2758:
	s_and_not1_b32 vcc_lo, exec_lo, s11
	s_cbranch_vccnz .LBB87_3112
	s_branch .LBB87_2798
.LBB87_2759:
	s_and_b32 vcc_lo, exec_lo, s2
	s_cbranch_vccz .LBB87_2758
; %bb.2760:
	s_and_b32 s2, 0xffff, s6
	s_mov_b32 s7, -1
	s_cmp_lt_i32 s2, 5
	s_cbranch_scc1 .LBB87_2781
; %bb.2761:
	s_cmp_lt_i32 s2, 8
	s_cbranch_scc1 .LBB87_2771
; %bb.2762:
	;; [unrolled: 3-line block ×3, first 2 shown]
	s_cmp_gt_i32 s2, 9
	s_cbranch_scc0 .LBB87_2765
; %bb.2764:
	s_wait_xcnt 0x0
	v_cndmask_b32_e64 v1, 0, 1, s1
	v_mov_b32_e32 v26, 0
	s_mov_b32 s7, 0
	s_delay_alu instid0(VALU_DEP_2) | instskip(NEXT) | instid1(VALU_DEP_2)
	v_cvt_f64_u32_e32 v[24:25], v1
	v_mov_b32_e32 v27, v26
	global_store_b128 v[6:7], v[24:27], off
.LBB87_2765:
	s_and_not1_b32 vcc_lo, exec_lo, s7
	s_cbranch_vccnz .LBB87_2767
; %bb.2766:
	s_wait_xcnt 0x0
	v_cndmask_b32_e64 v8, 0, 1.0, s1
	v_mov_b32_e32 v9, 0
	global_store_b64 v[6:7], v[8:9], off
.LBB87_2767:
	s_mov_b32 s7, 0
.LBB87_2768:
	s_delay_alu instid0(SALU_CYCLE_1)
	s_and_not1_b32 vcc_lo, exec_lo, s7
	s_cbranch_vccnz .LBB87_2770
; %bb.2769:
	s_wait_xcnt 0x0
	v_cndmask_b32_e64 v1, 0, 1.0, s1
	s_delay_alu instid0(VALU_DEP_1) | instskip(NEXT) | instid1(VALU_DEP_1)
	v_cvt_f16_f32_e32 v1, v1
	v_and_b32_e32 v1, 0xffff, v1
	global_store_b32 v[6:7], v1, off
.LBB87_2770:
	s_mov_b32 s7, 0
.LBB87_2771:
	s_delay_alu instid0(SALU_CYCLE_1)
	s_and_not1_b32 vcc_lo, exec_lo, s7
	s_cbranch_vccnz .LBB87_2780
; %bb.2772:
	s_cmp_lt_i32 s2, 6
	s_mov_b32 s7, -1
	s_cbranch_scc1 .LBB87_2778
; %bb.2773:
	s_cmp_gt_i32 s2, 6
	s_cbranch_scc0 .LBB87_2775
; %bb.2774:
	s_wait_xcnt 0x0
	v_cndmask_b32_e64 v1, 0, 1, s1
	s_mov_b32 s7, 0
	s_delay_alu instid0(VALU_DEP_1)
	v_cvt_f64_u32_e32 v[8:9], v1
	global_store_b64 v[6:7], v[8:9], off
.LBB87_2775:
	s_and_not1_b32 vcc_lo, exec_lo, s7
	s_cbranch_vccnz .LBB87_2777
; %bb.2776:
	s_wait_xcnt 0x0
	v_cndmask_b32_e64 v1, 0, 1.0, s1
	global_store_b32 v[6:7], v1, off
.LBB87_2777:
	s_mov_b32 s7, 0
.LBB87_2778:
	s_delay_alu instid0(SALU_CYCLE_1)
	s_and_not1_b32 vcc_lo, exec_lo, s7
	s_cbranch_vccnz .LBB87_2780
; %bb.2779:
	s_wait_xcnt 0x0
	v_cndmask_b32_e64 v1, 0, 1.0, s1
	s_delay_alu instid0(VALU_DEP_1)
	v_cvt_f16_f32_e32 v1, v1
	global_store_b16 v[6:7], v1, off
.LBB87_2780:
	s_mov_b32 s7, 0
.LBB87_2781:
	s_delay_alu instid0(SALU_CYCLE_1)
	s_and_not1_b32 vcc_lo, exec_lo, s7
	s_cbranch_vccnz .LBB87_2797
; %bb.2782:
	s_cmp_lt_i32 s2, 2
	s_mov_b32 s7, -1
	s_cbranch_scc1 .LBB87_2792
; %bb.2783:
	s_cmp_lt_i32 s2, 3
	s_cbranch_scc1 .LBB87_2789
; %bb.2784:
	s_cmp_gt_i32 s2, 3
	s_cbranch_scc0 .LBB87_2786
; %bb.2785:
	s_mov_b32 s7, 0
	s_wait_xcnt 0x0
	v_cndmask_b32_e64 v8, 0, 1, s1
	v_mov_b32_e32 v9, s7
	global_store_b64 v[6:7], v[8:9], off
.LBB87_2786:
	s_and_not1_b32 vcc_lo, exec_lo, s7
	s_cbranch_vccnz .LBB87_2788
; %bb.2787:
	s_wait_xcnt 0x0
	v_cndmask_b32_e64 v1, 0, 1, s1
	global_store_b32 v[6:7], v1, off
.LBB87_2788:
	s_mov_b32 s7, 0
.LBB87_2789:
	s_delay_alu instid0(SALU_CYCLE_1)
	s_and_not1_b32 vcc_lo, exec_lo, s7
	s_cbranch_vccnz .LBB87_2791
; %bb.2790:
	s_wait_xcnt 0x0
	v_cndmask_b32_e64 v1, 0, 1, s1
	global_store_b16 v[6:7], v1, off
.LBB87_2791:
	s_mov_b32 s7, 0
.LBB87_2792:
	s_delay_alu instid0(SALU_CYCLE_1)
	s_and_not1_b32 vcc_lo, exec_lo, s7
	s_cbranch_vccnz .LBB87_2797
; %bb.2793:
	s_wait_xcnt 0x0
	v_cndmask_b32_e64 v1, 0, 1, s1
	s_cmp_gt_i32 s2, 0
	s_mov_b32 s1, -1
	s_cbranch_scc0 .LBB87_2795
; %bb.2794:
	s_mov_b32 s1, 0
	global_store_b8 v[6:7], v1, off
.LBB87_2795:
	s_and_not1_b32 vcc_lo, exec_lo, s1
	s_cbranch_vccnz .LBB87_2797
; %bb.2796:
	global_store_b8 v[6:7], v1, off
.LBB87_2797:
.LBB87_2798:
	v_cmp_eq_f64_e32 vcc_lo, v[14:15], v[18:19]
	s_and_b32 s7, 0xffff, s6
	s_wait_xcnt 0x0
	v_mov_b32_e32 v5, 0
	s_cmp_lt_i32 s7, 11
	s_delay_alu instid0(VALU_DEP_1) | instskip(SKIP_3) | instid1(VALU_DEP_1)
	v_add_nc_u64_e32 v[4:5], s[4:5], v[4:5]
	v_cndmask_b32_e64 v1, 0, 1, vcc_lo
	v_cmp_neq_f64_e32 vcc_lo, v[14:15], v[18:19]
	v_cndmask_b32_e64 v3, 0, 1, vcc_lo
	v_cndmask_b32_e64 v1, v3, v1, s0
	s_delay_alu instid0(VALU_DEP_1) | instskip(NEXT) | instid1(VALU_DEP_1)
	v_and_b32_e32 v1, 1, v1
	v_cmp_eq_u32_e64 s1, 1, v1
	s_cbranch_scc1 .LBB87_2876
; %bb.2799:
	s_mov_b32 s12, -1
	s_mov_b32 s10, 0
	s_cmp_gt_i32 s7, 25
	s_mov_b32 s11, 0
	s_mov_b32 s2, 0
	s_cbranch_scc0 .LBB87_2832
; %bb.2800:
	s_cmp_gt_i32 s7, 28
	s_cbranch_scc0 .LBB87_2815
; %bb.2801:
	s_cmp_gt_i32 s7, 43
	s_cbranch_scc0 .LBB87_2811
; %bb.2802:
	s_cmp_gt_i32 s7, 45
	s_cbranch_scc0 .LBB87_2805
; %bb.2803:
	s_mov_b32 s2, -1
	s_mov_b32 s12, 0
	s_cmp_eq_u32 s7, 46
	s_cbranch_scc0 .LBB87_2805
; %bb.2804:
	v_cndmask_b32_e64 v1, 0, 1.0, s1
	s_mov_b32 s2, 0
	s_mov_b32 s11, -1
	s_delay_alu instid0(VALU_DEP_1) | instskip(NEXT) | instid1(VALU_DEP_1)
	v_bfe_u32 v3, v1, 16, 1
	v_add3_u32 v1, v1, v3, 0x7fff
	s_delay_alu instid0(VALU_DEP_1)
	v_lshrrev_b32_e32 v1, 16, v1
	global_store_b32 v[4:5], v1, off
.LBB87_2805:
	s_and_b32 vcc_lo, exec_lo, s12
	s_cbranch_vccz .LBB87_2810
; %bb.2806:
	s_cmp_eq_u32 s7, 44
	s_mov_b32 s2, -1
	s_cbranch_scc0 .LBB87_2810
; %bb.2807:
	v_cndmask_b32_e64 v6, 0, 1.0, s1
	v_mov_b32_e32 v3, 0xff
	s_mov_b32 s11, exec_lo
	s_wait_xcnt 0x0
	s_delay_alu instid0(VALU_DEP_2) | instskip(NEXT) | instid1(VALU_DEP_1)
	v_lshrrev_b32_e32 v1, 23, v6
	v_cmpx_ne_u32_e32 0xff, v1
; %bb.2808:
	v_and_b32_e32 v3, 0x400000, v6
	v_and_or_b32 v6, 0x3fffff, v6, v1
	s_delay_alu instid0(VALU_DEP_2) | instskip(NEXT) | instid1(VALU_DEP_2)
	v_cmp_ne_u32_e32 vcc_lo, 0, v3
	v_cmp_ne_u32_e64 s2, 0, v6
	s_and_b32 s2, vcc_lo, s2
	s_delay_alu instid0(SALU_CYCLE_1) | instskip(NEXT) | instid1(VALU_DEP_1)
	v_cndmask_b32_e64 v3, 0, 1, s2
	v_add_nc_u32_e32 v3, v1, v3
; %bb.2809:
	s_or_b32 exec_lo, exec_lo, s11
	s_mov_b32 s2, 0
	s_mov_b32 s11, -1
	global_store_b8 v[4:5], v3, off
.LBB87_2810:
	s_mov_b32 s12, 0
.LBB87_2811:
	s_delay_alu instid0(SALU_CYCLE_1)
	s_and_b32 vcc_lo, exec_lo, s12
	s_cbranch_vccz .LBB87_2814
; %bb.2812:
	s_cmp_eq_u32 s7, 29
	s_mov_b32 s2, -1
	s_cbranch_scc0 .LBB87_2814
; %bb.2813:
	s_mov_b32 s2, 0
	v_cndmask_b32_e64 v6, 0, 1, s1
	v_mov_b32_e32 v7, s2
	s_mov_b32 s11, -1
	global_store_b64 v[4:5], v[6:7], off
.LBB87_2814:
	s_mov_b32 s12, 0
.LBB87_2815:
	s_delay_alu instid0(SALU_CYCLE_1)
	s_and_b32 vcc_lo, exec_lo, s12
	s_cbranch_vccz .LBB87_2831
; %bb.2816:
	s_cmp_lt_i32 s7, 27
	s_mov_b32 s11, -1
	s_cbranch_scc1 .LBB87_2822
; %bb.2817:
	s_cmp_gt_i32 s7, 27
	s_cbranch_scc0 .LBB87_2819
; %bb.2818:
	s_wait_xcnt 0x0
	v_cndmask_b32_e64 v1, 0, 1, s1
	s_mov_b32 s11, 0
	global_store_b32 v[4:5], v1, off
.LBB87_2819:
	s_and_not1_b32 vcc_lo, exec_lo, s11
	s_cbranch_vccnz .LBB87_2821
; %bb.2820:
	s_wait_xcnt 0x0
	v_cndmask_b32_e64 v1, 0, 1, s1
	global_store_b16 v[4:5], v1, off
.LBB87_2821:
	s_mov_b32 s11, 0
.LBB87_2822:
	s_delay_alu instid0(SALU_CYCLE_1)
	s_and_not1_b32 vcc_lo, exec_lo, s11
	s_cbranch_vccnz .LBB87_2830
; %bb.2823:
	s_wait_xcnt 0x0
	v_cndmask_b32_e64 v3, 0, 1.0, s1
	v_mov_b32_e32 v6, 0x80
	s_mov_b32 s11, exec_lo
	s_delay_alu instid0(VALU_DEP_2)
	v_cmpx_gt_u32_e32 0x43800000, v3
	s_cbranch_execz .LBB87_2829
; %bb.2824:
	s_mov_b32 s12, 0
	s_mov_b32 s13, exec_lo
                                        ; implicit-def: $vgpr1
	v_cmpx_lt_u32_e32 0x3bffffff, v3
	s_xor_b32 s13, exec_lo, s13
	s_cbranch_execz .LBB87_3164
; %bb.2825:
	v_bfe_u32 v1, v3, 20, 1
	s_mov_b32 s12, exec_lo
	s_delay_alu instid0(VALU_DEP_1) | instskip(NEXT) | instid1(VALU_DEP_1)
	v_add3_u32 v1, v3, v1, 0x487ffff
                                        ; implicit-def: $vgpr3
	v_lshrrev_b32_e32 v1, 20, v1
	s_and_not1_saveexec_b32 s13, s13
	s_cbranch_execnz .LBB87_3165
.LBB87_2826:
	s_or_b32 exec_lo, exec_lo, s13
	v_mov_b32_e32 v6, 0
	s_and_saveexec_b32 s13, s12
.LBB87_2827:
	v_mov_b32_e32 v6, v1
.LBB87_2828:
	s_or_b32 exec_lo, exec_lo, s13
.LBB87_2829:
	s_delay_alu instid0(SALU_CYCLE_1)
	s_or_b32 exec_lo, exec_lo, s11
	global_store_b8 v[4:5], v6, off
.LBB87_2830:
	s_mov_b32 s11, -1
.LBB87_2831:
	s_mov_b32 s12, 0
.LBB87_2832:
	s_delay_alu instid0(SALU_CYCLE_1)
	s_and_b32 vcc_lo, exec_lo, s12
	s_cbranch_vccz .LBB87_2872
; %bb.2833:
	s_cmp_gt_i32 s7, 22
	s_mov_b32 s10, -1
	s_cbranch_scc0 .LBB87_2865
; %bb.2834:
	s_cmp_lt_i32 s7, 24
	s_cbranch_scc1 .LBB87_2854
; %bb.2835:
	s_cmp_gt_i32 s7, 24
	s_cbranch_scc0 .LBB87_2843
; %bb.2836:
	s_wait_xcnt 0x0
	v_cndmask_b32_e64 v3, 0, 1.0, s1
	v_mov_b32_e32 v6, 0x80
	s_mov_b32 s10, exec_lo
	s_delay_alu instid0(VALU_DEP_2)
	v_cmpx_gt_u32_e32 0x47800000, v3
	s_cbranch_execz .LBB87_2842
; %bb.2837:
	s_mov_b32 s11, 0
	s_mov_b32 s12, exec_lo
                                        ; implicit-def: $vgpr1
	v_cmpx_lt_u32_e32 0x37ffffff, v3
	s_xor_b32 s12, exec_lo, s12
	s_cbranch_execz .LBB87_3167
; %bb.2838:
	v_bfe_u32 v1, v3, 21, 1
	s_mov_b32 s11, exec_lo
	s_delay_alu instid0(VALU_DEP_1) | instskip(NEXT) | instid1(VALU_DEP_1)
	v_add3_u32 v1, v3, v1, 0x88fffff
                                        ; implicit-def: $vgpr3
	v_lshrrev_b32_e32 v1, 21, v1
	s_and_not1_saveexec_b32 s12, s12
	s_cbranch_execnz .LBB87_3168
.LBB87_2839:
	s_or_b32 exec_lo, exec_lo, s12
	v_mov_b32_e32 v6, 0
	s_and_saveexec_b32 s12, s11
.LBB87_2840:
	v_mov_b32_e32 v6, v1
.LBB87_2841:
	s_or_b32 exec_lo, exec_lo, s12
.LBB87_2842:
	s_delay_alu instid0(SALU_CYCLE_1)
	s_or_b32 exec_lo, exec_lo, s10
	s_mov_b32 s10, 0
	global_store_b8 v[4:5], v6, off
.LBB87_2843:
	s_and_b32 vcc_lo, exec_lo, s10
	s_cbranch_vccz .LBB87_2853
; %bb.2844:
	s_wait_xcnt 0x0
	v_cndmask_b32_e64 v3, 0, 1.0, s1
	s_mov_b32 s10, exec_lo
                                        ; implicit-def: $vgpr1
	s_delay_alu instid0(VALU_DEP_1)
	v_cmpx_gt_u32_e32 0x43f00000, v3
	s_xor_b32 s10, exec_lo, s10
	s_cbranch_execz .LBB87_2850
; %bb.2845:
	s_mov_b32 s11, exec_lo
                                        ; implicit-def: $vgpr1
	v_cmpx_lt_u32_e32 0x3c7fffff, v3
	s_xor_b32 s11, exec_lo, s11
; %bb.2846:
	v_bfe_u32 v1, v3, 20, 1
	s_delay_alu instid0(VALU_DEP_1) | instskip(NEXT) | instid1(VALU_DEP_1)
	v_add3_u32 v1, v3, v1, 0x407ffff
	v_and_b32_e32 v3, 0xff00000, v1
	v_lshrrev_b32_e32 v1, 20, v1
	s_delay_alu instid0(VALU_DEP_2) | instskip(NEXT) | instid1(VALU_DEP_2)
	v_cmp_ne_u32_e32 vcc_lo, 0x7f00000, v3
                                        ; implicit-def: $vgpr3
	v_cndmask_b32_e32 v1, 0x7e, v1, vcc_lo
; %bb.2847:
	s_and_not1_saveexec_b32 s11, s11
; %bb.2848:
	v_add_f32_e32 v1, 0x46800000, v3
; %bb.2849:
	s_or_b32 exec_lo, exec_lo, s11
                                        ; implicit-def: $vgpr3
.LBB87_2850:
	s_and_not1_saveexec_b32 s10, s10
; %bb.2851:
	v_mov_b32_e32 v1, 0x7f
	v_cmp_lt_u32_e32 vcc_lo, 0x7f800000, v3
	s_delay_alu instid0(VALU_DEP_2)
	v_cndmask_b32_e32 v1, 0x7e, v1, vcc_lo
; %bb.2852:
	s_or_b32 exec_lo, exec_lo, s10
	global_store_b8 v[4:5], v1, off
.LBB87_2853:
	s_mov_b32 s10, 0
.LBB87_2854:
	s_delay_alu instid0(SALU_CYCLE_1)
	s_and_not1_b32 vcc_lo, exec_lo, s10
	s_cbranch_vccnz .LBB87_2864
; %bb.2855:
	s_wait_xcnt 0x0
	v_cndmask_b32_e64 v3, 0, 1.0, s1
	s_mov_b32 s10, exec_lo
                                        ; implicit-def: $vgpr1
	s_delay_alu instid0(VALU_DEP_1)
	v_cmpx_gt_u32_e32 0x47800000, v3
	s_xor_b32 s10, exec_lo, s10
	s_cbranch_execz .LBB87_2861
; %bb.2856:
	s_mov_b32 s11, exec_lo
                                        ; implicit-def: $vgpr1
	v_cmpx_lt_u32_e32 0x387fffff, v3
	s_xor_b32 s11, exec_lo, s11
; %bb.2857:
	v_bfe_u32 v1, v3, 21, 1
	s_delay_alu instid0(VALU_DEP_1) | instskip(NEXT) | instid1(VALU_DEP_1)
	v_add3_u32 v1, v3, v1, 0x80fffff
                                        ; implicit-def: $vgpr3
	v_lshrrev_b32_e32 v1, 21, v1
; %bb.2858:
	s_and_not1_saveexec_b32 s11, s11
; %bb.2859:
	v_add_f32_e32 v1, 0x43000000, v3
; %bb.2860:
	s_or_b32 exec_lo, exec_lo, s11
                                        ; implicit-def: $vgpr3
.LBB87_2861:
	s_and_not1_saveexec_b32 s10, s10
; %bb.2862:
	v_mov_b32_e32 v1, 0x7f
	v_cmp_lt_u32_e32 vcc_lo, 0x7f800000, v3
	s_delay_alu instid0(VALU_DEP_2)
	v_cndmask_b32_e32 v1, 0x7c, v1, vcc_lo
; %bb.2863:
	s_or_b32 exec_lo, exec_lo, s10
	global_store_b8 v[4:5], v1, off
.LBB87_2864:
	s_mov_b32 s10, 0
	s_mov_b32 s11, -1
.LBB87_2865:
	s_and_not1_b32 vcc_lo, exec_lo, s10
	s_mov_b32 s10, 0
	s_cbranch_vccnz .LBB87_2872
; %bb.2866:
	s_cmp_gt_i32 s7, 14
	s_mov_b32 s10, -1
	s_cbranch_scc0 .LBB87_2870
; %bb.2867:
	s_cmp_eq_u32 s7, 15
	s_mov_b32 s2, -1
	s_cbranch_scc0 .LBB87_2869
; %bb.2868:
	s_wait_xcnt 0x0
	v_cndmask_b32_e64 v1, 0, 1.0, s1
	s_mov_b32 s2, 0
	s_mov_b32 s11, -1
	s_delay_alu instid0(VALU_DEP_1) | instskip(NEXT) | instid1(VALU_DEP_1)
	v_bfe_u32 v3, v1, 16, 1
	v_add3_u32 v1, v1, v3, 0x7fff
	global_store_d16_hi_b16 v[4:5], v1, off
.LBB87_2869:
	s_mov_b32 s10, 0
.LBB87_2870:
	s_delay_alu instid0(SALU_CYCLE_1)
	s_and_b32 vcc_lo, exec_lo, s10
	s_mov_b32 s10, 0
	s_cbranch_vccz .LBB87_2872
; %bb.2871:
	s_cmp_lg_u32 s7, 11
	s_mov_b32 s10, -1
	s_cselect_b32 s2, -1, 0
.LBB87_2872:
	s_delay_alu instid0(SALU_CYCLE_1)
	s_and_b32 vcc_lo, exec_lo, s2
	s_cbranch_vccnz .LBB87_3166
; %bb.2873:
	s_and_not1_b32 vcc_lo, exec_lo, s10
	s_cbranch_vccnz .LBB87_2875
.LBB87_2874:
	s_wait_xcnt 0x0
	v_cndmask_b32_e64 v1, 0, 1, s1
	s_mov_b32 s11, -1
	global_store_b8 v[4:5], v1, off
.LBB87_2875:
	s_mov_b32 s2, 0
	s_branch .LBB87_2877
.LBB87_2876:
	s_mov_b32 s2, -1
	s_mov_b32 s11, 0
.LBB87_2877:
	s_and_b32 vcc_lo, exec_lo, s2
	s_cbranch_vccz .LBB87_2916
; %bb.2878:
	s_cmp_lt_i32 s7, 5
	s_mov_b32 s2, -1
	s_cbranch_scc1 .LBB87_2899
; %bb.2879:
	s_cmp_lt_i32 s7, 8
	s_cbranch_scc1 .LBB87_2889
; %bb.2880:
	s_cmp_lt_i32 s7, 9
	s_cbranch_scc1 .LBB87_2886
; %bb.2881:
	s_cmp_gt_i32 s7, 9
	s_cbranch_scc0 .LBB87_2883
; %bb.2882:
	s_wait_xcnt 0x0
	v_cndmask_b32_e64 v1, 0, 1, s1
	v_mov_b32_e32 v8, 0
	s_mov_b32 s2, 0
	s_delay_alu instid0(VALU_DEP_2) | instskip(NEXT) | instid1(VALU_DEP_2)
	v_cvt_f64_u32_e32 v[6:7], v1
	v_mov_b32_e32 v9, v8
	global_store_b128 v[4:5], v[6:9], off
.LBB87_2883:
	s_and_not1_b32 vcc_lo, exec_lo, s2
	s_cbranch_vccnz .LBB87_2885
; %bb.2884:
	s_wait_xcnt 0x0
	v_cndmask_b32_e64 v6, 0, 1.0, s1
	v_mov_b32_e32 v7, 0
	global_store_b64 v[4:5], v[6:7], off
.LBB87_2885:
	s_mov_b32 s2, 0
.LBB87_2886:
	s_delay_alu instid0(SALU_CYCLE_1)
	s_and_not1_b32 vcc_lo, exec_lo, s2
	s_cbranch_vccnz .LBB87_2888
; %bb.2887:
	s_wait_xcnt 0x0
	v_cndmask_b32_e64 v1, 0, 1.0, s1
	s_delay_alu instid0(VALU_DEP_1) | instskip(NEXT) | instid1(VALU_DEP_1)
	v_cvt_f16_f32_e32 v1, v1
	v_and_b32_e32 v1, 0xffff, v1
	global_store_b32 v[4:5], v1, off
.LBB87_2888:
	s_mov_b32 s2, 0
.LBB87_2889:
	s_delay_alu instid0(SALU_CYCLE_1)
	s_and_not1_b32 vcc_lo, exec_lo, s2
	s_cbranch_vccnz .LBB87_2898
; %bb.2890:
	s_cmp_lt_i32 s7, 6
	s_mov_b32 s2, -1
	s_cbranch_scc1 .LBB87_2896
; %bb.2891:
	s_cmp_gt_i32 s7, 6
	s_cbranch_scc0 .LBB87_2893
; %bb.2892:
	s_wait_xcnt 0x0
	v_cndmask_b32_e64 v1, 0, 1, s1
	s_mov_b32 s2, 0
	s_delay_alu instid0(VALU_DEP_1)
	v_cvt_f64_u32_e32 v[6:7], v1
	global_store_b64 v[4:5], v[6:7], off
.LBB87_2893:
	s_and_not1_b32 vcc_lo, exec_lo, s2
	s_cbranch_vccnz .LBB87_2895
; %bb.2894:
	s_wait_xcnt 0x0
	v_cndmask_b32_e64 v1, 0, 1.0, s1
	global_store_b32 v[4:5], v1, off
.LBB87_2895:
	s_mov_b32 s2, 0
.LBB87_2896:
	s_delay_alu instid0(SALU_CYCLE_1)
	s_and_not1_b32 vcc_lo, exec_lo, s2
	s_cbranch_vccnz .LBB87_2898
; %bb.2897:
	s_wait_xcnt 0x0
	v_cndmask_b32_e64 v1, 0, 1.0, s1
	s_delay_alu instid0(VALU_DEP_1)
	v_cvt_f16_f32_e32 v1, v1
	global_store_b16 v[4:5], v1, off
.LBB87_2898:
	s_mov_b32 s2, 0
.LBB87_2899:
	s_delay_alu instid0(SALU_CYCLE_1)
	s_and_not1_b32 vcc_lo, exec_lo, s2
	s_cbranch_vccnz .LBB87_2915
; %bb.2900:
	s_cmp_lt_i32 s7, 2
	s_mov_b32 s2, -1
	s_cbranch_scc1 .LBB87_2910
; %bb.2901:
	s_cmp_lt_i32 s7, 3
	s_cbranch_scc1 .LBB87_2907
; %bb.2902:
	s_cmp_gt_i32 s7, 3
	s_cbranch_scc0 .LBB87_2904
; %bb.2903:
	s_mov_b32 s2, 0
	s_wait_xcnt 0x0
	v_cndmask_b32_e64 v6, 0, 1, s1
	v_mov_b32_e32 v7, s2
	global_store_b64 v[4:5], v[6:7], off
.LBB87_2904:
	s_and_not1_b32 vcc_lo, exec_lo, s2
	s_cbranch_vccnz .LBB87_2906
; %bb.2905:
	s_wait_xcnt 0x0
	v_cndmask_b32_e64 v1, 0, 1, s1
	global_store_b32 v[4:5], v1, off
.LBB87_2906:
	s_mov_b32 s2, 0
.LBB87_2907:
	s_delay_alu instid0(SALU_CYCLE_1)
	s_and_not1_b32 vcc_lo, exec_lo, s2
	s_cbranch_vccnz .LBB87_2909
; %bb.2908:
	s_wait_xcnt 0x0
	v_cndmask_b32_e64 v1, 0, 1, s1
	global_store_b16 v[4:5], v1, off
.LBB87_2909:
	s_mov_b32 s2, 0
.LBB87_2910:
	s_delay_alu instid0(SALU_CYCLE_1)
	s_and_not1_b32 vcc_lo, exec_lo, s2
	s_cbranch_vccnz .LBB87_2915
; %bb.2911:
	s_wait_xcnt 0x0
	v_cndmask_b32_e64 v1, 0, 1, s1
	s_cmp_gt_i32 s7, 0
	s_mov_b32 s1, -1
	s_cbranch_scc0 .LBB87_2913
; %bb.2912:
	s_mov_b32 s1, 0
	global_store_b8 v[4:5], v1, off
.LBB87_2913:
	s_and_not1_b32 vcc_lo, exec_lo, s1
	s_cbranch_vccnz .LBB87_2915
; %bb.2914:
	global_store_b8 v[4:5], v1, off
.LBB87_2915:
	s_mov_b32 s11, -1
.LBB87_2916:
	s_delay_alu instid0(SALU_CYCLE_1)
	s_and_not1_b32 vcc_lo, exec_lo, s11
	s_cbranch_vccnz .LBB87_3112
; %bb.2917:
	v_cmp_eq_f64_e32 vcc_lo, v[20:21], v[22:23]
	s_cmp_lt_i32 s7, 11
	s_wait_xcnt 0x0
	v_cndmask_b32_e64 v1, 0, 1, vcc_lo
	v_cmp_neq_f64_e32 vcc_lo, v[20:21], v[22:23]
	v_cndmask_b32_e64 v3, 0, 1, vcc_lo
	s_delay_alu instid0(VALU_DEP_1) | instskip(NEXT) | instid1(VALU_DEP_1)
	v_dual_cndmask_b32 v1, v3, v1, s0 :: v_dual_mov_b32 v3, 0
	v_and_b32_e32 v1, 1, v1
	s_delay_alu instid0(VALU_DEP_2) | instskip(NEXT) | instid1(VALU_DEP_2)
	v_add_nc_u64_e32 v[2:3], s[4:5], v[2:3]
	v_cmp_eq_u32_e64 s1, 1, v1
	s_cbranch_scc1 .LBB87_2995
; %bb.2918:
	s_mov_b32 s12, -1
	s_mov_b32 s10, 0
	s_cmp_gt_i32 s7, 25
	s_mov_b32 s11, 0
	s_mov_b32 s2, 0
	s_cbranch_scc0 .LBB87_2951
; %bb.2919:
	s_cmp_gt_i32 s7, 28
	s_cbranch_scc0 .LBB87_2934
; %bb.2920:
	s_cmp_gt_i32 s7, 43
	;; [unrolled: 3-line block ×3, first 2 shown]
	s_cbranch_scc0 .LBB87_2924
; %bb.2922:
	s_mov_b32 s2, -1
	s_mov_b32 s12, 0
	s_cmp_eq_u32 s7, 46
	s_cbranch_scc0 .LBB87_2924
; %bb.2923:
	v_cndmask_b32_e64 v1, 0, 1.0, s1
	s_mov_b32 s2, 0
	s_mov_b32 s11, -1
	s_delay_alu instid0(VALU_DEP_1) | instskip(NEXT) | instid1(VALU_DEP_1)
	v_bfe_u32 v4, v1, 16, 1
	v_add3_u32 v1, v1, v4, 0x7fff
	s_delay_alu instid0(VALU_DEP_1)
	v_lshrrev_b32_e32 v1, 16, v1
	global_store_b32 v[2:3], v1, off
.LBB87_2924:
	s_and_b32 vcc_lo, exec_lo, s12
	s_cbranch_vccz .LBB87_2929
; %bb.2925:
	s_cmp_eq_u32 s7, 44
	s_mov_b32 s2, -1
	s_cbranch_scc0 .LBB87_2929
; %bb.2926:
	v_cndmask_b32_e64 v5, 0, 1.0, s1
	s_mov_b32 s11, exec_lo
	s_wait_xcnt 0x0
	s_delay_alu instid0(VALU_DEP_1) | instskip(NEXT) | instid1(VALU_DEP_1)
	v_dual_mov_b32 v4, 0xff :: v_dual_lshrrev_b32 v1, 23, v5
	v_cmpx_ne_u32_e32 0xff, v1
; %bb.2927:
	v_and_b32_e32 v4, 0x400000, v5
	v_and_or_b32 v5, 0x3fffff, v5, v1
	s_delay_alu instid0(VALU_DEP_2) | instskip(NEXT) | instid1(VALU_DEP_2)
	v_cmp_ne_u32_e32 vcc_lo, 0, v4
	v_cmp_ne_u32_e64 s2, 0, v5
	s_and_b32 s2, vcc_lo, s2
	s_delay_alu instid0(SALU_CYCLE_1) | instskip(NEXT) | instid1(VALU_DEP_1)
	v_cndmask_b32_e64 v4, 0, 1, s2
	v_add_nc_u32_e32 v4, v1, v4
; %bb.2928:
	s_or_b32 exec_lo, exec_lo, s11
	s_mov_b32 s2, 0
	s_mov_b32 s11, -1
	global_store_b8 v[2:3], v4, off
.LBB87_2929:
	s_mov_b32 s12, 0
.LBB87_2930:
	s_delay_alu instid0(SALU_CYCLE_1)
	s_and_b32 vcc_lo, exec_lo, s12
	s_cbranch_vccz .LBB87_2933
; %bb.2931:
	s_cmp_eq_u32 s7, 29
	s_mov_b32 s2, -1
	s_cbranch_scc0 .LBB87_2933
; %bb.2932:
	s_mov_b32 s2, 0
	s_wait_xcnt 0x0
	v_cndmask_b32_e64 v4, 0, 1, s1
	v_mov_b32_e32 v5, s2
	s_mov_b32 s11, -1
	global_store_b64 v[2:3], v[4:5], off
.LBB87_2933:
	s_mov_b32 s12, 0
.LBB87_2934:
	s_delay_alu instid0(SALU_CYCLE_1)
	s_and_b32 vcc_lo, exec_lo, s12
	s_cbranch_vccz .LBB87_2950
; %bb.2935:
	s_cmp_lt_i32 s7, 27
	s_mov_b32 s11, -1
	s_cbranch_scc1 .LBB87_2941
; %bb.2936:
	s_cmp_gt_i32 s7, 27
	s_cbranch_scc0 .LBB87_2938
; %bb.2937:
	s_wait_xcnt 0x0
	v_cndmask_b32_e64 v1, 0, 1, s1
	s_mov_b32 s11, 0
	global_store_b32 v[2:3], v1, off
.LBB87_2938:
	s_and_not1_b32 vcc_lo, exec_lo, s11
	s_cbranch_vccnz .LBB87_2940
; %bb.2939:
	s_wait_xcnt 0x0
	v_cndmask_b32_e64 v1, 0, 1, s1
	global_store_b16 v[2:3], v1, off
.LBB87_2940:
	s_mov_b32 s11, 0
.LBB87_2941:
	s_delay_alu instid0(SALU_CYCLE_1)
	s_and_not1_b32 vcc_lo, exec_lo, s11
	s_cbranch_vccnz .LBB87_2949
; %bb.2942:
	s_wait_xcnt 0x0
	v_cndmask_b32_e64 v4, 0, 1.0, s1
	v_mov_b32_e32 v5, 0x80
	s_mov_b32 s11, exec_lo
	s_delay_alu instid0(VALU_DEP_2)
	v_cmpx_gt_u32_e32 0x43800000, v4
	s_cbranch_execz .LBB87_2948
; %bb.2943:
	s_mov_b32 s12, 0
	s_mov_b32 s13, exec_lo
                                        ; implicit-def: $vgpr1
	v_cmpx_lt_u32_e32 0x3bffffff, v4
	s_xor_b32 s13, exec_lo, s13
	s_cbranch_execz .LBB87_3169
; %bb.2944:
	v_bfe_u32 v1, v4, 20, 1
	s_mov_b32 s12, exec_lo
	s_delay_alu instid0(VALU_DEP_1) | instskip(NEXT) | instid1(VALU_DEP_1)
	v_add3_u32 v1, v4, v1, 0x487ffff
                                        ; implicit-def: $vgpr4
	v_lshrrev_b32_e32 v1, 20, v1
	s_and_not1_saveexec_b32 s13, s13
	s_cbranch_execnz .LBB87_3170
.LBB87_2945:
	s_or_b32 exec_lo, exec_lo, s13
	v_mov_b32_e32 v5, 0
	s_and_saveexec_b32 s13, s12
.LBB87_2946:
	v_mov_b32_e32 v5, v1
.LBB87_2947:
	s_or_b32 exec_lo, exec_lo, s13
.LBB87_2948:
	s_delay_alu instid0(SALU_CYCLE_1)
	s_or_b32 exec_lo, exec_lo, s11
	global_store_b8 v[2:3], v5, off
.LBB87_2949:
	s_mov_b32 s11, -1
.LBB87_2950:
	s_mov_b32 s12, 0
.LBB87_2951:
	s_delay_alu instid0(SALU_CYCLE_1)
	s_and_b32 vcc_lo, exec_lo, s12
	s_cbranch_vccz .LBB87_2991
; %bb.2952:
	s_cmp_gt_i32 s7, 22
	s_mov_b32 s10, -1
	s_cbranch_scc0 .LBB87_2984
; %bb.2953:
	s_cmp_lt_i32 s7, 24
	s_cbranch_scc1 .LBB87_2973
; %bb.2954:
	s_cmp_gt_i32 s7, 24
	s_cbranch_scc0 .LBB87_2962
; %bb.2955:
	s_wait_xcnt 0x0
	v_cndmask_b32_e64 v4, 0, 1.0, s1
	v_mov_b32_e32 v5, 0x80
	s_mov_b32 s10, exec_lo
	s_delay_alu instid0(VALU_DEP_2)
	v_cmpx_gt_u32_e32 0x47800000, v4
	s_cbranch_execz .LBB87_2961
; %bb.2956:
	s_mov_b32 s11, 0
	s_mov_b32 s12, exec_lo
                                        ; implicit-def: $vgpr1
	v_cmpx_lt_u32_e32 0x37ffffff, v4
	s_xor_b32 s12, exec_lo, s12
	s_cbranch_execz .LBB87_3172
; %bb.2957:
	v_bfe_u32 v1, v4, 21, 1
	s_mov_b32 s11, exec_lo
	s_delay_alu instid0(VALU_DEP_1) | instskip(NEXT) | instid1(VALU_DEP_1)
	v_add3_u32 v1, v4, v1, 0x88fffff
                                        ; implicit-def: $vgpr4
	v_lshrrev_b32_e32 v1, 21, v1
	s_and_not1_saveexec_b32 s12, s12
	s_cbranch_execnz .LBB87_3173
.LBB87_2958:
	s_or_b32 exec_lo, exec_lo, s12
	v_mov_b32_e32 v5, 0
	s_and_saveexec_b32 s12, s11
.LBB87_2959:
	v_mov_b32_e32 v5, v1
.LBB87_2960:
	s_or_b32 exec_lo, exec_lo, s12
.LBB87_2961:
	s_delay_alu instid0(SALU_CYCLE_1)
	s_or_b32 exec_lo, exec_lo, s10
	s_mov_b32 s10, 0
	global_store_b8 v[2:3], v5, off
.LBB87_2962:
	s_and_b32 vcc_lo, exec_lo, s10
	s_cbranch_vccz .LBB87_2972
; %bb.2963:
	s_wait_xcnt 0x0
	v_cndmask_b32_e64 v4, 0, 1.0, s1
	s_mov_b32 s10, exec_lo
                                        ; implicit-def: $vgpr1
	s_delay_alu instid0(VALU_DEP_1)
	v_cmpx_gt_u32_e32 0x43f00000, v4
	s_xor_b32 s10, exec_lo, s10
	s_cbranch_execz .LBB87_2969
; %bb.2964:
	s_mov_b32 s11, exec_lo
                                        ; implicit-def: $vgpr1
	v_cmpx_lt_u32_e32 0x3c7fffff, v4
	s_xor_b32 s11, exec_lo, s11
; %bb.2965:
	v_bfe_u32 v1, v4, 20, 1
	s_delay_alu instid0(VALU_DEP_1) | instskip(NEXT) | instid1(VALU_DEP_1)
	v_add3_u32 v1, v4, v1, 0x407ffff
	v_and_b32_e32 v4, 0xff00000, v1
	v_lshrrev_b32_e32 v1, 20, v1
	s_delay_alu instid0(VALU_DEP_2) | instskip(NEXT) | instid1(VALU_DEP_2)
	v_cmp_ne_u32_e32 vcc_lo, 0x7f00000, v4
                                        ; implicit-def: $vgpr4
	v_cndmask_b32_e32 v1, 0x7e, v1, vcc_lo
; %bb.2966:
	s_and_not1_saveexec_b32 s11, s11
; %bb.2967:
	v_add_f32_e32 v1, 0x46800000, v4
; %bb.2968:
	s_or_b32 exec_lo, exec_lo, s11
                                        ; implicit-def: $vgpr4
.LBB87_2969:
	s_and_not1_saveexec_b32 s10, s10
; %bb.2970:
	v_mov_b32_e32 v1, 0x7f
	v_cmp_lt_u32_e32 vcc_lo, 0x7f800000, v4
	s_delay_alu instid0(VALU_DEP_2)
	v_cndmask_b32_e32 v1, 0x7e, v1, vcc_lo
; %bb.2971:
	s_or_b32 exec_lo, exec_lo, s10
	global_store_b8 v[2:3], v1, off
.LBB87_2972:
	s_mov_b32 s10, 0
.LBB87_2973:
	s_delay_alu instid0(SALU_CYCLE_1)
	s_and_not1_b32 vcc_lo, exec_lo, s10
	s_cbranch_vccnz .LBB87_2983
; %bb.2974:
	s_wait_xcnt 0x0
	v_cndmask_b32_e64 v4, 0, 1.0, s1
	s_mov_b32 s10, exec_lo
                                        ; implicit-def: $vgpr1
	s_delay_alu instid0(VALU_DEP_1)
	v_cmpx_gt_u32_e32 0x47800000, v4
	s_xor_b32 s10, exec_lo, s10
	s_cbranch_execz .LBB87_2980
; %bb.2975:
	s_mov_b32 s11, exec_lo
                                        ; implicit-def: $vgpr1
	v_cmpx_lt_u32_e32 0x387fffff, v4
	s_xor_b32 s11, exec_lo, s11
; %bb.2976:
	v_bfe_u32 v1, v4, 21, 1
	s_delay_alu instid0(VALU_DEP_1) | instskip(NEXT) | instid1(VALU_DEP_1)
	v_add3_u32 v1, v4, v1, 0x80fffff
                                        ; implicit-def: $vgpr4
	v_lshrrev_b32_e32 v1, 21, v1
; %bb.2977:
	s_and_not1_saveexec_b32 s11, s11
; %bb.2978:
	v_add_f32_e32 v1, 0x43000000, v4
; %bb.2979:
	s_or_b32 exec_lo, exec_lo, s11
                                        ; implicit-def: $vgpr4
.LBB87_2980:
	s_and_not1_saveexec_b32 s10, s10
; %bb.2981:
	v_mov_b32_e32 v1, 0x7f
	v_cmp_lt_u32_e32 vcc_lo, 0x7f800000, v4
	s_delay_alu instid0(VALU_DEP_2)
	v_cndmask_b32_e32 v1, 0x7c, v1, vcc_lo
; %bb.2982:
	s_or_b32 exec_lo, exec_lo, s10
	global_store_b8 v[2:3], v1, off
.LBB87_2983:
	s_mov_b32 s10, 0
	s_mov_b32 s11, -1
.LBB87_2984:
	s_and_not1_b32 vcc_lo, exec_lo, s10
	s_mov_b32 s10, 0
	s_cbranch_vccnz .LBB87_2991
; %bb.2985:
	s_cmp_gt_i32 s7, 14
	s_mov_b32 s10, -1
	s_cbranch_scc0 .LBB87_2989
; %bb.2986:
	s_cmp_eq_u32 s7, 15
	s_mov_b32 s2, -1
	s_cbranch_scc0 .LBB87_2988
; %bb.2987:
	s_wait_xcnt 0x0
	v_cndmask_b32_e64 v1, 0, 1.0, s1
	s_mov_b32 s2, 0
	s_mov_b32 s11, -1
	s_delay_alu instid0(VALU_DEP_1) | instskip(NEXT) | instid1(VALU_DEP_1)
	v_bfe_u32 v4, v1, 16, 1
	v_add3_u32 v1, v1, v4, 0x7fff
	global_store_d16_hi_b16 v[2:3], v1, off
.LBB87_2988:
	s_mov_b32 s10, 0
.LBB87_2989:
	s_delay_alu instid0(SALU_CYCLE_1)
	s_and_b32 vcc_lo, exec_lo, s10
	s_mov_b32 s10, 0
	s_cbranch_vccz .LBB87_2991
; %bb.2990:
	s_cmp_lg_u32 s7, 11
	s_mov_b32 s10, -1
	s_cselect_b32 s2, -1, 0
.LBB87_2991:
	s_delay_alu instid0(SALU_CYCLE_1)
	s_and_b32 vcc_lo, exec_lo, s2
	s_cbranch_vccnz .LBB87_3171
; %bb.2992:
	s_and_not1_b32 vcc_lo, exec_lo, s10
	s_cbranch_vccnz .LBB87_2994
.LBB87_2993:
	s_wait_xcnt 0x0
	v_cndmask_b32_e64 v1, 0, 1, s1
	s_mov_b32 s11, -1
	global_store_b8 v[2:3], v1, off
.LBB87_2994:
	s_mov_b32 s2, 0
	s_branch .LBB87_2996
.LBB87_2995:
	s_mov_b32 s2, -1
	s_mov_b32 s11, 0
.LBB87_2996:
	s_and_b32 vcc_lo, exec_lo, s2
	s_cbranch_vccz .LBB87_3035
; %bb.2997:
	s_cmp_lt_i32 s7, 5
	s_mov_b32 s2, -1
	s_cbranch_scc1 .LBB87_3018
; %bb.2998:
	s_cmp_lt_i32 s7, 8
	s_cbranch_scc1 .LBB87_3008
; %bb.2999:
	s_cmp_lt_i32 s7, 9
	s_cbranch_scc1 .LBB87_3005
; %bb.3000:
	s_cmp_gt_i32 s7, 9
	s_cbranch_scc0 .LBB87_3002
; %bb.3001:
	s_wait_xcnt 0x0
	v_cndmask_b32_e64 v1, 0, 1, s1
	v_mov_b32_e32 v6, 0
	s_mov_b32 s2, 0
	s_delay_alu instid0(VALU_DEP_2) | instskip(NEXT) | instid1(VALU_DEP_2)
	v_cvt_f64_u32_e32 v[4:5], v1
	v_mov_b32_e32 v7, v6
	global_store_b128 v[2:3], v[4:7], off
.LBB87_3002:
	s_and_not1_b32 vcc_lo, exec_lo, s2
	s_cbranch_vccnz .LBB87_3004
; %bb.3003:
	s_wait_xcnt 0x0
	v_cndmask_b32_e64 v4, 0, 1.0, s1
	v_mov_b32_e32 v5, 0
	global_store_b64 v[2:3], v[4:5], off
.LBB87_3004:
	s_mov_b32 s2, 0
.LBB87_3005:
	s_delay_alu instid0(SALU_CYCLE_1)
	s_and_not1_b32 vcc_lo, exec_lo, s2
	s_cbranch_vccnz .LBB87_3007
; %bb.3006:
	s_wait_xcnt 0x0
	v_cndmask_b32_e64 v1, 0, 1.0, s1
	s_delay_alu instid0(VALU_DEP_1) | instskip(NEXT) | instid1(VALU_DEP_1)
	v_cvt_f16_f32_e32 v1, v1
	v_and_b32_e32 v1, 0xffff, v1
	global_store_b32 v[2:3], v1, off
.LBB87_3007:
	s_mov_b32 s2, 0
.LBB87_3008:
	s_delay_alu instid0(SALU_CYCLE_1)
	s_and_not1_b32 vcc_lo, exec_lo, s2
	s_cbranch_vccnz .LBB87_3017
; %bb.3009:
	s_cmp_lt_i32 s7, 6
	s_mov_b32 s2, -1
	s_cbranch_scc1 .LBB87_3015
; %bb.3010:
	s_cmp_gt_i32 s7, 6
	s_cbranch_scc0 .LBB87_3012
; %bb.3011:
	s_wait_xcnt 0x0
	v_cndmask_b32_e64 v1, 0, 1, s1
	s_mov_b32 s2, 0
	s_delay_alu instid0(VALU_DEP_1)
	v_cvt_f64_u32_e32 v[4:5], v1
	global_store_b64 v[2:3], v[4:5], off
.LBB87_3012:
	s_and_not1_b32 vcc_lo, exec_lo, s2
	s_cbranch_vccnz .LBB87_3014
; %bb.3013:
	s_wait_xcnt 0x0
	v_cndmask_b32_e64 v1, 0, 1.0, s1
	global_store_b32 v[2:3], v1, off
.LBB87_3014:
	s_mov_b32 s2, 0
.LBB87_3015:
	s_delay_alu instid0(SALU_CYCLE_1)
	s_and_not1_b32 vcc_lo, exec_lo, s2
	s_cbranch_vccnz .LBB87_3017
; %bb.3016:
	s_wait_xcnt 0x0
	v_cndmask_b32_e64 v1, 0, 1.0, s1
	s_delay_alu instid0(VALU_DEP_1)
	v_cvt_f16_f32_e32 v1, v1
	global_store_b16 v[2:3], v1, off
.LBB87_3017:
	s_mov_b32 s2, 0
.LBB87_3018:
	s_delay_alu instid0(SALU_CYCLE_1)
	s_and_not1_b32 vcc_lo, exec_lo, s2
	s_cbranch_vccnz .LBB87_3034
; %bb.3019:
	s_cmp_lt_i32 s7, 2
	s_mov_b32 s2, -1
	s_cbranch_scc1 .LBB87_3029
; %bb.3020:
	s_cmp_lt_i32 s7, 3
	s_cbranch_scc1 .LBB87_3026
; %bb.3021:
	s_cmp_gt_i32 s7, 3
	s_cbranch_scc0 .LBB87_3023
; %bb.3022:
	s_mov_b32 s2, 0
	s_wait_xcnt 0x0
	v_cndmask_b32_e64 v4, 0, 1, s1
	v_mov_b32_e32 v5, s2
	global_store_b64 v[2:3], v[4:5], off
.LBB87_3023:
	s_and_not1_b32 vcc_lo, exec_lo, s2
	s_cbranch_vccnz .LBB87_3025
; %bb.3024:
	s_wait_xcnt 0x0
	v_cndmask_b32_e64 v1, 0, 1, s1
	global_store_b32 v[2:3], v1, off
.LBB87_3025:
	s_mov_b32 s2, 0
.LBB87_3026:
	s_delay_alu instid0(SALU_CYCLE_1)
	s_and_not1_b32 vcc_lo, exec_lo, s2
	s_cbranch_vccnz .LBB87_3028
; %bb.3027:
	s_wait_xcnt 0x0
	v_cndmask_b32_e64 v1, 0, 1, s1
	global_store_b16 v[2:3], v1, off
.LBB87_3028:
	s_mov_b32 s2, 0
.LBB87_3029:
	s_delay_alu instid0(SALU_CYCLE_1)
	s_and_not1_b32 vcc_lo, exec_lo, s2
	s_cbranch_vccnz .LBB87_3034
; %bb.3030:
	s_cmp_gt_i32 s7, 0
	s_mov_b32 s2, -1
	s_cbranch_scc0 .LBB87_3032
; %bb.3031:
	s_wait_xcnt 0x0
	v_cndmask_b32_e64 v1, 0, 1, s1
	s_mov_b32 s2, 0
	global_store_b8 v[2:3], v1, off
.LBB87_3032:
	s_and_not1_b32 vcc_lo, exec_lo, s2
	s_cbranch_vccnz .LBB87_3034
; %bb.3033:
	s_wait_xcnt 0x0
	v_cndmask_b32_e64 v1, 0, 1, s1
	global_store_b8 v[2:3], v1, off
.LBB87_3034:
	s_mov_b32 s11, -1
.LBB87_3035:
	s_delay_alu instid0(SALU_CYCLE_1)
	s_and_not1_b32 vcc_lo, exec_lo, s11
	s_cbranch_vccnz .LBB87_3112
; %bb.3036:
	v_cmp_eq_f64_e32 vcc_lo, v[16:17], v[10:11]
	s_cmp_lt_i32 s7, 11
	s_wait_xcnt 0x0
	v_cndmask_b32_e64 v1, 0, 1, vcc_lo
	v_cmp_neq_f64_e32 vcc_lo, v[16:17], v[10:11]
	v_cndmask_b32_e64 v2, 0, 1, vcc_lo
	s_delay_alu instid0(VALU_DEP_1) | instskip(NEXT) | instid1(VALU_DEP_1)
	v_dual_cndmask_b32 v2, v2, v1, s0 :: v_dual_mov_b32 v1, 0
	v_and_b32_e32 v4, 1, v2
	s_delay_alu instid0(VALU_DEP_2) | instskip(NEXT) | instid1(VALU_DEP_2)
	v_add_nc_u64_e32 v[2:3], s[4:5], v[0:1]
	v_cmp_eq_u32_e64 s1, 1, v4
	s_cbranch_scc1 .LBB87_3157
; %bb.3037:
	s_mov_b32 s4, -1
	s_mov_b32 s2, 0
	s_cmp_gt_i32 s7, 25
	s_mov_b32 s0, 0
	s_cbranch_scc0 .LBB87_3070
; %bb.3038:
	s_cmp_gt_i32 s7, 28
	s_cbranch_scc0 .LBB87_3054
; %bb.3039:
	s_cmp_gt_i32 s7, 43
	;; [unrolled: 3-line block ×3, first 2 shown]
	s_cbranch_scc0 .LBB87_3044
; %bb.3041:
	s_cmp_eq_u32 s7, 46
	s_mov_b32 s0, -1
	s_cbranch_scc0 .LBB87_3043
; %bb.3042:
	v_cndmask_b32_e64 v0, 0, 1.0, s1
	s_mov_b32 s0, 0
	s_delay_alu instid0(VALU_DEP_1) | instskip(NEXT) | instid1(VALU_DEP_1)
	v_bfe_u32 v1, v0, 16, 1
	v_add3_u32 v0, v0, v1, 0x7fff
	s_delay_alu instid0(VALU_DEP_1)
	v_lshrrev_b32_e32 v0, 16, v0
	global_store_b32 v[2:3], v0, off
.LBB87_3043:
	s_mov_b32 s4, 0
.LBB87_3044:
	s_delay_alu instid0(SALU_CYCLE_1)
	s_and_b32 vcc_lo, exec_lo, s4
	s_cbranch_vccz .LBB87_3049
; %bb.3045:
	s_cmp_eq_u32 s7, 44
	s_mov_b32 s0, -1
	s_cbranch_scc0 .LBB87_3049
; %bb.3046:
	v_cndmask_b32_e64 v4, 0, 1.0, s1
	s_mov_b32 s4, exec_lo
	s_wait_xcnt 0x0
	s_delay_alu instid0(VALU_DEP_1) | instskip(NEXT) | instid1(VALU_DEP_1)
	v_dual_mov_b32 v1, 0xff :: v_dual_lshrrev_b32 v0, 23, v4
	v_cmpx_ne_u32_e32 0xff, v0
; %bb.3047:
	v_and_b32_e32 v1, 0x400000, v4
	v_and_or_b32 v4, 0x3fffff, v4, v0
	s_delay_alu instid0(VALU_DEP_2) | instskip(NEXT) | instid1(VALU_DEP_2)
	v_cmp_ne_u32_e32 vcc_lo, 0, v1
	v_cmp_ne_u32_e64 s0, 0, v4
	s_and_b32 s0, vcc_lo, s0
	s_delay_alu instid0(SALU_CYCLE_1) | instskip(NEXT) | instid1(VALU_DEP_1)
	v_cndmask_b32_e64 v1, 0, 1, s0
	v_add_nc_u32_e32 v1, v0, v1
; %bb.3048:
	s_or_b32 exec_lo, exec_lo, s4
	s_mov_b32 s0, 0
	global_store_b8 v[2:3], v1, off
.LBB87_3049:
	s_mov_b32 s4, 0
.LBB87_3050:
	s_delay_alu instid0(SALU_CYCLE_1)
	s_and_b32 vcc_lo, exec_lo, s4
	s_cbranch_vccz .LBB87_3053
; %bb.3051:
	s_cmp_eq_u32 s7, 29
	s_mov_b32 s0, -1
	s_cbranch_scc0 .LBB87_3053
; %bb.3052:
	s_mov_b32 s0, 0
	s_wait_xcnt 0x0
	v_cndmask_b32_e64 v0, 0, 1, s1
	v_mov_b32_e32 v1, s0
	global_store_b64 v[2:3], v[0:1], off
.LBB87_3053:
	s_mov_b32 s4, 0
.LBB87_3054:
	s_delay_alu instid0(SALU_CYCLE_1)
	s_and_b32 vcc_lo, exec_lo, s4
	s_cbranch_vccz .LBB87_3069
; %bb.3055:
	s_cmp_lt_i32 s7, 27
	s_mov_b32 s4, -1
	s_cbranch_scc1 .LBB87_3061
; %bb.3056:
	s_wait_xcnt 0x0
	v_cndmask_b32_e64 v0, 0, 1, s1
	s_cmp_gt_i32 s7, 27
	s_cbranch_scc0 .LBB87_3058
; %bb.3057:
	s_mov_b32 s4, 0
	global_store_b32 v[2:3], v0, off
.LBB87_3058:
	s_and_not1_b32 vcc_lo, exec_lo, s4
	s_cbranch_vccnz .LBB87_3060
; %bb.3059:
	global_store_b16 v[2:3], v0, off
.LBB87_3060:
	s_mov_b32 s4, 0
.LBB87_3061:
	s_delay_alu instid0(SALU_CYCLE_1)
	s_and_not1_b32 vcc_lo, exec_lo, s4
	s_cbranch_vccnz .LBB87_3069
; %bb.3062:
	s_wait_xcnt 0x0
	v_cndmask_b32_e64 v1, 0, 1.0, s1
	v_mov_b32_e32 v4, 0x80
	s_mov_b32 s4, exec_lo
	s_delay_alu instid0(VALU_DEP_2)
	v_cmpx_gt_u32_e32 0x43800000, v1
	s_cbranch_execz .LBB87_3068
; %bb.3063:
	s_mov_b32 s5, 0
	s_mov_b32 s10, exec_lo
                                        ; implicit-def: $vgpr0
	v_cmpx_lt_u32_e32 0x3bffffff, v1
	s_xor_b32 s10, exec_lo, s10
	s_cbranch_execz .LBB87_3174
; %bb.3064:
	v_bfe_u32 v0, v1, 20, 1
	s_mov_b32 s5, exec_lo
	s_delay_alu instid0(VALU_DEP_1) | instskip(NEXT) | instid1(VALU_DEP_1)
	v_add3_u32 v0, v1, v0, 0x487ffff
                                        ; implicit-def: $vgpr1
	v_lshrrev_b32_e32 v0, 20, v0
	s_and_not1_saveexec_b32 s10, s10
	s_cbranch_execnz .LBB87_3175
.LBB87_3065:
	s_or_b32 exec_lo, exec_lo, s10
	v_mov_b32_e32 v4, 0
	s_and_saveexec_b32 s10, s5
.LBB87_3066:
	v_mov_b32_e32 v4, v0
.LBB87_3067:
	s_or_b32 exec_lo, exec_lo, s10
.LBB87_3068:
	s_delay_alu instid0(SALU_CYCLE_1)
	s_or_b32 exec_lo, exec_lo, s4
	global_store_b8 v[2:3], v4, off
.LBB87_3069:
	s_mov_b32 s4, 0
.LBB87_3070:
	s_delay_alu instid0(SALU_CYCLE_1)
	s_and_b32 vcc_lo, exec_lo, s4
	s_cbranch_vccz .LBB87_3110
; %bb.3071:
	s_cmp_gt_i32 s7, 22
	s_mov_b32 s2, -1
	s_cbranch_scc0 .LBB87_3103
; %bb.3072:
	s_cmp_lt_i32 s7, 24
	s_cbranch_scc1 .LBB87_3092
; %bb.3073:
	s_cmp_gt_i32 s7, 24
	s_cbranch_scc0 .LBB87_3081
; %bb.3074:
	s_wait_xcnt 0x0
	v_cndmask_b32_e64 v1, 0, 1.0, s1
	v_mov_b32_e32 v4, 0x80
	s_mov_b32 s2, exec_lo
	s_delay_alu instid0(VALU_DEP_2)
	v_cmpx_gt_u32_e32 0x47800000, v1
	s_cbranch_execz .LBB87_3080
; %bb.3075:
	s_mov_b32 s4, 0
	s_mov_b32 s5, exec_lo
                                        ; implicit-def: $vgpr0
	v_cmpx_lt_u32_e32 0x37ffffff, v1
	s_xor_b32 s5, exec_lo, s5
	s_cbranch_execz .LBB87_3177
; %bb.3076:
	v_bfe_u32 v0, v1, 21, 1
	s_mov_b32 s4, exec_lo
	s_delay_alu instid0(VALU_DEP_1) | instskip(NEXT) | instid1(VALU_DEP_1)
	v_add3_u32 v0, v1, v0, 0x88fffff
                                        ; implicit-def: $vgpr1
	v_lshrrev_b32_e32 v0, 21, v0
	s_and_not1_saveexec_b32 s5, s5
	s_cbranch_execnz .LBB87_3178
.LBB87_3077:
	s_or_b32 exec_lo, exec_lo, s5
	v_mov_b32_e32 v4, 0
	s_and_saveexec_b32 s5, s4
.LBB87_3078:
	v_mov_b32_e32 v4, v0
.LBB87_3079:
	s_or_b32 exec_lo, exec_lo, s5
.LBB87_3080:
	s_delay_alu instid0(SALU_CYCLE_1)
	s_or_b32 exec_lo, exec_lo, s2
	s_mov_b32 s2, 0
	global_store_b8 v[2:3], v4, off
.LBB87_3081:
	s_and_b32 vcc_lo, exec_lo, s2
	s_cbranch_vccz .LBB87_3091
; %bb.3082:
	s_wait_xcnt 0x0
	v_cndmask_b32_e64 v1, 0, 1.0, s1
	s_mov_b32 s2, exec_lo
                                        ; implicit-def: $vgpr0
	s_delay_alu instid0(VALU_DEP_1)
	v_cmpx_gt_u32_e32 0x43f00000, v1
	s_xor_b32 s2, exec_lo, s2
	s_cbranch_execz .LBB87_3088
; %bb.3083:
	s_mov_b32 s4, exec_lo
                                        ; implicit-def: $vgpr0
	v_cmpx_lt_u32_e32 0x3c7fffff, v1
	s_xor_b32 s4, exec_lo, s4
; %bb.3084:
	v_bfe_u32 v0, v1, 20, 1
	s_delay_alu instid0(VALU_DEP_1) | instskip(NEXT) | instid1(VALU_DEP_1)
	v_add3_u32 v0, v1, v0, 0x407ffff
	v_and_b32_e32 v1, 0xff00000, v0
	v_lshrrev_b32_e32 v0, 20, v0
	s_delay_alu instid0(VALU_DEP_2) | instskip(NEXT) | instid1(VALU_DEP_2)
	v_cmp_ne_u32_e32 vcc_lo, 0x7f00000, v1
                                        ; implicit-def: $vgpr1
	v_cndmask_b32_e32 v0, 0x7e, v0, vcc_lo
; %bb.3085:
	s_and_not1_saveexec_b32 s4, s4
; %bb.3086:
	v_add_f32_e32 v0, 0x46800000, v1
; %bb.3087:
	s_or_b32 exec_lo, exec_lo, s4
                                        ; implicit-def: $vgpr1
.LBB87_3088:
	s_and_not1_saveexec_b32 s2, s2
; %bb.3089:
	v_mov_b32_e32 v0, 0x7f
	v_cmp_lt_u32_e32 vcc_lo, 0x7f800000, v1
	s_delay_alu instid0(VALU_DEP_2)
	v_cndmask_b32_e32 v0, 0x7e, v0, vcc_lo
; %bb.3090:
	s_or_b32 exec_lo, exec_lo, s2
	global_store_b8 v[2:3], v0, off
.LBB87_3091:
	s_mov_b32 s2, 0
.LBB87_3092:
	s_delay_alu instid0(SALU_CYCLE_1)
	s_and_not1_b32 vcc_lo, exec_lo, s2
	s_cbranch_vccnz .LBB87_3102
; %bb.3093:
	s_wait_xcnt 0x0
	v_cndmask_b32_e64 v1, 0, 1.0, s1
	s_mov_b32 s2, exec_lo
                                        ; implicit-def: $vgpr0
	s_delay_alu instid0(VALU_DEP_1)
	v_cmpx_gt_u32_e32 0x47800000, v1
	s_xor_b32 s2, exec_lo, s2
	s_cbranch_execz .LBB87_3099
; %bb.3094:
	s_mov_b32 s4, exec_lo
                                        ; implicit-def: $vgpr0
	v_cmpx_lt_u32_e32 0x387fffff, v1
	s_xor_b32 s4, exec_lo, s4
; %bb.3095:
	v_bfe_u32 v0, v1, 21, 1
	s_delay_alu instid0(VALU_DEP_1) | instskip(NEXT) | instid1(VALU_DEP_1)
	v_add3_u32 v0, v1, v0, 0x80fffff
                                        ; implicit-def: $vgpr1
	v_lshrrev_b32_e32 v0, 21, v0
; %bb.3096:
	s_and_not1_saveexec_b32 s4, s4
; %bb.3097:
	v_add_f32_e32 v0, 0x43000000, v1
; %bb.3098:
	s_or_b32 exec_lo, exec_lo, s4
                                        ; implicit-def: $vgpr1
.LBB87_3099:
	s_and_not1_saveexec_b32 s2, s2
; %bb.3100:
	v_mov_b32_e32 v0, 0x7f
	v_cmp_lt_u32_e32 vcc_lo, 0x7f800000, v1
	s_delay_alu instid0(VALU_DEP_2)
	v_cndmask_b32_e32 v0, 0x7c, v0, vcc_lo
; %bb.3101:
	s_or_b32 exec_lo, exec_lo, s2
	global_store_b8 v[2:3], v0, off
.LBB87_3102:
	s_mov_b32 s2, 0
.LBB87_3103:
	s_delay_alu instid0(SALU_CYCLE_1)
	s_and_not1_b32 vcc_lo, exec_lo, s2
	s_mov_b32 s2, 0
	s_cbranch_vccnz .LBB87_3110
; %bb.3104:
	s_cmp_gt_i32 s7, 14
	s_mov_b32 s2, -1
	s_cbranch_scc0 .LBB87_3108
; %bb.3105:
	s_cmp_eq_u32 s7, 15
	s_mov_b32 s0, -1
	s_cbranch_scc0 .LBB87_3107
; %bb.3106:
	s_wait_xcnt 0x0
	v_cndmask_b32_e64 v0, 0, 1.0, s1
	s_mov_b32 s0, 0
	s_delay_alu instid0(VALU_DEP_1) | instskip(NEXT) | instid1(VALU_DEP_1)
	v_bfe_u32 v1, v0, 16, 1
	v_add3_u32 v0, v0, v1, 0x7fff
	global_store_d16_hi_b16 v[2:3], v0, off
.LBB87_3107:
	s_mov_b32 s2, 0
.LBB87_3108:
	s_delay_alu instid0(SALU_CYCLE_1)
	s_and_b32 vcc_lo, exec_lo, s2
	s_mov_b32 s2, 0
	s_cbranch_vccz .LBB87_3110
; %bb.3109:
	s_cmp_lg_u32 s7, 11
	s_mov_b32 s2, -1
	s_cselect_b32 s0, -1, 0
.LBB87_3110:
	s_delay_alu instid0(SALU_CYCLE_1)
	s_and_b32 vcc_lo, exec_lo, s0
	s_cbranch_vccnz .LBB87_3176
.LBB87_3111:
	s_mov_b32 s0, 0
	s_branch .LBB87_3113
.LBB87_3112:
	s_mov_b32 s0, 0
	s_mov_b32 s2, 0
                                        ; implicit-def: $sgpr1
                                        ; implicit-def: $vgpr2_vgpr3
                                        ; implicit-def: $sgpr6
.LBB87_3113:
	s_and_not1_b32 s3, s3, exec_lo
	s_and_b32 s4, s9, exec_lo
	s_and_b32 s0, s0, exec_lo
	;; [unrolled: 1-line block ×3, first 2 shown]
	s_or_b32 s3, s3, s4
.LBB87_3114:
	s_wait_xcnt 0x0
	s_or_b32 exec_lo, exec_lo, s8
	s_and_saveexec_b32 s2, s3
	s_cbranch_execz .LBB87_3117
; %bb.3115:
	; divergent unreachable
	s_or_b32 exec_lo, exec_lo, s2
	s_and_saveexec_b32 s2, s33
	s_delay_alu instid0(SALU_CYCLE_1)
	s_xor_b32 s2, exec_lo, s2
	s_cbranch_execnz .LBB87_3118
.LBB87_3116:
	s_or_b32 exec_lo, exec_lo, s2
	s_and_saveexec_b32 s2, s0
	s_cbranch_execnz .LBB87_3119
	s_branch .LBB87_3156
.LBB87_3117:
	s_or_b32 exec_lo, exec_lo, s2
	s_and_saveexec_b32 s2, s33
	s_delay_alu instid0(SALU_CYCLE_1)
	s_xor_b32 s2, exec_lo, s2
	s_cbranch_execz .LBB87_3116
.LBB87_3118:
	v_cndmask_b32_e64 v0, 0, 1, s1
	global_store_b8 v[2:3], v0, off
	s_wait_xcnt 0x0
	s_or_b32 exec_lo, exec_lo, s2
	s_and_saveexec_b32 s2, s0
	s_cbranch_execz .LBB87_3156
.LBB87_3119:
	s_sext_i32_i16 s2, s6
	s_mov_b32 s0, -1
	s_cmp_lt_i32 s2, 5
	s_cbranch_scc1 .LBB87_3140
; %bb.3120:
	s_cmp_lt_i32 s2, 8
	s_cbranch_scc1 .LBB87_3130
; %bb.3121:
	;; [unrolled: 3-line block ×3, first 2 shown]
	s_cmp_gt_i32 s2, 9
	s_cbranch_scc0 .LBB87_3124
; %bb.3123:
	v_cndmask_b32_e64 v0, 0, 1, s1
	v_mov_b32_e32 v6, 0
	s_mov_b32 s0, 0
	s_wait_loadcnt 0x0
	s_delay_alu instid0(VALU_DEP_2) | instskip(NEXT) | instid1(VALU_DEP_2)
	v_cvt_f64_u32_e32 v[4:5], v0
	v_mov_b32_e32 v7, v6
	global_store_b128 v[2:3], v[4:7], off
.LBB87_3124:
	s_and_not1_b32 vcc_lo, exec_lo, s0
	s_cbranch_vccnz .LBB87_3126
; %bb.3125:
	v_cndmask_b32_e64 v0, 0, 1.0, s1
	v_mov_b32_e32 v1, 0
	global_store_b64 v[2:3], v[0:1], off
.LBB87_3126:
	s_mov_b32 s0, 0
.LBB87_3127:
	s_delay_alu instid0(SALU_CYCLE_1)
	s_and_not1_b32 vcc_lo, exec_lo, s0
	s_cbranch_vccnz .LBB87_3129
; %bb.3128:
	s_wait_xcnt 0x0
	v_cndmask_b32_e64 v0, 0, 1.0, s1
	s_delay_alu instid0(VALU_DEP_1) | instskip(NEXT) | instid1(VALU_DEP_1)
	v_cvt_f16_f32_e32 v0, v0
	v_and_b32_e32 v0, 0xffff, v0
	global_store_b32 v[2:3], v0, off
.LBB87_3129:
	s_mov_b32 s0, 0
.LBB87_3130:
	s_delay_alu instid0(SALU_CYCLE_1)
	s_and_not1_b32 vcc_lo, exec_lo, s0
	s_cbranch_vccnz .LBB87_3139
; %bb.3131:
	s_sext_i32_i16 s2, s6
	s_mov_b32 s0, -1
	s_cmp_lt_i32 s2, 6
	s_cbranch_scc1 .LBB87_3137
; %bb.3132:
	s_cmp_gt_i32 s2, 6
	s_cbranch_scc0 .LBB87_3134
; %bb.3133:
	s_wait_xcnt 0x0
	v_cndmask_b32_e64 v0, 0, 1, s1
	s_mov_b32 s0, 0
	s_delay_alu instid0(VALU_DEP_1)
	v_cvt_f64_u32_e32 v[0:1], v0
	global_store_b64 v[2:3], v[0:1], off
.LBB87_3134:
	s_and_not1_b32 vcc_lo, exec_lo, s0
	s_cbranch_vccnz .LBB87_3136
; %bb.3135:
	s_wait_xcnt 0x0
	v_cndmask_b32_e64 v0, 0, 1.0, s1
	global_store_b32 v[2:3], v0, off
.LBB87_3136:
	s_mov_b32 s0, 0
.LBB87_3137:
	s_delay_alu instid0(SALU_CYCLE_1)
	s_and_not1_b32 vcc_lo, exec_lo, s0
	s_cbranch_vccnz .LBB87_3139
; %bb.3138:
	s_wait_xcnt 0x0
	v_cndmask_b32_e64 v0, 0, 1.0, s1
	s_delay_alu instid0(VALU_DEP_1)
	v_cvt_f16_f32_e32 v0, v0
	global_store_b16 v[2:3], v0, off
.LBB87_3139:
	s_mov_b32 s0, 0
.LBB87_3140:
	s_delay_alu instid0(SALU_CYCLE_1)
	s_and_not1_b32 vcc_lo, exec_lo, s0
	s_cbranch_vccnz .LBB87_3156
; %bb.3141:
	s_sext_i32_i16 s2, s6
	s_mov_b32 s0, -1
	s_cmp_lt_i32 s2, 2
	s_cbranch_scc1 .LBB87_3151
; %bb.3142:
	s_cmp_lt_i32 s2, 3
	s_cbranch_scc1 .LBB87_3148
; %bb.3143:
	s_cmp_gt_i32 s2, 3
	s_cbranch_scc0 .LBB87_3145
; %bb.3144:
	s_mov_b32 s0, 0
	s_wait_xcnt 0x0
	v_cndmask_b32_e64 v0, 0, 1, s1
	v_mov_b32_e32 v1, s0
	global_store_b64 v[2:3], v[0:1], off
.LBB87_3145:
	s_and_not1_b32 vcc_lo, exec_lo, s0
	s_cbranch_vccnz .LBB87_3147
; %bb.3146:
	s_wait_xcnt 0x0
	v_cndmask_b32_e64 v0, 0, 1, s1
	global_store_b32 v[2:3], v0, off
.LBB87_3147:
	s_mov_b32 s0, 0
.LBB87_3148:
	s_delay_alu instid0(SALU_CYCLE_1)
	s_and_not1_b32 vcc_lo, exec_lo, s0
	s_cbranch_vccnz .LBB87_3150
; %bb.3149:
	s_wait_xcnt 0x0
	v_cndmask_b32_e64 v0, 0, 1, s1
	global_store_b16 v[2:3], v0, off
.LBB87_3150:
	s_mov_b32 s0, 0
.LBB87_3151:
	s_delay_alu instid0(SALU_CYCLE_1)
	s_and_not1_b32 vcc_lo, exec_lo, s0
	s_cbranch_vccnz .LBB87_3156
; %bb.3152:
	s_sext_i32_i16 s0, s6
	s_delay_alu instid0(SALU_CYCLE_1)
	s_cmp_gt_i32 s0, 0
	s_mov_b32 s0, -1
	s_cbranch_scc0 .LBB87_3154
; %bb.3153:
	s_wait_xcnt 0x0
	v_cndmask_b32_e64 v0, 0, 1, s1
	s_mov_b32 s0, 0
	global_store_b8 v[2:3], v0, off
.LBB87_3154:
	s_and_not1_b32 vcc_lo, exec_lo, s0
	s_cbranch_vccnz .LBB87_3156
; %bb.3155:
	s_wait_xcnt 0x0
	v_cndmask_b32_e64 v0, 0, 1, s1
	global_store_b8 v[2:3], v0, off
	s_endpgm
.LBB87_3156:
	s_endpgm
.LBB87_3157:
	s_mov_b32 s2, 0
	s_mov_b32 s0, -1
	s_branch .LBB87_3113
.LBB87_3158:
	s_or_b32 s9, s9, exec_lo
	s_trap 2
	s_cbranch_execz .LBB87_2628
	s_branch .LBB87_2629
.LBB87_3159:
	s_and_not1_saveexec_b32 s13, s13
	s_cbranch_execz .LBB87_2708
.LBB87_3160:
	v_add_f32_e32 v1, 0x46000000, v3
	s_and_not1_b32 s12, s12, exec_lo
	s_delay_alu instid0(VALU_DEP_1) | instskip(NEXT) | instid1(VALU_DEP_1)
	v_and_b32_e32 v1, 0xff, v1
	v_cmp_ne_u32_e32 vcc_lo, 0, v1
	s_and_b32 s14, vcc_lo, exec_lo
	s_delay_alu instid0(SALU_CYCLE_1)
	s_or_b32 s12, s12, s14
	s_or_b32 exec_lo, exec_lo, s13
	v_mov_b32_e32 v5, 0
	s_and_saveexec_b32 s13, s12
	s_cbranch_execnz .LBB87_2709
	s_branch .LBB87_2710
.LBB87_3161:
	s_or_b32 s9, s9, exec_lo
	s_trap 2
	s_cbranch_execz .LBB87_2756
	s_branch .LBB87_2757
.LBB87_3162:
	s_and_not1_saveexec_b32 s12, s12
	s_cbranch_execz .LBB87_2721
.LBB87_3163:
	v_add_f32_e32 v1, 0x42800000, v3
	s_and_not1_b32 s11, s11, exec_lo
	s_delay_alu instid0(VALU_DEP_1) | instskip(NEXT) | instid1(VALU_DEP_1)
	v_and_b32_e32 v1, 0xff, v1
	v_cmp_ne_u32_e32 vcc_lo, 0, v1
	s_and_b32 s13, vcc_lo, exec_lo
	s_delay_alu instid0(SALU_CYCLE_1)
	s_or_b32 s11, s11, s13
	s_or_b32 exec_lo, exec_lo, s12
	v_mov_b32_e32 v5, 0
	s_and_saveexec_b32 s12, s11
	s_cbranch_execnz .LBB87_2722
	s_branch .LBB87_2723
.LBB87_3164:
	s_and_not1_saveexec_b32 s13, s13
	s_cbranch_execz .LBB87_2826
.LBB87_3165:
	v_add_f32_e32 v1, 0x46000000, v3
	s_and_not1_b32 s12, s12, exec_lo
	s_delay_alu instid0(VALU_DEP_1) | instskip(NEXT) | instid1(VALU_DEP_1)
	v_and_b32_e32 v1, 0xff, v1
	v_cmp_ne_u32_e32 vcc_lo, 0, v1
	s_and_b32 s14, vcc_lo, exec_lo
	s_delay_alu instid0(SALU_CYCLE_1)
	s_or_b32 s12, s12, s14
	s_or_b32 exec_lo, exec_lo, s13
	v_mov_b32_e32 v6, 0
	s_and_saveexec_b32 s13, s12
	s_cbranch_execnz .LBB87_2827
	s_branch .LBB87_2828
.LBB87_3166:
	s_or_b32 s9, s9, exec_lo
	s_trap 2
	s_cbranch_execz .LBB87_2874
	s_branch .LBB87_2875
.LBB87_3167:
	s_and_not1_saveexec_b32 s12, s12
	s_cbranch_execz .LBB87_2839
.LBB87_3168:
	v_add_f32_e32 v1, 0x42800000, v3
	s_and_not1_b32 s11, s11, exec_lo
	s_delay_alu instid0(VALU_DEP_1) | instskip(NEXT) | instid1(VALU_DEP_1)
	v_and_b32_e32 v1, 0xff, v1
	v_cmp_ne_u32_e32 vcc_lo, 0, v1
	s_and_b32 s13, vcc_lo, exec_lo
	s_delay_alu instid0(SALU_CYCLE_1)
	s_or_b32 s11, s11, s13
	s_or_b32 exec_lo, exec_lo, s12
	v_mov_b32_e32 v6, 0
	s_and_saveexec_b32 s12, s11
	s_cbranch_execnz .LBB87_2840
	s_branch .LBB87_2841
.LBB87_3169:
	s_and_not1_saveexec_b32 s13, s13
	s_cbranch_execz .LBB87_2945
.LBB87_3170:
	v_add_f32_e32 v1, 0x46000000, v4
	s_and_not1_b32 s12, s12, exec_lo
	s_delay_alu instid0(VALU_DEP_1) | instskip(NEXT) | instid1(VALU_DEP_1)
	v_and_b32_e32 v1, 0xff, v1
	v_cmp_ne_u32_e32 vcc_lo, 0, v1
	s_and_b32 s14, vcc_lo, exec_lo
	s_delay_alu instid0(SALU_CYCLE_1)
	s_or_b32 s12, s12, s14
	s_or_b32 exec_lo, exec_lo, s13
	v_mov_b32_e32 v5, 0
	s_and_saveexec_b32 s13, s12
	s_cbranch_execnz .LBB87_2946
	s_branch .LBB87_2947
.LBB87_3171:
	s_or_b32 s9, s9, exec_lo
	s_trap 2
	s_cbranch_execz .LBB87_2993
	s_branch .LBB87_2994
.LBB87_3172:
	s_and_not1_saveexec_b32 s12, s12
	s_cbranch_execz .LBB87_2958
.LBB87_3173:
	v_add_f32_e32 v1, 0x42800000, v4
	s_and_not1_b32 s11, s11, exec_lo
	s_delay_alu instid0(VALU_DEP_1) | instskip(NEXT) | instid1(VALU_DEP_1)
	v_and_b32_e32 v1, 0xff, v1
	v_cmp_ne_u32_e32 vcc_lo, 0, v1
	s_and_b32 s13, vcc_lo, exec_lo
	s_delay_alu instid0(SALU_CYCLE_1)
	s_or_b32 s11, s11, s13
	s_or_b32 exec_lo, exec_lo, s12
	v_mov_b32_e32 v5, 0
	s_and_saveexec_b32 s12, s11
	s_cbranch_execnz .LBB87_2959
	s_branch .LBB87_2960
.LBB87_3174:
	s_and_not1_saveexec_b32 s10, s10
	s_cbranch_execz .LBB87_3065
.LBB87_3175:
	v_add_f32_e32 v0, 0x46000000, v1
	s_and_not1_b32 s5, s5, exec_lo
	s_delay_alu instid0(VALU_DEP_1) | instskip(NEXT) | instid1(VALU_DEP_1)
	v_and_b32_e32 v0, 0xff, v0
	v_cmp_ne_u32_e32 vcc_lo, 0, v0
	s_and_b32 s11, vcc_lo, exec_lo
	s_delay_alu instid0(SALU_CYCLE_1)
	s_or_b32 s5, s5, s11
	s_or_b32 exec_lo, exec_lo, s10
	v_mov_b32_e32 v4, 0
	s_and_saveexec_b32 s10, s5
	s_cbranch_execnz .LBB87_3066
	s_branch .LBB87_3067
.LBB87_3176:
	s_mov_b32 s2, 0
	s_or_b32 s9, s9, exec_lo
	s_trap 2
	s_branch .LBB87_3111
.LBB87_3177:
	s_and_not1_saveexec_b32 s5, s5
	s_cbranch_execz .LBB87_3077
.LBB87_3178:
	v_add_f32_e32 v0, 0x42800000, v1
	s_and_not1_b32 s4, s4, exec_lo
	s_delay_alu instid0(VALU_DEP_1) | instskip(NEXT) | instid1(VALU_DEP_1)
	v_and_b32_e32 v0, 0xff, v0
	v_cmp_ne_u32_e32 vcc_lo, 0, v0
	s_and_b32 s10, vcc_lo, exec_lo
	s_delay_alu instid0(SALU_CYCLE_1)
	s_or_b32 s4, s4, s10
	s_or_b32 exec_lo, exec_lo, s5
	v_mov_b32_e32 v4, 0
	s_and_saveexec_b32 s5, s4
	s_cbranch_execnz .LBB87_3078
	s_branch .LBB87_3079
	.section	.rodata,"a",@progbits
	.p2align	6, 0x0
	.amdhsa_kernel _ZN2at6native32elementwise_kernel_manual_unrollILi128ELi4EZNS0_15gpu_kernel_implINS0_13BinaryFunctorIddbNS0_12_GLOBAL__N_116CompareEqFunctorIdEEEEEEvRNS_18TensorIteratorBaseERKT_EUlibE0_EEviT1_
		.amdhsa_group_segment_fixed_size 0
		.amdhsa_private_segment_fixed_size 0
		.amdhsa_kernarg_size 432
		.amdhsa_user_sgpr_count 2
		.amdhsa_user_sgpr_dispatch_ptr 0
		.amdhsa_user_sgpr_queue_ptr 0
		.amdhsa_user_sgpr_kernarg_segment_ptr 1
		.amdhsa_user_sgpr_dispatch_id 0
		.amdhsa_user_sgpr_kernarg_preload_length 0
		.amdhsa_user_sgpr_kernarg_preload_offset 0
		.amdhsa_user_sgpr_private_segment_size 0
		.amdhsa_wavefront_size32 1
		.amdhsa_uses_dynamic_stack 0
		.amdhsa_enable_private_segment 0
		.amdhsa_system_sgpr_workgroup_id_x 1
		.amdhsa_system_sgpr_workgroup_id_y 0
		.amdhsa_system_sgpr_workgroup_id_z 0
		.amdhsa_system_sgpr_workgroup_info 0
		.amdhsa_system_vgpr_workitem_id 0
		.amdhsa_next_free_vgpr 28
		.amdhsa_next_free_sgpr 62
		.amdhsa_named_barrier_count 0
		.amdhsa_reserve_vcc 1
		.amdhsa_float_round_mode_32 0
		.amdhsa_float_round_mode_16_64 0
		.amdhsa_float_denorm_mode_32 3
		.amdhsa_float_denorm_mode_16_64 3
		.amdhsa_fp16_overflow 0
		.amdhsa_memory_ordered 1
		.amdhsa_forward_progress 1
		.amdhsa_inst_pref_size 255
		.amdhsa_round_robin_scheduling 0
		.amdhsa_exception_fp_ieee_invalid_op 0
		.amdhsa_exception_fp_denorm_src 0
		.amdhsa_exception_fp_ieee_div_zero 0
		.amdhsa_exception_fp_ieee_overflow 0
		.amdhsa_exception_fp_ieee_underflow 0
		.amdhsa_exception_fp_ieee_inexact 0
		.amdhsa_exception_int_div_zero 0
	.end_amdhsa_kernel
	.section	.text._ZN2at6native32elementwise_kernel_manual_unrollILi128ELi4EZNS0_15gpu_kernel_implINS0_13BinaryFunctorIddbNS0_12_GLOBAL__N_116CompareEqFunctorIdEEEEEEvRNS_18TensorIteratorBaseERKT_EUlibE0_EEviT1_,"axG",@progbits,_ZN2at6native32elementwise_kernel_manual_unrollILi128ELi4EZNS0_15gpu_kernel_implINS0_13BinaryFunctorIddbNS0_12_GLOBAL__N_116CompareEqFunctorIdEEEEEEvRNS_18TensorIteratorBaseERKT_EUlibE0_EEviT1_,comdat
.Lfunc_end87:
	.size	_ZN2at6native32elementwise_kernel_manual_unrollILi128ELi4EZNS0_15gpu_kernel_implINS0_13BinaryFunctorIddbNS0_12_GLOBAL__N_116CompareEqFunctorIdEEEEEEvRNS_18TensorIteratorBaseERKT_EUlibE0_EEviT1_, .Lfunc_end87-_ZN2at6native32elementwise_kernel_manual_unrollILi128ELi4EZNS0_15gpu_kernel_implINS0_13BinaryFunctorIddbNS0_12_GLOBAL__N_116CompareEqFunctorIdEEEEEEvRNS_18TensorIteratorBaseERKT_EUlibE0_EEviT1_
                                        ; -- End function
	.set _ZN2at6native32elementwise_kernel_manual_unrollILi128ELi4EZNS0_15gpu_kernel_implINS0_13BinaryFunctorIddbNS0_12_GLOBAL__N_116CompareEqFunctorIdEEEEEEvRNS_18TensorIteratorBaseERKT_EUlibE0_EEviT1_.num_vgpr, 28
	.set _ZN2at6native32elementwise_kernel_manual_unrollILi128ELi4EZNS0_15gpu_kernel_implINS0_13BinaryFunctorIddbNS0_12_GLOBAL__N_116CompareEqFunctorIdEEEEEEvRNS_18TensorIteratorBaseERKT_EUlibE0_EEviT1_.num_agpr, 0
	.set _ZN2at6native32elementwise_kernel_manual_unrollILi128ELi4EZNS0_15gpu_kernel_implINS0_13BinaryFunctorIddbNS0_12_GLOBAL__N_116CompareEqFunctorIdEEEEEEvRNS_18TensorIteratorBaseERKT_EUlibE0_EEviT1_.numbered_sgpr, 62
	.set _ZN2at6native32elementwise_kernel_manual_unrollILi128ELi4EZNS0_15gpu_kernel_implINS0_13BinaryFunctorIddbNS0_12_GLOBAL__N_116CompareEqFunctorIdEEEEEEvRNS_18TensorIteratorBaseERKT_EUlibE0_EEviT1_.num_named_barrier, 0
	.set _ZN2at6native32elementwise_kernel_manual_unrollILi128ELi4EZNS0_15gpu_kernel_implINS0_13BinaryFunctorIddbNS0_12_GLOBAL__N_116CompareEqFunctorIdEEEEEEvRNS_18TensorIteratorBaseERKT_EUlibE0_EEviT1_.private_seg_size, 0
	.set _ZN2at6native32elementwise_kernel_manual_unrollILi128ELi4EZNS0_15gpu_kernel_implINS0_13BinaryFunctorIddbNS0_12_GLOBAL__N_116CompareEqFunctorIdEEEEEEvRNS_18TensorIteratorBaseERKT_EUlibE0_EEviT1_.uses_vcc, 1
	.set _ZN2at6native32elementwise_kernel_manual_unrollILi128ELi4EZNS0_15gpu_kernel_implINS0_13BinaryFunctorIddbNS0_12_GLOBAL__N_116CompareEqFunctorIdEEEEEEvRNS_18TensorIteratorBaseERKT_EUlibE0_EEviT1_.uses_flat_scratch, 0
	.set _ZN2at6native32elementwise_kernel_manual_unrollILi128ELi4EZNS0_15gpu_kernel_implINS0_13BinaryFunctorIddbNS0_12_GLOBAL__N_116CompareEqFunctorIdEEEEEEvRNS_18TensorIteratorBaseERKT_EUlibE0_EEviT1_.has_dyn_sized_stack, 0
	.set _ZN2at6native32elementwise_kernel_manual_unrollILi128ELi4EZNS0_15gpu_kernel_implINS0_13BinaryFunctorIddbNS0_12_GLOBAL__N_116CompareEqFunctorIdEEEEEEvRNS_18TensorIteratorBaseERKT_EUlibE0_EEviT1_.has_recursion, 0
	.set _ZN2at6native32elementwise_kernel_manual_unrollILi128ELi4EZNS0_15gpu_kernel_implINS0_13BinaryFunctorIddbNS0_12_GLOBAL__N_116CompareEqFunctorIdEEEEEEvRNS_18TensorIteratorBaseERKT_EUlibE0_EEviT1_.has_indirect_call, 0
	.section	.AMDGPU.csdata,"",@progbits
; Kernel info:
; codeLenInByte = 59640
; TotalNumSgprs: 64
; NumVgprs: 28
; ScratchSize: 0
; MemoryBound: 1
; FloatMode: 240
; IeeeMode: 1
; LDSByteSize: 0 bytes/workgroup (compile time only)
; SGPRBlocks: 0
; VGPRBlocks: 1
; NumSGPRsForWavesPerEU: 64
; NumVGPRsForWavesPerEU: 28
; NamedBarCnt: 0
; Occupancy: 16
; WaveLimiterHint : 1
; COMPUTE_PGM_RSRC2:SCRATCH_EN: 0
; COMPUTE_PGM_RSRC2:USER_SGPR: 2
; COMPUTE_PGM_RSRC2:TRAP_HANDLER: 0
; COMPUTE_PGM_RSRC2:TGID_X_EN: 1
; COMPUTE_PGM_RSRC2:TGID_Y_EN: 0
; COMPUTE_PGM_RSRC2:TGID_Z_EN: 0
; COMPUTE_PGM_RSRC2:TIDIG_COMP_CNT: 0
	.section	.text._ZN2at6native29vectorized_elementwise_kernelILi16ENS0_13AUnaryFunctorIddbNS0_12_GLOBAL__N_116CompareEqFunctorIdEEEESt5arrayIPcLm2EEEEviT0_T1_,"axG",@progbits,_ZN2at6native29vectorized_elementwise_kernelILi16ENS0_13AUnaryFunctorIddbNS0_12_GLOBAL__N_116CompareEqFunctorIdEEEESt5arrayIPcLm2EEEEviT0_T1_,comdat
	.globl	_ZN2at6native29vectorized_elementwise_kernelILi16ENS0_13AUnaryFunctorIddbNS0_12_GLOBAL__N_116CompareEqFunctorIdEEEESt5arrayIPcLm2EEEEviT0_T1_ ; -- Begin function _ZN2at6native29vectorized_elementwise_kernelILi16ENS0_13AUnaryFunctorIddbNS0_12_GLOBAL__N_116CompareEqFunctorIdEEEESt5arrayIPcLm2EEEEviT0_T1_
	.p2align	8
	.type	_ZN2at6native29vectorized_elementwise_kernelILi16ENS0_13AUnaryFunctorIddbNS0_12_GLOBAL__N_116CompareEqFunctorIdEEEESt5arrayIPcLm2EEEEviT0_T1_,@function
_ZN2at6native29vectorized_elementwise_kernelILi16ENS0_13AUnaryFunctorIddbNS0_12_GLOBAL__N_116CompareEqFunctorIdEEEESt5arrayIPcLm2EEEEviT0_T1_: ; @_ZN2at6native29vectorized_elementwise_kernelILi16ENS0_13AUnaryFunctorIddbNS0_12_GLOBAL__N_116CompareEqFunctorIdEEEESt5arrayIPcLm2EEEEviT0_T1_
; %bb.0:
	s_clause 0x3
	s_load_b32 s3, s[0:1], 0x0
	s_load_b32 s10, s[0:1], 0x8
	s_load_b128 s[4:7], s[0:1], 0x10
	s_load_b64 s[8:9], s[0:1], 0x20
	s_wait_xcnt 0x0
	s_bfe_u32 s0, ttmp6, 0x4000c
	s_and_b32 s1, ttmp6, 15
	s_add_co_i32 s0, s0, 1
	s_getreg_b32 s2, hwreg(HW_REG_IB_STS2, 6, 4)
	s_mul_i32 s0, ttmp9, s0
	s_delay_alu instid0(SALU_CYCLE_1) | instskip(SKIP_2) | instid1(SALU_CYCLE_1)
	s_add_co_i32 s1, s1, s0
	s_cmp_eq_u32 s2, 0
	s_cselect_b32 s0, ttmp9, s1
	s_lshl_b32 s2, s0, 12
	s_mov_b32 s0, -1
	s_wait_kmcnt 0x0
	s_sub_co_i32 s1, s3, s2
	s_delay_alu instid0(SALU_CYCLE_1)
	s_cmp_gt_i32 s1, 0xfff
	s_cbranch_scc0 .LBB88_2
; %bb.1:
	s_ashr_i32 s3, s2, 31
	v_lshlrev_b32_e32 v1, 7, v0
	s_lshl_b64 s[12:13], s[2:3], 3
	s_cmp_eq_u32 s10, 0
	s_add_nc_u64 s[12:13], s[8:9], s[12:13]
	s_mov_b32 s0, 0
	s_clause 0x7
	global_load_b128 v[2:5], v1, s[12:13] offset:16
	global_load_b128 v[6:9], v1, s[12:13]
	global_load_b128 v[10:13], v1, s[12:13] offset:48
	global_load_b128 v[14:17], v1, s[12:13] offset:32
	;; [unrolled: 1-line block ×6, first 2 shown]
	s_wait_xcnt 0x0
	s_add_nc_u64 s[12:13], s[6:7], s[2:3]
	s_wait_loadcnt 0x7
	v_cmp_eq_f64_e32 vcc_lo, s[4:5], v[2:3]
	v_cndmask_b32_e64 v1, 0, 1, vcc_lo
	v_cmp_neq_f64_e32 vcc_lo, s[4:5], v[2:3]
	v_cndmask_b32_e64 v2, 0, 1, vcc_lo
	v_cmp_eq_f64_e32 vcc_lo, s[4:5], v[4:5]
	v_cndmask_b32_e64 v3, 0, 1, vcc_lo
	v_cmp_neq_f64_e32 vcc_lo, s[4:5], v[4:5]
	v_cndmask_b32_e64 v4, 0, 1, vcc_lo
	s_wait_loadcnt 0x6
	v_cmp_eq_f64_e32 vcc_lo, s[4:5], v[6:7]
	v_cndmask_b32_e64 v5, 0, 1, vcc_lo
	v_cmp_neq_f64_e32 vcc_lo, s[4:5], v[6:7]
	v_cndmask_b32_e64 v6, 0, 1, vcc_lo
	v_cmp_eq_f64_e32 vcc_lo, s[4:5], v[8:9]
	v_cndmask_b32_e64 v7, 0, 1, vcc_lo
	v_cmp_neq_f64_e32 vcc_lo, s[4:5], v[8:9]
	v_cndmask_b32_e64 v8, 0, 1, vcc_lo
	;; [unrolled: 9-line block ×8, first 2 shown]
	s_cselect_b32 vcc_lo, -1, 0
	v_dual_cndmask_b32 v1, v2, v1 :: v_dual_cndmask_b32 v2, v4, v3
	v_dual_cndmask_b32 v3, v6, v5 :: v_dual_cndmask_b32 v6, v12, v11
	;; [unrolled: 1-line block ×5, first 2 shown]
	v_and_b32_e32 v2, 1, v2
	s_delay_alu instid0(VALU_DEP_3) | instskip(NEXT) | instid1(VALU_DEP_3)
	v_dual_cndmask_b32 v9, v18, v17, vcc_lo :: v_dual_bitop2_b32 v8, 1, v8 bitop3:0x40
	v_dual_cndmask_b32 v12, v24, v23, vcc_lo :: v_dual_bitop2_b32 v10, 1, v10 bitop3:0x40
	v_dual_cndmask_b32 v11, v22, v21 :: v_dual_cndmask_b32 v14, v28, v27
	v_dual_cndmask_b32 v13, v26, v25 :: v_dual_cndmask_b32 v16, v32, v31
	s_delay_alu instid0(VALU_DEP_4)
	v_lshlrev_b16 v8, 8, v8
	v_lshlrev_b16 v2, 8, v2
	;; [unrolled: 1-line block ×3, first 2 shown]
	v_and_b32_e32 v6, 1, v6
	v_and_b32_e32 v16, 1, v16
	;; [unrolled: 1-line block ×3, first 2 shown]
	v_bitop3_b16 v7, v7, v8, 1 bitop3:0xec
	v_bitop3_b16 v1, v1, v2, 1 bitop3:0xec
	v_and_b32_e32 v4, 1, v4
	v_bitop3_b16 v8, v9, v10, 1 bitop3:0xec
	v_and_b32_e32 v14, 1, v14
	v_lshlrev_b16 v6, 8, v6
	v_lshlrev_b16 v16, 8, v16
	;; [unrolled: 1-line block ×3, first 2 shown]
	v_lshlrev_b32_e32 v1, 16, v1
	v_lshlrev_b16 v4, 8, v4
	v_lshlrev_b32_e32 v8, 16, v8
	v_lshlrev_b16 v14, 8, v14
	v_bitop3_b16 v5, v5, v6, 1 bitop3:0xec
	v_bitop3_b16 v2, v15, v16, 1 bitop3:0xec
	;; [unrolled: 1-line block ×5, first 2 shown]
	v_and_b32_e32 v7, 0xffff, v7
	v_lshlrev_b32_e32 v5, 16, v5
	v_and_b32_e32 v9, 0xffff, v3
	v_and_b32_e32 v10, 0xffff, v2
	v_lshlrev_b32_e32 v4, 16, v4
	v_and_b32_e32 v6, 0xffff, v6
	v_or_b32_e32 v3, v7, v5
	v_or_b32_e32 v2, v9, v1
	s_delay_alu instid0(VALU_DEP_4) | instskip(NEXT) | instid1(VALU_DEP_4)
	v_or_b32_e32 v5, v10, v4
	v_or_b32_e32 v4, v6, v8
	global_store_b128 v0, v[2:5], s[12:13] scale_offset
.LBB88_2:
	s_and_not1_b32 vcc_lo, exec_lo, s0
	s_cbranch_vccnz .LBB88_52
; %bb.3:
	v_mov_b64_e32 v[18:19], 0
	v_mov_b64_e32 v[32:33], 0
	v_cmp_gt_i32_e64 s0, s1, v0
	v_dual_mov_b32 v35, v0 :: v_dual_bitop2_b32 v1, s2, v0 bitop3:0x54
	v_or_b32_e32 v34, 0x100, v0
	s_wait_xcnt 0x0
	s_and_saveexec_b32 s3, s0
	s_cbranch_execz .LBB88_5
; %bb.4:
	global_load_b64 v[32:33], v1, s[8:9] scale_offset
	v_or_b32_e32 v35, 0x100, v0
.LBB88_5:
	s_wait_xcnt 0x0
	s_or_b32 exec_lo, exec_lo, s3
	s_delay_alu instid0(SALU_CYCLE_1) | instskip(NEXT) | instid1(VALU_DEP_1)
	s_mov_b32 s3, exec_lo
	v_cmpx_gt_i32_e64 s1, v35
	s_cbranch_execz .LBB88_7
; %bb.6:
	v_add_nc_u32_e32 v2, s2, v35
	v_add_nc_u32_e32 v35, 0x100, v35
	global_load_b64 v[18:19], v2, s[8:9] scale_offset
.LBB88_7:
	s_wait_xcnt 0x0
	s_or_b32 exec_lo, exec_lo, s3
	v_mov_b64_e32 v[16:17], 0
	v_mov_b64_e32 v[30:31], 0
	s_mov_b32 s3, exec_lo
	v_cmpx_gt_i32_e64 s1, v35
	s_cbranch_execz .LBB88_9
; %bb.8:
	v_add_nc_u32_e32 v2, s2, v35
	v_add_nc_u32_e32 v35, 0x100, v35
	global_load_b64 v[30:31], v2, s[8:9] scale_offset
.LBB88_9:
	s_wait_xcnt 0x0
	s_or_b32 exec_lo, exec_lo, s3
	s_delay_alu instid0(SALU_CYCLE_1)
	s_mov_b32 s3, exec_lo
	v_cmpx_gt_i32_e64 s1, v35
	s_cbranch_execz .LBB88_11
; %bb.10:
	v_add_nc_u32_e32 v2, s2, v35
	v_add_nc_u32_e32 v35, 0x100, v35
	global_load_b64 v[16:17], v2, s[8:9] scale_offset
.LBB88_11:
	s_wait_xcnt 0x0
	s_or_b32 exec_lo, exec_lo, s3
	v_mov_b64_e32 v[12:13], 0
	v_mov_b64_e32 v[28:29], 0
	s_mov_b32 s3, exec_lo
	v_cmpx_gt_i32_e64 s1, v35
	s_cbranch_execz .LBB88_13
; %bb.12:
	v_add_nc_u32_e32 v2, s2, v35
	v_add_nc_u32_e32 v35, 0x100, v35
	global_load_b64 v[28:29], v2, s[8:9] scale_offset
.LBB88_13:
	s_wait_xcnt 0x0
	s_or_b32 exec_lo, exec_lo, s3
	s_delay_alu instid0(SALU_CYCLE_1)
	s_mov_b32 s3, exec_lo
	v_cmpx_gt_i32_e64 s1, v35
	s_cbranch_execz .LBB88_15
; %bb.14:
	v_add_nc_u32_e32 v2, s2, v35
	v_add_nc_u32_e32 v35, 0x100, v35
	global_load_b64 v[12:13], v2, s[8:9] scale_offset
.LBB88_15:
	s_wait_xcnt 0x0
	s_or_b32 exec_lo, exec_lo, s3
	v_mov_b64_e32 v[10:11], 0
	v_mov_b64_e32 v[26:27], 0
	s_mov_b32 s3, exec_lo
	v_cmpx_gt_i32_e64 s1, v35
	s_cbranch_execz .LBB88_17
; %bb.16:
	v_add_nc_u32_e32 v2, s2, v35
	v_add_nc_u32_e32 v35, 0x100, v35
	global_load_b64 v[26:27], v2, s[8:9] scale_offset
.LBB88_17:
	s_wait_xcnt 0x0
	s_or_b32 exec_lo, exec_lo, s3
	s_delay_alu instid0(SALU_CYCLE_1)
	s_mov_b32 s3, exec_lo
	v_cmpx_gt_i32_e64 s1, v35
	s_cbranch_execz .LBB88_19
; %bb.18:
	v_add_nc_u32_e32 v2, s2, v35
	v_add_nc_u32_e32 v35, 0x100, v35
	global_load_b64 v[10:11], v2, s[8:9] scale_offset
.LBB88_19:
	s_wait_xcnt 0x0
	s_or_b32 exec_lo, exec_lo, s3
	v_mov_b64_e32 v[8:9], 0
	v_mov_b64_e32 v[24:25], 0
	s_mov_b32 s3, exec_lo
	v_cmpx_gt_i32_e64 s1, v35
	s_cbranch_execz .LBB88_21
; %bb.20:
	v_add_nc_u32_e32 v2, s2, v35
	v_add_nc_u32_e32 v35, 0x100, v35
	global_load_b64 v[24:25], v2, s[8:9] scale_offset
.LBB88_21:
	s_wait_xcnt 0x0
	s_or_b32 exec_lo, exec_lo, s3
	s_delay_alu instid0(SALU_CYCLE_1)
	s_mov_b32 s3, exec_lo
	v_cmpx_gt_i32_e64 s1, v35
	s_cbranch_execz .LBB88_23
; %bb.22:
	v_add_nc_u32_e32 v2, s2, v35
	v_add_nc_u32_e32 v35, 0x100, v35
	global_load_b64 v[8:9], v2, s[8:9] scale_offset
.LBB88_23:
	s_wait_xcnt 0x0
	s_or_b32 exec_lo, exec_lo, s3
	v_mov_b64_e32 v[6:7], 0
	v_mov_b64_e32 v[22:23], 0
	s_mov_b32 s3, exec_lo
	v_cmpx_gt_i32_e64 s1, v35
	s_cbranch_execz .LBB88_25
; %bb.24:
	v_add_nc_u32_e32 v2, s2, v35
	v_add_nc_u32_e32 v35, 0x100, v35
	global_load_b64 v[22:23], v2, s[8:9] scale_offset
.LBB88_25:
	s_wait_xcnt 0x0
	s_or_b32 exec_lo, exec_lo, s3
	s_delay_alu instid0(SALU_CYCLE_1)
	s_mov_b32 s3, exec_lo
	v_cmpx_gt_i32_e64 s1, v35
	s_cbranch_execz .LBB88_27
; %bb.26:
	v_add_nc_u32_e32 v2, s2, v35
	v_add_nc_u32_e32 v35, 0x100, v35
	global_load_b64 v[6:7], v2, s[8:9] scale_offset
.LBB88_27:
	s_wait_xcnt 0x0
	s_or_b32 exec_lo, exec_lo, s3
	v_mov_b64_e32 v[4:5], 0
	v_mov_b64_e32 v[20:21], 0
	s_mov_b32 s3, exec_lo
	v_cmpx_gt_i32_e64 s1, v35
	s_cbranch_execz .LBB88_29
; %bb.28:
	v_add_nc_u32_e32 v2, s2, v35
	v_add_nc_u32_e32 v35, 0x100, v35
	global_load_b64 v[20:21], v2, s[8:9] scale_offset
.LBB88_29:
	s_wait_xcnt 0x0
	s_or_b32 exec_lo, exec_lo, s3
	s_delay_alu instid0(SALU_CYCLE_1)
	s_mov_b32 s3, exec_lo
	v_cmpx_gt_i32_e64 s1, v35
	s_cbranch_execz .LBB88_31
; %bb.30:
	v_add_nc_u32_e32 v2, s2, v35
	v_add_nc_u32_e32 v35, 0x100, v35
	global_load_b64 v[4:5], v2, s[8:9] scale_offset
.LBB88_31:
	s_wait_xcnt 0x0
	s_or_b32 exec_lo, exec_lo, s3
	v_mov_b64_e32 v[2:3], 0
	v_mov_b64_e32 v[14:15], 0
	s_mov_b32 s3, exec_lo
	v_cmpx_gt_i32_e64 s1, v35
	s_cbranch_execz .LBB88_33
; %bb.32:
	v_add_nc_u32_e32 v14, s2, v35
	v_add_nc_u32_e32 v35, 0x100, v35
	global_load_b64 v[14:15], v14, s[8:9] scale_offset
.LBB88_33:
	s_wait_xcnt 0x0
	s_or_b32 exec_lo, exec_lo, s3
	s_delay_alu instid0(SALU_CYCLE_1)
	s_mov_b32 s3, exec_lo
	v_cmpx_gt_i32_e64 s1, v35
	s_cbranch_execz .LBB88_35
; %bb.34:
	v_add_nc_u32_e32 v2, s2, v35
	global_load_b64 v[2:3], v2, s[8:9] scale_offset
.LBB88_35:
	s_wait_xcnt 0x0
	s_or_b32 exec_lo, exec_lo, s3
	s_cmp_eq_u32 s10, 0
	s_cselect_b32 vcc_lo, -1, 0
	s_and_saveexec_b32 s3, s0
	s_cbranch_execnz .LBB88_53
; %bb.36:
	s_or_b32 exec_lo, exec_lo, s3
	s_delay_alu instid0(SALU_CYCLE_1)
	s_mov_b32 s3, exec_lo
	v_cmpx_gt_i32_e64 s1, v0
	s_cbranch_execnz .LBB88_54
.LBB88_37:
	s_or_b32 exec_lo, exec_lo, s3
	s_delay_alu instid0(SALU_CYCLE_1)
	s_mov_b32 s3, exec_lo
	v_cmpx_gt_i32_e64 s1, v0
	s_cbranch_execnz .LBB88_55
.LBB88_38:
	s_or_b32 exec_lo, exec_lo, s3
	s_delay_alu instid0(SALU_CYCLE_1)
	s_mov_b32 s3, exec_lo
	v_cmpx_gt_i32_e64 s1, v0
	s_cbranch_execnz .LBB88_56
.LBB88_39:
	s_or_b32 exec_lo, exec_lo, s3
	s_delay_alu instid0(SALU_CYCLE_1)
	s_mov_b32 s3, exec_lo
	v_cmpx_gt_i32_e64 s1, v0
	s_cbranch_execnz .LBB88_57
.LBB88_40:
	s_or_b32 exec_lo, exec_lo, s3
	s_delay_alu instid0(SALU_CYCLE_1)
	s_mov_b32 s3, exec_lo
	v_cmpx_gt_i32_e64 s1, v0
	s_cbranch_execnz .LBB88_58
.LBB88_41:
	s_or_b32 exec_lo, exec_lo, s3
	s_delay_alu instid0(SALU_CYCLE_1)
	s_mov_b32 s3, exec_lo
	v_cmpx_gt_i32_e64 s1, v0
	s_cbranch_execnz .LBB88_59
.LBB88_42:
	s_or_b32 exec_lo, exec_lo, s3
	s_delay_alu instid0(SALU_CYCLE_1)
	s_mov_b32 s3, exec_lo
	v_cmpx_gt_i32_e64 s1, v0
	s_cbranch_execnz .LBB88_60
.LBB88_43:
	s_or_b32 exec_lo, exec_lo, s3
	s_delay_alu instid0(SALU_CYCLE_1)
	s_mov_b32 s3, exec_lo
	v_cmpx_gt_i32_e64 s1, v0
	s_cbranch_execnz .LBB88_61
.LBB88_44:
	s_or_b32 exec_lo, exec_lo, s3
	s_delay_alu instid0(SALU_CYCLE_1)
	s_mov_b32 s3, exec_lo
	v_cmpx_gt_i32_e64 s1, v0
	s_cbranch_execnz .LBB88_62
.LBB88_45:
	s_or_b32 exec_lo, exec_lo, s3
	s_delay_alu instid0(SALU_CYCLE_1)
	s_mov_b32 s3, exec_lo
	v_cmpx_gt_i32_e64 s1, v0
	s_cbranch_execnz .LBB88_63
.LBB88_46:
	s_or_b32 exec_lo, exec_lo, s3
	s_delay_alu instid0(SALU_CYCLE_1)
	s_mov_b32 s3, exec_lo
	v_cmpx_gt_i32_e64 s1, v0
	s_cbranch_execnz .LBB88_64
.LBB88_47:
	s_or_b32 exec_lo, exec_lo, s3
	s_delay_alu instid0(SALU_CYCLE_1)
	s_mov_b32 s3, exec_lo
	v_cmpx_gt_i32_e64 s1, v0
	s_cbranch_execnz .LBB88_65
.LBB88_48:
	s_or_b32 exec_lo, exec_lo, s3
	s_delay_alu instid0(SALU_CYCLE_1)
	s_mov_b32 s3, exec_lo
	v_cmpx_gt_i32_e64 s1, v0
	s_cbranch_execnz .LBB88_66
.LBB88_49:
	s_or_b32 exec_lo, exec_lo, s3
	s_delay_alu instid0(SALU_CYCLE_1)
	s_mov_b32 s3, exec_lo
	v_cmpx_gt_i32_e64 s1, v0
	s_cbranch_execnz .LBB88_67
.LBB88_50:
	s_or_b32 exec_lo, exec_lo, s3
	v_cmp_gt_i32_e64 s0, s1, v0
	s_and_saveexec_b32 s1, s0
	s_cbranch_execz .LBB88_52
.LBB88_51:
	s_wait_loadcnt 0x0
	v_cmp_eq_f64_e64 s0, s[4:5], v[2:3]
	v_add_nc_u32_e32 v0, s2, v0
	s_delay_alu instid0(VALU_DEP_2) | instskip(SKIP_1) | instid1(VALU_DEP_1)
	v_cndmask_b32_e64 v1, 0, 1, s0
	v_cmp_neq_f64_e64 s0, s[4:5], v[2:3]
	v_cndmask_b32_e64 v2, 0, 1, s0
	s_delay_alu instid0(VALU_DEP_1) | instskip(NEXT) | instid1(VALU_DEP_1)
	v_cndmask_b32_e32 v1, v2, v1, vcc_lo
	v_and_b32_e32 v1, 1, v1
	global_store_b8 v0, v1, s[6:7]
.LBB88_52:
	s_endpgm
.LBB88_53:
	s_wait_loadcnt 0x0
	v_cmp_eq_f64_e64 s0, s[4:5], v[32:33]
	s_delay_alu instid0(VALU_DEP_1) | instskip(SKIP_1) | instid1(VALU_DEP_1)
	v_cndmask_b32_e64 v0, 0, 1, s0
	v_cmp_neq_f64_e64 s0, s[4:5], v[32:33]
	v_cndmask_b32_e64 v32, 0, 1, s0
	s_delay_alu instid0(VALU_DEP_1) | instskip(NEXT) | instid1(VALU_DEP_1)
	v_cndmask_b32_e32 v0, v32, v0, vcc_lo
	v_dual_mov_b32 v0, v34 :: v_dual_bitop2_b32 v32, 1, v0 bitop3:0x40
	global_store_b8 v1, v32, s[6:7]
	s_wait_xcnt 0x0
	s_or_b32 exec_lo, exec_lo, s3
	s_delay_alu instid0(SALU_CYCLE_1)
	s_mov_b32 s3, exec_lo
	v_cmpx_gt_i32_e64 s1, v0
	s_cbranch_execz .LBB88_37
.LBB88_54:
	s_wait_loadcnt 0x0
	v_cmp_eq_f64_e64 s0, s[4:5], v[18:19]
	s_delay_alu instid0(VALU_DEP_1) | instskip(SKIP_1) | instid1(VALU_DEP_1)
	v_cndmask_b32_e64 v1, 0, 1, s0
	v_cmp_neq_f64_e64 s0, s[4:5], v[18:19]
	v_cndmask_b32_e64 v18, 0, 1, s0
	s_delay_alu instid0(VALU_DEP_1) | instskip(SKIP_1) | instid1(VALU_DEP_2)
	v_dual_cndmask_b32 v1, v18, v1 :: v_dual_add_nc_u32 v18, s2, v0
	v_add_nc_u32_e32 v0, 0x100, v0
	v_and_b32_e32 v1, 1, v1
	global_store_b8 v18, v1, s[6:7]
	s_wait_xcnt 0x0
	s_or_b32 exec_lo, exec_lo, s3
	s_delay_alu instid0(SALU_CYCLE_1)
	s_mov_b32 s3, exec_lo
	v_cmpx_gt_i32_e64 s1, v0
	s_cbranch_execz .LBB88_38
.LBB88_55:
	s_wait_loadcnt 0x0
	v_cmp_eq_f64_e64 s0, s[4:5], v[30:31]
	s_delay_alu instid0(VALU_DEP_1) | instskip(SKIP_1) | instid1(VALU_DEP_1)
	v_cndmask_b32_e64 v1, 0, 1, s0
	v_cmp_neq_f64_e64 s0, s[4:5], v[30:31]
	v_cndmask_b32_e64 v18, 0, 1, s0
	s_delay_alu instid0(VALU_DEP_1) | instskip(SKIP_1) | instid1(VALU_DEP_2)
	v_dual_cndmask_b32 v1, v18, v1 :: v_dual_add_nc_u32 v18, s2, v0
	v_add_nc_u32_e32 v0, 0x100, v0
	v_and_b32_e32 v1, 1, v1
	global_store_b8 v18, v1, s[6:7]
	s_wait_xcnt 0x0
	s_or_b32 exec_lo, exec_lo, s3
	s_delay_alu instid0(SALU_CYCLE_1)
	s_mov_b32 s3, exec_lo
	v_cmpx_gt_i32_e64 s1, v0
	s_cbranch_execz .LBB88_39
.LBB88_56:
	s_wait_loadcnt 0x0
	v_cmp_eq_f64_e64 s0, s[4:5], v[16:17]
	s_delay_alu instid0(VALU_DEP_1) | instskip(SKIP_1) | instid1(VALU_DEP_1)
	v_cndmask_b32_e64 v1, 0, 1, s0
	v_cmp_neq_f64_e64 s0, s[4:5], v[16:17]
	v_cndmask_b32_e64 v16, 0, 1, s0
	s_delay_alu instid0(VALU_DEP_1) | instskip(SKIP_1) | instid1(VALU_DEP_2)
	v_dual_cndmask_b32 v1, v16, v1 :: v_dual_add_nc_u32 v16, s2, v0
	v_add_nc_u32_e32 v0, 0x100, v0
	v_and_b32_e32 v1, 1, v1
	global_store_b8 v16, v1, s[6:7]
	s_wait_xcnt 0x0
	s_or_b32 exec_lo, exec_lo, s3
	s_delay_alu instid0(SALU_CYCLE_1)
	s_mov_b32 s3, exec_lo
	v_cmpx_gt_i32_e64 s1, v0
	s_cbranch_execz .LBB88_40
.LBB88_57:
	s_wait_loadcnt 0x0
	v_cmp_eq_f64_e64 s0, s[4:5], v[28:29]
	s_delay_alu instid0(VALU_DEP_1) | instskip(SKIP_1) | instid1(VALU_DEP_1)
	v_cndmask_b32_e64 v1, 0, 1, s0
	v_cmp_neq_f64_e64 s0, s[4:5], v[28:29]
	v_cndmask_b32_e64 v16, 0, 1, s0
	s_delay_alu instid0(VALU_DEP_1) | instskip(SKIP_1) | instid1(VALU_DEP_2)
	v_dual_cndmask_b32 v1, v16, v1 :: v_dual_add_nc_u32 v16, s2, v0
	v_add_nc_u32_e32 v0, 0x100, v0
	v_and_b32_e32 v1, 1, v1
	global_store_b8 v16, v1, s[6:7]
	s_wait_xcnt 0x0
	s_or_b32 exec_lo, exec_lo, s3
	s_delay_alu instid0(SALU_CYCLE_1)
	s_mov_b32 s3, exec_lo
	v_cmpx_gt_i32_e64 s1, v0
	s_cbranch_execz .LBB88_41
.LBB88_58:
	s_wait_loadcnt 0x0
	v_cmp_eq_f64_e64 s0, s[4:5], v[12:13]
	s_delay_alu instid0(VALU_DEP_1) | instskip(SKIP_1) | instid1(VALU_DEP_1)
	v_cndmask_b32_e64 v1, 0, 1, s0
	v_cmp_neq_f64_e64 s0, s[4:5], v[12:13]
	v_cndmask_b32_e64 v12, 0, 1, s0
	s_delay_alu instid0(VALU_DEP_1) | instskip(SKIP_1) | instid1(VALU_DEP_2)
	v_dual_cndmask_b32 v1, v12, v1 :: v_dual_add_nc_u32 v12, s2, v0
	v_add_nc_u32_e32 v0, 0x100, v0
	v_and_b32_e32 v1, 1, v1
	global_store_b8 v12, v1, s[6:7]
	s_wait_xcnt 0x0
	s_or_b32 exec_lo, exec_lo, s3
	s_delay_alu instid0(SALU_CYCLE_1)
	s_mov_b32 s3, exec_lo
	v_cmpx_gt_i32_e64 s1, v0
	s_cbranch_execz .LBB88_42
.LBB88_59:
	s_wait_loadcnt 0x0
	v_cmp_eq_f64_e64 s0, s[4:5], v[26:27]
	s_delay_alu instid0(VALU_DEP_1) | instskip(SKIP_1) | instid1(VALU_DEP_1)
	v_cndmask_b32_e64 v1, 0, 1, s0
	v_cmp_neq_f64_e64 s0, s[4:5], v[26:27]
	v_cndmask_b32_e64 v12, 0, 1, s0
	s_delay_alu instid0(VALU_DEP_1) | instskip(SKIP_1) | instid1(VALU_DEP_2)
	v_dual_cndmask_b32 v1, v12, v1 :: v_dual_add_nc_u32 v12, s2, v0
	v_add_nc_u32_e32 v0, 0x100, v0
	v_and_b32_e32 v1, 1, v1
	global_store_b8 v12, v1, s[6:7]
	s_wait_xcnt 0x0
	s_or_b32 exec_lo, exec_lo, s3
	s_delay_alu instid0(SALU_CYCLE_1)
	s_mov_b32 s3, exec_lo
	v_cmpx_gt_i32_e64 s1, v0
	s_cbranch_execz .LBB88_43
.LBB88_60:
	s_wait_loadcnt 0x0
	v_cmp_eq_f64_e64 s0, s[4:5], v[10:11]
	s_delay_alu instid0(VALU_DEP_1) | instskip(SKIP_1) | instid1(VALU_DEP_1)
	v_cndmask_b32_e64 v1, 0, 1, s0
	v_cmp_neq_f64_e64 s0, s[4:5], v[10:11]
	v_cndmask_b32_e64 v10, 0, 1, s0
	s_delay_alu instid0(VALU_DEP_1) | instskip(SKIP_1) | instid1(VALU_DEP_2)
	v_dual_cndmask_b32 v1, v10, v1 :: v_dual_add_nc_u32 v10, s2, v0
	v_add_nc_u32_e32 v0, 0x100, v0
	v_and_b32_e32 v1, 1, v1
	global_store_b8 v10, v1, s[6:7]
	s_wait_xcnt 0x0
	s_or_b32 exec_lo, exec_lo, s3
	s_delay_alu instid0(SALU_CYCLE_1)
	s_mov_b32 s3, exec_lo
	v_cmpx_gt_i32_e64 s1, v0
	s_cbranch_execz .LBB88_44
.LBB88_61:
	s_wait_loadcnt 0x0
	v_cmp_eq_f64_e64 s0, s[4:5], v[24:25]
	s_delay_alu instid0(VALU_DEP_1) | instskip(SKIP_1) | instid1(VALU_DEP_1)
	v_cndmask_b32_e64 v1, 0, 1, s0
	v_cmp_neq_f64_e64 s0, s[4:5], v[24:25]
	v_cndmask_b32_e64 v10, 0, 1, s0
	s_delay_alu instid0(VALU_DEP_1) | instskip(SKIP_1) | instid1(VALU_DEP_2)
	v_dual_cndmask_b32 v1, v10, v1 :: v_dual_add_nc_u32 v10, s2, v0
	v_add_nc_u32_e32 v0, 0x100, v0
	v_and_b32_e32 v1, 1, v1
	global_store_b8 v10, v1, s[6:7]
	s_wait_xcnt 0x0
	s_or_b32 exec_lo, exec_lo, s3
	s_delay_alu instid0(SALU_CYCLE_1)
	s_mov_b32 s3, exec_lo
	v_cmpx_gt_i32_e64 s1, v0
	s_cbranch_execz .LBB88_45
.LBB88_62:
	s_wait_loadcnt 0x0
	v_cmp_eq_f64_e64 s0, s[4:5], v[8:9]
	s_delay_alu instid0(VALU_DEP_1) | instskip(SKIP_1) | instid1(VALU_DEP_1)
	v_cndmask_b32_e64 v1, 0, 1, s0
	v_cmp_neq_f64_e64 s0, s[4:5], v[8:9]
	v_cndmask_b32_e64 v8, 0, 1, s0
	s_delay_alu instid0(VALU_DEP_1) | instskip(SKIP_1) | instid1(VALU_DEP_2)
	v_dual_cndmask_b32 v1, v8, v1 :: v_dual_add_nc_u32 v8, s2, v0
	v_add_nc_u32_e32 v0, 0x100, v0
	v_and_b32_e32 v1, 1, v1
	global_store_b8 v8, v1, s[6:7]
	s_wait_xcnt 0x0
	s_or_b32 exec_lo, exec_lo, s3
	s_delay_alu instid0(SALU_CYCLE_1)
	s_mov_b32 s3, exec_lo
	v_cmpx_gt_i32_e64 s1, v0
	s_cbranch_execz .LBB88_46
.LBB88_63:
	s_wait_loadcnt 0x0
	v_cmp_eq_f64_e64 s0, s[4:5], v[22:23]
	s_delay_alu instid0(VALU_DEP_1) | instskip(SKIP_1) | instid1(VALU_DEP_1)
	v_cndmask_b32_e64 v1, 0, 1, s0
	v_cmp_neq_f64_e64 s0, s[4:5], v[22:23]
	v_cndmask_b32_e64 v8, 0, 1, s0
	s_delay_alu instid0(VALU_DEP_1) | instskip(SKIP_1) | instid1(VALU_DEP_2)
	v_dual_cndmask_b32 v1, v8, v1 :: v_dual_add_nc_u32 v8, s2, v0
	v_add_nc_u32_e32 v0, 0x100, v0
	v_and_b32_e32 v1, 1, v1
	global_store_b8 v8, v1, s[6:7]
	s_wait_xcnt 0x0
	s_or_b32 exec_lo, exec_lo, s3
	s_delay_alu instid0(SALU_CYCLE_1)
	s_mov_b32 s3, exec_lo
	v_cmpx_gt_i32_e64 s1, v0
	s_cbranch_execz .LBB88_47
.LBB88_64:
	s_wait_loadcnt 0x0
	v_cmp_eq_f64_e64 s0, s[4:5], v[6:7]
	s_delay_alu instid0(VALU_DEP_1) | instskip(SKIP_1) | instid1(VALU_DEP_1)
	v_cndmask_b32_e64 v1, 0, 1, s0
	v_cmp_neq_f64_e64 s0, s[4:5], v[6:7]
	v_cndmask_b32_e64 v6, 0, 1, s0
	s_delay_alu instid0(VALU_DEP_1) | instskip(SKIP_1) | instid1(VALU_DEP_2)
	v_dual_cndmask_b32 v1, v6, v1 :: v_dual_add_nc_u32 v6, s2, v0
	v_add_nc_u32_e32 v0, 0x100, v0
	v_and_b32_e32 v1, 1, v1
	global_store_b8 v6, v1, s[6:7]
	s_wait_xcnt 0x0
	s_or_b32 exec_lo, exec_lo, s3
	s_delay_alu instid0(SALU_CYCLE_1)
	s_mov_b32 s3, exec_lo
	v_cmpx_gt_i32_e64 s1, v0
	s_cbranch_execz .LBB88_48
.LBB88_65:
	s_wait_loadcnt 0x0
	v_cmp_eq_f64_e64 s0, s[4:5], v[20:21]
	s_delay_alu instid0(VALU_DEP_1) | instskip(SKIP_1) | instid1(VALU_DEP_1)
	v_cndmask_b32_e64 v1, 0, 1, s0
	v_cmp_neq_f64_e64 s0, s[4:5], v[20:21]
	v_cndmask_b32_e64 v6, 0, 1, s0
	s_delay_alu instid0(VALU_DEP_1) | instskip(SKIP_1) | instid1(VALU_DEP_2)
	v_dual_cndmask_b32 v1, v6, v1 :: v_dual_add_nc_u32 v6, s2, v0
	v_add_nc_u32_e32 v0, 0x100, v0
	v_and_b32_e32 v1, 1, v1
	global_store_b8 v6, v1, s[6:7]
	s_wait_xcnt 0x0
	s_or_b32 exec_lo, exec_lo, s3
	s_delay_alu instid0(SALU_CYCLE_1)
	s_mov_b32 s3, exec_lo
	v_cmpx_gt_i32_e64 s1, v0
	s_cbranch_execz .LBB88_49
.LBB88_66:
	s_wait_loadcnt 0x0
	v_cmp_eq_f64_e64 s0, s[4:5], v[4:5]
	s_delay_alu instid0(VALU_DEP_1) | instskip(SKIP_1) | instid1(VALU_DEP_1)
	v_cndmask_b32_e64 v1, 0, 1, s0
	v_cmp_neq_f64_e64 s0, s[4:5], v[4:5]
	v_cndmask_b32_e64 v4, 0, 1, s0
	s_delay_alu instid0(VALU_DEP_1) | instskip(SKIP_1) | instid1(VALU_DEP_2)
	v_dual_cndmask_b32 v1, v4, v1 :: v_dual_add_nc_u32 v4, s2, v0
	v_add_nc_u32_e32 v0, 0x100, v0
	v_and_b32_e32 v1, 1, v1
	global_store_b8 v4, v1, s[6:7]
	s_wait_xcnt 0x0
	s_or_b32 exec_lo, exec_lo, s3
	s_delay_alu instid0(SALU_CYCLE_1)
	s_mov_b32 s3, exec_lo
	v_cmpx_gt_i32_e64 s1, v0
	s_cbranch_execz .LBB88_50
.LBB88_67:
	s_wait_loadcnt 0x0
	v_cmp_eq_f64_e64 s0, s[4:5], v[14:15]
	s_delay_alu instid0(VALU_DEP_1) | instskip(SKIP_1) | instid1(VALU_DEP_1)
	v_cndmask_b32_e64 v1, 0, 1, s0
	v_cmp_neq_f64_e64 s0, s[4:5], v[14:15]
	v_cndmask_b32_e64 v4, 0, 1, s0
	s_delay_alu instid0(VALU_DEP_1) | instskip(SKIP_1) | instid1(VALU_DEP_2)
	v_dual_cndmask_b32 v1, v4, v1 :: v_dual_add_nc_u32 v4, s2, v0
	v_add_nc_u32_e32 v0, 0x100, v0
	v_and_b32_e32 v1, 1, v1
	global_store_b8 v4, v1, s[6:7]
	s_wait_xcnt 0x0
	s_or_b32 exec_lo, exec_lo, s3
	v_cmp_gt_i32_e64 s0, s1, v0
	s_and_saveexec_b32 s1, s0
	s_cbranch_execnz .LBB88_51
	s_branch .LBB88_52
	.section	.rodata,"a",@progbits
	.p2align	6, 0x0
	.amdhsa_kernel _ZN2at6native29vectorized_elementwise_kernelILi16ENS0_13AUnaryFunctorIddbNS0_12_GLOBAL__N_116CompareEqFunctorIdEEEESt5arrayIPcLm2EEEEviT0_T1_
		.amdhsa_group_segment_fixed_size 0
		.amdhsa_private_segment_fixed_size 0
		.amdhsa_kernarg_size 40
		.amdhsa_user_sgpr_count 2
		.amdhsa_user_sgpr_dispatch_ptr 0
		.amdhsa_user_sgpr_queue_ptr 0
		.amdhsa_user_sgpr_kernarg_segment_ptr 1
		.amdhsa_user_sgpr_dispatch_id 0
		.amdhsa_user_sgpr_kernarg_preload_length 0
		.amdhsa_user_sgpr_kernarg_preload_offset 0
		.amdhsa_user_sgpr_private_segment_size 0
		.amdhsa_wavefront_size32 1
		.amdhsa_uses_dynamic_stack 0
		.amdhsa_enable_private_segment 0
		.amdhsa_system_sgpr_workgroup_id_x 1
		.amdhsa_system_sgpr_workgroup_id_y 0
		.amdhsa_system_sgpr_workgroup_id_z 0
		.amdhsa_system_sgpr_workgroup_info 0
		.amdhsa_system_vgpr_workitem_id 0
		.amdhsa_next_free_vgpr 36
		.amdhsa_next_free_sgpr 14
		.amdhsa_named_barrier_count 0
		.amdhsa_reserve_vcc 1
		.amdhsa_float_round_mode_32 0
		.amdhsa_float_round_mode_16_64 0
		.amdhsa_float_denorm_mode_32 3
		.amdhsa_float_denorm_mode_16_64 3
		.amdhsa_fp16_overflow 0
		.amdhsa_memory_ordered 1
		.amdhsa_forward_progress 1
		.amdhsa_inst_pref_size 31
		.amdhsa_round_robin_scheduling 0
		.amdhsa_exception_fp_ieee_invalid_op 0
		.amdhsa_exception_fp_denorm_src 0
		.amdhsa_exception_fp_ieee_div_zero 0
		.amdhsa_exception_fp_ieee_overflow 0
		.amdhsa_exception_fp_ieee_underflow 0
		.amdhsa_exception_fp_ieee_inexact 0
		.amdhsa_exception_int_div_zero 0
	.end_amdhsa_kernel
	.section	.text._ZN2at6native29vectorized_elementwise_kernelILi16ENS0_13AUnaryFunctorIddbNS0_12_GLOBAL__N_116CompareEqFunctorIdEEEESt5arrayIPcLm2EEEEviT0_T1_,"axG",@progbits,_ZN2at6native29vectorized_elementwise_kernelILi16ENS0_13AUnaryFunctorIddbNS0_12_GLOBAL__N_116CompareEqFunctorIdEEEESt5arrayIPcLm2EEEEviT0_T1_,comdat
.Lfunc_end88:
	.size	_ZN2at6native29vectorized_elementwise_kernelILi16ENS0_13AUnaryFunctorIddbNS0_12_GLOBAL__N_116CompareEqFunctorIdEEEESt5arrayIPcLm2EEEEviT0_T1_, .Lfunc_end88-_ZN2at6native29vectorized_elementwise_kernelILi16ENS0_13AUnaryFunctorIddbNS0_12_GLOBAL__N_116CompareEqFunctorIdEEEESt5arrayIPcLm2EEEEviT0_T1_
                                        ; -- End function
	.set _ZN2at6native29vectorized_elementwise_kernelILi16ENS0_13AUnaryFunctorIddbNS0_12_GLOBAL__N_116CompareEqFunctorIdEEEESt5arrayIPcLm2EEEEviT0_T1_.num_vgpr, 36
	.set _ZN2at6native29vectorized_elementwise_kernelILi16ENS0_13AUnaryFunctorIddbNS0_12_GLOBAL__N_116CompareEqFunctorIdEEEESt5arrayIPcLm2EEEEviT0_T1_.num_agpr, 0
	.set _ZN2at6native29vectorized_elementwise_kernelILi16ENS0_13AUnaryFunctorIddbNS0_12_GLOBAL__N_116CompareEqFunctorIdEEEESt5arrayIPcLm2EEEEviT0_T1_.numbered_sgpr, 14
	.set _ZN2at6native29vectorized_elementwise_kernelILi16ENS0_13AUnaryFunctorIddbNS0_12_GLOBAL__N_116CompareEqFunctorIdEEEESt5arrayIPcLm2EEEEviT0_T1_.num_named_barrier, 0
	.set _ZN2at6native29vectorized_elementwise_kernelILi16ENS0_13AUnaryFunctorIddbNS0_12_GLOBAL__N_116CompareEqFunctorIdEEEESt5arrayIPcLm2EEEEviT0_T1_.private_seg_size, 0
	.set _ZN2at6native29vectorized_elementwise_kernelILi16ENS0_13AUnaryFunctorIddbNS0_12_GLOBAL__N_116CompareEqFunctorIdEEEESt5arrayIPcLm2EEEEviT0_T1_.uses_vcc, 1
	.set _ZN2at6native29vectorized_elementwise_kernelILi16ENS0_13AUnaryFunctorIddbNS0_12_GLOBAL__N_116CompareEqFunctorIdEEEESt5arrayIPcLm2EEEEviT0_T1_.uses_flat_scratch, 0
	.set _ZN2at6native29vectorized_elementwise_kernelILi16ENS0_13AUnaryFunctorIddbNS0_12_GLOBAL__N_116CompareEqFunctorIdEEEESt5arrayIPcLm2EEEEviT0_T1_.has_dyn_sized_stack, 0
	.set _ZN2at6native29vectorized_elementwise_kernelILi16ENS0_13AUnaryFunctorIddbNS0_12_GLOBAL__N_116CompareEqFunctorIdEEEESt5arrayIPcLm2EEEEviT0_T1_.has_recursion, 0
	.set _ZN2at6native29vectorized_elementwise_kernelILi16ENS0_13AUnaryFunctorIddbNS0_12_GLOBAL__N_116CompareEqFunctorIdEEEESt5arrayIPcLm2EEEEviT0_T1_.has_indirect_call, 0
	.section	.AMDGPU.csdata,"",@progbits
; Kernel info:
; codeLenInByte = 3868
; TotalNumSgprs: 16
; NumVgprs: 36
; ScratchSize: 0
; MemoryBound: 1
; FloatMode: 240
; IeeeMode: 1
; LDSByteSize: 0 bytes/workgroup (compile time only)
; SGPRBlocks: 0
; VGPRBlocks: 2
; NumSGPRsForWavesPerEU: 16
; NumVGPRsForWavesPerEU: 36
; NamedBarCnt: 0
; Occupancy: 16
; WaveLimiterHint : 0
; COMPUTE_PGM_RSRC2:SCRATCH_EN: 0
; COMPUTE_PGM_RSRC2:USER_SGPR: 2
; COMPUTE_PGM_RSRC2:TRAP_HANDLER: 0
; COMPUTE_PGM_RSRC2:TGID_X_EN: 1
; COMPUTE_PGM_RSRC2:TGID_Y_EN: 0
; COMPUTE_PGM_RSRC2:TGID_Z_EN: 0
; COMPUTE_PGM_RSRC2:TIDIG_COMP_CNT: 0
	.section	.text._ZN2at6native29vectorized_elementwise_kernelILi8ENS0_13AUnaryFunctorIddbNS0_12_GLOBAL__N_116CompareEqFunctorIdEEEESt5arrayIPcLm2EEEEviT0_T1_,"axG",@progbits,_ZN2at6native29vectorized_elementwise_kernelILi8ENS0_13AUnaryFunctorIddbNS0_12_GLOBAL__N_116CompareEqFunctorIdEEEESt5arrayIPcLm2EEEEviT0_T1_,comdat
	.globl	_ZN2at6native29vectorized_elementwise_kernelILi8ENS0_13AUnaryFunctorIddbNS0_12_GLOBAL__N_116CompareEqFunctorIdEEEESt5arrayIPcLm2EEEEviT0_T1_ ; -- Begin function _ZN2at6native29vectorized_elementwise_kernelILi8ENS0_13AUnaryFunctorIddbNS0_12_GLOBAL__N_116CompareEqFunctorIdEEEESt5arrayIPcLm2EEEEviT0_T1_
	.p2align	8
	.type	_ZN2at6native29vectorized_elementwise_kernelILi8ENS0_13AUnaryFunctorIddbNS0_12_GLOBAL__N_116CompareEqFunctorIdEEEESt5arrayIPcLm2EEEEviT0_T1_,@function
_ZN2at6native29vectorized_elementwise_kernelILi8ENS0_13AUnaryFunctorIddbNS0_12_GLOBAL__N_116CompareEqFunctorIdEEEESt5arrayIPcLm2EEEEviT0_T1_: ; @_ZN2at6native29vectorized_elementwise_kernelILi8ENS0_13AUnaryFunctorIddbNS0_12_GLOBAL__N_116CompareEqFunctorIdEEEESt5arrayIPcLm2EEEEviT0_T1_
; %bb.0:
	s_clause 0x3
	s_load_b32 s3, s[0:1], 0x0
	s_load_b32 s10, s[0:1], 0x8
	s_load_b128 s[4:7], s[0:1], 0x10
	s_load_b64 s[8:9], s[0:1], 0x20
	s_wait_xcnt 0x0
	s_bfe_u32 s0, ttmp6, 0x4000c
	s_and_b32 s1, ttmp6, 15
	s_add_co_i32 s0, s0, 1
	s_getreg_b32 s2, hwreg(HW_REG_IB_STS2, 6, 4)
	s_mul_i32 s0, ttmp9, s0
	s_delay_alu instid0(SALU_CYCLE_1) | instskip(SKIP_2) | instid1(SALU_CYCLE_1)
	s_add_co_i32 s1, s1, s0
	s_cmp_eq_u32 s2, 0
	s_cselect_b32 s0, ttmp9, s1
	s_lshl_b32 s2, s0, 12
	s_mov_b32 s0, -1
	s_wait_kmcnt 0x0
	s_sub_co_i32 s1, s3, s2
	s_delay_alu instid0(SALU_CYCLE_1)
	s_cmp_gt_i32 s1, 0xfff
	s_cbranch_scc0 .LBB89_2
; %bb.1:
	s_ashr_i32 s3, s2, 31
	v_lshlrev_b32_e32 v1, 6, v0
	s_lshl_b64 s[12:13], s[2:3], 3
	s_cmp_eq_u32 s10, 0
	s_add_nc_u64 s[12:13], s[8:9], s[12:13]
	s_mov_b32 s0, 0
	s_clause 0x7
	global_load_b128 v[2:5], v1, s[12:13]
	global_load_b128 v[6:9], v1, s[12:13] offset:16
	global_load_b128 v[10:13], v1, s[12:13] offset:32
	;; [unrolled: 1-line block ×7, first 2 shown]
	s_wait_xcnt 0x0
	v_or3_b32 v1, 0, 0, 0
	s_add_nc_u64 s[12:13], s[6:7], s[2:3]
	s_wait_loadcnt 0x7
	v_cmp_eq_f64_e32 vcc_lo, s[4:5], v[2:3]
	v_cndmask_b32_e64 v34, 0, 1, vcc_lo
	v_cmp_neq_f64_e32 vcc_lo, s[4:5], v[2:3]
	v_cndmask_b32_e64 v2, 0, 1, vcc_lo
	v_cmp_eq_f64_e32 vcc_lo, s[4:5], v[4:5]
	v_cndmask_b32_e64 v3, 0, 1, vcc_lo
	v_cmp_neq_f64_e32 vcc_lo, s[4:5], v[4:5]
	v_cndmask_b32_e64 v4, 0, 1, vcc_lo
	s_wait_loadcnt 0x6
	v_cmp_eq_f64_e32 vcc_lo, s[4:5], v[6:7]
	v_cndmask_b32_e64 v5, 0, 1, vcc_lo
	v_cmp_neq_f64_e32 vcc_lo, s[4:5], v[6:7]
	v_cndmask_b32_e64 v6, 0, 1, vcc_lo
	v_cmp_eq_f64_e32 vcc_lo, s[4:5], v[8:9]
	v_cndmask_b32_e64 v7, 0, 1, vcc_lo
	v_cmp_neq_f64_e32 vcc_lo, s[4:5], v[8:9]
	v_cndmask_b32_e64 v8, 0, 1, vcc_lo
	;; [unrolled: 9-line block ×8, first 2 shown]
	s_cselect_b32 vcc_lo, -1, 0
	v_dual_cndmask_b32 v3, v4, v3 :: v_dual_cndmask_b32 v4, v6, v5
	v_dual_cndmask_b32 v2, v2, v34 :: v_dual_cndmask_b32 v5, v8, v7
	s_delay_alu instid0(VALU_DEP_2)
	v_dual_cndmask_b32 v6, v10, v9, vcc_lo :: v_dual_bitop2_b32 v3, 1, v3 bitop3:0x40
	v_dual_cndmask_b32 v7, v12, v11 :: v_dual_cndmask_b32 v8, v14, v13
	v_dual_cndmask_b32 v9, v16, v15 :: v_dual_cndmask_b32 v10, v18, v17
	;; [unrolled: 1-line block ×5, first 2 shown]
	v_dual_cndmask_b32 v17, v32, v31, vcc_lo :: v_dual_bitop2_b32 v2, 1, v2 bitop3:0x40
	v_and_b32_e32 v4, 1, v4
	v_cmp_eq_u32_e32 vcc_lo, 1, v3
	v_and_b32_e32 v5, 1, v5
	v_and_b32_e32 v6, 1, v6
	v_and_b32_e32 v7, 1, v7
	v_and_b32_e32 v8, 1, v8
	v_cndmask_b32_e64 v3, 0, 0x100, vcc_lo
	v_cmp_eq_u32_e32 vcc_lo, 1, v4
	v_and_b32_e32 v9, 1, v9
	v_and_b32_e32 v11, 1, v11
	v_and_b32_e32 v12, 1, v12
	v_and_b32_e32 v13, 1, v13
	v_cndmask_b32_e64 v4, 0, 0x10000, vcc_lo
	;; [unrolled: 6-line block ×3, first 2 shown]
	v_cmp_eq_u32_e32 vcc_lo, 1, v6
	v_or_b32_e32 v2, v3, v2
	v_and_b32_e32 v17, 1, v17
	v_cndmask_b32_e64 v6, 0, 1, vcc_lo
	v_cmp_eq_u32_e32 vcc_lo, 1, v7
	s_delay_alu instid0(VALU_DEP_4) | instskip(SKIP_2) | instid1(VALU_DEP_3)
	v_or3_b32 v2, v2, v4, v5
	v_cndmask_b32_e64 v7, 0, 0x100, vcc_lo
	v_cmp_eq_u32_e32 vcc_lo, 1, v8
	v_or3_b32 v2, v2, 0, 0
	s_delay_alu instid0(VALU_DEP_3) | instskip(SKIP_2) | instid1(VALU_DEP_4)
	v_or3_b32 v5, v1, v6, v7
	v_cndmask_b32_e64 v8, 0, 0x10000, vcc_lo
	v_cmp_eq_u32_e32 vcc_lo, 1, v9
	v_or3_b32 v2, v2, 0, 0
	v_cndmask_b32_e64 v9, 0, 0x1000000, vcc_lo
	v_cmp_eq_u32_e32 vcc_lo, 1, v11
	v_cndmask_b32_e64 v11, 0, 0x100, vcc_lo
	v_cmp_eq_u32_e32 vcc_lo, 1, v12
	s_delay_alu instid0(VALU_DEP_2) | instskip(SKIP_4) | instid1(VALU_DEP_2)
	v_or_b32_e32 v3, v11, v10
	v_cndmask_b32_e64 v12, 0, 0x10000, vcc_lo
	v_cmp_eq_u32_e32 vcc_lo, 1, v13
	v_cndmask_b32_e64 v13, 0, 0x1000000, vcc_lo
	v_cmp_eq_u32_e32 vcc_lo, 1, v14
	v_or3_b32 v3, v3, v12, v13
	v_cndmask_b32_e64 v14, 0, 1, vcc_lo
	v_cmp_eq_u32_e32 vcc_lo, 1, v15
	s_delay_alu instid0(VALU_DEP_3) | instskip(SKIP_3) | instid1(VALU_DEP_2)
	v_or3_b32 v6, v3, 0, 0
	v_or3_b32 v3, v5, v8, v9
	v_cndmask_b32_e64 v10, 0, 0x100, vcc_lo
	v_cmp_eq_u32_e32 vcc_lo, 1, v16
	v_or3_b32 v1, v1, v14, v10
	v_cndmask_b32_e64 v11, 0, 0x10000, vcc_lo
	v_cmp_eq_u32_e32 vcc_lo, 1, v17
	v_cndmask_b32_e64 v4, 0, 0x1000000, vcc_lo
	s_delay_alu instid0(VALU_DEP_1)
	v_or3_b32 v5, v1, v11, v4
	v_or3_b32 v4, v6, 0, 0
	s_clause 0x1
	global_store_b64 v0, v[2:3], s[12:13] scale_offset
	global_store_b64 v0, v[4:5], s[12:13] offset:2048 scale_offset
.LBB89_2:
	s_and_not1_b32 vcc_lo, exec_lo, s0
	s_cbranch_vccnz .LBB89_52
; %bb.3:
	v_mov_b64_e32 v[18:19], 0
	v_mov_b64_e32 v[32:33], 0
	v_cmp_gt_i32_e64 s0, s1, v0
	v_dual_mov_b32 v35, v0 :: v_dual_bitop2_b32 v1, s2, v0 bitop3:0x54
	v_or_b32_e32 v34, 0x100, v0
	s_wait_xcnt 0x0
	s_and_saveexec_b32 s3, s0
	s_cbranch_execz .LBB89_5
; %bb.4:
	global_load_b64 v[32:33], v1, s[8:9] scale_offset
	v_or_b32_e32 v35, 0x100, v0
.LBB89_5:
	s_wait_xcnt 0x0
	s_or_b32 exec_lo, exec_lo, s3
	s_delay_alu instid0(SALU_CYCLE_1) | instskip(NEXT) | instid1(VALU_DEP_1)
	s_mov_b32 s3, exec_lo
	v_cmpx_gt_i32_e64 s1, v35
	s_cbranch_execz .LBB89_7
; %bb.6:
	v_add_nc_u32_e32 v2, s2, v35
	v_add_nc_u32_e32 v35, 0x100, v35
	global_load_b64 v[18:19], v2, s[8:9] scale_offset
.LBB89_7:
	s_wait_xcnt 0x0
	s_or_b32 exec_lo, exec_lo, s3
	v_mov_b64_e32 v[16:17], 0
	v_mov_b64_e32 v[30:31], 0
	s_mov_b32 s3, exec_lo
	v_cmpx_gt_i32_e64 s1, v35
	s_cbranch_execz .LBB89_9
; %bb.8:
	v_add_nc_u32_e32 v2, s2, v35
	v_add_nc_u32_e32 v35, 0x100, v35
	global_load_b64 v[30:31], v2, s[8:9] scale_offset
.LBB89_9:
	s_wait_xcnt 0x0
	s_or_b32 exec_lo, exec_lo, s3
	s_delay_alu instid0(SALU_CYCLE_1)
	s_mov_b32 s3, exec_lo
	v_cmpx_gt_i32_e64 s1, v35
	s_cbranch_execz .LBB89_11
; %bb.10:
	v_add_nc_u32_e32 v2, s2, v35
	v_add_nc_u32_e32 v35, 0x100, v35
	global_load_b64 v[16:17], v2, s[8:9] scale_offset
.LBB89_11:
	s_wait_xcnt 0x0
	s_or_b32 exec_lo, exec_lo, s3
	v_mov_b64_e32 v[12:13], 0
	v_mov_b64_e32 v[28:29], 0
	s_mov_b32 s3, exec_lo
	v_cmpx_gt_i32_e64 s1, v35
	s_cbranch_execz .LBB89_13
; %bb.12:
	v_add_nc_u32_e32 v2, s2, v35
	v_add_nc_u32_e32 v35, 0x100, v35
	global_load_b64 v[28:29], v2, s[8:9] scale_offset
.LBB89_13:
	s_wait_xcnt 0x0
	s_or_b32 exec_lo, exec_lo, s3
	s_delay_alu instid0(SALU_CYCLE_1)
	;; [unrolled: 23-line block ×7, first 2 shown]
	s_mov_b32 s3, exec_lo
	v_cmpx_gt_i32_e64 s1, v35
	s_cbranch_execz .LBB89_35
; %bb.34:
	v_add_nc_u32_e32 v2, s2, v35
	global_load_b64 v[2:3], v2, s[8:9] scale_offset
.LBB89_35:
	s_wait_xcnt 0x0
	s_or_b32 exec_lo, exec_lo, s3
	s_cmp_eq_u32 s10, 0
	s_cselect_b32 vcc_lo, -1, 0
	s_and_saveexec_b32 s3, s0
	s_cbranch_execnz .LBB89_53
; %bb.36:
	s_or_b32 exec_lo, exec_lo, s3
	s_delay_alu instid0(SALU_CYCLE_1)
	s_mov_b32 s3, exec_lo
	v_cmpx_gt_i32_e64 s1, v0
	s_cbranch_execnz .LBB89_54
.LBB89_37:
	s_or_b32 exec_lo, exec_lo, s3
	s_delay_alu instid0(SALU_CYCLE_1)
	s_mov_b32 s3, exec_lo
	v_cmpx_gt_i32_e64 s1, v0
	s_cbranch_execnz .LBB89_55
.LBB89_38:
	s_or_b32 exec_lo, exec_lo, s3
	s_delay_alu instid0(SALU_CYCLE_1)
	s_mov_b32 s3, exec_lo
	v_cmpx_gt_i32_e64 s1, v0
	s_cbranch_execnz .LBB89_56
.LBB89_39:
	s_or_b32 exec_lo, exec_lo, s3
	s_delay_alu instid0(SALU_CYCLE_1)
	s_mov_b32 s3, exec_lo
	v_cmpx_gt_i32_e64 s1, v0
	s_cbranch_execnz .LBB89_57
.LBB89_40:
	s_or_b32 exec_lo, exec_lo, s3
	s_delay_alu instid0(SALU_CYCLE_1)
	s_mov_b32 s3, exec_lo
	v_cmpx_gt_i32_e64 s1, v0
	s_cbranch_execnz .LBB89_58
.LBB89_41:
	s_or_b32 exec_lo, exec_lo, s3
	s_delay_alu instid0(SALU_CYCLE_1)
	s_mov_b32 s3, exec_lo
	v_cmpx_gt_i32_e64 s1, v0
	s_cbranch_execnz .LBB89_59
.LBB89_42:
	s_or_b32 exec_lo, exec_lo, s3
	s_delay_alu instid0(SALU_CYCLE_1)
	s_mov_b32 s3, exec_lo
	v_cmpx_gt_i32_e64 s1, v0
	s_cbranch_execnz .LBB89_60
.LBB89_43:
	s_or_b32 exec_lo, exec_lo, s3
	s_delay_alu instid0(SALU_CYCLE_1)
	s_mov_b32 s3, exec_lo
	v_cmpx_gt_i32_e64 s1, v0
	s_cbranch_execnz .LBB89_61
.LBB89_44:
	s_or_b32 exec_lo, exec_lo, s3
	s_delay_alu instid0(SALU_CYCLE_1)
	s_mov_b32 s3, exec_lo
	v_cmpx_gt_i32_e64 s1, v0
	s_cbranch_execnz .LBB89_62
.LBB89_45:
	s_or_b32 exec_lo, exec_lo, s3
	s_delay_alu instid0(SALU_CYCLE_1)
	s_mov_b32 s3, exec_lo
	v_cmpx_gt_i32_e64 s1, v0
	s_cbranch_execnz .LBB89_63
.LBB89_46:
	s_or_b32 exec_lo, exec_lo, s3
	s_delay_alu instid0(SALU_CYCLE_1)
	s_mov_b32 s3, exec_lo
	v_cmpx_gt_i32_e64 s1, v0
	s_cbranch_execnz .LBB89_64
.LBB89_47:
	s_or_b32 exec_lo, exec_lo, s3
	s_delay_alu instid0(SALU_CYCLE_1)
	s_mov_b32 s3, exec_lo
	v_cmpx_gt_i32_e64 s1, v0
	s_cbranch_execnz .LBB89_65
.LBB89_48:
	s_or_b32 exec_lo, exec_lo, s3
	s_delay_alu instid0(SALU_CYCLE_1)
	s_mov_b32 s3, exec_lo
	v_cmpx_gt_i32_e64 s1, v0
	s_cbranch_execnz .LBB89_66
.LBB89_49:
	s_or_b32 exec_lo, exec_lo, s3
	s_delay_alu instid0(SALU_CYCLE_1)
	s_mov_b32 s3, exec_lo
	v_cmpx_gt_i32_e64 s1, v0
	s_cbranch_execnz .LBB89_67
.LBB89_50:
	s_or_b32 exec_lo, exec_lo, s3
	v_cmp_gt_i32_e64 s0, s1, v0
	s_and_saveexec_b32 s1, s0
	s_cbranch_execz .LBB89_52
.LBB89_51:
	s_wait_loadcnt 0x0
	v_cmp_eq_f64_e64 s0, s[4:5], v[2:3]
	v_add_nc_u32_e32 v0, s2, v0
	s_delay_alu instid0(VALU_DEP_2) | instskip(SKIP_1) | instid1(VALU_DEP_1)
	v_cndmask_b32_e64 v1, 0, 1, s0
	v_cmp_neq_f64_e64 s0, s[4:5], v[2:3]
	v_cndmask_b32_e64 v2, 0, 1, s0
	s_delay_alu instid0(VALU_DEP_1) | instskip(NEXT) | instid1(VALU_DEP_1)
	v_cndmask_b32_e32 v1, v2, v1, vcc_lo
	v_and_b32_e32 v1, 1, v1
	global_store_b8 v0, v1, s[6:7]
.LBB89_52:
	s_endpgm
.LBB89_53:
	s_wait_loadcnt 0x0
	v_cmp_eq_f64_e64 s0, s[4:5], v[32:33]
	s_delay_alu instid0(VALU_DEP_1) | instskip(SKIP_1) | instid1(VALU_DEP_1)
	v_cndmask_b32_e64 v0, 0, 1, s0
	v_cmp_neq_f64_e64 s0, s[4:5], v[32:33]
	v_cndmask_b32_e64 v32, 0, 1, s0
	s_delay_alu instid0(VALU_DEP_1) | instskip(NEXT) | instid1(VALU_DEP_1)
	v_cndmask_b32_e32 v0, v32, v0, vcc_lo
	v_dual_mov_b32 v0, v34 :: v_dual_bitop2_b32 v32, 1, v0 bitop3:0x40
	global_store_b8 v1, v32, s[6:7]
	s_wait_xcnt 0x0
	s_or_b32 exec_lo, exec_lo, s3
	s_delay_alu instid0(SALU_CYCLE_1)
	s_mov_b32 s3, exec_lo
	v_cmpx_gt_i32_e64 s1, v0
	s_cbranch_execz .LBB89_37
.LBB89_54:
	s_wait_loadcnt 0x0
	v_cmp_eq_f64_e64 s0, s[4:5], v[18:19]
	s_delay_alu instid0(VALU_DEP_1) | instskip(SKIP_1) | instid1(VALU_DEP_1)
	v_cndmask_b32_e64 v1, 0, 1, s0
	v_cmp_neq_f64_e64 s0, s[4:5], v[18:19]
	v_cndmask_b32_e64 v18, 0, 1, s0
	s_delay_alu instid0(VALU_DEP_1) | instskip(SKIP_1) | instid1(VALU_DEP_2)
	v_dual_cndmask_b32 v1, v18, v1 :: v_dual_add_nc_u32 v18, s2, v0
	v_add_nc_u32_e32 v0, 0x100, v0
	v_and_b32_e32 v1, 1, v1
	global_store_b8 v18, v1, s[6:7]
	s_wait_xcnt 0x0
	s_or_b32 exec_lo, exec_lo, s3
	s_delay_alu instid0(SALU_CYCLE_1)
	s_mov_b32 s3, exec_lo
	v_cmpx_gt_i32_e64 s1, v0
	s_cbranch_execz .LBB89_38
.LBB89_55:
	s_wait_loadcnt 0x0
	v_cmp_eq_f64_e64 s0, s[4:5], v[30:31]
	s_delay_alu instid0(VALU_DEP_1) | instskip(SKIP_1) | instid1(VALU_DEP_1)
	v_cndmask_b32_e64 v1, 0, 1, s0
	v_cmp_neq_f64_e64 s0, s[4:5], v[30:31]
	v_cndmask_b32_e64 v18, 0, 1, s0
	s_delay_alu instid0(VALU_DEP_1) | instskip(SKIP_1) | instid1(VALU_DEP_2)
	v_dual_cndmask_b32 v1, v18, v1 :: v_dual_add_nc_u32 v18, s2, v0
	v_add_nc_u32_e32 v0, 0x100, v0
	v_and_b32_e32 v1, 1, v1
	global_store_b8 v18, v1, s[6:7]
	s_wait_xcnt 0x0
	s_or_b32 exec_lo, exec_lo, s3
	s_delay_alu instid0(SALU_CYCLE_1)
	s_mov_b32 s3, exec_lo
	v_cmpx_gt_i32_e64 s1, v0
	s_cbranch_execz .LBB89_39
.LBB89_56:
	s_wait_loadcnt 0x0
	v_cmp_eq_f64_e64 s0, s[4:5], v[16:17]
	s_delay_alu instid0(VALU_DEP_1) | instskip(SKIP_1) | instid1(VALU_DEP_1)
	v_cndmask_b32_e64 v1, 0, 1, s0
	v_cmp_neq_f64_e64 s0, s[4:5], v[16:17]
	v_cndmask_b32_e64 v16, 0, 1, s0
	s_delay_alu instid0(VALU_DEP_1) | instskip(SKIP_1) | instid1(VALU_DEP_2)
	v_dual_cndmask_b32 v1, v16, v1 :: v_dual_add_nc_u32 v16, s2, v0
	v_add_nc_u32_e32 v0, 0x100, v0
	v_and_b32_e32 v1, 1, v1
	global_store_b8 v16, v1, s[6:7]
	s_wait_xcnt 0x0
	s_or_b32 exec_lo, exec_lo, s3
	s_delay_alu instid0(SALU_CYCLE_1)
	s_mov_b32 s3, exec_lo
	v_cmpx_gt_i32_e64 s1, v0
	s_cbranch_execz .LBB89_40
.LBB89_57:
	s_wait_loadcnt 0x0
	v_cmp_eq_f64_e64 s0, s[4:5], v[28:29]
	s_delay_alu instid0(VALU_DEP_1) | instskip(SKIP_1) | instid1(VALU_DEP_1)
	v_cndmask_b32_e64 v1, 0, 1, s0
	v_cmp_neq_f64_e64 s0, s[4:5], v[28:29]
	v_cndmask_b32_e64 v16, 0, 1, s0
	s_delay_alu instid0(VALU_DEP_1) | instskip(SKIP_1) | instid1(VALU_DEP_2)
	v_dual_cndmask_b32 v1, v16, v1 :: v_dual_add_nc_u32 v16, s2, v0
	v_add_nc_u32_e32 v0, 0x100, v0
	v_and_b32_e32 v1, 1, v1
	global_store_b8 v16, v1, s[6:7]
	s_wait_xcnt 0x0
	s_or_b32 exec_lo, exec_lo, s3
	s_delay_alu instid0(SALU_CYCLE_1)
	s_mov_b32 s3, exec_lo
	v_cmpx_gt_i32_e64 s1, v0
	s_cbranch_execz .LBB89_41
.LBB89_58:
	s_wait_loadcnt 0x0
	v_cmp_eq_f64_e64 s0, s[4:5], v[12:13]
	s_delay_alu instid0(VALU_DEP_1) | instskip(SKIP_1) | instid1(VALU_DEP_1)
	v_cndmask_b32_e64 v1, 0, 1, s0
	v_cmp_neq_f64_e64 s0, s[4:5], v[12:13]
	v_cndmask_b32_e64 v12, 0, 1, s0
	s_delay_alu instid0(VALU_DEP_1) | instskip(SKIP_1) | instid1(VALU_DEP_2)
	v_dual_cndmask_b32 v1, v12, v1 :: v_dual_add_nc_u32 v12, s2, v0
	v_add_nc_u32_e32 v0, 0x100, v0
	v_and_b32_e32 v1, 1, v1
	global_store_b8 v12, v1, s[6:7]
	s_wait_xcnt 0x0
	s_or_b32 exec_lo, exec_lo, s3
	s_delay_alu instid0(SALU_CYCLE_1)
	s_mov_b32 s3, exec_lo
	v_cmpx_gt_i32_e64 s1, v0
	s_cbranch_execz .LBB89_42
.LBB89_59:
	s_wait_loadcnt 0x0
	v_cmp_eq_f64_e64 s0, s[4:5], v[26:27]
	s_delay_alu instid0(VALU_DEP_1) | instskip(SKIP_1) | instid1(VALU_DEP_1)
	v_cndmask_b32_e64 v1, 0, 1, s0
	v_cmp_neq_f64_e64 s0, s[4:5], v[26:27]
	v_cndmask_b32_e64 v12, 0, 1, s0
	s_delay_alu instid0(VALU_DEP_1) | instskip(SKIP_1) | instid1(VALU_DEP_2)
	v_dual_cndmask_b32 v1, v12, v1 :: v_dual_add_nc_u32 v12, s2, v0
	v_add_nc_u32_e32 v0, 0x100, v0
	v_and_b32_e32 v1, 1, v1
	global_store_b8 v12, v1, s[6:7]
	s_wait_xcnt 0x0
	s_or_b32 exec_lo, exec_lo, s3
	s_delay_alu instid0(SALU_CYCLE_1)
	s_mov_b32 s3, exec_lo
	v_cmpx_gt_i32_e64 s1, v0
	s_cbranch_execz .LBB89_43
.LBB89_60:
	s_wait_loadcnt 0x0
	v_cmp_eq_f64_e64 s0, s[4:5], v[10:11]
	s_delay_alu instid0(VALU_DEP_1) | instskip(SKIP_1) | instid1(VALU_DEP_1)
	v_cndmask_b32_e64 v1, 0, 1, s0
	v_cmp_neq_f64_e64 s0, s[4:5], v[10:11]
	v_cndmask_b32_e64 v10, 0, 1, s0
	s_delay_alu instid0(VALU_DEP_1) | instskip(SKIP_1) | instid1(VALU_DEP_2)
	v_dual_cndmask_b32 v1, v10, v1 :: v_dual_add_nc_u32 v10, s2, v0
	v_add_nc_u32_e32 v0, 0x100, v0
	v_and_b32_e32 v1, 1, v1
	global_store_b8 v10, v1, s[6:7]
	s_wait_xcnt 0x0
	s_or_b32 exec_lo, exec_lo, s3
	s_delay_alu instid0(SALU_CYCLE_1)
	s_mov_b32 s3, exec_lo
	v_cmpx_gt_i32_e64 s1, v0
	s_cbranch_execz .LBB89_44
.LBB89_61:
	s_wait_loadcnt 0x0
	v_cmp_eq_f64_e64 s0, s[4:5], v[24:25]
	s_delay_alu instid0(VALU_DEP_1) | instskip(SKIP_1) | instid1(VALU_DEP_1)
	v_cndmask_b32_e64 v1, 0, 1, s0
	v_cmp_neq_f64_e64 s0, s[4:5], v[24:25]
	v_cndmask_b32_e64 v10, 0, 1, s0
	s_delay_alu instid0(VALU_DEP_1) | instskip(SKIP_1) | instid1(VALU_DEP_2)
	v_dual_cndmask_b32 v1, v10, v1 :: v_dual_add_nc_u32 v10, s2, v0
	v_add_nc_u32_e32 v0, 0x100, v0
	v_and_b32_e32 v1, 1, v1
	global_store_b8 v10, v1, s[6:7]
	s_wait_xcnt 0x0
	s_or_b32 exec_lo, exec_lo, s3
	s_delay_alu instid0(SALU_CYCLE_1)
	s_mov_b32 s3, exec_lo
	v_cmpx_gt_i32_e64 s1, v0
	s_cbranch_execz .LBB89_45
.LBB89_62:
	s_wait_loadcnt 0x0
	v_cmp_eq_f64_e64 s0, s[4:5], v[8:9]
	s_delay_alu instid0(VALU_DEP_1) | instskip(SKIP_1) | instid1(VALU_DEP_1)
	v_cndmask_b32_e64 v1, 0, 1, s0
	v_cmp_neq_f64_e64 s0, s[4:5], v[8:9]
	v_cndmask_b32_e64 v8, 0, 1, s0
	s_delay_alu instid0(VALU_DEP_1) | instskip(SKIP_1) | instid1(VALU_DEP_2)
	v_dual_cndmask_b32 v1, v8, v1 :: v_dual_add_nc_u32 v8, s2, v0
	v_add_nc_u32_e32 v0, 0x100, v0
	v_and_b32_e32 v1, 1, v1
	global_store_b8 v8, v1, s[6:7]
	s_wait_xcnt 0x0
	s_or_b32 exec_lo, exec_lo, s3
	s_delay_alu instid0(SALU_CYCLE_1)
	s_mov_b32 s3, exec_lo
	v_cmpx_gt_i32_e64 s1, v0
	s_cbranch_execz .LBB89_46
.LBB89_63:
	s_wait_loadcnt 0x0
	v_cmp_eq_f64_e64 s0, s[4:5], v[22:23]
	s_delay_alu instid0(VALU_DEP_1) | instskip(SKIP_1) | instid1(VALU_DEP_1)
	v_cndmask_b32_e64 v1, 0, 1, s0
	v_cmp_neq_f64_e64 s0, s[4:5], v[22:23]
	v_cndmask_b32_e64 v8, 0, 1, s0
	s_delay_alu instid0(VALU_DEP_1) | instskip(SKIP_1) | instid1(VALU_DEP_2)
	v_dual_cndmask_b32 v1, v8, v1 :: v_dual_add_nc_u32 v8, s2, v0
	v_add_nc_u32_e32 v0, 0x100, v0
	v_and_b32_e32 v1, 1, v1
	global_store_b8 v8, v1, s[6:7]
	s_wait_xcnt 0x0
	s_or_b32 exec_lo, exec_lo, s3
	s_delay_alu instid0(SALU_CYCLE_1)
	s_mov_b32 s3, exec_lo
	v_cmpx_gt_i32_e64 s1, v0
	s_cbranch_execz .LBB89_47
.LBB89_64:
	s_wait_loadcnt 0x0
	v_cmp_eq_f64_e64 s0, s[4:5], v[6:7]
	s_delay_alu instid0(VALU_DEP_1) | instskip(SKIP_1) | instid1(VALU_DEP_1)
	v_cndmask_b32_e64 v1, 0, 1, s0
	v_cmp_neq_f64_e64 s0, s[4:5], v[6:7]
	v_cndmask_b32_e64 v6, 0, 1, s0
	s_delay_alu instid0(VALU_DEP_1) | instskip(SKIP_1) | instid1(VALU_DEP_2)
	v_dual_cndmask_b32 v1, v6, v1 :: v_dual_add_nc_u32 v6, s2, v0
	v_add_nc_u32_e32 v0, 0x100, v0
	v_and_b32_e32 v1, 1, v1
	global_store_b8 v6, v1, s[6:7]
	s_wait_xcnt 0x0
	s_or_b32 exec_lo, exec_lo, s3
	s_delay_alu instid0(SALU_CYCLE_1)
	s_mov_b32 s3, exec_lo
	v_cmpx_gt_i32_e64 s1, v0
	s_cbranch_execz .LBB89_48
.LBB89_65:
	s_wait_loadcnt 0x0
	v_cmp_eq_f64_e64 s0, s[4:5], v[20:21]
	s_delay_alu instid0(VALU_DEP_1) | instskip(SKIP_1) | instid1(VALU_DEP_1)
	v_cndmask_b32_e64 v1, 0, 1, s0
	v_cmp_neq_f64_e64 s0, s[4:5], v[20:21]
	v_cndmask_b32_e64 v6, 0, 1, s0
	s_delay_alu instid0(VALU_DEP_1) | instskip(SKIP_1) | instid1(VALU_DEP_2)
	v_dual_cndmask_b32 v1, v6, v1 :: v_dual_add_nc_u32 v6, s2, v0
	v_add_nc_u32_e32 v0, 0x100, v0
	v_and_b32_e32 v1, 1, v1
	global_store_b8 v6, v1, s[6:7]
	s_wait_xcnt 0x0
	s_or_b32 exec_lo, exec_lo, s3
	s_delay_alu instid0(SALU_CYCLE_1)
	s_mov_b32 s3, exec_lo
	v_cmpx_gt_i32_e64 s1, v0
	s_cbranch_execz .LBB89_49
.LBB89_66:
	s_wait_loadcnt 0x0
	v_cmp_eq_f64_e64 s0, s[4:5], v[4:5]
	s_delay_alu instid0(VALU_DEP_1) | instskip(SKIP_1) | instid1(VALU_DEP_1)
	v_cndmask_b32_e64 v1, 0, 1, s0
	v_cmp_neq_f64_e64 s0, s[4:5], v[4:5]
	v_cndmask_b32_e64 v4, 0, 1, s0
	s_delay_alu instid0(VALU_DEP_1) | instskip(SKIP_1) | instid1(VALU_DEP_2)
	v_dual_cndmask_b32 v1, v4, v1 :: v_dual_add_nc_u32 v4, s2, v0
	v_add_nc_u32_e32 v0, 0x100, v0
	v_and_b32_e32 v1, 1, v1
	global_store_b8 v4, v1, s[6:7]
	s_wait_xcnt 0x0
	s_or_b32 exec_lo, exec_lo, s3
	s_delay_alu instid0(SALU_CYCLE_1)
	s_mov_b32 s3, exec_lo
	v_cmpx_gt_i32_e64 s1, v0
	s_cbranch_execz .LBB89_50
.LBB89_67:
	s_wait_loadcnt 0x0
	v_cmp_eq_f64_e64 s0, s[4:5], v[14:15]
	s_delay_alu instid0(VALU_DEP_1) | instskip(SKIP_1) | instid1(VALU_DEP_1)
	v_cndmask_b32_e64 v1, 0, 1, s0
	v_cmp_neq_f64_e64 s0, s[4:5], v[14:15]
	v_cndmask_b32_e64 v4, 0, 1, s0
	s_delay_alu instid0(VALU_DEP_1) | instskip(SKIP_1) | instid1(VALU_DEP_2)
	v_dual_cndmask_b32 v1, v4, v1 :: v_dual_add_nc_u32 v4, s2, v0
	v_add_nc_u32_e32 v0, 0x100, v0
	v_and_b32_e32 v1, 1, v1
	global_store_b8 v4, v1, s[6:7]
	s_wait_xcnt 0x0
	s_or_b32 exec_lo, exec_lo, s3
	v_cmp_gt_i32_e64 s0, s1, v0
	s_and_saveexec_b32 s1, s0
	s_cbranch_execnz .LBB89_51
	s_branch .LBB89_52
	.section	.rodata,"a",@progbits
	.p2align	6, 0x0
	.amdhsa_kernel _ZN2at6native29vectorized_elementwise_kernelILi8ENS0_13AUnaryFunctorIddbNS0_12_GLOBAL__N_116CompareEqFunctorIdEEEESt5arrayIPcLm2EEEEviT0_T1_
		.amdhsa_group_segment_fixed_size 0
		.amdhsa_private_segment_fixed_size 0
		.amdhsa_kernarg_size 40
		.amdhsa_user_sgpr_count 2
		.amdhsa_user_sgpr_dispatch_ptr 0
		.amdhsa_user_sgpr_queue_ptr 0
		.amdhsa_user_sgpr_kernarg_segment_ptr 1
		.amdhsa_user_sgpr_dispatch_id 0
		.amdhsa_user_sgpr_kernarg_preload_length 0
		.amdhsa_user_sgpr_kernarg_preload_offset 0
		.amdhsa_user_sgpr_private_segment_size 0
		.amdhsa_wavefront_size32 1
		.amdhsa_uses_dynamic_stack 0
		.amdhsa_enable_private_segment 0
		.amdhsa_system_sgpr_workgroup_id_x 1
		.amdhsa_system_sgpr_workgroup_id_y 0
		.amdhsa_system_sgpr_workgroup_id_z 0
		.amdhsa_system_sgpr_workgroup_info 0
		.amdhsa_system_vgpr_workitem_id 0
		.amdhsa_next_free_vgpr 36
		.amdhsa_next_free_sgpr 14
		.amdhsa_named_barrier_count 0
		.amdhsa_reserve_vcc 1
		.amdhsa_float_round_mode_32 0
		.amdhsa_float_round_mode_16_64 0
		.amdhsa_float_denorm_mode_32 3
		.amdhsa_float_denorm_mode_16_64 3
		.amdhsa_fp16_overflow 0
		.amdhsa_memory_ordered 1
		.amdhsa_forward_progress 1
		.amdhsa_inst_pref_size 32
		.amdhsa_round_robin_scheduling 0
		.amdhsa_exception_fp_ieee_invalid_op 0
		.amdhsa_exception_fp_denorm_src 0
		.amdhsa_exception_fp_ieee_div_zero 0
		.amdhsa_exception_fp_ieee_overflow 0
		.amdhsa_exception_fp_ieee_underflow 0
		.amdhsa_exception_fp_ieee_inexact 0
		.amdhsa_exception_int_div_zero 0
	.end_amdhsa_kernel
	.section	.text._ZN2at6native29vectorized_elementwise_kernelILi8ENS0_13AUnaryFunctorIddbNS0_12_GLOBAL__N_116CompareEqFunctorIdEEEESt5arrayIPcLm2EEEEviT0_T1_,"axG",@progbits,_ZN2at6native29vectorized_elementwise_kernelILi8ENS0_13AUnaryFunctorIddbNS0_12_GLOBAL__N_116CompareEqFunctorIdEEEESt5arrayIPcLm2EEEEviT0_T1_,comdat
.Lfunc_end89:
	.size	_ZN2at6native29vectorized_elementwise_kernelILi8ENS0_13AUnaryFunctorIddbNS0_12_GLOBAL__N_116CompareEqFunctorIdEEEESt5arrayIPcLm2EEEEviT0_T1_, .Lfunc_end89-_ZN2at6native29vectorized_elementwise_kernelILi8ENS0_13AUnaryFunctorIddbNS0_12_GLOBAL__N_116CompareEqFunctorIdEEEESt5arrayIPcLm2EEEEviT0_T1_
                                        ; -- End function
	.set _ZN2at6native29vectorized_elementwise_kernelILi8ENS0_13AUnaryFunctorIddbNS0_12_GLOBAL__N_116CompareEqFunctorIdEEEESt5arrayIPcLm2EEEEviT0_T1_.num_vgpr, 36
	.set _ZN2at6native29vectorized_elementwise_kernelILi8ENS0_13AUnaryFunctorIddbNS0_12_GLOBAL__N_116CompareEqFunctorIdEEEESt5arrayIPcLm2EEEEviT0_T1_.num_agpr, 0
	.set _ZN2at6native29vectorized_elementwise_kernelILi8ENS0_13AUnaryFunctorIddbNS0_12_GLOBAL__N_116CompareEqFunctorIdEEEESt5arrayIPcLm2EEEEviT0_T1_.numbered_sgpr, 14
	.set _ZN2at6native29vectorized_elementwise_kernelILi8ENS0_13AUnaryFunctorIddbNS0_12_GLOBAL__N_116CompareEqFunctorIdEEEESt5arrayIPcLm2EEEEviT0_T1_.num_named_barrier, 0
	.set _ZN2at6native29vectorized_elementwise_kernelILi8ENS0_13AUnaryFunctorIddbNS0_12_GLOBAL__N_116CompareEqFunctorIdEEEESt5arrayIPcLm2EEEEviT0_T1_.private_seg_size, 0
	.set _ZN2at6native29vectorized_elementwise_kernelILi8ENS0_13AUnaryFunctorIddbNS0_12_GLOBAL__N_116CompareEqFunctorIdEEEESt5arrayIPcLm2EEEEviT0_T1_.uses_vcc, 1
	.set _ZN2at6native29vectorized_elementwise_kernelILi8ENS0_13AUnaryFunctorIddbNS0_12_GLOBAL__N_116CompareEqFunctorIdEEEESt5arrayIPcLm2EEEEviT0_T1_.uses_flat_scratch, 0
	.set _ZN2at6native29vectorized_elementwise_kernelILi8ENS0_13AUnaryFunctorIddbNS0_12_GLOBAL__N_116CompareEqFunctorIdEEEESt5arrayIPcLm2EEEEviT0_T1_.has_dyn_sized_stack, 0
	.set _ZN2at6native29vectorized_elementwise_kernelILi8ENS0_13AUnaryFunctorIddbNS0_12_GLOBAL__N_116CompareEqFunctorIdEEEESt5arrayIPcLm2EEEEviT0_T1_.has_recursion, 0
	.set _ZN2at6native29vectorized_elementwise_kernelILi8ENS0_13AUnaryFunctorIddbNS0_12_GLOBAL__N_116CompareEqFunctorIdEEEESt5arrayIPcLm2EEEEviT0_T1_.has_indirect_call, 0
	.section	.AMDGPU.csdata,"",@progbits
; Kernel info:
; codeLenInByte = 4048
; TotalNumSgprs: 16
; NumVgprs: 36
; ScratchSize: 0
; MemoryBound: 0
; FloatMode: 240
; IeeeMode: 1
; LDSByteSize: 0 bytes/workgroup (compile time only)
; SGPRBlocks: 0
; VGPRBlocks: 2
; NumSGPRsForWavesPerEU: 16
; NumVGPRsForWavesPerEU: 36
; NamedBarCnt: 0
; Occupancy: 16
; WaveLimiterHint : 1
; COMPUTE_PGM_RSRC2:SCRATCH_EN: 0
; COMPUTE_PGM_RSRC2:USER_SGPR: 2
; COMPUTE_PGM_RSRC2:TRAP_HANDLER: 0
; COMPUTE_PGM_RSRC2:TGID_X_EN: 1
; COMPUTE_PGM_RSRC2:TGID_Y_EN: 0
; COMPUTE_PGM_RSRC2:TGID_Z_EN: 0
; COMPUTE_PGM_RSRC2:TIDIG_COMP_CNT: 0
	.section	.text._ZN2at6native29vectorized_elementwise_kernelILi4ENS0_13AUnaryFunctorIddbNS0_12_GLOBAL__N_116CompareEqFunctorIdEEEESt5arrayIPcLm2EEEEviT0_T1_,"axG",@progbits,_ZN2at6native29vectorized_elementwise_kernelILi4ENS0_13AUnaryFunctorIddbNS0_12_GLOBAL__N_116CompareEqFunctorIdEEEESt5arrayIPcLm2EEEEviT0_T1_,comdat
	.globl	_ZN2at6native29vectorized_elementwise_kernelILi4ENS0_13AUnaryFunctorIddbNS0_12_GLOBAL__N_116CompareEqFunctorIdEEEESt5arrayIPcLm2EEEEviT0_T1_ ; -- Begin function _ZN2at6native29vectorized_elementwise_kernelILi4ENS0_13AUnaryFunctorIddbNS0_12_GLOBAL__N_116CompareEqFunctorIdEEEESt5arrayIPcLm2EEEEviT0_T1_
	.p2align	8
	.type	_ZN2at6native29vectorized_elementwise_kernelILi4ENS0_13AUnaryFunctorIddbNS0_12_GLOBAL__N_116CompareEqFunctorIdEEEESt5arrayIPcLm2EEEEviT0_T1_,@function
_ZN2at6native29vectorized_elementwise_kernelILi4ENS0_13AUnaryFunctorIddbNS0_12_GLOBAL__N_116CompareEqFunctorIdEEEESt5arrayIPcLm2EEEEviT0_T1_: ; @_ZN2at6native29vectorized_elementwise_kernelILi4ENS0_13AUnaryFunctorIddbNS0_12_GLOBAL__N_116CompareEqFunctorIdEEEESt5arrayIPcLm2EEEEviT0_T1_
; %bb.0:
	s_clause 0x3
	s_load_b32 s3, s[0:1], 0x0
	s_load_b32 s10, s[0:1], 0x8
	s_load_b128 s[4:7], s[0:1], 0x10
	s_load_b64 s[8:9], s[0:1], 0x20
	s_wait_xcnt 0x0
	s_bfe_u32 s0, ttmp6, 0x4000c
	s_and_b32 s1, ttmp6, 15
	s_add_co_i32 s0, s0, 1
	s_getreg_b32 s2, hwreg(HW_REG_IB_STS2, 6, 4)
	s_mul_i32 s0, ttmp9, s0
	s_delay_alu instid0(SALU_CYCLE_1) | instskip(SKIP_2) | instid1(SALU_CYCLE_1)
	s_add_co_i32 s1, s1, s0
	s_cmp_eq_u32 s2, 0
	s_cselect_b32 s0, ttmp9, s1
	s_lshl_b32 s2, s0, 12
	s_mov_b32 s0, -1
	s_wait_kmcnt 0x0
	s_sub_co_i32 s1, s3, s2
	s_delay_alu instid0(SALU_CYCLE_1)
	s_cmp_gt_i32 s1, 0xfff
	s_cbranch_scc0 .LBB90_2
; %bb.1:
	s_ashr_i32 s3, s2, 31
	v_lshlrev_b32_e32 v1, 5, v0
	s_lshl_b64 s[12:13], s[2:3], 3
	s_cmp_eq_u32 s10, 0
	s_add_nc_u64 s[12:13], s[8:9], s[12:13]
	s_mov_b32 s0, 0
	s_clause 0x7
	global_load_b128 v[2:5], v1, s[12:13]
	global_load_b128 v[6:9], v1, s[12:13] offset:16
	global_load_b128 v[10:13], v1, s[12:13] offset:8192
	;; [unrolled: 1-line block ×7, first 2 shown]
	s_wait_xcnt 0x0
	s_add_nc_u64 s[12:13], s[6:7], s[2:3]
	s_wait_loadcnt 0x7
	v_cmp_eq_f64_e32 vcc_lo, s[4:5], v[2:3]
	v_cndmask_b32_e64 v1, 0, 1, vcc_lo
	v_cmp_neq_f64_e32 vcc_lo, s[4:5], v[2:3]
	v_cndmask_b32_e64 v2, 0, 1, vcc_lo
	v_cmp_eq_f64_e32 vcc_lo, s[4:5], v[4:5]
	v_cndmask_b32_e64 v3, 0, 1, vcc_lo
	v_cmp_neq_f64_e32 vcc_lo, s[4:5], v[4:5]
	v_cndmask_b32_e64 v4, 0, 1, vcc_lo
	s_wait_loadcnt 0x6
	v_cmp_eq_f64_e32 vcc_lo, s[4:5], v[6:7]
	v_cndmask_b32_e64 v5, 0, 1, vcc_lo
	v_cmp_neq_f64_e32 vcc_lo, s[4:5], v[6:7]
	v_cndmask_b32_e64 v6, 0, 1, vcc_lo
	v_cmp_eq_f64_e32 vcc_lo, s[4:5], v[8:9]
	v_cndmask_b32_e64 v7, 0, 1, vcc_lo
	v_cmp_neq_f64_e32 vcc_lo, s[4:5], v[8:9]
	v_cndmask_b32_e64 v8, 0, 1, vcc_lo
	;; [unrolled: 9-line block ×8, first 2 shown]
	s_cselect_b32 vcc_lo, -1, 0
	v_dual_cndmask_b32 v1, v2, v1 :: v_dual_cndmask_b32 v2, v4, v3
	v_dual_cndmask_b32 v3, v6, v5 :: v_dual_cndmask_b32 v6, v12, v11
	;; [unrolled: 1-line block ×4, first 2 shown]
	s_delay_alu instid0(VALU_DEP_4)
	v_dual_cndmask_b32 v7, v14, v13, vcc_lo :: v_dual_bitop2_b32 v2, 1, v2 bitop3:0x40
	v_dual_cndmask_b32 v10, v20, v19 :: v_dual_cndmask_b32 v9, v18, v17
	v_dual_cndmask_b32 v12, v24, v23 :: v_dual_cndmask_b32 v11, v22, v21
	;; [unrolled: 1-line block ×3, first 2 shown]
	v_cndmask_b32_e32 v16, v32, v31, vcc_lo
	v_and_b32_e32 v3, 1, v3
	v_cmp_eq_u32_e32 vcc_lo, 1, v2
	v_and_b32_e32 v4, 1, v4
	v_and_b32_e32 v6, 1, v6
	;; [unrolled: 1-line block ×4, first 2 shown]
	v_cndmask_b32_e64 v2, 0, 0x100, vcc_lo
	v_cmp_eq_u32_e32 vcc_lo, 1, v3
	v_and_b32_e32 v10, 1, v10
	v_and_b32_e32 v11, 1, v11
	;; [unrolled: 1-line block ×4, first 2 shown]
	v_cndmask_b32_e64 v3, 0, 0x10000, vcc_lo
	v_cmp_eq_u32_e32 vcc_lo, 1, v4
	v_and_b32_e32 v15, 1, v15
	v_and_b32_e32 v16, 1, v16
	v_and_or_b32 v1, v1, 1, v2
	v_cndmask_b32_e64 v4, 0, 0x1000000, vcc_lo
	v_cmp_eq_u32_e32 vcc_lo, 1, v6
	s_delay_alu instid0(VALU_DEP_2) | instskip(SKIP_2) | instid1(VALU_DEP_2)
	v_or3_b32 v1, v1, v3, v4
	v_cndmask_b32_e64 v6, 0, 0x100, vcc_lo
	v_cmp_eq_u32_e32 vcc_lo, 1, v7
	v_and_or_b32 v2, v5, 1, v6
	v_cndmask_b32_e64 v7, 0, 0x10000, vcc_lo
	v_cmp_eq_u32_e32 vcc_lo, 1, v8
	v_cndmask_b32_e64 v8, 0, 0x1000000, vcc_lo
	v_cmp_eq_u32_e32 vcc_lo, 1, v10
	s_delay_alu instid0(VALU_DEP_2) | instskip(SKIP_2) | instid1(VALU_DEP_2)
	v_or3_b32 v2, v2, v7, v8
	v_cndmask_b32_e64 v10, 0, 0x100, vcc_lo
	v_cmp_eq_u32_e32 vcc_lo, 1, v11
	v_and_or_b32 v5, v9, 1, v10
	v_cndmask_b32_e64 v11, 0, 0x10000, vcc_lo
	v_cmp_eq_u32_e32 vcc_lo, 1, v12
	;; [unrolled: 9-line block ×3, first 2 shown]
	v_cndmask_b32_e64 v16, 0, 0x1000000, vcc_lo
	s_delay_alu instid0(VALU_DEP_1)
	v_or3_b32 v4, v6, v15, v16
	s_clause 0x3
	global_store_b32 v0, v1, s[12:13] scale_offset
	global_store_b32 v0, v2, s[12:13] offset:1024 scale_offset
	global_store_b32 v0, v3, s[12:13] offset:2048 scale_offset
	;; [unrolled: 1-line block ×3, first 2 shown]
.LBB90_2:
	s_and_not1_b32 vcc_lo, exec_lo, s0
	s_cbranch_vccnz .LBB90_52
; %bb.3:
	v_mov_b64_e32 v[18:19], 0
	v_mov_b64_e32 v[32:33], 0
	v_cmp_gt_i32_e64 s0, s1, v0
	s_wait_xcnt 0x3
	v_dual_mov_b32 v35, v0 :: v_dual_bitop2_b32 v1, s2, v0 bitop3:0x54
	v_or_b32_e32 v34, 0x100, v0
	s_wait_xcnt 0x0
	s_and_saveexec_b32 s3, s0
	s_cbranch_execz .LBB90_5
; %bb.4:
	global_load_b64 v[32:33], v1, s[8:9] scale_offset
	v_or_b32_e32 v35, 0x100, v0
.LBB90_5:
	s_wait_xcnt 0x0
	s_or_b32 exec_lo, exec_lo, s3
	s_delay_alu instid0(SALU_CYCLE_1) | instskip(NEXT) | instid1(VALU_DEP_1)
	s_mov_b32 s3, exec_lo
	v_cmpx_gt_i32_e64 s1, v35
	s_cbranch_execz .LBB90_7
; %bb.6:
	v_add_nc_u32_e32 v2, s2, v35
	v_add_nc_u32_e32 v35, 0x100, v35
	global_load_b64 v[18:19], v2, s[8:9] scale_offset
.LBB90_7:
	s_wait_xcnt 0x0
	s_or_b32 exec_lo, exec_lo, s3
	v_mov_b64_e32 v[16:17], 0
	v_mov_b64_e32 v[30:31], 0
	s_mov_b32 s3, exec_lo
	v_cmpx_gt_i32_e64 s1, v35
	s_cbranch_execz .LBB90_9
; %bb.8:
	v_add_nc_u32_e32 v2, s2, v35
	v_add_nc_u32_e32 v35, 0x100, v35
	global_load_b64 v[30:31], v2, s[8:9] scale_offset
.LBB90_9:
	s_wait_xcnt 0x0
	s_or_b32 exec_lo, exec_lo, s3
	s_delay_alu instid0(SALU_CYCLE_1)
	s_mov_b32 s3, exec_lo
	v_cmpx_gt_i32_e64 s1, v35
	s_cbranch_execz .LBB90_11
; %bb.10:
	v_add_nc_u32_e32 v2, s2, v35
	v_add_nc_u32_e32 v35, 0x100, v35
	global_load_b64 v[16:17], v2, s[8:9] scale_offset
.LBB90_11:
	s_wait_xcnt 0x0
	s_or_b32 exec_lo, exec_lo, s3
	v_mov_b64_e32 v[12:13], 0
	v_mov_b64_e32 v[28:29], 0
	s_mov_b32 s3, exec_lo
	v_cmpx_gt_i32_e64 s1, v35
	s_cbranch_execz .LBB90_13
; %bb.12:
	v_add_nc_u32_e32 v2, s2, v35
	v_add_nc_u32_e32 v35, 0x100, v35
	global_load_b64 v[28:29], v2, s[8:9] scale_offset
.LBB90_13:
	s_wait_xcnt 0x0
	s_or_b32 exec_lo, exec_lo, s3
	s_delay_alu instid0(SALU_CYCLE_1)
	;; [unrolled: 23-line block ×7, first 2 shown]
	s_mov_b32 s3, exec_lo
	v_cmpx_gt_i32_e64 s1, v35
	s_cbranch_execz .LBB90_35
; %bb.34:
	v_add_nc_u32_e32 v2, s2, v35
	global_load_b64 v[2:3], v2, s[8:9] scale_offset
.LBB90_35:
	s_wait_xcnt 0x0
	s_or_b32 exec_lo, exec_lo, s3
	s_cmp_eq_u32 s10, 0
	s_cselect_b32 vcc_lo, -1, 0
	s_and_saveexec_b32 s3, s0
	s_cbranch_execnz .LBB90_53
; %bb.36:
	s_or_b32 exec_lo, exec_lo, s3
	s_delay_alu instid0(SALU_CYCLE_1)
	s_mov_b32 s3, exec_lo
	v_cmpx_gt_i32_e64 s1, v0
	s_cbranch_execnz .LBB90_54
.LBB90_37:
	s_or_b32 exec_lo, exec_lo, s3
	s_delay_alu instid0(SALU_CYCLE_1)
	s_mov_b32 s3, exec_lo
	v_cmpx_gt_i32_e64 s1, v0
	s_cbranch_execnz .LBB90_55
.LBB90_38:
	s_or_b32 exec_lo, exec_lo, s3
	s_delay_alu instid0(SALU_CYCLE_1)
	s_mov_b32 s3, exec_lo
	v_cmpx_gt_i32_e64 s1, v0
	s_cbranch_execnz .LBB90_56
.LBB90_39:
	s_or_b32 exec_lo, exec_lo, s3
	s_delay_alu instid0(SALU_CYCLE_1)
	s_mov_b32 s3, exec_lo
	v_cmpx_gt_i32_e64 s1, v0
	s_cbranch_execnz .LBB90_57
.LBB90_40:
	s_or_b32 exec_lo, exec_lo, s3
	s_delay_alu instid0(SALU_CYCLE_1)
	s_mov_b32 s3, exec_lo
	v_cmpx_gt_i32_e64 s1, v0
	s_cbranch_execnz .LBB90_58
.LBB90_41:
	s_or_b32 exec_lo, exec_lo, s3
	s_delay_alu instid0(SALU_CYCLE_1)
	s_mov_b32 s3, exec_lo
	v_cmpx_gt_i32_e64 s1, v0
	s_cbranch_execnz .LBB90_59
.LBB90_42:
	s_or_b32 exec_lo, exec_lo, s3
	s_delay_alu instid0(SALU_CYCLE_1)
	s_mov_b32 s3, exec_lo
	v_cmpx_gt_i32_e64 s1, v0
	s_cbranch_execnz .LBB90_60
.LBB90_43:
	s_or_b32 exec_lo, exec_lo, s3
	s_delay_alu instid0(SALU_CYCLE_1)
	s_mov_b32 s3, exec_lo
	v_cmpx_gt_i32_e64 s1, v0
	s_cbranch_execnz .LBB90_61
.LBB90_44:
	s_or_b32 exec_lo, exec_lo, s3
	s_delay_alu instid0(SALU_CYCLE_1)
	s_mov_b32 s3, exec_lo
	v_cmpx_gt_i32_e64 s1, v0
	s_cbranch_execnz .LBB90_62
.LBB90_45:
	s_or_b32 exec_lo, exec_lo, s3
	s_delay_alu instid0(SALU_CYCLE_1)
	s_mov_b32 s3, exec_lo
	v_cmpx_gt_i32_e64 s1, v0
	s_cbranch_execnz .LBB90_63
.LBB90_46:
	s_or_b32 exec_lo, exec_lo, s3
	s_delay_alu instid0(SALU_CYCLE_1)
	s_mov_b32 s3, exec_lo
	v_cmpx_gt_i32_e64 s1, v0
	s_cbranch_execnz .LBB90_64
.LBB90_47:
	s_or_b32 exec_lo, exec_lo, s3
	s_delay_alu instid0(SALU_CYCLE_1)
	s_mov_b32 s3, exec_lo
	v_cmpx_gt_i32_e64 s1, v0
	s_cbranch_execnz .LBB90_65
.LBB90_48:
	s_or_b32 exec_lo, exec_lo, s3
	s_delay_alu instid0(SALU_CYCLE_1)
	s_mov_b32 s3, exec_lo
	v_cmpx_gt_i32_e64 s1, v0
	s_cbranch_execnz .LBB90_66
.LBB90_49:
	s_or_b32 exec_lo, exec_lo, s3
	s_delay_alu instid0(SALU_CYCLE_1)
	s_mov_b32 s3, exec_lo
	v_cmpx_gt_i32_e64 s1, v0
	s_cbranch_execnz .LBB90_67
.LBB90_50:
	s_or_b32 exec_lo, exec_lo, s3
	v_cmp_gt_i32_e64 s0, s1, v0
	s_and_saveexec_b32 s1, s0
	s_cbranch_execz .LBB90_52
.LBB90_51:
	s_wait_loadcnt 0x0
	v_cmp_eq_f64_e64 s0, s[4:5], v[2:3]
	v_add_nc_u32_e32 v0, s2, v0
	s_delay_alu instid0(VALU_DEP_2) | instskip(SKIP_1) | instid1(VALU_DEP_1)
	v_cndmask_b32_e64 v1, 0, 1, s0
	v_cmp_neq_f64_e64 s0, s[4:5], v[2:3]
	v_cndmask_b32_e64 v2, 0, 1, s0
	s_delay_alu instid0(VALU_DEP_1) | instskip(NEXT) | instid1(VALU_DEP_1)
	v_cndmask_b32_e32 v1, v2, v1, vcc_lo
	v_and_b32_e32 v1, 1, v1
	global_store_b8 v0, v1, s[6:7]
.LBB90_52:
	s_endpgm
.LBB90_53:
	s_wait_loadcnt 0x0
	v_cmp_eq_f64_e64 s0, s[4:5], v[32:33]
	s_delay_alu instid0(VALU_DEP_1) | instskip(SKIP_1) | instid1(VALU_DEP_1)
	v_cndmask_b32_e64 v0, 0, 1, s0
	v_cmp_neq_f64_e64 s0, s[4:5], v[32:33]
	v_cndmask_b32_e64 v32, 0, 1, s0
	s_delay_alu instid0(VALU_DEP_1) | instskip(NEXT) | instid1(VALU_DEP_1)
	v_cndmask_b32_e32 v0, v32, v0, vcc_lo
	v_dual_mov_b32 v0, v34 :: v_dual_bitop2_b32 v32, 1, v0 bitop3:0x40
	global_store_b8 v1, v32, s[6:7]
	s_wait_xcnt 0x0
	s_or_b32 exec_lo, exec_lo, s3
	s_delay_alu instid0(SALU_CYCLE_1)
	s_mov_b32 s3, exec_lo
	v_cmpx_gt_i32_e64 s1, v0
	s_cbranch_execz .LBB90_37
.LBB90_54:
	s_wait_loadcnt 0x0
	v_cmp_eq_f64_e64 s0, s[4:5], v[18:19]
	s_delay_alu instid0(VALU_DEP_1) | instskip(SKIP_1) | instid1(VALU_DEP_1)
	v_cndmask_b32_e64 v1, 0, 1, s0
	v_cmp_neq_f64_e64 s0, s[4:5], v[18:19]
	v_cndmask_b32_e64 v18, 0, 1, s0
	s_delay_alu instid0(VALU_DEP_1) | instskip(SKIP_1) | instid1(VALU_DEP_2)
	v_dual_cndmask_b32 v1, v18, v1 :: v_dual_add_nc_u32 v18, s2, v0
	v_add_nc_u32_e32 v0, 0x100, v0
	v_and_b32_e32 v1, 1, v1
	global_store_b8 v18, v1, s[6:7]
	s_wait_xcnt 0x0
	s_or_b32 exec_lo, exec_lo, s3
	s_delay_alu instid0(SALU_CYCLE_1)
	s_mov_b32 s3, exec_lo
	v_cmpx_gt_i32_e64 s1, v0
	s_cbranch_execz .LBB90_38
.LBB90_55:
	s_wait_loadcnt 0x0
	v_cmp_eq_f64_e64 s0, s[4:5], v[30:31]
	s_delay_alu instid0(VALU_DEP_1) | instskip(SKIP_1) | instid1(VALU_DEP_1)
	v_cndmask_b32_e64 v1, 0, 1, s0
	v_cmp_neq_f64_e64 s0, s[4:5], v[30:31]
	v_cndmask_b32_e64 v18, 0, 1, s0
	s_delay_alu instid0(VALU_DEP_1) | instskip(SKIP_1) | instid1(VALU_DEP_2)
	v_dual_cndmask_b32 v1, v18, v1 :: v_dual_add_nc_u32 v18, s2, v0
	v_add_nc_u32_e32 v0, 0x100, v0
	v_and_b32_e32 v1, 1, v1
	global_store_b8 v18, v1, s[6:7]
	s_wait_xcnt 0x0
	s_or_b32 exec_lo, exec_lo, s3
	s_delay_alu instid0(SALU_CYCLE_1)
	s_mov_b32 s3, exec_lo
	v_cmpx_gt_i32_e64 s1, v0
	s_cbranch_execz .LBB90_39
.LBB90_56:
	s_wait_loadcnt 0x0
	v_cmp_eq_f64_e64 s0, s[4:5], v[16:17]
	s_delay_alu instid0(VALU_DEP_1) | instskip(SKIP_1) | instid1(VALU_DEP_1)
	v_cndmask_b32_e64 v1, 0, 1, s0
	v_cmp_neq_f64_e64 s0, s[4:5], v[16:17]
	v_cndmask_b32_e64 v16, 0, 1, s0
	s_delay_alu instid0(VALU_DEP_1) | instskip(SKIP_1) | instid1(VALU_DEP_2)
	v_dual_cndmask_b32 v1, v16, v1 :: v_dual_add_nc_u32 v16, s2, v0
	v_add_nc_u32_e32 v0, 0x100, v0
	v_and_b32_e32 v1, 1, v1
	global_store_b8 v16, v1, s[6:7]
	s_wait_xcnt 0x0
	s_or_b32 exec_lo, exec_lo, s3
	s_delay_alu instid0(SALU_CYCLE_1)
	s_mov_b32 s3, exec_lo
	v_cmpx_gt_i32_e64 s1, v0
	s_cbranch_execz .LBB90_40
.LBB90_57:
	s_wait_loadcnt 0x0
	v_cmp_eq_f64_e64 s0, s[4:5], v[28:29]
	s_delay_alu instid0(VALU_DEP_1) | instskip(SKIP_1) | instid1(VALU_DEP_1)
	v_cndmask_b32_e64 v1, 0, 1, s0
	v_cmp_neq_f64_e64 s0, s[4:5], v[28:29]
	v_cndmask_b32_e64 v16, 0, 1, s0
	s_delay_alu instid0(VALU_DEP_1) | instskip(SKIP_1) | instid1(VALU_DEP_2)
	v_dual_cndmask_b32 v1, v16, v1 :: v_dual_add_nc_u32 v16, s2, v0
	v_add_nc_u32_e32 v0, 0x100, v0
	v_and_b32_e32 v1, 1, v1
	global_store_b8 v16, v1, s[6:7]
	s_wait_xcnt 0x0
	s_or_b32 exec_lo, exec_lo, s3
	s_delay_alu instid0(SALU_CYCLE_1)
	s_mov_b32 s3, exec_lo
	v_cmpx_gt_i32_e64 s1, v0
	s_cbranch_execz .LBB90_41
.LBB90_58:
	s_wait_loadcnt 0x0
	v_cmp_eq_f64_e64 s0, s[4:5], v[12:13]
	s_delay_alu instid0(VALU_DEP_1) | instskip(SKIP_1) | instid1(VALU_DEP_1)
	v_cndmask_b32_e64 v1, 0, 1, s0
	v_cmp_neq_f64_e64 s0, s[4:5], v[12:13]
	v_cndmask_b32_e64 v12, 0, 1, s0
	s_delay_alu instid0(VALU_DEP_1) | instskip(SKIP_1) | instid1(VALU_DEP_2)
	v_dual_cndmask_b32 v1, v12, v1 :: v_dual_add_nc_u32 v12, s2, v0
	v_add_nc_u32_e32 v0, 0x100, v0
	v_and_b32_e32 v1, 1, v1
	global_store_b8 v12, v1, s[6:7]
	s_wait_xcnt 0x0
	s_or_b32 exec_lo, exec_lo, s3
	s_delay_alu instid0(SALU_CYCLE_1)
	s_mov_b32 s3, exec_lo
	v_cmpx_gt_i32_e64 s1, v0
	s_cbranch_execz .LBB90_42
.LBB90_59:
	s_wait_loadcnt 0x0
	v_cmp_eq_f64_e64 s0, s[4:5], v[26:27]
	s_delay_alu instid0(VALU_DEP_1) | instskip(SKIP_1) | instid1(VALU_DEP_1)
	v_cndmask_b32_e64 v1, 0, 1, s0
	v_cmp_neq_f64_e64 s0, s[4:5], v[26:27]
	v_cndmask_b32_e64 v12, 0, 1, s0
	s_delay_alu instid0(VALU_DEP_1) | instskip(SKIP_1) | instid1(VALU_DEP_2)
	v_dual_cndmask_b32 v1, v12, v1 :: v_dual_add_nc_u32 v12, s2, v0
	v_add_nc_u32_e32 v0, 0x100, v0
	v_and_b32_e32 v1, 1, v1
	global_store_b8 v12, v1, s[6:7]
	s_wait_xcnt 0x0
	s_or_b32 exec_lo, exec_lo, s3
	s_delay_alu instid0(SALU_CYCLE_1)
	s_mov_b32 s3, exec_lo
	v_cmpx_gt_i32_e64 s1, v0
	s_cbranch_execz .LBB90_43
.LBB90_60:
	s_wait_loadcnt 0x0
	v_cmp_eq_f64_e64 s0, s[4:5], v[10:11]
	s_delay_alu instid0(VALU_DEP_1) | instskip(SKIP_1) | instid1(VALU_DEP_1)
	v_cndmask_b32_e64 v1, 0, 1, s0
	v_cmp_neq_f64_e64 s0, s[4:5], v[10:11]
	v_cndmask_b32_e64 v10, 0, 1, s0
	s_delay_alu instid0(VALU_DEP_1) | instskip(SKIP_1) | instid1(VALU_DEP_2)
	v_dual_cndmask_b32 v1, v10, v1 :: v_dual_add_nc_u32 v10, s2, v0
	v_add_nc_u32_e32 v0, 0x100, v0
	v_and_b32_e32 v1, 1, v1
	global_store_b8 v10, v1, s[6:7]
	s_wait_xcnt 0x0
	s_or_b32 exec_lo, exec_lo, s3
	s_delay_alu instid0(SALU_CYCLE_1)
	s_mov_b32 s3, exec_lo
	v_cmpx_gt_i32_e64 s1, v0
	s_cbranch_execz .LBB90_44
.LBB90_61:
	s_wait_loadcnt 0x0
	v_cmp_eq_f64_e64 s0, s[4:5], v[24:25]
	s_delay_alu instid0(VALU_DEP_1) | instskip(SKIP_1) | instid1(VALU_DEP_1)
	v_cndmask_b32_e64 v1, 0, 1, s0
	v_cmp_neq_f64_e64 s0, s[4:5], v[24:25]
	v_cndmask_b32_e64 v10, 0, 1, s0
	s_delay_alu instid0(VALU_DEP_1) | instskip(SKIP_1) | instid1(VALU_DEP_2)
	v_dual_cndmask_b32 v1, v10, v1 :: v_dual_add_nc_u32 v10, s2, v0
	v_add_nc_u32_e32 v0, 0x100, v0
	v_and_b32_e32 v1, 1, v1
	global_store_b8 v10, v1, s[6:7]
	s_wait_xcnt 0x0
	s_or_b32 exec_lo, exec_lo, s3
	s_delay_alu instid0(SALU_CYCLE_1)
	s_mov_b32 s3, exec_lo
	v_cmpx_gt_i32_e64 s1, v0
	s_cbranch_execz .LBB90_45
.LBB90_62:
	s_wait_loadcnt 0x0
	v_cmp_eq_f64_e64 s0, s[4:5], v[8:9]
	s_delay_alu instid0(VALU_DEP_1) | instskip(SKIP_1) | instid1(VALU_DEP_1)
	v_cndmask_b32_e64 v1, 0, 1, s0
	v_cmp_neq_f64_e64 s0, s[4:5], v[8:9]
	v_cndmask_b32_e64 v8, 0, 1, s0
	s_delay_alu instid0(VALU_DEP_1) | instskip(SKIP_1) | instid1(VALU_DEP_2)
	v_dual_cndmask_b32 v1, v8, v1 :: v_dual_add_nc_u32 v8, s2, v0
	v_add_nc_u32_e32 v0, 0x100, v0
	v_and_b32_e32 v1, 1, v1
	global_store_b8 v8, v1, s[6:7]
	s_wait_xcnt 0x0
	s_or_b32 exec_lo, exec_lo, s3
	s_delay_alu instid0(SALU_CYCLE_1)
	s_mov_b32 s3, exec_lo
	v_cmpx_gt_i32_e64 s1, v0
	s_cbranch_execz .LBB90_46
.LBB90_63:
	s_wait_loadcnt 0x0
	v_cmp_eq_f64_e64 s0, s[4:5], v[22:23]
	s_delay_alu instid0(VALU_DEP_1) | instskip(SKIP_1) | instid1(VALU_DEP_1)
	v_cndmask_b32_e64 v1, 0, 1, s0
	v_cmp_neq_f64_e64 s0, s[4:5], v[22:23]
	v_cndmask_b32_e64 v8, 0, 1, s0
	s_delay_alu instid0(VALU_DEP_1) | instskip(SKIP_1) | instid1(VALU_DEP_2)
	v_dual_cndmask_b32 v1, v8, v1 :: v_dual_add_nc_u32 v8, s2, v0
	v_add_nc_u32_e32 v0, 0x100, v0
	v_and_b32_e32 v1, 1, v1
	global_store_b8 v8, v1, s[6:7]
	s_wait_xcnt 0x0
	s_or_b32 exec_lo, exec_lo, s3
	s_delay_alu instid0(SALU_CYCLE_1)
	s_mov_b32 s3, exec_lo
	v_cmpx_gt_i32_e64 s1, v0
	s_cbranch_execz .LBB90_47
.LBB90_64:
	s_wait_loadcnt 0x0
	v_cmp_eq_f64_e64 s0, s[4:5], v[6:7]
	s_delay_alu instid0(VALU_DEP_1) | instskip(SKIP_1) | instid1(VALU_DEP_1)
	v_cndmask_b32_e64 v1, 0, 1, s0
	v_cmp_neq_f64_e64 s0, s[4:5], v[6:7]
	v_cndmask_b32_e64 v6, 0, 1, s0
	s_delay_alu instid0(VALU_DEP_1) | instskip(SKIP_1) | instid1(VALU_DEP_2)
	v_dual_cndmask_b32 v1, v6, v1 :: v_dual_add_nc_u32 v6, s2, v0
	v_add_nc_u32_e32 v0, 0x100, v0
	v_and_b32_e32 v1, 1, v1
	global_store_b8 v6, v1, s[6:7]
	s_wait_xcnt 0x0
	s_or_b32 exec_lo, exec_lo, s3
	s_delay_alu instid0(SALU_CYCLE_1)
	s_mov_b32 s3, exec_lo
	v_cmpx_gt_i32_e64 s1, v0
	s_cbranch_execz .LBB90_48
.LBB90_65:
	s_wait_loadcnt 0x0
	v_cmp_eq_f64_e64 s0, s[4:5], v[20:21]
	s_delay_alu instid0(VALU_DEP_1) | instskip(SKIP_1) | instid1(VALU_DEP_1)
	v_cndmask_b32_e64 v1, 0, 1, s0
	v_cmp_neq_f64_e64 s0, s[4:5], v[20:21]
	v_cndmask_b32_e64 v6, 0, 1, s0
	s_delay_alu instid0(VALU_DEP_1) | instskip(SKIP_1) | instid1(VALU_DEP_2)
	v_dual_cndmask_b32 v1, v6, v1 :: v_dual_add_nc_u32 v6, s2, v0
	v_add_nc_u32_e32 v0, 0x100, v0
	v_and_b32_e32 v1, 1, v1
	global_store_b8 v6, v1, s[6:7]
	s_wait_xcnt 0x0
	s_or_b32 exec_lo, exec_lo, s3
	s_delay_alu instid0(SALU_CYCLE_1)
	s_mov_b32 s3, exec_lo
	v_cmpx_gt_i32_e64 s1, v0
	s_cbranch_execz .LBB90_49
.LBB90_66:
	s_wait_loadcnt 0x0
	v_cmp_eq_f64_e64 s0, s[4:5], v[4:5]
	s_delay_alu instid0(VALU_DEP_1) | instskip(SKIP_1) | instid1(VALU_DEP_1)
	v_cndmask_b32_e64 v1, 0, 1, s0
	v_cmp_neq_f64_e64 s0, s[4:5], v[4:5]
	v_cndmask_b32_e64 v4, 0, 1, s0
	s_delay_alu instid0(VALU_DEP_1) | instskip(SKIP_1) | instid1(VALU_DEP_2)
	v_dual_cndmask_b32 v1, v4, v1 :: v_dual_add_nc_u32 v4, s2, v0
	v_add_nc_u32_e32 v0, 0x100, v0
	v_and_b32_e32 v1, 1, v1
	global_store_b8 v4, v1, s[6:7]
	s_wait_xcnt 0x0
	s_or_b32 exec_lo, exec_lo, s3
	s_delay_alu instid0(SALU_CYCLE_1)
	s_mov_b32 s3, exec_lo
	v_cmpx_gt_i32_e64 s1, v0
	s_cbranch_execz .LBB90_50
.LBB90_67:
	s_wait_loadcnt 0x0
	v_cmp_eq_f64_e64 s0, s[4:5], v[14:15]
	s_delay_alu instid0(VALU_DEP_1) | instskip(SKIP_1) | instid1(VALU_DEP_1)
	v_cndmask_b32_e64 v1, 0, 1, s0
	v_cmp_neq_f64_e64 s0, s[4:5], v[14:15]
	v_cndmask_b32_e64 v4, 0, 1, s0
	s_delay_alu instid0(VALU_DEP_1) | instskip(SKIP_1) | instid1(VALU_DEP_2)
	v_dual_cndmask_b32 v1, v4, v1 :: v_dual_add_nc_u32 v4, s2, v0
	v_add_nc_u32_e32 v0, 0x100, v0
	v_and_b32_e32 v1, 1, v1
	global_store_b8 v4, v1, s[6:7]
	s_wait_xcnt 0x0
	s_or_b32 exec_lo, exec_lo, s3
	v_cmp_gt_i32_e64 s0, s1, v0
	s_and_saveexec_b32 s1, s0
	s_cbranch_execnz .LBB90_51
	s_branch .LBB90_52
	.section	.rodata,"a",@progbits
	.p2align	6, 0x0
	.amdhsa_kernel _ZN2at6native29vectorized_elementwise_kernelILi4ENS0_13AUnaryFunctorIddbNS0_12_GLOBAL__N_116CompareEqFunctorIdEEEESt5arrayIPcLm2EEEEviT0_T1_
		.amdhsa_group_segment_fixed_size 0
		.amdhsa_private_segment_fixed_size 0
		.amdhsa_kernarg_size 40
		.amdhsa_user_sgpr_count 2
		.amdhsa_user_sgpr_dispatch_ptr 0
		.amdhsa_user_sgpr_queue_ptr 0
		.amdhsa_user_sgpr_kernarg_segment_ptr 1
		.amdhsa_user_sgpr_dispatch_id 0
		.amdhsa_user_sgpr_kernarg_preload_length 0
		.amdhsa_user_sgpr_kernarg_preload_offset 0
		.amdhsa_user_sgpr_private_segment_size 0
		.amdhsa_wavefront_size32 1
		.amdhsa_uses_dynamic_stack 0
		.amdhsa_enable_private_segment 0
		.amdhsa_system_sgpr_workgroup_id_x 1
		.amdhsa_system_sgpr_workgroup_id_y 0
		.amdhsa_system_sgpr_workgroup_id_z 0
		.amdhsa_system_sgpr_workgroup_info 0
		.amdhsa_system_vgpr_workitem_id 0
		.amdhsa_next_free_vgpr 36
		.amdhsa_next_free_sgpr 14
		.amdhsa_named_barrier_count 0
		.amdhsa_reserve_vcc 1
		.amdhsa_float_round_mode_32 0
		.amdhsa_float_round_mode_16_64 0
		.amdhsa_float_denorm_mode_32 3
		.amdhsa_float_denorm_mode_16_64 3
		.amdhsa_fp16_overflow 0
		.amdhsa_memory_ordered 1
		.amdhsa_forward_progress 1
		.amdhsa_inst_pref_size 32
		.amdhsa_round_robin_scheduling 0
		.amdhsa_exception_fp_ieee_invalid_op 0
		.amdhsa_exception_fp_denorm_src 0
		.amdhsa_exception_fp_ieee_div_zero 0
		.amdhsa_exception_fp_ieee_overflow 0
		.amdhsa_exception_fp_ieee_underflow 0
		.amdhsa_exception_fp_ieee_inexact 0
		.amdhsa_exception_int_div_zero 0
	.end_amdhsa_kernel
	.section	.text._ZN2at6native29vectorized_elementwise_kernelILi4ENS0_13AUnaryFunctorIddbNS0_12_GLOBAL__N_116CompareEqFunctorIdEEEESt5arrayIPcLm2EEEEviT0_T1_,"axG",@progbits,_ZN2at6native29vectorized_elementwise_kernelILi4ENS0_13AUnaryFunctorIddbNS0_12_GLOBAL__N_116CompareEqFunctorIdEEEESt5arrayIPcLm2EEEEviT0_T1_,comdat
.Lfunc_end90:
	.size	_ZN2at6native29vectorized_elementwise_kernelILi4ENS0_13AUnaryFunctorIddbNS0_12_GLOBAL__N_116CompareEqFunctorIdEEEESt5arrayIPcLm2EEEEviT0_T1_, .Lfunc_end90-_ZN2at6native29vectorized_elementwise_kernelILi4ENS0_13AUnaryFunctorIddbNS0_12_GLOBAL__N_116CompareEqFunctorIdEEEESt5arrayIPcLm2EEEEviT0_T1_
                                        ; -- End function
	.set _ZN2at6native29vectorized_elementwise_kernelILi4ENS0_13AUnaryFunctorIddbNS0_12_GLOBAL__N_116CompareEqFunctorIdEEEESt5arrayIPcLm2EEEEviT0_T1_.num_vgpr, 36
	.set _ZN2at6native29vectorized_elementwise_kernelILi4ENS0_13AUnaryFunctorIddbNS0_12_GLOBAL__N_116CompareEqFunctorIdEEEESt5arrayIPcLm2EEEEviT0_T1_.num_agpr, 0
	.set _ZN2at6native29vectorized_elementwise_kernelILi4ENS0_13AUnaryFunctorIddbNS0_12_GLOBAL__N_116CompareEqFunctorIdEEEESt5arrayIPcLm2EEEEviT0_T1_.numbered_sgpr, 14
	.set _ZN2at6native29vectorized_elementwise_kernelILi4ENS0_13AUnaryFunctorIddbNS0_12_GLOBAL__N_116CompareEqFunctorIdEEEESt5arrayIPcLm2EEEEviT0_T1_.num_named_barrier, 0
	.set _ZN2at6native29vectorized_elementwise_kernelILi4ENS0_13AUnaryFunctorIddbNS0_12_GLOBAL__N_116CompareEqFunctorIdEEEESt5arrayIPcLm2EEEEviT0_T1_.private_seg_size, 0
	.set _ZN2at6native29vectorized_elementwise_kernelILi4ENS0_13AUnaryFunctorIddbNS0_12_GLOBAL__N_116CompareEqFunctorIdEEEESt5arrayIPcLm2EEEEviT0_T1_.uses_vcc, 1
	.set _ZN2at6native29vectorized_elementwise_kernelILi4ENS0_13AUnaryFunctorIddbNS0_12_GLOBAL__N_116CompareEqFunctorIdEEEESt5arrayIPcLm2EEEEviT0_T1_.uses_flat_scratch, 0
	.set _ZN2at6native29vectorized_elementwise_kernelILi4ENS0_13AUnaryFunctorIddbNS0_12_GLOBAL__N_116CompareEqFunctorIdEEEESt5arrayIPcLm2EEEEviT0_T1_.has_dyn_sized_stack, 0
	.set _ZN2at6native29vectorized_elementwise_kernelILi4ENS0_13AUnaryFunctorIddbNS0_12_GLOBAL__N_116CompareEqFunctorIdEEEESt5arrayIPcLm2EEEEviT0_T1_.has_recursion, 0
	.set _ZN2at6native29vectorized_elementwise_kernelILi4ENS0_13AUnaryFunctorIddbNS0_12_GLOBAL__N_116CompareEqFunctorIdEEEESt5arrayIPcLm2EEEEviT0_T1_.has_indirect_call, 0
	.section	.AMDGPU.csdata,"",@progbits
; Kernel info:
; codeLenInByte = 3996
; TotalNumSgprs: 16
; NumVgprs: 36
; ScratchSize: 0
; MemoryBound: 0
; FloatMode: 240
; IeeeMode: 1
; LDSByteSize: 0 bytes/workgroup (compile time only)
; SGPRBlocks: 0
; VGPRBlocks: 2
; NumSGPRsForWavesPerEU: 16
; NumVGPRsForWavesPerEU: 36
; NamedBarCnt: 0
; Occupancy: 16
; WaveLimiterHint : 1
; COMPUTE_PGM_RSRC2:SCRATCH_EN: 0
; COMPUTE_PGM_RSRC2:USER_SGPR: 2
; COMPUTE_PGM_RSRC2:TRAP_HANDLER: 0
; COMPUTE_PGM_RSRC2:TGID_X_EN: 1
; COMPUTE_PGM_RSRC2:TGID_Y_EN: 0
; COMPUTE_PGM_RSRC2:TGID_Z_EN: 0
; COMPUTE_PGM_RSRC2:TIDIG_COMP_CNT: 0
	.section	.text._ZN2at6native29vectorized_elementwise_kernelILi2ENS0_13AUnaryFunctorIddbNS0_12_GLOBAL__N_116CompareEqFunctorIdEEEESt5arrayIPcLm2EEEEviT0_T1_,"axG",@progbits,_ZN2at6native29vectorized_elementwise_kernelILi2ENS0_13AUnaryFunctorIddbNS0_12_GLOBAL__N_116CompareEqFunctorIdEEEESt5arrayIPcLm2EEEEviT0_T1_,comdat
	.globl	_ZN2at6native29vectorized_elementwise_kernelILi2ENS0_13AUnaryFunctorIddbNS0_12_GLOBAL__N_116CompareEqFunctorIdEEEESt5arrayIPcLm2EEEEviT0_T1_ ; -- Begin function _ZN2at6native29vectorized_elementwise_kernelILi2ENS0_13AUnaryFunctorIddbNS0_12_GLOBAL__N_116CompareEqFunctorIdEEEESt5arrayIPcLm2EEEEviT0_T1_
	.p2align	8
	.type	_ZN2at6native29vectorized_elementwise_kernelILi2ENS0_13AUnaryFunctorIddbNS0_12_GLOBAL__N_116CompareEqFunctorIdEEEESt5arrayIPcLm2EEEEviT0_T1_,@function
_ZN2at6native29vectorized_elementwise_kernelILi2ENS0_13AUnaryFunctorIddbNS0_12_GLOBAL__N_116CompareEqFunctorIdEEEESt5arrayIPcLm2EEEEviT0_T1_: ; @_ZN2at6native29vectorized_elementwise_kernelILi2ENS0_13AUnaryFunctorIddbNS0_12_GLOBAL__N_116CompareEqFunctorIdEEEESt5arrayIPcLm2EEEEviT0_T1_
; %bb.0:
	s_clause 0x3
	s_load_b32 s3, s[0:1], 0x0
	s_load_b32 s11, s[0:1], 0x8
	s_load_b128 s[4:7], s[0:1], 0x10
	s_load_b64 s[8:9], s[0:1], 0x20
	s_wait_xcnt 0x0
	s_bfe_u32 s0, ttmp6, 0x4000c
	s_and_b32 s1, ttmp6, 15
	s_add_co_i32 s0, s0, 1
	s_getreg_b32 s2, hwreg(HW_REG_IB_STS2, 6, 4)
	s_mul_i32 s0, ttmp9, s0
	s_mov_b32 s12, -1
	s_add_co_i32 s1, s1, s0
	s_cmp_eq_u32 s2, 0
	s_cselect_b32 s0, ttmp9, s1
	s_delay_alu instid0(SALU_CYCLE_1) | instskip(SKIP_2) | instid1(SALU_CYCLE_1)
	s_lshl_b32 s2, s0, 12
	s_wait_kmcnt 0x0
	s_sub_co_i32 s10, s3, s2
	s_cmp_gt_i32 s10, 0xfff
	s_cbranch_scc0 .LBB91_2
; %bb.1:
	s_ashr_i32 s3, s2, 31
	s_mov_b32 s12, 0
	s_lshl_b64 s[0:1], s[2:3], 3
	s_cmp_eq_u32 s11, 0
	s_add_nc_u64 s[0:1], s[8:9], s[0:1]
	s_clause 0x7
	global_load_b128 v[2:5], v0, s[0:1] scale_offset
	global_load_b128 v[6:9], v0, s[0:1] offset:4096 scale_offset
	global_load_b128 v[10:13], v0, s[0:1] offset:8192 scale_offset
	;; [unrolled: 1-line block ×7, first 2 shown]
	s_wait_xcnt 0x0
	s_add_nc_u64 s[0:1], s[6:7], s[2:3]
	s_wait_loadcnt 0x7
	v_cmp_eq_f64_e32 vcc_lo, s[4:5], v[2:3]
	v_cndmask_b32_e64 v1, 0, 1, vcc_lo
	v_cmp_neq_f64_e32 vcc_lo, s[4:5], v[2:3]
	v_cndmask_b32_e64 v2, 0, 1, vcc_lo
	v_cmp_eq_f64_e32 vcc_lo, s[4:5], v[4:5]
	v_cndmask_b32_e64 v3, 0, 1, vcc_lo
	v_cmp_neq_f64_e32 vcc_lo, s[4:5], v[4:5]
	v_cndmask_b32_e64 v4, 0, 1, vcc_lo
	s_wait_loadcnt 0x6
	v_cmp_eq_f64_e32 vcc_lo, s[4:5], v[6:7]
	v_cndmask_b32_e64 v5, 0, 1, vcc_lo
	v_cmp_neq_f64_e32 vcc_lo, s[4:5], v[6:7]
	v_cndmask_b32_e64 v6, 0, 1, vcc_lo
	v_cmp_eq_f64_e32 vcc_lo, s[4:5], v[8:9]
	v_cndmask_b32_e64 v7, 0, 1, vcc_lo
	v_cmp_neq_f64_e32 vcc_lo, s[4:5], v[8:9]
	v_cndmask_b32_e64 v8, 0, 1, vcc_lo
	;; [unrolled: 9-line block ×8, first 2 shown]
	s_cselect_b32 vcc_lo, -1, 0
	v_dual_cndmask_b32 v1, v2, v1 :: v_dual_cndmask_b32 v2, v4, v3
	v_dual_cndmask_b32 v3, v6, v5 :: v_dual_cndmask_b32 v4, v8, v7
	;; [unrolled: 1-line block ×3, first 2 shown]
	s_delay_alu instid0(VALU_DEP_3)
	v_dual_cndmask_b32 v7, v14, v13, vcc_lo :: v_dual_bitop2_b32 v2, 1, v2 bitop3:0x40
	v_dual_cndmask_b32 v8, v16, v15 :: v_dual_cndmask_b32 v9, v18, v17
	v_dual_cndmask_b32 v10, v20, v19 :: v_dual_cndmask_b32 v11, v22, v21
	;; [unrolled: 1-line block ×4, first 2 shown]
	v_dual_cndmask_b32 v16, v32, v31, vcc_lo :: v_dual_bitop2_b32 v4, 1, v4 bitop3:0x40
	v_cmp_eq_u32_e32 vcc_lo, 1, v2
	v_and_b32_e32 v6, 1, v6
	v_and_b32_e32 v8, 1, v8
	;; [unrolled: 1-line block ×4, first 2 shown]
	v_cndmask_b32_e64 v2, 0, 0x100, vcc_lo
	v_cmp_eq_u32_e32 vcc_lo, 1, v4
	v_and_b32_e32 v14, 1, v14
	v_and_b32_e32 v16, 1, v16
	s_delay_alu instid0(VALU_DEP_4) | instskip(SKIP_2) | instid1(VALU_DEP_2)
	v_bitop3_b16 v1, v2, v1, 1 bitop3:0xf8
	v_cndmask_b32_e64 v4, 0, 0x100, vcc_lo
	v_cmp_eq_u32_e32 vcc_lo, 1, v6
	v_bitop3_b16 v2, v4, v3, 1 bitop3:0xf8
	v_cndmask_b32_e64 v6, 0, 0x100, vcc_lo
	v_cmp_eq_u32_e32 vcc_lo, 1, v8
	s_delay_alu instid0(VALU_DEP_2) | instskip(SKIP_2) | instid1(VALU_DEP_2)
	v_bitop3_b16 v3, v6, v5, 1 bitop3:0xf8
	v_cndmask_b32_e64 v8, 0, 0x100, vcc_lo
	v_cmp_eq_u32_e32 vcc_lo, 1, v10
	v_bitop3_b16 v4, v8, v7, 1 bitop3:0xf8
	v_cndmask_b32_e64 v10, 0, 0x100, vcc_lo
	v_cmp_eq_u32_e32 vcc_lo, 1, v12
	s_delay_alu instid0(VALU_DEP_2) | instskip(SKIP_2) | instid1(VALU_DEP_2)
	v_bitop3_b16 v5, v10, v9, 1 bitop3:0xf8
	v_cndmask_b32_e64 v12, 0, 0x100, vcc_lo
	v_cmp_eq_u32_e32 vcc_lo, 1, v14
	v_bitop3_b16 v6, v12, v11, 1 bitop3:0xf8
	v_cndmask_b32_e64 v14, 0, 0x100, vcc_lo
	v_cmp_eq_u32_e32 vcc_lo, 1, v16
	s_delay_alu instid0(VALU_DEP_2) | instskip(SKIP_1) | instid1(VALU_DEP_1)
	v_bitop3_b16 v7, v14, v13, 1 bitop3:0xf8
	v_cndmask_b32_e64 v16, 0, 0x100, vcc_lo
	v_bitop3_b16 v8, v16, v15, 1 bitop3:0xf8
	s_clause 0x7
	global_store_b16 v0, v1, s[0:1] scale_offset
	global_store_b16 v0, v2, s[0:1] offset:512 scale_offset
	global_store_b16 v0, v3, s[0:1] offset:1024 scale_offset
	global_store_b16 v0, v4, s[0:1] offset:1536 scale_offset
	global_store_b16 v0, v5, s[0:1] offset:2048 scale_offset
	global_store_b16 v0, v6, s[0:1] offset:2560 scale_offset
	global_store_b16 v0, v7, s[0:1] offset:3072 scale_offset
	global_store_b16 v0, v8, s[0:1] offset:3584 scale_offset
.LBB91_2:
	s_and_not1_b32 vcc_lo, exec_lo, s12
	s_cbranch_vccnz .LBB91_52
; %bb.3:
	v_mov_b64_e32 v[18:19], 0
	v_mov_b64_e32 v[32:33], 0
	s_wait_xcnt 0x0
	v_cmp_gt_i32_e64 s0, s10, v0
	v_dual_mov_b32 v35, v0 :: v_dual_bitop2_b32 v1, s2, v0 bitop3:0x54
	v_or_b32_e32 v34, 0x100, v0
	s_and_saveexec_b32 s1, s0
	s_cbranch_execz .LBB91_5
; %bb.4:
	global_load_b64 v[32:33], v1, s[8:9] scale_offset
	v_or_b32_e32 v35, 0x100, v0
.LBB91_5:
	s_wait_xcnt 0x0
	s_or_b32 exec_lo, exec_lo, s1
	s_delay_alu instid0(SALU_CYCLE_1) | instskip(NEXT) | instid1(VALU_DEP_1)
	s_mov_b32 s1, exec_lo
	v_cmpx_gt_i32_e64 s10, v35
	s_cbranch_execz .LBB91_7
; %bb.6:
	v_add_nc_u32_e32 v2, s2, v35
	v_add_nc_u32_e32 v35, 0x100, v35
	global_load_b64 v[18:19], v2, s[8:9] scale_offset
.LBB91_7:
	s_wait_xcnt 0x0
	s_or_b32 exec_lo, exec_lo, s1
	v_mov_b64_e32 v[16:17], 0
	v_mov_b64_e32 v[30:31], 0
	s_mov_b32 s1, exec_lo
	v_cmpx_gt_i32_e64 s10, v35
	s_cbranch_execz .LBB91_9
; %bb.8:
	v_add_nc_u32_e32 v2, s2, v35
	v_add_nc_u32_e32 v35, 0x100, v35
	global_load_b64 v[30:31], v2, s[8:9] scale_offset
.LBB91_9:
	s_wait_xcnt 0x0
	s_or_b32 exec_lo, exec_lo, s1
	s_delay_alu instid0(SALU_CYCLE_1)
	s_mov_b32 s1, exec_lo
	v_cmpx_gt_i32_e64 s10, v35
	s_cbranch_execz .LBB91_11
; %bb.10:
	v_add_nc_u32_e32 v2, s2, v35
	v_add_nc_u32_e32 v35, 0x100, v35
	global_load_b64 v[16:17], v2, s[8:9] scale_offset
.LBB91_11:
	s_wait_xcnt 0x0
	s_or_b32 exec_lo, exec_lo, s1
	v_mov_b64_e32 v[12:13], 0
	v_mov_b64_e32 v[28:29], 0
	s_mov_b32 s1, exec_lo
	v_cmpx_gt_i32_e64 s10, v35
	s_cbranch_execz .LBB91_13
; %bb.12:
	v_add_nc_u32_e32 v2, s2, v35
	v_add_nc_u32_e32 v35, 0x100, v35
	global_load_b64 v[28:29], v2, s[8:9] scale_offset
.LBB91_13:
	s_wait_xcnt 0x0
	s_or_b32 exec_lo, exec_lo, s1
	s_delay_alu instid0(SALU_CYCLE_1)
	s_mov_b32 s1, exec_lo
	v_cmpx_gt_i32_e64 s10, v35
	s_cbranch_execz .LBB91_15
; %bb.14:
	v_add_nc_u32_e32 v2, s2, v35
	v_add_nc_u32_e32 v35, 0x100, v35
	global_load_b64 v[12:13], v2, s[8:9] scale_offset
.LBB91_15:
	s_wait_xcnt 0x0
	s_or_b32 exec_lo, exec_lo, s1
	v_mov_b64_e32 v[10:11], 0
	v_mov_b64_e32 v[26:27], 0
	s_mov_b32 s1, exec_lo
	v_cmpx_gt_i32_e64 s10, v35
	s_cbranch_execz .LBB91_17
; %bb.16:
	v_add_nc_u32_e32 v2, s2, v35
	v_add_nc_u32_e32 v35, 0x100, v35
	global_load_b64 v[26:27], v2, s[8:9] scale_offset
.LBB91_17:
	s_wait_xcnt 0x0
	s_or_b32 exec_lo, exec_lo, s1
	s_delay_alu instid0(SALU_CYCLE_1)
	s_mov_b32 s1, exec_lo
	v_cmpx_gt_i32_e64 s10, v35
	s_cbranch_execz .LBB91_19
; %bb.18:
	v_add_nc_u32_e32 v2, s2, v35
	v_add_nc_u32_e32 v35, 0x100, v35
	global_load_b64 v[10:11], v2, s[8:9] scale_offset
.LBB91_19:
	s_wait_xcnt 0x0
	s_or_b32 exec_lo, exec_lo, s1
	v_mov_b64_e32 v[8:9], 0
	v_mov_b64_e32 v[24:25], 0
	s_mov_b32 s1, exec_lo
	v_cmpx_gt_i32_e64 s10, v35
	s_cbranch_execz .LBB91_21
; %bb.20:
	v_add_nc_u32_e32 v2, s2, v35
	v_add_nc_u32_e32 v35, 0x100, v35
	global_load_b64 v[24:25], v2, s[8:9] scale_offset
.LBB91_21:
	s_wait_xcnt 0x0
	s_or_b32 exec_lo, exec_lo, s1
	s_delay_alu instid0(SALU_CYCLE_1)
	s_mov_b32 s1, exec_lo
	v_cmpx_gt_i32_e64 s10, v35
	s_cbranch_execz .LBB91_23
; %bb.22:
	v_add_nc_u32_e32 v2, s2, v35
	v_add_nc_u32_e32 v35, 0x100, v35
	global_load_b64 v[8:9], v2, s[8:9] scale_offset
.LBB91_23:
	s_wait_xcnt 0x0
	s_or_b32 exec_lo, exec_lo, s1
	v_mov_b64_e32 v[6:7], 0
	v_mov_b64_e32 v[22:23], 0
	s_mov_b32 s1, exec_lo
	v_cmpx_gt_i32_e64 s10, v35
	s_cbranch_execz .LBB91_25
; %bb.24:
	v_add_nc_u32_e32 v2, s2, v35
	v_add_nc_u32_e32 v35, 0x100, v35
	global_load_b64 v[22:23], v2, s[8:9] scale_offset
.LBB91_25:
	s_wait_xcnt 0x0
	s_or_b32 exec_lo, exec_lo, s1
	s_delay_alu instid0(SALU_CYCLE_1)
	s_mov_b32 s1, exec_lo
	v_cmpx_gt_i32_e64 s10, v35
	s_cbranch_execz .LBB91_27
; %bb.26:
	v_add_nc_u32_e32 v2, s2, v35
	v_add_nc_u32_e32 v35, 0x100, v35
	global_load_b64 v[6:7], v2, s[8:9] scale_offset
.LBB91_27:
	s_wait_xcnt 0x0
	s_or_b32 exec_lo, exec_lo, s1
	v_mov_b64_e32 v[4:5], 0
	v_mov_b64_e32 v[20:21], 0
	s_mov_b32 s1, exec_lo
	v_cmpx_gt_i32_e64 s10, v35
	s_cbranch_execz .LBB91_29
; %bb.28:
	v_add_nc_u32_e32 v2, s2, v35
	v_add_nc_u32_e32 v35, 0x100, v35
	global_load_b64 v[20:21], v2, s[8:9] scale_offset
.LBB91_29:
	s_wait_xcnt 0x0
	s_or_b32 exec_lo, exec_lo, s1
	s_delay_alu instid0(SALU_CYCLE_1)
	s_mov_b32 s1, exec_lo
	v_cmpx_gt_i32_e64 s10, v35
	s_cbranch_execz .LBB91_31
; %bb.30:
	v_add_nc_u32_e32 v2, s2, v35
	v_add_nc_u32_e32 v35, 0x100, v35
	global_load_b64 v[4:5], v2, s[8:9] scale_offset
.LBB91_31:
	s_wait_xcnt 0x0
	s_or_b32 exec_lo, exec_lo, s1
	v_mov_b64_e32 v[2:3], 0
	v_mov_b64_e32 v[14:15], 0
	s_mov_b32 s1, exec_lo
	v_cmpx_gt_i32_e64 s10, v35
	s_cbranch_execz .LBB91_33
; %bb.32:
	v_add_nc_u32_e32 v14, s2, v35
	v_add_nc_u32_e32 v35, 0x100, v35
	global_load_b64 v[14:15], v14, s[8:9] scale_offset
.LBB91_33:
	s_wait_xcnt 0x0
	s_or_b32 exec_lo, exec_lo, s1
	s_delay_alu instid0(SALU_CYCLE_1)
	s_mov_b32 s1, exec_lo
	v_cmpx_gt_i32_e64 s10, v35
	s_cbranch_execz .LBB91_35
; %bb.34:
	v_add_nc_u32_e32 v2, s2, v35
	global_load_b64 v[2:3], v2, s[8:9] scale_offset
.LBB91_35:
	s_wait_xcnt 0x0
	s_or_b32 exec_lo, exec_lo, s1
	s_cmp_eq_u32 s11, 0
	s_cselect_b32 vcc_lo, -1, 0
	s_and_saveexec_b32 s1, s0
	s_cbranch_execnz .LBB91_53
; %bb.36:
	s_or_b32 exec_lo, exec_lo, s1
	s_delay_alu instid0(SALU_CYCLE_1)
	s_mov_b32 s1, exec_lo
	v_cmpx_gt_i32_e64 s10, v0
	s_cbranch_execnz .LBB91_54
.LBB91_37:
	s_or_b32 exec_lo, exec_lo, s1
	s_delay_alu instid0(SALU_CYCLE_1)
	s_mov_b32 s1, exec_lo
	v_cmpx_gt_i32_e64 s10, v0
	s_cbranch_execnz .LBB91_55
.LBB91_38:
	s_or_b32 exec_lo, exec_lo, s1
	s_delay_alu instid0(SALU_CYCLE_1)
	s_mov_b32 s1, exec_lo
	v_cmpx_gt_i32_e64 s10, v0
	s_cbranch_execnz .LBB91_56
.LBB91_39:
	s_or_b32 exec_lo, exec_lo, s1
	s_delay_alu instid0(SALU_CYCLE_1)
	s_mov_b32 s1, exec_lo
	v_cmpx_gt_i32_e64 s10, v0
	s_cbranch_execnz .LBB91_57
.LBB91_40:
	s_or_b32 exec_lo, exec_lo, s1
	s_delay_alu instid0(SALU_CYCLE_1)
	s_mov_b32 s1, exec_lo
	v_cmpx_gt_i32_e64 s10, v0
	s_cbranch_execnz .LBB91_58
.LBB91_41:
	s_or_b32 exec_lo, exec_lo, s1
	s_delay_alu instid0(SALU_CYCLE_1)
	s_mov_b32 s1, exec_lo
	v_cmpx_gt_i32_e64 s10, v0
	s_cbranch_execnz .LBB91_59
.LBB91_42:
	s_or_b32 exec_lo, exec_lo, s1
	s_delay_alu instid0(SALU_CYCLE_1)
	s_mov_b32 s1, exec_lo
	v_cmpx_gt_i32_e64 s10, v0
	s_cbranch_execnz .LBB91_60
.LBB91_43:
	s_or_b32 exec_lo, exec_lo, s1
	s_delay_alu instid0(SALU_CYCLE_1)
	s_mov_b32 s1, exec_lo
	v_cmpx_gt_i32_e64 s10, v0
	s_cbranch_execnz .LBB91_61
.LBB91_44:
	s_or_b32 exec_lo, exec_lo, s1
	s_delay_alu instid0(SALU_CYCLE_1)
	s_mov_b32 s1, exec_lo
	v_cmpx_gt_i32_e64 s10, v0
	s_cbranch_execnz .LBB91_62
.LBB91_45:
	s_or_b32 exec_lo, exec_lo, s1
	s_delay_alu instid0(SALU_CYCLE_1)
	s_mov_b32 s1, exec_lo
	v_cmpx_gt_i32_e64 s10, v0
	s_cbranch_execnz .LBB91_63
.LBB91_46:
	s_or_b32 exec_lo, exec_lo, s1
	s_delay_alu instid0(SALU_CYCLE_1)
	s_mov_b32 s1, exec_lo
	v_cmpx_gt_i32_e64 s10, v0
	s_cbranch_execnz .LBB91_64
.LBB91_47:
	s_or_b32 exec_lo, exec_lo, s1
	s_delay_alu instid0(SALU_CYCLE_1)
	s_mov_b32 s1, exec_lo
	v_cmpx_gt_i32_e64 s10, v0
	s_cbranch_execnz .LBB91_65
.LBB91_48:
	s_or_b32 exec_lo, exec_lo, s1
	s_delay_alu instid0(SALU_CYCLE_1)
	s_mov_b32 s1, exec_lo
	v_cmpx_gt_i32_e64 s10, v0
	s_cbranch_execnz .LBB91_66
.LBB91_49:
	s_or_b32 exec_lo, exec_lo, s1
	s_delay_alu instid0(SALU_CYCLE_1)
	s_mov_b32 s1, exec_lo
	v_cmpx_gt_i32_e64 s10, v0
	s_cbranch_execnz .LBB91_67
.LBB91_50:
	s_or_b32 exec_lo, exec_lo, s1
	s_delay_alu instid0(SALU_CYCLE_1)
	s_mov_b32 s1, exec_lo
	v_cmpx_gt_i32_e64 s10, v0
	s_cbranch_execz .LBB91_52
.LBB91_51:
	s_wait_loadcnt 0x0
	v_cmp_eq_f64_e64 s0, s[4:5], v[2:3]
	v_add_nc_u32_e32 v0, s2, v0
	s_delay_alu instid0(VALU_DEP_2) | instskip(SKIP_1) | instid1(VALU_DEP_1)
	v_cndmask_b32_e64 v1, 0, 1, s0
	v_cmp_neq_f64_e64 s0, s[4:5], v[2:3]
	v_cndmask_b32_e64 v2, 0, 1, s0
	s_delay_alu instid0(VALU_DEP_1) | instskip(NEXT) | instid1(VALU_DEP_1)
	v_cndmask_b32_e32 v1, v2, v1, vcc_lo
	v_and_b32_e32 v1, 1, v1
	global_store_b8 v0, v1, s[6:7]
.LBB91_52:
	s_endpgm
.LBB91_53:
	s_wait_loadcnt 0x0
	v_cmp_eq_f64_e64 s0, s[4:5], v[32:33]
	s_delay_alu instid0(VALU_DEP_1) | instskip(SKIP_1) | instid1(VALU_DEP_1)
	v_cndmask_b32_e64 v0, 0, 1, s0
	v_cmp_neq_f64_e64 s0, s[4:5], v[32:33]
	v_cndmask_b32_e64 v32, 0, 1, s0
	s_delay_alu instid0(VALU_DEP_1) | instskip(NEXT) | instid1(VALU_DEP_1)
	v_cndmask_b32_e32 v0, v32, v0, vcc_lo
	v_dual_mov_b32 v0, v34 :: v_dual_bitop2_b32 v32, 1, v0 bitop3:0x40
	global_store_b8 v1, v32, s[6:7]
	s_wait_xcnt 0x0
	s_or_b32 exec_lo, exec_lo, s1
	s_delay_alu instid0(SALU_CYCLE_1)
	s_mov_b32 s1, exec_lo
	v_cmpx_gt_i32_e64 s10, v0
	s_cbranch_execz .LBB91_37
.LBB91_54:
	s_wait_loadcnt 0x0
	v_cmp_eq_f64_e64 s0, s[4:5], v[18:19]
	s_delay_alu instid0(VALU_DEP_1) | instskip(SKIP_1) | instid1(VALU_DEP_1)
	v_cndmask_b32_e64 v1, 0, 1, s0
	v_cmp_neq_f64_e64 s0, s[4:5], v[18:19]
	v_cndmask_b32_e64 v18, 0, 1, s0
	s_delay_alu instid0(VALU_DEP_1) | instskip(SKIP_1) | instid1(VALU_DEP_2)
	v_dual_cndmask_b32 v1, v18, v1 :: v_dual_add_nc_u32 v18, s2, v0
	v_add_nc_u32_e32 v0, 0x100, v0
	v_and_b32_e32 v1, 1, v1
	global_store_b8 v18, v1, s[6:7]
	s_wait_xcnt 0x0
	s_or_b32 exec_lo, exec_lo, s1
	s_delay_alu instid0(SALU_CYCLE_1)
	s_mov_b32 s1, exec_lo
	v_cmpx_gt_i32_e64 s10, v0
	s_cbranch_execz .LBB91_38
.LBB91_55:
	s_wait_loadcnt 0x0
	v_cmp_eq_f64_e64 s0, s[4:5], v[30:31]
	s_delay_alu instid0(VALU_DEP_1) | instskip(SKIP_1) | instid1(VALU_DEP_1)
	v_cndmask_b32_e64 v1, 0, 1, s0
	v_cmp_neq_f64_e64 s0, s[4:5], v[30:31]
	v_cndmask_b32_e64 v18, 0, 1, s0
	s_delay_alu instid0(VALU_DEP_1) | instskip(SKIP_1) | instid1(VALU_DEP_2)
	v_dual_cndmask_b32 v1, v18, v1 :: v_dual_add_nc_u32 v18, s2, v0
	v_add_nc_u32_e32 v0, 0x100, v0
	v_and_b32_e32 v1, 1, v1
	global_store_b8 v18, v1, s[6:7]
	s_wait_xcnt 0x0
	s_or_b32 exec_lo, exec_lo, s1
	s_delay_alu instid0(SALU_CYCLE_1)
	s_mov_b32 s1, exec_lo
	v_cmpx_gt_i32_e64 s10, v0
	s_cbranch_execz .LBB91_39
.LBB91_56:
	s_wait_loadcnt 0x0
	v_cmp_eq_f64_e64 s0, s[4:5], v[16:17]
	s_delay_alu instid0(VALU_DEP_1) | instskip(SKIP_1) | instid1(VALU_DEP_1)
	v_cndmask_b32_e64 v1, 0, 1, s0
	v_cmp_neq_f64_e64 s0, s[4:5], v[16:17]
	v_cndmask_b32_e64 v16, 0, 1, s0
	s_delay_alu instid0(VALU_DEP_1) | instskip(SKIP_1) | instid1(VALU_DEP_2)
	v_dual_cndmask_b32 v1, v16, v1 :: v_dual_add_nc_u32 v16, s2, v0
	v_add_nc_u32_e32 v0, 0x100, v0
	v_and_b32_e32 v1, 1, v1
	global_store_b8 v16, v1, s[6:7]
	s_wait_xcnt 0x0
	s_or_b32 exec_lo, exec_lo, s1
	s_delay_alu instid0(SALU_CYCLE_1)
	s_mov_b32 s1, exec_lo
	v_cmpx_gt_i32_e64 s10, v0
	s_cbranch_execz .LBB91_40
.LBB91_57:
	s_wait_loadcnt 0x0
	v_cmp_eq_f64_e64 s0, s[4:5], v[28:29]
	s_delay_alu instid0(VALU_DEP_1) | instskip(SKIP_1) | instid1(VALU_DEP_1)
	v_cndmask_b32_e64 v1, 0, 1, s0
	v_cmp_neq_f64_e64 s0, s[4:5], v[28:29]
	v_cndmask_b32_e64 v16, 0, 1, s0
	s_delay_alu instid0(VALU_DEP_1) | instskip(SKIP_1) | instid1(VALU_DEP_2)
	v_dual_cndmask_b32 v1, v16, v1 :: v_dual_add_nc_u32 v16, s2, v0
	v_add_nc_u32_e32 v0, 0x100, v0
	v_and_b32_e32 v1, 1, v1
	global_store_b8 v16, v1, s[6:7]
	s_wait_xcnt 0x0
	s_or_b32 exec_lo, exec_lo, s1
	s_delay_alu instid0(SALU_CYCLE_1)
	s_mov_b32 s1, exec_lo
	v_cmpx_gt_i32_e64 s10, v0
	s_cbranch_execz .LBB91_41
.LBB91_58:
	s_wait_loadcnt 0x0
	v_cmp_eq_f64_e64 s0, s[4:5], v[12:13]
	s_delay_alu instid0(VALU_DEP_1) | instskip(SKIP_1) | instid1(VALU_DEP_1)
	v_cndmask_b32_e64 v1, 0, 1, s0
	v_cmp_neq_f64_e64 s0, s[4:5], v[12:13]
	v_cndmask_b32_e64 v12, 0, 1, s0
	s_delay_alu instid0(VALU_DEP_1) | instskip(SKIP_1) | instid1(VALU_DEP_2)
	v_dual_cndmask_b32 v1, v12, v1 :: v_dual_add_nc_u32 v12, s2, v0
	v_add_nc_u32_e32 v0, 0x100, v0
	v_and_b32_e32 v1, 1, v1
	global_store_b8 v12, v1, s[6:7]
	s_wait_xcnt 0x0
	s_or_b32 exec_lo, exec_lo, s1
	s_delay_alu instid0(SALU_CYCLE_1)
	s_mov_b32 s1, exec_lo
	v_cmpx_gt_i32_e64 s10, v0
	s_cbranch_execz .LBB91_42
.LBB91_59:
	s_wait_loadcnt 0x0
	v_cmp_eq_f64_e64 s0, s[4:5], v[26:27]
	s_delay_alu instid0(VALU_DEP_1) | instskip(SKIP_1) | instid1(VALU_DEP_1)
	v_cndmask_b32_e64 v1, 0, 1, s0
	v_cmp_neq_f64_e64 s0, s[4:5], v[26:27]
	v_cndmask_b32_e64 v12, 0, 1, s0
	s_delay_alu instid0(VALU_DEP_1) | instskip(SKIP_1) | instid1(VALU_DEP_2)
	v_dual_cndmask_b32 v1, v12, v1 :: v_dual_add_nc_u32 v12, s2, v0
	v_add_nc_u32_e32 v0, 0x100, v0
	v_and_b32_e32 v1, 1, v1
	global_store_b8 v12, v1, s[6:7]
	s_wait_xcnt 0x0
	s_or_b32 exec_lo, exec_lo, s1
	s_delay_alu instid0(SALU_CYCLE_1)
	s_mov_b32 s1, exec_lo
	v_cmpx_gt_i32_e64 s10, v0
	s_cbranch_execz .LBB91_43
.LBB91_60:
	s_wait_loadcnt 0x0
	v_cmp_eq_f64_e64 s0, s[4:5], v[10:11]
	s_delay_alu instid0(VALU_DEP_1) | instskip(SKIP_1) | instid1(VALU_DEP_1)
	v_cndmask_b32_e64 v1, 0, 1, s0
	v_cmp_neq_f64_e64 s0, s[4:5], v[10:11]
	v_cndmask_b32_e64 v10, 0, 1, s0
	s_delay_alu instid0(VALU_DEP_1) | instskip(SKIP_1) | instid1(VALU_DEP_2)
	v_dual_cndmask_b32 v1, v10, v1 :: v_dual_add_nc_u32 v10, s2, v0
	v_add_nc_u32_e32 v0, 0x100, v0
	v_and_b32_e32 v1, 1, v1
	global_store_b8 v10, v1, s[6:7]
	s_wait_xcnt 0x0
	s_or_b32 exec_lo, exec_lo, s1
	s_delay_alu instid0(SALU_CYCLE_1)
	s_mov_b32 s1, exec_lo
	v_cmpx_gt_i32_e64 s10, v0
	s_cbranch_execz .LBB91_44
.LBB91_61:
	s_wait_loadcnt 0x0
	v_cmp_eq_f64_e64 s0, s[4:5], v[24:25]
	s_delay_alu instid0(VALU_DEP_1) | instskip(SKIP_1) | instid1(VALU_DEP_1)
	v_cndmask_b32_e64 v1, 0, 1, s0
	v_cmp_neq_f64_e64 s0, s[4:5], v[24:25]
	v_cndmask_b32_e64 v10, 0, 1, s0
	s_delay_alu instid0(VALU_DEP_1) | instskip(SKIP_1) | instid1(VALU_DEP_2)
	v_dual_cndmask_b32 v1, v10, v1 :: v_dual_add_nc_u32 v10, s2, v0
	v_add_nc_u32_e32 v0, 0x100, v0
	v_and_b32_e32 v1, 1, v1
	global_store_b8 v10, v1, s[6:7]
	s_wait_xcnt 0x0
	s_or_b32 exec_lo, exec_lo, s1
	s_delay_alu instid0(SALU_CYCLE_1)
	s_mov_b32 s1, exec_lo
	v_cmpx_gt_i32_e64 s10, v0
	s_cbranch_execz .LBB91_45
.LBB91_62:
	s_wait_loadcnt 0x0
	v_cmp_eq_f64_e64 s0, s[4:5], v[8:9]
	s_delay_alu instid0(VALU_DEP_1) | instskip(SKIP_1) | instid1(VALU_DEP_1)
	v_cndmask_b32_e64 v1, 0, 1, s0
	v_cmp_neq_f64_e64 s0, s[4:5], v[8:9]
	v_cndmask_b32_e64 v8, 0, 1, s0
	s_delay_alu instid0(VALU_DEP_1) | instskip(SKIP_1) | instid1(VALU_DEP_2)
	v_dual_cndmask_b32 v1, v8, v1 :: v_dual_add_nc_u32 v8, s2, v0
	v_add_nc_u32_e32 v0, 0x100, v0
	v_and_b32_e32 v1, 1, v1
	global_store_b8 v8, v1, s[6:7]
	s_wait_xcnt 0x0
	s_or_b32 exec_lo, exec_lo, s1
	s_delay_alu instid0(SALU_CYCLE_1)
	s_mov_b32 s1, exec_lo
	v_cmpx_gt_i32_e64 s10, v0
	s_cbranch_execz .LBB91_46
.LBB91_63:
	s_wait_loadcnt 0x0
	v_cmp_eq_f64_e64 s0, s[4:5], v[22:23]
	s_delay_alu instid0(VALU_DEP_1) | instskip(SKIP_1) | instid1(VALU_DEP_1)
	v_cndmask_b32_e64 v1, 0, 1, s0
	v_cmp_neq_f64_e64 s0, s[4:5], v[22:23]
	v_cndmask_b32_e64 v8, 0, 1, s0
	s_delay_alu instid0(VALU_DEP_1) | instskip(SKIP_1) | instid1(VALU_DEP_2)
	v_dual_cndmask_b32 v1, v8, v1 :: v_dual_add_nc_u32 v8, s2, v0
	v_add_nc_u32_e32 v0, 0x100, v0
	v_and_b32_e32 v1, 1, v1
	global_store_b8 v8, v1, s[6:7]
	s_wait_xcnt 0x0
	s_or_b32 exec_lo, exec_lo, s1
	s_delay_alu instid0(SALU_CYCLE_1)
	s_mov_b32 s1, exec_lo
	v_cmpx_gt_i32_e64 s10, v0
	s_cbranch_execz .LBB91_47
.LBB91_64:
	s_wait_loadcnt 0x0
	v_cmp_eq_f64_e64 s0, s[4:5], v[6:7]
	s_delay_alu instid0(VALU_DEP_1) | instskip(SKIP_1) | instid1(VALU_DEP_1)
	v_cndmask_b32_e64 v1, 0, 1, s0
	v_cmp_neq_f64_e64 s0, s[4:5], v[6:7]
	v_cndmask_b32_e64 v6, 0, 1, s0
	s_delay_alu instid0(VALU_DEP_1) | instskip(SKIP_1) | instid1(VALU_DEP_2)
	v_dual_cndmask_b32 v1, v6, v1 :: v_dual_add_nc_u32 v6, s2, v0
	v_add_nc_u32_e32 v0, 0x100, v0
	v_and_b32_e32 v1, 1, v1
	global_store_b8 v6, v1, s[6:7]
	s_wait_xcnt 0x0
	s_or_b32 exec_lo, exec_lo, s1
	s_delay_alu instid0(SALU_CYCLE_1)
	s_mov_b32 s1, exec_lo
	v_cmpx_gt_i32_e64 s10, v0
	s_cbranch_execz .LBB91_48
.LBB91_65:
	s_wait_loadcnt 0x0
	v_cmp_eq_f64_e64 s0, s[4:5], v[20:21]
	s_delay_alu instid0(VALU_DEP_1) | instskip(SKIP_1) | instid1(VALU_DEP_1)
	v_cndmask_b32_e64 v1, 0, 1, s0
	v_cmp_neq_f64_e64 s0, s[4:5], v[20:21]
	v_cndmask_b32_e64 v6, 0, 1, s0
	s_delay_alu instid0(VALU_DEP_1) | instskip(SKIP_1) | instid1(VALU_DEP_2)
	v_dual_cndmask_b32 v1, v6, v1 :: v_dual_add_nc_u32 v6, s2, v0
	v_add_nc_u32_e32 v0, 0x100, v0
	v_and_b32_e32 v1, 1, v1
	global_store_b8 v6, v1, s[6:7]
	s_wait_xcnt 0x0
	s_or_b32 exec_lo, exec_lo, s1
	s_delay_alu instid0(SALU_CYCLE_1)
	s_mov_b32 s1, exec_lo
	v_cmpx_gt_i32_e64 s10, v0
	s_cbranch_execz .LBB91_49
.LBB91_66:
	s_wait_loadcnt 0x0
	v_cmp_eq_f64_e64 s0, s[4:5], v[4:5]
	s_delay_alu instid0(VALU_DEP_1) | instskip(SKIP_1) | instid1(VALU_DEP_1)
	v_cndmask_b32_e64 v1, 0, 1, s0
	v_cmp_neq_f64_e64 s0, s[4:5], v[4:5]
	v_cndmask_b32_e64 v4, 0, 1, s0
	s_delay_alu instid0(VALU_DEP_1) | instskip(SKIP_1) | instid1(VALU_DEP_2)
	v_dual_cndmask_b32 v1, v4, v1 :: v_dual_add_nc_u32 v4, s2, v0
	v_add_nc_u32_e32 v0, 0x100, v0
	v_and_b32_e32 v1, 1, v1
	global_store_b8 v4, v1, s[6:7]
	s_wait_xcnt 0x0
	s_or_b32 exec_lo, exec_lo, s1
	s_delay_alu instid0(SALU_CYCLE_1)
	s_mov_b32 s1, exec_lo
	v_cmpx_gt_i32_e64 s10, v0
	s_cbranch_execz .LBB91_50
.LBB91_67:
	s_wait_loadcnt 0x0
	v_cmp_eq_f64_e64 s0, s[4:5], v[14:15]
	s_delay_alu instid0(VALU_DEP_1) | instskip(SKIP_1) | instid1(VALU_DEP_1)
	v_cndmask_b32_e64 v1, 0, 1, s0
	v_cmp_neq_f64_e64 s0, s[4:5], v[14:15]
	v_cndmask_b32_e64 v4, 0, 1, s0
	s_delay_alu instid0(VALU_DEP_1) | instskip(SKIP_1) | instid1(VALU_DEP_2)
	v_dual_cndmask_b32 v1, v4, v1 :: v_dual_add_nc_u32 v4, s2, v0
	v_add_nc_u32_e32 v0, 0x100, v0
	v_and_b32_e32 v1, 1, v1
	global_store_b8 v4, v1, s[6:7]
	s_wait_xcnt 0x0
	s_or_b32 exec_lo, exec_lo, s1
	s_delay_alu instid0(SALU_CYCLE_1)
	s_mov_b32 s1, exec_lo
	v_cmpx_gt_i32_e64 s10, v0
	s_cbranch_execnz .LBB91_51
	s_branch .LBB91_52
	.section	.rodata,"a",@progbits
	.p2align	6, 0x0
	.amdhsa_kernel _ZN2at6native29vectorized_elementwise_kernelILi2ENS0_13AUnaryFunctorIddbNS0_12_GLOBAL__N_116CompareEqFunctorIdEEEESt5arrayIPcLm2EEEEviT0_T1_
		.amdhsa_group_segment_fixed_size 0
		.amdhsa_private_segment_fixed_size 0
		.amdhsa_kernarg_size 40
		.amdhsa_user_sgpr_count 2
		.amdhsa_user_sgpr_dispatch_ptr 0
		.amdhsa_user_sgpr_queue_ptr 0
		.amdhsa_user_sgpr_kernarg_segment_ptr 1
		.amdhsa_user_sgpr_dispatch_id 0
		.amdhsa_user_sgpr_kernarg_preload_length 0
		.amdhsa_user_sgpr_kernarg_preload_offset 0
		.amdhsa_user_sgpr_private_segment_size 0
		.amdhsa_wavefront_size32 1
		.amdhsa_uses_dynamic_stack 0
		.amdhsa_enable_private_segment 0
		.amdhsa_system_sgpr_workgroup_id_x 1
		.amdhsa_system_sgpr_workgroup_id_y 0
		.amdhsa_system_sgpr_workgroup_id_z 0
		.amdhsa_system_sgpr_workgroup_info 0
		.amdhsa_system_vgpr_workitem_id 0
		.amdhsa_next_free_vgpr 36
		.amdhsa_next_free_sgpr 13
		.amdhsa_named_barrier_count 0
		.amdhsa_reserve_vcc 1
		.amdhsa_float_round_mode_32 0
		.amdhsa_float_round_mode_16_64 0
		.amdhsa_float_denorm_mode_32 3
		.amdhsa_float_denorm_mode_16_64 3
		.amdhsa_fp16_overflow 0
		.amdhsa_memory_ordered 1
		.amdhsa_forward_progress 1
		.amdhsa_inst_pref_size 31
		.amdhsa_round_robin_scheduling 0
		.amdhsa_exception_fp_ieee_invalid_op 0
		.amdhsa_exception_fp_denorm_src 0
		.amdhsa_exception_fp_ieee_div_zero 0
		.amdhsa_exception_fp_ieee_overflow 0
		.amdhsa_exception_fp_ieee_underflow 0
		.amdhsa_exception_fp_ieee_inexact 0
		.amdhsa_exception_int_div_zero 0
	.end_amdhsa_kernel
	.section	.text._ZN2at6native29vectorized_elementwise_kernelILi2ENS0_13AUnaryFunctorIddbNS0_12_GLOBAL__N_116CompareEqFunctorIdEEEESt5arrayIPcLm2EEEEviT0_T1_,"axG",@progbits,_ZN2at6native29vectorized_elementwise_kernelILi2ENS0_13AUnaryFunctorIddbNS0_12_GLOBAL__N_116CompareEqFunctorIdEEEESt5arrayIPcLm2EEEEviT0_T1_,comdat
.Lfunc_end91:
	.size	_ZN2at6native29vectorized_elementwise_kernelILi2ENS0_13AUnaryFunctorIddbNS0_12_GLOBAL__N_116CompareEqFunctorIdEEEESt5arrayIPcLm2EEEEviT0_T1_, .Lfunc_end91-_ZN2at6native29vectorized_elementwise_kernelILi2ENS0_13AUnaryFunctorIddbNS0_12_GLOBAL__N_116CompareEqFunctorIdEEEESt5arrayIPcLm2EEEEviT0_T1_
                                        ; -- End function
	.set _ZN2at6native29vectorized_elementwise_kernelILi2ENS0_13AUnaryFunctorIddbNS0_12_GLOBAL__N_116CompareEqFunctorIdEEEESt5arrayIPcLm2EEEEviT0_T1_.num_vgpr, 36
	.set _ZN2at6native29vectorized_elementwise_kernelILi2ENS0_13AUnaryFunctorIddbNS0_12_GLOBAL__N_116CompareEqFunctorIdEEEESt5arrayIPcLm2EEEEviT0_T1_.num_agpr, 0
	.set _ZN2at6native29vectorized_elementwise_kernelILi2ENS0_13AUnaryFunctorIddbNS0_12_GLOBAL__N_116CompareEqFunctorIdEEEESt5arrayIPcLm2EEEEviT0_T1_.numbered_sgpr, 13
	.set _ZN2at6native29vectorized_elementwise_kernelILi2ENS0_13AUnaryFunctorIddbNS0_12_GLOBAL__N_116CompareEqFunctorIdEEEESt5arrayIPcLm2EEEEviT0_T1_.num_named_barrier, 0
	.set _ZN2at6native29vectorized_elementwise_kernelILi2ENS0_13AUnaryFunctorIddbNS0_12_GLOBAL__N_116CompareEqFunctorIdEEEESt5arrayIPcLm2EEEEviT0_T1_.private_seg_size, 0
	.set _ZN2at6native29vectorized_elementwise_kernelILi2ENS0_13AUnaryFunctorIddbNS0_12_GLOBAL__N_116CompareEqFunctorIdEEEESt5arrayIPcLm2EEEEviT0_T1_.uses_vcc, 1
	.set _ZN2at6native29vectorized_elementwise_kernelILi2ENS0_13AUnaryFunctorIddbNS0_12_GLOBAL__N_116CompareEqFunctorIdEEEESt5arrayIPcLm2EEEEviT0_T1_.uses_flat_scratch, 0
	.set _ZN2at6native29vectorized_elementwise_kernelILi2ENS0_13AUnaryFunctorIddbNS0_12_GLOBAL__N_116CompareEqFunctorIdEEEESt5arrayIPcLm2EEEEviT0_T1_.has_dyn_sized_stack, 0
	.set _ZN2at6native29vectorized_elementwise_kernelILi2ENS0_13AUnaryFunctorIddbNS0_12_GLOBAL__N_116CompareEqFunctorIdEEEESt5arrayIPcLm2EEEEviT0_T1_.has_recursion, 0
	.set _ZN2at6native29vectorized_elementwise_kernelILi2ENS0_13AUnaryFunctorIddbNS0_12_GLOBAL__N_116CompareEqFunctorIdEEEESt5arrayIPcLm2EEEEviT0_T1_.has_indirect_call, 0
	.section	.AMDGPU.csdata,"",@progbits
; Kernel info:
; codeLenInByte = 3964
; TotalNumSgprs: 15
; NumVgprs: 36
; ScratchSize: 0
; MemoryBound: 0
; FloatMode: 240
; IeeeMode: 1
; LDSByteSize: 0 bytes/workgroup (compile time only)
; SGPRBlocks: 0
; VGPRBlocks: 2
; NumSGPRsForWavesPerEU: 15
; NumVGPRsForWavesPerEU: 36
; NamedBarCnt: 0
; Occupancy: 16
; WaveLimiterHint : 1
; COMPUTE_PGM_RSRC2:SCRATCH_EN: 0
; COMPUTE_PGM_RSRC2:USER_SGPR: 2
; COMPUTE_PGM_RSRC2:TRAP_HANDLER: 0
; COMPUTE_PGM_RSRC2:TGID_X_EN: 1
; COMPUTE_PGM_RSRC2:TGID_Y_EN: 0
; COMPUTE_PGM_RSRC2:TGID_Z_EN: 0
; COMPUTE_PGM_RSRC2:TIDIG_COMP_CNT: 0
	.section	.text._ZN2at6native27unrolled_elementwise_kernelINS0_13AUnaryFunctorIddbNS0_12_GLOBAL__N_116CompareEqFunctorIdEEEESt5arrayIPcLm2EELi4E23TrivialOffsetCalculatorILi1EjESB_NS0_6memory15LoadWithoutCastENSC_16StoreWithoutCastEEEviT_T0_T2_T3_T4_T5_,"axG",@progbits,_ZN2at6native27unrolled_elementwise_kernelINS0_13AUnaryFunctorIddbNS0_12_GLOBAL__N_116CompareEqFunctorIdEEEESt5arrayIPcLm2EELi4E23TrivialOffsetCalculatorILi1EjESB_NS0_6memory15LoadWithoutCastENSC_16StoreWithoutCastEEEviT_T0_T2_T3_T4_T5_,comdat
	.globl	_ZN2at6native27unrolled_elementwise_kernelINS0_13AUnaryFunctorIddbNS0_12_GLOBAL__N_116CompareEqFunctorIdEEEESt5arrayIPcLm2EELi4E23TrivialOffsetCalculatorILi1EjESB_NS0_6memory15LoadWithoutCastENSC_16StoreWithoutCastEEEviT_T0_T2_T3_T4_T5_ ; -- Begin function _ZN2at6native27unrolled_elementwise_kernelINS0_13AUnaryFunctorIddbNS0_12_GLOBAL__N_116CompareEqFunctorIdEEEESt5arrayIPcLm2EELi4E23TrivialOffsetCalculatorILi1EjESB_NS0_6memory15LoadWithoutCastENSC_16StoreWithoutCastEEEviT_T0_T2_T3_T4_T5_
	.p2align	8
	.type	_ZN2at6native27unrolled_elementwise_kernelINS0_13AUnaryFunctorIddbNS0_12_GLOBAL__N_116CompareEqFunctorIdEEEESt5arrayIPcLm2EELi4E23TrivialOffsetCalculatorILi1EjESB_NS0_6memory15LoadWithoutCastENSC_16StoreWithoutCastEEEviT_T0_T2_T3_T4_T5_,@function
_ZN2at6native27unrolled_elementwise_kernelINS0_13AUnaryFunctorIddbNS0_12_GLOBAL__N_116CompareEqFunctorIdEEEESt5arrayIPcLm2EELi4E23TrivialOffsetCalculatorILi1EjESB_NS0_6memory15LoadWithoutCastENSC_16StoreWithoutCastEEEviT_T0_T2_T3_T4_T5_: ; @_ZN2at6native27unrolled_elementwise_kernelINS0_13AUnaryFunctorIddbNS0_12_GLOBAL__N_116CompareEqFunctorIdEEEESt5arrayIPcLm2EELi4E23TrivialOffsetCalculatorILi1EjESB_NS0_6memory15LoadWithoutCastENSC_16StoreWithoutCastEEEviT_T0_T2_T3_T4_T5_
; %bb.0:
	s_clause 0x1
	s_load_b32 s2, s[0:1], 0x0
	s_load_b64 s[8:9], s[0:1], 0x20
	s_bfe_u32 s3, ttmp6, 0x4000c
	s_and_b32 s4, ttmp6, 15
	s_add_co_i32 s3, s3, 1
	s_getreg_b32 s5, hwreg(HW_REG_IB_STS2, 6, 4)
	s_mul_i32 s3, ttmp9, s3
	v_mov_b64_e32 v[2:3], 0
	s_add_co_i32 s4, s4, s3
	s_cmp_eq_u32 s5, 0
	v_mov_b64_e32 v[6:7], 0
	s_cselect_b32 s3, ttmp9, s4
	v_or_b32_e32 v1, 0x100, v0
	s_lshl_b32 s3, s3, 10
	s_delay_alu instid0(SALU_CYCLE_1) | instskip(SKIP_2) | instid1(SALU_CYCLE_1)
	v_dual_mov_b32 v11, v0 :: v_dual_bitop2_b32 v10, s3, v0 bitop3:0x54
	s_wait_kmcnt 0x0
	s_sub_co_i32 s10, s2, s3
	v_cmp_gt_i32_e32 vcc_lo, s10, v0
	s_and_saveexec_b32 s2, vcc_lo
	s_cbranch_execz .LBB92_2
; %bb.1:
	global_load_b64 v[6:7], v10, s[8:9] scale_offset
	v_or_b32_e32 v11, 0x100, v0
.LBB92_2:
	s_wait_xcnt 0x0
	s_or_b32 exec_lo, exec_lo, s2
	s_load_b128 s[4:7], s[0:1], 0x10
	s_mov_b32 s11, exec_lo
	v_cmpx_gt_i32_e64 s10, v11
	s_cbranch_execz .LBB92_4
; %bb.3:
	v_add_nc_u32_e32 v2, s3, v11
	v_add_nc_u32_e32 v11, 0x100, v11
	global_load_b64 v[2:3], v2, s[8:9] scale_offset
.LBB92_4:
	s_wait_xcnt 0x0
	s_or_b32 exec_lo, exec_lo, s11
	v_mov_b64_e32 v[4:5], 0
	v_mov_b64_e32 v[8:9], 0
	s_mov_b32 s11, exec_lo
	v_cmpx_gt_i32_e64 s10, v11
	s_cbranch_execz .LBB92_6
; %bb.5:
	v_add_nc_u32_e32 v8, s3, v11
	v_add_nc_u32_e32 v11, 0x100, v11
	global_load_b64 v[8:9], v8, s[8:9] scale_offset
.LBB92_6:
	s_wait_xcnt 0x0
	s_or_b32 exec_lo, exec_lo, s11
	s_load_b32 s1, s[0:1], 0x8
	s_mov_b32 s2, exec_lo
	v_cmpx_gt_i32_e64 s10, v11
	s_cbranch_execz .LBB92_8
; %bb.7:
	v_add_nc_u32_e32 v4, s3, v11
	global_load_b64 v[4:5], v4, s[8:9] scale_offset
.LBB92_8:
	s_wait_xcnt 0x0
	s_or_b32 exec_lo, exec_lo, s2
	s_wait_loadcnt 0x0
	s_wait_kmcnt 0x0
	v_cmp_eq_f64_e64 s0, s[4:5], v[6:7]
	s_cmp_eq_u32 s1, 0
	v_cmp_eq_f64_e64 s1, s[4:5], v[8:9]
	v_cndmask_b32_e64 v11, 0, 1, s0
	v_cmp_neq_f64_e64 s0, s[4:5], v[6:7]
	s_delay_alu instid0(VALU_DEP_1) | instskip(SKIP_1) | instid1(VALU_DEP_1)
	v_cndmask_b32_e64 v6, 0, 1, s0
	v_cmp_eq_f64_e64 s0, s[4:5], v[2:3]
	v_cndmask_b32_e64 v7, 0, 1, s0
	v_cmp_neq_f64_e64 s0, s[4:5], v[2:3]
	s_delay_alu instid0(VALU_DEP_1)
	v_cndmask_b32_e64 v2, 0, 1, s0
	s_cselect_b32 s0, -1, 0
	s_delay_alu instid0(VALU_DEP_1) | instid1(SALU_CYCLE_1)
	v_cndmask_b32_e64 v2, v2, v7, s0
	v_cndmask_b32_e64 v7, 0, 1, s1
	v_cmp_neq_f64_e64 s1, s[4:5], v[8:9]
	v_cndmask_b32_e64 v3, v6, v11, s0
	v_cndmask_b32_e64 v6, 0, 1, vcc_lo
	v_and_b32_e32 v2, 1, v2
	s_delay_alu instid0(VALU_DEP_2) | instskip(NEXT) | instid1(VALU_DEP_2)
	v_and_b32_e32 v3, v6, v3
	v_lshlrev_b16 v2, 8, v2
	v_cndmask_b32_e64 v8, 0, 1, s1
	v_cmp_eq_f64_e64 s1, s[4:5], v[4:5]
	s_delay_alu instid0(VALU_DEP_2) | instskip(NEXT) | instid1(VALU_DEP_1)
	v_cndmask_b32_e64 v6, v8, v7, s0
	v_and_b32_e32 v6, 1, v6
	s_delay_alu instid0(VALU_DEP_1) | instskip(NEXT) | instid1(VALU_DEP_4)
	v_lshlrev_b32_e32 v6, 16, v6
	v_cndmask_b32_e64 v7, 0, 1, s1
	v_or_b32_e32 v2, v3, v2
	v_cmp_gt_i32_e64 s1, s10, v1
	s_delay_alu instid0(VALU_DEP_2) | instskip(NEXT) | instid1(VALU_DEP_1)
	v_and_b32_e32 v2, 0xffff, v2
	v_cndmask_b32_e64 v2, v3, v2, s1
	v_cmp_neq_f64_e64 s1, s[4:5], v[4:5]
	v_or_b32_e32 v4, 0x200, v0
	s_delay_alu instid0(VALU_DEP_2) | instskip(NEXT) | instid1(VALU_DEP_1)
	v_cndmask_b32_e64 v3, 0, 1, s1
	v_cndmask_b32_e64 v3, v3, v7, s0
	s_delay_alu instid0(VALU_DEP_3) | instskip(NEXT) | instid1(VALU_DEP_2)
	v_cmp_gt_i32_e64 s0, s10, v4
	v_and_b32_e32 v3, 1, v3
	v_or_b32_e32 v5, v2, v6
	s_delay_alu instid0(VALU_DEP_2) | instskip(NEXT) | instid1(VALU_DEP_2)
	v_lshlrev_b16 v3, 8, v3
	v_cndmask_b32_e64 v2, v2, v5, s0
	s_delay_alu instid0(VALU_DEP_1) | instskip(NEXT) | instid1(VALU_DEP_1)
	v_lshrrev_b32_e32 v4, 16, v2
	v_bitop3_b16 v3, v4, v3, 0xff bitop3:0xec
	v_or_b32_e32 v4, 0x300, v0
	s_delay_alu instid0(VALU_DEP_2) | instskip(NEXT) | instid1(VALU_DEP_2)
	v_lshlrev_b32_e32 v3, 16, v3
	v_cmp_gt_i32_e64 s0, s10, v4
	s_delay_alu instid0(VALU_DEP_2) | instskip(NEXT) | instid1(VALU_DEP_1)
	v_and_or_b32 v3, 0xffff, v2, v3
	v_cndmask_b32_e64 v2, v2, v3, s0
	s_and_saveexec_b32 s0, vcc_lo
	s_cbranch_execnz .LBB92_13
; %bb.9:
	s_or_b32 exec_lo, exec_lo, s0
	s_delay_alu instid0(SALU_CYCLE_1)
	s_mov_b32 s0, exec_lo
	v_cmpx_gt_i32_e64 s10, v0
	s_cbranch_execnz .LBB92_14
.LBB92_10:
	s_or_b32 exec_lo, exec_lo, s0
	s_delay_alu instid0(SALU_CYCLE_1)
	s_mov_b32 s0, exec_lo
	v_cmpx_gt_i32_e64 s10, v0
	s_cbranch_execnz .LBB92_15
.LBB92_11:
	s_or_b32 exec_lo, exec_lo, s0
	s_delay_alu instid0(SALU_CYCLE_1)
	s_mov_b32 s0, exec_lo
	v_cmpx_gt_i32_e64 s10, v0
	s_cbranch_execnz .LBB92_16
.LBB92_12:
	s_endpgm
.LBB92_13:
	v_mov_b32_e32 v0, v1
	global_store_b8 v10, v2, s[6:7]
	s_wait_xcnt 0x0
	s_or_b32 exec_lo, exec_lo, s0
	s_delay_alu instid0(SALU_CYCLE_1)
	s_mov_b32 s0, exec_lo
	v_cmpx_gt_i32_e64 s10, v0
	s_cbranch_execz .LBB92_10
.LBB92_14:
	v_add_nc_u32_e32 v1, 0x100, v0
	v_dual_add_nc_u32 v3, s3, v0 :: v_dual_lshrrev_b32 v4, 8, v2
	s_delay_alu instid0(VALU_DEP_2) | instskip(SKIP_3) | instid1(SALU_CYCLE_1)
	v_mov_b32_e32 v0, v1
	global_store_b8 v3, v4, s[6:7]
	s_wait_xcnt 0x0
	s_or_b32 exec_lo, exec_lo, s0
	s_mov_b32 s0, exec_lo
	v_cmpx_gt_i32_e64 s10, v0
	s_cbranch_execz .LBB92_11
.LBB92_15:
	v_add_nc_u32_e32 v1, 0x100, v0
	s_delay_alu instid0(VALU_DEP_1) | instskip(SKIP_3) | instid1(SALU_CYCLE_1)
	v_dual_mov_b32 v0, v1 :: v_dual_add_nc_u32 v3, s3, v0
	global_store_d16_hi_b8 v3, v2, s[6:7]
	s_wait_xcnt 0x0
	s_or_b32 exec_lo, exec_lo, s0
	s_mov_b32 s0, exec_lo
	v_cmpx_gt_i32_e64 s10, v0
	s_cbranch_execz .LBB92_12
.LBB92_16:
	v_dual_add_nc_u32 v0, s3, v0 :: v_dual_lshrrev_b32 v1, 24, v2
	global_store_b8 v0, v1, s[6:7]
	s_endpgm
	.section	.rodata,"a",@progbits
	.p2align	6, 0x0
	.amdhsa_kernel _ZN2at6native27unrolled_elementwise_kernelINS0_13AUnaryFunctorIddbNS0_12_GLOBAL__N_116CompareEqFunctorIdEEEESt5arrayIPcLm2EELi4E23TrivialOffsetCalculatorILi1EjESB_NS0_6memory15LoadWithoutCastENSC_16StoreWithoutCastEEEviT_T0_T2_T3_T4_T5_
		.amdhsa_group_segment_fixed_size 0
		.amdhsa_private_segment_fixed_size 0
		.amdhsa_kernarg_size 44
		.amdhsa_user_sgpr_count 2
		.amdhsa_user_sgpr_dispatch_ptr 0
		.amdhsa_user_sgpr_queue_ptr 0
		.amdhsa_user_sgpr_kernarg_segment_ptr 1
		.amdhsa_user_sgpr_dispatch_id 0
		.amdhsa_user_sgpr_kernarg_preload_length 0
		.amdhsa_user_sgpr_kernarg_preload_offset 0
		.amdhsa_user_sgpr_private_segment_size 0
		.amdhsa_wavefront_size32 1
		.amdhsa_uses_dynamic_stack 0
		.amdhsa_enable_private_segment 0
		.amdhsa_system_sgpr_workgroup_id_x 1
		.amdhsa_system_sgpr_workgroup_id_y 0
		.amdhsa_system_sgpr_workgroup_id_z 0
		.amdhsa_system_sgpr_workgroup_info 0
		.amdhsa_system_vgpr_workitem_id 0
		.amdhsa_next_free_vgpr 12
		.amdhsa_next_free_sgpr 12
		.amdhsa_named_barrier_count 0
		.amdhsa_reserve_vcc 1
		.amdhsa_float_round_mode_32 0
		.amdhsa_float_round_mode_16_64 0
		.amdhsa_float_denorm_mode_32 3
		.amdhsa_float_denorm_mode_16_64 3
		.amdhsa_fp16_overflow 0
		.amdhsa_memory_ordered 1
		.amdhsa_forward_progress 1
		.amdhsa_inst_pref_size 8
		.amdhsa_round_robin_scheduling 0
		.amdhsa_exception_fp_ieee_invalid_op 0
		.amdhsa_exception_fp_denorm_src 0
		.amdhsa_exception_fp_ieee_div_zero 0
		.amdhsa_exception_fp_ieee_overflow 0
		.amdhsa_exception_fp_ieee_underflow 0
		.amdhsa_exception_fp_ieee_inexact 0
		.amdhsa_exception_int_div_zero 0
	.end_amdhsa_kernel
	.section	.text._ZN2at6native27unrolled_elementwise_kernelINS0_13AUnaryFunctorIddbNS0_12_GLOBAL__N_116CompareEqFunctorIdEEEESt5arrayIPcLm2EELi4E23TrivialOffsetCalculatorILi1EjESB_NS0_6memory15LoadWithoutCastENSC_16StoreWithoutCastEEEviT_T0_T2_T3_T4_T5_,"axG",@progbits,_ZN2at6native27unrolled_elementwise_kernelINS0_13AUnaryFunctorIddbNS0_12_GLOBAL__N_116CompareEqFunctorIdEEEESt5arrayIPcLm2EELi4E23TrivialOffsetCalculatorILi1EjESB_NS0_6memory15LoadWithoutCastENSC_16StoreWithoutCastEEEviT_T0_T2_T3_T4_T5_,comdat
.Lfunc_end92:
	.size	_ZN2at6native27unrolled_elementwise_kernelINS0_13AUnaryFunctorIddbNS0_12_GLOBAL__N_116CompareEqFunctorIdEEEESt5arrayIPcLm2EELi4E23TrivialOffsetCalculatorILi1EjESB_NS0_6memory15LoadWithoutCastENSC_16StoreWithoutCastEEEviT_T0_T2_T3_T4_T5_, .Lfunc_end92-_ZN2at6native27unrolled_elementwise_kernelINS0_13AUnaryFunctorIddbNS0_12_GLOBAL__N_116CompareEqFunctorIdEEEESt5arrayIPcLm2EELi4E23TrivialOffsetCalculatorILi1EjESB_NS0_6memory15LoadWithoutCastENSC_16StoreWithoutCastEEEviT_T0_T2_T3_T4_T5_
                                        ; -- End function
	.set _ZN2at6native27unrolled_elementwise_kernelINS0_13AUnaryFunctorIddbNS0_12_GLOBAL__N_116CompareEqFunctorIdEEEESt5arrayIPcLm2EELi4E23TrivialOffsetCalculatorILi1EjESB_NS0_6memory15LoadWithoutCastENSC_16StoreWithoutCastEEEviT_T0_T2_T3_T4_T5_.num_vgpr, 12
	.set _ZN2at6native27unrolled_elementwise_kernelINS0_13AUnaryFunctorIddbNS0_12_GLOBAL__N_116CompareEqFunctorIdEEEESt5arrayIPcLm2EELi4E23TrivialOffsetCalculatorILi1EjESB_NS0_6memory15LoadWithoutCastENSC_16StoreWithoutCastEEEviT_T0_T2_T3_T4_T5_.num_agpr, 0
	.set _ZN2at6native27unrolled_elementwise_kernelINS0_13AUnaryFunctorIddbNS0_12_GLOBAL__N_116CompareEqFunctorIdEEEESt5arrayIPcLm2EELi4E23TrivialOffsetCalculatorILi1EjESB_NS0_6memory15LoadWithoutCastENSC_16StoreWithoutCastEEEviT_T0_T2_T3_T4_T5_.numbered_sgpr, 12
	.set _ZN2at6native27unrolled_elementwise_kernelINS0_13AUnaryFunctorIddbNS0_12_GLOBAL__N_116CompareEqFunctorIdEEEESt5arrayIPcLm2EELi4E23TrivialOffsetCalculatorILi1EjESB_NS0_6memory15LoadWithoutCastENSC_16StoreWithoutCastEEEviT_T0_T2_T3_T4_T5_.num_named_barrier, 0
	.set _ZN2at6native27unrolled_elementwise_kernelINS0_13AUnaryFunctorIddbNS0_12_GLOBAL__N_116CompareEqFunctorIdEEEESt5arrayIPcLm2EELi4E23TrivialOffsetCalculatorILi1EjESB_NS0_6memory15LoadWithoutCastENSC_16StoreWithoutCastEEEviT_T0_T2_T3_T4_T5_.private_seg_size, 0
	.set _ZN2at6native27unrolled_elementwise_kernelINS0_13AUnaryFunctorIddbNS0_12_GLOBAL__N_116CompareEqFunctorIdEEEESt5arrayIPcLm2EELi4E23TrivialOffsetCalculatorILi1EjESB_NS0_6memory15LoadWithoutCastENSC_16StoreWithoutCastEEEviT_T0_T2_T3_T4_T5_.uses_vcc, 1
	.set _ZN2at6native27unrolled_elementwise_kernelINS0_13AUnaryFunctorIddbNS0_12_GLOBAL__N_116CompareEqFunctorIdEEEESt5arrayIPcLm2EELi4E23TrivialOffsetCalculatorILi1EjESB_NS0_6memory15LoadWithoutCastENSC_16StoreWithoutCastEEEviT_T0_T2_T3_T4_T5_.uses_flat_scratch, 0
	.set _ZN2at6native27unrolled_elementwise_kernelINS0_13AUnaryFunctorIddbNS0_12_GLOBAL__N_116CompareEqFunctorIdEEEESt5arrayIPcLm2EELi4E23TrivialOffsetCalculatorILi1EjESB_NS0_6memory15LoadWithoutCastENSC_16StoreWithoutCastEEEviT_T0_T2_T3_T4_T5_.has_dyn_sized_stack, 0
	.set _ZN2at6native27unrolled_elementwise_kernelINS0_13AUnaryFunctorIddbNS0_12_GLOBAL__N_116CompareEqFunctorIdEEEESt5arrayIPcLm2EELi4E23TrivialOffsetCalculatorILi1EjESB_NS0_6memory15LoadWithoutCastENSC_16StoreWithoutCastEEEviT_T0_T2_T3_T4_T5_.has_recursion, 0
	.set _ZN2at6native27unrolled_elementwise_kernelINS0_13AUnaryFunctorIddbNS0_12_GLOBAL__N_116CompareEqFunctorIdEEEESt5arrayIPcLm2EELi4E23TrivialOffsetCalculatorILi1EjESB_NS0_6memory15LoadWithoutCastENSC_16StoreWithoutCastEEEviT_T0_T2_T3_T4_T5_.has_indirect_call, 0
	.section	.AMDGPU.csdata,"",@progbits
; Kernel info:
; codeLenInByte = 960
; TotalNumSgprs: 14
; NumVgprs: 12
; ScratchSize: 0
; MemoryBound: 0
; FloatMode: 240
; IeeeMode: 1
; LDSByteSize: 0 bytes/workgroup (compile time only)
; SGPRBlocks: 0
; VGPRBlocks: 0
; NumSGPRsForWavesPerEU: 14
; NumVGPRsForWavesPerEU: 12
; NamedBarCnt: 0
; Occupancy: 16
; WaveLimiterHint : 0
; COMPUTE_PGM_RSRC2:SCRATCH_EN: 0
; COMPUTE_PGM_RSRC2:USER_SGPR: 2
; COMPUTE_PGM_RSRC2:TRAP_HANDLER: 0
; COMPUTE_PGM_RSRC2:TGID_X_EN: 1
; COMPUTE_PGM_RSRC2:TGID_Y_EN: 0
; COMPUTE_PGM_RSRC2:TGID_Z_EN: 0
; COMPUTE_PGM_RSRC2:TIDIG_COMP_CNT: 0
	.section	.text._ZN2at6native32elementwise_kernel_manual_unrollILi128ELi8EZNS0_22gpu_kernel_impl_nocastINS0_13AUnaryFunctorIddbNS0_12_GLOBAL__N_116CompareEqFunctorIdEEEEEEvRNS_18TensorIteratorBaseERKT_EUlibE_EEviT1_,"axG",@progbits,_ZN2at6native32elementwise_kernel_manual_unrollILi128ELi8EZNS0_22gpu_kernel_impl_nocastINS0_13AUnaryFunctorIddbNS0_12_GLOBAL__N_116CompareEqFunctorIdEEEEEEvRNS_18TensorIteratorBaseERKT_EUlibE_EEviT1_,comdat
	.globl	_ZN2at6native32elementwise_kernel_manual_unrollILi128ELi8EZNS0_22gpu_kernel_impl_nocastINS0_13AUnaryFunctorIddbNS0_12_GLOBAL__N_116CompareEqFunctorIdEEEEEEvRNS_18TensorIteratorBaseERKT_EUlibE_EEviT1_ ; -- Begin function _ZN2at6native32elementwise_kernel_manual_unrollILi128ELi8EZNS0_22gpu_kernel_impl_nocastINS0_13AUnaryFunctorIddbNS0_12_GLOBAL__N_116CompareEqFunctorIdEEEEEEvRNS_18TensorIteratorBaseERKT_EUlibE_EEviT1_
	.p2align	8
	.type	_ZN2at6native32elementwise_kernel_manual_unrollILi128ELi8EZNS0_22gpu_kernel_impl_nocastINS0_13AUnaryFunctorIddbNS0_12_GLOBAL__N_116CompareEqFunctorIdEEEEEEvRNS_18TensorIteratorBaseERKT_EUlibE_EEviT1_,@function
_ZN2at6native32elementwise_kernel_manual_unrollILi128ELi8EZNS0_22gpu_kernel_impl_nocastINS0_13AUnaryFunctorIddbNS0_12_GLOBAL__N_116CompareEqFunctorIdEEEEEEvRNS_18TensorIteratorBaseERKT_EUlibE_EEviT1_: ; @_ZN2at6native32elementwise_kernel_manual_unrollILi128ELi8EZNS0_22gpu_kernel_impl_nocastINS0_13AUnaryFunctorIddbNS0_12_GLOBAL__N_116CompareEqFunctorIdEEEEEEvRNS_18TensorIteratorBaseERKT_EUlibE_EEviT1_
; %bb.0:
	s_clause 0x1
	s_load_b32 s30, s[0:1], 0x8
	s_load_b32 s36, s[0:1], 0x0
	s_bfe_u32 s2, ttmp6, 0x4000c
	s_and_b32 s3, ttmp6, 15
	s_add_co_i32 s2, s2, 1
	s_getreg_b32 s4, hwreg(HW_REG_IB_STS2, 6, 4)
	s_mul_i32 s2, ttmp9, s2
	s_add_nc_u64 s[16:17], s[0:1], 8
	s_add_co_i32 s3, s3, s2
	s_cmp_eq_u32 s4, 0
	s_mov_b32 s19, 0
	s_cselect_b32 s2, ttmp9, s3
	s_wait_xcnt 0x0
	s_mov_b32 s0, exec_lo
	v_lshl_or_b32 v0, s2, 10, v0
	s_delay_alu instid0(VALU_DEP_1) | instskip(SKIP_2) | instid1(SALU_CYCLE_1)
	v_or_b32_e32 v16, 0x380, v0
	s_wait_kmcnt 0x0
	s_add_co_i32 s31, s30, -1
	s_cmp_gt_u32 s31, 1
	s_cselect_b32 s33, -1, 0
	v_cmpx_le_i32_e64 s36, v16
	s_xor_b32 s34, exec_lo, s0
	s_cbranch_execz .LBB93_7
; %bb.1:
	s_clause 0x5
	s_load_b128 s[8:11], s[16:17], 0x4
	s_load_b64 s[0:1], s[16:17], 0x14
	s_load_b32 s21, s[16:17], 0x158
	s_load_b128 s[12:15], s[16:17], 0xc4
	s_load_b128 s[4:7], s[16:17], 0x148
	s_load_b64 s[2:3], s[16:17], 0x160
	s_cmp_lg_u32 s30, 0
	s_add_nc_u64 s[22:23], s[16:17], 0xc4
	s_cselect_b32 s38, -1, 0
	s_min_u32 s37, s31, 15
	s_cmp_gt_u32 s30, 1
	s_cselect_b32 s35, -1, 0
	s_wait_kmcnt 0x0
	s_mov_b32 s18, s9
	s_mov_b32 s20, s0
	s_cmp_eq_u32 s21, 0
	s_mov_b32 s21, s19
	s_cselect_b32 s0, -1, 0
	s_mov_b32 s9, exec_lo
	v_cmpx_gt_i32_e64 s36, v0
	s_cbranch_execz .LBB93_14
; %bb.2:
	s_and_not1_b32 vcc_lo, exec_lo, s33
	s_cbranch_vccnz .LBB93_21
; %bb.3:
	s_and_not1_b32 vcc_lo, exec_lo, s38
	s_cbranch_vccnz .LBB93_129
; %bb.4:
	s_add_co_i32 s25, s37, 1
	s_cmp_eq_u32 s31, 2
	s_cbranch_scc1 .LBB93_131
; %bb.5:
	v_dual_mov_b32 v2, 0 :: v_dual_mov_b32 v3, 0
	v_mov_b32_e32 v1, v0
	s_and_b32 s24, s25, 28
	s_mov_b32 s39, 0
	s_mov_b64 s[26:27], s[16:17]
	s_mov_b64 s[28:29], s[22:23]
.LBB93_6:                               ; =>This Inner Loop Header: Depth=1
	s_clause 0x1
	s_load_b256 s[40:47], s[26:27], 0x4
	s_load_b128 s[56:59], s[26:27], 0x24
	s_load_b256 s[48:55], s[28:29], 0x0
	s_add_co_i32 s39, s39, 4
	s_wait_xcnt 0x0
	s_add_nc_u64 s[26:27], s[26:27], 48
	s_cmp_lg_u32 s24, s39
	s_add_nc_u64 s[28:29], s[28:29], 32
	s_wait_kmcnt 0x0
	v_mul_hi_u32 v4, s41, v1
	s_delay_alu instid0(VALU_DEP_1) | instskip(NEXT) | instid1(VALU_DEP_1)
	v_add_nc_u32_e32 v4, v1, v4
	v_lshrrev_b32_e32 v4, s42, v4
	s_delay_alu instid0(VALU_DEP_1) | instskip(NEXT) | instid1(VALU_DEP_1)
	v_mul_hi_u32 v5, s44, v4
	v_add_nc_u32_e32 v5, v4, v5
	s_delay_alu instid0(VALU_DEP_1) | instskip(NEXT) | instid1(VALU_DEP_1)
	v_lshrrev_b32_e32 v5, s45, v5
	v_mul_hi_u32 v6, s47, v5
	s_delay_alu instid0(VALU_DEP_1) | instskip(SKIP_1) | instid1(VALU_DEP_1)
	v_add_nc_u32_e32 v6, v5, v6
	v_mul_lo_u32 v7, v4, s40
	v_sub_nc_u32_e32 v1, v1, v7
	v_mul_lo_u32 v7, v5, s43
	s_delay_alu instid0(VALU_DEP_4) | instskip(NEXT) | instid1(VALU_DEP_3)
	v_lshrrev_b32_e32 v6, s56, v6
	v_mad_u32 v3, v1, s49, v3
	v_mad_u32 v1, v1, s48, v2
	s_delay_alu instid0(VALU_DEP_4) | instskip(NEXT) | instid1(VALU_DEP_4)
	v_sub_nc_u32_e32 v2, v4, v7
	v_mul_hi_u32 v8, s58, v6
	v_mul_lo_u32 v4, v6, s46
	s_delay_alu instid0(VALU_DEP_3) | instskip(SKIP_1) | instid1(VALU_DEP_4)
	v_mad_u32 v3, v2, s51, v3
	v_mad_u32 v2, v2, s50, v1
	v_add_nc_u32_e32 v7, v6, v8
	s_delay_alu instid0(VALU_DEP_1) | instskip(NEXT) | instid1(VALU_DEP_1)
	v_dual_sub_nc_u32 v4, v5, v4 :: v_dual_lshrrev_b32 v1, s59, v7
	v_mad_u32 v3, v4, s53, v3
	s_delay_alu instid0(VALU_DEP_4) | instskip(NEXT) | instid1(VALU_DEP_3)
	v_mad_u32 v2, v4, s52, v2
	v_mul_lo_u32 v5, v1, s57
	s_delay_alu instid0(VALU_DEP_1) | instskip(NEXT) | instid1(VALU_DEP_1)
	v_sub_nc_u32_e32 v4, v6, v5
	v_mad_u32 v3, v4, s55, v3
	s_delay_alu instid0(VALU_DEP_4)
	v_mad_u32 v2, v4, s54, v2
	s_cbranch_scc1 .LBB93_6
	s_branch .LBB93_132
.LBB93_7:
	s_and_not1_saveexec_b32 s0, s34
	s_cbranch_execz .LBB93_221
.LBB93_8:
	v_cndmask_b32_e64 v14, 0, 1, s33
	s_and_not1_b32 vcc_lo, exec_lo, s33
	s_cbranch_vccnz .LBB93_20
; %bb.9:
	s_cmp_lg_u32 s30, 0
	s_mov_b32 s6, 0
	s_cbranch_scc0 .LBB93_23
; %bb.10:
	s_min_u32 s1, s31, 15
	s_delay_alu instid0(SALU_CYCLE_1)
	s_add_co_i32 s1, s1, 1
	s_cmp_eq_u32 s31, 2
	s_cbranch_scc1 .LBB93_24
; %bb.11:
	v_dual_mov_b32 v2, 0 :: v_dual_mov_b32 v3, 0
	v_mov_b32_e32 v1, v0
	s_and_b32 s0, s1, 28
	s_add_nc_u64 s[2:3], s[16:17], 0xc4
	s_mov_b32 s7, 0
	s_mov_b64 s[4:5], s[16:17]
.LBB93_12:                              ; =>This Inner Loop Header: Depth=1
	s_clause 0x1
	s_load_b256 s[8:15], s[4:5], 0x4
	s_load_b128 s[36:39], s[4:5], 0x24
	s_load_b256 s[20:27], s[2:3], 0x0
	s_add_co_i32 s7, s7, 4
	s_wait_xcnt 0x0
	s_add_nc_u64 s[4:5], s[4:5], 48
	s_cmp_lg_u32 s0, s7
	s_add_nc_u64 s[2:3], s[2:3], 32
	s_wait_kmcnt 0x0
	v_mul_hi_u32 v4, s9, v1
	s_delay_alu instid0(VALU_DEP_1) | instskip(NEXT) | instid1(VALU_DEP_1)
	v_add_nc_u32_e32 v4, v1, v4
	v_lshrrev_b32_e32 v4, s10, v4
	s_delay_alu instid0(VALU_DEP_1) | instskip(NEXT) | instid1(VALU_DEP_1)
	v_mul_hi_u32 v5, s12, v4
	v_add_nc_u32_e32 v5, v4, v5
	s_delay_alu instid0(VALU_DEP_1) | instskip(NEXT) | instid1(VALU_DEP_1)
	v_lshrrev_b32_e32 v5, s13, v5
	v_mul_hi_u32 v6, s15, v5
	s_delay_alu instid0(VALU_DEP_1) | instskip(SKIP_1) | instid1(VALU_DEP_1)
	v_add_nc_u32_e32 v6, v5, v6
	v_mul_lo_u32 v7, v4, s8
	v_sub_nc_u32_e32 v1, v1, v7
	v_mul_lo_u32 v7, v5, s11
	s_delay_alu instid0(VALU_DEP_4) | instskip(NEXT) | instid1(VALU_DEP_3)
	v_lshrrev_b32_e32 v6, s36, v6
	v_mad_u32 v3, v1, s21, v3
	v_mad_u32 v1, v1, s20, v2
	s_delay_alu instid0(VALU_DEP_4) | instskip(NEXT) | instid1(VALU_DEP_4)
	v_sub_nc_u32_e32 v2, v4, v7
	v_mul_hi_u32 v8, s38, v6
	v_mul_lo_u32 v4, v6, s14
	s_delay_alu instid0(VALU_DEP_3) | instskip(SKIP_1) | instid1(VALU_DEP_4)
	v_mad_u32 v3, v2, s23, v3
	v_mad_u32 v2, v2, s22, v1
	v_add_nc_u32_e32 v7, v6, v8
	s_delay_alu instid0(VALU_DEP_1) | instskip(NEXT) | instid1(VALU_DEP_1)
	v_dual_sub_nc_u32 v4, v5, v4 :: v_dual_lshrrev_b32 v1, s39, v7
	v_mad_u32 v3, v4, s25, v3
	s_delay_alu instid0(VALU_DEP_4) | instskip(NEXT) | instid1(VALU_DEP_3)
	v_mad_u32 v2, v4, s24, v2
	v_mul_lo_u32 v5, v1, s37
	s_delay_alu instid0(VALU_DEP_1) | instskip(NEXT) | instid1(VALU_DEP_1)
	v_sub_nc_u32_e32 v4, v6, v5
	v_mad_u32 v3, v4, s27, v3
	s_delay_alu instid0(VALU_DEP_4)
	v_mad_u32 v2, v4, s26, v2
	s_cbranch_scc1 .LBB93_12
; %bb.13:
	s_and_b32 s4, s1, 3
	s_mov_b32 s1, 0
	s_cmp_eq_u32 s4, 0
	s_cbranch_scc0 .LBB93_25
	s_branch .LBB93_27
.LBB93_14:
	s_or_b32 exec_lo, exec_lo, s9
	s_delay_alu instid0(SALU_CYCLE_1)
	s_mov_b32 s9, exec_lo
	v_cmpx_gt_i32_e64 s36, v0
	s_cbranch_execz .LBB93_139
.LBB93_15:
	s_and_not1_b32 vcc_lo, exec_lo, s33
	s_cbranch_vccnz .LBB93_22
; %bb.16:
	s_and_not1_b32 vcc_lo, exec_lo, s38
	s_cbranch_vccnz .LBB93_130
; %bb.17:
	s_add_co_i32 s25, s37, 1
	s_cmp_eq_u32 s31, 2
	s_cbranch_scc1 .LBB93_147
; %bb.18:
	v_dual_mov_b32 v2, 0 :: v_dual_mov_b32 v3, 0
	v_mov_b32_e32 v1, v0
	s_and_b32 s24, s25, 28
	s_mov_b32 s39, 0
	s_mov_b64 s[26:27], s[16:17]
	s_mov_b64 s[28:29], s[22:23]
.LBB93_19:                              ; =>This Inner Loop Header: Depth=1
	s_clause 0x1
	s_load_b256 s[40:47], s[26:27], 0x4
	s_load_b128 s[56:59], s[26:27], 0x24
	s_load_b256 s[48:55], s[28:29], 0x0
	s_add_co_i32 s39, s39, 4
	s_wait_xcnt 0x0
	s_add_nc_u64 s[26:27], s[26:27], 48
	s_cmp_eq_u32 s24, s39
	s_add_nc_u64 s[28:29], s[28:29], 32
	s_wait_kmcnt 0x0
	v_mul_hi_u32 v4, s41, v1
	s_delay_alu instid0(VALU_DEP_1) | instskip(NEXT) | instid1(VALU_DEP_1)
	v_add_nc_u32_e32 v4, v1, v4
	v_lshrrev_b32_e32 v4, s42, v4
	s_delay_alu instid0(VALU_DEP_1) | instskip(NEXT) | instid1(VALU_DEP_1)
	v_mul_hi_u32 v5, s44, v4
	v_add_nc_u32_e32 v5, v4, v5
	s_delay_alu instid0(VALU_DEP_1) | instskip(NEXT) | instid1(VALU_DEP_1)
	v_lshrrev_b32_e32 v5, s45, v5
	v_mul_hi_u32 v6, s47, v5
	s_delay_alu instid0(VALU_DEP_1) | instskip(SKIP_1) | instid1(VALU_DEP_1)
	v_add_nc_u32_e32 v6, v5, v6
	v_mul_lo_u32 v7, v4, s40
	v_sub_nc_u32_e32 v1, v1, v7
	v_mul_lo_u32 v7, v5, s43
	s_delay_alu instid0(VALU_DEP_4) | instskip(NEXT) | instid1(VALU_DEP_3)
	v_lshrrev_b32_e32 v6, s56, v6
	v_mad_u32 v3, v1, s49, v3
	v_mad_u32 v1, v1, s48, v2
	s_delay_alu instid0(VALU_DEP_4) | instskip(NEXT) | instid1(VALU_DEP_4)
	v_sub_nc_u32_e32 v2, v4, v7
	v_mul_hi_u32 v8, s58, v6
	v_mul_lo_u32 v4, v6, s46
	s_delay_alu instid0(VALU_DEP_3) | instskip(SKIP_1) | instid1(VALU_DEP_4)
	v_mad_u32 v3, v2, s51, v3
	v_mad_u32 v2, v2, s50, v1
	v_add_nc_u32_e32 v7, v6, v8
	s_delay_alu instid0(VALU_DEP_1) | instskip(NEXT) | instid1(VALU_DEP_1)
	v_dual_sub_nc_u32 v4, v5, v4 :: v_dual_lshrrev_b32 v1, s59, v7
	v_mad_u32 v3, v4, s53, v3
	s_delay_alu instid0(VALU_DEP_4) | instskip(NEXT) | instid1(VALU_DEP_3)
	v_mad_u32 v2, v4, s52, v2
	v_mul_lo_u32 v5, v1, s57
	s_delay_alu instid0(VALU_DEP_1) | instskip(NEXT) | instid1(VALU_DEP_1)
	v_sub_nc_u32_e32 v4, v6, v5
	v_mad_u32 v3, v4, s55, v3
	s_delay_alu instid0(VALU_DEP_4)
	v_mad_u32 v2, v4, s54, v2
	s_cbranch_scc0 .LBB93_19
	s_branch .LBB93_148
.LBB93_20:
	s_mov_b32 s6, -1
                                        ; implicit-def: $vgpr3
	s_branch .LBB93_27
.LBB93_21:
                                        ; implicit-def: $vgpr3
	s_branch .LBB93_136
.LBB93_22:
                                        ; implicit-def: $vgpr3
	s_branch .LBB93_152
.LBB93_23:
	v_dual_mov_b32 v3, 0 :: v_dual_mov_b32 v2, 0
	s_branch .LBB93_27
.LBB93_24:
	v_mov_b64_e32 v[2:3], 0
	v_mov_b32_e32 v1, v0
	s_mov_b32 s0, 0
	s_and_b32 s4, s1, 3
	s_mov_b32 s1, 0
	s_cmp_eq_u32 s4, 0
	s_cbranch_scc1 .LBB93_27
.LBB93_25:
	s_lshl_b32 s2, s0, 3
	s_mov_b32 s3, s1
	s_mul_u64 s[8:9], s[0:1], 12
	s_add_nc_u64 s[2:3], s[16:17], s[2:3]
	s_delay_alu instid0(SALU_CYCLE_1)
	s_add_nc_u64 s[0:1], s[2:3], 0xc4
	s_add_nc_u64 s[2:3], s[16:17], s[8:9]
.LBB93_26:                              ; =>This Inner Loop Header: Depth=1
	s_load_b96 s[8:10], s[2:3], 0x4
	s_add_co_i32 s4, s4, -1
	s_wait_xcnt 0x0
	s_add_nc_u64 s[2:3], s[2:3], 12
	s_cmp_lg_u32 s4, 0
	s_wait_kmcnt 0x0
	v_mul_hi_u32 v4, s9, v1
	s_delay_alu instid0(VALU_DEP_1) | instskip(NEXT) | instid1(VALU_DEP_1)
	v_add_nc_u32_e32 v4, v1, v4
	v_lshrrev_b32_e32 v4, s10, v4
	s_load_b64 s[10:11], s[0:1], 0x0
	s_wait_xcnt 0x0
	s_add_nc_u64 s[0:1], s[0:1], 8
	s_delay_alu instid0(VALU_DEP_1) | instskip(NEXT) | instid1(VALU_DEP_1)
	v_mul_lo_u32 v5, v4, s8
	v_sub_nc_u32_e32 v1, v1, v5
	s_wait_kmcnt 0x0
	s_delay_alu instid0(VALU_DEP_1)
	v_mad_u32 v3, v1, s11, v3
	v_mad_u32 v2, v1, s10, v2
	v_mov_b32_e32 v1, v4
	s_cbranch_scc1 .LBB93_26
.LBB93_27:
	s_and_not1_b32 vcc_lo, exec_lo, s6
	s_cbranch_vccnz .LBB93_30
; %bb.28:
	s_clause 0x1
	s_load_b96 s[0:2], s[16:17], 0x4
	s_load_b64 s[4:5], s[16:17], 0xc4
	s_cmp_lt_u32 s30, 2
	s_wait_kmcnt 0x0
	v_mul_hi_u32 v1, s1, v0
	s_delay_alu instid0(VALU_DEP_1) | instskip(NEXT) | instid1(VALU_DEP_1)
	v_add_nc_u32_e32 v1, v0, v1
	v_lshrrev_b32_e32 v1, s2, v1
	s_delay_alu instid0(VALU_DEP_1) | instskip(NEXT) | instid1(VALU_DEP_1)
	v_mul_lo_u32 v2, v1, s0
	v_sub_nc_u32_e32 v2, v0, v2
	s_delay_alu instid0(VALU_DEP_1)
	v_mul_lo_u32 v3, v2, s5
	v_mul_lo_u32 v2, v2, s4
	s_cbranch_scc1 .LBB93_30
; %bb.29:
	s_clause 0x1
	s_load_b96 s[0:2], s[16:17], 0x10
	s_load_b64 s[4:5], s[16:17], 0xcc
	s_wait_kmcnt 0x0
	v_mul_hi_u32 v4, s1, v1
	s_delay_alu instid0(VALU_DEP_1) | instskip(NEXT) | instid1(VALU_DEP_1)
	v_add_nc_u32_e32 v4, v1, v4
	v_lshrrev_b32_e32 v4, s2, v4
	s_delay_alu instid0(VALU_DEP_1) | instskip(NEXT) | instid1(VALU_DEP_1)
	v_mul_lo_u32 v4, v4, s0
	v_sub_nc_u32_e32 v1, v1, v4
	s_delay_alu instid0(VALU_DEP_1)
	v_mad_u32 v2, v1, s4, v2
	v_mad_u32 v3, v1, s5, v3
.LBB93_30:
	v_cmp_ne_u32_e32 vcc_lo, 1, v14
	v_add_nc_u32_e32 v1, 0x80, v0
	s_cbranch_vccnz .LBB93_36
; %bb.31:
	s_cmp_lg_u32 s30, 0
	s_mov_b32 s6, 0
	s_cbranch_scc0 .LBB93_37
; %bb.32:
	s_min_u32 s1, s31, 15
	s_delay_alu instid0(SALU_CYCLE_1)
	s_add_co_i32 s1, s1, 1
	s_cmp_eq_u32 s31, 2
	s_cbranch_scc1 .LBB93_38
; %bb.33:
	v_dual_mov_b32 v4, 0 :: v_dual_mov_b32 v5, 0
	v_mov_b32_e32 v6, v1
	s_and_b32 s0, s1, 28
	s_add_nc_u64 s[2:3], s[16:17], 0xc4
	s_mov_b32 s7, 0
	s_mov_b64 s[4:5], s[16:17]
.LBB93_34:                              ; =>This Inner Loop Header: Depth=1
	s_clause 0x1
	s_load_b256 s[8:15], s[4:5], 0x4
	s_load_b128 s[36:39], s[4:5], 0x24
	s_load_b256 s[20:27], s[2:3], 0x0
	s_add_co_i32 s7, s7, 4
	s_wait_xcnt 0x0
	s_add_nc_u64 s[4:5], s[4:5], 48
	s_cmp_lg_u32 s0, s7
	s_add_nc_u64 s[2:3], s[2:3], 32
	s_wait_kmcnt 0x0
	v_mul_hi_u32 v7, s9, v6
	s_delay_alu instid0(VALU_DEP_1) | instskip(NEXT) | instid1(VALU_DEP_1)
	v_add_nc_u32_e32 v7, v6, v7
	v_lshrrev_b32_e32 v7, s10, v7
	s_delay_alu instid0(VALU_DEP_1) | instskip(NEXT) | instid1(VALU_DEP_1)
	v_mul_hi_u32 v8, s12, v7
	v_add_nc_u32_e32 v8, v7, v8
	s_delay_alu instid0(VALU_DEP_1) | instskip(NEXT) | instid1(VALU_DEP_1)
	v_lshrrev_b32_e32 v8, s13, v8
	v_mul_hi_u32 v9, s15, v8
	s_delay_alu instid0(VALU_DEP_1) | instskip(SKIP_1) | instid1(VALU_DEP_1)
	v_add_nc_u32_e32 v9, v8, v9
	v_mul_lo_u32 v10, v7, s8
	v_sub_nc_u32_e32 v6, v6, v10
	v_mul_lo_u32 v10, v8, s11
	s_delay_alu instid0(VALU_DEP_4) | instskip(NEXT) | instid1(VALU_DEP_3)
	v_lshrrev_b32_e32 v9, s36, v9
	v_mad_u32 v5, v6, s21, v5
	v_mad_u32 v4, v6, s20, v4
	s_delay_alu instid0(VALU_DEP_4) | instskip(NEXT) | instid1(VALU_DEP_4)
	v_sub_nc_u32_e32 v6, v7, v10
	v_mul_hi_u32 v11, s38, v9
	v_mul_lo_u32 v7, v9, s14
	s_delay_alu instid0(VALU_DEP_3) | instskip(SKIP_1) | instid1(VALU_DEP_4)
	v_mad_u32 v5, v6, s23, v5
	v_mad_u32 v4, v6, s22, v4
	v_add_nc_u32_e32 v10, v9, v11
	s_delay_alu instid0(VALU_DEP_1) | instskip(NEXT) | instid1(VALU_DEP_1)
	v_dual_sub_nc_u32 v7, v8, v7 :: v_dual_lshrrev_b32 v6, s39, v10
	v_mad_u32 v5, v7, s25, v5
	s_delay_alu instid0(VALU_DEP_4) | instskip(NEXT) | instid1(VALU_DEP_3)
	v_mad_u32 v4, v7, s24, v4
	v_mul_lo_u32 v8, v6, s37
	s_delay_alu instid0(VALU_DEP_1) | instskip(NEXT) | instid1(VALU_DEP_1)
	v_sub_nc_u32_e32 v7, v9, v8
	v_mad_u32 v5, v7, s27, v5
	s_delay_alu instid0(VALU_DEP_4)
	v_mad_u32 v4, v7, s26, v4
	s_cbranch_scc1 .LBB93_34
; %bb.35:
	s_and_b32 s4, s1, 3
	s_mov_b32 s1, 0
	s_cmp_eq_u32 s4, 0
	s_cbranch_scc0 .LBB93_39
	s_branch .LBB93_41
.LBB93_36:
	s_mov_b32 s6, -1
                                        ; implicit-def: $vgpr5
	s_branch .LBB93_41
.LBB93_37:
	v_dual_mov_b32 v5, 0 :: v_dual_mov_b32 v4, 0
	s_branch .LBB93_41
.LBB93_38:
	v_mov_b64_e32 v[4:5], 0
	v_mov_b32_e32 v6, v1
	s_mov_b32 s0, 0
	s_and_b32 s4, s1, 3
	s_mov_b32 s1, 0
	s_cmp_eq_u32 s4, 0
	s_cbranch_scc1 .LBB93_41
.LBB93_39:
	s_lshl_b32 s2, s0, 3
	s_mov_b32 s3, s1
	s_mul_u64 s[8:9], s[0:1], 12
	s_add_nc_u64 s[2:3], s[16:17], s[2:3]
	s_delay_alu instid0(SALU_CYCLE_1)
	s_add_nc_u64 s[0:1], s[2:3], 0xc4
	s_add_nc_u64 s[2:3], s[16:17], s[8:9]
.LBB93_40:                              ; =>This Inner Loop Header: Depth=1
	s_load_b96 s[8:10], s[2:3], 0x4
	s_add_co_i32 s4, s4, -1
	s_wait_xcnt 0x0
	s_add_nc_u64 s[2:3], s[2:3], 12
	s_cmp_lg_u32 s4, 0
	s_wait_kmcnt 0x0
	v_mul_hi_u32 v7, s9, v6
	s_delay_alu instid0(VALU_DEP_1) | instskip(NEXT) | instid1(VALU_DEP_1)
	v_add_nc_u32_e32 v7, v6, v7
	v_lshrrev_b32_e32 v7, s10, v7
	s_load_b64 s[10:11], s[0:1], 0x0
	s_wait_xcnt 0x0
	s_add_nc_u64 s[0:1], s[0:1], 8
	s_delay_alu instid0(VALU_DEP_1) | instskip(NEXT) | instid1(VALU_DEP_1)
	v_mul_lo_u32 v8, v7, s8
	v_sub_nc_u32_e32 v6, v6, v8
	s_wait_kmcnt 0x0
	s_delay_alu instid0(VALU_DEP_1)
	v_mad_u32 v5, v6, s11, v5
	v_mad_u32 v4, v6, s10, v4
	v_mov_b32_e32 v6, v7
	s_cbranch_scc1 .LBB93_40
.LBB93_41:
	s_and_not1_b32 vcc_lo, exec_lo, s6
	s_cbranch_vccnz .LBB93_44
; %bb.42:
	s_clause 0x1
	s_load_b96 s[0:2], s[16:17], 0x4
	s_load_b64 s[4:5], s[16:17], 0xc4
	s_cmp_lt_u32 s30, 2
	s_wait_kmcnt 0x0
	v_mul_hi_u32 v4, s1, v1
	s_delay_alu instid0(VALU_DEP_1) | instskip(NEXT) | instid1(VALU_DEP_1)
	v_add_nc_u32_e32 v4, v1, v4
	v_lshrrev_b32_e32 v6, s2, v4
	s_delay_alu instid0(VALU_DEP_1) | instskip(NEXT) | instid1(VALU_DEP_1)
	v_mul_lo_u32 v4, v6, s0
	v_sub_nc_u32_e32 v1, v1, v4
	s_delay_alu instid0(VALU_DEP_1)
	v_mul_lo_u32 v5, v1, s5
	v_mul_lo_u32 v4, v1, s4
	s_cbranch_scc1 .LBB93_44
; %bb.43:
	s_clause 0x1
	s_load_b96 s[0:2], s[16:17], 0x10
	s_load_b64 s[4:5], s[16:17], 0xcc
	s_wait_kmcnt 0x0
	v_mul_hi_u32 v1, s1, v6
	s_delay_alu instid0(VALU_DEP_1) | instskip(NEXT) | instid1(VALU_DEP_1)
	v_add_nc_u32_e32 v1, v6, v1
	v_lshrrev_b32_e32 v1, s2, v1
	s_delay_alu instid0(VALU_DEP_1) | instskip(NEXT) | instid1(VALU_DEP_1)
	v_mul_lo_u32 v1, v1, s0
	v_sub_nc_u32_e32 v1, v6, v1
	s_delay_alu instid0(VALU_DEP_1)
	v_mad_u32 v4, v1, s4, v4
	v_mad_u32 v5, v1, s5, v5
.LBB93_44:
	v_cmp_ne_u32_e32 vcc_lo, 1, v14
	v_add_nc_u32_e32 v1, 0x100, v0
	s_cbranch_vccnz .LBB93_50
; %bb.45:
	s_cmp_lg_u32 s30, 0
	s_mov_b32 s6, 0
	s_cbranch_scc0 .LBB93_51
; %bb.46:
	s_min_u32 s1, s31, 15
	s_delay_alu instid0(SALU_CYCLE_1)
	s_add_co_i32 s1, s1, 1
	s_cmp_eq_u32 s31, 2
	s_cbranch_scc1 .LBB93_52
; %bb.47:
	v_dual_mov_b32 v6, 0 :: v_dual_mov_b32 v7, 0
	v_mov_b32_e32 v8, v1
	s_and_b32 s0, s1, 28
	s_add_nc_u64 s[2:3], s[16:17], 0xc4
	s_mov_b32 s7, 0
	s_mov_b64 s[4:5], s[16:17]
.LBB93_48:                              ; =>This Inner Loop Header: Depth=1
	s_clause 0x1
	s_load_b256 s[8:15], s[4:5], 0x4
	s_load_b128 s[36:39], s[4:5], 0x24
	s_load_b256 s[20:27], s[2:3], 0x0
	s_add_co_i32 s7, s7, 4
	s_wait_xcnt 0x0
	s_add_nc_u64 s[4:5], s[4:5], 48
	s_cmp_lg_u32 s0, s7
	s_add_nc_u64 s[2:3], s[2:3], 32
	s_wait_kmcnt 0x0
	v_mul_hi_u32 v9, s9, v8
	s_delay_alu instid0(VALU_DEP_1) | instskip(NEXT) | instid1(VALU_DEP_1)
	v_add_nc_u32_e32 v9, v8, v9
	v_lshrrev_b32_e32 v9, s10, v9
	s_delay_alu instid0(VALU_DEP_1) | instskip(NEXT) | instid1(VALU_DEP_1)
	v_mul_hi_u32 v10, s12, v9
	v_add_nc_u32_e32 v10, v9, v10
	s_delay_alu instid0(VALU_DEP_1) | instskip(NEXT) | instid1(VALU_DEP_1)
	v_lshrrev_b32_e32 v10, s13, v10
	v_mul_hi_u32 v11, s15, v10
	s_delay_alu instid0(VALU_DEP_1) | instskip(SKIP_1) | instid1(VALU_DEP_1)
	v_add_nc_u32_e32 v11, v10, v11
	v_mul_lo_u32 v12, v9, s8
	v_sub_nc_u32_e32 v8, v8, v12
	v_mul_lo_u32 v12, v10, s11
	s_delay_alu instid0(VALU_DEP_4) | instskip(NEXT) | instid1(VALU_DEP_3)
	v_lshrrev_b32_e32 v11, s36, v11
	v_mad_u32 v7, v8, s21, v7
	v_mad_u32 v6, v8, s20, v6
	s_delay_alu instid0(VALU_DEP_4) | instskip(NEXT) | instid1(VALU_DEP_4)
	v_sub_nc_u32_e32 v8, v9, v12
	v_mul_hi_u32 v13, s38, v11
	v_mul_lo_u32 v9, v11, s14
	s_delay_alu instid0(VALU_DEP_3) | instskip(SKIP_1) | instid1(VALU_DEP_4)
	v_mad_u32 v7, v8, s23, v7
	v_mad_u32 v6, v8, s22, v6
	v_add_nc_u32_e32 v12, v11, v13
	s_delay_alu instid0(VALU_DEP_1) | instskip(NEXT) | instid1(VALU_DEP_1)
	v_dual_sub_nc_u32 v9, v10, v9 :: v_dual_lshrrev_b32 v8, s39, v12
	v_mad_u32 v7, v9, s25, v7
	s_delay_alu instid0(VALU_DEP_4) | instskip(NEXT) | instid1(VALU_DEP_3)
	v_mad_u32 v6, v9, s24, v6
	v_mul_lo_u32 v10, v8, s37
	s_delay_alu instid0(VALU_DEP_1) | instskip(NEXT) | instid1(VALU_DEP_1)
	v_sub_nc_u32_e32 v9, v11, v10
	v_mad_u32 v7, v9, s27, v7
	s_delay_alu instid0(VALU_DEP_4)
	v_mad_u32 v6, v9, s26, v6
	s_cbranch_scc1 .LBB93_48
; %bb.49:
	s_and_b32 s4, s1, 3
	s_mov_b32 s1, 0
	s_cmp_eq_u32 s4, 0
	s_cbranch_scc0 .LBB93_53
	s_branch .LBB93_55
.LBB93_50:
	s_mov_b32 s6, -1
                                        ; implicit-def: $vgpr7
	s_branch .LBB93_55
.LBB93_51:
	v_dual_mov_b32 v7, 0 :: v_dual_mov_b32 v6, 0
	s_branch .LBB93_55
.LBB93_52:
	v_mov_b64_e32 v[6:7], 0
	v_mov_b32_e32 v8, v1
	s_mov_b32 s0, 0
	s_and_b32 s4, s1, 3
	s_mov_b32 s1, 0
	s_cmp_eq_u32 s4, 0
	s_cbranch_scc1 .LBB93_55
.LBB93_53:
	s_lshl_b32 s2, s0, 3
	s_mov_b32 s3, s1
	s_mul_u64 s[8:9], s[0:1], 12
	s_add_nc_u64 s[2:3], s[16:17], s[2:3]
	s_delay_alu instid0(SALU_CYCLE_1)
	s_add_nc_u64 s[0:1], s[2:3], 0xc4
	s_add_nc_u64 s[2:3], s[16:17], s[8:9]
.LBB93_54:                              ; =>This Inner Loop Header: Depth=1
	s_load_b96 s[8:10], s[2:3], 0x4
	s_add_co_i32 s4, s4, -1
	s_wait_xcnt 0x0
	s_add_nc_u64 s[2:3], s[2:3], 12
	s_cmp_lg_u32 s4, 0
	s_wait_kmcnt 0x0
	v_mul_hi_u32 v9, s9, v8
	s_delay_alu instid0(VALU_DEP_1) | instskip(NEXT) | instid1(VALU_DEP_1)
	v_add_nc_u32_e32 v9, v8, v9
	v_lshrrev_b32_e32 v9, s10, v9
	s_load_b64 s[10:11], s[0:1], 0x0
	s_wait_xcnt 0x0
	s_add_nc_u64 s[0:1], s[0:1], 8
	s_delay_alu instid0(VALU_DEP_1) | instskip(NEXT) | instid1(VALU_DEP_1)
	v_mul_lo_u32 v10, v9, s8
	v_sub_nc_u32_e32 v8, v8, v10
	s_wait_kmcnt 0x0
	s_delay_alu instid0(VALU_DEP_1)
	v_mad_u32 v7, v8, s11, v7
	v_mad_u32 v6, v8, s10, v6
	v_mov_b32_e32 v8, v9
	s_cbranch_scc1 .LBB93_54
.LBB93_55:
	s_and_not1_b32 vcc_lo, exec_lo, s6
	s_cbranch_vccnz .LBB93_58
; %bb.56:
	s_clause 0x1
	s_load_b96 s[0:2], s[16:17], 0x4
	s_load_b64 s[4:5], s[16:17], 0xc4
	s_cmp_lt_u32 s30, 2
	s_wait_kmcnt 0x0
	v_mul_hi_u32 v6, s1, v1
	s_delay_alu instid0(VALU_DEP_1) | instskip(NEXT) | instid1(VALU_DEP_1)
	v_add_nc_u32_e32 v6, v1, v6
	v_lshrrev_b32_e32 v8, s2, v6
	s_delay_alu instid0(VALU_DEP_1) | instskip(NEXT) | instid1(VALU_DEP_1)
	v_mul_lo_u32 v6, v8, s0
	v_sub_nc_u32_e32 v1, v1, v6
	s_delay_alu instid0(VALU_DEP_1)
	v_mul_lo_u32 v7, v1, s5
	v_mul_lo_u32 v6, v1, s4
	s_cbranch_scc1 .LBB93_58
; %bb.57:
	s_clause 0x1
	s_load_b96 s[0:2], s[16:17], 0x10
	s_load_b64 s[4:5], s[16:17], 0xcc
	s_wait_kmcnt 0x0
	v_mul_hi_u32 v1, s1, v8
	s_delay_alu instid0(VALU_DEP_1) | instskip(NEXT) | instid1(VALU_DEP_1)
	v_add_nc_u32_e32 v1, v8, v1
	v_lshrrev_b32_e32 v1, s2, v1
	s_delay_alu instid0(VALU_DEP_1) | instskip(NEXT) | instid1(VALU_DEP_1)
	v_mul_lo_u32 v1, v1, s0
	v_sub_nc_u32_e32 v1, v8, v1
	s_delay_alu instid0(VALU_DEP_1)
	v_mad_u32 v6, v1, s4, v6
	v_mad_u32 v7, v1, s5, v7
.LBB93_58:
	v_cmp_ne_u32_e32 vcc_lo, 1, v14
	v_add_nc_u32_e32 v1, 0x180, v0
	s_cbranch_vccnz .LBB93_64
; %bb.59:
	s_cmp_lg_u32 s30, 0
	s_mov_b32 s6, 0
	s_cbranch_scc0 .LBB93_65
; %bb.60:
	s_min_u32 s1, s31, 15
	s_delay_alu instid0(SALU_CYCLE_1)
	s_add_co_i32 s1, s1, 1
	s_cmp_eq_u32 s31, 2
	s_cbranch_scc1 .LBB93_66
; %bb.61:
	v_dual_mov_b32 v8, 0 :: v_dual_mov_b32 v9, 0
	v_mov_b32_e32 v10, v1
	s_and_b32 s0, s1, 28
	s_add_nc_u64 s[2:3], s[16:17], 0xc4
	s_mov_b32 s7, 0
	s_mov_b64 s[4:5], s[16:17]
.LBB93_62:                              ; =>This Inner Loop Header: Depth=1
	s_clause 0x1
	s_load_b256 s[8:15], s[4:5], 0x4
	s_load_b128 s[36:39], s[4:5], 0x24
	s_load_b256 s[20:27], s[2:3], 0x0
	s_add_co_i32 s7, s7, 4
	s_wait_xcnt 0x0
	s_add_nc_u64 s[4:5], s[4:5], 48
	s_cmp_lg_u32 s0, s7
	s_add_nc_u64 s[2:3], s[2:3], 32
	s_wait_kmcnt 0x0
	v_mul_hi_u32 v11, s9, v10
	s_delay_alu instid0(VALU_DEP_1) | instskip(NEXT) | instid1(VALU_DEP_1)
	v_add_nc_u32_e32 v11, v10, v11
	v_lshrrev_b32_e32 v11, s10, v11
	s_delay_alu instid0(VALU_DEP_1) | instskip(NEXT) | instid1(VALU_DEP_1)
	v_mul_hi_u32 v12, s12, v11
	v_add_nc_u32_e32 v12, v11, v12
	s_delay_alu instid0(VALU_DEP_1) | instskip(NEXT) | instid1(VALU_DEP_1)
	v_lshrrev_b32_e32 v12, s13, v12
	v_mul_hi_u32 v13, s15, v12
	s_delay_alu instid0(VALU_DEP_1) | instskip(SKIP_1) | instid1(VALU_DEP_1)
	v_add_nc_u32_e32 v13, v12, v13
	v_mul_lo_u32 v15, v11, s8
	v_sub_nc_u32_e32 v10, v10, v15
	v_mul_lo_u32 v15, v12, s11
	s_delay_alu instid0(VALU_DEP_4) | instskip(NEXT) | instid1(VALU_DEP_3)
	v_lshrrev_b32_e32 v13, s36, v13
	v_mad_u32 v9, v10, s21, v9
	v_mad_u32 v8, v10, s20, v8
	s_delay_alu instid0(VALU_DEP_4) | instskip(NEXT) | instid1(VALU_DEP_4)
	v_sub_nc_u32_e32 v10, v11, v15
	v_mul_hi_u32 v17, s38, v13
	v_mul_lo_u32 v11, v13, s14
	s_delay_alu instid0(VALU_DEP_3) | instskip(SKIP_1) | instid1(VALU_DEP_3)
	v_mad_u32 v9, v10, s23, v9
	v_mad_u32 v8, v10, s22, v8
	v_dual_add_nc_u32 v15, v13, v17 :: v_dual_sub_nc_u32 v11, v12, v11
	s_delay_alu instid0(VALU_DEP_1) | instskip(NEXT) | instid1(VALU_DEP_2)
	v_lshrrev_b32_e32 v10, s39, v15
	v_mad_u32 v9, v11, s25, v9
	s_delay_alu instid0(VALU_DEP_4) | instskip(NEXT) | instid1(VALU_DEP_3)
	v_mad_u32 v8, v11, s24, v8
	v_mul_lo_u32 v12, v10, s37
	s_delay_alu instid0(VALU_DEP_1) | instskip(NEXT) | instid1(VALU_DEP_1)
	v_sub_nc_u32_e32 v11, v13, v12
	v_mad_u32 v9, v11, s27, v9
	s_delay_alu instid0(VALU_DEP_4)
	v_mad_u32 v8, v11, s26, v8
	s_cbranch_scc1 .LBB93_62
; %bb.63:
	s_and_b32 s4, s1, 3
	s_mov_b32 s1, 0
	s_cmp_eq_u32 s4, 0
	s_cbranch_scc0 .LBB93_67
	s_branch .LBB93_69
.LBB93_64:
	s_mov_b32 s6, -1
                                        ; implicit-def: $vgpr9
	s_branch .LBB93_69
.LBB93_65:
	v_dual_mov_b32 v9, 0 :: v_dual_mov_b32 v8, 0
	s_branch .LBB93_69
.LBB93_66:
	v_mov_b64_e32 v[8:9], 0
	v_mov_b32_e32 v10, v1
	s_mov_b32 s0, 0
	s_and_b32 s4, s1, 3
	s_mov_b32 s1, 0
	s_cmp_eq_u32 s4, 0
	s_cbranch_scc1 .LBB93_69
.LBB93_67:
	s_lshl_b32 s2, s0, 3
	s_mov_b32 s3, s1
	s_mul_u64 s[8:9], s[0:1], 12
	s_add_nc_u64 s[2:3], s[16:17], s[2:3]
	s_delay_alu instid0(SALU_CYCLE_1)
	s_add_nc_u64 s[0:1], s[2:3], 0xc4
	s_add_nc_u64 s[2:3], s[16:17], s[8:9]
.LBB93_68:                              ; =>This Inner Loop Header: Depth=1
	s_load_b96 s[8:10], s[2:3], 0x4
	s_add_co_i32 s4, s4, -1
	s_wait_xcnt 0x0
	s_add_nc_u64 s[2:3], s[2:3], 12
	s_cmp_lg_u32 s4, 0
	s_wait_kmcnt 0x0
	v_mul_hi_u32 v11, s9, v10
	s_delay_alu instid0(VALU_DEP_1) | instskip(NEXT) | instid1(VALU_DEP_1)
	v_add_nc_u32_e32 v11, v10, v11
	v_lshrrev_b32_e32 v11, s10, v11
	s_load_b64 s[10:11], s[0:1], 0x0
	s_wait_xcnt 0x0
	s_add_nc_u64 s[0:1], s[0:1], 8
	s_delay_alu instid0(VALU_DEP_1) | instskip(NEXT) | instid1(VALU_DEP_1)
	v_mul_lo_u32 v12, v11, s8
	v_sub_nc_u32_e32 v10, v10, v12
	s_wait_kmcnt 0x0
	s_delay_alu instid0(VALU_DEP_1)
	v_mad_u32 v9, v10, s11, v9
	v_mad_u32 v8, v10, s10, v8
	v_mov_b32_e32 v10, v11
	s_cbranch_scc1 .LBB93_68
.LBB93_69:
	s_and_not1_b32 vcc_lo, exec_lo, s6
	s_cbranch_vccnz .LBB93_72
; %bb.70:
	s_clause 0x1
	s_load_b96 s[0:2], s[16:17], 0x4
	s_load_b64 s[4:5], s[16:17], 0xc4
	s_cmp_lt_u32 s30, 2
	s_wait_kmcnt 0x0
	v_mul_hi_u32 v8, s1, v1
	s_delay_alu instid0(VALU_DEP_1) | instskip(NEXT) | instid1(VALU_DEP_1)
	v_add_nc_u32_e32 v8, v1, v8
	v_lshrrev_b32_e32 v10, s2, v8
	s_delay_alu instid0(VALU_DEP_1) | instskip(NEXT) | instid1(VALU_DEP_1)
	v_mul_lo_u32 v8, v10, s0
	v_sub_nc_u32_e32 v1, v1, v8
	s_delay_alu instid0(VALU_DEP_1)
	v_mul_lo_u32 v9, v1, s5
	v_mul_lo_u32 v8, v1, s4
	s_cbranch_scc1 .LBB93_72
; %bb.71:
	s_clause 0x1
	s_load_b96 s[0:2], s[16:17], 0x10
	s_load_b64 s[4:5], s[16:17], 0xcc
	s_wait_kmcnt 0x0
	v_mul_hi_u32 v1, s1, v10
	s_delay_alu instid0(VALU_DEP_1) | instskip(NEXT) | instid1(VALU_DEP_1)
	v_add_nc_u32_e32 v1, v10, v1
	v_lshrrev_b32_e32 v1, s2, v1
	s_delay_alu instid0(VALU_DEP_1) | instskip(NEXT) | instid1(VALU_DEP_1)
	v_mul_lo_u32 v1, v1, s0
	v_sub_nc_u32_e32 v1, v10, v1
	s_delay_alu instid0(VALU_DEP_1)
	v_mad_u32 v8, v1, s4, v8
	v_mad_u32 v9, v1, s5, v9
.LBB93_72:
	v_cmp_ne_u32_e32 vcc_lo, 1, v14
	v_add_nc_u32_e32 v1, 0x200, v0
	s_cbranch_vccnz .LBB93_78
; %bb.73:
	s_cmp_lg_u32 s30, 0
	s_mov_b32 s6, 0
	s_cbranch_scc0 .LBB93_79
; %bb.74:
	s_min_u32 s1, s31, 15
	s_delay_alu instid0(SALU_CYCLE_1)
	s_add_co_i32 s1, s1, 1
	s_cmp_eq_u32 s31, 2
	s_cbranch_scc1 .LBB93_80
; %bb.75:
	v_dual_mov_b32 v10, 0 :: v_dual_mov_b32 v11, 0
	v_mov_b32_e32 v12, v1
	s_and_b32 s0, s1, 28
	s_add_nc_u64 s[2:3], s[16:17], 0xc4
	s_mov_b32 s7, 0
	s_mov_b64 s[4:5], s[16:17]
.LBB93_76:                              ; =>This Inner Loop Header: Depth=1
	s_clause 0x1
	s_load_b256 s[8:15], s[4:5], 0x4
	s_load_b128 s[36:39], s[4:5], 0x24
	s_load_b256 s[20:27], s[2:3], 0x0
	s_add_co_i32 s7, s7, 4
	s_wait_xcnt 0x0
	s_add_nc_u64 s[4:5], s[4:5], 48
	s_cmp_lg_u32 s0, s7
	s_add_nc_u64 s[2:3], s[2:3], 32
	s_wait_kmcnt 0x0
	v_mul_hi_u32 v13, s9, v12
	s_delay_alu instid0(VALU_DEP_1) | instskip(NEXT) | instid1(VALU_DEP_1)
	v_add_nc_u32_e32 v13, v12, v13
	v_lshrrev_b32_e32 v13, s10, v13
	s_delay_alu instid0(VALU_DEP_1) | instskip(NEXT) | instid1(VALU_DEP_1)
	v_mul_lo_u32 v18, v13, s8
	v_sub_nc_u32_e32 v12, v12, v18
	v_mul_hi_u32 v15, s12, v13
	s_delay_alu instid0(VALU_DEP_2) | instskip(SKIP_1) | instid1(VALU_DEP_3)
	v_mad_u32 v11, v12, s21, v11
	v_mad_u32 v10, v12, s20, v10
	v_add_nc_u32_e32 v15, v13, v15
	s_delay_alu instid0(VALU_DEP_1) | instskip(NEXT) | instid1(VALU_DEP_1)
	v_lshrrev_b32_e32 v15, s13, v15
	v_mul_hi_u32 v17, s15, v15
	v_mul_lo_u32 v18, v15, s11
	s_delay_alu instid0(VALU_DEP_1) | instskip(NEXT) | instid1(VALU_DEP_1)
	v_dual_add_nc_u32 v17, v15, v17 :: v_dual_sub_nc_u32 v12, v13, v18
	v_lshrrev_b32_e32 v17, s36, v17
	s_delay_alu instid0(VALU_DEP_2) | instskip(SKIP_1) | instid1(VALU_DEP_3)
	v_mad_u32 v11, v12, s23, v11
	v_mad_u32 v10, v12, s22, v10
	v_mul_hi_u32 v19, s38, v17
	v_mul_lo_u32 v13, v17, s14
	s_delay_alu instid0(VALU_DEP_1) | instskip(NEXT) | instid1(VALU_DEP_1)
	v_dual_add_nc_u32 v18, v17, v19 :: v_dual_sub_nc_u32 v13, v15, v13
	v_lshrrev_b32_e32 v12, s39, v18
	s_delay_alu instid0(VALU_DEP_2) | instskip(SKIP_1) | instid1(VALU_DEP_3)
	v_mad_u32 v11, v13, s25, v11
	v_mad_u32 v10, v13, s24, v10
	v_mul_lo_u32 v15, v12, s37
	s_delay_alu instid0(VALU_DEP_1) | instskip(NEXT) | instid1(VALU_DEP_1)
	v_sub_nc_u32_e32 v13, v17, v15
	v_mad_u32 v11, v13, s27, v11
	s_delay_alu instid0(VALU_DEP_4)
	v_mad_u32 v10, v13, s26, v10
	s_cbranch_scc1 .LBB93_76
; %bb.77:
	s_and_b32 s4, s1, 3
	s_mov_b32 s1, 0
	s_cmp_eq_u32 s4, 0
	s_cbranch_scc0 .LBB93_81
	s_branch .LBB93_83
.LBB93_78:
	s_mov_b32 s6, -1
                                        ; implicit-def: $vgpr11
	s_branch .LBB93_83
.LBB93_79:
	v_dual_mov_b32 v11, 0 :: v_dual_mov_b32 v10, 0
	s_branch .LBB93_83
.LBB93_80:
	v_mov_b64_e32 v[10:11], 0
	v_mov_b32_e32 v12, v1
	s_mov_b32 s0, 0
	s_and_b32 s4, s1, 3
	s_mov_b32 s1, 0
	s_cmp_eq_u32 s4, 0
	s_cbranch_scc1 .LBB93_83
.LBB93_81:
	s_lshl_b32 s2, s0, 3
	s_mov_b32 s3, s1
	s_mul_u64 s[8:9], s[0:1], 12
	s_add_nc_u64 s[2:3], s[16:17], s[2:3]
	s_delay_alu instid0(SALU_CYCLE_1)
	s_add_nc_u64 s[0:1], s[2:3], 0xc4
	s_add_nc_u64 s[2:3], s[16:17], s[8:9]
.LBB93_82:                              ; =>This Inner Loop Header: Depth=1
	s_load_b96 s[8:10], s[2:3], 0x4
	s_add_co_i32 s4, s4, -1
	s_wait_xcnt 0x0
	s_add_nc_u64 s[2:3], s[2:3], 12
	s_cmp_lg_u32 s4, 0
	s_wait_kmcnt 0x0
	v_mul_hi_u32 v13, s9, v12
	s_delay_alu instid0(VALU_DEP_1) | instskip(NEXT) | instid1(VALU_DEP_1)
	v_add_nc_u32_e32 v13, v12, v13
	v_lshrrev_b32_e32 v13, s10, v13
	s_load_b64 s[10:11], s[0:1], 0x0
	s_wait_xcnt 0x0
	s_add_nc_u64 s[0:1], s[0:1], 8
	s_delay_alu instid0(VALU_DEP_1) | instskip(NEXT) | instid1(VALU_DEP_1)
	v_mul_lo_u32 v15, v13, s8
	v_sub_nc_u32_e32 v12, v12, v15
	s_wait_kmcnt 0x0
	s_delay_alu instid0(VALU_DEP_1)
	v_mad_u32 v11, v12, s11, v11
	v_mad_u32 v10, v12, s10, v10
	v_mov_b32_e32 v12, v13
	s_cbranch_scc1 .LBB93_82
.LBB93_83:
	s_and_not1_b32 vcc_lo, exec_lo, s6
	s_cbranch_vccnz .LBB93_86
; %bb.84:
	s_clause 0x1
	s_load_b96 s[0:2], s[16:17], 0x4
	s_load_b64 s[4:5], s[16:17], 0xc4
	s_cmp_lt_u32 s30, 2
	s_wait_kmcnt 0x0
	v_mul_hi_u32 v10, s1, v1
	s_delay_alu instid0(VALU_DEP_1) | instskip(NEXT) | instid1(VALU_DEP_1)
	v_add_nc_u32_e32 v10, v1, v10
	v_lshrrev_b32_e32 v12, s2, v10
	s_delay_alu instid0(VALU_DEP_1) | instskip(NEXT) | instid1(VALU_DEP_1)
	v_mul_lo_u32 v10, v12, s0
	v_sub_nc_u32_e32 v1, v1, v10
	s_delay_alu instid0(VALU_DEP_1)
	v_mul_lo_u32 v11, v1, s5
	v_mul_lo_u32 v10, v1, s4
	s_cbranch_scc1 .LBB93_86
; %bb.85:
	s_clause 0x1
	s_load_b96 s[0:2], s[16:17], 0x10
	s_load_b64 s[4:5], s[16:17], 0xcc
	s_wait_kmcnt 0x0
	v_mul_hi_u32 v1, s1, v12
	s_delay_alu instid0(VALU_DEP_1) | instskip(NEXT) | instid1(VALU_DEP_1)
	v_add_nc_u32_e32 v1, v12, v1
	v_lshrrev_b32_e32 v1, s2, v1
	s_delay_alu instid0(VALU_DEP_1) | instskip(NEXT) | instid1(VALU_DEP_1)
	v_mul_lo_u32 v1, v1, s0
	v_sub_nc_u32_e32 v1, v12, v1
	s_delay_alu instid0(VALU_DEP_1)
	v_mad_u32 v10, v1, s4, v10
	v_mad_u32 v11, v1, s5, v11
.LBB93_86:
	v_cmp_ne_u32_e32 vcc_lo, 1, v14
	v_add_nc_u32_e32 v1, 0x280, v0
	s_cbranch_vccnz .LBB93_92
; %bb.87:
	s_cmp_lg_u32 s30, 0
	s_mov_b32 s6, 0
	s_cbranch_scc0 .LBB93_93
; %bb.88:
	s_min_u32 s1, s31, 15
	s_delay_alu instid0(SALU_CYCLE_1)
	s_add_co_i32 s1, s1, 1
	s_cmp_eq_u32 s31, 2
	s_cbranch_scc1 .LBB93_94
; %bb.89:
	v_dual_mov_b32 v12, 0 :: v_dual_mov_b32 v13, 0
	v_mov_b32_e32 v15, v1
	s_and_b32 s0, s1, 28
	s_add_nc_u64 s[2:3], s[16:17], 0xc4
	s_mov_b32 s7, 0
	s_mov_b64 s[4:5], s[16:17]
.LBB93_90:                              ; =>This Inner Loop Header: Depth=1
	s_clause 0x1
	s_load_b256 s[8:15], s[4:5], 0x4
	s_load_b128 s[36:39], s[4:5], 0x24
	s_load_b256 s[20:27], s[2:3], 0x0
	s_add_co_i32 s7, s7, 4
	s_wait_xcnt 0x0
	s_add_nc_u64 s[4:5], s[4:5], 48
	s_cmp_lg_u32 s0, s7
	s_add_nc_u64 s[2:3], s[2:3], 32
	s_wait_kmcnt 0x0
	v_mul_hi_u32 v17, s9, v15
	s_delay_alu instid0(VALU_DEP_1) | instskip(NEXT) | instid1(VALU_DEP_1)
	v_add_nc_u32_e32 v17, v15, v17
	v_lshrrev_b32_e32 v17, s10, v17
	s_delay_alu instid0(VALU_DEP_1) | instskip(NEXT) | instid1(VALU_DEP_1)
	v_mul_hi_u32 v18, s12, v17
	v_add_nc_u32_e32 v18, v17, v18
	s_delay_alu instid0(VALU_DEP_1) | instskip(NEXT) | instid1(VALU_DEP_1)
	v_lshrrev_b32_e32 v18, s13, v18
	v_mul_hi_u32 v19, s15, v18
	s_delay_alu instid0(VALU_DEP_1) | instskip(SKIP_1) | instid1(VALU_DEP_1)
	v_add_nc_u32_e32 v19, v18, v19
	v_mul_lo_u32 v20, v17, s8
	v_sub_nc_u32_e32 v15, v15, v20
	v_mul_lo_u32 v20, v18, s11
	s_delay_alu instid0(VALU_DEP_4) | instskip(NEXT) | instid1(VALU_DEP_3)
	v_lshrrev_b32_e32 v19, s36, v19
	v_mad_u32 v13, v15, s21, v13
	v_mad_u32 v12, v15, s20, v12
	s_delay_alu instid0(VALU_DEP_4) | instskip(NEXT) | instid1(VALU_DEP_4)
	v_sub_nc_u32_e32 v15, v17, v20
	v_mul_hi_u32 v21, s38, v19
	v_mul_lo_u32 v17, v19, s14
	s_delay_alu instid0(VALU_DEP_3) | instskip(SKIP_1) | instid1(VALU_DEP_4)
	v_mad_u32 v13, v15, s23, v13
	v_mad_u32 v12, v15, s22, v12
	v_add_nc_u32_e32 v20, v19, v21
	s_delay_alu instid0(VALU_DEP_1) | instskip(NEXT) | instid1(VALU_DEP_1)
	v_dual_sub_nc_u32 v17, v18, v17 :: v_dual_lshrrev_b32 v15, s39, v20
	v_mad_u32 v13, v17, s25, v13
	s_delay_alu instid0(VALU_DEP_4) | instskip(NEXT) | instid1(VALU_DEP_3)
	v_mad_u32 v12, v17, s24, v12
	v_mul_lo_u32 v18, v15, s37
	s_delay_alu instid0(VALU_DEP_1) | instskip(NEXT) | instid1(VALU_DEP_1)
	v_sub_nc_u32_e32 v17, v19, v18
	v_mad_u32 v13, v17, s27, v13
	s_delay_alu instid0(VALU_DEP_4)
	v_mad_u32 v12, v17, s26, v12
	s_cbranch_scc1 .LBB93_90
; %bb.91:
	s_and_b32 s4, s1, 3
	s_mov_b32 s1, 0
	s_cmp_eq_u32 s4, 0
	s_cbranch_scc0 .LBB93_95
	s_branch .LBB93_97
.LBB93_92:
	s_mov_b32 s6, -1
                                        ; implicit-def: $vgpr13
	s_branch .LBB93_97
.LBB93_93:
	v_dual_mov_b32 v13, 0 :: v_dual_mov_b32 v12, 0
	s_branch .LBB93_97
.LBB93_94:
	v_mov_b64_e32 v[12:13], 0
	v_mov_b32_e32 v15, v1
	s_mov_b32 s0, 0
	s_and_b32 s4, s1, 3
	s_mov_b32 s1, 0
	s_cmp_eq_u32 s4, 0
	s_cbranch_scc1 .LBB93_97
.LBB93_95:
	s_lshl_b32 s2, s0, 3
	s_mov_b32 s3, s1
	s_mul_u64 s[8:9], s[0:1], 12
	s_add_nc_u64 s[2:3], s[16:17], s[2:3]
	s_delay_alu instid0(SALU_CYCLE_1)
	s_add_nc_u64 s[0:1], s[2:3], 0xc4
	s_add_nc_u64 s[2:3], s[16:17], s[8:9]
.LBB93_96:                              ; =>This Inner Loop Header: Depth=1
	s_load_b96 s[8:10], s[2:3], 0x4
	s_add_co_i32 s4, s4, -1
	s_wait_xcnt 0x0
	s_add_nc_u64 s[2:3], s[2:3], 12
	s_cmp_lg_u32 s4, 0
	s_wait_kmcnt 0x0
	v_mul_hi_u32 v17, s9, v15
	s_delay_alu instid0(VALU_DEP_1) | instskip(NEXT) | instid1(VALU_DEP_1)
	v_add_nc_u32_e32 v17, v15, v17
	v_lshrrev_b32_e32 v17, s10, v17
	s_load_b64 s[10:11], s[0:1], 0x0
	s_wait_xcnt 0x0
	s_add_nc_u64 s[0:1], s[0:1], 8
	s_delay_alu instid0(VALU_DEP_1) | instskip(NEXT) | instid1(VALU_DEP_1)
	v_mul_lo_u32 v18, v17, s8
	v_sub_nc_u32_e32 v15, v15, v18
	s_wait_kmcnt 0x0
	s_delay_alu instid0(VALU_DEP_1)
	v_mad_u32 v13, v15, s11, v13
	v_mad_u32 v12, v15, s10, v12
	v_mov_b32_e32 v15, v17
	s_cbranch_scc1 .LBB93_96
.LBB93_97:
	s_and_not1_b32 vcc_lo, exec_lo, s6
	s_cbranch_vccnz .LBB93_100
; %bb.98:
	s_clause 0x1
	s_load_b96 s[0:2], s[16:17], 0x4
	s_load_b64 s[4:5], s[16:17], 0xc4
	s_cmp_lt_u32 s30, 2
	s_wait_kmcnt 0x0
	v_mul_hi_u32 v12, s1, v1
	s_delay_alu instid0(VALU_DEP_1) | instskip(NEXT) | instid1(VALU_DEP_1)
	v_add_nc_u32_e32 v12, v1, v12
	v_lshrrev_b32_e32 v15, s2, v12
	s_delay_alu instid0(VALU_DEP_1) | instskip(NEXT) | instid1(VALU_DEP_1)
	v_mul_lo_u32 v12, v15, s0
	v_sub_nc_u32_e32 v1, v1, v12
	s_delay_alu instid0(VALU_DEP_1)
	v_mul_lo_u32 v13, v1, s5
	v_mul_lo_u32 v12, v1, s4
	s_cbranch_scc1 .LBB93_100
; %bb.99:
	s_clause 0x1
	s_load_b96 s[0:2], s[16:17], 0x10
	s_load_b64 s[4:5], s[16:17], 0xcc
	s_wait_kmcnt 0x0
	v_mul_hi_u32 v1, s1, v15
	s_delay_alu instid0(VALU_DEP_1) | instskip(NEXT) | instid1(VALU_DEP_1)
	v_add_nc_u32_e32 v1, v15, v1
	v_lshrrev_b32_e32 v1, s2, v1
	s_delay_alu instid0(VALU_DEP_1) | instskip(NEXT) | instid1(VALU_DEP_1)
	v_mul_lo_u32 v1, v1, s0
	v_sub_nc_u32_e32 v1, v15, v1
	s_delay_alu instid0(VALU_DEP_1)
	v_mad_u32 v12, v1, s4, v12
	v_mad_u32 v13, v1, s5, v13
.LBB93_100:
	v_cmp_ne_u32_e32 vcc_lo, 1, v14
	v_add_nc_u32_e32 v15, 0x300, v0
	s_cbranch_vccnz .LBB93_106
; %bb.101:
	s_cmp_lg_u32 s30, 0
	s_mov_b32 s6, 0
	s_cbranch_scc0 .LBB93_107
; %bb.102:
	s_min_u32 s1, s31, 15
	s_delay_alu instid0(SALU_CYCLE_1)
	s_add_co_i32 s1, s1, 1
	s_cmp_eq_u32 s31, 2
	s_cbranch_scc1 .LBB93_108
; %bb.103:
	v_dual_mov_b32 v0, 0 :: v_dual_mov_b32 v1, 0
	v_mov_b32_e32 v17, v15
	s_and_b32 s0, s1, 28
	s_add_nc_u64 s[2:3], s[16:17], 0xc4
	s_mov_b32 s7, 0
	s_mov_b64 s[4:5], s[16:17]
.LBB93_104:                             ; =>This Inner Loop Header: Depth=1
	s_clause 0x1
	s_load_b256 s[8:15], s[4:5], 0x4
	s_load_b128 s[36:39], s[4:5], 0x24
	s_load_b256 s[20:27], s[2:3], 0x0
	s_add_co_i32 s7, s7, 4
	s_wait_xcnt 0x0
	s_add_nc_u64 s[4:5], s[4:5], 48
	s_cmp_lg_u32 s0, s7
	s_add_nc_u64 s[2:3], s[2:3], 32
	s_wait_kmcnt 0x0
	v_mul_hi_u32 v18, s9, v17
	s_delay_alu instid0(VALU_DEP_1) | instskip(NEXT) | instid1(VALU_DEP_1)
	v_add_nc_u32_e32 v18, v17, v18
	v_lshrrev_b32_e32 v18, s10, v18
	s_delay_alu instid0(VALU_DEP_1) | instskip(NEXT) | instid1(VALU_DEP_1)
	v_mul_hi_u32 v19, s12, v18
	v_add_nc_u32_e32 v19, v18, v19
	s_delay_alu instid0(VALU_DEP_1) | instskip(NEXT) | instid1(VALU_DEP_1)
	v_lshrrev_b32_e32 v19, s13, v19
	v_mul_hi_u32 v20, s15, v19
	s_delay_alu instid0(VALU_DEP_1) | instskip(SKIP_1) | instid1(VALU_DEP_1)
	v_add_nc_u32_e32 v20, v19, v20
	v_mul_lo_u32 v21, v18, s8
	v_sub_nc_u32_e32 v17, v17, v21
	v_mul_lo_u32 v21, v19, s11
	s_delay_alu instid0(VALU_DEP_4) | instskip(NEXT) | instid1(VALU_DEP_3)
	v_lshrrev_b32_e32 v20, s36, v20
	v_mad_u32 v1, v17, s21, v1
	v_mad_u32 v0, v17, s20, v0
	s_delay_alu instid0(VALU_DEP_4) | instskip(NEXT) | instid1(VALU_DEP_4)
	v_sub_nc_u32_e32 v17, v18, v21
	v_mul_hi_u32 v22, s38, v20
	v_mul_lo_u32 v18, v20, s14
	s_delay_alu instid0(VALU_DEP_3) | instskip(SKIP_1) | instid1(VALU_DEP_4)
	v_mad_u32 v1, v17, s23, v1
	v_mad_u32 v0, v17, s22, v0
	v_add_nc_u32_e32 v21, v20, v22
	s_delay_alu instid0(VALU_DEP_1) | instskip(NEXT) | instid1(VALU_DEP_1)
	v_dual_sub_nc_u32 v18, v19, v18 :: v_dual_lshrrev_b32 v17, s39, v21
	v_mad_u32 v1, v18, s25, v1
	s_delay_alu instid0(VALU_DEP_4) | instskip(NEXT) | instid1(VALU_DEP_3)
	v_mad_u32 v0, v18, s24, v0
	v_mul_lo_u32 v19, v17, s37
	s_delay_alu instid0(VALU_DEP_1) | instskip(NEXT) | instid1(VALU_DEP_1)
	v_sub_nc_u32_e32 v18, v20, v19
	v_mad_u32 v1, v18, s27, v1
	s_delay_alu instid0(VALU_DEP_4)
	v_mad_u32 v0, v18, s26, v0
	s_cbranch_scc1 .LBB93_104
; %bb.105:
	s_and_b32 s4, s1, 3
	s_mov_b32 s1, 0
	s_cmp_eq_u32 s4, 0
	s_cbranch_scc0 .LBB93_109
	s_branch .LBB93_111
.LBB93_106:
	s_mov_b32 s6, -1
                                        ; implicit-def: $vgpr1
	s_branch .LBB93_111
.LBB93_107:
	v_dual_mov_b32 v1, 0 :: v_dual_mov_b32 v0, 0
	s_branch .LBB93_111
.LBB93_108:
	v_mov_b64_e32 v[0:1], 0
	v_mov_b32_e32 v17, v15
	s_mov_b32 s0, 0
	s_and_b32 s4, s1, 3
	s_mov_b32 s1, 0
	s_cmp_eq_u32 s4, 0
	s_cbranch_scc1 .LBB93_111
.LBB93_109:
	s_lshl_b32 s2, s0, 3
	s_mov_b32 s3, s1
	s_mul_u64 s[8:9], s[0:1], 12
	s_add_nc_u64 s[2:3], s[16:17], s[2:3]
	s_delay_alu instid0(SALU_CYCLE_1)
	s_add_nc_u64 s[0:1], s[2:3], 0xc4
	s_add_nc_u64 s[2:3], s[16:17], s[8:9]
.LBB93_110:                             ; =>This Inner Loop Header: Depth=1
	s_load_b96 s[8:10], s[2:3], 0x4
	s_add_co_i32 s4, s4, -1
	s_wait_xcnt 0x0
	s_add_nc_u64 s[2:3], s[2:3], 12
	s_cmp_lg_u32 s4, 0
	s_wait_kmcnt 0x0
	v_mul_hi_u32 v18, s9, v17
	s_delay_alu instid0(VALU_DEP_1) | instskip(NEXT) | instid1(VALU_DEP_1)
	v_add_nc_u32_e32 v18, v17, v18
	v_lshrrev_b32_e32 v18, s10, v18
	s_load_b64 s[10:11], s[0:1], 0x0
	s_wait_xcnt 0x0
	s_add_nc_u64 s[0:1], s[0:1], 8
	s_delay_alu instid0(VALU_DEP_1) | instskip(NEXT) | instid1(VALU_DEP_1)
	v_mul_lo_u32 v19, v18, s8
	v_sub_nc_u32_e32 v17, v17, v19
	s_wait_kmcnt 0x0
	s_delay_alu instid0(VALU_DEP_1)
	v_mad_u32 v1, v17, s11, v1
	v_mad_u32 v0, v17, s10, v0
	v_mov_b32_e32 v17, v18
	s_cbranch_scc1 .LBB93_110
.LBB93_111:
	s_and_not1_b32 vcc_lo, exec_lo, s6
	s_cbranch_vccnz .LBB93_114
; %bb.112:
	s_clause 0x1
	s_load_b96 s[0:2], s[16:17], 0x4
	s_load_b64 s[4:5], s[16:17], 0xc4
	s_cmp_lt_u32 s30, 2
	s_wait_kmcnt 0x0
	v_mul_hi_u32 v0, s1, v15
	s_delay_alu instid0(VALU_DEP_1) | instskip(NEXT) | instid1(VALU_DEP_1)
	v_add_nc_u32_e32 v0, v15, v0
	v_lshrrev_b32_e32 v17, s2, v0
	s_delay_alu instid0(VALU_DEP_1) | instskip(NEXT) | instid1(VALU_DEP_1)
	v_mul_lo_u32 v0, v17, s0
	v_sub_nc_u32_e32 v0, v15, v0
	s_delay_alu instid0(VALU_DEP_1)
	v_mul_lo_u32 v1, v0, s5
	v_mul_lo_u32 v0, v0, s4
	s_cbranch_scc1 .LBB93_114
; %bb.113:
	s_clause 0x1
	s_load_b96 s[0:2], s[16:17], 0x10
	s_load_b64 s[4:5], s[16:17], 0xcc
	s_wait_kmcnt 0x0
	v_mul_hi_u32 v15, s1, v17
	s_delay_alu instid0(VALU_DEP_1) | instskip(NEXT) | instid1(VALU_DEP_1)
	v_add_nc_u32_e32 v15, v17, v15
	v_lshrrev_b32_e32 v15, s2, v15
	s_delay_alu instid0(VALU_DEP_1) | instskip(NEXT) | instid1(VALU_DEP_1)
	v_mul_lo_u32 v15, v15, s0
	v_sub_nc_u32_e32 v15, v17, v15
	s_delay_alu instid0(VALU_DEP_1)
	v_mad_u32 v0, v15, s4, v0
	v_mad_u32 v1, v15, s5, v1
.LBB93_114:
	v_cmp_ne_u32_e32 vcc_lo, 1, v14
	s_cbranch_vccnz .LBB93_120
; %bb.115:
	s_cmp_lg_u32 s30, 0
	s_mov_b32 s6, 0
	s_cbranch_scc0 .LBB93_121
; %bb.116:
	s_min_u32 s1, s31, 15
	s_delay_alu instid0(SALU_CYCLE_1)
	s_add_co_i32 s1, s1, 1
	s_cmp_eq_u32 s31, 2
	s_cbranch_scc1 .LBB93_122
; %bb.117:
	v_dual_mov_b32 v14, 0 :: v_dual_mov_b32 v15, 0
	v_mov_b32_e32 v17, v16
	s_and_b32 s0, s1, 28
	s_add_nc_u64 s[2:3], s[16:17], 0xc4
	s_mov_b32 s7, 0
	s_mov_b64 s[4:5], s[16:17]
.LBB93_118:                             ; =>This Inner Loop Header: Depth=1
	s_clause 0x1
	s_load_b256 s[8:15], s[4:5], 0x4
	s_load_b128 s[36:39], s[4:5], 0x24
	s_load_b256 s[20:27], s[2:3], 0x0
	s_add_co_i32 s7, s7, 4
	s_wait_xcnt 0x0
	s_add_nc_u64 s[4:5], s[4:5], 48
	s_cmp_lg_u32 s0, s7
	s_add_nc_u64 s[2:3], s[2:3], 32
	s_wait_kmcnt 0x0
	v_mul_hi_u32 v18, s9, v17
	s_delay_alu instid0(VALU_DEP_1) | instskip(NEXT) | instid1(VALU_DEP_1)
	v_add_nc_u32_e32 v18, v17, v18
	v_lshrrev_b32_e32 v18, s10, v18
	s_delay_alu instid0(VALU_DEP_1) | instskip(NEXT) | instid1(VALU_DEP_1)
	v_mul_hi_u32 v19, s12, v18
	v_add_nc_u32_e32 v19, v18, v19
	s_delay_alu instid0(VALU_DEP_1) | instskip(NEXT) | instid1(VALU_DEP_1)
	v_lshrrev_b32_e32 v19, s13, v19
	v_mul_hi_u32 v20, s15, v19
	s_delay_alu instid0(VALU_DEP_1) | instskip(SKIP_1) | instid1(VALU_DEP_1)
	v_add_nc_u32_e32 v20, v19, v20
	v_mul_lo_u32 v21, v18, s8
	v_sub_nc_u32_e32 v17, v17, v21
	v_mul_lo_u32 v21, v19, s11
	s_delay_alu instid0(VALU_DEP_4) | instskip(NEXT) | instid1(VALU_DEP_3)
	v_lshrrev_b32_e32 v20, s36, v20
	v_mad_u32 v15, v17, s21, v15
	v_mad_u32 v14, v17, s20, v14
	s_delay_alu instid0(VALU_DEP_4) | instskip(NEXT) | instid1(VALU_DEP_4)
	v_sub_nc_u32_e32 v17, v18, v21
	v_mul_hi_u32 v22, s38, v20
	v_mul_lo_u32 v18, v20, s14
	s_delay_alu instid0(VALU_DEP_3) | instskip(SKIP_1) | instid1(VALU_DEP_4)
	v_mad_u32 v15, v17, s23, v15
	v_mad_u32 v14, v17, s22, v14
	v_add_nc_u32_e32 v21, v20, v22
	s_delay_alu instid0(VALU_DEP_1) | instskip(NEXT) | instid1(VALU_DEP_1)
	v_dual_sub_nc_u32 v18, v19, v18 :: v_dual_lshrrev_b32 v17, s39, v21
	v_mad_u32 v15, v18, s25, v15
	s_delay_alu instid0(VALU_DEP_4) | instskip(NEXT) | instid1(VALU_DEP_3)
	v_mad_u32 v14, v18, s24, v14
	v_mul_lo_u32 v19, v17, s37
	s_delay_alu instid0(VALU_DEP_1) | instskip(NEXT) | instid1(VALU_DEP_1)
	v_sub_nc_u32_e32 v18, v20, v19
	v_mad_u32 v15, v18, s27, v15
	s_delay_alu instid0(VALU_DEP_4)
	v_mad_u32 v14, v18, s26, v14
	s_cbranch_scc1 .LBB93_118
; %bb.119:
	s_and_b32 s4, s1, 3
	s_mov_b32 s1, 0
	s_cmp_eq_u32 s4, 0
	s_cbranch_scc0 .LBB93_123
	s_branch .LBB93_125
.LBB93_120:
	s_mov_b32 s6, -1
                                        ; implicit-def: $vgpr15
	s_branch .LBB93_125
.LBB93_121:
	v_dual_mov_b32 v15, 0 :: v_dual_mov_b32 v14, 0
	s_branch .LBB93_125
.LBB93_122:
	v_mov_b64_e32 v[14:15], 0
	v_mov_b32_e32 v17, v16
	s_mov_b32 s0, 0
	s_and_b32 s4, s1, 3
	s_mov_b32 s1, 0
	s_cmp_eq_u32 s4, 0
	s_cbranch_scc1 .LBB93_125
.LBB93_123:
	s_lshl_b32 s2, s0, 3
	s_mov_b32 s3, s1
	s_mul_u64 s[8:9], s[0:1], 12
	s_add_nc_u64 s[2:3], s[16:17], s[2:3]
	s_delay_alu instid0(SALU_CYCLE_1)
	s_add_nc_u64 s[0:1], s[2:3], 0xc4
	s_add_nc_u64 s[2:3], s[16:17], s[8:9]
.LBB93_124:                             ; =>This Inner Loop Header: Depth=1
	s_load_b96 s[8:10], s[2:3], 0x4
	s_add_co_i32 s4, s4, -1
	s_wait_xcnt 0x0
	s_add_nc_u64 s[2:3], s[2:3], 12
	s_cmp_lg_u32 s4, 0
	s_wait_kmcnt 0x0
	v_mul_hi_u32 v18, s9, v17
	s_delay_alu instid0(VALU_DEP_1) | instskip(NEXT) | instid1(VALU_DEP_1)
	v_add_nc_u32_e32 v18, v17, v18
	v_lshrrev_b32_e32 v18, s10, v18
	s_load_b64 s[10:11], s[0:1], 0x0
	s_wait_xcnt 0x0
	s_add_nc_u64 s[0:1], s[0:1], 8
	s_delay_alu instid0(VALU_DEP_1) | instskip(NEXT) | instid1(VALU_DEP_1)
	v_mul_lo_u32 v19, v18, s8
	v_sub_nc_u32_e32 v17, v17, v19
	s_wait_kmcnt 0x0
	s_delay_alu instid0(VALU_DEP_1)
	v_mad_u32 v15, v17, s11, v15
	v_mad_u32 v14, v17, s10, v14
	v_mov_b32_e32 v17, v18
	s_cbranch_scc1 .LBB93_124
.LBB93_125:
	s_and_not1_b32 vcc_lo, exec_lo, s6
	s_cbranch_vccnz .LBB93_128
; %bb.126:
	s_clause 0x1
	s_load_b96 s[0:2], s[16:17], 0x4
	s_load_b64 s[4:5], s[16:17], 0xc4
	s_cmp_lt_u32 s30, 2
	s_wait_kmcnt 0x0
	v_mul_hi_u32 v14, s1, v16
	s_delay_alu instid0(VALU_DEP_1) | instskip(NEXT) | instid1(VALU_DEP_1)
	v_add_nc_u32_e32 v14, v16, v14
	v_lshrrev_b32_e32 v17, s2, v14
	s_delay_alu instid0(VALU_DEP_1) | instskip(NEXT) | instid1(VALU_DEP_1)
	v_mul_lo_u32 v14, v17, s0
	v_sub_nc_u32_e32 v14, v16, v14
	s_delay_alu instid0(VALU_DEP_1)
	v_mul_lo_u32 v15, v14, s5
	v_mul_lo_u32 v14, v14, s4
	s_cbranch_scc1 .LBB93_128
; %bb.127:
	s_clause 0x1
	s_load_b96 s[0:2], s[16:17], 0x10
	s_load_b64 s[4:5], s[16:17], 0xcc
	s_wait_kmcnt 0x0
	v_mul_hi_u32 v16, s1, v17
	s_delay_alu instid0(VALU_DEP_1) | instskip(NEXT) | instid1(VALU_DEP_1)
	v_add_nc_u32_e32 v16, v17, v16
	v_lshrrev_b32_e32 v16, s2, v16
	s_delay_alu instid0(VALU_DEP_1) | instskip(NEXT) | instid1(VALU_DEP_1)
	v_mul_lo_u32 v16, v16, s0
	v_sub_nc_u32_e32 v16, v17, v16
	s_delay_alu instid0(VALU_DEP_1)
	v_mad_u32 v14, v16, s4, v14
	v_mad_u32 v15, v16, s5, v15
.LBB93_128:
	s_clause 0x1
	s_load_b128 s[0:3], s[16:17], 0x148
	s_load_b32 s4, s[16:17], 0x158
	s_wait_kmcnt 0x0
	s_clause 0x7
	global_load_b64 v[16:17], v3, s[2:3]
	global_load_b64 v[18:19], v5, s[2:3]
	;; [unrolled: 1-line block ×8, first 2 shown]
	s_wait_xcnt 0x0
	s_load_b64 s[2:3], s[16:17], 0x160
	s_cmp_eq_u32 s4, 0
	s_wait_loadcnt 0x7
	s_wait_kmcnt 0x0
	v_cmp_eq_f64_e32 vcc_lo, s[2:3], v[16:17]
	v_cndmask_b32_e64 v1, 0, 1, vcc_lo
	v_cmp_neq_f64_e32 vcc_lo, s[2:3], v[16:17]
	v_cndmask_b32_e64 v3, 0, 1, vcc_lo
	s_wait_loadcnt 0x6
	v_cmp_eq_f64_e32 vcc_lo, s[2:3], v[18:19]
	v_cndmask_b32_e64 v5, 0, 1, vcc_lo
	v_cmp_neq_f64_e32 vcc_lo, s[2:3], v[18:19]
	v_cndmask_b32_e64 v7, 0, 1, vcc_lo
	s_wait_loadcnt 0x5
	;; [unrolled: 5-line block ×7, first 2 shown]
	v_cmp_eq_f64_e32 vcc_lo, s[2:3], v[30:31]
	v_cndmask_b32_e64 v22, 0, 1, vcc_lo
	v_cmp_neq_f64_e32 vcc_lo, s[2:3], v[30:31]
	v_cndmask_b32_e64 v23, 0, 1, vcc_lo
	s_cselect_b32 vcc_lo, -1, 0
	v_cndmask_b32_e32 v1, v3, v1, vcc_lo
	v_cndmask_b32_e32 v3, v7, v5, vcc_lo
	v_dual_cndmask_b32 v7, v15, v13, vcc_lo :: v_dual_cndmask_b32 v13, v21, v20, vcc_lo
	v_dual_cndmask_b32 v5, v11, v9, vcc_lo :: v_dual_cndmask_b32 v9, v17, v16, vcc_lo
	s_delay_alu instid0(VALU_DEP_4) | instskip(NEXT) | instid1(VALU_DEP_4)
	v_dual_cndmask_b32 v11, v19, v18, vcc_lo :: v_dual_bitop2_b32 v1, 1, v1 bitop3:0x40
	v_dual_cndmask_b32 v15, v23, v22, vcc_lo :: v_dual_bitop2_b32 v3, 1, v3 bitop3:0x40
	s_delay_alu instid0(VALU_DEP_3) | instskip(NEXT) | instid1(VALU_DEP_3)
	v_and_b32_e32 v5, 1, v5
	v_and_b32_e32 v11, 1, v11
	v_and_b32_e32 v7, 1, v7
	v_and_b32_e32 v9, 1, v9
	v_and_b32_e32 v13, 1, v13
	v_and_b32_e32 v15, 1, v15
	s_clause 0x7
	global_store_b8 v2, v1, s[0:1]
	global_store_b8 v4, v3, s[0:1]
	;; [unrolled: 1-line block ×8, first 2 shown]
	s_endpgm
.LBB93_129:
	v_dual_mov_b32 v3, 0 :: v_dual_mov_b32 v2, 0
	s_branch .LBB93_135
.LBB93_130:
	v_dual_mov_b32 v3, 0 :: v_dual_mov_b32 v2, 0
	s_branch .LBB93_151
.LBB93_131:
	v_mov_b64_e32 v[2:3], 0
	v_mov_b32_e32 v1, v0
	s_mov_b32 s24, 0
.LBB93_132:
	s_and_b32 s28, s25, 3
	s_mov_b32 s25, 0
	s_cmp_eq_u32 s28, 0
	s_cbranch_scc1 .LBB93_135
; %bb.133:
	s_lshl_b32 s26, s24, 3
	s_mov_b32 s27, s25
	s_mul_u64 s[40:41], s[24:25], 12
	s_add_nc_u64 s[26:27], s[16:17], s[26:27]
	s_delay_alu instid0(SALU_CYCLE_1)
	s_add_nc_u64 s[24:25], s[26:27], 0xc4
	s_add_nc_u64 s[26:27], s[16:17], s[40:41]
.LBB93_134:                             ; =>This Inner Loop Header: Depth=1
	s_load_b96 s[40:42], s[26:27], 0x4
	s_add_co_i32 s28, s28, -1
	s_wait_xcnt 0x0
	s_add_nc_u64 s[26:27], s[26:27], 12
	s_cmp_lg_u32 s28, 0
	s_wait_kmcnt 0x0
	v_mul_hi_u32 v4, s41, v1
	s_delay_alu instid0(VALU_DEP_1) | instskip(NEXT) | instid1(VALU_DEP_1)
	v_add_nc_u32_e32 v4, v1, v4
	v_lshrrev_b32_e32 v4, s42, v4
	s_load_b64 s[42:43], s[24:25], 0x0
	s_wait_xcnt 0x0
	s_add_nc_u64 s[24:25], s[24:25], 8
	s_delay_alu instid0(VALU_DEP_1) | instskip(NEXT) | instid1(VALU_DEP_1)
	v_mul_lo_u32 v5, v4, s40
	v_sub_nc_u32_e32 v1, v1, v5
	s_wait_kmcnt 0x0
	s_delay_alu instid0(VALU_DEP_1)
	v_mad_u32 v3, v1, s43, v3
	v_mad_u32 v2, v1, s42, v2
	v_mov_b32_e32 v1, v4
	s_cbranch_scc1 .LBB93_134
.LBB93_135:
	s_cbranch_execnz .LBB93_138
.LBB93_136:
	v_mov_b32_e32 v1, 0
	s_and_not1_b32 vcc_lo, exec_lo, s35
	s_delay_alu instid0(VALU_DEP_1) | instskip(NEXT) | instid1(VALU_DEP_1)
	v_mul_u64_e32 v[2:3], s[18:19], v[0:1]
	v_add_nc_u32_e32 v2, v0, v3
	s_delay_alu instid0(VALU_DEP_1) | instskip(NEXT) | instid1(VALU_DEP_1)
	v_lshrrev_b32_e32 v4, s10, v2
	v_mul_lo_u32 v2, v4, s8
	s_delay_alu instid0(VALU_DEP_1) | instskip(NEXT) | instid1(VALU_DEP_1)
	v_sub_nc_u32_e32 v2, v0, v2
	v_mul_lo_u32 v3, v2, s13
	v_mul_lo_u32 v2, v2, s12
	s_cbranch_vccnz .LBB93_138
; %bb.137:
	v_mov_b32_e32 v5, v1
	s_delay_alu instid0(VALU_DEP_1) | instskip(NEXT) | instid1(VALU_DEP_1)
	v_mul_u64_e32 v[6:7], s[20:21], v[4:5]
	v_add_nc_u32_e32 v1, v4, v7
	s_delay_alu instid0(VALU_DEP_1) | instskip(NEXT) | instid1(VALU_DEP_1)
	v_lshrrev_b32_e32 v1, s1, v1
	v_mul_lo_u32 v1, v1, s11
	s_delay_alu instid0(VALU_DEP_1) | instskip(NEXT) | instid1(VALU_DEP_1)
	v_sub_nc_u32_e32 v1, v4, v1
	v_mad_u32 v2, v1, s14, v2
	v_mad_u32 v3, v1, s15, v3
.LBB93_138:
	global_load_b64 v[4:5], v3, s[6:7]
	v_add_nc_u32_e32 v0, 0x80, v0
	s_wait_loadcnt 0x0
	v_cmp_eq_f64_e32 vcc_lo, s[2:3], v[4:5]
	v_cndmask_b32_e64 v1, 0, 1, vcc_lo
	v_cmp_neq_f64_e32 vcc_lo, s[2:3], v[4:5]
	v_cndmask_b32_e64 v3, 0, 1, vcc_lo
	s_delay_alu instid0(VALU_DEP_1) | instskip(NEXT) | instid1(VALU_DEP_1)
	v_cndmask_b32_e64 v1, v3, v1, s0
	v_and_b32_e32 v1, 1, v1
	global_store_b8 v2, v1, s[4:5]
	s_wait_xcnt 0x0
	s_or_b32 exec_lo, exec_lo, s9
	s_delay_alu instid0(SALU_CYCLE_1)
	s_mov_b32 s9, exec_lo
	v_cmpx_gt_i32_e64 s36, v0
	s_cbranch_execnz .LBB93_15
.LBB93_139:
	s_or_b32 exec_lo, exec_lo, s9
	s_delay_alu instid0(SALU_CYCLE_1)
	s_mov_b32 s9, exec_lo
	v_cmpx_gt_i32_e64 s36, v0
	s_cbranch_execz .LBB93_155
.LBB93_140:
	s_and_not1_b32 vcc_lo, exec_lo, s33
	s_cbranch_vccnz .LBB93_145
; %bb.141:
	s_and_not1_b32 vcc_lo, exec_lo, s38
	s_cbranch_vccnz .LBB93_146
; %bb.142:
	s_add_co_i32 s25, s37, 1
	s_cmp_eq_u32 s31, 2
	s_cbranch_scc1 .LBB93_163
; %bb.143:
	v_dual_mov_b32 v2, 0 :: v_dual_mov_b32 v3, 0
	v_mov_b32_e32 v1, v0
	s_and_b32 s24, s25, 28
	s_mov_b32 s39, 0
	s_mov_b64 s[26:27], s[16:17]
	s_mov_b64 s[28:29], s[22:23]
.LBB93_144:                             ; =>This Inner Loop Header: Depth=1
	s_clause 0x1
	s_load_b256 s[40:47], s[26:27], 0x4
	s_load_b128 s[56:59], s[26:27], 0x24
	s_load_b256 s[48:55], s[28:29], 0x0
	s_add_co_i32 s39, s39, 4
	s_wait_xcnt 0x0
	s_add_nc_u64 s[26:27], s[26:27], 48
	s_cmp_eq_u32 s24, s39
	s_add_nc_u64 s[28:29], s[28:29], 32
	s_wait_kmcnt 0x0
	v_mul_hi_u32 v4, s41, v1
	s_delay_alu instid0(VALU_DEP_1) | instskip(NEXT) | instid1(VALU_DEP_1)
	v_add_nc_u32_e32 v4, v1, v4
	v_lshrrev_b32_e32 v4, s42, v4
	s_delay_alu instid0(VALU_DEP_1) | instskip(NEXT) | instid1(VALU_DEP_1)
	v_mul_hi_u32 v5, s44, v4
	v_add_nc_u32_e32 v5, v4, v5
	s_delay_alu instid0(VALU_DEP_1) | instskip(NEXT) | instid1(VALU_DEP_1)
	v_lshrrev_b32_e32 v5, s45, v5
	v_mul_hi_u32 v6, s47, v5
	s_delay_alu instid0(VALU_DEP_1) | instskip(SKIP_1) | instid1(VALU_DEP_1)
	v_add_nc_u32_e32 v6, v5, v6
	v_mul_lo_u32 v7, v4, s40
	v_sub_nc_u32_e32 v1, v1, v7
	v_mul_lo_u32 v7, v5, s43
	s_delay_alu instid0(VALU_DEP_4) | instskip(NEXT) | instid1(VALU_DEP_3)
	v_lshrrev_b32_e32 v6, s56, v6
	v_mad_u32 v3, v1, s49, v3
	v_mad_u32 v1, v1, s48, v2
	s_delay_alu instid0(VALU_DEP_4) | instskip(NEXT) | instid1(VALU_DEP_4)
	v_sub_nc_u32_e32 v2, v4, v7
	v_mul_hi_u32 v8, s58, v6
	v_mul_lo_u32 v4, v6, s46
	s_delay_alu instid0(VALU_DEP_3) | instskip(SKIP_1) | instid1(VALU_DEP_4)
	v_mad_u32 v3, v2, s51, v3
	v_mad_u32 v2, v2, s50, v1
	v_add_nc_u32_e32 v7, v6, v8
	s_delay_alu instid0(VALU_DEP_1) | instskip(NEXT) | instid1(VALU_DEP_1)
	v_dual_sub_nc_u32 v4, v5, v4 :: v_dual_lshrrev_b32 v1, s59, v7
	v_mad_u32 v3, v4, s53, v3
	s_delay_alu instid0(VALU_DEP_4) | instskip(NEXT) | instid1(VALU_DEP_3)
	v_mad_u32 v2, v4, s52, v2
	v_mul_lo_u32 v5, v1, s57
	s_delay_alu instid0(VALU_DEP_1) | instskip(NEXT) | instid1(VALU_DEP_1)
	v_sub_nc_u32_e32 v4, v6, v5
	v_mad_u32 v3, v4, s55, v3
	s_delay_alu instid0(VALU_DEP_4)
	v_mad_u32 v2, v4, s54, v2
	s_cbranch_scc0 .LBB93_144
	s_branch .LBB93_164
.LBB93_145:
                                        ; implicit-def: $vgpr3
	s_branch .LBB93_168
.LBB93_146:
	v_dual_mov_b32 v3, 0 :: v_dual_mov_b32 v2, 0
	s_branch .LBB93_167
.LBB93_147:
	v_mov_b64_e32 v[2:3], 0
	v_mov_b32_e32 v1, v0
	s_mov_b32 s24, 0
.LBB93_148:
	s_and_b32 s28, s25, 3
	s_mov_b32 s25, 0
	s_cmp_eq_u32 s28, 0
	s_cbranch_scc1 .LBB93_151
; %bb.149:
	s_lshl_b32 s26, s24, 3
	s_mov_b32 s27, s25
	s_mul_u64 s[40:41], s[24:25], 12
	s_add_nc_u64 s[26:27], s[16:17], s[26:27]
	s_delay_alu instid0(SALU_CYCLE_1)
	s_add_nc_u64 s[24:25], s[26:27], 0xc4
	s_add_nc_u64 s[26:27], s[16:17], s[40:41]
.LBB93_150:                             ; =>This Inner Loop Header: Depth=1
	s_load_b96 s[40:42], s[26:27], 0x4
	s_add_co_i32 s28, s28, -1
	s_wait_xcnt 0x0
	s_add_nc_u64 s[26:27], s[26:27], 12
	s_cmp_lg_u32 s28, 0
	s_wait_kmcnt 0x0
	v_mul_hi_u32 v4, s41, v1
	s_delay_alu instid0(VALU_DEP_1) | instskip(NEXT) | instid1(VALU_DEP_1)
	v_add_nc_u32_e32 v4, v1, v4
	v_lshrrev_b32_e32 v4, s42, v4
	s_load_b64 s[42:43], s[24:25], 0x0
	s_wait_xcnt 0x0
	s_add_nc_u64 s[24:25], s[24:25], 8
	s_delay_alu instid0(VALU_DEP_1) | instskip(NEXT) | instid1(VALU_DEP_1)
	v_mul_lo_u32 v5, v4, s40
	v_sub_nc_u32_e32 v1, v1, v5
	s_wait_kmcnt 0x0
	s_delay_alu instid0(VALU_DEP_1)
	v_mad_u32 v3, v1, s43, v3
	v_mad_u32 v2, v1, s42, v2
	v_mov_b32_e32 v1, v4
	s_cbranch_scc1 .LBB93_150
.LBB93_151:
	s_cbranch_execnz .LBB93_154
.LBB93_152:
	v_mov_b32_e32 v1, 0
	s_and_not1_b32 vcc_lo, exec_lo, s35
	s_delay_alu instid0(VALU_DEP_1) | instskip(NEXT) | instid1(VALU_DEP_1)
	v_mul_u64_e32 v[2:3], s[18:19], v[0:1]
	v_add_nc_u32_e32 v2, v0, v3
	s_delay_alu instid0(VALU_DEP_1) | instskip(NEXT) | instid1(VALU_DEP_1)
	v_lshrrev_b32_e32 v4, s10, v2
	v_mul_lo_u32 v2, v4, s8
	s_delay_alu instid0(VALU_DEP_1) | instskip(NEXT) | instid1(VALU_DEP_1)
	v_sub_nc_u32_e32 v2, v0, v2
	v_mul_lo_u32 v3, v2, s13
	v_mul_lo_u32 v2, v2, s12
	s_cbranch_vccnz .LBB93_154
; %bb.153:
	v_mov_b32_e32 v5, v1
	s_delay_alu instid0(VALU_DEP_1) | instskip(NEXT) | instid1(VALU_DEP_1)
	v_mul_u64_e32 v[6:7], s[20:21], v[4:5]
	v_add_nc_u32_e32 v1, v4, v7
	s_delay_alu instid0(VALU_DEP_1) | instskip(NEXT) | instid1(VALU_DEP_1)
	v_lshrrev_b32_e32 v1, s1, v1
	v_mul_lo_u32 v1, v1, s11
	s_delay_alu instid0(VALU_DEP_1) | instskip(NEXT) | instid1(VALU_DEP_1)
	v_sub_nc_u32_e32 v1, v4, v1
	v_mad_u32 v2, v1, s14, v2
	v_mad_u32 v3, v1, s15, v3
.LBB93_154:
	global_load_b64 v[4:5], v3, s[6:7]
	v_add_nc_u32_e32 v0, 0x80, v0
	s_wait_loadcnt 0x0
	v_cmp_eq_f64_e32 vcc_lo, s[2:3], v[4:5]
	v_cndmask_b32_e64 v1, 0, 1, vcc_lo
	v_cmp_neq_f64_e32 vcc_lo, s[2:3], v[4:5]
	s_wait_xcnt 0x0
	v_cndmask_b32_e64 v3, 0, 1, vcc_lo
	s_delay_alu instid0(VALU_DEP_1) | instskip(NEXT) | instid1(VALU_DEP_1)
	v_cndmask_b32_e64 v1, v3, v1, s0
	v_and_b32_e32 v1, 1, v1
	global_store_b8 v2, v1, s[4:5]
	s_wait_xcnt 0x0
	s_or_b32 exec_lo, exec_lo, s9
	s_delay_alu instid0(SALU_CYCLE_1)
	s_mov_b32 s9, exec_lo
	v_cmpx_gt_i32_e64 s36, v0
	s_cbranch_execnz .LBB93_140
.LBB93_155:
	s_or_b32 exec_lo, exec_lo, s9
	s_delay_alu instid0(SALU_CYCLE_1)
	s_mov_b32 s9, exec_lo
	v_cmpx_gt_i32_e64 s36, v0
	s_cbranch_execz .LBB93_171
.LBB93_156:
	s_and_not1_b32 vcc_lo, exec_lo, s33
	s_cbranch_vccnz .LBB93_161
; %bb.157:
	s_and_not1_b32 vcc_lo, exec_lo, s38
	s_cbranch_vccnz .LBB93_162
; %bb.158:
	s_add_co_i32 s25, s37, 1
	s_cmp_eq_u32 s31, 2
	s_cbranch_scc1 .LBB93_179
; %bb.159:
	v_dual_mov_b32 v2, 0 :: v_dual_mov_b32 v3, 0
	v_mov_b32_e32 v1, v0
	s_and_b32 s24, s25, 28
	s_mov_b32 s39, 0
	s_mov_b64 s[26:27], s[16:17]
	s_mov_b64 s[28:29], s[22:23]
.LBB93_160:                             ; =>This Inner Loop Header: Depth=1
	s_clause 0x1
	s_load_b256 s[40:47], s[26:27], 0x4
	s_load_b128 s[56:59], s[26:27], 0x24
	s_load_b256 s[48:55], s[28:29], 0x0
	s_add_co_i32 s39, s39, 4
	s_wait_xcnt 0x0
	s_add_nc_u64 s[26:27], s[26:27], 48
	s_cmp_eq_u32 s24, s39
	s_add_nc_u64 s[28:29], s[28:29], 32
	s_wait_kmcnt 0x0
	v_mul_hi_u32 v4, s41, v1
	s_delay_alu instid0(VALU_DEP_1) | instskip(NEXT) | instid1(VALU_DEP_1)
	v_add_nc_u32_e32 v4, v1, v4
	v_lshrrev_b32_e32 v4, s42, v4
	s_delay_alu instid0(VALU_DEP_1) | instskip(NEXT) | instid1(VALU_DEP_1)
	v_mul_hi_u32 v5, s44, v4
	v_add_nc_u32_e32 v5, v4, v5
	s_delay_alu instid0(VALU_DEP_1) | instskip(NEXT) | instid1(VALU_DEP_1)
	v_lshrrev_b32_e32 v5, s45, v5
	v_mul_hi_u32 v6, s47, v5
	s_delay_alu instid0(VALU_DEP_1) | instskip(SKIP_1) | instid1(VALU_DEP_1)
	v_add_nc_u32_e32 v6, v5, v6
	v_mul_lo_u32 v7, v4, s40
	v_sub_nc_u32_e32 v1, v1, v7
	v_mul_lo_u32 v7, v5, s43
	s_delay_alu instid0(VALU_DEP_4) | instskip(NEXT) | instid1(VALU_DEP_3)
	v_lshrrev_b32_e32 v6, s56, v6
	v_mad_u32 v3, v1, s49, v3
	v_mad_u32 v1, v1, s48, v2
	s_delay_alu instid0(VALU_DEP_4) | instskip(NEXT) | instid1(VALU_DEP_4)
	v_sub_nc_u32_e32 v2, v4, v7
	v_mul_hi_u32 v8, s58, v6
	v_mul_lo_u32 v4, v6, s46
	s_delay_alu instid0(VALU_DEP_3) | instskip(SKIP_1) | instid1(VALU_DEP_4)
	v_mad_u32 v3, v2, s51, v3
	v_mad_u32 v2, v2, s50, v1
	v_add_nc_u32_e32 v7, v6, v8
	s_delay_alu instid0(VALU_DEP_1) | instskip(NEXT) | instid1(VALU_DEP_1)
	v_dual_sub_nc_u32 v4, v5, v4 :: v_dual_lshrrev_b32 v1, s59, v7
	v_mad_u32 v3, v4, s53, v3
	s_delay_alu instid0(VALU_DEP_4) | instskip(NEXT) | instid1(VALU_DEP_3)
	v_mad_u32 v2, v4, s52, v2
	v_mul_lo_u32 v5, v1, s57
	s_delay_alu instid0(VALU_DEP_1) | instskip(NEXT) | instid1(VALU_DEP_1)
	v_sub_nc_u32_e32 v4, v6, v5
	v_mad_u32 v3, v4, s55, v3
	s_delay_alu instid0(VALU_DEP_4)
	v_mad_u32 v2, v4, s54, v2
	s_cbranch_scc0 .LBB93_160
	s_branch .LBB93_180
.LBB93_161:
                                        ; implicit-def: $vgpr3
	s_branch .LBB93_184
.LBB93_162:
	v_dual_mov_b32 v3, 0 :: v_dual_mov_b32 v2, 0
	s_branch .LBB93_183
.LBB93_163:
	v_mov_b64_e32 v[2:3], 0
	v_mov_b32_e32 v1, v0
	s_mov_b32 s24, 0
.LBB93_164:
	s_and_b32 s28, s25, 3
	s_mov_b32 s25, 0
	s_cmp_eq_u32 s28, 0
	s_cbranch_scc1 .LBB93_167
; %bb.165:
	s_lshl_b32 s26, s24, 3
	s_mov_b32 s27, s25
	s_mul_u64 s[40:41], s[24:25], 12
	s_add_nc_u64 s[26:27], s[16:17], s[26:27]
	s_delay_alu instid0(SALU_CYCLE_1)
	s_add_nc_u64 s[24:25], s[26:27], 0xc4
	s_add_nc_u64 s[26:27], s[16:17], s[40:41]
.LBB93_166:                             ; =>This Inner Loop Header: Depth=1
	s_load_b96 s[40:42], s[26:27], 0x4
	s_add_co_i32 s28, s28, -1
	s_wait_xcnt 0x0
	s_add_nc_u64 s[26:27], s[26:27], 12
	s_cmp_lg_u32 s28, 0
	s_wait_kmcnt 0x0
	v_mul_hi_u32 v4, s41, v1
	s_delay_alu instid0(VALU_DEP_1) | instskip(NEXT) | instid1(VALU_DEP_1)
	v_add_nc_u32_e32 v4, v1, v4
	v_lshrrev_b32_e32 v4, s42, v4
	s_load_b64 s[42:43], s[24:25], 0x0
	s_wait_xcnt 0x0
	s_add_nc_u64 s[24:25], s[24:25], 8
	s_delay_alu instid0(VALU_DEP_1) | instskip(NEXT) | instid1(VALU_DEP_1)
	v_mul_lo_u32 v5, v4, s40
	v_sub_nc_u32_e32 v1, v1, v5
	s_wait_kmcnt 0x0
	s_delay_alu instid0(VALU_DEP_1)
	v_mad_u32 v3, v1, s43, v3
	v_mad_u32 v2, v1, s42, v2
	v_mov_b32_e32 v1, v4
	s_cbranch_scc1 .LBB93_166
.LBB93_167:
	s_cbranch_execnz .LBB93_170
.LBB93_168:
	v_mov_b32_e32 v1, 0
	s_and_not1_b32 vcc_lo, exec_lo, s35
	s_delay_alu instid0(VALU_DEP_1) | instskip(NEXT) | instid1(VALU_DEP_1)
	v_mul_u64_e32 v[2:3], s[18:19], v[0:1]
	v_add_nc_u32_e32 v2, v0, v3
	s_delay_alu instid0(VALU_DEP_1) | instskip(NEXT) | instid1(VALU_DEP_1)
	v_lshrrev_b32_e32 v4, s10, v2
	v_mul_lo_u32 v2, v4, s8
	s_delay_alu instid0(VALU_DEP_1) | instskip(NEXT) | instid1(VALU_DEP_1)
	v_sub_nc_u32_e32 v2, v0, v2
	v_mul_lo_u32 v3, v2, s13
	v_mul_lo_u32 v2, v2, s12
	s_cbranch_vccnz .LBB93_170
; %bb.169:
	v_mov_b32_e32 v5, v1
	s_delay_alu instid0(VALU_DEP_1) | instskip(NEXT) | instid1(VALU_DEP_1)
	v_mul_u64_e32 v[6:7], s[20:21], v[4:5]
	v_add_nc_u32_e32 v1, v4, v7
	s_delay_alu instid0(VALU_DEP_1) | instskip(NEXT) | instid1(VALU_DEP_1)
	v_lshrrev_b32_e32 v1, s1, v1
	v_mul_lo_u32 v1, v1, s11
	s_delay_alu instid0(VALU_DEP_1) | instskip(NEXT) | instid1(VALU_DEP_1)
	v_sub_nc_u32_e32 v1, v4, v1
	v_mad_u32 v2, v1, s14, v2
	v_mad_u32 v3, v1, s15, v3
.LBB93_170:
	global_load_b64 v[4:5], v3, s[6:7]
	v_add_nc_u32_e32 v0, 0x80, v0
	s_wait_loadcnt 0x0
	v_cmp_eq_f64_e32 vcc_lo, s[2:3], v[4:5]
	v_cndmask_b32_e64 v1, 0, 1, vcc_lo
	v_cmp_neq_f64_e32 vcc_lo, s[2:3], v[4:5]
	s_wait_xcnt 0x0
	v_cndmask_b32_e64 v3, 0, 1, vcc_lo
	s_delay_alu instid0(VALU_DEP_1) | instskip(NEXT) | instid1(VALU_DEP_1)
	v_cndmask_b32_e64 v1, v3, v1, s0
	v_and_b32_e32 v1, 1, v1
	global_store_b8 v2, v1, s[4:5]
	s_wait_xcnt 0x0
	s_or_b32 exec_lo, exec_lo, s9
	s_delay_alu instid0(SALU_CYCLE_1)
	s_mov_b32 s9, exec_lo
	v_cmpx_gt_i32_e64 s36, v0
	s_cbranch_execnz .LBB93_156
.LBB93_171:
	s_or_b32 exec_lo, exec_lo, s9
	s_delay_alu instid0(SALU_CYCLE_1)
	s_mov_b32 s9, exec_lo
	v_cmpx_gt_i32_e64 s36, v0
	s_cbranch_execz .LBB93_187
.LBB93_172:
	s_and_not1_b32 vcc_lo, exec_lo, s33
	s_cbranch_vccnz .LBB93_177
; %bb.173:
	s_and_not1_b32 vcc_lo, exec_lo, s38
	s_cbranch_vccnz .LBB93_178
; %bb.174:
	s_add_co_i32 s25, s37, 1
	s_cmp_eq_u32 s31, 2
	s_cbranch_scc1 .LBB93_195
; %bb.175:
	v_dual_mov_b32 v2, 0 :: v_dual_mov_b32 v3, 0
	v_mov_b32_e32 v1, v0
	s_and_b32 s24, s25, 28
	s_mov_b32 s39, 0
	s_mov_b64 s[26:27], s[16:17]
	s_mov_b64 s[28:29], s[22:23]
.LBB93_176:                             ; =>This Inner Loop Header: Depth=1
	s_clause 0x1
	s_load_b256 s[40:47], s[26:27], 0x4
	s_load_b128 s[56:59], s[26:27], 0x24
	s_load_b256 s[48:55], s[28:29], 0x0
	s_add_co_i32 s39, s39, 4
	s_wait_xcnt 0x0
	s_add_nc_u64 s[26:27], s[26:27], 48
	s_cmp_eq_u32 s24, s39
	s_add_nc_u64 s[28:29], s[28:29], 32
	s_wait_kmcnt 0x0
	v_mul_hi_u32 v4, s41, v1
	s_delay_alu instid0(VALU_DEP_1) | instskip(NEXT) | instid1(VALU_DEP_1)
	v_add_nc_u32_e32 v4, v1, v4
	v_lshrrev_b32_e32 v4, s42, v4
	s_delay_alu instid0(VALU_DEP_1) | instskip(NEXT) | instid1(VALU_DEP_1)
	v_mul_hi_u32 v5, s44, v4
	v_add_nc_u32_e32 v5, v4, v5
	s_delay_alu instid0(VALU_DEP_1) | instskip(NEXT) | instid1(VALU_DEP_1)
	v_lshrrev_b32_e32 v5, s45, v5
	v_mul_hi_u32 v6, s47, v5
	s_delay_alu instid0(VALU_DEP_1) | instskip(SKIP_1) | instid1(VALU_DEP_1)
	v_add_nc_u32_e32 v6, v5, v6
	v_mul_lo_u32 v7, v4, s40
	v_sub_nc_u32_e32 v1, v1, v7
	v_mul_lo_u32 v7, v5, s43
	s_delay_alu instid0(VALU_DEP_4) | instskip(NEXT) | instid1(VALU_DEP_3)
	v_lshrrev_b32_e32 v6, s56, v6
	v_mad_u32 v3, v1, s49, v3
	v_mad_u32 v1, v1, s48, v2
	s_delay_alu instid0(VALU_DEP_4) | instskip(NEXT) | instid1(VALU_DEP_4)
	v_sub_nc_u32_e32 v2, v4, v7
	v_mul_hi_u32 v8, s58, v6
	v_mul_lo_u32 v4, v6, s46
	s_delay_alu instid0(VALU_DEP_3) | instskip(SKIP_1) | instid1(VALU_DEP_4)
	v_mad_u32 v3, v2, s51, v3
	v_mad_u32 v2, v2, s50, v1
	v_add_nc_u32_e32 v7, v6, v8
	s_delay_alu instid0(VALU_DEP_1) | instskip(NEXT) | instid1(VALU_DEP_1)
	v_dual_sub_nc_u32 v4, v5, v4 :: v_dual_lshrrev_b32 v1, s59, v7
	v_mad_u32 v3, v4, s53, v3
	s_delay_alu instid0(VALU_DEP_4) | instskip(NEXT) | instid1(VALU_DEP_3)
	v_mad_u32 v2, v4, s52, v2
	v_mul_lo_u32 v5, v1, s57
	s_delay_alu instid0(VALU_DEP_1) | instskip(NEXT) | instid1(VALU_DEP_1)
	v_sub_nc_u32_e32 v4, v6, v5
	v_mad_u32 v3, v4, s55, v3
	s_delay_alu instid0(VALU_DEP_4)
	v_mad_u32 v2, v4, s54, v2
	s_cbranch_scc0 .LBB93_176
	s_branch .LBB93_196
.LBB93_177:
                                        ; implicit-def: $vgpr3
	s_branch .LBB93_200
.LBB93_178:
	v_dual_mov_b32 v3, 0 :: v_dual_mov_b32 v2, 0
	s_branch .LBB93_199
.LBB93_179:
	v_mov_b64_e32 v[2:3], 0
	v_mov_b32_e32 v1, v0
	s_mov_b32 s24, 0
.LBB93_180:
	s_and_b32 s28, s25, 3
	s_mov_b32 s25, 0
	s_cmp_eq_u32 s28, 0
	s_cbranch_scc1 .LBB93_183
; %bb.181:
	s_lshl_b32 s26, s24, 3
	s_mov_b32 s27, s25
	s_mul_u64 s[40:41], s[24:25], 12
	s_add_nc_u64 s[26:27], s[16:17], s[26:27]
	s_delay_alu instid0(SALU_CYCLE_1)
	s_add_nc_u64 s[24:25], s[26:27], 0xc4
	s_add_nc_u64 s[26:27], s[16:17], s[40:41]
.LBB93_182:                             ; =>This Inner Loop Header: Depth=1
	s_load_b96 s[40:42], s[26:27], 0x4
	s_add_co_i32 s28, s28, -1
	s_wait_xcnt 0x0
	s_add_nc_u64 s[26:27], s[26:27], 12
	s_cmp_lg_u32 s28, 0
	s_wait_kmcnt 0x0
	v_mul_hi_u32 v4, s41, v1
	s_delay_alu instid0(VALU_DEP_1) | instskip(NEXT) | instid1(VALU_DEP_1)
	v_add_nc_u32_e32 v4, v1, v4
	v_lshrrev_b32_e32 v4, s42, v4
	s_load_b64 s[42:43], s[24:25], 0x0
	s_wait_xcnt 0x0
	s_add_nc_u64 s[24:25], s[24:25], 8
	s_delay_alu instid0(VALU_DEP_1) | instskip(NEXT) | instid1(VALU_DEP_1)
	v_mul_lo_u32 v5, v4, s40
	v_sub_nc_u32_e32 v1, v1, v5
	s_wait_kmcnt 0x0
	s_delay_alu instid0(VALU_DEP_1)
	v_mad_u32 v3, v1, s43, v3
	v_mad_u32 v2, v1, s42, v2
	v_mov_b32_e32 v1, v4
	s_cbranch_scc1 .LBB93_182
.LBB93_183:
	s_cbranch_execnz .LBB93_186
.LBB93_184:
	v_mov_b32_e32 v1, 0
	s_and_not1_b32 vcc_lo, exec_lo, s35
	s_delay_alu instid0(VALU_DEP_1) | instskip(NEXT) | instid1(VALU_DEP_1)
	v_mul_u64_e32 v[2:3], s[18:19], v[0:1]
	v_add_nc_u32_e32 v2, v0, v3
	s_delay_alu instid0(VALU_DEP_1) | instskip(NEXT) | instid1(VALU_DEP_1)
	v_lshrrev_b32_e32 v4, s10, v2
	v_mul_lo_u32 v2, v4, s8
	s_delay_alu instid0(VALU_DEP_1) | instskip(NEXT) | instid1(VALU_DEP_1)
	v_sub_nc_u32_e32 v2, v0, v2
	v_mul_lo_u32 v3, v2, s13
	v_mul_lo_u32 v2, v2, s12
	s_cbranch_vccnz .LBB93_186
; %bb.185:
	v_mov_b32_e32 v5, v1
	s_delay_alu instid0(VALU_DEP_1) | instskip(NEXT) | instid1(VALU_DEP_1)
	v_mul_u64_e32 v[6:7], s[20:21], v[4:5]
	v_add_nc_u32_e32 v1, v4, v7
	s_delay_alu instid0(VALU_DEP_1) | instskip(NEXT) | instid1(VALU_DEP_1)
	v_lshrrev_b32_e32 v1, s1, v1
	v_mul_lo_u32 v1, v1, s11
	s_delay_alu instid0(VALU_DEP_1) | instskip(NEXT) | instid1(VALU_DEP_1)
	v_sub_nc_u32_e32 v1, v4, v1
	v_mad_u32 v2, v1, s14, v2
	v_mad_u32 v3, v1, s15, v3
.LBB93_186:
	global_load_b64 v[4:5], v3, s[6:7]
	v_add_nc_u32_e32 v0, 0x80, v0
	s_wait_loadcnt 0x0
	v_cmp_eq_f64_e32 vcc_lo, s[2:3], v[4:5]
	v_cndmask_b32_e64 v1, 0, 1, vcc_lo
	v_cmp_neq_f64_e32 vcc_lo, s[2:3], v[4:5]
	s_wait_xcnt 0x0
	v_cndmask_b32_e64 v3, 0, 1, vcc_lo
	s_delay_alu instid0(VALU_DEP_1) | instskip(NEXT) | instid1(VALU_DEP_1)
	v_cndmask_b32_e64 v1, v3, v1, s0
	v_and_b32_e32 v1, 1, v1
	global_store_b8 v2, v1, s[4:5]
	s_wait_xcnt 0x0
	s_or_b32 exec_lo, exec_lo, s9
	s_delay_alu instid0(SALU_CYCLE_1)
	s_mov_b32 s9, exec_lo
	v_cmpx_gt_i32_e64 s36, v0
	s_cbranch_execnz .LBB93_172
.LBB93_187:
	s_or_b32 exec_lo, exec_lo, s9
	s_delay_alu instid0(SALU_CYCLE_1)
	s_mov_b32 s9, exec_lo
	v_cmpx_gt_i32_e64 s36, v0
	s_cbranch_execz .LBB93_203
.LBB93_188:
	s_and_not1_b32 vcc_lo, exec_lo, s33
	s_cbranch_vccnz .LBB93_193
; %bb.189:
	s_and_not1_b32 vcc_lo, exec_lo, s38
	s_cbranch_vccnz .LBB93_194
; %bb.190:
	s_add_co_i32 s25, s37, 1
	s_cmp_eq_u32 s31, 2
	s_cbranch_scc1 .LBB93_211
; %bb.191:
	v_dual_mov_b32 v2, 0 :: v_dual_mov_b32 v3, 0
	v_mov_b32_e32 v1, v0
	s_and_b32 s24, s25, 28
	s_mov_b32 s39, 0
	s_mov_b64 s[26:27], s[16:17]
	s_mov_b64 s[28:29], s[22:23]
.LBB93_192:                             ; =>This Inner Loop Header: Depth=1
	s_clause 0x1
	s_load_b256 s[40:47], s[26:27], 0x4
	s_load_b128 s[56:59], s[26:27], 0x24
	s_load_b256 s[48:55], s[28:29], 0x0
	s_add_co_i32 s39, s39, 4
	s_wait_xcnt 0x0
	s_add_nc_u64 s[26:27], s[26:27], 48
	s_cmp_eq_u32 s24, s39
	s_add_nc_u64 s[28:29], s[28:29], 32
	s_wait_kmcnt 0x0
	v_mul_hi_u32 v4, s41, v1
	s_delay_alu instid0(VALU_DEP_1) | instskip(NEXT) | instid1(VALU_DEP_1)
	v_add_nc_u32_e32 v4, v1, v4
	v_lshrrev_b32_e32 v4, s42, v4
	s_delay_alu instid0(VALU_DEP_1) | instskip(NEXT) | instid1(VALU_DEP_1)
	v_mul_hi_u32 v5, s44, v4
	v_add_nc_u32_e32 v5, v4, v5
	s_delay_alu instid0(VALU_DEP_1) | instskip(NEXT) | instid1(VALU_DEP_1)
	v_lshrrev_b32_e32 v5, s45, v5
	v_mul_hi_u32 v6, s47, v5
	s_delay_alu instid0(VALU_DEP_1) | instskip(SKIP_1) | instid1(VALU_DEP_1)
	v_add_nc_u32_e32 v6, v5, v6
	v_mul_lo_u32 v7, v4, s40
	v_sub_nc_u32_e32 v1, v1, v7
	v_mul_lo_u32 v7, v5, s43
	s_delay_alu instid0(VALU_DEP_4) | instskip(NEXT) | instid1(VALU_DEP_3)
	v_lshrrev_b32_e32 v6, s56, v6
	v_mad_u32 v3, v1, s49, v3
	v_mad_u32 v1, v1, s48, v2
	s_delay_alu instid0(VALU_DEP_4) | instskip(NEXT) | instid1(VALU_DEP_4)
	v_sub_nc_u32_e32 v2, v4, v7
	v_mul_hi_u32 v8, s58, v6
	v_mul_lo_u32 v4, v6, s46
	s_delay_alu instid0(VALU_DEP_3) | instskip(SKIP_1) | instid1(VALU_DEP_4)
	v_mad_u32 v3, v2, s51, v3
	v_mad_u32 v2, v2, s50, v1
	v_add_nc_u32_e32 v7, v6, v8
	s_delay_alu instid0(VALU_DEP_1) | instskip(NEXT) | instid1(VALU_DEP_1)
	v_dual_sub_nc_u32 v4, v5, v4 :: v_dual_lshrrev_b32 v1, s59, v7
	v_mad_u32 v3, v4, s53, v3
	s_delay_alu instid0(VALU_DEP_4) | instskip(NEXT) | instid1(VALU_DEP_3)
	v_mad_u32 v2, v4, s52, v2
	v_mul_lo_u32 v5, v1, s57
	s_delay_alu instid0(VALU_DEP_1) | instskip(NEXT) | instid1(VALU_DEP_1)
	v_sub_nc_u32_e32 v4, v6, v5
	v_mad_u32 v3, v4, s55, v3
	s_delay_alu instid0(VALU_DEP_4)
	v_mad_u32 v2, v4, s54, v2
	s_cbranch_scc0 .LBB93_192
	s_branch .LBB93_212
.LBB93_193:
                                        ; implicit-def: $vgpr3
	s_branch .LBB93_216
.LBB93_194:
	v_dual_mov_b32 v3, 0 :: v_dual_mov_b32 v2, 0
	s_branch .LBB93_215
.LBB93_195:
	v_mov_b64_e32 v[2:3], 0
	v_mov_b32_e32 v1, v0
	s_mov_b32 s24, 0
.LBB93_196:
	s_and_b32 s28, s25, 3
	s_mov_b32 s25, 0
	s_cmp_eq_u32 s28, 0
	s_cbranch_scc1 .LBB93_199
; %bb.197:
	s_lshl_b32 s26, s24, 3
	s_mov_b32 s27, s25
	s_mul_u64 s[40:41], s[24:25], 12
	s_add_nc_u64 s[26:27], s[16:17], s[26:27]
	s_delay_alu instid0(SALU_CYCLE_1)
	s_add_nc_u64 s[24:25], s[26:27], 0xc4
	s_add_nc_u64 s[26:27], s[16:17], s[40:41]
.LBB93_198:                             ; =>This Inner Loop Header: Depth=1
	s_load_b96 s[40:42], s[26:27], 0x4
	s_add_co_i32 s28, s28, -1
	s_wait_xcnt 0x0
	s_add_nc_u64 s[26:27], s[26:27], 12
	s_cmp_lg_u32 s28, 0
	s_wait_kmcnt 0x0
	v_mul_hi_u32 v4, s41, v1
	s_delay_alu instid0(VALU_DEP_1) | instskip(NEXT) | instid1(VALU_DEP_1)
	v_add_nc_u32_e32 v4, v1, v4
	v_lshrrev_b32_e32 v4, s42, v4
	s_load_b64 s[42:43], s[24:25], 0x0
	s_wait_xcnt 0x0
	s_add_nc_u64 s[24:25], s[24:25], 8
	s_delay_alu instid0(VALU_DEP_1) | instskip(NEXT) | instid1(VALU_DEP_1)
	v_mul_lo_u32 v5, v4, s40
	v_sub_nc_u32_e32 v1, v1, v5
	s_wait_kmcnt 0x0
	s_delay_alu instid0(VALU_DEP_1)
	v_mad_u32 v3, v1, s43, v3
	v_mad_u32 v2, v1, s42, v2
	v_mov_b32_e32 v1, v4
	s_cbranch_scc1 .LBB93_198
.LBB93_199:
	s_cbranch_execnz .LBB93_202
.LBB93_200:
	v_mov_b32_e32 v1, 0
	s_and_not1_b32 vcc_lo, exec_lo, s35
	s_delay_alu instid0(VALU_DEP_1) | instskip(NEXT) | instid1(VALU_DEP_1)
	v_mul_u64_e32 v[2:3], s[18:19], v[0:1]
	v_add_nc_u32_e32 v2, v0, v3
	s_delay_alu instid0(VALU_DEP_1) | instskip(NEXT) | instid1(VALU_DEP_1)
	v_lshrrev_b32_e32 v4, s10, v2
	v_mul_lo_u32 v2, v4, s8
	s_delay_alu instid0(VALU_DEP_1) | instskip(NEXT) | instid1(VALU_DEP_1)
	v_sub_nc_u32_e32 v2, v0, v2
	v_mul_lo_u32 v3, v2, s13
	v_mul_lo_u32 v2, v2, s12
	s_cbranch_vccnz .LBB93_202
; %bb.201:
	v_mov_b32_e32 v5, v1
	s_delay_alu instid0(VALU_DEP_1) | instskip(NEXT) | instid1(VALU_DEP_1)
	v_mul_u64_e32 v[6:7], s[20:21], v[4:5]
	v_add_nc_u32_e32 v1, v4, v7
	s_delay_alu instid0(VALU_DEP_1) | instskip(NEXT) | instid1(VALU_DEP_1)
	v_lshrrev_b32_e32 v1, s1, v1
	v_mul_lo_u32 v1, v1, s11
	s_delay_alu instid0(VALU_DEP_1) | instskip(NEXT) | instid1(VALU_DEP_1)
	v_sub_nc_u32_e32 v1, v4, v1
	v_mad_u32 v2, v1, s14, v2
	v_mad_u32 v3, v1, s15, v3
.LBB93_202:
	global_load_b64 v[4:5], v3, s[6:7]
	v_add_nc_u32_e32 v0, 0x80, v0
	s_wait_loadcnt 0x0
	v_cmp_eq_f64_e32 vcc_lo, s[2:3], v[4:5]
	v_cndmask_b32_e64 v1, 0, 1, vcc_lo
	v_cmp_neq_f64_e32 vcc_lo, s[2:3], v[4:5]
	s_wait_xcnt 0x0
	v_cndmask_b32_e64 v3, 0, 1, vcc_lo
	s_delay_alu instid0(VALU_DEP_1) | instskip(NEXT) | instid1(VALU_DEP_1)
	v_cndmask_b32_e64 v1, v3, v1, s0
	v_and_b32_e32 v1, 1, v1
	global_store_b8 v2, v1, s[4:5]
	s_wait_xcnt 0x0
	s_or_b32 exec_lo, exec_lo, s9
	s_delay_alu instid0(SALU_CYCLE_1)
	s_mov_b32 s9, exec_lo
	v_cmpx_gt_i32_e64 s36, v0
	s_cbranch_execnz .LBB93_188
.LBB93_203:
	s_or_b32 exec_lo, exec_lo, s9
	s_delay_alu instid0(SALU_CYCLE_1)
	s_mov_b32 s9, exec_lo
	v_cmpx_gt_i32_e64 s36, v0
	s_cbranch_execz .LBB93_219
.LBB93_204:
	s_and_not1_b32 vcc_lo, exec_lo, s33
	s_cbranch_vccnz .LBB93_209
; %bb.205:
	s_and_not1_b32 vcc_lo, exec_lo, s38
	s_cbranch_vccnz .LBB93_210
; %bb.206:
	s_add_co_i32 s25, s37, 1
	s_cmp_eq_u32 s31, 2
	s_cbranch_scc1 .LBB93_222
; %bb.207:
	v_dual_mov_b32 v2, 0 :: v_dual_mov_b32 v3, 0
	v_mov_b32_e32 v1, v0
	s_and_b32 s24, s25, 28
	s_mov_b32 s39, 0
	s_mov_b64 s[26:27], s[16:17]
	s_mov_b64 s[28:29], s[22:23]
.LBB93_208:                             ; =>This Inner Loop Header: Depth=1
	s_clause 0x1
	s_load_b256 s[40:47], s[26:27], 0x4
	s_load_b128 s[56:59], s[26:27], 0x24
	s_load_b256 s[48:55], s[28:29], 0x0
	s_add_co_i32 s39, s39, 4
	s_wait_xcnt 0x0
	s_add_nc_u64 s[26:27], s[26:27], 48
	s_cmp_eq_u32 s24, s39
	s_add_nc_u64 s[28:29], s[28:29], 32
	s_wait_kmcnt 0x0
	v_mul_hi_u32 v4, s41, v1
	s_delay_alu instid0(VALU_DEP_1) | instskip(NEXT) | instid1(VALU_DEP_1)
	v_add_nc_u32_e32 v4, v1, v4
	v_lshrrev_b32_e32 v4, s42, v4
	s_delay_alu instid0(VALU_DEP_1) | instskip(NEXT) | instid1(VALU_DEP_1)
	v_mul_hi_u32 v5, s44, v4
	v_add_nc_u32_e32 v5, v4, v5
	s_delay_alu instid0(VALU_DEP_1) | instskip(NEXT) | instid1(VALU_DEP_1)
	v_lshrrev_b32_e32 v5, s45, v5
	v_mul_hi_u32 v6, s47, v5
	s_delay_alu instid0(VALU_DEP_1) | instskip(SKIP_1) | instid1(VALU_DEP_1)
	v_add_nc_u32_e32 v6, v5, v6
	v_mul_lo_u32 v7, v4, s40
	v_sub_nc_u32_e32 v1, v1, v7
	v_mul_lo_u32 v7, v5, s43
	s_delay_alu instid0(VALU_DEP_4) | instskip(NEXT) | instid1(VALU_DEP_3)
	v_lshrrev_b32_e32 v6, s56, v6
	v_mad_u32 v3, v1, s49, v3
	v_mad_u32 v1, v1, s48, v2
	s_delay_alu instid0(VALU_DEP_4) | instskip(NEXT) | instid1(VALU_DEP_4)
	v_sub_nc_u32_e32 v2, v4, v7
	v_mul_hi_u32 v8, s58, v6
	v_mul_lo_u32 v4, v6, s46
	s_delay_alu instid0(VALU_DEP_3) | instskip(SKIP_1) | instid1(VALU_DEP_4)
	v_mad_u32 v3, v2, s51, v3
	v_mad_u32 v2, v2, s50, v1
	v_add_nc_u32_e32 v7, v6, v8
	s_delay_alu instid0(VALU_DEP_1) | instskip(NEXT) | instid1(VALU_DEP_1)
	v_dual_sub_nc_u32 v4, v5, v4 :: v_dual_lshrrev_b32 v1, s59, v7
	v_mad_u32 v3, v4, s53, v3
	s_delay_alu instid0(VALU_DEP_4) | instskip(NEXT) | instid1(VALU_DEP_3)
	v_mad_u32 v2, v4, s52, v2
	v_mul_lo_u32 v5, v1, s57
	s_delay_alu instid0(VALU_DEP_1) | instskip(NEXT) | instid1(VALU_DEP_1)
	v_sub_nc_u32_e32 v4, v6, v5
	v_mad_u32 v3, v4, s55, v3
	s_delay_alu instid0(VALU_DEP_4)
	v_mad_u32 v2, v4, s54, v2
	s_cbranch_scc0 .LBB93_208
	s_branch .LBB93_223
.LBB93_209:
                                        ; implicit-def: $vgpr3
	s_branch .LBB93_227
.LBB93_210:
	v_dual_mov_b32 v3, 0 :: v_dual_mov_b32 v2, 0
	s_branch .LBB93_226
.LBB93_211:
	v_mov_b64_e32 v[2:3], 0
	v_mov_b32_e32 v1, v0
	s_mov_b32 s24, 0
.LBB93_212:
	s_and_b32 s28, s25, 3
	s_mov_b32 s25, 0
	s_cmp_eq_u32 s28, 0
	s_cbranch_scc1 .LBB93_215
; %bb.213:
	s_lshl_b32 s26, s24, 3
	s_mov_b32 s27, s25
	s_mul_u64 s[40:41], s[24:25], 12
	s_add_nc_u64 s[26:27], s[16:17], s[26:27]
	s_delay_alu instid0(SALU_CYCLE_1)
	s_add_nc_u64 s[24:25], s[26:27], 0xc4
	s_add_nc_u64 s[26:27], s[16:17], s[40:41]
.LBB93_214:                             ; =>This Inner Loop Header: Depth=1
	s_load_b96 s[40:42], s[26:27], 0x4
	s_add_co_i32 s28, s28, -1
	s_wait_xcnt 0x0
	s_add_nc_u64 s[26:27], s[26:27], 12
	s_cmp_lg_u32 s28, 0
	s_wait_kmcnt 0x0
	v_mul_hi_u32 v4, s41, v1
	s_delay_alu instid0(VALU_DEP_1) | instskip(NEXT) | instid1(VALU_DEP_1)
	v_add_nc_u32_e32 v4, v1, v4
	v_lshrrev_b32_e32 v4, s42, v4
	s_load_b64 s[42:43], s[24:25], 0x0
	s_wait_xcnt 0x0
	s_add_nc_u64 s[24:25], s[24:25], 8
	s_delay_alu instid0(VALU_DEP_1) | instskip(NEXT) | instid1(VALU_DEP_1)
	v_mul_lo_u32 v5, v4, s40
	v_sub_nc_u32_e32 v1, v1, v5
	s_wait_kmcnt 0x0
	s_delay_alu instid0(VALU_DEP_1)
	v_mad_u32 v3, v1, s43, v3
	v_mad_u32 v2, v1, s42, v2
	v_mov_b32_e32 v1, v4
	s_cbranch_scc1 .LBB93_214
.LBB93_215:
	s_cbranch_execnz .LBB93_218
.LBB93_216:
	v_mov_b32_e32 v1, 0
	s_and_not1_b32 vcc_lo, exec_lo, s35
	s_delay_alu instid0(VALU_DEP_1) | instskip(NEXT) | instid1(VALU_DEP_1)
	v_mul_u64_e32 v[2:3], s[18:19], v[0:1]
	v_add_nc_u32_e32 v2, v0, v3
	s_delay_alu instid0(VALU_DEP_1) | instskip(NEXT) | instid1(VALU_DEP_1)
	v_lshrrev_b32_e32 v4, s10, v2
	v_mul_lo_u32 v2, v4, s8
	s_delay_alu instid0(VALU_DEP_1) | instskip(NEXT) | instid1(VALU_DEP_1)
	v_sub_nc_u32_e32 v2, v0, v2
	v_mul_lo_u32 v3, v2, s13
	v_mul_lo_u32 v2, v2, s12
	s_cbranch_vccnz .LBB93_218
; %bb.217:
	v_mov_b32_e32 v5, v1
	s_delay_alu instid0(VALU_DEP_1) | instskip(NEXT) | instid1(VALU_DEP_1)
	v_mul_u64_e32 v[6:7], s[20:21], v[4:5]
	v_add_nc_u32_e32 v1, v4, v7
	s_delay_alu instid0(VALU_DEP_1) | instskip(NEXT) | instid1(VALU_DEP_1)
	v_lshrrev_b32_e32 v1, s1, v1
	v_mul_lo_u32 v1, v1, s11
	s_delay_alu instid0(VALU_DEP_1) | instskip(NEXT) | instid1(VALU_DEP_1)
	v_sub_nc_u32_e32 v1, v4, v1
	v_mad_u32 v2, v1, s14, v2
	v_mad_u32 v3, v1, s15, v3
.LBB93_218:
	global_load_b64 v[4:5], v3, s[6:7]
	v_add_nc_u32_e32 v0, 0x80, v0
	s_wait_loadcnt 0x0
	v_cmp_eq_f64_e32 vcc_lo, s[2:3], v[4:5]
	v_cndmask_b32_e64 v1, 0, 1, vcc_lo
	v_cmp_neq_f64_e32 vcc_lo, s[2:3], v[4:5]
	s_wait_xcnt 0x0
	v_cndmask_b32_e64 v3, 0, 1, vcc_lo
	s_delay_alu instid0(VALU_DEP_1) | instskip(NEXT) | instid1(VALU_DEP_1)
	v_cndmask_b32_e64 v1, v3, v1, s0
	v_and_b32_e32 v1, 1, v1
	global_store_b8 v2, v1, s[4:5]
	s_wait_xcnt 0x0
	s_or_b32 exec_lo, exec_lo, s9
	s_delay_alu instid0(SALU_CYCLE_1)
	s_mov_b32 s9, exec_lo
	v_cmpx_gt_i32_e64 s36, v0
	s_cbranch_execnz .LBB93_204
.LBB93_219:
	s_or_b32 exec_lo, exec_lo, s9
	s_delay_alu instid0(SALU_CYCLE_1)
	s_mov_b32 s9, exec_lo
	v_cmpx_gt_i32_e64 s36, v0
	s_cbranch_execnz .LBB93_230
.LBB93_220:
	s_or_b32 exec_lo, exec_lo, s9
                                        ; implicit-def: $vgpr16
                                        ; implicit-def: $vgpr0
	s_and_not1_saveexec_b32 s0, s34
	s_cbranch_execnz .LBB93_8
.LBB93_221:
	s_endpgm
.LBB93_222:
	v_mov_b64_e32 v[2:3], 0
	v_mov_b32_e32 v1, v0
	s_mov_b32 s24, 0
.LBB93_223:
	s_and_b32 s28, s25, 3
	s_mov_b32 s25, 0
	s_cmp_eq_u32 s28, 0
	s_cbranch_scc1 .LBB93_226
; %bb.224:
	s_lshl_b32 s26, s24, 3
	s_mov_b32 s27, s25
	s_mul_u64 s[40:41], s[24:25], 12
	s_add_nc_u64 s[26:27], s[16:17], s[26:27]
	s_delay_alu instid0(SALU_CYCLE_1)
	s_add_nc_u64 s[24:25], s[26:27], 0xc4
	s_add_nc_u64 s[26:27], s[16:17], s[40:41]
.LBB93_225:                             ; =>This Inner Loop Header: Depth=1
	s_load_b96 s[40:42], s[26:27], 0x4
	s_add_co_i32 s28, s28, -1
	s_wait_xcnt 0x0
	s_add_nc_u64 s[26:27], s[26:27], 12
	s_cmp_lg_u32 s28, 0
	s_wait_kmcnt 0x0
	v_mul_hi_u32 v4, s41, v1
	s_delay_alu instid0(VALU_DEP_1) | instskip(NEXT) | instid1(VALU_DEP_1)
	v_add_nc_u32_e32 v4, v1, v4
	v_lshrrev_b32_e32 v4, s42, v4
	s_load_b64 s[42:43], s[24:25], 0x0
	s_wait_xcnt 0x0
	s_add_nc_u64 s[24:25], s[24:25], 8
	s_delay_alu instid0(VALU_DEP_1) | instskip(NEXT) | instid1(VALU_DEP_1)
	v_mul_lo_u32 v5, v4, s40
	v_sub_nc_u32_e32 v1, v1, v5
	s_wait_kmcnt 0x0
	s_delay_alu instid0(VALU_DEP_1)
	v_mad_u32 v3, v1, s43, v3
	v_mad_u32 v2, v1, s42, v2
	v_mov_b32_e32 v1, v4
	s_cbranch_scc1 .LBB93_225
.LBB93_226:
	s_cbranch_execnz .LBB93_229
.LBB93_227:
	v_mov_b32_e32 v1, 0
	s_and_not1_b32 vcc_lo, exec_lo, s35
	s_delay_alu instid0(VALU_DEP_1) | instskip(NEXT) | instid1(VALU_DEP_1)
	v_mul_u64_e32 v[2:3], s[18:19], v[0:1]
	v_add_nc_u32_e32 v2, v0, v3
	s_delay_alu instid0(VALU_DEP_1) | instskip(NEXT) | instid1(VALU_DEP_1)
	v_lshrrev_b32_e32 v4, s10, v2
	v_mul_lo_u32 v2, v4, s8
	s_delay_alu instid0(VALU_DEP_1) | instskip(NEXT) | instid1(VALU_DEP_1)
	v_sub_nc_u32_e32 v2, v0, v2
	v_mul_lo_u32 v3, v2, s13
	v_mul_lo_u32 v2, v2, s12
	s_cbranch_vccnz .LBB93_229
; %bb.228:
	v_mov_b32_e32 v5, v1
	s_delay_alu instid0(VALU_DEP_1) | instskip(NEXT) | instid1(VALU_DEP_1)
	v_mul_u64_e32 v[6:7], s[20:21], v[4:5]
	v_add_nc_u32_e32 v1, v4, v7
	s_delay_alu instid0(VALU_DEP_1) | instskip(NEXT) | instid1(VALU_DEP_1)
	v_lshrrev_b32_e32 v1, s1, v1
	v_mul_lo_u32 v1, v1, s11
	s_delay_alu instid0(VALU_DEP_1) | instskip(NEXT) | instid1(VALU_DEP_1)
	v_sub_nc_u32_e32 v1, v4, v1
	v_mad_u32 v2, v1, s14, v2
	v_mad_u32 v3, v1, s15, v3
.LBB93_229:
	global_load_b64 v[4:5], v3, s[6:7]
	v_add_nc_u32_e32 v0, 0x80, v0
	s_wait_loadcnt 0x0
	v_cmp_eq_f64_e32 vcc_lo, s[2:3], v[4:5]
	v_cndmask_b32_e64 v1, 0, 1, vcc_lo
	v_cmp_neq_f64_e32 vcc_lo, s[2:3], v[4:5]
	s_wait_xcnt 0x0
	v_cndmask_b32_e64 v3, 0, 1, vcc_lo
	s_delay_alu instid0(VALU_DEP_1) | instskip(NEXT) | instid1(VALU_DEP_1)
	v_cndmask_b32_e64 v1, v3, v1, s0
	v_and_b32_e32 v1, 1, v1
	global_store_b8 v2, v1, s[4:5]
	s_wait_xcnt 0x0
	s_or_b32 exec_lo, exec_lo, s9
	s_delay_alu instid0(SALU_CYCLE_1)
	s_mov_b32 s9, exec_lo
	v_cmpx_gt_i32_e64 s36, v0
	s_cbranch_execz .LBB93_220
.LBB93_230:
	s_and_not1_b32 vcc_lo, exec_lo, s33
	s_cbranch_vccnz .LBB93_235
; %bb.231:
	s_and_not1_b32 vcc_lo, exec_lo, s38
	s_cbranch_vccnz .LBB93_236
; %bb.232:
	s_add_co_i32 s37, s37, 1
	s_cmp_eq_u32 s31, 2
	s_cbranch_scc1 .LBB93_237
; %bb.233:
	v_dual_mov_b32 v2, 0 :: v_dual_mov_b32 v3, 0
	v_mov_b32_e32 v1, v0
	s_and_b32 s24, s37, 28
	s_mov_b32 s25, 0
	s_mov_b64 s[26:27], s[16:17]
.LBB93_234:                             ; =>This Inner Loop Header: Depth=1
	s_clause 0x1
	s_load_b256 s[40:47], s[26:27], 0x4
	s_load_b128 s[56:59], s[26:27], 0x24
	s_load_b256 s[48:55], s[22:23], 0x0
	s_add_co_i32 s25, s25, 4
	s_wait_xcnt 0x0
	s_add_nc_u64 s[26:27], s[26:27], 48
	s_cmp_eq_u32 s24, s25
	s_add_nc_u64 s[22:23], s[22:23], 32
	s_wait_kmcnt 0x0
	v_mul_hi_u32 v4, s41, v1
	s_delay_alu instid0(VALU_DEP_1) | instskip(NEXT) | instid1(VALU_DEP_1)
	v_add_nc_u32_e32 v4, v1, v4
	v_lshrrev_b32_e32 v4, s42, v4
	s_delay_alu instid0(VALU_DEP_1) | instskip(NEXT) | instid1(VALU_DEP_1)
	v_mul_hi_u32 v5, s44, v4
	v_add_nc_u32_e32 v5, v4, v5
	s_delay_alu instid0(VALU_DEP_1) | instskip(NEXT) | instid1(VALU_DEP_1)
	v_lshrrev_b32_e32 v5, s45, v5
	v_mul_hi_u32 v6, s47, v5
	s_delay_alu instid0(VALU_DEP_1) | instskip(SKIP_1) | instid1(VALU_DEP_1)
	v_add_nc_u32_e32 v6, v5, v6
	v_mul_lo_u32 v7, v4, s40
	v_sub_nc_u32_e32 v1, v1, v7
	v_mul_lo_u32 v7, v5, s43
	s_delay_alu instid0(VALU_DEP_4) | instskip(NEXT) | instid1(VALU_DEP_3)
	v_lshrrev_b32_e32 v6, s56, v6
	v_mad_u32 v3, v1, s49, v3
	v_mad_u32 v1, v1, s48, v2
	s_delay_alu instid0(VALU_DEP_4) | instskip(NEXT) | instid1(VALU_DEP_4)
	v_sub_nc_u32_e32 v2, v4, v7
	v_mul_hi_u32 v8, s58, v6
	v_mul_lo_u32 v4, v6, s46
	s_delay_alu instid0(VALU_DEP_3) | instskip(SKIP_1) | instid1(VALU_DEP_4)
	v_mad_u32 v3, v2, s51, v3
	v_mad_u32 v2, v2, s50, v1
	v_add_nc_u32_e32 v7, v6, v8
	s_delay_alu instid0(VALU_DEP_1) | instskip(NEXT) | instid1(VALU_DEP_1)
	v_dual_sub_nc_u32 v4, v5, v4 :: v_dual_lshrrev_b32 v1, s59, v7
	v_mad_u32 v3, v4, s53, v3
	s_delay_alu instid0(VALU_DEP_4) | instskip(NEXT) | instid1(VALU_DEP_3)
	v_mad_u32 v2, v4, s52, v2
	v_mul_lo_u32 v5, v1, s57
	s_delay_alu instid0(VALU_DEP_1) | instskip(NEXT) | instid1(VALU_DEP_1)
	v_sub_nc_u32_e32 v4, v6, v5
	v_mad_u32 v3, v4, s55, v3
	s_delay_alu instid0(VALU_DEP_4)
	v_mad_u32 v2, v4, s54, v2
	s_cbranch_scc0 .LBB93_234
	s_branch .LBB93_238
.LBB93_235:
                                        ; implicit-def: $vgpr3
	s_branch .LBB93_242
.LBB93_236:
	v_dual_mov_b32 v3, 0 :: v_dual_mov_b32 v2, 0
	s_branch .LBB93_241
.LBB93_237:
	v_mov_b64_e32 v[2:3], 0
	v_mov_b32_e32 v1, v0
	s_mov_b32 s24, 0
.LBB93_238:
	s_and_b32 s26, s37, 3
	s_mov_b32 s25, 0
	s_cmp_eq_u32 s26, 0
	s_cbranch_scc1 .LBB93_241
; %bb.239:
	s_lshl_b32 s22, s24, 3
	s_mov_b32 s23, s25
	s_mul_u64 s[24:25], s[24:25], 12
	s_add_nc_u64 s[22:23], s[16:17], s[22:23]
	s_add_nc_u64 s[24:25], s[16:17], s[24:25]
	s_add_nc_u64 s[22:23], s[22:23], 0xc4
.LBB93_240:                             ; =>This Inner Loop Header: Depth=1
	s_load_b96 s[36:38], s[24:25], 0x4
	s_load_b64 s[28:29], s[22:23], 0x0
	s_add_co_i32 s26, s26, -1
	s_wait_xcnt 0x0
	s_add_nc_u64 s[24:25], s[24:25], 12
	s_cmp_lg_u32 s26, 0
	s_add_nc_u64 s[22:23], s[22:23], 8
	s_wait_kmcnt 0x0
	v_mul_hi_u32 v4, s37, v1
	s_delay_alu instid0(VALU_DEP_1) | instskip(NEXT) | instid1(VALU_DEP_1)
	v_add_nc_u32_e32 v4, v1, v4
	v_lshrrev_b32_e32 v4, s38, v4
	s_delay_alu instid0(VALU_DEP_1) | instskip(NEXT) | instid1(VALU_DEP_1)
	v_mul_lo_u32 v5, v4, s36
	v_sub_nc_u32_e32 v1, v1, v5
	s_delay_alu instid0(VALU_DEP_1)
	v_mad_u32 v3, v1, s29, v3
	v_mad_u32 v2, v1, s28, v2
	v_mov_b32_e32 v1, v4
	s_cbranch_scc1 .LBB93_240
.LBB93_241:
	s_cbranch_execnz .LBB93_244
.LBB93_242:
	v_mov_b32_e32 v1, 0
	s_and_not1_b32 vcc_lo, exec_lo, s35
	s_delay_alu instid0(VALU_DEP_1) | instskip(NEXT) | instid1(VALU_DEP_1)
	v_mul_u64_e32 v[2:3], s[18:19], v[0:1]
	v_add_nc_u32_e32 v2, v0, v3
	s_delay_alu instid0(VALU_DEP_1) | instskip(NEXT) | instid1(VALU_DEP_1)
	v_lshrrev_b32_e32 v4, s10, v2
	v_mul_lo_u32 v2, v4, s8
	s_delay_alu instid0(VALU_DEP_1) | instskip(NEXT) | instid1(VALU_DEP_1)
	v_sub_nc_u32_e32 v0, v0, v2
	v_mul_lo_u32 v3, v0, s13
	v_mul_lo_u32 v2, v0, s12
	s_cbranch_vccnz .LBB93_244
; %bb.243:
	v_mov_b32_e32 v5, v1
	s_delay_alu instid0(VALU_DEP_1) | instskip(NEXT) | instid1(VALU_DEP_1)
	v_mul_u64_e32 v[0:1], s[20:21], v[4:5]
	v_add_nc_u32_e32 v0, v4, v1
	s_delay_alu instid0(VALU_DEP_1) | instskip(NEXT) | instid1(VALU_DEP_1)
	v_lshrrev_b32_e32 v0, s1, v0
	v_mul_lo_u32 v0, v0, s11
	s_delay_alu instid0(VALU_DEP_1) | instskip(NEXT) | instid1(VALU_DEP_1)
	v_sub_nc_u32_e32 v0, v4, v0
	v_mad_u32 v2, v0, s14, v2
	v_mad_u32 v3, v0, s15, v3
.LBB93_244:
	global_load_b64 v[0:1], v3, s[6:7]
	s_wait_loadcnt 0x0
	v_cmp_eq_f64_e32 vcc_lo, s[2:3], v[0:1]
	s_wait_xcnt 0x0
	v_cndmask_b32_e64 v3, 0, 1, vcc_lo
	v_cmp_neq_f64_e32 vcc_lo, s[2:3], v[0:1]
	v_cndmask_b32_e64 v0, 0, 1, vcc_lo
	s_delay_alu instid0(VALU_DEP_1) | instskip(NEXT) | instid1(VALU_DEP_1)
	v_cndmask_b32_e64 v0, v0, v3, s0
	v_and_b32_e32 v0, 1, v0
	global_store_b8 v2, v0, s[4:5]
	s_wait_xcnt 0x0
	s_or_b32 exec_lo, exec_lo, s9
                                        ; implicit-def: $vgpr16
                                        ; implicit-def: $vgpr0
	s_and_not1_saveexec_b32 s0, s34
	s_cbranch_execz .LBB93_221
	s_branch .LBB93_8
	.section	.rodata,"a",@progbits
	.p2align	6, 0x0
	.amdhsa_kernel _ZN2at6native32elementwise_kernel_manual_unrollILi128ELi8EZNS0_22gpu_kernel_impl_nocastINS0_13AUnaryFunctorIddbNS0_12_GLOBAL__N_116CompareEqFunctorIdEEEEEEvRNS_18TensorIteratorBaseERKT_EUlibE_EEviT1_
		.amdhsa_group_segment_fixed_size 0
		.amdhsa_private_segment_fixed_size 0
		.amdhsa_kernarg_size 368
		.amdhsa_user_sgpr_count 2
		.amdhsa_user_sgpr_dispatch_ptr 0
		.amdhsa_user_sgpr_queue_ptr 0
		.amdhsa_user_sgpr_kernarg_segment_ptr 1
		.amdhsa_user_sgpr_dispatch_id 0
		.amdhsa_user_sgpr_kernarg_preload_length 0
		.amdhsa_user_sgpr_kernarg_preload_offset 0
		.amdhsa_user_sgpr_private_segment_size 0
		.amdhsa_wavefront_size32 1
		.amdhsa_uses_dynamic_stack 0
		.amdhsa_enable_private_segment 0
		.amdhsa_system_sgpr_workgroup_id_x 1
		.amdhsa_system_sgpr_workgroup_id_y 0
		.amdhsa_system_sgpr_workgroup_id_z 0
		.amdhsa_system_sgpr_workgroup_info 0
		.amdhsa_system_vgpr_workitem_id 0
		.amdhsa_next_free_vgpr 32
		.amdhsa_next_free_sgpr 60
		.amdhsa_named_barrier_count 0
		.amdhsa_reserve_vcc 1
		.amdhsa_float_round_mode_32 0
		.amdhsa_float_round_mode_16_64 0
		.amdhsa_float_denorm_mode_32 3
		.amdhsa_float_denorm_mode_16_64 3
		.amdhsa_fp16_overflow 0
		.amdhsa_memory_ordered 1
		.amdhsa_forward_progress 1
		.amdhsa_inst_pref_size 102
		.amdhsa_round_robin_scheduling 0
		.amdhsa_exception_fp_ieee_invalid_op 0
		.amdhsa_exception_fp_denorm_src 0
		.amdhsa_exception_fp_ieee_div_zero 0
		.amdhsa_exception_fp_ieee_overflow 0
		.amdhsa_exception_fp_ieee_underflow 0
		.amdhsa_exception_fp_ieee_inexact 0
		.amdhsa_exception_int_div_zero 0
	.end_amdhsa_kernel
	.section	.text._ZN2at6native32elementwise_kernel_manual_unrollILi128ELi8EZNS0_22gpu_kernel_impl_nocastINS0_13AUnaryFunctorIddbNS0_12_GLOBAL__N_116CompareEqFunctorIdEEEEEEvRNS_18TensorIteratorBaseERKT_EUlibE_EEviT1_,"axG",@progbits,_ZN2at6native32elementwise_kernel_manual_unrollILi128ELi8EZNS0_22gpu_kernel_impl_nocastINS0_13AUnaryFunctorIddbNS0_12_GLOBAL__N_116CompareEqFunctorIdEEEEEEvRNS_18TensorIteratorBaseERKT_EUlibE_EEviT1_,comdat
.Lfunc_end93:
	.size	_ZN2at6native32elementwise_kernel_manual_unrollILi128ELi8EZNS0_22gpu_kernel_impl_nocastINS0_13AUnaryFunctorIddbNS0_12_GLOBAL__N_116CompareEqFunctorIdEEEEEEvRNS_18TensorIteratorBaseERKT_EUlibE_EEviT1_, .Lfunc_end93-_ZN2at6native32elementwise_kernel_manual_unrollILi128ELi8EZNS0_22gpu_kernel_impl_nocastINS0_13AUnaryFunctorIddbNS0_12_GLOBAL__N_116CompareEqFunctorIdEEEEEEvRNS_18TensorIteratorBaseERKT_EUlibE_EEviT1_
                                        ; -- End function
	.set _ZN2at6native32elementwise_kernel_manual_unrollILi128ELi8EZNS0_22gpu_kernel_impl_nocastINS0_13AUnaryFunctorIddbNS0_12_GLOBAL__N_116CompareEqFunctorIdEEEEEEvRNS_18TensorIteratorBaseERKT_EUlibE_EEviT1_.num_vgpr, 32
	.set _ZN2at6native32elementwise_kernel_manual_unrollILi128ELi8EZNS0_22gpu_kernel_impl_nocastINS0_13AUnaryFunctorIddbNS0_12_GLOBAL__N_116CompareEqFunctorIdEEEEEEvRNS_18TensorIteratorBaseERKT_EUlibE_EEviT1_.num_agpr, 0
	.set _ZN2at6native32elementwise_kernel_manual_unrollILi128ELi8EZNS0_22gpu_kernel_impl_nocastINS0_13AUnaryFunctorIddbNS0_12_GLOBAL__N_116CompareEqFunctorIdEEEEEEvRNS_18TensorIteratorBaseERKT_EUlibE_EEviT1_.numbered_sgpr, 60
	.set _ZN2at6native32elementwise_kernel_manual_unrollILi128ELi8EZNS0_22gpu_kernel_impl_nocastINS0_13AUnaryFunctorIddbNS0_12_GLOBAL__N_116CompareEqFunctorIdEEEEEEvRNS_18TensorIteratorBaseERKT_EUlibE_EEviT1_.num_named_barrier, 0
	.set _ZN2at6native32elementwise_kernel_manual_unrollILi128ELi8EZNS0_22gpu_kernel_impl_nocastINS0_13AUnaryFunctorIddbNS0_12_GLOBAL__N_116CompareEqFunctorIdEEEEEEvRNS_18TensorIteratorBaseERKT_EUlibE_EEviT1_.private_seg_size, 0
	.set _ZN2at6native32elementwise_kernel_manual_unrollILi128ELi8EZNS0_22gpu_kernel_impl_nocastINS0_13AUnaryFunctorIddbNS0_12_GLOBAL__N_116CompareEqFunctorIdEEEEEEvRNS_18TensorIteratorBaseERKT_EUlibE_EEviT1_.uses_vcc, 1
	.set _ZN2at6native32elementwise_kernel_manual_unrollILi128ELi8EZNS0_22gpu_kernel_impl_nocastINS0_13AUnaryFunctorIddbNS0_12_GLOBAL__N_116CompareEqFunctorIdEEEEEEvRNS_18TensorIteratorBaseERKT_EUlibE_EEviT1_.uses_flat_scratch, 0
	.set _ZN2at6native32elementwise_kernel_manual_unrollILi128ELi8EZNS0_22gpu_kernel_impl_nocastINS0_13AUnaryFunctorIddbNS0_12_GLOBAL__N_116CompareEqFunctorIdEEEEEEvRNS_18TensorIteratorBaseERKT_EUlibE_EEviT1_.has_dyn_sized_stack, 0
	.set _ZN2at6native32elementwise_kernel_manual_unrollILi128ELi8EZNS0_22gpu_kernel_impl_nocastINS0_13AUnaryFunctorIddbNS0_12_GLOBAL__N_116CompareEqFunctorIdEEEEEEvRNS_18TensorIteratorBaseERKT_EUlibE_EEviT1_.has_recursion, 0
	.set _ZN2at6native32elementwise_kernel_manual_unrollILi128ELi8EZNS0_22gpu_kernel_impl_nocastINS0_13AUnaryFunctorIddbNS0_12_GLOBAL__N_116CompareEqFunctorIdEEEEEEvRNS_18TensorIteratorBaseERKT_EUlibE_EEviT1_.has_indirect_call, 0
	.section	.AMDGPU.csdata,"",@progbits
; Kernel info:
; codeLenInByte = 13020
; TotalNumSgprs: 62
; NumVgprs: 32
; ScratchSize: 0
; MemoryBound: 0
; FloatMode: 240
; IeeeMode: 1
; LDSByteSize: 0 bytes/workgroup (compile time only)
; SGPRBlocks: 0
; VGPRBlocks: 1
; NumSGPRsForWavesPerEU: 62
; NumVGPRsForWavesPerEU: 32
; NamedBarCnt: 0
; Occupancy: 16
; WaveLimiterHint : 1
; COMPUTE_PGM_RSRC2:SCRATCH_EN: 0
; COMPUTE_PGM_RSRC2:USER_SGPR: 2
; COMPUTE_PGM_RSRC2:TRAP_HANDLER: 0
; COMPUTE_PGM_RSRC2:TGID_X_EN: 1
; COMPUTE_PGM_RSRC2:TGID_Y_EN: 0
; COMPUTE_PGM_RSRC2:TGID_Z_EN: 0
; COMPUTE_PGM_RSRC2:TIDIG_COMP_CNT: 0
	.section	.text._ZN2at6native32elementwise_kernel_manual_unrollILi128ELi4EZNS0_15gpu_kernel_implINS0_13AUnaryFunctorIddbNS0_12_GLOBAL__N_116CompareEqFunctorIdEEEEEEvRNS_18TensorIteratorBaseERKT_EUlibE_EEviT1_,"axG",@progbits,_ZN2at6native32elementwise_kernel_manual_unrollILi128ELi4EZNS0_15gpu_kernel_implINS0_13AUnaryFunctorIddbNS0_12_GLOBAL__N_116CompareEqFunctorIdEEEEEEvRNS_18TensorIteratorBaseERKT_EUlibE_EEviT1_,comdat
	.globl	_ZN2at6native32elementwise_kernel_manual_unrollILi128ELi4EZNS0_15gpu_kernel_implINS0_13AUnaryFunctorIddbNS0_12_GLOBAL__N_116CompareEqFunctorIdEEEEEEvRNS_18TensorIteratorBaseERKT_EUlibE_EEviT1_ ; -- Begin function _ZN2at6native32elementwise_kernel_manual_unrollILi128ELi4EZNS0_15gpu_kernel_implINS0_13AUnaryFunctorIddbNS0_12_GLOBAL__N_116CompareEqFunctorIdEEEEEEvRNS_18TensorIteratorBaseERKT_EUlibE_EEviT1_
	.p2align	8
	.type	_ZN2at6native32elementwise_kernel_manual_unrollILi128ELi4EZNS0_15gpu_kernel_implINS0_13AUnaryFunctorIddbNS0_12_GLOBAL__N_116CompareEqFunctorIdEEEEEEvRNS_18TensorIteratorBaseERKT_EUlibE_EEviT1_,@function
_ZN2at6native32elementwise_kernel_manual_unrollILi128ELi4EZNS0_15gpu_kernel_implINS0_13AUnaryFunctorIddbNS0_12_GLOBAL__N_116CompareEqFunctorIdEEEEEEvRNS_18TensorIteratorBaseERKT_EUlibE_EEviT1_: ; @_ZN2at6native32elementwise_kernel_manual_unrollILi128ELi4EZNS0_15gpu_kernel_implINS0_13AUnaryFunctorIddbNS0_12_GLOBAL__N_116CompareEqFunctorIdEEEEEEvRNS_18TensorIteratorBaseERKT_EUlibE_EEviT1_
; %bb.0:
	s_clause 0x1
	s_load_b96 s[8:10], s[0:1], 0x28
	s_load_b96 s[12:14], s[0:1], 0x18
	s_bfe_u32 s3, ttmp6, 0x4000c
	s_clause 0x1
	s_load_b32 s17, s[0:1], 0x0
	s_load_b128 s[4:7], s[0:1], 0x8
	s_add_co_i32 s3, s3, 1
	s_and_b32 s2, ttmp6, 15
	s_wait_xcnt 0x0
	s_mul_i32 s0, ttmp9, s3
	s_getreg_b32 s15, hwreg(HW_REG_IB_STS2, 6, 4)
	s_add_co_i32 s2, s2, s0
	s_mov_b32 s3, 0
	s_mov_b32 s16, 0
	s_wait_kmcnt 0x0
	s_bfe_u32 s11, s10, 0x80008
	s_cmp_eq_u32 s15, 0
	s_cselect_b32 s0, ttmp9, s2
	s_delay_alu instid0(SALU_CYCLE_1) | instskip(SKIP_1) | instid1(VALU_DEP_1)
	v_lshl_or_b32 v10, s0, 9, v0
	s_mov_b32 s0, exec_lo
	v_or_b32_e32 v0, 0x180, v10
	s_delay_alu instid0(VALU_DEP_1)
	v_cmpx_le_i32_e64 s17, v0
	s_xor_b32 s15, exec_lo, s0
	s_cbranch_execz .LBB94_1031
; %bb.1:
	s_cmp_eq_u32 s14, 0
	s_mov_b32 s20, 0
	s_cselect_b32 s0, -1, 0
	s_mov_b32 s1, -1
	s_mov_b32 s18, 0
	s_mov_b32 s19, exec_lo
	v_cmpx_gt_i32_e64 s17, v10
	s_cbranch_execz .LBB94_252
; %bb.2:
	v_mul_lo_u32 v0, v10, s13
	s_and_b32 s1, 0xffff, s11
	s_delay_alu instid0(SALU_CYCLE_1) | instskip(NEXT) | instid1(VALU_DEP_1)
	s_cmp_lt_i32 s1, 11
	v_ashrrev_i32_e32 v1, 31, v0
	s_delay_alu instid0(VALU_DEP_1)
	v_add_nc_u64_e32 v[0:1], s[6:7], v[0:1]
	s_cbranch_scc1 .LBB94_9
; %bb.3:
	s_cmp_gt_i32 s1, 25
	s_cbranch_scc0 .LBB94_18
; %bb.4:
	s_cmp_gt_i32 s1, 28
	s_cbranch_scc0 .LBB94_21
	;; [unrolled: 3-line block ×4, first 2 shown]
; %bb.7:
	s_cmp_eq_u32 s1, 46
	s_cbranch_scc0 .LBB94_27
; %bb.8:
	global_load_b32 v2, v[0:1], off
	s_mov_b32 s2, -1
	s_wait_loadcnt 0x0
	v_lshlrev_b32_e32 v2, 16, v2
	s_delay_alu instid0(VALU_DEP_1)
	v_cvt_f64_f32_e32 v[2:3], v2
	s_branch .LBB94_29
.LBB94_9:
	s_mov_b32 s2, 0
                                        ; implicit-def: $vgpr2_vgpr3
	s_cbranch_execnz .LBB94_202
.LBB94_10:
	s_and_not1_b32 vcc_lo, exec_lo, s2
	s_cbranch_vccnz .LBB94_249
.LBB94_11:
	s_wait_loadcnt 0x0
	s_delay_alu instid0(VALU_DEP_1) | instskip(SKIP_2) | instid1(SALU_CYCLE_1)
	v_cmp_eq_f64_e32 vcc_lo, s[8:9], v[2:3]
	v_mul_lo_u32 v0, v10, s12
	s_and_b32 s16, s10, 0xff
	s_cmp_lt_i32 s16, 11
	v_cndmask_b32_e64 v1, 0, 1, vcc_lo
	v_cmp_neq_f64_e32 vcc_lo, s[8:9], v[2:3]
	v_cndmask_b32_e64 v2, 0, 1, vcc_lo
	s_delay_alu instid0(VALU_DEP_1) | instskip(NEXT) | instid1(VALU_DEP_1)
	v_dual_cndmask_b32 v2, v2, v1, s0 :: v_dual_ashrrev_i32 v1, 31, v0
	v_and_b32_e32 v2, 1, v2
	s_delay_alu instid0(VALU_DEP_2) | instskip(NEXT) | instid1(VALU_DEP_2)
	v_add_nc_u64_e32 v[0:1], s[4:5], v[0:1]
	v_cmp_eq_u32_e64 s1, 1, v2
	s_cbranch_scc1 .LBB94_19
; %bb.12:
	s_and_b32 s21, 0xffff, s16
	s_delay_alu instid0(SALU_CYCLE_1)
	s_cmp_gt_i32 s21, 25
	s_cbranch_scc0 .LBB94_22
; %bb.13:
	s_cmp_gt_i32 s21, 28
	s_cbranch_scc0 .LBB94_24
; %bb.14:
	;; [unrolled: 3-line block ×4, first 2 shown]
	s_mov_b32 s23, 0
	s_mov_b32 s2, -1
	s_cmp_eq_u32 s21, 46
	s_mov_b32 s22, 0
	s_cbranch_scc0 .LBB94_33
; %bb.17:
	v_cndmask_b32_e64 v2, 0, 1.0, s1
	s_mov_b32 s22, -1
	s_mov_b32 s2, 0
	s_delay_alu instid0(VALU_DEP_1) | instskip(NEXT) | instid1(VALU_DEP_1)
	v_bfe_u32 v3, v2, 16, 1
	v_add3_u32 v2, v2, v3, 0x7fff
	s_delay_alu instid0(VALU_DEP_1)
	v_lshrrev_b32_e32 v2, 16, v2
	global_store_b32 v[0:1], v2, off
	s_branch .LBB94_33
.LBB94_18:
	s_mov_b32 s2, 0
                                        ; implicit-def: $vgpr2_vgpr3
	s_cbranch_execnz .LBB94_167
	s_branch .LBB94_201
.LBB94_19:
	s_mov_b32 s2, 0
	s_mov_b32 s22, 0
	s_cbranch_execnz .LBB94_102
.LBB94_20:
	s_and_not1_b32 vcc_lo, exec_lo, s22
	s_cbranch_vccnz .LBB94_250
	s_branch .LBB94_140
.LBB94_21:
	s_mov_b32 s16, -1
	s_mov_b32 s2, 0
                                        ; implicit-def: $vgpr2_vgpr3
	s_branch .LBB94_148
.LBB94_22:
	s_mov_b32 s23, -1
	s_mov_b32 s2, 0
	s_mov_b32 s22, 0
	s_branch .LBB94_60
.LBB94_23:
	s_mov_b32 s16, -1
	s_mov_b32 s2, 0
                                        ; implicit-def: $vgpr2_vgpr3
	s_branch .LBB94_143
.LBB94_24:
	s_mov_b32 s23, -1
	s_mov_b32 s2, 0
	s_mov_b32 s22, 0
	s_branch .LBB94_43
.LBB94_25:
	s_mov_b32 s16, -1
	s_branch .LBB94_28
.LBB94_26:
	s_mov_b32 s23, -1
	s_mov_b32 s2, 0
	s_mov_b32 s22, 0
	s_branch .LBB94_39
.LBB94_27:
	s_mov_b32 s18, -1
.LBB94_28:
	s_mov_b32 s2, 0
                                        ; implicit-def: $vgpr2_vgpr3
.LBB94_29:
	s_and_b32 vcc_lo, exec_lo, s16
	s_cbranch_vccz .LBB94_142
; %bb.30:
	s_cmp_eq_u32 s1, 44
	s_cbranch_scc0 .LBB94_141
; %bb.31:
	global_load_u8 v4, v[0:1], off
	s_mov_b32 s18, 0
	s_mov_b32 s2, -1
	s_wait_loadcnt 0x0
	v_cmp_ne_u32_e32 vcc_lo, 0xff, v4
	v_lshlrev_b32_e32 v2, 23, v4
	s_delay_alu instid0(VALU_DEP_1) | instskip(NEXT) | instid1(VALU_DEP_1)
	v_cvt_f64_f32_e32 v[2:3], v2
	v_cndmask_b32_e32 v2, 0x20000000, v2, vcc_lo
	s_delay_alu instid0(VALU_DEP_2) | instskip(SKIP_1) | instid1(VALU_DEP_2)
	v_cndmask_b32_e32 v3, 0x7ff80000, v3, vcc_lo
	v_cmp_ne_u32_e32 vcc_lo, 0, v4
	v_cndmask_b32_e32 v3, 0x38000000, v3, vcc_lo
	s_delay_alu instid0(VALU_DEP_4)
	v_cndmask_b32_e32 v2, 0, v2, vcc_lo
	s_branch .LBB94_142
.LBB94_32:
	s_mov_b32 s23, -1
	s_mov_b32 s2, 0
	s_mov_b32 s22, 0
.LBB94_33:
	s_and_b32 vcc_lo, exec_lo, s23
	s_cbranch_vccz .LBB94_38
; %bb.34:
	s_cmp_eq_u32 s21, 44
	s_mov_b32 s2, -1
	s_cbranch_scc0 .LBB94_38
; %bb.35:
	v_cndmask_b32_e64 v4, 0, 1.0, s1
	s_mov_b32 s22, exec_lo
	s_wait_xcnt 0x0
	s_delay_alu instid0(VALU_DEP_1) | instskip(NEXT) | instid1(VALU_DEP_1)
	v_dual_mov_b32 v3, 0xff :: v_dual_lshrrev_b32 v2, 23, v4
	v_cmpx_ne_u32_e32 0xff, v2
; %bb.36:
	v_and_b32_e32 v3, 0x400000, v4
	v_and_or_b32 v4, 0x3fffff, v4, v2
	s_delay_alu instid0(VALU_DEP_2) | instskip(NEXT) | instid1(VALU_DEP_2)
	v_cmp_ne_u32_e32 vcc_lo, 0, v3
	v_cmp_ne_u32_e64 s2, 0, v4
	s_and_b32 s2, vcc_lo, s2
	s_delay_alu instid0(SALU_CYCLE_1) | instskip(NEXT) | instid1(VALU_DEP_1)
	v_cndmask_b32_e64 v3, 0, 1, s2
	v_add_nc_u32_e32 v3, v2, v3
; %bb.37:
	s_or_b32 exec_lo, exec_lo, s22
	s_mov_b32 s22, -1
	s_mov_b32 s2, 0
	global_store_b8 v[0:1], v3, off
.LBB94_38:
	s_mov_b32 s23, 0
.LBB94_39:
	s_delay_alu instid0(SALU_CYCLE_1)
	s_and_b32 vcc_lo, exec_lo, s23
	s_cbranch_vccz .LBB94_42
; %bb.40:
	s_cmp_eq_u32 s21, 29
	s_mov_b32 s2, -1
	s_cbranch_scc0 .LBB94_42
; %bb.41:
	s_mov_b32 s2, 0
	s_wait_xcnt 0x0
	v_cndmask_b32_e64 v2, 0, 1, s1
	v_mov_b32_e32 v3, s2
	s_mov_b32 s22, -1
	s_mov_b32 s23, 0
	global_store_b64 v[0:1], v[2:3], off
	s_branch .LBB94_43
.LBB94_42:
	s_mov_b32 s23, 0
.LBB94_43:
	s_delay_alu instid0(SALU_CYCLE_1)
	s_and_b32 vcc_lo, exec_lo, s23
	s_cbranch_vccz .LBB94_59
; %bb.44:
	s_cmp_lt_i32 s21, 27
	s_mov_b32 s22, -1
	s_cbranch_scc1 .LBB94_50
; %bb.45:
	s_cmp_gt_i32 s21, 27
	s_cbranch_scc0 .LBB94_47
; %bb.46:
	s_wait_xcnt 0x0
	v_cndmask_b32_e64 v2, 0, 1, s1
	s_mov_b32 s22, 0
	global_store_b32 v[0:1], v2, off
.LBB94_47:
	s_and_not1_b32 vcc_lo, exec_lo, s22
	s_cbranch_vccnz .LBB94_49
; %bb.48:
	s_wait_xcnt 0x0
	v_cndmask_b32_e64 v2, 0, 1, s1
	global_store_b16 v[0:1], v2, off
.LBB94_49:
	s_mov_b32 s22, 0
.LBB94_50:
	s_delay_alu instid0(SALU_CYCLE_1)
	s_and_not1_b32 vcc_lo, exec_lo, s22
	s_cbranch_vccnz .LBB94_58
; %bb.51:
	s_wait_xcnt 0x0
	v_cndmask_b32_e64 v3, 0, 1.0, s1
	v_mov_b32_e32 v4, 0x80
	s_mov_b32 s22, exec_lo
	s_delay_alu instid0(VALU_DEP_2)
	v_cmpx_gt_u32_e32 0x43800000, v3
	s_cbranch_execz .LBB94_57
; %bb.52:
	s_mov_b32 s23, 0
	s_mov_b32 s24, exec_lo
                                        ; implicit-def: $vgpr2
	v_cmpx_lt_u32_e32 0x3bffffff, v3
	s_xor_b32 s24, exec_lo, s24
	s_cbranch_execz .LBB94_279
; %bb.53:
	v_bfe_u32 v2, v3, 20, 1
	s_mov_b32 s23, exec_lo
	s_delay_alu instid0(VALU_DEP_1) | instskip(NEXT) | instid1(VALU_DEP_1)
	v_add3_u32 v2, v3, v2, 0x487ffff
                                        ; implicit-def: $vgpr3
	v_lshrrev_b32_e32 v2, 20, v2
	s_and_not1_saveexec_b32 s24, s24
	s_cbranch_execnz .LBB94_280
.LBB94_54:
	s_or_b32 exec_lo, exec_lo, s24
	v_mov_b32_e32 v4, 0
	s_and_saveexec_b32 s24, s23
.LBB94_55:
	v_mov_b32_e32 v4, v2
.LBB94_56:
	s_or_b32 exec_lo, exec_lo, s24
.LBB94_57:
	s_delay_alu instid0(SALU_CYCLE_1)
	s_or_b32 exec_lo, exec_lo, s22
	global_store_b8 v[0:1], v4, off
.LBB94_58:
	s_mov_b32 s22, -1
.LBB94_59:
	s_mov_b32 s23, 0
.LBB94_60:
	s_delay_alu instid0(SALU_CYCLE_1)
	s_and_b32 vcc_lo, exec_lo, s23
	s_cbranch_vccz .LBB94_101
; %bb.61:
	s_cmp_gt_i32 s21, 22
	s_mov_b32 s23, -1
	s_cbranch_scc0 .LBB94_93
; %bb.62:
	s_cmp_lt_i32 s21, 24
	s_mov_b32 s22, -1
	s_cbranch_scc1 .LBB94_82
; %bb.63:
	s_cmp_gt_i32 s21, 24
	s_cbranch_scc0 .LBB94_71
; %bb.64:
	s_wait_xcnt 0x0
	v_cndmask_b32_e64 v3, 0, 1.0, s1
	v_mov_b32_e32 v4, 0x80
	s_mov_b32 s22, exec_lo
	s_delay_alu instid0(VALU_DEP_2)
	v_cmpx_gt_u32_e32 0x47800000, v3
	s_cbranch_execz .LBB94_70
; %bb.65:
	s_mov_b32 s23, 0
	s_mov_b32 s24, exec_lo
                                        ; implicit-def: $vgpr2
	v_cmpx_lt_u32_e32 0x37ffffff, v3
	s_xor_b32 s24, exec_lo, s24
	s_cbranch_execz .LBB94_283
; %bb.66:
	v_bfe_u32 v2, v3, 21, 1
	s_mov_b32 s23, exec_lo
	s_delay_alu instid0(VALU_DEP_1) | instskip(NEXT) | instid1(VALU_DEP_1)
	v_add3_u32 v2, v3, v2, 0x88fffff
                                        ; implicit-def: $vgpr3
	v_lshrrev_b32_e32 v2, 21, v2
	s_and_not1_saveexec_b32 s24, s24
	s_cbranch_execnz .LBB94_284
.LBB94_67:
	s_or_b32 exec_lo, exec_lo, s24
	v_mov_b32_e32 v4, 0
	s_and_saveexec_b32 s24, s23
.LBB94_68:
	v_mov_b32_e32 v4, v2
.LBB94_69:
	s_or_b32 exec_lo, exec_lo, s24
.LBB94_70:
	s_delay_alu instid0(SALU_CYCLE_1)
	s_or_b32 exec_lo, exec_lo, s22
	s_mov_b32 s22, 0
	global_store_b8 v[0:1], v4, off
.LBB94_71:
	s_and_b32 vcc_lo, exec_lo, s22
	s_cbranch_vccz .LBB94_81
; %bb.72:
	s_wait_xcnt 0x0
	v_cndmask_b32_e64 v3, 0, 1.0, s1
	s_mov_b32 s22, exec_lo
                                        ; implicit-def: $vgpr2
	s_delay_alu instid0(VALU_DEP_1)
	v_cmpx_gt_u32_e32 0x43f00000, v3
	s_xor_b32 s22, exec_lo, s22
	s_cbranch_execz .LBB94_78
; %bb.73:
	s_mov_b32 s23, exec_lo
                                        ; implicit-def: $vgpr2
	v_cmpx_lt_u32_e32 0x3c7fffff, v3
	s_xor_b32 s23, exec_lo, s23
; %bb.74:
	v_bfe_u32 v2, v3, 20, 1
	s_delay_alu instid0(VALU_DEP_1) | instskip(NEXT) | instid1(VALU_DEP_1)
	v_add3_u32 v2, v3, v2, 0x407ffff
	v_and_b32_e32 v3, 0xff00000, v2
	v_lshrrev_b32_e32 v2, 20, v2
	s_delay_alu instid0(VALU_DEP_2) | instskip(NEXT) | instid1(VALU_DEP_2)
	v_cmp_ne_u32_e32 vcc_lo, 0x7f00000, v3
                                        ; implicit-def: $vgpr3
	v_cndmask_b32_e32 v2, 0x7e, v2, vcc_lo
; %bb.75:
	s_and_not1_saveexec_b32 s23, s23
; %bb.76:
	v_add_f32_e32 v2, 0x46800000, v3
; %bb.77:
	s_or_b32 exec_lo, exec_lo, s23
                                        ; implicit-def: $vgpr3
.LBB94_78:
	s_and_not1_saveexec_b32 s22, s22
; %bb.79:
	v_mov_b32_e32 v2, 0x7f
	v_cmp_lt_u32_e32 vcc_lo, 0x7f800000, v3
	s_delay_alu instid0(VALU_DEP_2)
	v_cndmask_b32_e32 v2, 0x7e, v2, vcc_lo
; %bb.80:
	s_or_b32 exec_lo, exec_lo, s22
	global_store_b8 v[0:1], v2, off
.LBB94_81:
	s_mov_b32 s22, 0
.LBB94_82:
	s_delay_alu instid0(SALU_CYCLE_1)
	s_and_not1_b32 vcc_lo, exec_lo, s22
	s_cbranch_vccnz .LBB94_92
; %bb.83:
	s_wait_xcnt 0x0
	v_cndmask_b32_e64 v3, 0, 1.0, s1
	s_mov_b32 s22, exec_lo
                                        ; implicit-def: $vgpr2
	s_delay_alu instid0(VALU_DEP_1)
	v_cmpx_gt_u32_e32 0x47800000, v3
	s_xor_b32 s22, exec_lo, s22
	s_cbranch_execz .LBB94_89
; %bb.84:
	s_mov_b32 s23, exec_lo
                                        ; implicit-def: $vgpr2
	v_cmpx_lt_u32_e32 0x387fffff, v3
	s_xor_b32 s23, exec_lo, s23
; %bb.85:
	v_bfe_u32 v2, v3, 21, 1
	s_delay_alu instid0(VALU_DEP_1) | instskip(NEXT) | instid1(VALU_DEP_1)
	v_add3_u32 v2, v3, v2, 0x80fffff
                                        ; implicit-def: $vgpr3
	v_lshrrev_b32_e32 v2, 21, v2
; %bb.86:
	s_and_not1_saveexec_b32 s23, s23
; %bb.87:
	v_add_f32_e32 v2, 0x43000000, v3
; %bb.88:
	s_or_b32 exec_lo, exec_lo, s23
                                        ; implicit-def: $vgpr3
.LBB94_89:
	s_and_not1_saveexec_b32 s22, s22
; %bb.90:
	v_mov_b32_e32 v2, 0x7f
	v_cmp_lt_u32_e32 vcc_lo, 0x7f800000, v3
	s_delay_alu instid0(VALU_DEP_2)
	v_cndmask_b32_e32 v2, 0x7c, v2, vcc_lo
; %bb.91:
	s_or_b32 exec_lo, exec_lo, s22
	global_store_b8 v[0:1], v2, off
.LBB94_92:
	s_mov_b32 s23, 0
	s_mov_b32 s22, -1
.LBB94_93:
	s_and_not1_b32 vcc_lo, exec_lo, s23
	s_cbranch_vccnz .LBB94_101
; %bb.94:
	s_cmp_gt_i32 s21, 14
	s_mov_b32 s23, -1
	s_cbranch_scc0 .LBB94_98
; %bb.95:
	s_cmp_eq_u32 s21, 15
	s_mov_b32 s2, -1
	s_cbranch_scc0 .LBB94_97
; %bb.96:
	s_wait_xcnt 0x0
	v_cndmask_b32_e64 v2, 0, 1.0, s1
	s_mov_b32 s22, -1
	s_mov_b32 s2, 0
	s_delay_alu instid0(VALU_DEP_1) | instskip(NEXT) | instid1(VALU_DEP_1)
	v_bfe_u32 v3, v2, 16, 1
	v_add3_u32 v2, v2, v3, 0x7fff
	global_store_d16_hi_b16 v[0:1], v2, off
.LBB94_97:
	s_mov_b32 s23, 0
.LBB94_98:
	s_delay_alu instid0(SALU_CYCLE_1)
	s_and_b32 vcc_lo, exec_lo, s23
	s_cbranch_vccz .LBB94_101
; %bb.99:
	s_cmp_eq_u32 s21, 11
	s_mov_b32 s2, -1
	s_cbranch_scc0 .LBB94_101
; %bb.100:
	s_wait_xcnt 0x0
	v_cndmask_b32_e64 v2, 0, 1, s1
	s_mov_b32 s22, -1
	s_mov_b32 s2, 0
	global_store_b8 v[0:1], v2, off
.LBB94_101:
	s_branch .LBB94_20
.LBB94_102:
	s_and_b32 s16, 0xffff, s16
	s_mov_b32 s21, -1
	s_cmp_lt_i32 s16, 5
	s_cbranch_scc1 .LBB94_123
; %bb.103:
	s_cmp_lt_i32 s16, 8
	s_cbranch_scc1 .LBB94_113
; %bb.104:
	;; [unrolled: 3-line block ×3, first 2 shown]
	s_cmp_gt_i32 s16, 9
	s_cbranch_scc0 .LBB94_107
; %bb.106:
	s_wait_xcnt 0x0
	v_cndmask_b32_e64 v2, 0, 1, s1
	v_mov_b32_e32 v4, 0
	s_mov_b32 s21, 0
	s_delay_alu instid0(VALU_DEP_2) | instskip(NEXT) | instid1(VALU_DEP_2)
	v_cvt_f64_u32_e32 v[2:3], v2
	v_mov_b32_e32 v5, v4
	global_store_b128 v[0:1], v[2:5], off
.LBB94_107:
	s_and_not1_b32 vcc_lo, exec_lo, s21
	s_cbranch_vccnz .LBB94_109
; %bb.108:
	s_wait_xcnt 0x0
	v_cndmask_b32_e64 v2, 0, 1.0, s1
	v_mov_b32_e32 v3, 0
	global_store_b64 v[0:1], v[2:3], off
.LBB94_109:
	s_mov_b32 s21, 0
.LBB94_110:
	s_delay_alu instid0(SALU_CYCLE_1)
	s_and_not1_b32 vcc_lo, exec_lo, s21
	s_cbranch_vccnz .LBB94_112
; %bb.111:
	s_wait_xcnt 0x0
	v_cndmask_b32_e64 v2, 0, 1.0, s1
	s_delay_alu instid0(VALU_DEP_1) | instskip(NEXT) | instid1(VALU_DEP_1)
	v_cvt_f16_f32_e32 v2, v2
	v_and_b32_e32 v2, 0xffff, v2
	global_store_b32 v[0:1], v2, off
.LBB94_112:
	s_mov_b32 s21, 0
.LBB94_113:
	s_delay_alu instid0(SALU_CYCLE_1)
	s_and_not1_b32 vcc_lo, exec_lo, s21
	s_cbranch_vccnz .LBB94_122
; %bb.114:
	s_cmp_lt_i32 s16, 6
	s_mov_b32 s21, -1
	s_cbranch_scc1 .LBB94_120
; %bb.115:
	s_cmp_gt_i32 s16, 6
	s_cbranch_scc0 .LBB94_117
; %bb.116:
	s_wait_xcnt 0x0
	v_cndmask_b32_e64 v2, 0, 1, s1
	s_mov_b32 s21, 0
	s_delay_alu instid0(VALU_DEP_1)
	v_cvt_f64_u32_e32 v[2:3], v2
	global_store_b64 v[0:1], v[2:3], off
.LBB94_117:
	s_and_not1_b32 vcc_lo, exec_lo, s21
	s_cbranch_vccnz .LBB94_119
; %bb.118:
	s_wait_xcnt 0x0
	v_cndmask_b32_e64 v2, 0, 1.0, s1
	global_store_b32 v[0:1], v2, off
.LBB94_119:
	s_mov_b32 s21, 0
.LBB94_120:
	s_delay_alu instid0(SALU_CYCLE_1)
	s_and_not1_b32 vcc_lo, exec_lo, s21
	s_cbranch_vccnz .LBB94_122
; %bb.121:
	s_wait_xcnt 0x0
	v_cndmask_b32_e64 v2, 0, 1.0, s1
	s_delay_alu instid0(VALU_DEP_1)
	v_cvt_f16_f32_e32 v2, v2
	global_store_b16 v[0:1], v2, off
.LBB94_122:
	s_mov_b32 s21, 0
.LBB94_123:
	s_delay_alu instid0(SALU_CYCLE_1)
	s_and_not1_b32 vcc_lo, exec_lo, s21
	s_cbranch_vccnz .LBB94_139
; %bb.124:
	s_cmp_lt_i32 s16, 2
	s_mov_b32 s21, -1
	s_cbranch_scc1 .LBB94_134
; %bb.125:
	s_cmp_lt_i32 s16, 3
	s_cbranch_scc1 .LBB94_131
; %bb.126:
	s_cmp_gt_i32 s16, 3
	s_cbranch_scc0 .LBB94_128
; %bb.127:
	s_mov_b32 s21, 0
	s_wait_xcnt 0x0
	v_cndmask_b32_e64 v2, 0, 1, s1
	v_mov_b32_e32 v3, s21
	global_store_b64 v[0:1], v[2:3], off
.LBB94_128:
	s_and_not1_b32 vcc_lo, exec_lo, s21
	s_cbranch_vccnz .LBB94_130
; %bb.129:
	s_wait_xcnt 0x0
	v_cndmask_b32_e64 v2, 0, 1, s1
	global_store_b32 v[0:1], v2, off
.LBB94_130:
	s_mov_b32 s21, 0
.LBB94_131:
	s_delay_alu instid0(SALU_CYCLE_1)
	s_and_not1_b32 vcc_lo, exec_lo, s21
	s_cbranch_vccnz .LBB94_133
; %bb.132:
	s_wait_xcnt 0x0
	v_cndmask_b32_e64 v2, 0, 1, s1
	global_store_b16 v[0:1], v2, off
.LBB94_133:
	s_mov_b32 s21, 0
.LBB94_134:
	s_delay_alu instid0(SALU_CYCLE_1)
	s_and_not1_b32 vcc_lo, exec_lo, s21
	s_cbranch_vccnz .LBB94_139
; %bb.135:
	s_wait_xcnt 0x0
	v_cndmask_b32_e64 v2, 0, 1, s1
	s_cmp_gt_i32 s16, 0
	s_mov_b32 s1, -1
	s_cbranch_scc0 .LBB94_137
; %bb.136:
	s_mov_b32 s1, 0
	global_store_b8 v[0:1], v2, off
.LBB94_137:
	s_and_not1_b32 vcc_lo, exec_lo, s1
	s_cbranch_vccnz .LBB94_139
; %bb.138:
	global_store_b8 v[0:1], v2, off
.LBB94_139:
.LBB94_140:
	v_add_nc_u32_e32 v10, 0x80, v10
	s_mov_b32 s1, -1
	s_branch .LBB94_251
.LBB94_141:
	s_mov_b32 s18, -1
                                        ; implicit-def: $vgpr2_vgpr3
.LBB94_142:
	s_mov_b32 s16, 0
.LBB94_143:
	s_delay_alu instid0(SALU_CYCLE_1)
	s_and_b32 vcc_lo, exec_lo, s16
	s_cbranch_vccz .LBB94_147
; %bb.144:
	s_cmp_eq_u32 s1, 29
	s_cbranch_scc0 .LBB94_146
; %bb.145:
	global_load_b64 v[2:3], v[0:1], off
	s_mov_b32 s2, -1
	s_mov_b32 s18, 0
	s_mov_b32 s16, 0
	s_wait_loadcnt 0x0
	v_cvt_f64_u32_e32 v[4:5], v3
	v_cvt_f64_u32_e32 v[2:3], v2
	s_delay_alu instid0(VALU_DEP_2) | instskip(NEXT) | instid1(VALU_DEP_1)
	v_ldexp_f64 v[4:5], v[4:5], 32
	v_add_f64_e32 v[2:3], v[4:5], v[2:3]
	s_branch .LBB94_148
.LBB94_146:
	s_mov_b32 s18, -1
                                        ; implicit-def: $vgpr2_vgpr3
.LBB94_147:
	s_mov_b32 s16, 0
.LBB94_148:
	s_delay_alu instid0(SALU_CYCLE_1)
	s_and_b32 vcc_lo, exec_lo, s16
	s_cbranch_vccz .LBB94_166
; %bb.149:
	s_cmp_lt_i32 s1, 27
	s_cbranch_scc1 .LBB94_152
; %bb.150:
	s_cmp_gt_i32 s1, 27
	s_cbranch_scc0 .LBB94_153
; %bb.151:
	global_load_b32 v2, v[0:1], off
	s_mov_b32 s2, 0
	s_wait_loadcnt 0x0
	v_cvt_f64_u32_e32 v[2:3], v2
	s_branch .LBB94_154
.LBB94_152:
	s_mov_b32 s2, -1
                                        ; implicit-def: $vgpr2_vgpr3
	s_branch .LBB94_157
.LBB94_153:
	s_mov_b32 s2, -1
                                        ; implicit-def: $vgpr2_vgpr3
.LBB94_154:
	s_delay_alu instid0(SALU_CYCLE_1)
	s_and_not1_b32 vcc_lo, exec_lo, s2
	s_cbranch_vccnz .LBB94_156
; %bb.155:
	global_load_u16 v2, v[0:1], off
	s_wait_loadcnt 0x0
	v_cvt_f64_u32_e32 v[2:3], v2
.LBB94_156:
	s_mov_b32 s2, 0
.LBB94_157:
	s_delay_alu instid0(SALU_CYCLE_1)
	s_and_not1_b32 vcc_lo, exec_lo, s2
	s_cbranch_vccnz .LBB94_165
; %bb.158:
	global_load_u8 v4, v[0:1], off
	s_mov_b32 s2, 0
	s_mov_b32 s16, exec_lo
	s_wait_loadcnt 0x0
	v_cmpx_lt_i16_e32 0x7f, v4
	s_xor_b32 s16, exec_lo, s16
	s_cbranch_execz .LBB94_178
; %bb.159:
	s_mov_b32 s2, -1
	s_mov_b32 s21, exec_lo
	v_cmpx_eq_u16_e32 0x80, v4
; %bb.160:
	s_xor_b32 s2, exec_lo, -1
; %bb.161:
	s_or_b32 exec_lo, exec_lo, s21
	s_delay_alu instid0(SALU_CYCLE_1)
	s_and_b32 s2, s2, exec_lo
	s_or_saveexec_b32 s16, s16
	v_mov_b64_e32 v[2:3], 0x7ff8000020000000
	s_xor_b32 exec_lo, exec_lo, s16
	s_cbranch_execnz .LBB94_179
.LBB94_162:
	s_or_b32 exec_lo, exec_lo, s16
	s_and_saveexec_b32 s16, s2
	s_cbranch_execz .LBB94_164
.LBB94_163:
	v_and_b32_e32 v2, 0xffff, v4
	s_delay_alu instid0(VALU_DEP_1) | instskip(SKIP_1) | instid1(VALU_DEP_2)
	v_and_b32_e32 v3, 7, v2
	v_bfe_u32 v7, v2, 3, 4
	v_clz_i32_u32_e32 v5, v3
	s_delay_alu instid0(VALU_DEP_2) | instskip(NEXT) | instid1(VALU_DEP_2)
	v_cmp_eq_u32_e32 vcc_lo, 0, v7
	v_min_u32_e32 v5, 32, v5
	s_delay_alu instid0(VALU_DEP_1) | instskip(NEXT) | instid1(VALU_DEP_1)
	v_subrev_nc_u32_e32 v6, 28, v5
	v_dual_lshlrev_b32 v2, v6, v2 :: v_dual_sub_nc_u32 v5, 29, v5
	s_delay_alu instid0(VALU_DEP_1) | instskip(NEXT) | instid1(VALU_DEP_2)
	v_dual_lshlrev_b32 v4, 24, v4 :: v_dual_bitop2_b32 v2, 7, v2 bitop3:0x40
	v_cndmask_b32_e32 v5, v7, v5, vcc_lo
	s_delay_alu instid0(VALU_DEP_2) | instskip(NEXT) | instid1(VALU_DEP_3)
	v_cndmask_b32_e32 v2, v3, v2, vcc_lo
	v_and_b32_e32 v3, 0x80000000, v4
	s_delay_alu instid0(VALU_DEP_3) | instskip(NEXT) | instid1(VALU_DEP_3)
	v_lshl_add_u32 v4, v5, 23, 0x3b800000
	v_lshlrev_b32_e32 v2, 20, v2
	s_delay_alu instid0(VALU_DEP_1) | instskip(NEXT) | instid1(VALU_DEP_1)
	v_or3_b32 v2, v3, v4, v2
	v_cvt_f64_f32_e32 v[2:3], v2
.LBB94_164:
	s_or_b32 exec_lo, exec_lo, s16
.LBB94_165:
	s_mov_b32 s2, -1
.LBB94_166:
	s_branch .LBB94_201
.LBB94_167:
	s_cmp_gt_i32 s1, 22
	s_cbranch_scc0 .LBB94_177
; %bb.168:
	s_cmp_lt_i32 s1, 24
	s_cbranch_scc1 .LBB94_180
; %bb.169:
	s_cmp_gt_i32 s1, 24
	s_cbranch_scc0 .LBB94_181
; %bb.170:
	global_load_u8 v4, v[0:1], off
	s_mov_b32 s2, 0
	s_mov_b32 s16, exec_lo
	s_wait_loadcnt 0x0
	v_cmpx_lt_i16_e32 0x7f, v4
	s_xor_b32 s16, exec_lo, s16
	s_cbranch_execz .LBB94_193
; %bb.171:
	s_mov_b32 s2, -1
	s_mov_b32 s21, exec_lo
	v_cmpx_eq_u16_e32 0x80, v4
; %bb.172:
	s_xor_b32 s2, exec_lo, -1
; %bb.173:
	s_or_b32 exec_lo, exec_lo, s21
	s_delay_alu instid0(SALU_CYCLE_1)
	s_and_b32 s2, s2, exec_lo
	s_or_saveexec_b32 s16, s16
	v_mov_b64_e32 v[2:3], 0x7ff8000020000000
	s_xor_b32 exec_lo, exec_lo, s16
	s_cbranch_execnz .LBB94_194
.LBB94_174:
	s_or_b32 exec_lo, exec_lo, s16
	s_and_saveexec_b32 s16, s2
	s_cbranch_execz .LBB94_176
.LBB94_175:
	v_and_b32_e32 v2, 0xffff, v4
	s_delay_alu instid0(VALU_DEP_1) | instskip(SKIP_1) | instid1(VALU_DEP_2)
	v_and_b32_e32 v3, 3, v2
	v_bfe_u32 v7, v2, 2, 5
	v_clz_i32_u32_e32 v5, v3
	s_delay_alu instid0(VALU_DEP_2) | instskip(NEXT) | instid1(VALU_DEP_2)
	v_cmp_eq_u32_e32 vcc_lo, 0, v7
	v_min_u32_e32 v5, 32, v5
	s_delay_alu instid0(VALU_DEP_1) | instskip(NEXT) | instid1(VALU_DEP_1)
	v_subrev_nc_u32_e32 v6, 29, v5
	v_dual_lshlrev_b32 v2, v6, v2 :: v_dual_sub_nc_u32 v5, 30, v5
	s_delay_alu instid0(VALU_DEP_1) | instskip(NEXT) | instid1(VALU_DEP_2)
	v_dual_lshlrev_b32 v4, 24, v4 :: v_dual_bitop2_b32 v2, 3, v2 bitop3:0x40
	v_cndmask_b32_e32 v5, v7, v5, vcc_lo
	s_delay_alu instid0(VALU_DEP_2) | instskip(NEXT) | instid1(VALU_DEP_3)
	v_cndmask_b32_e32 v2, v3, v2, vcc_lo
	v_and_b32_e32 v3, 0x80000000, v4
	s_delay_alu instid0(VALU_DEP_3) | instskip(NEXT) | instid1(VALU_DEP_3)
	v_lshl_add_u32 v4, v5, 23, 0x37800000
	v_lshlrev_b32_e32 v2, 21, v2
	s_delay_alu instid0(VALU_DEP_1) | instskip(NEXT) | instid1(VALU_DEP_1)
	v_or3_b32 v2, v3, v4, v2
	v_cvt_f64_f32_e32 v[2:3], v2
.LBB94_176:
	s_or_b32 exec_lo, exec_lo, s16
	s_mov_b32 s2, 0
	s_branch .LBB94_182
.LBB94_177:
	s_mov_b32 s16, -1
                                        ; implicit-def: $vgpr2_vgpr3
	s_branch .LBB94_188
.LBB94_178:
	s_or_saveexec_b32 s16, s16
	v_mov_b64_e32 v[2:3], 0x7ff8000020000000
	s_xor_b32 exec_lo, exec_lo, s16
	s_cbranch_execz .LBB94_162
.LBB94_179:
	v_cmp_ne_u16_e32 vcc_lo, 0, v4
	v_mov_b64_e32 v[2:3], 0
	s_and_not1_b32 s2, s2, exec_lo
	s_and_b32 s21, vcc_lo, exec_lo
	s_delay_alu instid0(SALU_CYCLE_1)
	s_or_b32 s2, s2, s21
	s_or_b32 exec_lo, exec_lo, s16
	s_and_saveexec_b32 s16, s2
	s_cbranch_execnz .LBB94_163
	s_branch .LBB94_164
.LBB94_180:
	s_mov_b32 s2, -1
                                        ; implicit-def: $vgpr2_vgpr3
	s_branch .LBB94_185
.LBB94_181:
	s_mov_b32 s2, -1
                                        ; implicit-def: $vgpr2_vgpr3
.LBB94_182:
	s_delay_alu instid0(SALU_CYCLE_1)
	s_and_b32 vcc_lo, exec_lo, s2
	s_cbranch_vccz .LBB94_184
; %bb.183:
	global_load_u8 v2, v[0:1], off
	s_wait_loadcnt 0x0
	v_lshlrev_b32_e32 v2, 24, v2
	s_delay_alu instid0(VALU_DEP_1) | instskip(NEXT) | instid1(VALU_DEP_1)
	v_and_b32_e32 v3, 0x7f000000, v2
	v_clz_i32_u32_e32 v4, v3
	v_cmp_ne_u32_e32 vcc_lo, 0, v3
	v_add_nc_u32_e32 v6, 0x1000000, v3
	s_delay_alu instid0(VALU_DEP_3) | instskip(NEXT) | instid1(VALU_DEP_1)
	v_min_u32_e32 v4, 32, v4
	v_sub_nc_u32_e64 v4, v4, 4 clamp
	s_delay_alu instid0(VALU_DEP_1) | instskip(NEXT) | instid1(VALU_DEP_1)
	v_dual_lshlrev_b32 v5, v4, v3 :: v_dual_lshlrev_b32 v4, 23, v4
	v_lshrrev_b32_e32 v5, 4, v5
	s_delay_alu instid0(VALU_DEP_1) | instskip(NEXT) | instid1(VALU_DEP_1)
	v_dual_sub_nc_u32 v4, v5, v4 :: v_dual_ashrrev_i32 v5, 8, v6
	v_add_nc_u32_e32 v4, 0x3c000000, v4
	s_delay_alu instid0(VALU_DEP_1) | instskip(NEXT) | instid1(VALU_DEP_1)
	v_and_or_b32 v4, 0x7f800000, v5, v4
	v_cndmask_b32_e32 v3, 0, v4, vcc_lo
	s_delay_alu instid0(VALU_DEP_1) | instskip(NEXT) | instid1(VALU_DEP_1)
	v_and_or_b32 v2, 0x80000000, v2, v3
	v_cvt_f64_f32_e32 v[2:3], v2
.LBB94_184:
	s_mov_b32 s2, 0
.LBB94_185:
	s_delay_alu instid0(SALU_CYCLE_1)
	s_and_not1_b32 vcc_lo, exec_lo, s2
	s_cbranch_vccnz .LBB94_187
; %bb.186:
	global_load_u8 v2, v[0:1], off
	s_wait_loadcnt 0x0
	v_lshlrev_b32_e32 v3, 25, v2
	v_lshlrev_b16 v2, 8, v2
	s_delay_alu instid0(VALU_DEP_1) | instskip(SKIP_1) | instid1(VALU_DEP_2)
	v_and_or_b32 v5, 0x7f00, v2, 0.5
	v_bfe_i32 v2, v2, 0, 16
	v_dual_add_f32 v5, -0.5, v5 :: v_dual_lshrrev_b32 v4, 4, v3
	v_cmp_gt_u32_e32 vcc_lo, 0x8000000, v3
	s_delay_alu instid0(VALU_DEP_2) | instskip(NEXT) | instid1(VALU_DEP_1)
	v_or_b32_e32 v4, 0x70000000, v4
	v_mul_f32_e32 v4, 0x7800000, v4
	s_delay_alu instid0(VALU_DEP_1) | instskip(NEXT) | instid1(VALU_DEP_1)
	v_cndmask_b32_e32 v3, v4, v5, vcc_lo
	v_and_or_b32 v2, 0x80000000, v2, v3
	s_delay_alu instid0(VALU_DEP_1)
	v_cvt_f64_f32_e32 v[2:3], v2
.LBB94_187:
	s_mov_b32 s16, 0
	s_mov_b32 s2, -1
.LBB94_188:
	s_and_not1_b32 vcc_lo, exec_lo, s16
	s_cbranch_vccnz .LBB94_201
; %bb.189:
	s_cmp_gt_i32 s1, 14
	s_cbranch_scc0 .LBB94_192
; %bb.190:
	s_cmp_eq_u32 s1, 15
	s_cbranch_scc0 .LBB94_195
; %bb.191:
	global_load_u16 v2, v[0:1], off
	s_mov_b32 s2, -1
	s_mov_b32 s18, 0
	s_wait_loadcnt 0x0
	v_lshlrev_b32_e32 v2, 16, v2
	s_delay_alu instid0(VALU_DEP_1)
	v_cvt_f64_f32_e32 v[2:3], v2
	s_branch .LBB94_196
.LBB94_192:
	s_mov_b32 s16, -1
                                        ; implicit-def: $vgpr2_vgpr3
	s_branch .LBB94_197
.LBB94_193:
	s_or_saveexec_b32 s16, s16
	v_mov_b64_e32 v[2:3], 0x7ff8000020000000
	s_xor_b32 exec_lo, exec_lo, s16
	s_cbranch_execz .LBB94_174
.LBB94_194:
	v_cmp_ne_u16_e32 vcc_lo, 0, v4
	v_mov_b64_e32 v[2:3], 0
	s_and_not1_b32 s2, s2, exec_lo
	s_and_b32 s21, vcc_lo, exec_lo
	s_delay_alu instid0(SALU_CYCLE_1)
	s_or_b32 s2, s2, s21
	s_or_b32 exec_lo, exec_lo, s16
	s_and_saveexec_b32 s16, s2
	s_cbranch_execnz .LBB94_175
	s_branch .LBB94_176
.LBB94_195:
	s_mov_b32 s18, -1
                                        ; implicit-def: $vgpr2_vgpr3
.LBB94_196:
	s_mov_b32 s16, 0
.LBB94_197:
	s_delay_alu instid0(SALU_CYCLE_1)
	s_and_b32 vcc_lo, exec_lo, s16
	s_cbranch_vccz .LBB94_201
; %bb.198:
	s_cmp_eq_u32 s1, 11
	s_cbranch_scc0 .LBB94_200
; %bb.199:
	global_load_u8 v2, v[0:1], off
	s_mov_b32 s18, 0
	s_mov_b32 s2, -1
	s_wait_loadcnt 0x0
	v_cmp_ne_u16_e32 vcc_lo, 0, v2
	v_mov_b32_e32 v2, 0
	v_cndmask_b32_e64 v3, 0, 0x3ff00000, vcc_lo
	s_branch .LBB94_201
.LBB94_200:
	s_mov_b32 s18, -1
                                        ; implicit-def: $vgpr2_vgpr3
.LBB94_201:
	s_branch .LBB94_10
.LBB94_202:
	s_cmp_lt_i32 s1, 5
	s_cbranch_scc1 .LBB94_207
; %bb.203:
	s_cmp_lt_i32 s1, 8
	s_cbranch_scc1 .LBB94_208
; %bb.204:
	;; [unrolled: 3-line block ×3, first 2 shown]
	s_cmp_gt_i32 s1, 9
	s_cbranch_scc0 .LBB94_210
; %bb.206:
	global_load_b64 v[2:3], v[0:1], off
	s_mov_b32 s2, 0
	s_branch .LBB94_211
.LBB94_207:
                                        ; implicit-def: $vgpr2_vgpr3
	s_branch .LBB94_229
.LBB94_208:
	s_mov_b32 s2, -1
                                        ; implicit-def: $vgpr2_vgpr3
	s_branch .LBB94_217
.LBB94_209:
	s_mov_b32 s2, -1
                                        ; implicit-def: $vgpr2_vgpr3
	s_branch .LBB94_214
.LBB94_210:
	s_mov_b32 s2, -1
                                        ; implicit-def: $vgpr2_vgpr3
.LBB94_211:
	s_delay_alu instid0(SALU_CYCLE_1)
	s_and_not1_b32 vcc_lo, exec_lo, s2
	s_cbranch_vccnz .LBB94_213
; %bb.212:
	s_wait_loadcnt 0x0
	global_load_b32 v2, v[0:1], off
	s_wait_loadcnt 0x0
	v_cvt_f64_f32_e32 v[2:3], v2
.LBB94_213:
	s_mov_b32 s2, 0
.LBB94_214:
	s_delay_alu instid0(SALU_CYCLE_1)
	s_and_not1_b32 vcc_lo, exec_lo, s2
	s_cbranch_vccnz .LBB94_216
; %bb.215:
	s_wait_loadcnt 0x0
	global_load_b32 v2, v[0:1], off
	s_wait_loadcnt 0x0
	v_cvt_f32_f16_e32 v2, v2
	s_delay_alu instid0(VALU_DEP_1)
	v_cvt_f64_f32_e32 v[2:3], v2
.LBB94_216:
	s_mov_b32 s2, 0
.LBB94_217:
	s_delay_alu instid0(SALU_CYCLE_1)
	s_and_not1_b32 vcc_lo, exec_lo, s2
	s_cbranch_vccnz .LBB94_228
; %bb.218:
	s_cmp_lt_i32 s1, 6
	s_cbranch_scc1 .LBB94_221
; %bb.219:
	s_cmp_gt_i32 s1, 6
	s_cbranch_scc0 .LBB94_222
; %bb.220:
	s_wait_loadcnt 0x0
	global_load_b64 v[2:3], v[0:1], off
	s_mov_b32 s2, 0
	s_branch .LBB94_223
.LBB94_221:
	s_mov_b32 s2, -1
                                        ; implicit-def: $vgpr2_vgpr3
	s_branch .LBB94_226
.LBB94_222:
	s_mov_b32 s2, -1
                                        ; implicit-def: $vgpr2_vgpr3
.LBB94_223:
	s_delay_alu instid0(SALU_CYCLE_1)
	s_and_not1_b32 vcc_lo, exec_lo, s2
	s_cbranch_vccnz .LBB94_225
; %bb.224:
	s_wait_loadcnt 0x0
	global_load_b32 v2, v[0:1], off
	s_wait_loadcnt 0x0
	v_cvt_f64_f32_e32 v[2:3], v2
.LBB94_225:
	s_mov_b32 s2, 0
.LBB94_226:
	s_delay_alu instid0(SALU_CYCLE_1)
	s_and_not1_b32 vcc_lo, exec_lo, s2
	s_cbranch_vccnz .LBB94_228
; %bb.227:
	s_wait_loadcnt 0x0
	global_load_u16 v2, v[0:1], off
	s_wait_loadcnt 0x0
	v_cvt_f32_f16_e32 v2, v2
	s_delay_alu instid0(VALU_DEP_1)
	v_cvt_f64_f32_e32 v[2:3], v2
.LBB94_228:
	s_cbranch_execnz .LBB94_248
.LBB94_229:
	s_cmp_lt_i32 s1, 2
	s_cbranch_scc1 .LBB94_233
; %bb.230:
	s_cmp_lt_i32 s1, 3
	s_cbranch_scc1 .LBB94_234
; %bb.231:
	s_cmp_gt_i32 s1, 3
	s_cbranch_scc0 .LBB94_235
; %bb.232:
	s_wait_loadcnt 0x0
	global_load_b64 v[2:3], v[0:1], off
	s_mov_b32 s2, 0
	s_wait_loadcnt 0x0
	v_cvt_f64_i32_e32 v[4:5], v3
	v_cvt_f64_u32_e32 v[2:3], v2
	s_delay_alu instid0(VALU_DEP_2) | instskip(NEXT) | instid1(VALU_DEP_1)
	v_ldexp_f64 v[4:5], v[4:5], 32
	v_add_f64_e32 v[2:3], v[4:5], v[2:3]
	s_branch .LBB94_236
.LBB94_233:
	s_mov_b32 s2, -1
                                        ; implicit-def: $vgpr2_vgpr3
	s_branch .LBB94_242
.LBB94_234:
	s_mov_b32 s2, -1
                                        ; implicit-def: $vgpr2_vgpr3
	s_branch .LBB94_239
.LBB94_235:
	s_mov_b32 s2, -1
                                        ; implicit-def: $vgpr2_vgpr3
.LBB94_236:
	s_delay_alu instid0(SALU_CYCLE_1)
	s_and_not1_b32 vcc_lo, exec_lo, s2
	s_cbranch_vccnz .LBB94_238
; %bb.237:
	s_wait_loadcnt 0x0
	global_load_b32 v2, v[0:1], off
	s_wait_loadcnt 0x0
	v_cvt_f64_i32_e32 v[2:3], v2
.LBB94_238:
	s_mov_b32 s2, 0
.LBB94_239:
	s_delay_alu instid0(SALU_CYCLE_1)
	s_and_not1_b32 vcc_lo, exec_lo, s2
	s_cbranch_vccnz .LBB94_241
; %bb.240:
	s_wait_loadcnt 0x0
	global_load_i16 v2, v[0:1], off
	s_wait_loadcnt 0x0
	v_cvt_f64_i32_e32 v[2:3], v2
.LBB94_241:
	s_mov_b32 s2, 0
.LBB94_242:
	s_delay_alu instid0(SALU_CYCLE_1)
	s_and_not1_b32 vcc_lo, exec_lo, s2
	s_cbranch_vccnz .LBB94_248
; %bb.243:
	s_cmp_gt_i32 s1, 0
	s_mov_b32 s1, 0
	s_cbranch_scc0 .LBB94_245
; %bb.244:
	s_wait_loadcnt 0x0
	global_load_i8 v2, v[0:1], off
	s_wait_loadcnt 0x0
	v_cvt_f64_i32_e32 v[2:3], v2
	s_branch .LBB94_246
.LBB94_245:
	s_mov_b32 s1, -1
                                        ; implicit-def: $vgpr2_vgpr3
.LBB94_246:
	s_delay_alu instid0(SALU_CYCLE_1)
	s_and_not1_b32 vcc_lo, exec_lo, s1
	s_cbranch_vccnz .LBB94_248
; %bb.247:
	global_load_u8 v0, v[0:1], off
	s_wait_loadcnt 0x0
	v_cvt_f64_u32_e32 v[2:3], v0
.LBB94_248:
	s_branch .LBB94_11
.LBB94_249:
	s_mov_b32 s2, 0
.LBB94_250:
	s_mov_b32 s1, 0
                                        ; implicit-def: $vgpr10
.LBB94_251:
	s_and_b32 s16, s2, exec_lo
	s_and_b32 s18, s18, exec_lo
	s_or_not1_b32 s1, s1, exec_lo
.LBB94_252:
	s_wait_xcnt 0x0
	s_or_b32 exec_lo, exec_lo, s19
	s_mov_b32 s22, 0
	s_mov_b32 s21, 0
                                        ; implicit-def: $vgpr0_vgpr1
                                        ; implicit-def: $vgpr2_vgpr3
	s_and_saveexec_b32 s19, s1
	s_cbranch_execz .LBB94_261
; %bb.253:
	s_mov_b32 s24, -1
	s_mov_b32 s20, s18
	s_mov_b32 s21, s16
	s_mov_b32 s22, exec_lo
	v_cmpx_gt_i32_e64 s17, v10
	s_cbranch_execz .LBB94_515
; %bb.254:
	v_mul_lo_u32 v0, v10, s13
	s_and_b32 s1, 0xffff, s11
	s_delay_alu instid0(SALU_CYCLE_1) | instskip(NEXT) | instid1(VALU_DEP_1)
	s_cmp_lt_i32 s1, 11
	v_ashrrev_i32_e32 v1, 31, v0
	s_delay_alu instid0(VALU_DEP_1)
	v_add_nc_u64_e32 v[0:1], s[6:7], v[0:1]
	s_cbranch_scc1 .LBB94_264
; %bb.255:
	s_cmp_gt_i32 s1, 25
	s_cbranch_scc0 .LBB94_273
; %bb.256:
	s_cmp_gt_i32 s1, 28
	s_cbranch_scc0 .LBB94_275
	;; [unrolled: 3-line block ×4, first 2 shown]
; %bb.259:
	s_cmp_eq_u32 s1, 46
	s_mov_b32 s21, 0
	s_cbranch_scc0 .LBB94_285
; %bb.260:
	s_wait_loadcnt 0x0
	global_load_b32 v2, v[0:1], off
	s_mov_b32 s2, -1
	s_mov_b32 s20, 0
	s_wait_loadcnt 0x0
	v_lshlrev_b32_e32 v2, 16, v2
	s_delay_alu instid0(VALU_DEP_1)
	v_cvt_f64_f32_e32 v[2:3], v2
	s_branch .LBB94_287
.LBB94_261:
	s_or_b32 exec_lo, exec_lo, s19
	s_mov_b32 s1, 0
	s_and_saveexec_b32 s2, s18
	s_cbranch_execnz .LBB94_863
.LBB94_262:
	s_or_b32 exec_lo, exec_lo, s2
	s_and_saveexec_b32 s2, s20
	s_delay_alu instid0(SALU_CYCLE_1)
	s_xor_b32 s2, exec_lo, s2
	s_cbranch_execz .LBB94_864
.LBB94_263:
	s_wait_loadcnt 0x0
	global_load_u8 v2, v[0:1], off
	s_or_b32 s21, s21, exec_lo
	s_wait_loadcnt 0x0
	v_cmp_ne_u16_e32 vcc_lo, 0, v2
	v_mov_b32_e32 v2, 0
	v_cndmask_b32_e64 v3, 0, 0x3ff00000, vcc_lo
	s_wait_xcnt 0x0
	s_or_b32 exec_lo, exec_lo, s2
	s_and_saveexec_b32 s2, s22
	s_cbranch_execz .LBB94_910
	s_branch .LBB94_865
.LBB94_264:
	s_mov_b32 s2, 0
	s_mov_b32 s20, s18
                                        ; implicit-def: $vgpr2_vgpr3
	s_cbranch_execnz .LBB94_464
.LBB94_265:
	s_and_not1_b32 vcc_lo, exec_lo, s2
	s_cbranch_vccnz .LBB94_512
.LBB94_266:
	s_wait_loadcnt 0x0
	s_delay_alu instid0(VALU_DEP_1) | instskip(SKIP_3) | instid1(SALU_CYCLE_1)
	v_cmp_eq_f64_e32 vcc_lo, s[8:9], v[2:3]
	s_wait_xcnt 0x0
	v_mul_lo_u32 v0, v10, s12
	s_and_b32 s21, s10, 0xff
	s_cmp_lt_i32 s21, 11
	v_cndmask_b32_e64 v1, 0, 1, vcc_lo
	v_cmp_neq_f64_e32 vcc_lo, s[8:9], v[2:3]
	v_cndmask_b32_e64 v2, 0, 1, vcc_lo
	s_delay_alu instid0(VALU_DEP_1) | instskip(NEXT) | instid1(VALU_DEP_1)
	v_dual_cndmask_b32 v2, v2, v1, s0 :: v_dual_ashrrev_i32 v1, 31, v0
	v_and_b32_e32 v2, 1, v2
	s_delay_alu instid0(VALU_DEP_2) | instskip(NEXT) | instid1(VALU_DEP_2)
	v_add_nc_u64_e32 v[0:1], s[4:5], v[0:1]
	v_cmp_eq_u32_e64 s1, 1, v2
	s_cbranch_scc1 .LBB94_274
; %bb.267:
	s_and_b32 s23, 0xffff, s21
	s_delay_alu instid0(SALU_CYCLE_1)
	s_cmp_gt_i32 s23, 25
	s_cbranch_scc0 .LBB94_276
; %bb.268:
	s_cmp_gt_i32 s23, 28
	s_cbranch_scc0 .LBB94_278
; %bb.269:
	;; [unrolled: 3-line block ×4, first 2 shown]
	s_mov_b32 s25, 0
	s_mov_b32 s2, -1
	s_cmp_eq_u32 s23, 46
	s_mov_b32 s24, 0
	s_cbranch_scc0 .LBB94_291
; %bb.272:
	v_cndmask_b32_e64 v2, 0, 1.0, s1
	s_mov_b32 s24, -1
	s_mov_b32 s2, 0
	s_delay_alu instid0(VALU_DEP_1) | instskip(NEXT) | instid1(VALU_DEP_1)
	v_bfe_u32 v3, v2, 16, 1
	v_add3_u32 v2, v2, v3, 0x7fff
	s_delay_alu instid0(VALU_DEP_1)
	v_lshrrev_b32_e32 v2, 16, v2
	global_store_b32 v[0:1], v2, off
	s_branch .LBB94_291
.LBB94_273:
	s_mov_b32 s21, -1
	s_mov_b32 s2, 0
	s_mov_b32 s20, s18
                                        ; implicit-def: $vgpr2_vgpr3
	s_branch .LBB94_428
.LBB94_274:
	s_mov_b32 s23, -1
	s_mov_b32 s24, 0
	s_mov_b32 s2, s16
	s_branch .LBB94_360
.LBB94_275:
	s_mov_b32 s21, -1
	s_mov_b32 s2, 0
	s_mov_b32 s20, s18
                                        ; implicit-def: $vgpr2_vgpr3
	s_branch .LBB94_409
.LBB94_276:
	s_mov_b32 s25, -1
	s_mov_b32 s24, 0
	s_mov_b32 s2, s16
	s_branch .LBB94_318
.LBB94_277:
	s_mov_b32 s21, -1
	s_mov_b32 s2, 0
	s_mov_b32 s20, s18
                                        ; implicit-def: $vgpr2_vgpr3
	s_branch .LBB94_404
.LBB94_278:
	s_mov_b32 s25, -1
	s_mov_b32 s24, 0
	s_mov_b32 s2, s16
	s_branch .LBB94_301
.LBB94_279:
	s_and_not1_saveexec_b32 s24, s24
	s_cbranch_execz .LBB94_54
.LBB94_280:
	v_add_f32_e32 v2, 0x46000000, v3
	s_and_not1_b32 s23, s23, exec_lo
	s_delay_alu instid0(VALU_DEP_1) | instskip(NEXT) | instid1(VALU_DEP_1)
	v_and_b32_e32 v2, 0xff, v2
	v_cmp_ne_u32_e32 vcc_lo, 0, v2
	s_and_b32 s25, vcc_lo, exec_lo
	s_delay_alu instid0(SALU_CYCLE_1)
	s_or_b32 s23, s23, s25
	s_or_b32 exec_lo, exec_lo, s24
	v_mov_b32_e32 v4, 0
	s_and_saveexec_b32 s24, s23
	s_cbranch_execnz .LBB94_55
	s_branch .LBB94_56
.LBB94_281:
	s_mov_b32 s21, -1
	s_mov_b32 s2, 0
	s_mov_b32 s20, s18
	s_branch .LBB94_286
.LBB94_282:
	s_mov_b32 s25, -1
	s_mov_b32 s24, 0
	s_mov_b32 s2, s16
	s_branch .LBB94_297
.LBB94_283:
	s_and_not1_saveexec_b32 s24, s24
	s_cbranch_execz .LBB94_67
.LBB94_284:
	v_add_f32_e32 v2, 0x42800000, v3
	s_and_not1_b32 s23, s23, exec_lo
	s_delay_alu instid0(VALU_DEP_1) | instskip(NEXT) | instid1(VALU_DEP_1)
	v_and_b32_e32 v2, 0xff, v2
	v_cmp_ne_u32_e32 vcc_lo, 0, v2
	s_and_b32 s25, vcc_lo, exec_lo
	s_delay_alu instid0(SALU_CYCLE_1)
	s_or_b32 s23, s23, s25
	s_or_b32 exec_lo, exec_lo, s24
	v_mov_b32_e32 v4, 0
	s_and_saveexec_b32 s24, s23
	s_cbranch_execnz .LBB94_68
	s_branch .LBB94_69
.LBB94_285:
	s_mov_b32 s20, -1
	s_mov_b32 s2, 0
.LBB94_286:
                                        ; implicit-def: $vgpr2_vgpr3
.LBB94_287:
	s_and_b32 vcc_lo, exec_lo, s21
	s_cbranch_vccz .LBB94_403
; %bb.288:
	s_cmp_eq_u32 s1, 44
	s_cbranch_scc0 .LBB94_402
; %bb.289:
	global_load_u8 v4, v[0:1], off
	s_mov_b32 s20, 0
	s_mov_b32 s2, -1
	s_wait_loadcnt 0x0
	v_cmp_ne_u32_e32 vcc_lo, 0xff, v4
	v_lshlrev_b32_e32 v2, 23, v4
	s_delay_alu instid0(VALU_DEP_1) | instskip(NEXT) | instid1(VALU_DEP_1)
	v_cvt_f64_f32_e32 v[2:3], v2
	v_cndmask_b32_e32 v2, 0x20000000, v2, vcc_lo
	s_delay_alu instid0(VALU_DEP_2) | instskip(SKIP_1) | instid1(VALU_DEP_2)
	v_cndmask_b32_e32 v3, 0x7ff80000, v3, vcc_lo
	v_cmp_ne_u32_e32 vcc_lo, 0, v4
	v_cndmask_b32_e32 v3, 0x38000000, v3, vcc_lo
	s_delay_alu instid0(VALU_DEP_4)
	v_cndmask_b32_e32 v2, 0, v2, vcc_lo
	s_branch .LBB94_403
.LBB94_290:
	s_mov_b32 s25, -1
	s_mov_b32 s24, 0
	s_mov_b32 s2, s16
.LBB94_291:
	s_and_b32 vcc_lo, exec_lo, s25
	s_cbranch_vccz .LBB94_296
; %bb.292:
	s_cmp_eq_u32 s23, 44
	s_mov_b32 s2, -1
	s_cbranch_scc0 .LBB94_296
; %bb.293:
	v_cndmask_b32_e64 v4, 0, 1.0, s1
	s_mov_b32 s24, exec_lo
	s_wait_xcnt 0x0
	s_delay_alu instid0(VALU_DEP_1) | instskip(NEXT) | instid1(VALU_DEP_1)
	v_dual_mov_b32 v3, 0xff :: v_dual_lshrrev_b32 v2, 23, v4
	v_cmpx_ne_u32_e32 0xff, v2
; %bb.294:
	v_and_b32_e32 v3, 0x400000, v4
	v_and_or_b32 v4, 0x3fffff, v4, v2
	s_delay_alu instid0(VALU_DEP_2) | instskip(NEXT) | instid1(VALU_DEP_2)
	v_cmp_ne_u32_e32 vcc_lo, 0, v3
	v_cmp_ne_u32_e64 s2, 0, v4
	s_and_b32 s2, vcc_lo, s2
	s_delay_alu instid0(SALU_CYCLE_1) | instskip(NEXT) | instid1(VALU_DEP_1)
	v_cndmask_b32_e64 v3, 0, 1, s2
	v_add_nc_u32_e32 v3, v2, v3
; %bb.295:
	s_or_b32 exec_lo, exec_lo, s24
	s_mov_b32 s24, -1
	s_mov_b32 s2, 0
	global_store_b8 v[0:1], v3, off
.LBB94_296:
	s_mov_b32 s25, 0
.LBB94_297:
	s_delay_alu instid0(SALU_CYCLE_1)
	s_and_b32 vcc_lo, exec_lo, s25
	s_cbranch_vccz .LBB94_300
; %bb.298:
	s_cmp_eq_u32 s23, 29
	s_mov_b32 s2, -1
	s_cbranch_scc0 .LBB94_300
; %bb.299:
	s_mov_b32 s2, 0
	s_wait_xcnt 0x0
	v_cndmask_b32_e64 v2, 0, 1, s1
	v_mov_b32_e32 v3, s2
	s_mov_b32 s24, -1
	s_mov_b32 s25, 0
	global_store_b64 v[0:1], v[2:3], off
	s_branch .LBB94_301
.LBB94_300:
	s_mov_b32 s25, 0
.LBB94_301:
	s_delay_alu instid0(SALU_CYCLE_1)
	s_and_b32 vcc_lo, exec_lo, s25
	s_cbranch_vccz .LBB94_317
; %bb.302:
	s_cmp_lt_i32 s23, 27
	s_mov_b32 s24, -1
	s_cbranch_scc1 .LBB94_308
; %bb.303:
	s_cmp_gt_i32 s23, 27
	s_cbranch_scc0 .LBB94_305
; %bb.304:
	s_wait_xcnt 0x0
	v_cndmask_b32_e64 v2, 0, 1, s1
	s_mov_b32 s24, 0
	global_store_b32 v[0:1], v2, off
.LBB94_305:
	s_and_not1_b32 vcc_lo, exec_lo, s24
	s_cbranch_vccnz .LBB94_307
; %bb.306:
	s_wait_xcnt 0x0
	v_cndmask_b32_e64 v2, 0, 1, s1
	global_store_b16 v[0:1], v2, off
.LBB94_307:
	s_mov_b32 s24, 0
.LBB94_308:
	s_delay_alu instid0(SALU_CYCLE_1)
	s_and_not1_b32 vcc_lo, exec_lo, s24
	s_cbranch_vccnz .LBB94_316
; %bb.309:
	s_wait_xcnt 0x0
	v_cndmask_b32_e64 v3, 0, 1.0, s1
	v_mov_b32_e32 v4, 0x80
	s_mov_b32 s24, exec_lo
	s_delay_alu instid0(VALU_DEP_2)
	v_cmpx_gt_u32_e32 0x43800000, v3
	s_cbranch_execz .LBB94_315
; %bb.310:
	s_mov_b32 s25, 0
	s_mov_b32 s26, exec_lo
                                        ; implicit-def: $vgpr2
	v_cmpx_lt_u32_e32 0x3bffffff, v3
	s_xor_b32 s26, exec_lo, s26
	s_cbranch_execz .LBB94_528
; %bb.311:
	v_bfe_u32 v2, v3, 20, 1
	s_mov_b32 s25, exec_lo
	s_delay_alu instid0(VALU_DEP_1) | instskip(NEXT) | instid1(VALU_DEP_1)
	v_add3_u32 v2, v3, v2, 0x487ffff
                                        ; implicit-def: $vgpr3
	v_lshrrev_b32_e32 v2, 20, v2
	s_and_not1_saveexec_b32 s26, s26
	s_cbranch_execnz .LBB94_529
.LBB94_312:
	s_or_b32 exec_lo, exec_lo, s26
	v_mov_b32_e32 v4, 0
	s_and_saveexec_b32 s26, s25
.LBB94_313:
	v_mov_b32_e32 v4, v2
.LBB94_314:
	s_or_b32 exec_lo, exec_lo, s26
.LBB94_315:
	s_delay_alu instid0(SALU_CYCLE_1)
	s_or_b32 exec_lo, exec_lo, s24
	global_store_b8 v[0:1], v4, off
.LBB94_316:
	s_mov_b32 s24, -1
.LBB94_317:
	s_mov_b32 s25, 0
.LBB94_318:
	s_delay_alu instid0(SALU_CYCLE_1)
	s_and_b32 vcc_lo, exec_lo, s25
	s_cbranch_vccz .LBB94_359
; %bb.319:
	s_cmp_gt_i32 s23, 22
	s_mov_b32 s25, -1
	s_cbranch_scc0 .LBB94_351
; %bb.320:
	s_cmp_lt_i32 s23, 24
	s_mov_b32 s24, -1
	s_cbranch_scc1 .LBB94_340
; %bb.321:
	s_cmp_gt_i32 s23, 24
	s_cbranch_scc0 .LBB94_329
; %bb.322:
	s_wait_xcnt 0x0
	v_cndmask_b32_e64 v3, 0, 1.0, s1
	v_mov_b32_e32 v4, 0x80
	s_mov_b32 s24, exec_lo
	s_delay_alu instid0(VALU_DEP_2)
	v_cmpx_gt_u32_e32 0x47800000, v3
	s_cbranch_execz .LBB94_328
; %bb.323:
	s_mov_b32 s25, 0
	s_mov_b32 s26, exec_lo
                                        ; implicit-def: $vgpr2
	v_cmpx_lt_u32_e32 0x37ffffff, v3
	s_xor_b32 s26, exec_lo, s26
	s_cbranch_execz .LBB94_531
; %bb.324:
	v_bfe_u32 v2, v3, 21, 1
	s_mov_b32 s25, exec_lo
	s_delay_alu instid0(VALU_DEP_1) | instskip(NEXT) | instid1(VALU_DEP_1)
	v_add3_u32 v2, v3, v2, 0x88fffff
                                        ; implicit-def: $vgpr3
	v_lshrrev_b32_e32 v2, 21, v2
	s_and_not1_saveexec_b32 s26, s26
	s_cbranch_execnz .LBB94_532
.LBB94_325:
	s_or_b32 exec_lo, exec_lo, s26
	v_mov_b32_e32 v4, 0
	s_and_saveexec_b32 s26, s25
.LBB94_326:
	v_mov_b32_e32 v4, v2
.LBB94_327:
	s_or_b32 exec_lo, exec_lo, s26
.LBB94_328:
	s_delay_alu instid0(SALU_CYCLE_1)
	s_or_b32 exec_lo, exec_lo, s24
	s_mov_b32 s24, 0
	global_store_b8 v[0:1], v4, off
.LBB94_329:
	s_and_b32 vcc_lo, exec_lo, s24
	s_cbranch_vccz .LBB94_339
; %bb.330:
	s_wait_xcnt 0x0
	v_cndmask_b32_e64 v3, 0, 1.0, s1
	s_mov_b32 s24, exec_lo
                                        ; implicit-def: $vgpr2
	s_delay_alu instid0(VALU_DEP_1)
	v_cmpx_gt_u32_e32 0x43f00000, v3
	s_xor_b32 s24, exec_lo, s24
	s_cbranch_execz .LBB94_336
; %bb.331:
	s_mov_b32 s25, exec_lo
                                        ; implicit-def: $vgpr2
	v_cmpx_lt_u32_e32 0x3c7fffff, v3
	s_xor_b32 s25, exec_lo, s25
; %bb.332:
	v_bfe_u32 v2, v3, 20, 1
	s_delay_alu instid0(VALU_DEP_1) | instskip(NEXT) | instid1(VALU_DEP_1)
	v_add3_u32 v2, v3, v2, 0x407ffff
	v_and_b32_e32 v3, 0xff00000, v2
	v_lshrrev_b32_e32 v2, 20, v2
	s_delay_alu instid0(VALU_DEP_2) | instskip(NEXT) | instid1(VALU_DEP_2)
	v_cmp_ne_u32_e32 vcc_lo, 0x7f00000, v3
                                        ; implicit-def: $vgpr3
	v_cndmask_b32_e32 v2, 0x7e, v2, vcc_lo
; %bb.333:
	s_and_not1_saveexec_b32 s25, s25
; %bb.334:
	v_add_f32_e32 v2, 0x46800000, v3
; %bb.335:
	s_or_b32 exec_lo, exec_lo, s25
                                        ; implicit-def: $vgpr3
.LBB94_336:
	s_and_not1_saveexec_b32 s24, s24
; %bb.337:
	v_mov_b32_e32 v2, 0x7f
	v_cmp_lt_u32_e32 vcc_lo, 0x7f800000, v3
	s_delay_alu instid0(VALU_DEP_2)
	v_cndmask_b32_e32 v2, 0x7e, v2, vcc_lo
; %bb.338:
	s_or_b32 exec_lo, exec_lo, s24
	global_store_b8 v[0:1], v2, off
.LBB94_339:
	s_mov_b32 s24, 0
.LBB94_340:
	s_delay_alu instid0(SALU_CYCLE_1)
	s_and_not1_b32 vcc_lo, exec_lo, s24
	s_cbranch_vccnz .LBB94_350
; %bb.341:
	s_wait_xcnt 0x0
	v_cndmask_b32_e64 v3, 0, 1.0, s1
	s_mov_b32 s24, exec_lo
                                        ; implicit-def: $vgpr2
	s_delay_alu instid0(VALU_DEP_1)
	v_cmpx_gt_u32_e32 0x47800000, v3
	s_xor_b32 s24, exec_lo, s24
	s_cbranch_execz .LBB94_347
; %bb.342:
	s_mov_b32 s25, exec_lo
                                        ; implicit-def: $vgpr2
	v_cmpx_lt_u32_e32 0x387fffff, v3
	s_xor_b32 s25, exec_lo, s25
; %bb.343:
	v_bfe_u32 v2, v3, 21, 1
	s_delay_alu instid0(VALU_DEP_1) | instskip(NEXT) | instid1(VALU_DEP_1)
	v_add3_u32 v2, v3, v2, 0x80fffff
                                        ; implicit-def: $vgpr3
	v_lshrrev_b32_e32 v2, 21, v2
; %bb.344:
	s_and_not1_saveexec_b32 s25, s25
; %bb.345:
	v_add_f32_e32 v2, 0x43000000, v3
; %bb.346:
	s_or_b32 exec_lo, exec_lo, s25
                                        ; implicit-def: $vgpr3
.LBB94_347:
	s_and_not1_saveexec_b32 s24, s24
; %bb.348:
	v_mov_b32_e32 v2, 0x7f
	v_cmp_lt_u32_e32 vcc_lo, 0x7f800000, v3
	s_delay_alu instid0(VALU_DEP_2)
	v_cndmask_b32_e32 v2, 0x7c, v2, vcc_lo
; %bb.349:
	s_or_b32 exec_lo, exec_lo, s24
	global_store_b8 v[0:1], v2, off
.LBB94_350:
	s_mov_b32 s25, 0
	s_mov_b32 s24, -1
.LBB94_351:
	s_and_not1_b32 vcc_lo, exec_lo, s25
	s_cbranch_vccnz .LBB94_359
; %bb.352:
	s_cmp_gt_i32 s23, 14
	s_mov_b32 s25, -1
	s_cbranch_scc0 .LBB94_356
; %bb.353:
	s_cmp_eq_u32 s23, 15
	s_mov_b32 s2, -1
	s_cbranch_scc0 .LBB94_355
; %bb.354:
	s_wait_xcnt 0x0
	v_cndmask_b32_e64 v2, 0, 1.0, s1
	s_mov_b32 s24, -1
	s_mov_b32 s2, 0
	s_delay_alu instid0(VALU_DEP_1) | instskip(NEXT) | instid1(VALU_DEP_1)
	v_bfe_u32 v3, v2, 16, 1
	v_add3_u32 v2, v2, v3, 0x7fff
	global_store_d16_hi_b16 v[0:1], v2, off
.LBB94_355:
	s_mov_b32 s25, 0
.LBB94_356:
	s_delay_alu instid0(SALU_CYCLE_1)
	s_and_b32 vcc_lo, exec_lo, s25
	s_cbranch_vccz .LBB94_359
; %bb.357:
	s_cmp_eq_u32 s23, 11
	s_mov_b32 s2, -1
	s_cbranch_scc0 .LBB94_359
; %bb.358:
	s_wait_xcnt 0x0
	v_cndmask_b32_e64 v2, 0, 1, s1
	s_mov_b32 s24, -1
	s_mov_b32 s2, 0
	global_store_b8 v[0:1], v2, off
.LBB94_359:
	s_mov_b32 s23, 0
.LBB94_360:
	s_delay_alu instid0(SALU_CYCLE_1)
	s_and_b32 vcc_lo, exec_lo, s23
	s_cbranch_vccz .LBB94_399
; %bb.361:
	s_and_b32 s21, 0xffff, s21
	s_mov_b32 s23, -1
	s_cmp_lt_i32 s21, 5
	s_cbranch_scc1 .LBB94_382
; %bb.362:
	s_cmp_lt_i32 s21, 8
	s_cbranch_scc1 .LBB94_372
; %bb.363:
	;; [unrolled: 3-line block ×3, first 2 shown]
	s_cmp_gt_i32 s21, 9
	s_cbranch_scc0 .LBB94_366
; %bb.365:
	s_wait_xcnt 0x0
	v_cndmask_b32_e64 v2, 0, 1, s1
	v_mov_b32_e32 v4, 0
	s_mov_b32 s23, 0
	s_delay_alu instid0(VALU_DEP_2) | instskip(NEXT) | instid1(VALU_DEP_2)
	v_cvt_f64_u32_e32 v[2:3], v2
	v_mov_b32_e32 v5, v4
	global_store_b128 v[0:1], v[2:5], off
.LBB94_366:
	s_and_not1_b32 vcc_lo, exec_lo, s23
	s_cbranch_vccnz .LBB94_368
; %bb.367:
	s_wait_xcnt 0x0
	v_cndmask_b32_e64 v2, 0, 1.0, s1
	v_mov_b32_e32 v3, 0
	global_store_b64 v[0:1], v[2:3], off
.LBB94_368:
	s_mov_b32 s23, 0
.LBB94_369:
	s_delay_alu instid0(SALU_CYCLE_1)
	s_and_not1_b32 vcc_lo, exec_lo, s23
	s_cbranch_vccnz .LBB94_371
; %bb.370:
	s_wait_xcnt 0x0
	v_cndmask_b32_e64 v2, 0, 1.0, s1
	s_delay_alu instid0(VALU_DEP_1) | instskip(NEXT) | instid1(VALU_DEP_1)
	v_cvt_f16_f32_e32 v2, v2
	v_and_b32_e32 v2, 0xffff, v2
	global_store_b32 v[0:1], v2, off
.LBB94_371:
	s_mov_b32 s23, 0
.LBB94_372:
	s_delay_alu instid0(SALU_CYCLE_1)
	s_and_not1_b32 vcc_lo, exec_lo, s23
	s_cbranch_vccnz .LBB94_381
; %bb.373:
	s_cmp_lt_i32 s21, 6
	s_mov_b32 s23, -1
	s_cbranch_scc1 .LBB94_379
; %bb.374:
	s_cmp_gt_i32 s21, 6
	s_cbranch_scc0 .LBB94_376
; %bb.375:
	s_wait_xcnt 0x0
	v_cndmask_b32_e64 v2, 0, 1, s1
	s_mov_b32 s23, 0
	s_delay_alu instid0(VALU_DEP_1)
	v_cvt_f64_u32_e32 v[2:3], v2
	global_store_b64 v[0:1], v[2:3], off
.LBB94_376:
	s_and_not1_b32 vcc_lo, exec_lo, s23
	s_cbranch_vccnz .LBB94_378
; %bb.377:
	s_wait_xcnt 0x0
	v_cndmask_b32_e64 v2, 0, 1.0, s1
	global_store_b32 v[0:1], v2, off
.LBB94_378:
	s_mov_b32 s23, 0
.LBB94_379:
	s_delay_alu instid0(SALU_CYCLE_1)
	s_and_not1_b32 vcc_lo, exec_lo, s23
	s_cbranch_vccnz .LBB94_381
; %bb.380:
	s_wait_xcnt 0x0
	v_cndmask_b32_e64 v2, 0, 1.0, s1
	s_delay_alu instid0(VALU_DEP_1)
	v_cvt_f16_f32_e32 v2, v2
	global_store_b16 v[0:1], v2, off
.LBB94_381:
	s_mov_b32 s23, 0
.LBB94_382:
	s_delay_alu instid0(SALU_CYCLE_1)
	s_and_not1_b32 vcc_lo, exec_lo, s23
	s_cbranch_vccnz .LBB94_398
; %bb.383:
	s_cmp_lt_i32 s21, 2
	s_mov_b32 s23, -1
	s_cbranch_scc1 .LBB94_393
; %bb.384:
	s_cmp_lt_i32 s21, 3
	s_cbranch_scc1 .LBB94_390
; %bb.385:
	s_cmp_gt_i32 s21, 3
	s_cbranch_scc0 .LBB94_387
; %bb.386:
	s_mov_b32 s23, 0
	s_wait_xcnt 0x0
	v_cndmask_b32_e64 v2, 0, 1, s1
	v_mov_b32_e32 v3, s23
	global_store_b64 v[0:1], v[2:3], off
.LBB94_387:
	s_and_not1_b32 vcc_lo, exec_lo, s23
	s_cbranch_vccnz .LBB94_389
; %bb.388:
	s_wait_xcnt 0x0
	v_cndmask_b32_e64 v2, 0, 1, s1
	global_store_b32 v[0:1], v2, off
.LBB94_389:
	s_mov_b32 s23, 0
.LBB94_390:
	s_delay_alu instid0(SALU_CYCLE_1)
	s_and_not1_b32 vcc_lo, exec_lo, s23
	s_cbranch_vccnz .LBB94_392
; %bb.391:
	s_wait_xcnt 0x0
	v_cndmask_b32_e64 v2, 0, 1, s1
	global_store_b16 v[0:1], v2, off
.LBB94_392:
	s_mov_b32 s23, 0
.LBB94_393:
	s_delay_alu instid0(SALU_CYCLE_1)
	s_and_not1_b32 vcc_lo, exec_lo, s23
	s_cbranch_vccnz .LBB94_398
; %bb.394:
	s_wait_xcnt 0x0
	v_cndmask_b32_e64 v2, 0, 1, s1
	s_cmp_gt_i32 s21, 0
	s_mov_b32 s1, -1
	s_cbranch_scc0 .LBB94_396
; %bb.395:
	s_mov_b32 s1, 0
	global_store_b8 v[0:1], v2, off
.LBB94_396:
	s_and_not1_b32 vcc_lo, exec_lo, s1
	s_cbranch_vccnz .LBB94_398
; %bb.397:
	global_store_b8 v[0:1], v2, off
.LBB94_398:
	s_mov_b32 s24, -1
.LBB94_399:
	s_delay_alu instid0(SALU_CYCLE_1)
	s_and_not1_b32 vcc_lo, exec_lo, s24
	s_cbranch_vccnz .LBB94_401
; %bb.400:
	v_add_nc_u32_e32 v10, 0x80, v10
	s_mov_b32 s1, -1
	s_branch .LBB94_514
.LBB94_401:
	s_mov_b32 s1, 0
	s_branch .LBB94_513
.LBB94_402:
	s_mov_b32 s20, -1
                                        ; implicit-def: $vgpr2_vgpr3
.LBB94_403:
	s_mov_b32 s21, 0
.LBB94_404:
	s_delay_alu instid0(SALU_CYCLE_1)
	s_and_b32 vcc_lo, exec_lo, s21
	s_cbranch_vccz .LBB94_408
; %bb.405:
	s_cmp_eq_u32 s1, 29
	s_cbranch_scc0 .LBB94_407
; %bb.406:
	s_wait_loadcnt 0x0
	global_load_b64 v[2:3], v[0:1], off
	s_mov_b32 s2, -1
	s_mov_b32 s20, 0
	s_mov_b32 s21, 0
	s_wait_loadcnt 0x0
	v_cvt_f64_u32_e32 v[4:5], v3
	v_cvt_f64_u32_e32 v[2:3], v2
	s_delay_alu instid0(VALU_DEP_2) | instskip(NEXT) | instid1(VALU_DEP_1)
	v_ldexp_f64 v[4:5], v[4:5], 32
	v_add_f64_e32 v[2:3], v[4:5], v[2:3]
	s_branch .LBB94_409
.LBB94_407:
	s_mov_b32 s20, -1
                                        ; implicit-def: $vgpr2_vgpr3
.LBB94_408:
	s_mov_b32 s21, 0
.LBB94_409:
	s_delay_alu instid0(SALU_CYCLE_1)
	s_and_b32 vcc_lo, exec_lo, s21
	s_cbranch_vccz .LBB94_427
; %bb.410:
	s_cmp_lt_i32 s1, 27
	s_cbranch_scc1 .LBB94_413
; %bb.411:
	s_cmp_gt_i32 s1, 27
	s_cbranch_scc0 .LBB94_414
; %bb.412:
	s_wait_loadcnt 0x0
	global_load_b32 v2, v[0:1], off
	s_mov_b32 s2, 0
	s_wait_loadcnt 0x0
	v_cvt_f64_u32_e32 v[2:3], v2
	s_branch .LBB94_415
.LBB94_413:
	s_mov_b32 s2, -1
                                        ; implicit-def: $vgpr2_vgpr3
	s_branch .LBB94_418
.LBB94_414:
	s_mov_b32 s2, -1
                                        ; implicit-def: $vgpr2_vgpr3
.LBB94_415:
	s_delay_alu instid0(SALU_CYCLE_1)
	s_and_not1_b32 vcc_lo, exec_lo, s2
	s_cbranch_vccnz .LBB94_417
; %bb.416:
	s_wait_loadcnt 0x0
	global_load_u16 v2, v[0:1], off
	s_wait_loadcnt 0x0
	v_cvt_f64_u32_e32 v[2:3], v2
.LBB94_417:
	s_mov_b32 s2, 0
.LBB94_418:
	s_delay_alu instid0(SALU_CYCLE_1)
	s_and_not1_b32 vcc_lo, exec_lo, s2
	s_cbranch_vccnz .LBB94_426
; %bb.419:
	global_load_u8 v4, v[0:1], off
	s_mov_b32 s2, 0
	s_mov_b32 s21, exec_lo
	s_wait_loadcnt 0x0
	v_cmpx_lt_i16_e32 0x7f, v4
	s_xor_b32 s21, exec_lo, s21
	s_cbranch_execz .LBB94_440
; %bb.420:
	s_mov_b32 s2, -1
	s_mov_b32 s23, exec_lo
	v_cmpx_eq_u16_e32 0x80, v4
; %bb.421:
	s_xor_b32 s2, exec_lo, -1
; %bb.422:
	s_or_b32 exec_lo, exec_lo, s23
	s_delay_alu instid0(SALU_CYCLE_1)
	s_and_b32 s2, s2, exec_lo
	s_or_saveexec_b32 s21, s21
	v_mov_b64_e32 v[2:3], 0x7ff8000020000000
	s_xor_b32 exec_lo, exec_lo, s21
	s_cbranch_execnz .LBB94_441
.LBB94_423:
	s_or_b32 exec_lo, exec_lo, s21
	s_and_saveexec_b32 s21, s2
	s_cbranch_execz .LBB94_425
.LBB94_424:
	v_and_b32_e32 v2, 0xffff, v4
	s_delay_alu instid0(VALU_DEP_1) | instskip(SKIP_1) | instid1(VALU_DEP_2)
	v_and_b32_e32 v3, 7, v2
	v_bfe_u32 v7, v2, 3, 4
	v_clz_i32_u32_e32 v5, v3
	s_delay_alu instid0(VALU_DEP_2) | instskip(NEXT) | instid1(VALU_DEP_2)
	v_cmp_eq_u32_e32 vcc_lo, 0, v7
	v_min_u32_e32 v5, 32, v5
	s_delay_alu instid0(VALU_DEP_1) | instskip(NEXT) | instid1(VALU_DEP_1)
	v_subrev_nc_u32_e32 v6, 28, v5
	v_dual_lshlrev_b32 v2, v6, v2 :: v_dual_sub_nc_u32 v5, 29, v5
	s_delay_alu instid0(VALU_DEP_1) | instskip(NEXT) | instid1(VALU_DEP_2)
	v_dual_lshlrev_b32 v4, 24, v4 :: v_dual_bitop2_b32 v2, 7, v2 bitop3:0x40
	v_cndmask_b32_e32 v5, v7, v5, vcc_lo
	s_delay_alu instid0(VALU_DEP_2) | instskip(NEXT) | instid1(VALU_DEP_3)
	v_cndmask_b32_e32 v2, v3, v2, vcc_lo
	v_and_b32_e32 v3, 0x80000000, v4
	s_delay_alu instid0(VALU_DEP_3) | instskip(NEXT) | instid1(VALU_DEP_3)
	v_lshl_add_u32 v4, v5, 23, 0x3b800000
	v_lshlrev_b32_e32 v2, 20, v2
	s_delay_alu instid0(VALU_DEP_1) | instskip(NEXT) | instid1(VALU_DEP_1)
	v_or3_b32 v2, v3, v4, v2
	v_cvt_f64_f32_e32 v[2:3], v2
.LBB94_425:
	s_or_b32 exec_lo, exec_lo, s21
.LBB94_426:
	s_mov_b32 s2, -1
.LBB94_427:
	s_mov_b32 s21, 0
.LBB94_428:
	s_delay_alu instid0(SALU_CYCLE_1)
	s_and_b32 vcc_lo, exec_lo, s21
	s_cbranch_vccz .LBB94_463
; %bb.429:
	s_cmp_gt_i32 s1, 22
	s_cbranch_scc0 .LBB94_439
; %bb.430:
	s_cmp_lt_i32 s1, 24
	s_cbranch_scc1 .LBB94_442
; %bb.431:
	s_cmp_gt_i32 s1, 24
	s_cbranch_scc0 .LBB94_443
; %bb.432:
	global_load_u8 v4, v[0:1], off
	s_mov_b32 s2, 0
	s_mov_b32 s21, exec_lo
	s_wait_loadcnt 0x0
	v_cmpx_lt_i16_e32 0x7f, v4
	s_xor_b32 s21, exec_lo, s21
	s_cbranch_execz .LBB94_455
; %bb.433:
	s_mov_b32 s2, -1
	s_mov_b32 s23, exec_lo
	v_cmpx_eq_u16_e32 0x80, v4
; %bb.434:
	s_xor_b32 s2, exec_lo, -1
; %bb.435:
	s_or_b32 exec_lo, exec_lo, s23
	s_delay_alu instid0(SALU_CYCLE_1)
	s_and_b32 s2, s2, exec_lo
	s_or_saveexec_b32 s21, s21
	v_mov_b64_e32 v[2:3], 0x7ff8000020000000
	s_xor_b32 exec_lo, exec_lo, s21
	s_cbranch_execnz .LBB94_456
.LBB94_436:
	s_or_b32 exec_lo, exec_lo, s21
	s_and_saveexec_b32 s21, s2
	s_cbranch_execz .LBB94_438
.LBB94_437:
	v_and_b32_e32 v2, 0xffff, v4
	s_delay_alu instid0(VALU_DEP_1) | instskip(SKIP_1) | instid1(VALU_DEP_2)
	v_and_b32_e32 v3, 3, v2
	v_bfe_u32 v7, v2, 2, 5
	v_clz_i32_u32_e32 v5, v3
	s_delay_alu instid0(VALU_DEP_2) | instskip(NEXT) | instid1(VALU_DEP_2)
	v_cmp_eq_u32_e32 vcc_lo, 0, v7
	v_min_u32_e32 v5, 32, v5
	s_delay_alu instid0(VALU_DEP_1) | instskip(NEXT) | instid1(VALU_DEP_1)
	v_subrev_nc_u32_e32 v6, 29, v5
	v_dual_lshlrev_b32 v2, v6, v2 :: v_dual_sub_nc_u32 v5, 30, v5
	s_delay_alu instid0(VALU_DEP_1) | instskip(NEXT) | instid1(VALU_DEP_2)
	v_dual_lshlrev_b32 v4, 24, v4 :: v_dual_bitop2_b32 v2, 3, v2 bitop3:0x40
	v_cndmask_b32_e32 v5, v7, v5, vcc_lo
	s_delay_alu instid0(VALU_DEP_2) | instskip(NEXT) | instid1(VALU_DEP_3)
	v_cndmask_b32_e32 v2, v3, v2, vcc_lo
	v_and_b32_e32 v3, 0x80000000, v4
	s_delay_alu instid0(VALU_DEP_3) | instskip(NEXT) | instid1(VALU_DEP_3)
	v_lshl_add_u32 v4, v5, 23, 0x37800000
	v_lshlrev_b32_e32 v2, 21, v2
	s_delay_alu instid0(VALU_DEP_1) | instskip(NEXT) | instid1(VALU_DEP_1)
	v_or3_b32 v2, v3, v4, v2
	v_cvt_f64_f32_e32 v[2:3], v2
.LBB94_438:
	s_or_b32 exec_lo, exec_lo, s21
	s_mov_b32 s2, 0
	s_branch .LBB94_444
.LBB94_439:
	s_mov_b32 s21, -1
                                        ; implicit-def: $vgpr2_vgpr3
	s_branch .LBB94_450
.LBB94_440:
	s_or_saveexec_b32 s21, s21
	v_mov_b64_e32 v[2:3], 0x7ff8000020000000
	s_xor_b32 exec_lo, exec_lo, s21
	s_cbranch_execz .LBB94_423
.LBB94_441:
	v_cmp_ne_u16_e32 vcc_lo, 0, v4
	v_mov_b64_e32 v[2:3], 0
	s_and_not1_b32 s2, s2, exec_lo
	s_and_b32 s23, vcc_lo, exec_lo
	s_delay_alu instid0(SALU_CYCLE_1)
	s_or_b32 s2, s2, s23
	s_or_b32 exec_lo, exec_lo, s21
	s_and_saveexec_b32 s21, s2
	s_cbranch_execnz .LBB94_424
	s_branch .LBB94_425
.LBB94_442:
	s_mov_b32 s2, -1
                                        ; implicit-def: $vgpr2_vgpr3
	s_branch .LBB94_447
.LBB94_443:
	s_mov_b32 s2, -1
                                        ; implicit-def: $vgpr2_vgpr3
.LBB94_444:
	s_delay_alu instid0(SALU_CYCLE_1)
	s_and_b32 vcc_lo, exec_lo, s2
	s_cbranch_vccz .LBB94_446
; %bb.445:
	s_wait_loadcnt 0x0
	global_load_u8 v2, v[0:1], off
	s_wait_loadcnt 0x0
	v_lshlrev_b32_e32 v2, 24, v2
	s_delay_alu instid0(VALU_DEP_1) | instskip(NEXT) | instid1(VALU_DEP_1)
	v_and_b32_e32 v3, 0x7f000000, v2
	v_clz_i32_u32_e32 v4, v3
	v_cmp_ne_u32_e32 vcc_lo, 0, v3
	v_add_nc_u32_e32 v6, 0x1000000, v3
	s_delay_alu instid0(VALU_DEP_3) | instskip(NEXT) | instid1(VALU_DEP_1)
	v_min_u32_e32 v4, 32, v4
	v_sub_nc_u32_e64 v4, v4, 4 clamp
	s_delay_alu instid0(VALU_DEP_1) | instskip(NEXT) | instid1(VALU_DEP_1)
	v_dual_lshlrev_b32 v5, v4, v3 :: v_dual_lshlrev_b32 v4, 23, v4
	v_lshrrev_b32_e32 v5, 4, v5
	s_delay_alu instid0(VALU_DEP_1) | instskip(NEXT) | instid1(VALU_DEP_1)
	v_dual_sub_nc_u32 v4, v5, v4 :: v_dual_ashrrev_i32 v5, 8, v6
	v_add_nc_u32_e32 v4, 0x3c000000, v4
	s_delay_alu instid0(VALU_DEP_1) | instskip(NEXT) | instid1(VALU_DEP_1)
	v_and_or_b32 v4, 0x7f800000, v5, v4
	v_cndmask_b32_e32 v3, 0, v4, vcc_lo
	s_delay_alu instid0(VALU_DEP_1) | instskip(NEXT) | instid1(VALU_DEP_1)
	v_and_or_b32 v2, 0x80000000, v2, v3
	v_cvt_f64_f32_e32 v[2:3], v2
.LBB94_446:
	s_mov_b32 s2, 0
.LBB94_447:
	s_delay_alu instid0(SALU_CYCLE_1)
	s_and_not1_b32 vcc_lo, exec_lo, s2
	s_cbranch_vccnz .LBB94_449
; %bb.448:
	s_wait_loadcnt 0x0
	global_load_u8 v2, v[0:1], off
	s_wait_loadcnt 0x0
	v_lshlrev_b32_e32 v3, 25, v2
	v_lshlrev_b16 v2, 8, v2
	s_delay_alu instid0(VALU_DEP_1) | instskip(SKIP_1) | instid1(VALU_DEP_2)
	v_and_or_b32 v5, 0x7f00, v2, 0.5
	v_bfe_i32 v2, v2, 0, 16
	v_dual_add_f32 v5, -0.5, v5 :: v_dual_lshrrev_b32 v4, 4, v3
	v_cmp_gt_u32_e32 vcc_lo, 0x8000000, v3
	s_delay_alu instid0(VALU_DEP_2) | instskip(NEXT) | instid1(VALU_DEP_1)
	v_or_b32_e32 v4, 0x70000000, v4
	v_mul_f32_e32 v4, 0x7800000, v4
	s_delay_alu instid0(VALU_DEP_1) | instskip(NEXT) | instid1(VALU_DEP_1)
	v_cndmask_b32_e32 v3, v4, v5, vcc_lo
	v_and_or_b32 v2, 0x80000000, v2, v3
	s_delay_alu instid0(VALU_DEP_1)
	v_cvt_f64_f32_e32 v[2:3], v2
.LBB94_449:
	s_mov_b32 s21, 0
	s_mov_b32 s2, -1
.LBB94_450:
	s_and_not1_b32 vcc_lo, exec_lo, s21
	s_cbranch_vccnz .LBB94_463
; %bb.451:
	s_cmp_gt_i32 s1, 14
	s_cbranch_scc0 .LBB94_454
; %bb.452:
	s_cmp_eq_u32 s1, 15
	s_cbranch_scc0 .LBB94_457
; %bb.453:
	s_wait_loadcnt 0x0
	global_load_u16 v2, v[0:1], off
	s_mov_b32 s2, -1
	s_mov_b32 s20, 0
	s_wait_loadcnt 0x0
	v_lshlrev_b32_e32 v2, 16, v2
	s_delay_alu instid0(VALU_DEP_1)
	v_cvt_f64_f32_e32 v[2:3], v2
	s_branch .LBB94_458
.LBB94_454:
	s_mov_b32 s21, -1
                                        ; implicit-def: $vgpr2_vgpr3
	s_branch .LBB94_459
.LBB94_455:
	s_or_saveexec_b32 s21, s21
	v_mov_b64_e32 v[2:3], 0x7ff8000020000000
	s_xor_b32 exec_lo, exec_lo, s21
	s_cbranch_execz .LBB94_436
.LBB94_456:
	v_cmp_ne_u16_e32 vcc_lo, 0, v4
	v_mov_b64_e32 v[2:3], 0
	s_and_not1_b32 s2, s2, exec_lo
	s_and_b32 s23, vcc_lo, exec_lo
	s_delay_alu instid0(SALU_CYCLE_1)
	s_or_b32 s2, s2, s23
	s_or_b32 exec_lo, exec_lo, s21
	s_and_saveexec_b32 s21, s2
	s_cbranch_execnz .LBB94_437
	s_branch .LBB94_438
.LBB94_457:
	s_mov_b32 s20, -1
                                        ; implicit-def: $vgpr2_vgpr3
.LBB94_458:
	s_mov_b32 s21, 0
.LBB94_459:
	s_delay_alu instid0(SALU_CYCLE_1)
	s_and_b32 vcc_lo, exec_lo, s21
	s_cbranch_vccz .LBB94_463
; %bb.460:
	s_cmp_eq_u32 s1, 11
	s_cbranch_scc0 .LBB94_462
; %bb.461:
	s_wait_loadcnt 0x0
	global_load_u8 v2, v[0:1], off
	s_mov_b32 s20, 0
	s_mov_b32 s2, -1
	s_wait_loadcnt 0x0
	v_cmp_ne_u16_e32 vcc_lo, 0, v2
	v_mov_b32_e32 v2, 0
	v_cndmask_b32_e64 v3, 0, 0x3ff00000, vcc_lo
	s_branch .LBB94_463
.LBB94_462:
	s_mov_b32 s20, -1
                                        ; implicit-def: $vgpr2_vgpr3
.LBB94_463:
	s_branch .LBB94_265
.LBB94_464:
	s_cmp_lt_i32 s1, 5
	s_cbranch_scc1 .LBB94_469
; %bb.465:
	s_cmp_lt_i32 s1, 8
	s_cbranch_scc1 .LBB94_470
; %bb.466:
	;; [unrolled: 3-line block ×3, first 2 shown]
	s_cmp_gt_i32 s1, 9
	s_cbranch_scc0 .LBB94_472
; %bb.468:
	s_wait_loadcnt 0x0
	global_load_b64 v[2:3], v[0:1], off
	s_mov_b32 s2, 0
	s_branch .LBB94_473
.LBB94_469:
	s_mov_b32 s2, -1
                                        ; implicit-def: $vgpr2_vgpr3
	s_branch .LBB94_491
.LBB94_470:
	s_mov_b32 s2, -1
                                        ; implicit-def: $vgpr2_vgpr3
	s_branch .LBB94_479
.LBB94_471:
	s_mov_b32 s2, -1
                                        ; implicit-def: $vgpr2_vgpr3
	s_branch .LBB94_476
.LBB94_472:
	s_mov_b32 s2, -1
                                        ; implicit-def: $vgpr2_vgpr3
.LBB94_473:
	s_delay_alu instid0(SALU_CYCLE_1)
	s_and_not1_b32 vcc_lo, exec_lo, s2
	s_cbranch_vccnz .LBB94_475
; %bb.474:
	s_wait_loadcnt 0x0
	global_load_b32 v2, v[0:1], off
	s_wait_loadcnt 0x0
	v_cvt_f64_f32_e32 v[2:3], v2
.LBB94_475:
	s_mov_b32 s2, 0
.LBB94_476:
	s_delay_alu instid0(SALU_CYCLE_1)
	s_and_not1_b32 vcc_lo, exec_lo, s2
	s_cbranch_vccnz .LBB94_478
; %bb.477:
	s_wait_loadcnt 0x0
	global_load_b32 v2, v[0:1], off
	s_wait_loadcnt 0x0
	v_cvt_f32_f16_e32 v2, v2
	s_delay_alu instid0(VALU_DEP_1)
	v_cvt_f64_f32_e32 v[2:3], v2
.LBB94_478:
	s_mov_b32 s2, 0
.LBB94_479:
	s_delay_alu instid0(SALU_CYCLE_1)
	s_and_not1_b32 vcc_lo, exec_lo, s2
	s_cbranch_vccnz .LBB94_490
; %bb.480:
	s_cmp_lt_i32 s1, 6
	s_cbranch_scc1 .LBB94_483
; %bb.481:
	s_cmp_gt_i32 s1, 6
	s_cbranch_scc0 .LBB94_484
; %bb.482:
	s_wait_loadcnt 0x0
	global_load_b64 v[2:3], v[0:1], off
	s_mov_b32 s2, 0
	s_branch .LBB94_485
.LBB94_483:
	s_mov_b32 s2, -1
                                        ; implicit-def: $vgpr2_vgpr3
	s_branch .LBB94_488
.LBB94_484:
	s_mov_b32 s2, -1
                                        ; implicit-def: $vgpr2_vgpr3
.LBB94_485:
	s_delay_alu instid0(SALU_CYCLE_1)
	s_and_not1_b32 vcc_lo, exec_lo, s2
	s_cbranch_vccnz .LBB94_487
; %bb.486:
	s_wait_loadcnt 0x0
	global_load_b32 v2, v[0:1], off
	s_wait_loadcnt 0x0
	v_cvt_f64_f32_e32 v[2:3], v2
.LBB94_487:
	s_mov_b32 s2, 0
.LBB94_488:
	s_delay_alu instid0(SALU_CYCLE_1)
	s_and_not1_b32 vcc_lo, exec_lo, s2
	s_cbranch_vccnz .LBB94_490
; %bb.489:
	s_wait_loadcnt 0x0
	global_load_u16 v2, v[0:1], off
	s_wait_loadcnt 0x0
	v_cvt_f32_f16_e32 v2, v2
	s_delay_alu instid0(VALU_DEP_1)
	v_cvt_f64_f32_e32 v[2:3], v2
.LBB94_490:
	s_mov_b32 s2, 0
.LBB94_491:
	s_delay_alu instid0(SALU_CYCLE_1)
	s_and_not1_b32 vcc_lo, exec_lo, s2
	s_cbranch_vccnz .LBB94_511
; %bb.492:
	s_cmp_lt_i32 s1, 2
	s_cbranch_scc1 .LBB94_496
; %bb.493:
	s_cmp_lt_i32 s1, 3
	s_cbranch_scc1 .LBB94_497
; %bb.494:
	s_cmp_gt_i32 s1, 3
	s_cbranch_scc0 .LBB94_498
; %bb.495:
	s_wait_loadcnt 0x0
	global_load_b64 v[2:3], v[0:1], off
	s_mov_b32 s2, 0
	s_wait_loadcnt 0x0
	v_cvt_f64_i32_e32 v[4:5], v3
	v_cvt_f64_u32_e32 v[2:3], v2
	s_delay_alu instid0(VALU_DEP_2) | instskip(NEXT) | instid1(VALU_DEP_1)
	v_ldexp_f64 v[4:5], v[4:5], 32
	v_add_f64_e32 v[2:3], v[4:5], v[2:3]
	s_branch .LBB94_499
.LBB94_496:
	s_mov_b32 s2, -1
                                        ; implicit-def: $vgpr2_vgpr3
	s_branch .LBB94_505
.LBB94_497:
	s_mov_b32 s2, -1
                                        ; implicit-def: $vgpr2_vgpr3
	s_branch .LBB94_502
.LBB94_498:
	s_mov_b32 s2, -1
                                        ; implicit-def: $vgpr2_vgpr3
.LBB94_499:
	s_delay_alu instid0(SALU_CYCLE_1)
	s_and_not1_b32 vcc_lo, exec_lo, s2
	s_cbranch_vccnz .LBB94_501
; %bb.500:
	s_wait_loadcnt 0x0
	global_load_b32 v2, v[0:1], off
	s_wait_loadcnt 0x0
	v_cvt_f64_i32_e32 v[2:3], v2
.LBB94_501:
	s_mov_b32 s2, 0
.LBB94_502:
	s_delay_alu instid0(SALU_CYCLE_1)
	s_and_not1_b32 vcc_lo, exec_lo, s2
	s_cbranch_vccnz .LBB94_504
; %bb.503:
	s_wait_loadcnt 0x0
	global_load_i16 v2, v[0:1], off
	s_wait_loadcnt 0x0
	v_cvt_f64_i32_e32 v[2:3], v2
.LBB94_504:
	s_mov_b32 s2, 0
.LBB94_505:
	s_delay_alu instid0(SALU_CYCLE_1)
	s_and_not1_b32 vcc_lo, exec_lo, s2
	s_cbranch_vccnz .LBB94_511
; %bb.506:
	s_cmp_gt_i32 s1, 0
	s_mov_b32 s1, 0
	s_cbranch_scc0 .LBB94_508
; %bb.507:
	s_wait_loadcnt 0x0
	global_load_i8 v2, v[0:1], off
	s_wait_loadcnt 0x0
	v_cvt_f64_i32_e32 v[2:3], v2
	s_branch .LBB94_509
.LBB94_508:
	s_mov_b32 s1, -1
                                        ; implicit-def: $vgpr2_vgpr3
.LBB94_509:
	s_delay_alu instid0(SALU_CYCLE_1)
	s_and_not1_b32 vcc_lo, exec_lo, s1
	s_cbranch_vccnz .LBB94_511
; %bb.510:
	global_load_u8 v0, v[0:1], off
	s_wait_loadcnt 0x0
	v_cvt_f64_u32_e32 v[2:3], v0
.LBB94_511:
	s_branch .LBB94_266
.LBB94_512:
	s_mov_b32 s1, 0
	s_mov_b32 s2, s16
.LBB94_513:
                                        ; implicit-def: $vgpr10
.LBB94_514:
	s_and_not1_b32 s21, s16, exec_lo
	s_and_b32 s2, s2, exec_lo
	s_and_not1_b32 s23, s18, exec_lo
	s_and_b32 s20, s20, exec_lo
	s_or_b32 s21, s21, s2
	s_or_b32 s20, s23, s20
	s_or_not1_b32 s24, s1, exec_lo
.LBB94_515:
	s_wait_xcnt 0x0
	s_or_b32 exec_lo, exec_lo, s22
	s_mov_b32 s1, 0
	s_mov_b32 s2, 0
	;; [unrolled: 1-line block ×3, first 2 shown]
                                        ; implicit-def: $vgpr0_vgpr1
                                        ; implicit-def: $vgpr2_vgpr3
	s_and_saveexec_b32 s22, s24
	s_cbranch_execz .LBB94_862
; %bb.516:
	s_mov_b32 s27, -1
	s_mov_b32 s1, s20
	s_mov_b32 s2, s21
	s_mov_b32 s23, exec_lo
	v_cmpx_gt_i32_e64 s17, v10
	s_cbranch_execz .LBB94_776
; %bb.517:
	v_mul_lo_u32 v0, v10, s13
	s_and_b32 s1, 0xffff, s11
	s_delay_alu instid0(SALU_CYCLE_1) | instskip(NEXT) | instid1(VALU_DEP_1)
	s_cmp_lt_i32 s1, 11
	v_ashrrev_i32_e32 v1, 31, v0
	s_delay_alu instid0(VALU_DEP_1)
	v_add_nc_u64_e32 v[0:1], s[6:7], v[0:1]
	s_cbranch_scc1 .LBB94_524
; %bb.518:
	s_cmp_gt_i32 s1, 25
	s_cbranch_scc0 .LBB94_525
; %bb.519:
	s_cmp_gt_i32 s1, 28
	s_cbranch_scc0 .LBB94_526
	;; [unrolled: 3-line block ×4, first 2 shown]
; %bb.522:
	s_cmp_eq_u32 s1, 46
	s_mov_b32 s25, 0
	s_cbranch_scc0 .LBB94_533
; %bb.523:
	s_wait_loadcnt 0x0
	global_load_b32 v2, v[0:1], off
	s_mov_b32 s2, -1
	s_mov_b32 s24, 0
	s_wait_loadcnt 0x0
	v_lshlrev_b32_e32 v2, 16, v2
	s_delay_alu instid0(VALU_DEP_1)
	v_cvt_f64_f32_e32 v[2:3], v2
	s_branch .LBB94_535
.LBB94_524:
	s_mov_b32 s25, -1
	s_mov_b32 s2, 0
	s_mov_b32 s24, s20
                                        ; implicit-def: $vgpr2_vgpr3
	s_branch .LBB94_600
.LBB94_525:
	s_mov_b32 s25, -1
	s_mov_b32 s2, 0
	s_mov_b32 s24, s20
                                        ; implicit-def: $vgpr2_vgpr3
	s_branch .LBB94_564
.LBB94_526:
	s_mov_b32 s25, -1
	s_mov_b32 s2, 0
	s_mov_b32 s24, s20
                                        ; implicit-def: $vgpr2_vgpr3
	s_branch .LBB94_545
.LBB94_527:
	s_mov_b32 s25, -1
	s_mov_b32 s2, 0
	s_mov_b32 s24, s20
                                        ; implicit-def: $vgpr2_vgpr3
	s_branch .LBB94_540
.LBB94_528:
	s_and_not1_saveexec_b32 s26, s26
	s_cbranch_execz .LBB94_312
.LBB94_529:
	v_add_f32_e32 v2, 0x46000000, v3
	s_and_not1_b32 s25, s25, exec_lo
	s_delay_alu instid0(VALU_DEP_1) | instskip(NEXT) | instid1(VALU_DEP_1)
	v_and_b32_e32 v2, 0xff, v2
	v_cmp_ne_u32_e32 vcc_lo, 0, v2
	s_and_b32 s27, vcc_lo, exec_lo
	s_delay_alu instid0(SALU_CYCLE_1)
	s_or_b32 s25, s25, s27
	s_or_b32 exec_lo, exec_lo, s26
	v_mov_b32_e32 v4, 0
	s_and_saveexec_b32 s26, s25
	s_cbranch_execnz .LBB94_313
	s_branch .LBB94_314
.LBB94_530:
	s_mov_b32 s25, -1
	s_mov_b32 s2, 0
	s_mov_b32 s24, s20
	s_branch .LBB94_534
.LBB94_531:
	s_and_not1_saveexec_b32 s26, s26
	s_cbranch_execz .LBB94_325
.LBB94_532:
	v_add_f32_e32 v2, 0x42800000, v3
	s_and_not1_b32 s25, s25, exec_lo
	s_delay_alu instid0(VALU_DEP_1) | instskip(NEXT) | instid1(VALU_DEP_1)
	v_and_b32_e32 v2, 0xff, v2
	v_cmp_ne_u32_e32 vcc_lo, 0, v2
	s_and_b32 s27, vcc_lo, exec_lo
	s_delay_alu instid0(SALU_CYCLE_1)
	s_or_b32 s25, s25, s27
	s_or_b32 exec_lo, exec_lo, s26
	v_mov_b32_e32 v4, 0
	s_and_saveexec_b32 s26, s25
	s_cbranch_execnz .LBB94_326
	s_branch .LBB94_327
.LBB94_533:
	s_mov_b32 s24, -1
	s_mov_b32 s2, 0
.LBB94_534:
                                        ; implicit-def: $vgpr2_vgpr3
.LBB94_535:
	s_and_b32 vcc_lo, exec_lo, s25
	s_cbranch_vccz .LBB94_539
; %bb.536:
	s_cmp_eq_u32 s1, 44
	s_cbranch_scc0 .LBB94_538
; %bb.537:
	global_load_u8 v4, v[0:1], off
	s_mov_b32 s24, 0
	s_mov_b32 s2, -1
	s_wait_loadcnt 0x0
	v_cmp_ne_u32_e32 vcc_lo, 0xff, v4
	v_lshlrev_b32_e32 v2, 23, v4
	s_delay_alu instid0(VALU_DEP_1) | instskip(NEXT) | instid1(VALU_DEP_1)
	v_cvt_f64_f32_e32 v[2:3], v2
	v_cndmask_b32_e32 v2, 0x20000000, v2, vcc_lo
	s_delay_alu instid0(VALU_DEP_2) | instskip(SKIP_1) | instid1(VALU_DEP_2)
	v_cndmask_b32_e32 v3, 0x7ff80000, v3, vcc_lo
	v_cmp_ne_u32_e32 vcc_lo, 0, v4
	v_cndmask_b32_e32 v3, 0x38000000, v3, vcc_lo
	s_delay_alu instid0(VALU_DEP_4)
	v_cndmask_b32_e32 v2, 0, v2, vcc_lo
	s_branch .LBB94_539
.LBB94_538:
	s_mov_b32 s24, -1
                                        ; implicit-def: $vgpr2_vgpr3
.LBB94_539:
	s_mov_b32 s25, 0
.LBB94_540:
	s_delay_alu instid0(SALU_CYCLE_1)
	s_and_b32 vcc_lo, exec_lo, s25
	s_cbranch_vccz .LBB94_544
; %bb.541:
	s_cmp_eq_u32 s1, 29
	s_cbranch_scc0 .LBB94_543
; %bb.542:
	s_wait_loadcnt 0x0
	global_load_b64 v[2:3], v[0:1], off
	s_mov_b32 s2, -1
	s_mov_b32 s24, 0
	s_mov_b32 s25, 0
	s_wait_loadcnt 0x0
	v_cvt_f64_u32_e32 v[4:5], v3
	v_cvt_f64_u32_e32 v[2:3], v2
	s_delay_alu instid0(VALU_DEP_2) | instskip(NEXT) | instid1(VALU_DEP_1)
	v_ldexp_f64 v[4:5], v[4:5], 32
	v_add_f64_e32 v[2:3], v[4:5], v[2:3]
	s_branch .LBB94_545
.LBB94_543:
	s_mov_b32 s24, -1
                                        ; implicit-def: $vgpr2_vgpr3
.LBB94_544:
	s_mov_b32 s25, 0
.LBB94_545:
	s_delay_alu instid0(SALU_CYCLE_1)
	s_and_b32 vcc_lo, exec_lo, s25
	s_cbranch_vccz .LBB94_563
; %bb.546:
	s_cmp_lt_i32 s1, 27
	s_cbranch_scc1 .LBB94_549
; %bb.547:
	s_cmp_gt_i32 s1, 27
	s_cbranch_scc0 .LBB94_550
; %bb.548:
	s_wait_loadcnt 0x0
	global_load_b32 v2, v[0:1], off
	s_mov_b32 s2, 0
	s_wait_loadcnt 0x0
	v_cvt_f64_u32_e32 v[2:3], v2
	s_branch .LBB94_551
.LBB94_549:
	s_mov_b32 s2, -1
                                        ; implicit-def: $vgpr2_vgpr3
	s_branch .LBB94_554
.LBB94_550:
	s_mov_b32 s2, -1
                                        ; implicit-def: $vgpr2_vgpr3
.LBB94_551:
	s_delay_alu instid0(SALU_CYCLE_1)
	s_and_not1_b32 vcc_lo, exec_lo, s2
	s_cbranch_vccnz .LBB94_553
; %bb.552:
	s_wait_loadcnt 0x0
	global_load_u16 v2, v[0:1], off
	s_wait_loadcnt 0x0
	v_cvt_f64_u32_e32 v[2:3], v2
.LBB94_553:
	s_mov_b32 s2, 0
.LBB94_554:
	s_delay_alu instid0(SALU_CYCLE_1)
	s_and_not1_b32 vcc_lo, exec_lo, s2
	s_cbranch_vccnz .LBB94_562
; %bb.555:
	global_load_u8 v4, v[0:1], off
	s_mov_b32 s2, 0
	s_mov_b32 s25, exec_lo
	s_wait_loadcnt 0x0
	v_cmpx_lt_i16_e32 0x7f, v4
	s_xor_b32 s25, exec_lo, s25
	s_cbranch_execz .LBB94_576
; %bb.556:
	s_mov_b32 s2, -1
	s_mov_b32 s26, exec_lo
	v_cmpx_eq_u16_e32 0x80, v4
; %bb.557:
	s_xor_b32 s2, exec_lo, -1
; %bb.558:
	s_or_b32 exec_lo, exec_lo, s26
	s_delay_alu instid0(SALU_CYCLE_1)
	s_and_b32 s2, s2, exec_lo
	s_or_saveexec_b32 s25, s25
	v_mov_b64_e32 v[2:3], 0x7ff8000020000000
	s_xor_b32 exec_lo, exec_lo, s25
	s_cbranch_execnz .LBB94_577
.LBB94_559:
	s_or_b32 exec_lo, exec_lo, s25
	s_and_saveexec_b32 s25, s2
	s_cbranch_execz .LBB94_561
.LBB94_560:
	v_and_b32_e32 v2, 0xffff, v4
	s_delay_alu instid0(VALU_DEP_1) | instskip(SKIP_1) | instid1(VALU_DEP_2)
	v_and_b32_e32 v3, 7, v2
	v_bfe_u32 v7, v2, 3, 4
	v_clz_i32_u32_e32 v5, v3
	s_delay_alu instid0(VALU_DEP_2) | instskip(NEXT) | instid1(VALU_DEP_2)
	v_cmp_eq_u32_e32 vcc_lo, 0, v7
	v_min_u32_e32 v5, 32, v5
	s_delay_alu instid0(VALU_DEP_1) | instskip(NEXT) | instid1(VALU_DEP_1)
	v_subrev_nc_u32_e32 v6, 28, v5
	v_dual_lshlrev_b32 v2, v6, v2 :: v_dual_sub_nc_u32 v5, 29, v5
	s_delay_alu instid0(VALU_DEP_1) | instskip(NEXT) | instid1(VALU_DEP_2)
	v_dual_lshlrev_b32 v4, 24, v4 :: v_dual_bitop2_b32 v2, 7, v2 bitop3:0x40
	v_cndmask_b32_e32 v5, v7, v5, vcc_lo
	s_delay_alu instid0(VALU_DEP_2) | instskip(NEXT) | instid1(VALU_DEP_3)
	v_cndmask_b32_e32 v2, v3, v2, vcc_lo
	v_and_b32_e32 v3, 0x80000000, v4
	s_delay_alu instid0(VALU_DEP_3) | instskip(NEXT) | instid1(VALU_DEP_3)
	v_lshl_add_u32 v4, v5, 23, 0x3b800000
	v_lshlrev_b32_e32 v2, 20, v2
	s_delay_alu instid0(VALU_DEP_1) | instskip(NEXT) | instid1(VALU_DEP_1)
	v_or3_b32 v2, v3, v4, v2
	v_cvt_f64_f32_e32 v[2:3], v2
.LBB94_561:
	s_or_b32 exec_lo, exec_lo, s25
.LBB94_562:
	s_mov_b32 s2, -1
.LBB94_563:
	s_mov_b32 s25, 0
.LBB94_564:
	s_delay_alu instid0(SALU_CYCLE_1)
	s_and_b32 vcc_lo, exec_lo, s25
	s_cbranch_vccz .LBB94_599
; %bb.565:
	s_cmp_gt_i32 s1, 22
	s_cbranch_scc0 .LBB94_575
; %bb.566:
	s_cmp_lt_i32 s1, 24
	s_cbranch_scc1 .LBB94_578
; %bb.567:
	s_cmp_gt_i32 s1, 24
	s_cbranch_scc0 .LBB94_579
; %bb.568:
	global_load_u8 v4, v[0:1], off
	s_mov_b32 s2, 0
	s_mov_b32 s25, exec_lo
	s_wait_loadcnt 0x0
	v_cmpx_lt_i16_e32 0x7f, v4
	s_xor_b32 s25, exec_lo, s25
	s_cbranch_execz .LBB94_591
; %bb.569:
	s_mov_b32 s2, -1
	s_mov_b32 s26, exec_lo
	v_cmpx_eq_u16_e32 0x80, v4
; %bb.570:
	s_xor_b32 s2, exec_lo, -1
; %bb.571:
	s_or_b32 exec_lo, exec_lo, s26
	s_delay_alu instid0(SALU_CYCLE_1)
	s_and_b32 s2, s2, exec_lo
	s_or_saveexec_b32 s25, s25
	v_mov_b64_e32 v[2:3], 0x7ff8000020000000
	s_xor_b32 exec_lo, exec_lo, s25
	s_cbranch_execnz .LBB94_592
.LBB94_572:
	s_or_b32 exec_lo, exec_lo, s25
	s_and_saveexec_b32 s25, s2
	s_cbranch_execz .LBB94_574
.LBB94_573:
	v_and_b32_e32 v2, 0xffff, v4
	s_delay_alu instid0(VALU_DEP_1) | instskip(SKIP_1) | instid1(VALU_DEP_2)
	v_and_b32_e32 v3, 3, v2
	v_bfe_u32 v7, v2, 2, 5
	v_clz_i32_u32_e32 v5, v3
	s_delay_alu instid0(VALU_DEP_2) | instskip(NEXT) | instid1(VALU_DEP_2)
	v_cmp_eq_u32_e32 vcc_lo, 0, v7
	v_min_u32_e32 v5, 32, v5
	s_delay_alu instid0(VALU_DEP_1) | instskip(NEXT) | instid1(VALU_DEP_1)
	v_subrev_nc_u32_e32 v6, 29, v5
	v_dual_lshlrev_b32 v2, v6, v2 :: v_dual_sub_nc_u32 v5, 30, v5
	s_delay_alu instid0(VALU_DEP_1) | instskip(NEXT) | instid1(VALU_DEP_2)
	v_dual_lshlrev_b32 v4, 24, v4 :: v_dual_bitop2_b32 v2, 3, v2 bitop3:0x40
	v_cndmask_b32_e32 v5, v7, v5, vcc_lo
	s_delay_alu instid0(VALU_DEP_2) | instskip(NEXT) | instid1(VALU_DEP_3)
	v_cndmask_b32_e32 v2, v3, v2, vcc_lo
	v_and_b32_e32 v3, 0x80000000, v4
	s_delay_alu instid0(VALU_DEP_3) | instskip(NEXT) | instid1(VALU_DEP_3)
	v_lshl_add_u32 v4, v5, 23, 0x37800000
	v_lshlrev_b32_e32 v2, 21, v2
	s_delay_alu instid0(VALU_DEP_1) | instskip(NEXT) | instid1(VALU_DEP_1)
	v_or3_b32 v2, v3, v4, v2
	v_cvt_f64_f32_e32 v[2:3], v2
.LBB94_574:
	s_or_b32 exec_lo, exec_lo, s25
	s_mov_b32 s2, 0
	s_branch .LBB94_580
.LBB94_575:
	s_mov_b32 s25, -1
                                        ; implicit-def: $vgpr2_vgpr3
	s_branch .LBB94_586
.LBB94_576:
	s_or_saveexec_b32 s25, s25
	v_mov_b64_e32 v[2:3], 0x7ff8000020000000
	s_xor_b32 exec_lo, exec_lo, s25
	s_cbranch_execz .LBB94_559
.LBB94_577:
	v_cmp_ne_u16_e32 vcc_lo, 0, v4
	v_mov_b64_e32 v[2:3], 0
	s_and_not1_b32 s2, s2, exec_lo
	s_and_b32 s26, vcc_lo, exec_lo
	s_delay_alu instid0(SALU_CYCLE_1)
	s_or_b32 s2, s2, s26
	s_or_b32 exec_lo, exec_lo, s25
	s_and_saveexec_b32 s25, s2
	s_cbranch_execnz .LBB94_560
	s_branch .LBB94_561
.LBB94_578:
	s_mov_b32 s2, -1
                                        ; implicit-def: $vgpr2_vgpr3
	s_branch .LBB94_583
.LBB94_579:
	s_mov_b32 s2, -1
                                        ; implicit-def: $vgpr2_vgpr3
.LBB94_580:
	s_delay_alu instid0(SALU_CYCLE_1)
	s_and_b32 vcc_lo, exec_lo, s2
	s_cbranch_vccz .LBB94_582
; %bb.581:
	s_wait_loadcnt 0x0
	global_load_u8 v2, v[0:1], off
	s_wait_loadcnt 0x0
	v_lshlrev_b32_e32 v2, 24, v2
	s_delay_alu instid0(VALU_DEP_1) | instskip(NEXT) | instid1(VALU_DEP_1)
	v_and_b32_e32 v3, 0x7f000000, v2
	v_clz_i32_u32_e32 v4, v3
	v_cmp_ne_u32_e32 vcc_lo, 0, v3
	v_add_nc_u32_e32 v6, 0x1000000, v3
	s_delay_alu instid0(VALU_DEP_3) | instskip(NEXT) | instid1(VALU_DEP_1)
	v_min_u32_e32 v4, 32, v4
	v_sub_nc_u32_e64 v4, v4, 4 clamp
	s_delay_alu instid0(VALU_DEP_1) | instskip(NEXT) | instid1(VALU_DEP_1)
	v_dual_lshlrev_b32 v5, v4, v3 :: v_dual_lshlrev_b32 v4, 23, v4
	v_lshrrev_b32_e32 v5, 4, v5
	s_delay_alu instid0(VALU_DEP_1) | instskip(NEXT) | instid1(VALU_DEP_1)
	v_dual_sub_nc_u32 v4, v5, v4 :: v_dual_ashrrev_i32 v5, 8, v6
	v_add_nc_u32_e32 v4, 0x3c000000, v4
	s_delay_alu instid0(VALU_DEP_1) | instskip(NEXT) | instid1(VALU_DEP_1)
	v_and_or_b32 v4, 0x7f800000, v5, v4
	v_cndmask_b32_e32 v3, 0, v4, vcc_lo
	s_delay_alu instid0(VALU_DEP_1) | instskip(NEXT) | instid1(VALU_DEP_1)
	v_and_or_b32 v2, 0x80000000, v2, v3
	v_cvt_f64_f32_e32 v[2:3], v2
.LBB94_582:
	s_mov_b32 s2, 0
.LBB94_583:
	s_delay_alu instid0(SALU_CYCLE_1)
	s_and_not1_b32 vcc_lo, exec_lo, s2
	s_cbranch_vccnz .LBB94_585
; %bb.584:
	s_wait_loadcnt 0x0
	global_load_u8 v2, v[0:1], off
	s_wait_loadcnt 0x0
	v_lshlrev_b32_e32 v3, 25, v2
	v_lshlrev_b16 v2, 8, v2
	s_delay_alu instid0(VALU_DEP_1) | instskip(SKIP_1) | instid1(VALU_DEP_2)
	v_and_or_b32 v5, 0x7f00, v2, 0.5
	v_bfe_i32 v2, v2, 0, 16
	v_dual_add_f32 v5, -0.5, v5 :: v_dual_lshrrev_b32 v4, 4, v3
	v_cmp_gt_u32_e32 vcc_lo, 0x8000000, v3
	s_delay_alu instid0(VALU_DEP_2) | instskip(NEXT) | instid1(VALU_DEP_1)
	v_or_b32_e32 v4, 0x70000000, v4
	v_mul_f32_e32 v4, 0x7800000, v4
	s_delay_alu instid0(VALU_DEP_1) | instskip(NEXT) | instid1(VALU_DEP_1)
	v_cndmask_b32_e32 v3, v4, v5, vcc_lo
	v_and_or_b32 v2, 0x80000000, v2, v3
	s_delay_alu instid0(VALU_DEP_1)
	v_cvt_f64_f32_e32 v[2:3], v2
.LBB94_585:
	s_mov_b32 s25, 0
	s_mov_b32 s2, -1
.LBB94_586:
	s_and_not1_b32 vcc_lo, exec_lo, s25
	s_cbranch_vccnz .LBB94_599
; %bb.587:
	s_cmp_gt_i32 s1, 14
	s_cbranch_scc0 .LBB94_590
; %bb.588:
	s_cmp_eq_u32 s1, 15
	s_cbranch_scc0 .LBB94_593
; %bb.589:
	s_wait_loadcnt 0x0
	global_load_u16 v2, v[0:1], off
	s_mov_b32 s2, -1
	s_mov_b32 s24, 0
	s_wait_loadcnt 0x0
	v_lshlrev_b32_e32 v2, 16, v2
	s_delay_alu instid0(VALU_DEP_1)
	v_cvt_f64_f32_e32 v[2:3], v2
	s_branch .LBB94_594
.LBB94_590:
	s_mov_b32 s25, -1
                                        ; implicit-def: $vgpr2_vgpr3
	s_branch .LBB94_595
.LBB94_591:
	s_or_saveexec_b32 s25, s25
	v_mov_b64_e32 v[2:3], 0x7ff8000020000000
	s_xor_b32 exec_lo, exec_lo, s25
	s_cbranch_execz .LBB94_572
.LBB94_592:
	v_cmp_ne_u16_e32 vcc_lo, 0, v4
	v_mov_b64_e32 v[2:3], 0
	s_and_not1_b32 s2, s2, exec_lo
	s_and_b32 s26, vcc_lo, exec_lo
	s_delay_alu instid0(SALU_CYCLE_1)
	s_or_b32 s2, s2, s26
	s_or_b32 exec_lo, exec_lo, s25
	s_and_saveexec_b32 s25, s2
	s_cbranch_execnz .LBB94_573
	s_branch .LBB94_574
.LBB94_593:
	s_mov_b32 s24, -1
                                        ; implicit-def: $vgpr2_vgpr3
.LBB94_594:
	s_mov_b32 s25, 0
.LBB94_595:
	s_delay_alu instid0(SALU_CYCLE_1)
	s_and_b32 vcc_lo, exec_lo, s25
	s_cbranch_vccz .LBB94_599
; %bb.596:
	s_cmp_eq_u32 s1, 11
	s_cbranch_scc0 .LBB94_598
; %bb.597:
	s_wait_loadcnt 0x0
	global_load_u8 v2, v[0:1], off
	s_mov_b32 s24, 0
	s_mov_b32 s2, -1
	s_wait_loadcnt 0x0
	v_cmp_ne_u16_e32 vcc_lo, 0, v2
	v_mov_b32_e32 v2, 0
	v_cndmask_b32_e64 v3, 0, 0x3ff00000, vcc_lo
	s_branch .LBB94_599
.LBB94_598:
	s_mov_b32 s24, -1
                                        ; implicit-def: $vgpr2_vgpr3
.LBB94_599:
	s_mov_b32 s25, 0
.LBB94_600:
	s_delay_alu instid0(SALU_CYCLE_1)
	s_and_b32 vcc_lo, exec_lo, s25
	s_cbranch_vccz .LBB94_649
; %bb.601:
	s_cmp_lt_i32 s1, 5
	s_cbranch_scc1 .LBB94_606
; %bb.602:
	s_cmp_lt_i32 s1, 8
	s_cbranch_scc1 .LBB94_607
	;; [unrolled: 3-line block ×3, first 2 shown]
; %bb.604:
	s_cmp_gt_i32 s1, 9
	s_cbranch_scc0 .LBB94_609
; %bb.605:
	s_wait_loadcnt 0x0
	global_load_b64 v[2:3], v[0:1], off
	s_mov_b32 s2, 0
	s_branch .LBB94_610
.LBB94_606:
	s_mov_b32 s2, -1
                                        ; implicit-def: $vgpr2_vgpr3
	s_branch .LBB94_628
.LBB94_607:
	s_mov_b32 s2, -1
                                        ; implicit-def: $vgpr2_vgpr3
	s_branch .LBB94_616
.LBB94_608:
	s_mov_b32 s2, -1
                                        ; implicit-def: $vgpr2_vgpr3
	s_branch .LBB94_613
.LBB94_609:
	s_mov_b32 s2, -1
                                        ; implicit-def: $vgpr2_vgpr3
.LBB94_610:
	s_delay_alu instid0(SALU_CYCLE_1)
	s_and_not1_b32 vcc_lo, exec_lo, s2
	s_cbranch_vccnz .LBB94_612
; %bb.611:
	s_wait_loadcnt 0x0
	global_load_b32 v2, v[0:1], off
	s_wait_loadcnt 0x0
	v_cvt_f64_f32_e32 v[2:3], v2
.LBB94_612:
	s_mov_b32 s2, 0
.LBB94_613:
	s_delay_alu instid0(SALU_CYCLE_1)
	s_and_not1_b32 vcc_lo, exec_lo, s2
	s_cbranch_vccnz .LBB94_615
; %bb.614:
	s_wait_loadcnt 0x0
	global_load_b32 v2, v[0:1], off
	s_wait_loadcnt 0x0
	v_cvt_f32_f16_e32 v2, v2
	s_delay_alu instid0(VALU_DEP_1)
	v_cvt_f64_f32_e32 v[2:3], v2
.LBB94_615:
	s_mov_b32 s2, 0
.LBB94_616:
	s_delay_alu instid0(SALU_CYCLE_1)
	s_and_not1_b32 vcc_lo, exec_lo, s2
	s_cbranch_vccnz .LBB94_627
; %bb.617:
	s_cmp_lt_i32 s1, 6
	s_cbranch_scc1 .LBB94_620
; %bb.618:
	s_cmp_gt_i32 s1, 6
	s_cbranch_scc0 .LBB94_621
; %bb.619:
	s_wait_loadcnt 0x0
	global_load_b64 v[2:3], v[0:1], off
	s_mov_b32 s2, 0
	s_branch .LBB94_622
.LBB94_620:
	s_mov_b32 s2, -1
                                        ; implicit-def: $vgpr2_vgpr3
	s_branch .LBB94_625
.LBB94_621:
	s_mov_b32 s2, -1
                                        ; implicit-def: $vgpr2_vgpr3
.LBB94_622:
	s_delay_alu instid0(SALU_CYCLE_1)
	s_and_not1_b32 vcc_lo, exec_lo, s2
	s_cbranch_vccnz .LBB94_624
; %bb.623:
	s_wait_loadcnt 0x0
	global_load_b32 v2, v[0:1], off
	s_wait_loadcnt 0x0
	v_cvt_f64_f32_e32 v[2:3], v2
.LBB94_624:
	s_mov_b32 s2, 0
.LBB94_625:
	s_delay_alu instid0(SALU_CYCLE_1)
	s_and_not1_b32 vcc_lo, exec_lo, s2
	s_cbranch_vccnz .LBB94_627
; %bb.626:
	s_wait_loadcnt 0x0
	global_load_u16 v2, v[0:1], off
	s_wait_loadcnt 0x0
	v_cvt_f32_f16_e32 v2, v2
	s_delay_alu instid0(VALU_DEP_1)
	v_cvt_f64_f32_e32 v[2:3], v2
.LBB94_627:
	s_mov_b32 s2, 0
.LBB94_628:
	s_delay_alu instid0(SALU_CYCLE_1)
	s_and_not1_b32 vcc_lo, exec_lo, s2
	s_cbranch_vccnz .LBB94_648
; %bb.629:
	s_cmp_lt_i32 s1, 2
	s_cbranch_scc1 .LBB94_633
; %bb.630:
	s_cmp_lt_i32 s1, 3
	s_cbranch_scc1 .LBB94_634
; %bb.631:
	s_cmp_gt_i32 s1, 3
	s_cbranch_scc0 .LBB94_635
; %bb.632:
	s_wait_loadcnt 0x0
	global_load_b64 v[2:3], v[0:1], off
	s_mov_b32 s2, 0
	s_wait_loadcnt 0x0
	v_cvt_f64_i32_e32 v[4:5], v3
	v_cvt_f64_u32_e32 v[2:3], v2
	s_delay_alu instid0(VALU_DEP_2) | instskip(NEXT) | instid1(VALU_DEP_1)
	v_ldexp_f64 v[4:5], v[4:5], 32
	v_add_f64_e32 v[2:3], v[4:5], v[2:3]
	s_branch .LBB94_636
.LBB94_633:
	s_mov_b32 s2, -1
                                        ; implicit-def: $vgpr2_vgpr3
	s_branch .LBB94_642
.LBB94_634:
	s_mov_b32 s2, -1
                                        ; implicit-def: $vgpr2_vgpr3
	s_branch .LBB94_639
.LBB94_635:
	s_mov_b32 s2, -1
                                        ; implicit-def: $vgpr2_vgpr3
.LBB94_636:
	s_delay_alu instid0(SALU_CYCLE_1)
	s_and_not1_b32 vcc_lo, exec_lo, s2
	s_cbranch_vccnz .LBB94_638
; %bb.637:
	s_wait_loadcnt 0x0
	global_load_b32 v2, v[0:1], off
	s_wait_loadcnt 0x0
	v_cvt_f64_i32_e32 v[2:3], v2
.LBB94_638:
	s_mov_b32 s2, 0
.LBB94_639:
	s_delay_alu instid0(SALU_CYCLE_1)
	s_and_not1_b32 vcc_lo, exec_lo, s2
	s_cbranch_vccnz .LBB94_641
; %bb.640:
	s_wait_loadcnt 0x0
	global_load_i16 v2, v[0:1], off
	s_wait_loadcnt 0x0
	v_cvt_f64_i32_e32 v[2:3], v2
.LBB94_641:
	s_mov_b32 s2, 0
.LBB94_642:
	s_delay_alu instid0(SALU_CYCLE_1)
	s_and_not1_b32 vcc_lo, exec_lo, s2
	s_cbranch_vccnz .LBB94_648
; %bb.643:
	s_cmp_gt_i32 s1, 0
	s_mov_b32 s1, 0
	s_cbranch_scc0 .LBB94_645
; %bb.644:
	s_wait_loadcnt 0x0
	global_load_i8 v2, v[0:1], off
	s_wait_loadcnt 0x0
	v_cvt_f64_i32_e32 v[2:3], v2
	s_branch .LBB94_646
.LBB94_645:
	s_mov_b32 s1, -1
                                        ; implicit-def: $vgpr2_vgpr3
.LBB94_646:
	s_delay_alu instid0(SALU_CYCLE_1)
	s_and_not1_b32 vcc_lo, exec_lo, s1
	s_cbranch_vccnz .LBB94_648
; %bb.647:
	global_load_u8 v0, v[0:1], off
	s_wait_loadcnt 0x0
	v_cvt_f64_u32_e32 v[2:3], v0
.LBB94_648:
	s_mov_b32 s2, -1
.LBB94_649:
	s_delay_alu instid0(SALU_CYCLE_1)
	s_and_not1_b32 vcc_lo, exec_lo, s2
	s_cbranch_vccnz .LBB94_657
; %bb.650:
	s_wait_loadcnt 0x0
	s_delay_alu instid0(VALU_DEP_1) | instskip(SKIP_3) | instid1(SALU_CYCLE_1)
	v_cmp_eq_f64_e32 vcc_lo, s[8:9], v[2:3]
	s_wait_xcnt 0x0
	v_mul_lo_u32 v0, v10, s12
	s_and_b32 s25, s10, 0xff
	s_cmp_lt_i32 s25, 11
	v_cndmask_b32_e64 v1, 0, 1, vcc_lo
	v_cmp_neq_f64_e32 vcc_lo, s[8:9], v[2:3]
	v_cndmask_b32_e64 v2, 0, 1, vcc_lo
	s_delay_alu instid0(VALU_DEP_1) | instskip(NEXT) | instid1(VALU_DEP_1)
	v_dual_cndmask_b32 v2, v2, v1, s0 :: v_dual_ashrrev_i32 v1, 31, v0
	v_and_b32_e32 v2, 1, v2
	s_delay_alu instid0(VALU_DEP_2) | instskip(NEXT) | instid1(VALU_DEP_2)
	v_add_nc_u64_e32 v[0:1], s[4:5], v[0:1]
	v_cmp_eq_u32_e64 s1, 1, v2
	s_cbranch_scc1 .LBB94_658
; %bb.651:
	s_and_b32 s26, 0xffff, s25
	s_delay_alu instid0(SALU_CYCLE_1)
	s_cmp_gt_i32 s26, 25
	s_cbranch_scc0 .LBB94_659
; %bb.652:
	s_cmp_gt_i32 s26, 28
	s_cbranch_scc0 .LBB94_660
; %bb.653:
	;; [unrolled: 3-line block ×4, first 2 shown]
	s_mov_b32 s28, 0
	s_mov_b32 s2, -1
	s_cmp_eq_u32 s26, 46
	s_mov_b32 s27, 0
	s_cbranch_scc0 .LBB94_663
; %bb.656:
	v_cndmask_b32_e64 v2, 0, 1.0, s1
	s_mov_b32 s27, -1
	s_mov_b32 s2, 0
	s_delay_alu instid0(VALU_DEP_1) | instskip(NEXT) | instid1(VALU_DEP_1)
	v_bfe_u32 v3, v2, 16, 1
	v_add3_u32 v2, v2, v3, 0x7fff
	s_delay_alu instid0(VALU_DEP_1)
	v_lshrrev_b32_e32 v2, 16, v2
	global_store_b32 v[0:1], v2, off
	s_branch .LBB94_663
.LBB94_657:
	s_mov_b32 s25, 0
	s_mov_b32 s2, s21
	s_branch .LBB94_774
.LBB94_658:
	s_mov_b32 s26, -1
	s_mov_b32 s27, 0
	s_mov_b32 s2, s21
	s_branch .LBB94_732
.LBB94_659:
	s_mov_b32 s28, -1
	s_mov_b32 s27, 0
	s_mov_b32 s2, s21
	s_branch .LBB94_690
.LBB94_660:
	s_mov_b32 s28, -1
	s_mov_b32 s27, 0
	s_mov_b32 s2, s21
	s_branch .LBB94_673
.LBB94_661:
	s_mov_b32 s28, -1
	s_mov_b32 s27, 0
	s_mov_b32 s2, s21
	s_branch .LBB94_669
.LBB94_662:
	s_mov_b32 s28, -1
	s_mov_b32 s27, 0
	s_mov_b32 s2, s21
.LBB94_663:
	s_and_b32 vcc_lo, exec_lo, s28
	s_cbranch_vccz .LBB94_668
; %bb.664:
	s_cmp_eq_u32 s26, 44
	s_mov_b32 s2, -1
	s_cbranch_scc0 .LBB94_668
; %bb.665:
	v_cndmask_b32_e64 v4, 0, 1.0, s1
	s_mov_b32 s27, exec_lo
	s_wait_xcnt 0x0
	s_delay_alu instid0(VALU_DEP_1) | instskip(NEXT) | instid1(VALU_DEP_1)
	v_dual_mov_b32 v3, 0xff :: v_dual_lshrrev_b32 v2, 23, v4
	v_cmpx_ne_u32_e32 0xff, v2
; %bb.666:
	v_and_b32_e32 v3, 0x400000, v4
	v_and_or_b32 v4, 0x3fffff, v4, v2
	s_delay_alu instid0(VALU_DEP_2) | instskip(NEXT) | instid1(VALU_DEP_2)
	v_cmp_ne_u32_e32 vcc_lo, 0, v3
	v_cmp_ne_u32_e64 s2, 0, v4
	s_and_b32 s2, vcc_lo, s2
	s_delay_alu instid0(SALU_CYCLE_1) | instskip(NEXT) | instid1(VALU_DEP_1)
	v_cndmask_b32_e64 v3, 0, 1, s2
	v_add_nc_u32_e32 v3, v2, v3
; %bb.667:
	s_or_b32 exec_lo, exec_lo, s27
	s_mov_b32 s27, -1
	s_mov_b32 s2, 0
	global_store_b8 v[0:1], v3, off
.LBB94_668:
	s_mov_b32 s28, 0
.LBB94_669:
	s_delay_alu instid0(SALU_CYCLE_1)
	s_and_b32 vcc_lo, exec_lo, s28
	s_cbranch_vccz .LBB94_672
; %bb.670:
	s_cmp_eq_u32 s26, 29
	s_mov_b32 s2, -1
	s_cbranch_scc0 .LBB94_672
; %bb.671:
	s_mov_b32 s2, 0
	s_wait_xcnt 0x0
	v_cndmask_b32_e64 v2, 0, 1, s1
	v_mov_b32_e32 v3, s2
	s_mov_b32 s27, -1
	s_mov_b32 s28, 0
	global_store_b64 v[0:1], v[2:3], off
	s_branch .LBB94_673
.LBB94_672:
	s_mov_b32 s28, 0
.LBB94_673:
	s_delay_alu instid0(SALU_CYCLE_1)
	s_and_b32 vcc_lo, exec_lo, s28
	s_cbranch_vccz .LBB94_689
; %bb.674:
	s_cmp_lt_i32 s26, 27
	s_mov_b32 s27, -1
	s_cbranch_scc1 .LBB94_680
; %bb.675:
	s_cmp_gt_i32 s26, 27
	s_cbranch_scc0 .LBB94_677
; %bb.676:
	s_wait_xcnt 0x0
	v_cndmask_b32_e64 v2, 0, 1, s1
	s_mov_b32 s27, 0
	global_store_b32 v[0:1], v2, off
.LBB94_677:
	s_and_not1_b32 vcc_lo, exec_lo, s27
	s_cbranch_vccnz .LBB94_679
; %bb.678:
	s_wait_xcnt 0x0
	v_cndmask_b32_e64 v2, 0, 1, s1
	global_store_b16 v[0:1], v2, off
.LBB94_679:
	s_mov_b32 s27, 0
.LBB94_680:
	s_delay_alu instid0(SALU_CYCLE_1)
	s_and_not1_b32 vcc_lo, exec_lo, s27
	s_cbranch_vccnz .LBB94_688
; %bb.681:
	s_wait_xcnt 0x0
	v_cndmask_b32_e64 v3, 0, 1.0, s1
	v_mov_b32_e32 v4, 0x80
	s_mov_b32 s27, exec_lo
	s_delay_alu instid0(VALU_DEP_2)
	v_cmpx_gt_u32_e32 0x43800000, v3
	s_cbranch_execz .LBB94_687
; %bb.682:
	s_mov_b32 s28, 0
	s_mov_b32 s29, exec_lo
                                        ; implicit-def: $vgpr2
	v_cmpx_lt_u32_e32 0x3bffffff, v3
	s_xor_b32 s29, exec_lo, s29
	s_cbranch_execz .LBB94_789
; %bb.683:
	v_bfe_u32 v2, v3, 20, 1
	s_mov_b32 s28, exec_lo
	s_delay_alu instid0(VALU_DEP_1) | instskip(NEXT) | instid1(VALU_DEP_1)
	v_add3_u32 v2, v3, v2, 0x487ffff
                                        ; implicit-def: $vgpr3
	v_lshrrev_b32_e32 v2, 20, v2
	s_and_not1_saveexec_b32 s29, s29
	s_cbranch_execnz .LBB94_790
.LBB94_684:
	s_or_b32 exec_lo, exec_lo, s29
	v_mov_b32_e32 v4, 0
	s_and_saveexec_b32 s29, s28
.LBB94_685:
	v_mov_b32_e32 v4, v2
.LBB94_686:
	s_or_b32 exec_lo, exec_lo, s29
.LBB94_687:
	s_delay_alu instid0(SALU_CYCLE_1)
	s_or_b32 exec_lo, exec_lo, s27
	global_store_b8 v[0:1], v4, off
.LBB94_688:
	s_mov_b32 s27, -1
.LBB94_689:
	s_mov_b32 s28, 0
.LBB94_690:
	s_delay_alu instid0(SALU_CYCLE_1)
	s_and_b32 vcc_lo, exec_lo, s28
	s_cbranch_vccz .LBB94_731
; %bb.691:
	s_cmp_gt_i32 s26, 22
	s_mov_b32 s28, -1
	s_cbranch_scc0 .LBB94_723
; %bb.692:
	s_cmp_lt_i32 s26, 24
	s_mov_b32 s27, -1
	s_cbranch_scc1 .LBB94_712
; %bb.693:
	s_cmp_gt_i32 s26, 24
	s_cbranch_scc0 .LBB94_701
; %bb.694:
	s_wait_xcnt 0x0
	v_cndmask_b32_e64 v3, 0, 1.0, s1
	v_mov_b32_e32 v4, 0x80
	s_mov_b32 s27, exec_lo
	s_delay_alu instid0(VALU_DEP_2)
	v_cmpx_gt_u32_e32 0x47800000, v3
	s_cbranch_execz .LBB94_700
; %bb.695:
	s_mov_b32 s28, 0
	s_mov_b32 s29, exec_lo
                                        ; implicit-def: $vgpr2
	v_cmpx_lt_u32_e32 0x37ffffff, v3
	s_xor_b32 s29, exec_lo, s29
	s_cbranch_execz .LBB94_792
; %bb.696:
	v_bfe_u32 v2, v3, 21, 1
	s_mov_b32 s28, exec_lo
	s_delay_alu instid0(VALU_DEP_1) | instskip(NEXT) | instid1(VALU_DEP_1)
	v_add3_u32 v2, v3, v2, 0x88fffff
                                        ; implicit-def: $vgpr3
	v_lshrrev_b32_e32 v2, 21, v2
	s_and_not1_saveexec_b32 s29, s29
	s_cbranch_execnz .LBB94_793
.LBB94_697:
	s_or_b32 exec_lo, exec_lo, s29
	v_mov_b32_e32 v4, 0
	s_and_saveexec_b32 s29, s28
.LBB94_698:
	v_mov_b32_e32 v4, v2
.LBB94_699:
	s_or_b32 exec_lo, exec_lo, s29
.LBB94_700:
	s_delay_alu instid0(SALU_CYCLE_1)
	s_or_b32 exec_lo, exec_lo, s27
	s_mov_b32 s27, 0
	global_store_b8 v[0:1], v4, off
.LBB94_701:
	s_and_b32 vcc_lo, exec_lo, s27
	s_cbranch_vccz .LBB94_711
; %bb.702:
	s_wait_xcnt 0x0
	v_cndmask_b32_e64 v3, 0, 1.0, s1
	s_mov_b32 s27, exec_lo
                                        ; implicit-def: $vgpr2
	s_delay_alu instid0(VALU_DEP_1)
	v_cmpx_gt_u32_e32 0x43f00000, v3
	s_xor_b32 s27, exec_lo, s27
	s_cbranch_execz .LBB94_708
; %bb.703:
	s_mov_b32 s28, exec_lo
                                        ; implicit-def: $vgpr2
	v_cmpx_lt_u32_e32 0x3c7fffff, v3
	s_xor_b32 s28, exec_lo, s28
; %bb.704:
	v_bfe_u32 v2, v3, 20, 1
	s_delay_alu instid0(VALU_DEP_1) | instskip(NEXT) | instid1(VALU_DEP_1)
	v_add3_u32 v2, v3, v2, 0x407ffff
	v_and_b32_e32 v3, 0xff00000, v2
	v_lshrrev_b32_e32 v2, 20, v2
	s_delay_alu instid0(VALU_DEP_2) | instskip(NEXT) | instid1(VALU_DEP_2)
	v_cmp_ne_u32_e32 vcc_lo, 0x7f00000, v3
                                        ; implicit-def: $vgpr3
	v_cndmask_b32_e32 v2, 0x7e, v2, vcc_lo
; %bb.705:
	s_and_not1_saveexec_b32 s28, s28
; %bb.706:
	v_add_f32_e32 v2, 0x46800000, v3
; %bb.707:
	s_or_b32 exec_lo, exec_lo, s28
                                        ; implicit-def: $vgpr3
.LBB94_708:
	s_and_not1_saveexec_b32 s27, s27
; %bb.709:
	v_mov_b32_e32 v2, 0x7f
	v_cmp_lt_u32_e32 vcc_lo, 0x7f800000, v3
	s_delay_alu instid0(VALU_DEP_2)
	v_cndmask_b32_e32 v2, 0x7e, v2, vcc_lo
; %bb.710:
	s_or_b32 exec_lo, exec_lo, s27
	global_store_b8 v[0:1], v2, off
.LBB94_711:
	s_mov_b32 s27, 0
.LBB94_712:
	s_delay_alu instid0(SALU_CYCLE_1)
	s_and_not1_b32 vcc_lo, exec_lo, s27
	s_cbranch_vccnz .LBB94_722
; %bb.713:
	s_wait_xcnt 0x0
	v_cndmask_b32_e64 v3, 0, 1.0, s1
	s_mov_b32 s27, exec_lo
                                        ; implicit-def: $vgpr2
	s_delay_alu instid0(VALU_DEP_1)
	v_cmpx_gt_u32_e32 0x47800000, v3
	s_xor_b32 s27, exec_lo, s27
	s_cbranch_execz .LBB94_719
; %bb.714:
	s_mov_b32 s28, exec_lo
                                        ; implicit-def: $vgpr2
	v_cmpx_lt_u32_e32 0x387fffff, v3
	s_xor_b32 s28, exec_lo, s28
; %bb.715:
	v_bfe_u32 v2, v3, 21, 1
	s_delay_alu instid0(VALU_DEP_1) | instskip(NEXT) | instid1(VALU_DEP_1)
	v_add3_u32 v2, v3, v2, 0x80fffff
                                        ; implicit-def: $vgpr3
	v_lshrrev_b32_e32 v2, 21, v2
; %bb.716:
	s_and_not1_saveexec_b32 s28, s28
; %bb.717:
	v_add_f32_e32 v2, 0x43000000, v3
; %bb.718:
	s_or_b32 exec_lo, exec_lo, s28
                                        ; implicit-def: $vgpr3
.LBB94_719:
	s_and_not1_saveexec_b32 s27, s27
; %bb.720:
	v_mov_b32_e32 v2, 0x7f
	v_cmp_lt_u32_e32 vcc_lo, 0x7f800000, v3
	s_delay_alu instid0(VALU_DEP_2)
	v_cndmask_b32_e32 v2, 0x7c, v2, vcc_lo
; %bb.721:
	s_or_b32 exec_lo, exec_lo, s27
	global_store_b8 v[0:1], v2, off
.LBB94_722:
	s_mov_b32 s28, 0
	s_mov_b32 s27, -1
.LBB94_723:
	s_and_not1_b32 vcc_lo, exec_lo, s28
	s_cbranch_vccnz .LBB94_731
; %bb.724:
	s_cmp_gt_i32 s26, 14
	s_mov_b32 s28, -1
	s_cbranch_scc0 .LBB94_728
; %bb.725:
	s_cmp_eq_u32 s26, 15
	s_mov_b32 s2, -1
	s_cbranch_scc0 .LBB94_727
; %bb.726:
	s_wait_xcnt 0x0
	v_cndmask_b32_e64 v2, 0, 1.0, s1
	s_mov_b32 s27, -1
	s_mov_b32 s2, 0
	s_delay_alu instid0(VALU_DEP_1) | instskip(NEXT) | instid1(VALU_DEP_1)
	v_bfe_u32 v3, v2, 16, 1
	v_add3_u32 v2, v2, v3, 0x7fff
	global_store_d16_hi_b16 v[0:1], v2, off
.LBB94_727:
	s_mov_b32 s28, 0
.LBB94_728:
	s_delay_alu instid0(SALU_CYCLE_1)
	s_and_b32 vcc_lo, exec_lo, s28
	s_cbranch_vccz .LBB94_731
; %bb.729:
	s_cmp_eq_u32 s26, 11
	s_mov_b32 s2, -1
	s_cbranch_scc0 .LBB94_731
; %bb.730:
	s_wait_xcnt 0x0
	v_cndmask_b32_e64 v2, 0, 1, s1
	s_mov_b32 s27, -1
	s_mov_b32 s2, 0
	global_store_b8 v[0:1], v2, off
.LBB94_731:
	s_mov_b32 s26, 0
.LBB94_732:
	s_delay_alu instid0(SALU_CYCLE_1)
	s_and_b32 vcc_lo, exec_lo, s26
	s_cbranch_vccz .LBB94_771
; %bb.733:
	s_and_b32 s25, 0xffff, s25
	s_mov_b32 s26, -1
	s_cmp_lt_i32 s25, 5
	s_cbranch_scc1 .LBB94_754
; %bb.734:
	s_cmp_lt_i32 s25, 8
	s_cbranch_scc1 .LBB94_744
; %bb.735:
	;; [unrolled: 3-line block ×3, first 2 shown]
	s_cmp_gt_i32 s25, 9
	s_cbranch_scc0 .LBB94_738
; %bb.737:
	s_wait_xcnt 0x0
	v_cndmask_b32_e64 v2, 0, 1, s1
	v_mov_b32_e32 v4, 0
	s_mov_b32 s26, 0
	s_delay_alu instid0(VALU_DEP_2) | instskip(NEXT) | instid1(VALU_DEP_2)
	v_cvt_f64_u32_e32 v[2:3], v2
	v_mov_b32_e32 v5, v4
	global_store_b128 v[0:1], v[2:5], off
.LBB94_738:
	s_and_not1_b32 vcc_lo, exec_lo, s26
	s_cbranch_vccnz .LBB94_740
; %bb.739:
	s_wait_xcnt 0x0
	v_cndmask_b32_e64 v2, 0, 1.0, s1
	v_mov_b32_e32 v3, 0
	global_store_b64 v[0:1], v[2:3], off
.LBB94_740:
	s_mov_b32 s26, 0
.LBB94_741:
	s_delay_alu instid0(SALU_CYCLE_1)
	s_and_not1_b32 vcc_lo, exec_lo, s26
	s_cbranch_vccnz .LBB94_743
; %bb.742:
	s_wait_xcnt 0x0
	v_cndmask_b32_e64 v2, 0, 1.0, s1
	s_delay_alu instid0(VALU_DEP_1) | instskip(NEXT) | instid1(VALU_DEP_1)
	v_cvt_f16_f32_e32 v2, v2
	v_and_b32_e32 v2, 0xffff, v2
	global_store_b32 v[0:1], v2, off
.LBB94_743:
	s_mov_b32 s26, 0
.LBB94_744:
	s_delay_alu instid0(SALU_CYCLE_1)
	s_and_not1_b32 vcc_lo, exec_lo, s26
	s_cbranch_vccnz .LBB94_753
; %bb.745:
	s_cmp_lt_i32 s25, 6
	s_mov_b32 s26, -1
	s_cbranch_scc1 .LBB94_751
; %bb.746:
	s_cmp_gt_i32 s25, 6
	s_cbranch_scc0 .LBB94_748
; %bb.747:
	s_wait_xcnt 0x0
	v_cndmask_b32_e64 v2, 0, 1, s1
	s_mov_b32 s26, 0
	s_delay_alu instid0(VALU_DEP_1)
	v_cvt_f64_u32_e32 v[2:3], v2
	global_store_b64 v[0:1], v[2:3], off
.LBB94_748:
	s_and_not1_b32 vcc_lo, exec_lo, s26
	s_cbranch_vccnz .LBB94_750
; %bb.749:
	s_wait_xcnt 0x0
	v_cndmask_b32_e64 v2, 0, 1.0, s1
	global_store_b32 v[0:1], v2, off
.LBB94_750:
	s_mov_b32 s26, 0
.LBB94_751:
	s_delay_alu instid0(SALU_CYCLE_1)
	s_and_not1_b32 vcc_lo, exec_lo, s26
	s_cbranch_vccnz .LBB94_753
; %bb.752:
	s_wait_xcnt 0x0
	v_cndmask_b32_e64 v2, 0, 1.0, s1
	s_delay_alu instid0(VALU_DEP_1)
	v_cvt_f16_f32_e32 v2, v2
	global_store_b16 v[0:1], v2, off
.LBB94_753:
	s_mov_b32 s26, 0
.LBB94_754:
	s_delay_alu instid0(SALU_CYCLE_1)
	s_and_not1_b32 vcc_lo, exec_lo, s26
	s_cbranch_vccnz .LBB94_770
; %bb.755:
	s_cmp_lt_i32 s25, 2
	s_mov_b32 s26, -1
	s_cbranch_scc1 .LBB94_765
; %bb.756:
	s_cmp_lt_i32 s25, 3
	s_cbranch_scc1 .LBB94_762
; %bb.757:
	s_cmp_gt_i32 s25, 3
	s_cbranch_scc0 .LBB94_759
; %bb.758:
	s_mov_b32 s26, 0
	s_wait_xcnt 0x0
	v_cndmask_b32_e64 v2, 0, 1, s1
	v_mov_b32_e32 v3, s26
	global_store_b64 v[0:1], v[2:3], off
.LBB94_759:
	s_and_not1_b32 vcc_lo, exec_lo, s26
	s_cbranch_vccnz .LBB94_761
; %bb.760:
	s_wait_xcnt 0x0
	v_cndmask_b32_e64 v2, 0, 1, s1
	global_store_b32 v[0:1], v2, off
.LBB94_761:
	s_mov_b32 s26, 0
.LBB94_762:
	s_delay_alu instid0(SALU_CYCLE_1)
	s_and_not1_b32 vcc_lo, exec_lo, s26
	s_cbranch_vccnz .LBB94_764
; %bb.763:
	s_wait_xcnt 0x0
	v_cndmask_b32_e64 v2, 0, 1, s1
	global_store_b16 v[0:1], v2, off
.LBB94_764:
	s_mov_b32 s26, 0
.LBB94_765:
	s_delay_alu instid0(SALU_CYCLE_1)
	s_and_not1_b32 vcc_lo, exec_lo, s26
	s_cbranch_vccnz .LBB94_770
; %bb.766:
	s_wait_xcnt 0x0
	v_cndmask_b32_e64 v2, 0, 1, s1
	s_cmp_gt_i32 s25, 0
	s_mov_b32 s1, -1
	s_cbranch_scc0 .LBB94_768
; %bb.767:
	s_mov_b32 s1, 0
	global_store_b8 v[0:1], v2, off
.LBB94_768:
	s_and_not1_b32 vcc_lo, exec_lo, s1
	s_cbranch_vccnz .LBB94_770
; %bb.769:
	global_store_b8 v[0:1], v2, off
.LBB94_770:
	s_mov_b32 s27, -1
.LBB94_771:
	s_delay_alu instid0(SALU_CYCLE_1)
	s_and_not1_b32 vcc_lo, exec_lo, s27
	s_cbranch_vccnz .LBB94_773
; %bb.772:
	v_add_nc_u32_e32 v10, 0x80, v10
	s_mov_b32 s25, -1
	s_branch .LBB94_775
.LBB94_773:
	s_mov_b32 s25, 0
.LBB94_774:
                                        ; implicit-def: $vgpr10
.LBB94_775:
	s_and_not1_b32 s1, s21, exec_lo
	s_and_b32 s2, s2, exec_lo
	s_and_not1_b32 s26, s20, exec_lo
	s_and_b32 s24, s24, exec_lo
	s_or_b32 s2, s1, s2
	s_or_b32 s1, s26, s24
	s_or_not1_b32 s27, s25, exec_lo
.LBB94_776:
	s_wait_xcnt 0x0
	s_or_b32 exec_lo, exec_lo, s23
	s_mov_b32 s24, 0
	s_mov_b32 s25, 0
	;; [unrolled: 1-line block ×3, first 2 shown]
                                        ; implicit-def: $vgpr0_vgpr1
                                        ; implicit-def: $vgpr2_vgpr3
	s_and_saveexec_b32 s23, s27
	s_cbranch_execz .LBB94_861
; %bb.777:
	v_cmp_gt_i32_e32 vcc_lo, s17, v10
	s_mov_b32 s28, s1
	s_mov_b32 s27, 0
	;; [unrolled: 1-line block ×3, first 2 shown]
                                        ; implicit-def: $vgpr0_vgpr1
                                        ; implicit-def: $vgpr2_vgpr3
	s_and_saveexec_b32 s17, vcc_lo
	s_cbranch_execz .LBB94_860
; %bb.778:
	v_mul_lo_u32 v0, v10, s13
	s_and_b32 s24, 0xffff, s11
	s_delay_alu instid0(SALU_CYCLE_1) | instskip(NEXT) | instid1(VALU_DEP_1)
	s_cmp_lt_i32 s24, 11
	v_ashrrev_i32_e32 v1, 31, v0
	s_delay_alu instid0(VALU_DEP_1)
	v_add_nc_u64_e32 v[0:1], s[6:7], v[0:1]
	s_cbranch_scc1 .LBB94_785
; %bb.779:
	s_cmp_gt_i32 s24, 25
	s_cbranch_scc0 .LBB94_786
; %bb.780:
	s_cmp_gt_i32 s24, 28
	s_cbranch_scc0 .LBB94_787
	;; [unrolled: 3-line block ×4, first 2 shown]
; %bb.783:
	s_cmp_eq_u32 s24, 46
	s_mov_b32 s28, 0
	s_cbranch_scc0 .LBB94_794
; %bb.784:
	s_wait_loadcnt 0x0
	global_load_b32 v2, v[0:1], off
	s_mov_b32 s27, -1
	s_wait_loadcnt 0x0
	v_lshlrev_b32_e32 v2, 16, v2
	s_delay_alu instid0(VALU_DEP_1)
	v_cvt_f64_f32_e32 v[2:3], v2
	s_branch .LBB94_796
.LBB94_785:
	s_mov_b32 s24, -1
	s_mov_b32 s25, s1
                                        ; implicit-def: $vgpr2_vgpr3
	s_branch .LBB94_859
.LBB94_786:
	s_mov_b32 s28, -1
	s_mov_b32 s25, s1
                                        ; implicit-def: $vgpr2_vgpr3
	s_branch .LBB94_825
.LBB94_787:
	s_mov_b32 s28, -1
	s_mov_b32 s25, s1
                                        ; implicit-def: $vgpr2_vgpr3
	s_branch .LBB94_806
.LBB94_788:
	s_mov_b32 s28, -1
	s_mov_b32 s25, s1
                                        ; implicit-def: $vgpr2_vgpr3
	s_branch .LBB94_801
.LBB94_789:
	s_and_not1_saveexec_b32 s29, s29
	s_cbranch_execz .LBB94_684
.LBB94_790:
	v_add_f32_e32 v2, 0x46000000, v3
	s_and_not1_b32 s28, s28, exec_lo
	s_delay_alu instid0(VALU_DEP_1) | instskip(NEXT) | instid1(VALU_DEP_1)
	v_and_b32_e32 v2, 0xff, v2
	v_cmp_ne_u32_e32 vcc_lo, 0, v2
	s_and_b32 s30, vcc_lo, exec_lo
	s_delay_alu instid0(SALU_CYCLE_1)
	s_or_b32 s28, s28, s30
	s_or_b32 exec_lo, exec_lo, s29
	v_mov_b32_e32 v4, 0
	s_and_saveexec_b32 s29, s28
	s_cbranch_execnz .LBB94_685
	s_branch .LBB94_686
.LBB94_791:
	s_mov_b32 s28, -1
	s_mov_b32 s25, s1
	s_branch .LBB94_795
.LBB94_792:
	s_and_not1_saveexec_b32 s29, s29
	s_cbranch_execz .LBB94_697
.LBB94_793:
	v_add_f32_e32 v2, 0x42800000, v3
	s_and_not1_b32 s28, s28, exec_lo
	s_delay_alu instid0(VALU_DEP_1) | instskip(NEXT) | instid1(VALU_DEP_1)
	v_and_b32_e32 v2, 0xff, v2
	v_cmp_ne_u32_e32 vcc_lo, 0, v2
	s_and_b32 s30, vcc_lo, exec_lo
	s_delay_alu instid0(SALU_CYCLE_1)
	s_or_b32 s28, s28, s30
	s_or_b32 exec_lo, exec_lo, s29
	v_mov_b32_e32 v4, 0
	s_and_saveexec_b32 s29, s28
	s_cbranch_execnz .LBB94_698
	s_branch .LBB94_699
.LBB94_794:
	s_mov_b32 s25, -1
.LBB94_795:
                                        ; implicit-def: $vgpr2_vgpr3
.LBB94_796:
	s_and_b32 vcc_lo, exec_lo, s28
	s_cbranch_vccz .LBB94_800
; %bb.797:
	s_cmp_eq_u32 s24, 44
	s_cbranch_scc0 .LBB94_799
; %bb.798:
	global_load_u8 v4, v[0:1], off
	s_mov_b32 s25, 0
	s_mov_b32 s27, -1
	s_wait_loadcnt 0x0
	v_cmp_ne_u32_e32 vcc_lo, 0xff, v4
	v_lshlrev_b32_e32 v2, 23, v4
	s_delay_alu instid0(VALU_DEP_1) | instskip(NEXT) | instid1(VALU_DEP_1)
	v_cvt_f64_f32_e32 v[2:3], v2
	v_cndmask_b32_e32 v2, 0x20000000, v2, vcc_lo
	s_delay_alu instid0(VALU_DEP_2) | instskip(SKIP_1) | instid1(VALU_DEP_2)
	v_cndmask_b32_e32 v3, 0x7ff80000, v3, vcc_lo
	v_cmp_ne_u32_e32 vcc_lo, 0, v4
	v_cndmask_b32_e32 v3, 0x38000000, v3, vcc_lo
	s_delay_alu instid0(VALU_DEP_4)
	v_cndmask_b32_e32 v2, 0, v2, vcc_lo
	s_branch .LBB94_800
.LBB94_799:
	s_mov_b32 s25, -1
                                        ; implicit-def: $vgpr2_vgpr3
.LBB94_800:
	s_mov_b32 s28, 0
.LBB94_801:
	s_delay_alu instid0(SALU_CYCLE_1)
	s_and_b32 vcc_lo, exec_lo, s28
	s_cbranch_vccz .LBB94_805
; %bb.802:
	s_cmp_eq_u32 s24, 29
	s_cbranch_scc0 .LBB94_804
; %bb.803:
	s_wait_loadcnt 0x0
	global_load_b64 v[2:3], v[0:1], off
	s_mov_b32 s25, 0
	s_mov_b32 s27, -1
	s_mov_b32 s28, 0
	s_wait_loadcnt 0x0
	v_cvt_f64_u32_e32 v[4:5], v3
	v_cvt_f64_u32_e32 v[2:3], v2
	s_delay_alu instid0(VALU_DEP_2) | instskip(NEXT) | instid1(VALU_DEP_1)
	v_ldexp_f64 v[4:5], v[4:5], 32
	v_add_f64_e32 v[2:3], v[4:5], v[2:3]
	s_branch .LBB94_806
.LBB94_804:
	s_mov_b32 s25, -1
                                        ; implicit-def: $vgpr2_vgpr3
.LBB94_805:
	s_mov_b32 s28, 0
.LBB94_806:
	s_delay_alu instid0(SALU_CYCLE_1)
	s_and_b32 vcc_lo, exec_lo, s28
	s_cbranch_vccz .LBB94_824
; %bb.807:
	s_cmp_lt_i32 s24, 27
	s_cbranch_scc1 .LBB94_810
; %bb.808:
	s_cmp_gt_i32 s24, 27
	s_cbranch_scc0 .LBB94_811
; %bb.809:
	s_wait_loadcnt 0x0
	global_load_b32 v2, v[0:1], off
	s_mov_b32 s27, 0
	s_wait_loadcnt 0x0
	v_cvt_f64_u32_e32 v[2:3], v2
	s_branch .LBB94_812
.LBB94_810:
	s_mov_b32 s27, -1
                                        ; implicit-def: $vgpr2_vgpr3
	s_branch .LBB94_815
.LBB94_811:
	s_mov_b32 s27, -1
                                        ; implicit-def: $vgpr2_vgpr3
.LBB94_812:
	s_delay_alu instid0(SALU_CYCLE_1)
	s_and_not1_b32 vcc_lo, exec_lo, s27
	s_cbranch_vccnz .LBB94_814
; %bb.813:
	s_wait_loadcnt 0x0
	global_load_u16 v2, v[0:1], off
	s_wait_loadcnt 0x0
	v_cvt_f64_u32_e32 v[2:3], v2
.LBB94_814:
	s_mov_b32 s27, 0
.LBB94_815:
	s_delay_alu instid0(SALU_CYCLE_1)
	s_and_not1_b32 vcc_lo, exec_lo, s27
	s_cbranch_vccnz .LBB94_823
; %bb.816:
	global_load_u8 v4, v[0:1], off
	s_mov_b32 s27, 0
	s_mov_b32 s28, exec_lo
	s_wait_loadcnt 0x0
	v_cmpx_lt_i16_e32 0x7f, v4
	s_xor_b32 s28, exec_lo, s28
	s_cbranch_execz .LBB94_837
; %bb.817:
	s_mov_b32 s27, -1
	s_mov_b32 s29, exec_lo
	v_cmpx_eq_u16_e32 0x80, v4
; %bb.818:
	s_xor_b32 s27, exec_lo, -1
; %bb.819:
	s_or_b32 exec_lo, exec_lo, s29
	s_delay_alu instid0(SALU_CYCLE_1)
	s_and_b32 s27, s27, exec_lo
	s_or_saveexec_b32 s28, s28
	v_mov_b64_e32 v[2:3], 0x7ff8000020000000
	s_xor_b32 exec_lo, exec_lo, s28
	s_cbranch_execnz .LBB94_838
.LBB94_820:
	s_or_b32 exec_lo, exec_lo, s28
	s_and_saveexec_b32 s28, s27
	s_cbranch_execz .LBB94_822
.LBB94_821:
	v_and_b32_e32 v2, 0xffff, v4
	s_delay_alu instid0(VALU_DEP_1) | instskip(SKIP_1) | instid1(VALU_DEP_2)
	v_and_b32_e32 v3, 7, v2
	v_bfe_u32 v7, v2, 3, 4
	v_clz_i32_u32_e32 v5, v3
	s_delay_alu instid0(VALU_DEP_2) | instskip(NEXT) | instid1(VALU_DEP_2)
	v_cmp_eq_u32_e32 vcc_lo, 0, v7
	v_min_u32_e32 v5, 32, v5
	s_delay_alu instid0(VALU_DEP_1) | instskip(NEXT) | instid1(VALU_DEP_1)
	v_subrev_nc_u32_e32 v6, 28, v5
	v_dual_lshlrev_b32 v2, v6, v2 :: v_dual_sub_nc_u32 v5, 29, v5
	s_delay_alu instid0(VALU_DEP_1) | instskip(NEXT) | instid1(VALU_DEP_2)
	v_dual_lshlrev_b32 v4, 24, v4 :: v_dual_bitop2_b32 v2, 7, v2 bitop3:0x40
	v_cndmask_b32_e32 v5, v7, v5, vcc_lo
	s_delay_alu instid0(VALU_DEP_2) | instskip(NEXT) | instid1(VALU_DEP_3)
	v_cndmask_b32_e32 v2, v3, v2, vcc_lo
	v_and_b32_e32 v3, 0x80000000, v4
	s_delay_alu instid0(VALU_DEP_3) | instskip(NEXT) | instid1(VALU_DEP_3)
	v_lshl_add_u32 v4, v5, 23, 0x3b800000
	v_lshlrev_b32_e32 v2, 20, v2
	s_delay_alu instid0(VALU_DEP_1) | instskip(NEXT) | instid1(VALU_DEP_1)
	v_or3_b32 v2, v3, v4, v2
	v_cvt_f64_f32_e32 v[2:3], v2
.LBB94_822:
	s_or_b32 exec_lo, exec_lo, s28
.LBB94_823:
	s_mov_b32 s27, -1
.LBB94_824:
	s_mov_b32 s28, 0
.LBB94_825:
	s_delay_alu instid0(SALU_CYCLE_1)
	s_and_b32 vcc_lo, exec_lo, s28
	s_cbranch_vccz .LBB94_858
; %bb.826:
	s_cmp_gt_i32 s24, 22
	s_cbranch_scc0 .LBB94_836
; %bb.827:
	s_cmp_lt_i32 s24, 24
	s_cbranch_scc1 .LBB94_839
; %bb.828:
	s_cmp_gt_i32 s24, 24
	s_cbranch_scc0 .LBB94_840
; %bb.829:
	global_load_u8 v4, v[0:1], off
	s_mov_b32 s27, exec_lo
	s_wait_loadcnt 0x0
	v_cmpx_lt_i16_e32 0x7f, v4
	s_xor_b32 s27, exec_lo, s27
	s_cbranch_execz .LBB94_852
; %bb.830:
	s_mov_b32 s26, -1
	s_mov_b32 s28, exec_lo
	v_cmpx_eq_u16_e32 0x80, v4
; %bb.831:
	s_xor_b32 s26, exec_lo, -1
; %bb.832:
	s_or_b32 exec_lo, exec_lo, s28
	s_delay_alu instid0(SALU_CYCLE_1)
	s_and_b32 s26, s26, exec_lo
	s_or_saveexec_b32 s27, s27
	v_mov_b64_e32 v[2:3], 0x7ff8000020000000
	s_xor_b32 exec_lo, exec_lo, s27
	s_cbranch_execnz .LBB94_853
.LBB94_833:
	s_or_b32 exec_lo, exec_lo, s27
	s_and_saveexec_b32 s27, s26
	s_cbranch_execz .LBB94_835
.LBB94_834:
	v_and_b32_e32 v2, 0xffff, v4
	s_delay_alu instid0(VALU_DEP_1) | instskip(SKIP_1) | instid1(VALU_DEP_2)
	v_and_b32_e32 v3, 3, v2
	v_bfe_u32 v7, v2, 2, 5
	v_clz_i32_u32_e32 v5, v3
	s_delay_alu instid0(VALU_DEP_2) | instskip(NEXT) | instid1(VALU_DEP_2)
	v_cmp_eq_u32_e32 vcc_lo, 0, v7
	v_min_u32_e32 v5, 32, v5
	s_delay_alu instid0(VALU_DEP_1) | instskip(NEXT) | instid1(VALU_DEP_1)
	v_subrev_nc_u32_e32 v6, 29, v5
	v_dual_lshlrev_b32 v2, v6, v2 :: v_dual_sub_nc_u32 v5, 30, v5
	s_delay_alu instid0(VALU_DEP_1) | instskip(NEXT) | instid1(VALU_DEP_2)
	v_dual_lshlrev_b32 v4, 24, v4 :: v_dual_bitop2_b32 v2, 3, v2 bitop3:0x40
	v_cndmask_b32_e32 v5, v7, v5, vcc_lo
	s_delay_alu instid0(VALU_DEP_2) | instskip(NEXT) | instid1(VALU_DEP_3)
	v_cndmask_b32_e32 v2, v3, v2, vcc_lo
	v_and_b32_e32 v3, 0x80000000, v4
	s_delay_alu instid0(VALU_DEP_3) | instskip(NEXT) | instid1(VALU_DEP_3)
	v_lshl_add_u32 v4, v5, 23, 0x37800000
	v_lshlrev_b32_e32 v2, 21, v2
	s_delay_alu instid0(VALU_DEP_1) | instskip(NEXT) | instid1(VALU_DEP_1)
	v_or3_b32 v2, v3, v4, v2
	v_cvt_f64_f32_e32 v[2:3], v2
.LBB94_835:
	s_or_b32 exec_lo, exec_lo, s27
	s_mov_b32 s26, 0
	s_branch .LBB94_841
.LBB94_836:
	s_mov_b32 s26, -1
                                        ; implicit-def: $vgpr2_vgpr3
	s_branch .LBB94_847
.LBB94_837:
	s_or_saveexec_b32 s28, s28
	v_mov_b64_e32 v[2:3], 0x7ff8000020000000
	s_xor_b32 exec_lo, exec_lo, s28
	s_cbranch_execz .LBB94_820
.LBB94_838:
	v_cmp_ne_u16_e32 vcc_lo, 0, v4
	v_mov_b64_e32 v[2:3], 0
	s_and_not1_b32 s27, s27, exec_lo
	s_and_b32 s29, vcc_lo, exec_lo
	s_delay_alu instid0(SALU_CYCLE_1)
	s_or_b32 s27, s27, s29
	s_or_b32 exec_lo, exec_lo, s28
	s_and_saveexec_b32 s28, s27
	s_cbranch_execnz .LBB94_821
	s_branch .LBB94_822
.LBB94_839:
	s_mov_b32 s26, -1
                                        ; implicit-def: $vgpr2_vgpr3
	s_branch .LBB94_844
.LBB94_840:
	s_mov_b32 s26, -1
                                        ; implicit-def: $vgpr2_vgpr3
.LBB94_841:
	s_delay_alu instid0(SALU_CYCLE_1)
	s_and_b32 vcc_lo, exec_lo, s26
	s_cbranch_vccz .LBB94_843
; %bb.842:
	s_wait_loadcnt 0x0
	global_load_u8 v2, v[0:1], off
	s_wait_loadcnt 0x0
	v_lshlrev_b32_e32 v2, 24, v2
	s_delay_alu instid0(VALU_DEP_1) | instskip(NEXT) | instid1(VALU_DEP_1)
	v_and_b32_e32 v3, 0x7f000000, v2
	v_clz_i32_u32_e32 v4, v3
	v_cmp_ne_u32_e32 vcc_lo, 0, v3
	v_add_nc_u32_e32 v6, 0x1000000, v3
	s_delay_alu instid0(VALU_DEP_3) | instskip(NEXT) | instid1(VALU_DEP_1)
	v_min_u32_e32 v4, 32, v4
	v_sub_nc_u32_e64 v4, v4, 4 clamp
	s_delay_alu instid0(VALU_DEP_1) | instskip(NEXT) | instid1(VALU_DEP_1)
	v_dual_lshlrev_b32 v5, v4, v3 :: v_dual_lshlrev_b32 v4, 23, v4
	v_lshrrev_b32_e32 v5, 4, v5
	s_delay_alu instid0(VALU_DEP_1) | instskip(NEXT) | instid1(VALU_DEP_1)
	v_dual_sub_nc_u32 v4, v5, v4 :: v_dual_ashrrev_i32 v5, 8, v6
	v_add_nc_u32_e32 v4, 0x3c000000, v4
	s_delay_alu instid0(VALU_DEP_1) | instskip(NEXT) | instid1(VALU_DEP_1)
	v_and_or_b32 v4, 0x7f800000, v5, v4
	v_cndmask_b32_e32 v3, 0, v4, vcc_lo
	s_delay_alu instid0(VALU_DEP_1) | instskip(NEXT) | instid1(VALU_DEP_1)
	v_and_or_b32 v2, 0x80000000, v2, v3
	v_cvt_f64_f32_e32 v[2:3], v2
.LBB94_843:
	s_mov_b32 s26, 0
.LBB94_844:
	s_delay_alu instid0(SALU_CYCLE_1)
	s_and_not1_b32 vcc_lo, exec_lo, s26
	s_cbranch_vccnz .LBB94_846
; %bb.845:
	s_wait_loadcnt 0x0
	global_load_u8 v2, v[0:1], off
	s_wait_loadcnt 0x0
	v_lshlrev_b32_e32 v3, 25, v2
	v_lshlrev_b16 v2, 8, v2
	s_delay_alu instid0(VALU_DEP_1) | instskip(SKIP_1) | instid1(VALU_DEP_2)
	v_and_or_b32 v5, 0x7f00, v2, 0.5
	v_bfe_i32 v2, v2, 0, 16
	v_dual_add_f32 v5, -0.5, v5 :: v_dual_lshrrev_b32 v4, 4, v3
	v_cmp_gt_u32_e32 vcc_lo, 0x8000000, v3
	s_delay_alu instid0(VALU_DEP_2) | instskip(NEXT) | instid1(VALU_DEP_1)
	v_or_b32_e32 v4, 0x70000000, v4
	v_mul_f32_e32 v4, 0x7800000, v4
	s_delay_alu instid0(VALU_DEP_1) | instskip(NEXT) | instid1(VALU_DEP_1)
	v_cndmask_b32_e32 v3, v4, v5, vcc_lo
	v_and_or_b32 v2, 0x80000000, v2, v3
	s_delay_alu instid0(VALU_DEP_1)
	v_cvt_f64_f32_e32 v[2:3], v2
.LBB94_846:
	s_mov_b32 s26, 0
	s_mov_b32 s27, -1
.LBB94_847:
	s_and_not1_b32 vcc_lo, exec_lo, s26
	s_mov_b32 s26, 0
	s_cbranch_vccnz .LBB94_858
; %bb.848:
	s_cmp_gt_i32 s24, 14
	s_cbranch_scc0 .LBB94_851
; %bb.849:
	s_cmp_eq_u32 s24, 15
	s_cbranch_scc0 .LBB94_854
; %bb.850:
	s_wait_loadcnt 0x0
	global_load_u16 v2, v[0:1], off
	s_mov_b32 s25, 0
	s_mov_b32 s27, -1
	s_wait_loadcnt 0x0
	v_lshlrev_b32_e32 v2, 16, v2
	s_delay_alu instid0(VALU_DEP_1)
	v_cvt_f64_f32_e32 v[2:3], v2
	s_branch .LBB94_856
.LBB94_851:
	s_mov_b32 s26, -1
	s_branch .LBB94_855
.LBB94_852:
	s_or_saveexec_b32 s27, s27
	v_mov_b64_e32 v[2:3], 0x7ff8000020000000
	s_xor_b32 exec_lo, exec_lo, s27
	s_cbranch_execz .LBB94_833
.LBB94_853:
	v_cmp_ne_u16_e32 vcc_lo, 0, v4
	v_mov_b64_e32 v[2:3], 0
	s_and_not1_b32 s26, s26, exec_lo
	s_and_b32 s28, vcc_lo, exec_lo
	s_delay_alu instid0(SALU_CYCLE_1)
	s_or_b32 s26, s26, s28
	s_or_b32 exec_lo, exec_lo, s27
	s_and_saveexec_b32 s27, s26
	s_cbranch_execnz .LBB94_834
	s_branch .LBB94_835
.LBB94_854:
	s_mov_b32 s25, -1
.LBB94_855:
                                        ; implicit-def: $vgpr2_vgpr3
.LBB94_856:
	s_and_b32 vcc_lo, exec_lo, s26
	s_mov_b32 s26, 0
	s_cbranch_vccz .LBB94_858
; %bb.857:
	s_cmp_lg_u32 s24, 11
	s_mov_b32 s26, -1
	s_cselect_b32 s24, -1, 0
	s_and_not1_b32 s25, s25, exec_lo
	s_and_b32 s24, s24, exec_lo
	s_delay_alu instid0(SALU_CYCLE_1)
	s_or_b32 s25, s25, s24
.LBB94_858:
	s_mov_b32 s24, 0
.LBB94_859:
	s_and_not1_b32 s28, s1, exec_lo
	s_and_b32 s25, s25, exec_lo
	s_and_b32 s29, s27, exec_lo
	;; [unrolled: 1-line block ×4, first 2 shown]
	s_or_b32 s28, s28, s25
.LBB94_860:
	s_wait_xcnt 0x0
	s_or_b32 exec_lo, exec_lo, s17
	s_delay_alu instid0(SALU_CYCLE_1)
	s_and_not1_b32 s1, s1, exec_lo
	s_and_b32 s17, s28, exec_lo
	s_and_b32 s26, s29, exec_lo
	;; [unrolled: 1-line block ×4, first 2 shown]
	s_or_b32 s1, s1, s17
.LBB94_861:
	s_or_b32 exec_lo, exec_lo, s23
	s_delay_alu instid0(SALU_CYCLE_1)
	s_and_not1_b32 s17, s21, exec_lo
	s_and_b32 s2, s2, exec_lo
	s_and_b32 s23, s26, exec_lo
	s_or_b32 s21, s17, s2
	s_and_not1_b32 s17, s20, exec_lo
	s_and_b32 s20, s1, exec_lo
	s_and_b32 s2, s25, exec_lo
	;; [unrolled: 1-line block ×3, first 2 shown]
	s_or_b32 s20, s17, s20
.LBB94_862:
	s_or_b32 exec_lo, exec_lo, s22
	s_delay_alu instid0(SALU_CYCLE_1)
	s_and_not1_b32 s16, s16, exec_lo
	s_and_b32 s17, s21, exec_lo
	s_and_b32 s22, s2, exec_lo
	s_or_b32 s16, s16, s17
	s_and_not1_b32 s2, s18, exec_lo
	s_and_b32 s17, s20, exec_lo
	s_and_b32 s21, s23, exec_lo
	;; [unrolled: 1-line block ×3, first 2 shown]
	s_or_b32 s18, s2, s17
	s_or_b32 exec_lo, exec_lo, s19
	s_mov_b32 s1, 0
	s_and_saveexec_b32 s2, s18
	s_cbranch_execz .LBB94_262
.LBB94_863:
	s_mov_b32 s1, exec_lo
	s_and_not1_b32 s20, s20, exec_lo
	s_trap 2
	s_or_b32 exec_lo, exec_lo, s2
	s_and_saveexec_b32 s2, s20
	s_delay_alu instid0(SALU_CYCLE_1)
	s_xor_b32 s2, exec_lo, s2
	s_cbranch_execnz .LBB94_263
.LBB94_864:
	s_or_b32 exec_lo, exec_lo, s2
	s_and_saveexec_b32 s2, s22
	s_cbranch_execz .LBB94_910
.LBB94_865:
	s_sext_i32_i16 s17, s11
	s_delay_alu instid0(SALU_CYCLE_1)
	s_cmp_lt_i32 s17, 5
	s_cbranch_scc1 .LBB94_870
; %bb.866:
	s_cmp_lt_i32 s17, 8
	s_cbranch_scc1 .LBB94_871
; %bb.867:
	s_cmp_lt_i32 s17, 9
	s_cbranch_scc1 .LBB94_872
; %bb.868:
	s_cmp_gt_i32 s17, 9
	s_cbranch_scc0 .LBB94_873
; %bb.869:
	s_wait_loadcnt 0x0
	global_load_b64 v[2:3], v[0:1], off
	s_mov_b32 s17, 0
	s_branch .LBB94_874
.LBB94_870:
                                        ; implicit-def: $vgpr2_vgpr3
	s_branch .LBB94_891
.LBB94_871:
                                        ; implicit-def: $vgpr2_vgpr3
	s_branch .LBB94_880
.LBB94_872:
	s_mov_b32 s17, -1
                                        ; implicit-def: $vgpr2_vgpr3
	s_branch .LBB94_877
.LBB94_873:
	s_mov_b32 s17, -1
                                        ; implicit-def: $vgpr2_vgpr3
.LBB94_874:
	s_delay_alu instid0(SALU_CYCLE_1)
	s_and_not1_b32 vcc_lo, exec_lo, s17
	s_cbranch_vccnz .LBB94_876
; %bb.875:
	s_wait_loadcnt 0x0
	global_load_b32 v2, v[0:1], off
	s_wait_loadcnt 0x0
	v_cvt_f64_f32_e32 v[2:3], v2
.LBB94_876:
	s_mov_b32 s17, 0
.LBB94_877:
	s_delay_alu instid0(SALU_CYCLE_1)
	s_and_not1_b32 vcc_lo, exec_lo, s17
	s_cbranch_vccnz .LBB94_879
; %bb.878:
	s_wait_loadcnt 0x0
	global_load_b32 v2, v[0:1], off
	s_wait_loadcnt 0x0
	v_cvt_f32_f16_e32 v2, v2
	s_delay_alu instid0(VALU_DEP_1)
	v_cvt_f64_f32_e32 v[2:3], v2
.LBB94_879:
	s_cbranch_execnz .LBB94_890
.LBB94_880:
	s_sext_i32_i16 s17, s11
	s_delay_alu instid0(SALU_CYCLE_1)
	s_cmp_lt_i32 s17, 6
	s_cbranch_scc1 .LBB94_883
; %bb.881:
	s_cmp_gt_i32 s17, 6
	s_cbranch_scc0 .LBB94_884
; %bb.882:
	s_wait_loadcnt 0x0
	global_load_b64 v[2:3], v[0:1], off
	s_mov_b32 s17, 0
	s_branch .LBB94_885
.LBB94_883:
	s_mov_b32 s17, -1
                                        ; implicit-def: $vgpr2_vgpr3
	s_branch .LBB94_888
.LBB94_884:
	s_mov_b32 s17, -1
                                        ; implicit-def: $vgpr2_vgpr3
.LBB94_885:
	s_delay_alu instid0(SALU_CYCLE_1)
	s_and_not1_b32 vcc_lo, exec_lo, s17
	s_cbranch_vccnz .LBB94_887
; %bb.886:
	s_wait_loadcnt 0x0
	global_load_b32 v2, v[0:1], off
	s_wait_loadcnt 0x0
	v_cvt_f64_f32_e32 v[2:3], v2
.LBB94_887:
	s_mov_b32 s17, 0
.LBB94_888:
	s_delay_alu instid0(SALU_CYCLE_1)
	s_and_not1_b32 vcc_lo, exec_lo, s17
	s_cbranch_vccnz .LBB94_890
; %bb.889:
	s_wait_loadcnt 0x0
	global_load_u16 v2, v[0:1], off
	s_wait_loadcnt 0x0
	v_cvt_f32_f16_e32 v2, v2
	s_delay_alu instid0(VALU_DEP_1)
	v_cvt_f64_f32_e32 v[2:3], v2
.LBB94_890:
	s_cbranch_execnz .LBB94_909
.LBB94_891:
	s_sext_i32_i16 s17, s11
	s_delay_alu instid0(SALU_CYCLE_1)
	s_cmp_lt_i32 s17, 2
	s_cbranch_scc1 .LBB94_895
; %bb.892:
	s_cmp_lt_i32 s17, 3
	s_cbranch_scc1 .LBB94_896
; %bb.893:
	s_cmp_gt_i32 s17, 3
	s_cbranch_scc0 .LBB94_897
; %bb.894:
	s_wait_loadcnt 0x0
	global_load_b64 v[2:3], v[0:1], off
	s_mov_b32 s17, 0
	s_wait_loadcnt 0x0
	v_cvt_f64_i32_e32 v[4:5], v3
	v_cvt_f64_u32_e32 v[2:3], v2
	s_delay_alu instid0(VALU_DEP_2) | instskip(NEXT) | instid1(VALU_DEP_1)
	v_ldexp_f64 v[4:5], v[4:5], 32
	v_add_f64_e32 v[2:3], v[4:5], v[2:3]
	s_branch .LBB94_898
.LBB94_895:
                                        ; implicit-def: $vgpr2_vgpr3
	s_branch .LBB94_904
.LBB94_896:
	s_mov_b32 s17, -1
                                        ; implicit-def: $vgpr2_vgpr3
	s_branch .LBB94_901
.LBB94_897:
	s_mov_b32 s17, -1
                                        ; implicit-def: $vgpr2_vgpr3
.LBB94_898:
	s_delay_alu instid0(SALU_CYCLE_1)
	s_and_not1_b32 vcc_lo, exec_lo, s17
	s_cbranch_vccnz .LBB94_900
; %bb.899:
	s_wait_loadcnt 0x0
	global_load_b32 v2, v[0:1], off
	s_wait_loadcnt 0x0
	v_cvt_f64_i32_e32 v[2:3], v2
.LBB94_900:
	s_mov_b32 s17, 0
.LBB94_901:
	s_delay_alu instid0(SALU_CYCLE_1)
	s_and_not1_b32 vcc_lo, exec_lo, s17
	s_cbranch_vccnz .LBB94_903
; %bb.902:
	s_wait_loadcnt 0x0
	global_load_i16 v2, v[0:1], off
	s_wait_loadcnt 0x0
	v_cvt_f64_i32_e32 v[2:3], v2
.LBB94_903:
	s_cbranch_execnz .LBB94_909
.LBB94_904:
	s_sext_i32_i16 s17, s11
	s_delay_alu instid0(SALU_CYCLE_1)
	s_cmp_gt_i32 s17, 0
	s_mov_b32 s17, 0
	s_cbranch_scc0 .LBB94_906
; %bb.905:
	s_wait_loadcnt 0x0
	global_load_i8 v2, v[0:1], off
	s_wait_loadcnt 0x0
	v_cvt_f64_i32_e32 v[2:3], v2
	s_branch .LBB94_907
.LBB94_906:
	s_mov_b32 s17, -1
                                        ; implicit-def: $vgpr2_vgpr3
.LBB94_907:
	s_delay_alu instid0(SALU_CYCLE_1)
	s_and_not1_b32 vcc_lo, exec_lo, s17
	s_cbranch_vccnz .LBB94_909
; %bb.908:
	global_load_u8 v0, v[0:1], off
	s_wait_loadcnt 0x0
	v_cvt_f64_u32_e32 v[2:3], v0
.LBB94_909:
	s_or_b32 s21, s21, exec_lo
.LBB94_910:
	s_wait_xcnt 0x0
	s_or_b32 exec_lo, exec_lo, s2
	s_mov_b32 s20, 0
	s_mov_b32 s19, 0
                                        ; implicit-def: $sgpr2
                                        ; implicit-def: $sgpr17
                                        ; implicit-def: $vgpr0_vgpr1
	s_and_saveexec_b32 s18, s21
	s_cbranch_execz .LBB94_918
; %bb.911:
	s_wait_loadcnt 0x0
	s_delay_alu instid0(VALU_DEP_1) | instskip(SKIP_2) | instid1(SALU_CYCLE_1)
	v_cmp_eq_f64_e32 vcc_lo, s[8:9], v[2:3]
	v_mul_lo_u32 v0, v10, s12
	s_and_b32 s17, s10, 0xff
	s_cmp_lt_i32 s17, 11
	v_cndmask_b32_e64 v1, 0, 1, vcc_lo
	v_cmp_neq_f64_e32 vcc_lo, s[8:9], v[2:3]
	v_cndmask_b32_e64 v2, 0, 1, vcc_lo
	s_delay_alu instid0(VALU_DEP_1) | instskip(NEXT) | instid1(VALU_DEP_1)
	v_dual_cndmask_b32 v2, v2, v1, s0 :: v_dual_ashrrev_i32 v1, 31, v0
	v_and_b32_e32 v2, 1, v2
	s_delay_alu instid0(VALU_DEP_2) | instskip(NEXT) | instid1(VALU_DEP_2)
	v_add_nc_u64_e32 v[0:1], s[4:5], v[0:1]
	v_cmp_eq_u32_e64 s2, 1, v2
	s_cbranch_scc1 .LBB94_921
; %bb.912:
	s_and_b32 s19, 0xffff, s17
	s_mov_b32 s20, -1
	s_cmp_gt_i32 s19, 25
	s_mov_b32 s0, s16
	s_cbranch_scc0 .LBB94_949
; %bb.913:
	s_cmp_gt_i32 s19, 28
	s_mov_b32 s0, s16
	s_cbranch_scc0 .LBB94_933
; %bb.914:
	;; [unrolled: 4-line block ×4, first 2 shown]
	s_cmp_eq_u32 s19, 46
	s_mov_b32 s0, -1
	s_cbranch_scc0 .LBB94_922
; %bb.917:
	v_cndmask_b32_e64 v2, 0, 1.0, s2
	s_mov_b32 s0, 0
	s_mov_b32 s20, 0
	s_delay_alu instid0(VALU_DEP_1) | instskip(NEXT) | instid1(VALU_DEP_1)
	v_bfe_u32 v3, v2, 16, 1
	v_add3_u32 v2, v2, v3, 0x7fff
	s_delay_alu instid0(VALU_DEP_1)
	v_lshrrev_b32_e32 v2, 16, v2
	global_store_b32 v[0:1], v2, off
	s_branch .LBB94_923
.LBB94_918:
	s_or_b32 exec_lo, exec_lo, s18
	s_and_saveexec_b32 s0, s16
	s_cbranch_execnz .LBB94_991
.LBB94_919:
	s_or_b32 exec_lo, exec_lo, s0
	s_and_saveexec_b32 s0, s20
	s_delay_alu instid0(SALU_CYCLE_1)
	s_xor_b32 s0, exec_lo, s0
	s_cbranch_execz .LBB94_992
.LBB94_920:
	s_wait_loadcnt 0x0
	v_cndmask_b32_e64 v2, 0, 1, s2
	global_store_b8 v[0:1], v2, off
	s_wait_xcnt 0x0
	s_or_b32 exec_lo, exec_lo, s0
	s_and_saveexec_b32 s0, s19
	s_delay_alu instid0(SALU_CYCLE_1)
	s_xor_b32 s0, exec_lo, s0
	s_cbranch_execz .LBB94_1030
	s_branch .LBB94_993
.LBB94_921:
	s_mov_b32 s21, 0
	s_mov_b32 s20, -1
	s_mov_b32 s0, s16
	s_branch .LBB94_990
.LBB94_922:
	s_mov_b32 s20, 0
.LBB94_923:
	s_delay_alu instid0(SALU_CYCLE_1)
	s_and_b32 vcc_lo, exec_lo, s20
	s_cbranch_vccz .LBB94_928
; %bb.924:
	s_cmp_eq_u32 s19, 44
	s_mov_b32 s0, -1
	s_cbranch_scc0 .LBB94_928
; %bb.925:
	v_cndmask_b32_e64 v4, 0, 1.0, s2
	s_mov_b32 s20, exec_lo
	s_wait_xcnt 0x0
	s_delay_alu instid0(VALU_DEP_1) | instskip(NEXT) | instid1(VALU_DEP_1)
	v_dual_mov_b32 v3, 0xff :: v_dual_lshrrev_b32 v2, 23, v4
	v_cmpx_ne_u32_e32 0xff, v2
; %bb.926:
	v_and_b32_e32 v3, 0x400000, v4
	v_and_or_b32 v4, 0x3fffff, v4, v2
	s_delay_alu instid0(VALU_DEP_2) | instskip(NEXT) | instid1(VALU_DEP_2)
	v_cmp_ne_u32_e32 vcc_lo, 0, v3
	v_cmp_ne_u32_e64 s0, 0, v4
	s_and_b32 s0, vcc_lo, s0
	s_delay_alu instid0(SALU_CYCLE_1) | instskip(NEXT) | instid1(VALU_DEP_1)
	v_cndmask_b32_e64 v3, 0, 1, s0
	v_add_nc_u32_e32 v3, v2, v3
; %bb.927:
	s_or_b32 exec_lo, exec_lo, s20
	s_mov_b32 s0, 0
	global_store_b8 v[0:1], v3, off
.LBB94_928:
	s_mov_b32 s20, 0
.LBB94_929:
	s_delay_alu instid0(SALU_CYCLE_1)
	s_and_b32 vcc_lo, exec_lo, s20
	s_cbranch_vccz .LBB94_932
; %bb.930:
	s_cmp_eq_u32 s19, 29
	s_mov_b32 s0, -1
	s_cbranch_scc0 .LBB94_932
; %bb.931:
	s_mov_b32 s0, 0
	s_wait_xcnt 0x0
	v_cndmask_b32_e64 v2, 0, 1, s2
	v_mov_b32_e32 v3, s0
	s_mov_b32 s20, 0
	global_store_b64 v[0:1], v[2:3], off
	s_branch .LBB94_933
.LBB94_932:
	s_mov_b32 s20, 0
.LBB94_933:
	s_delay_alu instid0(SALU_CYCLE_1)
	s_and_b32 vcc_lo, exec_lo, s20
	s_cbranch_vccz .LBB94_948
; %bb.934:
	s_cmp_lt_i32 s19, 27
	s_mov_b32 s20, -1
	s_cbranch_scc1 .LBB94_940
; %bb.935:
	s_wait_xcnt 0x0
	v_cndmask_b32_e64 v2, 0, 1, s2
	s_cmp_gt_i32 s19, 27
	s_cbranch_scc0 .LBB94_937
; %bb.936:
	s_mov_b32 s20, 0
	global_store_b32 v[0:1], v2, off
.LBB94_937:
	s_and_not1_b32 vcc_lo, exec_lo, s20
	s_cbranch_vccnz .LBB94_939
; %bb.938:
	global_store_b16 v[0:1], v2, off
.LBB94_939:
	s_mov_b32 s20, 0
.LBB94_940:
	s_delay_alu instid0(SALU_CYCLE_1)
	s_and_not1_b32 vcc_lo, exec_lo, s20
	s_cbranch_vccnz .LBB94_948
; %bb.941:
	s_wait_xcnt 0x0
	v_cndmask_b32_e64 v3, 0, 1.0, s2
	v_mov_b32_e32 v4, 0x80
	s_mov_b32 s20, exec_lo
	s_delay_alu instid0(VALU_DEP_2)
	v_cmpx_gt_u32_e32 0x43800000, v3
	s_cbranch_execz .LBB94_947
; %bb.942:
	s_mov_b32 s21, 0
	s_mov_b32 s22, exec_lo
                                        ; implicit-def: $vgpr2
	v_cmpx_lt_u32_e32 0x3bffffff, v3
	s_xor_b32 s22, exec_lo, s22
	s_cbranch_execz .LBB94_1045
; %bb.943:
	v_bfe_u32 v2, v3, 20, 1
	s_mov_b32 s21, exec_lo
	s_delay_alu instid0(VALU_DEP_1) | instskip(NEXT) | instid1(VALU_DEP_1)
	v_add3_u32 v2, v3, v2, 0x487ffff
                                        ; implicit-def: $vgpr3
	v_lshrrev_b32_e32 v2, 20, v2
	s_and_not1_saveexec_b32 s22, s22
	s_cbranch_execnz .LBB94_1046
.LBB94_944:
	s_or_b32 exec_lo, exec_lo, s22
	v_mov_b32_e32 v4, 0
	s_and_saveexec_b32 s22, s21
.LBB94_945:
	v_mov_b32_e32 v4, v2
.LBB94_946:
	s_or_b32 exec_lo, exec_lo, s22
.LBB94_947:
	s_delay_alu instid0(SALU_CYCLE_1)
	s_or_b32 exec_lo, exec_lo, s20
	global_store_b8 v[0:1], v4, off
.LBB94_948:
	s_mov_b32 s20, 0
.LBB94_949:
	s_delay_alu instid0(SALU_CYCLE_1)
	s_and_b32 vcc_lo, exec_lo, s20
	s_mov_b32 s20, 0
	s_cbranch_vccz .LBB94_989
; %bb.950:
	s_cmp_gt_i32 s19, 22
	s_mov_b32 s21, -1
	s_cbranch_scc0 .LBB94_982
; %bb.951:
	s_cmp_lt_i32 s19, 24
	s_cbranch_scc1 .LBB94_971
; %bb.952:
	s_cmp_gt_i32 s19, 24
	s_cbranch_scc0 .LBB94_960
; %bb.953:
	s_wait_xcnt 0x0
	v_cndmask_b32_e64 v3, 0, 1.0, s2
	v_mov_b32_e32 v4, 0x80
	s_mov_b32 s21, exec_lo
	s_delay_alu instid0(VALU_DEP_2)
	v_cmpx_gt_u32_e32 0x47800000, v3
	s_cbranch_execz .LBB94_959
; %bb.954:
	s_mov_b32 s22, 0
	s_mov_b32 s23, exec_lo
                                        ; implicit-def: $vgpr2
	v_cmpx_lt_u32_e32 0x37ffffff, v3
	s_xor_b32 s23, exec_lo, s23
	s_cbranch_execz .LBB94_1171
; %bb.955:
	v_bfe_u32 v2, v3, 21, 1
	s_mov_b32 s22, exec_lo
	s_delay_alu instid0(VALU_DEP_1) | instskip(NEXT) | instid1(VALU_DEP_1)
	v_add3_u32 v2, v3, v2, 0x88fffff
                                        ; implicit-def: $vgpr3
	v_lshrrev_b32_e32 v2, 21, v2
	s_and_not1_saveexec_b32 s23, s23
	s_cbranch_execnz .LBB94_1172
.LBB94_956:
	s_or_b32 exec_lo, exec_lo, s23
	v_mov_b32_e32 v4, 0
	s_and_saveexec_b32 s23, s22
.LBB94_957:
	v_mov_b32_e32 v4, v2
.LBB94_958:
	s_or_b32 exec_lo, exec_lo, s23
.LBB94_959:
	s_delay_alu instid0(SALU_CYCLE_1)
	s_or_b32 exec_lo, exec_lo, s21
	s_mov_b32 s21, 0
	global_store_b8 v[0:1], v4, off
.LBB94_960:
	s_and_b32 vcc_lo, exec_lo, s21
	s_cbranch_vccz .LBB94_970
; %bb.961:
	s_wait_xcnt 0x0
	v_cndmask_b32_e64 v3, 0, 1.0, s2
	s_mov_b32 s21, exec_lo
                                        ; implicit-def: $vgpr2
	s_delay_alu instid0(VALU_DEP_1)
	v_cmpx_gt_u32_e32 0x43f00000, v3
	s_xor_b32 s21, exec_lo, s21
	s_cbranch_execz .LBB94_967
; %bb.962:
	s_mov_b32 s22, exec_lo
                                        ; implicit-def: $vgpr2
	v_cmpx_lt_u32_e32 0x3c7fffff, v3
	s_xor_b32 s22, exec_lo, s22
; %bb.963:
	v_bfe_u32 v2, v3, 20, 1
	s_delay_alu instid0(VALU_DEP_1) | instskip(NEXT) | instid1(VALU_DEP_1)
	v_add3_u32 v2, v3, v2, 0x407ffff
	v_and_b32_e32 v3, 0xff00000, v2
	v_lshrrev_b32_e32 v2, 20, v2
	s_delay_alu instid0(VALU_DEP_2) | instskip(NEXT) | instid1(VALU_DEP_2)
	v_cmp_ne_u32_e32 vcc_lo, 0x7f00000, v3
                                        ; implicit-def: $vgpr3
	v_cndmask_b32_e32 v2, 0x7e, v2, vcc_lo
; %bb.964:
	s_and_not1_saveexec_b32 s22, s22
; %bb.965:
	v_add_f32_e32 v2, 0x46800000, v3
; %bb.966:
	s_or_b32 exec_lo, exec_lo, s22
                                        ; implicit-def: $vgpr3
.LBB94_967:
	s_and_not1_saveexec_b32 s21, s21
; %bb.968:
	v_mov_b32_e32 v2, 0x7f
	v_cmp_lt_u32_e32 vcc_lo, 0x7f800000, v3
	s_delay_alu instid0(VALU_DEP_2)
	v_cndmask_b32_e32 v2, 0x7e, v2, vcc_lo
; %bb.969:
	s_or_b32 exec_lo, exec_lo, s21
	global_store_b8 v[0:1], v2, off
.LBB94_970:
	s_mov_b32 s21, 0
.LBB94_971:
	s_delay_alu instid0(SALU_CYCLE_1)
	s_and_not1_b32 vcc_lo, exec_lo, s21
	s_cbranch_vccnz .LBB94_981
; %bb.972:
	s_wait_xcnt 0x0
	v_cndmask_b32_e64 v3, 0, 1.0, s2
	s_mov_b32 s21, exec_lo
                                        ; implicit-def: $vgpr2
	s_delay_alu instid0(VALU_DEP_1)
	v_cmpx_gt_u32_e32 0x47800000, v3
	s_xor_b32 s21, exec_lo, s21
	s_cbranch_execz .LBB94_978
; %bb.973:
	s_mov_b32 s22, exec_lo
                                        ; implicit-def: $vgpr2
	v_cmpx_lt_u32_e32 0x387fffff, v3
	s_xor_b32 s22, exec_lo, s22
; %bb.974:
	v_bfe_u32 v2, v3, 21, 1
	s_delay_alu instid0(VALU_DEP_1) | instskip(NEXT) | instid1(VALU_DEP_1)
	v_add3_u32 v2, v3, v2, 0x80fffff
                                        ; implicit-def: $vgpr3
	v_lshrrev_b32_e32 v2, 21, v2
; %bb.975:
	s_and_not1_saveexec_b32 s22, s22
; %bb.976:
	v_add_f32_e32 v2, 0x43000000, v3
; %bb.977:
	s_or_b32 exec_lo, exec_lo, s22
                                        ; implicit-def: $vgpr3
.LBB94_978:
	s_and_not1_saveexec_b32 s21, s21
; %bb.979:
	v_mov_b32_e32 v2, 0x7f
	v_cmp_lt_u32_e32 vcc_lo, 0x7f800000, v3
	s_delay_alu instid0(VALU_DEP_2)
	v_cndmask_b32_e32 v2, 0x7c, v2, vcc_lo
; %bb.980:
	s_or_b32 exec_lo, exec_lo, s21
	global_store_b8 v[0:1], v2, off
.LBB94_981:
	s_mov_b32 s21, 0
.LBB94_982:
	s_delay_alu instid0(SALU_CYCLE_1)
	s_and_not1_b32 vcc_lo, exec_lo, s21
	s_mov_b32 s21, 0
	s_cbranch_vccnz .LBB94_990
; %bb.983:
	s_cmp_gt_i32 s19, 14
	s_mov_b32 s21, -1
	s_cbranch_scc0 .LBB94_987
; %bb.984:
	s_cmp_eq_u32 s19, 15
	s_mov_b32 s0, -1
	s_cbranch_scc0 .LBB94_986
; %bb.985:
	s_wait_xcnt 0x0
	v_cndmask_b32_e64 v2, 0, 1.0, s2
	s_mov_b32 s0, 0
	s_delay_alu instid0(VALU_DEP_1) | instskip(NEXT) | instid1(VALU_DEP_1)
	v_bfe_u32 v3, v2, 16, 1
	v_add3_u32 v2, v2, v3, 0x7fff
	global_store_d16_hi_b16 v[0:1], v2, off
.LBB94_986:
	s_mov_b32 s21, 0
.LBB94_987:
	s_delay_alu instid0(SALU_CYCLE_1)
	s_and_b32 vcc_lo, exec_lo, s21
	s_mov_b32 s21, 0
	s_cbranch_vccz .LBB94_990
; %bb.988:
	s_cmp_lg_u32 s19, 11
	s_mov_b32 s21, -1
	s_cselect_b32 s19, -1, 0
	s_and_not1_b32 s0, s0, exec_lo
	s_and_b32 s19, s19, exec_lo
	s_delay_alu instid0(SALU_CYCLE_1)
	s_or_b32 s0, s0, s19
	s_branch .LBB94_990
.LBB94_989:
	s_mov_b32 s21, 0
.LBB94_990:
	s_and_not1_b32 s16, s16, exec_lo
	s_and_b32 s0, s0, exec_lo
	s_and_b32 s19, s20, exec_lo
	;; [unrolled: 1-line block ×3, first 2 shown]
	s_or_b32 s16, s16, s0
	s_wait_xcnt 0x0
	s_or_b32 exec_lo, exec_lo, s18
	s_and_saveexec_b32 s0, s16
	s_cbranch_execz .LBB94_919
.LBB94_991:
	s_or_b32 s1, s1, exec_lo
	s_and_not1_b32 s20, s20, exec_lo
	s_trap 2
	s_or_b32 exec_lo, exec_lo, s0
	s_and_saveexec_b32 s0, s20
	s_delay_alu instid0(SALU_CYCLE_1)
	s_xor_b32 s0, exec_lo, s0
	s_cbranch_execnz .LBB94_920
.LBB94_992:
	s_or_b32 exec_lo, exec_lo, s0
	s_and_saveexec_b32 s0, s19
	s_delay_alu instid0(SALU_CYCLE_1)
	s_xor_b32 s0, exec_lo, s0
	s_cbranch_execz .LBB94_1030
.LBB94_993:
	s_sext_i32_i16 s18, s17
	s_mov_b32 s16, -1
	s_cmp_lt_i32 s18, 5
	s_cbranch_scc1 .LBB94_1014
; %bb.994:
	s_cmp_lt_i32 s18, 8
	s_cbranch_scc1 .LBB94_1004
; %bb.995:
	;; [unrolled: 3-line block ×3, first 2 shown]
	s_cmp_gt_i32 s18, 9
	s_cbranch_scc0 .LBB94_998
; %bb.997:
	s_wait_loadcnt 0x0
	v_cndmask_b32_e64 v2, 0, 1, s2
	v_mov_b32_e32 v4, 0
	s_mov_b32 s16, 0
	s_delay_alu instid0(VALU_DEP_2) | instskip(NEXT) | instid1(VALU_DEP_2)
	v_cvt_f64_u32_e32 v[2:3], v2
	v_mov_b32_e32 v5, v4
	global_store_b128 v[0:1], v[2:5], off
.LBB94_998:
	s_and_not1_b32 vcc_lo, exec_lo, s16
	s_cbranch_vccnz .LBB94_1000
; %bb.999:
	s_wait_loadcnt 0x0
	v_cndmask_b32_e64 v2, 0, 1.0, s2
	v_mov_b32_e32 v3, 0
	global_store_b64 v[0:1], v[2:3], off
.LBB94_1000:
	s_mov_b32 s16, 0
.LBB94_1001:
	s_delay_alu instid0(SALU_CYCLE_1)
	s_and_not1_b32 vcc_lo, exec_lo, s16
	s_cbranch_vccnz .LBB94_1003
; %bb.1002:
	s_wait_loadcnt 0x0
	v_cndmask_b32_e64 v2, 0, 1.0, s2
	s_delay_alu instid0(VALU_DEP_1) | instskip(NEXT) | instid1(VALU_DEP_1)
	v_cvt_f16_f32_e32 v2, v2
	v_and_b32_e32 v2, 0xffff, v2
	global_store_b32 v[0:1], v2, off
.LBB94_1003:
	s_mov_b32 s16, 0
.LBB94_1004:
	s_delay_alu instid0(SALU_CYCLE_1)
	s_and_not1_b32 vcc_lo, exec_lo, s16
	s_cbranch_vccnz .LBB94_1013
; %bb.1005:
	s_sext_i32_i16 s18, s17
	s_mov_b32 s16, -1
	s_cmp_lt_i32 s18, 6
	s_cbranch_scc1 .LBB94_1011
; %bb.1006:
	s_cmp_gt_i32 s18, 6
	s_cbranch_scc0 .LBB94_1008
; %bb.1007:
	s_wait_loadcnt 0x0
	v_cndmask_b32_e64 v2, 0, 1, s2
	s_mov_b32 s16, 0
	s_delay_alu instid0(VALU_DEP_1)
	v_cvt_f64_u32_e32 v[2:3], v2
	global_store_b64 v[0:1], v[2:3], off
.LBB94_1008:
	s_and_not1_b32 vcc_lo, exec_lo, s16
	s_cbranch_vccnz .LBB94_1010
; %bb.1009:
	s_wait_loadcnt 0x0
	v_cndmask_b32_e64 v2, 0, 1.0, s2
	global_store_b32 v[0:1], v2, off
.LBB94_1010:
	s_mov_b32 s16, 0
.LBB94_1011:
	s_delay_alu instid0(SALU_CYCLE_1)
	s_and_not1_b32 vcc_lo, exec_lo, s16
	s_cbranch_vccnz .LBB94_1013
; %bb.1012:
	s_wait_loadcnt 0x0
	v_cndmask_b32_e64 v2, 0, 1.0, s2
	s_delay_alu instid0(VALU_DEP_1)
	v_cvt_f16_f32_e32 v2, v2
	global_store_b16 v[0:1], v2, off
.LBB94_1013:
	s_mov_b32 s16, 0
.LBB94_1014:
	s_delay_alu instid0(SALU_CYCLE_1)
	s_and_not1_b32 vcc_lo, exec_lo, s16
	s_cbranch_vccnz .LBB94_1030
; %bb.1015:
	s_sext_i32_i16 s18, s17
	s_mov_b32 s16, -1
	s_cmp_lt_i32 s18, 2
	s_cbranch_scc1 .LBB94_1025
; %bb.1016:
	s_cmp_lt_i32 s18, 3
	s_cbranch_scc1 .LBB94_1022
; %bb.1017:
	s_cmp_gt_i32 s18, 3
	s_cbranch_scc0 .LBB94_1019
; %bb.1018:
	s_mov_b32 s16, 0
	s_wait_loadcnt 0x0
	v_cndmask_b32_e64 v2, 0, 1, s2
	v_mov_b32_e32 v3, s16
	global_store_b64 v[0:1], v[2:3], off
.LBB94_1019:
	s_and_not1_b32 vcc_lo, exec_lo, s16
	s_cbranch_vccnz .LBB94_1021
; %bb.1020:
	s_wait_loadcnt 0x0
	v_cndmask_b32_e64 v2, 0, 1, s2
	global_store_b32 v[0:1], v2, off
.LBB94_1021:
	s_mov_b32 s16, 0
.LBB94_1022:
	s_delay_alu instid0(SALU_CYCLE_1)
	s_and_not1_b32 vcc_lo, exec_lo, s16
	s_cbranch_vccnz .LBB94_1024
; %bb.1023:
	s_wait_loadcnt 0x0
	v_cndmask_b32_e64 v2, 0, 1, s2
	global_store_b16 v[0:1], v2, off
.LBB94_1024:
	s_mov_b32 s16, 0
.LBB94_1025:
	s_delay_alu instid0(SALU_CYCLE_1)
	s_and_not1_b32 vcc_lo, exec_lo, s16
	s_cbranch_vccnz .LBB94_1030
; %bb.1026:
	s_wait_loadcnt 0x0
	v_cndmask_b32_e64 v2, 0, 1, s2
	s_sext_i32_i16 s16, s17
	s_mov_b32 s2, -1
	s_cmp_gt_i32 s16, 0
	s_cbranch_scc0 .LBB94_1028
; %bb.1027:
	s_mov_b32 s2, 0
	global_store_b8 v[0:1], v2, off
.LBB94_1028:
	s_and_not1_b32 vcc_lo, exec_lo, s2
	s_cbranch_vccnz .LBB94_1030
; %bb.1029:
	global_store_b8 v[0:1], v2, off
.LBB94_1030:
	s_wait_xcnt 0x0
	s_or_b32 exec_lo, exec_lo, s0
	s_delay_alu instid0(SALU_CYCLE_1)
	s_and_b32 s16, s1, exec_lo
                                        ; implicit-def: $vgpr10
.LBB94_1031:
	s_or_saveexec_b32 s15, s15
	s_mov_b32 s0, 0
                                        ; implicit-def: $sgpr1
                                        ; implicit-def: $sgpr17
                                        ; implicit-def: $vgpr0_vgpr1
	s_xor_b32 exec_lo, exec_lo, s15
	s_cbranch_execz .LBB94_1982
; %bb.1032:
	s_wait_loadcnt 0x0
	v_mul_lo_u32 v2, s13, v10
	s_and_b32 s0, 0xffff, s11
	s_delay_alu instid0(SALU_CYCLE_1) | instskip(NEXT) | instid1(VALU_DEP_1)
	s_cmp_lt_i32 s0, 11
	v_ashrrev_i32_e32 v3, 31, v2
	s_delay_alu instid0(VALU_DEP_1)
	v_add_nc_u64_e32 v[4:5], s[6:7], v[2:3]
	s_cbranch_scc1 .LBB94_1039
; %bb.1033:
	s_cmp_gt_i32 s0, 25
	s_mov_b32 s2, 0
	s_cbranch_scc0 .LBB94_1041
; %bb.1034:
	s_cmp_gt_i32 s0, 28
	s_cbranch_scc0 .LBB94_1042
; %bb.1035:
	s_cmp_gt_i32 s0, 43
	;; [unrolled: 3-line block ×3, first 2 shown]
	s_cbranch_scc0 .LBB94_1044
; %bb.1037:
	s_cmp_eq_u32 s0, 46
	s_cbranch_scc0 .LBB94_1047
; %bb.1038:
	global_load_b32 v0, v[4:5], off
	s_mov_b32 s1, 0
	s_mov_b32 s11, -1
	s_wait_loadcnt 0x0
	v_lshlrev_b32_e32 v0, 16, v0
	s_delay_alu instid0(VALU_DEP_1)
	v_cvt_f64_f32_e32 v[0:1], v0
	s_branch .LBB94_1049
.LBB94_1039:
	s_mov_b32 s11, 0
	s_mov_b32 s3, s16
                                        ; implicit-def: $vgpr0_vgpr1
	s_cbranch_execnz .LBB94_1112
.LBB94_1040:
	s_and_not1_b32 vcc_lo, exec_lo, s11
	s_cbranch_vccz .LBB94_1157
	s_branch .LBB94_1980
.LBB94_1041:
	s_mov_b32 s11, 0
	s_mov_b32 s1, 0
                                        ; implicit-def: $vgpr0_vgpr1
	s_cbranch_execnz .LBB94_1077
	s_branch .LBB94_1108
.LBB94_1042:
	s_mov_b32 s3, -1
	s_mov_b32 s11, 0
	s_mov_b32 s1, 0
                                        ; implicit-def: $vgpr0_vgpr1
	s_branch .LBB94_1058
.LBB94_1043:
	s_mov_b32 s11, 0
	s_mov_b32 s1, 0
                                        ; implicit-def: $vgpr0_vgpr1
	s_cbranch_execnz .LBB94_1054
	s_branch .LBB94_1057
.LBB94_1044:
	s_mov_b32 s3, -1
	s_mov_b32 s11, 0
	s_mov_b32 s1, 0
	s_branch .LBB94_1048
.LBB94_1045:
	s_and_not1_saveexec_b32 s22, s22
	s_cbranch_execz .LBB94_944
.LBB94_1046:
	v_add_f32_e32 v2, 0x46000000, v3
	s_and_not1_b32 s21, s21, exec_lo
	s_delay_alu instid0(VALU_DEP_1) | instskip(NEXT) | instid1(VALU_DEP_1)
	v_and_b32_e32 v2, 0xff, v2
	v_cmp_ne_u32_e32 vcc_lo, 0, v2
	s_and_b32 s23, vcc_lo, exec_lo
	s_delay_alu instid0(SALU_CYCLE_1)
	s_or_b32 s21, s21, s23
	s_or_b32 exec_lo, exec_lo, s22
	v_mov_b32_e32 v4, 0
	s_and_saveexec_b32 s22, s21
	s_cbranch_execnz .LBB94_945
	s_branch .LBB94_946
.LBB94_1047:
	s_mov_b32 s1, -1
	s_mov_b32 s11, 0
.LBB94_1048:
                                        ; implicit-def: $vgpr0_vgpr1
.LBB94_1049:
	s_and_b32 vcc_lo, exec_lo, s3
	s_cbranch_vccz .LBB94_1052
; %bb.1050:
	s_cmp_eq_u32 s0, 44
	s_cbranch_scc0 .LBB94_1053
; %bb.1051:
	global_load_u8 v3, v[4:5], off
	s_mov_b32 s1, 0
	s_mov_b32 s11, -1
	s_wait_loadcnt 0x0
	v_cmp_ne_u32_e32 vcc_lo, 0xff, v3
	v_lshlrev_b32_e32 v0, 23, v3
	s_delay_alu instid0(VALU_DEP_1) | instskip(NEXT) | instid1(VALU_DEP_1)
	v_cvt_f64_f32_e32 v[0:1], v0
	v_cndmask_b32_e32 v0, 0x20000000, v0, vcc_lo
	s_delay_alu instid0(VALU_DEP_2) | instskip(SKIP_1) | instid1(VALU_DEP_2)
	v_cndmask_b32_e32 v1, 0x7ff80000, v1, vcc_lo
	v_cmp_ne_u32_e32 vcc_lo, 0, v3
	v_cndmask_b32_e32 v1, 0x38000000, v1, vcc_lo
	s_delay_alu instid0(VALU_DEP_4)
	v_cndmask_b32_e32 v0, 0, v0, vcc_lo
.LBB94_1052:
	s_branch .LBB94_1057
.LBB94_1053:
	s_mov_b32 s1, -1
                                        ; implicit-def: $vgpr0_vgpr1
	s_branch .LBB94_1057
.LBB94_1054:
	s_cmp_eq_u32 s0, 29
	s_cbranch_scc0 .LBB94_1056
; %bb.1055:
	global_load_b64 v[0:1], v[4:5], off
	s_mov_b32 s1, 0
	s_mov_b32 s11, -1
	s_mov_b32 s3, 0
	s_wait_loadcnt 0x0
	v_cvt_f64_u32_e32 v[6:7], v1
	v_cvt_f64_u32_e32 v[0:1], v0
	s_delay_alu instid0(VALU_DEP_2) | instskip(NEXT) | instid1(VALU_DEP_1)
	v_ldexp_f64 v[6:7], v[6:7], 32
	v_add_f64_e32 v[0:1], v[6:7], v[0:1]
	s_branch .LBB94_1058
.LBB94_1056:
	s_mov_b32 s1, -1
                                        ; implicit-def: $vgpr0_vgpr1
.LBB94_1057:
	s_mov_b32 s3, 0
.LBB94_1058:
	s_delay_alu instid0(SALU_CYCLE_1)
	s_and_b32 vcc_lo, exec_lo, s3
	s_cbranch_vccz .LBB94_1076
; %bb.1059:
	s_cmp_lt_i32 s0, 27
	s_cbranch_scc1 .LBB94_1062
; %bb.1060:
	s_cmp_gt_i32 s0, 27
	s_cbranch_scc0 .LBB94_1063
; %bb.1061:
	global_load_b32 v0, v[4:5], off
	s_mov_b32 s3, 0
	s_wait_loadcnt 0x0
	v_cvt_f64_u32_e32 v[0:1], v0
	s_branch .LBB94_1064
.LBB94_1062:
	s_mov_b32 s3, -1
                                        ; implicit-def: $vgpr0_vgpr1
	s_branch .LBB94_1067
.LBB94_1063:
	s_mov_b32 s3, -1
                                        ; implicit-def: $vgpr0_vgpr1
.LBB94_1064:
	s_delay_alu instid0(SALU_CYCLE_1)
	s_and_not1_b32 vcc_lo, exec_lo, s3
	s_cbranch_vccnz .LBB94_1066
; %bb.1065:
	global_load_u16 v0, v[4:5], off
	s_wait_loadcnt 0x0
	v_cvt_f64_u32_e32 v[0:1], v0
.LBB94_1066:
	s_mov_b32 s3, 0
.LBB94_1067:
	s_delay_alu instid0(SALU_CYCLE_1)
	s_and_not1_b32 vcc_lo, exec_lo, s3
	s_cbranch_vccnz .LBB94_1075
; %bb.1068:
	global_load_u8 v3, v[4:5], off
	s_mov_b32 s3, 0
	s_mov_b32 s11, exec_lo
	s_wait_loadcnt 0x0
	v_cmpx_lt_i16_e32 0x7f, v3
	s_xor_b32 s11, exec_lo, s11
	s_cbranch_execz .LBB94_1088
; %bb.1069:
	s_mov_b32 s3, -1
	s_mov_b32 s17, exec_lo
	v_cmpx_eq_u16_e32 0x80, v3
; %bb.1070:
	s_xor_b32 s3, exec_lo, -1
; %bb.1071:
	s_or_b32 exec_lo, exec_lo, s17
	s_delay_alu instid0(SALU_CYCLE_1)
	s_and_b32 s3, s3, exec_lo
	s_or_saveexec_b32 s11, s11
	v_mov_b64_e32 v[0:1], 0x7ff8000020000000
	s_xor_b32 exec_lo, exec_lo, s11
	s_cbranch_execnz .LBB94_1089
.LBB94_1072:
	s_or_b32 exec_lo, exec_lo, s11
	s_and_saveexec_b32 s11, s3
	s_cbranch_execz .LBB94_1074
.LBB94_1073:
	v_and_b32_e32 v0, 0xffff, v3
	s_delay_alu instid0(VALU_DEP_1) | instskip(SKIP_1) | instid1(VALU_DEP_2)
	v_and_b32_e32 v1, 7, v0
	v_bfe_u32 v8, v0, 3, 4
	v_clz_i32_u32_e32 v6, v1
	s_delay_alu instid0(VALU_DEP_2) | instskip(NEXT) | instid1(VALU_DEP_2)
	v_cmp_eq_u32_e32 vcc_lo, 0, v8
	v_min_u32_e32 v6, 32, v6
	s_delay_alu instid0(VALU_DEP_1) | instskip(NEXT) | instid1(VALU_DEP_1)
	v_subrev_nc_u32_e32 v7, 28, v6
	v_dual_lshlrev_b32 v0, v7, v0 :: v_dual_sub_nc_u32 v6, 29, v6
	s_delay_alu instid0(VALU_DEP_1) | instskip(NEXT) | instid1(VALU_DEP_1)
	v_dual_lshlrev_b32 v3, 24, v3 :: v_dual_bitop2_b32 v0, 7, v0 bitop3:0x40
	v_dual_cndmask_b32 v6, v8, v6, vcc_lo :: v_dual_cndmask_b32 v0, v1, v0, vcc_lo
	s_delay_alu instid0(VALU_DEP_2) | instskip(NEXT) | instid1(VALU_DEP_2)
	v_and_b32_e32 v1, 0x80000000, v3
	v_lshl_add_u32 v3, v6, 23, 0x3b800000
	s_delay_alu instid0(VALU_DEP_3) | instskip(NEXT) | instid1(VALU_DEP_1)
	v_lshlrev_b32_e32 v0, 20, v0
	v_or3_b32 v0, v1, v3, v0
	s_delay_alu instid0(VALU_DEP_1)
	v_cvt_f64_f32_e32 v[0:1], v0
.LBB94_1074:
	s_or_b32 exec_lo, exec_lo, s11
.LBB94_1075:
	s_mov_b32 s11, -1
.LBB94_1076:
	s_branch .LBB94_1108
.LBB94_1077:
	s_cmp_gt_i32 s0, 22
	s_cbranch_scc0 .LBB94_1087
; %bb.1078:
	s_cmp_lt_i32 s0, 24
	s_cbranch_scc1 .LBB94_1090
; %bb.1079:
	s_cmp_gt_i32 s0, 24
	s_cbranch_scc0 .LBB94_1091
; %bb.1080:
	global_load_u8 v3, v[4:5], off
	s_mov_b32 s3, exec_lo
	s_wait_loadcnt 0x0
	v_cmpx_lt_i16_e32 0x7f, v3
	s_xor_b32 s3, exec_lo, s3
	s_cbranch_execz .LBB94_1102
; %bb.1081:
	s_mov_b32 s2, -1
	s_mov_b32 s11, exec_lo
	v_cmpx_eq_u16_e32 0x80, v3
; %bb.1082:
	s_xor_b32 s2, exec_lo, -1
; %bb.1083:
	s_or_b32 exec_lo, exec_lo, s11
	s_delay_alu instid0(SALU_CYCLE_1)
	s_and_b32 s2, s2, exec_lo
	s_or_saveexec_b32 s3, s3
	v_mov_b64_e32 v[0:1], 0x7ff8000020000000
	s_xor_b32 exec_lo, exec_lo, s3
	s_cbranch_execnz .LBB94_1103
.LBB94_1084:
	s_or_b32 exec_lo, exec_lo, s3
	s_and_saveexec_b32 s3, s2
	s_cbranch_execz .LBB94_1086
.LBB94_1085:
	v_and_b32_e32 v0, 0xffff, v3
	s_delay_alu instid0(VALU_DEP_1) | instskip(SKIP_1) | instid1(VALU_DEP_2)
	v_and_b32_e32 v1, 3, v0
	v_bfe_u32 v8, v0, 2, 5
	v_clz_i32_u32_e32 v6, v1
	s_delay_alu instid0(VALU_DEP_2) | instskip(NEXT) | instid1(VALU_DEP_2)
	v_cmp_eq_u32_e32 vcc_lo, 0, v8
	v_min_u32_e32 v6, 32, v6
	s_delay_alu instid0(VALU_DEP_1) | instskip(NEXT) | instid1(VALU_DEP_1)
	v_subrev_nc_u32_e32 v7, 29, v6
	v_dual_lshlrev_b32 v0, v7, v0 :: v_dual_sub_nc_u32 v6, 30, v6
	s_delay_alu instid0(VALU_DEP_1) | instskip(NEXT) | instid1(VALU_DEP_1)
	v_dual_lshlrev_b32 v3, 24, v3 :: v_dual_bitop2_b32 v0, 3, v0 bitop3:0x40
	v_dual_cndmask_b32 v6, v8, v6, vcc_lo :: v_dual_cndmask_b32 v0, v1, v0, vcc_lo
	s_delay_alu instid0(VALU_DEP_2) | instskip(NEXT) | instid1(VALU_DEP_2)
	v_and_b32_e32 v1, 0x80000000, v3
	v_lshl_add_u32 v3, v6, 23, 0x37800000
	s_delay_alu instid0(VALU_DEP_3) | instskip(NEXT) | instid1(VALU_DEP_1)
	v_lshlrev_b32_e32 v0, 21, v0
	v_or3_b32 v0, v1, v3, v0
	s_delay_alu instid0(VALU_DEP_1)
	v_cvt_f64_f32_e32 v[0:1], v0
.LBB94_1086:
	s_or_b32 exec_lo, exec_lo, s3
	s_mov_b32 s2, 0
	s_branch .LBB94_1092
.LBB94_1087:
                                        ; implicit-def: $vgpr0_vgpr1
	s_mov_b32 s2, 0
	s_branch .LBB94_1098
.LBB94_1088:
	s_or_saveexec_b32 s11, s11
	v_mov_b64_e32 v[0:1], 0x7ff8000020000000
	s_xor_b32 exec_lo, exec_lo, s11
	s_cbranch_execz .LBB94_1072
.LBB94_1089:
	v_cmp_ne_u16_e32 vcc_lo, 0, v3
	v_mov_b64_e32 v[0:1], 0
	s_and_not1_b32 s3, s3, exec_lo
	s_and_b32 s17, vcc_lo, exec_lo
	s_delay_alu instid0(SALU_CYCLE_1)
	s_or_b32 s3, s3, s17
	s_or_b32 exec_lo, exec_lo, s11
	s_and_saveexec_b32 s11, s3
	s_cbranch_execnz .LBB94_1073
	s_branch .LBB94_1074
.LBB94_1090:
	s_mov_b32 s2, -1
                                        ; implicit-def: $vgpr0_vgpr1
	s_branch .LBB94_1095
.LBB94_1091:
	s_mov_b32 s2, -1
                                        ; implicit-def: $vgpr0_vgpr1
.LBB94_1092:
	s_delay_alu instid0(SALU_CYCLE_1)
	s_and_b32 vcc_lo, exec_lo, s2
	s_cbranch_vccz .LBB94_1094
; %bb.1093:
	global_load_u8 v0, v[4:5], off
	s_wait_loadcnt 0x0
	v_lshlrev_b32_e32 v0, 24, v0
	s_delay_alu instid0(VALU_DEP_1) | instskip(NEXT) | instid1(VALU_DEP_1)
	v_and_b32_e32 v1, 0x7f000000, v0
	v_clz_i32_u32_e32 v3, v1
	v_add_nc_u32_e32 v7, 0x1000000, v1
	v_cmp_ne_u32_e32 vcc_lo, 0, v1
	s_delay_alu instid0(VALU_DEP_3) | instskip(NEXT) | instid1(VALU_DEP_1)
	v_min_u32_e32 v3, 32, v3
	v_sub_nc_u32_e64 v3, v3, 4 clamp
	s_delay_alu instid0(VALU_DEP_1) | instskip(NEXT) | instid1(VALU_DEP_1)
	v_dual_lshlrev_b32 v6, v3, v1 :: v_dual_lshlrev_b32 v3, 23, v3
	v_lshrrev_b32_e32 v6, 4, v6
	s_delay_alu instid0(VALU_DEP_1) | instskip(SKIP_1) | instid1(VALU_DEP_2)
	v_sub_nc_u32_e32 v3, v6, v3
	v_ashrrev_i32_e32 v6, 8, v7
	v_add_nc_u32_e32 v3, 0x3c000000, v3
	s_delay_alu instid0(VALU_DEP_1) | instskip(NEXT) | instid1(VALU_DEP_1)
	v_and_or_b32 v3, 0x7f800000, v6, v3
	v_cndmask_b32_e32 v1, 0, v3, vcc_lo
	s_delay_alu instid0(VALU_DEP_1) | instskip(NEXT) | instid1(VALU_DEP_1)
	v_and_or_b32 v0, 0x80000000, v0, v1
	v_cvt_f64_f32_e32 v[0:1], v0
.LBB94_1094:
	s_mov_b32 s2, 0
.LBB94_1095:
	s_delay_alu instid0(SALU_CYCLE_1)
	s_and_not1_b32 vcc_lo, exec_lo, s2
	s_cbranch_vccnz .LBB94_1097
; %bb.1096:
	global_load_u8 v0, v[4:5], off
	s_wait_loadcnt 0x0
	v_lshlrev_b32_e32 v1, 25, v0
	v_lshlrev_b16 v0, 8, v0
	s_delay_alu instid0(VALU_DEP_1) | instskip(SKIP_1) | instid1(VALU_DEP_2)
	v_and_or_b32 v6, 0x7f00, v0, 0.5
	v_bfe_i32 v0, v0, 0, 16
	v_dual_add_f32 v6, -0.5, v6 :: v_dual_lshrrev_b32 v3, 4, v1
	v_cmp_gt_u32_e32 vcc_lo, 0x8000000, v1
	s_delay_alu instid0(VALU_DEP_2) | instskip(NEXT) | instid1(VALU_DEP_1)
	v_or_b32_e32 v3, 0x70000000, v3
	v_mul_f32_e32 v3, 0x7800000, v3
	s_delay_alu instid0(VALU_DEP_1) | instskip(NEXT) | instid1(VALU_DEP_1)
	v_cndmask_b32_e32 v1, v3, v6, vcc_lo
	v_and_or_b32 v0, 0x80000000, v0, v1
	s_delay_alu instid0(VALU_DEP_1)
	v_cvt_f64_f32_e32 v[0:1], v0
.LBB94_1097:
	s_mov_b32 s11, -1
	s_mov_b32 s2, 0
	s_cbranch_execnz .LBB94_1108
.LBB94_1098:
	s_cmp_gt_i32 s0, 14
	s_cbranch_scc0 .LBB94_1101
; %bb.1099:
	s_cmp_eq_u32 s0, 15
	s_cbranch_scc0 .LBB94_1104
; %bb.1100:
	global_load_u16 v0, v[4:5], off
	s_mov_b32 s1, 0
	s_mov_b32 s11, -1
	s_wait_loadcnt 0x0
	v_lshlrev_b32_e32 v0, 16, v0
	s_delay_alu instid0(VALU_DEP_1)
	v_cvt_f64_f32_e32 v[0:1], v0
	s_branch .LBB94_1106
.LBB94_1101:
	s_mov_b32 s2, -1
	s_branch .LBB94_1105
.LBB94_1102:
	s_or_saveexec_b32 s3, s3
	v_mov_b64_e32 v[0:1], 0x7ff8000020000000
	s_xor_b32 exec_lo, exec_lo, s3
	s_cbranch_execz .LBB94_1084
.LBB94_1103:
	v_cmp_ne_u16_e32 vcc_lo, 0, v3
	v_mov_b64_e32 v[0:1], 0
	s_and_not1_b32 s2, s2, exec_lo
	s_and_b32 s11, vcc_lo, exec_lo
	s_delay_alu instid0(SALU_CYCLE_1)
	s_or_b32 s2, s2, s11
	s_or_b32 exec_lo, exec_lo, s3
	s_and_saveexec_b32 s3, s2
	s_cbranch_execnz .LBB94_1085
	s_branch .LBB94_1086
.LBB94_1104:
	s_mov_b32 s1, -1
.LBB94_1105:
                                        ; implicit-def: $vgpr0_vgpr1
.LBB94_1106:
	s_and_b32 vcc_lo, exec_lo, s2
	s_mov_b32 s2, 0
	s_cbranch_vccz .LBB94_1108
; %bb.1107:
	s_cmp_lg_u32 s0, 11
	s_mov_b32 s2, -1
	s_cselect_b32 s1, -1, 0
.LBB94_1108:
	s_delay_alu instid0(SALU_CYCLE_1)
	s_and_b32 vcc_lo, exec_lo, s1
	s_mov_b32 s3, s16
	s_cbranch_vccnz .LBB94_1169
; %bb.1109:
	s_and_not1_b32 vcc_lo, exec_lo, s2
	s_cbranch_vccnz .LBB94_1111
.LBB94_1110:
	global_load_u8 v0, v[4:5], off
	s_mov_b32 s11, -1
	s_wait_loadcnt 0x0
	v_cmp_ne_u16_e32 vcc_lo, 0, v0
	v_mov_b32_e32 v0, 0
	v_cndmask_b32_e64 v1, 0, 0x3ff00000, vcc_lo
.LBB94_1111:
	s_branch .LBB94_1040
.LBB94_1112:
	s_cmp_lt_i32 s0, 5
	s_cbranch_scc1 .LBB94_1117
; %bb.1113:
	s_cmp_lt_i32 s0, 8
	s_cbranch_scc1 .LBB94_1118
; %bb.1114:
	;; [unrolled: 3-line block ×3, first 2 shown]
	s_cmp_gt_i32 s0, 9
	s_cbranch_scc0 .LBB94_1120
; %bb.1116:
	global_load_b64 v[0:1], v[4:5], off
	s_mov_b32 s1, 0
	s_branch .LBB94_1121
.LBB94_1117:
                                        ; implicit-def: $vgpr0_vgpr1
	s_branch .LBB94_1138
.LBB94_1118:
                                        ; implicit-def: $vgpr0_vgpr1
	s_branch .LBB94_1127
.LBB94_1119:
	s_mov_b32 s1, -1
                                        ; implicit-def: $vgpr0_vgpr1
	s_branch .LBB94_1124
.LBB94_1120:
	s_mov_b32 s1, -1
                                        ; implicit-def: $vgpr0_vgpr1
.LBB94_1121:
	s_delay_alu instid0(SALU_CYCLE_1)
	s_and_not1_b32 vcc_lo, exec_lo, s1
	s_cbranch_vccnz .LBB94_1123
; %bb.1122:
	s_wait_loadcnt 0x0
	global_load_b32 v0, v[4:5], off
	s_wait_loadcnt 0x0
	v_cvt_f64_f32_e32 v[0:1], v0
.LBB94_1123:
	s_mov_b32 s1, 0
.LBB94_1124:
	s_delay_alu instid0(SALU_CYCLE_1)
	s_and_not1_b32 vcc_lo, exec_lo, s1
	s_cbranch_vccnz .LBB94_1126
; %bb.1125:
	s_wait_loadcnt 0x0
	global_load_b32 v0, v[4:5], off
	s_wait_loadcnt 0x0
	v_cvt_f32_f16_e32 v0, v0
	s_delay_alu instid0(VALU_DEP_1)
	v_cvt_f64_f32_e32 v[0:1], v0
.LBB94_1126:
	s_cbranch_execnz .LBB94_1137
.LBB94_1127:
	s_cmp_lt_i32 s0, 6
	s_cbranch_scc1 .LBB94_1130
; %bb.1128:
	s_cmp_gt_i32 s0, 6
	s_cbranch_scc0 .LBB94_1131
; %bb.1129:
	s_wait_loadcnt 0x0
	global_load_b64 v[0:1], v[4:5], off
	s_mov_b32 s1, 0
	s_branch .LBB94_1132
.LBB94_1130:
	s_mov_b32 s1, -1
                                        ; implicit-def: $vgpr0_vgpr1
	s_branch .LBB94_1135
.LBB94_1131:
	s_mov_b32 s1, -1
                                        ; implicit-def: $vgpr0_vgpr1
.LBB94_1132:
	s_delay_alu instid0(SALU_CYCLE_1)
	s_and_not1_b32 vcc_lo, exec_lo, s1
	s_cbranch_vccnz .LBB94_1134
; %bb.1133:
	s_wait_loadcnt 0x0
	global_load_b32 v0, v[4:5], off
	s_wait_loadcnt 0x0
	v_cvt_f64_f32_e32 v[0:1], v0
.LBB94_1134:
	s_mov_b32 s1, 0
.LBB94_1135:
	s_delay_alu instid0(SALU_CYCLE_1)
	s_and_not1_b32 vcc_lo, exec_lo, s1
	s_cbranch_vccnz .LBB94_1137
; %bb.1136:
	s_wait_loadcnt 0x0
	global_load_u16 v0, v[4:5], off
	s_wait_loadcnt 0x0
	v_cvt_f32_f16_e32 v0, v0
	s_delay_alu instid0(VALU_DEP_1)
	v_cvt_f64_f32_e32 v[0:1], v0
.LBB94_1137:
	s_cbranch_execnz .LBB94_1156
.LBB94_1138:
	s_cmp_lt_i32 s0, 2
	s_cbranch_scc1 .LBB94_1142
; %bb.1139:
	s_cmp_lt_i32 s0, 3
	s_cbranch_scc1 .LBB94_1143
; %bb.1140:
	s_cmp_gt_i32 s0, 3
	s_cbranch_scc0 .LBB94_1144
; %bb.1141:
	s_wait_loadcnt 0x0
	global_load_b64 v[0:1], v[4:5], off
	s_mov_b32 s1, 0
	s_wait_loadcnt 0x0
	v_cvt_f64_i32_e32 v[6:7], v1
	v_cvt_f64_u32_e32 v[0:1], v0
	s_delay_alu instid0(VALU_DEP_2) | instskip(NEXT) | instid1(VALU_DEP_1)
	v_ldexp_f64 v[6:7], v[6:7], 32
	v_add_f64_e32 v[0:1], v[6:7], v[0:1]
	s_branch .LBB94_1145
.LBB94_1142:
                                        ; implicit-def: $vgpr0_vgpr1
	s_branch .LBB94_1151
.LBB94_1143:
	s_mov_b32 s1, -1
                                        ; implicit-def: $vgpr0_vgpr1
	s_branch .LBB94_1148
.LBB94_1144:
	s_mov_b32 s1, -1
                                        ; implicit-def: $vgpr0_vgpr1
.LBB94_1145:
	s_delay_alu instid0(SALU_CYCLE_1)
	s_and_not1_b32 vcc_lo, exec_lo, s1
	s_cbranch_vccnz .LBB94_1147
; %bb.1146:
	s_wait_loadcnt 0x0
	global_load_b32 v0, v[4:5], off
	s_wait_loadcnt 0x0
	v_cvt_f64_i32_e32 v[0:1], v0
.LBB94_1147:
	s_mov_b32 s1, 0
.LBB94_1148:
	s_delay_alu instid0(SALU_CYCLE_1)
	s_and_not1_b32 vcc_lo, exec_lo, s1
	s_cbranch_vccnz .LBB94_1150
; %bb.1149:
	s_wait_loadcnt 0x0
	global_load_i16 v0, v[4:5], off
	s_wait_loadcnt 0x0
	v_cvt_f64_i32_e32 v[0:1], v0
.LBB94_1150:
	s_cbranch_execnz .LBB94_1156
.LBB94_1151:
	s_cmp_gt_i32 s0, 0
	s_mov_b32 s1, 0
	s_cbranch_scc0 .LBB94_1153
; %bb.1152:
	s_wait_loadcnt 0x0
	global_load_i8 v0, v[4:5], off
	s_wait_loadcnt 0x0
	v_cvt_f64_i32_e32 v[0:1], v0
	s_branch .LBB94_1154
.LBB94_1153:
	s_mov_b32 s1, -1
                                        ; implicit-def: $vgpr0_vgpr1
.LBB94_1154:
	s_delay_alu instid0(SALU_CYCLE_1)
	s_and_not1_b32 vcc_lo, exec_lo, s1
	s_cbranch_vccnz .LBB94_1156
; %bb.1155:
	s_wait_loadcnt 0x0
	global_load_u8 v0, v[4:5], off
	s_wait_loadcnt 0x0
	v_cvt_f64_u32_e32 v[0:1], v0
.LBB94_1156:
.LBB94_1157:
	s_lshl_b32 s1, s13, 7
	s_cmp_lt_i32 s0, 11
	s_wait_xcnt 0x0
	v_add_nc_u32_e32 v4, s1, v2
	s_delay_alu instid0(VALU_DEP_1) | instskip(NEXT) | instid1(VALU_DEP_1)
	v_ashrrev_i32_e32 v5, 31, v4
	v_add_nc_u64_e32 v[6:7], s[6:7], v[4:5]
	s_cbranch_scc1 .LBB94_1164
; %bb.1158:
	s_cmp_gt_i32 s0, 25
	s_mov_b32 s11, 0
	s_cbranch_scc0 .LBB94_1166
; %bb.1159:
	s_cmp_gt_i32 s0, 28
	s_cbranch_scc0 .LBB94_1167
; %bb.1160:
	s_cmp_gt_i32 s0, 43
	;; [unrolled: 3-line block ×3, first 2 shown]
	s_cbranch_scc0 .LBB94_1170
; %bb.1162:
	s_cmp_eq_u32 s0, 46
	s_mov_b32 s17, 0
	s_cbranch_scc0 .LBB94_1173
; %bb.1163:
	global_load_b32 v2, v[6:7], off
	s_mov_b32 s2, 0
	s_mov_b32 s13, -1
	s_wait_loadcnt 0x0
	v_lshlrev_b32_e32 v2, 16, v2
	s_delay_alu instid0(VALU_DEP_1)
	v_cvt_f64_f32_e32 v[2:3], v2
	s_branch .LBB94_1175
.LBB94_1164:
	s_mov_b32 s13, 0
                                        ; implicit-def: $vgpr2_vgpr3
	s_cbranch_execnz .LBB94_1240
.LBB94_1165:
	s_and_not1_b32 vcc_lo, exec_lo, s13
	s_cbranch_vccnz .LBB94_1980
	s_branch .LBB94_1287
.LBB94_1166:
	s_mov_b32 s13, 0
	s_mov_b32 s2, 0
                                        ; implicit-def: $vgpr2_vgpr3
	s_cbranch_execnz .LBB94_1204
	s_branch .LBB94_1236
.LBB94_1167:
	s_mov_b32 s17, -1
	s_mov_b32 s13, 0
	s_mov_b32 s2, 0
                                        ; implicit-def: $vgpr2_vgpr3
	s_branch .LBB94_1185
.LBB94_1168:
	s_mov_b32 s17, -1
	s_mov_b32 s13, 0
	s_mov_b32 s2, 0
                                        ; implicit-def: $vgpr2_vgpr3
	s_branch .LBB94_1180
.LBB94_1169:
	s_or_b32 s3, s16, exec_lo
	s_trap 2
	s_cbranch_execz .LBB94_1110
	s_branch .LBB94_1111
.LBB94_1170:
	s_mov_b32 s17, -1
	s_mov_b32 s13, 0
	s_mov_b32 s2, 0
	s_branch .LBB94_1174
.LBB94_1171:
	s_and_not1_saveexec_b32 s23, s23
	s_cbranch_execz .LBB94_956
.LBB94_1172:
	v_add_f32_e32 v2, 0x42800000, v3
	s_and_not1_b32 s22, s22, exec_lo
	s_delay_alu instid0(VALU_DEP_1) | instskip(NEXT) | instid1(VALU_DEP_1)
	v_and_b32_e32 v2, 0xff, v2
	v_cmp_ne_u32_e32 vcc_lo, 0, v2
	s_and_b32 s24, vcc_lo, exec_lo
	s_delay_alu instid0(SALU_CYCLE_1)
	s_or_b32 s22, s22, s24
	s_or_b32 exec_lo, exec_lo, s23
	v_mov_b32_e32 v4, 0
	s_and_saveexec_b32 s23, s22
	s_cbranch_execnz .LBB94_957
	s_branch .LBB94_958
.LBB94_1173:
	s_mov_b32 s2, -1
	s_mov_b32 s13, 0
.LBB94_1174:
                                        ; implicit-def: $vgpr2_vgpr3
.LBB94_1175:
	s_and_b32 vcc_lo, exec_lo, s17
	s_cbranch_vccz .LBB94_1179
; %bb.1176:
	s_cmp_eq_u32 s0, 44
	s_cbranch_scc0 .LBB94_1178
; %bb.1177:
	global_load_u8 v5, v[6:7], off
	s_mov_b32 s2, 0
	s_mov_b32 s13, -1
	s_wait_loadcnt 0x0
	v_cmp_ne_u32_e32 vcc_lo, 0xff, v5
	v_lshlrev_b32_e32 v2, 23, v5
	s_delay_alu instid0(VALU_DEP_1) | instskip(NEXT) | instid1(VALU_DEP_1)
	v_cvt_f64_f32_e32 v[2:3], v2
	v_cndmask_b32_e32 v2, 0x20000000, v2, vcc_lo
	s_delay_alu instid0(VALU_DEP_2) | instskip(SKIP_1) | instid1(VALU_DEP_2)
	v_cndmask_b32_e32 v3, 0x7ff80000, v3, vcc_lo
	v_cmp_ne_u32_e32 vcc_lo, 0, v5
	v_cndmask_b32_e32 v3, 0x38000000, v3, vcc_lo
	s_delay_alu instid0(VALU_DEP_4)
	v_cndmask_b32_e32 v2, 0, v2, vcc_lo
	s_branch .LBB94_1179
.LBB94_1178:
	s_mov_b32 s2, -1
                                        ; implicit-def: $vgpr2_vgpr3
.LBB94_1179:
	s_mov_b32 s17, 0
.LBB94_1180:
	s_delay_alu instid0(SALU_CYCLE_1)
	s_and_b32 vcc_lo, exec_lo, s17
	s_cbranch_vccz .LBB94_1184
; %bb.1181:
	s_cmp_eq_u32 s0, 29
	s_cbranch_scc0 .LBB94_1183
; %bb.1182:
	global_load_b64 v[2:3], v[6:7], off
	s_mov_b32 s2, 0
	s_mov_b32 s13, -1
	s_mov_b32 s17, 0
	s_wait_loadcnt 0x0
	v_cvt_f64_u32_e32 v[8:9], v3
	v_cvt_f64_u32_e32 v[2:3], v2
	s_delay_alu instid0(VALU_DEP_2) | instskip(NEXT) | instid1(VALU_DEP_1)
	v_ldexp_f64 v[8:9], v[8:9], 32
	v_add_f64_e32 v[2:3], v[8:9], v[2:3]
	s_branch .LBB94_1185
.LBB94_1183:
	s_mov_b32 s2, -1
                                        ; implicit-def: $vgpr2_vgpr3
.LBB94_1184:
	s_mov_b32 s17, 0
.LBB94_1185:
	s_delay_alu instid0(SALU_CYCLE_1)
	s_and_b32 vcc_lo, exec_lo, s17
	s_cbranch_vccz .LBB94_1203
; %bb.1186:
	s_cmp_lt_i32 s0, 27
	s_cbranch_scc1 .LBB94_1189
; %bb.1187:
	s_cmp_gt_i32 s0, 27
	s_cbranch_scc0 .LBB94_1190
; %bb.1188:
	global_load_b32 v2, v[6:7], off
	s_mov_b32 s13, 0
	s_wait_loadcnt 0x0
	v_cvt_f64_u32_e32 v[2:3], v2
	s_branch .LBB94_1191
.LBB94_1189:
	s_mov_b32 s13, -1
                                        ; implicit-def: $vgpr2_vgpr3
	s_branch .LBB94_1194
.LBB94_1190:
	s_mov_b32 s13, -1
                                        ; implicit-def: $vgpr2_vgpr3
.LBB94_1191:
	s_delay_alu instid0(SALU_CYCLE_1)
	s_and_not1_b32 vcc_lo, exec_lo, s13
	s_cbranch_vccnz .LBB94_1193
; %bb.1192:
	global_load_u16 v2, v[6:7], off
	s_wait_loadcnt 0x0
	v_cvt_f64_u32_e32 v[2:3], v2
.LBB94_1193:
	s_mov_b32 s13, 0
.LBB94_1194:
	s_delay_alu instid0(SALU_CYCLE_1)
	s_and_not1_b32 vcc_lo, exec_lo, s13
	s_cbranch_vccnz .LBB94_1202
; %bb.1195:
	global_load_u8 v5, v[6:7], off
	s_mov_b32 s13, 0
	s_mov_b32 s17, exec_lo
	s_wait_loadcnt 0x0
	v_cmpx_lt_i16_e32 0x7f, v5
	s_xor_b32 s17, exec_lo, s17
	s_cbranch_execz .LBB94_1215
; %bb.1196:
	s_mov_b32 s13, -1
	s_mov_b32 s18, exec_lo
	v_cmpx_eq_u16_e32 0x80, v5
; %bb.1197:
	s_xor_b32 s13, exec_lo, -1
; %bb.1198:
	s_or_b32 exec_lo, exec_lo, s18
	s_delay_alu instid0(SALU_CYCLE_1)
	s_and_b32 s13, s13, exec_lo
	s_or_saveexec_b32 s17, s17
	v_mov_b64_e32 v[2:3], 0x7ff8000020000000
	s_xor_b32 exec_lo, exec_lo, s17
	s_cbranch_execnz .LBB94_1216
.LBB94_1199:
	s_or_b32 exec_lo, exec_lo, s17
	s_and_saveexec_b32 s17, s13
	s_cbranch_execz .LBB94_1201
.LBB94_1200:
	v_and_b32_e32 v2, 0xffff, v5
	s_delay_alu instid0(VALU_DEP_1) | instskip(SKIP_1) | instid1(VALU_DEP_2)
	v_and_b32_e32 v3, 7, v2
	v_bfe_u32 v11, v2, 3, 4
	v_clz_i32_u32_e32 v8, v3
	s_delay_alu instid0(VALU_DEP_2) | instskip(NEXT) | instid1(VALU_DEP_2)
	v_cmp_eq_u32_e32 vcc_lo, 0, v11
	v_min_u32_e32 v8, 32, v8
	s_delay_alu instid0(VALU_DEP_1) | instskip(NEXT) | instid1(VALU_DEP_1)
	v_subrev_nc_u32_e32 v9, 28, v8
	v_dual_lshlrev_b32 v2, v9, v2 :: v_dual_sub_nc_u32 v8, 29, v8
	s_delay_alu instid0(VALU_DEP_1) | instskip(NEXT) | instid1(VALU_DEP_2)
	v_dual_lshlrev_b32 v5, 24, v5 :: v_dual_bitop2_b32 v2, 7, v2 bitop3:0x40
	v_cndmask_b32_e32 v8, v11, v8, vcc_lo
	s_delay_alu instid0(VALU_DEP_2) | instskip(NEXT) | instid1(VALU_DEP_3)
	v_cndmask_b32_e32 v2, v3, v2, vcc_lo
	v_and_b32_e32 v3, 0x80000000, v5
	s_delay_alu instid0(VALU_DEP_3) | instskip(NEXT) | instid1(VALU_DEP_3)
	v_lshl_add_u32 v5, v8, 23, 0x3b800000
	v_lshlrev_b32_e32 v2, 20, v2
	s_delay_alu instid0(VALU_DEP_1) | instskip(NEXT) | instid1(VALU_DEP_1)
	v_or3_b32 v2, v3, v5, v2
	v_cvt_f64_f32_e32 v[2:3], v2
.LBB94_1201:
	s_or_b32 exec_lo, exec_lo, s17
.LBB94_1202:
	s_mov_b32 s13, -1
.LBB94_1203:
	s_branch .LBB94_1236
.LBB94_1204:
	s_cmp_gt_i32 s0, 22
	s_cbranch_scc0 .LBB94_1214
; %bb.1205:
	s_cmp_lt_i32 s0, 24
	s_cbranch_scc1 .LBB94_1217
; %bb.1206:
	s_cmp_gt_i32 s0, 24
	s_cbranch_scc0 .LBB94_1218
; %bb.1207:
	global_load_u8 v5, v[6:7], off
	s_mov_b32 s13, exec_lo
	s_wait_loadcnt 0x0
	v_cmpx_lt_i16_e32 0x7f, v5
	s_xor_b32 s13, exec_lo, s13
	s_cbranch_execz .LBB94_1230
; %bb.1208:
	s_mov_b32 s11, -1
	s_mov_b32 s17, exec_lo
	v_cmpx_eq_u16_e32 0x80, v5
; %bb.1209:
	s_xor_b32 s11, exec_lo, -1
; %bb.1210:
	s_or_b32 exec_lo, exec_lo, s17
	s_delay_alu instid0(SALU_CYCLE_1)
	s_and_b32 s11, s11, exec_lo
	s_or_saveexec_b32 s13, s13
	v_mov_b64_e32 v[2:3], 0x7ff8000020000000
	s_xor_b32 exec_lo, exec_lo, s13
	s_cbranch_execnz .LBB94_1231
.LBB94_1211:
	s_or_b32 exec_lo, exec_lo, s13
	s_and_saveexec_b32 s13, s11
	s_cbranch_execz .LBB94_1213
.LBB94_1212:
	v_and_b32_e32 v2, 0xffff, v5
	s_delay_alu instid0(VALU_DEP_1) | instskip(SKIP_1) | instid1(VALU_DEP_2)
	v_and_b32_e32 v3, 3, v2
	v_bfe_u32 v11, v2, 2, 5
	v_clz_i32_u32_e32 v8, v3
	s_delay_alu instid0(VALU_DEP_2) | instskip(NEXT) | instid1(VALU_DEP_2)
	v_cmp_eq_u32_e32 vcc_lo, 0, v11
	v_min_u32_e32 v8, 32, v8
	s_delay_alu instid0(VALU_DEP_1) | instskip(NEXT) | instid1(VALU_DEP_1)
	v_subrev_nc_u32_e32 v9, 29, v8
	v_dual_lshlrev_b32 v2, v9, v2 :: v_dual_sub_nc_u32 v8, 30, v8
	s_delay_alu instid0(VALU_DEP_1) | instskip(NEXT) | instid1(VALU_DEP_2)
	v_dual_lshlrev_b32 v5, 24, v5 :: v_dual_bitop2_b32 v2, 3, v2 bitop3:0x40
	v_cndmask_b32_e32 v8, v11, v8, vcc_lo
	s_delay_alu instid0(VALU_DEP_2) | instskip(NEXT) | instid1(VALU_DEP_3)
	v_cndmask_b32_e32 v2, v3, v2, vcc_lo
	v_and_b32_e32 v3, 0x80000000, v5
	s_delay_alu instid0(VALU_DEP_3) | instskip(NEXT) | instid1(VALU_DEP_3)
	v_lshl_add_u32 v5, v8, 23, 0x37800000
	v_lshlrev_b32_e32 v2, 21, v2
	s_delay_alu instid0(VALU_DEP_1) | instskip(NEXT) | instid1(VALU_DEP_1)
	v_or3_b32 v2, v3, v5, v2
	v_cvt_f64_f32_e32 v[2:3], v2
.LBB94_1213:
	s_or_b32 exec_lo, exec_lo, s13
	s_mov_b32 s11, 0
	s_branch .LBB94_1219
.LBB94_1214:
	s_mov_b32 s11, -1
                                        ; implicit-def: $vgpr2_vgpr3
	s_branch .LBB94_1225
.LBB94_1215:
	s_or_saveexec_b32 s17, s17
	v_mov_b64_e32 v[2:3], 0x7ff8000020000000
	s_xor_b32 exec_lo, exec_lo, s17
	s_cbranch_execz .LBB94_1199
.LBB94_1216:
	v_cmp_ne_u16_e32 vcc_lo, 0, v5
	v_mov_b64_e32 v[2:3], 0
	s_and_not1_b32 s13, s13, exec_lo
	s_and_b32 s18, vcc_lo, exec_lo
	s_delay_alu instid0(SALU_CYCLE_1)
	s_or_b32 s13, s13, s18
	s_or_b32 exec_lo, exec_lo, s17
	s_and_saveexec_b32 s17, s13
	s_cbranch_execnz .LBB94_1200
	s_branch .LBB94_1201
.LBB94_1217:
	s_mov_b32 s11, -1
                                        ; implicit-def: $vgpr2_vgpr3
	s_branch .LBB94_1222
.LBB94_1218:
	s_mov_b32 s11, -1
                                        ; implicit-def: $vgpr2_vgpr3
.LBB94_1219:
	s_delay_alu instid0(SALU_CYCLE_1)
	s_and_b32 vcc_lo, exec_lo, s11
	s_cbranch_vccz .LBB94_1221
; %bb.1220:
	global_load_u8 v2, v[6:7], off
	s_wait_loadcnt 0x0
	v_lshlrev_b32_e32 v2, 24, v2
	s_delay_alu instid0(VALU_DEP_1) | instskip(NEXT) | instid1(VALU_DEP_1)
	v_and_b32_e32 v3, 0x7f000000, v2
	v_clz_i32_u32_e32 v5, v3
	v_add_nc_u32_e32 v9, 0x1000000, v3
	v_cmp_ne_u32_e32 vcc_lo, 0, v3
	s_delay_alu instid0(VALU_DEP_3) | instskip(NEXT) | instid1(VALU_DEP_1)
	v_min_u32_e32 v5, 32, v5
	v_sub_nc_u32_e64 v5, v5, 4 clamp
	s_delay_alu instid0(VALU_DEP_1) | instskip(NEXT) | instid1(VALU_DEP_1)
	v_dual_lshlrev_b32 v8, v5, v3 :: v_dual_lshlrev_b32 v5, 23, v5
	v_lshrrev_b32_e32 v8, 4, v8
	s_delay_alu instid0(VALU_DEP_1) | instskip(SKIP_1) | instid1(VALU_DEP_2)
	v_sub_nc_u32_e32 v5, v8, v5
	v_ashrrev_i32_e32 v8, 8, v9
	v_add_nc_u32_e32 v5, 0x3c000000, v5
	s_delay_alu instid0(VALU_DEP_1) | instskip(NEXT) | instid1(VALU_DEP_1)
	v_and_or_b32 v5, 0x7f800000, v8, v5
	v_cndmask_b32_e32 v3, 0, v5, vcc_lo
	s_delay_alu instid0(VALU_DEP_1) | instskip(NEXT) | instid1(VALU_DEP_1)
	v_and_or_b32 v2, 0x80000000, v2, v3
	v_cvt_f64_f32_e32 v[2:3], v2
.LBB94_1221:
	s_mov_b32 s11, 0
.LBB94_1222:
	s_delay_alu instid0(SALU_CYCLE_1)
	s_and_not1_b32 vcc_lo, exec_lo, s11
	s_cbranch_vccnz .LBB94_1224
; %bb.1223:
	global_load_u8 v2, v[6:7], off
	s_wait_loadcnt 0x0
	v_lshlrev_b32_e32 v3, 25, v2
	v_lshlrev_b16 v2, 8, v2
	s_delay_alu instid0(VALU_DEP_1) | instskip(SKIP_1) | instid1(VALU_DEP_2)
	v_and_or_b32 v8, 0x7f00, v2, 0.5
	v_bfe_i32 v2, v2, 0, 16
	v_dual_add_f32 v8, -0.5, v8 :: v_dual_lshrrev_b32 v5, 4, v3
	v_cmp_gt_u32_e32 vcc_lo, 0x8000000, v3
	s_delay_alu instid0(VALU_DEP_2) | instskip(NEXT) | instid1(VALU_DEP_1)
	v_or_b32_e32 v5, 0x70000000, v5
	v_mul_f32_e32 v5, 0x7800000, v5
	s_delay_alu instid0(VALU_DEP_1) | instskip(NEXT) | instid1(VALU_DEP_1)
	v_cndmask_b32_e32 v3, v5, v8, vcc_lo
	v_and_or_b32 v2, 0x80000000, v2, v3
	s_delay_alu instid0(VALU_DEP_1)
	v_cvt_f64_f32_e32 v[2:3], v2
.LBB94_1224:
	s_mov_b32 s11, 0
	s_mov_b32 s13, -1
.LBB94_1225:
	s_and_not1_b32 vcc_lo, exec_lo, s11
	s_mov_b32 s11, 0
	s_cbranch_vccnz .LBB94_1236
; %bb.1226:
	s_cmp_gt_i32 s0, 14
	s_cbranch_scc0 .LBB94_1229
; %bb.1227:
	s_cmp_eq_u32 s0, 15
	s_cbranch_scc0 .LBB94_1232
; %bb.1228:
	global_load_u16 v2, v[6:7], off
	s_mov_b32 s2, 0
	s_mov_b32 s13, -1
	s_wait_loadcnt 0x0
	v_lshlrev_b32_e32 v2, 16, v2
	s_delay_alu instid0(VALU_DEP_1)
	v_cvt_f64_f32_e32 v[2:3], v2
	s_branch .LBB94_1234
.LBB94_1229:
	s_mov_b32 s11, -1
	s_branch .LBB94_1233
.LBB94_1230:
	s_or_saveexec_b32 s13, s13
	v_mov_b64_e32 v[2:3], 0x7ff8000020000000
	s_xor_b32 exec_lo, exec_lo, s13
	s_cbranch_execz .LBB94_1211
.LBB94_1231:
	v_cmp_ne_u16_e32 vcc_lo, 0, v5
	v_mov_b64_e32 v[2:3], 0
	s_and_not1_b32 s11, s11, exec_lo
	s_and_b32 s17, vcc_lo, exec_lo
	s_delay_alu instid0(SALU_CYCLE_1)
	s_or_b32 s11, s11, s17
	s_or_b32 exec_lo, exec_lo, s13
	s_and_saveexec_b32 s13, s11
	s_cbranch_execnz .LBB94_1212
	s_branch .LBB94_1213
.LBB94_1232:
	s_mov_b32 s2, -1
.LBB94_1233:
                                        ; implicit-def: $vgpr2_vgpr3
.LBB94_1234:
	s_and_b32 vcc_lo, exec_lo, s11
	s_mov_b32 s11, 0
	s_cbranch_vccz .LBB94_1236
; %bb.1235:
	s_cmp_lg_u32 s0, 11
	s_mov_b32 s11, -1
	s_cselect_b32 s2, -1, 0
.LBB94_1236:
	s_delay_alu instid0(SALU_CYCLE_1)
	s_and_b32 vcc_lo, exec_lo, s2
	s_cbranch_vccnz .LBB94_1299
; %bb.1237:
	s_and_not1_b32 vcc_lo, exec_lo, s11
	s_cbranch_vccnz .LBB94_1239
.LBB94_1238:
	global_load_u8 v2, v[6:7], off
	s_mov_b32 s13, -1
	s_wait_loadcnt 0x0
	v_cmp_ne_u16_e32 vcc_lo, 0, v2
	v_mov_b32_e32 v2, 0
	v_cndmask_b32_e64 v3, 0, 0x3ff00000, vcc_lo
.LBB94_1239:
	s_branch .LBB94_1165
.LBB94_1240:
	s_cmp_lt_i32 s0, 5
	s_cbranch_scc1 .LBB94_1245
; %bb.1241:
	s_cmp_lt_i32 s0, 8
	s_cbranch_scc1 .LBB94_1246
; %bb.1242:
	;; [unrolled: 3-line block ×3, first 2 shown]
	s_cmp_gt_i32 s0, 9
	s_cbranch_scc0 .LBB94_1248
; %bb.1244:
	global_load_b64 v[2:3], v[6:7], off
	s_mov_b32 s2, 0
	s_branch .LBB94_1249
.LBB94_1245:
                                        ; implicit-def: $vgpr2_vgpr3
	s_branch .LBB94_1267
.LBB94_1246:
	s_mov_b32 s2, -1
                                        ; implicit-def: $vgpr2_vgpr3
	s_branch .LBB94_1255
.LBB94_1247:
	s_mov_b32 s2, -1
                                        ; implicit-def: $vgpr2_vgpr3
	s_branch .LBB94_1252
.LBB94_1248:
	s_mov_b32 s2, -1
                                        ; implicit-def: $vgpr2_vgpr3
.LBB94_1249:
	s_delay_alu instid0(SALU_CYCLE_1)
	s_and_not1_b32 vcc_lo, exec_lo, s2
	s_cbranch_vccnz .LBB94_1251
; %bb.1250:
	s_wait_loadcnt 0x0
	global_load_b32 v2, v[6:7], off
	s_wait_loadcnt 0x0
	v_cvt_f64_f32_e32 v[2:3], v2
.LBB94_1251:
	s_mov_b32 s2, 0
.LBB94_1252:
	s_delay_alu instid0(SALU_CYCLE_1)
	s_and_not1_b32 vcc_lo, exec_lo, s2
	s_cbranch_vccnz .LBB94_1254
; %bb.1253:
	s_wait_loadcnt 0x0
	global_load_b32 v2, v[6:7], off
	s_wait_loadcnt 0x0
	v_cvt_f32_f16_e32 v2, v2
	s_delay_alu instid0(VALU_DEP_1)
	v_cvt_f64_f32_e32 v[2:3], v2
.LBB94_1254:
	s_mov_b32 s2, 0
.LBB94_1255:
	s_delay_alu instid0(SALU_CYCLE_1)
	s_and_not1_b32 vcc_lo, exec_lo, s2
	s_cbranch_vccnz .LBB94_1266
; %bb.1256:
	s_cmp_lt_i32 s0, 6
	s_cbranch_scc1 .LBB94_1259
; %bb.1257:
	s_cmp_gt_i32 s0, 6
	s_cbranch_scc0 .LBB94_1260
; %bb.1258:
	s_wait_loadcnt 0x0
	global_load_b64 v[2:3], v[6:7], off
	s_mov_b32 s2, 0
	s_branch .LBB94_1261
.LBB94_1259:
	s_mov_b32 s2, -1
                                        ; implicit-def: $vgpr2_vgpr3
	s_branch .LBB94_1264
.LBB94_1260:
	s_mov_b32 s2, -1
                                        ; implicit-def: $vgpr2_vgpr3
.LBB94_1261:
	s_delay_alu instid0(SALU_CYCLE_1)
	s_and_not1_b32 vcc_lo, exec_lo, s2
	s_cbranch_vccnz .LBB94_1263
; %bb.1262:
	s_wait_loadcnt 0x0
	global_load_b32 v2, v[6:7], off
	s_wait_loadcnt 0x0
	v_cvt_f64_f32_e32 v[2:3], v2
.LBB94_1263:
	s_mov_b32 s2, 0
.LBB94_1264:
	s_delay_alu instid0(SALU_CYCLE_1)
	s_and_not1_b32 vcc_lo, exec_lo, s2
	s_cbranch_vccnz .LBB94_1266
; %bb.1265:
	s_wait_loadcnt 0x0
	global_load_u16 v2, v[6:7], off
	s_wait_loadcnt 0x0
	v_cvt_f32_f16_e32 v2, v2
	s_delay_alu instid0(VALU_DEP_1)
	v_cvt_f64_f32_e32 v[2:3], v2
.LBB94_1266:
	s_cbranch_execnz .LBB94_1286
.LBB94_1267:
	s_cmp_lt_i32 s0, 2
	s_cbranch_scc1 .LBB94_1271
; %bb.1268:
	s_cmp_lt_i32 s0, 3
	s_cbranch_scc1 .LBB94_1272
; %bb.1269:
	s_cmp_gt_i32 s0, 3
	s_cbranch_scc0 .LBB94_1273
; %bb.1270:
	s_wait_loadcnt 0x0
	global_load_b64 v[2:3], v[6:7], off
	s_mov_b32 s2, 0
	s_wait_loadcnt 0x0
	v_cvt_f64_i32_e32 v[8:9], v3
	v_cvt_f64_u32_e32 v[2:3], v2
	s_delay_alu instid0(VALU_DEP_2) | instskip(NEXT) | instid1(VALU_DEP_1)
	v_ldexp_f64 v[8:9], v[8:9], 32
	v_add_f64_e32 v[2:3], v[8:9], v[2:3]
	s_branch .LBB94_1274
.LBB94_1271:
	s_mov_b32 s2, -1
                                        ; implicit-def: $vgpr2_vgpr3
	s_branch .LBB94_1280
.LBB94_1272:
	s_mov_b32 s2, -1
                                        ; implicit-def: $vgpr2_vgpr3
	s_branch .LBB94_1277
.LBB94_1273:
	s_mov_b32 s2, -1
                                        ; implicit-def: $vgpr2_vgpr3
.LBB94_1274:
	s_delay_alu instid0(SALU_CYCLE_1)
	s_and_not1_b32 vcc_lo, exec_lo, s2
	s_cbranch_vccnz .LBB94_1276
; %bb.1275:
	s_wait_loadcnt 0x0
	global_load_b32 v2, v[6:7], off
	s_wait_loadcnt 0x0
	v_cvt_f64_i32_e32 v[2:3], v2
.LBB94_1276:
	s_mov_b32 s2, 0
.LBB94_1277:
	s_delay_alu instid0(SALU_CYCLE_1)
	s_and_not1_b32 vcc_lo, exec_lo, s2
	s_cbranch_vccnz .LBB94_1279
; %bb.1278:
	s_wait_loadcnt 0x0
	global_load_i16 v2, v[6:7], off
	s_wait_loadcnt 0x0
	v_cvt_f64_i32_e32 v[2:3], v2
.LBB94_1279:
	s_mov_b32 s2, 0
.LBB94_1280:
	s_delay_alu instid0(SALU_CYCLE_1)
	s_and_not1_b32 vcc_lo, exec_lo, s2
	s_cbranch_vccnz .LBB94_1286
; %bb.1281:
	s_cmp_gt_i32 s0, 0
	s_mov_b32 s2, 0
	s_cbranch_scc0 .LBB94_1283
; %bb.1282:
	s_wait_loadcnt 0x0
	global_load_i8 v2, v[6:7], off
	s_wait_loadcnt 0x0
	v_cvt_f64_i32_e32 v[2:3], v2
	s_branch .LBB94_1284
.LBB94_1283:
	s_mov_b32 s2, -1
                                        ; implicit-def: $vgpr2_vgpr3
.LBB94_1284:
	s_delay_alu instid0(SALU_CYCLE_1)
	s_and_not1_b32 vcc_lo, exec_lo, s2
	s_cbranch_vccnz .LBB94_1286
; %bb.1285:
	s_wait_loadcnt 0x0
	global_load_u8 v2, v[6:7], off
	s_wait_loadcnt 0x0
	v_cvt_f64_u32_e32 v[2:3], v2
.LBB94_1286:
.LBB94_1287:
	s_wait_xcnt 0x0
	v_add_nc_u32_e32 v6, s1, v4
	s_cmp_lt_i32 s0, 11
	s_delay_alu instid0(VALU_DEP_1) | instskip(NEXT) | instid1(VALU_DEP_1)
	v_ashrrev_i32_e32 v7, 31, v6
	v_add_nc_u64_e32 v[8:9], s[6:7], v[6:7]
	s_cbranch_scc1 .LBB94_1294
; %bb.1288:
	s_cmp_gt_i32 s0, 25
	s_mov_b32 s11, 0
	s_cbranch_scc0 .LBB94_1296
; %bb.1289:
	s_cmp_gt_i32 s0, 28
	s_cbranch_scc0 .LBB94_1297
; %bb.1290:
	s_cmp_gt_i32 s0, 43
	;; [unrolled: 3-line block ×3, first 2 shown]
	s_cbranch_scc0 .LBB94_1300
; %bb.1292:
	s_cmp_eq_u32 s0, 46
	s_mov_b32 s17, 0
	s_cbranch_scc0 .LBB94_1301
; %bb.1293:
	global_load_b32 v4, v[8:9], off
	s_mov_b32 s2, 0
	s_mov_b32 s13, -1
	s_wait_loadcnt 0x0
	v_lshlrev_b32_e32 v4, 16, v4
	s_delay_alu instid0(VALU_DEP_1)
	v_cvt_f64_f32_e32 v[4:5], v4
	s_branch .LBB94_1303
.LBB94_1294:
	s_mov_b32 s13, 0
                                        ; implicit-def: $vgpr4_vgpr5
	s_cbranch_execnz .LBB94_1369
.LBB94_1295:
	s_and_not1_b32 vcc_lo, exec_lo, s13
	s_cbranch_vccnz .LBB94_1980
	s_branch .LBB94_1417
.LBB94_1296:
	s_mov_b32 s17, -1
	s_mov_b32 s13, 0
	s_mov_b32 s2, 0
                                        ; implicit-def: $vgpr4_vgpr5
	s_branch .LBB94_1332
.LBB94_1297:
	s_mov_b32 s17, -1
	s_mov_b32 s13, 0
	s_mov_b32 s2, 0
                                        ; implicit-def: $vgpr4_vgpr5
	s_branch .LBB94_1313
.LBB94_1298:
	s_mov_b32 s17, -1
	s_mov_b32 s13, 0
	s_mov_b32 s2, 0
                                        ; implicit-def: $vgpr4_vgpr5
	s_branch .LBB94_1308
.LBB94_1299:
	s_or_b32 s3, s3, exec_lo
	s_trap 2
	s_cbranch_execz .LBB94_1238
	s_branch .LBB94_1239
.LBB94_1300:
	s_mov_b32 s17, -1
	s_mov_b32 s13, 0
	s_mov_b32 s2, 0
	s_branch .LBB94_1302
.LBB94_1301:
	s_mov_b32 s2, -1
	s_mov_b32 s13, 0
.LBB94_1302:
                                        ; implicit-def: $vgpr4_vgpr5
.LBB94_1303:
	s_and_b32 vcc_lo, exec_lo, s17
	s_cbranch_vccz .LBB94_1307
; %bb.1304:
	s_cmp_eq_u32 s0, 44
	s_cbranch_scc0 .LBB94_1306
; %bb.1305:
	global_load_u8 v7, v[8:9], off
	s_mov_b32 s2, 0
	s_mov_b32 s13, -1
	s_wait_loadcnt 0x0
	v_cmp_ne_u32_e32 vcc_lo, 0xff, v7
	v_lshlrev_b32_e32 v4, 23, v7
	s_delay_alu instid0(VALU_DEP_1) | instskip(NEXT) | instid1(VALU_DEP_1)
	v_cvt_f64_f32_e32 v[4:5], v4
	v_cndmask_b32_e32 v4, 0x20000000, v4, vcc_lo
	s_delay_alu instid0(VALU_DEP_2) | instskip(SKIP_1) | instid1(VALU_DEP_2)
	v_cndmask_b32_e32 v5, 0x7ff80000, v5, vcc_lo
	v_cmp_ne_u32_e32 vcc_lo, 0, v7
	v_cndmask_b32_e32 v5, 0x38000000, v5, vcc_lo
	s_delay_alu instid0(VALU_DEP_4)
	v_cndmask_b32_e32 v4, 0, v4, vcc_lo
	s_branch .LBB94_1307
.LBB94_1306:
	s_mov_b32 s2, -1
                                        ; implicit-def: $vgpr4_vgpr5
.LBB94_1307:
	s_mov_b32 s17, 0
.LBB94_1308:
	s_delay_alu instid0(SALU_CYCLE_1)
	s_and_b32 vcc_lo, exec_lo, s17
	s_cbranch_vccz .LBB94_1312
; %bb.1309:
	s_cmp_eq_u32 s0, 29
	s_cbranch_scc0 .LBB94_1311
; %bb.1310:
	global_load_b64 v[4:5], v[8:9], off
	s_mov_b32 s2, 0
	s_mov_b32 s13, -1
	s_mov_b32 s17, 0
	s_wait_loadcnt 0x0
	v_cvt_f64_u32_e32 v[12:13], v5
	v_cvt_f64_u32_e32 v[4:5], v4
	s_delay_alu instid0(VALU_DEP_2) | instskip(NEXT) | instid1(VALU_DEP_1)
	v_ldexp_f64 v[12:13], v[12:13], 32
	v_add_f64_e32 v[4:5], v[12:13], v[4:5]
	s_branch .LBB94_1313
.LBB94_1311:
	s_mov_b32 s2, -1
                                        ; implicit-def: $vgpr4_vgpr5
.LBB94_1312:
	s_mov_b32 s17, 0
.LBB94_1313:
	s_delay_alu instid0(SALU_CYCLE_1)
	s_and_b32 vcc_lo, exec_lo, s17
	s_cbranch_vccz .LBB94_1331
; %bb.1314:
	s_cmp_lt_i32 s0, 27
	s_cbranch_scc1 .LBB94_1317
; %bb.1315:
	s_cmp_gt_i32 s0, 27
	s_cbranch_scc0 .LBB94_1318
; %bb.1316:
	global_load_b32 v4, v[8:9], off
	s_mov_b32 s13, 0
	s_wait_loadcnt 0x0
	v_cvt_f64_u32_e32 v[4:5], v4
	s_branch .LBB94_1319
.LBB94_1317:
	s_mov_b32 s13, -1
                                        ; implicit-def: $vgpr4_vgpr5
	s_branch .LBB94_1322
.LBB94_1318:
	s_mov_b32 s13, -1
                                        ; implicit-def: $vgpr4_vgpr5
.LBB94_1319:
	s_delay_alu instid0(SALU_CYCLE_1)
	s_and_not1_b32 vcc_lo, exec_lo, s13
	s_cbranch_vccnz .LBB94_1321
; %bb.1320:
	global_load_u16 v4, v[8:9], off
	s_wait_loadcnt 0x0
	v_cvt_f64_u32_e32 v[4:5], v4
.LBB94_1321:
	s_mov_b32 s13, 0
.LBB94_1322:
	s_delay_alu instid0(SALU_CYCLE_1)
	s_and_not1_b32 vcc_lo, exec_lo, s13
	s_cbranch_vccnz .LBB94_1330
; %bb.1323:
	global_load_u8 v7, v[8:9], off
	s_mov_b32 s13, 0
	s_mov_b32 s17, exec_lo
	s_wait_loadcnt 0x0
	v_cmpx_lt_i16_e32 0x7f, v7
	s_xor_b32 s17, exec_lo, s17
	s_cbranch_execz .LBB94_1344
; %bb.1324:
	s_mov_b32 s13, -1
	s_mov_b32 s18, exec_lo
	v_cmpx_eq_u16_e32 0x80, v7
; %bb.1325:
	s_xor_b32 s13, exec_lo, -1
; %bb.1326:
	s_or_b32 exec_lo, exec_lo, s18
	s_delay_alu instid0(SALU_CYCLE_1)
	s_and_b32 s13, s13, exec_lo
	s_or_saveexec_b32 s17, s17
	v_mov_b64_e32 v[4:5], 0x7ff8000020000000
	s_xor_b32 exec_lo, exec_lo, s17
	s_cbranch_execnz .LBB94_1345
.LBB94_1327:
	s_or_b32 exec_lo, exec_lo, s17
	s_and_saveexec_b32 s17, s13
	s_cbranch_execz .LBB94_1329
.LBB94_1328:
	v_and_b32_e32 v4, 0xffff, v7
	s_delay_alu instid0(VALU_DEP_1) | instskip(SKIP_1) | instid1(VALU_DEP_2)
	v_and_b32_e32 v5, 7, v4
	v_bfe_u32 v13, v4, 3, 4
	v_clz_i32_u32_e32 v11, v5
	s_delay_alu instid0(VALU_DEP_2) | instskip(NEXT) | instid1(VALU_DEP_2)
	v_cmp_eq_u32_e32 vcc_lo, 0, v13
	v_min_u32_e32 v11, 32, v11
	s_delay_alu instid0(VALU_DEP_1) | instskip(NEXT) | instid1(VALU_DEP_1)
	v_subrev_nc_u32_e32 v12, 28, v11
	v_dual_lshlrev_b32 v4, v12, v4 :: v_dual_sub_nc_u32 v11, 29, v11
	s_delay_alu instid0(VALU_DEP_1) | instskip(NEXT) | instid1(VALU_DEP_1)
	v_dual_lshlrev_b32 v7, 24, v7 :: v_dual_bitop2_b32 v4, 7, v4 bitop3:0x40
	v_cndmask_b32_e32 v4, v5, v4, vcc_lo
	s_delay_alu instid0(VALU_DEP_3) | instskip(NEXT) | instid1(VALU_DEP_3)
	v_cndmask_b32_e32 v11, v13, v11, vcc_lo
	v_and_b32_e32 v5, 0x80000000, v7
	s_delay_alu instid0(VALU_DEP_3) | instskip(NEXT) | instid1(VALU_DEP_3)
	v_lshlrev_b32_e32 v4, 20, v4
	v_lshl_add_u32 v7, v11, 23, 0x3b800000
	s_delay_alu instid0(VALU_DEP_1) | instskip(NEXT) | instid1(VALU_DEP_1)
	v_or3_b32 v4, v5, v7, v4
	v_cvt_f64_f32_e32 v[4:5], v4
.LBB94_1329:
	s_or_b32 exec_lo, exec_lo, s17
.LBB94_1330:
	s_mov_b32 s13, -1
.LBB94_1331:
	s_mov_b32 s17, 0
.LBB94_1332:
	s_delay_alu instid0(SALU_CYCLE_1)
	s_and_b32 vcc_lo, exec_lo, s17
	s_cbranch_vccz .LBB94_1365
; %bb.1333:
	s_cmp_gt_i32 s0, 22
	s_cbranch_scc0 .LBB94_1343
; %bb.1334:
	s_cmp_lt_i32 s0, 24
	s_cbranch_scc1 .LBB94_1346
; %bb.1335:
	s_cmp_gt_i32 s0, 24
	s_cbranch_scc0 .LBB94_1347
; %bb.1336:
	global_load_u8 v7, v[8:9], off
	s_mov_b32 s13, exec_lo
	s_wait_loadcnt 0x0
	v_cmpx_lt_i16_e32 0x7f, v7
	s_xor_b32 s13, exec_lo, s13
	s_cbranch_execz .LBB94_1359
; %bb.1337:
	s_mov_b32 s11, -1
	s_mov_b32 s17, exec_lo
	v_cmpx_eq_u16_e32 0x80, v7
; %bb.1338:
	s_xor_b32 s11, exec_lo, -1
; %bb.1339:
	s_or_b32 exec_lo, exec_lo, s17
	s_delay_alu instid0(SALU_CYCLE_1)
	s_and_b32 s11, s11, exec_lo
	s_or_saveexec_b32 s13, s13
	v_mov_b64_e32 v[4:5], 0x7ff8000020000000
	s_xor_b32 exec_lo, exec_lo, s13
	s_cbranch_execnz .LBB94_1360
.LBB94_1340:
	s_or_b32 exec_lo, exec_lo, s13
	s_and_saveexec_b32 s13, s11
	s_cbranch_execz .LBB94_1342
.LBB94_1341:
	v_and_b32_e32 v4, 0xffff, v7
	s_delay_alu instid0(VALU_DEP_1) | instskip(SKIP_1) | instid1(VALU_DEP_2)
	v_and_b32_e32 v5, 3, v4
	v_bfe_u32 v13, v4, 2, 5
	v_clz_i32_u32_e32 v11, v5
	s_delay_alu instid0(VALU_DEP_2) | instskip(NEXT) | instid1(VALU_DEP_2)
	v_cmp_eq_u32_e32 vcc_lo, 0, v13
	v_min_u32_e32 v11, 32, v11
	s_delay_alu instid0(VALU_DEP_1) | instskip(NEXT) | instid1(VALU_DEP_1)
	v_subrev_nc_u32_e32 v12, 29, v11
	v_dual_lshlrev_b32 v4, v12, v4 :: v_dual_sub_nc_u32 v11, 30, v11
	s_delay_alu instid0(VALU_DEP_1) | instskip(NEXT) | instid1(VALU_DEP_1)
	v_dual_lshlrev_b32 v7, 24, v7 :: v_dual_bitop2_b32 v4, 3, v4 bitop3:0x40
	v_cndmask_b32_e32 v4, v5, v4, vcc_lo
	s_delay_alu instid0(VALU_DEP_3) | instskip(NEXT) | instid1(VALU_DEP_3)
	v_cndmask_b32_e32 v11, v13, v11, vcc_lo
	v_and_b32_e32 v5, 0x80000000, v7
	s_delay_alu instid0(VALU_DEP_3) | instskip(NEXT) | instid1(VALU_DEP_3)
	v_lshlrev_b32_e32 v4, 21, v4
	v_lshl_add_u32 v7, v11, 23, 0x37800000
	s_delay_alu instid0(VALU_DEP_1) | instskip(NEXT) | instid1(VALU_DEP_1)
	v_or3_b32 v4, v5, v7, v4
	v_cvt_f64_f32_e32 v[4:5], v4
.LBB94_1342:
	s_or_b32 exec_lo, exec_lo, s13
	s_mov_b32 s11, 0
	s_branch .LBB94_1348
.LBB94_1343:
	s_mov_b32 s11, -1
                                        ; implicit-def: $vgpr4_vgpr5
	s_branch .LBB94_1354
.LBB94_1344:
	s_or_saveexec_b32 s17, s17
	v_mov_b64_e32 v[4:5], 0x7ff8000020000000
	s_xor_b32 exec_lo, exec_lo, s17
	s_cbranch_execz .LBB94_1327
.LBB94_1345:
	v_cmp_ne_u16_e32 vcc_lo, 0, v7
	v_mov_b64_e32 v[4:5], 0
	s_and_not1_b32 s13, s13, exec_lo
	s_and_b32 s18, vcc_lo, exec_lo
	s_delay_alu instid0(SALU_CYCLE_1)
	s_or_b32 s13, s13, s18
	s_or_b32 exec_lo, exec_lo, s17
	s_and_saveexec_b32 s17, s13
	s_cbranch_execnz .LBB94_1328
	s_branch .LBB94_1329
.LBB94_1346:
	s_mov_b32 s11, -1
                                        ; implicit-def: $vgpr4_vgpr5
	s_branch .LBB94_1351
.LBB94_1347:
	s_mov_b32 s11, -1
                                        ; implicit-def: $vgpr4_vgpr5
.LBB94_1348:
	s_delay_alu instid0(SALU_CYCLE_1)
	s_and_b32 vcc_lo, exec_lo, s11
	s_cbranch_vccz .LBB94_1350
; %bb.1349:
	global_load_u8 v4, v[8:9], off
	s_wait_loadcnt 0x0
	v_lshlrev_b32_e32 v4, 24, v4
	s_delay_alu instid0(VALU_DEP_1) | instskip(NEXT) | instid1(VALU_DEP_1)
	v_and_b32_e32 v5, 0x7f000000, v4
	v_clz_i32_u32_e32 v7, v5
	v_cmp_ne_u32_e32 vcc_lo, 0, v5
	v_add_nc_u32_e32 v12, 0x1000000, v5
	s_delay_alu instid0(VALU_DEP_3) | instskip(NEXT) | instid1(VALU_DEP_1)
	v_min_u32_e32 v7, 32, v7
	v_sub_nc_u32_e64 v7, v7, 4 clamp
	s_delay_alu instid0(VALU_DEP_1) | instskip(NEXT) | instid1(VALU_DEP_1)
	v_dual_lshlrev_b32 v11, v7, v5 :: v_dual_lshlrev_b32 v7, 23, v7
	v_lshrrev_b32_e32 v11, 4, v11
	s_delay_alu instid0(VALU_DEP_1) | instskip(NEXT) | instid1(VALU_DEP_1)
	v_dual_sub_nc_u32 v7, v11, v7 :: v_dual_ashrrev_i32 v11, 8, v12
	v_add_nc_u32_e32 v7, 0x3c000000, v7
	s_delay_alu instid0(VALU_DEP_1) | instskip(NEXT) | instid1(VALU_DEP_1)
	v_and_or_b32 v7, 0x7f800000, v11, v7
	v_cndmask_b32_e32 v5, 0, v7, vcc_lo
	s_delay_alu instid0(VALU_DEP_1) | instskip(NEXT) | instid1(VALU_DEP_1)
	v_and_or_b32 v4, 0x80000000, v4, v5
	v_cvt_f64_f32_e32 v[4:5], v4
.LBB94_1350:
	s_mov_b32 s11, 0
.LBB94_1351:
	s_delay_alu instid0(SALU_CYCLE_1)
	s_and_not1_b32 vcc_lo, exec_lo, s11
	s_cbranch_vccnz .LBB94_1353
; %bb.1352:
	global_load_u8 v4, v[8:9], off
	s_wait_loadcnt 0x0
	v_lshlrev_b32_e32 v5, 25, v4
	v_lshlrev_b16 v4, 8, v4
	s_delay_alu instid0(VALU_DEP_1) | instskip(SKIP_1) | instid1(VALU_DEP_2)
	v_and_or_b32 v11, 0x7f00, v4, 0.5
	v_bfe_i32 v4, v4, 0, 16
	v_dual_add_f32 v11, -0.5, v11 :: v_dual_lshrrev_b32 v7, 4, v5
	v_cmp_gt_u32_e32 vcc_lo, 0x8000000, v5
	s_delay_alu instid0(VALU_DEP_2) | instskip(NEXT) | instid1(VALU_DEP_1)
	v_or_b32_e32 v7, 0x70000000, v7
	v_mul_f32_e32 v7, 0x7800000, v7
	s_delay_alu instid0(VALU_DEP_1) | instskip(NEXT) | instid1(VALU_DEP_1)
	v_cndmask_b32_e32 v5, v7, v11, vcc_lo
	v_and_or_b32 v4, 0x80000000, v4, v5
	s_delay_alu instid0(VALU_DEP_1)
	v_cvt_f64_f32_e32 v[4:5], v4
.LBB94_1353:
	s_mov_b32 s11, 0
	s_mov_b32 s13, -1
.LBB94_1354:
	s_and_not1_b32 vcc_lo, exec_lo, s11
	s_mov_b32 s11, 0
	s_cbranch_vccnz .LBB94_1365
; %bb.1355:
	s_cmp_gt_i32 s0, 14
	s_cbranch_scc0 .LBB94_1358
; %bb.1356:
	s_cmp_eq_u32 s0, 15
	s_cbranch_scc0 .LBB94_1361
; %bb.1357:
	global_load_u16 v4, v[8:9], off
	s_mov_b32 s2, 0
	s_mov_b32 s13, -1
	s_wait_loadcnt 0x0
	v_lshlrev_b32_e32 v4, 16, v4
	s_delay_alu instid0(VALU_DEP_1)
	v_cvt_f64_f32_e32 v[4:5], v4
	s_branch .LBB94_1363
.LBB94_1358:
	s_mov_b32 s11, -1
	s_branch .LBB94_1362
.LBB94_1359:
	s_or_saveexec_b32 s13, s13
	v_mov_b64_e32 v[4:5], 0x7ff8000020000000
	s_xor_b32 exec_lo, exec_lo, s13
	s_cbranch_execz .LBB94_1340
.LBB94_1360:
	v_cmp_ne_u16_e32 vcc_lo, 0, v7
	v_mov_b64_e32 v[4:5], 0
	s_and_not1_b32 s11, s11, exec_lo
	s_and_b32 s17, vcc_lo, exec_lo
	s_delay_alu instid0(SALU_CYCLE_1)
	s_or_b32 s11, s11, s17
	s_or_b32 exec_lo, exec_lo, s13
	s_and_saveexec_b32 s13, s11
	s_cbranch_execnz .LBB94_1341
	s_branch .LBB94_1342
.LBB94_1361:
	s_mov_b32 s2, -1
.LBB94_1362:
                                        ; implicit-def: $vgpr4_vgpr5
.LBB94_1363:
	s_and_b32 vcc_lo, exec_lo, s11
	s_mov_b32 s11, 0
	s_cbranch_vccz .LBB94_1365
; %bb.1364:
	s_cmp_lg_u32 s0, 11
	s_mov_b32 s11, -1
	s_cselect_b32 s2, -1, 0
.LBB94_1365:
	s_delay_alu instid0(SALU_CYCLE_1)
	s_and_b32 vcc_lo, exec_lo, s2
	s_cbranch_vccnz .LBB94_1428
; %bb.1366:
	s_and_not1_b32 vcc_lo, exec_lo, s11
	s_cbranch_vccnz .LBB94_1368
.LBB94_1367:
	global_load_u8 v4, v[8:9], off
	s_mov_b32 s13, -1
	s_wait_loadcnt 0x0
	v_cmp_ne_u16_e32 vcc_lo, 0, v4
	v_mov_b32_e32 v4, 0
	v_cndmask_b32_e64 v5, 0, 0x3ff00000, vcc_lo
.LBB94_1368:
	s_branch .LBB94_1295
.LBB94_1369:
	s_cmp_lt_i32 s0, 5
	s_cbranch_scc1 .LBB94_1374
; %bb.1370:
	s_cmp_lt_i32 s0, 8
	s_cbranch_scc1 .LBB94_1375
; %bb.1371:
	;; [unrolled: 3-line block ×3, first 2 shown]
	s_cmp_gt_i32 s0, 9
	s_cbranch_scc0 .LBB94_1377
; %bb.1373:
	global_load_b64 v[4:5], v[8:9], off
	s_mov_b32 s2, 0
	s_branch .LBB94_1378
.LBB94_1374:
	s_mov_b32 s2, -1
                                        ; implicit-def: $vgpr4_vgpr5
	s_branch .LBB94_1396
.LBB94_1375:
	s_mov_b32 s2, -1
                                        ; implicit-def: $vgpr4_vgpr5
	s_branch .LBB94_1384
.LBB94_1376:
	s_mov_b32 s2, -1
                                        ; implicit-def: $vgpr4_vgpr5
	s_branch .LBB94_1381
.LBB94_1377:
	s_mov_b32 s2, -1
                                        ; implicit-def: $vgpr4_vgpr5
.LBB94_1378:
	s_delay_alu instid0(SALU_CYCLE_1)
	s_and_not1_b32 vcc_lo, exec_lo, s2
	s_cbranch_vccnz .LBB94_1380
; %bb.1379:
	s_wait_loadcnt 0x0
	global_load_b32 v4, v[8:9], off
	s_wait_loadcnt 0x0
	v_cvt_f64_f32_e32 v[4:5], v4
.LBB94_1380:
	s_mov_b32 s2, 0
.LBB94_1381:
	s_delay_alu instid0(SALU_CYCLE_1)
	s_and_not1_b32 vcc_lo, exec_lo, s2
	s_cbranch_vccnz .LBB94_1383
; %bb.1382:
	s_wait_loadcnt 0x0
	global_load_b32 v4, v[8:9], off
	s_wait_loadcnt 0x0
	v_cvt_f32_f16_e32 v4, v4
	s_delay_alu instid0(VALU_DEP_1)
	v_cvt_f64_f32_e32 v[4:5], v4
.LBB94_1383:
	s_mov_b32 s2, 0
.LBB94_1384:
	s_delay_alu instid0(SALU_CYCLE_1)
	s_and_not1_b32 vcc_lo, exec_lo, s2
	s_cbranch_vccnz .LBB94_1395
; %bb.1385:
	s_cmp_lt_i32 s0, 6
	s_cbranch_scc1 .LBB94_1388
; %bb.1386:
	s_cmp_gt_i32 s0, 6
	s_cbranch_scc0 .LBB94_1389
; %bb.1387:
	s_wait_loadcnt 0x0
	global_load_b64 v[4:5], v[8:9], off
	s_mov_b32 s2, 0
	s_branch .LBB94_1390
.LBB94_1388:
	s_mov_b32 s2, -1
                                        ; implicit-def: $vgpr4_vgpr5
	s_branch .LBB94_1393
.LBB94_1389:
	s_mov_b32 s2, -1
                                        ; implicit-def: $vgpr4_vgpr5
.LBB94_1390:
	s_delay_alu instid0(SALU_CYCLE_1)
	s_and_not1_b32 vcc_lo, exec_lo, s2
	s_cbranch_vccnz .LBB94_1392
; %bb.1391:
	s_wait_loadcnt 0x0
	global_load_b32 v4, v[8:9], off
	s_wait_loadcnt 0x0
	v_cvt_f64_f32_e32 v[4:5], v4
.LBB94_1392:
	s_mov_b32 s2, 0
.LBB94_1393:
	s_delay_alu instid0(SALU_CYCLE_1)
	s_and_not1_b32 vcc_lo, exec_lo, s2
	s_cbranch_vccnz .LBB94_1395
; %bb.1394:
	s_wait_loadcnt 0x0
	global_load_u16 v4, v[8:9], off
	s_wait_loadcnt 0x0
	v_cvt_f32_f16_e32 v4, v4
	s_delay_alu instid0(VALU_DEP_1)
	v_cvt_f64_f32_e32 v[4:5], v4
.LBB94_1395:
	s_mov_b32 s2, 0
.LBB94_1396:
	s_delay_alu instid0(SALU_CYCLE_1)
	s_and_not1_b32 vcc_lo, exec_lo, s2
	s_cbranch_vccnz .LBB94_1416
; %bb.1397:
	s_cmp_lt_i32 s0, 2
	s_cbranch_scc1 .LBB94_1401
; %bb.1398:
	s_cmp_lt_i32 s0, 3
	s_cbranch_scc1 .LBB94_1402
; %bb.1399:
	s_cmp_gt_i32 s0, 3
	s_cbranch_scc0 .LBB94_1403
; %bb.1400:
	s_wait_loadcnt 0x0
	global_load_b64 v[4:5], v[8:9], off
	s_mov_b32 s2, 0
	s_wait_loadcnt 0x0
	v_cvt_f64_i32_e32 v[12:13], v5
	v_cvt_f64_u32_e32 v[4:5], v4
	s_delay_alu instid0(VALU_DEP_2) | instskip(NEXT) | instid1(VALU_DEP_1)
	v_ldexp_f64 v[12:13], v[12:13], 32
	v_add_f64_e32 v[4:5], v[12:13], v[4:5]
	s_branch .LBB94_1404
.LBB94_1401:
	s_mov_b32 s2, -1
                                        ; implicit-def: $vgpr4_vgpr5
	s_branch .LBB94_1410
.LBB94_1402:
	s_mov_b32 s2, -1
                                        ; implicit-def: $vgpr4_vgpr5
	s_branch .LBB94_1407
.LBB94_1403:
	s_mov_b32 s2, -1
                                        ; implicit-def: $vgpr4_vgpr5
.LBB94_1404:
	s_delay_alu instid0(SALU_CYCLE_1)
	s_and_not1_b32 vcc_lo, exec_lo, s2
	s_cbranch_vccnz .LBB94_1406
; %bb.1405:
	s_wait_loadcnt 0x0
	global_load_b32 v4, v[8:9], off
	s_wait_loadcnt 0x0
	v_cvt_f64_i32_e32 v[4:5], v4
.LBB94_1406:
	s_mov_b32 s2, 0
.LBB94_1407:
	s_delay_alu instid0(SALU_CYCLE_1)
	s_and_not1_b32 vcc_lo, exec_lo, s2
	s_cbranch_vccnz .LBB94_1409
; %bb.1408:
	s_wait_loadcnt 0x0
	global_load_i16 v4, v[8:9], off
	s_wait_loadcnt 0x0
	v_cvt_f64_i32_e32 v[4:5], v4
.LBB94_1409:
	s_mov_b32 s2, 0
.LBB94_1410:
	s_delay_alu instid0(SALU_CYCLE_1)
	s_and_not1_b32 vcc_lo, exec_lo, s2
	s_cbranch_vccnz .LBB94_1416
; %bb.1411:
	s_cmp_gt_i32 s0, 0
	s_mov_b32 s2, 0
	s_cbranch_scc0 .LBB94_1413
; %bb.1412:
	s_wait_loadcnt 0x0
	global_load_i8 v4, v[8:9], off
	s_wait_loadcnt 0x0
	v_cvt_f64_i32_e32 v[4:5], v4
	s_branch .LBB94_1414
.LBB94_1413:
	s_mov_b32 s2, -1
                                        ; implicit-def: $vgpr4_vgpr5
.LBB94_1414:
	s_delay_alu instid0(SALU_CYCLE_1)
	s_and_not1_b32 vcc_lo, exec_lo, s2
	s_cbranch_vccnz .LBB94_1416
; %bb.1415:
	s_wait_loadcnt 0x0
	global_load_u8 v4, v[8:9], off
	s_wait_loadcnt 0x0
	v_cvt_f64_u32_e32 v[4:5], v4
.LBB94_1416:
.LBB94_1417:
	v_add_nc_u32_e32 v6, s1, v6
	s_cmp_lt_i32 s0, 11
	s_delay_alu instid0(VALU_DEP_1) | instskip(SKIP_1) | instid1(VALU_DEP_1)
	v_ashrrev_i32_e32 v7, 31, v6
	s_wait_xcnt 0x0
	v_add_nc_u64_e32 v[8:9], s[6:7], v[6:7]
	s_cbranch_scc1 .LBB94_1424
; %bb.1418:
	s_cmp_gt_i32 s0, 25
	s_mov_b32 s2, 0
	s_cbranch_scc0 .LBB94_1425
; %bb.1419:
	s_cmp_gt_i32 s0, 28
	s_cbranch_scc0 .LBB94_1426
; %bb.1420:
	s_cmp_gt_i32 s0, 43
	;; [unrolled: 3-line block ×3, first 2 shown]
	s_cbranch_scc0 .LBB94_1429
; %bb.1422:
	s_cmp_eq_u32 s0, 46
	s_mov_b32 s7, 0
	s_cbranch_scc0 .LBB94_1430
; %bb.1423:
	global_load_b32 v6, v[8:9], off
	s_mov_b32 s1, 0
	s_mov_b32 s6, -1
	s_wait_loadcnt 0x0
	v_lshlrev_b32_e32 v6, 16, v6
	s_delay_alu instid0(VALU_DEP_1)
	v_cvt_f64_f32_e32 v[6:7], v6
	s_branch .LBB94_1432
.LBB94_1424:
	s_mov_b32 s1, -1
	s_mov_b32 s6, 0
                                        ; implicit-def: $vgpr6_vgpr7
	s_branch .LBB94_1498
.LBB94_1425:
	s_mov_b32 s7, -1
	s_mov_b32 s6, 0
	s_mov_b32 s1, 0
                                        ; implicit-def: $vgpr6_vgpr7
	s_branch .LBB94_1461
.LBB94_1426:
	s_mov_b32 s7, -1
	s_mov_b32 s6, 0
	s_mov_b32 s1, 0
                                        ; implicit-def: $vgpr6_vgpr7
	s_branch .LBB94_1442
.LBB94_1427:
	s_mov_b32 s7, -1
	s_mov_b32 s6, 0
	s_mov_b32 s1, 0
                                        ; implicit-def: $vgpr6_vgpr7
	s_branch .LBB94_1437
.LBB94_1428:
	s_or_b32 s3, s3, exec_lo
	s_trap 2
	s_cbranch_execz .LBB94_1367
	s_branch .LBB94_1368
.LBB94_1429:
	s_mov_b32 s7, -1
	s_mov_b32 s6, 0
	s_mov_b32 s1, 0
	s_branch .LBB94_1431
.LBB94_1430:
	s_mov_b32 s1, -1
	s_mov_b32 s6, 0
.LBB94_1431:
                                        ; implicit-def: $vgpr6_vgpr7
.LBB94_1432:
	s_and_b32 vcc_lo, exec_lo, s7
	s_cbranch_vccz .LBB94_1436
; %bb.1433:
	s_cmp_eq_u32 s0, 44
	s_cbranch_scc0 .LBB94_1435
; %bb.1434:
	global_load_u8 v11, v[8:9], off
	s_mov_b32 s1, 0
	s_mov_b32 s6, -1
	s_wait_loadcnt 0x0
	v_lshlrev_b32_e32 v6, 23, v11
	v_cmp_ne_u32_e32 vcc_lo, 0xff, v11
	s_delay_alu instid0(VALU_DEP_2) | instskip(NEXT) | instid1(VALU_DEP_1)
	v_cvt_f64_f32_e32 v[6:7], v6
	v_cndmask_b32_e32 v6, 0x20000000, v6, vcc_lo
	s_delay_alu instid0(VALU_DEP_2) | instskip(SKIP_1) | instid1(VALU_DEP_2)
	v_cndmask_b32_e32 v7, 0x7ff80000, v7, vcc_lo
	v_cmp_ne_u32_e32 vcc_lo, 0, v11
	v_cndmask_b32_e32 v7, 0x38000000, v7, vcc_lo
	s_delay_alu instid0(VALU_DEP_4)
	v_cndmask_b32_e32 v6, 0, v6, vcc_lo
	s_branch .LBB94_1436
.LBB94_1435:
	s_mov_b32 s1, -1
                                        ; implicit-def: $vgpr6_vgpr7
.LBB94_1436:
	s_mov_b32 s7, 0
.LBB94_1437:
	s_delay_alu instid0(SALU_CYCLE_1)
	s_and_b32 vcc_lo, exec_lo, s7
	s_cbranch_vccz .LBB94_1441
; %bb.1438:
	s_cmp_eq_u32 s0, 29
	s_cbranch_scc0 .LBB94_1440
; %bb.1439:
	global_load_b64 v[6:7], v[8:9], off
	s_mov_b32 s1, 0
	s_mov_b32 s6, -1
	s_mov_b32 s7, 0
	s_wait_loadcnt 0x0
	v_cvt_f64_u32_e32 v[12:13], v7
	v_cvt_f64_u32_e32 v[6:7], v6
	s_delay_alu instid0(VALU_DEP_2) | instskip(NEXT) | instid1(VALU_DEP_1)
	v_ldexp_f64 v[12:13], v[12:13], 32
	v_add_f64_e32 v[6:7], v[12:13], v[6:7]
	s_branch .LBB94_1442
.LBB94_1440:
	s_mov_b32 s1, -1
                                        ; implicit-def: $vgpr6_vgpr7
.LBB94_1441:
	s_mov_b32 s7, 0
.LBB94_1442:
	s_delay_alu instid0(SALU_CYCLE_1)
	s_and_b32 vcc_lo, exec_lo, s7
	s_cbranch_vccz .LBB94_1460
; %bb.1443:
	s_cmp_lt_i32 s0, 27
	s_cbranch_scc1 .LBB94_1446
; %bb.1444:
	s_cmp_gt_i32 s0, 27
	s_cbranch_scc0 .LBB94_1447
; %bb.1445:
	global_load_b32 v6, v[8:9], off
	s_mov_b32 s6, 0
	s_wait_loadcnt 0x0
	v_cvt_f64_u32_e32 v[6:7], v6
	s_branch .LBB94_1448
.LBB94_1446:
	s_mov_b32 s6, -1
                                        ; implicit-def: $vgpr6_vgpr7
	s_branch .LBB94_1451
.LBB94_1447:
	s_mov_b32 s6, -1
                                        ; implicit-def: $vgpr6_vgpr7
.LBB94_1448:
	s_delay_alu instid0(SALU_CYCLE_1)
	s_and_not1_b32 vcc_lo, exec_lo, s6
	s_cbranch_vccnz .LBB94_1450
; %bb.1449:
	global_load_u16 v6, v[8:9], off
	s_wait_loadcnt 0x0
	v_cvt_f64_u32_e32 v[6:7], v6
.LBB94_1450:
	s_mov_b32 s6, 0
.LBB94_1451:
	s_delay_alu instid0(SALU_CYCLE_1)
	s_and_not1_b32 vcc_lo, exec_lo, s6
	s_cbranch_vccnz .LBB94_1459
; %bb.1452:
	global_load_u8 v11, v[8:9], off
	s_mov_b32 s6, 0
	s_mov_b32 s7, exec_lo
	s_wait_loadcnt 0x0
	v_cmpx_lt_i16_e32 0x7f, v11
	s_xor_b32 s7, exec_lo, s7
	s_cbranch_execz .LBB94_1473
; %bb.1453:
	s_mov_b32 s6, -1
	s_mov_b32 s11, exec_lo
	v_cmpx_eq_u16_e32 0x80, v11
; %bb.1454:
	s_xor_b32 s6, exec_lo, -1
; %bb.1455:
	s_or_b32 exec_lo, exec_lo, s11
	s_delay_alu instid0(SALU_CYCLE_1)
	s_and_b32 s6, s6, exec_lo
	s_or_saveexec_b32 s7, s7
	v_mov_b64_e32 v[6:7], 0x7ff8000020000000
	s_xor_b32 exec_lo, exec_lo, s7
	s_cbranch_execnz .LBB94_1474
.LBB94_1456:
	s_or_b32 exec_lo, exec_lo, s7
	s_and_saveexec_b32 s7, s6
	s_cbranch_execz .LBB94_1458
.LBB94_1457:
	v_and_b32_e32 v6, 0xffff, v11
	s_delay_alu instid0(VALU_DEP_1) | instskip(SKIP_1) | instid1(VALU_DEP_2)
	v_and_b32_e32 v7, 7, v6
	v_bfe_u32 v14, v6, 3, 4
	v_clz_i32_u32_e32 v12, v7
	s_delay_alu instid0(VALU_DEP_2) | instskip(NEXT) | instid1(VALU_DEP_2)
	v_cmp_eq_u32_e32 vcc_lo, 0, v14
	v_min_u32_e32 v12, 32, v12
	s_delay_alu instid0(VALU_DEP_1) | instskip(NEXT) | instid1(VALU_DEP_1)
	v_subrev_nc_u32_e32 v13, 28, v12
	v_dual_lshlrev_b32 v6, v13, v6 :: v_dual_sub_nc_u32 v12, 29, v12
	s_delay_alu instid0(VALU_DEP_1) | instskip(NEXT) | instid1(VALU_DEP_1)
	v_dual_lshlrev_b32 v11, 24, v11 :: v_dual_bitop2_b32 v6, 7, v6 bitop3:0x40
	v_dual_cndmask_b32 v12, v14, v12, vcc_lo :: v_dual_cndmask_b32 v6, v7, v6, vcc_lo
	s_delay_alu instid0(VALU_DEP_2) | instskip(NEXT) | instid1(VALU_DEP_2)
	v_and_b32_e32 v7, 0x80000000, v11
	v_lshl_add_u32 v11, v12, 23, 0x3b800000
	s_delay_alu instid0(VALU_DEP_3) | instskip(NEXT) | instid1(VALU_DEP_1)
	v_lshlrev_b32_e32 v6, 20, v6
	v_or3_b32 v6, v7, v11, v6
	s_delay_alu instid0(VALU_DEP_1)
	v_cvt_f64_f32_e32 v[6:7], v6
.LBB94_1458:
	s_or_b32 exec_lo, exec_lo, s7
.LBB94_1459:
	s_mov_b32 s6, -1
.LBB94_1460:
	s_mov_b32 s7, 0
.LBB94_1461:
	s_delay_alu instid0(SALU_CYCLE_1)
	s_and_b32 vcc_lo, exec_lo, s7
	s_cbranch_vccz .LBB94_1494
; %bb.1462:
	s_cmp_gt_i32 s0, 22
	s_cbranch_scc0 .LBB94_1472
; %bb.1463:
	s_cmp_lt_i32 s0, 24
	s_cbranch_scc1 .LBB94_1475
; %bb.1464:
	s_cmp_gt_i32 s0, 24
	s_cbranch_scc0 .LBB94_1476
; %bb.1465:
	global_load_u8 v11, v[8:9], off
	s_mov_b32 s6, exec_lo
	s_wait_loadcnt 0x0
	v_cmpx_lt_i16_e32 0x7f, v11
	s_xor_b32 s6, exec_lo, s6
	s_cbranch_execz .LBB94_1488
; %bb.1466:
	s_mov_b32 s2, -1
	s_mov_b32 s7, exec_lo
	v_cmpx_eq_u16_e32 0x80, v11
; %bb.1467:
	s_xor_b32 s2, exec_lo, -1
; %bb.1468:
	s_or_b32 exec_lo, exec_lo, s7
	s_delay_alu instid0(SALU_CYCLE_1)
	s_and_b32 s2, s2, exec_lo
	s_or_saveexec_b32 s6, s6
	v_mov_b64_e32 v[6:7], 0x7ff8000020000000
	s_xor_b32 exec_lo, exec_lo, s6
	s_cbranch_execnz .LBB94_1489
.LBB94_1469:
	s_or_b32 exec_lo, exec_lo, s6
	s_and_saveexec_b32 s6, s2
	s_cbranch_execz .LBB94_1471
.LBB94_1470:
	v_and_b32_e32 v6, 0xffff, v11
	s_delay_alu instid0(VALU_DEP_1) | instskip(SKIP_1) | instid1(VALU_DEP_2)
	v_and_b32_e32 v7, 3, v6
	v_bfe_u32 v14, v6, 2, 5
	v_clz_i32_u32_e32 v12, v7
	s_delay_alu instid0(VALU_DEP_2) | instskip(NEXT) | instid1(VALU_DEP_2)
	v_cmp_eq_u32_e32 vcc_lo, 0, v14
	v_min_u32_e32 v12, 32, v12
	s_delay_alu instid0(VALU_DEP_1) | instskip(NEXT) | instid1(VALU_DEP_1)
	v_subrev_nc_u32_e32 v13, 29, v12
	v_dual_lshlrev_b32 v6, v13, v6 :: v_dual_sub_nc_u32 v12, 30, v12
	s_delay_alu instid0(VALU_DEP_1) | instskip(NEXT) | instid1(VALU_DEP_1)
	v_dual_lshlrev_b32 v11, 24, v11 :: v_dual_bitop2_b32 v6, 3, v6 bitop3:0x40
	v_dual_cndmask_b32 v12, v14, v12, vcc_lo :: v_dual_cndmask_b32 v6, v7, v6, vcc_lo
	s_delay_alu instid0(VALU_DEP_2) | instskip(NEXT) | instid1(VALU_DEP_2)
	v_and_b32_e32 v7, 0x80000000, v11
	v_lshl_add_u32 v11, v12, 23, 0x37800000
	s_delay_alu instid0(VALU_DEP_3) | instskip(NEXT) | instid1(VALU_DEP_1)
	v_lshlrev_b32_e32 v6, 21, v6
	v_or3_b32 v6, v7, v11, v6
	s_delay_alu instid0(VALU_DEP_1)
	v_cvt_f64_f32_e32 v[6:7], v6
.LBB94_1471:
	s_or_b32 exec_lo, exec_lo, s6
	s_mov_b32 s2, 0
	s_branch .LBB94_1477
.LBB94_1472:
	s_mov_b32 s2, -1
                                        ; implicit-def: $vgpr6_vgpr7
	s_branch .LBB94_1483
.LBB94_1473:
	s_or_saveexec_b32 s7, s7
	v_mov_b64_e32 v[6:7], 0x7ff8000020000000
	s_xor_b32 exec_lo, exec_lo, s7
	s_cbranch_execz .LBB94_1456
.LBB94_1474:
	v_cmp_ne_u16_e32 vcc_lo, 0, v11
	v_mov_b64_e32 v[6:7], 0
	s_and_not1_b32 s6, s6, exec_lo
	s_and_b32 s11, vcc_lo, exec_lo
	s_delay_alu instid0(SALU_CYCLE_1)
	s_or_b32 s6, s6, s11
	s_or_b32 exec_lo, exec_lo, s7
	s_and_saveexec_b32 s7, s6
	s_cbranch_execnz .LBB94_1457
	s_branch .LBB94_1458
.LBB94_1475:
	s_mov_b32 s2, -1
                                        ; implicit-def: $vgpr6_vgpr7
	s_branch .LBB94_1480
.LBB94_1476:
	s_mov_b32 s2, -1
                                        ; implicit-def: $vgpr6_vgpr7
.LBB94_1477:
	s_delay_alu instid0(SALU_CYCLE_1)
	s_and_b32 vcc_lo, exec_lo, s2
	s_cbranch_vccz .LBB94_1479
; %bb.1478:
	global_load_u8 v6, v[8:9], off
	s_wait_loadcnt 0x0
	v_lshlrev_b32_e32 v6, 24, v6
	s_delay_alu instid0(VALU_DEP_1) | instskip(NEXT) | instid1(VALU_DEP_1)
	v_and_b32_e32 v7, 0x7f000000, v6
	v_clz_i32_u32_e32 v11, v7
	v_add_nc_u32_e32 v13, 0x1000000, v7
	v_cmp_ne_u32_e32 vcc_lo, 0, v7
	s_delay_alu instid0(VALU_DEP_3) | instskip(NEXT) | instid1(VALU_DEP_1)
	v_min_u32_e32 v11, 32, v11
	v_sub_nc_u32_e64 v11, v11, 4 clamp
	s_delay_alu instid0(VALU_DEP_1) | instskip(NEXT) | instid1(VALU_DEP_1)
	v_lshlrev_b32_e32 v12, v11, v7
	v_dual_lshlrev_b32 v11, 23, v11 :: v_dual_lshrrev_b32 v12, 4, v12
	s_delay_alu instid0(VALU_DEP_1) | instskip(NEXT) | instid1(VALU_DEP_1)
	v_dual_sub_nc_u32 v11, v12, v11 :: v_dual_ashrrev_i32 v12, 8, v13
	v_add_nc_u32_e32 v11, 0x3c000000, v11
	s_delay_alu instid0(VALU_DEP_1) | instskip(NEXT) | instid1(VALU_DEP_1)
	v_and_or_b32 v11, 0x7f800000, v12, v11
	v_cndmask_b32_e32 v7, 0, v11, vcc_lo
	s_delay_alu instid0(VALU_DEP_1) | instskip(NEXT) | instid1(VALU_DEP_1)
	v_and_or_b32 v6, 0x80000000, v6, v7
	v_cvt_f64_f32_e32 v[6:7], v6
.LBB94_1479:
	s_mov_b32 s2, 0
.LBB94_1480:
	s_delay_alu instid0(SALU_CYCLE_1)
	s_and_not1_b32 vcc_lo, exec_lo, s2
	s_cbranch_vccnz .LBB94_1482
; %bb.1481:
	global_load_u8 v6, v[8:9], off
	s_wait_loadcnt 0x0
	v_lshlrev_b32_e32 v7, 25, v6
	v_lshlrev_b16 v6, 8, v6
	s_delay_alu instid0(VALU_DEP_1) | instskip(SKIP_1) | instid1(VALU_DEP_2)
	v_and_or_b32 v12, 0x7f00, v6, 0.5
	v_bfe_i32 v6, v6, 0, 16
	v_dual_add_f32 v12, -0.5, v12 :: v_dual_lshrrev_b32 v11, 4, v7
	v_cmp_gt_u32_e32 vcc_lo, 0x8000000, v7
	s_delay_alu instid0(VALU_DEP_2) | instskip(NEXT) | instid1(VALU_DEP_1)
	v_or_b32_e32 v11, 0x70000000, v11
	v_mul_f32_e32 v11, 0x7800000, v11
	s_delay_alu instid0(VALU_DEP_1) | instskip(NEXT) | instid1(VALU_DEP_1)
	v_cndmask_b32_e32 v7, v11, v12, vcc_lo
	v_and_or_b32 v6, 0x80000000, v6, v7
	s_delay_alu instid0(VALU_DEP_1)
	v_cvt_f64_f32_e32 v[6:7], v6
.LBB94_1482:
	s_mov_b32 s2, 0
	s_mov_b32 s6, -1
.LBB94_1483:
	s_and_not1_b32 vcc_lo, exec_lo, s2
	s_mov_b32 s2, 0
	s_cbranch_vccnz .LBB94_1494
; %bb.1484:
	s_cmp_gt_i32 s0, 14
	s_cbranch_scc0 .LBB94_1487
; %bb.1485:
	s_cmp_eq_u32 s0, 15
	s_cbranch_scc0 .LBB94_1490
; %bb.1486:
	global_load_u16 v6, v[8:9], off
	s_mov_b32 s1, 0
	s_mov_b32 s6, -1
	s_wait_loadcnt 0x0
	v_lshlrev_b32_e32 v6, 16, v6
	s_delay_alu instid0(VALU_DEP_1)
	v_cvt_f64_f32_e32 v[6:7], v6
	s_branch .LBB94_1492
.LBB94_1487:
	s_mov_b32 s2, -1
	s_branch .LBB94_1491
.LBB94_1488:
	s_or_saveexec_b32 s6, s6
	v_mov_b64_e32 v[6:7], 0x7ff8000020000000
	s_xor_b32 exec_lo, exec_lo, s6
	s_cbranch_execz .LBB94_1469
.LBB94_1489:
	v_cmp_ne_u16_e32 vcc_lo, 0, v11
	v_mov_b64_e32 v[6:7], 0
	s_and_not1_b32 s2, s2, exec_lo
	s_and_b32 s7, vcc_lo, exec_lo
	s_delay_alu instid0(SALU_CYCLE_1)
	s_or_b32 s2, s2, s7
	s_or_b32 exec_lo, exec_lo, s6
	s_and_saveexec_b32 s6, s2
	s_cbranch_execnz .LBB94_1470
	s_branch .LBB94_1471
.LBB94_1490:
	s_mov_b32 s1, -1
.LBB94_1491:
                                        ; implicit-def: $vgpr6_vgpr7
.LBB94_1492:
	s_and_b32 vcc_lo, exec_lo, s2
	s_mov_b32 s2, 0
	s_cbranch_vccz .LBB94_1494
; %bb.1493:
	s_cmp_lg_u32 s0, 11
	s_mov_b32 s2, -1
	s_cselect_b32 s1, -1, 0
.LBB94_1494:
	s_delay_alu instid0(SALU_CYCLE_1)
	s_and_b32 vcc_lo, exec_lo, s1
	s_cbranch_vccnz .LBB94_2026
; %bb.1495:
	s_and_not1_b32 vcc_lo, exec_lo, s2
	s_cbranch_vccnz .LBB94_1497
.LBB94_1496:
	global_load_u8 v6, v[8:9], off
	s_mov_b32 s6, -1
	s_wait_loadcnt 0x0
	v_cmp_ne_u16_e32 vcc_lo, 0, v6
	v_mov_b32_e32 v6, 0
	v_cndmask_b32_e64 v7, 0, 0x3ff00000, vcc_lo
.LBB94_1497:
	s_mov_b32 s1, 0
.LBB94_1498:
	s_delay_alu instid0(SALU_CYCLE_1)
	s_and_b32 vcc_lo, exec_lo, s1
	s_cbranch_vccz .LBB94_1547
; %bb.1499:
	s_cmp_lt_i32 s0, 5
	s_cbranch_scc1 .LBB94_1504
; %bb.1500:
	s_cmp_lt_i32 s0, 8
	s_cbranch_scc1 .LBB94_1505
	;; [unrolled: 3-line block ×3, first 2 shown]
; %bb.1502:
	s_cmp_gt_i32 s0, 9
	s_cbranch_scc0 .LBB94_1507
; %bb.1503:
	global_load_b64 v[6:7], v[8:9], off
	s_mov_b32 s1, 0
	s_branch .LBB94_1508
.LBB94_1504:
	s_mov_b32 s1, -1
                                        ; implicit-def: $vgpr6_vgpr7
	s_branch .LBB94_1526
.LBB94_1505:
	s_mov_b32 s1, -1
                                        ; implicit-def: $vgpr6_vgpr7
	s_branch .LBB94_1514
.LBB94_1506:
	s_mov_b32 s1, -1
                                        ; implicit-def: $vgpr6_vgpr7
	s_branch .LBB94_1511
.LBB94_1507:
	s_mov_b32 s1, -1
                                        ; implicit-def: $vgpr6_vgpr7
.LBB94_1508:
	s_delay_alu instid0(SALU_CYCLE_1)
	s_and_not1_b32 vcc_lo, exec_lo, s1
	s_cbranch_vccnz .LBB94_1510
; %bb.1509:
	s_wait_loadcnt 0x0
	global_load_b32 v6, v[8:9], off
	s_wait_loadcnt 0x0
	v_cvt_f64_f32_e32 v[6:7], v6
.LBB94_1510:
	s_mov_b32 s1, 0
.LBB94_1511:
	s_delay_alu instid0(SALU_CYCLE_1)
	s_and_not1_b32 vcc_lo, exec_lo, s1
	s_cbranch_vccnz .LBB94_1513
; %bb.1512:
	s_wait_loadcnt 0x0
	global_load_b32 v6, v[8:9], off
	s_wait_loadcnt 0x0
	v_cvt_f32_f16_e32 v6, v6
	s_delay_alu instid0(VALU_DEP_1)
	v_cvt_f64_f32_e32 v[6:7], v6
.LBB94_1513:
	s_mov_b32 s1, 0
.LBB94_1514:
	s_delay_alu instid0(SALU_CYCLE_1)
	s_and_not1_b32 vcc_lo, exec_lo, s1
	s_cbranch_vccnz .LBB94_1525
; %bb.1515:
	s_cmp_lt_i32 s0, 6
	s_cbranch_scc1 .LBB94_1518
; %bb.1516:
	s_cmp_gt_i32 s0, 6
	s_cbranch_scc0 .LBB94_1519
; %bb.1517:
	s_wait_loadcnt 0x0
	global_load_b64 v[6:7], v[8:9], off
	s_mov_b32 s1, 0
	s_branch .LBB94_1520
.LBB94_1518:
	s_mov_b32 s1, -1
                                        ; implicit-def: $vgpr6_vgpr7
	s_branch .LBB94_1523
.LBB94_1519:
	s_mov_b32 s1, -1
                                        ; implicit-def: $vgpr6_vgpr7
.LBB94_1520:
	s_delay_alu instid0(SALU_CYCLE_1)
	s_and_not1_b32 vcc_lo, exec_lo, s1
	s_cbranch_vccnz .LBB94_1522
; %bb.1521:
	s_wait_loadcnt 0x0
	global_load_b32 v6, v[8:9], off
	s_wait_loadcnt 0x0
	v_cvt_f64_f32_e32 v[6:7], v6
.LBB94_1522:
	s_mov_b32 s1, 0
.LBB94_1523:
	s_delay_alu instid0(SALU_CYCLE_1)
	s_and_not1_b32 vcc_lo, exec_lo, s1
	s_cbranch_vccnz .LBB94_1525
; %bb.1524:
	s_wait_loadcnt 0x0
	global_load_u16 v6, v[8:9], off
	s_wait_loadcnt 0x0
	v_cvt_f32_f16_e32 v6, v6
	s_delay_alu instid0(VALU_DEP_1)
	v_cvt_f64_f32_e32 v[6:7], v6
.LBB94_1525:
	s_mov_b32 s1, 0
.LBB94_1526:
	s_delay_alu instid0(SALU_CYCLE_1)
	s_and_not1_b32 vcc_lo, exec_lo, s1
	s_cbranch_vccnz .LBB94_1546
; %bb.1527:
	s_cmp_lt_i32 s0, 2
	s_cbranch_scc1 .LBB94_1531
; %bb.1528:
	s_cmp_lt_i32 s0, 3
	s_cbranch_scc1 .LBB94_1532
; %bb.1529:
	s_cmp_gt_i32 s0, 3
	s_cbranch_scc0 .LBB94_1533
; %bb.1530:
	s_wait_loadcnt 0x0
	global_load_b64 v[6:7], v[8:9], off
	s_mov_b32 s1, 0
	s_wait_loadcnt 0x0
	v_cvt_f64_i32_e32 v[12:13], v7
	v_cvt_f64_u32_e32 v[6:7], v6
	s_delay_alu instid0(VALU_DEP_2) | instskip(NEXT) | instid1(VALU_DEP_1)
	v_ldexp_f64 v[12:13], v[12:13], 32
	v_add_f64_e32 v[6:7], v[12:13], v[6:7]
	s_branch .LBB94_1534
.LBB94_1531:
	s_mov_b32 s1, -1
                                        ; implicit-def: $vgpr6_vgpr7
	s_branch .LBB94_1540
.LBB94_1532:
	s_mov_b32 s1, -1
                                        ; implicit-def: $vgpr6_vgpr7
	s_branch .LBB94_1537
.LBB94_1533:
	s_mov_b32 s1, -1
                                        ; implicit-def: $vgpr6_vgpr7
.LBB94_1534:
	s_delay_alu instid0(SALU_CYCLE_1)
	s_and_not1_b32 vcc_lo, exec_lo, s1
	s_cbranch_vccnz .LBB94_1536
; %bb.1535:
	s_wait_loadcnt 0x0
	global_load_b32 v6, v[8:9], off
	s_wait_loadcnt 0x0
	v_cvt_f64_i32_e32 v[6:7], v6
.LBB94_1536:
	s_mov_b32 s1, 0
.LBB94_1537:
	s_delay_alu instid0(SALU_CYCLE_1)
	s_and_not1_b32 vcc_lo, exec_lo, s1
	s_cbranch_vccnz .LBB94_1539
; %bb.1538:
	s_wait_loadcnt 0x0
	global_load_i16 v6, v[8:9], off
	s_wait_loadcnt 0x0
	v_cvt_f64_i32_e32 v[6:7], v6
.LBB94_1539:
	s_mov_b32 s1, 0
.LBB94_1540:
	s_delay_alu instid0(SALU_CYCLE_1)
	s_and_not1_b32 vcc_lo, exec_lo, s1
	s_cbranch_vccnz .LBB94_1546
; %bb.1541:
	s_cmp_gt_i32 s0, 0
	s_mov_b32 s0, 0
	s_cbranch_scc0 .LBB94_1543
; %bb.1542:
	s_wait_loadcnt 0x0
	global_load_i8 v6, v[8:9], off
	s_wait_loadcnt 0x0
	v_cvt_f64_i32_e32 v[6:7], v6
	s_branch .LBB94_1544
.LBB94_1543:
	s_mov_b32 s0, -1
                                        ; implicit-def: $vgpr6_vgpr7
.LBB94_1544:
	s_delay_alu instid0(SALU_CYCLE_1)
	s_and_not1_b32 vcc_lo, exec_lo, s0
	s_cbranch_vccnz .LBB94_1546
; %bb.1545:
	s_wait_loadcnt 0x0
	global_load_u8 v6, v[8:9], off
	s_wait_loadcnt 0x0
	v_cvt_f64_u32_e32 v[6:7], v6
.LBB94_1546:
	s_mov_b32 s6, -1
.LBB94_1547:
	s_delay_alu instid0(SALU_CYCLE_1)
	s_and_not1_b32 vcc_lo, exec_lo, s6
	s_cbranch_vccnz .LBB94_1980
; %bb.1548:
	s_wait_loadcnt 0x0
	v_cmp_eq_f64_e32 vcc_lo, s[8:9], v[0:1]
	s_wait_xcnt 0x0
	v_mul_lo_u32 v8, s12, v10
	s_cmp_eq_u32 s14, 0
	s_mov_b32 s2, -1
	s_cselect_b32 s0, -1, 0
	s_and_b32 s17, s10, 0xff
	s_mov_b32 s10, 0
	s_cmp_lt_i32 s17, 11
	v_cndmask_b32_e64 v9, 0, 1, vcc_lo
	v_cmp_neq_f64_e32 vcc_lo, s[8:9], v[0:1]
	v_cndmask_b32_e64 v0, 0, 1, vcc_lo
	s_delay_alu instid0(VALU_DEP_1) | instskip(NEXT) | instid1(VALU_DEP_1)
	v_dual_cndmask_b32 v0, v0, v9, s0 :: v_dual_ashrrev_i32 v9, 31, v8
	v_and_b32_e32 v10, 1, v0
	s_delay_alu instid0(VALU_DEP_2) | instskip(NEXT) | instid1(VALU_DEP_2)
	v_add_nc_u64_e32 v[0:1], s[4:5], v[8:9]
	v_cmp_eq_u32_e64 s1, 1, v10
	s_cbranch_scc1 .LBB94_1627
; %bb.1549:
	s_and_b32 s6, 0xffff, s17
	s_mov_b32 s11, -1
	s_mov_b32 s7, 0
	s_cmp_gt_i32 s6, 25
	s_mov_b32 s2, 0
	s_cbranch_scc0 .LBB94_1582
; %bb.1550:
	s_cmp_gt_i32 s6, 28
	s_cbranch_scc0 .LBB94_1565
; %bb.1551:
	s_cmp_gt_i32 s6, 43
	;; [unrolled: 3-line block ×3, first 2 shown]
	s_cbranch_scc0 .LBB94_1555
; %bb.1553:
	s_mov_b32 s2, -1
	s_mov_b32 s11, 0
	s_cmp_eq_u32 s6, 46
	s_cbranch_scc0 .LBB94_1555
; %bb.1554:
	v_cndmask_b32_e64 v9, 0, 1.0, s1
	s_mov_b32 s2, 0
	s_mov_b32 s10, -1
	s_delay_alu instid0(VALU_DEP_1) | instskip(NEXT) | instid1(VALU_DEP_1)
	v_bfe_u32 v10, v9, 16, 1
	v_add3_u32 v9, v9, v10, 0x7fff
	s_delay_alu instid0(VALU_DEP_1)
	v_lshrrev_b32_e32 v9, 16, v9
	global_store_b32 v[0:1], v9, off
.LBB94_1555:
	s_and_b32 vcc_lo, exec_lo, s11
	s_cbranch_vccz .LBB94_1560
; %bb.1556:
	s_cmp_eq_u32 s6, 44
	s_mov_b32 s2, -1
	s_cbranch_scc0 .LBB94_1560
; %bb.1557:
	v_cndmask_b32_e64 v11, 0, 1.0, s1
	s_mov_b32 s10, exec_lo
	s_wait_xcnt 0x0
	s_delay_alu instid0(VALU_DEP_1) | instskip(NEXT) | instid1(VALU_DEP_1)
	v_dual_mov_b32 v10, 0xff :: v_dual_lshrrev_b32 v9, 23, v11
	v_cmpx_ne_u32_e32 0xff, v9
; %bb.1558:
	v_and_b32_e32 v10, 0x400000, v11
	v_and_or_b32 v11, 0x3fffff, v11, v9
	s_delay_alu instid0(VALU_DEP_2) | instskip(NEXT) | instid1(VALU_DEP_2)
	v_cmp_ne_u32_e32 vcc_lo, 0, v10
	v_cmp_ne_u32_e64 s2, 0, v11
	s_and_b32 s2, vcc_lo, s2
	s_delay_alu instid0(SALU_CYCLE_1) | instskip(NEXT) | instid1(VALU_DEP_1)
	v_cndmask_b32_e64 v10, 0, 1, s2
	v_add_nc_u32_e32 v10, v9, v10
; %bb.1559:
	s_or_b32 exec_lo, exec_lo, s10
	s_mov_b32 s2, 0
	s_mov_b32 s10, -1
	global_store_b8 v[0:1], v10, off
.LBB94_1560:
	s_mov_b32 s11, 0
.LBB94_1561:
	s_delay_alu instid0(SALU_CYCLE_1)
	s_and_b32 vcc_lo, exec_lo, s11
	s_cbranch_vccz .LBB94_1564
; %bb.1562:
	s_cmp_eq_u32 s6, 29
	s_mov_b32 s2, -1
	s_cbranch_scc0 .LBB94_1564
; %bb.1563:
	s_mov_b32 s2, 0
	s_wait_xcnt 0x0
	v_cndmask_b32_e64 v10, 0, 1, s1
	v_mov_b32_e32 v11, s2
	s_mov_b32 s10, -1
	global_store_b64 v[0:1], v[10:11], off
.LBB94_1564:
	s_mov_b32 s11, 0
.LBB94_1565:
	s_delay_alu instid0(SALU_CYCLE_1)
	s_and_b32 vcc_lo, exec_lo, s11
	s_cbranch_vccz .LBB94_1581
; %bb.1566:
	s_cmp_lt_i32 s6, 27
	s_mov_b32 s10, -1
	s_cbranch_scc1 .LBB94_1572
; %bb.1567:
	s_cmp_gt_i32 s6, 27
	s_cbranch_scc0 .LBB94_1569
; %bb.1568:
	s_wait_xcnt 0x0
	v_cndmask_b32_e64 v9, 0, 1, s1
	s_mov_b32 s10, 0
	global_store_b32 v[0:1], v9, off
.LBB94_1569:
	s_and_not1_b32 vcc_lo, exec_lo, s10
	s_cbranch_vccnz .LBB94_1571
; %bb.1570:
	s_wait_xcnt 0x0
	v_cndmask_b32_e64 v9, 0, 1, s1
	global_store_b16 v[0:1], v9, off
.LBB94_1571:
	s_mov_b32 s10, 0
.LBB94_1572:
	s_delay_alu instid0(SALU_CYCLE_1)
	s_and_not1_b32 vcc_lo, exec_lo, s10
	s_cbranch_vccnz .LBB94_1580
; %bb.1573:
	s_wait_xcnt 0x0
	v_cndmask_b32_e64 v10, 0, 1.0, s1
	v_mov_b32_e32 v11, 0x80
	s_mov_b32 s10, exec_lo
	s_delay_alu instid0(VALU_DEP_2)
	v_cmpx_gt_u32_e32 0x43800000, v10
	s_cbranch_execz .LBB94_1579
; %bb.1574:
	s_mov_b32 s11, 0
	s_mov_b32 s13, exec_lo
                                        ; implicit-def: $vgpr9
	v_cmpx_lt_u32_e32 0x3bffffff, v10
	s_xor_b32 s13, exec_lo, s13
	s_cbranch_execz .LBB94_2027
; %bb.1575:
	v_bfe_u32 v9, v10, 20, 1
	s_mov_b32 s11, exec_lo
	s_delay_alu instid0(VALU_DEP_1) | instskip(NEXT) | instid1(VALU_DEP_1)
	v_add3_u32 v9, v10, v9, 0x487ffff
                                        ; implicit-def: $vgpr10
	v_lshrrev_b32_e32 v9, 20, v9
	s_and_not1_saveexec_b32 s13, s13
	s_cbranch_execnz .LBB94_2028
.LBB94_1576:
	s_or_b32 exec_lo, exec_lo, s13
	v_mov_b32_e32 v11, 0
	s_and_saveexec_b32 s13, s11
.LBB94_1577:
	v_mov_b32_e32 v11, v9
.LBB94_1578:
	s_or_b32 exec_lo, exec_lo, s13
.LBB94_1579:
	s_delay_alu instid0(SALU_CYCLE_1)
	s_or_b32 exec_lo, exec_lo, s10
	global_store_b8 v[0:1], v11, off
.LBB94_1580:
	s_mov_b32 s10, -1
.LBB94_1581:
	s_mov_b32 s11, 0
.LBB94_1582:
	s_delay_alu instid0(SALU_CYCLE_1)
	s_and_b32 vcc_lo, exec_lo, s11
	s_cbranch_vccz .LBB94_1622
; %bb.1583:
	s_cmp_gt_i32 s6, 22
	s_mov_b32 s7, -1
	s_cbranch_scc0 .LBB94_1615
; %bb.1584:
	s_cmp_lt_i32 s6, 24
	s_cbranch_scc1 .LBB94_1604
; %bb.1585:
	s_cmp_gt_i32 s6, 24
	s_cbranch_scc0 .LBB94_1593
; %bb.1586:
	s_wait_xcnt 0x0
	v_cndmask_b32_e64 v10, 0, 1.0, s1
	v_mov_b32_e32 v11, 0x80
	s_mov_b32 s7, exec_lo
	s_delay_alu instid0(VALU_DEP_2)
	v_cmpx_gt_u32_e32 0x47800000, v10
	s_cbranch_execz .LBB94_1592
; %bb.1587:
	s_mov_b32 s10, 0
	s_mov_b32 s11, exec_lo
                                        ; implicit-def: $vgpr9
	v_cmpx_lt_u32_e32 0x37ffffff, v10
	s_xor_b32 s11, exec_lo, s11
	s_cbranch_execz .LBB94_2030
; %bb.1588:
	v_bfe_u32 v9, v10, 21, 1
	s_mov_b32 s10, exec_lo
	s_delay_alu instid0(VALU_DEP_1) | instskip(NEXT) | instid1(VALU_DEP_1)
	v_add3_u32 v9, v10, v9, 0x88fffff
                                        ; implicit-def: $vgpr10
	v_lshrrev_b32_e32 v9, 21, v9
	s_and_not1_saveexec_b32 s11, s11
	s_cbranch_execnz .LBB94_2031
.LBB94_1589:
	s_or_b32 exec_lo, exec_lo, s11
	v_mov_b32_e32 v11, 0
	s_and_saveexec_b32 s11, s10
.LBB94_1590:
	v_mov_b32_e32 v11, v9
.LBB94_1591:
	s_or_b32 exec_lo, exec_lo, s11
.LBB94_1592:
	s_delay_alu instid0(SALU_CYCLE_1)
	s_or_b32 exec_lo, exec_lo, s7
	s_mov_b32 s7, 0
	global_store_b8 v[0:1], v11, off
.LBB94_1593:
	s_and_b32 vcc_lo, exec_lo, s7
	s_cbranch_vccz .LBB94_1603
; %bb.1594:
	s_wait_xcnt 0x0
	v_cndmask_b32_e64 v10, 0, 1.0, s1
	s_mov_b32 s7, exec_lo
                                        ; implicit-def: $vgpr9
	s_delay_alu instid0(VALU_DEP_1)
	v_cmpx_gt_u32_e32 0x43f00000, v10
	s_xor_b32 s7, exec_lo, s7
	s_cbranch_execz .LBB94_1600
; %bb.1595:
	s_mov_b32 s10, exec_lo
                                        ; implicit-def: $vgpr9
	v_cmpx_lt_u32_e32 0x3c7fffff, v10
	s_xor_b32 s10, exec_lo, s10
; %bb.1596:
	v_bfe_u32 v9, v10, 20, 1
	s_delay_alu instid0(VALU_DEP_1) | instskip(NEXT) | instid1(VALU_DEP_1)
	v_add3_u32 v9, v10, v9, 0x407ffff
	v_and_b32_e32 v10, 0xff00000, v9
	v_lshrrev_b32_e32 v9, 20, v9
	s_delay_alu instid0(VALU_DEP_2) | instskip(NEXT) | instid1(VALU_DEP_2)
	v_cmp_ne_u32_e32 vcc_lo, 0x7f00000, v10
                                        ; implicit-def: $vgpr10
	v_cndmask_b32_e32 v9, 0x7e, v9, vcc_lo
; %bb.1597:
	s_and_not1_saveexec_b32 s10, s10
; %bb.1598:
	v_add_f32_e32 v9, 0x46800000, v10
; %bb.1599:
	s_or_b32 exec_lo, exec_lo, s10
                                        ; implicit-def: $vgpr10
.LBB94_1600:
	s_and_not1_saveexec_b32 s7, s7
; %bb.1601:
	v_mov_b32_e32 v9, 0x7f
	v_cmp_lt_u32_e32 vcc_lo, 0x7f800000, v10
	s_delay_alu instid0(VALU_DEP_2)
	v_cndmask_b32_e32 v9, 0x7e, v9, vcc_lo
; %bb.1602:
	s_or_b32 exec_lo, exec_lo, s7
	global_store_b8 v[0:1], v9, off
.LBB94_1603:
	s_mov_b32 s7, 0
.LBB94_1604:
	s_delay_alu instid0(SALU_CYCLE_1)
	s_and_not1_b32 vcc_lo, exec_lo, s7
	s_cbranch_vccnz .LBB94_1614
; %bb.1605:
	s_wait_xcnt 0x0
	v_cndmask_b32_e64 v10, 0, 1.0, s1
	s_mov_b32 s7, exec_lo
                                        ; implicit-def: $vgpr9
	s_delay_alu instid0(VALU_DEP_1)
	v_cmpx_gt_u32_e32 0x47800000, v10
	s_xor_b32 s7, exec_lo, s7
	s_cbranch_execz .LBB94_1611
; %bb.1606:
	s_mov_b32 s10, exec_lo
                                        ; implicit-def: $vgpr9
	v_cmpx_lt_u32_e32 0x387fffff, v10
	s_xor_b32 s10, exec_lo, s10
; %bb.1607:
	v_bfe_u32 v9, v10, 21, 1
	s_delay_alu instid0(VALU_DEP_1) | instskip(NEXT) | instid1(VALU_DEP_1)
	v_add3_u32 v9, v10, v9, 0x80fffff
                                        ; implicit-def: $vgpr10
	v_lshrrev_b32_e32 v9, 21, v9
; %bb.1608:
	s_and_not1_saveexec_b32 s10, s10
; %bb.1609:
	v_add_f32_e32 v9, 0x43000000, v10
; %bb.1610:
	s_or_b32 exec_lo, exec_lo, s10
                                        ; implicit-def: $vgpr10
.LBB94_1611:
	s_and_not1_saveexec_b32 s7, s7
; %bb.1612:
	v_mov_b32_e32 v9, 0x7f
	v_cmp_lt_u32_e32 vcc_lo, 0x7f800000, v10
	s_delay_alu instid0(VALU_DEP_2)
	v_cndmask_b32_e32 v9, 0x7c, v9, vcc_lo
; %bb.1613:
	s_or_b32 exec_lo, exec_lo, s7
	global_store_b8 v[0:1], v9, off
.LBB94_1614:
	s_mov_b32 s7, 0
	s_mov_b32 s10, -1
.LBB94_1615:
	s_and_not1_b32 vcc_lo, exec_lo, s7
	s_mov_b32 s7, 0
	s_cbranch_vccnz .LBB94_1622
; %bb.1616:
	s_cmp_gt_i32 s6, 14
	s_mov_b32 s7, -1
	s_cbranch_scc0 .LBB94_1620
; %bb.1617:
	s_cmp_eq_u32 s6, 15
	s_mov_b32 s2, -1
	s_cbranch_scc0 .LBB94_1619
; %bb.1618:
	s_wait_xcnt 0x0
	v_cndmask_b32_e64 v9, 0, 1.0, s1
	s_mov_b32 s2, 0
	s_mov_b32 s10, -1
	s_delay_alu instid0(VALU_DEP_1) | instskip(NEXT) | instid1(VALU_DEP_1)
	v_bfe_u32 v10, v9, 16, 1
	v_add3_u32 v9, v9, v10, 0x7fff
	global_store_d16_hi_b16 v[0:1], v9, off
.LBB94_1619:
	s_mov_b32 s7, 0
.LBB94_1620:
	s_delay_alu instid0(SALU_CYCLE_1)
	s_and_b32 vcc_lo, exec_lo, s7
	s_mov_b32 s7, 0
	s_cbranch_vccz .LBB94_1622
; %bb.1621:
	s_cmp_lg_u32 s6, 11
	s_mov_b32 s7, -1
	s_cselect_b32 s2, -1, 0
.LBB94_1622:
	s_delay_alu instid0(SALU_CYCLE_1)
	s_and_b32 vcc_lo, exec_lo, s2
	s_cbranch_vccnz .LBB94_2029
; %bb.1623:
	s_and_not1_b32 vcc_lo, exec_lo, s7
	s_cbranch_vccnz .LBB94_1625
.LBB94_1624:
	s_wait_xcnt 0x0
	v_cndmask_b32_e64 v9, 0, 1, s1
	s_mov_b32 s10, -1
	global_store_b8 v[0:1], v9, off
.LBB94_1625:
.LBB94_1626:
	s_and_not1_b32 vcc_lo, exec_lo, s10
	s_cbranch_vccnz .LBB94_1980
	s_branch .LBB94_1666
.LBB94_1627:
	s_and_b32 vcc_lo, exec_lo, s2
	s_cbranch_vccz .LBB94_1626
; %bb.1628:
	s_and_b32 s2, 0xffff, s17
	s_mov_b32 s6, -1
	s_cmp_lt_i32 s2, 5
	s_cbranch_scc1 .LBB94_1649
; %bb.1629:
	s_cmp_lt_i32 s2, 8
	s_cbranch_scc1 .LBB94_1639
; %bb.1630:
	;; [unrolled: 3-line block ×3, first 2 shown]
	s_cmp_gt_i32 s2, 9
	s_cbranch_scc0 .LBB94_1633
; %bb.1632:
	s_wait_xcnt 0x0
	v_cndmask_b32_e64 v9, 0, 1, s1
	v_mov_b32_e32 v12, 0
	s_mov_b32 s6, 0
	s_delay_alu instid0(VALU_DEP_2) | instskip(NEXT) | instid1(VALU_DEP_2)
	v_cvt_f64_u32_e32 v[10:11], v9
	v_mov_b32_e32 v13, v12
	global_store_b128 v[0:1], v[10:13], off
.LBB94_1633:
	s_and_not1_b32 vcc_lo, exec_lo, s6
	s_cbranch_vccnz .LBB94_1635
; %bb.1634:
	s_wait_xcnt 0x0
	v_cndmask_b32_e64 v10, 0, 1.0, s1
	v_mov_b32_e32 v11, 0
	global_store_b64 v[0:1], v[10:11], off
.LBB94_1635:
	s_mov_b32 s6, 0
.LBB94_1636:
	s_delay_alu instid0(SALU_CYCLE_1)
	s_and_not1_b32 vcc_lo, exec_lo, s6
	s_cbranch_vccnz .LBB94_1638
; %bb.1637:
	s_wait_xcnt 0x0
	v_cndmask_b32_e64 v9, 0, 1.0, s1
	s_delay_alu instid0(VALU_DEP_1) | instskip(NEXT) | instid1(VALU_DEP_1)
	v_cvt_f16_f32_e32 v9, v9
	v_and_b32_e32 v9, 0xffff, v9
	global_store_b32 v[0:1], v9, off
.LBB94_1638:
	s_mov_b32 s6, 0
.LBB94_1639:
	s_delay_alu instid0(SALU_CYCLE_1)
	s_and_not1_b32 vcc_lo, exec_lo, s6
	s_cbranch_vccnz .LBB94_1648
; %bb.1640:
	s_cmp_lt_i32 s2, 6
	s_mov_b32 s6, -1
	s_cbranch_scc1 .LBB94_1646
; %bb.1641:
	s_cmp_gt_i32 s2, 6
	s_cbranch_scc0 .LBB94_1643
; %bb.1642:
	s_wait_xcnt 0x0
	v_cndmask_b32_e64 v9, 0, 1, s1
	s_mov_b32 s6, 0
	s_delay_alu instid0(VALU_DEP_1)
	v_cvt_f64_u32_e32 v[10:11], v9
	global_store_b64 v[0:1], v[10:11], off
.LBB94_1643:
	s_and_not1_b32 vcc_lo, exec_lo, s6
	s_cbranch_vccnz .LBB94_1645
; %bb.1644:
	s_wait_xcnt 0x0
	v_cndmask_b32_e64 v9, 0, 1.0, s1
	global_store_b32 v[0:1], v9, off
.LBB94_1645:
	s_mov_b32 s6, 0
.LBB94_1646:
	s_delay_alu instid0(SALU_CYCLE_1)
	s_and_not1_b32 vcc_lo, exec_lo, s6
	s_cbranch_vccnz .LBB94_1648
; %bb.1647:
	s_wait_xcnt 0x0
	v_cndmask_b32_e64 v9, 0, 1.0, s1
	s_delay_alu instid0(VALU_DEP_1)
	v_cvt_f16_f32_e32 v9, v9
	global_store_b16 v[0:1], v9, off
.LBB94_1648:
	s_mov_b32 s6, 0
.LBB94_1649:
	s_delay_alu instid0(SALU_CYCLE_1)
	s_and_not1_b32 vcc_lo, exec_lo, s6
	s_cbranch_vccnz .LBB94_1665
; %bb.1650:
	s_cmp_lt_i32 s2, 2
	s_mov_b32 s6, -1
	s_cbranch_scc1 .LBB94_1660
; %bb.1651:
	s_cmp_lt_i32 s2, 3
	s_cbranch_scc1 .LBB94_1657
; %bb.1652:
	s_cmp_gt_i32 s2, 3
	s_cbranch_scc0 .LBB94_1654
; %bb.1653:
	s_mov_b32 s6, 0
	s_wait_xcnt 0x0
	v_cndmask_b32_e64 v10, 0, 1, s1
	v_mov_b32_e32 v11, s6
	global_store_b64 v[0:1], v[10:11], off
.LBB94_1654:
	s_and_not1_b32 vcc_lo, exec_lo, s6
	s_cbranch_vccnz .LBB94_1656
; %bb.1655:
	s_wait_xcnt 0x0
	v_cndmask_b32_e64 v9, 0, 1, s1
	global_store_b32 v[0:1], v9, off
.LBB94_1656:
	s_mov_b32 s6, 0
.LBB94_1657:
	s_delay_alu instid0(SALU_CYCLE_1)
	s_and_not1_b32 vcc_lo, exec_lo, s6
	s_cbranch_vccnz .LBB94_1659
; %bb.1658:
	s_wait_xcnt 0x0
	v_cndmask_b32_e64 v9, 0, 1, s1
	global_store_b16 v[0:1], v9, off
.LBB94_1659:
	s_mov_b32 s6, 0
.LBB94_1660:
	s_delay_alu instid0(SALU_CYCLE_1)
	s_and_not1_b32 vcc_lo, exec_lo, s6
	s_cbranch_vccnz .LBB94_1665
; %bb.1661:
	s_wait_xcnt 0x0
	v_cndmask_b32_e64 v9, 0, 1, s1
	s_cmp_gt_i32 s2, 0
	s_mov_b32 s1, -1
	s_cbranch_scc0 .LBB94_1663
; %bb.1662:
	s_mov_b32 s1, 0
	global_store_b8 v[0:1], v9, off
.LBB94_1663:
	s_and_not1_b32 vcc_lo, exec_lo, s1
	s_cbranch_vccnz .LBB94_1665
; %bb.1664:
	global_store_b8 v[0:1], v9, off
.LBB94_1665:
.LBB94_1666:
	v_cmp_eq_f64_e32 vcc_lo, s[8:9], v[2:3]
	s_lshl_b32 s6, s12, 7
	s_cmp_lt_i32 s17, 11
	s_wait_xcnt 0x0
	v_cndmask_b32_e64 v1, 0, 1, vcc_lo
	v_cmp_neq_f64_e32 vcc_lo, s[8:9], v[2:3]
	v_cndmask_b32_e64 v2, 0, 1, vcc_lo
	s_delay_alu instid0(VALU_DEP_1) | instskip(NEXT) | instid1(VALU_DEP_1)
	v_dual_add_nc_u32 v0, s6, v8 :: v_dual_cndmask_b32 v2, v2, v1, s0
	v_dual_ashrrev_i32 v1, 31, v0 :: v_dual_bitop2_b32 v8, 1, v2 bitop3:0x40
	s_delay_alu instid0(VALU_DEP_1) | instskip(NEXT) | instid1(VALU_DEP_2)
	v_add_nc_u64_e32 v[2:3], s[4:5], v[0:1]
	v_cmp_eq_u32_e64 s1, 1, v8
	s_cbranch_scc1 .LBB94_1744
; %bb.1667:
	s_and_b32 s7, 0xffff, s17
	s_mov_b32 s12, -1
	s_mov_b32 s10, 0
	s_cmp_gt_i32 s7, 25
	s_mov_b32 s11, 0
	s_mov_b32 s2, 0
	s_cbranch_scc0 .LBB94_1700
; %bb.1668:
	s_cmp_gt_i32 s7, 28
	s_cbranch_scc0 .LBB94_1683
; %bb.1669:
	s_cmp_gt_i32 s7, 43
	;; [unrolled: 3-line block ×3, first 2 shown]
	s_cbranch_scc0 .LBB94_1673
; %bb.1671:
	s_mov_b32 s2, -1
	s_mov_b32 s12, 0
	s_cmp_eq_u32 s7, 46
	s_cbranch_scc0 .LBB94_1673
; %bb.1672:
	v_cndmask_b32_e64 v1, 0, 1.0, s1
	s_mov_b32 s2, 0
	s_mov_b32 s11, -1
	s_delay_alu instid0(VALU_DEP_1) | instskip(NEXT) | instid1(VALU_DEP_1)
	v_bfe_u32 v8, v1, 16, 1
	v_add3_u32 v1, v1, v8, 0x7fff
	s_delay_alu instid0(VALU_DEP_1)
	v_lshrrev_b32_e32 v1, 16, v1
	global_store_b32 v[2:3], v1, off
.LBB94_1673:
	s_and_b32 vcc_lo, exec_lo, s12
	s_cbranch_vccz .LBB94_1678
; %bb.1674:
	s_cmp_eq_u32 s7, 44
	s_mov_b32 s2, -1
	s_cbranch_scc0 .LBB94_1678
; %bb.1675:
	v_cndmask_b32_e64 v9, 0, 1.0, s1
	s_mov_b32 s11, exec_lo
	s_wait_xcnt 0x0
	s_delay_alu instid0(VALU_DEP_1) | instskip(NEXT) | instid1(VALU_DEP_1)
	v_dual_mov_b32 v8, 0xff :: v_dual_lshrrev_b32 v1, 23, v9
	v_cmpx_ne_u32_e32 0xff, v1
; %bb.1676:
	v_and_b32_e32 v8, 0x400000, v9
	v_and_or_b32 v9, 0x3fffff, v9, v1
	s_delay_alu instid0(VALU_DEP_2) | instskip(NEXT) | instid1(VALU_DEP_2)
	v_cmp_ne_u32_e32 vcc_lo, 0, v8
	v_cmp_ne_u32_e64 s2, 0, v9
	s_and_b32 s2, vcc_lo, s2
	s_delay_alu instid0(SALU_CYCLE_1) | instskip(NEXT) | instid1(VALU_DEP_1)
	v_cndmask_b32_e64 v8, 0, 1, s2
	v_add_nc_u32_e32 v8, v1, v8
; %bb.1677:
	s_or_b32 exec_lo, exec_lo, s11
	s_mov_b32 s2, 0
	s_mov_b32 s11, -1
	global_store_b8 v[2:3], v8, off
.LBB94_1678:
	s_mov_b32 s12, 0
.LBB94_1679:
	s_delay_alu instid0(SALU_CYCLE_1)
	s_and_b32 vcc_lo, exec_lo, s12
	s_cbranch_vccz .LBB94_1682
; %bb.1680:
	s_cmp_eq_u32 s7, 29
	s_mov_b32 s2, -1
	s_cbranch_scc0 .LBB94_1682
; %bb.1681:
	s_mov_b32 s2, 0
	s_wait_xcnt 0x0
	v_cndmask_b32_e64 v8, 0, 1, s1
	v_mov_b32_e32 v9, s2
	s_mov_b32 s11, -1
	global_store_b64 v[2:3], v[8:9], off
.LBB94_1682:
	s_mov_b32 s12, 0
.LBB94_1683:
	s_delay_alu instid0(SALU_CYCLE_1)
	s_and_b32 vcc_lo, exec_lo, s12
	s_cbranch_vccz .LBB94_1699
; %bb.1684:
	s_cmp_lt_i32 s7, 27
	s_mov_b32 s11, -1
	s_cbranch_scc1 .LBB94_1690
; %bb.1685:
	s_cmp_gt_i32 s7, 27
	s_cbranch_scc0 .LBB94_1687
; %bb.1686:
	s_wait_xcnt 0x0
	v_cndmask_b32_e64 v1, 0, 1, s1
	s_mov_b32 s11, 0
	global_store_b32 v[2:3], v1, off
.LBB94_1687:
	s_and_not1_b32 vcc_lo, exec_lo, s11
	s_cbranch_vccnz .LBB94_1689
; %bb.1688:
	s_wait_xcnt 0x0
	v_cndmask_b32_e64 v1, 0, 1, s1
	global_store_b16 v[2:3], v1, off
.LBB94_1689:
	s_mov_b32 s11, 0
.LBB94_1690:
	s_delay_alu instid0(SALU_CYCLE_1)
	s_and_not1_b32 vcc_lo, exec_lo, s11
	s_cbranch_vccnz .LBB94_1698
; %bb.1691:
	s_wait_xcnt 0x0
	v_cndmask_b32_e64 v8, 0, 1.0, s1
	v_mov_b32_e32 v9, 0x80
	s_mov_b32 s11, exec_lo
	s_delay_alu instid0(VALU_DEP_2)
	v_cmpx_gt_u32_e32 0x43800000, v8
	s_cbranch_execz .LBB94_1697
; %bb.1692:
	s_mov_b32 s12, 0
	s_mov_b32 s13, exec_lo
                                        ; implicit-def: $vgpr1
	v_cmpx_lt_u32_e32 0x3bffffff, v8
	s_xor_b32 s13, exec_lo, s13
	s_cbranch_execz .LBB94_2032
; %bb.1693:
	v_bfe_u32 v1, v8, 20, 1
	s_mov_b32 s12, exec_lo
	s_delay_alu instid0(VALU_DEP_1) | instskip(NEXT) | instid1(VALU_DEP_1)
	v_add3_u32 v1, v8, v1, 0x487ffff
                                        ; implicit-def: $vgpr8
	v_lshrrev_b32_e32 v1, 20, v1
	s_and_not1_saveexec_b32 s13, s13
	s_cbranch_execnz .LBB94_2033
.LBB94_1694:
	s_or_b32 exec_lo, exec_lo, s13
	v_mov_b32_e32 v9, 0
	s_and_saveexec_b32 s13, s12
.LBB94_1695:
	v_mov_b32_e32 v9, v1
.LBB94_1696:
	s_or_b32 exec_lo, exec_lo, s13
.LBB94_1697:
	s_delay_alu instid0(SALU_CYCLE_1)
	s_or_b32 exec_lo, exec_lo, s11
	global_store_b8 v[2:3], v9, off
.LBB94_1698:
	s_mov_b32 s11, -1
.LBB94_1699:
	s_mov_b32 s12, 0
.LBB94_1700:
	s_delay_alu instid0(SALU_CYCLE_1)
	s_and_b32 vcc_lo, exec_lo, s12
	s_cbranch_vccz .LBB94_1740
; %bb.1701:
	s_cmp_gt_i32 s7, 22
	s_mov_b32 s10, -1
	s_cbranch_scc0 .LBB94_1733
; %bb.1702:
	s_cmp_lt_i32 s7, 24
	s_cbranch_scc1 .LBB94_1722
; %bb.1703:
	s_cmp_gt_i32 s7, 24
	s_cbranch_scc0 .LBB94_1711
; %bb.1704:
	s_wait_xcnt 0x0
	v_cndmask_b32_e64 v8, 0, 1.0, s1
	v_mov_b32_e32 v9, 0x80
	s_mov_b32 s10, exec_lo
	s_delay_alu instid0(VALU_DEP_2)
	v_cmpx_gt_u32_e32 0x47800000, v8
	s_cbranch_execz .LBB94_1710
; %bb.1705:
	s_mov_b32 s11, 0
	s_mov_b32 s12, exec_lo
                                        ; implicit-def: $vgpr1
	v_cmpx_lt_u32_e32 0x37ffffff, v8
	s_xor_b32 s12, exec_lo, s12
	s_cbranch_execz .LBB94_2035
; %bb.1706:
	v_bfe_u32 v1, v8, 21, 1
	s_mov_b32 s11, exec_lo
	s_delay_alu instid0(VALU_DEP_1) | instskip(NEXT) | instid1(VALU_DEP_1)
	v_add3_u32 v1, v8, v1, 0x88fffff
                                        ; implicit-def: $vgpr8
	v_lshrrev_b32_e32 v1, 21, v1
	s_and_not1_saveexec_b32 s12, s12
	s_cbranch_execnz .LBB94_2036
.LBB94_1707:
	s_or_b32 exec_lo, exec_lo, s12
	v_mov_b32_e32 v9, 0
	s_and_saveexec_b32 s12, s11
.LBB94_1708:
	v_mov_b32_e32 v9, v1
.LBB94_1709:
	s_or_b32 exec_lo, exec_lo, s12
.LBB94_1710:
	s_delay_alu instid0(SALU_CYCLE_1)
	s_or_b32 exec_lo, exec_lo, s10
	s_mov_b32 s10, 0
	global_store_b8 v[2:3], v9, off
.LBB94_1711:
	s_and_b32 vcc_lo, exec_lo, s10
	s_cbranch_vccz .LBB94_1721
; %bb.1712:
	s_wait_xcnt 0x0
	v_cndmask_b32_e64 v8, 0, 1.0, s1
	s_mov_b32 s10, exec_lo
                                        ; implicit-def: $vgpr1
	s_delay_alu instid0(VALU_DEP_1)
	v_cmpx_gt_u32_e32 0x43f00000, v8
	s_xor_b32 s10, exec_lo, s10
	s_cbranch_execz .LBB94_1718
; %bb.1713:
	s_mov_b32 s11, exec_lo
                                        ; implicit-def: $vgpr1
	v_cmpx_lt_u32_e32 0x3c7fffff, v8
	s_xor_b32 s11, exec_lo, s11
; %bb.1714:
	v_bfe_u32 v1, v8, 20, 1
	s_delay_alu instid0(VALU_DEP_1) | instskip(NEXT) | instid1(VALU_DEP_1)
	v_add3_u32 v1, v8, v1, 0x407ffff
	v_and_b32_e32 v8, 0xff00000, v1
	v_lshrrev_b32_e32 v1, 20, v1
	s_delay_alu instid0(VALU_DEP_2) | instskip(NEXT) | instid1(VALU_DEP_2)
	v_cmp_ne_u32_e32 vcc_lo, 0x7f00000, v8
                                        ; implicit-def: $vgpr8
	v_cndmask_b32_e32 v1, 0x7e, v1, vcc_lo
; %bb.1715:
	s_and_not1_saveexec_b32 s11, s11
; %bb.1716:
	v_add_f32_e32 v1, 0x46800000, v8
; %bb.1717:
	s_or_b32 exec_lo, exec_lo, s11
                                        ; implicit-def: $vgpr8
.LBB94_1718:
	s_and_not1_saveexec_b32 s10, s10
; %bb.1719:
	v_mov_b32_e32 v1, 0x7f
	v_cmp_lt_u32_e32 vcc_lo, 0x7f800000, v8
	s_delay_alu instid0(VALU_DEP_2)
	v_cndmask_b32_e32 v1, 0x7e, v1, vcc_lo
; %bb.1720:
	s_or_b32 exec_lo, exec_lo, s10
	global_store_b8 v[2:3], v1, off
.LBB94_1721:
	s_mov_b32 s10, 0
.LBB94_1722:
	s_delay_alu instid0(SALU_CYCLE_1)
	s_and_not1_b32 vcc_lo, exec_lo, s10
	s_cbranch_vccnz .LBB94_1732
; %bb.1723:
	s_wait_xcnt 0x0
	v_cndmask_b32_e64 v8, 0, 1.0, s1
	s_mov_b32 s10, exec_lo
                                        ; implicit-def: $vgpr1
	s_delay_alu instid0(VALU_DEP_1)
	v_cmpx_gt_u32_e32 0x47800000, v8
	s_xor_b32 s10, exec_lo, s10
	s_cbranch_execz .LBB94_1729
; %bb.1724:
	s_mov_b32 s11, exec_lo
                                        ; implicit-def: $vgpr1
	v_cmpx_lt_u32_e32 0x387fffff, v8
	s_xor_b32 s11, exec_lo, s11
; %bb.1725:
	v_bfe_u32 v1, v8, 21, 1
	s_delay_alu instid0(VALU_DEP_1) | instskip(NEXT) | instid1(VALU_DEP_1)
	v_add3_u32 v1, v8, v1, 0x80fffff
                                        ; implicit-def: $vgpr8
	v_lshrrev_b32_e32 v1, 21, v1
; %bb.1726:
	s_and_not1_saveexec_b32 s11, s11
; %bb.1727:
	v_add_f32_e32 v1, 0x43000000, v8
; %bb.1728:
	s_or_b32 exec_lo, exec_lo, s11
                                        ; implicit-def: $vgpr8
.LBB94_1729:
	s_and_not1_saveexec_b32 s10, s10
; %bb.1730:
	v_mov_b32_e32 v1, 0x7f
	v_cmp_lt_u32_e32 vcc_lo, 0x7f800000, v8
	s_delay_alu instid0(VALU_DEP_2)
	v_cndmask_b32_e32 v1, 0x7c, v1, vcc_lo
; %bb.1731:
	s_or_b32 exec_lo, exec_lo, s10
	global_store_b8 v[2:3], v1, off
.LBB94_1732:
	s_mov_b32 s10, 0
	s_mov_b32 s11, -1
.LBB94_1733:
	s_and_not1_b32 vcc_lo, exec_lo, s10
	s_mov_b32 s10, 0
	s_cbranch_vccnz .LBB94_1740
; %bb.1734:
	s_cmp_gt_i32 s7, 14
	s_mov_b32 s10, -1
	s_cbranch_scc0 .LBB94_1738
; %bb.1735:
	s_cmp_eq_u32 s7, 15
	s_mov_b32 s2, -1
	s_cbranch_scc0 .LBB94_1737
; %bb.1736:
	s_wait_xcnt 0x0
	v_cndmask_b32_e64 v1, 0, 1.0, s1
	s_mov_b32 s2, 0
	s_mov_b32 s11, -1
	s_delay_alu instid0(VALU_DEP_1) | instskip(NEXT) | instid1(VALU_DEP_1)
	v_bfe_u32 v8, v1, 16, 1
	v_add3_u32 v1, v1, v8, 0x7fff
	global_store_d16_hi_b16 v[2:3], v1, off
.LBB94_1737:
	s_mov_b32 s10, 0
.LBB94_1738:
	s_delay_alu instid0(SALU_CYCLE_1)
	s_and_b32 vcc_lo, exec_lo, s10
	s_mov_b32 s10, 0
	s_cbranch_vccz .LBB94_1740
; %bb.1739:
	s_cmp_lg_u32 s7, 11
	s_mov_b32 s10, -1
	s_cselect_b32 s2, -1, 0
.LBB94_1740:
	s_delay_alu instid0(SALU_CYCLE_1)
	s_and_b32 vcc_lo, exec_lo, s2
	s_cbranch_vccnz .LBB94_2034
; %bb.1741:
	s_and_not1_b32 vcc_lo, exec_lo, s10
	s_cbranch_vccnz .LBB94_1743
.LBB94_1742:
	s_wait_xcnt 0x0
	v_cndmask_b32_e64 v1, 0, 1, s1
	s_mov_b32 s11, -1
	global_store_b8 v[2:3], v1, off
.LBB94_1743:
	s_mov_b32 s2, 0
	s_branch .LBB94_1745
.LBB94_1744:
	s_mov_b32 s2, -1
	s_mov_b32 s11, 0
.LBB94_1745:
	s_and_b32 vcc_lo, exec_lo, s2
	s_cbranch_vccz .LBB94_1784
; %bb.1746:
	s_and_b32 s2, 0xffff, s17
	s_mov_b32 s7, -1
	s_cmp_lt_i32 s2, 5
	s_cbranch_scc1 .LBB94_1767
; %bb.1747:
	s_cmp_lt_i32 s2, 8
	s_cbranch_scc1 .LBB94_1757
; %bb.1748:
	;; [unrolled: 3-line block ×3, first 2 shown]
	s_cmp_gt_i32 s2, 9
	s_cbranch_scc0 .LBB94_1751
; %bb.1750:
	s_wait_xcnt 0x0
	v_cndmask_b32_e64 v1, 0, 1, s1
	v_mov_b32_e32 v10, 0
	s_mov_b32 s7, 0
	s_delay_alu instid0(VALU_DEP_2) | instskip(NEXT) | instid1(VALU_DEP_2)
	v_cvt_f64_u32_e32 v[8:9], v1
	v_mov_b32_e32 v11, v10
	global_store_b128 v[2:3], v[8:11], off
.LBB94_1751:
	s_and_not1_b32 vcc_lo, exec_lo, s7
	s_cbranch_vccnz .LBB94_1753
; %bb.1752:
	s_wait_xcnt 0x0
	v_cndmask_b32_e64 v8, 0, 1.0, s1
	v_mov_b32_e32 v9, 0
	global_store_b64 v[2:3], v[8:9], off
.LBB94_1753:
	s_mov_b32 s7, 0
.LBB94_1754:
	s_delay_alu instid0(SALU_CYCLE_1)
	s_and_not1_b32 vcc_lo, exec_lo, s7
	s_cbranch_vccnz .LBB94_1756
; %bb.1755:
	s_wait_xcnt 0x0
	v_cndmask_b32_e64 v1, 0, 1.0, s1
	s_delay_alu instid0(VALU_DEP_1) | instskip(NEXT) | instid1(VALU_DEP_1)
	v_cvt_f16_f32_e32 v1, v1
	v_and_b32_e32 v1, 0xffff, v1
	global_store_b32 v[2:3], v1, off
.LBB94_1756:
	s_mov_b32 s7, 0
.LBB94_1757:
	s_delay_alu instid0(SALU_CYCLE_1)
	s_and_not1_b32 vcc_lo, exec_lo, s7
	s_cbranch_vccnz .LBB94_1766
; %bb.1758:
	s_cmp_lt_i32 s2, 6
	s_mov_b32 s7, -1
	s_cbranch_scc1 .LBB94_1764
; %bb.1759:
	s_cmp_gt_i32 s2, 6
	s_cbranch_scc0 .LBB94_1761
; %bb.1760:
	s_wait_xcnt 0x0
	v_cndmask_b32_e64 v1, 0, 1, s1
	s_mov_b32 s7, 0
	s_delay_alu instid0(VALU_DEP_1)
	v_cvt_f64_u32_e32 v[8:9], v1
	global_store_b64 v[2:3], v[8:9], off
.LBB94_1761:
	s_and_not1_b32 vcc_lo, exec_lo, s7
	s_cbranch_vccnz .LBB94_1763
; %bb.1762:
	s_wait_xcnt 0x0
	v_cndmask_b32_e64 v1, 0, 1.0, s1
	global_store_b32 v[2:3], v1, off
.LBB94_1763:
	s_mov_b32 s7, 0
.LBB94_1764:
	s_delay_alu instid0(SALU_CYCLE_1)
	s_and_not1_b32 vcc_lo, exec_lo, s7
	s_cbranch_vccnz .LBB94_1766
; %bb.1765:
	s_wait_xcnt 0x0
	v_cndmask_b32_e64 v1, 0, 1.0, s1
	s_delay_alu instid0(VALU_DEP_1)
	v_cvt_f16_f32_e32 v1, v1
	global_store_b16 v[2:3], v1, off
.LBB94_1766:
	s_mov_b32 s7, 0
.LBB94_1767:
	s_delay_alu instid0(SALU_CYCLE_1)
	s_and_not1_b32 vcc_lo, exec_lo, s7
	s_cbranch_vccnz .LBB94_1783
; %bb.1768:
	s_cmp_lt_i32 s2, 2
	s_mov_b32 s7, -1
	s_cbranch_scc1 .LBB94_1778
; %bb.1769:
	s_cmp_lt_i32 s2, 3
	s_cbranch_scc1 .LBB94_1775
; %bb.1770:
	s_cmp_gt_i32 s2, 3
	s_cbranch_scc0 .LBB94_1772
; %bb.1771:
	s_mov_b32 s7, 0
	s_wait_xcnt 0x0
	v_cndmask_b32_e64 v8, 0, 1, s1
	v_mov_b32_e32 v9, s7
	global_store_b64 v[2:3], v[8:9], off
.LBB94_1772:
	s_and_not1_b32 vcc_lo, exec_lo, s7
	s_cbranch_vccnz .LBB94_1774
; %bb.1773:
	s_wait_xcnt 0x0
	v_cndmask_b32_e64 v1, 0, 1, s1
	global_store_b32 v[2:3], v1, off
.LBB94_1774:
	s_mov_b32 s7, 0
.LBB94_1775:
	s_delay_alu instid0(SALU_CYCLE_1)
	s_and_not1_b32 vcc_lo, exec_lo, s7
	s_cbranch_vccnz .LBB94_1777
; %bb.1776:
	s_wait_xcnt 0x0
	v_cndmask_b32_e64 v1, 0, 1, s1
	global_store_b16 v[2:3], v1, off
.LBB94_1777:
	s_mov_b32 s7, 0
.LBB94_1778:
	s_delay_alu instid0(SALU_CYCLE_1)
	s_and_not1_b32 vcc_lo, exec_lo, s7
	s_cbranch_vccnz .LBB94_1783
; %bb.1779:
	s_wait_xcnt 0x0
	v_cndmask_b32_e64 v1, 0, 1, s1
	s_cmp_gt_i32 s2, 0
	s_mov_b32 s1, -1
	s_cbranch_scc0 .LBB94_1781
; %bb.1780:
	s_mov_b32 s1, 0
	global_store_b8 v[2:3], v1, off
.LBB94_1781:
	s_and_not1_b32 vcc_lo, exec_lo, s1
	s_cbranch_vccnz .LBB94_1783
; %bb.1782:
	global_store_b8 v[2:3], v1, off
.LBB94_1783:
	s_mov_b32 s11, -1
.LBB94_1784:
	s_delay_alu instid0(SALU_CYCLE_1)
	s_and_not1_b32 vcc_lo, exec_lo, s11
	s_cbranch_vccnz .LBB94_1980
; %bb.1785:
	v_cmp_eq_f64_e32 vcc_lo, s[8:9], v[4:5]
	s_cmp_lt_i32 s17, 11
	s_wait_xcnt 0x0
	v_cndmask_b32_e64 v1, 0, 1, vcc_lo
	v_cmp_neq_f64_e32 vcc_lo, s[8:9], v[4:5]
	v_cndmask_b32_e64 v2, 0, 1, vcc_lo
	s_delay_alu instid0(VALU_DEP_1) | instskip(NEXT) | instid1(VALU_DEP_1)
	v_dual_add_nc_u32 v0, s6, v0 :: v_dual_cndmask_b32 v2, v2, v1, s0
	v_dual_ashrrev_i32 v1, 31, v0 :: v_dual_bitop2_b32 v4, 1, v2 bitop3:0x40
	s_delay_alu instid0(VALU_DEP_1) | instskip(NEXT) | instid1(VALU_DEP_2)
	v_add_nc_u64_e32 v[2:3], s[4:5], v[0:1]
	v_cmp_eq_u32_e64 s1, 1, v4
	s_cbranch_scc1 .LBB94_1863
; %bb.1786:
	s_and_b32 s7, 0xffff, s17
	s_mov_b32 s12, -1
	s_mov_b32 s10, 0
	s_cmp_gt_i32 s7, 25
	s_mov_b32 s11, 0
	s_mov_b32 s2, 0
	s_cbranch_scc0 .LBB94_1819
; %bb.1787:
	s_cmp_gt_i32 s7, 28
	s_cbranch_scc0 .LBB94_1802
; %bb.1788:
	s_cmp_gt_i32 s7, 43
	;; [unrolled: 3-line block ×3, first 2 shown]
	s_cbranch_scc0 .LBB94_1792
; %bb.1790:
	s_mov_b32 s2, -1
	s_mov_b32 s12, 0
	s_cmp_eq_u32 s7, 46
	s_cbranch_scc0 .LBB94_1792
; %bb.1791:
	v_cndmask_b32_e64 v1, 0, 1.0, s1
	s_mov_b32 s2, 0
	s_mov_b32 s11, -1
	s_delay_alu instid0(VALU_DEP_1) | instskip(NEXT) | instid1(VALU_DEP_1)
	v_bfe_u32 v4, v1, 16, 1
	v_add3_u32 v1, v1, v4, 0x7fff
	s_delay_alu instid0(VALU_DEP_1)
	v_lshrrev_b32_e32 v1, 16, v1
	global_store_b32 v[2:3], v1, off
.LBB94_1792:
	s_and_b32 vcc_lo, exec_lo, s12
	s_cbranch_vccz .LBB94_1797
; %bb.1793:
	s_cmp_eq_u32 s7, 44
	s_mov_b32 s2, -1
	s_cbranch_scc0 .LBB94_1797
; %bb.1794:
	v_cndmask_b32_e64 v5, 0, 1.0, s1
	s_mov_b32 s11, exec_lo
	s_wait_xcnt 0x0
	s_delay_alu instid0(VALU_DEP_1) | instskip(NEXT) | instid1(VALU_DEP_1)
	v_dual_mov_b32 v4, 0xff :: v_dual_lshrrev_b32 v1, 23, v5
	v_cmpx_ne_u32_e32 0xff, v1
; %bb.1795:
	v_and_b32_e32 v4, 0x400000, v5
	v_and_or_b32 v5, 0x3fffff, v5, v1
	s_delay_alu instid0(VALU_DEP_2) | instskip(NEXT) | instid1(VALU_DEP_2)
	v_cmp_ne_u32_e32 vcc_lo, 0, v4
	v_cmp_ne_u32_e64 s2, 0, v5
	s_and_b32 s2, vcc_lo, s2
	s_delay_alu instid0(SALU_CYCLE_1) | instskip(NEXT) | instid1(VALU_DEP_1)
	v_cndmask_b32_e64 v4, 0, 1, s2
	v_add_nc_u32_e32 v4, v1, v4
; %bb.1796:
	s_or_b32 exec_lo, exec_lo, s11
	s_mov_b32 s2, 0
	s_mov_b32 s11, -1
	global_store_b8 v[2:3], v4, off
.LBB94_1797:
	s_mov_b32 s12, 0
.LBB94_1798:
	s_delay_alu instid0(SALU_CYCLE_1)
	s_and_b32 vcc_lo, exec_lo, s12
	s_cbranch_vccz .LBB94_1801
; %bb.1799:
	s_cmp_eq_u32 s7, 29
	s_mov_b32 s2, -1
	s_cbranch_scc0 .LBB94_1801
; %bb.1800:
	s_mov_b32 s2, 0
	s_wait_xcnt 0x0
	v_cndmask_b32_e64 v4, 0, 1, s1
	v_mov_b32_e32 v5, s2
	s_mov_b32 s11, -1
	global_store_b64 v[2:3], v[4:5], off
.LBB94_1801:
	s_mov_b32 s12, 0
.LBB94_1802:
	s_delay_alu instid0(SALU_CYCLE_1)
	s_and_b32 vcc_lo, exec_lo, s12
	s_cbranch_vccz .LBB94_1818
; %bb.1803:
	s_cmp_lt_i32 s7, 27
	s_mov_b32 s11, -1
	s_cbranch_scc1 .LBB94_1809
; %bb.1804:
	s_cmp_gt_i32 s7, 27
	s_cbranch_scc0 .LBB94_1806
; %bb.1805:
	s_wait_xcnt 0x0
	v_cndmask_b32_e64 v1, 0, 1, s1
	s_mov_b32 s11, 0
	global_store_b32 v[2:3], v1, off
.LBB94_1806:
	s_and_not1_b32 vcc_lo, exec_lo, s11
	s_cbranch_vccnz .LBB94_1808
; %bb.1807:
	s_wait_xcnt 0x0
	v_cndmask_b32_e64 v1, 0, 1, s1
	global_store_b16 v[2:3], v1, off
.LBB94_1808:
	s_mov_b32 s11, 0
.LBB94_1809:
	s_delay_alu instid0(SALU_CYCLE_1)
	s_and_not1_b32 vcc_lo, exec_lo, s11
	s_cbranch_vccnz .LBB94_1817
; %bb.1810:
	s_wait_xcnt 0x0
	v_cndmask_b32_e64 v4, 0, 1.0, s1
	v_mov_b32_e32 v5, 0x80
	s_mov_b32 s11, exec_lo
	s_delay_alu instid0(VALU_DEP_2)
	v_cmpx_gt_u32_e32 0x43800000, v4
	s_cbranch_execz .LBB94_1816
; %bb.1811:
	s_mov_b32 s12, 0
	s_mov_b32 s13, exec_lo
                                        ; implicit-def: $vgpr1
	v_cmpx_lt_u32_e32 0x3bffffff, v4
	s_xor_b32 s13, exec_lo, s13
	s_cbranch_execz .LBB94_2037
; %bb.1812:
	v_bfe_u32 v1, v4, 20, 1
	s_mov_b32 s12, exec_lo
	s_delay_alu instid0(VALU_DEP_1) | instskip(NEXT) | instid1(VALU_DEP_1)
	v_add3_u32 v1, v4, v1, 0x487ffff
                                        ; implicit-def: $vgpr4
	v_lshrrev_b32_e32 v1, 20, v1
	s_and_not1_saveexec_b32 s13, s13
	s_cbranch_execnz .LBB94_2038
.LBB94_1813:
	s_or_b32 exec_lo, exec_lo, s13
	v_mov_b32_e32 v5, 0
	s_and_saveexec_b32 s13, s12
.LBB94_1814:
	v_mov_b32_e32 v5, v1
.LBB94_1815:
	s_or_b32 exec_lo, exec_lo, s13
.LBB94_1816:
	s_delay_alu instid0(SALU_CYCLE_1)
	s_or_b32 exec_lo, exec_lo, s11
	global_store_b8 v[2:3], v5, off
.LBB94_1817:
	s_mov_b32 s11, -1
.LBB94_1818:
	s_mov_b32 s12, 0
.LBB94_1819:
	s_delay_alu instid0(SALU_CYCLE_1)
	s_and_b32 vcc_lo, exec_lo, s12
	s_cbranch_vccz .LBB94_1859
; %bb.1820:
	s_cmp_gt_i32 s7, 22
	s_mov_b32 s10, -1
	s_cbranch_scc0 .LBB94_1852
; %bb.1821:
	s_cmp_lt_i32 s7, 24
	s_cbranch_scc1 .LBB94_1841
; %bb.1822:
	s_cmp_gt_i32 s7, 24
	s_cbranch_scc0 .LBB94_1830
; %bb.1823:
	s_wait_xcnt 0x0
	v_cndmask_b32_e64 v4, 0, 1.0, s1
	v_mov_b32_e32 v5, 0x80
	s_mov_b32 s10, exec_lo
	s_delay_alu instid0(VALU_DEP_2)
	v_cmpx_gt_u32_e32 0x47800000, v4
	s_cbranch_execz .LBB94_1829
; %bb.1824:
	s_mov_b32 s11, 0
	s_mov_b32 s12, exec_lo
                                        ; implicit-def: $vgpr1
	v_cmpx_lt_u32_e32 0x37ffffff, v4
	s_xor_b32 s12, exec_lo, s12
	s_cbranch_execz .LBB94_2040
; %bb.1825:
	v_bfe_u32 v1, v4, 21, 1
	s_mov_b32 s11, exec_lo
	s_delay_alu instid0(VALU_DEP_1) | instskip(NEXT) | instid1(VALU_DEP_1)
	v_add3_u32 v1, v4, v1, 0x88fffff
                                        ; implicit-def: $vgpr4
	v_lshrrev_b32_e32 v1, 21, v1
	s_and_not1_saveexec_b32 s12, s12
	s_cbranch_execnz .LBB94_2041
.LBB94_1826:
	s_or_b32 exec_lo, exec_lo, s12
	v_mov_b32_e32 v5, 0
	s_and_saveexec_b32 s12, s11
.LBB94_1827:
	v_mov_b32_e32 v5, v1
.LBB94_1828:
	s_or_b32 exec_lo, exec_lo, s12
.LBB94_1829:
	s_delay_alu instid0(SALU_CYCLE_1)
	s_or_b32 exec_lo, exec_lo, s10
	s_mov_b32 s10, 0
	global_store_b8 v[2:3], v5, off
.LBB94_1830:
	s_and_b32 vcc_lo, exec_lo, s10
	s_cbranch_vccz .LBB94_1840
; %bb.1831:
	s_wait_xcnt 0x0
	v_cndmask_b32_e64 v4, 0, 1.0, s1
	s_mov_b32 s10, exec_lo
                                        ; implicit-def: $vgpr1
	s_delay_alu instid0(VALU_DEP_1)
	v_cmpx_gt_u32_e32 0x43f00000, v4
	s_xor_b32 s10, exec_lo, s10
	s_cbranch_execz .LBB94_1837
; %bb.1832:
	s_mov_b32 s11, exec_lo
                                        ; implicit-def: $vgpr1
	v_cmpx_lt_u32_e32 0x3c7fffff, v4
	s_xor_b32 s11, exec_lo, s11
; %bb.1833:
	v_bfe_u32 v1, v4, 20, 1
	s_delay_alu instid0(VALU_DEP_1) | instskip(NEXT) | instid1(VALU_DEP_1)
	v_add3_u32 v1, v4, v1, 0x407ffff
	v_and_b32_e32 v4, 0xff00000, v1
	v_lshrrev_b32_e32 v1, 20, v1
	s_delay_alu instid0(VALU_DEP_2) | instskip(NEXT) | instid1(VALU_DEP_2)
	v_cmp_ne_u32_e32 vcc_lo, 0x7f00000, v4
                                        ; implicit-def: $vgpr4
	v_cndmask_b32_e32 v1, 0x7e, v1, vcc_lo
; %bb.1834:
	s_and_not1_saveexec_b32 s11, s11
; %bb.1835:
	v_add_f32_e32 v1, 0x46800000, v4
; %bb.1836:
	s_or_b32 exec_lo, exec_lo, s11
                                        ; implicit-def: $vgpr4
.LBB94_1837:
	s_and_not1_saveexec_b32 s10, s10
; %bb.1838:
	v_mov_b32_e32 v1, 0x7f
	v_cmp_lt_u32_e32 vcc_lo, 0x7f800000, v4
	s_delay_alu instid0(VALU_DEP_2)
	v_cndmask_b32_e32 v1, 0x7e, v1, vcc_lo
; %bb.1839:
	s_or_b32 exec_lo, exec_lo, s10
	global_store_b8 v[2:3], v1, off
.LBB94_1840:
	s_mov_b32 s10, 0
.LBB94_1841:
	s_delay_alu instid0(SALU_CYCLE_1)
	s_and_not1_b32 vcc_lo, exec_lo, s10
	s_cbranch_vccnz .LBB94_1851
; %bb.1842:
	s_wait_xcnt 0x0
	v_cndmask_b32_e64 v4, 0, 1.0, s1
	s_mov_b32 s10, exec_lo
                                        ; implicit-def: $vgpr1
	s_delay_alu instid0(VALU_DEP_1)
	v_cmpx_gt_u32_e32 0x47800000, v4
	s_xor_b32 s10, exec_lo, s10
	s_cbranch_execz .LBB94_1848
; %bb.1843:
	s_mov_b32 s11, exec_lo
                                        ; implicit-def: $vgpr1
	v_cmpx_lt_u32_e32 0x387fffff, v4
	s_xor_b32 s11, exec_lo, s11
; %bb.1844:
	v_bfe_u32 v1, v4, 21, 1
	s_delay_alu instid0(VALU_DEP_1) | instskip(NEXT) | instid1(VALU_DEP_1)
	v_add3_u32 v1, v4, v1, 0x80fffff
                                        ; implicit-def: $vgpr4
	v_lshrrev_b32_e32 v1, 21, v1
; %bb.1845:
	s_and_not1_saveexec_b32 s11, s11
; %bb.1846:
	v_add_f32_e32 v1, 0x43000000, v4
; %bb.1847:
	s_or_b32 exec_lo, exec_lo, s11
                                        ; implicit-def: $vgpr4
.LBB94_1848:
	s_and_not1_saveexec_b32 s10, s10
; %bb.1849:
	v_mov_b32_e32 v1, 0x7f
	v_cmp_lt_u32_e32 vcc_lo, 0x7f800000, v4
	s_delay_alu instid0(VALU_DEP_2)
	v_cndmask_b32_e32 v1, 0x7c, v1, vcc_lo
; %bb.1850:
	s_or_b32 exec_lo, exec_lo, s10
	global_store_b8 v[2:3], v1, off
.LBB94_1851:
	s_mov_b32 s10, 0
	s_mov_b32 s11, -1
.LBB94_1852:
	s_and_not1_b32 vcc_lo, exec_lo, s10
	s_mov_b32 s10, 0
	s_cbranch_vccnz .LBB94_1859
; %bb.1853:
	s_cmp_gt_i32 s7, 14
	s_mov_b32 s10, -1
	s_cbranch_scc0 .LBB94_1857
; %bb.1854:
	s_cmp_eq_u32 s7, 15
	s_mov_b32 s2, -1
	s_cbranch_scc0 .LBB94_1856
; %bb.1855:
	s_wait_xcnt 0x0
	v_cndmask_b32_e64 v1, 0, 1.0, s1
	s_mov_b32 s2, 0
	s_mov_b32 s11, -1
	s_delay_alu instid0(VALU_DEP_1) | instskip(NEXT) | instid1(VALU_DEP_1)
	v_bfe_u32 v4, v1, 16, 1
	v_add3_u32 v1, v1, v4, 0x7fff
	global_store_d16_hi_b16 v[2:3], v1, off
.LBB94_1856:
	s_mov_b32 s10, 0
.LBB94_1857:
	s_delay_alu instid0(SALU_CYCLE_1)
	s_and_b32 vcc_lo, exec_lo, s10
	s_mov_b32 s10, 0
	s_cbranch_vccz .LBB94_1859
; %bb.1858:
	s_cmp_lg_u32 s7, 11
	s_mov_b32 s10, -1
	s_cselect_b32 s2, -1, 0
.LBB94_1859:
	s_delay_alu instid0(SALU_CYCLE_1)
	s_and_b32 vcc_lo, exec_lo, s2
	s_cbranch_vccnz .LBB94_2039
; %bb.1860:
	s_and_not1_b32 vcc_lo, exec_lo, s10
	s_cbranch_vccnz .LBB94_1862
.LBB94_1861:
	s_wait_xcnt 0x0
	v_cndmask_b32_e64 v1, 0, 1, s1
	s_mov_b32 s11, -1
	global_store_b8 v[2:3], v1, off
.LBB94_1862:
	s_mov_b32 s2, 0
	s_branch .LBB94_1864
.LBB94_1863:
	s_mov_b32 s2, -1
	s_mov_b32 s11, 0
.LBB94_1864:
	s_and_b32 vcc_lo, exec_lo, s2
	s_cbranch_vccz .LBB94_1903
; %bb.1865:
	s_and_b32 s2, 0xffff, s17
	s_mov_b32 s7, -1
	s_cmp_lt_i32 s2, 5
	s_cbranch_scc1 .LBB94_1886
; %bb.1866:
	s_cmp_lt_i32 s2, 8
	s_cbranch_scc1 .LBB94_1876
; %bb.1867:
	;; [unrolled: 3-line block ×3, first 2 shown]
	s_cmp_gt_i32 s2, 9
	s_cbranch_scc0 .LBB94_1870
; %bb.1869:
	s_wait_xcnt 0x0
	v_cndmask_b32_e64 v1, 0, 1, s1
	v_mov_b32_e32 v10, 0
	s_mov_b32 s7, 0
	s_delay_alu instid0(VALU_DEP_2) | instskip(NEXT) | instid1(VALU_DEP_2)
	v_cvt_f64_u32_e32 v[8:9], v1
	v_mov_b32_e32 v11, v10
	global_store_b128 v[2:3], v[8:11], off
.LBB94_1870:
	s_and_not1_b32 vcc_lo, exec_lo, s7
	s_cbranch_vccnz .LBB94_1872
; %bb.1871:
	s_wait_xcnt 0x0
	v_cndmask_b32_e64 v4, 0, 1.0, s1
	v_mov_b32_e32 v5, 0
	global_store_b64 v[2:3], v[4:5], off
.LBB94_1872:
	s_mov_b32 s7, 0
.LBB94_1873:
	s_delay_alu instid0(SALU_CYCLE_1)
	s_and_not1_b32 vcc_lo, exec_lo, s7
	s_cbranch_vccnz .LBB94_1875
; %bb.1874:
	s_wait_xcnt 0x0
	v_cndmask_b32_e64 v1, 0, 1.0, s1
	s_delay_alu instid0(VALU_DEP_1) | instskip(NEXT) | instid1(VALU_DEP_1)
	v_cvt_f16_f32_e32 v1, v1
	v_and_b32_e32 v1, 0xffff, v1
	global_store_b32 v[2:3], v1, off
.LBB94_1875:
	s_mov_b32 s7, 0
.LBB94_1876:
	s_delay_alu instid0(SALU_CYCLE_1)
	s_and_not1_b32 vcc_lo, exec_lo, s7
	s_cbranch_vccnz .LBB94_1885
; %bb.1877:
	s_cmp_lt_i32 s2, 6
	s_mov_b32 s7, -1
	s_cbranch_scc1 .LBB94_1883
; %bb.1878:
	s_cmp_gt_i32 s2, 6
	s_cbranch_scc0 .LBB94_1880
; %bb.1879:
	s_wait_xcnt 0x0
	v_cndmask_b32_e64 v1, 0, 1, s1
	s_mov_b32 s7, 0
	s_delay_alu instid0(VALU_DEP_1)
	v_cvt_f64_u32_e32 v[4:5], v1
	global_store_b64 v[2:3], v[4:5], off
.LBB94_1880:
	s_and_not1_b32 vcc_lo, exec_lo, s7
	s_cbranch_vccnz .LBB94_1882
; %bb.1881:
	s_wait_xcnt 0x0
	v_cndmask_b32_e64 v1, 0, 1.0, s1
	global_store_b32 v[2:3], v1, off
.LBB94_1882:
	s_mov_b32 s7, 0
.LBB94_1883:
	s_delay_alu instid0(SALU_CYCLE_1)
	s_and_not1_b32 vcc_lo, exec_lo, s7
	s_cbranch_vccnz .LBB94_1885
; %bb.1884:
	s_wait_xcnt 0x0
	v_cndmask_b32_e64 v1, 0, 1.0, s1
	s_delay_alu instid0(VALU_DEP_1)
	v_cvt_f16_f32_e32 v1, v1
	global_store_b16 v[2:3], v1, off
.LBB94_1885:
	s_mov_b32 s7, 0
.LBB94_1886:
	s_delay_alu instid0(SALU_CYCLE_1)
	s_and_not1_b32 vcc_lo, exec_lo, s7
	s_cbranch_vccnz .LBB94_1902
; %bb.1887:
	s_cmp_lt_i32 s2, 2
	s_mov_b32 s7, -1
	s_cbranch_scc1 .LBB94_1897
; %bb.1888:
	s_cmp_lt_i32 s2, 3
	s_cbranch_scc1 .LBB94_1894
; %bb.1889:
	s_cmp_gt_i32 s2, 3
	s_cbranch_scc0 .LBB94_1891
; %bb.1890:
	s_mov_b32 s7, 0
	s_wait_xcnt 0x0
	v_cndmask_b32_e64 v4, 0, 1, s1
	v_mov_b32_e32 v5, s7
	global_store_b64 v[2:3], v[4:5], off
.LBB94_1891:
	s_and_not1_b32 vcc_lo, exec_lo, s7
	s_cbranch_vccnz .LBB94_1893
; %bb.1892:
	s_wait_xcnt 0x0
	v_cndmask_b32_e64 v1, 0, 1, s1
	global_store_b32 v[2:3], v1, off
.LBB94_1893:
	s_mov_b32 s7, 0
.LBB94_1894:
	s_delay_alu instid0(SALU_CYCLE_1)
	s_and_not1_b32 vcc_lo, exec_lo, s7
	s_cbranch_vccnz .LBB94_1896
; %bb.1895:
	s_wait_xcnt 0x0
	v_cndmask_b32_e64 v1, 0, 1, s1
	global_store_b16 v[2:3], v1, off
.LBB94_1896:
	s_mov_b32 s7, 0
.LBB94_1897:
	s_delay_alu instid0(SALU_CYCLE_1)
	s_and_not1_b32 vcc_lo, exec_lo, s7
	s_cbranch_vccnz .LBB94_1902
; %bb.1898:
	s_wait_xcnt 0x0
	v_cndmask_b32_e64 v1, 0, 1, s1
	s_cmp_gt_i32 s2, 0
	s_mov_b32 s1, -1
	s_cbranch_scc0 .LBB94_1900
; %bb.1899:
	s_mov_b32 s1, 0
	global_store_b8 v[2:3], v1, off
.LBB94_1900:
	s_and_not1_b32 vcc_lo, exec_lo, s1
	s_cbranch_vccnz .LBB94_1902
; %bb.1901:
	global_store_b8 v[2:3], v1, off
.LBB94_1902:
	s_mov_b32 s11, -1
.LBB94_1903:
	s_delay_alu instid0(SALU_CYCLE_1)
	s_and_not1_b32 vcc_lo, exec_lo, s11
	s_cbranch_vccnz .LBB94_1980
; %bb.1904:
	v_cmp_eq_f64_e32 vcc_lo, s[8:9], v[6:7]
	s_cmp_lt_i32 s17, 11
	s_wait_xcnt 0x0
	v_cndmask_b32_e64 v1, 0, 1, vcc_lo
	v_cmp_neq_f64_e32 vcc_lo, s[8:9], v[6:7]
	v_cndmask_b32_e64 v2, 0, 1, vcc_lo
	s_delay_alu instid0(VALU_DEP_1) | instskip(NEXT) | instid1(VALU_DEP_1)
	v_dual_add_nc_u32 v0, s6, v0 :: v_dual_cndmask_b32 v2, v2, v1, s0
	v_dual_ashrrev_i32 v1, 31, v0 :: v_dual_bitop2_b32 v2, 1, v2 bitop3:0x40
	s_delay_alu instid0(VALU_DEP_1) | instskip(NEXT) | instid1(VALU_DEP_2)
	v_add_nc_u64_e32 v[0:1], s[4:5], v[0:1]
	v_cmp_eq_u32_e64 s1, 1, v2
	s_cbranch_scc1 .LBB94_2025
; %bb.1905:
	s_and_b32 s2, 0xffff, s17
	s_mov_b32 s5, -1
	s_mov_b32 s4, 0
	s_cmp_gt_i32 s2, 25
	s_mov_b32 s0, 0
	s_cbranch_scc0 .LBB94_1938
; %bb.1906:
	s_cmp_gt_i32 s2, 28
	s_cbranch_scc0 .LBB94_1922
; %bb.1907:
	s_cmp_gt_i32 s2, 43
	;; [unrolled: 3-line block ×3, first 2 shown]
	s_cbranch_scc0 .LBB94_1912
; %bb.1909:
	s_cmp_eq_u32 s2, 46
	s_mov_b32 s0, -1
	s_cbranch_scc0 .LBB94_1911
; %bb.1910:
	v_cndmask_b32_e64 v2, 0, 1.0, s1
	s_mov_b32 s0, 0
	s_delay_alu instid0(VALU_DEP_1) | instskip(NEXT) | instid1(VALU_DEP_1)
	v_bfe_u32 v3, v2, 16, 1
	v_add3_u32 v2, v2, v3, 0x7fff
	s_delay_alu instid0(VALU_DEP_1)
	v_lshrrev_b32_e32 v2, 16, v2
	global_store_b32 v[0:1], v2, off
.LBB94_1911:
	s_mov_b32 s5, 0
.LBB94_1912:
	s_delay_alu instid0(SALU_CYCLE_1)
	s_and_b32 vcc_lo, exec_lo, s5
	s_cbranch_vccz .LBB94_1917
; %bb.1913:
	s_cmp_eq_u32 s2, 44
	s_mov_b32 s0, -1
	s_cbranch_scc0 .LBB94_1917
; %bb.1914:
	v_cndmask_b32_e64 v4, 0, 1.0, s1
	s_mov_b32 s5, exec_lo
	s_wait_xcnt 0x0
	s_delay_alu instid0(VALU_DEP_1) | instskip(NEXT) | instid1(VALU_DEP_1)
	v_dual_mov_b32 v3, 0xff :: v_dual_lshrrev_b32 v2, 23, v4
	v_cmpx_ne_u32_e32 0xff, v2
; %bb.1915:
	v_and_b32_e32 v3, 0x400000, v4
	v_and_or_b32 v4, 0x3fffff, v4, v2
	s_delay_alu instid0(VALU_DEP_2) | instskip(NEXT) | instid1(VALU_DEP_2)
	v_cmp_ne_u32_e32 vcc_lo, 0, v3
	v_cmp_ne_u32_e64 s0, 0, v4
	s_and_b32 s0, vcc_lo, s0
	s_delay_alu instid0(SALU_CYCLE_1) | instskip(NEXT) | instid1(VALU_DEP_1)
	v_cndmask_b32_e64 v3, 0, 1, s0
	v_add_nc_u32_e32 v3, v2, v3
; %bb.1916:
	s_or_b32 exec_lo, exec_lo, s5
	s_mov_b32 s0, 0
	global_store_b8 v[0:1], v3, off
.LBB94_1917:
	s_mov_b32 s5, 0
.LBB94_1918:
	s_delay_alu instid0(SALU_CYCLE_1)
	s_and_b32 vcc_lo, exec_lo, s5
	s_cbranch_vccz .LBB94_1921
; %bb.1919:
	s_cmp_eq_u32 s2, 29
	s_mov_b32 s0, -1
	s_cbranch_scc0 .LBB94_1921
; %bb.1920:
	s_mov_b32 s0, 0
	s_wait_xcnt 0x0
	v_cndmask_b32_e64 v2, 0, 1, s1
	v_mov_b32_e32 v3, s0
	global_store_b64 v[0:1], v[2:3], off
.LBB94_1921:
	s_mov_b32 s5, 0
.LBB94_1922:
	s_delay_alu instid0(SALU_CYCLE_1)
	s_and_b32 vcc_lo, exec_lo, s5
	s_cbranch_vccz .LBB94_1937
; %bb.1923:
	s_cmp_lt_i32 s2, 27
	s_mov_b32 s5, -1
	s_cbranch_scc1 .LBB94_1929
; %bb.1924:
	s_wait_xcnt 0x0
	v_cndmask_b32_e64 v2, 0, 1, s1
	s_cmp_gt_i32 s2, 27
	s_cbranch_scc0 .LBB94_1926
; %bb.1925:
	s_mov_b32 s5, 0
	global_store_b32 v[0:1], v2, off
.LBB94_1926:
	s_and_not1_b32 vcc_lo, exec_lo, s5
	s_cbranch_vccnz .LBB94_1928
; %bb.1927:
	global_store_b16 v[0:1], v2, off
.LBB94_1928:
	s_mov_b32 s5, 0
.LBB94_1929:
	s_delay_alu instid0(SALU_CYCLE_1)
	s_and_not1_b32 vcc_lo, exec_lo, s5
	s_cbranch_vccnz .LBB94_1937
; %bb.1930:
	s_wait_xcnt 0x0
	v_cndmask_b32_e64 v3, 0, 1.0, s1
	v_mov_b32_e32 v4, 0x80
	s_mov_b32 s5, exec_lo
	s_delay_alu instid0(VALU_DEP_2)
	v_cmpx_gt_u32_e32 0x43800000, v3
	s_cbranch_execz .LBB94_1936
; %bb.1931:
	s_mov_b32 s6, 0
	s_mov_b32 s7, exec_lo
                                        ; implicit-def: $vgpr2
	v_cmpx_lt_u32_e32 0x3bffffff, v3
	s_xor_b32 s7, exec_lo, s7
	s_cbranch_execz .LBB94_2042
; %bb.1932:
	v_bfe_u32 v2, v3, 20, 1
	s_mov_b32 s6, exec_lo
	s_delay_alu instid0(VALU_DEP_1) | instskip(NEXT) | instid1(VALU_DEP_1)
	v_add3_u32 v2, v3, v2, 0x487ffff
                                        ; implicit-def: $vgpr3
	v_lshrrev_b32_e32 v2, 20, v2
	s_and_not1_saveexec_b32 s7, s7
	s_cbranch_execnz .LBB94_2043
.LBB94_1933:
	s_or_b32 exec_lo, exec_lo, s7
	v_mov_b32_e32 v4, 0
	s_and_saveexec_b32 s7, s6
.LBB94_1934:
	v_mov_b32_e32 v4, v2
.LBB94_1935:
	s_or_b32 exec_lo, exec_lo, s7
.LBB94_1936:
	s_delay_alu instid0(SALU_CYCLE_1)
	s_or_b32 exec_lo, exec_lo, s5
	global_store_b8 v[0:1], v4, off
.LBB94_1937:
	s_mov_b32 s5, 0
.LBB94_1938:
	s_delay_alu instid0(SALU_CYCLE_1)
	s_and_b32 vcc_lo, exec_lo, s5
	s_cbranch_vccz .LBB94_1978
; %bb.1939:
	s_cmp_gt_i32 s2, 22
	s_mov_b32 s4, -1
	s_cbranch_scc0 .LBB94_1971
; %bb.1940:
	s_cmp_lt_i32 s2, 24
	s_cbranch_scc1 .LBB94_1960
; %bb.1941:
	s_cmp_gt_i32 s2, 24
	s_cbranch_scc0 .LBB94_1949
; %bb.1942:
	s_wait_xcnt 0x0
	v_cndmask_b32_e64 v3, 0, 1.0, s1
	v_mov_b32_e32 v4, 0x80
	s_mov_b32 s4, exec_lo
	s_delay_alu instid0(VALU_DEP_2)
	v_cmpx_gt_u32_e32 0x47800000, v3
	s_cbranch_execz .LBB94_1948
; %bb.1943:
	s_mov_b32 s5, 0
	s_mov_b32 s6, exec_lo
                                        ; implicit-def: $vgpr2
	v_cmpx_lt_u32_e32 0x37ffffff, v3
	s_xor_b32 s6, exec_lo, s6
	s_cbranch_execz .LBB94_2045
; %bb.1944:
	v_bfe_u32 v2, v3, 21, 1
	s_mov_b32 s5, exec_lo
	s_delay_alu instid0(VALU_DEP_1) | instskip(NEXT) | instid1(VALU_DEP_1)
	v_add3_u32 v2, v3, v2, 0x88fffff
                                        ; implicit-def: $vgpr3
	v_lshrrev_b32_e32 v2, 21, v2
	s_and_not1_saveexec_b32 s6, s6
	s_cbranch_execnz .LBB94_2046
.LBB94_1945:
	s_or_b32 exec_lo, exec_lo, s6
	v_mov_b32_e32 v4, 0
	s_and_saveexec_b32 s6, s5
.LBB94_1946:
	v_mov_b32_e32 v4, v2
.LBB94_1947:
	s_or_b32 exec_lo, exec_lo, s6
.LBB94_1948:
	s_delay_alu instid0(SALU_CYCLE_1)
	s_or_b32 exec_lo, exec_lo, s4
	s_mov_b32 s4, 0
	global_store_b8 v[0:1], v4, off
.LBB94_1949:
	s_and_b32 vcc_lo, exec_lo, s4
	s_cbranch_vccz .LBB94_1959
; %bb.1950:
	s_wait_xcnt 0x0
	v_cndmask_b32_e64 v3, 0, 1.0, s1
	s_mov_b32 s4, exec_lo
                                        ; implicit-def: $vgpr2
	s_delay_alu instid0(VALU_DEP_1)
	v_cmpx_gt_u32_e32 0x43f00000, v3
	s_xor_b32 s4, exec_lo, s4
	s_cbranch_execz .LBB94_1956
; %bb.1951:
	s_mov_b32 s5, exec_lo
                                        ; implicit-def: $vgpr2
	v_cmpx_lt_u32_e32 0x3c7fffff, v3
	s_xor_b32 s5, exec_lo, s5
; %bb.1952:
	v_bfe_u32 v2, v3, 20, 1
	s_delay_alu instid0(VALU_DEP_1) | instskip(NEXT) | instid1(VALU_DEP_1)
	v_add3_u32 v2, v3, v2, 0x407ffff
	v_and_b32_e32 v3, 0xff00000, v2
	v_lshrrev_b32_e32 v2, 20, v2
	s_delay_alu instid0(VALU_DEP_2) | instskip(NEXT) | instid1(VALU_DEP_2)
	v_cmp_ne_u32_e32 vcc_lo, 0x7f00000, v3
                                        ; implicit-def: $vgpr3
	v_cndmask_b32_e32 v2, 0x7e, v2, vcc_lo
; %bb.1953:
	s_and_not1_saveexec_b32 s5, s5
; %bb.1954:
	v_add_f32_e32 v2, 0x46800000, v3
; %bb.1955:
	s_or_b32 exec_lo, exec_lo, s5
                                        ; implicit-def: $vgpr3
.LBB94_1956:
	s_and_not1_saveexec_b32 s4, s4
; %bb.1957:
	v_mov_b32_e32 v2, 0x7f
	v_cmp_lt_u32_e32 vcc_lo, 0x7f800000, v3
	s_delay_alu instid0(VALU_DEP_2)
	v_cndmask_b32_e32 v2, 0x7e, v2, vcc_lo
; %bb.1958:
	s_or_b32 exec_lo, exec_lo, s4
	global_store_b8 v[0:1], v2, off
.LBB94_1959:
	s_mov_b32 s4, 0
.LBB94_1960:
	s_delay_alu instid0(SALU_CYCLE_1)
	s_and_not1_b32 vcc_lo, exec_lo, s4
	s_cbranch_vccnz .LBB94_1970
; %bb.1961:
	s_wait_xcnt 0x0
	v_cndmask_b32_e64 v3, 0, 1.0, s1
	s_mov_b32 s4, exec_lo
                                        ; implicit-def: $vgpr2
	s_delay_alu instid0(VALU_DEP_1)
	v_cmpx_gt_u32_e32 0x47800000, v3
	s_xor_b32 s4, exec_lo, s4
	s_cbranch_execz .LBB94_1967
; %bb.1962:
	s_mov_b32 s5, exec_lo
                                        ; implicit-def: $vgpr2
	v_cmpx_lt_u32_e32 0x387fffff, v3
	s_xor_b32 s5, exec_lo, s5
; %bb.1963:
	v_bfe_u32 v2, v3, 21, 1
	s_delay_alu instid0(VALU_DEP_1) | instskip(NEXT) | instid1(VALU_DEP_1)
	v_add3_u32 v2, v3, v2, 0x80fffff
                                        ; implicit-def: $vgpr3
	v_lshrrev_b32_e32 v2, 21, v2
; %bb.1964:
	s_and_not1_saveexec_b32 s5, s5
; %bb.1965:
	v_add_f32_e32 v2, 0x43000000, v3
; %bb.1966:
	s_or_b32 exec_lo, exec_lo, s5
                                        ; implicit-def: $vgpr3
.LBB94_1967:
	s_and_not1_saveexec_b32 s4, s4
; %bb.1968:
	v_mov_b32_e32 v2, 0x7f
	v_cmp_lt_u32_e32 vcc_lo, 0x7f800000, v3
	s_delay_alu instid0(VALU_DEP_2)
	v_cndmask_b32_e32 v2, 0x7c, v2, vcc_lo
; %bb.1969:
	s_or_b32 exec_lo, exec_lo, s4
	global_store_b8 v[0:1], v2, off
.LBB94_1970:
	s_mov_b32 s4, 0
.LBB94_1971:
	s_delay_alu instid0(SALU_CYCLE_1)
	s_and_not1_b32 vcc_lo, exec_lo, s4
	s_mov_b32 s4, 0
	s_cbranch_vccnz .LBB94_1978
; %bb.1972:
	s_cmp_gt_i32 s2, 14
	s_mov_b32 s4, -1
	s_cbranch_scc0 .LBB94_1976
; %bb.1973:
	s_cmp_eq_u32 s2, 15
	s_mov_b32 s0, -1
	s_cbranch_scc0 .LBB94_1975
; %bb.1974:
	s_wait_xcnt 0x0
	v_cndmask_b32_e64 v2, 0, 1.0, s1
	s_mov_b32 s0, 0
	s_delay_alu instid0(VALU_DEP_1) | instskip(NEXT) | instid1(VALU_DEP_1)
	v_bfe_u32 v3, v2, 16, 1
	v_add3_u32 v2, v2, v3, 0x7fff
	global_store_d16_hi_b16 v[0:1], v2, off
.LBB94_1975:
	s_mov_b32 s4, 0
.LBB94_1976:
	s_delay_alu instid0(SALU_CYCLE_1)
	s_and_b32 vcc_lo, exec_lo, s4
	s_mov_b32 s4, 0
	s_cbranch_vccz .LBB94_1978
; %bb.1977:
	s_cmp_lg_u32 s2, 11
	s_mov_b32 s4, -1
	s_cselect_b32 s0, -1, 0
.LBB94_1978:
	s_delay_alu instid0(SALU_CYCLE_1)
	s_and_b32 vcc_lo, exec_lo, s0
	s_cbranch_vccnz .LBB94_2044
.LBB94_1979:
	s_mov_b32 s0, 0
	s_branch .LBB94_1981
.LBB94_1980:
	s_mov_b32 s0, 0
	s_mov_b32 s4, 0
                                        ; implicit-def: $sgpr1
                                        ; implicit-def: $sgpr17
                                        ; implicit-def: $vgpr0_vgpr1
.LBB94_1981:
	s_and_not1_b32 s2, s16, exec_lo
	s_and_b32 s5, s3, exec_lo
	s_and_b32 s0, s0, exec_lo
	;; [unrolled: 1-line block ×3, first 2 shown]
	s_or_b32 s16, s2, s5
.LBB94_1982:
	s_wait_xcnt 0x0
	s_or_b32 exec_lo, exec_lo, s15
	s_and_saveexec_b32 s2, s16
	s_cbranch_execz .LBB94_1985
; %bb.1983:
	; divergent unreachable
	s_or_b32 exec_lo, exec_lo, s2
	s_and_saveexec_b32 s2, s3
	s_delay_alu instid0(SALU_CYCLE_1)
	s_xor_b32 s2, exec_lo, s2
	s_cbranch_execnz .LBB94_1986
.LBB94_1984:
	s_or_b32 exec_lo, exec_lo, s2
	s_and_saveexec_b32 s2, s0
	s_cbranch_execnz .LBB94_1987
	s_branch .LBB94_2024
.LBB94_1985:
	s_or_b32 exec_lo, exec_lo, s2
	s_and_saveexec_b32 s2, s3
	s_delay_alu instid0(SALU_CYCLE_1)
	s_xor_b32 s2, exec_lo, s2
	s_cbranch_execz .LBB94_1984
.LBB94_1986:
	s_wait_loadcnt 0x0
	v_cndmask_b32_e64 v2, 0, 1, s1
	global_store_b8 v[0:1], v2, off
	s_wait_xcnt 0x0
	s_or_b32 exec_lo, exec_lo, s2
	s_and_saveexec_b32 s2, s0
	s_cbranch_execz .LBB94_2024
.LBB94_1987:
	s_sext_i32_i16 s2, s17
	s_mov_b32 s0, -1
	s_cmp_lt_i32 s2, 5
	s_cbranch_scc1 .LBB94_2008
; %bb.1988:
	s_cmp_lt_i32 s2, 8
	s_cbranch_scc1 .LBB94_1998
; %bb.1989:
	;; [unrolled: 3-line block ×3, first 2 shown]
	s_cmp_gt_i32 s2, 9
	s_cbranch_scc0 .LBB94_1992
; %bb.1991:
	s_wait_loadcnt 0x0
	v_cndmask_b32_e64 v2, 0, 1, s1
	v_mov_b32_e32 v4, 0
	s_mov_b32 s0, 0
	s_delay_alu instid0(VALU_DEP_2) | instskip(NEXT) | instid1(VALU_DEP_2)
	v_cvt_f64_u32_e32 v[2:3], v2
	v_mov_b32_e32 v5, v4
	global_store_b128 v[0:1], v[2:5], off
.LBB94_1992:
	s_and_not1_b32 vcc_lo, exec_lo, s0
	s_cbranch_vccnz .LBB94_1994
; %bb.1993:
	s_wait_loadcnt 0x0
	v_cndmask_b32_e64 v2, 0, 1.0, s1
	v_mov_b32_e32 v3, 0
	global_store_b64 v[0:1], v[2:3], off
.LBB94_1994:
	s_mov_b32 s0, 0
.LBB94_1995:
	s_delay_alu instid0(SALU_CYCLE_1)
	s_and_not1_b32 vcc_lo, exec_lo, s0
	s_cbranch_vccnz .LBB94_1997
; %bb.1996:
	s_wait_loadcnt 0x0
	v_cndmask_b32_e64 v2, 0, 1.0, s1
	s_delay_alu instid0(VALU_DEP_1) | instskip(NEXT) | instid1(VALU_DEP_1)
	v_cvt_f16_f32_e32 v2, v2
	v_and_b32_e32 v2, 0xffff, v2
	global_store_b32 v[0:1], v2, off
.LBB94_1997:
	s_mov_b32 s0, 0
.LBB94_1998:
	s_delay_alu instid0(SALU_CYCLE_1)
	s_and_not1_b32 vcc_lo, exec_lo, s0
	s_cbranch_vccnz .LBB94_2007
; %bb.1999:
	s_sext_i32_i16 s2, s17
	s_mov_b32 s0, -1
	s_cmp_lt_i32 s2, 6
	s_cbranch_scc1 .LBB94_2005
; %bb.2000:
	s_cmp_gt_i32 s2, 6
	s_cbranch_scc0 .LBB94_2002
; %bb.2001:
	s_wait_loadcnt 0x0
	v_cndmask_b32_e64 v2, 0, 1, s1
	s_mov_b32 s0, 0
	s_delay_alu instid0(VALU_DEP_1)
	v_cvt_f64_u32_e32 v[2:3], v2
	global_store_b64 v[0:1], v[2:3], off
.LBB94_2002:
	s_and_not1_b32 vcc_lo, exec_lo, s0
	s_cbranch_vccnz .LBB94_2004
; %bb.2003:
	s_wait_loadcnt 0x0
	v_cndmask_b32_e64 v2, 0, 1.0, s1
	global_store_b32 v[0:1], v2, off
.LBB94_2004:
	s_mov_b32 s0, 0
.LBB94_2005:
	s_delay_alu instid0(SALU_CYCLE_1)
	s_and_not1_b32 vcc_lo, exec_lo, s0
	s_cbranch_vccnz .LBB94_2007
; %bb.2006:
	s_wait_loadcnt 0x0
	v_cndmask_b32_e64 v2, 0, 1.0, s1
	s_delay_alu instid0(VALU_DEP_1)
	v_cvt_f16_f32_e32 v2, v2
	global_store_b16 v[0:1], v2, off
.LBB94_2007:
	s_mov_b32 s0, 0
.LBB94_2008:
	s_delay_alu instid0(SALU_CYCLE_1)
	s_and_not1_b32 vcc_lo, exec_lo, s0
	s_cbranch_vccnz .LBB94_2024
; %bb.2009:
	s_sext_i32_i16 s2, s17
	s_mov_b32 s0, -1
	s_cmp_lt_i32 s2, 2
	s_cbranch_scc1 .LBB94_2019
; %bb.2010:
	s_cmp_lt_i32 s2, 3
	s_cbranch_scc1 .LBB94_2016
; %bb.2011:
	s_cmp_gt_i32 s2, 3
	s_cbranch_scc0 .LBB94_2013
; %bb.2012:
	s_mov_b32 s0, 0
	s_wait_loadcnt 0x0
	v_cndmask_b32_e64 v2, 0, 1, s1
	v_mov_b32_e32 v3, s0
	global_store_b64 v[0:1], v[2:3], off
.LBB94_2013:
	s_and_not1_b32 vcc_lo, exec_lo, s0
	s_cbranch_vccnz .LBB94_2015
; %bb.2014:
	s_wait_loadcnt 0x0
	v_cndmask_b32_e64 v2, 0, 1, s1
	global_store_b32 v[0:1], v2, off
.LBB94_2015:
	s_mov_b32 s0, 0
.LBB94_2016:
	s_delay_alu instid0(SALU_CYCLE_1)
	s_and_not1_b32 vcc_lo, exec_lo, s0
	s_cbranch_vccnz .LBB94_2018
; %bb.2017:
	s_wait_loadcnt 0x0
	v_cndmask_b32_e64 v2, 0, 1, s1
	global_store_b16 v[0:1], v2, off
.LBB94_2018:
	s_mov_b32 s0, 0
.LBB94_2019:
	s_delay_alu instid0(SALU_CYCLE_1)
	s_and_not1_b32 vcc_lo, exec_lo, s0
	s_cbranch_vccnz .LBB94_2024
; %bb.2020:
	s_wait_loadcnt 0x0
	v_cndmask_b32_e64 v2, 0, 1, s1
	s_sext_i32_i16 s0, s17
	s_delay_alu instid0(SALU_CYCLE_1)
	s_cmp_gt_i32 s0, 0
	s_mov_b32 s0, -1
	s_cbranch_scc0 .LBB94_2022
; %bb.2021:
	s_mov_b32 s0, 0
	global_store_b8 v[0:1], v2, off
.LBB94_2022:
	s_and_not1_b32 vcc_lo, exec_lo, s0
	s_cbranch_vccnz .LBB94_2024
; %bb.2023:
	global_store_b8 v[0:1], v2, off
	s_endpgm
.LBB94_2024:
	s_endpgm
.LBB94_2025:
	s_mov_b32 s4, 0
	s_mov_b32 s0, -1
	s_branch .LBB94_1981
.LBB94_2026:
	s_or_b32 s3, s3, exec_lo
	s_trap 2
	s_cbranch_execz .LBB94_1496
	s_branch .LBB94_1497
.LBB94_2027:
	s_and_not1_saveexec_b32 s13, s13
	s_cbranch_execz .LBB94_1576
.LBB94_2028:
	v_add_f32_e32 v9, 0x46000000, v10
	s_and_not1_b32 s11, s11, exec_lo
	s_delay_alu instid0(VALU_DEP_1) | instskip(NEXT) | instid1(VALU_DEP_1)
	v_and_b32_e32 v9, 0xff, v9
	v_cmp_ne_u32_e32 vcc_lo, 0, v9
	s_and_b32 s14, vcc_lo, exec_lo
	s_delay_alu instid0(SALU_CYCLE_1)
	s_or_b32 s11, s11, s14
	s_or_b32 exec_lo, exec_lo, s13
	v_mov_b32_e32 v11, 0
	s_and_saveexec_b32 s13, s11
	s_cbranch_execnz .LBB94_1577
	s_branch .LBB94_1578
.LBB94_2029:
	s_or_b32 s3, s3, exec_lo
	s_trap 2
	s_cbranch_execz .LBB94_1624
	s_branch .LBB94_1625
.LBB94_2030:
	s_and_not1_saveexec_b32 s11, s11
	s_cbranch_execz .LBB94_1589
.LBB94_2031:
	v_add_f32_e32 v9, 0x42800000, v10
	s_and_not1_b32 s10, s10, exec_lo
	s_delay_alu instid0(VALU_DEP_1) | instskip(NEXT) | instid1(VALU_DEP_1)
	v_and_b32_e32 v9, 0xff, v9
	v_cmp_ne_u32_e32 vcc_lo, 0, v9
	s_and_b32 s13, vcc_lo, exec_lo
	s_delay_alu instid0(SALU_CYCLE_1)
	s_or_b32 s10, s10, s13
	s_or_b32 exec_lo, exec_lo, s11
	v_mov_b32_e32 v11, 0
	s_and_saveexec_b32 s11, s10
	s_cbranch_execnz .LBB94_1590
	s_branch .LBB94_1591
.LBB94_2032:
	s_and_not1_saveexec_b32 s13, s13
	s_cbranch_execz .LBB94_1694
.LBB94_2033:
	v_add_f32_e32 v1, 0x46000000, v8
	s_and_not1_b32 s12, s12, exec_lo
	s_delay_alu instid0(VALU_DEP_1) | instskip(NEXT) | instid1(VALU_DEP_1)
	v_and_b32_e32 v1, 0xff, v1
	v_cmp_ne_u32_e32 vcc_lo, 0, v1
	s_and_b32 s14, vcc_lo, exec_lo
	s_delay_alu instid0(SALU_CYCLE_1)
	s_or_b32 s12, s12, s14
	s_or_b32 exec_lo, exec_lo, s13
	v_mov_b32_e32 v9, 0
	s_and_saveexec_b32 s13, s12
	s_cbranch_execnz .LBB94_1695
	s_branch .LBB94_1696
.LBB94_2034:
	s_or_b32 s3, s3, exec_lo
	s_trap 2
	s_cbranch_execz .LBB94_1742
	s_branch .LBB94_1743
.LBB94_2035:
	s_and_not1_saveexec_b32 s12, s12
	s_cbranch_execz .LBB94_1707
.LBB94_2036:
	v_add_f32_e32 v1, 0x42800000, v8
	s_and_not1_b32 s11, s11, exec_lo
	s_delay_alu instid0(VALU_DEP_1) | instskip(NEXT) | instid1(VALU_DEP_1)
	v_and_b32_e32 v1, 0xff, v1
	v_cmp_ne_u32_e32 vcc_lo, 0, v1
	s_and_b32 s13, vcc_lo, exec_lo
	s_delay_alu instid0(SALU_CYCLE_1)
	s_or_b32 s11, s11, s13
	s_or_b32 exec_lo, exec_lo, s12
	v_mov_b32_e32 v9, 0
	s_and_saveexec_b32 s12, s11
	s_cbranch_execnz .LBB94_1708
	s_branch .LBB94_1709
.LBB94_2037:
	s_and_not1_saveexec_b32 s13, s13
	s_cbranch_execz .LBB94_1813
.LBB94_2038:
	v_add_f32_e32 v1, 0x46000000, v4
	s_and_not1_b32 s12, s12, exec_lo
	s_delay_alu instid0(VALU_DEP_1) | instskip(NEXT) | instid1(VALU_DEP_1)
	v_and_b32_e32 v1, 0xff, v1
	v_cmp_ne_u32_e32 vcc_lo, 0, v1
	s_and_b32 s14, vcc_lo, exec_lo
	s_delay_alu instid0(SALU_CYCLE_1)
	s_or_b32 s12, s12, s14
	s_or_b32 exec_lo, exec_lo, s13
	v_mov_b32_e32 v5, 0
	s_and_saveexec_b32 s13, s12
	s_cbranch_execnz .LBB94_1814
	s_branch .LBB94_1815
.LBB94_2039:
	s_or_b32 s3, s3, exec_lo
	s_trap 2
	s_cbranch_execz .LBB94_1861
	s_branch .LBB94_1862
.LBB94_2040:
	s_and_not1_saveexec_b32 s12, s12
	s_cbranch_execz .LBB94_1826
.LBB94_2041:
	v_add_f32_e32 v1, 0x42800000, v4
	s_and_not1_b32 s11, s11, exec_lo
	s_delay_alu instid0(VALU_DEP_1) | instskip(NEXT) | instid1(VALU_DEP_1)
	v_and_b32_e32 v1, 0xff, v1
	v_cmp_ne_u32_e32 vcc_lo, 0, v1
	s_and_b32 s13, vcc_lo, exec_lo
	s_delay_alu instid0(SALU_CYCLE_1)
	s_or_b32 s11, s11, s13
	s_or_b32 exec_lo, exec_lo, s12
	v_mov_b32_e32 v5, 0
	s_and_saveexec_b32 s12, s11
	s_cbranch_execnz .LBB94_1827
	s_branch .LBB94_1828
.LBB94_2042:
	s_and_not1_saveexec_b32 s7, s7
	s_cbranch_execz .LBB94_1933
.LBB94_2043:
	v_add_f32_e32 v2, 0x46000000, v3
	s_and_not1_b32 s6, s6, exec_lo
	s_delay_alu instid0(VALU_DEP_1) | instskip(NEXT) | instid1(VALU_DEP_1)
	v_and_b32_e32 v2, 0xff, v2
	v_cmp_ne_u32_e32 vcc_lo, 0, v2
	s_and_b32 s8, vcc_lo, exec_lo
	s_delay_alu instid0(SALU_CYCLE_1)
	s_or_b32 s6, s6, s8
	s_or_b32 exec_lo, exec_lo, s7
	v_mov_b32_e32 v4, 0
	s_and_saveexec_b32 s7, s6
	s_cbranch_execnz .LBB94_1934
	s_branch .LBB94_1935
.LBB94_2044:
	s_mov_b32 s4, 0
	s_or_b32 s3, s3, exec_lo
	s_trap 2
	s_branch .LBB94_1979
.LBB94_2045:
	s_and_not1_saveexec_b32 s6, s6
	s_cbranch_execz .LBB94_1945
.LBB94_2046:
	v_add_f32_e32 v2, 0x42800000, v3
	s_and_not1_b32 s5, s5, exec_lo
	s_delay_alu instid0(VALU_DEP_1) | instskip(NEXT) | instid1(VALU_DEP_1)
	v_and_b32_e32 v2, 0xff, v2
	v_cmp_ne_u32_e32 vcc_lo, 0, v2
	s_and_b32 s7, vcc_lo, exec_lo
	s_delay_alu instid0(SALU_CYCLE_1)
	s_or_b32 s5, s5, s7
	s_or_b32 exec_lo, exec_lo, s6
	v_mov_b32_e32 v4, 0
	s_and_saveexec_b32 s6, s5
	s_cbranch_execnz .LBB94_1946
	s_branch .LBB94_1947
	.section	.rodata,"a",@progbits
	.p2align	6, 0x0
	.amdhsa_kernel _ZN2at6native32elementwise_kernel_manual_unrollILi128ELi4EZNS0_15gpu_kernel_implINS0_13AUnaryFunctorIddbNS0_12_GLOBAL__N_116CompareEqFunctorIdEEEEEEvRNS_18TensorIteratorBaseERKT_EUlibE_EEviT1_
		.amdhsa_group_segment_fixed_size 0
		.amdhsa_private_segment_fixed_size 0
		.amdhsa_kernarg_size 56
		.amdhsa_user_sgpr_count 2
		.amdhsa_user_sgpr_dispatch_ptr 0
		.amdhsa_user_sgpr_queue_ptr 0
		.amdhsa_user_sgpr_kernarg_segment_ptr 1
		.amdhsa_user_sgpr_dispatch_id 0
		.amdhsa_user_sgpr_kernarg_preload_length 0
		.amdhsa_user_sgpr_kernarg_preload_offset 0
		.amdhsa_user_sgpr_private_segment_size 0
		.amdhsa_wavefront_size32 1
		.amdhsa_uses_dynamic_stack 0
		.amdhsa_enable_private_segment 0
		.amdhsa_system_sgpr_workgroup_id_x 1
		.amdhsa_system_sgpr_workgroup_id_y 0
		.amdhsa_system_sgpr_workgroup_id_z 0
		.amdhsa_system_sgpr_workgroup_info 0
		.amdhsa_system_vgpr_workitem_id 0
		.amdhsa_next_free_vgpr 15
		.amdhsa_next_free_sgpr 31
		.amdhsa_named_barrier_count 0
		.amdhsa_reserve_vcc 1
		.amdhsa_float_round_mode_32 0
		.amdhsa_float_round_mode_16_64 0
		.amdhsa_float_denorm_mode_32 3
		.amdhsa_float_denorm_mode_16_64 3
		.amdhsa_fp16_overflow 0
		.amdhsa_memory_ordered 1
		.amdhsa_forward_progress 1
		.amdhsa_inst_pref_size 255
		.amdhsa_round_robin_scheduling 0
		.amdhsa_exception_fp_ieee_invalid_op 0
		.amdhsa_exception_fp_denorm_src 0
		.amdhsa_exception_fp_ieee_div_zero 0
		.amdhsa_exception_fp_ieee_overflow 0
		.amdhsa_exception_fp_ieee_underflow 0
		.amdhsa_exception_fp_ieee_inexact 0
		.amdhsa_exception_int_div_zero 0
	.end_amdhsa_kernel
	.section	.text._ZN2at6native32elementwise_kernel_manual_unrollILi128ELi4EZNS0_15gpu_kernel_implINS0_13AUnaryFunctorIddbNS0_12_GLOBAL__N_116CompareEqFunctorIdEEEEEEvRNS_18TensorIteratorBaseERKT_EUlibE_EEviT1_,"axG",@progbits,_ZN2at6native32elementwise_kernel_manual_unrollILi128ELi4EZNS0_15gpu_kernel_implINS0_13AUnaryFunctorIddbNS0_12_GLOBAL__N_116CompareEqFunctorIdEEEEEEvRNS_18TensorIteratorBaseERKT_EUlibE_EEviT1_,comdat
.Lfunc_end94:
	.size	_ZN2at6native32elementwise_kernel_manual_unrollILi128ELi4EZNS0_15gpu_kernel_implINS0_13AUnaryFunctorIddbNS0_12_GLOBAL__N_116CompareEqFunctorIdEEEEEEvRNS_18TensorIteratorBaseERKT_EUlibE_EEviT1_, .Lfunc_end94-_ZN2at6native32elementwise_kernel_manual_unrollILi128ELi4EZNS0_15gpu_kernel_implINS0_13AUnaryFunctorIddbNS0_12_GLOBAL__N_116CompareEqFunctorIdEEEEEEvRNS_18TensorIteratorBaseERKT_EUlibE_EEviT1_
                                        ; -- End function
	.set _ZN2at6native32elementwise_kernel_manual_unrollILi128ELi4EZNS0_15gpu_kernel_implINS0_13AUnaryFunctorIddbNS0_12_GLOBAL__N_116CompareEqFunctorIdEEEEEEvRNS_18TensorIteratorBaseERKT_EUlibE_EEviT1_.num_vgpr, 15
	.set _ZN2at6native32elementwise_kernel_manual_unrollILi128ELi4EZNS0_15gpu_kernel_implINS0_13AUnaryFunctorIddbNS0_12_GLOBAL__N_116CompareEqFunctorIdEEEEEEvRNS_18TensorIteratorBaseERKT_EUlibE_EEviT1_.num_agpr, 0
	.set _ZN2at6native32elementwise_kernel_manual_unrollILi128ELi4EZNS0_15gpu_kernel_implINS0_13AUnaryFunctorIddbNS0_12_GLOBAL__N_116CompareEqFunctorIdEEEEEEvRNS_18TensorIteratorBaseERKT_EUlibE_EEviT1_.numbered_sgpr, 31
	.set _ZN2at6native32elementwise_kernel_manual_unrollILi128ELi4EZNS0_15gpu_kernel_implINS0_13AUnaryFunctorIddbNS0_12_GLOBAL__N_116CompareEqFunctorIdEEEEEEvRNS_18TensorIteratorBaseERKT_EUlibE_EEviT1_.num_named_barrier, 0
	.set _ZN2at6native32elementwise_kernel_manual_unrollILi128ELi4EZNS0_15gpu_kernel_implINS0_13AUnaryFunctorIddbNS0_12_GLOBAL__N_116CompareEqFunctorIdEEEEEEvRNS_18TensorIteratorBaseERKT_EUlibE_EEviT1_.private_seg_size, 0
	.set _ZN2at6native32elementwise_kernel_manual_unrollILi128ELi4EZNS0_15gpu_kernel_implINS0_13AUnaryFunctorIddbNS0_12_GLOBAL__N_116CompareEqFunctorIdEEEEEEvRNS_18TensorIteratorBaseERKT_EUlibE_EEviT1_.uses_vcc, 1
	.set _ZN2at6native32elementwise_kernel_manual_unrollILi128ELi4EZNS0_15gpu_kernel_implINS0_13AUnaryFunctorIddbNS0_12_GLOBAL__N_116CompareEqFunctorIdEEEEEEvRNS_18TensorIteratorBaseERKT_EUlibE_EEviT1_.uses_flat_scratch, 0
	.set _ZN2at6native32elementwise_kernel_manual_unrollILi128ELi4EZNS0_15gpu_kernel_implINS0_13AUnaryFunctorIddbNS0_12_GLOBAL__N_116CompareEqFunctorIdEEEEEEvRNS_18TensorIteratorBaseERKT_EUlibE_EEviT1_.has_dyn_sized_stack, 0
	.set _ZN2at6native32elementwise_kernel_manual_unrollILi128ELi4EZNS0_15gpu_kernel_implINS0_13AUnaryFunctorIddbNS0_12_GLOBAL__N_116CompareEqFunctorIdEEEEEEvRNS_18TensorIteratorBaseERKT_EUlibE_EEviT1_.has_recursion, 0
	.set _ZN2at6native32elementwise_kernel_manual_unrollILi128ELi4EZNS0_15gpu_kernel_implINS0_13AUnaryFunctorIddbNS0_12_GLOBAL__N_116CompareEqFunctorIdEEEEEEvRNS_18TensorIteratorBaseERKT_EUlibE_EEviT1_.has_indirect_call, 0
	.section	.AMDGPU.csdata,"",@progbits
; Kernel info:
; codeLenInByte = 36452
; TotalNumSgprs: 33
; NumVgprs: 15
; ScratchSize: 0
; MemoryBound: 1
; FloatMode: 240
; IeeeMode: 1
; LDSByteSize: 0 bytes/workgroup (compile time only)
; SGPRBlocks: 0
; VGPRBlocks: 0
; NumSGPRsForWavesPerEU: 33
; NumVGPRsForWavesPerEU: 15
; NamedBarCnt: 0
; Occupancy: 16
; WaveLimiterHint : 0
; COMPUTE_PGM_RSRC2:SCRATCH_EN: 0
; COMPUTE_PGM_RSRC2:USER_SGPR: 2
; COMPUTE_PGM_RSRC2:TRAP_HANDLER: 0
; COMPUTE_PGM_RSRC2:TGID_X_EN: 1
; COMPUTE_PGM_RSRC2:TGID_Y_EN: 0
; COMPUTE_PGM_RSRC2:TGID_Z_EN: 0
; COMPUTE_PGM_RSRC2:TIDIG_COMP_CNT: 0
	.section	.text._ZN2at6native32elementwise_kernel_manual_unrollILi128ELi4EZNS0_15gpu_kernel_implINS0_13AUnaryFunctorIddbNS0_12_GLOBAL__N_116CompareEqFunctorIdEEEEEEvRNS_18TensorIteratorBaseERKT_EUlibE0_EEviT1_,"axG",@progbits,_ZN2at6native32elementwise_kernel_manual_unrollILi128ELi4EZNS0_15gpu_kernel_implINS0_13AUnaryFunctorIddbNS0_12_GLOBAL__N_116CompareEqFunctorIdEEEEEEvRNS_18TensorIteratorBaseERKT_EUlibE0_EEviT1_,comdat
	.globl	_ZN2at6native32elementwise_kernel_manual_unrollILi128ELi4EZNS0_15gpu_kernel_implINS0_13AUnaryFunctorIddbNS0_12_GLOBAL__N_116CompareEqFunctorIdEEEEEEvRNS_18TensorIteratorBaseERKT_EUlibE0_EEviT1_ ; -- Begin function _ZN2at6native32elementwise_kernel_manual_unrollILi128ELi4EZNS0_15gpu_kernel_implINS0_13AUnaryFunctorIddbNS0_12_GLOBAL__N_116CompareEqFunctorIdEEEEEEvRNS_18TensorIteratorBaseERKT_EUlibE0_EEviT1_
	.p2align	8
	.type	_ZN2at6native32elementwise_kernel_manual_unrollILi128ELi4EZNS0_15gpu_kernel_implINS0_13AUnaryFunctorIddbNS0_12_GLOBAL__N_116CompareEqFunctorIdEEEEEEvRNS_18TensorIteratorBaseERKT_EUlibE0_EEviT1_,@function
_ZN2at6native32elementwise_kernel_manual_unrollILi128ELi4EZNS0_15gpu_kernel_implINS0_13AUnaryFunctorIddbNS0_12_GLOBAL__N_116CompareEqFunctorIdEEEEEEvRNS_18TensorIteratorBaseERKT_EUlibE0_EEviT1_: ; @_ZN2at6native32elementwise_kernel_manual_unrollILi128ELi4EZNS0_15gpu_kernel_implINS0_13AUnaryFunctorIddbNS0_12_GLOBAL__N_116CompareEqFunctorIdEEEEEEvRNS_18TensorIteratorBaseERKT_EUlibE0_EEviT1_
; %bb.0:
	s_clause 0x1
	s_load_b32 s19, s[0:1], 0x8
	s_load_b32 s40, s[0:1], 0x0
	s_bfe_u32 s2, ttmp6, 0x4000c
	s_and_b32 s3, ttmp6, 15
	s_add_co_i32 s2, s2, 1
	s_getreg_b32 s4, hwreg(HW_REG_IB_STS2, 6, 4)
	s_mul_i32 s2, ttmp9, s2
	s_mov_b32 s36, 0
	s_add_co_i32 s3, s3, s2
	s_cmp_eq_u32 s4, 0
	s_mov_b32 s30, -1
	s_cselect_b32 s2, ttmp9, s3
	s_add_nc_u64 s[20:21], s[0:1], 8
	v_lshl_or_b32 v0, s2, 9, v0
	s_mov_b32 s11, 0
	s_wait_xcnt 0x0
	s_mov_b32 s0, exec_lo
	s_delay_alu instid0(VALU_DEP_1) | instskip(SKIP_2) | instid1(SALU_CYCLE_1)
	v_or_b32_e32 v9, 0x180, v0
	s_wait_kmcnt 0x0
	s_add_co_i32 s33, s19, -1
	s_cmp_gt_u32 s33, 1
	s_cselect_b32 s37, -1, 0
	v_cmpx_le_i32_e64 s40, v9
	s_xor_b32 s38, exec_lo, s0
	s_cbranch_execz .LBB95_1096
; %bb.1:
	s_clause 0x5
	s_load_b128 s[8:11], s[20:21], 0x4
	s_load_b96 s[16:18], s[20:21], 0x160
	s_load_b32 s0, s[20:21], 0x158
	s_load_b64 s[2:3], s[20:21], 0x14
	s_load_b128 s[12:15], s[20:21], 0xc4
	s_load_b128 s[4:7], s[20:21], 0x148
	s_cmp_lg_u32 s19, 0
	s_mov_b32 s23, 0
	s_cselect_b32 s42, -1, 0
	s_min_u32 s41, s33, 15
	s_cmp_gt_u32 s19, 1
	s_add_nc_u64 s[26:27], s[20:21], 0xc4
	s_cselect_b32 s39, -1, 0
	s_mov_b32 s25, s23
	s_mov_b32 s44, s23
	;; [unrolled: 1-line block ×3, first 2 shown]
	s_mov_b32 s45, exec_lo
	s_wait_kmcnt 0x0
	s_mov_b32 s22, s9
	s_bfe_u32 s9, s18, 0x80008
	s_cmp_eq_u32 s0, 0
	s_mov_b32 s24, s2
	s_cselect_b32 s0, -1, 0
	v_cmpx_gt_i32_e64 s40, v0
	s_cbranch_execz .LBB95_267
; %bb.2:
	s_and_not1_b32 vcc_lo, exec_lo, s37
	s_cbranch_vccnz .LBB95_8
; %bb.3:
	s_and_not1_b32 vcc_lo, exec_lo, s42
	s_cbranch_vccnz .LBB95_9
; %bb.4:
	s_add_co_i32 s1, s41, 1
	s_cmp_eq_u32 s33, 2
	s_cbranch_scc1 .LBB95_10
; %bb.5:
	v_dual_mov_b32 v2, 0 :: v_dual_mov_b32 v4, 0
	v_mov_b32_e32 v1, v0
	s_and_b32 s28, s1, 28
	s_mov_b32 s2, 0
	s_mov_b64 s[30:31], s[20:21]
	s_mov_b64 s[34:35], s[26:27]
.LBB95_6:                               ; =>This Inner Loop Header: Depth=1
	s_clause 0x1
	s_load_b256 s[48:55], s[30:31], 0x4
	s_load_b128 s[64:67], s[30:31], 0x24
	s_load_b256 s[56:63], s[34:35], 0x0
	s_add_co_i32 s2, s2, 4
	s_wait_xcnt 0x0
	s_add_nc_u64 s[30:31], s[30:31], 48
	s_cmp_lg_u32 s28, s2
	s_add_nc_u64 s[34:35], s[34:35], 32
	s_wait_kmcnt 0x0
	v_mul_hi_u32 v3, s49, v1
	s_delay_alu instid0(VALU_DEP_1) | instskip(NEXT) | instid1(VALU_DEP_1)
	v_add_nc_u32_e32 v3, v1, v3
	v_lshrrev_b32_e32 v3, s50, v3
	s_delay_alu instid0(VALU_DEP_1) | instskip(NEXT) | instid1(VALU_DEP_1)
	v_mul_hi_u32 v5, s52, v3
	v_add_nc_u32_e32 v5, v3, v5
	s_delay_alu instid0(VALU_DEP_1) | instskip(NEXT) | instid1(VALU_DEP_1)
	v_lshrrev_b32_e32 v5, s53, v5
	v_mul_hi_u32 v6, s55, v5
	s_delay_alu instid0(VALU_DEP_1) | instskip(SKIP_1) | instid1(VALU_DEP_1)
	v_add_nc_u32_e32 v6, v5, v6
	v_mul_lo_u32 v7, v3, s48
	v_sub_nc_u32_e32 v1, v1, v7
	v_mul_lo_u32 v7, v5, s51
	s_delay_alu instid0(VALU_DEP_4) | instskip(NEXT) | instid1(VALU_DEP_3)
	v_lshrrev_b32_e32 v6, s64, v6
	v_mad_u32 v4, v1, s57, v4
	v_mad_u32 v1, v1, s56, v2
	s_delay_alu instid0(VALU_DEP_4) | instskip(NEXT) | instid1(VALU_DEP_4)
	v_sub_nc_u32_e32 v2, v3, v7
	v_mul_hi_u32 v8, s66, v6
	v_mul_lo_u32 v3, v6, s54
	s_delay_alu instid0(VALU_DEP_3) | instskip(SKIP_1) | instid1(VALU_DEP_3)
	v_mad_u32 v4, v2, s59, v4
	v_mad_u32 v2, v2, s58, v1
	v_dual_add_nc_u32 v7, v6, v8 :: v_dual_sub_nc_u32 v3, v5, v3
	s_delay_alu instid0(VALU_DEP_1) | instskip(NEXT) | instid1(VALU_DEP_2)
	v_lshrrev_b32_e32 v1, s67, v7
	v_mad_u32 v4, v3, s61, v4
	s_delay_alu instid0(VALU_DEP_4) | instskip(NEXT) | instid1(VALU_DEP_3)
	v_mad_u32 v2, v3, s60, v2
	v_mul_lo_u32 v5, v1, s65
	s_delay_alu instid0(VALU_DEP_1) | instskip(NEXT) | instid1(VALU_DEP_1)
	v_sub_nc_u32_e32 v3, v6, v5
	v_mad_u32 v4, v3, s63, v4
	s_delay_alu instid0(VALU_DEP_4)
	v_mad_u32 v2, v3, s62, v2
	s_cbranch_scc1 .LBB95_6
; %bb.7:
	s_delay_alu instid0(VALU_DEP_2)
	v_mov_b32_e32 v3, v4
	s_and_b32 s1, s1, 3
	s_mov_b32 s29, 0
	s_cmp_eq_u32 s1, 0
	s_cbranch_scc0 .LBB95_11
	s_branch .LBB95_14
.LBB95_8:
                                        ; implicit-def: $vgpr4
                                        ; implicit-def: $vgpr2
	s_branch .LBB95_15
.LBB95_9:
	v_dual_mov_b32 v4, 0 :: v_dual_mov_b32 v2, 0
	s_branch .LBB95_14
.LBB95_10:
	v_mov_b64_e32 v[2:3], 0
	v_mov_b32_e32 v1, v0
	s_mov_b32 s28, 0
                                        ; implicit-def: $vgpr4
	s_and_b32 s1, s1, 3
	s_mov_b32 s29, 0
	s_cmp_eq_u32 s1, 0
	s_cbranch_scc1 .LBB95_14
.LBB95_11:
	s_lshl_b32 s30, s28, 3
	s_mov_b32 s31, s29
	s_mul_u64 s[34:35], s[28:29], 12
	s_add_nc_u64 s[30:31], s[20:21], s[30:31]
	s_delay_alu instid0(SALU_CYCLE_1)
	s_add_nc_u64 s[28:29], s[30:31], 0xc4
	s_add_nc_u64 s[30:31], s[20:21], s[34:35]
.LBB95_12:                              ; =>This Inner Loop Header: Depth=1
	s_load_b96 s[48:50], s[30:31], 0x4
	s_load_b64 s[34:35], s[28:29], 0x0
	s_add_co_i32 s1, s1, -1
	s_wait_xcnt 0x0
	s_add_nc_u64 s[30:31], s[30:31], 12
	s_cmp_lg_u32 s1, 0
	s_add_nc_u64 s[28:29], s[28:29], 8
	s_wait_kmcnt 0x0
	v_mul_hi_u32 v4, s49, v1
	s_delay_alu instid0(VALU_DEP_1) | instskip(NEXT) | instid1(VALU_DEP_1)
	v_add_nc_u32_e32 v4, v1, v4
	v_lshrrev_b32_e32 v4, s50, v4
	s_delay_alu instid0(VALU_DEP_1) | instskip(NEXT) | instid1(VALU_DEP_1)
	v_mul_lo_u32 v5, v4, s48
	v_sub_nc_u32_e32 v1, v1, v5
	s_delay_alu instid0(VALU_DEP_1)
	v_mad_u32 v3, v1, s35, v3
	v_mad_u32 v2, v1, s34, v2
	v_mov_b32_e32 v1, v4
	s_cbranch_scc1 .LBB95_12
; %bb.13:
	s_delay_alu instid0(VALU_DEP_3)
	v_mov_b32_e32 v4, v3
.LBB95_14:
	s_cbranch_execnz .LBB95_17
.LBB95_15:
	v_mov_b32_e32 v1, 0
	s_and_not1_b32 vcc_lo, exec_lo, s39
	s_delay_alu instid0(VALU_DEP_1) | instskip(NEXT) | instid1(VALU_DEP_1)
	v_mul_u64_e32 v[2:3], s[22:23], v[0:1]
	v_add_nc_u32_e32 v2, v0, v3
	s_delay_alu instid0(VALU_DEP_1) | instskip(NEXT) | instid1(VALU_DEP_1)
	v_lshrrev_b32_e32 v6, s10, v2
	v_mul_lo_u32 v2, v6, s8
	s_delay_alu instid0(VALU_DEP_1) | instskip(NEXT) | instid1(VALU_DEP_1)
	v_sub_nc_u32_e32 v2, v0, v2
	v_mul_lo_u32 v4, v2, s13
	v_mul_lo_u32 v2, v2, s12
	s_cbranch_vccnz .LBB95_17
; %bb.16:
	v_mov_b32_e32 v7, v1
	s_delay_alu instid0(VALU_DEP_1) | instskip(NEXT) | instid1(VALU_DEP_1)
	v_mul_u64_e32 v[8:9], s[24:25], v[6:7]
	v_add_nc_u32_e32 v1, v6, v9
	s_delay_alu instid0(VALU_DEP_1) | instskip(NEXT) | instid1(VALU_DEP_1)
	v_lshrrev_b32_e32 v1, s3, v1
	v_mul_lo_u32 v1, v1, s11
	s_delay_alu instid0(VALU_DEP_1) | instskip(NEXT) | instid1(VALU_DEP_1)
	v_sub_nc_u32_e32 v1, v6, v1
	v_mad_u32 v2, v1, s14, v2
	v_mad_u32 v4, v1, s15, v4
.LBB95_17:
	v_mov_b32_e32 v5, 0
	s_and_b32 s1, 0xffff, s9
	s_delay_alu instid0(SALU_CYCLE_1) | instskip(NEXT) | instid1(VALU_DEP_1)
	s_cmp_lt_i32 s1, 11
	v_add_nc_u64_e32 v[4:5], s[6:7], v[4:5]
	s_cbranch_scc1 .LBB95_24
; %bb.18:
	s_cmp_gt_i32 s1, 25
	s_cbranch_scc0 .LBB95_33
; %bb.19:
	s_cmp_gt_i32 s1, 28
	s_cbranch_scc0 .LBB95_36
	;; [unrolled: 3-line block ×4, first 2 shown]
; %bb.22:
	s_cmp_eq_u32 s1, 46
	s_mov_b32 s29, 0
	s_cbranch_scc0 .LBB95_42
; %bb.23:
	global_load_b32 v1, v[4:5], off
	s_mov_b32 s2, -1
	s_mov_b32 s28, 0
	s_wait_loadcnt 0x0
	v_lshlrev_b32_e32 v1, 16, v1
	s_delay_alu instid0(VALU_DEP_1)
	v_cvt_f64_f32_e32 v[6:7], v1
	s_branch .LBB95_44
.LBB95_24:
	s_mov_b32 s28, 0
	s_mov_b32 s2, 0
                                        ; implicit-def: $vgpr6_vgpr7
	s_cbranch_execnz .LBB95_217
.LBB95_25:
	s_and_not1_b32 vcc_lo, exec_lo, s2
	s_cbranch_vccnz .LBB95_264
.LBB95_26:
	s_wait_loadcnt 0x0
	s_delay_alu instid0(VALU_DEP_1) | instskip(SKIP_1) | instid1(SALU_CYCLE_1)
	v_cmp_eq_f64_e32 vcc_lo, s[16:17], v[6:7]
	s_and_b32 s29, s18, 0xff
	s_cmp_lt_i32 s29, 11
	v_cndmask_b32_e64 v1, 0, 1, vcc_lo
	v_cmp_neq_f64_e32 vcc_lo, s[16:17], v[6:7]
	v_cndmask_b32_e64 v3, 0, 1, vcc_lo
	s_delay_alu instid0(VALU_DEP_1) | instskip(NEXT) | instid1(VALU_DEP_1)
	v_dual_cndmask_b32 v1, v3, v1, s0 :: v_dual_mov_b32 v3, 0
	v_and_b32_e32 v1, 1, v1
	s_delay_alu instid0(VALU_DEP_2) | instskip(NEXT) | instid1(VALU_DEP_2)
	v_add_nc_u64_e32 v[2:3], s[4:5], v[2:3]
	v_cmp_eq_u32_e64 s1, 1, v1
	s_cbranch_scc1 .LBB95_34
; %bb.27:
	s_and_b32 s30, 0xffff, s29
	s_delay_alu instid0(SALU_CYCLE_1)
	s_cmp_gt_i32 s30, 25
	s_cbranch_scc0 .LBB95_37
; %bb.28:
	s_cmp_gt_i32 s30, 28
	s_cbranch_scc0 .LBB95_39
; %bb.29:
	;; [unrolled: 3-line block ×4, first 2 shown]
	s_mov_b32 s34, 0
	s_mov_b32 s2, -1
	s_cmp_eq_u32 s30, 46
	s_mov_b32 s31, 0
	s_cbranch_scc0 .LBB95_48
; %bb.32:
	v_cndmask_b32_e64 v1, 0, 1.0, s1
	s_mov_b32 s31, -1
	s_mov_b32 s2, 0
	s_delay_alu instid0(VALU_DEP_1) | instskip(NEXT) | instid1(VALU_DEP_1)
	v_bfe_u32 v4, v1, 16, 1
	v_add3_u32 v1, v1, v4, 0x7fff
	s_delay_alu instid0(VALU_DEP_1)
	v_lshrrev_b32_e32 v1, 16, v1
	global_store_b32 v[2:3], v1, off
	s_branch .LBB95_48
.LBB95_33:
	s_mov_b32 s28, 0
	s_mov_b32 s2, 0
                                        ; implicit-def: $vgpr6_vgpr7
	s_cbranch_execnz .LBB95_182
	s_branch .LBB95_216
.LBB95_34:
	s_mov_b32 s2, 0
	s_mov_b32 s31, 0
	s_cbranch_execnz .LBB95_117
.LBB95_35:
	s_and_not1_b32 vcc_lo, exec_lo, s31
	s_cbranch_vccz .LBB95_155
	s_branch .LBB95_265
.LBB95_36:
	s_mov_b32 s29, -1
	s_mov_b32 s28, 0
	s_mov_b32 s2, 0
                                        ; implicit-def: $vgpr6_vgpr7
	s_branch .LBB95_163
.LBB95_37:
	s_mov_b32 s34, -1
	s_mov_b32 s2, 0
	s_mov_b32 s31, 0
	s_branch .LBB95_75
.LBB95_38:
	s_mov_b32 s29, -1
	s_mov_b32 s28, 0
	s_mov_b32 s2, 0
                                        ; implicit-def: $vgpr6_vgpr7
	s_branch .LBB95_158
.LBB95_39:
	s_mov_b32 s34, -1
	s_mov_b32 s2, 0
	s_mov_b32 s31, 0
	s_branch .LBB95_58
.LBB95_40:
	s_mov_b32 s29, -1
	s_mov_b32 s28, 0
	s_branch .LBB95_43
.LBB95_41:
	s_mov_b32 s34, -1
	s_mov_b32 s2, 0
	s_mov_b32 s31, 0
	s_branch .LBB95_54
.LBB95_42:
	s_mov_b32 s28, -1
.LBB95_43:
	s_mov_b32 s2, 0
                                        ; implicit-def: $vgpr6_vgpr7
.LBB95_44:
	s_and_b32 vcc_lo, exec_lo, s29
	s_cbranch_vccz .LBB95_157
; %bb.45:
	s_cmp_eq_u32 s1, 44
	s_cbranch_scc0 .LBB95_156
; %bb.46:
	global_load_u8 v1, v[4:5], off
	s_mov_b32 s28, 0
	s_mov_b32 s2, -1
	s_wait_loadcnt 0x0
	v_cmp_ne_u32_e32 vcc_lo, 0xff, v1
	v_lshlrev_b32_e32 v3, 23, v1
	s_delay_alu instid0(VALU_DEP_1) | instskip(NEXT) | instid1(VALU_DEP_1)
	v_cvt_f64_f32_e32 v[6:7], v3
	v_cndmask_b32_e32 v3, 0x20000000, v6, vcc_lo
	s_delay_alu instid0(VALU_DEP_2) | instskip(SKIP_1) | instid1(VALU_DEP_2)
	v_cndmask_b32_e32 v6, 0x7ff80000, v7, vcc_lo
	v_cmp_ne_u32_e32 vcc_lo, 0, v1
	v_cndmask_b32_e32 v7, 0x38000000, v6, vcc_lo
	s_delay_alu instid0(VALU_DEP_4)
	v_cndmask_b32_e32 v6, 0, v3, vcc_lo
	s_branch .LBB95_157
.LBB95_47:
	s_mov_b32 s34, -1
	s_mov_b32 s2, 0
	s_mov_b32 s31, 0
.LBB95_48:
	s_and_b32 vcc_lo, exec_lo, s34
	s_cbranch_vccz .LBB95_53
; %bb.49:
	s_cmp_eq_u32 s30, 44
	s_mov_b32 s2, -1
	s_cbranch_scc0 .LBB95_53
; %bb.50:
	v_cndmask_b32_e64 v5, 0, 1.0, s1
	s_mov_b32 s31, exec_lo
	s_wait_xcnt 0x0
	s_delay_alu instid0(VALU_DEP_1) | instskip(NEXT) | instid1(VALU_DEP_1)
	v_dual_mov_b32 v4, 0xff :: v_dual_lshrrev_b32 v1, 23, v5
	v_cmpx_ne_u32_e32 0xff, v1
; %bb.51:
	v_and_b32_e32 v4, 0x400000, v5
	v_and_or_b32 v5, 0x3fffff, v5, v1
	s_delay_alu instid0(VALU_DEP_2) | instskip(NEXT) | instid1(VALU_DEP_2)
	v_cmp_ne_u32_e32 vcc_lo, 0, v4
	v_cmp_ne_u32_e64 s2, 0, v5
	s_and_b32 s2, vcc_lo, s2
	s_delay_alu instid0(SALU_CYCLE_1) | instskip(NEXT) | instid1(VALU_DEP_1)
	v_cndmask_b32_e64 v4, 0, 1, s2
	v_add_nc_u32_e32 v4, v1, v4
; %bb.52:
	s_or_b32 exec_lo, exec_lo, s31
	s_mov_b32 s31, -1
	s_mov_b32 s2, 0
	global_store_b8 v[2:3], v4, off
.LBB95_53:
	s_mov_b32 s34, 0
.LBB95_54:
	s_delay_alu instid0(SALU_CYCLE_1)
	s_and_b32 vcc_lo, exec_lo, s34
	s_cbranch_vccz .LBB95_57
; %bb.55:
	s_cmp_eq_u32 s30, 29
	s_mov_b32 s2, -1
	s_cbranch_scc0 .LBB95_57
; %bb.56:
	s_mov_b32 s2, 0
	s_wait_xcnt 0x0
	v_cndmask_b32_e64 v4, 0, 1, s1
	v_mov_b32_e32 v5, s2
	s_mov_b32 s31, -1
	s_mov_b32 s34, 0
	global_store_b64 v[2:3], v[4:5], off
	s_branch .LBB95_58
.LBB95_57:
	s_mov_b32 s34, 0
.LBB95_58:
	s_delay_alu instid0(SALU_CYCLE_1)
	s_and_b32 vcc_lo, exec_lo, s34
	s_cbranch_vccz .LBB95_74
; %bb.59:
	s_cmp_lt_i32 s30, 27
	s_mov_b32 s31, -1
	s_cbranch_scc1 .LBB95_65
; %bb.60:
	s_cmp_gt_i32 s30, 27
	s_cbranch_scc0 .LBB95_62
; %bb.61:
	s_wait_xcnt 0x0
	v_cndmask_b32_e64 v1, 0, 1, s1
	s_mov_b32 s31, 0
	global_store_b32 v[2:3], v1, off
.LBB95_62:
	s_and_not1_b32 vcc_lo, exec_lo, s31
	s_cbranch_vccnz .LBB95_64
; %bb.63:
	s_wait_xcnt 0x0
	v_cndmask_b32_e64 v1, 0, 1, s1
	global_store_b16 v[2:3], v1, off
.LBB95_64:
	s_mov_b32 s31, 0
.LBB95_65:
	s_delay_alu instid0(SALU_CYCLE_1)
	s_and_not1_b32 vcc_lo, exec_lo, s31
	s_cbranch_vccnz .LBB95_73
; %bb.66:
	s_wait_xcnt 0x0
	v_cndmask_b32_e64 v4, 0, 1.0, s1
	v_mov_b32_e32 v5, 0x80
	s_mov_b32 s31, exec_lo
	s_delay_alu instid0(VALU_DEP_2)
	v_cmpx_gt_u32_e32 0x43800000, v4
	s_cbranch_execz .LBB95_72
; %bb.67:
	s_mov_b32 s34, 0
	s_mov_b32 s35, exec_lo
                                        ; implicit-def: $vgpr1
	v_cmpx_lt_u32_e32 0x3bffffff, v4
	s_xor_b32 s35, exec_lo, s35
	s_cbranch_execz .LBB95_310
; %bb.68:
	v_bfe_u32 v1, v4, 20, 1
	s_mov_b32 s34, exec_lo
	s_delay_alu instid0(VALU_DEP_1) | instskip(NEXT) | instid1(VALU_DEP_1)
	v_add3_u32 v1, v4, v1, 0x487ffff
                                        ; implicit-def: $vgpr4
	v_lshrrev_b32_e32 v1, 20, v1
	s_and_not1_saveexec_b32 s35, s35
	s_cbranch_execnz .LBB95_311
.LBB95_69:
	s_or_b32 exec_lo, exec_lo, s35
	v_mov_b32_e32 v5, 0
	s_and_saveexec_b32 s35, s34
.LBB95_70:
	v_mov_b32_e32 v5, v1
.LBB95_71:
	s_or_b32 exec_lo, exec_lo, s35
.LBB95_72:
	s_delay_alu instid0(SALU_CYCLE_1)
	s_or_b32 exec_lo, exec_lo, s31
	global_store_b8 v[2:3], v5, off
.LBB95_73:
	s_mov_b32 s31, -1
.LBB95_74:
	s_mov_b32 s34, 0
.LBB95_75:
	s_delay_alu instid0(SALU_CYCLE_1)
	s_and_b32 vcc_lo, exec_lo, s34
	s_cbranch_vccz .LBB95_116
; %bb.76:
	s_cmp_gt_i32 s30, 22
	s_mov_b32 s34, -1
	s_cbranch_scc0 .LBB95_108
; %bb.77:
	s_cmp_lt_i32 s30, 24
	s_mov_b32 s31, -1
	s_cbranch_scc1 .LBB95_97
; %bb.78:
	s_cmp_gt_i32 s30, 24
	s_cbranch_scc0 .LBB95_86
; %bb.79:
	s_wait_xcnt 0x0
	v_cndmask_b32_e64 v4, 0, 1.0, s1
	v_mov_b32_e32 v5, 0x80
	s_mov_b32 s31, exec_lo
	s_delay_alu instid0(VALU_DEP_2)
	v_cmpx_gt_u32_e32 0x47800000, v4
	s_cbranch_execz .LBB95_85
; %bb.80:
	s_mov_b32 s34, 0
	s_mov_b32 s35, exec_lo
                                        ; implicit-def: $vgpr1
	v_cmpx_lt_u32_e32 0x37ffffff, v4
	s_xor_b32 s35, exec_lo, s35
	s_cbranch_execz .LBB95_314
; %bb.81:
	v_bfe_u32 v1, v4, 21, 1
	s_mov_b32 s34, exec_lo
	s_delay_alu instid0(VALU_DEP_1) | instskip(NEXT) | instid1(VALU_DEP_1)
	v_add3_u32 v1, v4, v1, 0x88fffff
                                        ; implicit-def: $vgpr4
	v_lshrrev_b32_e32 v1, 21, v1
	s_and_not1_saveexec_b32 s35, s35
	s_cbranch_execnz .LBB95_315
.LBB95_82:
	s_or_b32 exec_lo, exec_lo, s35
	v_mov_b32_e32 v5, 0
	s_and_saveexec_b32 s35, s34
.LBB95_83:
	v_mov_b32_e32 v5, v1
.LBB95_84:
	s_or_b32 exec_lo, exec_lo, s35
.LBB95_85:
	s_delay_alu instid0(SALU_CYCLE_1)
	s_or_b32 exec_lo, exec_lo, s31
	s_mov_b32 s31, 0
	global_store_b8 v[2:3], v5, off
.LBB95_86:
	s_and_b32 vcc_lo, exec_lo, s31
	s_cbranch_vccz .LBB95_96
; %bb.87:
	s_wait_xcnt 0x0
	v_cndmask_b32_e64 v4, 0, 1.0, s1
	s_mov_b32 s31, exec_lo
                                        ; implicit-def: $vgpr1
	s_delay_alu instid0(VALU_DEP_1)
	v_cmpx_gt_u32_e32 0x43f00000, v4
	s_xor_b32 s31, exec_lo, s31
	s_cbranch_execz .LBB95_93
; %bb.88:
	s_mov_b32 s34, exec_lo
                                        ; implicit-def: $vgpr1
	v_cmpx_lt_u32_e32 0x3c7fffff, v4
	s_xor_b32 s34, exec_lo, s34
; %bb.89:
	v_bfe_u32 v1, v4, 20, 1
	s_delay_alu instid0(VALU_DEP_1) | instskip(NEXT) | instid1(VALU_DEP_1)
	v_add3_u32 v1, v4, v1, 0x407ffff
	v_and_b32_e32 v4, 0xff00000, v1
	v_lshrrev_b32_e32 v1, 20, v1
	s_delay_alu instid0(VALU_DEP_2) | instskip(NEXT) | instid1(VALU_DEP_2)
	v_cmp_ne_u32_e32 vcc_lo, 0x7f00000, v4
                                        ; implicit-def: $vgpr4
	v_cndmask_b32_e32 v1, 0x7e, v1, vcc_lo
; %bb.90:
	s_and_not1_saveexec_b32 s34, s34
; %bb.91:
	v_add_f32_e32 v1, 0x46800000, v4
; %bb.92:
	s_or_b32 exec_lo, exec_lo, s34
                                        ; implicit-def: $vgpr4
.LBB95_93:
	s_and_not1_saveexec_b32 s31, s31
; %bb.94:
	v_mov_b32_e32 v1, 0x7f
	v_cmp_lt_u32_e32 vcc_lo, 0x7f800000, v4
	s_delay_alu instid0(VALU_DEP_2)
	v_cndmask_b32_e32 v1, 0x7e, v1, vcc_lo
; %bb.95:
	s_or_b32 exec_lo, exec_lo, s31
	global_store_b8 v[2:3], v1, off
.LBB95_96:
	s_mov_b32 s31, 0
.LBB95_97:
	s_delay_alu instid0(SALU_CYCLE_1)
	s_and_not1_b32 vcc_lo, exec_lo, s31
	s_cbranch_vccnz .LBB95_107
; %bb.98:
	s_wait_xcnt 0x0
	v_cndmask_b32_e64 v4, 0, 1.0, s1
	s_mov_b32 s31, exec_lo
                                        ; implicit-def: $vgpr1
	s_delay_alu instid0(VALU_DEP_1)
	v_cmpx_gt_u32_e32 0x47800000, v4
	s_xor_b32 s31, exec_lo, s31
	s_cbranch_execz .LBB95_104
; %bb.99:
	s_mov_b32 s34, exec_lo
                                        ; implicit-def: $vgpr1
	v_cmpx_lt_u32_e32 0x387fffff, v4
	s_xor_b32 s34, exec_lo, s34
; %bb.100:
	v_bfe_u32 v1, v4, 21, 1
	s_delay_alu instid0(VALU_DEP_1) | instskip(NEXT) | instid1(VALU_DEP_1)
	v_add3_u32 v1, v4, v1, 0x80fffff
                                        ; implicit-def: $vgpr4
	v_lshrrev_b32_e32 v1, 21, v1
; %bb.101:
	s_and_not1_saveexec_b32 s34, s34
; %bb.102:
	v_add_f32_e32 v1, 0x43000000, v4
; %bb.103:
	s_or_b32 exec_lo, exec_lo, s34
                                        ; implicit-def: $vgpr4
.LBB95_104:
	s_and_not1_saveexec_b32 s31, s31
; %bb.105:
	v_mov_b32_e32 v1, 0x7f
	v_cmp_lt_u32_e32 vcc_lo, 0x7f800000, v4
	s_delay_alu instid0(VALU_DEP_2)
	v_cndmask_b32_e32 v1, 0x7c, v1, vcc_lo
; %bb.106:
	s_or_b32 exec_lo, exec_lo, s31
	global_store_b8 v[2:3], v1, off
.LBB95_107:
	s_mov_b32 s34, 0
	s_mov_b32 s31, -1
.LBB95_108:
	s_and_not1_b32 vcc_lo, exec_lo, s34
	s_cbranch_vccnz .LBB95_116
; %bb.109:
	s_cmp_gt_i32 s30, 14
	s_mov_b32 s34, -1
	s_cbranch_scc0 .LBB95_113
; %bb.110:
	s_cmp_eq_u32 s30, 15
	s_mov_b32 s2, -1
	s_cbranch_scc0 .LBB95_112
; %bb.111:
	s_wait_xcnt 0x0
	v_cndmask_b32_e64 v1, 0, 1.0, s1
	s_mov_b32 s31, -1
	s_mov_b32 s2, 0
	s_delay_alu instid0(VALU_DEP_1) | instskip(NEXT) | instid1(VALU_DEP_1)
	v_bfe_u32 v4, v1, 16, 1
	v_add3_u32 v1, v1, v4, 0x7fff
	global_store_d16_hi_b16 v[2:3], v1, off
.LBB95_112:
	s_mov_b32 s34, 0
.LBB95_113:
	s_delay_alu instid0(SALU_CYCLE_1)
	s_and_b32 vcc_lo, exec_lo, s34
	s_cbranch_vccz .LBB95_116
; %bb.114:
	s_cmp_eq_u32 s30, 11
	s_mov_b32 s2, -1
	s_cbranch_scc0 .LBB95_116
; %bb.115:
	s_wait_xcnt 0x0
	v_cndmask_b32_e64 v1, 0, 1, s1
	s_mov_b32 s31, -1
	s_mov_b32 s2, 0
	global_store_b8 v[2:3], v1, off
.LBB95_116:
	s_branch .LBB95_35
.LBB95_117:
	s_and_b32 s29, 0xffff, s29
	s_mov_b32 s30, -1
	s_cmp_lt_i32 s29, 5
	s_cbranch_scc1 .LBB95_138
; %bb.118:
	s_cmp_lt_i32 s29, 8
	s_cbranch_scc1 .LBB95_128
; %bb.119:
	;; [unrolled: 3-line block ×3, first 2 shown]
	s_cmp_gt_i32 s29, 9
	s_cbranch_scc0 .LBB95_122
; %bb.121:
	s_wait_xcnt 0x0
	v_cndmask_b32_e64 v1, 0, 1, s1
	v_mov_b32_e32 v6, 0
	s_mov_b32 s30, 0
	s_delay_alu instid0(VALU_DEP_2) | instskip(NEXT) | instid1(VALU_DEP_2)
	v_cvt_f64_u32_e32 v[4:5], v1
	v_mov_b32_e32 v7, v6
	global_store_b128 v[2:3], v[4:7], off
.LBB95_122:
	s_and_not1_b32 vcc_lo, exec_lo, s30
	s_cbranch_vccnz .LBB95_124
; %bb.123:
	s_wait_xcnt 0x0
	v_cndmask_b32_e64 v4, 0, 1.0, s1
	v_mov_b32_e32 v5, 0
	global_store_b64 v[2:3], v[4:5], off
.LBB95_124:
	s_mov_b32 s30, 0
.LBB95_125:
	s_delay_alu instid0(SALU_CYCLE_1)
	s_and_not1_b32 vcc_lo, exec_lo, s30
	s_cbranch_vccnz .LBB95_127
; %bb.126:
	s_wait_xcnt 0x0
	v_cndmask_b32_e64 v1, 0, 1.0, s1
	s_delay_alu instid0(VALU_DEP_1) | instskip(NEXT) | instid1(VALU_DEP_1)
	v_cvt_f16_f32_e32 v1, v1
	v_and_b32_e32 v1, 0xffff, v1
	global_store_b32 v[2:3], v1, off
.LBB95_127:
	s_mov_b32 s30, 0
.LBB95_128:
	s_delay_alu instid0(SALU_CYCLE_1)
	s_and_not1_b32 vcc_lo, exec_lo, s30
	s_cbranch_vccnz .LBB95_137
; %bb.129:
	s_cmp_lt_i32 s29, 6
	s_mov_b32 s30, -1
	s_cbranch_scc1 .LBB95_135
; %bb.130:
	s_cmp_gt_i32 s29, 6
	s_cbranch_scc0 .LBB95_132
; %bb.131:
	s_wait_xcnt 0x0
	v_cndmask_b32_e64 v1, 0, 1, s1
	s_mov_b32 s30, 0
	s_delay_alu instid0(VALU_DEP_1)
	v_cvt_f64_u32_e32 v[4:5], v1
	global_store_b64 v[2:3], v[4:5], off
.LBB95_132:
	s_and_not1_b32 vcc_lo, exec_lo, s30
	s_cbranch_vccnz .LBB95_134
; %bb.133:
	s_wait_xcnt 0x0
	v_cndmask_b32_e64 v1, 0, 1.0, s1
	global_store_b32 v[2:3], v1, off
.LBB95_134:
	s_mov_b32 s30, 0
.LBB95_135:
	s_delay_alu instid0(SALU_CYCLE_1)
	s_and_not1_b32 vcc_lo, exec_lo, s30
	s_cbranch_vccnz .LBB95_137
; %bb.136:
	s_wait_xcnt 0x0
	v_cndmask_b32_e64 v1, 0, 1.0, s1
	s_delay_alu instid0(VALU_DEP_1)
	v_cvt_f16_f32_e32 v1, v1
	global_store_b16 v[2:3], v1, off
.LBB95_137:
	s_mov_b32 s30, 0
.LBB95_138:
	s_delay_alu instid0(SALU_CYCLE_1)
	s_and_not1_b32 vcc_lo, exec_lo, s30
	s_cbranch_vccnz .LBB95_154
; %bb.139:
	s_cmp_lt_i32 s29, 2
	s_mov_b32 s30, -1
	s_cbranch_scc1 .LBB95_149
; %bb.140:
	s_cmp_lt_i32 s29, 3
	s_cbranch_scc1 .LBB95_146
; %bb.141:
	s_cmp_gt_i32 s29, 3
	s_cbranch_scc0 .LBB95_143
; %bb.142:
	s_mov_b32 s30, 0
	s_wait_xcnt 0x0
	v_cndmask_b32_e64 v4, 0, 1, s1
	v_mov_b32_e32 v5, s30
	global_store_b64 v[2:3], v[4:5], off
.LBB95_143:
	s_and_not1_b32 vcc_lo, exec_lo, s30
	s_cbranch_vccnz .LBB95_145
; %bb.144:
	s_wait_xcnt 0x0
	v_cndmask_b32_e64 v1, 0, 1, s1
	global_store_b32 v[2:3], v1, off
.LBB95_145:
	s_mov_b32 s30, 0
.LBB95_146:
	s_delay_alu instid0(SALU_CYCLE_1)
	s_and_not1_b32 vcc_lo, exec_lo, s30
	s_cbranch_vccnz .LBB95_148
; %bb.147:
	s_wait_xcnt 0x0
	v_cndmask_b32_e64 v1, 0, 1, s1
	global_store_b16 v[2:3], v1, off
.LBB95_148:
	s_mov_b32 s30, 0
.LBB95_149:
	s_delay_alu instid0(SALU_CYCLE_1)
	s_and_not1_b32 vcc_lo, exec_lo, s30
	s_cbranch_vccnz .LBB95_154
; %bb.150:
	s_cmp_gt_i32 s29, 0
	s_mov_b32 s29, -1
	s_cbranch_scc0 .LBB95_152
; %bb.151:
	s_wait_xcnt 0x0
	v_cndmask_b32_e64 v1, 0, 1, s1
	s_mov_b32 s29, 0
	global_store_b8 v[2:3], v1, off
.LBB95_152:
	s_and_not1_b32 vcc_lo, exec_lo, s29
	s_cbranch_vccnz .LBB95_154
; %bb.153:
	s_wait_xcnt 0x0
	v_cndmask_b32_e64 v1, 0, 1, s1
	global_store_b8 v[2:3], v1, off
.LBB95_154:
.LBB95_155:
	v_add_nc_u32_e32 v0, 0x80, v0
	s_mov_b32 s1, -1
	s_branch .LBB95_266
.LBB95_156:
	s_mov_b32 s28, -1
                                        ; implicit-def: $vgpr6_vgpr7
.LBB95_157:
	s_mov_b32 s29, 0
.LBB95_158:
	s_delay_alu instid0(SALU_CYCLE_1)
	s_and_b32 vcc_lo, exec_lo, s29
	s_cbranch_vccz .LBB95_162
; %bb.159:
	s_cmp_eq_u32 s1, 29
	s_cbranch_scc0 .LBB95_161
; %bb.160:
	global_load_b64 v[6:7], v[4:5], off
	s_mov_b32 s2, -1
	s_mov_b32 s28, 0
	s_mov_b32 s29, 0
	s_wait_loadcnt 0x0
	v_cvt_f64_u32_e32 v[8:9], v7
	v_cvt_f64_u32_e32 v[6:7], v6
	s_delay_alu instid0(VALU_DEP_2) | instskip(NEXT) | instid1(VALU_DEP_1)
	v_ldexp_f64 v[8:9], v[8:9], 32
	v_add_f64_e32 v[6:7], v[8:9], v[6:7]
	s_branch .LBB95_163
.LBB95_161:
	s_mov_b32 s28, -1
                                        ; implicit-def: $vgpr6_vgpr7
.LBB95_162:
	s_mov_b32 s29, 0
.LBB95_163:
	s_delay_alu instid0(SALU_CYCLE_1)
	s_and_b32 vcc_lo, exec_lo, s29
	s_cbranch_vccz .LBB95_181
; %bb.164:
	s_cmp_lt_i32 s1, 27
	s_cbranch_scc1 .LBB95_167
; %bb.165:
	s_cmp_gt_i32 s1, 27
	s_cbranch_scc0 .LBB95_168
; %bb.166:
	global_load_b32 v1, v[4:5], off
	s_mov_b32 s2, 0
	s_wait_loadcnt 0x0
	v_cvt_f64_u32_e32 v[6:7], v1
	s_branch .LBB95_169
.LBB95_167:
	s_mov_b32 s2, -1
                                        ; implicit-def: $vgpr6_vgpr7
	s_branch .LBB95_172
.LBB95_168:
	s_mov_b32 s2, -1
                                        ; implicit-def: $vgpr6_vgpr7
.LBB95_169:
	s_delay_alu instid0(SALU_CYCLE_1)
	s_and_not1_b32 vcc_lo, exec_lo, s2
	s_cbranch_vccnz .LBB95_171
; %bb.170:
	global_load_u16 v1, v[4:5], off
	s_wait_loadcnt 0x0
	v_cvt_f64_u32_e32 v[6:7], v1
.LBB95_171:
	s_mov_b32 s2, 0
.LBB95_172:
	s_delay_alu instid0(SALU_CYCLE_1)
	s_and_not1_b32 vcc_lo, exec_lo, s2
	s_cbranch_vccnz .LBB95_180
; %bb.173:
	global_load_u8 v1, v[4:5], off
	s_mov_b32 s2, 0
	s_mov_b32 s29, exec_lo
	s_wait_loadcnt 0x0
	v_cmpx_lt_i16_e32 0x7f, v1
	s_xor_b32 s29, exec_lo, s29
	s_cbranch_execz .LBB95_193
; %bb.174:
	s_mov_b32 s2, -1
	s_mov_b32 s30, exec_lo
	v_cmpx_eq_u16_e32 0x80, v1
; %bb.175:
	s_xor_b32 s2, exec_lo, -1
; %bb.176:
	s_or_b32 exec_lo, exec_lo, s30
	s_delay_alu instid0(SALU_CYCLE_1)
	s_and_b32 s2, s2, exec_lo
	s_or_saveexec_b32 s29, s29
	v_mov_b64_e32 v[6:7], 0x7ff8000020000000
	s_xor_b32 exec_lo, exec_lo, s29
	s_cbranch_execnz .LBB95_194
.LBB95_177:
	s_or_b32 exec_lo, exec_lo, s29
	s_and_saveexec_b32 s29, s2
	s_cbranch_execz .LBB95_179
.LBB95_178:
	v_and_b32_e32 v3, 0xffff, v1
	s_delay_alu instid0(VALU_DEP_1) | instskip(SKIP_1) | instid1(VALU_DEP_2)
	v_dual_lshlrev_b32 v1, 24, v1 :: v_dual_bitop2_b32 v6, 7, v3 bitop3:0x40
	v_bfe_u32 v9, v3, 3, 4
	v_and_b32_e32 v1, 0x80000000, v1
	s_delay_alu instid0(VALU_DEP_3) | instskip(NEXT) | instid1(VALU_DEP_3)
	v_clz_i32_u32_e32 v7, v6
	v_cmp_eq_u32_e32 vcc_lo, 0, v9
	s_delay_alu instid0(VALU_DEP_2) | instskip(NEXT) | instid1(VALU_DEP_1)
	v_min_u32_e32 v7, 32, v7
	v_subrev_nc_u32_e32 v8, 28, v7
	v_sub_nc_u32_e32 v7, 29, v7
	s_delay_alu instid0(VALU_DEP_2) | instskip(NEXT) | instid1(VALU_DEP_2)
	v_lshlrev_b32_e32 v3, v8, v3
	v_cndmask_b32_e32 v7, v9, v7, vcc_lo
	s_delay_alu instid0(VALU_DEP_2) | instskip(NEXT) | instid1(VALU_DEP_1)
	v_and_b32_e32 v3, 7, v3
	v_cndmask_b32_e32 v3, v6, v3, vcc_lo
	s_delay_alu instid0(VALU_DEP_3) | instskip(NEXT) | instid1(VALU_DEP_2)
	v_lshl_add_u32 v6, v7, 23, 0x3b800000
	v_lshlrev_b32_e32 v3, 20, v3
	s_delay_alu instid0(VALU_DEP_1) | instskip(NEXT) | instid1(VALU_DEP_1)
	v_or3_b32 v1, v1, v6, v3
	v_cvt_f64_f32_e32 v[6:7], v1
.LBB95_179:
	s_or_b32 exec_lo, exec_lo, s29
.LBB95_180:
	s_mov_b32 s2, -1
.LBB95_181:
	s_branch .LBB95_216
.LBB95_182:
	s_cmp_gt_i32 s1, 22
	s_cbranch_scc0 .LBB95_192
; %bb.183:
	s_cmp_lt_i32 s1, 24
	s_cbranch_scc1 .LBB95_195
; %bb.184:
	s_cmp_gt_i32 s1, 24
	s_cbranch_scc0 .LBB95_196
; %bb.185:
	global_load_u8 v1, v[4:5], off
	s_mov_b32 s2, 0
	s_mov_b32 s29, exec_lo
	s_wait_loadcnt 0x0
	v_cmpx_lt_i16_e32 0x7f, v1
	s_xor_b32 s29, exec_lo, s29
	s_cbranch_execz .LBB95_208
; %bb.186:
	s_mov_b32 s2, -1
	s_mov_b32 s30, exec_lo
	v_cmpx_eq_u16_e32 0x80, v1
; %bb.187:
	s_xor_b32 s2, exec_lo, -1
; %bb.188:
	s_or_b32 exec_lo, exec_lo, s30
	s_delay_alu instid0(SALU_CYCLE_1)
	s_and_b32 s2, s2, exec_lo
	s_or_saveexec_b32 s29, s29
	v_mov_b64_e32 v[6:7], 0x7ff8000020000000
	s_xor_b32 exec_lo, exec_lo, s29
	s_cbranch_execnz .LBB95_209
.LBB95_189:
	s_or_b32 exec_lo, exec_lo, s29
	s_and_saveexec_b32 s29, s2
	s_cbranch_execz .LBB95_191
.LBB95_190:
	v_and_b32_e32 v3, 0xffff, v1
	s_delay_alu instid0(VALU_DEP_1) | instskip(SKIP_1) | instid1(VALU_DEP_2)
	v_dual_lshlrev_b32 v1, 24, v1 :: v_dual_bitop2_b32 v6, 3, v3 bitop3:0x40
	v_bfe_u32 v9, v3, 2, 5
	v_and_b32_e32 v1, 0x80000000, v1
	s_delay_alu instid0(VALU_DEP_3) | instskip(NEXT) | instid1(VALU_DEP_3)
	v_clz_i32_u32_e32 v7, v6
	v_cmp_eq_u32_e32 vcc_lo, 0, v9
	s_delay_alu instid0(VALU_DEP_2) | instskip(NEXT) | instid1(VALU_DEP_1)
	v_min_u32_e32 v7, 32, v7
	v_subrev_nc_u32_e32 v8, 29, v7
	v_sub_nc_u32_e32 v7, 30, v7
	s_delay_alu instid0(VALU_DEP_2) | instskip(NEXT) | instid1(VALU_DEP_2)
	v_lshlrev_b32_e32 v3, v8, v3
	v_cndmask_b32_e32 v7, v9, v7, vcc_lo
	s_delay_alu instid0(VALU_DEP_2) | instskip(NEXT) | instid1(VALU_DEP_1)
	v_and_b32_e32 v3, 3, v3
	v_cndmask_b32_e32 v3, v6, v3, vcc_lo
	s_delay_alu instid0(VALU_DEP_3) | instskip(NEXT) | instid1(VALU_DEP_2)
	v_lshl_add_u32 v6, v7, 23, 0x37800000
	v_lshlrev_b32_e32 v3, 21, v3
	s_delay_alu instid0(VALU_DEP_1) | instskip(NEXT) | instid1(VALU_DEP_1)
	v_or3_b32 v1, v1, v6, v3
	v_cvt_f64_f32_e32 v[6:7], v1
.LBB95_191:
	s_or_b32 exec_lo, exec_lo, s29
	s_mov_b32 s2, 0
	s_branch .LBB95_197
.LBB95_192:
	s_mov_b32 s29, -1
                                        ; implicit-def: $vgpr6_vgpr7
	s_branch .LBB95_203
.LBB95_193:
	s_or_saveexec_b32 s29, s29
	v_mov_b64_e32 v[6:7], 0x7ff8000020000000
	s_xor_b32 exec_lo, exec_lo, s29
	s_cbranch_execz .LBB95_177
.LBB95_194:
	v_cmp_ne_u16_e32 vcc_lo, 0, v1
	v_mov_b64_e32 v[6:7], 0
	s_and_not1_b32 s2, s2, exec_lo
	s_and_b32 s30, vcc_lo, exec_lo
	s_delay_alu instid0(SALU_CYCLE_1)
	s_or_b32 s2, s2, s30
	s_or_b32 exec_lo, exec_lo, s29
	s_and_saveexec_b32 s29, s2
	s_cbranch_execnz .LBB95_178
	s_branch .LBB95_179
.LBB95_195:
	s_mov_b32 s2, -1
                                        ; implicit-def: $vgpr6_vgpr7
	s_branch .LBB95_200
.LBB95_196:
	s_mov_b32 s2, -1
                                        ; implicit-def: $vgpr6_vgpr7
.LBB95_197:
	s_delay_alu instid0(SALU_CYCLE_1)
	s_and_b32 vcc_lo, exec_lo, s2
	s_cbranch_vccz .LBB95_199
; %bb.198:
	global_load_u8 v1, v[4:5], off
	s_wait_loadcnt 0x0
	v_lshlrev_b32_e32 v1, 24, v1
	s_delay_alu instid0(VALU_DEP_1) | instskip(NEXT) | instid1(VALU_DEP_1)
	v_and_b32_e32 v3, 0x7f000000, v1
	v_clz_i32_u32_e32 v6, v3
	v_cmp_ne_u32_e32 vcc_lo, 0, v3
	v_add_nc_u32_e32 v8, 0x1000000, v3
	s_delay_alu instid0(VALU_DEP_3) | instskip(NEXT) | instid1(VALU_DEP_1)
	v_min_u32_e32 v6, 32, v6
	v_sub_nc_u32_e64 v6, v6, 4 clamp
	s_delay_alu instid0(VALU_DEP_1) | instskip(NEXT) | instid1(VALU_DEP_1)
	v_dual_lshlrev_b32 v7, v6, v3 :: v_dual_lshlrev_b32 v6, 23, v6
	v_lshrrev_b32_e32 v7, 4, v7
	s_delay_alu instid0(VALU_DEP_1) | instskip(NEXT) | instid1(VALU_DEP_1)
	v_dual_sub_nc_u32 v6, v7, v6 :: v_dual_ashrrev_i32 v7, 8, v8
	v_add_nc_u32_e32 v6, 0x3c000000, v6
	s_delay_alu instid0(VALU_DEP_1) | instskip(NEXT) | instid1(VALU_DEP_1)
	v_and_or_b32 v6, 0x7f800000, v7, v6
	v_cndmask_b32_e32 v3, 0, v6, vcc_lo
	s_delay_alu instid0(VALU_DEP_1) | instskip(NEXT) | instid1(VALU_DEP_1)
	v_and_or_b32 v1, 0x80000000, v1, v3
	v_cvt_f64_f32_e32 v[6:7], v1
.LBB95_199:
	s_mov_b32 s2, 0
.LBB95_200:
	s_delay_alu instid0(SALU_CYCLE_1)
	s_and_not1_b32 vcc_lo, exec_lo, s2
	s_cbranch_vccnz .LBB95_202
; %bb.201:
	global_load_u8 v1, v[4:5], off
	s_wait_loadcnt 0x0
	v_lshlrev_b32_e32 v3, 25, v1
	v_lshlrev_b16 v1, 8, v1
	s_delay_alu instid0(VALU_DEP_1) | instskip(SKIP_1) | instid1(VALU_DEP_2)
	v_and_or_b32 v7, 0x7f00, v1, 0.5
	v_bfe_i32 v1, v1, 0, 16
	v_add_f32_e32 v7, -0.5, v7
	v_lshrrev_b32_e32 v6, 4, v3
	v_cmp_gt_u32_e32 vcc_lo, 0x8000000, v3
	s_delay_alu instid0(VALU_DEP_2) | instskip(NEXT) | instid1(VALU_DEP_1)
	v_or_b32_e32 v6, 0x70000000, v6
	v_mul_f32_e32 v6, 0x7800000, v6
	s_delay_alu instid0(VALU_DEP_1) | instskip(NEXT) | instid1(VALU_DEP_1)
	v_cndmask_b32_e32 v3, v6, v7, vcc_lo
	v_and_or_b32 v1, 0x80000000, v1, v3
	s_delay_alu instid0(VALU_DEP_1)
	v_cvt_f64_f32_e32 v[6:7], v1
.LBB95_202:
	s_mov_b32 s29, 0
	s_mov_b32 s2, -1
.LBB95_203:
	s_and_not1_b32 vcc_lo, exec_lo, s29
	s_cbranch_vccnz .LBB95_216
; %bb.204:
	s_cmp_gt_i32 s1, 14
	s_cbranch_scc0 .LBB95_207
; %bb.205:
	s_cmp_eq_u32 s1, 15
	s_cbranch_scc0 .LBB95_210
; %bb.206:
	global_load_u16 v1, v[4:5], off
	s_mov_b32 s2, -1
	s_mov_b32 s28, 0
	s_wait_loadcnt 0x0
	v_lshlrev_b32_e32 v1, 16, v1
	s_delay_alu instid0(VALU_DEP_1)
	v_cvt_f64_f32_e32 v[6:7], v1
	s_branch .LBB95_211
.LBB95_207:
	s_mov_b32 s29, -1
                                        ; implicit-def: $vgpr6_vgpr7
	s_branch .LBB95_212
.LBB95_208:
	s_or_saveexec_b32 s29, s29
	v_mov_b64_e32 v[6:7], 0x7ff8000020000000
	s_xor_b32 exec_lo, exec_lo, s29
	s_cbranch_execz .LBB95_189
.LBB95_209:
	v_cmp_ne_u16_e32 vcc_lo, 0, v1
	v_mov_b64_e32 v[6:7], 0
	s_and_not1_b32 s2, s2, exec_lo
	s_and_b32 s30, vcc_lo, exec_lo
	s_delay_alu instid0(SALU_CYCLE_1)
	s_or_b32 s2, s2, s30
	s_or_b32 exec_lo, exec_lo, s29
	s_and_saveexec_b32 s29, s2
	s_cbranch_execnz .LBB95_190
	s_branch .LBB95_191
.LBB95_210:
	s_mov_b32 s28, -1
                                        ; implicit-def: $vgpr6_vgpr7
.LBB95_211:
	s_mov_b32 s29, 0
.LBB95_212:
	s_delay_alu instid0(SALU_CYCLE_1)
	s_and_b32 vcc_lo, exec_lo, s29
	s_cbranch_vccz .LBB95_216
; %bb.213:
	s_cmp_eq_u32 s1, 11
	s_cbranch_scc0 .LBB95_215
; %bb.214:
	global_load_u8 v1, v[4:5], off
	v_mov_b32_e32 v6, 0
	s_mov_b32 s28, 0
	s_mov_b32 s2, -1
	s_wait_loadcnt 0x0
	v_cmp_ne_u16_e32 vcc_lo, 0, v1
	v_cndmask_b32_e64 v7, 0, 0x3ff00000, vcc_lo
	s_branch .LBB95_216
.LBB95_215:
	s_mov_b32 s28, -1
                                        ; implicit-def: $vgpr6_vgpr7
.LBB95_216:
	s_branch .LBB95_25
.LBB95_217:
	s_cmp_lt_i32 s1, 5
	s_cbranch_scc1 .LBB95_222
; %bb.218:
	s_cmp_lt_i32 s1, 8
	s_cbranch_scc1 .LBB95_223
; %bb.219:
	;; [unrolled: 3-line block ×3, first 2 shown]
	s_cmp_gt_i32 s1, 9
	s_cbranch_scc0 .LBB95_225
; %bb.221:
	global_load_b64 v[6:7], v[4:5], off
	s_mov_b32 s2, 0
	s_branch .LBB95_226
.LBB95_222:
                                        ; implicit-def: $vgpr6_vgpr7
	s_branch .LBB95_244
.LBB95_223:
	s_mov_b32 s2, -1
                                        ; implicit-def: $vgpr6_vgpr7
	s_branch .LBB95_232
.LBB95_224:
	s_mov_b32 s2, -1
                                        ; implicit-def: $vgpr6_vgpr7
	s_branch .LBB95_229
.LBB95_225:
	s_mov_b32 s2, -1
                                        ; implicit-def: $vgpr6_vgpr7
.LBB95_226:
	s_delay_alu instid0(SALU_CYCLE_1)
	s_and_not1_b32 vcc_lo, exec_lo, s2
	s_cbranch_vccnz .LBB95_228
; %bb.227:
	global_load_b32 v1, v[4:5], off
	s_wait_loadcnt 0x0
	v_cvt_f64_f32_e32 v[6:7], v1
.LBB95_228:
	s_mov_b32 s2, 0
.LBB95_229:
	s_delay_alu instid0(SALU_CYCLE_1)
	s_and_not1_b32 vcc_lo, exec_lo, s2
	s_cbranch_vccnz .LBB95_231
; %bb.230:
	global_load_b32 v1, v[4:5], off
	s_wait_loadcnt 0x0
	v_cvt_f32_f16_e32 v1, v1
	s_delay_alu instid0(VALU_DEP_1)
	v_cvt_f64_f32_e32 v[6:7], v1
.LBB95_231:
	s_mov_b32 s2, 0
.LBB95_232:
	s_delay_alu instid0(SALU_CYCLE_1)
	s_and_not1_b32 vcc_lo, exec_lo, s2
	s_cbranch_vccnz .LBB95_243
; %bb.233:
	s_cmp_lt_i32 s1, 6
	s_cbranch_scc1 .LBB95_236
; %bb.234:
	s_cmp_gt_i32 s1, 6
	s_cbranch_scc0 .LBB95_237
; %bb.235:
	s_wait_loadcnt 0x0
	global_load_b64 v[6:7], v[4:5], off
	s_mov_b32 s2, 0
	s_branch .LBB95_238
.LBB95_236:
	s_mov_b32 s2, -1
                                        ; implicit-def: $vgpr6_vgpr7
	s_branch .LBB95_241
.LBB95_237:
	s_mov_b32 s2, -1
                                        ; implicit-def: $vgpr6_vgpr7
.LBB95_238:
	s_delay_alu instid0(SALU_CYCLE_1)
	s_and_not1_b32 vcc_lo, exec_lo, s2
	s_cbranch_vccnz .LBB95_240
; %bb.239:
	global_load_b32 v1, v[4:5], off
	s_wait_loadcnt 0x0
	v_cvt_f64_f32_e32 v[6:7], v1
.LBB95_240:
	s_mov_b32 s2, 0
.LBB95_241:
	s_delay_alu instid0(SALU_CYCLE_1)
	s_and_not1_b32 vcc_lo, exec_lo, s2
	s_cbranch_vccnz .LBB95_243
; %bb.242:
	global_load_u16 v1, v[4:5], off
	s_wait_loadcnt 0x0
	v_cvt_f32_f16_e32 v1, v1
	s_delay_alu instid0(VALU_DEP_1)
	v_cvt_f64_f32_e32 v[6:7], v1
.LBB95_243:
	s_cbranch_execnz .LBB95_263
.LBB95_244:
	s_cmp_lt_i32 s1, 2
	s_cbranch_scc1 .LBB95_248
; %bb.245:
	s_cmp_lt_i32 s1, 3
	s_cbranch_scc1 .LBB95_249
; %bb.246:
	s_cmp_gt_i32 s1, 3
	s_cbranch_scc0 .LBB95_250
; %bb.247:
	s_wait_loadcnt 0x0
	global_load_b64 v[6:7], v[4:5], off
	s_mov_b32 s2, 0
	s_wait_loadcnt 0x0
	v_cvt_f64_i32_e32 v[8:9], v7
	v_cvt_f64_u32_e32 v[6:7], v6
	s_delay_alu instid0(VALU_DEP_2) | instskip(NEXT) | instid1(VALU_DEP_1)
	v_ldexp_f64 v[8:9], v[8:9], 32
	v_add_f64_e32 v[6:7], v[8:9], v[6:7]
	s_branch .LBB95_251
.LBB95_248:
	s_mov_b32 s2, -1
                                        ; implicit-def: $vgpr6_vgpr7
	s_branch .LBB95_257
.LBB95_249:
	s_mov_b32 s2, -1
                                        ; implicit-def: $vgpr6_vgpr7
	s_branch .LBB95_254
.LBB95_250:
	s_mov_b32 s2, -1
                                        ; implicit-def: $vgpr6_vgpr7
.LBB95_251:
	s_delay_alu instid0(SALU_CYCLE_1)
	s_and_not1_b32 vcc_lo, exec_lo, s2
	s_cbranch_vccnz .LBB95_253
; %bb.252:
	global_load_b32 v1, v[4:5], off
	s_wait_loadcnt 0x0
	v_cvt_f64_i32_e32 v[6:7], v1
.LBB95_253:
	s_mov_b32 s2, 0
.LBB95_254:
	s_delay_alu instid0(SALU_CYCLE_1)
	s_and_not1_b32 vcc_lo, exec_lo, s2
	s_cbranch_vccnz .LBB95_256
; %bb.255:
	global_load_i16 v1, v[4:5], off
	s_wait_loadcnt 0x0
	v_cvt_f64_i32_e32 v[6:7], v1
.LBB95_256:
	s_mov_b32 s2, 0
.LBB95_257:
	s_delay_alu instid0(SALU_CYCLE_1)
	s_and_not1_b32 vcc_lo, exec_lo, s2
	s_cbranch_vccnz .LBB95_263
; %bb.258:
	s_cmp_gt_i32 s1, 0
	s_mov_b32 s1, 0
	s_cbranch_scc0 .LBB95_260
; %bb.259:
	global_load_i8 v1, v[4:5], off
	s_wait_loadcnt 0x0
	v_cvt_f64_i32_e32 v[6:7], v1
	s_branch .LBB95_261
.LBB95_260:
	s_mov_b32 s1, -1
                                        ; implicit-def: $vgpr6_vgpr7
.LBB95_261:
	s_delay_alu instid0(SALU_CYCLE_1)
	s_and_not1_b32 vcc_lo, exec_lo, s1
	s_cbranch_vccnz .LBB95_263
; %bb.262:
	global_load_u8 v1, v[4:5], off
	s_wait_loadcnt 0x0
	v_cvt_f64_u32_e32 v[6:7], v1
.LBB95_263:
	s_branch .LBB95_26
.LBB95_264:
	s_mov_b32 s2, 0
.LBB95_265:
	s_mov_b32 s1, 0
                                        ; implicit-def: $vgpr0
.LBB95_266:
	s_and_b32 s43, s2, exec_lo
	s_and_b32 s44, s28, exec_lo
	s_or_not1_b32 s30, s1, exec_lo
.LBB95_267:
	s_wait_xcnt 0x0
	s_or_b32 exec_lo, exec_lo, s45
	s_mov_b32 s29, 0
	s_mov_b32 s28, 0
                                        ; implicit-def: $vgpr4_vgpr5
                                        ; implicit-def: $vgpr2
                                        ; implicit-def: $vgpr6_vgpr7
	s_and_saveexec_b32 s45, s30
	s_cbranch_execz .LBB95_275
; %bb.268:
	s_mov_b32 s28, -1
	s_mov_b32 s46, s44
	s_mov_b32 s47, s43
	s_mov_b32 s48, exec_lo
	v_cmpx_gt_i32_e64 s40, v0
	s_cbranch_execz .LBB95_546
; %bb.269:
	s_and_not1_b32 vcc_lo, exec_lo, s37
	s_cbranch_vccnz .LBB95_278
; %bb.270:
	s_and_not1_b32 vcc_lo, exec_lo, s42
	s_cbranch_vccnz .LBB95_279
; %bb.271:
	s_add_co_i32 s1, s41, 1
	s_cmp_eq_u32 s33, 2
	s_cbranch_scc1 .LBB95_280
; %bb.272:
	v_dual_mov_b32 v2, 0 :: v_dual_mov_b32 v4, 0
	v_mov_b32_e32 v1, v0
	s_and_b32 s28, s1, 28
	s_mov_b32 s2, 0
	s_mov_b64 s[30:31], s[20:21]
	s_mov_b64 s[34:35], s[26:27]
.LBB95_273:                             ; =>This Inner Loop Header: Depth=1
	s_clause 0x1
	s_load_b256 s[52:59], s[30:31], 0x4
	s_load_b128 s[68:71], s[30:31], 0x24
	s_load_b256 s[60:67], s[34:35], 0x0
	s_add_co_i32 s2, s2, 4
	s_wait_xcnt 0x0
	s_add_nc_u64 s[30:31], s[30:31], 48
	s_cmp_eq_u32 s28, s2
	s_add_nc_u64 s[34:35], s[34:35], 32
	s_wait_kmcnt 0x0
	v_mul_hi_u32 v3, s53, v1
	s_delay_alu instid0(VALU_DEP_1) | instskip(NEXT) | instid1(VALU_DEP_1)
	v_add_nc_u32_e32 v3, v1, v3
	v_lshrrev_b32_e32 v3, s54, v3
	s_delay_alu instid0(VALU_DEP_1) | instskip(NEXT) | instid1(VALU_DEP_1)
	v_mul_hi_u32 v5, s56, v3
	v_add_nc_u32_e32 v5, v3, v5
	s_delay_alu instid0(VALU_DEP_1) | instskip(SKIP_1) | instid1(VALU_DEP_1)
	v_lshrrev_b32_e32 v5, s57, v5
	s_wait_loadcnt 0x0
	v_mul_hi_u32 v6, s59, v5
	s_delay_alu instid0(VALU_DEP_1) | instskip(SKIP_1) | instid1(VALU_DEP_1)
	v_add_nc_u32_e32 v6, v5, v6
	v_mul_lo_u32 v7, v3, s52
	v_sub_nc_u32_e32 v1, v1, v7
	v_mul_lo_u32 v7, v5, s55
	s_delay_alu instid0(VALU_DEP_4) | instskip(NEXT) | instid1(VALU_DEP_3)
	v_lshrrev_b32_e32 v6, s68, v6
	v_mad_u32 v4, v1, s61, v4
	v_mad_u32 v1, v1, s60, v2
	s_delay_alu instid0(VALU_DEP_4) | instskip(NEXT) | instid1(VALU_DEP_4)
	v_sub_nc_u32_e32 v2, v3, v7
	v_mul_hi_u32 v8, s70, v6
	v_mul_lo_u32 v3, v6, s58
	s_delay_alu instid0(VALU_DEP_3) | instskip(SKIP_1) | instid1(VALU_DEP_3)
	v_mad_u32 v4, v2, s63, v4
	v_mad_u32 v2, v2, s62, v1
	v_dual_add_nc_u32 v7, v6, v8 :: v_dual_sub_nc_u32 v3, v5, v3
	s_delay_alu instid0(VALU_DEP_1) | instskip(NEXT) | instid1(VALU_DEP_2)
	v_lshrrev_b32_e32 v1, s71, v7
	v_mad_u32 v4, v3, s65, v4
	s_delay_alu instid0(VALU_DEP_4) | instskip(NEXT) | instid1(VALU_DEP_3)
	v_mad_u32 v2, v3, s64, v2
	v_mul_lo_u32 v5, v1, s69
	s_delay_alu instid0(VALU_DEP_1) | instskip(NEXT) | instid1(VALU_DEP_1)
	v_sub_nc_u32_e32 v3, v6, v5
	v_mad_u32 v4, v3, s67, v4
	s_delay_alu instid0(VALU_DEP_4)
	v_mad_u32 v2, v3, s66, v2
	s_cbranch_scc0 .LBB95_273
; %bb.274:
	s_delay_alu instid0(VALU_DEP_2)
	v_mov_b32_e32 v3, v4
	s_branch .LBB95_281
.LBB95_275:
	s_or_b32 exec_lo, exec_lo, s45
	s_mov_b32 s1, 0
	s_and_saveexec_b32 s2, s44
	s_cbranch_execnz .LBB95_928
.LBB95_276:
	s_or_b32 exec_lo, exec_lo, s2
	s_and_saveexec_b32 s2, s23
	s_delay_alu instid0(SALU_CYCLE_1)
	s_xor_b32 s2, exec_lo, s2
	s_cbranch_execz .LBB95_929
.LBB95_277:
	global_load_u8 v0, v[4:5], off
	s_wait_loadcnt 0x1
	v_mov_b32_e32 v6, 0
	s_or_b32 s28, s28, exec_lo
	s_wait_loadcnt 0x0
	v_cmp_ne_u16_e32 vcc_lo, 0, v0
	v_cndmask_b32_e64 v7, 0, 0x3ff00000, vcc_lo
	s_wait_xcnt 0x0
	s_or_b32 exec_lo, exec_lo, s2
	s_and_saveexec_b32 s2, s29
	s_cbranch_execz .LBB95_975
	s_branch .LBB95_930
.LBB95_278:
                                        ; implicit-def: $vgpr4
                                        ; implicit-def: $vgpr2
	s_branch .LBB95_286
.LBB95_279:
	v_dual_mov_b32 v4, 0 :: v_dual_mov_b32 v2, 0
	s_branch .LBB95_285
.LBB95_280:
	v_mov_b64_e32 v[2:3], 0
	v_mov_b32_e32 v1, v0
	s_mov_b32 s28, 0
                                        ; implicit-def: $vgpr4
.LBB95_281:
	s_and_b32 s1, s1, 3
	s_mov_b32 s29, 0
	s_cmp_eq_u32 s1, 0
	s_cbranch_scc1 .LBB95_285
; %bb.282:
	s_lshl_b32 s30, s28, 3
	s_mov_b32 s31, s29
	s_mul_u64 s[34:35], s[28:29], 12
	s_add_nc_u64 s[30:31], s[20:21], s[30:31]
	s_delay_alu instid0(SALU_CYCLE_1)
	s_add_nc_u64 s[28:29], s[30:31], 0xc4
	s_add_nc_u64 s[30:31], s[20:21], s[34:35]
.LBB95_283:                             ; =>This Inner Loop Header: Depth=1
	s_load_b96 s[52:54], s[30:31], 0x4
	s_load_b64 s[34:35], s[28:29], 0x0
	s_add_co_i32 s1, s1, -1
	s_wait_xcnt 0x0
	s_add_nc_u64 s[30:31], s[30:31], 12
	s_cmp_lg_u32 s1, 0
	s_add_nc_u64 s[28:29], s[28:29], 8
	s_wait_kmcnt 0x0
	v_mul_hi_u32 v4, s53, v1
	s_delay_alu instid0(VALU_DEP_1) | instskip(NEXT) | instid1(VALU_DEP_1)
	v_add_nc_u32_e32 v4, v1, v4
	v_lshrrev_b32_e32 v4, s54, v4
	s_delay_alu instid0(VALU_DEP_1) | instskip(NEXT) | instid1(VALU_DEP_1)
	v_mul_lo_u32 v5, v4, s52
	v_sub_nc_u32_e32 v1, v1, v5
	s_delay_alu instid0(VALU_DEP_1)
	v_mad_u32 v3, v1, s35, v3
	v_mad_u32 v2, v1, s34, v2
	v_mov_b32_e32 v1, v4
	s_cbranch_scc1 .LBB95_283
; %bb.284:
	s_delay_alu instid0(VALU_DEP_3)
	v_mov_b32_e32 v4, v3
.LBB95_285:
	s_cbranch_execnz .LBB95_288
.LBB95_286:
	v_mov_b32_e32 v1, 0
	s_and_not1_b32 vcc_lo, exec_lo, s39
	s_delay_alu instid0(VALU_DEP_1) | instskip(NEXT) | instid1(VALU_DEP_1)
	v_mul_u64_e32 v[2:3], s[22:23], v[0:1]
	v_add_nc_u32_e32 v2, v0, v3
	s_wait_loadcnt 0x0
	s_delay_alu instid0(VALU_DEP_1) | instskip(NEXT) | instid1(VALU_DEP_1)
	v_lshrrev_b32_e32 v6, s10, v2
	v_mul_lo_u32 v2, v6, s8
	s_delay_alu instid0(VALU_DEP_1) | instskip(NEXT) | instid1(VALU_DEP_1)
	v_sub_nc_u32_e32 v2, v0, v2
	v_mul_lo_u32 v4, v2, s13
	v_mul_lo_u32 v2, v2, s12
	s_cbranch_vccnz .LBB95_288
; %bb.287:
	v_mov_b32_e32 v7, v1
	s_delay_alu instid0(VALU_DEP_1) | instskip(NEXT) | instid1(VALU_DEP_1)
	v_mul_u64_e32 v[8:9], s[24:25], v[6:7]
	v_add_nc_u32_e32 v1, v6, v9
	s_delay_alu instid0(VALU_DEP_1) | instskip(NEXT) | instid1(VALU_DEP_1)
	v_lshrrev_b32_e32 v1, s3, v1
	v_mul_lo_u32 v1, v1, s11
	s_delay_alu instid0(VALU_DEP_1) | instskip(NEXT) | instid1(VALU_DEP_1)
	v_sub_nc_u32_e32 v1, v6, v1
	v_mad_u32 v2, v1, s14, v2
	v_mad_u32 v4, v1, s15, v4
.LBB95_288:
	v_mov_b32_e32 v5, 0
	s_and_b32 s1, 0xffff, s9
	s_delay_alu instid0(SALU_CYCLE_1) | instskip(NEXT) | instid1(VALU_DEP_1)
	s_cmp_lt_i32 s1, 11
	v_add_nc_u64_e32 v[4:5], s[6:7], v[4:5]
	s_cbranch_scc1 .LBB95_295
; %bb.289:
	s_cmp_gt_i32 s1, 25
	s_cbranch_scc0 .LBB95_304
; %bb.290:
	s_cmp_gt_i32 s1, 28
	s_cbranch_scc0 .LBB95_306
	;; [unrolled: 3-line block ×4, first 2 shown]
; %bb.293:
	s_cmp_eq_u32 s1, 46
	s_mov_b32 s29, 0
	s_cbranch_scc0 .LBB95_316
; %bb.294:
	global_load_b32 v1, v[4:5], off
	s_mov_b32 s2, -1
	s_mov_b32 s28, 0
	s_wait_loadcnt 0x0
	v_lshlrev_b32_e32 v1, 16, v1
	s_delay_alu instid0(VALU_DEP_1)
	v_cvt_f64_f32_e32 v[6:7], v1
	s_branch .LBB95_318
.LBB95_295:
	s_mov_b32 s2, 0
	s_mov_b32 s28, s44
                                        ; implicit-def: $vgpr6_vgpr7
	s_cbranch_execnz .LBB95_495
.LBB95_296:
	s_and_not1_b32 vcc_lo, exec_lo, s2
	s_cbranch_vccnz .LBB95_543
.LBB95_297:
	s_wait_loadcnt 0x0
	s_delay_alu instid0(VALU_DEP_1) | instskip(SKIP_1) | instid1(SALU_CYCLE_1)
	v_cmp_eq_f64_e32 vcc_lo, s[16:17], v[6:7]
	s_and_b32 s29, s18, 0xff
	s_cmp_lt_i32 s29, 11
	v_cndmask_b32_e64 v1, 0, 1, vcc_lo
	v_cmp_neq_f64_e32 vcc_lo, s[16:17], v[6:7]
	v_cndmask_b32_e64 v3, 0, 1, vcc_lo
	s_delay_alu instid0(VALU_DEP_1) | instskip(NEXT) | instid1(VALU_DEP_1)
	v_dual_cndmask_b32 v1, v3, v1, s0 :: v_dual_mov_b32 v3, 0
	v_and_b32_e32 v1, 1, v1
	s_delay_alu instid0(VALU_DEP_2) | instskip(NEXT) | instid1(VALU_DEP_2)
	v_add_nc_u64_e32 v[2:3], s[4:5], v[2:3]
	v_cmp_eq_u32_e64 s1, 1, v1
	s_cbranch_scc1 .LBB95_305
; %bb.298:
	s_and_b32 s30, 0xffff, s29
	s_delay_alu instid0(SALU_CYCLE_1)
	s_cmp_gt_i32 s30, 25
	s_cbranch_scc0 .LBB95_307
; %bb.299:
	s_cmp_gt_i32 s30, 28
	s_cbranch_scc0 .LBB95_309
; %bb.300:
	;; [unrolled: 3-line block ×4, first 2 shown]
	s_mov_b32 s34, 0
	s_mov_b32 s2, -1
	s_cmp_eq_u32 s30, 46
	s_mov_b32 s31, 0
	s_cbranch_scc0 .LBB95_322
; %bb.303:
	v_cndmask_b32_e64 v1, 0, 1.0, s1
	s_mov_b32 s31, -1
	s_mov_b32 s2, 0
	s_wait_xcnt 0x0
	s_delay_alu instid0(VALU_DEP_1) | instskip(NEXT) | instid1(VALU_DEP_1)
	v_bfe_u32 v4, v1, 16, 1
	v_add3_u32 v1, v1, v4, 0x7fff
	s_delay_alu instid0(VALU_DEP_1)
	v_lshrrev_b32_e32 v1, 16, v1
	global_store_b32 v[2:3], v1, off
	s_branch .LBB95_322
.LBB95_304:
	s_mov_b32 s29, -1
	s_mov_b32 s2, 0
	s_mov_b32 s28, s44
                                        ; implicit-def: $vgpr6_vgpr7
	s_branch .LBB95_459
.LBB95_305:
	s_mov_b32 s30, -1
	s_mov_b32 s31, 0
	s_mov_b32 s2, s43
	s_branch .LBB95_391
.LBB95_306:
	s_mov_b32 s29, -1
	s_mov_b32 s2, 0
	s_mov_b32 s28, s44
                                        ; implicit-def: $vgpr6_vgpr7
	s_branch .LBB95_440
.LBB95_307:
	s_mov_b32 s34, -1
	s_mov_b32 s31, 0
	s_mov_b32 s2, s43
	s_branch .LBB95_349
.LBB95_308:
	s_mov_b32 s29, -1
	s_mov_b32 s2, 0
	s_mov_b32 s28, s44
                                        ; implicit-def: $vgpr6_vgpr7
	s_branch .LBB95_435
.LBB95_309:
	s_mov_b32 s34, -1
	s_mov_b32 s31, 0
	s_mov_b32 s2, s43
	s_branch .LBB95_332
.LBB95_310:
	s_and_not1_saveexec_b32 s35, s35
	s_cbranch_execz .LBB95_69
.LBB95_311:
	v_add_f32_e32 v1, 0x46000000, v4
	s_and_not1_b32 s34, s34, exec_lo
	s_delay_alu instid0(VALU_DEP_1) | instskip(NEXT) | instid1(VALU_DEP_1)
	v_and_b32_e32 v1, 0xff, v1
	v_cmp_ne_u32_e32 vcc_lo, 0, v1
	s_and_b32 s43, vcc_lo, exec_lo
	s_delay_alu instid0(SALU_CYCLE_1)
	s_or_b32 s34, s34, s43
	s_or_b32 exec_lo, exec_lo, s35
	v_mov_b32_e32 v5, 0
	s_and_saveexec_b32 s35, s34
	s_cbranch_execnz .LBB95_70
	s_branch .LBB95_71
.LBB95_312:
	s_mov_b32 s29, -1
	s_mov_b32 s2, 0
	s_mov_b32 s28, s44
	s_branch .LBB95_317
.LBB95_313:
	s_mov_b32 s34, -1
	s_mov_b32 s31, 0
	s_mov_b32 s2, s43
	s_branch .LBB95_328
.LBB95_314:
	s_and_not1_saveexec_b32 s35, s35
	s_cbranch_execz .LBB95_82
.LBB95_315:
	v_add_f32_e32 v1, 0x42800000, v4
	s_and_not1_b32 s34, s34, exec_lo
	s_delay_alu instid0(VALU_DEP_1) | instskip(NEXT) | instid1(VALU_DEP_1)
	v_and_b32_e32 v1, 0xff, v1
	v_cmp_ne_u32_e32 vcc_lo, 0, v1
	s_and_b32 s43, vcc_lo, exec_lo
	s_delay_alu instid0(SALU_CYCLE_1)
	s_or_b32 s34, s34, s43
	s_or_b32 exec_lo, exec_lo, s35
	v_mov_b32_e32 v5, 0
	s_and_saveexec_b32 s35, s34
	s_cbranch_execnz .LBB95_83
	s_branch .LBB95_84
.LBB95_316:
	s_mov_b32 s28, -1
	s_mov_b32 s2, 0
.LBB95_317:
                                        ; implicit-def: $vgpr6_vgpr7
.LBB95_318:
	s_and_b32 vcc_lo, exec_lo, s29
	s_cbranch_vccz .LBB95_434
; %bb.319:
	s_cmp_eq_u32 s1, 44
	s_cbranch_scc0 .LBB95_433
; %bb.320:
	global_load_u8 v1, v[4:5], off
	s_mov_b32 s28, 0
	s_mov_b32 s2, -1
	s_wait_loadcnt 0x0
	v_cmp_ne_u32_e32 vcc_lo, 0xff, v1
	v_lshlrev_b32_e32 v3, 23, v1
	s_delay_alu instid0(VALU_DEP_1) | instskip(NEXT) | instid1(VALU_DEP_1)
	v_cvt_f64_f32_e32 v[6:7], v3
	v_cndmask_b32_e32 v3, 0x20000000, v6, vcc_lo
	s_delay_alu instid0(VALU_DEP_2) | instskip(SKIP_1) | instid1(VALU_DEP_2)
	v_cndmask_b32_e32 v6, 0x7ff80000, v7, vcc_lo
	v_cmp_ne_u32_e32 vcc_lo, 0, v1
	v_cndmask_b32_e32 v7, 0x38000000, v6, vcc_lo
	s_delay_alu instid0(VALU_DEP_4)
	v_cndmask_b32_e32 v6, 0, v3, vcc_lo
	s_branch .LBB95_434
.LBB95_321:
	s_mov_b32 s34, -1
	s_mov_b32 s31, 0
	s_mov_b32 s2, s43
.LBB95_322:
	s_and_b32 vcc_lo, exec_lo, s34
	s_cbranch_vccz .LBB95_327
; %bb.323:
	s_cmp_eq_u32 s30, 44
	s_mov_b32 s2, -1
	s_cbranch_scc0 .LBB95_327
; %bb.324:
	s_wait_xcnt 0x0
	v_cndmask_b32_e64 v5, 0, 1.0, s1
	s_mov_b32 s31, exec_lo
	s_delay_alu instid0(VALU_DEP_1) | instskip(NEXT) | instid1(VALU_DEP_1)
	v_dual_mov_b32 v4, 0xff :: v_dual_lshrrev_b32 v1, 23, v5
	v_cmpx_ne_u32_e32 0xff, v1
; %bb.325:
	v_and_b32_e32 v4, 0x400000, v5
	v_and_or_b32 v5, 0x3fffff, v5, v1
	s_delay_alu instid0(VALU_DEP_2) | instskip(NEXT) | instid1(VALU_DEP_2)
	v_cmp_ne_u32_e32 vcc_lo, 0, v4
	v_cmp_ne_u32_e64 s2, 0, v5
	s_and_b32 s2, vcc_lo, s2
	s_delay_alu instid0(SALU_CYCLE_1) | instskip(NEXT) | instid1(VALU_DEP_1)
	v_cndmask_b32_e64 v4, 0, 1, s2
	v_add_nc_u32_e32 v4, v1, v4
; %bb.326:
	s_or_b32 exec_lo, exec_lo, s31
	s_mov_b32 s31, -1
	s_mov_b32 s2, 0
	global_store_b8 v[2:3], v4, off
.LBB95_327:
	s_mov_b32 s34, 0
.LBB95_328:
	s_delay_alu instid0(SALU_CYCLE_1)
	s_and_b32 vcc_lo, exec_lo, s34
	s_cbranch_vccz .LBB95_331
; %bb.329:
	s_cmp_eq_u32 s30, 29
	s_mov_b32 s2, -1
	s_cbranch_scc0 .LBB95_331
; %bb.330:
	s_mov_b32 s2, 0
	s_wait_xcnt 0x0
	v_cndmask_b32_e64 v4, 0, 1, s1
	v_mov_b32_e32 v5, s2
	s_mov_b32 s31, -1
	s_mov_b32 s34, 0
	global_store_b64 v[2:3], v[4:5], off
	s_branch .LBB95_332
.LBB95_331:
	s_mov_b32 s34, 0
.LBB95_332:
	s_delay_alu instid0(SALU_CYCLE_1)
	s_and_b32 vcc_lo, exec_lo, s34
	s_cbranch_vccz .LBB95_348
; %bb.333:
	s_cmp_lt_i32 s30, 27
	s_mov_b32 s31, -1
	s_cbranch_scc1 .LBB95_339
; %bb.334:
	s_cmp_gt_i32 s30, 27
	s_cbranch_scc0 .LBB95_336
; %bb.335:
	s_wait_xcnt 0x0
	v_cndmask_b32_e64 v1, 0, 1, s1
	s_mov_b32 s31, 0
	global_store_b32 v[2:3], v1, off
.LBB95_336:
	s_and_not1_b32 vcc_lo, exec_lo, s31
	s_cbranch_vccnz .LBB95_338
; %bb.337:
	s_wait_xcnt 0x0
	v_cndmask_b32_e64 v1, 0, 1, s1
	global_store_b16 v[2:3], v1, off
.LBB95_338:
	s_mov_b32 s31, 0
.LBB95_339:
	s_delay_alu instid0(SALU_CYCLE_1)
	s_and_not1_b32 vcc_lo, exec_lo, s31
	s_cbranch_vccnz .LBB95_347
; %bb.340:
	s_wait_xcnt 0x0
	v_cndmask_b32_e64 v4, 0, 1.0, s1
	v_mov_b32_e32 v5, 0x80
	s_mov_b32 s31, exec_lo
	s_delay_alu instid0(VALU_DEP_2)
	v_cmpx_gt_u32_e32 0x43800000, v4
	s_cbranch_execz .LBB95_346
; %bb.341:
	s_mov_b32 s34, 0
	s_mov_b32 s35, exec_lo
                                        ; implicit-def: $vgpr1
	v_cmpx_lt_u32_e32 0x3bffffff, v4
	s_xor_b32 s35, exec_lo, s35
	s_cbranch_execz .LBB95_576
; %bb.342:
	v_bfe_u32 v1, v4, 20, 1
	s_mov_b32 s34, exec_lo
	s_delay_alu instid0(VALU_DEP_1) | instskip(NEXT) | instid1(VALU_DEP_1)
	v_add3_u32 v1, v4, v1, 0x487ffff
                                        ; implicit-def: $vgpr4
	v_lshrrev_b32_e32 v1, 20, v1
	s_and_not1_saveexec_b32 s35, s35
	s_cbranch_execnz .LBB95_577
.LBB95_343:
	s_or_b32 exec_lo, exec_lo, s35
	v_mov_b32_e32 v5, 0
	s_and_saveexec_b32 s35, s34
.LBB95_344:
	v_mov_b32_e32 v5, v1
.LBB95_345:
	s_or_b32 exec_lo, exec_lo, s35
.LBB95_346:
	s_delay_alu instid0(SALU_CYCLE_1)
	s_or_b32 exec_lo, exec_lo, s31
	global_store_b8 v[2:3], v5, off
.LBB95_347:
	s_mov_b32 s31, -1
.LBB95_348:
	s_mov_b32 s34, 0
.LBB95_349:
	s_delay_alu instid0(SALU_CYCLE_1)
	s_and_b32 vcc_lo, exec_lo, s34
	s_cbranch_vccz .LBB95_390
; %bb.350:
	s_cmp_gt_i32 s30, 22
	s_mov_b32 s34, -1
	s_cbranch_scc0 .LBB95_382
; %bb.351:
	s_cmp_lt_i32 s30, 24
	s_mov_b32 s31, -1
	s_cbranch_scc1 .LBB95_371
; %bb.352:
	s_cmp_gt_i32 s30, 24
	s_cbranch_scc0 .LBB95_360
; %bb.353:
	s_wait_xcnt 0x0
	v_cndmask_b32_e64 v4, 0, 1.0, s1
	v_mov_b32_e32 v5, 0x80
	s_mov_b32 s31, exec_lo
	s_delay_alu instid0(VALU_DEP_2)
	v_cmpx_gt_u32_e32 0x47800000, v4
	s_cbranch_execz .LBB95_359
; %bb.354:
	s_mov_b32 s34, 0
	s_mov_b32 s35, exec_lo
                                        ; implicit-def: $vgpr1
	v_cmpx_lt_u32_e32 0x37ffffff, v4
	s_xor_b32 s35, exec_lo, s35
	s_cbranch_execz .LBB95_579
; %bb.355:
	v_bfe_u32 v1, v4, 21, 1
	s_mov_b32 s34, exec_lo
	s_delay_alu instid0(VALU_DEP_1) | instskip(NEXT) | instid1(VALU_DEP_1)
	v_add3_u32 v1, v4, v1, 0x88fffff
                                        ; implicit-def: $vgpr4
	v_lshrrev_b32_e32 v1, 21, v1
	s_and_not1_saveexec_b32 s35, s35
	s_cbranch_execnz .LBB95_580
.LBB95_356:
	s_or_b32 exec_lo, exec_lo, s35
	v_mov_b32_e32 v5, 0
	s_and_saveexec_b32 s35, s34
.LBB95_357:
	v_mov_b32_e32 v5, v1
.LBB95_358:
	s_or_b32 exec_lo, exec_lo, s35
.LBB95_359:
	s_delay_alu instid0(SALU_CYCLE_1)
	s_or_b32 exec_lo, exec_lo, s31
	s_mov_b32 s31, 0
	global_store_b8 v[2:3], v5, off
.LBB95_360:
	s_and_b32 vcc_lo, exec_lo, s31
	s_cbranch_vccz .LBB95_370
; %bb.361:
	s_wait_xcnt 0x0
	v_cndmask_b32_e64 v4, 0, 1.0, s1
	s_mov_b32 s31, exec_lo
                                        ; implicit-def: $vgpr1
	s_delay_alu instid0(VALU_DEP_1)
	v_cmpx_gt_u32_e32 0x43f00000, v4
	s_xor_b32 s31, exec_lo, s31
	s_cbranch_execz .LBB95_367
; %bb.362:
	s_mov_b32 s34, exec_lo
                                        ; implicit-def: $vgpr1
	v_cmpx_lt_u32_e32 0x3c7fffff, v4
	s_xor_b32 s34, exec_lo, s34
; %bb.363:
	v_bfe_u32 v1, v4, 20, 1
	s_delay_alu instid0(VALU_DEP_1) | instskip(NEXT) | instid1(VALU_DEP_1)
	v_add3_u32 v1, v4, v1, 0x407ffff
	v_and_b32_e32 v4, 0xff00000, v1
	v_lshrrev_b32_e32 v1, 20, v1
	s_delay_alu instid0(VALU_DEP_2) | instskip(NEXT) | instid1(VALU_DEP_2)
	v_cmp_ne_u32_e32 vcc_lo, 0x7f00000, v4
                                        ; implicit-def: $vgpr4
	v_cndmask_b32_e32 v1, 0x7e, v1, vcc_lo
; %bb.364:
	s_and_not1_saveexec_b32 s34, s34
; %bb.365:
	v_add_f32_e32 v1, 0x46800000, v4
; %bb.366:
	s_or_b32 exec_lo, exec_lo, s34
                                        ; implicit-def: $vgpr4
.LBB95_367:
	s_and_not1_saveexec_b32 s31, s31
; %bb.368:
	v_mov_b32_e32 v1, 0x7f
	v_cmp_lt_u32_e32 vcc_lo, 0x7f800000, v4
	s_delay_alu instid0(VALU_DEP_2)
	v_cndmask_b32_e32 v1, 0x7e, v1, vcc_lo
; %bb.369:
	s_or_b32 exec_lo, exec_lo, s31
	global_store_b8 v[2:3], v1, off
.LBB95_370:
	s_mov_b32 s31, 0
.LBB95_371:
	s_delay_alu instid0(SALU_CYCLE_1)
	s_and_not1_b32 vcc_lo, exec_lo, s31
	s_cbranch_vccnz .LBB95_381
; %bb.372:
	s_wait_xcnt 0x0
	v_cndmask_b32_e64 v4, 0, 1.0, s1
	s_mov_b32 s31, exec_lo
                                        ; implicit-def: $vgpr1
	s_delay_alu instid0(VALU_DEP_1)
	v_cmpx_gt_u32_e32 0x47800000, v4
	s_xor_b32 s31, exec_lo, s31
	s_cbranch_execz .LBB95_378
; %bb.373:
	s_mov_b32 s34, exec_lo
                                        ; implicit-def: $vgpr1
	v_cmpx_lt_u32_e32 0x387fffff, v4
	s_xor_b32 s34, exec_lo, s34
; %bb.374:
	v_bfe_u32 v1, v4, 21, 1
	s_delay_alu instid0(VALU_DEP_1) | instskip(NEXT) | instid1(VALU_DEP_1)
	v_add3_u32 v1, v4, v1, 0x80fffff
                                        ; implicit-def: $vgpr4
	v_lshrrev_b32_e32 v1, 21, v1
; %bb.375:
	s_and_not1_saveexec_b32 s34, s34
; %bb.376:
	v_add_f32_e32 v1, 0x43000000, v4
; %bb.377:
	s_or_b32 exec_lo, exec_lo, s34
                                        ; implicit-def: $vgpr4
.LBB95_378:
	s_and_not1_saveexec_b32 s31, s31
; %bb.379:
	v_mov_b32_e32 v1, 0x7f
	v_cmp_lt_u32_e32 vcc_lo, 0x7f800000, v4
	s_delay_alu instid0(VALU_DEP_2)
	v_cndmask_b32_e32 v1, 0x7c, v1, vcc_lo
; %bb.380:
	s_or_b32 exec_lo, exec_lo, s31
	global_store_b8 v[2:3], v1, off
.LBB95_381:
	s_mov_b32 s34, 0
	s_mov_b32 s31, -1
.LBB95_382:
	s_and_not1_b32 vcc_lo, exec_lo, s34
	s_cbranch_vccnz .LBB95_390
; %bb.383:
	s_cmp_gt_i32 s30, 14
	s_mov_b32 s34, -1
	s_cbranch_scc0 .LBB95_387
; %bb.384:
	s_cmp_eq_u32 s30, 15
	s_mov_b32 s2, -1
	s_cbranch_scc0 .LBB95_386
; %bb.385:
	s_wait_xcnt 0x0
	v_cndmask_b32_e64 v1, 0, 1.0, s1
	s_mov_b32 s31, -1
	s_mov_b32 s2, 0
	s_delay_alu instid0(VALU_DEP_1) | instskip(NEXT) | instid1(VALU_DEP_1)
	v_bfe_u32 v4, v1, 16, 1
	v_add3_u32 v1, v1, v4, 0x7fff
	global_store_d16_hi_b16 v[2:3], v1, off
.LBB95_386:
	s_mov_b32 s34, 0
.LBB95_387:
	s_delay_alu instid0(SALU_CYCLE_1)
	s_and_b32 vcc_lo, exec_lo, s34
	s_cbranch_vccz .LBB95_390
; %bb.388:
	s_cmp_eq_u32 s30, 11
	s_mov_b32 s2, -1
	s_cbranch_scc0 .LBB95_390
; %bb.389:
	s_wait_xcnt 0x0
	v_cndmask_b32_e64 v1, 0, 1, s1
	s_mov_b32 s31, -1
	s_mov_b32 s2, 0
	global_store_b8 v[2:3], v1, off
.LBB95_390:
	s_mov_b32 s30, 0
.LBB95_391:
	s_delay_alu instid0(SALU_CYCLE_1)
	s_and_b32 vcc_lo, exec_lo, s30
	s_cbranch_vccz .LBB95_430
; %bb.392:
	s_and_b32 s29, 0xffff, s29
	s_mov_b32 s30, -1
	s_cmp_lt_i32 s29, 5
	s_cbranch_scc1 .LBB95_413
; %bb.393:
	s_cmp_lt_i32 s29, 8
	s_cbranch_scc1 .LBB95_403
; %bb.394:
	;; [unrolled: 3-line block ×3, first 2 shown]
	s_cmp_gt_i32 s29, 9
	s_cbranch_scc0 .LBB95_397
; %bb.396:
	s_wait_xcnt 0x0
	v_cndmask_b32_e64 v1, 0, 1, s1
	v_mov_b32_e32 v6, 0
	s_mov_b32 s30, 0
	s_delay_alu instid0(VALU_DEP_2) | instskip(NEXT) | instid1(VALU_DEP_2)
	v_cvt_f64_u32_e32 v[4:5], v1
	v_mov_b32_e32 v7, v6
	global_store_b128 v[2:3], v[4:7], off
.LBB95_397:
	s_and_not1_b32 vcc_lo, exec_lo, s30
	s_cbranch_vccnz .LBB95_399
; %bb.398:
	s_wait_xcnt 0x0
	v_cndmask_b32_e64 v4, 0, 1.0, s1
	v_mov_b32_e32 v5, 0
	global_store_b64 v[2:3], v[4:5], off
.LBB95_399:
	s_mov_b32 s30, 0
.LBB95_400:
	s_delay_alu instid0(SALU_CYCLE_1)
	s_and_not1_b32 vcc_lo, exec_lo, s30
	s_cbranch_vccnz .LBB95_402
; %bb.401:
	s_wait_xcnt 0x0
	v_cndmask_b32_e64 v1, 0, 1.0, s1
	s_delay_alu instid0(VALU_DEP_1) | instskip(NEXT) | instid1(VALU_DEP_1)
	v_cvt_f16_f32_e32 v1, v1
	v_and_b32_e32 v1, 0xffff, v1
	global_store_b32 v[2:3], v1, off
.LBB95_402:
	s_mov_b32 s30, 0
.LBB95_403:
	s_delay_alu instid0(SALU_CYCLE_1)
	s_and_not1_b32 vcc_lo, exec_lo, s30
	s_cbranch_vccnz .LBB95_412
; %bb.404:
	s_cmp_lt_i32 s29, 6
	s_mov_b32 s30, -1
	s_cbranch_scc1 .LBB95_410
; %bb.405:
	s_cmp_gt_i32 s29, 6
	s_cbranch_scc0 .LBB95_407
; %bb.406:
	s_wait_xcnt 0x0
	v_cndmask_b32_e64 v1, 0, 1, s1
	s_mov_b32 s30, 0
	s_delay_alu instid0(VALU_DEP_1)
	v_cvt_f64_u32_e32 v[4:5], v1
	global_store_b64 v[2:3], v[4:5], off
.LBB95_407:
	s_and_not1_b32 vcc_lo, exec_lo, s30
	s_cbranch_vccnz .LBB95_409
; %bb.408:
	s_wait_xcnt 0x0
	v_cndmask_b32_e64 v1, 0, 1.0, s1
	global_store_b32 v[2:3], v1, off
.LBB95_409:
	s_mov_b32 s30, 0
.LBB95_410:
	s_delay_alu instid0(SALU_CYCLE_1)
	s_and_not1_b32 vcc_lo, exec_lo, s30
	s_cbranch_vccnz .LBB95_412
; %bb.411:
	s_wait_xcnt 0x0
	v_cndmask_b32_e64 v1, 0, 1.0, s1
	s_delay_alu instid0(VALU_DEP_1)
	v_cvt_f16_f32_e32 v1, v1
	global_store_b16 v[2:3], v1, off
.LBB95_412:
	s_mov_b32 s30, 0
.LBB95_413:
	s_delay_alu instid0(SALU_CYCLE_1)
	s_and_not1_b32 vcc_lo, exec_lo, s30
	s_cbranch_vccnz .LBB95_429
; %bb.414:
	s_cmp_lt_i32 s29, 2
	s_mov_b32 s30, -1
	s_cbranch_scc1 .LBB95_424
; %bb.415:
	s_cmp_lt_i32 s29, 3
	s_cbranch_scc1 .LBB95_421
; %bb.416:
	s_cmp_gt_i32 s29, 3
	s_cbranch_scc0 .LBB95_418
; %bb.417:
	s_mov_b32 s30, 0
	s_wait_xcnt 0x0
	v_cndmask_b32_e64 v4, 0, 1, s1
	v_mov_b32_e32 v5, s30
	global_store_b64 v[2:3], v[4:5], off
.LBB95_418:
	s_and_not1_b32 vcc_lo, exec_lo, s30
	s_cbranch_vccnz .LBB95_420
; %bb.419:
	s_wait_xcnt 0x0
	v_cndmask_b32_e64 v1, 0, 1, s1
	global_store_b32 v[2:3], v1, off
.LBB95_420:
	s_mov_b32 s30, 0
.LBB95_421:
	s_delay_alu instid0(SALU_CYCLE_1)
	s_and_not1_b32 vcc_lo, exec_lo, s30
	s_cbranch_vccnz .LBB95_423
; %bb.422:
	s_wait_xcnt 0x0
	v_cndmask_b32_e64 v1, 0, 1, s1
	global_store_b16 v[2:3], v1, off
.LBB95_423:
	s_mov_b32 s30, 0
.LBB95_424:
	s_delay_alu instid0(SALU_CYCLE_1)
	s_and_not1_b32 vcc_lo, exec_lo, s30
	s_cbranch_vccnz .LBB95_429
; %bb.425:
	s_wait_xcnt 0x0
	v_cndmask_b32_e64 v1, 0, 1, s1
	s_cmp_gt_i32 s29, 0
	s_mov_b32 s1, -1
	s_cbranch_scc0 .LBB95_427
; %bb.426:
	s_mov_b32 s1, 0
	global_store_b8 v[2:3], v1, off
.LBB95_427:
	s_and_not1_b32 vcc_lo, exec_lo, s1
	s_cbranch_vccnz .LBB95_429
; %bb.428:
	global_store_b8 v[2:3], v1, off
.LBB95_429:
	s_mov_b32 s31, -1
.LBB95_430:
	s_delay_alu instid0(SALU_CYCLE_1)
	s_and_not1_b32 vcc_lo, exec_lo, s31
	s_cbranch_vccnz .LBB95_432
; %bb.431:
	v_add_nc_u32_e32 v0, 0x80, v0
	s_mov_b32 s1, -1
	s_branch .LBB95_545
.LBB95_432:
	s_mov_b32 s1, 0
	s_branch .LBB95_544
.LBB95_433:
	s_mov_b32 s28, -1
                                        ; implicit-def: $vgpr6_vgpr7
.LBB95_434:
	s_mov_b32 s29, 0
.LBB95_435:
	s_delay_alu instid0(SALU_CYCLE_1)
	s_and_b32 vcc_lo, exec_lo, s29
	s_cbranch_vccz .LBB95_439
; %bb.436:
	s_cmp_eq_u32 s1, 29
	s_cbranch_scc0 .LBB95_438
; %bb.437:
	s_wait_loadcnt 0x0
	global_load_b64 v[6:7], v[4:5], off
	s_mov_b32 s2, -1
	s_mov_b32 s28, 0
	s_mov_b32 s29, 0
	s_wait_loadcnt 0x0
	v_cvt_f64_u32_e32 v[8:9], v7
	v_cvt_f64_u32_e32 v[6:7], v6
	s_delay_alu instid0(VALU_DEP_2) | instskip(NEXT) | instid1(VALU_DEP_1)
	v_ldexp_f64 v[8:9], v[8:9], 32
	v_add_f64_e32 v[6:7], v[8:9], v[6:7]
	s_branch .LBB95_440
.LBB95_438:
	s_mov_b32 s28, -1
                                        ; implicit-def: $vgpr6_vgpr7
.LBB95_439:
	s_mov_b32 s29, 0
.LBB95_440:
	s_delay_alu instid0(SALU_CYCLE_1)
	s_and_b32 vcc_lo, exec_lo, s29
	s_cbranch_vccz .LBB95_458
; %bb.441:
	s_cmp_lt_i32 s1, 27
	s_cbranch_scc1 .LBB95_444
; %bb.442:
	s_cmp_gt_i32 s1, 27
	s_cbranch_scc0 .LBB95_445
; %bb.443:
	global_load_b32 v1, v[4:5], off
	s_mov_b32 s2, 0
	s_wait_loadcnt 0x0
	v_cvt_f64_u32_e32 v[6:7], v1
	s_branch .LBB95_446
.LBB95_444:
	s_mov_b32 s2, -1
                                        ; implicit-def: $vgpr6_vgpr7
	s_branch .LBB95_449
.LBB95_445:
	s_mov_b32 s2, -1
                                        ; implicit-def: $vgpr6_vgpr7
.LBB95_446:
	s_delay_alu instid0(SALU_CYCLE_1)
	s_and_not1_b32 vcc_lo, exec_lo, s2
	s_cbranch_vccnz .LBB95_448
; %bb.447:
	global_load_u16 v1, v[4:5], off
	s_wait_loadcnt 0x0
	v_cvt_f64_u32_e32 v[6:7], v1
.LBB95_448:
	s_mov_b32 s2, 0
.LBB95_449:
	s_delay_alu instid0(SALU_CYCLE_1)
	s_and_not1_b32 vcc_lo, exec_lo, s2
	s_cbranch_vccnz .LBB95_457
; %bb.450:
	global_load_u8 v1, v[4:5], off
	s_mov_b32 s2, 0
	s_mov_b32 s29, exec_lo
	s_wait_loadcnt 0x0
	v_cmpx_lt_i16_e32 0x7f, v1
	s_xor_b32 s29, exec_lo, s29
	s_cbranch_execz .LBB95_471
; %bb.451:
	s_mov_b32 s2, -1
	s_mov_b32 s30, exec_lo
	v_cmpx_eq_u16_e32 0x80, v1
; %bb.452:
	s_xor_b32 s2, exec_lo, -1
; %bb.453:
	s_or_b32 exec_lo, exec_lo, s30
	s_delay_alu instid0(SALU_CYCLE_1)
	s_and_b32 s2, s2, exec_lo
	s_or_saveexec_b32 s29, s29
	v_mov_b64_e32 v[6:7], 0x7ff8000020000000
	s_xor_b32 exec_lo, exec_lo, s29
	s_cbranch_execnz .LBB95_472
.LBB95_454:
	s_or_b32 exec_lo, exec_lo, s29
	s_and_saveexec_b32 s29, s2
	s_cbranch_execz .LBB95_456
.LBB95_455:
	v_and_b32_e32 v3, 0xffff, v1
	s_delay_alu instid0(VALU_DEP_1) | instskip(SKIP_1) | instid1(VALU_DEP_2)
	v_dual_lshlrev_b32 v1, 24, v1 :: v_dual_bitop2_b32 v6, 7, v3 bitop3:0x40
	v_bfe_u32 v9, v3, 3, 4
	v_and_b32_e32 v1, 0x80000000, v1
	s_delay_alu instid0(VALU_DEP_3) | instskip(NEXT) | instid1(VALU_DEP_3)
	v_clz_i32_u32_e32 v7, v6
	v_cmp_eq_u32_e32 vcc_lo, 0, v9
	s_delay_alu instid0(VALU_DEP_2) | instskip(NEXT) | instid1(VALU_DEP_1)
	v_min_u32_e32 v7, 32, v7
	v_subrev_nc_u32_e32 v8, 28, v7
	v_sub_nc_u32_e32 v7, 29, v7
	s_delay_alu instid0(VALU_DEP_2) | instskip(NEXT) | instid1(VALU_DEP_2)
	v_lshlrev_b32_e32 v3, v8, v3
	v_cndmask_b32_e32 v7, v9, v7, vcc_lo
	s_delay_alu instid0(VALU_DEP_2) | instskip(NEXT) | instid1(VALU_DEP_1)
	v_and_b32_e32 v3, 7, v3
	v_cndmask_b32_e32 v3, v6, v3, vcc_lo
	s_delay_alu instid0(VALU_DEP_3) | instskip(NEXT) | instid1(VALU_DEP_2)
	v_lshl_add_u32 v6, v7, 23, 0x3b800000
	v_lshlrev_b32_e32 v3, 20, v3
	s_delay_alu instid0(VALU_DEP_1) | instskip(NEXT) | instid1(VALU_DEP_1)
	v_or3_b32 v1, v1, v6, v3
	v_cvt_f64_f32_e32 v[6:7], v1
.LBB95_456:
	s_or_b32 exec_lo, exec_lo, s29
.LBB95_457:
	s_mov_b32 s2, -1
.LBB95_458:
	s_mov_b32 s29, 0
.LBB95_459:
	s_delay_alu instid0(SALU_CYCLE_1)
	s_and_b32 vcc_lo, exec_lo, s29
	s_cbranch_vccz .LBB95_494
; %bb.460:
	s_cmp_gt_i32 s1, 22
	s_cbranch_scc0 .LBB95_470
; %bb.461:
	s_cmp_lt_i32 s1, 24
	s_cbranch_scc1 .LBB95_473
; %bb.462:
	s_cmp_gt_i32 s1, 24
	s_cbranch_scc0 .LBB95_474
; %bb.463:
	global_load_u8 v1, v[4:5], off
	s_mov_b32 s2, 0
	s_mov_b32 s29, exec_lo
	s_wait_loadcnt 0x0
	v_cmpx_lt_i16_e32 0x7f, v1
	s_xor_b32 s29, exec_lo, s29
	s_cbranch_execz .LBB95_486
; %bb.464:
	s_mov_b32 s2, -1
	s_mov_b32 s30, exec_lo
	v_cmpx_eq_u16_e32 0x80, v1
; %bb.465:
	s_xor_b32 s2, exec_lo, -1
; %bb.466:
	s_or_b32 exec_lo, exec_lo, s30
	s_delay_alu instid0(SALU_CYCLE_1)
	s_and_b32 s2, s2, exec_lo
	s_or_saveexec_b32 s29, s29
	v_mov_b64_e32 v[6:7], 0x7ff8000020000000
	s_xor_b32 exec_lo, exec_lo, s29
	s_cbranch_execnz .LBB95_487
.LBB95_467:
	s_or_b32 exec_lo, exec_lo, s29
	s_and_saveexec_b32 s29, s2
	s_cbranch_execz .LBB95_469
.LBB95_468:
	v_and_b32_e32 v3, 0xffff, v1
	s_delay_alu instid0(VALU_DEP_1) | instskip(SKIP_1) | instid1(VALU_DEP_2)
	v_dual_lshlrev_b32 v1, 24, v1 :: v_dual_bitop2_b32 v6, 3, v3 bitop3:0x40
	v_bfe_u32 v9, v3, 2, 5
	v_and_b32_e32 v1, 0x80000000, v1
	s_delay_alu instid0(VALU_DEP_3) | instskip(NEXT) | instid1(VALU_DEP_3)
	v_clz_i32_u32_e32 v7, v6
	v_cmp_eq_u32_e32 vcc_lo, 0, v9
	s_delay_alu instid0(VALU_DEP_2) | instskip(NEXT) | instid1(VALU_DEP_1)
	v_min_u32_e32 v7, 32, v7
	v_subrev_nc_u32_e32 v8, 29, v7
	v_sub_nc_u32_e32 v7, 30, v7
	s_delay_alu instid0(VALU_DEP_2) | instskip(NEXT) | instid1(VALU_DEP_2)
	v_lshlrev_b32_e32 v3, v8, v3
	v_cndmask_b32_e32 v7, v9, v7, vcc_lo
	s_delay_alu instid0(VALU_DEP_2) | instskip(NEXT) | instid1(VALU_DEP_1)
	v_and_b32_e32 v3, 3, v3
	v_cndmask_b32_e32 v3, v6, v3, vcc_lo
	s_delay_alu instid0(VALU_DEP_3) | instskip(NEXT) | instid1(VALU_DEP_2)
	v_lshl_add_u32 v6, v7, 23, 0x37800000
	v_lshlrev_b32_e32 v3, 21, v3
	s_delay_alu instid0(VALU_DEP_1) | instskip(NEXT) | instid1(VALU_DEP_1)
	v_or3_b32 v1, v1, v6, v3
	v_cvt_f64_f32_e32 v[6:7], v1
.LBB95_469:
	s_or_b32 exec_lo, exec_lo, s29
	s_mov_b32 s2, 0
	s_branch .LBB95_475
.LBB95_470:
	s_mov_b32 s29, -1
                                        ; implicit-def: $vgpr6_vgpr7
	s_branch .LBB95_481
.LBB95_471:
	s_or_saveexec_b32 s29, s29
	v_mov_b64_e32 v[6:7], 0x7ff8000020000000
	s_xor_b32 exec_lo, exec_lo, s29
	s_cbranch_execz .LBB95_454
.LBB95_472:
	v_cmp_ne_u16_e32 vcc_lo, 0, v1
	v_mov_b64_e32 v[6:7], 0
	s_and_not1_b32 s2, s2, exec_lo
	s_and_b32 s30, vcc_lo, exec_lo
	s_delay_alu instid0(SALU_CYCLE_1)
	s_or_b32 s2, s2, s30
	s_or_b32 exec_lo, exec_lo, s29
	s_and_saveexec_b32 s29, s2
	s_cbranch_execnz .LBB95_455
	s_branch .LBB95_456
.LBB95_473:
	s_mov_b32 s2, -1
                                        ; implicit-def: $vgpr6_vgpr7
	s_branch .LBB95_478
.LBB95_474:
	s_mov_b32 s2, -1
                                        ; implicit-def: $vgpr6_vgpr7
.LBB95_475:
	s_delay_alu instid0(SALU_CYCLE_1)
	s_and_b32 vcc_lo, exec_lo, s2
	s_cbranch_vccz .LBB95_477
; %bb.476:
	global_load_u8 v1, v[4:5], off
	s_wait_loadcnt 0x0
	v_lshlrev_b32_e32 v1, 24, v1
	s_delay_alu instid0(VALU_DEP_1) | instskip(NEXT) | instid1(VALU_DEP_1)
	v_and_b32_e32 v3, 0x7f000000, v1
	v_clz_i32_u32_e32 v6, v3
	v_cmp_ne_u32_e32 vcc_lo, 0, v3
	v_add_nc_u32_e32 v8, 0x1000000, v3
	s_delay_alu instid0(VALU_DEP_3) | instskip(NEXT) | instid1(VALU_DEP_1)
	v_min_u32_e32 v6, 32, v6
	v_sub_nc_u32_e64 v6, v6, 4 clamp
	s_delay_alu instid0(VALU_DEP_1) | instskip(NEXT) | instid1(VALU_DEP_1)
	v_dual_lshlrev_b32 v7, v6, v3 :: v_dual_lshlrev_b32 v6, 23, v6
	v_lshrrev_b32_e32 v7, 4, v7
	s_delay_alu instid0(VALU_DEP_1) | instskip(NEXT) | instid1(VALU_DEP_1)
	v_dual_sub_nc_u32 v6, v7, v6 :: v_dual_ashrrev_i32 v7, 8, v8
	v_add_nc_u32_e32 v6, 0x3c000000, v6
	s_delay_alu instid0(VALU_DEP_1) | instskip(NEXT) | instid1(VALU_DEP_1)
	v_and_or_b32 v6, 0x7f800000, v7, v6
	v_cndmask_b32_e32 v3, 0, v6, vcc_lo
	s_delay_alu instid0(VALU_DEP_1) | instskip(NEXT) | instid1(VALU_DEP_1)
	v_and_or_b32 v1, 0x80000000, v1, v3
	v_cvt_f64_f32_e32 v[6:7], v1
.LBB95_477:
	s_mov_b32 s2, 0
.LBB95_478:
	s_delay_alu instid0(SALU_CYCLE_1)
	s_and_not1_b32 vcc_lo, exec_lo, s2
	s_cbranch_vccnz .LBB95_480
; %bb.479:
	global_load_u8 v1, v[4:5], off
	s_wait_loadcnt 0x0
	v_lshlrev_b32_e32 v3, 25, v1
	v_lshlrev_b16 v1, 8, v1
	s_delay_alu instid0(VALU_DEP_1) | instskip(SKIP_1) | instid1(VALU_DEP_2)
	v_and_or_b32 v7, 0x7f00, v1, 0.5
	v_bfe_i32 v1, v1, 0, 16
	v_add_f32_e32 v7, -0.5, v7
	v_lshrrev_b32_e32 v6, 4, v3
	v_cmp_gt_u32_e32 vcc_lo, 0x8000000, v3
	s_delay_alu instid0(VALU_DEP_2) | instskip(NEXT) | instid1(VALU_DEP_1)
	v_or_b32_e32 v6, 0x70000000, v6
	v_mul_f32_e32 v6, 0x7800000, v6
	s_delay_alu instid0(VALU_DEP_1) | instskip(NEXT) | instid1(VALU_DEP_1)
	v_cndmask_b32_e32 v3, v6, v7, vcc_lo
	v_and_or_b32 v1, 0x80000000, v1, v3
	s_delay_alu instid0(VALU_DEP_1)
	v_cvt_f64_f32_e32 v[6:7], v1
.LBB95_480:
	s_mov_b32 s29, 0
	s_mov_b32 s2, -1
.LBB95_481:
	s_and_not1_b32 vcc_lo, exec_lo, s29
	s_cbranch_vccnz .LBB95_494
; %bb.482:
	s_cmp_gt_i32 s1, 14
	s_cbranch_scc0 .LBB95_485
; %bb.483:
	s_cmp_eq_u32 s1, 15
	s_cbranch_scc0 .LBB95_488
; %bb.484:
	global_load_u16 v1, v[4:5], off
	s_mov_b32 s2, -1
	s_mov_b32 s28, 0
	s_wait_loadcnt 0x0
	v_lshlrev_b32_e32 v1, 16, v1
	s_delay_alu instid0(VALU_DEP_1)
	v_cvt_f64_f32_e32 v[6:7], v1
	s_branch .LBB95_489
.LBB95_485:
	s_mov_b32 s29, -1
                                        ; implicit-def: $vgpr6_vgpr7
	s_branch .LBB95_490
.LBB95_486:
	s_or_saveexec_b32 s29, s29
	v_mov_b64_e32 v[6:7], 0x7ff8000020000000
	s_xor_b32 exec_lo, exec_lo, s29
	s_cbranch_execz .LBB95_467
.LBB95_487:
	v_cmp_ne_u16_e32 vcc_lo, 0, v1
	v_mov_b64_e32 v[6:7], 0
	s_and_not1_b32 s2, s2, exec_lo
	s_and_b32 s30, vcc_lo, exec_lo
	s_delay_alu instid0(SALU_CYCLE_1)
	s_or_b32 s2, s2, s30
	s_or_b32 exec_lo, exec_lo, s29
	s_and_saveexec_b32 s29, s2
	s_cbranch_execnz .LBB95_468
	s_branch .LBB95_469
.LBB95_488:
	s_mov_b32 s28, -1
                                        ; implicit-def: $vgpr6_vgpr7
.LBB95_489:
	s_mov_b32 s29, 0
.LBB95_490:
	s_delay_alu instid0(SALU_CYCLE_1)
	s_and_b32 vcc_lo, exec_lo, s29
	s_cbranch_vccz .LBB95_494
; %bb.491:
	s_cmp_eq_u32 s1, 11
	s_cbranch_scc0 .LBB95_493
; %bb.492:
	global_load_u8 v1, v[4:5], off
	s_wait_loadcnt 0x1
	v_mov_b32_e32 v6, 0
	s_mov_b32 s28, 0
	s_mov_b32 s2, -1
	s_wait_loadcnt 0x0
	v_cmp_ne_u16_e32 vcc_lo, 0, v1
	v_cndmask_b32_e64 v7, 0, 0x3ff00000, vcc_lo
	s_branch .LBB95_494
.LBB95_493:
	s_mov_b32 s28, -1
                                        ; implicit-def: $vgpr6_vgpr7
.LBB95_494:
	s_branch .LBB95_296
.LBB95_495:
	s_cmp_lt_i32 s1, 5
	s_cbranch_scc1 .LBB95_500
; %bb.496:
	s_cmp_lt_i32 s1, 8
	s_cbranch_scc1 .LBB95_501
; %bb.497:
	;; [unrolled: 3-line block ×3, first 2 shown]
	s_cmp_gt_i32 s1, 9
	s_cbranch_scc0 .LBB95_503
; %bb.499:
	s_wait_loadcnt 0x0
	global_load_b64 v[6:7], v[4:5], off
	s_mov_b32 s2, 0
	s_branch .LBB95_504
.LBB95_500:
	s_mov_b32 s2, -1
                                        ; implicit-def: $vgpr6_vgpr7
	s_branch .LBB95_522
.LBB95_501:
	s_mov_b32 s2, -1
                                        ; implicit-def: $vgpr6_vgpr7
	s_branch .LBB95_510
.LBB95_502:
	s_mov_b32 s2, -1
                                        ; implicit-def: $vgpr6_vgpr7
	s_branch .LBB95_507
.LBB95_503:
	s_mov_b32 s2, -1
                                        ; implicit-def: $vgpr6_vgpr7
.LBB95_504:
	s_delay_alu instid0(SALU_CYCLE_1)
	s_and_not1_b32 vcc_lo, exec_lo, s2
	s_cbranch_vccnz .LBB95_506
; %bb.505:
	global_load_b32 v1, v[4:5], off
	s_wait_loadcnt 0x0
	v_cvt_f64_f32_e32 v[6:7], v1
.LBB95_506:
	s_mov_b32 s2, 0
.LBB95_507:
	s_delay_alu instid0(SALU_CYCLE_1)
	s_and_not1_b32 vcc_lo, exec_lo, s2
	s_cbranch_vccnz .LBB95_509
; %bb.508:
	global_load_b32 v1, v[4:5], off
	s_wait_loadcnt 0x0
	v_cvt_f32_f16_e32 v1, v1
	s_delay_alu instid0(VALU_DEP_1)
	v_cvt_f64_f32_e32 v[6:7], v1
.LBB95_509:
	s_mov_b32 s2, 0
.LBB95_510:
	s_delay_alu instid0(SALU_CYCLE_1)
	s_and_not1_b32 vcc_lo, exec_lo, s2
	s_cbranch_vccnz .LBB95_521
; %bb.511:
	s_cmp_lt_i32 s1, 6
	s_cbranch_scc1 .LBB95_514
; %bb.512:
	s_cmp_gt_i32 s1, 6
	s_cbranch_scc0 .LBB95_515
; %bb.513:
	s_wait_loadcnt 0x0
	global_load_b64 v[6:7], v[4:5], off
	s_mov_b32 s2, 0
	s_branch .LBB95_516
.LBB95_514:
	s_mov_b32 s2, -1
                                        ; implicit-def: $vgpr6_vgpr7
	s_branch .LBB95_519
.LBB95_515:
	s_mov_b32 s2, -1
                                        ; implicit-def: $vgpr6_vgpr7
.LBB95_516:
	s_delay_alu instid0(SALU_CYCLE_1)
	s_and_not1_b32 vcc_lo, exec_lo, s2
	s_cbranch_vccnz .LBB95_518
; %bb.517:
	global_load_b32 v1, v[4:5], off
	s_wait_loadcnt 0x0
	v_cvt_f64_f32_e32 v[6:7], v1
.LBB95_518:
	s_mov_b32 s2, 0
.LBB95_519:
	s_delay_alu instid0(SALU_CYCLE_1)
	s_and_not1_b32 vcc_lo, exec_lo, s2
	s_cbranch_vccnz .LBB95_521
; %bb.520:
	global_load_u16 v1, v[4:5], off
	s_wait_loadcnt 0x0
	v_cvt_f32_f16_e32 v1, v1
	s_delay_alu instid0(VALU_DEP_1)
	v_cvt_f64_f32_e32 v[6:7], v1
.LBB95_521:
	s_mov_b32 s2, 0
.LBB95_522:
	s_delay_alu instid0(SALU_CYCLE_1)
	s_and_not1_b32 vcc_lo, exec_lo, s2
	s_cbranch_vccnz .LBB95_542
; %bb.523:
	s_cmp_lt_i32 s1, 2
	s_cbranch_scc1 .LBB95_527
; %bb.524:
	s_cmp_lt_i32 s1, 3
	s_cbranch_scc1 .LBB95_528
; %bb.525:
	s_cmp_gt_i32 s1, 3
	s_cbranch_scc0 .LBB95_529
; %bb.526:
	s_wait_loadcnt 0x0
	global_load_b64 v[6:7], v[4:5], off
	s_mov_b32 s2, 0
	s_wait_loadcnt 0x0
	v_cvt_f64_i32_e32 v[8:9], v7
	v_cvt_f64_u32_e32 v[6:7], v6
	s_delay_alu instid0(VALU_DEP_2) | instskip(NEXT) | instid1(VALU_DEP_1)
	v_ldexp_f64 v[8:9], v[8:9], 32
	v_add_f64_e32 v[6:7], v[8:9], v[6:7]
	s_branch .LBB95_530
.LBB95_527:
	s_mov_b32 s2, -1
                                        ; implicit-def: $vgpr6_vgpr7
	s_branch .LBB95_536
.LBB95_528:
	s_mov_b32 s2, -1
                                        ; implicit-def: $vgpr6_vgpr7
	s_branch .LBB95_533
.LBB95_529:
	s_mov_b32 s2, -1
                                        ; implicit-def: $vgpr6_vgpr7
.LBB95_530:
	s_delay_alu instid0(SALU_CYCLE_1)
	s_and_not1_b32 vcc_lo, exec_lo, s2
	s_cbranch_vccnz .LBB95_532
; %bb.531:
	global_load_b32 v1, v[4:5], off
	s_wait_loadcnt 0x0
	v_cvt_f64_i32_e32 v[6:7], v1
.LBB95_532:
	s_mov_b32 s2, 0
.LBB95_533:
	s_delay_alu instid0(SALU_CYCLE_1)
	s_and_not1_b32 vcc_lo, exec_lo, s2
	s_cbranch_vccnz .LBB95_535
; %bb.534:
	global_load_i16 v1, v[4:5], off
	s_wait_loadcnt 0x0
	v_cvt_f64_i32_e32 v[6:7], v1
.LBB95_535:
	s_mov_b32 s2, 0
.LBB95_536:
	s_delay_alu instid0(SALU_CYCLE_1)
	s_and_not1_b32 vcc_lo, exec_lo, s2
	s_cbranch_vccnz .LBB95_542
; %bb.537:
	s_cmp_gt_i32 s1, 0
	s_mov_b32 s1, 0
	s_cbranch_scc0 .LBB95_539
; %bb.538:
	global_load_i8 v1, v[4:5], off
	s_wait_loadcnt 0x0
	v_cvt_f64_i32_e32 v[6:7], v1
	s_branch .LBB95_540
.LBB95_539:
	s_mov_b32 s1, -1
                                        ; implicit-def: $vgpr6_vgpr7
.LBB95_540:
	s_delay_alu instid0(SALU_CYCLE_1)
	s_and_not1_b32 vcc_lo, exec_lo, s1
	s_cbranch_vccnz .LBB95_542
; %bb.541:
	global_load_u8 v1, v[4:5], off
	s_wait_loadcnt 0x0
	v_cvt_f64_u32_e32 v[6:7], v1
.LBB95_542:
	s_branch .LBB95_297
.LBB95_543:
	s_mov_b32 s1, 0
	s_mov_b32 s2, s43
.LBB95_544:
                                        ; implicit-def: $vgpr0
.LBB95_545:
	s_and_not1_b32 s29, s43, exec_lo
	s_and_b32 s2, s2, exec_lo
	s_and_not1_b32 s30, s44, exec_lo
	s_and_b32 s28, s28, exec_lo
	s_or_b32 s47, s29, s2
	s_or_b32 s46, s30, s28
	s_or_not1_b32 s28, s1, exec_lo
.LBB95_546:
	s_wait_xcnt 0x0
	s_or_b32 exec_lo, exec_lo, s48
	s_mov_b32 s1, 0
	s_mov_b32 s2, 0
	;; [unrolled: 1-line block ×3, first 2 shown]
                                        ; implicit-def: $vgpr4_vgpr5
                                        ; implicit-def: $vgpr2
                                        ; implicit-def: $vgpr6_vgpr7
	s_and_saveexec_b32 s48, s28
	s_cbranch_execz .LBB95_927
; %bb.547:
	s_mov_b32 s31, -1
	s_mov_b32 s1, s46
	s_mov_b32 s2, s47
	s_mov_b32 s49, exec_lo
	v_cmpx_gt_i32_e64 s40, v0
	s_cbranch_execz .LBB95_824
; %bb.548:
	s_and_not1_b32 vcc_lo, exec_lo, s37
	s_cbranch_vccnz .LBB95_554
; %bb.549:
	s_and_not1_b32 vcc_lo, exec_lo, s42
	s_cbranch_vccnz .LBB95_555
; %bb.550:
	s_add_co_i32 s1, s41, 1
	s_cmp_eq_u32 s33, 2
	s_cbranch_scc1 .LBB95_556
; %bb.551:
	v_dual_mov_b32 v2, 0 :: v_dual_mov_b32 v4, 0
	v_mov_b32_e32 v1, v0
	s_and_b32 s28, s1, 28
	s_mov_b32 s2, 0
	s_mov_b64 s[30:31], s[20:21]
	s_mov_b64 s[34:35], s[26:27]
.LBB95_552:                             ; =>This Inner Loop Header: Depth=1
	s_clause 0x1
	s_load_b256 s[52:59], s[30:31], 0x4
	s_load_b128 s[68:71], s[30:31], 0x24
	s_load_b256 s[60:67], s[34:35], 0x0
	s_add_co_i32 s2, s2, 4
	s_wait_xcnt 0x0
	s_add_nc_u64 s[30:31], s[30:31], 48
	s_cmp_eq_u32 s28, s2
	s_add_nc_u64 s[34:35], s[34:35], 32
	s_wait_kmcnt 0x0
	v_mul_hi_u32 v3, s53, v1
	s_delay_alu instid0(VALU_DEP_1) | instskip(NEXT) | instid1(VALU_DEP_1)
	v_add_nc_u32_e32 v3, v1, v3
	v_lshrrev_b32_e32 v3, s54, v3
	s_delay_alu instid0(VALU_DEP_1) | instskip(NEXT) | instid1(VALU_DEP_1)
	v_mul_hi_u32 v5, s56, v3
	v_add_nc_u32_e32 v5, v3, v5
	s_delay_alu instid0(VALU_DEP_1) | instskip(SKIP_1) | instid1(VALU_DEP_1)
	v_lshrrev_b32_e32 v5, s57, v5
	s_wait_loadcnt 0x0
	v_mul_hi_u32 v6, s59, v5
	s_delay_alu instid0(VALU_DEP_1) | instskip(SKIP_1) | instid1(VALU_DEP_1)
	v_add_nc_u32_e32 v6, v5, v6
	v_mul_lo_u32 v7, v3, s52
	v_sub_nc_u32_e32 v1, v1, v7
	v_mul_lo_u32 v7, v5, s55
	s_delay_alu instid0(VALU_DEP_4) | instskip(NEXT) | instid1(VALU_DEP_3)
	v_lshrrev_b32_e32 v6, s68, v6
	v_mad_u32 v4, v1, s61, v4
	v_mad_u32 v1, v1, s60, v2
	s_delay_alu instid0(VALU_DEP_4) | instskip(NEXT) | instid1(VALU_DEP_4)
	v_sub_nc_u32_e32 v2, v3, v7
	v_mul_hi_u32 v8, s70, v6
	v_mul_lo_u32 v3, v6, s58
	s_delay_alu instid0(VALU_DEP_3) | instskip(SKIP_1) | instid1(VALU_DEP_3)
	v_mad_u32 v4, v2, s63, v4
	v_mad_u32 v2, v2, s62, v1
	v_dual_add_nc_u32 v7, v6, v8 :: v_dual_sub_nc_u32 v3, v5, v3
	s_delay_alu instid0(VALU_DEP_1) | instskip(NEXT) | instid1(VALU_DEP_2)
	v_lshrrev_b32_e32 v1, s71, v7
	v_mad_u32 v4, v3, s65, v4
	s_delay_alu instid0(VALU_DEP_4) | instskip(NEXT) | instid1(VALU_DEP_3)
	v_mad_u32 v2, v3, s64, v2
	v_mul_lo_u32 v5, v1, s69
	s_delay_alu instid0(VALU_DEP_1) | instskip(NEXT) | instid1(VALU_DEP_1)
	v_sub_nc_u32_e32 v3, v6, v5
	v_mad_u32 v4, v3, s67, v4
	s_delay_alu instid0(VALU_DEP_4)
	v_mad_u32 v2, v3, s66, v2
	s_cbranch_scc0 .LBB95_552
; %bb.553:
	s_delay_alu instid0(VALU_DEP_2)
	v_mov_b32_e32 v3, v4
	s_branch .LBB95_557
.LBB95_554:
	s_mov_b32 s1, -1
                                        ; implicit-def: $vgpr4
                                        ; implicit-def: $vgpr2
	s_branch .LBB95_562
.LBB95_555:
	v_dual_mov_b32 v4, 0 :: v_dual_mov_b32 v2, 0
	s_branch .LBB95_561
.LBB95_556:
	v_mov_b64_e32 v[2:3], 0
	v_mov_b32_e32 v1, v0
	s_mov_b32 s28, 0
                                        ; implicit-def: $vgpr4
.LBB95_557:
	s_and_b32 s1, s1, 3
	s_mov_b32 s29, 0
	s_cmp_eq_u32 s1, 0
	s_cbranch_scc1 .LBB95_561
; %bb.558:
	s_lshl_b32 s30, s28, 3
	s_mov_b32 s31, s29
	s_mul_u64 s[34:35], s[28:29], 12
	s_add_nc_u64 s[30:31], s[20:21], s[30:31]
	s_delay_alu instid0(SALU_CYCLE_1)
	s_add_nc_u64 s[28:29], s[30:31], 0xc4
	s_add_nc_u64 s[30:31], s[20:21], s[34:35]
.LBB95_559:                             ; =>This Inner Loop Header: Depth=1
	s_load_b96 s[52:54], s[30:31], 0x4
	s_load_b64 s[34:35], s[28:29], 0x0
	s_add_co_i32 s1, s1, -1
	s_wait_xcnt 0x0
	s_add_nc_u64 s[30:31], s[30:31], 12
	s_cmp_lg_u32 s1, 0
	s_add_nc_u64 s[28:29], s[28:29], 8
	s_wait_kmcnt 0x0
	v_mul_hi_u32 v4, s53, v1
	s_delay_alu instid0(VALU_DEP_1) | instskip(NEXT) | instid1(VALU_DEP_1)
	v_add_nc_u32_e32 v4, v1, v4
	v_lshrrev_b32_e32 v4, s54, v4
	s_delay_alu instid0(VALU_DEP_1) | instskip(NEXT) | instid1(VALU_DEP_1)
	v_mul_lo_u32 v5, v4, s52
	v_sub_nc_u32_e32 v1, v1, v5
	s_delay_alu instid0(VALU_DEP_1)
	v_mad_u32 v3, v1, s35, v3
	v_mad_u32 v2, v1, s34, v2
	v_mov_b32_e32 v1, v4
	s_cbranch_scc1 .LBB95_559
; %bb.560:
	s_delay_alu instid0(VALU_DEP_3)
	v_mov_b32_e32 v4, v3
.LBB95_561:
	s_mov_b32 s1, 0
.LBB95_562:
	s_delay_alu instid0(SALU_CYCLE_1)
	s_and_not1_b32 vcc_lo, exec_lo, s1
	s_cbranch_vccnz .LBB95_565
; %bb.563:
	v_mov_b32_e32 v1, 0
	s_and_not1_b32 vcc_lo, exec_lo, s39
	s_delay_alu instid0(VALU_DEP_1) | instskip(NEXT) | instid1(VALU_DEP_1)
	v_mul_u64_e32 v[2:3], s[22:23], v[0:1]
	v_add_nc_u32_e32 v2, v0, v3
	s_wait_loadcnt 0x0
	s_delay_alu instid0(VALU_DEP_1) | instskip(NEXT) | instid1(VALU_DEP_1)
	v_lshrrev_b32_e32 v6, s10, v2
	v_mul_lo_u32 v2, v6, s8
	s_delay_alu instid0(VALU_DEP_1) | instskip(NEXT) | instid1(VALU_DEP_1)
	v_sub_nc_u32_e32 v2, v0, v2
	v_mul_lo_u32 v4, v2, s13
	v_mul_lo_u32 v2, v2, s12
	s_cbranch_vccnz .LBB95_565
; %bb.564:
	v_mov_b32_e32 v7, v1
	s_delay_alu instid0(VALU_DEP_1) | instskip(NEXT) | instid1(VALU_DEP_1)
	v_mul_u64_e32 v[8:9], s[24:25], v[6:7]
	v_add_nc_u32_e32 v1, v6, v9
	s_delay_alu instid0(VALU_DEP_1) | instskip(NEXT) | instid1(VALU_DEP_1)
	v_lshrrev_b32_e32 v1, s3, v1
	v_mul_lo_u32 v1, v1, s11
	s_delay_alu instid0(VALU_DEP_1) | instskip(NEXT) | instid1(VALU_DEP_1)
	v_sub_nc_u32_e32 v1, v6, v1
	v_mad_u32 v2, v1, s14, v2
	v_mad_u32 v4, v1, s15, v4
.LBB95_565:
	v_mov_b32_e32 v5, 0
	s_and_b32 s1, 0xffff, s9
	s_delay_alu instid0(SALU_CYCLE_1) | instskip(NEXT) | instid1(VALU_DEP_1)
	s_cmp_lt_i32 s1, 11
	v_add_nc_u64_e32 v[4:5], s[6:7], v[4:5]
	s_cbranch_scc1 .LBB95_572
; %bb.566:
	s_cmp_gt_i32 s1, 25
	s_cbranch_scc0 .LBB95_573
; %bb.567:
	s_cmp_gt_i32 s1, 28
	s_cbranch_scc0 .LBB95_574
	;; [unrolled: 3-line block ×4, first 2 shown]
; %bb.570:
	s_cmp_eq_u32 s1, 46
	s_mov_b32 s29, 0
	s_cbranch_scc0 .LBB95_581
; %bb.571:
	global_load_b32 v1, v[4:5], off
	s_mov_b32 s2, -1
	s_mov_b32 s28, 0
	s_wait_loadcnt 0x0
	v_lshlrev_b32_e32 v1, 16, v1
	s_delay_alu instid0(VALU_DEP_1)
	v_cvt_f64_f32_e32 v[6:7], v1
	s_branch .LBB95_583
.LBB95_572:
	s_mov_b32 s29, -1
	s_mov_b32 s2, 0
	s_mov_b32 s28, s46
                                        ; implicit-def: $vgpr6_vgpr7
	s_branch .LBB95_648
.LBB95_573:
	s_mov_b32 s29, -1
	s_mov_b32 s2, 0
	s_mov_b32 s28, s46
                                        ; implicit-def: $vgpr6_vgpr7
	s_branch .LBB95_612
.LBB95_574:
	s_mov_b32 s29, -1
	s_mov_b32 s2, 0
	s_mov_b32 s28, s46
                                        ; implicit-def: $vgpr6_vgpr7
	s_branch .LBB95_593
.LBB95_575:
	s_mov_b32 s29, -1
	s_mov_b32 s2, 0
	s_mov_b32 s28, s46
                                        ; implicit-def: $vgpr6_vgpr7
	s_branch .LBB95_588
.LBB95_576:
	s_and_not1_saveexec_b32 s35, s35
	s_cbranch_execz .LBB95_343
.LBB95_577:
	v_add_f32_e32 v1, 0x46000000, v4
	s_and_not1_b32 s34, s34, exec_lo
	s_delay_alu instid0(VALU_DEP_1) | instskip(NEXT) | instid1(VALU_DEP_1)
	v_and_b32_e32 v1, 0xff, v1
	v_cmp_ne_u32_e32 vcc_lo, 0, v1
	s_and_b32 s46, vcc_lo, exec_lo
	s_delay_alu instid0(SALU_CYCLE_1)
	s_or_b32 s34, s34, s46
	s_or_b32 exec_lo, exec_lo, s35
	v_mov_b32_e32 v5, 0
	s_and_saveexec_b32 s35, s34
	s_cbranch_execnz .LBB95_344
	s_branch .LBB95_345
.LBB95_578:
	s_mov_b32 s29, -1
	s_mov_b32 s2, 0
	s_mov_b32 s28, s46
	s_branch .LBB95_582
.LBB95_579:
	s_and_not1_saveexec_b32 s35, s35
	s_cbranch_execz .LBB95_356
.LBB95_580:
	v_add_f32_e32 v1, 0x42800000, v4
	s_and_not1_b32 s34, s34, exec_lo
	s_delay_alu instid0(VALU_DEP_1) | instskip(NEXT) | instid1(VALU_DEP_1)
	v_and_b32_e32 v1, 0xff, v1
	v_cmp_ne_u32_e32 vcc_lo, 0, v1
	s_and_b32 s46, vcc_lo, exec_lo
	s_delay_alu instid0(SALU_CYCLE_1)
	s_or_b32 s34, s34, s46
	s_or_b32 exec_lo, exec_lo, s35
	v_mov_b32_e32 v5, 0
	s_and_saveexec_b32 s35, s34
	s_cbranch_execnz .LBB95_357
	s_branch .LBB95_358
.LBB95_581:
	s_mov_b32 s28, -1
	s_mov_b32 s2, 0
.LBB95_582:
                                        ; implicit-def: $vgpr6_vgpr7
.LBB95_583:
	s_and_b32 vcc_lo, exec_lo, s29
	s_cbranch_vccz .LBB95_587
; %bb.584:
	s_cmp_eq_u32 s1, 44
	s_cbranch_scc0 .LBB95_586
; %bb.585:
	global_load_u8 v1, v[4:5], off
	s_mov_b32 s28, 0
	s_mov_b32 s2, -1
	s_wait_loadcnt 0x0
	v_cmp_ne_u32_e32 vcc_lo, 0xff, v1
	v_lshlrev_b32_e32 v3, 23, v1
	s_delay_alu instid0(VALU_DEP_1) | instskip(NEXT) | instid1(VALU_DEP_1)
	v_cvt_f64_f32_e32 v[6:7], v3
	v_cndmask_b32_e32 v3, 0x20000000, v6, vcc_lo
	s_delay_alu instid0(VALU_DEP_2) | instskip(SKIP_1) | instid1(VALU_DEP_2)
	v_cndmask_b32_e32 v6, 0x7ff80000, v7, vcc_lo
	v_cmp_ne_u32_e32 vcc_lo, 0, v1
	v_cndmask_b32_e32 v7, 0x38000000, v6, vcc_lo
	s_delay_alu instid0(VALU_DEP_4)
	v_cndmask_b32_e32 v6, 0, v3, vcc_lo
	s_branch .LBB95_587
.LBB95_586:
	s_mov_b32 s28, -1
                                        ; implicit-def: $vgpr6_vgpr7
.LBB95_587:
	s_mov_b32 s29, 0
.LBB95_588:
	s_delay_alu instid0(SALU_CYCLE_1)
	s_and_b32 vcc_lo, exec_lo, s29
	s_cbranch_vccz .LBB95_592
; %bb.589:
	s_cmp_eq_u32 s1, 29
	s_cbranch_scc0 .LBB95_591
; %bb.590:
	s_wait_loadcnt 0x0
	global_load_b64 v[6:7], v[4:5], off
	s_mov_b32 s2, -1
	s_mov_b32 s28, 0
	s_mov_b32 s29, 0
	s_wait_loadcnt 0x0
	v_cvt_f64_u32_e32 v[8:9], v7
	v_cvt_f64_u32_e32 v[6:7], v6
	s_delay_alu instid0(VALU_DEP_2) | instskip(NEXT) | instid1(VALU_DEP_1)
	v_ldexp_f64 v[8:9], v[8:9], 32
	v_add_f64_e32 v[6:7], v[8:9], v[6:7]
	s_branch .LBB95_593
.LBB95_591:
	s_mov_b32 s28, -1
                                        ; implicit-def: $vgpr6_vgpr7
.LBB95_592:
	s_mov_b32 s29, 0
.LBB95_593:
	s_delay_alu instid0(SALU_CYCLE_1)
	s_and_b32 vcc_lo, exec_lo, s29
	s_cbranch_vccz .LBB95_611
; %bb.594:
	s_cmp_lt_i32 s1, 27
	s_cbranch_scc1 .LBB95_597
; %bb.595:
	s_cmp_gt_i32 s1, 27
	s_cbranch_scc0 .LBB95_598
; %bb.596:
	global_load_b32 v1, v[4:5], off
	s_mov_b32 s2, 0
	s_wait_loadcnt 0x0
	v_cvt_f64_u32_e32 v[6:7], v1
	s_branch .LBB95_599
.LBB95_597:
	s_mov_b32 s2, -1
                                        ; implicit-def: $vgpr6_vgpr7
	s_branch .LBB95_602
.LBB95_598:
	s_mov_b32 s2, -1
                                        ; implicit-def: $vgpr6_vgpr7
.LBB95_599:
	s_delay_alu instid0(SALU_CYCLE_1)
	s_and_not1_b32 vcc_lo, exec_lo, s2
	s_cbranch_vccnz .LBB95_601
; %bb.600:
	global_load_u16 v1, v[4:5], off
	s_wait_loadcnt 0x0
	v_cvt_f64_u32_e32 v[6:7], v1
.LBB95_601:
	s_mov_b32 s2, 0
.LBB95_602:
	s_delay_alu instid0(SALU_CYCLE_1)
	s_and_not1_b32 vcc_lo, exec_lo, s2
	s_cbranch_vccnz .LBB95_610
; %bb.603:
	global_load_u8 v1, v[4:5], off
	s_mov_b32 s2, 0
	s_mov_b32 s29, exec_lo
	s_wait_loadcnt 0x0
	v_cmpx_lt_i16_e32 0x7f, v1
	s_xor_b32 s29, exec_lo, s29
	s_cbranch_execz .LBB95_624
; %bb.604:
	s_mov_b32 s2, -1
	s_mov_b32 s30, exec_lo
	v_cmpx_eq_u16_e32 0x80, v1
; %bb.605:
	s_xor_b32 s2, exec_lo, -1
; %bb.606:
	s_or_b32 exec_lo, exec_lo, s30
	s_delay_alu instid0(SALU_CYCLE_1)
	s_and_b32 s2, s2, exec_lo
	s_or_saveexec_b32 s29, s29
	v_mov_b64_e32 v[6:7], 0x7ff8000020000000
	s_xor_b32 exec_lo, exec_lo, s29
	s_cbranch_execnz .LBB95_625
.LBB95_607:
	s_or_b32 exec_lo, exec_lo, s29
	s_and_saveexec_b32 s29, s2
	s_cbranch_execz .LBB95_609
.LBB95_608:
	v_and_b32_e32 v3, 0xffff, v1
	s_delay_alu instid0(VALU_DEP_1) | instskip(SKIP_1) | instid1(VALU_DEP_2)
	v_dual_lshlrev_b32 v1, 24, v1 :: v_dual_bitop2_b32 v6, 7, v3 bitop3:0x40
	v_bfe_u32 v9, v3, 3, 4
	v_and_b32_e32 v1, 0x80000000, v1
	s_delay_alu instid0(VALU_DEP_3) | instskip(NEXT) | instid1(VALU_DEP_3)
	v_clz_i32_u32_e32 v7, v6
	v_cmp_eq_u32_e32 vcc_lo, 0, v9
	s_delay_alu instid0(VALU_DEP_2) | instskip(NEXT) | instid1(VALU_DEP_1)
	v_min_u32_e32 v7, 32, v7
	v_subrev_nc_u32_e32 v8, 28, v7
	v_sub_nc_u32_e32 v7, 29, v7
	s_delay_alu instid0(VALU_DEP_2) | instskip(NEXT) | instid1(VALU_DEP_2)
	v_lshlrev_b32_e32 v3, v8, v3
	v_cndmask_b32_e32 v7, v9, v7, vcc_lo
	s_delay_alu instid0(VALU_DEP_2) | instskip(NEXT) | instid1(VALU_DEP_1)
	v_and_b32_e32 v3, 7, v3
	v_cndmask_b32_e32 v3, v6, v3, vcc_lo
	s_delay_alu instid0(VALU_DEP_3) | instskip(NEXT) | instid1(VALU_DEP_2)
	v_lshl_add_u32 v6, v7, 23, 0x3b800000
	v_lshlrev_b32_e32 v3, 20, v3
	s_delay_alu instid0(VALU_DEP_1) | instskip(NEXT) | instid1(VALU_DEP_1)
	v_or3_b32 v1, v1, v6, v3
	v_cvt_f64_f32_e32 v[6:7], v1
.LBB95_609:
	s_or_b32 exec_lo, exec_lo, s29
.LBB95_610:
	s_mov_b32 s2, -1
.LBB95_611:
	s_mov_b32 s29, 0
.LBB95_612:
	s_delay_alu instid0(SALU_CYCLE_1)
	s_and_b32 vcc_lo, exec_lo, s29
	s_cbranch_vccz .LBB95_647
; %bb.613:
	s_cmp_gt_i32 s1, 22
	s_cbranch_scc0 .LBB95_623
; %bb.614:
	s_cmp_lt_i32 s1, 24
	s_cbranch_scc1 .LBB95_626
; %bb.615:
	s_cmp_gt_i32 s1, 24
	s_cbranch_scc0 .LBB95_627
; %bb.616:
	global_load_u8 v1, v[4:5], off
	s_mov_b32 s2, 0
	s_mov_b32 s29, exec_lo
	s_wait_loadcnt 0x0
	v_cmpx_lt_i16_e32 0x7f, v1
	s_xor_b32 s29, exec_lo, s29
	s_cbranch_execz .LBB95_639
; %bb.617:
	s_mov_b32 s2, -1
	s_mov_b32 s30, exec_lo
	v_cmpx_eq_u16_e32 0x80, v1
; %bb.618:
	s_xor_b32 s2, exec_lo, -1
; %bb.619:
	s_or_b32 exec_lo, exec_lo, s30
	s_delay_alu instid0(SALU_CYCLE_1)
	s_and_b32 s2, s2, exec_lo
	s_or_saveexec_b32 s29, s29
	v_mov_b64_e32 v[6:7], 0x7ff8000020000000
	s_xor_b32 exec_lo, exec_lo, s29
	s_cbranch_execnz .LBB95_640
.LBB95_620:
	s_or_b32 exec_lo, exec_lo, s29
	s_and_saveexec_b32 s29, s2
	s_cbranch_execz .LBB95_622
.LBB95_621:
	v_and_b32_e32 v3, 0xffff, v1
	s_delay_alu instid0(VALU_DEP_1) | instskip(SKIP_1) | instid1(VALU_DEP_2)
	v_dual_lshlrev_b32 v1, 24, v1 :: v_dual_bitop2_b32 v6, 3, v3 bitop3:0x40
	v_bfe_u32 v9, v3, 2, 5
	v_and_b32_e32 v1, 0x80000000, v1
	s_delay_alu instid0(VALU_DEP_3) | instskip(NEXT) | instid1(VALU_DEP_3)
	v_clz_i32_u32_e32 v7, v6
	v_cmp_eq_u32_e32 vcc_lo, 0, v9
	s_delay_alu instid0(VALU_DEP_2) | instskip(NEXT) | instid1(VALU_DEP_1)
	v_min_u32_e32 v7, 32, v7
	v_subrev_nc_u32_e32 v8, 29, v7
	v_sub_nc_u32_e32 v7, 30, v7
	s_delay_alu instid0(VALU_DEP_2) | instskip(NEXT) | instid1(VALU_DEP_2)
	v_lshlrev_b32_e32 v3, v8, v3
	v_cndmask_b32_e32 v7, v9, v7, vcc_lo
	s_delay_alu instid0(VALU_DEP_2) | instskip(NEXT) | instid1(VALU_DEP_1)
	v_and_b32_e32 v3, 3, v3
	v_cndmask_b32_e32 v3, v6, v3, vcc_lo
	s_delay_alu instid0(VALU_DEP_3) | instskip(NEXT) | instid1(VALU_DEP_2)
	v_lshl_add_u32 v6, v7, 23, 0x37800000
	v_lshlrev_b32_e32 v3, 21, v3
	s_delay_alu instid0(VALU_DEP_1) | instskip(NEXT) | instid1(VALU_DEP_1)
	v_or3_b32 v1, v1, v6, v3
	v_cvt_f64_f32_e32 v[6:7], v1
.LBB95_622:
	s_or_b32 exec_lo, exec_lo, s29
	s_mov_b32 s2, 0
	s_branch .LBB95_628
.LBB95_623:
	s_mov_b32 s29, -1
                                        ; implicit-def: $vgpr6_vgpr7
	s_branch .LBB95_634
.LBB95_624:
	s_or_saveexec_b32 s29, s29
	v_mov_b64_e32 v[6:7], 0x7ff8000020000000
	s_xor_b32 exec_lo, exec_lo, s29
	s_cbranch_execz .LBB95_607
.LBB95_625:
	v_cmp_ne_u16_e32 vcc_lo, 0, v1
	v_mov_b64_e32 v[6:7], 0
	s_and_not1_b32 s2, s2, exec_lo
	s_and_b32 s30, vcc_lo, exec_lo
	s_delay_alu instid0(SALU_CYCLE_1)
	s_or_b32 s2, s2, s30
	s_or_b32 exec_lo, exec_lo, s29
	s_and_saveexec_b32 s29, s2
	s_cbranch_execnz .LBB95_608
	s_branch .LBB95_609
.LBB95_626:
	s_mov_b32 s2, -1
                                        ; implicit-def: $vgpr6_vgpr7
	s_branch .LBB95_631
.LBB95_627:
	s_mov_b32 s2, -1
                                        ; implicit-def: $vgpr6_vgpr7
.LBB95_628:
	s_delay_alu instid0(SALU_CYCLE_1)
	s_and_b32 vcc_lo, exec_lo, s2
	s_cbranch_vccz .LBB95_630
; %bb.629:
	global_load_u8 v1, v[4:5], off
	s_wait_loadcnt 0x0
	v_lshlrev_b32_e32 v1, 24, v1
	s_delay_alu instid0(VALU_DEP_1) | instskip(NEXT) | instid1(VALU_DEP_1)
	v_and_b32_e32 v3, 0x7f000000, v1
	v_clz_i32_u32_e32 v6, v3
	v_cmp_ne_u32_e32 vcc_lo, 0, v3
	v_add_nc_u32_e32 v8, 0x1000000, v3
	s_delay_alu instid0(VALU_DEP_3) | instskip(NEXT) | instid1(VALU_DEP_1)
	v_min_u32_e32 v6, 32, v6
	v_sub_nc_u32_e64 v6, v6, 4 clamp
	s_delay_alu instid0(VALU_DEP_1) | instskip(NEXT) | instid1(VALU_DEP_1)
	v_dual_lshlrev_b32 v7, v6, v3 :: v_dual_lshlrev_b32 v6, 23, v6
	v_lshrrev_b32_e32 v7, 4, v7
	s_delay_alu instid0(VALU_DEP_1) | instskip(NEXT) | instid1(VALU_DEP_1)
	v_dual_sub_nc_u32 v6, v7, v6 :: v_dual_ashrrev_i32 v7, 8, v8
	v_add_nc_u32_e32 v6, 0x3c000000, v6
	s_delay_alu instid0(VALU_DEP_1) | instskip(NEXT) | instid1(VALU_DEP_1)
	v_and_or_b32 v6, 0x7f800000, v7, v6
	v_cndmask_b32_e32 v3, 0, v6, vcc_lo
	s_delay_alu instid0(VALU_DEP_1) | instskip(NEXT) | instid1(VALU_DEP_1)
	v_and_or_b32 v1, 0x80000000, v1, v3
	v_cvt_f64_f32_e32 v[6:7], v1
.LBB95_630:
	s_mov_b32 s2, 0
.LBB95_631:
	s_delay_alu instid0(SALU_CYCLE_1)
	s_and_not1_b32 vcc_lo, exec_lo, s2
	s_cbranch_vccnz .LBB95_633
; %bb.632:
	global_load_u8 v1, v[4:5], off
	s_wait_loadcnt 0x0
	v_lshlrev_b32_e32 v3, 25, v1
	v_lshlrev_b16 v1, 8, v1
	s_delay_alu instid0(VALU_DEP_1) | instskip(SKIP_1) | instid1(VALU_DEP_2)
	v_and_or_b32 v7, 0x7f00, v1, 0.5
	v_bfe_i32 v1, v1, 0, 16
	v_add_f32_e32 v7, -0.5, v7
	v_lshrrev_b32_e32 v6, 4, v3
	v_cmp_gt_u32_e32 vcc_lo, 0x8000000, v3
	s_delay_alu instid0(VALU_DEP_2) | instskip(NEXT) | instid1(VALU_DEP_1)
	v_or_b32_e32 v6, 0x70000000, v6
	v_mul_f32_e32 v6, 0x7800000, v6
	s_delay_alu instid0(VALU_DEP_1) | instskip(NEXT) | instid1(VALU_DEP_1)
	v_cndmask_b32_e32 v3, v6, v7, vcc_lo
	v_and_or_b32 v1, 0x80000000, v1, v3
	s_delay_alu instid0(VALU_DEP_1)
	v_cvt_f64_f32_e32 v[6:7], v1
.LBB95_633:
	s_mov_b32 s29, 0
	s_mov_b32 s2, -1
.LBB95_634:
	s_and_not1_b32 vcc_lo, exec_lo, s29
	s_cbranch_vccnz .LBB95_647
; %bb.635:
	s_cmp_gt_i32 s1, 14
	s_cbranch_scc0 .LBB95_638
; %bb.636:
	s_cmp_eq_u32 s1, 15
	s_cbranch_scc0 .LBB95_641
; %bb.637:
	global_load_u16 v1, v[4:5], off
	s_mov_b32 s2, -1
	s_mov_b32 s28, 0
	s_wait_loadcnt 0x0
	v_lshlrev_b32_e32 v1, 16, v1
	s_delay_alu instid0(VALU_DEP_1)
	v_cvt_f64_f32_e32 v[6:7], v1
	s_branch .LBB95_642
.LBB95_638:
	s_mov_b32 s29, -1
                                        ; implicit-def: $vgpr6_vgpr7
	s_branch .LBB95_643
.LBB95_639:
	s_or_saveexec_b32 s29, s29
	v_mov_b64_e32 v[6:7], 0x7ff8000020000000
	s_xor_b32 exec_lo, exec_lo, s29
	s_cbranch_execz .LBB95_620
.LBB95_640:
	v_cmp_ne_u16_e32 vcc_lo, 0, v1
	v_mov_b64_e32 v[6:7], 0
	s_and_not1_b32 s2, s2, exec_lo
	s_and_b32 s30, vcc_lo, exec_lo
	s_delay_alu instid0(SALU_CYCLE_1)
	s_or_b32 s2, s2, s30
	s_or_b32 exec_lo, exec_lo, s29
	s_and_saveexec_b32 s29, s2
	s_cbranch_execnz .LBB95_621
	s_branch .LBB95_622
.LBB95_641:
	s_mov_b32 s28, -1
                                        ; implicit-def: $vgpr6_vgpr7
.LBB95_642:
	s_mov_b32 s29, 0
.LBB95_643:
	s_delay_alu instid0(SALU_CYCLE_1)
	s_and_b32 vcc_lo, exec_lo, s29
	s_cbranch_vccz .LBB95_647
; %bb.644:
	s_cmp_eq_u32 s1, 11
	s_cbranch_scc0 .LBB95_646
; %bb.645:
	global_load_u8 v1, v[4:5], off
	s_wait_loadcnt 0x1
	v_mov_b32_e32 v6, 0
	s_mov_b32 s28, 0
	s_mov_b32 s2, -1
	s_wait_loadcnt 0x0
	v_cmp_ne_u16_e32 vcc_lo, 0, v1
	v_cndmask_b32_e64 v7, 0, 0x3ff00000, vcc_lo
	s_branch .LBB95_647
.LBB95_646:
	s_mov_b32 s28, -1
                                        ; implicit-def: $vgpr6_vgpr7
.LBB95_647:
	s_mov_b32 s29, 0
.LBB95_648:
	s_delay_alu instid0(SALU_CYCLE_1)
	s_and_b32 vcc_lo, exec_lo, s29
	s_cbranch_vccz .LBB95_697
; %bb.649:
	s_cmp_lt_i32 s1, 5
	s_cbranch_scc1 .LBB95_654
; %bb.650:
	s_cmp_lt_i32 s1, 8
	s_cbranch_scc1 .LBB95_655
	;; [unrolled: 3-line block ×3, first 2 shown]
; %bb.652:
	s_cmp_gt_i32 s1, 9
	s_cbranch_scc0 .LBB95_657
; %bb.653:
	s_wait_loadcnt 0x0
	global_load_b64 v[6:7], v[4:5], off
	s_mov_b32 s2, 0
	s_branch .LBB95_658
.LBB95_654:
	s_mov_b32 s2, -1
                                        ; implicit-def: $vgpr6_vgpr7
	s_branch .LBB95_676
.LBB95_655:
	s_mov_b32 s2, -1
                                        ; implicit-def: $vgpr6_vgpr7
	s_branch .LBB95_664
.LBB95_656:
	s_mov_b32 s2, -1
                                        ; implicit-def: $vgpr6_vgpr7
	s_branch .LBB95_661
.LBB95_657:
	s_mov_b32 s2, -1
                                        ; implicit-def: $vgpr6_vgpr7
.LBB95_658:
	s_delay_alu instid0(SALU_CYCLE_1)
	s_and_not1_b32 vcc_lo, exec_lo, s2
	s_cbranch_vccnz .LBB95_660
; %bb.659:
	global_load_b32 v1, v[4:5], off
	s_wait_loadcnt 0x0
	v_cvt_f64_f32_e32 v[6:7], v1
.LBB95_660:
	s_mov_b32 s2, 0
.LBB95_661:
	s_delay_alu instid0(SALU_CYCLE_1)
	s_and_not1_b32 vcc_lo, exec_lo, s2
	s_cbranch_vccnz .LBB95_663
; %bb.662:
	global_load_b32 v1, v[4:5], off
	s_wait_loadcnt 0x0
	v_cvt_f32_f16_e32 v1, v1
	s_delay_alu instid0(VALU_DEP_1)
	v_cvt_f64_f32_e32 v[6:7], v1
.LBB95_663:
	s_mov_b32 s2, 0
.LBB95_664:
	s_delay_alu instid0(SALU_CYCLE_1)
	s_and_not1_b32 vcc_lo, exec_lo, s2
	s_cbranch_vccnz .LBB95_675
; %bb.665:
	s_cmp_lt_i32 s1, 6
	s_cbranch_scc1 .LBB95_668
; %bb.666:
	s_cmp_gt_i32 s1, 6
	s_cbranch_scc0 .LBB95_669
; %bb.667:
	s_wait_loadcnt 0x0
	global_load_b64 v[6:7], v[4:5], off
	s_mov_b32 s2, 0
	s_branch .LBB95_670
.LBB95_668:
	s_mov_b32 s2, -1
                                        ; implicit-def: $vgpr6_vgpr7
	s_branch .LBB95_673
.LBB95_669:
	s_mov_b32 s2, -1
                                        ; implicit-def: $vgpr6_vgpr7
.LBB95_670:
	s_delay_alu instid0(SALU_CYCLE_1)
	s_and_not1_b32 vcc_lo, exec_lo, s2
	s_cbranch_vccnz .LBB95_672
; %bb.671:
	global_load_b32 v1, v[4:5], off
	s_wait_loadcnt 0x0
	v_cvt_f64_f32_e32 v[6:7], v1
.LBB95_672:
	s_mov_b32 s2, 0
.LBB95_673:
	s_delay_alu instid0(SALU_CYCLE_1)
	s_and_not1_b32 vcc_lo, exec_lo, s2
	s_cbranch_vccnz .LBB95_675
; %bb.674:
	global_load_u16 v1, v[4:5], off
	s_wait_loadcnt 0x0
	v_cvt_f32_f16_e32 v1, v1
	s_delay_alu instid0(VALU_DEP_1)
	v_cvt_f64_f32_e32 v[6:7], v1
.LBB95_675:
	s_mov_b32 s2, 0
.LBB95_676:
	s_delay_alu instid0(SALU_CYCLE_1)
	s_and_not1_b32 vcc_lo, exec_lo, s2
	s_cbranch_vccnz .LBB95_696
; %bb.677:
	s_cmp_lt_i32 s1, 2
	s_cbranch_scc1 .LBB95_681
; %bb.678:
	s_cmp_lt_i32 s1, 3
	s_cbranch_scc1 .LBB95_682
; %bb.679:
	s_cmp_gt_i32 s1, 3
	s_cbranch_scc0 .LBB95_683
; %bb.680:
	s_wait_loadcnt 0x0
	global_load_b64 v[6:7], v[4:5], off
	s_mov_b32 s2, 0
	s_wait_loadcnt 0x0
	v_cvt_f64_i32_e32 v[8:9], v7
	v_cvt_f64_u32_e32 v[6:7], v6
	s_delay_alu instid0(VALU_DEP_2) | instskip(NEXT) | instid1(VALU_DEP_1)
	v_ldexp_f64 v[8:9], v[8:9], 32
	v_add_f64_e32 v[6:7], v[8:9], v[6:7]
	s_branch .LBB95_684
.LBB95_681:
	s_mov_b32 s2, -1
                                        ; implicit-def: $vgpr6_vgpr7
	s_branch .LBB95_690
.LBB95_682:
	s_mov_b32 s2, -1
                                        ; implicit-def: $vgpr6_vgpr7
	s_branch .LBB95_687
.LBB95_683:
	s_mov_b32 s2, -1
                                        ; implicit-def: $vgpr6_vgpr7
.LBB95_684:
	s_delay_alu instid0(SALU_CYCLE_1)
	s_and_not1_b32 vcc_lo, exec_lo, s2
	s_cbranch_vccnz .LBB95_686
; %bb.685:
	global_load_b32 v1, v[4:5], off
	s_wait_loadcnt 0x0
	v_cvt_f64_i32_e32 v[6:7], v1
.LBB95_686:
	s_mov_b32 s2, 0
.LBB95_687:
	s_delay_alu instid0(SALU_CYCLE_1)
	s_and_not1_b32 vcc_lo, exec_lo, s2
	s_cbranch_vccnz .LBB95_689
; %bb.688:
	global_load_i16 v1, v[4:5], off
	s_wait_loadcnt 0x0
	v_cvt_f64_i32_e32 v[6:7], v1
.LBB95_689:
	s_mov_b32 s2, 0
.LBB95_690:
	s_delay_alu instid0(SALU_CYCLE_1)
	s_and_not1_b32 vcc_lo, exec_lo, s2
	s_cbranch_vccnz .LBB95_696
; %bb.691:
	s_cmp_gt_i32 s1, 0
	s_mov_b32 s1, 0
	s_cbranch_scc0 .LBB95_693
; %bb.692:
	global_load_i8 v1, v[4:5], off
	s_wait_loadcnt 0x0
	v_cvt_f64_i32_e32 v[6:7], v1
	s_branch .LBB95_694
.LBB95_693:
	s_mov_b32 s1, -1
                                        ; implicit-def: $vgpr6_vgpr7
.LBB95_694:
	s_delay_alu instid0(SALU_CYCLE_1)
	s_and_not1_b32 vcc_lo, exec_lo, s1
	s_cbranch_vccnz .LBB95_696
; %bb.695:
	global_load_u8 v1, v[4:5], off
	s_wait_loadcnt 0x0
	v_cvt_f64_u32_e32 v[6:7], v1
.LBB95_696:
	s_mov_b32 s2, -1
.LBB95_697:
	s_delay_alu instid0(SALU_CYCLE_1)
	s_and_not1_b32 vcc_lo, exec_lo, s2
	s_cbranch_vccnz .LBB95_705
; %bb.698:
	s_wait_loadcnt 0x0
	s_delay_alu instid0(VALU_DEP_1) | instskip(SKIP_1) | instid1(SALU_CYCLE_1)
	v_cmp_eq_f64_e32 vcc_lo, s[16:17], v[6:7]
	s_and_b32 s29, s18, 0xff
	s_cmp_lt_i32 s29, 11
	v_cndmask_b32_e64 v1, 0, 1, vcc_lo
	v_cmp_neq_f64_e32 vcc_lo, s[16:17], v[6:7]
	v_cndmask_b32_e64 v3, 0, 1, vcc_lo
	s_delay_alu instid0(VALU_DEP_1) | instskip(NEXT) | instid1(VALU_DEP_1)
	v_dual_cndmask_b32 v1, v3, v1, s0 :: v_dual_mov_b32 v3, 0
	v_and_b32_e32 v1, 1, v1
	s_delay_alu instid0(VALU_DEP_2) | instskip(NEXT) | instid1(VALU_DEP_2)
	v_add_nc_u64_e32 v[2:3], s[4:5], v[2:3]
	v_cmp_eq_u32_e64 s1, 1, v1
	s_cbranch_scc1 .LBB95_706
; %bb.699:
	s_and_b32 s30, 0xffff, s29
	s_delay_alu instid0(SALU_CYCLE_1)
	s_cmp_gt_i32 s30, 25
	s_cbranch_scc0 .LBB95_707
; %bb.700:
	s_cmp_gt_i32 s30, 28
	s_cbranch_scc0 .LBB95_708
; %bb.701:
	;; [unrolled: 3-line block ×4, first 2 shown]
	s_mov_b32 s34, 0
	s_mov_b32 s2, -1
	s_cmp_eq_u32 s30, 46
	s_mov_b32 s31, 0
	s_cbranch_scc0 .LBB95_711
; %bb.704:
	v_cndmask_b32_e64 v1, 0, 1.0, s1
	s_mov_b32 s31, -1
	s_mov_b32 s2, 0
	s_wait_xcnt 0x0
	s_delay_alu instid0(VALU_DEP_1) | instskip(NEXT) | instid1(VALU_DEP_1)
	v_bfe_u32 v4, v1, 16, 1
	v_add3_u32 v1, v1, v4, 0x7fff
	s_delay_alu instid0(VALU_DEP_1)
	v_lshrrev_b32_e32 v1, 16, v1
	global_store_b32 v[2:3], v1, off
	s_branch .LBB95_711
.LBB95_705:
	s_mov_b32 s29, 0
	s_mov_b32 s2, s47
	s_branch .LBB95_822
.LBB95_706:
	s_mov_b32 s30, -1
	s_mov_b32 s31, 0
	s_mov_b32 s2, s47
	s_branch .LBB95_780
.LBB95_707:
	s_mov_b32 s34, -1
	s_mov_b32 s31, 0
	s_mov_b32 s2, s47
	s_branch .LBB95_738
.LBB95_708:
	s_mov_b32 s34, -1
	s_mov_b32 s31, 0
	s_mov_b32 s2, s47
	s_branch .LBB95_721
.LBB95_709:
	s_mov_b32 s34, -1
	s_mov_b32 s31, 0
	s_mov_b32 s2, s47
	s_branch .LBB95_717
.LBB95_710:
	s_mov_b32 s34, -1
	s_mov_b32 s31, 0
	s_mov_b32 s2, s47
.LBB95_711:
	s_and_b32 vcc_lo, exec_lo, s34
	s_cbranch_vccz .LBB95_716
; %bb.712:
	s_cmp_eq_u32 s30, 44
	s_mov_b32 s2, -1
	s_cbranch_scc0 .LBB95_716
; %bb.713:
	s_wait_xcnt 0x0
	v_cndmask_b32_e64 v5, 0, 1.0, s1
	s_mov_b32 s31, exec_lo
	s_delay_alu instid0(VALU_DEP_1) | instskip(NEXT) | instid1(VALU_DEP_1)
	v_dual_mov_b32 v4, 0xff :: v_dual_lshrrev_b32 v1, 23, v5
	v_cmpx_ne_u32_e32 0xff, v1
; %bb.714:
	v_and_b32_e32 v4, 0x400000, v5
	v_and_or_b32 v5, 0x3fffff, v5, v1
	s_delay_alu instid0(VALU_DEP_2) | instskip(NEXT) | instid1(VALU_DEP_2)
	v_cmp_ne_u32_e32 vcc_lo, 0, v4
	v_cmp_ne_u32_e64 s2, 0, v5
	s_and_b32 s2, vcc_lo, s2
	s_delay_alu instid0(SALU_CYCLE_1) | instskip(NEXT) | instid1(VALU_DEP_1)
	v_cndmask_b32_e64 v4, 0, 1, s2
	v_add_nc_u32_e32 v4, v1, v4
; %bb.715:
	s_or_b32 exec_lo, exec_lo, s31
	s_mov_b32 s31, -1
	s_mov_b32 s2, 0
	global_store_b8 v[2:3], v4, off
.LBB95_716:
	s_mov_b32 s34, 0
.LBB95_717:
	s_delay_alu instid0(SALU_CYCLE_1)
	s_and_b32 vcc_lo, exec_lo, s34
	s_cbranch_vccz .LBB95_720
; %bb.718:
	s_cmp_eq_u32 s30, 29
	s_mov_b32 s2, -1
	s_cbranch_scc0 .LBB95_720
; %bb.719:
	s_mov_b32 s2, 0
	s_wait_xcnt 0x0
	v_cndmask_b32_e64 v4, 0, 1, s1
	v_mov_b32_e32 v5, s2
	s_mov_b32 s31, -1
	s_mov_b32 s34, 0
	global_store_b64 v[2:3], v[4:5], off
	s_branch .LBB95_721
.LBB95_720:
	s_mov_b32 s34, 0
.LBB95_721:
	s_delay_alu instid0(SALU_CYCLE_1)
	s_and_b32 vcc_lo, exec_lo, s34
	s_cbranch_vccz .LBB95_737
; %bb.722:
	s_cmp_lt_i32 s30, 27
	s_mov_b32 s31, -1
	s_cbranch_scc1 .LBB95_728
; %bb.723:
	s_cmp_gt_i32 s30, 27
	s_cbranch_scc0 .LBB95_725
; %bb.724:
	s_wait_xcnt 0x0
	v_cndmask_b32_e64 v1, 0, 1, s1
	s_mov_b32 s31, 0
	global_store_b32 v[2:3], v1, off
.LBB95_725:
	s_and_not1_b32 vcc_lo, exec_lo, s31
	s_cbranch_vccnz .LBB95_727
; %bb.726:
	s_wait_xcnt 0x0
	v_cndmask_b32_e64 v1, 0, 1, s1
	global_store_b16 v[2:3], v1, off
.LBB95_727:
	s_mov_b32 s31, 0
.LBB95_728:
	s_delay_alu instid0(SALU_CYCLE_1)
	s_and_not1_b32 vcc_lo, exec_lo, s31
	s_cbranch_vccnz .LBB95_736
; %bb.729:
	s_wait_xcnt 0x0
	v_cndmask_b32_e64 v4, 0, 1.0, s1
	v_mov_b32_e32 v5, 0x80
	s_mov_b32 s31, exec_lo
	s_delay_alu instid0(VALU_DEP_2)
	v_cmpx_gt_u32_e32 0x43800000, v4
	s_cbranch_execz .LBB95_735
; %bb.730:
	s_mov_b32 s34, 0
	s_mov_b32 s35, exec_lo
                                        ; implicit-def: $vgpr1
	v_cmpx_lt_u32_e32 0x3bffffff, v4
	s_xor_b32 s35, exec_lo, s35
	s_cbranch_execz .LBB95_854
; %bb.731:
	v_bfe_u32 v1, v4, 20, 1
	s_mov_b32 s34, exec_lo
	s_delay_alu instid0(VALU_DEP_1) | instskip(NEXT) | instid1(VALU_DEP_1)
	v_add3_u32 v1, v4, v1, 0x487ffff
                                        ; implicit-def: $vgpr4
	v_lshrrev_b32_e32 v1, 20, v1
	s_and_not1_saveexec_b32 s35, s35
	s_cbranch_execnz .LBB95_855
.LBB95_732:
	s_or_b32 exec_lo, exec_lo, s35
	v_mov_b32_e32 v5, 0
	s_and_saveexec_b32 s35, s34
.LBB95_733:
	v_mov_b32_e32 v5, v1
.LBB95_734:
	s_or_b32 exec_lo, exec_lo, s35
.LBB95_735:
	s_delay_alu instid0(SALU_CYCLE_1)
	s_or_b32 exec_lo, exec_lo, s31
	global_store_b8 v[2:3], v5, off
.LBB95_736:
	s_mov_b32 s31, -1
.LBB95_737:
	s_mov_b32 s34, 0
.LBB95_738:
	s_delay_alu instid0(SALU_CYCLE_1)
	s_and_b32 vcc_lo, exec_lo, s34
	s_cbranch_vccz .LBB95_779
; %bb.739:
	s_cmp_gt_i32 s30, 22
	s_mov_b32 s34, -1
	s_cbranch_scc0 .LBB95_771
; %bb.740:
	s_cmp_lt_i32 s30, 24
	s_mov_b32 s31, -1
	s_cbranch_scc1 .LBB95_760
; %bb.741:
	s_cmp_gt_i32 s30, 24
	s_cbranch_scc0 .LBB95_749
; %bb.742:
	s_wait_xcnt 0x0
	v_cndmask_b32_e64 v4, 0, 1.0, s1
	v_mov_b32_e32 v5, 0x80
	s_mov_b32 s31, exec_lo
	s_delay_alu instid0(VALU_DEP_2)
	v_cmpx_gt_u32_e32 0x47800000, v4
	s_cbranch_execz .LBB95_748
; %bb.743:
	s_mov_b32 s34, 0
	s_mov_b32 s35, exec_lo
                                        ; implicit-def: $vgpr1
	v_cmpx_lt_u32_e32 0x37ffffff, v4
	s_xor_b32 s35, exec_lo, s35
	s_cbranch_execz .LBB95_857
; %bb.744:
	v_bfe_u32 v1, v4, 21, 1
	s_mov_b32 s34, exec_lo
	s_delay_alu instid0(VALU_DEP_1) | instskip(NEXT) | instid1(VALU_DEP_1)
	v_add3_u32 v1, v4, v1, 0x88fffff
                                        ; implicit-def: $vgpr4
	v_lshrrev_b32_e32 v1, 21, v1
	s_and_not1_saveexec_b32 s35, s35
	s_cbranch_execnz .LBB95_858
.LBB95_745:
	s_or_b32 exec_lo, exec_lo, s35
	v_mov_b32_e32 v5, 0
	s_and_saveexec_b32 s35, s34
.LBB95_746:
	v_mov_b32_e32 v5, v1
.LBB95_747:
	s_or_b32 exec_lo, exec_lo, s35
.LBB95_748:
	s_delay_alu instid0(SALU_CYCLE_1)
	s_or_b32 exec_lo, exec_lo, s31
	s_mov_b32 s31, 0
	global_store_b8 v[2:3], v5, off
.LBB95_749:
	s_and_b32 vcc_lo, exec_lo, s31
	s_cbranch_vccz .LBB95_759
; %bb.750:
	s_wait_xcnt 0x0
	v_cndmask_b32_e64 v4, 0, 1.0, s1
	s_mov_b32 s31, exec_lo
                                        ; implicit-def: $vgpr1
	s_delay_alu instid0(VALU_DEP_1)
	v_cmpx_gt_u32_e32 0x43f00000, v4
	s_xor_b32 s31, exec_lo, s31
	s_cbranch_execz .LBB95_756
; %bb.751:
	s_mov_b32 s34, exec_lo
                                        ; implicit-def: $vgpr1
	v_cmpx_lt_u32_e32 0x3c7fffff, v4
	s_xor_b32 s34, exec_lo, s34
; %bb.752:
	v_bfe_u32 v1, v4, 20, 1
	s_delay_alu instid0(VALU_DEP_1) | instskip(NEXT) | instid1(VALU_DEP_1)
	v_add3_u32 v1, v4, v1, 0x407ffff
	v_and_b32_e32 v4, 0xff00000, v1
	v_lshrrev_b32_e32 v1, 20, v1
	s_delay_alu instid0(VALU_DEP_2) | instskip(NEXT) | instid1(VALU_DEP_2)
	v_cmp_ne_u32_e32 vcc_lo, 0x7f00000, v4
                                        ; implicit-def: $vgpr4
	v_cndmask_b32_e32 v1, 0x7e, v1, vcc_lo
; %bb.753:
	s_and_not1_saveexec_b32 s34, s34
; %bb.754:
	v_add_f32_e32 v1, 0x46800000, v4
; %bb.755:
	s_or_b32 exec_lo, exec_lo, s34
                                        ; implicit-def: $vgpr4
.LBB95_756:
	s_and_not1_saveexec_b32 s31, s31
; %bb.757:
	v_mov_b32_e32 v1, 0x7f
	v_cmp_lt_u32_e32 vcc_lo, 0x7f800000, v4
	s_delay_alu instid0(VALU_DEP_2)
	v_cndmask_b32_e32 v1, 0x7e, v1, vcc_lo
; %bb.758:
	s_or_b32 exec_lo, exec_lo, s31
	global_store_b8 v[2:3], v1, off
.LBB95_759:
	s_mov_b32 s31, 0
.LBB95_760:
	s_delay_alu instid0(SALU_CYCLE_1)
	s_and_not1_b32 vcc_lo, exec_lo, s31
	s_cbranch_vccnz .LBB95_770
; %bb.761:
	s_wait_xcnt 0x0
	v_cndmask_b32_e64 v4, 0, 1.0, s1
	s_mov_b32 s31, exec_lo
                                        ; implicit-def: $vgpr1
	s_delay_alu instid0(VALU_DEP_1)
	v_cmpx_gt_u32_e32 0x47800000, v4
	s_xor_b32 s31, exec_lo, s31
	s_cbranch_execz .LBB95_767
; %bb.762:
	s_mov_b32 s34, exec_lo
                                        ; implicit-def: $vgpr1
	v_cmpx_lt_u32_e32 0x387fffff, v4
	s_xor_b32 s34, exec_lo, s34
; %bb.763:
	v_bfe_u32 v1, v4, 21, 1
	s_delay_alu instid0(VALU_DEP_1) | instskip(NEXT) | instid1(VALU_DEP_1)
	v_add3_u32 v1, v4, v1, 0x80fffff
                                        ; implicit-def: $vgpr4
	v_lshrrev_b32_e32 v1, 21, v1
; %bb.764:
	s_and_not1_saveexec_b32 s34, s34
; %bb.765:
	v_add_f32_e32 v1, 0x43000000, v4
; %bb.766:
	s_or_b32 exec_lo, exec_lo, s34
                                        ; implicit-def: $vgpr4
.LBB95_767:
	s_and_not1_saveexec_b32 s31, s31
; %bb.768:
	v_mov_b32_e32 v1, 0x7f
	v_cmp_lt_u32_e32 vcc_lo, 0x7f800000, v4
	s_delay_alu instid0(VALU_DEP_2)
	v_cndmask_b32_e32 v1, 0x7c, v1, vcc_lo
; %bb.769:
	s_or_b32 exec_lo, exec_lo, s31
	global_store_b8 v[2:3], v1, off
.LBB95_770:
	s_mov_b32 s34, 0
	s_mov_b32 s31, -1
.LBB95_771:
	s_and_not1_b32 vcc_lo, exec_lo, s34
	s_cbranch_vccnz .LBB95_779
; %bb.772:
	s_cmp_gt_i32 s30, 14
	s_mov_b32 s34, -1
	s_cbranch_scc0 .LBB95_776
; %bb.773:
	s_cmp_eq_u32 s30, 15
	s_mov_b32 s2, -1
	s_cbranch_scc0 .LBB95_775
; %bb.774:
	s_wait_xcnt 0x0
	v_cndmask_b32_e64 v1, 0, 1.0, s1
	s_mov_b32 s31, -1
	s_mov_b32 s2, 0
	s_delay_alu instid0(VALU_DEP_1) | instskip(NEXT) | instid1(VALU_DEP_1)
	v_bfe_u32 v4, v1, 16, 1
	v_add3_u32 v1, v1, v4, 0x7fff
	global_store_d16_hi_b16 v[2:3], v1, off
.LBB95_775:
	s_mov_b32 s34, 0
.LBB95_776:
	s_delay_alu instid0(SALU_CYCLE_1)
	s_and_b32 vcc_lo, exec_lo, s34
	s_cbranch_vccz .LBB95_779
; %bb.777:
	s_cmp_eq_u32 s30, 11
	s_mov_b32 s2, -1
	s_cbranch_scc0 .LBB95_779
; %bb.778:
	s_wait_xcnt 0x0
	v_cndmask_b32_e64 v1, 0, 1, s1
	s_mov_b32 s31, -1
	s_mov_b32 s2, 0
	global_store_b8 v[2:3], v1, off
.LBB95_779:
	s_mov_b32 s30, 0
.LBB95_780:
	s_delay_alu instid0(SALU_CYCLE_1)
	s_and_b32 vcc_lo, exec_lo, s30
	s_cbranch_vccz .LBB95_819
; %bb.781:
	s_and_b32 s29, 0xffff, s29
	s_mov_b32 s30, -1
	s_cmp_lt_i32 s29, 5
	s_cbranch_scc1 .LBB95_802
; %bb.782:
	s_cmp_lt_i32 s29, 8
	s_cbranch_scc1 .LBB95_792
; %bb.783:
	;; [unrolled: 3-line block ×3, first 2 shown]
	s_cmp_gt_i32 s29, 9
	s_cbranch_scc0 .LBB95_786
; %bb.785:
	s_wait_xcnt 0x0
	v_cndmask_b32_e64 v1, 0, 1, s1
	v_mov_b32_e32 v6, 0
	s_mov_b32 s30, 0
	s_delay_alu instid0(VALU_DEP_2) | instskip(NEXT) | instid1(VALU_DEP_2)
	v_cvt_f64_u32_e32 v[4:5], v1
	v_mov_b32_e32 v7, v6
	global_store_b128 v[2:3], v[4:7], off
.LBB95_786:
	s_and_not1_b32 vcc_lo, exec_lo, s30
	s_cbranch_vccnz .LBB95_788
; %bb.787:
	s_wait_xcnt 0x0
	v_cndmask_b32_e64 v4, 0, 1.0, s1
	v_mov_b32_e32 v5, 0
	global_store_b64 v[2:3], v[4:5], off
.LBB95_788:
	s_mov_b32 s30, 0
.LBB95_789:
	s_delay_alu instid0(SALU_CYCLE_1)
	s_and_not1_b32 vcc_lo, exec_lo, s30
	s_cbranch_vccnz .LBB95_791
; %bb.790:
	s_wait_xcnt 0x0
	v_cndmask_b32_e64 v1, 0, 1.0, s1
	s_delay_alu instid0(VALU_DEP_1) | instskip(NEXT) | instid1(VALU_DEP_1)
	v_cvt_f16_f32_e32 v1, v1
	v_and_b32_e32 v1, 0xffff, v1
	global_store_b32 v[2:3], v1, off
.LBB95_791:
	s_mov_b32 s30, 0
.LBB95_792:
	s_delay_alu instid0(SALU_CYCLE_1)
	s_and_not1_b32 vcc_lo, exec_lo, s30
	s_cbranch_vccnz .LBB95_801
; %bb.793:
	s_cmp_lt_i32 s29, 6
	s_mov_b32 s30, -1
	s_cbranch_scc1 .LBB95_799
; %bb.794:
	s_cmp_gt_i32 s29, 6
	s_cbranch_scc0 .LBB95_796
; %bb.795:
	s_wait_xcnt 0x0
	v_cndmask_b32_e64 v1, 0, 1, s1
	s_mov_b32 s30, 0
	s_delay_alu instid0(VALU_DEP_1)
	v_cvt_f64_u32_e32 v[4:5], v1
	global_store_b64 v[2:3], v[4:5], off
.LBB95_796:
	s_and_not1_b32 vcc_lo, exec_lo, s30
	s_cbranch_vccnz .LBB95_798
; %bb.797:
	s_wait_xcnt 0x0
	v_cndmask_b32_e64 v1, 0, 1.0, s1
	global_store_b32 v[2:3], v1, off
.LBB95_798:
	s_mov_b32 s30, 0
.LBB95_799:
	s_delay_alu instid0(SALU_CYCLE_1)
	s_and_not1_b32 vcc_lo, exec_lo, s30
	s_cbranch_vccnz .LBB95_801
; %bb.800:
	s_wait_xcnt 0x0
	v_cndmask_b32_e64 v1, 0, 1.0, s1
	s_delay_alu instid0(VALU_DEP_1)
	v_cvt_f16_f32_e32 v1, v1
	global_store_b16 v[2:3], v1, off
.LBB95_801:
	s_mov_b32 s30, 0
.LBB95_802:
	s_delay_alu instid0(SALU_CYCLE_1)
	s_and_not1_b32 vcc_lo, exec_lo, s30
	s_cbranch_vccnz .LBB95_818
; %bb.803:
	s_cmp_lt_i32 s29, 2
	s_mov_b32 s30, -1
	s_cbranch_scc1 .LBB95_813
; %bb.804:
	s_cmp_lt_i32 s29, 3
	s_cbranch_scc1 .LBB95_810
; %bb.805:
	s_cmp_gt_i32 s29, 3
	s_cbranch_scc0 .LBB95_807
; %bb.806:
	s_mov_b32 s30, 0
	s_wait_xcnt 0x0
	v_cndmask_b32_e64 v4, 0, 1, s1
	v_mov_b32_e32 v5, s30
	global_store_b64 v[2:3], v[4:5], off
.LBB95_807:
	s_and_not1_b32 vcc_lo, exec_lo, s30
	s_cbranch_vccnz .LBB95_809
; %bb.808:
	s_wait_xcnt 0x0
	v_cndmask_b32_e64 v1, 0, 1, s1
	global_store_b32 v[2:3], v1, off
.LBB95_809:
	s_mov_b32 s30, 0
.LBB95_810:
	s_delay_alu instid0(SALU_CYCLE_1)
	s_and_not1_b32 vcc_lo, exec_lo, s30
	s_cbranch_vccnz .LBB95_812
; %bb.811:
	s_wait_xcnt 0x0
	v_cndmask_b32_e64 v1, 0, 1, s1
	global_store_b16 v[2:3], v1, off
.LBB95_812:
	s_mov_b32 s30, 0
.LBB95_813:
	s_delay_alu instid0(SALU_CYCLE_1)
	s_and_not1_b32 vcc_lo, exec_lo, s30
	s_cbranch_vccnz .LBB95_818
; %bb.814:
	s_wait_xcnt 0x0
	v_cndmask_b32_e64 v1, 0, 1, s1
	s_cmp_gt_i32 s29, 0
	s_mov_b32 s1, -1
	s_cbranch_scc0 .LBB95_816
; %bb.815:
	s_mov_b32 s1, 0
	global_store_b8 v[2:3], v1, off
.LBB95_816:
	s_and_not1_b32 vcc_lo, exec_lo, s1
	s_cbranch_vccnz .LBB95_818
; %bb.817:
	global_store_b8 v[2:3], v1, off
.LBB95_818:
	s_mov_b32 s31, -1
.LBB95_819:
	s_delay_alu instid0(SALU_CYCLE_1)
	s_and_not1_b32 vcc_lo, exec_lo, s31
	s_cbranch_vccnz .LBB95_821
; %bb.820:
	v_add_nc_u32_e32 v0, 0x80, v0
	s_mov_b32 s29, -1
	s_branch .LBB95_823
.LBB95_821:
	s_mov_b32 s29, 0
.LBB95_822:
                                        ; implicit-def: $vgpr0
.LBB95_823:
	s_and_not1_b32 s1, s47, exec_lo
	s_and_b32 s2, s2, exec_lo
	s_and_not1_b32 s30, s46, exec_lo
	s_and_b32 s28, s28, exec_lo
	s_or_b32 s2, s1, s2
	s_or_b32 s1, s30, s28
	s_or_not1_b32 s31, s29, exec_lo
.LBB95_824:
	s_wait_xcnt 0x0
	s_or_b32 exec_lo, exec_lo, s49
	s_mov_b32 s28, 0
	s_mov_b32 s30, 0
	;; [unrolled: 1-line block ×3, first 2 shown]
                                        ; implicit-def: $vgpr4_vgpr5
                                        ; implicit-def: $vgpr2
                                        ; implicit-def: $vgpr6_vgpr7
	s_and_saveexec_b32 s34, s31
	s_cbranch_execz .LBB95_926
; %bb.825:
	s_mov_b32 s31, s1
	s_mov_b32 s35, exec_lo
                                        ; implicit-def: $vgpr4_vgpr5
                                        ; implicit-def: $vgpr2
                                        ; implicit-def: $vgpr6_vgpr7
	v_cmpx_gt_i32_e64 s40, v0
	s_cbranch_execz .LBB95_925
; %bb.826:
	s_and_not1_b32 vcc_lo, exec_lo, s37
	s_cbranch_vccnz .LBB95_832
; %bb.827:
	s_and_not1_b32 vcc_lo, exec_lo, s42
	s_cbranch_vccnz .LBB95_833
; %bb.828:
	s_add_co_i32 s41, s41, 1
	s_cmp_eq_u32 s33, 2
	s_cbranch_scc1 .LBB95_834
; %bb.829:
	v_dual_mov_b32 v2, 0 :: v_dual_mov_b32 v4, 0
	v_mov_b32_e32 v1, v0
	s_and_b32 s28, s41, 28
	s_mov_b64 s[30:31], s[20:21]
.LBB95_830:                             ; =>This Inner Loop Header: Depth=1
	s_clause 0x1
	s_load_b256 s[52:59], s[30:31], 0x4
	s_load_b128 s[68:71], s[30:31], 0x24
	s_load_b256 s[60:67], s[26:27], 0x0
	s_add_co_i32 s29, s29, 4
	s_wait_xcnt 0x0
	s_add_nc_u64 s[30:31], s[30:31], 48
	s_cmp_eq_u32 s28, s29
	s_add_nc_u64 s[26:27], s[26:27], 32
	s_wait_kmcnt 0x0
	v_mul_hi_u32 v3, s53, v1
	s_delay_alu instid0(VALU_DEP_1) | instskip(NEXT) | instid1(VALU_DEP_1)
	v_add_nc_u32_e32 v3, v1, v3
	v_lshrrev_b32_e32 v3, s54, v3
	s_delay_alu instid0(VALU_DEP_1) | instskip(NEXT) | instid1(VALU_DEP_1)
	v_mul_hi_u32 v5, s56, v3
	v_add_nc_u32_e32 v5, v3, v5
	s_delay_alu instid0(VALU_DEP_1) | instskip(SKIP_1) | instid1(VALU_DEP_1)
	v_lshrrev_b32_e32 v5, s57, v5
	s_wait_loadcnt 0x0
	v_mul_hi_u32 v6, s59, v5
	s_delay_alu instid0(VALU_DEP_1) | instskip(SKIP_1) | instid1(VALU_DEP_1)
	v_add_nc_u32_e32 v6, v5, v6
	v_mul_lo_u32 v7, v3, s52
	v_sub_nc_u32_e32 v1, v1, v7
	v_mul_lo_u32 v7, v5, s55
	s_delay_alu instid0(VALU_DEP_4) | instskip(NEXT) | instid1(VALU_DEP_3)
	v_lshrrev_b32_e32 v6, s68, v6
	v_mad_u32 v4, v1, s61, v4
	v_mad_u32 v1, v1, s60, v2
	s_delay_alu instid0(VALU_DEP_4) | instskip(NEXT) | instid1(VALU_DEP_4)
	v_sub_nc_u32_e32 v2, v3, v7
	v_mul_hi_u32 v8, s70, v6
	v_mul_lo_u32 v3, v6, s58
	s_delay_alu instid0(VALU_DEP_3) | instskip(SKIP_1) | instid1(VALU_DEP_3)
	v_mad_u32 v4, v2, s63, v4
	v_mad_u32 v2, v2, s62, v1
	v_dual_add_nc_u32 v7, v6, v8 :: v_dual_sub_nc_u32 v3, v5, v3
	s_delay_alu instid0(VALU_DEP_1) | instskip(NEXT) | instid1(VALU_DEP_2)
	v_lshrrev_b32_e32 v1, s71, v7
	v_mad_u32 v4, v3, s65, v4
	s_delay_alu instid0(VALU_DEP_4) | instskip(NEXT) | instid1(VALU_DEP_3)
	v_mad_u32 v2, v3, s64, v2
	v_mul_lo_u32 v5, v1, s69
	s_delay_alu instid0(VALU_DEP_1) | instskip(NEXT) | instid1(VALU_DEP_1)
	v_sub_nc_u32_e32 v3, v6, v5
	v_mad_u32 v4, v3, s67, v4
	s_delay_alu instid0(VALU_DEP_4)
	v_mad_u32 v2, v3, s66, v2
	s_cbranch_scc0 .LBB95_830
; %bb.831:
	s_delay_alu instid0(VALU_DEP_2)
	v_mov_b32_e32 v3, v4
	s_branch .LBB95_835
.LBB95_832:
	s_mov_b32 s26, -1
                                        ; implicit-def: $vgpr4
                                        ; implicit-def: $vgpr2
	s_branch .LBB95_840
.LBB95_833:
	v_dual_mov_b32 v4, 0 :: v_dual_mov_b32 v2, 0
	s_branch .LBB95_839
.LBB95_834:
	v_mov_b64_e32 v[2:3], 0
	v_mov_b32_e32 v1, v0
                                        ; implicit-def: $vgpr4
.LBB95_835:
	s_and_b32 s30, s41, 3
	s_mov_b32 s29, 0
	s_cmp_eq_u32 s30, 0
	s_cbranch_scc1 .LBB95_839
; %bb.836:
	s_lshl_b32 s26, s28, 3
	s_mov_b32 s27, s29
	s_mul_u64 s[28:29], s[28:29], 12
	s_add_nc_u64 s[26:27], s[20:21], s[26:27]
	s_add_nc_u64 s[28:29], s[20:21], s[28:29]
	;; [unrolled: 1-line block ×3, first 2 shown]
.LBB95_837:                             ; =>This Inner Loop Header: Depth=1
	s_load_b96 s[40:42], s[28:29], 0x4
	s_load_b64 s[50:51], s[26:27], 0x0
	s_add_co_i32 s30, s30, -1
	s_wait_xcnt 0x0
	s_add_nc_u64 s[28:29], s[28:29], 12
	s_cmp_lg_u32 s30, 0
	s_add_nc_u64 s[26:27], s[26:27], 8
	s_wait_kmcnt 0x0
	v_mul_hi_u32 v4, s41, v1
	s_delay_alu instid0(VALU_DEP_1) | instskip(NEXT) | instid1(VALU_DEP_1)
	v_add_nc_u32_e32 v4, v1, v4
	v_lshrrev_b32_e32 v4, s42, v4
	s_delay_alu instid0(VALU_DEP_1) | instskip(NEXT) | instid1(VALU_DEP_1)
	v_mul_lo_u32 v5, v4, s40
	v_sub_nc_u32_e32 v1, v1, v5
	s_delay_alu instid0(VALU_DEP_1)
	v_mad_u32 v3, v1, s51, v3
	v_mad_u32 v2, v1, s50, v2
	v_mov_b32_e32 v1, v4
	s_cbranch_scc1 .LBB95_837
; %bb.838:
	s_delay_alu instid0(VALU_DEP_3)
	v_mov_b32_e32 v4, v3
.LBB95_839:
	s_mov_b32 s26, 0
.LBB95_840:
	s_delay_alu instid0(SALU_CYCLE_1)
	s_and_not1_b32 vcc_lo, exec_lo, s26
	s_cbranch_vccnz .LBB95_843
; %bb.841:
	v_mov_b32_e32 v1, 0
	s_and_not1_b32 vcc_lo, exec_lo, s39
	s_delay_alu instid0(VALU_DEP_1) | instskip(NEXT) | instid1(VALU_DEP_1)
	v_mul_u64_e32 v[2:3], s[22:23], v[0:1]
	v_add_nc_u32_e32 v2, v0, v3
	s_wait_loadcnt 0x0
	s_delay_alu instid0(VALU_DEP_1) | instskip(NEXT) | instid1(VALU_DEP_1)
	v_lshrrev_b32_e32 v6, s10, v2
	v_mul_lo_u32 v2, v6, s8
	s_delay_alu instid0(VALU_DEP_1) | instskip(NEXT) | instid1(VALU_DEP_1)
	v_sub_nc_u32_e32 v0, v0, v2
	v_mul_lo_u32 v4, v0, s13
	v_mul_lo_u32 v2, v0, s12
	s_cbranch_vccnz .LBB95_843
; %bb.842:
	v_mov_b32_e32 v7, v1
	s_delay_alu instid0(VALU_DEP_1) | instskip(NEXT) | instid1(VALU_DEP_1)
	v_mul_u64_e32 v[0:1], s[24:25], v[6:7]
	v_add_nc_u32_e32 v0, v6, v1
	s_delay_alu instid0(VALU_DEP_1) | instskip(NEXT) | instid1(VALU_DEP_1)
	v_lshrrev_b32_e32 v0, s3, v0
	v_mul_lo_u32 v0, v0, s11
	s_delay_alu instid0(VALU_DEP_1) | instskip(NEXT) | instid1(VALU_DEP_1)
	v_sub_nc_u32_e32 v0, v6, v0
	v_mad_u32 v2, v0, s14, v2
	v_mad_u32 v4, v0, s15, v4
.LBB95_843:
	v_mov_b32_e32 v5, 0
	s_and_b32 s3, 0xffff, s9
	s_delay_alu instid0(SALU_CYCLE_1) | instskip(NEXT) | instid1(VALU_DEP_1)
	s_cmp_lt_i32 s3, 11
	v_add_nc_u64_e32 v[4:5], s[6:7], v[4:5]
	s_cbranch_scc1 .LBB95_850
; %bb.844:
	s_cmp_gt_i32 s3, 25
	s_mov_b32 s7, 0
	s_cbranch_scc0 .LBB95_851
; %bb.845:
	s_cmp_gt_i32 s3, 28
	s_cbranch_scc0 .LBB95_852
; %bb.846:
	s_cmp_gt_i32 s3, 43
	;; [unrolled: 3-line block ×3, first 2 shown]
	s_cbranch_scc0 .LBB95_856
; %bb.848:
	s_cmp_eq_u32 s3, 46
	s_mov_b32 s10, 0
	s_cbranch_scc0 .LBB95_859
; %bb.849:
	global_load_b32 v0, v[4:5], off
	s_mov_b32 s6, 0
	s_mov_b32 s8, -1
	s_wait_loadcnt 0x0
	v_lshlrev_b32_e32 v0, 16, v0
	s_delay_alu instid0(VALU_DEP_1)
	v_cvt_f64_f32_e32 v[6:7], v0
	s_branch .LBB95_861
.LBB95_850:
	s_mov_b32 s3, -1
	s_mov_b32 s8, 0
	s_mov_b32 s7, 0
	;; [unrolled: 1-line block ×3, first 2 shown]
                                        ; implicit-def: $vgpr6_vgpr7
	s_branch .LBB95_924
.LBB95_851:
	s_mov_b32 s10, -1
	s_mov_b32 s8, 0
	s_mov_b32 s6, s1
                                        ; implicit-def: $vgpr6_vgpr7
	s_branch .LBB95_890
.LBB95_852:
	s_mov_b32 s10, -1
	s_mov_b32 s8, 0
	s_mov_b32 s6, s1
                                        ; implicit-def: $vgpr6_vgpr7
	s_branch .LBB95_871
.LBB95_853:
	s_mov_b32 s10, -1
	s_mov_b32 s8, 0
	s_mov_b32 s6, s1
                                        ; implicit-def: $vgpr6_vgpr7
	s_branch .LBB95_866
.LBB95_854:
	s_and_not1_saveexec_b32 s35, s35
	s_cbranch_execz .LBB95_732
.LBB95_855:
	v_add_f32_e32 v1, 0x46000000, v4
	s_and_not1_b32 s34, s34, exec_lo
	s_delay_alu instid0(VALU_DEP_1) | instskip(NEXT) | instid1(VALU_DEP_1)
	v_and_b32_e32 v1, 0xff, v1
	v_cmp_ne_u32_e32 vcc_lo, 0, v1
	s_and_b32 s50, vcc_lo, exec_lo
	s_delay_alu instid0(SALU_CYCLE_1)
	s_or_b32 s34, s34, s50
	s_or_b32 exec_lo, exec_lo, s35
	v_mov_b32_e32 v5, 0
	s_and_saveexec_b32 s35, s34
	s_cbranch_execnz .LBB95_733
	s_branch .LBB95_734
.LBB95_856:
	s_mov_b32 s10, -1
	s_mov_b32 s8, 0
	s_mov_b32 s6, s1
	s_branch .LBB95_860
.LBB95_857:
	s_and_not1_saveexec_b32 s35, s35
	s_cbranch_execz .LBB95_745
.LBB95_858:
	v_add_f32_e32 v1, 0x42800000, v4
	s_and_not1_b32 s34, s34, exec_lo
	s_delay_alu instid0(VALU_DEP_1) | instskip(NEXT) | instid1(VALU_DEP_1)
	v_and_b32_e32 v1, 0xff, v1
	v_cmp_ne_u32_e32 vcc_lo, 0, v1
	s_and_b32 s50, vcc_lo, exec_lo
	s_delay_alu instid0(SALU_CYCLE_1)
	s_or_b32 s34, s34, s50
	s_or_b32 exec_lo, exec_lo, s35
	v_mov_b32_e32 v5, 0
	s_and_saveexec_b32 s35, s34
	s_cbranch_execnz .LBB95_746
	s_branch .LBB95_747
.LBB95_859:
	s_mov_b32 s6, -1
	s_mov_b32 s8, 0
.LBB95_860:
                                        ; implicit-def: $vgpr6_vgpr7
.LBB95_861:
	s_and_b32 vcc_lo, exec_lo, s10
	s_cbranch_vccz .LBB95_865
; %bb.862:
	s_cmp_eq_u32 s3, 44
	s_cbranch_scc0 .LBB95_864
; %bb.863:
	global_load_u8 v3, v[4:5], off
	s_mov_b32 s6, 0
	s_mov_b32 s8, -1
	s_wait_loadcnt 0x0
	v_cmp_ne_u32_e32 vcc_lo, 0xff, v3
	v_lshlrev_b32_e32 v0, 23, v3
	s_delay_alu instid0(VALU_DEP_1) | instskip(NEXT) | instid1(VALU_DEP_1)
	v_cvt_f64_f32_e32 v[0:1], v0
	v_cndmask_b32_e32 v0, 0x20000000, v0, vcc_lo
	s_delay_alu instid0(VALU_DEP_2) | instskip(SKIP_1) | instid1(VALU_DEP_2)
	v_cndmask_b32_e32 v1, 0x7ff80000, v1, vcc_lo
	v_cmp_ne_u32_e32 vcc_lo, 0, v3
	v_cndmask_b32_e32 v7, 0x38000000, v1, vcc_lo
	s_delay_alu instid0(VALU_DEP_4)
	v_cndmask_b32_e32 v6, 0, v0, vcc_lo
	s_branch .LBB95_865
.LBB95_864:
	s_mov_b32 s6, -1
                                        ; implicit-def: $vgpr6_vgpr7
.LBB95_865:
	s_mov_b32 s10, 0
.LBB95_866:
	s_delay_alu instid0(SALU_CYCLE_1)
	s_and_b32 vcc_lo, exec_lo, s10
	s_cbranch_vccz .LBB95_870
; %bb.867:
	s_cmp_eq_u32 s3, 29
	s_cbranch_scc0 .LBB95_869
; %bb.868:
	global_load_b64 v[0:1], v[4:5], off
	s_mov_b32 s6, 0
	s_mov_b32 s8, -1
	s_mov_b32 s10, 0
	s_wait_loadcnt 0x0
	v_cvt_f64_u32_e32 v[6:7], v1
	v_cvt_f64_u32_e32 v[0:1], v0
	s_delay_alu instid0(VALU_DEP_2) | instskip(NEXT) | instid1(VALU_DEP_1)
	v_ldexp_f64 v[6:7], v[6:7], 32
	v_add_f64_e32 v[6:7], v[6:7], v[0:1]
	s_branch .LBB95_871
.LBB95_869:
	s_mov_b32 s6, -1
                                        ; implicit-def: $vgpr6_vgpr7
.LBB95_870:
	s_mov_b32 s10, 0
.LBB95_871:
	s_delay_alu instid0(SALU_CYCLE_1)
	s_and_b32 vcc_lo, exec_lo, s10
	s_cbranch_vccz .LBB95_889
; %bb.872:
	s_cmp_lt_i32 s3, 27
	s_cbranch_scc1 .LBB95_875
; %bb.873:
	s_cmp_gt_i32 s3, 27
	s_cbranch_scc0 .LBB95_876
; %bb.874:
	global_load_b32 v0, v[4:5], off
	s_mov_b32 s8, 0
	s_wait_loadcnt 0x0
	v_cvt_f64_u32_e32 v[6:7], v0
	s_branch .LBB95_877
.LBB95_875:
	s_mov_b32 s8, -1
                                        ; implicit-def: $vgpr6_vgpr7
	s_branch .LBB95_880
.LBB95_876:
	s_mov_b32 s8, -1
                                        ; implicit-def: $vgpr6_vgpr7
.LBB95_877:
	s_delay_alu instid0(SALU_CYCLE_1)
	s_and_not1_b32 vcc_lo, exec_lo, s8
	s_cbranch_vccnz .LBB95_879
; %bb.878:
	global_load_u16 v0, v[4:5], off
	s_wait_loadcnt 0x0
	v_cvt_f64_u32_e32 v[6:7], v0
.LBB95_879:
	s_mov_b32 s8, 0
.LBB95_880:
	s_delay_alu instid0(SALU_CYCLE_1)
	s_and_not1_b32 vcc_lo, exec_lo, s8
	s_cbranch_vccnz .LBB95_888
; %bb.881:
	global_load_u8 v0, v[4:5], off
	s_mov_b32 s8, 0
	s_mov_b32 s10, exec_lo
	s_wait_loadcnt 0x0
	v_cmpx_lt_i16_e32 0x7f, v0
	s_xor_b32 s10, exec_lo, s10
	s_cbranch_execz .LBB95_902
; %bb.882:
	s_mov_b32 s8, -1
	s_mov_b32 s11, exec_lo
	v_cmpx_eq_u16_e32 0x80, v0
; %bb.883:
	s_xor_b32 s8, exec_lo, -1
; %bb.884:
	s_or_b32 exec_lo, exec_lo, s11
	s_delay_alu instid0(SALU_CYCLE_1)
	s_and_b32 s8, s8, exec_lo
	s_or_saveexec_b32 s10, s10
	v_mov_b64_e32 v[6:7], 0x7ff8000020000000
	s_xor_b32 exec_lo, exec_lo, s10
	s_cbranch_execnz .LBB95_903
.LBB95_885:
	s_or_b32 exec_lo, exec_lo, s10
	s_and_saveexec_b32 s10, s8
	s_cbranch_execz .LBB95_887
.LBB95_886:
	v_and_b32_e32 v1, 0xffff, v0
	s_delay_alu instid0(VALU_DEP_1) | instskip(SKIP_1) | instid1(VALU_DEP_2)
	v_and_b32_e32 v3, 7, v1
	v_bfe_u32 v8, v1, 3, 4
	v_clz_i32_u32_e32 v6, v3
	s_delay_alu instid0(VALU_DEP_2) | instskip(NEXT) | instid1(VALU_DEP_2)
	v_cmp_eq_u32_e32 vcc_lo, 0, v8
	v_min_u32_e32 v6, 32, v6
	s_delay_alu instid0(VALU_DEP_1) | instskip(NEXT) | instid1(VALU_DEP_1)
	v_subrev_nc_u32_e32 v7, 28, v6
	v_dual_lshlrev_b32 v1, v7, v1 :: v_dual_sub_nc_u32 v6, 29, v6
	s_delay_alu instid0(VALU_DEP_1) | instskip(NEXT) | instid1(VALU_DEP_1)
	v_dual_lshlrev_b32 v0, 24, v0 :: v_dual_bitop2_b32 v1, 7, v1 bitop3:0x40
	v_dual_cndmask_b32 v6, v8, v6 :: v_dual_cndmask_b32 v1, v3, v1
	s_delay_alu instid0(VALU_DEP_2) | instskip(NEXT) | instid1(VALU_DEP_2)
	v_and_b32_e32 v0, 0x80000000, v0
	v_lshl_add_u32 v3, v6, 23, 0x3b800000
	s_delay_alu instid0(VALU_DEP_3) | instskip(NEXT) | instid1(VALU_DEP_1)
	v_lshlrev_b32_e32 v1, 20, v1
	v_or3_b32 v0, v0, v3, v1
	s_delay_alu instid0(VALU_DEP_1)
	v_cvt_f64_f32_e32 v[6:7], v0
.LBB95_887:
	s_or_b32 exec_lo, exec_lo, s10
.LBB95_888:
	s_mov_b32 s8, -1
.LBB95_889:
	s_mov_b32 s10, 0
.LBB95_890:
	s_delay_alu instid0(SALU_CYCLE_1)
	s_and_b32 vcc_lo, exec_lo, s10
	s_cbranch_vccz .LBB95_923
; %bb.891:
	s_cmp_gt_i32 s3, 22
	s_cbranch_scc0 .LBB95_901
; %bb.892:
	s_cmp_lt_i32 s3, 24
	s_cbranch_scc1 .LBB95_904
; %bb.893:
	s_cmp_gt_i32 s3, 24
	s_cbranch_scc0 .LBB95_905
; %bb.894:
	global_load_u8 v0, v[4:5], off
	s_mov_b32 s8, exec_lo
	s_wait_loadcnt 0x0
	v_cmpx_lt_i16_e32 0x7f, v0
	s_xor_b32 s8, exec_lo, s8
	s_cbranch_execz .LBB95_917
; %bb.895:
	s_mov_b32 s7, -1
	s_mov_b32 s10, exec_lo
	v_cmpx_eq_u16_e32 0x80, v0
; %bb.896:
	s_xor_b32 s7, exec_lo, -1
; %bb.897:
	s_or_b32 exec_lo, exec_lo, s10
	s_delay_alu instid0(SALU_CYCLE_1)
	s_and_b32 s7, s7, exec_lo
	s_or_saveexec_b32 s8, s8
	v_mov_b64_e32 v[6:7], 0x7ff8000020000000
	s_xor_b32 exec_lo, exec_lo, s8
	s_cbranch_execnz .LBB95_918
.LBB95_898:
	s_or_b32 exec_lo, exec_lo, s8
	s_and_saveexec_b32 s8, s7
	s_cbranch_execz .LBB95_900
.LBB95_899:
	v_and_b32_e32 v1, 0xffff, v0
	s_delay_alu instid0(VALU_DEP_1) | instskip(SKIP_1) | instid1(VALU_DEP_2)
	v_and_b32_e32 v3, 3, v1
	v_bfe_u32 v8, v1, 2, 5
	v_clz_i32_u32_e32 v6, v3
	s_delay_alu instid0(VALU_DEP_2) | instskip(NEXT) | instid1(VALU_DEP_2)
	v_cmp_eq_u32_e32 vcc_lo, 0, v8
	v_min_u32_e32 v6, 32, v6
	s_delay_alu instid0(VALU_DEP_1) | instskip(NEXT) | instid1(VALU_DEP_1)
	v_subrev_nc_u32_e32 v7, 29, v6
	v_dual_lshlrev_b32 v1, v7, v1 :: v_dual_sub_nc_u32 v6, 30, v6
	s_delay_alu instid0(VALU_DEP_1) | instskip(NEXT) | instid1(VALU_DEP_1)
	v_dual_lshlrev_b32 v0, 24, v0 :: v_dual_bitop2_b32 v1, 3, v1 bitop3:0x40
	v_dual_cndmask_b32 v6, v8, v6 :: v_dual_cndmask_b32 v1, v3, v1
	s_delay_alu instid0(VALU_DEP_2) | instskip(NEXT) | instid1(VALU_DEP_2)
	v_and_b32_e32 v0, 0x80000000, v0
	v_lshl_add_u32 v3, v6, 23, 0x37800000
	s_delay_alu instid0(VALU_DEP_3) | instskip(NEXT) | instid1(VALU_DEP_1)
	v_lshlrev_b32_e32 v1, 21, v1
	v_or3_b32 v0, v0, v3, v1
	s_delay_alu instid0(VALU_DEP_1)
	v_cvt_f64_f32_e32 v[6:7], v0
.LBB95_900:
	s_or_b32 exec_lo, exec_lo, s8
	s_mov_b32 s7, 0
	s_branch .LBB95_906
.LBB95_901:
	s_mov_b32 s7, -1
                                        ; implicit-def: $vgpr6_vgpr7
	s_branch .LBB95_912
.LBB95_902:
	s_or_saveexec_b32 s10, s10
	v_mov_b64_e32 v[6:7], 0x7ff8000020000000
	s_xor_b32 exec_lo, exec_lo, s10
	s_cbranch_execz .LBB95_885
.LBB95_903:
	v_cmp_ne_u16_e32 vcc_lo, 0, v0
	v_mov_b64_e32 v[6:7], 0
	s_and_not1_b32 s8, s8, exec_lo
	s_and_b32 s11, vcc_lo, exec_lo
	s_delay_alu instid0(SALU_CYCLE_1)
	s_or_b32 s8, s8, s11
	s_or_b32 exec_lo, exec_lo, s10
	s_and_saveexec_b32 s10, s8
	s_cbranch_execnz .LBB95_886
	s_branch .LBB95_887
.LBB95_904:
	s_mov_b32 s7, -1
                                        ; implicit-def: $vgpr6_vgpr7
	s_branch .LBB95_909
.LBB95_905:
	s_mov_b32 s7, -1
                                        ; implicit-def: $vgpr6_vgpr7
.LBB95_906:
	s_delay_alu instid0(SALU_CYCLE_1)
	s_and_b32 vcc_lo, exec_lo, s7
	s_cbranch_vccz .LBB95_908
; %bb.907:
	global_load_u8 v0, v[4:5], off
	s_wait_loadcnt 0x0
	v_lshlrev_b32_e32 v0, 24, v0
	s_delay_alu instid0(VALU_DEP_1) | instskip(NEXT) | instid1(VALU_DEP_1)
	v_and_b32_e32 v1, 0x7f000000, v0
	v_clz_i32_u32_e32 v3, v1
	v_add_nc_u32_e32 v7, 0x1000000, v1
	v_cmp_ne_u32_e32 vcc_lo, 0, v1
	s_delay_alu instid0(VALU_DEP_3) | instskip(NEXT) | instid1(VALU_DEP_1)
	v_min_u32_e32 v3, 32, v3
	v_sub_nc_u32_e64 v3, v3, 4 clamp
	s_delay_alu instid0(VALU_DEP_1) | instskip(NEXT) | instid1(VALU_DEP_1)
	v_dual_lshlrev_b32 v6, v3, v1 :: v_dual_lshlrev_b32 v3, 23, v3
	v_lshrrev_b32_e32 v6, 4, v6
	s_delay_alu instid0(VALU_DEP_1) | instskip(SKIP_1) | instid1(VALU_DEP_2)
	v_sub_nc_u32_e32 v3, v6, v3
	v_ashrrev_i32_e32 v6, 8, v7
	v_add_nc_u32_e32 v3, 0x3c000000, v3
	s_delay_alu instid0(VALU_DEP_1) | instskip(NEXT) | instid1(VALU_DEP_1)
	v_and_or_b32 v3, 0x7f800000, v6, v3
	v_cndmask_b32_e32 v1, 0, v3, vcc_lo
	s_delay_alu instid0(VALU_DEP_1) | instskip(NEXT) | instid1(VALU_DEP_1)
	v_and_or_b32 v0, 0x80000000, v0, v1
	v_cvt_f64_f32_e32 v[6:7], v0
.LBB95_908:
	s_mov_b32 s7, 0
.LBB95_909:
	s_delay_alu instid0(SALU_CYCLE_1)
	s_and_not1_b32 vcc_lo, exec_lo, s7
	s_cbranch_vccnz .LBB95_911
; %bb.910:
	global_load_u8 v0, v[4:5], off
	s_wait_loadcnt 0x0
	v_lshlrev_b32_e32 v1, 25, v0
	v_lshlrev_b16 v0, 8, v0
	s_delay_alu instid0(VALU_DEP_1) | instskip(SKIP_1) | instid1(VALU_DEP_2)
	v_and_or_b32 v6, 0x7f00, v0, 0.5
	v_bfe_i32 v0, v0, 0, 16
	v_dual_add_f32 v6, -0.5, v6 :: v_dual_lshrrev_b32 v3, 4, v1
	v_cmp_gt_u32_e32 vcc_lo, 0x8000000, v1
	s_delay_alu instid0(VALU_DEP_2) | instskip(NEXT) | instid1(VALU_DEP_1)
	v_or_b32_e32 v3, 0x70000000, v3
	v_mul_f32_e32 v3, 0x7800000, v3
	s_delay_alu instid0(VALU_DEP_1) | instskip(NEXT) | instid1(VALU_DEP_1)
	v_cndmask_b32_e32 v1, v3, v6, vcc_lo
	v_and_or_b32 v0, 0x80000000, v0, v1
	s_delay_alu instid0(VALU_DEP_1)
	v_cvt_f64_f32_e32 v[6:7], v0
.LBB95_911:
	s_mov_b32 s7, 0
	s_mov_b32 s8, -1
.LBB95_912:
	s_and_not1_b32 vcc_lo, exec_lo, s7
	s_mov_b32 s7, 0
	s_cbranch_vccnz .LBB95_923
; %bb.913:
	s_cmp_gt_i32 s3, 14
	s_cbranch_scc0 .LBB95_916
; %bb.914:
	s_cmp_eq_u32 s3, 15
	s_cbranch_scc0 .LBB95_919
; %bb.915:
	global_load_u16 v0, v[4:5], off
	s_mov_b32 s6, 0
	s_mov_b32 s8, -1
	s_wait_loadcnt 0x0
	v_lshlrev_b32_e32 v0, 16, v0
	s_delay_alu instid0(VALU_DEP_1)
	v_cvt_f64_f32_e32 v[6:7], v0
	s_branch .LBB95_921
.LBB95_916:
	s_mov_b32 s7, -1
	s_branch .LBB95_920
.LBB95_917:
	s_or_saveexec_b32 s8, s8
	v_mov_b64_e32 v[6:7], 0x7ff8000020000000
	s_xor_b32 exec_lo, exec_lo, s8
	s_cbranch_execz .LBB95_898
.LBB95_918:
	v_cmp_ne_u16_e32 vcc_lo, 0, v0
	v_mov_b64_e32 v[6:7], 0
	s_and_not1_b32 s7, s7, exec_lo
	s_and_b32 s10, vcc_lo, exec_lo
	s_delay_alu instid0(SALU_CYCLE_1)
	s_or_b32 s7, s7, s10
	s_or_b32 exec_lo, exec_lo, s8
	s_and_saveexec_b32 s8, s7
	s_cbranch_execnz .LBB95_899
	s_branch .LBB95_900
.LBB95_919:
	s_mov_b32 s6, -1
.LBB95_920:
                                        ; implicit-def: $vgpr6_vgpr7
.LBB95_921:
	s_and_b32 vcc_lo, exec_lo, s7
	s_mov_b32 s7, 0
	s_cbranch_vccz .LBB95_923
; %bb.922:
	s_cmp_lg_u32 s3, 11
	s_mov_b32 s7, -1
	s_cselect_b32 s3, -1, 0
	s_and_not1_b32 s6, s6, exec_lo
	s_and_b32 s3, s3, exec_lo
	s_delay_alu instid0(SALU_CYCLE_1)
	s_or_b32 s6, s6, s3
.LBB95_923:
	s_mov_b32 s3, 0
.LBB95_924:
	s_delay_alu instid0(SALU_CYCLE_1)
	s_and_b32 s30, s3, exec_lo
	s_and_not1_b32 s3, s1, exec_lo
	s_and_b32 s6, s6, exec_lo
	s_and_b32 s29, s8, exec_lo
	;; [unrolled: 1-line block ×3, first 2 shown]
	s_or_b32 s31, s3, s6
.LBB95_925:
	s_wait_xcnt 0x0
	s_or_b32 exec_lo, exec_lo, s35
	s_delay_alu instid0(SALU_CYCLE_1)
	s_and_not1_b32 s1, s1, exec_lo
	s_and_b32 s3, s31, exec_lo
	s_and_b32 s29, s29, exec_lo
	;; [unrolled: 1-line block ×4, first 2 shown]
	s_or_b32 s1, s1, s3
.LBB95_926:
	s_or_b32 exec_lo, exec_lo, s34
	s_delay_alu instid0(SALU_CYCLE_1)
	s_and_not1_b32 s3, s47, exec_lo
	s_and_b32 s2, s2, exec_lo
	s_and_b32 s6, s1, exec_lo
	s_or_b32 s47, s3, s2
	s_and_not1_b32 s3, s46, exec_lo
	s_and_b32 s29, s29, exec_lo
	s_and_b32 s2, s30, exec_lo
	;; [unrolled: 1-line block ×3, first 2 shown]
	s_or_b32 s46, s3, s6
.LBB95_927:
	s_or_b32 exec_lo, exec_lo, s48
	s_delay_alu instid0(SALU_CYCLE_1)
	s_and_not1_b32 s3, s43, exec_lo
	s_and_b32 s6, s47, exec_lo
	s_and_b32 s28, s29, exec_lo
	s_or_b32 s43, s3, s6
	s_and_b32 s29, s2, exec_lo
	s_and_not1_b32 s2, s44, exec_lo
	s_and_b32 s3, s46, exec_lo
	s_and_b32 s23, s1, exec_lo
	s_or_b32 s44, s2, s3
	s_or_b32 exec_lo, exec_lo, s45
	s_mov_b32 s1, 0
	s_and_saveexec_b32 s2, s44
	s_cbranch_execz .LBB95_276
.LBB95_928:
	s_mov_b32 s1, exec_lo
	s_and_not1_b32 s23, s23, exec_lo
	s_trap 2
	s_or_b32 exec_lo, exec_lo, s2
	s_and_saveexec_b32 s2, s23
	s_delay_alu instid0(SALU_CYCLE_1)
	s_xor_b32 s2, exec_lo, s2
	s_cbranch_execnz .LBB95_277
.LBB95_929:
	s_or_b32 exec_lo, exec_lo, s2
	s_and_saveexec_b32 s2, s29
	s_cbranch_execz .LBB95_975
.LBB95_930:
	s_sext_i32_i16 s3, s9
	s_delay_alu instid0(SALU_CYCLE_1)
	s_cmp_lt_i32 s3, 5
	s_cbranch_scc1 .LBB95_935
; %bb.931:
	s_cmp_lt_i32 s3, 8
	s_cbranch_scc1 .LBB95_936
; %bb.932:
	;; [unrolled: 3-line block ×3, first 2 shown]
	s_cmp_gt_i32 s3, 9
	s_cbranch_scc0 .LBB95_938
; %bb.934:
	s_wait_loadcnt 0x0
	global_load_b64 v[6:7], v[4:5], off
	s_mov_b32 s3, 0
	s_branch .LBB95_939
.LBB95_935:
                                        ; implicit-def: $vgpr6_vgpr7
	s_branch .LBB95_956
.LBB95_936:
                                        ; implicit-def: $vgpr6_vgpr7
	s_branch .LBB95_945
.LBB95_937:
	s_mov_b32 s3, -1
                                        ; implicit-def: $vgpr6_vgpr7
	s_branch .LBB95_942
.LBB95_938:
	s_mov_b32 s3, -1
                                        ; implicit-def: $vgpr6_vgpr7
.LBB95_939:
	s_delay_alu instid0(SALU_CYCLE_1)
	s_and_not1_b32 vcc_lo, exec_lo, s3
	s_cbranch_vccnz .LBB95_941
; %bb.940:
	global_load_b32 v0, v[4:5], off
	s_wait_loadcnt 0x0
	v_cvt_f64_f32_e32 v[6:7], v0
.LBB95_941:
	s_mov_b32 s3, 0
.LBB95_942:
	s_delay_alu instid0(SALU_CYCLE_1)
	s_and_not1_b32 vcc_lo, exec_lo, s3
	s_cbranch_vccnz .LBB95_944
; %bb.943:
	global_load_b32 v0, v[4:5], off
	s_wait_loadcnt 0x0
	v_cvt_f32_f16_e32 v0, v0
	s_delay_alu instid0(VALU_DEP_1)
	v_cvt_f64_f32_e32 v[6:7], v0
.LBB95_944:
	s_cbranch_execnz .LBB95_955
.LBB95_945:
	s_sext_i32_i16 s3, s9
	s_delay_alu instid0(SALU_CYCLE_1)
	s_cmp_lt_i32 s3, 6
	s_cbranch_scc1 .LBB95_948
; %bb.946:
	s_cmp_gt_i32 s3, 6
	s_cbranch_scc0 .LBB95_949
; %bb.947:
	s_wait_loadcnt 0x0
	global_load_b64 v[6:7], v[4:5], off
	s_mov_b32 s3, 0
	s_branch .LBB95_950
.LBB95_948:
	s_mov_b32 s3, -1
                                        ; implicit-def: $vgpr6_vgpr7
	s_branch .LBB95_953
.LBB95_949:
	s_mov_b32 s3, -1
                                        ; implicit-def: $vgpr6_vgpr7
.LBB95_950:
	s_delay_alu instid0(SALU_CYCLE_1)
	s_and_not1_b32 vcc_lo, exec_lo, s3
	s_cbranch_vccnz .LBB95_952
; %bb.951:
	global_load_b32 v0, v[4:5], off
	s_wait_loadcnt 0x0
	v_cvt_f64_f32_e32 v[6:7], v0
.LBB95_952:
	s_mov_b32 s3, 0
.LBB95_953:
	s_delay_alu instid0(SALU_CYCLE_1)
	s_and_not1_b32 vcc_lo, exec_lo, s3
	s_cbranch_vccnz .LBB95_955
; %bb.954:
	global_load_u16 v0, v[4:5], off
	s_wait_loadcnt 0x0
	v_cvt_f32_f16_e32 v0, v0
	s_delay_alu instid0(VALU_DEP_1)
	v_cvt_f64_f32_e32 v[6:7], v0
.LBB95_955:
	s_cbranch_execnz .LBB95_974
.LBB95_956:
	s_sext_i32_i16 s3, s9
	s_delay_alu instid0(SALU_CYCLE_1)
	s_cmp_lt_i32 s3, 2
	s_cbranch_scc1 .LBB95_960
; %bb.957:
	s_cmp_lt_i32 s3, 3
	s_cbranch_scc1 .LBB95_961
; %bb.958:
	s_cmp_gt_i32 s3, 3
	s_cbranch_scc0 .LBB95_962
; %bb.959:
	global_load_b64 v[0:1], v[4:5], off
	s_mov_b32 s3, 0
	s_wait_loadcnt 0x0
	v_cvt_f64_i32_e32 v[6:7], v1
	v_cvt_f64_u32_e32 v[0:1], v0
	s_delay_alu instid0(VALU_DEP_2) | instskip(NEXT) | instid1(VALU_DEP_1)
	v_ldexp_f64 v[6:7], v[6:7], 32
	v_add_f64_e32 v[6:7], v[6:7], v[0:1]
	s_branch .LBB95_963
.LBB95_960:
                                        ; implicit-def: $vgpr6_vgpr7
	s_branch .LBB95_969
.LBB95_961:
	s_mov_b32 s3, -1
                                        ; implicit-def: $vgpr6_vgpr7
	s_branch .LBB95_966
.LBB95_962:
	s_mov_b32 s3, -1
                                        ; implicit-def: $vgpr6_vgpr7
.LBB95_963:
	s_delay_alu instid0(SALU_CYCLE_1)
	s_and_not1_b32 vcc_lo, exec_lo, s3
	s_cbranch_vccnz .LBB95_965
; %bb.964:
	global_load_b32 v0, v[4:5], off
	s_wait_loadcnt 0x0
	v_cvt_f64_i32_e32 v[6:7], v0
.LBB95_965:
	s_mov_b32 s3, 0
.LBB95_966:
	s_delay_alu instid0(SALU_CYCLE_1)
	s_and_not1_b32 vcc_lo, exec_lo, s3
	s_cbranch_vccnz .LBB95_968
; %bb.967:
	global_load_i16 v0, v[4:5], off
	s_wait_loadcnt 0x0
	v_cvt_f64_i32_e32 v[6:7], v0
.LBB95_968:
	s_cbranch_execnz .LBB95_974
.LBB95_969:
	s_sext_i32_i16 s3, s9
	s_delay_alu instid0(SALU_CYCLE_1)
	s_cmp_gt_i32 s3, 0
	s_mov_b32 s3, 0
	s_cbranch_scc0 .LBB95_971
; %bb.970:
	global_load_i8 v0, v[4:5], off
	s_wait_loadcnt 0x0
	v_cvt_f64_i32_e32 v[6:7], v0
	s_branch .LBB95_972
.LBB95_971:
	s_mov_b32 s3, -1
                                        ; implicit-def: $vgpr6_vgpr7
.LBB95_972:
	s_delay_alu instid0(SALU_CYCLE_1)
	s_and_not1_b32 vcc_lo, exec_lo, s3
	s_cbranch_vccnz .LBB95_974
; %bb.973:
	global_load_u8 v0, v[4:5], off
	s_wait_loadcnt 0x0
	v_cvt_f64_u32_e32 v[6:7], v0
.LBB95_974:
	s_or_b32 s28, s28, exec_lo
.LBB95_975:
	s_wait_xcnt 0x0
	s_or_b32 exec_lo, exec_lo, s2
	s_mov_b32 s8, 0
	s_mov_b32 s7, 0
                                        ; implicit-def: $sgpr2
                                        ; implicit-def: $sgpr3
                                        ; implicit-def: $vgpr0_vgpr1
	s_and_saveexec_b32 s6, s28
	s_cbranch_execz .LBB95_983
; %bb.976:
	s_wait_loadcnt 0x0
	s_delay_alu instid0(VALU_DEP_1)
	v_cmp_eq_f64_e32 vcc_lo, s[16:17], v[6:7]
	s_and_b32 s3, s18, 0xff
	v_mov_b32_e32 v3, 0
	s_cmp_lt_i32 s3, 11
	v_cndmask_b32_e64 v0, 0, 1, vcc_lo
	v_cmp_neq_f64_e32 vcc_lo, s[16:17], v[6:7]
	v_cndmask_b32_e64 v1, 0, 1, vcc_lo
	s_delay_alu instid0(VALU_DEP_1) | instskip(NEXT) | instid1(VALU_DEP_1)
	v_cndmask_b32_e64 v0, v1, v0, s0
	v_and_b32_e32 v4, 1, v0
	v_add_nc_u64_e32 v[0:1], s[4:5], v[2:3]
	s_delay_alu instid0(VALU_DEP_2)
	v_cmp_eq_u32_e64 s2, 1, v4
	s_cbranch_scc1 .LBB95_986
; %bb.977:
	s_and_b32 s4, 0xffff, s3
	s_mov_b32 s5, -1
	s_cmp_gt_i32 s4, 25
	s_mov_b32 s0, s43
	s_cbranch_scc0 .LBB95_1014
; %bb.978:
	s_cmp_gt_i32 s4, 28
	s_mov_b32 s0, s43
	s_cbranch_scc0 .LBB95_998
; %bb.979:
	;; [unrolled: 4-line block ×4, first 2 shown]
	s_cmp_eq_u32 s4, 46
	s_mov_b32 s0, -1
	s_cbranch_scc0 .LBB95_987
; %bb.982:
	v_cndmask_b32_e64 v2, 0, 1.0, s2
	s_mov_b32 s0, 0
	s_mov_b32 s5, 0
	s_delay_alu instid0(VALU_DEP_1) | instskip(NEXT) | instid1(VALU_DEP_1)
	v_bfe_u32 v3, v2, 16, 1
	v_add3_u32 v2, v2, v3, 0x7fff
	s_delay_alu instid0(VALU_DEP_1)
	v_lshrrev_b32_e32 v2, 16, v2
	global_store_b32 v[0:1], v2, off
	s_branch .LBB95_988
.LBB95_983:
	s_or_b32 exec_lo, exec_lo, s6
	s_and_saveexec_b32 s0, s43
	s_cbranch_execnz .LBB95_1056
.LBB95_984:
	s_or_b32 exec_lo, exec_lo, s0
	s_and_saveexec_b32 s0, s8
	s_delay_alu instid0(SALU_CYCLE_1)
	s_xor_b32 s0, exec_lo, s0
	s_cbranch_execz .LBB95_1057
.LBB95_985:
	v_cndmask_b32_e64 v2, 0, 1, s2
	global_store_b8 v[0:1], v2, off
	s_wait_xcnt 0x0
	s_or_b32 exec_lo, exec_lo, s0
	s_and_saveexec_b32 s0, s7
	s_delay_alu instid0(SALU_CYCLE_1)
	s_xor_b32 s0, exec_lo, s0
	s_cbranch_execz .LBB95_1095
	s_branch .LBB95_1058
.LBB95_986:
	s_mov_b32 s5, -1
	s_mov_b32 s0, s43
	s_branch .LBB95_1055
.LBB95_987:
	s_mov_b32 s5, 0
.LBB95_988:
	s_delay_alu instid0(SALU_CYCLE_1)
	s_and_b32 vcc_lo, exec_lo, s5
	s_cbranch_vccz .LBB95_993
; %bb.989:
	s_cmp_eq_u32 s4, 44
	s_mov_b32 s0, -1
	s_cbranch_scc0 .LBB95_993
; %bb.990:
	v_cndmask_b32_e64 v4, 0, 1.0, s2
	s_mov_b32 s5, exec_lo
	s_wait_xcnt 0x0
	s_delay_alu instid0(VALU_DEP_1) | instskip(NEXT) | instid1(VALU_DEP_1)
	v_dual_mov_b32 v3, 0xff :: v_dual_lshrrev_b32 v2, 23, v4
	v_cmpx_ne_u32_e32 0xff, v2
; %bb.991:
	v_and_b32_e32 v3, 0x400000, v4
	v_and_or_b32 v4, 0x3fffff, v4, v2
	s_delay_alu instid0(VALU_DEP_2) | instskip(NEXT) | instid1(VALU_DEP_2)
	v_cmp_ne_u32_e32 vcc_lo, 0, v3
	v_cmp_ne_u32_e64 s0, 0, v4
	s_and_b32 s0, vcc_lo, s0
	s_delay_alu instid0(SALU_CYCLE_1) | instskip(NEXT) | instid1(VALU_DEP_1)
	v_cndmask_b32_e64 v3, 0, 1, s0
	v_add_nc_u32_e32 v3, v2, v3
; %bb.992:
	s_or_b32 exec_lo, exec_lo, s5
	s_mov_b32 s0, 0
	global_store_b8 v[0:1], v3, off
.LBB95_993:
	s_mov_b32 s5, 0
.LBB95_994:
	s_delay_alu instid0(SALU_CYCLE_1)
	s_and_b32 vcc_lo, exec_lo, s5
	s_cbranch_vccz .LBB95_997
; %bb.995:
	s_cmp_eq_u32 s4, 29
	s_mov_b32 s0, -1
	s_cbranch_scc0 .LBB95_997
; %bb.996:
	s_mov_b32 s0, 0
	s_wait_xcnt 0x0
	v_cndmask_b32_e64 v2, 0, 1, s2
	v_mov_b32_e32 v3, s0
	s_mov_b32 s5, 0
	global_store_b64 v[0:1], v[2:3], off
	s_branch .LBB95_998
.LBB95_997:
	s_mov_b32 s5, 0
.LBB95_998:
	s_delay_alu instid0(SALU_CYCLE_1)
	s_and_b32 vcc_lo, exec_lo, s5
	s_cbranch_vccz .LBB95_1013
; %bb.999:
	s_cmp_lt_i32 s4, 27
	s_mov_b32 s5, -1
	s_cbranch_scc1 .LBB95_1005
; %bb.1000:
	s_cmp_gt_i32 s4, 27
	s_cbranch_scc0 .LBB95_1002
; %bb.1001:
	s_wait_xcnt 0x0
	v_cndmask_b32_e64 v2, 0, 1, s2
	s_mov_b32 s5, 0
	global_store_b32 v[0:1], v2, off
.LBB95_1002:
	s_and_not1_b32 vcc_lo, exec_lo, s5
	s_cbranch_vccnz .LBB95_1004
; %bb.1003:
	s_wait_xcnt 0x0
	v_cndmask_b32_e64 v2, 0, 1, s2
	global_store_b16 v[0:1], v2, off
.LBB95_1004:
	s_mov_b32 s5, 0
.LBB95_1005:
	s_delay_alu instid0(SALU_CYCLE_1)
	s_and_not1_b32 vcc_lo, exec_lo, s5
	s_cbranch_vccnz .LBB95_1013
; %bb.1006:
	s_wait_xcnt 0x0
	v_cndmask_b32_e64 v3, 0, 1.0, s2
	v_mov_b32_e32 v4, 0x80
	s_mov_b32 s5, exec_lo
	s_delay_alu instid0(VALU_DEP_2)
	v_cmpx_gt_u32_e32 0x43800000, v3
	s_cbranch_execz .LBB95_1012
; %bb.1007:
	s_mov_b32 s8, exec_lo
                                        ; implicit-def: $vgpr2
	v_cmpx_lt_u32_e32 0x3bffffff, v3
	s_xor_b32 s8, exec_lo, s8
	s_cbranch_execz .LBB95_1170
; %bb.1008:
	v_bfe_u32 v2, v3, 20, 1
	s_mov_b32 s7, exec_lo
	s_delay_alu instid0(VALU_DEP_1) | instskip(NEXT) | instid1(VALU_DEP_1)
	v_add3_u32 v2, v3, v2, 0x487ffff
                                        ; implicit-def: $vgpr3
	v_lshrrev_b32_e32 v2, 20, v2
	s_and_not1_saveexec_b32 s8, s8
	s_cbranch_execnz .LBB95_1171
.LBB95_1009:
	s_or_b32 exec_lo, exec_lo, s8
	v_mov_b32_e32 v4, 0
	s_and_saveexec_b32 s8, s7
.LBB95_1010:
	v_mov_b32_e32 v4, v2
.LBB95_1011:
	s_or_b32 exec_lo, exec_lo, s8
.LBB95_1012:
	s_delay_alu instid0(SALU_CYCLE_1)
	s_or_b32 exec_lo, exec_lo, s5
	global_store_b8 v[0:1], v4, off
.LBB95_1013:
	s_mov_b32 s5, 0
.LBB95_1014:
	s_delay_alu instid0(SALU_CYCLE_1)
	s_and_b32 vcc_lo, exec_lo, s5
	s_mov_b32 s5, 0
	s_cbranch_vccz .LBB95_1054
; %bb.1015:
	s_cmp_gt_i32 s4, 22
	s_mov_b32 s7, -1
	s_cbranch_scc0 .LBB95_1047
; %bb.1016:
	s_cmp_lt_i32 s4, 24
	s_cbranch_scc1 .LBB95_1036
; %bb.1017:
	s_cmp_gt_i32 s4, 24
	s_cbranch_scc0 .LBB95_1025
; %bb.1018:
	s_wait_xcnt 0x0
	v_cndmask_b32_e64 v3, 0, 1.0, s2
	v_mov_b32_e32 v4, 0x80
	s_mov_b32 s7, exec_lo
	s_delay_alu instid0(VALU_DEP_2)
	v_cmpx_gt_u32_e32 0x47800000, v3
	s_cbranch_execz .LBB95_1024
; %bb.1019:
	s_mov_b32 s8, 0
	s_mov_b32 s9, exec_lo
                                        ; implicit-def: $vgpr2
	v_cmpx_lt_u32_e32 0x37ffffff, v3
	s_xor_b32 s9, exec_lo, s9
	s_cbranch_execz .LBB95_1296
; %bb.1020:
	v_bfe_u32 v2, v3, 21, 1
	s_mov_b32 s8, exec_lo
	s_delay_alu instid0(VALU_DEP_1) | instskip(NEXT) | instid1(VALU_DEP_1)
	v_add3_u32 v2, v3, v2, 0x88fffff
                                        ; implicit-def: $vgpr3
	v_lshrrev_b32_e32 v2, 21, v2
	s_and_not1_saveexec_b32 s9, s9
	s_cbranch_execnz .LBB95_1297
.LBB95_1021:
	s_or_b32 exec_lo, exec_lo, s9
	v_mov_b32_e32 v4, 0
	s_and_saveexec_b32 s9, s8
.LBB95_1022:
	v_mov_b32_e32 v4, v2
.LBB95_1023:
	s_or_b32 exec_lo, exec_lo, s9
.LBB95_1024:
	s_delay_alu instid0(SALU_CYCLE_1)
	s_or_b32 exec_lo, exec_lo, s7
	s_mov_b32 s7, 0
	global_store_b8 v[0:1], v4, off
.LBB95_1025:
	s_and_b32 vcc_lo, exec_lo, s7
	s_cbranch_vccz .LBB95_1035
; %bb.1026:
	s_wait_xcnt 0x0
	v_cndmask_b32_e64 v3, 0, 1.0, s2
	s_mov_b32 s7, exec_lo
                                        ; implicit-def: $vgpr2
	s_delay_alu instid0(VALU_DEP_1)
	v_cmpx_gt_u32_e32 0x43f00000, v3
	s_xor_b32 s7, exec_lo, s7
	s_cbranch_execz .LBB95_1032
; %bb.1027:
	s_mov_b32 s8, exec_lo
                                        ; implicit-def: $vgpr2
	v_cmpx_lt_u32_e32 0x3c7fffff, v3
	s_xor_b32 s8, exec_lo, s8
; %bb.1028:
	v_bfe_u32 v2, v3, 20, 1
	s_delay_alu instid0(VALU_DEP_1) | instskip(NEXT) | instid1(VALU_DEP_1)
	v_add3_u32 v2, v3, v2, 0x407ffff
	v_and_b32_e32 v3, 0xff00000, v2
	v_lshrrev_b32_e32 v2, 20, v2
	s_delay_alu instid0(VALU_DEP_2) | instskip(NEXT) | instid1(VALU_DEP_2)
	v_cmp_ne_u32_e32 vcc_lo, 0x7f00000, v3
                                        ; implicit-def: $vgpr3
	v_cndmask_b32_e32 v2, 0x7e, v2, vcc_lo
; %bb.1029:
	s_and_not1_saveexec_b32 s8, s8
; %bb.1030:
	v_add_f32_e32 v2, 0x46800000, v3
; %bb.1031:
	s_or_b32 exec_lo, exec_lo, s8
                                        ; implicit-def: $vgpr3
.LBB95_1032:
	s_and_not1_saveexec_b32 s7, s7
; %bb.1033:
	v_mov_b32_e32 v2, 0x7f
	v_cmp_lt_u32_e32 vcc_lo, 0x7f800000, v3
	s_delay_alu instid0(VALU_DEP_2)
	v_cndmask_b32_e32 v2, 0x7e, v2, vcc_lo
; %bb.1034:
	s_or_b32 exec_lo, exec_lo, s7
	global_store_b8 v[0:1], v2, off
.LBB95_1035:
	s_mov_b32 s7, 0
.LBB95_1036:
	s_delay_alu instid0(SALU_CYCLE_1)
	s_and_not1_b32 vcc_lo, exec_lo, s7
	s_cbranch_vccnz .LBB95_1046
; %bb.1037:
	s_wait_xcnt 0x0
	v_cndmask_b32_e64 v3, 0, 1.0, s2
	s_mov_b32 s7, exec_lo
                                        ; implicit-def: $vgpr2
	s_delay_alu instid0(VALU_DEP_1)
	v_cmpx_gt_u32_e32 0x47800000, v3
	s_xor_b32 s7, exec_lo, s7
	s_cbranch_execz .LBB95_1043
; %bb.1038:
	s_mov_b32 s8, exec_lo
                                        ; implicit-def: $vgpr2
	v_cmpx_lt_u32_e32 0x387fffff, v3
	s_xor_b32 s8, exec_lo, s8
; %bb.1039:
	v_bfe_u32 v2, v3, 21, 1
	s_delay_alu instid0(VALU_DEP_1) | instskip(NEXT) | instid1(VALU_DEP_1)
	v_add3_u32 v2, v3, v2, 0x80fffff
                                        ; implicit-def: $vgpr3
	v_lshrrev_b32_e32 v2, 21, v2
; %bb.1040:
	s_and_not1_saveexec_b32 s8, s8
; %bb.1041:
	v_add_f32_e32 v2, 0x43000000, v3
; %bb.1042:
	s_or_b32 exec_lo, exec_lo, s8
                                        ; implicit-def: $vgpr3
.LBB95_1043:
	s_and_not1_saveexec_b32 s7, s7
; %bb.1044:
	v_mov_b32_e32 v2, 0x7f
	v_cmp_lt_u32_e32 vcc_lo, 0x7f800000, v3
	s_delay_alu instid0(VALU_DEP_2)
	v_cndmask_b32_e32 v2, 0x7c, v2, vcc_lo
; %bb.1045:
	s_or_b32 exec_lo, exec_lo, s7
	global_store_b8 v[0:1], v2, off
.LBB95_1046:
	s_mov_b32 s7, 0
.LBB95_1047:
	s_delay_alu instid0(SALU_CYCLE_1)
	s_and_not1_b32 vcc_lo, exec_lo, s7
	s_mov_b32 s8, 0
	s_cbranch_vccnz .LBB95_1055
; %bb.1048:
	s_cmp_gt_i32 s4, 14
	s_mov_b32 s7, -1
	s_cbranch_scc0 .LBB95_1052
; %bb.1049:
	s_cmp_eq_u32 s4, 15
	s_mov_b32 s0, -1
	s_cbranch_scc0 .LBB95_1051
; %bb.1050:
	s_wait_xcnt 0x0
	v_cndmask_b32_e64 v2, 0, 1.0, s2
	s_mov_b32 s0, 0
	s_delay_alu instid0(VALU_DEP_1) | instskip(NEXT) | instid1(VALU_DEP_1)
	v_bfe_u32 v3, v2, 16, 1
	v_add3_u32 v2, v2, v3, 0x7fff
	global_store_d16_hi_b16 v[0:1], v2, off
.LBB95_1051:
	s_mov_b32 s7, 0
.LBB95_1052:
	s_delay_alu instid0(SALU_CYCLE_1)
	s_and_b32 vcc_lo, exec_lo, s7
	s_cbranch_vccz .LBB95_1055
; %bb.1053:
	s_cmp_lg_u32 s4, 11
	s_mov_b32 s8, -1
	s_cselect_b32 s4, -1, 0
	s_and_not1_b32 s0, s0, exec_lo
	s_and_b32 s4, s4, exec_lo
	s_delay_alu instid0(SALU_CYCLE_1)
	s_or_b32 s0, s0, s4
	s_branch .LBB95_1055
.LBB95_1054:
	s_mov_b32 s8, 0
.LBB95_1055:
	s_and_not1_b32 s4, s43, exec_lo
	s_and_b32 s0, s0, exec_lo
	s_and_b32 s7, s5, exec_lo
	;; [unrolled: 1-line block ×3, first 2 shown]
	s_or_b32 s43, s4, s0
	s_wait_xcnt 0x0
	s_or_b32 exec_lo, exec_lo, s6
	s_and_saveexec_b32 s0, s43
	s_cbranch_execz .LBB95_984
.LBB95_1056:
	s_or_b32 s1, s1, exec_lo
	s_and_not1_b32 s8, s8, exec_lo
	s_trap 2
	s_or_b32 exec_lo, exec_lo, s0
	s_and_saveexec_b32 s0, s8
	s_delay_alu instid0(SALU_CYCLE_1)
	s_xor_b32 s0, exec_lo, s0
	s_cbranch_execnz .LBB95_985
.LBB95_1057:
	s_or_b32 exec_lo, exec_lo, s0
	s_and_saveexec_b32 s0, s7
	s_delay_alu instid0(SALU_CYCLE_1)
	s_xor_b32 s0, exec_lo, s0
	s_cbranch_execz .LBB95_1095
.LBB95_1058:
	s_sext_i32_i16 s5, s3
	s_mov_b32 s4, -1
	s_cmp_lt_i32 s5, 5
	s_cbranch_scc1 .LBB95_1079
; %bb.1059:
	s_cmp_lt_i32 s5, 8
	s_cbranch_scc1 .LBB95_1069
; %bb.1060:
	;; [unrolled: 3-line block ×3, first 2 shown]
	s_cmp_gt_i32 s5, 9
	s_cbranch_scc0 .LBB95_1063
; %bb.1062:
	v_cndmask_b32_e64 v2, 0, 1, s2
	v_mov_b32_e32 v4, 0
	s_mov_b32 s4, 0
	s_delay_alu instid0(VALU_DEP_2) | instskip(NEXT) | instid1(VALU_DEP_2)
	v_cvt_f64_u32_e32 v[2:3], v2
	v_mov_b32_e32 v5, v4
	global_store_b128 v[0:1], v[2:5], off
.LBB95_1063:
	s_and_not1_b32 vcc_lo, exec_lo, s4
	s_cbranch_vccnz .LBB95_1065
; %bb.1064:
	s_wait_xcnt 0x0
	v_cndmask_b32_e64 v2, 0, 1.0, s2
	v_mov_b32_e32 v3, 0
	global_store_b64 v[0:1], v[2:3], off
.LBB95_1065:
	s_mov_b32 s4, 0
.LBB95_1066:
	s_delay_alu instid0(SALU_CYCLE_1)
	s_and_not1_b32 vcc_lo, exec_lo, s4
	s_cbranch_vccnz .LBB95_1068
; %bb.1067:
	s_wait_xcnt 0x0
	v_cndmask_b32_e64 v2, 0, 1.0, s2
	s_delay_alu instid0(VALU_DEP_1) | instskip(NEXT) | instid1(VALU_DEP_1)
	v_cvt_f16_f32_e32 v2, v2
	v_and_b32_e32 v2, 0xffff, v2
	global_store_b32 v[0:1], v2, off
.LBB95_1068:
	s_mov_b32 s4, 0
.LBB95_1069:
	s_delay_alu instid0(SALU_CYCLE_1)
	s_and_not1_b32 vcc_lo, exec_lo, s4
	s_cbranch_vccnz .LBB95_1078
; %bb.1070:
	s_sext_i32_i16 s5, s3
	s_mov_b32 s4, -1
	s_cmp_lt_i32 s5, 6
	s_cbranch_scc1 .LBB95_1076
; %bb.1071:
	s_cmp_gt_i32 s5, 6
	s_cbranch_scc0 .LBB95_1073
; %bb.1072:
	s_wait_xcnt 0x0
	v_cndmask_b32_e64 v2, 0, 1, s2
	s_mov_b32 s4, 0
	s_delay_alu instid0(VALU_DEP_1)
	v_cvt_f64_u32_e32 v[2:3], v2
	global_store_b64 v[0:1], v[2:3], off
.LBB95_1073:
	s_and_not1_b32 vcc_lo, exec_lo, s4
	s_cbranch_vccnz .LBB95_1075
; %bb.1074:
	s_wait_xcnt 0x0
	v_cndmask_b32_e64 v2, 0, 1.0, s2
	global_store_b32 v[0:1], v2, off
.LBB95_1075:
	s_mov_b32 s4, 0
.LBB95_1076:
	s_delay_alu instid0(SALU_CYCLE_1)
	s_and_not1_b32 vcc_lo, exec_lo, s4
	s_cbranch_vccnz .LBB95_1078
; %bb.1077:
	s_wait_xcnt 0x0
	v_cndmask_b32_e64 v2, 0, 1.0, s2
	s_delay_alu instid0(VALU_DEP_1)
	v_cvt_f16_f32_e32 v2, v2
	global_store_b16 v[0:1], v2, off
.LBB95_1078:
	s_mov_b32 s4, 0
.LBB95_1079:
	s_delay_alu instid0(SALU_CYCLE_1)
	s_and_not1_b32 vcc_lo, exec_lo, s4
	s_cbranch_vccnz .LBB95_1095
; %bb.1080:
	s_sext_i32_i16 s5, s3
	s_mov_b32 s4, -1
	s_cmp_lt_i32 s5, 2
	s_cbranch_scc1 .LBB95_1090
; %bb.1081:
	s_cmp_lt_i32 s5, 3
	s_cbranch_scc1 .LBB95_1087
; %bb.1082:
	s_cmp_gt_i32 s5, 3
	s_cbranch_scc0 .LBB95_1084
; %bb.1083:
	s_mov_b32 s4, 0
	s_wait_xcnt 0x0
	v_cndmask_b32_e64 v2, 0, 1, s2
	v_mov_b32_e32 v3, s4
	global_store_b64 v[0:1], v[2:3], off
.LBB95_1084:
	s_and_not1_b32 vcc_lo, exec_lo, s4
	s_cbranch_vccnz .LBB95_1086
; %bb.1085:
	s_wait_xcnt 0x0
	v_cndmask_b32_e64 v2, 0, 1, s2
	global_store_b32 v[0:1], v2, off
.LBB95_1086:
	s_mov_b32 s4, 0
.LBB95_1087:
	s_delay_alu instid0(SALU_CYCLE_1)
	s_and_not1_b32 vcc_lo, exec_lo, s4
	s_cbranch_vccnz .LBB95_1089
; %bb.1088:
	s_wait_xcnt 0x0
	v_cndmask_b32_e64 v2, 0, 1, s2
	global_store_b16 v[0:1], v2, off
.LBB95_1089:
	s_mov_b32 s4, 0
.LBB95_1090:
	s_delay_alu instid0(SALU_CYCLE_1)
	s_and_not1_b32 vcc_lo, exec_lo, s4
	s_cbranch_vccnz .LBB95_1095
; %bb.1091:
	s_sext_i32_i16 s3, s3
	s_delay_alu instid0(SALU_CYCLE_1)
	s_cmp_gt_i32 s3, 0
	s_mov_b32 s3, -1
	s_cbranch_scc0 .LBB95_1093
; %bb.1092:
	s_wait_xcnt 0x0
	v_cndmask_b32_e64 v2, 0, 1, s2
	s_mov_b32 s3, 0
	global_store_b8 v[0:1], v2, off
.LBB95_1093:
	s_and_not1_b32 vcc_lo, exec_lo, s3
	s_cbranch_vccnz .LBB95_1095
; %bb.1094:
	s_wait_xcnt 0x0
	v_cndmask_b32_e64 v2, 0, 1, s2
	global_store_b8 v[0:1], v2, off
.LBB95_1095:
	s_wait_xcnt 0x0
	s_or_b32 exec_lo, exec_lo, s0
	s_delay_alu instid0(SALU_CYCLE_1)
	s_and_b32 s11, s1, exec_lo
                                        ; implicit-def: $vgpr9
                                        ; implicit-def: $vgpr0
.LBB95_1096:
	s_or_saveexec_b32 s12, s38
	s_mov_b32 s0, 0
                                        ; implicit-def: $sgpr1
                                        ; implicit-def: $vgpr2_vgpr3
                                        ; implicit-def: $sgpr6
	s_xor_b32 exec_lo, exec_lo, s12
	s_cbranch_execz .LBB95_2107
; %bb.1097:
	v_cndmask_b32_e64 v1, 0, 1, s37
	s_and_not1_b32 vcc_lo, exec_lo, s37
	s_cbranch_vccnz .LBB95_1103
; %bb.1098:
	s_cmp_lg_u32 s19, 0
	s_mov_b32 s6, 0
	s_cbranch_scc0 .LBB95_1104
; %bb.1099:
	s_min_u32 s1, s33, 15
	s_delay_alu instid0(SALU_CYCLE_1)
	s_add_co_i32 s1, s1, 1
	s_cmp_eq_u32 s33, 2
	s_cbranch_scc1 .LBB95_1105
; %bb.1100:
	s_wait_loadcnt 0x0
	v_dual_mov_b32 v6, 0 :: v_dual_mov_b32 v8, 0
	v_mov_b32_e32 v2, v0
	s_and_b32 s0, s1, 28
	s_add_nc_u64 s[2:3], s[20:21], 0xc4
	s_mov_b32 s7, 0
	s_mov_b64 s[4:5], s[20:21]
.LBB95_1101:                            ; =>This Inner Loop Header: Depth=1
	s_clause 0x1
	s_load_b256 s[24:31], s[4:5], 0x4
	s_load_b128 s[44:47], s[4:5], 0x24
	s_load_b256 s[36:43], s[2:3], 0x0
	s_add_co_i32 s7, s7, 4
	s_wait_xcnt 0x0
	s_add_nc_u64 s[4:5], s[4:5], 48
	s_cmp_lg_u32 s0, s7
	s_add_nc_u64 s[2:3], s[2:3], 32
	s_wait_kmcnt 0x0
	v_mul_hi_u32 v3, s25, v2
	s_delay_alu instid0(VALU_DEP_1) | instskip(NEXT) | instid1(VALU_DEP_1)
	v_add_nc_u32_e32 v3, v2, v3
	v_lshrrev_b32_e32 v3, s26, v3
	s_delay_alu instid0(VALU_DEP_1) | instskip(NEXT) | instid1(VALU_DEP_1)
	v_mul_hi_u32 v4, s28, v3
	v_add_nc_u32_e32 v4, v3, v4
	s_delay_alu instid0(VALU_DEP_1) | instskip(NEXT) | instid1(VALU_DEP_1)
	v_lshrrev_b32_e32 v4, s29, v4
	v_mul_hi_u32 v5, s31, v4
	s_delay_alu instid0(VALU_DEP_1) | instskip(SKIP_1) | instid1(VALU_DEP_1)
	v_add_nc_u32_e32 v5, v4, v5
	v_mul_lo_u32 v7, v3, s24
	v_sub_nc_u32_e32 v2, v2, v7
	v_mul_lo_u32 v7, v4, s27
	s_delay_alu instid0(VALU_DEP_4) | instskip(NEXT) | instid1(VALU_DEP_3)
	v_lshrrev_b32_e32 v5, s44, v5
	v_mad_u32 v8, v2, s37, v8
	v_mad_u32 v2, v2, s36, v6
	s_delay_alu instid0(VALU_DEP_4) | instskip(NEXT) | instid1(VALU_DEP_4)
	v_sub_nc_u32_e32 v3, v3, v7
	v_mul_hi_u32 v10, s46, v5
	v_mul_lo_u32 v6, v5, s30
	s_delay_alu instid0(VALU_DEP_3) | instskip(SKIP_1) | instid1(VALU_DEP_4)
	v_mad_u32 v8, v3, s39, v8
	v_mad_u32 v3, v3, s38, v2
	v_add_nc_u32_e32 v7, v5, v10
	s_delay_alu instid0(VALU_DEP_1) | instskip(NEXT) | instid1(VALU_DEP_1)
	v_dual_sub_nc_u32 v4, v4, v6 :: v_dual_lshrrev_b32 v2, s47, v7
	v_mad_u32 v7, v4, s41, v8
	s_delay_alu instid0(VALU_DEP_4) | instskip(NEXT) | instid1(VALU_DEP_3)
	v_mad_u32 v3, v4, s40, v3
	v_mul_lo_u32 v6, v2, s45
	s_delay_alu instid0(VALU_DEP_1) | instskip(NEXT) | instid1(VALU_DEP_1)
	v_sub_nc_u32_e32 v4, v5, v6
	v_mad_u32 v8, v4, s43, v7
	s_delay_alu instid0(VALU_DEP_4)
	v_mad_u32 v6, v4, s42, v3
	s_cbranch_scc1 .LBB95_1101
; %bb.1102:
	s_delay_alu instid0(VALU_DEP_2)
	v_mov_b32_e32 v7, v8
	s_and_b32 s4, s1, 3
	s_mov_b32 s1, 0
	s_cmp_eq_u32 s4, 0
	s_cbranch_scc0 .LBB95_1106
	s_branch .LBB95_1109
.LBB95_1103:
	s_mov_b32 s6, -1
                                        ; implicit-def: $vgpr8
                                        ; implicit-def: $vgpr6
	s_branch .LBB95_1109
.LBB95_1104:
	s_wait_loadcnt 0x0
	v_dual_mov_b32 v8, 0 :: v_dual_mov_b32 v6, 0
	s_branch .LBB95_1109
.LBB95_1105:
	s_wait_loadcnt 0x0
	v_mov_b64_e32 v[6:7], 0
	v_mov_b32_e32 v2, v0
                                        ; implicit-def: $vgpr8
	s_and_b32 s4, s1, 3
	s_mov_b32 s1, 0
	s_cmp_eq_u32 s4, 0
	s_cbranch_scc1 .LBB95_1109
.LBB95_1106:
	s_lshl_b32 s2, s0, 3
	s_mov_b32 s3, s1
	s_mul_u64 s[8:9], s[0:1], 12
	s_add_nc_u64 s[2:3], s[20:21], s[2:3]
	s_delay_alu instid0(SALU_CYCLE_1)
	s_add_nc_u64 s[0:1], s[2:3], 0xc4
	s_add_nc_u64 s[2:3], s[20:21], s[8:9]
.LBB95_1107:                            ; =>This Inner Loop Header: Depth=1
	s_load_b96 s[8:10], s[2:3], 0x4
	s_load_b64 s[14:15], s[0:1], 0x0
	s_add_co_i32 s4, s4, -1
	s_wait_xcnt 0x0
	s_add_nc_u64 s[2:3], s[2:3], 12
	s_cmp_lg_u32 s4, 0
	s_add_nc_u64 s[0:1], s[0:1], 8
	s_wait_kmcnt 0x0
	v_mul_hi_u32 v3, s9, v2
	s_delay_alu instid0(VALU_DEP_1) | instskip(NEXT) | instid1(VALU_DEP_1)
	v_add_nc_u32_e32 v3, v2, v3
	v_lshrrev_b32_e32 v3, s10, v3
	s_delay_alu instid0(VALU_DEP_1) | instskip(NEXT) | instid1(VALU_DEP_1)
	v_mul_lo_u32 v4, v3, s8
	v_sub_nc_u32_e32 v2, v2, v4
	s_delay_alu instid0(VALU_DEP_1)
	v_mad_u32 v7, v2, s15, v7
	v_mad_u32 v6, v2, s14, v6
	v_mov_b32_e32 v2, v3
	s_cbranch_scc1 .LBB95_1107
; %bb.1108:
	s_delay_alu instid0(VALU_DEP_3)
	v_mov_b32_e32 v8, v7
.LBB95_1109:
	s_and_not1_b32 vcc_lo, exec_lo, s6
	s_cbranch_vccnz .LBB95_1112
; %bb.1110:
	s_clause 0x1
	s_load_b96 s[0:2], s[20:21], 0x4
	s_load_b64 s[4:5], s[20:21], 0xc4
	s_cmp_lt_u32 s19, 2
	s_wait_kmcnt 0x0
	v_mul_hi_u32 v2, s1, v0
	s_delay_alu instid0(VALU_DEP_1) | instskip(NEXT) | instid1(VALU_DEP_1)
	v_add_nc_u32_e32 v2, v0, v2
	v_lshrrev_b32_e32 v2, s2, v2
	s_delay_alu instid0(VALU_DEP_1) | instskip(NEXT) | instid1(VALU_DEP_1)
	v_mul_lo_u32 v3, v2, s0
	v_sub_nc_u32_e32 v3, v0, v3
	s_delay_alu instid0(VALU_DEP_1)
	v_mul_lo_u32 v8, v3, s5
	s_wait_loadcnt 0x0
	v_mul_lo_u32 v6, v3, s4
	s_cbranch_scc1 .LBB95_1112
; %bb.1111:
	s_clause 0x1
	s_load_b96 s[0:2], s[20:21], 0x10
	s_load_b64 s[4:5], s[20:21], 0xcc
	s_wait_kmcnt 0x0
	v_mul_hi_u32 v3, s1, v2
	s_delay_alu instid0(VALU_DEP_1) | instskip(NEXT) | instid1(VALU_DEP_1)
	v_add_nc_u32_e32 v3, v2, v3
	v_lshrrev_b32_e32 v3, s2, v3
	s_delay_alu instid0(VALU_DEP_1) | instskip(NEXT) | instid1(VALU_DEP_1)
	v_mul_lo_u32 v3, v3, s0
	v_sub_nc_u32_e32 v2, v2, v3
	s_delay_alu instid0(VALU_DEP_1)
	v_mad_u32 v6, v2, s4, v6
	v_mad_u32 v8, v2, s5, v8
.LBB95_1112:
	v_cmp_ne_u32_e32 vcc_lo, 1, v1
	v_add_nc_u32_e32 v2, 0x80, v0
	s_cbranch_vccnz .LBB95_1118
; %bb.1113:
	s_cmp_lg_u32 s19, 0
	s_mov_b32 s6, 0
	s_cbranch_scc0 .LBB95_1119
; %bb.1114:
	s_min_u32 s1, s33, 15
	s_delay_alu instid0(SALU_CYCLE_1)
	s_add_co_i32 s1, s1, 1
	s_cmp_eq_u32 s33, 2
	s_cbranch_scc1 .LBB95_1120
; %bb.1115:
	v_dual_mov_b32 v4, 0 :: v_dual_mov_b32 v10, 0
	v_mov_b32_e32 v3, v2
	s_and_b32 s0, s1, 28
	s_add_nc_u64 s[2:3], s[20:21], 0xc4
	s_mov_b32 s7, 0
	s_mov_b64 s[4:5], s[20:21]
.LBB95_1116:                            ; =>This Inner Loop Header: Depth=1
	s_clause 0x1
	s_load_b256 s[24:31], s[4:5], 0x4
	s_load_b128 s[44:47], s[4:5], 0x24
	s_load_b256 s[36:43], s[2:3], 0x0
	s_add_co_i32 s7, s7, 4
	s_wait_xcnt 0x0
	s_add_nc_u64 s[4:5], s[4:5], 48
	s_cmp_lg_u32 s0, s7
	s_add_nc_u64 s[2:3], s[2:3], 32
	s_wait_kmcnt 0x0
	v_mul_hi_u32 v5, s25, v3
	s_delay_alu instid0(VALU_DEP_1) | instskip(NEXT) | instid1(VALU_DEP_1)
	v_add_nc_u32_e32 v5, v3, v5
	v_lshrrev_b32_e32 v5, s26, v5
	s_wait_loadcnt 0x0
	s_delay_alu instid0(VALU_DEP_1) | instskip(NEXT) | instid1(VALU_DEP_1)
	v_mul_hi_u32 v7, s28, v5
	v_add_nc_u32_e32 v7, v5, v7
	s_delay_alu instid0(VALU_DEP_1) | instskip(NEXT) | instid1(VALU_DEP_1)
	v_lshrrev_b32_e32 v7, s29, v7
	v_mul_hi_u32 v11, s31, v7
	s_delay_alu instid0(VALU_DEP_1) | instskip(SKIP_1) | instid1(VALU_DEP_1)
	v_add_nc_u32_e32 v11, v7, v11
	v_mul_lo_u32 v12, v5, s24
	v_sub_nc_u32_e32 v3, v3, v12
	v_mul_lo_u32 v12, v7, s27
	s_delay_alu instid0(VALU_DEP_4) | instskip(NEXT) | instid1(VALU_DEP_3)
	v_lshrrev_b32_e32 v11, s44, v11
	v_mad_u32 v10, v3, s37, v10
	v_mad_u32 v3, v3, s36, v4
	s_delay_alu instid0(VALU_DEP_4) | instskip(NEXT) | instid1(VALU_DEP_4)
	v_sub_nc_u32_e32 v4, v5, v12
	v_mul_hi_u32 v13, s46, v11
	v_mul_lo_u32 v5, v11, s30
	s_delay_alu instid0(VALU_DEP_3) | instskip(SKIP_1) | instid1(VALU_DEP_4)
	v_mad_u32 v10, v4, s39, v10
	v_mad_u32 v4, v4, s38, v3
	v_add_nc_u32_e32 v12, v11, v13
	s_delay_alu instid0(VALU_DEP_1) | instskip(NEXT) | instid1(VALU_DEP_1)
	v_dual_sub_nc_u32 v5, v7, v5 :: v_dual_lshrrev_b32 v3, s47, v12
	v_mad_u32 v10, v5, s41, v10
	s_delay_alu instid0(VALU_DEP_4) | instskip(NEXT) | instid1(VALU_DEP_3)
	v_mad_u32 v4, v5, s40, v4
	v_mul_lo_u32 v7, v3, s45
	s_delay_alu instid0(VALU_DEP_1) | instskip(NEXT) | instid1(VALU_DEP_1)
	v_sub_nc_u32_e32 v5, v11, v7
	v_mad_u32 v10, v5, s43, v10
	s_delay_alu instid0(VALU_DEP_4)
	v_mad_u32 v4, v5, s42, v4
	s_cbranch_scc1 .LBB95_1116
; %bb.1117:
	s_delay_alu instid0(VALU_DEP_2)
	v_mov_b32_e32 v5, v10
	s_and_b32 s4, s1, 3
	s_mov_b32 s1, 0
	s_cmp_eq_u32 s4, 0
	s_cbranch_scc0 .LBB95_1121
	s_branch .LBB95_1124
.LBB95_1118:
	s_mov_b32 s6, -1
                                        ; implicit-def: $vgpr10
                                        ; implicit-def: $vgpr4
	s_branch .LBB95_1124
.LBB95_1119:
	v_dual_mov_b32 v10, 0 :: v_dual_mov_b32 v4, 0
	s_branch .LBB95_1124
.LBB95_1120:
	v_mov_b64_e32 v[4:5], 0
	v_mov_b32_e32 v3, v2
	s_mov_b32 s0, 0
                                        ; implicit-def: $vgpr10
	s_and_b32 s4, s1, 3
	s_mov_b32 s1, 0
	s_cmp_eq_u32 s4, 0
	s_cbranch_scc1 .LBB95_1124
.LBB95_1121:
	s_lshl_b32 s2, s0, 3
	s_mov_b32 s3, s1
	s_mul_u64 s[8:9], s[0:1], 12
	s_add_nc_u64 s[2:3], s[20:21], s[2:3]
	s_delay_alu instid0(SALU_CYCLE_1)
	s_add_nc_u64 s[0:1], s[2:3], 0xc4
	s_add_nc_u64 s[2:3], s[20:21], s[8:9]
.LBB95_1122:                            ; =>This Inner Loop Header: Depth=1
	s_load_b96 s[8:10], s[2:3], 0x4
	s_load_b64 s[14:15], s[0:1], 0x0
	s_add_co_i32 s4, s4, -1
	s_wait_xcnt 0x0
	s_add_nc_u64 s[2:3], s[2:3], 12
	s_cmp_lg_u32 s4, 0
	s_add_nc_u64 s[0:1], s[0:1], 8
	s_wait_loadcnt 0x0
	s_wait_kmcnt 0x0
	v_mul_hi_u32 v7, s9, v3
	s_delay_alu instid0(VALU_DEP_1) | instskip(NEXT) | instid1(VALU_DEP_1)
	v_add_nc_u32_e32 v7, v3, v7
	v_lshrrev_b32_e32 v7, s10, v7
	s_delay_alu instid0(VALU_DEP_1) | instskip(NEXT) | instid1(VALU_DEP_1)
	v_mul_lo_u32 v10, v7, s8
	v_sub_nc_u32_e32 v3, v3, v10
	s_delay_alu instid0(VALU_DEP_1)
	v_mad_u32 v5, v3, s15, v5
	v_mad_u32 v4, v3, s14, v4
	v_mov_b32_e32 v3, v7
	s_cbranch_scc1 .LBB95_1122
; %bb.1123:
	s_delay_alu instid0(VALU_DEP_3)
	v_mov_b32_e32 v10, v5
.LBB95_1124:
	s_and_not1_b32 vcc_lo, exec_lo, s6
	s_cbranch_vccnz .LBB95_1127
; %bb.1125:
	s_clause 0x1
	s_load_b96 s[0:2], s[20:21], 0x4
	s_load_b64 s[4:5], s[20:21], 0xc4
	s_cmp_lt_u32 s19, 2
	s_wait_kmcnt 0x0
	v_mul_hi_u32 v3, s1, v2
	s_delay_alu instid0(VALU_DEP_1) | instskip(NEXT) | instid1(VALU_DEP_1)
	v_add_nc_u32_e32 v3, v2, v3
	v_lshrrev_b32_e32 v3, s2, v3
	s_delay_alu instid0(VALU_DEP_1) | instskip(NEXT) | instid1(VALU_DEP_1)
	v_mul_lo_u32 v4, v3, s0
	v_sub_nc_u32_e32 v2, v2, v4
	s_delay_alu instid0(VALU_DEP_1)
	v_mul_lo_u32 v10, v2, s5
	v_mul_lo_u32 v4, v2, s4
	s_cbranch_scc1 .LBB95_1127
; %bb.1126:
	s_clause 0x1
	s_load_b96 s[0:2], s[20:21], 0x10
	s_load_b64 s[4:5], s[20:21], 0xcc
	s_wait_kmcnt 0x0
	v_mul_hi_u32 v2, s1, v3
	s_delay_alu instid0(VALU_DEP_1) | instskip(NEXT) | instid1(VALU_DEP_1)
	v_add_nc_u32_e32 v2, v3, v2
	v_lshrrev_b32_e32 v2, s2, v2
	s_delay_alu instid0(VALU_DEP_1) | instskip(NEXT) | instid1(VALU_DEP_1)
	v_mul_lo_u32 v2, v2, s0
	v_sub_nc_u32_e32 v2, v3, v2
	s_delay_alu instid0(VALU_DEP_1)
	v_mad_u32 v4, v2, s4, v4
	v_mad_u32 v10, v2, s5, v10
.LBB95_1127:
	v_cmp_ne_u32_e32 vcc_lo, 1, v1
	v_add_nc_u32_e32 v0, 0x100, v0
	s_cbranch_vccnz .LBB95_1133
; %bb.1128:
	s_cmp_lg_u32 s19, 0
	s_mov_b32 s6, 0
	s_cbranch_scc0 .LBB95_1134
; %bb.1129:
	s_min_u32 s1, s33, 15
	s_delay_alu instid0(SALU_CYCLE_1)
	s_add_co_i32 s1, s1, 1
	s_cmp_eq_u32 s33, 2
	s_cbranch_scc1 .LBB95_1135
; %bb.1130:
	v_dual_mov_b32 v2, 0 :: v_dual_mov_b32 v12, 0
	v_mov_b32_e32 v5, v0
	s_and_b32 s0, s1, 28
	s_add_nc_u64 s[2:3], s[20:21], 0xc4
	s_mov_b32 s7, 0
	s_mov_b64 s[4:5], s[20:21]
.LBB95_1131:                            ; =>This Inner Loop Header: Depth=1
	s_clause 0x1
	s_load_b256 s[24:31], s[4:5], 0x4
	s_load_b128 s[44:47], s[4:5], 0x24
	s_load_b256 s[36:43], s[2:3], 0x0
	s_add_co_i32 s7, s7, 4
	s_wait_xcnt 0x0
	s_add_nc_u64 s[4:5], s[4:5], 48
	s_cmp_lg_u32 s0, s7
	s_add_nc_u64 s[2:3], s[2:3], 32
	s_wait_kmcnt 0x0
	v_mul_hi_u32 v3, s25, v5
	s_delay_alu instid0(VALU_DEP_1) | instskip(NEXT) | instid1(VALU_DEP_1)
	v_add_nc_u32_e32 v3, v5, v3
	v_lshrrev_b32_e32 v3, s26, v3
	s_wait_loadcnt 0x0
	s_delay_alu instid0(VALU_DEP_1) | instskip(SKIP_1) | instid1(VALU_DEP_1)
	v_mul_hi_u32 v7, s28, v3
	v_mul_lo_u32 v13, v3, s24
	v_dual_add_nc_u32 v7, v3, v7 :: v_dual_sub_nc_u32 v5, v5, v13
	s_delay_alu instid0(VALU_DEP_1) | instskip(NEXT) | instid1(VALU_DEP_2)
	v_lshrrev_b32_e32 v7, s29, v7
	v_mad_u32 v12, v5, s37, v12
	v_mad_u32 v2, v5, s36, v2
	s_delay_alu instid0(VALU_DEP_3) | instskip(NEXT) | instid1(VALU_DEP_1)
	v_mul_hi_u32 v11, s31, v7
	v_add_nc_u32_e32 v11, v7, v11
	s_delay_alu instid0(VALU_DEP_1) | instskip(NEXT) | instid1(VALU_DEP_1)
	v_lshrrev_b32_e32 v11, s44, v11
	v_mul_hi_u32 v14, s46, v11
	s_delay_alu instid0(VALU_DEP_1) | instskip(NEXT) | instid1(VALU_DEP_1)
	v_add_nc_u32_e32 v5, v11, v14
	v_lshrrev_b32_e32 v5, s47, v5
	v_mul_lo_u32 v13, v7, s27
	s_delay_alu instid0(VALU_DEP_1) | instskip(SKIP_1) | instid1(VALU_DEP_2)
	v_sub_nc_u32_e32 v3, v3, v13
	v_mul_lo_u32 v13, v11, s30
	v_mad_u32 v12, v3, s39, v12
	v_mad_u32 v2, v3, s38, v2
	s_delay_alu instid0(VALU_DEP_3) | instskip(SKIP_1) | instid1(VALU_DEP_2)
	v_sub_nc_u32_e32 v3, v7, v13
	v_mul_lo_u32 v7, v5, s45
	v_mad_u32 v12, v3, s41, v12
	s_delay_alu instid0(VALU_DEP_4) | instskip(NEXT) | instid1(VALU_DEP_3)
	v_mad_u32 v2, v3, s40, v2
	v_sub_nc_u32_e32 v3, v11, v7
	s_delay_alu instid0(VALU_DEP_1) | instskip(NEXT) | instid1(VALU_DEP_3)
	v_mad_u32 v12, v3, s43, v12
	v_mad_u32 v2, v3, s42, v2
	s_cbranch_scc1 .LBB95_1131
; %bb.1132:
	s_delay_alu instid0(VALU_DEP_2)
	v_mov_b32_e32 v3, v12
	s_and_b32 s4, s1, 3
	s_mov_b32 s1, 0
	s_cmp_eq_u32 s4, 0
	s_cbranch_scc0 .LBB95_1136
	s_branch .LBB95_1139
.LBB95_1133:
	s_mov_b32 s6, -1
                                        ; implicit-def: $vgpr12
                                        ; implicit-def: $vgpr2
	s_branch .LBB95_1139
.LBB95_1134:
	v_dual_mov_b32 v12, 0 :: v_dual_mov_b32 v2, 0
	s_branch .LBB95_1139
.LBB95_1135:
	v_mov_b64_e32 v[2:3], 0
	v_mov_b32_e32 v5, v0
	s_mov_b32 s0, 0
                                        ; implicit-def: $vgpr12
	s_and_b32 s4, s1, 3
	s_mov_b32 s1, 0
	s_cmp_eq_u32 s4, 0
	s_cbranch_scc1 .LBB95_1139
.LBB95_1136:
	s_lshl_b32 s2, s0, 3
	s_mov_b32 s3, s1
	s_mul_u64 s[8:9], s[0:1], 12
	s_add_nc_u64 s[2:3], s[20:21], s[2:3]
	s_delay_alu instid0(SALU_CYCLE_1)
	s_add_nc_u64 s[0:1], s[2:3], 0xc4
	s_add_nc_u64 s[2:3], s[20:21], s[8:9]
.LBB95_1137:                            ; =>This Inner Loop Header: Depth=1
	s_load_b96 s[8:10], s[2:3], 0x4
	s_load_b64 s[14:15], s[0:1], 0x0
	s_add_co_i32 s4, s4, -1
	s_wait_xcnt 0x0
	s_add_nc_u64 s[2:3], s[2:3], 12
	s_cmp_lg_u32 s4, 0
	s_add_nc_u64 s[0:1], s[0:1], 8
	s_wait_loadcnt 0x0
	s_wait_kmcnt 0x0
	v_mul_hi_u32 v7, s9, v5
	s_delay_alu instid0(VALU_DEP_1) | instskip(NEXT) | instid1(VALU_DEP_1)
	v_add_nc_u32_e32 v7, v5, v7
	v_lshrrev_b32_e32 v7, s10, v7
	s_delay_alu instid0(VALU_DEP_1) | instskip(NEXT) | instid1(VALU_DEP_1)
	v_mul_lo_u32 v11, v7, s8
	v_sub_nc_u32_e32 v5, v5, v11
	s_delay_alu instid0(VALU_DEP_1)
	v_mad_u32 v3, v5, s15, v3
	v_mad_u32 v2, v5, s14, v2
	v_mov_b32_e32 v5, v7
	s_cbranch_scc1 .LBB95_1137
; %bb.1138:
	s_delay_alu instid0(VALU_DEP_3)
	v_mov_b32_e32 v12, v3
.LBB95_1139:
	s_and_not1_b32 vcc_lo, exec_lo, s6
	s_cbranch_vccnz .LBB95_1142
; %bb.1140:
	s_clause 0x1
	s_load_b96 s[0:2], s[20:21], 0x4
	s_load_b64 s[4:5], s[20:21], 0xc4
	s_cmp_lt_u32 s19, 2
	s_wait_kmcnt 0x0
	v_mul_hi_u32 v2, s1, v0
	s_delay_alu instid0(VALU_DEP_1) | instskip(NEXT) | instid1(VALU_DEP_1)
	v_add_nc_u32_e32 v2, v0, v2
	v_lshrrev_b32_e32 v3, s2, v2
	s_delay_alu instid0(VALU_DEP_1) | instskip(NEXT) | instid1(VALU_DEP_1)
	v_mul_lo_u32 v2, v3, s0
	v_sub_nc_u32_e32 v0, v0, v2
	s_delay_alu instid0(VALU_DEP_1)
	v_mul_lo_u32 v12, v0, s5
	v_mul_lo_u32 v2, v0, s4
	s_cbranch_scc1 .LBB95_1142
; %bb.1141:
	s_clause 0x1
	s_load_b96 s[0:2], s[20:21], 0x10
	s_load_b64 s[4:5], s[20:21], 0xcc
	s_wait_kmcnt 0x0
	v_mul_hi_u32 v0, s1, v3
	s_delay_alu instid0(VALU_DEP_1) | instskip(NEXT) | instid1(VALU_DEP_1)
	v_add_nc_u32_e32 v0, v3, v0
	v_lshrrev_b32_e32 v0, s2, v0
	s_delay_alu instid0(VALU_DEP_1) | instskip(NEXT) | instid1(VALU_DEP_1)
	v_mul_lo_u32 v0, v0, s0
	v_sub_nc_u32_e32 v0, v3, v0
	s_delay_alu instid0(VALU_DEP_1)
	v_mad_u32 v2, v0, s4, v2
	v_mad_u32 v12, v0, s5, v12
.LBB95_1142:
	v_cmp_ne_u32_e32 vcc_lo, 1, v1
	s_cbranch_vccnz .LBB95_1148
; %bb.1143:
	s_cmp_lg_u32 s19, 0
	s_mov_b32 s6, 0
	s_cbranch_scc0 .LBB95_1149
; %bb.1144:
	s_min_u32 s1, s33, 15
	s_delay_alu instid0(SALU_CYCLE_1)
	s_add_co_i32 s1, s1, 1
	s_cmp_eq_u32 s33, 2
	s_cbranch_scc1 .LBB95_1150
; %bb.1145:
	v_dual_mov_b32 v0, 0 :: v_dual_mov_b32 v14, 0
	v_mov_b32_e32 v3, v9
	s_and_b32 s0, s1, 28
	s_add_nc_u64 s[2:3], s[20:21], 0xc4
	s_mov_b32 s7, 0
	s_mov_b64 s[4:5], s[20:21]
.LBB95_1146:                            ; =>This Inner Loop Header: Depth=1
	s_clause 0x1
	s_load_b256 s[24:31], s[4:5], 0x4
	s_load_b128 s[44:47], s[4:5], 0x24
	s_load_b256 s[36:43], s[2:3], 0x0
	s_add_co_i32 s7, s7, 4
	s_wait_xcnt 0x0
	s_add_nc_u64 s[4:5], s[4:5], 48
	s_cmp_lg_u32 s0, s7
	s_add_nc_u64 s[2:3], s[2:3], 32
	s_wait_kmcnt 0x0
	v_mul_hi_u32 v1, s25, v3
	s_delay_alu instid0(VALU_DEP_1) | instskip(NEXT) | instid1(VALU_DEP_1)
	v_add_nc_u32_e32 v1, v3, v1
	v_lshrrev_b32_e32 v1, s26, v1
	s_delay_alu instid0(VALU_DEP_1) | instskip(NEXT) | instid1(VALU_DEP_1)
	v_mul_lo_u32 v11, v1, s24
	v_sub_nc_u32_e32 v3, v3, v11
	v_mul_hi_u32 v5, s28, v1
	s_delay_alu instid0(VALU_DEP_2) | instskip(SKIP_1) | instid1(VALU_DEP_3)
	v_mad_u32 v14, v3, s37, v14
	v_mad_u32 v0, v3, s36, v0
	v_add_nc_u32_e32 v5, v1, v5
	s_delay_alu instid0(VALU_DEP_1) | instskip(NEXT) | instid1(VALU_DEP_1)
	v_lshrrev_b32_e32 v5, s29, v5
	v_mul_lo_u32 v11, v5, s27
	s_delay_alu instid0(VALU_DEP_1) | instskip(SKIP_2) | instid1(VALU_DEP_2)
	v_sub_nc_u32_e32 v1, v1, v11
	s_wait_loadcnt 0x0
	v_mul_hi_u32 v7, s31, v5
	v_mad_u32 v0, v1, s38, v0
	s_delay_alu instid0(VALU_DEP_2) | instskip(NEXT) | instid1(VALU_DEP_1)
	v_add_nc_u32_e32 v7, v5, v7
	v_lshrrev_b32_e32 v7, s44, v7
	s_delay_alu instid0(VALU_DEP_1) | instskip(SKIP_1) | instid1(VALU_DEP_2)
	v_mul_hi_u32 v13, s46, v7
	v_mul_lo_u32 v11, v7, s30
	v_add_nc_u32_e32 v3, v7, v13
	v_mad_u32 v13, v1, s39, v14
	s_delay_alu instid0(VALU_DEP_3) | instskip(NEXT) | instid1(VALU_DEP_3)
	v_sub_nc_u32_e32 v1, v5, v11
	v_lshrrev_b32_e32 v3, s47, v3
	s_delay_alu instid0(VALU_DEP_2) | instskip(NEXT) | instid1(VALU_DEP_2)
	v_mad_u32 v0, v1, s40, v0
	v_mul_lo_u32 v5, v3, s45
	v_mad_u32 v11, v1, s41, v13
	s_delay_alu instid0(VALU_DEP_2) | instskip(NEXT) | instid1(VALU_DEP_1)
	v_sub_nc_u32_e32 v1, v7, v5
	v_mad_u32 v14, v1, s43, v11
	v_mad_u32 v0, v1, s42, v0
	s_cbranch_scc1 .LBB95_1146
; %bb.1147:
	s_delay_alu instid0(VALU_DEP_2)
	v_mov_b32_e32 v1, v14
	s_and_b32 s4, s1, 3
	s_mov_b32 s1, 0
	s_cmp_eq_u32 s4, 0
	s_cbranch_scc0 .LBB95_1151
	s_branch .LBB95_1154
.LBB95_1148:
	s_mov_b32 s6, -1
                                        ; implicit-def: $vgpr14
                                        ; implicit-def: $vgpr0
	s_branch .LBB95_1154
.LBB95_1149:
	v_dual_mov_b32 v14, 0 :: v_dual_mov_b32 v0, 0
	s_branch .LBB95_1154
.LBB95_1150:
	v_mov_b64_e32 v[0:1], 0
	v_mov_b32_e32 v3, v9
	s_mov_b32 s0, 0
                                        ; implicit-def: $vgpr14
	s_and_b32 s4, s1, 3
	s_mov_b32 s1, 0
	s_cmp_eq_u32 s4, 0
	s_cbranch_scc1 .LBB95_1154
.LBB95_1151:
	s_lshl_b32 s2, s0, 3
	s_mov_b32 s3, s1
	s_mul_u64 s[8:9], s[0:1], 12
	s_add_nc_u64 s[2:3], s[20:21], s[2:3]
	s_delay_alu instid0(SALU_CYCLE_1)
	s_add_nc_u64 s[0:1], s[2:3], 0xc4
	s_add_nc_u64 s[2:3], s[20:21], s[8:9]
.LBB95_1152:                            ; =>This Inner Loop Header: Depth=1
	s_load_b96 s[8:10], s[2:3], 0x4
	s_load_b64 s[14:15], s[0:1], 0x0
	s_add_co_i32 s4, s4, -1
	s_wait_xcnt 0x0
	s_add_nc_u64 s[2:3], s[2:3], 12
	s_cmp_lg_u32 s4, 0
	s_add_nc_u64 s[0:1], s[0:1], 8
	s_wait_kmcnt 0x0
	v_mul_hi_u32 v5, s9, v3
	s_delay_alu instid0(VALU_DEP_1) | instskip(NEXT) | instid1(VALU_DEP_1)
	v_add_nc_u32_e32 v5, v3, v5
	v_lshrrev_b32_e32 v5, s10, v5
	s_wait_loadcnt 0x0
	s_delay_alu instid0(VALU_DEP_1) | instskip(NEXT) | instid1(VALU_DEP_1)
	v_mul_lo_u32 v7, v5, s8
	v_sub_nc_u32_e32 v3, v3, v7
	s_delay_alu instid0(VALU_DEP_1)
	v_mad_u32 v1, v3, s15, v1
	v_mad_u32 v0, v3, s14, v0
	v_mov_b32_e32 v3, v5
	s_cbranch_scc1 .LBB95_1152
; %bb.1153:
	s_delay_alu instid0(VALU_DEP_3)
	v_mov_b32_e32 v14, v1
.LBB95_1154:
	s_and_not1_b32 vcc_lo, exec_lo, s6
	s_cbranch_vccnz .LBB95_1157
; %bb.1155:
	s_clause 0x1
	s_load_b96 s[0:2], s[20:21], 0x4
	s_load_b64 s[4:5], s[20:21], 0xc4
	s_cmp_lt_u32 s19, 2
	s_wait_kmcnt 0x0
	v_mul_hi_u32 v0, s1, v9
	s_delay_alu instid0(VALU_DEP_1) | instskip(NEXT) | instid1(VALU_DEP_1)
	v_add_nc_u32_e32 v0, v9, v0
	v_lshrrev_b32_e32 v1, s2, v0
	s_delay_alu instid0(VALU_DEP_1) | instskip(NEXT) | instid1(VALU_DEP_1)
	v_mul_lo_u32 v0, v1, s0
	v_sub_nc_u32_e32 v0, v9, v0
	s_delay_alu instid0(VALU_DEP_1)
	v_mul_lo_u32 v14, v0, s5
	v_mul_lo_u32 v0, v0, s4
	s_cbranch_scc1 .LBB95_1157
; %bb.1156:
	s_clause 0x1
	s_load_b96 s[0:2], s[20:21], 0x10
	s_load_b64 s[4:5], s[20:21], 0xcc
	s_wait_kmcnt 0x0
	v_mul_hi_u32 v3, s1, v1
	s_delay_alu instid0(VALU_DEP_1) | instskip(NEXT) | instid1(VALU_DEP_1)
	v_add_nc_u32_e32 v3, v1, v3
	v_lshrrev_b32_e32 v3, s2, v3
	s_delay_alu instid0(VALU_DEP_1) | instskip(NEXT) | instid1(VALU_DEP_1)
	v_mul_lo_u32 v3, v3, s0
	v_sub_nc_u32_e32 v1, v1, v3
	s_delay_alu instid0(VALU_DEP_1)
	v_mad_u32 v0, v1, s4, v0
	v_mad_u32 v14, v1, s5, v14
.LBB95_1157:
	v_mov_b32_e32 v9, 0
	s_load_b128 s[4:7], s[20:21], 0x148
	global_load_u8 v1, v9, s[20:21] offset:361
	s_wait_kmcnt 0x0
	v_add_nc_u64_e32 v[16:17], s[6:7], v[8:9]
	s_wait_loadcnt 0x0
	v_and_b32_e32 v3, 0xffff, v1
	v_readfirstlane_b32 s0, v1
	s_delay_alu instid0(VALU_DEP_2)
	v_cmp_gt_i32_e32 vcc_lo, 11, v3
	s_cbranch_vccnz .LBB95_1164
; %bb.1158:
	s_and_b32 s1, 0xffff, s0
	s_mov_b32 s8, 0
	s_cmp_gt_i32 s1, 25
	s_cbranch_scc0 .LBB95_1166
; %bb.1159:
	s_cmp_gt_i32 s1, 28
	s_cbranch_scc0 .LBB95_1167
; %bb.1160:
	;; [unrolled: 3-line block ×4, first 2 shown]
	s_cmp_eq_u32 s1, 46
	s_mov_b32 s3, 0
	s_cbranch_scc0 .LBB95_1172
; %bb.1163:
	global_load_b32 v1, v[16:17], off
	s_mov_b32 s2, 0
	s_mov_b32 s9, -1
	s_wait_loadcnt 0x0
	v_lshlrev_b32_e32 v1, 16, v1
	s_wait_xcnt 0x1
	s_delay_alu instid0(VALU_DEP_1)
	v_cvt_f64_f32_e32 v[8:9], v1
	s_branch .LBB95_1174
.LBB95_1164:
	s_mov_b32 s9, 0
	s_mov_b32 s3, s11
                                        ; implicit-def: $vgpr8_vgpr9
	s_cbranch_execnz .LBB95_1237
.LBB95_1165:
	s_and_not1_b32 vcc_lo, exec_lo, s9
	s_cbranch_vccz .LBB95_1282
	s_branch .LBB95_2105
.LBB95_1166:
	s_mov_b32 s9, 0
	s_mov_b32 s2, 0
                                        ; implicit-def: $vgpr8_vgpr9
	s_cbranch_execnz .LBB95_1202
	s_branch .LBB95_1233
.LBB95_1167:
	s_mov_b32 s3, -1
	s_mov_b32 s9, 0
	s_mov_b32 s2, 0
                                        ; implicit-def: $vgpr8_vgpr9
	s_branch .LBB95_1183
.LBB95_1168:
	s_mov_b32 s9, 0
	s_mov_b32 s2, 0
                                        ; implicit-def: $vgpr8_vgpr9
	s_cbranch_execnz .LBB95_1179
	s_branch .LBB95_1182
.LBB95_1169:
	s_mov_b32 s3, -1
	s_mov_b32 s9, 0
	s_mov_b32 s2, 0
	s_branch .LBB95_1173
.LBB95_1170:
	s_and_not1_saveexec_b32 s8, s8
	s_cbranch_execz .LBB95_1009
.LBB95_1171:
	v_add_f32_e32 v2, 0x46000000, v3
	s_and_not1_b32 s7, s7, exec_lo
	s_delay_alu instid0(VALU_DEP_1) | instskip(NEXT) | instid1(VALU_DEP_1)
	v_and_b32_e32 v2, 0xff, v2
	v_cmp_ne_u32_e32 vcc_lo, 0, v2
	s_and_b32 s9, vcc_lo, exec_lo
	s_delay_alu instid0(SALU_CYCLE_1)
	s_or_b32 s7, s7, s9
	s_or_b32 exec_lo, exec_lo, s8
	v_mov_b32_e32 v4, 0
	s_and_saveexec_b32 s8, s7
	s_cbranch_execnz .LBB95_1010
	s_branch .LBB95_1011
.LBB95_1172:
	s_mov_b32 s2, -1
	s_mov_b32 s9, 0
.LBB95_1173:
                                        ; implicit-def: $vgpr8_vgpr9
.LBB95_1174:
	s_and_b32 vcc_lo, exec_lo, s3
	s_cbranch_vccz .LBB95_1177
; %bb.1175:
	s_cmp_eq_u32 s1, 44
	s_cbranch_scc0 .LBB95_1178
; %bb.1176:
	global_load_u8 v1, v[16:17], off
	s_mov_b32 s2, 0
	s_mov_b32 s9, -1
	s_wait_loadcnt 0x0
	v_lshlrev_b32_e32 v3, 23, v1
	v_cmp_ne_u32_e32 vcc_lo, 0xff, v1
	s_wait_xcnt 0x1
	s_delay_alu instid0(VALU_DEP_2) | instskip(NEXT) | instid1(VALU_DEP_1)
	v_cvt_f64_f32_e32 v[8:9], v3
	v_cndmask_b32_e32 v3, 0x20000000, v8, vcc_lo
	s_delay_alu instid0(VALU_DEP_2) | instskip(SKIP_1) | instid1(VALU_DEP_2)
	v_cndmask_b32_e32 v5, 0x7ff80000, v9, vcc_lo
	v_cmp_ne_u32_e32 vcc_lo, 0, v1
	v_cndmask_b32_e32 v9, 0x38000000, v5, vcc_lo
	s_delay_alu instid0(VALU_DEP_4)
	v_cndmask_b32_e32 v8, 0, v3, vcc_lo
.LBB95_1177:
	s_branch .LBB95_1182
.LBB95_1178:
	s_mov_b32 s2, -1
                                        ; implicit-def: $vgpr8_vgpr9
	s_branch .LBB95_1182
.LBB95_1179:
	s_cmp_eq_u32 s1, 29
	s_cbranch_scc0 .LBB95_1181
; %bb.1180:
	global_load_b64 v[8:9], v[16:17], off
	s_mov_b32 s2, 0
	s_mov_b32 s9, -1
	s_mov_b32 s3, 0
	s_wait_loadcnt 0x0
	v_cvt_f64_u32_e32 v[18:19], v9
	v_cvt_f64_u32_e32 v[8:9], v8
	s_delay_alu instid0(VALU_DEP_2) | instskip(NEXT) | instid1(VALU_DEP_1)
	v_ldexp_f64 v[18:19], v[18:19], 32
	v_add_f64_e32 v[8:9], v[18:19], v[8:9]
	s_branch .LBB95_1183
.LBB95_1181:
	s_mov_b32 s2, -1
                                        ; implicit-def: $vgpr8_vgpr9
.LBB95_1182:
	s_mov_b32 s3, 0
.LBB95_1183:
	s_delay_alu instid0(SALU_CYCLE_1)
	s_and_b32 vcc_lo, exec_lo, s3
	s_cbranch_vccz .LBB95_1201
; %bb.1184:
	s_cmp_lt_i32 s1, 27
	s_cbranch_scc1 .LBB95_1187
; %bb.1185:
	s_cmp_gt_i32 s1, 27
	s_cbranch_scc0 .LBB95_1188
; %bb.1186:
	global_load_b32 v1, v[16:17], off
	s_mov_b32 s3, 0
	s_wait_loadcnt 0x0
	s_wait_xcnt 0x1
	v_cvt_f64_u32_e32 v[8:9], v1
	s_branch .LBB95_1189
.LBB95_1187:
	s_mov_b32 s3, -1
                                        ; implicit-def: $vgpr8_vgpr9
	s_branch .LBB95_1192
.LBB95_1188:
	s_mov_b32 s3, -1
                                        ; implicit-def: $vgpr8_vgpr9
.LBB95_1189:
	s_delay_alu instid0(SALU_CYCLE_1)
	s_and_not1_b32 vcc_lo, exec_lo, s3
	s_cbranch_vccnz .LBB95_1191
; %bb.1190:
	global_load_u16 v1, v[16:17], off
	s_wait_loadcnt 0x0
	s_wait_xcnt 0x1
	v_cvt_f64_u32_e32 v[8:9], v1
.LBB95_1191:
	s_mov_b32 s3, 0
.LBB95_1192:
	s_delay_alu instid0(SALU_CYCLE_1)
	s_and_not1_b32 vcc_lo, exec_lo, s3
	s_cbranch_vccnz .LBB95_1200
; %bb.1193:
	global_load_u8 v1, v[16:17], off
	s_mov_b32 s3, 0
	s_mov_b32 s9, exec_lo
	s_wait_loadcnt 0x0
	v_cmpx_lt_i16_e32 0x7f, v1
	s_xor_b32 s9, exec_lo, s9
	s_cbranch_execz .LBB95_1213
; %bb.1194:
	s_mov_b32 s3, -1
	s_mov_b32 s10, exec_lo
	v_cmpx_eq_u16_e32 0x80, v1
; %bb.1195:
	s_xor_b32 s3, exec_lo, -1
; %bb.1196:
	s_or_b32 exec_lo, exec_lo, s10
	s_delay_alu instid0(SALU_CYCLE_1)
	s_and_b32 s3, s3, exec_lo
	s_or_saveexec_b32 s9, s9
	v_mov_b64_e32 v[8:9], 0x7ff8000020000000
	s_xor_b32 exec_lo, exec_lo, s9
	s_cbranch_execnz .LBB95_1214
.LBB95_1197:
	s_or_b32 exec_lo, exec_lo, s9
	s_and_saveexec_b32 s9, s3
	s_cbranch_execz .LBB95_1199
.LBB95_1198:
	v_and_b32_e32 v3, 0xffff, v1
	s_delay_alu instid0(VALU_DEP_1) | instskip(SKIP_1) | instid1(VALU_DEP_2)
	v_dual_lshlrev_b32 v1, 24, v1 :: v_dual_bitop2_b32 v5, 7, v3 bitop3:0x40
	v_bfe_u32 v9, v3, 3, 4
	v_and_b32_e32 v1, 0x80000000, v1
	s_delay_alu instid0(VALU_DEP_3) | instskip(NEXT) | instid1(VALU_DEP_3)
	v_clz_i32_u32_e32 v7, v5
	v_cmp_eq_u32_e32 vcc_lo, 0, v9
	s_delay_alu instid0(VALU_DEP_2) | instskip(NEXT) | instid1(VALU_DEP_1)
	v_min_u32_e32 v7, 32, v7
	v_subrev_nc_u32_e32 v8, 28, v7
	v_sub_nc_u32_e32 v7, 29, v7
	s_delay_alu instid0(VALU_DEP_2) | instskip(NEXT) | instid1(VALU_DEP_2)
	v_lshlrev_b32_e32 v3, v8, v3
	v_cndmask_b32_e32 v7, v9, v7, vcc_lo
	s_delay_alu instid0(VALU_DEP_2) | instskip(NEXT) | instid1(VALU_DEP_1)
	v_and_b32_e32 v3, 7, v3
	v_cndmask_b32_e32 v3, v5, v3, vcc_lo
	s_delay_alu instid0(VALU_DEP_3) | instskip(NEXT) | instid1(VALU_DEP_2)
	v_lshl_add_u32 v5, v7, 23, 0x3b800000
	v_lshlrev_b32_e32 v3, 20, v3
	s_delay_alu instid0(VALU_DEP_1) | instskip(NEXT) | instid1(VALU_DEP_1)
	v_or3_b32 v1, v1, v5, v3
	v_cvt_f64_f32_e32 v[8:9], v1
.LBB95_1199:
	s_or_b32 exec_lo, exec_lo, s9
.LBB95_1200:
	s_mov_b32 s9, -1
.LBB95_1201:
	s_branch .LBB95_1233
.LBB95_1202:
	s_cmp_gt_i32 s1, 22
	s_cbranch_scc0 .LBB95_1212
; %bb.1203:
	s_cmp_lt_i32 s1, 24
	s_cbranch_scc1 .LBB95_1215
; %bb.1204:
	s_cmp_gt_i32 s1, 24
	s_cbranch_scc0 .LBB95_1216
; %bb.1205:
	global_load_u8 v1, v[16:17], off
	s_mov_b32 s3, 0
	s_mov_b32 s8, exec_lo
	s_wait_loadcnt 0x0
	v_cmpx_lt_i16_e32 0x7f, v1
	s_xor_b32 s8, exec_lo, s8
	s_cbranch_execz .LBB95_1227
; %bb.1206:
	s_mov_b32 s3, -1
	s_mov_b32 s9, exec_lo
	v_cmpx_eq_u16_e32 0x80, v1
; %bb.1207:
	s_xor_b32 s3, exec_lo, -1
; %bb.1208:
	s_or_b32 exec_lo, exec_lo, s9
	s_delay_alu instid0(SALU_CYCLE_1)
	s_and_b32 s3, s3, exec_lo
	s_or_saveexec_b32 s8, s8
	v_mov_b64_e32 v[8:9], 0x7ff8000020000000
	s_xor_b32 exec_lo, exec_lo, s8
	s_cbranch_execnz .LBB95_1228
.LBB95_1209:
	s_or_b32 exec_lo, exec_lo, s8
	s_and_saveexec_b32 s8, s3
	s_cbranch_execz .LBB95_1211
.LBB95_1210:
	v_and_b32_e32 v3, 0xffff, v1
	s_delay_alu instid0(VALU_DEP_1) | instskip(SKIP_1) | instid1(VALU_DEP_2)
	v_dual_lshlrev_b32 v1, 24, v1 :: v_dual_bitop2_b32 v5, 3, v3 bitop3:0x40
	v_bfe_u32 v9, v3, 2, 5
	v_and_b32_e32 v1, 0x80000000, v1
	s_delay_alu instid0(VALU_DEP_3) | instskip(NEXT) | instid1(VALU_DEP_3)
	v_clz_i32_u32_e32 v7, v5
	v_cmp_eq_u32_e32 vcc_lo, 0, v9
	s_delay_alu instid0(VALU_DEP_2) | instskip(NEXT) | instid1(VALU_DEP_1)
	v_min_u32_e32 v7, 32, v7
	v_subrev_nc_u32_e32 v8, 29, v7
	v_sub_nc_u32_e32 v7, 30, v7
	s_delay_alu instid0(VALU_DEP_2) | instskip(NEXT) | instid1(VALU_DEP_2)
	v_lshlrev_b32_e32 v3, v8, v3
	v_cndmask_b32_e32 v7, v9, v7, vcc_lo
	s_delay_alu instid0(VALU_DEP_2) | instskip(NEXT) | instid1(VALU_DEP_1)
	v_and_b32_e32 v3, 3, v3
	v_cndmask_b32_e32 v3, v5, v3, vcc_lo
	s_delay_alu instid0(VALU_DEP_3) | instskip(NEXT) | instid1(VALU_DEP_2)
	v_lshl_add_u32 v5, v7, 23, 0x37800000
	v_lshlrev_b32_e32 v3, 21, v3
	s_delay_alu instid0(VALU_DEP_1) | instskip(NEXT) | instid1(VALU_DEP_1)
	v_or3_b32 v1, v1, v5, v3
	v_cvt_f64_f32_e32 v[8:9], v1
.LBB95_1211:
	s_or_b32 exec_lo, exec_lo, s8
	s_mov_b32 s3, 0
	s_branch .LBB95_1217
.LBB95_1212:
                                        ; implicit-def: $vgpr8_vgpr9
	s_mov_b32 s8, 0
	s_branch .LBB95_1223
.LBB95_1213:
	s_or_saveexec_b32 s9, s9
	v_mov_b64_e32 v[8:9], 0x7ff8000020000000
	s_xor_b32 exec_lo, exec_lo, s9
	s_cbranch_execz .LBB95_1197
.LBB95_1214:
	v_cmp_ne_u16_e32 vcc_lo, 0, v1
	v_mov_b64_e32 v[8:9], 0
	s_and_not1_b32 s3, s3, exec_lo
	s_and_b32 s10, vcc_lo, exec_lo
	s_delay_alu instid0(SALU_CYCLE_1)
	s_or_b32 s3, s3, s10
	s_or_b32 exec_lo, exec_lo, s9
	s_and_saveexec_b32 s9, s3
	s_cbranch_execnz .LBB95_1198
	s_branch .LBB95_1199
.LBB95_1215:
	s_mov_b32 s3, -1
                                        ; implicit-def: $vgpr8_vgpr9
	s_branch .LBB95_1220
.LBB95_1216:
	s_mov_b32 s3, -1
                                        ; implicit-def: $vgpr8_vgpr9
.LBB95_1217:
	s_delay_alu instid0(SALU_CYCLE_1)
	s_and_b32 vcc_lo, exec_lo, s3
	s_cbranch_vccz .LBB95_1219
; %bb.1218:
	global_load_u8 v1, v[16:17], off
	s_wait_loadcnt 0x0
	v_lshlrev_b32_e32 v1, 24, v1
	s_delay_alu instid0(VALU_DEP_1) | instskip(NEXT) | instid1(VALU_DEP_1)
	v_and_b32_e32 v3, 0x7f000000, v1
	v_clz_i32_u32_e32 v5, v3
	v_cmp_ne_u32_e32 vcc_lo, 0, v3
	v_add_nc_u32_e32 v8, 0x1000000, v3
	s_delay_alu instid0(VALU_DEP_3) | instskip(NEXT) | instid1(VALU_DEP_1)
	v_min_u32_e32 v5, 32, v5
	v_sub_nc_u32_e64 v5, v5, 4 clamp
	s_delay_alu instid0(VALU_DEP_1) | instskip(NEXT) | instid1(VALU_DEP_1)
	v_dual_lshlrev_b32 v7, v5, v3 :: v_dual_lshlrev_b32 v5, 23, v5
	v_lshrrev_b32_e32 v7, 4, v7
	s_delay_alu instid0(VALU_DEP_1) | instskip(NEXT) | instid1(VALU_DEP_1)
	v_dual_sub_nc_u32 v5, v7, v5 :: v_dual_ashrrev_i32 v7, 8, v8
	v_add_nc_u32_e32 v5, 0x3c000000, v5
	s_delay_alu instid0(VALU_DEP_1) | instskip(NEXT) | instid1(VALU_DEP_1)
	v_and_or_b32 v5, 0x7f800000, v7, v5
	v_cndmask_b32_e32 v3, 0, v5, vcc_lo
	s_delay_alu instid0(VALU_DEP_1) | instskip(SKIP_1) | instid1(VALU_DEP_1)
	v_and_or_b32 v1, 0x80000000, v1, v3
	s_wait_xcnt 0x1
	v_cvt_f64_f32_e32 v[8:9], v1
.LBB95_1219:
	s_mov_b32 s3, 0
.LBB95_1220:
	s_delay_alu instid0(SALU_CYCLE_1)
	s_and_not1_b32 vcc_lo, exec_lo, s3
	s_cbranch_vccnz .LBB95_1222
; %bb.1221:
	global_load_u8 v1, v[16:17], off
	s_wait_loadcnt 0x0
	v_lshlrev_b32_e32 v3, 25, v1
	v_lshlrev_b16 v1, 8, v1
	s_delay_alu instid0(VALU_DEP_1) | instskip(SKIP_1) | instid1(VALU_DEP_2)
	v_and_or_b32 v7, 0x7f00, v1, 0.5
	v_bfe_i32 v1, v1, 0, 16
	v_add_f32_e32 v7, -0.5, v7
	v_lshrrev_b32_e32 v5, 4, v3
	v_cmp_gt_u32_e32 vcc_lo, 0x8000000, v3
	s_delay_alu instid0(VALU_DEP_2) | instskip(NEXT) | instid1(VALU_DEP_1)
	v_or_b32_e32 v5, 0x70000000, v5
	v_mul_f32_e32 v5, 0x7800000, v5
	s_delay_alu instid0(VALU_DEP_1) | instskip(NEXT) | instid1(VALU_DEP_1)
	v_cndmask_b32_e32 v3, v5, v7, vcc_lo
	v_and_or_b32 v1, 0x80000000, v1, v3
	s_wait_xcnt 0x1
	s_delay_alu instid0(VALU_DEP_1)
	v_cvt_f64_f32_e32 v[8:9], v1
.LBB95_1222:
	s_mov_b32 s9, -1
	s_mov_b32 s8, 0
	s_cbranch_execnz .LBB95_1233
.LBB95_1223:
	s_cmp_gt_i32 s1, 14
	s_cbranch_scc0 .LBB95_1226
; %bb.1224:
	s_cmp_eq_u32 s1, 15
	s_cbranch_scc0 .LBB95_1229
; %bb.1225:
	global_load_u16 v1, v[16:17], off
	s_mov_b32 s2, 0
	s_mov_b32 s9, -1
	s_wait_loadcnt 0x0
	v_lshlrev_b32_e32 v1, 16, v1
	s_wait_xcnt 0x1
	s_delay_alu instid0(VALU_DEP_1)
	v_cvt_f64_f32_e32 v[8:9], v1
	s_branch .LBB95_1230
.LBB95_1226:
	s_mov_b32 s3, -1
                                        ; implicit-def: $vgpr8_vgpr9
	s_branch .LBB95_1231
.LBB95_1227:
	s_or_saveexec_b32 s8, s8
	v_mov_b64_e32 v[8:9], 0x7ff8000020000000
	s_xor_b32 exec_lo, exec_lo, s8
	s_cbranch_execz .LBB95_1209
.LBB95_1228:
	v_cmp_ne_u16_e32 vcc_lo, 0, v1
	v_mov_b64_e32 v[8:9], 0
	s_and_not1_b32 s3, s3, exec_lo
	s_and_b32 s9, vcc_lo, exec_lo
	s_delay_alu instid0(SALU_CYCLE_1)
	s_or_b32 s3, s3, s9
	s_or_b32 exec_lo, exec_lo, s8
	s_and_saveexec_b32 s8, s3
	s_cbranch_execnz .LBB95_1210
	s_branch .LBB95_1211
.LBB95_1229:
	s_mov_b32 s2, -1
                                        ; implicit-def: $vgpr8_vgpr9
.LBB95_1230:
	s_mov_b32 s3, 0
.LBB95_1231:
	s_delay_alu instid0(SALU_CYCLE_1)
	s_and_b32 vcc_lo, exec_lo, s3
	s_cbranch_vccz .LBB95_1233
; %bb.1232:
	s_cmp_lg_u32 s1, 11
	s_mov_b32 s8, -1
	s_cselect_b32 s2, -1, 0
.LBB95_1233:
	s_delay_alu instid0(SALU_CYCLE_1)
	s_and_b32 vcc_lo, exec_lo, s2
	s_mov_b32 s3, s11
	s_cbranch_vccnz .LBB95_1294
; %bb.1234:
	s_and_not1_b32 vcc_lo, exec_lo, s8
	s_cbranch_vccnz .LBB95_1236
.LBB95_1235:
	global_load_u8 v1, v[16:17], off
	v_mov_b32_e32 v8, 0
	s_mov_b32 s9, -1
	s_wait_loadcnt 0x0
	v_cmp_ne_u16_e32 vcc_lo, 0, v1
	s_wait_xcnt 0x1
	v_cndmask_b32_e64 v9, 0, 0x3ff00000, vcc_lo
.LBB95_1236:
	s_branch .LBB95_1165
.LBB95_1237:
	s_and_b32 s1, 0xffff, s0
	s_delay_alu instid0(SALU_CYCLE_1)
	s_cmp_lt_i32 s1, 5
	s_cbranch_scc1 .LBB95_1242
; %bb.1238:
	s_cmp_lt_i32 s1, 8
	s_cbranch_scc1 .LBB95_1243
; %bb.1239:
	;; [unrolled: 3-line block ×3, first 2 shown]
	s_cmp_gt_i32 s1, 9
	s_cbranch_scc0 .LBB95_1245
; %bb.1241:
	global_load_b64 v[8:9], v[16:17], off
	s_mov_b32 s2, 0
	s_branch .LBB95_1246
.LBB95_1242:
                                        ; implicit-def: $vgpr8_vgpr9
	s_branch .LBB95_1263
.LBB95_1243:
                                        ; implicit-def: $vgpr8_vgpr9
	s_branch .LBB95_1252
.LBB95_1244:
	s_mov_b32 s2, -1
                                        ; implicit-def: $vgpr8_vgpr9
	s_branch .LBB95_1249
.LBB95_1245:
	s_mov_b32 s2, -1
                                        ; implicit-def: $vgpr8_vgpr9
.LBB95_1246:
	s_delay_alu instid0(SALU_CYCLE_1)
	s_and_not1_b32 vcc_lo, exec_lo, s2
	s_cbranch_vccnz .LBB95_1248
; %bb.1247:
	global_load_b32 v1, v[16:17], off
	s_wait_loadcnt 0x0
	s_wait_xcnt 0x1
	v_cvt_f64_f32_e32 v[8:9], v1
.LBB95_1248:
	s_mov_b32 s2, 0
.LBB95_1249:
	s_delay_alu instid0(SALU_CYCLE_1)
	s_and_not1_b32 vcc_lo, exec_lo, s2
	s_cbranch_vccnz .LBB95_1251
; %bb.1250:
	global_load_b32 v1, v[16:17], off
	s_wait_loadcnt 0x0
	v_cvt_f32_f16_e32 v1, v1
	s_wait_xcnt 0x1
	s_delay_alu instid0(VALU_DEP_1)
	v_cvt_f64_f32_e32 v[8:9], v1
.LBB95_1251:
	s_cbranch_execnz .LBB95_1262
.LBB95_1252:
	s_cmp_lt_i32 s1, 6
	s_cbranch_scc1 .LBB95_1255
; %bb.1253:
	s_cmp_gt_i32 s1, 6
	s_cbranch_scc0 .LBB95_1256
; %bb.1254:
	s_wait_loadcnt 0x0
	global_load_b64 v[8:9], v[16:17], off
	s_mov_b32 s2, 0
	s_branch .LBB95_1257
.LBB95_1255:
	s_mov_b32 s2, -1
                                        ; implicit-def: $vgpr8_vgpr9
	s_branch .LBB95_1260
.LBB95_1256:
	s_mov_b32 s2, -1
                                        ; implicit-def: $vgpr8_vgpr9
.LBB95_1257:
	s_delay_alu instid0(SALU_CYCLE_1)
	s_and_not1_b32 vcc_lo, exec_lo, s2
	s_cbranch_vccnz .LBB95_1259
; %bb.1258:
	global_load_b32 v1, v[16:17], off
	s_wait_loadcnt 0x0
	s_wait_xcnt 0x1
	v_cvt_f64_f32_e32 v[8:9], v1
.LBB95_1259:
	s_mov_b32 s2, 0
.LBB95_1260:
	s_delay_alu instid0(SALU_CYCLE_1)
	s_and_not1_b32 vcc_lo, exec_lo, s2
	s_cbranch_vccnz .LBB95_1262
; %bb.1261:
	global_load_u16 v1, v[16:17], off
	s_wait_loadcnt 0x0
	v_cvt_f32_f16_e32 v1, v1
	s_wait_xcnt 0x1
	s_delay_alu instid0(VALU_DEP_1)
	v_cvt_f64_f32_e32 v[8:9], v1
.LBB95_1262:
	s_cbranch_execnz .LBB95_1281
.LBB95_1263:
	s_cmp_lt_i32 s1, 2
	s_cbranch_scc1 .LBB95_1267
; %bb.1264:
	s_cmp_lt_i32 s1, 3
	s_cbranch_scc1 .LBB95_1268
; %bb.1265:
	s_cmp_gt_i32 s1, 3
	s_cbranch_scc0 .LBB95_1269
; %bb.1266:
	s_wait_loadcnt 0x0
	global_load_b64 v[8:9], v[16:17], off
	s_mov_b32 s2, 0
	s_wait_loadcnt 0x0
	v_cvt_f64_i32_e32 v[18:19], v9
	v_cvt_f64_u32_e32 v[8:9], v8
	s_delay_alu instid0(VALU_DEP_2) | instskip(NEXT) | instid1(VALU_DEP_1)
	v_ldexp_f64 v[18:19], v[18:19], 32
	v_add_f64_e32 v[8:9], v[18:19], v[8:9]
	s_branch .LBB95_1270
.LBB95_1267:
                                        ; implicit-def: $vgpr8_vgpr9
	s_branch .LBB95_1276
.LBB95_1268:
	s_mov_b32 s2, -1
                                        ; implicit-def: $vgpr8_vgpr9
	s_branch .LBB95_1273
.LBB95_1269:
	s_mov_b32 s2, -1
                                        ; implicit-def: $vgpr8_vgpr9
.LBB95_1270:
	s_delay_alu instid0(SALU_CYCLE_1)
	s_and_not1_b32 vcc_lo, exec_lo, s2
	s_cbranch_vccnz .LBB95_1272
; %bb.1271:
	global_load_b32 v1, v[16:17], off
	s_wait_loadcnt 0x0
	s_wait_xcnt 0x1
	v_cvt_f64_i32_e32 v[8:9], v1
.LBB95_1272:
	s_mov_b32 s2, 0
.LBB95_1273:
	s_delay_alu instid0(SALU_CYCLE_1)
	s_and_not1_b32 vcc_lo, exec_lo, s2
	s_cbranch_vccnz .LBB95_1275
; %bb.1274:
	global_load_i16 v1, v[16:17], off
	s_wait_loadcnt 0x0
	s_wait_xcnt 0x1
	v_cvt_f64_i32_e32 v[8:9], v1
.LBB95_1275:
	s_cbranch_execnz .LBB95_1281
.LBB95_1276:
	s_cmp_gt_i32 s1, 0
	s_mov_b32 s1, 0
	s_cbranch_scc0 .LBB95_1278
; %bb.1277:
	global_load_i8 v1, v[16:17], off
	s_wait_loadcnt 0x0
	s_wait_xcnt 0x1
	v_cvt_f64_i32_e32 v[8:9], v1
	s_branch .LBB95_1279
.LBB95_1278:
	s_mov_b32 s1, -1
                                        ; implicit-def: $vgpr8_vgpr9
.LBB95_1279:
	s_delay_alu instid0(SALU_CYCLE_1)
	s_and_not1_b32 vcc_lo, exec_lo, s1
	s_cbranch_vccnz .LBB95_1281
; %bb.1280:
	global_load_u8 v1, v[16:17], off
	s_wait_loadcnt 0x0
	s_wait_xcnt 0x1
	v_cvt_f64_u32_e32 v[8:9], v1
.LBB95_1281:
.LBB95_1282:
	v_mov_b32_e32 v11, 0
	s_and_b32 s0, 0xffff, s0
	s_delay_alu instid0(SALU_CYCLE_1) | instskip(SKIP_1) | instid1(VALU_DEP_1)
	s_cmp_lt_i32 s0, 11
	s_wait_xcnt 0x0
	v_add_nc_u64_e32 v[16:17], s[6:7], v[10:11]
	s_cbranch_scc1 .LBB95_1289
; %bb.1283:
	s_cmp_gt_i32 s0, 25
	s_mov_b32 s2, 0
	s_cbranch_scc0 .LBB95_1291
; %bb.1284:
	s_cmp_gt_i32 s0, 28
	s_cbranch_scc0 .LBB95_1292
; %bb.1285:
	s_cmp_gt_i32 s0, 43
	;; [unrolled: 3-line block ×3, first 2 shown]
	s_cbranch_scc0 .LBB95_1295
; %bb.1287:
	s_cmp_eq_u32 s0, 46
	s_mov_b32 s9, 0
	s_cbranch_scc0 .LBB95_1298
; %bb.1288:
	global_load_b32 v1, v[16:17], off
	s_mov_b32 s1, 0
	s_mov_b32 s8, -1
	s_wait_loadcnt 0x0
	v_lshlrev_b32_e32 v1, 16, v1
	s_delay_alu instid0(VALU_DEP_1)
	v_cvt_f64_f32_e32 v[10:11], v1
	s_branch .LBB95_1300
.LBB95_1289:
	s_mov_b32 s8, 0
                                        ; implicit-def: $vgpr10_vgpr11
	s_cbranch_execnz .LBB95_1365
.LBB95_1290:
	s_and_not1_b32 vcc_lo, exec_lo, s8
	s_cbranch_vccnz .LBB95_2105
	s_branch .LBB95_1412
.LBB95_1291:
	s_mov_b32 s8, 0
	s_mov_b32 s1, 0
                                        ; implicit-def: $vgpr10_vgpr11
	s_cbranch_execnz .LBB95_1329
	s_branch .LBB95_1361
.LBB95_1292:
	s_mov_b32 s9, -1
	s_mov_b32 s8, 0
	s_mov_b32 s1, 0
                                        ; implicit-def: $vgpr10_vgpr11
	s_branch .LBB95_1310
.LBB95_1293:
	s_mov_b32 s9, -1
	s_mov_b32 s8, 0
	s_mov_b32 s1, 0
                                        ; implicit-def: $vgpr10_vgpr11
	s_branch .LBB95_1305
.LBB95_1294:
	s_or_b32 s3, s11, exec_lo
	s_trap 2
	s_cbranch_execz .LBB95_1235
	s_branch .LBB95_1236
.LBB95_1295:
	s_mov_b32 s9, -1
	s_mov_b32 s8, 0
	s_mov_b32 s1, 0
	s_branch .LBB95_1299
.LBB95_1296:
	s_and_not1_saveexec_b32 s9, s9
	s_cbranch_execz .LBB95_1021
.LBB95_1297:
	v_add_f32_e32 v2, 0x42800000, v3
	s_and_not1_b32 s8, s8, exec_lo
	s_delay_alu instid0(VALU_DEP_1) | instskip(NEXT) | instid1(VALU_DEP_1)
	v_and_b32_e32 v2, 0xff, v2
	v_cmp_ne_u32_e32 vcc_lo, 0, v2
	s_and_b32 s10, vcc_lo, exec_lo
	s_delay_alu instid0(SALU_CYCLE_1)
	s_or_b32 s8, s8, s10
	s_or_b32 exec_lo, exec_lo, s9
	v_mov_b32_e32 v4, 0
	s_and_saveexec_b32 s9, s8
	s_cbranch_execnz .LBB95_1022
	s_branch .LBB95_1023
.LBB95_1298:
	s_mov_b32 s1, -1
	s_mov_b32 s8, 0
.LBB95_1299:
                                        ; implicit-def: $vgpr10_vgpr11
.LBB95_1300:
	s_and_b32 vcc_lo, exec_lo, s9
	s_cbranch_vccz .LBB95_1304
; %bb.1301:
	s_cmp_eq_u32 s0, 44
	s_cbranch_scc0 .LBB95_1303
; %bb.1302:
	global_load_u8 v1, v[16:17], off
	s_mov_b32 s1, 0
	s_mov_b32 s8, -1
	s_wait_loadcnt 0x0
	v_lshlrev_b32_e32 v3, 23, v1
	v_cmp_ne_u32_e32 vcc_lo, 0xff, v1
	s_delay_alu instid0(VALU_DEP_2) | instskip(NEXT) | instid1(VALU_DEP_1)
	v_cvt_f64_f32_e32 v[10:11], v3
	v_cndmask_b32_e32 v3, 0x20000000, v10, vcc_lo
	s_delay_alu instid0(VALU_DEP_2) | instskip(SKIP_1) | instid1(VALU_DEP_2)
	v_cndmask_b32_e32 v5, 0x7ff80000, v11, vcc_lo
	v_cmp_ne_u32_e32 vcc_lo, 0, v1
	v_cndmask_b32_e32 v11, 0x38000000, v5, vcc_lo
	s_delay_alu instid0(VALU_DEP_4)
	v_cndmask_b32_e32 v10, 0, v3, vcc_lo
	s_branch .LBB95_1304
.LBB95_1303:
	s_mov_b32 s1, -1
                                        ; implicit-def: $vgpr10_vgpr11
.LBB95_1304:
	s_mov_b32 s9, 0
.LBB95_1305:
	s_delay_alu instid0(SALU_CYCLE_1)
	s_and_b32 vcc_lo, exec_lo, s9
	s_cbranch_vccz .LBB95_1309
; %bb.1306:
	s_cmp_eq_u32 s0, 29
	s_cbranch_scc0 .LBB95_1308
; %bb.1307:
	global_load_b64 v[10:11], v[16:17], off
	s_mov_b32 s1, 0
	s_mov_b32 s8, -1
	s_mov_b32 s9, 0
	s_wait_loadcnt 0x0
	v_cvt_f64_u32_e32 v[18:19], v11
	v_cvt_f64_u32_e32 v[10:11], v10
	s_delay_alu instid0(VALU_DEP_2) | instskip(NEXT) | instid1(VALU_DEP_1)
	v_ldexp_f64 v[18:19], v[18:19], 32
	v_add_f64_e32 v[10:11], v[18:19], v[10:11]
	s_branch .LBB95_1310
.LBB95_1308:
	s_mov_b32 s1, -1
                                        ; implicit-def: $vgpr10_vgpr11
.LBB95_1309:
	s_mov_b32 s9, 0
.LBB95_1310:
	s_delay_alu instid0(SALU_CYCLE_1)
	s_and_b32 vcc_lo, exec_lo, s9
	s_cbranch_vccz .LBB95_1328
; %bb.1311:
	s_cmp_lt_i32 s0, 27
	s_cbranch_scc1 .LBB95_1314
; %bb.1312:
	s_cmp_gt_i32 s0, 27
	s_cbranch_scc0 .LBB95_1315
; %bb.1313:
	global_load_b32 v1, v[16:17], off
	s_mov_b32 s8, 0
	s_wait_loadcnt 0x0
	v_cvt_f64_u32_e32 v[10:11], v1
	s_branch .LBB95_1316
.LBB95_1314:
	s_mov_b32 s8, -1
                                        ; implicit-def: $vgpr10_vgpr11
	s_branch .LBB95_1319
.LBB95_1315:
	s_mov_b32 s8, -1
                                        ; implicit-def: $vgpr10_vgpr11
.LBB95_1316:
	s_delay_alu instid0(SALU_CYCLE_1)
	s_and_not1_b32 vcc_lo, exec_lo, s8
	s_cbranch_vccnz .LBB95_1318
; %bb.1317:
	global_load_u16 v1, v[16:17], off
	s_wait_loadcnt 0x0
	v_cvt_f64_u32_e32 v[10:11], v1
.LBB95_1318:
	s_mov_b32 s8, 0
.LBB95_1319:
	s_delay_alu instid0(SALU_CYCLE_1)
	s_and_not1_b32 vcc_lo, exec_lo, s8
	s_cbranch_vccnz .LBB95_1327
; %bb.1320:
	global_load_u8 v1, v[16:17], off
	s_mov_b32 s8, 0
	s_mov_b32 s9, exec_lo
	s_wait_loadcnt 0x0
	v_cmpx_lt_i16_e32 0x7f, v1
	s_xor_b32 s9, exec_lo, s9
	s_cbranch_execz .LBB95_1340
; %bb.1321:
	s_mov_b32 s8, -1
	s_mov_b32 s10, exec_lo
	v_cmpx_eq_u16_e32 0x80, v1
; %bb.1322:
	s_xor_b32 s8, exec_lo, -1
; %bb.1323:
	s_or_b32 exec_lo, exec_lo, s10
	s_delay_alu instid0(SALU_CYCLE_1)
	s_and_b32 s8, s8, exec_lo
	s_or_saveexec_b32 s9, s9
	v_mov_b64_e32 v[10:11], 0x7ff8000020000000
	s_xor_b32 exec_lo, exec_lo, s9
	s_cbranch_execnz .LBB95_1341
.LBB95_1324:
	s_or_b32 exec_lo, exec_lo, s9
	s_and_saveexec_b32 s9, s8
	s_cbranch_execz .LBB95_1326
.LBB95_1325:
	v_and_b32_e32 v3, 0xffff, v1
	s_delay_alu instid0(VALU_DEP_1) | instskip(SKIP_1) | instid1(VALU_DEP_2)
	v_dual_lshlrev_b32 v1, 24, v1 :: v_dual_bitop2_b32 v5, 7, v3 bitop3:0x40
	v_bfe_u32 v11, v3, 3, 4
	v_and_b32_e32 v1, 0x80000000, v1
	s_delay_alu instid0(VALU_DEP_3) | instskip(NEXT) | instid1(VALU_DEP_3)
	v_clz_i32_u32_e32 v7, v5
	v_cmp_eq_u32_e32 vcc_lo, 0, v11
	s_delay_alu instid0(VALU_DEP_2) | instskip(NEXT) | instid1(VALU_DEP_1)
	v_min_u32_e32 v7, 32, v7
	v_subrev_nc_u32_e32 v10, 28, v7
	v_sub_nc_u32_e32 v7, 29, v7
	s_delay_alu instid0(VALU_DEP_2) | instskip(NEXT) | instid1(VALU_DEP_2)
	v_lshlrev_b32_e32 v3, v10, v3
	v_cndmask_b32_e32 v7, v11, v7, vcc_lo
	s_delay_alu instid0(VALU_DEP_2) | instskip(NEXT) | instid1(VALU_DEP_1)
	v_and_b32_e32 v3, 7, v3
	v_cndmask_b32_e32 v3, v5, v3, vcc_lo
	s_delay_alu instid0(VALU_DEP_3) | instskip(NEXT) | instid1(VALU_DEP_2)
	v_lshl_add_u32 v5, v7, 23, 0x3b800000
	v_lshlrev_b32_e32 v3, 20, v3
	s_delay_alu instid0(VALU_DEP_1) | instskip(NEXT) | instid1(VALU_DEP_1)
	v_or3_b32 v1, v1, v5, v3
	v_cvt_f64_f32_e32 v[10:11], v1
.LBB95_1326:
	s_or_b32 exec_lo, exec_lo, s9
.LBB95_1327:
	s_mov_b32 s8, -1
.LBB95_1328:
	s_branch .LBB95_1361
.LBB95_1329:
	s_cmp_gt_i32 s0, 22
	s_cbranch_scc0 .LBB95_1339
; %bb.1330:
	s_cmp_lt_i32 s0, 24
	s_cbranch_scc1 .LBB95_1342
; %bb.1331:
	s_cmp_gt_i32 s0, 24
	s_cbranch_scc0 .LBB95_1343
; %bb.1332:
	global_load_u8 v1, v[16:17], off
	s_mov_b32 s8, exec_lo
	s_wait_loadcnt 0x0
	v_cmpx_lt_i16_e32 0x7f, v1
	s_xor_b32 s8, exec_lo, s8
	s_cbranch_execz .LBB95_1355
; %bb.1333:
	s_mov_b32 s2, -1
	s_mov_b32 s9, exec_lo
	v_cmpx_eq_u16_e32 0x80, v1
; %bb.1334:
	s_xor_b32 s2, exec_lo, -1
; %bb.1335:
	s_or_b32 exec_lo, exec_lo, s9
	s_delay_alu instid0(SALU_CYCLE_1)
	s_and_b32 s2, s2, exec_lo
	s_or_saveexec_b32 s8, s8
	v_mov_b64_e32 v[10:11], 0x7ff8000020000000
	s_xor_b32 exec_lo, exec_lo, s8
	s_cbranch_execnz .LBB95_1356
.LBB95_1336:
	s_or_b32 exec_lo, exec_lo, s8
	s_and_saveexec_b32 s8, s2
	s_cbranch_execz .LBB95_1338
.LBB95_1337:
	v_and_b32_e32 v3, 0xffff, v1
	s_delay_alu instid0(VALU_DEP_1) | instskip(SKIP_1) | instid1(VALU_DEP_2)
	v_dual_lshlrev_b32 v1, 24, v1 :: v_dual_bitop2_b32 v5, 3, v3 bitop3:0x40
	v_bfe_u32 v11, v3, 2, 5
	v_and_b32_e32 v1, 0x80000000, v1
	s_delay_alu instid0(VALU_DEP_3) | instskip(NEXT) | instid1(VALU_DEP_3)
	v_clz_i32_u32_e32 v7, v5
	v_cmp_eq_u32_e32 vcc_lo, 0, v11
	s_delay_alu instid0(VALU_DEP_2) | instskip(NEXT) | instid1(VALU_DEP_1)
	v_min_u32_e32 v7, 32, v7
	v_subrev_nc_u32_e32 v10, 29, v7
	v_sub_nc_u32_e32 v7, 30, v7
	s_delay_alu instid0(VALU_DEP_2) | instskip(NEXT) | instid1(VALU_DEP_2)
	v_lshlrev_b32_e32 v3, v10, v3
	v_cndmask_b32_e32 v7, v11, v7, vcc_lo
	s_delay_alu instid0(VALU_DEP_2) | instskip(NEXT) | instid1(VALU_DEP_1)
	v_and_b32_e32 v3, 3, v3
	v_cndmask_b32_e32 v3, v5, v3, vcc_lo
	s_delay_alu instid0(VALU_DEP_3) | instskip(NEXT) | instid1(VALU_DEP_2)
	v_lshl_add_u32 v5, v7, 23, 0x37800000
	v_lshlrev_b32_e32 v3, 21, v3
	s_delay_alu instid0(VALU_DEP_1) | instskip(NEXT) | instid1(VALU_DEP_1)
	v_or3_b32 v1, v1, v5, v3
	v_cvt_f64_f32_e32 v[10:11], v1
.LBB95_1338:
	s_or_b32 exec_lo, exec_lo, s8
	s_mov_b32 s2, 0
	s_branch .LBB95_1344
.LBB95_1339:
	s_mov_b32 s2, -1
                                        ; implicit-def: $vgpr10_vgpr11
	s_branch .LBB95_1350
.LBB95_1340:
	s_or_saveexec_b32 s9, s9
	v_mov_b64_e32 v[10:11], 0x7ff8000020000000
	s_xor_b32 exec_lo, exec_lo, s9
	s_cbranch_execz .LBB95_1324
.LBB95_1341:
	v_cmp_ne_u16_e32 vcc_lo, 0, v1
	v_mov_b64_e32 v[10:11], 0
	s_and_not1_b32 s8, s8, exec_lo
	s_and_b32 s10, vcc_lo, exec_lo
	s_delay_alu instid0(SALU_CYCLE_1)
	s_or_b32 s8, s8, s10
	s_or_b32 exec_lo, exec_lo, s9
	s_and_saveexec_b32 s9, s8
	s_cbranch_execnz .LBB95_1325
	s_branch .LBB95_1326
.LBB95_1342:
	s_mov_b32 s2, -1
                                        ; implicit-def: $vgpr10_vgpr11
	s_branch .LBB95_1347
.LBB95_1343:
	s_mov_b32 s2, -1
                                        ; implicit-def: $vgpr10_vgpr11
.LBB95_1344:
	s_delay_alu instid0(SALU_CYCLE_1)
	s_and_b32 vcc_lo, exec_lo, s2
	s_cbranch_vccz .LBB95_1346
; %bb.1345:
	global_load_u8 v1, v[16:17], off
	s_wait_loadcnt 0x0
	v_lshlrev_b32_e32 v1, 24, v1
	s_delay_alu instid0(VALU_DEP_1) | instskip(NEXT) | instid1(VALU_DEP_1)
	v_and_b32_e32 v3, 0x7f000000, v1
	v_clz_i32_u32_e32 v5, v3
	v_cmp_ne_u32_e32 vcc_lo, 0, v3
	v_add_nc_u32_e32 v10, 0x1000000, v3
	s_delay_alu instid0(VALU_DEP_3) | instskip(NEXT) | instid1(VALU_DEP_1)
	v_min_u32_e32 v5, 32, v5
	v_sub_nc_u32_e64 v5, v5, 4 clamp
	s_delay_alu instid0(VALU_DEP_1) | instskip(NEXT) | instid1(VALU_DEP_1)
	v_dual_lshlrev_b32 v7, v5, v3 :: v_dual_lshlrev_b32 v5, 23, v5
	v_lshrrev_b32_e32 v7, 4, v7
	s_delay_alu instid0(VALU_DEP_1) | instskip(NEXT) | instid1(VALU_DEP_1)
	v_dual_sub_nc_u32 v5, v7, v5 :: v_dual_ashrrev_i32 v7, 8, v10
	v_add_nc_u32_e32 v5, 0x3c000000, v5
	s_delay_alu instid0(VALU_DEP_1) | instskip(NEXT) | instid1(VALU_DEP_1)
	v_and_or_b32 v5, 0x7f800000, v7, v5
	v_cndmask_b32_e32 v3, 0, v5, vcc_lo
	s_delay_alu instid0(VALU_DEP_1) | instskip(NEXT) | instid1(VALU_DEP_1)
	v_and_or_b32 v1, 0x80000000, v1, v3
	v_cvt_f64_f32_e32 v[10:11], v1
.LBB95_1346:
	s_mov_b32 s2, 0
.LBB95_1347:
	s_delay_alu instid0(SALU_CYCLE_1)
	s_and_not1_b32 vcc_lo, exec_lo, s2
	s_cbranch_vccnz .LBB95_1349
; %bb.1348:
	global_load_u8 v1, v[16:17], off
	s_wait_loadcnt 0x0
	v_lshlrev_b32_e32 v3, 25, v1
	v_lshlrev_b16 v1, 8, v1
	s_delay_alu instid0(VALU_DEP_1) | instskip(SKIP_1) | instid1(VALU_DEP_2)
	v_and_or_b32 v7, 0x7f00, v1, 0.5
	v_bfe_i32 v1, v1, 0, 16
	v_add_f32_e32 v7, -0.5, v7
	v_lshrrev_b32_e32 v5, 4, v3
	v_cmp_gt_u32_e32 vcc_lo, 0x8000000, v3
	s_delay_alu instid0(VALU_DEP_2) | instskip(NEXT) | instid1(VALU_DEP_1)
	v_or_b32_e32 v5, 0x70000000, v5
	v_mul_f32_e32 v5, 0x7800000, v5
	s_delay_alu instid0(VALU_DEP_1) | instskip(NEXT) | instid1(VALU_DEP_1)
	v_cndmask_b32_e32 v3, v5, v7, vcc_lo
	v_and_or_b32 v1, 0x80000000, v1, v3
	s_delay_alu instid0(VALU_DEP_1)
	v_cvt_f64_f32_e32 v[10:11], v1
.LBB95_1349:
	s_mov_b32 s2, 0
	s_mov_b32 s8, -1
.LBB95_1350:
	s_and_not1_b32 vcc_lo, exec_lo, s2
	s_mov_b32 s2, 0
	s_cbranch_vccnz .LBB95_1361
; %bb.1351:
	s_cmp_gt_i32 s0, 14
	s_cbranch_scc0 .LBB95_1354
; %bb.1352:
	s_cmp_eq_u32 s0, 15
	s_cbranch_scc0 .LBB95_1357
; %bb.1353:
	global_load_u16 v1, v[16:17], off
	s_mov_b32 s1, 0
	s_mov_b32 s8, -1
	s_wait_loadcnt 0x0
	v_lshlrev_b32_e32 v1, 16, v1
	s_delay_alu instid0(VALU_DEP_1)
	v_cvt_f64_f32_e32 v[10:11], v1
	s_branch .LBB95_1359
.LBB95_1354:
	s_mov_b32 s2, -1
	s_branch .LBB95_1358
.LBB95_1355:
	s_or_saveexec_b32 s8, s8
	v_mov_b64_e32 v[10:11], 0x7ff8000020000000
	s_xor_b32 exec_lo, exec_lo, s8
	s_cbranch_execz .LBB95_1336
.LBB95_1356:
	v_cmp_ne_u16_e32 vcc_lo, 0, v1
	v_mov_b64_e32 v[10:11], 0
	s_and_not1_b32 s2, s2, exec_lo
	s_and_b32 s9, vcc_lo, exec_lo
	s_delay_alu instid0(SALU_CYCLE_1)
	s_or_b32 s2, s2, s9
	s_or_b32 exec_lo, exec_lo, s8
	s_and_saveexec_b32 s8, s2
	s_cbranch_execnz .LBB95_1337
	s_branch .LBB95_1338
.LBB95_1357:
	s_mov_b32 s1, -1
.LBB95_1358:
                                        ; implicit-def: $vgpr10_vgpr11
.LBB95_1359:
	s_and_b32 vcc_lo, exec_lo, s2
	s_mov_b32 s2, 0
	s_cbranch_vccz .LBB95_1361
; %bb.1360:
	s_cmp_lg_u32 s0, 11
	s_mov_b32 s2, -1
	s_cselect_b32 s1, -1, 0
.LBB95_1361:
	s_delay_alu instid0(SALU_CYCLE_1)
	s_and_b32 vcc_lo, exec_lo, s1
	s_cbranch_vccnz .LBB95_1424
; %bb.1362:
	s_and_not1_b32 vcc_lo, exec_lo, s2
	s_cbranch_vccnz .LBB95_1364
.LBB95_1363:
	global_load_u8 v1, v[16:17], off
	v_mov_b32_e32 v10, 0
	s_mov_b32 s8, -1
	s_wait_loadcnt 0x0
	v_cmp_ne_u16_e32 vcc_lo, 0, v1
	v_cndmask_b32_e64 v11, 0, 0x3ff00000, vcc_lo
.LBB95_1364:
	s_branch .LBB95_1290
.LBB95_1365:
	s_cmp_lt_i32 s0, 5
	s_cbranch_scc1 .LBB95_1370
; %bb.1366:
	s_cmp_lt_i32 s0, 8
	s_cbranch_scc1 .LBB95_1371
; %bb.1367:
	;; [unrolled: 3-line block ×3, first 2 shown]
	s_cmp_gt_i32 s0, 9
	s_cbranch_scc0 .LBB95_1373
; %bb.1369:
	global_load_b64 v[10:11], v[16:17], off
	s_mov_b32 s1, 0
	s_branch .LBB95_1374
.LBB95_1370:
                                        ; implicit-def: $vgpr10_vgpr11
	s_branch .LBB95_1392
.LBB95_1371:
	s_mov_b32 s1, -1
                                        ; implicit-def: $vgpr10_vgpr11
	s_branch .LBB95_1380
.LBB95_1372:
	s_mov_b32 s1, -1
                                        ; implicit-def: $vgpr10_vgpr11
	s_branch .LBB95_1377
.LBB95_1373:
	s_mov_b32 s1, -1
                                        ; implicit-def: $vgpr10_vgpr11
.LBB95_1374:
	s_delay_alu instid0(SALU_CYCLE_1)
	s_and_not1_b32 vcc_lo, exec_lo, s1
	s_cbranch_vccnz .LBB95_1376
; %bb.1375:
	global_load_b32 v1, v[16:17], off
	s_wait_loadcnt 0x0
	v_cvt_f64_f32_e32 v[10:11], v1
.LBB95_1376:
	s_mov_b32 s1, 0
.LBB95_1377:
	s_delay_alu instid0(SALU_CYCLE_1)
	s_and_not1_b32 vcc_lo, exec_lo, s1
	s_cbranch_vccnz .LBB95_1379
; %bb.1378:
	global_load_b32 v1, v[16:17], off
	s_wait_loadcnt 0x0
	v_cvt_f32_f16_e32 v1, v1
	s_delay_alu instid0(VALU_DEP_1)
	v_cvt_f64_f32_e32 v[10:11], v1
.LBB95_1379:
	s_mov_b32 s1, 0
.LBB95_1380:
	s_delay_alu instid0(SALU_CYCLE_1)
	s_and_not1_b32 vcc_lo, exec_lo, s1
	s_cbranch_vccnz .LBB95_1391
; %bb.1381:
	s_cmp_lt_i32 s0, 6
	s_cbranch_scc1 .LBB95_1384
; %bb.1382:
	s_cmp_gt_i32 s0, 6
	s_cbranch_scc0 .LBB95_1385
; %bb.1383:
	s_wait_loadcnt 0x0
	global_load_b64 v[10:11], v[16:17], off
	s_mov_b32 s1, 0
	s_branch .LBB95_1386
.LBB95_1384:
	s_mov_b32 s1, -1
                                        ; implicit-def: $vgpr10_vgpr11
	s_branch .LBB95_1389
.LBB95_1385:
	s_mov_b32 s1, -1
                                        ; implicit-def: $vgpr10_vgpr11
.LBB95_1386:
	s_delay_alu instid0(SALU_CYCLE_1)
	s_and_not1_b32 vcc_lo, exec_lo, s1
	s_cbranch_vccnz .LBB95_1388
; %bb.1387:
	global_load_b32 v1, v[16:17], off
	s_wait_loadcnt 0x0
	v_cvt_f64_f32_e32 v[10:11], v1
.LBB95_1388:
	s_mov_b32 s1, 0
.LBB95_1389:
	s_delay_alu instid0(SALU_CYCLE_1)
	s_and_not1_b32 vcc_lo, exec_lo, s1
	s_cbranch_vccnz .LBB95_1391
; %bb.1390:
	global_load_u16 v1, v[16:17], off
	s_wait_loadcnt 0x0
	v_cvt_f32_f16_e32 v1, v1
	s_delay_alu instid0(VALU_DEP_1)
	v_cvt_f64_f32_e32 v[10:11], v1
.LBB95_1391:
	s_cbranch_execnz .LBB95_1411
.LBB95_1392:
	s_cmp_lt_i32 s0, 2
	s_cbranch_scc1 .LBB95_1396
; %bb.1393:
	s_cmp_lt_i32 s0, 3
	s_cbranch_scc1 .LBB95_1397
; %bb.1394:
	s_cmp_gt_i32 s0, 3
	s_cbranch_scc0 .LBB95_1398
; %bb.1395:
	s_wait_loadcnt 0x0
	global_load_b64 v[10:11], v[16:17], off
	s_mov_b32 s1, 0
	s_wait_loadcnt 0x0
	v_cvt_f64_i32_e32 v[18:19], v11
	v_cvt_f64_u32_e32 v[10:11], v10
	s_delay_alu instid0(VALU_DEP_2) | instskip(NEXT) | instid1(VALU_DEP_1)
	v_ldexp_f64 v[18:19], v[18:19], 32
	v_add_f64_e32 v[10:11], v[18:19], v[10:11]
	s_branch .LBB95_1399
.LBB95_1396:
	s_mov_b32 s1, -1
                                        ; implicit-def: $vgpr10_vgpr11
	s_branch .LBB95_1405
.LBB95_1397:
	s_mov_b32 s1, -1
                                        ; implicit-def: $vgpr10_vgpr11
	s_branch .LBB95_1402
.LBB95_1398:
	s_mov_b32 s1, -1
                                        ; implicit-def: $vgpr10_vgpr11
.LBB95_1399:
	s_delay_alu instid0(SALU_CYCLE_1)
	s_and_not1_b32 vcc_lo, exec_lo, s1
	s_cbranch_vccnz .LBB95_1401
; %bb.1400:
	global_load_b32 v1, v[16:17], off
	s_wait_loadcnt 0x0
	v_cvt_f64_i32_e32 v[10:11], v1
.LBB95_1401:
	s_mov_b32 s1, 0
.LBB95_1402:
	s_delay_alu instid0(SALU_CYCLE_1)
	s_and_not1_b32 vcc_lo, exec_lo, s1
	s_cbranch_vccnz .LBB95_1404
; %bb.1403:
	global_load_i16 v1, v[16:17], off
	s_wait_loadcnt 0x0
	v_cvt_f64_i32_e32 v[10:11], v1
.LBB95_1404:
	s_mov_b32 s1, 0
.LBB95_1405:
	s_delay_alu instid0(SALU_CYCLE_1)
	s_and_not1_b32 vcc_lo, exec_lo, s1
	s_cbranch_vccnz .LBB95_1411
; %bb.1406:
	s_cmp_gt_i32 s0, 0
	s_mov_b32 s1, 0
	s_cbranch_scc0 .LBB95_1408
; %bb.1407:
	global_load_i8 v1, v[16:17], off
	s_wait_loadcnt 0x0
	v_cvt_f64_i32_e32 v[10:11], v1
	s_branch .LBB95_1409
.LBB95_1408:
	s_mov_b32 s1, -1
                                        ; implicit-def: $vgpr10_vgpr11
.LBB95_1409:
	s_delay_alu instid0(SALU_CYCLE_1)
	s_and_not1_b32 vcc_lo, exec_lo, s1
	s_cbranch_vccnz .LBB95_1411
; %bb.1410:
	global_load_u8 v1, v[16:17], off
	s_wait_loadcnt 0x0
	v_cvt_f64_u32_e32 v[10:11], v1
.LBB95_1411:
.LBB95_1412:
	v_mov_b32_e32 v13, 0
	s_cmp_lt_i32 s0, 11
	s_wait_xcnt 0x0
	s_delay_alu instid0(VALU_DEP_1)
	v_add_nc_u64_e32 v[16:17], s[6:7], v[12:13]
	s_cbranch_scc1 .LBB95_1419
; %bb.1413:
	s_cmp_gt_i32 s0, 25
	s_mov_b32 s2, 0
	s_cbranch_scc0 .LBB95_1421
; %bb.1414:
	s_cmp_gt_i32 s0, 28
	s_cbranch_scc0 .LBB95_1422
; %bb.1415:
	s_cmp_gt_i32 s0, 43
	;; [unrolled: 3-line block ×3, first 2 shown]
	s_cbranch_scc0 .LBB95_1425
; %bb.1417:
	s_cmp_eq_u32 s0, 46
	s_mov_b32 s9, 0
	s_cbranch_scc0 .LBB95_1426
; %bb.1418:
	global_load_b32 v1, v[16:17], off
	s_mov_b32 s1, 0
	s_mov_b32 s8, -1
	s_wait_loadcnt 0x0
	v_lshlrev_b32_e32 v1, 16, v1
	s_delay_alu instid0(VALU_DEP_1)
	v_cvt_f64_f32_e32 v[12:13], v1
	s_branch .LBB95_1428
.LBB95_1419:
	s_mov_b32 s8, 0
                                        ; implicit-def: $vgpr12_vgpr13
	s_cbranch_execnz .LBB95_1494
.LBB95_1420:
	s_and_not1_b32 vcc_lo, exec_lo, s8
	s_cbranch_vccnz .LBB95_2105
	s_branch .LBB95_1542
.LBB95_1421:
	s_mov_b32 s9, -1
	s_mov_b32 s8, 0
	s_mov_b32 s1, 0
                                        ; implicit-def: $vgpr12_vgpr13
	s_branch .LBB95_1457
.LBB95_1422:
	s_mov_b32 s9, -1
	s_mov_b32 s8, 0
	s_mov_b32 s1, 0
                                        ; implicit-def: $vgpr12_vgpr13
	s_branch .LBB95_1438
.LBB95_1423:
	s_mov_b32 s9, -1
	s_mov_b32 s8, 0
	s_mov_b32 s1, 0
                                        ; implicit-def: $vgpr12_vgpr13
	s_branch .LBB95_1433
.LBB95_1424:
	s_or_b32 s3, s3, exec_lo
	s_trap 2
	s_cbranch_execz .LBB95_1363
	s_branch .LBB95_1364
.LBB95_1425:
	s_mov_b32 s9, -1
	s_mov_b32 s8, 0
	s_mov_b32 s1, 0
	s_branch .LBB95_1427
.LBB95_1426:
	s_mov_b32 s1, -1
	s_mov_b32 s8, 0
.LBB95_1427:
                                        ; implicit-def: $vgpr12_vgpr13
.LBB95_1428:
	s_and_b32 vcc_lo, exec_lo, s9
	s_cbranch_vccz .LBB95_1432
; %bb.1429:
	s_cmp_eq_u32 s0, 44
	s_cbranch_scc0 .LBB95_1431
; %bb.1430:
	global_load_u8 v1, v[16:17], off
	s_mov_b32 s1, 0
	s_mov_b32 s8, -1
	s_wait_loadcnt 0x0
	v_lshlrev_b32_e32 v3, 23, v1
	v_cmp_ne_u32_e32 vcc_lo, 0xff, v1
	s_delay_alu instid0(VALU_DEP_2) | instskip(NEXT) | instid1(VALU_DEP_1)
	v_cvt_f64_f32_e32 v[12:13], v3
	v_cndmask_b32_e32 v3, 0x20000000, v12, vcc_lo
	s_delay_alu instid0(VALU_DEP_2) | instskip(SKIP_1) | instid1(VALU_DEP_2)
	v_cndmask_b32_e32 v5, 0x7ff80000, v13, vcc_lo
	v_cmp_ne_u32_e32 vcc_lo, 0, v1
	v_cndmask_b32_e32 v13, 0x38000000, v5, vcc_lo
	s_delay_alu instid0(VALU_DEP_4)
	v_cndmask_b32_e32 v12, 0, v3, vcc_lo
	s_branch .LBB95_1432
.LBB95_1431:
	s_mov_b32 s1, -1
                                        ; implicit-def: $vgpr12_vgpr13
.LBB95_1432:
	s_mov_b32 s9, 0
.LBB95_1433:
	s_delay_alu instid0(SALU_CYCLE_1)
	s_and_b32 vcc_lo, exec_lo, s9
	s_cbranch_vccz .LBB95_1437
; %bb.1434:
	s_cmp_eq_u32 s0, 29
	s_cbranch_scc0 .LBB95_1436
; %bb.1435:
	global_load_b64 v[12:13], v[16:17], off
	s_mov_b32 s1, 0
	s_mov_b32 s8, -1
	s_mov_b32 s9, 0
	s_wait_loadcnt 0x0
	v_cvt_f64_u32_e32 v[18:19], v13
	v_cvt_f64_u32_e32 v[12:13], v12
	s_delay_alu instid0(VALU_DEP_2) | instskip(NEXT) | instid1(VALU_DEP_1)
	v_ldexp_f64 v[18:19], v[18:19], 32
	v_add_f64_e32 v[12:13], v[18:19], v[12:13]
	s_branch .LBB95_1438
.LBB95_1436:
	s_mov_b32 s1, -1
                                        ; implicit-def: $vgpr12_vgpr13
.LBB95_1437:
	s_mov_b32 s9, 0
.LBB95_1438:
	s_delay_alu instid0(SALU_CYCLE_1)
	s_and_b32 vcc_lo, exec_lo, s9
	s_cbranch_vccz .LBB95_1456
; %bb.1439:
	s_cmp_lt_i32 s0, 27
	s_cbranch_scc1 .LBB95_1442
; %bb.1440:
	s_cmp_gt_i32 s0, 27
	s_cbranch_scc0 .LBB95_1443
; %bb.1441:
	global_load_b32 v1, v[16:17], off
	s_mov_b32 s8, 0
	s_wait_loadcnt 0x0
	v_cvt_f64_u32_e32 v[12:13], v1
	s_branch .LBB95_1444
.LBB95_1442:
	s_mov_b32 s8, -1
                                        ; implicit-def: $vgpr12_vgpr13
	s_branch .LBB95_1447
.LBB95_1443:
	s_mov_b32 s8, -1
                                        ; implicit-def: $vgpr12_vgpr13
.LBB95_1444:
	s_delay_alu instid0(SALU_CYCLE_1)
	s_and_not1_b32 vcc_lo, exec_lo, s8
	s_cbranch_vccnz .LBB95_1446
; %bb.1445:
	global_load_u16 v1, v[16:17], off
	s_wait_loadcnt 0x0
	v_cvt_f64_u32_e32 v[12:13], v1
.LBB95_1446:
	s_mov_b32 s8, 0
.LBB95_1447:
	s_delay_alu instid0(SALU_CYCLE_1)
	s_and_not1_b32 vcc_lo, exec_lo, s8
	s_cbranch_vccnz .LBB95_1455
; %bb.1448:
	global_load_u8 v1, v[16:17], off
	s_mov_b32 s8, 0
	s_mov_b32 s9, exec_lo
	s_wait_loadcnt 0x0
	v_cmpx_lt_i16_e32 0x7f, v1
	s_xor_b32 s9, exec_lo, s9
	s_cbranch_execz .LBB95_1469
; %bb.1449:
	s_mov_b32 s8, -1
	s_mov_b32 s10, exec_lo
	v_cmpx_eq_u16_e32 0x80, v1
; %bb.1450:
	s_xor_b32 s8, exec_lo, -1
; %bb.1451:
	s_or_b32 exec_lo, exec_lo, s10
	s_delay_alu instid0(SALU_CYCLE_1)
	s_and_b32 s8, s8, exec_lo
	s_or_saveexec_b32 s9, s9
	v_mov_b64_e32 v[12:13], 0x7ff8000020000000
	s_xor_b32 exec_lo, exec_lo, s9
	s_cbranch_execnz .LBB95_1470
.LBB95_1452:
	s_or_b32 exec_lo, exec_lo, s9
	s_and_saveexec_b32 s9, s8
	s_cbranch_execz .LBB95_1454
.LBB95_1453:
	v_and_b32_e32 v3, 0xffff, v1
	s_delay_alu instid0(VALU_DEP_1) | instskip(SKIP_1) | instid1(VALU_DEP_2)
	v_dual_lshlrev_b32 v1, 24, v1 :: v_dual_bitop2_b32 v5, 7, v3 bitop3:0x40
	v_bfe_u32 v13, v3, 3, 4
	v_and_b32_e32 v1, 0x80000000, v1
	s_delay_alu instid0(VALU_DEP_3) | instskip(NEXT) | instid1(VALU_DEP_3)
	v_clz_i32_u32_e32 v7, v5
	v_cmp_eq_u32_e32 vcc_lo, 0, v13
	s_delay_alu instid0(VALU_DEP_2) | instskip(NEXT) | instid1(VALU_DEP_1)
	v_min_u32_e32 v7, 32, v7
	v_subrev_nc_u32_e32 v12, 28, v7
	v_sub_nc_u32_e32 v7, 29, v7
	s_delay_alu instid0(VALU_DEP_2) | instskip(NEXT) | instid1(VALU_DEP_2)
	v_lshlrev_b32_e32 v3, v12, v3
	v_cndmask_b32_e32 v7, v13, v7, vcc_lo
	s_delay_alu instid0(VALU_DEP_2) | instskip(NEXT) | instid1(VALU_DEP_1)
	v_and_b32_e32 v3, 7, v3
	v_cndmask_b32_e32 v3, v5, v3, vcc_lo
	s_delay_alu instid0(VALU_DEP_3) | instskip(NEXT) | instid1(VALU_DEP_2)
	v_lshl_add_u32 v5, v7, 23, 0x3b800000
	v_lshlrev_b32_e32 v3, 20, v3
	s_delay_alu instid0(VALU_DEP_1) | instskip(NEXT) | instid1(VALU_DEP_1)
	v_or3_b32 v1, v1, v5, v3
	v_cvt_f64_f32_e32 v[12:13], v1
.LBB95_1454:
	s_or_b32 exec_lo, exec_lo, s9
.LBB95_1455:
	s_mov_b32 s8, -1
.LBB95_1456:
	s_mov_b32 s9, 0
.LBB95_1457:
	s_delay_alu instid0(SALU_CYCLE_1)
	s_and_b32 vcc_lo, exec_lo, s9
	s_cbranch_vccz .LBB95_1490
; %bb.1458:
	s_cmp_gt_i32 s0, 22
	s_cbranch_scc0 .LBB95_1468
; %bb.1459:
	s_cmp_lt_i32 s0, 24
	s_cbranch_scc1 .LBB95_1471
; %bb.1460:
	s_cmp_gt_i32 s0, 24
	s_cbranch_scc0 .LBB95_1472
; %bb.1461:
	global_load_u8 v1, v[16:17], off
	s_mov_b32 s8, exec_lo
	s_wait_loadcnt 0x0
	v_cmpx_lt_i16_e32 0x7f, v1
	s_xor_b32 s8, exec_lo, s8
	s_cbranch_execz .LBB95_1484
; %bb.1462:
	s_mov_b32 s2, -1
	s_mov_b32 s9, exec_lo
	v_cmpx_eq_u16_e32 0x80, v1
; %bb.1463:
	s_xor_b32 s2, exec_lo, -1
; %bb.1464:
	s_or_b32 exec_lo, exec_lo, s9
	s_delay_alu instid0(SALU_CYCLE_1)
	s_and_b32 s2, s2, exec_lo
	s_or_saveexec_b32 s8, s8
	v_mov_b64_e32 v[12:13], 0x7ff8000020000000
	s_xor_b32 exec_lo, exec_lo, s8
	s_cbranch_execnz .LBB95_1485
.LBB95_1465:
	s_or_b32 exec_lo, exec_lo, s8
	s_and_saveexec_b32 s8, s2
	s_cbranch_execz .LBB95_1467
.LBB95_1466:
	v_and_b32_e32 v3, 0xffff, v1
	s_delay_alu instid0(VALU_DEP_1) | instskip(SKIP_1) | instid1(VALU_DEP_2)
	v_dual_lshlrev_b32 v1, 24, v1 :: v_dual_bitop2_b32 v5, 3, v3 bitop3:0x40
	v_bfe_u32 v13, v3, 2, 5
	v_and_b32_e32 v1, 0x80000000, v1
	s_delay_alu instid0(VALU_DEP_3) | instskip(NEXT) | instid1(VALU_DEP_3)
	v_clz_i32_u32_e32 v7, v5
	v_cmp_eq_u32_e32 vcc_lo, 0, v13
	s_delay_alu instid0(VALU_DEP_2) | instskip(NEXT) | instid1(VALU_DEP_1)
	v_min_u32_e32 v7, 32, v7
	v_subrev_nc_u32_e32 v12, 29, v7
	v_sub_nc_u32_e32 v7, 30, v7
	s_delay_alu instid0(VALU_DEP_2) | instskip(NEXT) | instid1(VALU_DEP_2)
	v_lshlrev_b32_e32 v3, v12, v3
	v_cndmask_b32_e32 v7, v13, v7, vcc_lo
	s_delay_alu instid0(VALU_DEP_2) | instskip(NEXT) | instid1(VALU_DEP_1)
	v_and_b32_e32 v3, 3, v3
	v_cndmask_b32_e32 v3, v5, v3, vcc_lo
	s_delay_alu instid0(VALU_DEP_3) | instskip(NEXT) | instid1(VALU_DEP_2)
	v_lshl_add_u32 v5, v7, 23, 0x37800000
	v_lshlrev_b32_e32 v3, 21, v3
	s_delay_alu instid0(VALU_DEP_1) | instskip(NEXT) | instid1(VALU_DEP_1)
	v_or3_b32 v1, v1, v5, v3
	v_cvt_f64_f32_e32 v[12:13], v1
.LBB95_1467:
	s_or_b32 exec_lo, exec_lo, s8
	s_mov_b32 s2, 0
	s_branch .LBB95_1473
.LBB95_1468:
	s_mov_b32 s2, -1
                                        ; implicit-def: $vgpr12_vgpr13
	s_branch .LBB95_1479
.LBB95_1469:
	s_or_saveexec_b32 s9, s9
	v_mov_b64_e32 v[12:13], 0x7ff8000020000000
	s_xor_b32 exec_lo, exec_lo, s9
	s_cbranch_execz .LBB95_1452
.LBB95_1470:
	v_cmp_ne_u16_e32 vcc_lo, 0, v1
	v_mov_b64_e32 v[12:13], 0
	s_and_not1_b32 s8, s8, exec_lo
	s_and_b32 s10, vcc_lo, exec_lo
	s_delay_alu instid0(SALU_CYCLE_1)
	s_or_b32 s8, s8, s10
	s_or_b32 exec_lo, exec_lo, s9
	s_and_saveexec_b32 s9, s8
	s_cbranch_execnz .LBB95_1453
	s_branch .LBB95_1454
.LBB95_1471:
	s_mov_b32 s2, -1
                                        ; implicit-def: $vgpr12_vgpr13
	s_branch .LBB95_1476
.LBB95_1472:
	s_mov_b32 s2, -1
                                        ; implicit-def: $vgpr12_vgpr13
.LBB95_1473:
	s_delay_alu instid0(SALU_CYCLE_1)
	s_and_b32 vcc_lo, exec_lo, s2
	s_cbranch_vccz .LBB95_1475
; %bb.1474:
	global_load_u8 v1, v[16:17], off
	s_wait_loadcnt 0x0
	v_lshlrev_b32_e32 v1, 24, v1
	s_delay_alu instid0(VALU_DEP_1) | instskip(NEXT) | instid1(VALU_DEP_1)
	v_and_b32_e32 v3, 0x7f000000, v1
	v_clz_i32_u32_e32 v5, v3
	v_cmp_ne_u32_e32 vcc_lo, 0, v3
	v_add_nc_u32_e32 v12, 0x1000000, v3
	s_delay_alu instid0(VALU_DEP_3) | instskip(NEXT) | instid1(VALU_DEP_1)
	v_min_u32_e32 v5, 32, v5
	v_sub_nc_u32_e64 v5, v5, 4 clamp
	s_delay_alu instid0(VALU_DEP_1) | instskip(NEXT) | instid1(VALU_DEP_1)
	v_dual_lshlrev_b32 v7, v5, v3 :: v_dual_lshlrev_b32 v5, 23, v5
	v_lshrrev_b32_e32 v7, 4, v7
	s_delay_alu instid0(VALU_DEP_1) | instskip(NEXT) | instid1(VALU_DEP_1)
	v_dual_sub_nc_u32 v5, v7, v5 :: v_dual_ashrrev_i32 v7, 8, v12
	v_add_nc_u32_e32 v5, 0x3c000000, v5
	s_delay_alu instid0(VALU_DEP_1) | instskip(NEXT) | instid1(VALU_DEP_1)
	v_and_or_b32 v5, 0x7f800000, v7, v5
	v_cndmask_b32_e32 v3, 0, v5, vcc_lo
	s_delay_alu instid0(VALU_DEP_1) | instskip(NEXT) | instid1(VALU_DEP_1)
	v_and_or_b32 v1, 0x80000000, v1, v3
	v_cvt_f64_f32_e32 v[12:13], v1
.LBB95_1475:
	s_mov_b32 s2, 0
.LBB95_1476:
	s_delay_alu instid0(SALU_CYCLE_1)
	s_and_not1_b32 vcc_lo, exec_lo, s2
	s_cbranch_vccnz .LBB95_1478
; %bb.1477:
	global_load_u8 v1, v[16:17], off
	s_wait_loadcnt 0x0
	v_lshlrev_b32_e32 v3, 25, v1
	v_lshlrev_b16 v1, 8, v1
	s_delay_alu instid0(VALU_DEP_1) | instskip(SKIP_1) | instid1(VALU_DEP_2)
	v_and_or_b32 v7, 0x7f00, v1, 0.5
	v_bfe_i32 v1, v1, 0, 16
	v_add_f32_e32 v7, -0.5, v7
	v_lshrrev_b32_e32 v5, 4, v3
	v_cmp_gt_u32_e32 vcc_lo, 0x8000000, v3
	s_delay_alu instid0(VALU_DEP_2) | instskip(NEXT) | instid1(VALU_DEP_1)
	v_or_b32_e32 v5, 0x70000000, v5
	v_mul_f32_e32 v5, 0x7800000, v5
	s_delay_alu instid0(VALU_DEP_1) | instskip(NEXT) | instid1(VALU_DEP_1)
	v_cndmask_b32_e32 v3, v5, v7, vcc_lo
	v_and_or_b32 v1, 0x80000000, v1, v3
	s_delay_alu instid0(VALU_DEP_1)
	v_cvt_f64_f32_e32 v[12:13], v1
.LBB95_1478:
	s_mov_b32 s2, 0
	s_mov_b32 s8, -1
.LBB95_1479:
	s_and_not1_b32 vcc_lo, exec_lo, s2
	s_mov_b32 s2, 0
	s_cbranch_vccnz .LBB95_1490
; %bb.1480:
	s_cmp_gt_i32 s0, 14
	s_cbranch_scc0 .LBB95_1483
; %bb.1481:
	s_cmp_eq_u32 s0, 15
	s_cbranch_scc0 .LBB95_1486
; %bb.1482:
	global_load_u16 v1, v[16:17], off
	s_mov_b32 s1, 0
	s_mov_b32 s8, -1
	s_wait_loadcnt 0x0
	v_lshlrev_b32_e32 v1, 16, v1
	s_delay_alu instid0(VALU_DEP_1)
	v_cvt_f64_f32_e32 v[12:13], v1
	s_branch .LBB95_1488
.LBB95_1483:
	s_mov_b32 s2, -1
	s_branch .LBB95_1487
.LBB95_1484:
	s_or_saveexec_b32 s8, s8
	v_mov_b64_e32 v[12:13], 0x7ff8000020000000
	s_xor_b32 exec_lo, exec_lo, s8
	s_cbranch_execz .LBB95_1465
.LBB95_1485:
	v_cmp_ne_u16_e32 vcc_lo, 0, v1
	v_mov_b64_e32 v[12:13], 0
	s_and_not1_b32 s2, s2, exec_lo
	s_and_b32 s9, vcc_lo, exec_lo
	s_delay_alu instid0(SALU_CYCLE_1)
	s_or_b32 s2, s2, s9
	s_or_b32 exec_lo, exec_lo, s8
	s_and_saveexec_b32 s8, s2
	s_cbranch_execnz .LBB95_1466
	s_branch .LBB95_1467
.LBB95_1486:
	s_mov_b32 s1, -1
.LBB95_1487:
                                        ; implicit-def: $vgpr12_vgpr13
.LBB95_1488:
	s_and_b32 vcc_lo, exec_lo, s2
	s_mov_b32 s2, 0
	s_cbranch_vccz .LBB95_1490
; %bb.1489:
	s_cmp_lg_u32 s0, 11
	s_mov_b32 s2, -1
	s_cselect_b32 s1, -1, 0
.LBB95_1490:
	s_delay_alu instid0(SALU_CYCLE_1)
	s_and_b32 vcc_lo, exec_lo, s1
	s_cbranch_vccnz .LBB95_1553
; %bb.1491:
	s_and_not1_b32 vcc_lo, exec_lo, s2
	s_cbranch_vccnz .LBB95_1493
.LBB95_1492:
	global_load_u8 v1, v[16:17], off
	v_mov_b32_e32 v12, 0
	s_mov_b32 s8, -1
	s_wait_loadcnt 0x0
	v_cmp_ne_u16_e32 vcc_lo, 0, v1
	v_cndmask_b32_e64 v13, 0, 0x3ff00000, vcc_lo
.LBB95_1493:
	s_branch .LBB95_1420
.LBB95_1494:
	s_cmp_lt_i32 s0, 5
	s_cbranch_scc1 .LBB95_1499
; %bb.1495:
	s_cmp_lt_i32 s0, 8
	s_cbranch_scc1 .LBB95_1500
; %bb.1496:
	;; [unrolled: 3-line block ×3, first 2 shown]
	s_cmp_gt_i32 s0, 9
	s_cbranch_scc0 .LBB95_1502
; %bb.1498:
	global_load_b64 v[12:13], v[16:17], off
	s_mov_b32 s1, 0
	s_branch .LBB95_1503
.LBB95_1499:
	s_mov_b32 s1, -1
                                        ; implicit-def: $vgpr12_vgpr13
	s_branch .LBB95_1521
.LBB95_1500:
	s_mov_b32 s1, -1
                                        ; implicit-def: $vgpr12_vgpr13
	s_branch .LBB95_1509
.LBB95_1501:
	s_mov_b32 s1, -1
                                        ; implicit-def: $vgpr12_vgpr13
	s_branch .LBB95_1506
.LBB95_1502:
	s_mov_b32 s1, -1
                                        ; implicit-def: $vgpr12_vgpr13
.LBB95_1503:
	s_delay_alu instid0(SALU_CYCLE_1)
	s_and_not1_b32 vcc_lo, exec_lo, s1
	s_cbranch_vccnz .LBB95_1505
; %bb.1504:
	global_load_b32 v1, v[16:17], off
	s_wait_loadcnt 0x0
	v_cvt_f64_f32_e32 v[12:13], v1
.LBB95_1505:
	s_mov_b32 s1, 0
.LBB95_1506:
	s_delay_alu instid0(SALU_CYCLE_1)
	s_and_not1_b32 vcc_lo, exec_lo, s1
	s_cbranch_vccnz .LBB95_1508
; %bb.1507:
	global_load_b32 v1, v[16:17], off
	s_wait_loadcnt 0x0
	v_cvt_f32_f16_e32 v1, v1
	s_delay_alu instid0(VALU_DEP_1)
	v_cvt_f64_f32_e32 v[12:13], v1
.LBB95_1508:
	s_mov_b32 s1, 0
.LBB95_1509:
	s_delay_alu instid0(SALU_CYCLE_1)
	s_and_not1_b32 vcc_lo, exec_lo, s1
	s_cbranch_vccnz .LBB95_1520
; %bb.1510:
	s_cmp_lt_i32 s0, 6
	s_cbranch_scc1 .LBB95_1513
; %bb.1511:
	s_cmp_gt_i32 s0, 6
	s_cbranch_scc0 .LBB95_1514
; %bb.1512:
	s_wait_loadcnt 0x0
	global_load_b64 v[12:13], v[16:17], off
	s_mov_b32 s1, 0
	s_branch .LBB95_1515
.LBB95_1513:
	s_mov_b32 s1, -1
                                        ; implicit-def: $vgpr12_vgpr13
	s_branch .LBB95_1518
.LBB95_1514:
	s_mov_b32 s1, -1
                                        ; implicit-def: $vgpr12_vgpr13
.LBB95_1515:
	s_delay_alu instid0(SALU_CYCLE_1)
	s_and_not1_b32 vcc_lo, exec_lo, s1
	s_cbranch_vccnz .LBB95_1517
; %bb.1516:
	global_load_b32 v1, v[16:17], off
	s_wait_loadcnt 0x0
	v_cvt_f64_f32_e32 v[12:13], v1
.LBB95_1517:
	s_mov_b32 s1, 0
.LBB95_1518:
	s_delay_alu instid0(SALU_CYCLE_1)
	s_and_not1_b32 vcc_lo, exec_lo, s1
	s_cbranch_vccnz .LBB95_1520
; %bb.1519:
	global_load_u16 v1, v[16:17], off
	s_wait_loadcnt 0x0
	v_cvt_f32_f16_e32 v1, v1
	s_delay_alu instid0(VALU_DEP_1)
	v_cvt_f64_f32_e32 v[12:13], v1
.LBB95_1520:
	s_mov_b32 s1, 0
.LBB95_1521:
	s_delay_alu instid0(SALU_CYCLE_1)
	s_and_not1_b32 vcc_lo, exec_lo, s1
	s_cbranch_vccnz .LBB95_1541
; %bb.1522:
	s_cmp_lt_i32 s0, 2
	s_cbranch_scc1 .LBB95_1526
; %bb.1523:
	s_cmp_lt_i32 s0, 3
	s_cbranch_scc1 .LBB95_1527
; %bb.1524:
	s_cmp_gt_i32 s0, 3
	s_cbranch_scc0 .LBB95_1528
; %bb.1525:
	s_wait_loadcnt 0x0
	global_load_b64 v[12:13], v[16:17], off
	s_mov_b32 s1, 0
	s_wait_loadcnt 0x0
	v_cvt_f64_i32_e32 v[18:19], v13
	v_cvt_f64_u32_e32 v[12:13], v12
	s_delay_alu instid0(VALU_DEP_2) | instskip(NEXT) | instid1(VALU_DEP_1)
	v_ldexp_f64 v[18:19], v[18:19], 32
	v_add_f64_e32 v[12:13], v[18:19], v[12:13]
	s_branch .LBB95_1529
.LBB95_1526:
	s_mov_b32 s1, -1
                                        ; implicit-def: $vgpr12_vgpr13
	s_branch .LBB95_1535
.LBB95_1527:
	s_mov_b32 s1, -1
                                        ; implicit-def: $vgpr12_vgpr13
	s_branch .LBB95_1532
.LBB95_1528:
	s_mov_b32 s1, -1
                                        ; implicit-def: $vgpr12_vgpr13
.LBB95_1529:
	s_delay_alu instid0(SALU_CYCLE_1)
	s_and_not1_b32 vcc_lo, exec_lo, s1
	s_cbranch_vccnz .LBB95_1531
; %bb.1530:
	global_load_b32 v1, v[16:17], off
	s_wait_loadcnt 0x0
	v_cvt_f64_i32_e32 v[12:13], v1
.LBB95_1531:
	s_mov_b32 s1, 0
.LBB95_1532:
	s_delay_alu instid0(SALU_CYCLE_1)
	s_and_not1_b32 vcc_lo, exec_lo, s1
	s_cbranch_vccnz .LBB95_1534
; %bb.1533:
	global_load_i16 v1, v[16:17], off
	s_wait_loadcnt 0x0
	v_cvt_f64_i32_e32 v[12:13], v1
.LBB95_1534:
	s_mov_b32 s1, 0
.LBB95_1535:
	s_delay_alu instid0(SALU_CYCLE_1)
	s_and_not1_b32 vcc_lo, exec_lo, s1
	s_cbranch_vccnz .LBB95_1541
; %bb.1536:
	s_cmp_gt_i32 s0, 0
	s_mov_b32 s1, 0
	s_cbranch_scc0 .LBB95_1538
; %bb.1537:
	global_load_i8 v1, v[16:17], off
	s_wait_loadcnt 0x0
	v_cvt_f64_i32_e32 v[12:13], v1
	s_branch .LBB95_1539
.LBB95_1538:
	s_mov_b32 s1, -1
                                        ; implicit-def: $vgpr12_vgpr13
.LBB95_1539:
	s_delay_alu instid0(SALU_CYCLE_1)
	s_and_not1_b32 vcc_lo, exec_lo, s1
	s_cbranch_vccnz .LBB95_1541
; %bb.1540:
	global_load_u8 v1, v[16:17], off
	s_wait_loadcnt 0x0
	v_cvt_f64_u32_e32 v[12:13], v1
.LBB95_1541:
.LBB95_1542:
	v_mov_b32_e32 v15, 0
	s_cmp_lt_i32 s0, 11
	s_wait_xcnt 0x0
	s_delay_alu instid0(VALU_DEP_1)
	v_add_nc_u64_e32 v[16:17], s[6:7], v[14:15]
	s_cbranch_scc1 .LBB95_1549
; %bb.1543:
	s_cmp_gt_i32 s0, 25
	s_mov_b32 s2, 0
	s_cbranch_scc0 .LBB95_1550
; %bb.1544:
	s_cmp_gt_i32 s0, 28
	s_cbranch_scc0 .LBB95_1551
; %bb.1545:
	s_cmp_gt_i32 s0, 43
	;; [unrolled: 3-line block ×3, first 2 shown]
	s_cbranch_scc0 .LBB95_1554
; %bb.1547:
	s_cmp_eq_u32 s0, 46
	s_mov_b32 s7, 0
	s_cbranch_scc0 .LBB95_1555
; %bb.1548:
	global_load_b32 v1, v[16:17], off
	s_mov_b32 s1, 0
	s_mov_b32 s6, -1
	s_wait_loadcnt 0x0
	v_lshlrev_b32_e32 v1, 16, v1
	s_delay_alu instid0(VALU_DEP_1)
	v_cvt_f64_f32_e32 v[14:15], v1
	s_branch .LBB95_1557
.LBB95_1549:
	s_mov_b32 s1, -1
	s_mov_b32 s6, 0
                                        ; implicit-def: $vgpr14_vgpr15
	s_branch .LBB95_1623
.LBB95_1550:
	s_mov_b32 s7, -1
	s_mov_b32 s6, 0
	s_mov_b32 s1, 0
                                        ; implicit-def: $vgpr14_vgpr15
	s_branch .LBB95_1586
.LBB95_1551:
	s_mov_b32 s7, -1
	s_mov_b32 s6, 0
	s_mov_b32 s1, 0
                                        ; implicit-def: $vgpr14_vgpr15
	s_branch .LBB95_1567
.LBB95_1552:
	s_mov_b32 s7, -1
	s_mov_b32 s6, 0
	s_mov_b32 s1, 0
                                        ; implicit-def: $vgpr14_vgpr15
	s_branch .LBB95_1562
.LBB95_1553:
	s_or_b32 s3, s3, exec_lo
	s_trap 2
	s_cbranch_execz .LBB95_1492
	s_branch .LBB95_1493
.LBB95_1554:
	s_mov_b32 s7, -1
	s_mov_b32 s6, 0
	s_mov_b32 s1, 0
	s_branch .LBB95_1556
.LBB95_1555:
	s_mov_b32 s1, -1
	s_mov_b32 s6, 0
.LBB95_1556:
                                        ; implicit-def: $vgpr14_vgpr15
.LBB95_1557:
	s_and_b32 vcc_lo, exec_lo, s7
	s_cbranch_vccz .LBB95_1561
; %bb.1558:
	s_cmp_eq_u32 s0, 44
	s_cbranch_scc0 .LBB95_1560
; %bb.1559:
	global_load_u8 v1, v[16:17], off
	s_mov_b32 s1, 0
	s_mov_b32 s6, -1
	s_wait_loadcnt 0x0
	v_lshlrev_b32_e32 v3, 23, v1
	v_cmp_ne_u32_e32 vcc_lo, 0xff, v1
	s_delay_alu instid0(VALU_DEP_2) | instskip(NEXT) | instid1(VALU_DEP_1)
	v_cvt_f64_f32_e32 v[14:15], v3
	v_cndmask_b32_e32 v3, 0x20000000, v14, vcc_lo
	s_delay_alu instid0(VALU_DEP_2) | instskip(SKIP_1) | instid1(VALU_DEP_2)
	v_cndmask_b32_e32 v5, 0x7ff80000, v15, vcc_lo
	v_cmp_ne_u32_e32 vcc_lo, 0, v1
	v_cndmask_b32_e32 v15, 0x38000000, v5, vcc_lo
	s_delay_alu instid0(VALU_DEP_4)
	v_cndmask_b32_e32 v14, 0, v3, vcc_lo
	s_branch .LBB95_1561
.LBB95_1560:
	s_mov_b32 s1, -1
                                        ; implicit-def: $vgpr14_vgpr15
.LBB95_1561:
	s_mov_b32 s7, 0
.LBB95_1562:
	s_delay_alu instid0(SALU_CYCLE_1)
	s_and_b32 vcc_lo, exec_lo, s7
	s_cbranch_vccz .LBB95_1566
; %bb.1563:
	s_cmp_eq_u32 s0, 29
	s_cbranch_scc0 .LBB95_1565
; %bb.1564:
	global_load_b64 v[14:15], v[16:17], off
	s_mov_b32 s1, 0
	s_mov_b32 s6, -1
	s_mov_b32 s7, 0
	s_wait_loadcnt 0x0
	v_cvt_f64_u32_e32 v[18:19], v15
	v_cvt_f64_u32_e32 v[14:15], v14
	s_delay_alu instid0(VALU_DEP_2) | instskip(NEXT) | instid1(VALU_DEP_1)
	v_ldexp_f64 v[18:19], v[18:19], 32
	v_add_f64_e32 v[14:15], v[18:19], v[14:15]
	s_branch .LBB95_1567
.LBB95_1565:
	s_mov_b32 s1, -1
                                        ; implicit-def: $vgpr14_vgpr15
.LBB95_1566:
	s_mov_b32 s7, 0
.LBB95_1567:
	s_delay_alu instid0(SALU_CYCLE_1)
	s_and_b32 vcc_lo, exec_lo, s7
	s_cbranch_vccz .LBB95_1585
; %bb.1568:
	s_cmp_lt_i32 s0, 27
	s_cbranch_scc1 .LBB95_1571
; %bb.1569:
	s_cmp_gt_i32 s0, 27
	s_cbranch_scc0 .LBB95_1572
; %bb.1570:
	global_load_b32 v1, v[16:17], off
	s_mov_b32 s6, 0
	s_wait_loadcnt 0x0
	v_cvt_f64_u32_e32 v[14:15], v1
	s_branch .LBB95_1573
.LBB95_1571:
	s_mov_b32 s6, -1
                                        ; implicit-def: $vgpr14_vgpr15
	s_branch .LBB95_1576
.LBB95_1572:
	s_mov_b32 s6, -1
                                        ; implicit-def: $vgpr14_vgpr15
.LBB95_1573:
	s_delay_alu instid0(SALU_CYCLE_1)
	s_and_not1_b32 vcc_lo, exec_lo, s6
	s_cbranch_vccnz .LBB95_1575
; %bb.1574:
	global_load_u16 v1, v[16:17], off
	s_wait_loadcnt 0x0
	v_cvt_f64_u32_e32 v[14:15], v1
.LBB95_1575:
	s_mov_b32 s6, 0
.LBB95_1576:
	s_delay_alu instid0(SALU_CYCLE_1)
	s_and_not1_b32 vcc_lo, exec_lo, s6
	s_cbranch_vccnz .LBB95_1584
; %bb.1577:
	global_load_u8 v1, v[16:17], off
	s_mov_b32 s6, 0
	s_mov_b32 s7, exec_lo
	s_wait_loadcnt 0x0
	v_cmpx_lt_i16_e32 0x7f, v1
	s_xor_b32 s7, exec_lo, s7
	s_cbranch_execz .LBB95_1598
; %bb.1578:
	s_mov_b32 s6, -1
	s_mov_b32 s8, exec_lo
	v_cmpx_eq_u16_e32 0x80, v1
; %bb.1579:
	s_xor_b32 s6, exec_lo, -1
; %bb.1580:
	s_or_b32 exec_lo, exec_lo, s8
	s_delay_alu instid0(SALU_CYCLE_1)
	s_and_b32 s6, s6, exec_lo
	s_or_saveexec_b32 s7, s7
	v_mov_b64_e32 v[14:15], 0x7ff8000020000000
	s_xor_b32 exec_lo, exec_lo, s7
	s_cbranch_execnz .LBB95_1599
.LBB95_1581:
	s_or_b32 exec_lo, exec_lo, s7
	s_and_saveexec_b32 s7, s6
	s_cbranch_execz .LBB95_1583
.LBB95_1582:
	v_and_b32_e32 v3, 0xffff, v1
	s_delay_alu instid0(VALU_DEP_1) | instskip(SKIP_1) | instid1(VALU_DEP_2)
	v_dual_lshlrev_b32 v1, 24, v1 :: v_dual_bitop2_b32 v5, 7, v3 bitop3:0x40
	v_bfe_u32 v15, v3, 3, 4
	v_and_b32_e32 v1, 0x80000000, v1
	s_delay_alu instid0(VALU_DEP_3) | instskip(NEXT) | instid1(VALU_DEP_3)
	v_clz_i32_u32_e32 v7, v5
	v_cmp_eq_u32_e32 vcc_lo, 0, v15
	s_delay_alu instid0(VALU_DEP_2) | instskip(NEXT) | instid1(VALU_DEP_1)
	v_min_u32_e32 v7, 32, v7
	v_subrev_nc_u32_e32 v14, 28, v7
	v_sub_nc_u32_e32 v7, 29, v7
	s_delay_alu instid0(VALU_DEP_2) | instskip(NEXT) | instid1(VALU_DEP_2)
	v_lshlrev_b32_e32 v3, v14, v3
	v_cndmask_b32_e32 v7, v15, v7, vcc_lo
	s_delay_alu instid0(VALU_DEP_2) | instskip(NEXT) | instid1(VALU_DEP_1)
	v_and_b32_e32 v3, 7, v3
	v_cndmask_b32_e32 v3, v5, v3, vcc_lo
	s_delay_alu instid0(VALU_DEP_3) | instskip(NEXT) | instid1(VALU_DEP_2)
	v_lshl_add_u32 v5, v7, 23, 0x3b800000
	v_lshlrev_b32_e32 v3, 20, v3
	s_delay_alu instid0(VALU_DEP_1) | instskip(NEXT) | instid1(VALU_DEP_1)
	v_or3_b32 v1, v1, v5, v3
	v_cvt_f64_f32_e32 v[14:15], v1
.LBB95_1583:
	s_or_b32 exec_lo, exec_lo, s7
.LBB95_1584:
	s_mov_b32 s6, -1
.LBB95_1585:
	s_mov_b32 s7, 0
.LBB95_1586:
	s_delay_alu instid0(SALU_CYCLE_1)
	s_and_b32 vcc_lo, exec_lo, s7
	s_cbranch_vccz .LBB95_1619
; %bb.1587:
	s_cmp_gt_i32 s0, 22
	s_cbranch_scc0 .LBB95_1597
; %bb.1588:
	s_cmp_lt_i32 s0, 24
	s_cbranch_scc1 .LBB95_1600
; %bb.1589:
	s_cmp_gt_i32 s0, 24
	s_cbranch_scc0 .LBB95_1601
; %bb.1590:
	global_load_u8 v1, v[16:17], off
	s_mov_b32 s6, exec_lo
	s_wait_loadcnt 0x0
	v_cmpx_lt_i16_e32 0x7f, v1
	s_xor_b32 s6, exec_lo, s6
	s_cbranch_execz .LBB95_1613
; %bb.1591:
	s_mov_b32 s2, -1
	s_mov_b32 s7, exec_lo
	v_cmpx_eq_u16_e32 0x80, v1
; %bb.1592:
	s_xor_b32 s2, exec_lo, -1
; %bb.1593:
	s_or_b32 exec_lo, exec_lo, s7
	s_delay_alu instid0(SALU_CYCLE_1)
	s_and_b32 s2, s2, exec_lo
	s_or_saveexec_b32 s6, s6
	v_mov_b64_e32 v[14:15], 0x7ff8000020000000
	s_xor_b32 exec_lo, exec_lo, s6
	s_cbranch_execnz .LBB95_1614
.LBB95_1594:
	s_or_b32 exec_lo, exec_lo, s6
	s_and_saveexec_b32 s6, s2
	s_cbranch_execz .LBB95_1596
.LBB95_1595:
	v_and_b32_e32 v3, 0xffff, v1
	s_delay_alu instid0(VALU_DEP_1) | instskip(SKIP_1) | instid1(VALU_DEP_2)
	v_dual_lshlrev_b32 v1, 24, v1 :: v_dual_bitop2_b32 v5, 3, v3 bitop3:0x40
	v_bfe_u32 v15, v3, 2, 5
	v_and_b32_e32 v1, 0x80000000, v1
	s_delay_alu instid0(VALU_DEP_3) | instskip(NEXT) | instid1(VALU_DEP_3)
	v_clz_i32_u32_e32 v7, v5
	v_cmp_eq_u32_e32 vcc_lo, 0, v15
	s_delay_alu instid0(VALU_DEP_2) | instskip(NEXT) | instid1(VALU_DEP_1)
	v_min_u32_e32 v7, 32, v7
	v_subrev_nc_u32_e32 v14, 29, v7
	v_sub_nc_u32_e32 v7, 30, v7
	s_delay_alu instid0(VALU_DEP_2) | instskip(NEXT) | instid1(VALU_DEP_2)
	v_lshlrev_b32_e32 v3, v14, v3
	v_cndmask_b32_e32 v7, v15, v7, vcc_lo
	s_delay_alu instid0(VALU_DEP_2) | instskip(NEXT) | instid1(VALU_DEP_1)
	v_and_b32_e32 v3, 3, v3
	v_cndmask_b32_e32 v3, v5, v3, vcc_lo
	s_delay_alu instid0(VALU_DEP_3) | instskip(NEXT) | instid1(VALU_DEP_2)
	v_lshl_add_u32 v5, v7, 23, 0x37800000
	v_lshlrev_b32_e32 v3, 21, v3
	s_delay_alu instid0(VALU_DEP_1) | instskip(NEXT) | instid1(VALU_DEP_1)
	v_or3_b32 v1, v1, v5, v3
	v_cvt_f64_f32_e32 v[14:15], v1
.LBB95_1596:
	s_or_b32 exec_lo, exec_lo, s6
	s_mov_b32 s2, 0
	s_branch .LBB95_1602
.LBB95_1597:
	s_mov_b32 s2, -1
                                        ; implicit-def: $vgpr14_vgpr15
	s_branch .LBB95_1608
.LBB95_1598:
	s_or_saveexec_b32 s7, s7
	v_mov_b64_e32 v[14:15], 0x7ff8000020000000
	s_xor_b32 exec_lo, exec_lo, s7
	s_cbranch_execz .LBB95_1581
.LBB95_1599:
	v_cmp_ne_u16_e32 vcc_lo, 0, v1
	v_mov_b64_e32 v[14:15], 0
	s_and_not1_b32 s6, s6, exec_lo
	s_and_b32 s8, vcc_lo, exec_lo
	s_delay_alu instid0(SALU_CYCLE_1)
	s_or_b32 s6, s6, s8
	s_or_b32 exec_lo, exec_lo, s7
	s_and_saveexec_b32 s7, s6
	s_cbranch_execnz .LBB95_1582
	s_branch .LBB95_1583
.LBB95_1600:
	s_mov_b32 s2, -1
                                        ; implicit-def: $vgpr14_vgpr15
	s_branch .LBB95_1605
.LBB95_1601:
	s_mov_b32 s2, -1
                                        ; implicit-def: $vgpr14_vgpr15
.LBB95_1602:
	s_delay_alu instid0(SALU_CYCLE_1)
	s_and_b32 vcc_lo, exec_lo, s2
	s_cbranch_vccz .LBB95_1604
; %bb.1603:
	global_load_u8 v1, v[16:17], off
	s_wait_loadcnt 0x0
	v_lshlrev_b32_e32 v1, 24, v1
	s_delay_alu instid0(VALU_DEP_1) | instskip(NEXT) | instid1(VALU_DEP_1)
	v_and_b32_e32 v3, 0x7f000000, v1
	v_clz_i32_u32_e32 v5, v3
	v_cmp_ne_u32_e32 vcc_lo, 0, v3
	v_add_nc_u32_e32 v14, 0x1000000, v3
	s_delay_alu instid0(VALU_DEP_3) | instskip(NEXT) | instid1(VALU_DEP_1)
	v_min_u32_e32 v5, 32, v5
	v_sub_nc_u32_e64 v5, v5, 4 clamp
	s_delay_alu instid0(VALU_DEP_1) | instskip(NEXT) | instid1(VALU_DEP_1)
	v_dual_lshlrev_b32 v7, v5, v3 :: v_dual_lshlrev_b32 v5, 23, v5
	v_lshrrev_b32_e32 v7, 4, v7
	s_delay_alu instid0(VALU_DEP_1) | instskip(NEXT) | instid1(VALU_DEP_1)
	v_dual_sub_nc_u32 v5, v7, v5 :: v_dual_ashrrev_i32 v7, 8, v14
	v_add_nc_u32_e32 v5, 0x3c000000, v5
	s_delay_alu instid0(VALU_DEP_1) | instskip(NEXT) | instid1(VALU_DEP_1)
	v_and_or_b32 v5, 0x7f800000, v7, v5
	v_cndmask_b32_e32 v3, 0, v5, vcc_lo
	s_delay_alu instid0(VALU_DEP_1) | instskip(NEXT) | instid1(VALU_DEP_1)
	v_and_or_b32 v1, 0x80000000, v1, v3
	v_cvt_f64_f32_e32 v[14:15], v1
.LBB95_1604:
	s_mov_b32 s2, 0
.LBB95_1605:
	s_delay_alu instid0(SALU_CYCLE_1)
	s_and_not1_b32 vcc_lo, exec_lo, s2
	s_cbranch_vccnz .LBB95_1607
; %bb.1606:
	global_load_u8 v1, v[16:17], off
	s_wait_loadcnt 0x0
	v_lshlrev_b32_e32 v3, 25, v1
	v_lshlrev_b16 v1, 8, v1
	s_delay_alu instid0(VALU_DEP_1) | instskip(SKIP_1) | instid1(VALU_DEP_2)
	v_and_or_b32 v7, 0x7f00, v1, 0.5
	v_bfe_i32 v1, v1, 0, 16
	v_add_f32_e32 v7, -0.5, v7
	v_lshrrev_b32_e32 v5, 4, v3
	v_cmp_gt_u32_e32 vcc_lo, 0x8000000, v3
	s_delay_alu instid0(VALU_DEP_2) | instskip(NEXT) | instid1(VALU_DEP_1)
	v_or_b32_e32 v5, 0x70000000, v5
	v_mul_f32_e32 v5, 0x7800000, v5
	s_delay_alu instid0(VALU_DEP_1) | instskip(NEXT) | instid1(VALU_DEP_1)
	v_cndmask_b32_e32 v3, v5, v7, vcc_lo
	v_and_or_b32 v1, 0x80000000, v1, v3
	s_delay_alu instid0(VALU_DEP_1)
	v_cvt_f64_f32_e32 v[14:15], v1
.LBB95_1607:
	s_mov_b32 s2, 0
	s_mov_b32 s6, -1
.LBB95_1608:
	s_and_not1_b32 vcc_lo, exec_lo, s2
	s_mov_b32 s2, 0
	s_cbranch_vccnz .LBB95_1619
; %bb.1609:
	s_cmp_gt_i32 s0, 14
	s_cbranch_scc0 .LBB95_1612
; %bb.1610:
	s_cmp_eq_u32 s0, 15
	s_cbranch_scc0 .LBB95_1615
; %bb.1611:
	global_load_u16 v1, v[16:17], off
	s_mov_b32 s1, 0
	s_mov_b32 s6, -1
	s_wait_loadcnt 0x0
	v_lshlrev_b32_e32 v1, 16, v1
	s_delay_alu instid0(VALU_DEP_1)
	v_cvt_f64_f32_e32 v[14:15], v1
	s_branch .LBB95_1617
.LBB95_1612:
	s_mov_b32 s2, -1
	s_branch .LBB95_1616
.LBB95_1613:
	s_or_saveexec_b32 s6, s6
	v_mov_b64_e32 v[14:15], 0x7ff8000020000000
	s_xor_b32 exec_lo, exec_lo, s6
	s_cbranch_execz .LBB95_1594
.LBB95_1614:
	v_cmp_ne_u16_e32 vcc_lo, 0, v1
	v_mov_b64_e32 v[14:15], 0
	s_and_not1_b32 s2, s2, exec_lo
	s_and_b32 s7, vcc_lo, exec_lo
	s_delay_alu instid0(SALU_CYCLE_1)
	s_or_b32 s2, s2, s7
	s_or_b32 exec_lo, exec_lo, s6
	s_and_saveexec_b32 s6, s2
	s_cbranch_execnz .LBB95_1595
	s_branch .LBB95_1596
.LBB95_1615:
	s_mov_b32 s1, -1
.LBB95_1616:
                                        ; implicit-def: $vgpr14_vgpr15
.LBB95_1617:
	s_and_b32 vcc_lo, exec_lo, s2
	s_mov_b32 s2, 0
	s_cbranch_vccz .LBB95_1619
; %bb.1618:
	s_cmp_lg_u32 s0, 11
	s_mov_b32 s2, -1
	s_cselect_b32 s1, -1, 0
.LBB95_1619:
	s_delay_alu instid0(SALU_CYCLE_1)
	s_and_b32 vcc_lo, exec_lo, s1
	s_cbranch_vccnz .LBB95_2151
; %bb.1620:
	s_and_not1_b32 vcc_lo, exec_lo, s2
	s_cbranch_vccnz .LBB95_1622
.LBB95_1621:
	global_load_u8 v1, v[16:17], off
	v_mov_b32_e32 v14, 0
	s_mov_b32 s6, -1
	s_wait_loadcnt 0x0
	v_cmp_ne_u16_e32 vcc_lo, 0, v1
	v_cndmask_b32_e64 v15, 0, 0x3ff00000, vcc_lo
.LBB95_1622:
	s_mov_b32 s1, 0
.LBB95_1623:
	s_delay_alu instid0(SALU_CYCLE_1)
	s_and_b32 vcc_lo, exec_lo, s1
	s_cbranch_vccz .LBB95_1672
; %bb.1624:
	s_cmp_lt_i32 s0, 5
	s_cbranch_scc1 .LBB95_1629
; %bb.1625:
	s_cmp_lt_i32 s0, 8
	s_cbranch_scc1 .LBB95_1630
	;; [unrolled: 3-line block ×3, first 2 shown]
; %bb.1627:
	s_cmp_gt_i32 s0, 9
	s_cbranch_scc0 .LBB95_1632
; %bb.1628:
	global_load_b64 v[14:15], v[16:17], off
	s_mov_b32 s1, 0
	s_branch .LBB95_1633
.LBB95_1629:
	s_mov_b32 s1, -1
                                        ; implicit-def: $vgpr14_vgpr15
	s_branch .LBB95_1651
.LBB95_1630:
	s_mov_b32 s1, -1
                                        ; implicit-def: $vgpr14_vgpr15
	s_branch .LBB95_1639
.LBB95_1631:
	s_mov_b32 s1, -1
                                        ; implicit-def: $vgpr14_vgpr15
	s_branch .LBB95_1636
.LBB95_1632:
	s_mov_b32 s1, -1
                                        ; implicit-def: $vgpr14_vgpr15
.LBB95_1633:
	s_delay_alu instid0(SALU_CYCLE_1)
	s_and_not1_b32 vcc_lo, exec_lo, s1
	s_cbranch_vccnz .LBB95_1635
; %bb.1634:
	global_load_b32 v1, v[16:17], off
	s_wait_loadcnt 0x0
	v_cvt_f64_f32_e32 v[14:15], v1
.LBB95_1635:
	s_mov_b32 s1, 0
.LBB95_1636:
	s_delay_alu instid0(SALU_CYCLE_1)
	s_and_not1_b32 vcc_lo, exec_lo, s1
	s_cbranch_vccnz .LBB95_1638
; %bb.1637:
	global_load_b32 v1, v[16:17], off
	s_wait_loadcnt 0x0
	v_cvt_f32_f16_e32 v1, v1
	s_delay_alu instid0(VALU_DEP_1)
	v_cvt_f64_f32_e32 v[14:15], v1
.LBB95_1638:
	s_mov_b32 s1, 0
.LBB95_1639:
	s_delay_alu instid0(SALU_CYCLE_1)
	s_and_not1_b32 vcc_lo, exec_lo, s1
	s_cbranch_vccnz .LBB95_1650
; %bb.1640:
	s_cmp_lt_i32 s0, 6
	s_cbranch_scc1 .LBB95_1643
; %bb.1641:
	s_cmp_gt_i32 s0, 6
	s_cbranch_scc0 .LBB95_1644
; %bb.1642:
	s_wait_loadcnt 0x0
	global_load_b64 v[14:15], v[16:17], off
	s_mov_b32 s1, 0
	s_branch .LBB95_1645
.LBB95_1643:
	s_mov_b32 s1, -1
                                        ; implicit-def: $vgpr14_vgpr15
	s_branch .LBB95_1648
.LBB95_1644:
	s_mov_b32 s1, -1
                                        ; implicit-def: $vgpr14_vgpr15
.LBB95_1645:
	s_delay_alu instid0(SALU_CYCLE_1)
	s_and_not1_b32 vcc_lo, exec_lo, s1
	s_cbranch_vccnz .LBB95_1647
; %bb.1646:
	global_load_b32 v1, v[16:17], off
	s_wait_loadcnt 0x0
	v_cvt_f64_f32_e32 v[14:15], v1
.LBB95_1647:
	s_mov_b32 s1, 0
.LBB95_1648:
	s_delay_alu instid0(SALU_CYCLE_1)
	s_and_not1_b32 vcc_lo, exec_lo, s1
	s_cbranch_vccnz .LBB95_1650
; %bb.1649:
	global_load_u16 v1, v[16:17], off
	s_wait_loadcnt 0x0
	v_cvt_f32_f16_e32 v1, v1
	s_delay_alu instid0(VALU_DEP_1)
	v_cvt_f64_f32_e32 v[14:15], v1
.LBB95_1650:
	s_mov_b32 s1, 0
.LBB95_1651:
	s_delay_alu instid0(SALU_CYCLE_1)
	s_and_not1_b32 vcc_lo, exec_lo, s1
	s_cbranch_vccnz .LBB95_1671
; %bb.1652:
	s_cmp_lt_i32 s0, 2
	s_cbranch_scc1 .LBB95_1656
; %bb.1653:
	s_cmp_lt_i32 s0, 3
	s_cbranch_scc1 .LBB95_1657
; %bb.1654:
	s_cmp_gt_i32 s0, 3
	s_cbranch_scc0 .LBB95_1658
; %bb.1655:
	s_wait_loadcnt 0x0
	global_load_b64 v[14:15], v[16:17], off
	s_mov_b32 s1, 0
	s_wait_loadcnt 0x0
	v_cvt_f64_i32_e32 v[18:19], v15
	v_cvt_f64_u32_e32 v[14:15], v14
	s_delay_alu instid0(VALU_DEP_2) | instskip(NEXT) | instid1(VALU_DEP_1)
	v_ldexp_f64 v[18:19], v[18:19], 32
	v_add_f64_e32 v[14:15], v[18:19], v[14:15]
	s_branch .LBB95_1659
.LBB95_1656:
	s_mov_b32 s1, -1
                                        ; implicit-def: $vgpr14_vgpr15
	s_branch .LBB95_1665
.LBB95_1657:
	s_mov_b32 s1, -1
                                        ; implicit-def: $vgpr14_vgpr15
	s_branch .LBB95_1662
.LBB95_1658:
	s_mov_b32 s1, -1
                                        ; implicit-def: $vgpr14_vgpr15
.LBB95_1659:
	s_delay_alu instid0(SALU_CYCLE_1)
	s_and_not1_b32 vcc_lo, exec_lo, s1
	s_cbranch_vccnz .LBB95_1661
; %bb.1660:
	global_load_b32 v1, v[16:17], off
	s_wait_loadcnt 0x0
	v_cvt_f64_i32_e32 v[14:15], v1
.LBB95_1661:
	s_mov_b32 s1, 0
.LBB95_1662:
	s_delay_alu instid0(SALU_CYCLE_1)
	s_and_not1_b32 vcc_lo, exec_lo, s1
	s_cbranch_vccnz .LBB95_1664
; %bb.1663:
	global_load_i16 v1, v[16:17], off
	s_wait_loadcnt 0x0
	v_cvt_f64_i32_e32 v[14:15], v1
.LBB95_1664:
	s_mov_b32 s1, 0
.LBB95_1665:
	s_delay_alu instid0(SALU_CYCLE_1)
	s_and_not1_b32 vcc_lo, exec_lo, s1
	s_cbranch_vccnz .LBB95_1671
; %bb.1666:
	s_cmp_gt_i32 s0, 0
	s_mov_b32 s0, 0
	s_cbranch_scc0 .LBB95_1668
; %bb.1667:
	global_load_i8 v1, v[16:17], off
	s_wait_loadcnt 0x0
	v_cvt_f64_i32_e32 v[14:15], v1
	s_branch .LBB95_1669
.LBB95_1668:
	s_mov_b32 s0, -1
                                        ; implicit-def: $vgpr14_vgpr15
.LBB95_1669:
	s_delay_alu instid0(SALU_CYCLE_1)
	s_and_not1_b32 vcc_lo, exec_lo, s0
	s_cbranch_vccnz .LBB95_1671
; %bb.1670:
	global_load_u8 v1, v[16:17], off
	s_wait_loadcnt 0x0
	v_cvt_f64_u32_e32 v[14:15], v1
.LBB95_1671:
	s_mov_b32 s6, -1
.LBB95_1672:
	s_delay_alu instid0(SALU_CYCLE_1)
	s_and_not1_b32 vcc_lo, exec_lo, s6
	s_cbranch_vccnz .LBB95_2105
; %bb.1673:
	s_clause 0x1
	s_load_b96 s[8:10], s[20:21], 0x160
	s_load_b32 s0, s[20:21], 0x158
	s_mov_b32 s13, 0
	s_mov_b32 s2, -1
	v_mov_b32_e32 v7, 0
	s_delay_alu instid0(VALU_DEP_1)
	v_add_nc_u64_e32 v[6:7], s[4:5], v[6:7]
	s_wait_loadcnt 0x0
	s_wait_kmcnt 0x0
	v_cmp_eq_f64_e32 vcc_lo, s[8:9], v[8:9]
	s_cmp_eq_u32 s0, 0
	s_cselect_b32 s0, -1, 0
	s_and_b32 s6, s10, 0xff
	s_delay_alu instid0(SALU_CYCLE_1) | instskip(SKIP_3) | instid1(VALU_DEP_1)
	s_cmp_lt_i32 s6, 11
	v_cndmask_b32_e64 v1, 0, 1, vcc_lo
	v_cmp_neq_f64_e32 vcc_lo, s[8:9], v[8:9]
	v_cndmask_b32_e64 v3, 0, 1, vcc_lo
	v_cndmask_b32_e64 v1, v3, v1, s0
	s_delay_alu instid0(VALU_DEP_1) | instskip(NEXT) | instid1(VALU_DEP_1)
	v_and_b32_e32 v1, 1, v1
	v_cmp_eq_u32_e64 s1, 1, v1
	s_cbranch_scc1 .LBB95_1752
; %bb.1674:
	s_and_b32 s7, 0xffff, s6
	s_mov_b32 s14, -1
	s_mov_b32 s10, 0
	s_cmp_gt_i32 s7, 25
	s_mov_b32 s2, 0
	s_cbranch_scc0 .LBB95_1707
; %bb.1675:
	s_cmp_gt_i32 s7, 28
	s_cbranch_scc0 .LBB95_1690
; %bb.1676:
	s_cmp_gt_i32 s7, 43
	;; [unrolled: 3-line block ×3, first 2 shown]
	s_cbranch_scc0 .LBB95_1680
; %bb.1678:
	s_mov_b32 s2, -1
	s_mov_b32 s14, 0
	s_cmp_eq_u32 s7, 46
	s_cbranch_scc0 .LBB95_1680
; %bb.1679:
	v_cndmask_b32_e64 v1, 0, 1.0, s1
	s_mov_b32 s2, 0
	s_mov_b32 s13, -1
	s_delay_alu instid0(VALU_DEP_1) | instskip(NEXT) | instid1(VALU_DEP_1)
	v_bfe_u32 v3, v1, 16, 1
	v_add3_u32 v1, v1, v3, 0x7fff
	s_delay_alu instid0(VALU_DEP_1)
	v_lshrrev_b32_e32 v1, 16, v1
	global_store_b32 v[6:7], v1, off
.LBB95_1680:
	s_and_b32 vcc_lo, exec_lo, s14
	s_cbranch_vccz .LBB95_1685
; %bb.1681:
	s_cmp_eq_u32 s7, 44
	s_mov_b32 s2, -1
	s_cbranch_scc0 .LBB95_1685
; %bb.1682:
	v_cndmask_b32_e64 v5, 0, 1.0, s1
	v_mov_b32_e32 v3, 0xff
	s_mov_b32 s13, exec_lo
	s_wait_xcnt 0x0
	s_delay_alu instid0(VALU_DEP_2) | instskip(NEXT) | instid1(VALU_DEP_1)
	v_lshrrev_b32_e32 v1, 23, v5
	v_cmpx_ne_u32_e32 0xff, v1
; %bb.1683:
	v_and_b32_e32 v3, 0x400000, v5
	v_and_or_b32 v5, 0x3fffff, v5, v1
	s_delay_alu instid0(VALU_DEP_2) | instskip(NEXT) | instid1(VALU_DEP_2)
	v_cmp_ne_u32_e32 vcc_lo, 0, v3
	v_cmp_ne_u32_e64 s2, 0, v5
	s_and_b32 s2, vcc_lo, s2
	s_delay_alu instid0(SALU_CYCLE_1) | instskip(NEXT) | instid1(VALU_DEP_1)
	v_cndmask_b32_e64 v3, 0, 1, s2
	v_add_nc_u32_e32 v3, v1, v3
; %bb.1684:
	s_or_b32 exec_lo, exec_lo, s13
	s_mov_b32 s2, 0
	s_mov_b32 s13, -1
	global_store_b8 v[6:7], v3, off
.LBB95_1685:
	s_mov_b32 s14, 0
.LBB95_1686:
	s_delay_alu instid0(SALU_CYCLE_1)
	s_and_b32 vcc_lo, exec_lo, s14
	s_cbranch_vccz .LBB95_1689
; %bb.1687:
	s_cmp_eq_u32 s7, 29
	s_mov_b32 s2, -1
	s_cbranch_scc0 .LBB95_1689
; %bb.1688:
	s_mov_b32 s2, 0
	v_cndmask_b32_e64 v8, 0, 1, s1
	v_mov_b32_e32 v9, s2
	s_mov_b32 s13, -1
	global_store_b64 v[6:7], v[8:9], off
.LBB95_1689:
	s_mov_b32 s14, 0
.LBB95_1690:
	s_delay_alu instid0(SALU_CYCLE_1)
	s_and_b32 vcc_lo, exec_lo, s14
	s_cbranch_vccz .LBB95_1706
; %bb.1691:
	s_cmp_lt_i32 s7, 27
	s_mov_b32 s13, -1
	s_cbranch_scc1 .LBB95_1697
; %bb.1692:
	s_cmp_gt_i32 s7, 27
	s_cbranch_scc0 .LBB95_1694
; %bb.1693:
	s_wait_xcnt 0x0
	v_cndmask_b32_e64 v1, 0, 1, s1
	s_mov_b32 s13, 0
	global_store_b32 v[6:7], v1, off
.LBB95_1694:
	s_and_not1_b32 vcc_lo, exec_lo, s13
	s_cbranch_vccnz .LBB95_1696
; %bb.1695:
	s_wait_xcnt 0x0
	v_cndmask_b32_e64 v1, 0, 1, s1
	global_store_b16 v[6:7], v1, off
.LBB95_1696:
	s_mov_b32 s13, 0
.LBB95_1697:
	s_delay_alu instid0(SALU_CYCLE_1)
	s_and_not1_b32 vcc_lo, exec_lo, s13
	s_cbranch_vccnz .LBB95_1705
; %bb.1698:
	s_wait_xcnt 0x0
	v_cndmask_b32_e64 v3, 0, 1.0, s1
	v_mov_b32_e32 v5, 0x80
	s_mov_b32 s13, exec_lo
	s_delay_alu instid0(VALU_DEP_2)
	v_cmpx_gt_u32_e32 0x43800000, v3
	s_cbranch_execz .LBB95_1704
; %bb.1699:
	s_mov_b32 s14, 0
	s_mov_b32 s15, exec_lo
                                        ; implicit-def: $vgpr1
	v_cmpx_lt_u32_e32 0x3bffffff, v3
	s_xor_b32 s15, exec_lo, s15
	s_cbranch_execz .LBB95_2152
; %bb.1700:
	v_bfe_u32 v1, v3, 20, 1
	s_mov_b32 s14, exec_lo
	s_delay_alu instid0(VALU_DEP_1) | instskip(NEXT) | instid1(VALU_DEP_1)
	v_add3_u32 v1, v3, v1, 0x487ffff
                                        ; implicit-def: $vgpr3
	v_lshrrev_b32_e32 v1, 20, v1
	s_and_not1_saveexec_b32 s15, s15
	s_cbranch_execnz .LBB95_2153
.LBB95_1701:
	s_or_b32 exec_lo, exec_lo, s15
	v_mov_b32_e32 v5, 0
	s_and_saveexec_b32 s15, s14
.LBB95_1702:
	v_mov_b32_e32 v5, v1
.LBB95_1703:
	s_or_b32 exec_lo, exec_lo, s15
.LBB95_1704:
	s_delay_alu instid0(SALU_CYCLE_1)
	s_or_b32 exec_lo, exec_lo, s13
	global_store_b8 v[6:7], v5, off
.LBB95_1705:
	s_mov_b32 s13, -1
.LBB95_1706:
	s_mov_b32 s14, 0
.LBB95_1707:
	s_delay_alu instid0(SALU_CYCLE_1)
	s_and_b32 vcc_lo, exec_lo, s14
	s_cbranch_vccz .LBB95_1747
; %bb.1708:
	s_cmp_gt_i32 s7, 22
	s_mov_b32 s10, -1
	s_cbranch_scc0 .LBB95_1740
; %bb.1709:
	s_cmp_lt_i32 s7, 24
	s_cbranch_scc1 .LBB95_1729
; %bb.1710:
	s_cmp_gt_i32 s7, 24
	s_cbranch_scc0 .LBB95_1718
; %bb.1711:
	s_wait_xcnt 0x0
	v_cndmask_b32_e64 v3, 0, 1.0, s1
	v_mov_b32_e32 v5, 0x80
	s_mov_b32 s10, exec_lo
	s_delay_alu instid0(VALU_DEP_2)
	v_cmpx_gt_u32_e32 0x47800000, v3
	s_cbranch_execz .LBB95_1717
; %bb.1712:
	s_mov_b32 s13, 0
	s_mov_b32 s14, exec_lo
                                        ; implicit-def: $vgpr1
	v_cmpx_lt_u32_e32 0x37ffffff, v3
	s_xor_b32 s14, exec_lo, s14
	s_cbranch_execz .LBB95_2155
; %bb.1713:
	v_bfe_u32 v1, v3, 21, 1
	s_mov_b32 s13, exec_lo
	s_delay_alu instid0(VALU_DEP_1) | instskip(NEXT) | instid1(VALU_DEP_1)
	v_add3_u32 v1, v3, v1, 0x88fffff
                                        ; implicit-def: $vgpr3
	v_lshrrev_b32_e32 v1, 21, v1
	s_and_not1_saveexec_b32 s14, s14
	s_cbranch_execnz .LBB95_2156
.LBB95_1714:
	s_or_b32 exec_lo, exec_lo, s14
	v_mov_b32_e32 v5, 0
	s_and_saveexec_b32 s14, s13
.LBB95_1715:
	v_mov_b32_e32 v5, v1
.LBB95_1716:
	s_or_b32 exec_lo, exec_lo, s14
.LBB95_1717:
	s_delay_alu instid0(SALU_CYCLE_1)
	s_or_b32 exec_lo, exec_lo, s10
	s_mov_b32 s10, 0
	global_store_b8 v[6:7], v5, off
.LBB95_1718:
	s_and_b32 vcc_lo, exec_lo, s10
	s_cbranch_vccz .LBB95_1728
; %bb.1719:
	s_wait_xcnt 0x0
	v_cndmask_b32_e64 v3, 0, 1.0, s1
	s_mov_b32 s10, exec_lo
                                        ; implicit-def: $vgpr1
	s_delay_alu instid0(VALU_DEP_1)
	v_cmpx_gt_u32_e32 0x43f00000, v3
	s_xor_b32 s10, exec_lo, s10
	s_cbranch_execz .LBB95_1725
; %bb.1720:
	s_mov_b32 s13, exec_lo
                                        ; implicit-def: $vgpr1
	v_cmpx_lt_u32_e32 0x3c7fffff, v3
	s_xor_b32 s13, exec_lo, s13
; %bb.1721:
	v_bfe_u32 v1, v3, 20, 1
	s_delay_alu instid0(VALU_DEP_1) | instskip(NEXT) | instid1(VALU_DEP_1)
	v_add3_u32 v1, v3, v1, 0x407ffff
	v_and_b32_e32 v3, 0xff00000, v1
	v_lshrrev_b32_e32 v1, 20, v1
	s_delay_alu instid0(VALU_DEP_2) | instskip(NEXT) | instid1(VALU_DEP_2)
	v_cmp_ne_u32_e32 vcc_lo, 0x7f00000, v3
                                        ; implicit-def: $vgpr3
	v_cndmask_b32_e32 v1, 0x7e, v1, vcc_lo
; %bb.1722:
	s_and_not1_saveexec_b32 s13, s13
; %bb.1723:
	v_add_f32_e32 v1, 0x46800000, v3
; %bb.1724:
	s_or_b32 exec_lo, exec_lo, s13
                                        ; implicit-def: $vgpr3
.LBB95_1725:
	s_and_not1_saveexec_b32 s10, s10
; %bb.1726:
	v_mov_b32_e32 v1, 0x7f
	v_cmp_lt_u32_e32 vcc_lo, 0x7f800000, v3
	s_delay_alu instid0(VALU_DEP_2)
	v_cndmask_b32_e32 v1, 0x7e, v1, vcc_lo
; %bb.1727:
	s_or_b32 exec_lo, exec_lo, s10
	global_store_b8 v[6:7], v1, off
.LBB95_1728:
	s_mov_b32 s10, 0
.LBB95_1729:
	s_delay_alu instid0(SALU_CYCLE_1)
	s_and_not1_b32 vcc_lo, exec_lo, s10
	s_cbranch_vccnz .LBB95_1739
; %bb.1730:
	s_wait_xcnt 0x0
	v_cndmask_b32_e64 v3, 0, 1.0, s1
	s_mov_b32 s10, exec_lo
                                        ; implicit-def: $vgpr1
	s_delay_alu instid0(VALU_DEP_1)
	v_cmpx_gt_u32_e32 0x47800000, v3
	s_xor_b32 s10, exec_lo, s10
	s_cbranch_execz .LBB95_1736
; %bb.1731:
	s_mov_b32 s13, exec_lo
                                        ; implicit-def: $vgpr1
	v_cmpx_lt_u32_e32 0x387fffff, v3
	s_xor_b32 s13, exec_lo, s13
; %bb.1732:
	v_bfe_u32 v1, v3, 21, 1
	s_delay_alu instid0(VALU_DEP_1) | instskip(NEXT) | instid1(VALU_DEP_1)
	v_add3_u32 v1, v3, v1, 0x80fffff
                                        ; implicit-def: $vgpr3
	v_lshrrev_b32_e32 v1, 21, v1
; %bb.1733:
	s_and_not1_saveexec_b32 s13, s13
; %bb.1734:
	v_add_f32_e32 v1, 0x43000000, v3
; %bb.1735:
	s_or_b32 exec_lo, exec_lo, s13
                                        ; implicit-def: $vgpr3
.LBB95_1736:
	s_and_not1_saveexec_b32 s10, s10
; %bb.1737:
	v_mov_b32_e32 v1, 0x7f
	v_cmp_lt_u32_e32 vcc_lo, 0x7f800000, v3
	s_delay_alu instid0(VALU_DEP_2)
	v_cndmask_b32_e32 v1, 0x7c, v1, vcc_lo
; %bb.1738:
	s_or_b32 exec_lo, exec_lo, s10
	global_store_b8 v[6:7], v1, off
.LBB95_1739:
	s_mov_b32 s10, 0
	s_mov_b32 s13, -1
.LBB95_1740:
	s_and_not1_b32 vcc_lo, exec_lo, s10
	s_mov_b32 s10, 0
	s_cbranch_vccnz .LBB95_1747
; %bb.1741:
	s_cmp_gt_i32 s7, 14
	s_mov_b32 s10, -1
	s_cbranch_scc0 .LBB95_1745
; %bb.1742:
	s_cmp_eq_u32 s7, 15
	s_mov_b32 s2, -1
	s_cbranch_scc0 .LBB95_1744
; %bb.1743:
	s_wait_xcnt 0x0
	v_cndmask_b32_e64 v1, 0, 1.0, s1
	s_mov_b32 s2, 0
	s_mov_b32 s13, -1
	s_delay_alu instid0(VALU_DEP_1) | instskip(NEXT) | instid1(VALU_DEP_1)
	v_bfe_u32 v3, v1, 16, 1
	v_add3_u32 v1, v1, v3, 0x7fff
	global_store_d16_hi_b16 v[6:7], v1, off
.LBB95_1744:
	s_mov_b32 s10, 0
.LBB95_1745:
	s_delay_alu instid0(SALU_CYCLE_1)
	s_and_b32 vcc_lo, exec_lo, s10
	s_mov_b32 s10, 0
	s_cbranch_vccz .LBB95_1747
; %bb.1746:
	s_cmp_lg_u32 s7, 11
	s_mov_b32 s10, -1
	s_cselect_b32 s2, -1, 0
.LBB95_1747:
	s_delay_alu instid0(SALU_CYCLE_1)
	s_and_b32 vcc_lo, exec_lo, s2
	s_cbranch_vccnz .LBB95_2154
; %bb.1748:
	s_and_not1_b32 vcc_lo, exec_lo, s10
	s_cbranch_vccnz .LBB95_1750
.LBB95_1749:
	s_wait_xcnt 0x0
	v_cndmask_b32_e64 v1, 0, 1, s1
	s_mov_b32 s13, -1
	global_store_b8 v[6:7], v1, off
.LBB95_1750:
.LBB95_1751:
	s_and_not1_b32 vcc_lo, exec_lo, s13
	s_cbranch_vccnz .LBB95_2105
	s_branch .LBB95_1791
.LBB95_1752:
	s_and_b32 vcc_lo, exec_lo, s2
	s_cbranch_vccz .LBB95_1751
; %bb.1753:
	s_and_b32 s2, 0xffff, s6
	s_mov_b32 s7, -1
	s_cmp_lt_i32 s2, 5
	s_cbranch_scc1 .LBB95_1774
; %bb.1754:
	s_cmp_lt_i32 s2, 8
	s_cbranch_scc1 .LBB95_1764
; %bb.1755:
	;; [unrolled: 3-line block ×3, first 2 shown]
	s_cmp_gt_i32 s2, 9
	s_cbranch_scc0 .LBB95_1758
; %bb.1757:
	s_wait_xcnt 0x0
	v_cndmask_b32_e64 v1, 0, 1, s1
	v_mov_b32_e32 v18, 0
	s_mov_b32 s7, 0
	s_delay_alu instid0(VALU_DEP_2) | instskip(NEXT) | instid1(VALU_DEP_2)
	v_cvt_f64_u32_e32 v[16:17], v1
	v_mov_b32_e32 v19, v18
	global_store_b128 v[6:7], v[16:19], off
.LBB95_1758:
	s_and_not1_b32 vcc_lo, exec_lo, s7
	s_cbranch_vccnz .LBB95_1760
; %bb.1759:
	s_wait_xcnt 0x0
	v_cndmask_b32_e64 v8, 0, 1.0, s1
	v_mov_b32_e32 v9, 0
	global_store_b64 v[6:7], v[8:9], off
.LBB95_1760:
	s_mov_b32 s7, 0
.LBB95_1761:
	s_delay_alu instid0(SALU_CYCLE_1)
	s_and_not1_b32 vcc_lo, exec_lo, s7
	s_cbranch_vccnz .LBB95_1763
; %bb.1762:
	s_wait_xcnt 0x0
	v_cndmask_b32_e64 v1, 0, 1.0, s1
	s_delay_alu instid0(VALU_DEP_1) | instskip(NEXT) | instid1(VALU_DEP_1)
	v_cvt_f16_f32_e32 v1, v1
	v_and_b32_e32 v1, 0xffff, v1
	global_store_b32 v[6:7], v1, off
.LBB95_1763:
	s_mov_b32 s7, 0
.LBB95_1764:
	s_delay_alu instid0(SALU_CYCLE_1)
	s_and_not1_b32 vcc_lo, exec_lo, s7
	s_cbranch_vccnz .LBB95_1773
; %bb.1765:
	s_cmp_lt_i32 s2, 6
	s_mov_b32 s7, -1
	s_cbranch_scc1 .LBB95_1771
; %bb.1766:
	s_cmp_gt_i32 s2, 6
	s_cbranch_scc0 .LBB95_1768
; %bb.1767:
	s_wait_xcnt 0x0
	v_cndmask_b32_e64 v1, 0, 1, s1
	s_mov_b32 s7, 0
	s_delay_alu instid0(VALU_DEP_1)
	v_cvt_f64_u32_e32 v[8:9], v1
	global_store_b64 v[6:7], v[8:9], off
.LBB95_1768:
	s_and_not1_b32 vcc_lo, exec_lo, s7
	s_cbranch_vccnz .LBB95_1770
; %bb.1769:
	s_wait_xcnt 0x0
	v_cndmask_b32_e64 v1, 0, 1.0, s1
	global_store_b32 v[6:7], v1, off
.LBB95_1770:
	s_mov_b32 s7, 0
.LBB95_1771:
	s_delay_alu instid0(SALU_CYCLE_1)
	s_and_not1_b32 vcc_lo, exec_lo, s7
	s_cbranch_vccnz .LBB95_1773
; %bb.1772:
	s_wait_xcnt 0x0
	v_cndmask_b32_e64 v1, 0, 1.0, s1
	s_delay_alu instid0(VALU_DEP_1)
	v_cvt_f16_f32_e32 v1, v1
	global_store_b16 v[6:7], v1, off
.LBB95_1773:
	s_mov_b32 s7, 0
.LBB95_1774:
	s_delay_alu instid0(SALU_CYCLE_1)
	s_and_not1_b32 vcc_lo, exec_lo, s7
	s_cbranch_vccnz .LBB95_1790
; %bb.1775:
	s_cmp_lt_i32 s2, 2
	s_mov_b32 s7, -1
	s_cbranch_scc1 .LBB95_1785
; %bb.1776:
	s_cmp_lt_i32 s2, 3
	s_cbranch_scc1 .LBB95_1782
; %bb.1777:
	s_cmp_gt_i32 s2, 3
	s_cbranch_scc0 .LBB95_1779
; %bb.1778:
	s_mov_b32 s7, 0
	s_wait_xcnt 0x0
	v_cndmask_b32_e64 v8, 0, 1, s1
	v_mov_b32_e32 v9, s7
	global_store_b64 v[6:7], v[8:9], off
.LBB95_1779:
	s_and_not1_b32 vcc_lo, exec_lo, s7
	s_cbranch_vccnz .LBB95_1781
; %bb.1780:
	s_wait_xcnt 0x0
	v_cndmask_b32_e64 v1, 0, 1, s1
	global_store_b32 v[6:7], v1, off
.LBB95_1781:
	s_mov_b32 s7, 0
.LBB95_1782:
	s_delay_alu instid0(SALU_CYCLE_1)
	s_and_not1_b32 vcc_lo, exec_lo, s7
	s_cbranch_vccnz .LBB95_1784
; %bb.1783:
	s_wait_xcnt 0x0
	v_cndmask_b32_e64 v1, 0, 1, s1
	global_store_b16 v[6:7], v1, off
.LBB95_1784:
	s_mov_b32 s7, 0
.LBB95_1785:
	s_delay_alu instid0(SALU_CYCLE_1)
	s_and_not1_b32 vcc_lo, exec_lo, s7
	s_cbranch_vccnz .LBB95_1790
; %bb.1786:
	s_wait_xcnt 0x0
	v_cndmask_b32_e64 v1, 0, 1, s1
	s_cmp_gt_i32 s2, 0
	s_mov_b32 s1, -1
	s_cbranch_scc0 .LBB95_1788
; %bb.1787:
	s_mov_b32 s1, 0
	global_store_b8 v[6:7], v1, off
.LBB95_1788:
	s_and_not1_b32 vcc_lo, exec_lo, s1
	s_cbranch_vccnz .LBB95_1790
; %bb.1789:
	global_store_b8 v[6:7], v1, off
.LBB95_1790:
.LBB95_1791:
	v_cmp_eq_f64_e32 vcc_lo, s[8:9], v[10:11]
	s_and_b32 s7, 0xffff, s6
	s_wait_xcnt 0x0
	v_mov_b32_e32 v5, 0
	s_cmp_lt_i32 s7, 11
	s_delay_alu instid0(VALU_DEP_1) | instskip(SKIP_3) | instid1(VALU_DEP_1)
	v_add_nc_u64_e32 v[4:5], s[4:5], v[4:5]
	v_cndmask_b32_e64 v1, 0, 1, vcc_lo
	v_cmp_neq_f64_e32 vcc_lo, s[8:9], v[10:11]
	v_cndmask_b32_e64 v3, 0, 1, vcc_lo
	v_cndmask_b32_e64 v1, v3, v1, s0
	s_delay_alu instid0(VALU_DEP_1) | instskip(NEXT) | instid1(VALU_DEP_1)
	v_and_b32_e32 v1, 1, v1
	v_cmp_eq_u32_e64 s1, 1, v1
	s_cbranch_scc1 .LBB95_1869
; %bb.1792:
	s_mov_b32 s14, -1
	s_mov_b32 s10, 0
	s_cmp_gt_i32 s7, 25
	s_mov_b32 s13, 0
	s_mov_b32 s2, 0
	s_cbranch_scc0 .LBB95_1825
; %bb.1793:
	s_cmp_gt_i32 s7, 28
	s_cbranch_scc0 .LBB95_1808
; %bb.1794:
	s_cmp_gt_i32 s7, 43
	;; [unrolled: 3-line block ×3, first 2 shown]
	s_cbranch_scc0 .LBB95_1798
; %bb.1796:
	s_mov_b32 s2, -1
	s_mov_b32 s14, 0
	s_cmp_eq_u32 s7, 46
	s_cbranch_scc0 .LBB95_1798
; %bb.1797:
	v_cndmask_b32_e64 v1, 0, 1.0, s1
	s_mov_b32 s2, 0
	s_mov_b32 s13, -1
	s_delay_alu instid0(VALU_DEP_1) | instskip(NEXT) | instid1(VALU_DEP_1)
	v_bfe_u32 v3, v1, 16, 1
	v_add3_u32 v1, v1, v3, 0x7fff
	s_delay_alu instid0(VALU_DEP_1)
	v_lshrrev_b32_e32 v1, 16, v1
	global_store_b32 v[4:5], v1, off
.LBB95_1798:
	s_and_b32 vcc_lo, exec_lo, s14
	s_cbranch_vccz .LBB95_1803
; %bb.1799:
	s_cmp_eq_u32 s7, 44
	s_mov_b32 s2, -1
	s_cbranch_scc0 .LBB95_1803
; %bb.1800:
	v_cndmask_b32_e64 v6, 0, 1.0, s1
	v_mov_b32_e32 v3, 0xff
	s_mov_b32 s13, exec_lo
	s_wait_xcnt 0x0
	s_delay_alu instid0(VALU_DEP_2) | instskip(NEXT) | instid1(VALU_DEP_1)
	v_lshrrev_b32_e32 v1, 23, v6
	v_cmpx_ne_u32_e32 0xff, v1
; %bb.1801:
	v_and_b32_e32 v3, 0x400000, v6
	v_and_or_b32 v6, 0x3fffff, v6, v1
	s_delay_alu instid0(VALU_DEP_2) | instskip(NEXT) | instid1(VALU_DEP_2)
	v_cmp_ne_u32_e32 vcc_lo, 0, v3
	v_cmp_ne_u32_e64 s2, 0, v6
	s_and_b32 s2, vcc_lo, s2
	s_delay_alu instid0(SALU_CYCLE_1) | instskip(NEXT) | instid1(VALU_DEP_1)
	v_cndmask_b32_e64 v3, 0, 1, s2
	v_add_nc_u32_e32 v3, v1, v3
; %bb.1802:
	s_or_b32 exec_lo, exec_lo, s13
	s_mov_b32 s2, 0
	s_mov_b32 s13, -1
	global_store_b8 v[4:5], v3, off
.LBB95_1803:
	s_mov_b32 s14, 0
.LBB95_1804:
	s_delay_alu instid0(SALU_CYCLE_1)
	s_and_b32 vcc_lo, exec_lo, s14
	s_cbranch_vccz .LBB95_1807
; %bb.1805:
	s_cmp_eq_u32 s7, 29
	s_mov_b32 s2, -1
	s_cbranch_scc0 .LBB95_1807
; %bb.1806:
	s_mov_b32 s2, 0
	v_cndmask_b32_e64 v6, 0, 1, s1
	v_mov_b32_e32 v7, s2
	s_mov_b32 s13, -1
	global_store_b64 v[4:5], v[6:7], off
.LBB95_1807:
	s_mov_b32 s14, 0
.LBB95_1808:
	s_delay_alu instid0(SALU_CYCLE_1)
	s_and_b32 vcc_lo, exec_lo, s14
	s_cbranch_vccz .LBB95_1824
; %bb.1809:
	s_cmp_lt_i32 s7, 27
	s_mov_b32 s13, -1
	s_cbranch_scc1 .LBB95_1815
; %bb.1810:
	s_cmp_gt_i32 s7, 27
	s_cbranch_scc0 .LBB95_1812
; %bb.1811:
	s_wait_xcnt 0x0
	v_cndmask_b32_e64 v1, 0, 1, s1
	s_mov_b32 s13, 0
	global_store_b32 v[4:5], v1, off
.LBB95_1812:
	s_and_not1_b32 vcc_lo, exec_lo, s13
	s_cbranch_vccnz .LBB95_1814
; %bb.1813:
	s_wait_xcnt 0x0
	v_cndmask_b32_e64 v1, 0, 1, s1
	global_store_b16 v[4:5], v1, off
.LBB95_1814:
	s_mov_b32 s13, 0
.LBB95_1815:
	s_delay_alu instid0(SALU_CYCLE_1)
	s_and_not1_b32 vcc_lo, exec_lo, s13
	s_cbranch_vccnz .LBB95_1823
; %bb.1816:
	s_wait_xcnt 0x0
	v_cndmask_b32_e64 v3, 0, 1.0, s1
	v_mov_b32_e32 v6, 0x80
	s_mov_b32 s13, exec_lo
	s_delay_alu instid0(VALU_DEP_2)
	v_cmpx_gt_u32_e32 0x43800000, v3
	s_cbranch_execz .LBB95_1822
; %bb.1817:
	s_mov_b32 s14, 0
	s_mov_b32 s15, exec_lo
                                        ; implicit-def: $vgpr1
	v_cmpx_lt_u32_e32 0x3bffffff, v3
	s_xor_b32 s15, exec_lo, s15
	s_cbranch_execz .LBB95_2157
; %bb.1818:
	v_bfe_u32 v1, v3, 20, 1
	s_mov_b32 s14, exec_lo
	s_delay_alu instid0(VALU_DEP_1) | instskip(NEXT) | instid1(VALU_DEP_1)
	v_add3_u32 v1, v3, v1, 0x487ffff
                                        ; implicit-def: $vgpr3
	v_lshrrev_b32_e32 v1, 20, v1
	s_and_not1_saveexec_b32 s15, s15
	s_cbranch_execnz .LBB95_2158
.LBB95_1819:
	s_or_b32 exec_lo, exec_lo, s15
	v_mov_b32_e32 v6, 0
	s_and_saveexec_b32 s15, s14
.LBB95_1820:
	v_mov_b32_e32 v6, v1
.LBB95_1821:
	s_or_b32 exec_lo, exec_lo, s15
.LBB95_1822:
	s_delay_alu instid0(SALU_CYCLE_1)
	s_or_b32 exec_lo, exec_lo, s13
	global_store_b8 v[4:5], v6, off
.LBB95_1823:
	s_mov_b32 s13, -1
.LBB95_1824:
	s_mov_b32 s14, 0
.LBB95_1825:
	s_delay_alu instid0(SALU_CYCLE_1)
	s_and_b32 vcc_lo, exec_lo, s14
	s_cbranch_vccz .LBB95_1865
; %bb.1826:
	s_cmp_gt_i32 s7, 22
	s_mov_b32 s10, -1
	s_cbranch_scc0 .LBB95_1858
; %bb.1827:
	s_cmp_lt_i32 s7, 24
	s_cbranch_scc1 .LBB95_1847
; %bb.1828:
	s_cmp_gt_i32 s7, 24
	s_cbranch_scc0 .LBB95_1836
; %bb.1829:
	s_wait_xcnt 0x0
	v_cndmask_b32_e64 v3, 0, 1.0, s1
	v_mov_b32_e32 v6, 0x80
	s_mov_b32 s10, exec_lo
	s_delay_alu instid0(VALU_DEP_2)
	v_cmpx_gt_u32_e32 0x47800000, v3
	s_cbranch_execz .LBB95_1835
; %bb.1830:
	s_mov_b32 s13, 0
	s_mov_b32 s14, exec_lo
                                        ; implicit-def: $vgpr1
	v_cmpx_lt_u32_e32 0x37ffffff, v3
	s_xor_b32 s14, exec_lo, s14
	s_cbranch_execz .LBB95_2160
; %bb.1831:
	v_bfe_u32 v1, v3, 21, 1
	s_mov_b32 s13, exec_lo
	s_delay_alu instid0(VALU_DEP_1) | instskip(NEXT) | instid1(VALU_DEP_1)
	v_add3_u32 v1, v3, v1, 0x88fffff
                                        ; implicit-def: $vgpr3
	v_lshrrev_b32_e32 v1, 21, v1
	s_and_not1_saveexec_b32 s14, s14
	s_cbranch_execnz .LBB95_2161
.LBB95_1832:
	s_or_b32 exec_lo, exec_lo, s14
	v_mov_b32_e32 v6, 0
	s_and_saveexec_b32 s14, s13
.LBB95_1833:
	v_mov_b32_e32 v6, v1
.LBB95_1834:
	s_or_b32 exec_lo, exec_lo, s14
.LBB95_1835:
	s_delay_alu instid0(SALU_CYCLE_1)
	s_or_b32 exec_lo, exec_lo, s10
	s_mov_b32 s10, 0
	global_store_b8 v[4:5], v6, off
.LBB95_1836:
	s_and_b32 vcc_lo, exec_lo, s10
	s_cbranch_vccz .LBB95_1846
; %bb.1837:
	s_wait_xcnt 0x0
	v_cndmask_b32_e64 v3, 0, 1.0, s1
	s_mov_b32 s10, exec_lo
                                        ; implicit-def: $vgpr1
	s_delay_alu instid0(VALU_DEP_1)
	v_cmpx_gt_u32_e32 0x43f00000, v3
	s_xor_b32 s10, exec_lo, s10
	s_cbranch_execz .LBB95_1843
; %bb.1838:
	s_mov_b32 s13, exec_lo
                                        ; implicit-def: $vgpr1
	v_cmpx_lt_u32_e32 0x3c7fffff, v3
	s_xor_b32 s13, exec_lo, s13
; %bb.1839:
	v_bfe_u32 v1, v3, 20, 1
	s_delay_alu instid0(VALU_DEP_1) | instskip(NEXT) | instid1(VALU_DEP_1)
	v_add3_u32 v1, v3, v1, 0x407ffff
	v_and_b32_e32 v3, 0xff00000, v1
	v_lshrrev_b32_e32 v1, 20, v1
	s_delay_alu instid0(VALU_DEP_2) | instskip(NEXT) | instid1(VALU_DEP_2)
	v_cmp_ne_u32_e32 vcc_lo, 0x7f00000, v3
                                        ; implicit-def: $vgpr3
	v_cndmask_b32_e32 v1, 0x7e, v1, vcc_lo
; %bb.1840:
	s_and_not1_saveexec_b32 s13, s13
; %bb.1841:
	v_add_f32_e32 v1, 0x46800000, v3
; %bb.1842:
	s_or_b32 exec_lo, exec_lo, s13
                                        ; implicit-def: $vgpr3
.LBB95_1843:
	s_and_not1_saveexec_b32 s10, s10
; %bb.1844:
	v_mov_b32_e32 v1, 0x7f
	v_cmp_lt_u32_e32 vcc_lo, 0x7f800000, v3
	s_delay_alu instid0(VALU_DEP_2)
	v_cndmask_b32_e32 v1, 0x7e, v1, vcc_lo
; %bb.1845:
	s_or_b32 exec_lo, exec_lo, s10
	global_store_b8 v[4:5], v1, off
.LBB95_1846:
	s_mov_b32 s10, 0
.LBB95_1847:
	s_delay_alu instid0(SALU_CYCLE_1)
	s_and_not1_b32 vcc_lo, exec_lo, s10
	s_cbranch_vccnz .LBB95_1857
; %bb.1848:
	s_wait_xcnt 0x0
	v_cndmask_b32_e64 v3, 0, 1.0, s1
	s_mov_b32 s10, exec_lo
                                        ; implicit-def: $vgpr1
	s_delay_alu instid0(VALU_DEP_1)
	v_cmpx_gt_u32_e32 0x47800000, v3
	s_xor_b32 s10, exec_lo, s10
	s_cbranch_execz .LBB95_1854
; %bb.1849:
	s_mov_b32 s13, exec_lo
                                        ; implicit-def: $vgpr1
	v_cmpx_lt_u32_e32 0x387fffff, v3
	s_xor_b32 s13, exec_lo, s13
; %bb.1850:
	v_bfe_u32 v1, v3, 21, 1
	s_delay_alu instid0(VALU_DEP_1) | instskip(NEXT) | instid1(VALU_DEP_1)
	v_add3_u32 v1, v3, v1, 0x80fffff
                                        ; implicit-def: $vgpr3
	v_lshrrev_b32_e32 v1, 21, v1
; %bb.1851:
	s_and_not1_saveexec_b32 s13, s13
; %bb.1852:
	v_add_f32_e32 v1, 0x43000000, v3
; %bb.1853:
	s_or_b32 exec_lo, exec_lo, s13
                                        ; implicit-def: $vgpr3
.LBB95_1854:
	s_and_not1_saveexec_b32 s10, s10
; %bb.1855:
	v_mov_b32_e32 v1, 0x7f
	v_cmp_lt_u32_e32 vcc_lo, 0x7f800000, v3
	s_delay_alu instid0(VALU_DEP_2)
	v_cndmask_b32_e32 v1, 0x7c, v1, vcc_lo
; %bb.1856:
	s_or_b32 exec_lo, exec_lo, s10
	global_store_b8 v[4:5], v1, off
.LBB95_1857:
	s_mov_b32 s10, 0
	s_mov_b32 s13, -1
.LBB95_1858:
	s_and_not1_b32 vcc_lo, exec_lo, s10
	s_mov_b32 s10, 0
	s_cbranch_vccnz .LBB95_1865
; %bb.1859:
	s_cmp_gt_i32 s7, 14
	s_mov_b32 s10, -1
	s_cbranch_scc0 .LBB95_1863
; %bb.1860:
	s_cmp_eq_u32 s7, 15
	s_mov_b32 s2, -1
	s_cbranch_scc0 .LBB95_1862
; %bb.1861:
	s_wait_xcnt 0x0
	v_cndmask_b32_e64 v1, 0, 1.0, s1
	s_mov_b32 s2, 0
	s_mov_b32 s13, -1
	s_delay_alu instid0(VALU_DEP_1) | instskip(NEXT) | instid1(VALU_DEP_1)
	v_bfe_u32 v3, v1, 16, 1
	v_add3_u32 v1, v1, v3, 0x7fff
	global_store_d16_hi_b16 v[4:5], v1, off
.LBB95_1862:
	s_mov_b32 s10, 0
.LBB95_1863:
	s_delay_alu instid0(SALU_CYCLE_1)
	s_and_b32 vcc_lo, exec_lo, s10
	s_mov_b32 s10, 0
	s_cbranch_vccz .LBB95_1865
; %bb.1864:
	s_cmp_lg_u32 s7, 11
	s_mov_b32 s10, -1
	s_cselect_b32 s2, -1, 0
.LBB95_1865:
	s_delay_alu instid0(SALU_CYCLE_1)
	s_and_b32 vcc_lo, exec_lo, s2
	s_cbranch_vccnz .LBB95_2159
; %bb.1866:
	s_and_not1_b32 vcc_lo, exec_lo, s10
	s_cbranch_vccnz .LBB95_1868
.LBB95_1867:
	s_wait_xcnt 0x0
	v_cndmask_b32_e64 v1, 0, 1, s1
	s_mov_b32 s13, -1
	global_store_b8 v[4:5], v1, off
.LBB95_1868:
	s_mov_b32 s2, 0
	s_branch .LBB95_1870
.LBB95_1869:
	s_mov_b32 s2, -1
	s_mov_b32 s13, 0
.LBB95_1870:
	s_and_b32 vcc_lo, exec_lo, s2
	s_cbranch_vccz .LBB95_1909
; %bb.1871:
	s_cmp_lt_i32 s7, 5
	s_mov_b32 s2, -1
	s_cbranch_scc1 .LBB95_1892
; %bb.1872:
	s_cmp_lt_i32 s7, 8
	s_cbranch_scc1 .LBB95_1882
; %bb.1873:
	s_cmp_lt_i32 s7, 9
	s_cbranch_scc1 .LBB95_1879
; %bb.1874:
	s_cmp_gt_i32 s7, 9
	s_cbranch_scc0 .LBB95_1876
; %bb.1875:
	s_wait_xcnt 0x0
	v_cndmask_b32_e64 v1, 0, 1, s1
	v_mov_b32_e32 v8, 0
	s_mov_b32 s2, 0
	s_delay_alu instid0(VALU_DEP_2) | instskip(NEXT) | instid1(VALU_DEP_2)
	v_cvt_f64_u32_e32 v[6:7], v1
	v_mov_b32_e32 v9, v8
	global_store_b128 v[4:5], v[6:9], off
.LBB95_1876:
	s_and_not1_b32 vcc_lo, exec_lo, s2
	s_cbranch_vccnz .LBB95_1878
; %bb.1877:
	s_wait_xcnt 0x0
	v_cndmask_b32_e64 v6, 0, 1.0, s1
	v_mov_b32_e32 v7, 0
	global_store_b64 v[4:5], v[6:7], off
.LBB95_1878:
	s_mov_b32 s2, 0
.LBB95_1879:
	s_delay_alu instid0(SALU_CYCLE_1)
	s_and_not1_b32 vcc_lo, exec_lo, s2
	s_cbranch_vccnz .LBB95_1881
; %bb.1880:
	s_wait_xcnt 0x0
	v_cndmask_b32_e64 v1, 0, 1.0, s1
	s_delay_alu instid0(VALU_DEP_1) | instskip(NEXT) | instid1(VALU_DEP_1)
	v_cvt_f16_f32_e32 v1, v1
	v_and_b32_e32 v1, 0xffff, v1
	global_store_b32 v[4:5], v1, off
.LBB95_1881:
	s_mov_b32 s2, 0
.LBB95_1882:
	s_delay_alu instid0(SALU_CYCLE_1)
	s_and_not1_b32 vcc_lo, exec_lo, s2
	s_cbranch_vccnz .LBB95_1891
; %bb.1883:
	s_cmp_lt_i32 s7, 6
	s_mov_b32 s2, -1
	s_cbranch_scc1 .LBB95_1889
; %bb.1884:
	s_cmp_gt_i32 s7, 6
	s_cbranch_scc0 .LBB95_1886
; %bb.1885:
	s_wait_xcnt 0x0
	v_cndmask_b32_e64 v1, 0, 1, s1
	s_mov_b32 s2, 0
	s_delay_alu instid0(VALU_DEP_1)
	v_cvt_f64_u32_e32 v[6:7], v1
	global_store_b64 v[4:5], v[6:7], off
.LBB95_1886:
	s_and_not1_b32 vcc_lo, exec_lo, s2
	s_cbranch_vccnz .LBB95_1888
; %bb.1887:
	s_wait_xcnt 0x0
	v_cndmask_b32_e64 v1, 0, 1.0, s1
	global_store_b32 v[4:5], v1, off
.LBB95_1888:
	s_mov_b32 s2, 0
.LBB95_1889:
	s_delay_alu instid0(SALU_CYCLE_1)
	s_and_not1_b32 vcc_lo, exec_lo, s2
	s_cbranch_vccnz .LBB95_1891
; %bb.1890:
	s_wait_xcnt 0x0
	v_cndmask_b32_e64 v1, 0, 1.0, s1
	s_delay_alu instid0(VALU_DEP_1)
	v_cvt_f16_f32_e32 v1, v1
	global_store_b16 v[4:5], v1, off
.LBB95_1891:
	s_mov_b32 s2, 0
.LBB95_1892:
	s_delay_alu instid0(SALU_CYCLE_1)
	s_and_not1_b32 vcc_lo, exec_lo, s2
	s_cbranch_vccnz .LBB95_1908
; %bb.1893:
	s_cmp_lt_i32 s7, 2
	s_mov_b32 s2, -1
	s_cbranch_scc1 .LBB95_1903
; %bb.1894:
	s_cmp_lt_i32 s7, 3
	s_cbranch_scc1 .LBB95_1900
; %bb.1895:
	s_cmp_gt_i32 s7, 3
	s_cbranch_scc0 .LBB95_1897
; %bb.1896:
	s_mov_b32 s2, 0
	s_wait_xcnt 0x0
	v_cndmask_b32_e64 v6, 0, 1, s1
	v_mov_b32_e32 v7, s2
	global_store_b64 v[4:5], v[6:7], off
.LBB95_1897:
	s_and_not1_b32 vcc_lo, exec_lo, s2
	s_cbranch_vccnz .LBB95_1899
; %bb.1898:
	s_wait_xcnt 0x0
	v_cndmask_b32_e64 v1, 0, 1, s1
	global_store_b32 v[4:5], v1, off
.LBB95_1899:
	s_mov_b32 s2, 0
.LBB95_1900:
	s_delay_alu instid0(SALU_CYCLE_1)
	s_and_not1_b32 vcc_lo, exec_lo, s2
	s_cbranch_vccnz .LBB95_1902
; %bb.1901:
	s_wait_xcnt 0x0
	v_cndmask_b32_e64 v1, 0, 1, s1
	global_store_b16 v[4:5], v1, off
.LBB95_1902:
	s_mov_b32 s2, 0
.LBB95_1903:
	s_delay_alu instid0(SALU_CYCLE_1)
	s_and_not1_b32 vcc_lo, exec_lo, s2
	s_cbranch_vccnz .LBB95_1908
; %bb.1904:
	s_wait_xcnt 0x0
	v_cndmask_b32_e64 v1, 0, 1, s1
	s_cmp_gt_i32 s7, 0
	s_mov_b32 s1, -1
	s_cbranch_scc0 .LBB95_1906
; %bb.1905:
	s_mov_b32 s1, 0
	global_store_b8 v[4:5], v1, off
.LBB95_1906:
	s_and_not1_b32 vcc_lo, exec_lo, s1
	s_cbranch_vccnz .LBB95_1908
; %bb.1907:
	global_store_b8 v[4:5], v1, off
.LBB95_1908:
	s_mov_b32 s13, -1
.LBB95_1909:
	s_delay_alu instid0(SALU_CYCLE_1)
	s_and_not1_b32 vcc_lo, exec_lo, s13
	s_cbranch_vccnz .LBB95_2105
; %bb.1910:
	v_cmp_eq_f64_e32 vcc_lo, s[8:9], v[12:13]
	s_cmp_lt_i32 s7, 11
	s_wait_xcnt 0x0
	v_cndmask_b32_e64 v1, 0, 1, vcc_lo
	v_cmp_neq_f64_e32 vcc_lo, s[8:9], v[12:13]
	v_cndmask_b32_e64 v3, 0, 1, vcc_lo
	s_delay_alu instid0(VALU_DEP_1) | instskip(NEXT) | instid1(VALU_DEP_1)
	v_dual_cndmask_b32 v1, v3, v1, s0 :: v_dual_mov_b32 v3, 0
	v_and_b32_e32 v1, 1, v1
	s_delay_alu instid0(VALU_DEP_2) | instskip(NEXT) | instid1(VALU_DEP_2)
	v_add_nc_u64_e32 v[2:3], s[4:5], v[2:3]
	v_cmp_eq_u32_e64 s1, 1, v1
	s_cbranch_scc1 .LBB95_1988
; %bb.1911:
	s_mov_b32 s14, -1
	s_mov_b32 s10, 0
	s_cmp_gt_i32 s7, 25
	s_mov_b32 s13, 0
	s_mov_b32 s2, 0
	s_cbranch_scc0 .LBB95_1944
; %bb.1912:
	s_cmp_gt_i32 s7, 28
	s_cbranch_scc0 .LBB95_1927
; %bb.1913:
	s_cmp_gt_i32 s7, 43
	;; [unrolled: 3-line block ×3, first 2 shown]
	s_cbranch_scc0 .LBB95_1917
; %bb.1915:
	s_mov_b32 s2, -1
	s_mov_b32 s14, 0
	s_cmp_eq_u32 s7, 46
	s_cbranch_scc0 .LBB95_1917
; %bb.1916:
	v_cndmask_b32_e64 v1, 0, 1.0, s1
	s_mov_b32 s2, 0
	s_mov_b32 s13, -1
	s_delay_alu instid0(VALU_DEP_1) | instskip(NEXT) | instid1(VALU_DEP_1)
	v_bfe_u32 v4, v1, 16, 1
	v_add3_u32 v1, v1, v4, 0x7fff
	s_delay_alu instid0(VALU_DEP_1)
	v_lshrrev_b32_e32 v1, 16, v1
	global_store_b32 v[2:3], v1, off
.LBB95_1917:
	s_and_b32 vcc_lo, exec_lo, s14
	s_cbranch_vccz .LBB95_1922
; %bb.1918:
	s_cmp_eq_u32 s7, 44
	s_mov_b32 s2, -1
	s_cbranch_scc0 .LBB95_1922
; %bb.1919:
	v_cndmask_b32_e64 v5, 0, 1.0, s1
	s_mov_b32 s13, exec_lo
	s_wait_xcnt 0x0
	s_delay_alu instid0(VALU_DEP_1) | instskip(NEXT) | instid1(VALU_DEP_1)
	v_dual_mov_b32 v4, 0xff :: v_dual_lshrrev_b32 v1, 23, v5
	v_cmpx_ne_u32_e32 0xff, v1
; %bb.1920:
	v_and_b32_e32 v4, 0x400000, v5
	v_and_or_b32 v5, 0x3fffff, v5, v1
	s_delay_alu instid0(VALU_DEP_2) | instskip(NEXT) | instid1(VALU_DEP_2)
	v_cmp_ne_u32_e32 vcc_lo, 0, v4
	v_cmp_ne_u32_e64 s2, 0, v5
	s_and_b32 s2, vcc_lo, s2
	s_delay_alu instid0(SALU_CYCLE_1) | instskip(NEXT) | instid1(VALU_DEP_1)
	v_cndmask_b32_e64 v4, 0, 1, s2
	v_add_nc_u32_e32 v4, v1, v4
; %bb.1921:
	s_or_b32 exec_lo, exec_lo, s13
	s_mov_b32 s2, 0
	s_mov_b32 s13, -1
	global_store_b8 v[2:3], v4, off
.LBB95_1922:
	s_mov_b32 s14, 0
.LBB95_1923:
	s_delay_alu instid0(SALU_CYCLE_1)
	s_and_b32 vcc_lo, exec_lo, s14
	s_cbranch_vccz .LBB95_1926
; %bb.1924:
	s_cmp_eq_u32 s7, 29
	s_mov_b32 s2, -1
	s_cbranch_scc0 .LBB95_1926
; %bb.1925:
	s_mov_b32 s2, 0
	s_wait_xcnt 0x0
	v_cndmask_b32_e64 v4, 0, 1, s1
	v_mov_b32_e32 v5, s2
	s_mov_b32 s13, -1
	global_store_b64 v[2:3], v[4:5], off
.LBB95_1926:
	s_mov_b32 s14, 0
.LBB95_1927:
	s_delay_alu instid0(SALU_CYCLE_1)
	s_and_b32 vcc_lo, exec_lo, s14
	s_cbranch_vccz .LBB95_1943
; %bb.1928:
	s_cmp_lt_i32 s7, 27
	s_mov_b32 s13, -1
	s_cbranch_scc1 .LBB95_1934
; %bb.1929:
	s_cmp_gt_i32 s7, 27
	s_cbranch_scc0 .LBB95_1931
; %bb.1930:
	s_wait_xcnt 0x0
	v_cndmask_b32_e64 v1, 0, 1, s1
	s_mov_b32 s13, 0
	global_store_b32 v[2:3], v1, off
.LBB95_1931:
	s_and_not1_b32 vcc_lo, exec_lo, s13
	s_cbranch_vccnz .LBB95_1933
; %bb.1932:
	s_wait_xcnt 0x0
	v_cndmask_b32_e64 v1, 0, 1, s1
	global_store_b16 v[2:3], v1, off
.LBB95_1933:
	s_mov_b32 s13, 0
.LBB95_1934:
	s_delay_alu instid0(SALU_CYCLE_1)
	s_and_not1_b32 vcc_lo, exec_lo, s13
	s_cbranch_vccnz .LBB95_1942
; %bb.1935:
	s_wait_xcnt 0x0
	v_cndmask_b32_e64 v4, 0, 1.0, s1
	v_mov_b32_e32 v5, 0x80
	s_mov_b32 s13, exec_lo
	s_delay_alu instid0(VALU_DEP_2)
	v_cmpx_gt_u32_e32 0x43800000, v4
	s_cbranch_execz .LBB95_1941
; %bb.1936:
	s_mov_b32 s14, 0
	s_mov_b32 s15, exec_lo
                                        ; implicit-def: $vgpr1
	v_cmpx_lt_u32_e32 0x3bffffff, v4
	s_xor_b32 s15, exec_lo, s15
	s_cbranch_execz .LBB95_2162
; %bb.1937:
	v_bfe_u32 v1, v4, 20, 1
	s_mov_b32 s14, exec_lo
	s_delay_alu instid0(VALU_DEP_1) | instskip(NEXT) | instid1(VALU_DEP_1)
	v_add3_u32 v1, v4, v1, 0x487ffff
                                        ; implicit-def: $vgpr4
	v_lshrrev_b32_e32 v1, 20, v1
	s_and_not1_saveexec_b32 s15, s15
	s_cbranch_execnz .LBB95_2163
.LBB95_1938:
	s_or_b32 exec_lo, exec_lo, s15
	v_mov_b32_e32 v5, 0
	s_and_saveexec_b32 s15, s14
.LBB95_1939:
	v_mov_b32_e32 v5, v1
.LBB95_1940:
	s_or_b32 exec_lo, exec_lo, s15
.LBB95_1941:
	s_delay_alu instid0(SALU_CYCLE_1)
	s_or_b32 exec_lo, exec_lo, s13
	global_store_b8 v[2:3], v5, off
.LBB95_1942:
	s_mov_b32 s13, -1
.LBB95_1943:
	s_mov_b32 s14, 0
.LBB95_1944:
	s_delay_alu instid0(SALU_CYCLE_1)
	s_and_b32 vcc_lo, exec_lo, s14
	s_cbranch_vccz .LBB95_1984
; %bb.1945:
	s_cmp_gt_i32 s7, 22
	s_mov_b32 s10, -1
	s_cbranch_scc0 .LBB95_1977
; %bb.1946:
	s_cmp_lt_i32 s7, 24
	s_cbranch_scc1 .LBB95_1966
; %bb.1947:
	s_cmp_gt_i32 s7, 24
	s_cbranch_scc0 .LBB95_1955
; %bb.1948:
	s_wait_xcnt 0x0
	v_cndmask_b32_e64 v4, 0, 1.0, s1
	v_mov_b32_e32 v5, 0x80
	s_mov_b32 s10, exec_lo
	s_delay_alu instid0(VALU_DEP_2)
	v_cmpx_gt_u32_e32 0x47800000, v4
	s_cbranch_execz .LBB95_1954
; %bb.1949:
	s_mov_b32 s13, 0
	s_mov_b32 s14, exec_lo
                                        ; implicit-def: $vgpr1
	v_cmpx_lt_u32_e32 0x37ffffff, v4
	s_xor_b32 s14, exec_lo, s14
	s_cbranch_execz .LBB95_2165
; %bb.1950:
	v_bfe_u32 v1, v4, 21, 1
	s_mov_b32 s13, exec_lo
	s_delay_alu instid0(VALU_DEP_1) | instskip(NEXT) | instid1(VALU_DEP_1)
	v_add3_u32 v1, v4, v1, 0x88fffff
                                        ; implicit-def: $vgpr4
	v_lshrrev_b32_e32 v1, 21, v1
	s_and_not1_saveexec_b32 s14, s14
	s_cbranch_execnz .LBB95_2166
.LBB95_1951:
	s_or_b32 exec_lo, exec_lo, s14
	v_mov_b32_e32 v5, 0
	s_and_saveexec_b32 s14, s13
.LBB95_1952:
	v_mov_b32_e32 v5, v1
.LBB95_1953:
	s_or_b32 exec_lo, exec_lo, s14
.LBB95_1954:
	s_delay_alu instid0(SALU_CYCLE_1)
	s_or_b32 exec_lo, exec_lo, s10
	s_mov_b32 s10, 0
	global_store_b8 v[2:3], v5, off
.LBB95_1955:
	s_and_b32 vcc_lo, exec_lo, s10
	s_cbranch_vccz .LBB95_1965
; %bb.1956:
	s_wait_xcnt 0x0
	v_cndmask_b32_e64 v4, 0, 1.0, s1
	s_mov_b32 s10, exec_lo
                                        ; implicit-def: $vgpr1
	s_delay_alu instid0(VALU_DEP_1)
	v_cmpx_gt_u32_e32 0x43f00000, v4
	s_xor_b32 s10, exec_lo, s10
	s_cbranch_execz .LBB95_1962
; %bb.1957:
	s_mov_b32 s13, exec_lo
                                        ; implicit-def: $vgpr1
	v_cmpx_lt_u32_e32 0x3c7fffff, v4
	s_xor_b32 s13, exec_lo, s13
; %bb.1958:
	v_bfe_u32 v1, v4, 20, 1
	s_delay_alu instid0(VALU_DEP_1) | instskip(NEXT) | instid1(VALU_DEP_1)
	v_add3_u32 v1, v4, v1, 0x407ffff
	v_and_b32_e32 v4, 0xff00000, v1
	v_lshrrev_b32_e32 v1, 20, v1
	s_delay_alu instid0(VALU_DEP_2) | instskip(NEXT) | instid1(VALU_DEP_2)
	v_cmp_ne_u32_e32 vcc_lo, 0x7f00000, v4
                                        ; implicit-def: $vgpr4
	v_cndmask_b32_e32 v1, 0x7e, v1, vcc_lo
; %bb.1959:
	s_and_not1_saveexec_b32 s13, s13
; %bb.1960:
	v_add_f32_e32 v1, 0x46800000, v4
; %bb.1961:
	s_or_b32 exec_lo, exec_lo, s13
                                        ; implicit-def: $vgpr4
.LBB95_1962:
	s_and_not1_saveexec_b32 s10, s10
; %bb.1963:
	v_mov_b32_e32 v1, 0x7f
	v_cmp_lt_u32_e32 vcc_lo, 0x7f800000, v4
	s_delay_alu instid0(VALU_DEP_2)
	v_cndmask_b32_e32 v1, 0x7e, v1, vcc_lo
; %bb.1964:
	s_or_b32 exec_lo, exec_lo, s10
	global_store_b8 v[2:3], v1, off
.LBB95_1965:
	s_mov_b32 s10, 0
.LBB95_1966:
	s_delay_alu instid0(SALU_CYCLE_1)
	s_and_not1_b32 vcc_lo, exec_lo, s10
	s_cbranch_vccnz .LBB95_1976
; %bb.1967:
	s_wait_xcnt 0x0
	v_cndmask_b32_e64 v4, 0, 1.0, s1
	s_mov_b32 s10, exec_lo
                                        ; implicit-def: $vgpr1
	s_delay_alu instid0(VALU_DEP_1)
	v_cmpx_gt_u32_e32 0x47800000, v4
	s_xor_b32 s10, exec_lo, s10
	s_cbranch_execz .LBB95_1973
; %bb.1968:
	s_mov_b32 s13, exec_lo
                                        ; implicit-def: $vgpr1
	v_cmpx_lt_u32_e32 0x387fffff, v4
	s_xor_b32 s13, exec_lo, s13
; %bb.1969:
	v_bfe_u32 v1, v4, 21, 1
	s_delay_alu instid0(VALU_DEP_1) | instskip(NEXT) | instid1(VALU_DEP_1)
	v_add3_u32 v1, v4, v1, 0x80fffff
                                        ; implicit-def: $vgpr4
	v_lshrrev_b32_e32 v1, 21, v1
; %bb.1970:
	s_and_not1_saveexec_b32 s13, s13
; %bb.1971:
	v_add_f32_e32 v1, 0x43000000, v4
; %bb.1972:
	s_or_b32 exec_lo, exec_lo, s13
                                        ; implicit-def: $vgpr4
.LBB95_1973:
	s_and_not1_saveexec_b32 s10, s10
; %bb.1974:
	v_mov_b32_e32 v1, 0x7f
	v_cmp_lt_u32_e32 vcc_lo, 0x7f800000, v4
	s_delay_alu instid0(VALU_DEP_2)
	v_cndmask_b32_e32 v1, 0x7c, v1, vcc_lo
; %bb.1975:
	s_or_b32 exec_lo, exec_lo, s10
	global_store_b8 v[2:3], v1, off
.LBB95_1976:
	s_mov_b32 s10, 0
	s_mov_b32 s13, -1
.LBB95_1977:
	s_and_not1_b32 vcc_lo, exec_lo, s10
	s_mov_b32 s10, 0
	s_cbranch_vccnz .LBB95_1984
; %bb.1978:
	s_cmp_gt_i32 s7, 14
	s_mov_b32 s10, -1
	s_cbranch_scc0 .LBB95_1982
; %bb.1979:
	s_cmp_eq_u32 s7, 15
	s_mov_b32 s2, -1
	s_cbranch_scc0 .LBB95_1981
; %bb.1980:
	s_wait_xcnt 0x0
	v_cndmask_b32_e64 v1, 0, 1.0, s1
	s_mov_b32 s2, 0
	s_mov_b32 s13, -1
	s_delay_alu instid0(VALU_DEP_1) | instskip(NEXT) | instid1(VALU_DEP_1)
	v_bfe_u32 v4, v1, 16, 1
	v_add3_u32 v1, v1, v4, 0x7fff
	global_store_d16_hi_b16 v[2:3], v1, off
.LBB95_1981:
	s_mov_b32 s10, 0
.LBB95_1982:
	s_delay_alu instid0(SALU_CYCLE_1)
	s_and_b32 vcc_lo, exec_lo, s10
	s_mov_b32 s10, 0
	s_cbranch_vccz .LBB95_1984
; %bb.1983:
	s_cmp_lg_u32 s7, 11
	s_mov_b32 s10, -1
	s_cselect_b32 s2, -1, 0
.LBB95_1984:
	s_delay_alu instid0(SALU_CYCLE_1)
	s_and_b32 vcc_lo, exec_lo, s2
	s_cbranch_vccnz .LBB95_2164
; %bb.1985:
	s_and_not1_b32 vcc_lo, exec_lo, s10
	s_cbranch_vccnz .LBB95_1987
.LBB95_1986:
	s_wait_xcnt 0x0
	v_cndmask_b32_e64 v1, 0, 1, s1
	s_mov_b32 s13, -1
	global_store_b8 v[2:3], v1, off
.LBB95_1987:
	s_mov_b32 s2, 0
	s_branch .LBB95_1989
.LBB95_1988:
	s_mov_b32 s2, -1
	s_mov_b32 s13, 0
.LBB95_1989:
	s_and_b32 vcc_lo, exec_lo, s2
	s_cbranch_vccz .LBB95_2028
; %bb.1990:
	s_cmp_lt_i32 s7, 5
	s_mov_b32 s2, -1
	s_cbranch_scc1 .LBB95_2011
; %bb.1991:
	s_cmp_lt_i32 s7, 8
	s_cbranch_scc1 .LBB95_2001
; %bb.1992:
	s_cmp_lt_i32 s7, 9
	s_cbranch_scc1 .LBB95_1998
; %bb.1993:
	s_cmp_gt_i32 s7, 9
	s_cbranch_scc0 .LBB95_1995
; %bb.1994:
	s_wait_xcnt 0x0
	v_cndmask_b32_e64 v1, 0, 1, s1
	v_mov_b32_e32 v6, 0
	s_mov_b32 s2, 0
	s_delay_alu instid0(VALU_DEP_2) | instskip(NEXT) | instid1(VALU_DEP_2)
	v_cvt_f64_u32_e32 v[4:5], v1
	v_mov_b32_e32 v7, v6
	global_store_b128 v[2:3], v[4:7], off
.LBB95_1995:
	s_and_not1_b32 vcc_lo, exec_lo, s2
	s_cbranch_vccnz .LBB95_1997
; %bb.1996:
	s_wait_xcnt 0x0
	v_cndmask_b32_e64 v4, 0, 1.0, s1
	v_mov_b32_e32 v5, 0
	global_store_b64 v[2:3], v[4:5], off
.LBB95_1997:
	s_mov_b32 s2, 0
.LBB95_1998:
	s_delay_alu instid0(SALU_CYCLE_1)
	s_and_not1_b32 vcc_lo, exec_lo, s2
	s_cbranch_vccnz .LBB95_2000
; %bb.1999:
	s_wait_xcnt 0x0
	v_cndmask_b32_e64 v1, 0, 1.0, s1
	s_delay_alu instid0(VALU_DEP_1) | instskip(NEXT) | instid1(VALU_DEP_1)
	v_cvt_f16_f32_e32 v1, v1
	v_and_b32_e32 v1, 0xffff, v1
	global_store_b32 v[2:3], v1, off
.LBB95_2000:
	s_mov_b32 s2, 0
.LBB95_2001:
	s_delay_alu instid0(SALU_CYCLE_1)
	s_and_not1_b32 vcc_lo, exec_lo, s2
	s_cbranch_vccnz .LBB95_2010
; %bb.2002:
	s_cmp_lt_i32 s7, 6
	s_mov_b32 s2, -1
	s_cbranch_scc1 .LBB95_2008
; %bb.2003:
	s_cmp_gt_i32 s7, 6
	s_cbranch_scc0 .LBB95_2005
; %bb.2004:
	s_wait_xcnt 0x0
	v_cndmask_b32_e64 v1, 0, 1, s1
	s_mov_b32 s2, 0
	s_delay_alu instid0(VALU_DEP_1)
	v_cvt_f64_u32_e32 v[4:5], v1
	global_store_b64 v[2:3], v[4:5], off
.LBB95_2005:
	s_and_not1_b32 vcc_lo, exec_lo, s2
	s_cbranch_vccnz .LBB95_2007
; %bb.2006:
	s_wait_xcnt 0x0
	v_cndmask_b32_e64 v1, 0, 1.0, s1
	global_store_b32 v[2:3], v1, off
.LBB95_2007:
	s_mov_b32 s2, 0
.LBB95_2008:
	s_delay_alu instid0(SALU_CYCLE_1)
	s_and_not1_b32 vcc_lo, exec_lo, s2
	s_cbranch_vccnz .LBB95_2010
; %bb.2009:
	s_wait_xcnt 0x0
	v_cndmask_b32_e64 v1, 0, 1.0, s1
	s_delay_alu instid0(VALU_DEP_1)
	v_cvt_f16_f32_e32 v1, v1
	global_store_b16 v[2:3], v1, off
.LBB95_2010:
	s_mov_b32 s2, 0
.LBB95_2011:
	s_delay_alu instid0(SALU_CYCLE_1)
	s_and_not1_b32 vcc_lo, exec_lo, s2
	s_cbranch_vccnz .LBB95_2027
; %bb.2012:
	s_cmp_lt_i32 s7, 2
	s_mov_b32 s2, -1
	s_cbranch_scc1 .LBB95_2022
; %bb.2013:
	s_cmp_lt_i32 s7, 3
	s_cbranch_scc1 .LBB95_2019
; %bb.2014:
	s_cmp_gt_i32 s7, 3
	s_cbranch_scc0 .LBB95_2016
; %bb.2015:
	s_mov_b32 s2, 0
	s_wait_xcnt 0x0
	v_cndmask_b32_e64 v4, 0, 1, s1
	v_mov_b32_e32 v5, s2
	global_store_b64 v[2:3], v[4:5], off
.LBB95_2016:
	s_and_not1_b32 vcc_lo, exec_lo, s2
	s_cbranch_vccnz .LBB95_2018
; %bb.2017:
	s_wait_xcnt 0x0
	v_cndmask_b32_e64 v1, 0, 1, s1
	global_store_b32 v[2:3], v1, off
.LBB95_2018:
	s_mov_b32 s2, 0
.LBB95_2019:
	s_delay_alu instid0(SALU_CYCLE_1)
	s_and_not1_b32 vcc_lo, exec_lo, s2
	s_cbranch_vccnz .LBB95_2021
; %bb.2020:
	s_wait_xcnt 0x0
	v_cndmask_b32_e64 v1, 0, 1, s1
	global_store_b16 v[2:3], v1, off
.LBB95_2021:
	s_mov_b32 s2, 0
.LBB95_2022:
	s_delay_alu instid0(SALU_CYCLE_1)
	s_and_not1_b32 vcc_lo, exec_lo, s2
	s_cbranch_vccnz .LBB95_2027
; %bb.2023:
	s_cmp_gt_i32 s7, 0
	s_mov_b32 s2, -1
	s_cbranch_scc0 .LBB95_2025
; %bb.2024:
	s_wait_xcnt 0x0
	v_cndmask_b32_e64 v1, 0, 1, s1
	s_mov_b32 s2, 0
	global_store_b8 v[2:3], v1, off
.LBB95_2025:
	s_and_not1_b32 vcc_lo, exec_lo, s2
	s_cbranch_vccnz .LBB95_2027
; %bb.2026:
	s_wait_xcnt 0x0
	v_cndmask_b32_e64 v1, 0, 1, s1
	global_store_b8 v[2:3], v1, off
.LBB95_2027:
	s_mov_b32 s13, -1
.LBB95_2028:
	s_delay_alu instid0(SALU_CYCLE_1)
	s_and_not1_b32 vcc_lo, exec_lo, s13
	s_cbranch_vccnz .LBB95_2105
; %bb.2029:
	v_cmp_eq_f64_e32 vcc_lo, s[8:9], v[14:15]
	s_cmp_lt_i32 s7, 11
	s_wait_xcnt 0x0
	v_cndmask_b32_e64 v1, 0, 1, vcc_lo
	v_cmp_neq_f64_e32 vcc_lo, s[8:9], v[14:15]
	v_cndmask_b32_e64 v2, 0, 1, vcc_lo
	s_delay_alu instid0(VALU_DEP_1) | instskip(NEXT) | instid1(VALU_DEP_1)
	v_dual_cndmask_b32 v2, v2, v1, s0 :: v_dual_mov_b32 v1, 0
	v_and_b32_e32 v4, 1, v2
	s_delay_alu instid0(VALU_DEP_2) | instskip(NEXT) | instid1(VALU_DEP_2)
	v_add_nc_u64_e32 v[2:3], s[4:5], v[0:1]
	v_cmp_eq_u32_e64 s1, 1, v4
	s_cbranch_scc1 .LBB95_2150
; %bb.2030:
	s_mov_b32 s4, -1
	s_mov_b32 s2, 0
	s_cmp_gt_i32 s7, 25
	s_mov_b32 s0, 0
	s_cbranch_scc0 .LBB95_2063
; %bb.2031:
	s_cmp_gt_i32 s7, 28
	s_cbranch_scc0 .LBB95_2047
; %bb.2032:
	s_cmp_gt_i32 s7, 43
	;; [unrolled: 3-line block ×3, first 2 shown]
	s_cbranch_scc0 .LBB95_2037
; %bb.2034:
	s_cmp_eq_u32 s7, 46
	s_mov_b32 s0, -1
	s_cbranch_scc0 .LBB95_2036
; %bb.2035:
	v_cndmask_b32_e64 v0, 0, 1.0, s1
	s_mov_b32 s0, 0
	s_delay_alu instid0(VALU_DEP_1) | instskip(NEXT) | instid1(VALU_DEP_1)
	v_bfe_u32 v1, v0, 16, 1
	v_add3_u32 v0, v0, v1, 0x7fff
	s_delay_alu instid0(VALU_DEP_1)
	v_lshrrev_b32_e32 v0, 16, v0
	global_store_b32 v[2:3], v0, off
.LBB95_2036:
	s_mov_b32 s4, 0
.LBB95_2037:
	s_delay_alu instid0(SALU_CYCLE_1)
	s_and_b32 vcc_lo, exec_lo, s4
	s_cbranch_vccz .LBB95_2042
; %bb.2038:
	s_cmp_eq_u32 s7, 44
	s_mov_b32 s0, -1
	s_cbranch_scc0 .LBB95_2042
; %bb.2039:
	v_cndmask_b32_e64 v4, 0, 1.0, s1
	s_mov_b32 s4, exec_lo
	s_wait_xcnt 0x0
	s_delay_alu instid0(VALU_DEP_1) | instskip(NEXT) | instid1(VALU_DEP_1)
	v_dual_mov_b32 v1, 0xff :: v_dual_lshrrev_b32 v0, 23, v4
	v_cmpx_ne_u32_e32 0xff, v0
; %bb.2040:
	v_and_b32_e32 v1, 0x400000, v4
	v_and_or_b32 v4, 0x3fffff, v4, v0
	s_delay_alu instid0(VALU_DEP_2) | instskip(NEXT) | instid1(VALU_DEP_2)
	v_cmp_ne_u32_e32 vcc_lo, 0, v1
	v_cmp_ne_u32_e64 s0, 0, v4
	s_and_b32 s0, vcc_lo, s0
	s_delay_alu instid0(SALU_CYCLE_1) | instskip(NEXT) | instid1(VALU_DEP_1)
	v_cndmask_b32_e64 v1, 0, 1, s0
	v_add_nc_u32_e32 v1, v0, v1
; %bb.2041:
	s_or_b32 exec_lo, exec_lo, s4
	s_mov_b32 s0, 0
	global_store_b8 v[2:3], v1, off
.LBB95_2042:
	s_mov_b32 s4, 0
.LBB95_2043:
	s_delay_alu instid0(SALU_CYCLE_1)
	s_and_b32 vcc_lo, exec_lo, s4
	s_cbranch_vccz .LBB95_2046
; %bb.2044:
	s_cmp_eq_u32 s7, 29
	s_mov_b32 s0, -1
	s_cbranch_scc0 .LBB95_2046
; %bb.2045:
	s_mov_b32 s0, 0
	s_wait_xcnt 0x0
	v_cndmask_b32_e64 v0, 0, 1, s1
	v_mov_b32_e32 v1, s0
	global_store_b64 v[2:3], v[0:1], off
.LBB95_2046:
	s_mov_b32 s4, 0
.LBB95_2047:
	s_delay_alu instid0(SALU_CYCLE_1)
	s_and_b32 vcc_lo, exec_lo, s4
	s_cbranch_vccz .LBB95_2062
; %bb.2048:
	s_cmp_lt_i32 s7, 27
	s_mov_b32 s4, -1
	s_cbranch_scc1 .LBB95_2054
; %bb.2049:
	s_cmp_gt_i32 s7, 27
	s_cbranch_scc0 .LBB95_2051
; %bb.2050:
	s_wait_xcnt 0x0
	v_cndmask_b32_e64 v0, 0, 1, s1
	s_mov_b32 s4, 0
	global_store_b32 v[2:3], v0, off
.LBB95_2051:
	s_and_not1_b32 vcc_lo, exec_lo, s4
	s_cbranch_vccnz .LBB95_2053
; %bb.2052:
	s_wait_xcnt 0x0
	v_cndmask_b32_e64 v0, 0, 1, s1
	global_store_b16 v[2:3], v0, off
.LBB95_2053:
	s_mov_b32 s4, 0
.LBB95_2054:
	s_delay_alu instid0(SALU_CYCLE_1)
	s_and_not1_b32 vcc_lo, exec_lo, s4
	s_cbranch_vccnz .LBB95_2062
; %bb.2055:
	s_wait_xcnt 0x0
	v_cndmask_b32_e64 v1, 0, 1.0, s1
	v_mov_b32_e32 v4, 0x80
	s_mov_b32 s4, exec_lo
	s_delay_alu instid0(VALU_DEP_2)
	v_cmpx_gt_u32_e32 0x43800000, v1
	s_cbranch_execz .LBB95_2061
; %bb.2056:
	s_mov_b32 s5, 0
	s_mov_b32 s8, exec_lo
                                        ; implicit-def: $vgpr0
	v_cmpx_lt_u32_e32 0x3bffffff, v1
	s_xor_b32 s8, exec_lo, s8
	s_cbranch_execz .LBB95_2167
; %bb.2057:
	v_bfe_u32 v0, v1, 20, 1
	s_mov_b32 s5, exec_lo
	s_delay_alu instid0(VALU_DEP_1) | instskip(NEXT) | instid1(VALU_DEP_1)
	v_add3_u32 v0, v1, v0, 0x487ffff
                                        ; implicit-def: $vgpr1
	v_lshrrev_b32_e32 v0, 20, v0
	s_and_not1_saveexec_b32 s8, s8
	s_cbranch_execnz .LBB95_2168
.LBB95_2058:
	s_or_b32 exec_lo, exec_lo, s8
	v_mov_b32_e32 v4, 0
	s_and_saveexec_b32 s8, s5
.LBB95_2059:
	v_mov_b32_e32 v4, v0
.LBB95_2060:
	s_or_b32 exec_lo, exec_lo, s8
.LBB95_2061:
	s_delay_alu instid0(SALU_CYCLE_1)
	s_or_b32 exec_lo, exec_lo, s4
	global_store_b8 v[2:3], v4, off
.LBB95_2062:
	s_mov_b32 s4, 0
.LBB95_2063:
	s_delay_alu instid0(SALU_CYCLE_1)
	s_and_b32 vcc_lo, exec_lo, s4
	s_cbranch_vccz .LBB95_2103
; %bb.2064:
	s_cmp_gt_i32 s7, 22
	s_mov_b32 s2, -1
	s_cbranch_scc0 .LBB95_2096
; %bb.2065:
	s_cmp_lt_i32 s7, 24
	s_cbranch_scc1 .LBB95_2085
; %bb.2066:
	s_cmp_gt_i32 s7, 24
	s_cbranch_scc0 .LBB95_2074
; %bb.2067:
	s_wait_xcnt 0x0
	v_cndmask_b32_e64 v1, 0, 1.0, s1
	v_mov_b32_e32 v4, 0x80
	s_mov_b32 s2, exec_lo
	s_delay_alu instid0(VALU_DEP_2)
	v_cmpx_gt_u32_e32 0x47800000, v1
	s_cbranch_execz .LBB95_2073
; %bb.2068:
	s_mov_b32 s4, 0
	s_mov_b32 s5, exec_lo
                                        ; implicit-def: $vgpr0
	v_cmpx_lt_u32_e32 0x37ffffff, v1
	s_xor_b32 s5, exec_lo, s5
	s_cbranch_execz .LBB95_2170
; %bb.2069:
	v_bfe_u32 v0, v1, 21, 1
	s_mov_b32 s4, exec_lo
	s_delay_alu instid0(VALU_DEP_1) | instskip(NEXT) | instid1(VALU_DEP_1)
	v_add3_u32 v0, v1, v0, 0x88fffff
                                        ; implicit-def: $vgpr1
	v_lshrrev_b32_e32 v0, 21, v0
	s_and_not1_saveexec_b32 s5, s5
	s_cbranch_execnz .LBB95_2171
.LBB95_2070:
	s_or_b32 exec_lo, exec_lo, s5
	v_mov_b32_e32 v4, 0
	s_and_saveexec_b32 s5, s4
.LBB95_2071:
	v_mov_b32_e32 v4, v0
.LBB95_2072:
	s_or_b32 exec_lo, exec_lo, s5
.LBB95_2073:
	s_delay_alu instid0(SALU_CYCLE_1)
	s_or_b32 exec_lo, exec_lo, s2
	s_mov_b32 s2, 0
	global_store_b8 v[2:3], v4, off
.LBB95_2074:
	s_and_b32 vcc_lo, exec_lo, s2
	s_cbranch_vccz .LBB95_2084
; %bb.2075:
	s_wait_xcnt 0x0
	v_cndmask_b32_e64 v1, 0, 1.0, s1
	s_mov_b32 s2, exec_lo
                                        ; implicit-def: $vgpr0
	s_delay_alu instid0(VALU_DEP_1)
	v_cmpx_gt_u32_e32 0x43f00000, v1
	s_xor_b32 s2, exec_lo, s2
	s_cbranch_execz .LBB95_2081
; %bb.2076:
	s_mov_b32 s4, exec_lo
                                        ; implicit-def: $vgpr0
	v_cmpx_lt_u32_e32 0x3c7fffff, v1
	s_xor_b32 s4, exec_lo, s4
; %bb.2077:
	v_bfe_u32 v0, v1, 20, 1
	s_delay_alu instid0(VALU_DEP_1) | instskip(NEXT) | instid1(VALU_DEP_1)
	v_add3_u32 v0, v1, v0, 0x407ffff
	v_and_b32_e32 v1, 0xff00000, v0
	v_lshrrev_b32_e32 v0, 20, v0
	s_delay_alu instid0(VALU_DEP_2) | instskip(NEXT) | instid1(VALU_DEP_2)
	v_cmp_ne_u32_e32 vcc_lo, 0x7f00000, v1
                                        ; implicit-def: $vgpr1
	v_cndmask_b32_e32 v0, 0x7e, v0, vcc_lo
; %bb.2078:
	s_and_not1_saveexec_b32 s4, s4
; %bb.2079:
	v_add_f32_e32 v0, 0x46800000, v1
; %bb.2080:
	s_or_b32 exec_lo, exec_lo, s4
                                        ; implicit-def: $vgpr1
.LBB95_2081:
	s_and_not1_saveexec_b32 s2, s2
; %bb.2082:
	v_mov_b32_e32 v0, 0x7f
	v_cmp_lt_u32_e32 vcc_lo, 0x7f800000, v1
	s_delay_alu instid0(VALU_DEP_2)
	v_cndmask_b32_e32 v0, 0x7e, v0, vcc_lo
; %bb.2083:
	s_or_b32 exec_lo, exec_lo, s2
	global_store_b8 v[2:3], v0, off
.LBB95_2084:
	s_mov_b32 s2, 0
.LBB95_2085:
	s_delay_alu instid0(SALU_CYCLE_1)
	s_and_not1_b32 vcc_lo, exec_lo, s2
	s_cbranch_vccnz .LBB95_2095
; %bb.2086:
	s_wait_xcnt 0x0
	v_cndmask_b32_e64 v1, 0, 1.0, s1
	s_mov_b32 s2, exec_lo
                                        ; implicit-def: $vgpr0
	s_delay_alu instid0(VALU_DEP_1)
	v_cmpx_gt_u32_e32 0x47800000, v1
	s_xor_b32 s2, exec_lo, s2
	s_cbranch_execz .LBB95_2092
; %bb.2087:
	s_mov_b32 s4, exec_lo
                                        ; implicit-def: $vgpr0
	v_cmpx_lt_u32_e32 0x387fffff, v1
	s_xor_b32 s4, exec_lo, s4
; %bb.2088:
	v_bfe_u32 v0, v1, 21, 1
	s_delay_alu instid0(VALU_DEP_1) | instskip(NEXT) | instid1(VALU_DEP_1)
	v_add3_u32 v0, v1, v0, 0x80fffff
                                        ; implicit-def: $vgpr1
	v_lshrrev_b32_e32 v0, 21, v0
; %bb.2089:
	s_and_not1_saveexec_b32 s4, s4
; %bb.2090:
	v_add_f32_e32 v0, 0x43000000, v1
; %bb.2091:
	s_or_b32 exec_lo, exec_lo, s4
                                        ; implicit-def: $vgpr1
.LBB95_2092:
	s_and_not1_saveexec_b32 s2, s2
; %bb.2093:
	v_mov_b32_e32 v0, 0x7f
	v_cmp_lt_u32_e32 vcc_lo, 0x7f800000, v1
	s_delay_alu instid0(VALU_DEP_2)
	v_cndmask_b32_e32 v0, 0x7c, v0, vcc_lo
; %bb.2094:
	s_or_b32 exec_lo, exec_lo, s2
	global_store_b8 v[2:3], v0, off
.LBB95_2095:
	s_mov_b32 s2, 0
.LBB95_2096:
	s_delay_alu instid0(SALU_CYCLE_1)
	s_and_not1_b32 vcc_lo, exec_lo, s2
	s_mov_b32 s2, 0
	s_cbranch_vccnz .LBB95_2103
; %bb.2097:
	s_cmp_gt_i32 s7, 14
	s_mov_b32 s2, -1
	s_cbranch_scc0 .LBB95_2101
; %bb.2098:
	s_cmp_eq_u32 s7, 15
	s_mov_b32 s0, -1
	s_cbranch_scc0 .LBB95_2100
; %bb.2099:
	s_wait_xcnt 0x0
	v_cndmask_b32_e64 v0, 0, 1.0, s1
	s_mov_b32 s0, 0
	s_delay_alu instid0(VALU_DEP_1) | instskip(NEXT) | instid1(VALU_DEP_1)
	v_bfe_u32 v1, v0, 16, 1
	v_add3_u32 v0, v0, v1, 0x7fff
	global_store_d16_hi_b16 v[2:3], v0, off
.LBB95_2100:
	s_mov_b32 s2, 0
.LBB95_2101:
	s_delay_alu instid0(SALU_CYCLE_1)
	s_and_b32 vcc_lo, exec_lo, s2
	s_mov_b32 s2, 0
	s_cbranch_vccz .LBB95_2103
; %bb.2102:
	s_cmp_lg_u32 s7, 11
	s_mov_b32 s2, -1
	s_cselect_b32 s0, -1, 0
.LBB95_2103:
	s_delay_alu instid0(SALU_CYCLE_1)
	s_and_b32 vcc_lo, exec_lo, s0
	s_cbranch_vccnz .LBB95_2169
.LBB95_2104:
	s_mov_b32 s0, 0
	s_branch .LBB95_2106
.LBB95_2105:
	s_mov_b32 s0, 0
	s_mov_b32 s2, 0
                                        ; implicit-def: $sgpr1
                                        ; implicit-def: $vgpr2_vgpr3
                                        ; implicit-def: $sgpr6
.LBB95_2106:
	s_and_not1_b32 s4, s11, exec_lo
	s_and_b32 s3, s3, exec_lo
	s_and_b32 s0, s0, exec_lo
	;; [unrolled: 1-line block ×3, first 2 shown]
	s_or_b32 s11, s4, s3
.LBB95_2107:
	s_wait_xcnt 0x0
	s_or_b32 exec_lo, exec_lo, s12
	s_and_saveexec_b32 s2, s11
	s_cbranch_execz .LBB95_2110
; %bb.2108:
	; divergent unreachable
	s_or_b32 exec_lo, exec_lo, s2
	s_and_saveexec_b32 s2, s36
	s_delay_alu instid0(SALU_CYCLE_1)
	s_xor_b32 s2, exec_lo, s2
	s_cbranch_execnz .LBB95_2111
.LBB95_2109:
	s_or_b32 exec_lo, exec_lo, s2
	s_and_saveexec_b32 s2, s0
	s_cbranch_execnz .LBB95_2112
	s_branch .LBB95_2149
.LBB95_2110:
	s_or_b32 exec_lo, exec_lo, s2
	s_and_saveexec_b32 s2, s36
	s_delay_alu instid0(SALU_CYCLE_1)
	s_xor_b32 s2, exec_lo, s2
	s_cbranch_execz .LBB95_2109
.LBB95_2111:
	v_cndmask_b32_e64 v0, 0, 1, s1
	global_store_b8 v[2:3], v0, off
	s_wait_xcnt 0x0
	s_or_b32 exec_lo, exec_lo, s2
	s_and_saveexec_b32 s2, s0
	s_cbranch_execz .LBB95_2149
.LBB95_2112:
	s_sext_i32_i16 s2, s6
	s_mov_b32 s0, -1
	s_cmp_lt_i32 s2, 5
	s_cbranch_scc1 .LBB95_2133
; %bb.2113:
	s_cmp_lt_i32 s2, 8
	s_cbranch_scc1 .LBB95_2123
; %bb.2114:
	;; [unrolled: 3-line block ×3, first 2 shown]
	s_cmp_gt_i32 s2, 9
	s_cbranch_scc0 .LBB95_2117
; %bb.2116:
	v_cndmask_b32_e64 v0, 0, 1, s1
	s_wait_loadcnt 0x0
	v_mov_b32_e32 v6, 0
	s_mov_b32 s0, 0
	s_delay_alu instid0(VALU_DEP_2) | instskip(NEXT) | instid1(VALU_DEP_2)
	v_cvt_f64_u32_e32 v[4:5], v0
	v_mov_b32_e32 v7, v6
	global_store_b128 v[2:3], v[4:7], off
.LBB95_2117:
	s_and_not1_b32 vcc_lo, exec_lo, s0
	s_cbranch_vccnz .LBB95_2119
; %bb.2118:
	v_cndmask_b32_e64 v0, 0, 1.0, s1
	v_mov_b32_e32 v1, 0
	global_store_b64 v[2:3], v[0:1], off
.LBB95_2119:
	s_mov_b32 s0, 0
.LBB95_2120:
	s_delay_alu instid0(SALU_CYCLE_1)
	s_and_not1_b32 vcc_lo, exec_lo, s0
	s_cbranch_vccnz .LBB95_2122
; %bb.2121:
	s_wait_xcnt 0x0
	v_cndmask_b32_e64 v0, 0, 1.0, s1
	s_delay_alu instid0(VALU_DEP_1) | instskip(NEXT) | instid1(VALU_DEP_1)
	v_cvt_f16_f32_e32 v0, v0
	v_and_b32_e32 v0, 0xffff, v0
	global_store_b32 v[2:3], v0, off
.LBB95_2122:
	s_mov_b32 s0, 0
.LBB95_2123:
	s_delay_alu instid0(SALU_CYCLE_1)
	s_and_not1_b32 vcc_lo, exec_lo, s0
	s_cbranch_vccnz .LBB95_2132
; %bb.2124:
	s_sext_i32_i16 s2, s6
	s_mov_b32 s0, -1
	s_cmp_lt_i32 s2, 6
	s_cbranch_scc1 .LBB95_2130
; %bb.2125:
	s_cmp_gt_i32 s2, 6
	s_cbranch_scc0 .LBB95_2127
; %bb.2126:
	s_wait_xcnt 0x0
	v_cndmask_b32_e64 v0, 0, 1, s1
	s_mov_b32 s0, 0
	s_delay_alu instid0(VALU_DEP_1)
	v_cvt_f64_u32_e32 v[0:1], v0
	global_store_b64 v[2:3], v[0:1], off
.LBB95_2127:
	s_and_not1_b32 vcc_lo, exec_lo, s0
	s_cbranch_vccnz .LBB95_2129
; %bb.2128:
	s_wait_xcnt 0x0
	v_cndmask_b32_e64 v0, 0, 1.0, s1
	global_store_b32 v[2:3], v0, off
.LBB95_2129:
	s_mov_b32 s0, 0
.LBB95_2130:
	s_delay_alu instid0(SALU_CYCLE_1)
	s_and_not1_b32 vcc_lo, exec_lo, s0
	s_cbranch_vccnz .LBB95_2132
; %bb.2131:
	s_wait_xcnt 0x0
	v_cndmask_b32_e64 v0, 0, 1.0, s1
	s_delay_alu instid0(VALU_DEP_1)
	v_cvt_f16_f32_e32 v0, v0
	global_store_b16 v[2:3], v0, off
.LBB95_2132:
	s_mov_b32 s0, 0
.LBB95_2133:
	s_delay_alu instid0(SALU_CYCLE_1)
	s_and_not1_b32 vcc_lo, exec_lo, s0
	s_cbranch_vccnz .LBB95_2149
; %bb.2134:
	s_sext_i32_i16 s2, s6
	s_mov_b32 s0, -1
	s_cmp_lt_i32 s2, 2
	s_cbranch_scc1 .LBB95_2144
; %bb.2135:
	s_cmp_lt_i32 s2, 3
	s_cbranch_scc1 .LBB95_2141
; %bb.2136:
	s_cmp_gt_i32 s2, 3
	s_cbranch_scc0 .LBB95_2138
; %bb.2137:
	s_mov_b32 s0, 0
	s_wait_xcnt 0x0
	v_cndmask_b32_e64 v0, 0, 1, s1
	v_mov_b32_e32 v1, s0
	global_store_b64 v[2:3], v[0:1], off
.LBB95_2138:
	s_and_not1_b32 vcc_lo, exec_lo, s0
	s_cbranch_vccnz .LBB95_2140
; %bb.2139:
	s_wait_xcnt 0x0
	v_cndmask_b32_e64 v0, 0, 1, s1
	global_store_b32 v[2:3], v0, off
.LBB95_2140:
	s_mov_b32 s0, 0
.LBB95_2141:
	s_delay_alu instid0(SALU_CYCLE_1)
	s_and_not1_b32 vcc_lo, exec_lo, s0
	s_cbranch_vccnz .LBB95_2143
; %bb.2142:
	s_wait_xcnt 0x0
	v_cndmask_b32_e64 v0, 0, 1, s1
	global_store_b16 v[2:3], v0, off
.LBB95_2143:
	s_mov_b32 s0, 0
.LBB95_2144:
	s_delay_alu instid0(SALU_CYCLE_1)
	s_and_not1_b32 vcc_lo, exec_lo, s0
	s_cbranch_vccnz .LBB95_2149
; %bb.2145:
	s_sext_i32_i16 s0, s6
	s_delay_alu instid0(SALU_CYCLE_1)
	s_cmp_gt_i32 s0, 0
	s_mov_b32 s0, -1
	s_cbranch_scc0 .LBB95_2147
; %bb.2146:
	s_wait_xcnt 0x0
	v_cndmask_b32_e64 v0, 0, 1, s1
	s_mov_b32 s0, 0
	global_store_b8 v[2:3], v0, off
.LBB95_2147:
	s_and_not1_b32 vcc_lo, exec_lo, s0
	s_cbranch_vccnz .LBB95_2149
; %bb.2148:
	s_wait_xcnt 0x0
	v_cndmask_b32_e64 v0, 0, 1, s1
	global_store_b8 v[2:3], v0, off
	s_endpgm
.LBB95_2149:
	s_endpgm
.LBB95_2150:
	s_mov_b32 s2, 0
	s_mov_b32 s0, -1
	s_branch .LBB95_2106
.LBB95_2151:
	s_or_b32 s3, s3, exec_lo
	s_trap 2
	s_cbranch_execz .LBB95_1621
	s_branch .LBB95_1622
.LBB95_2152:
	s_and_not1_saveexec_b32 s15, s15
	s_cbranch_execz .LBB95_1701
.LBB95_2153:
	v_add_f32_e32 v1, 0x46000000, v3
	s_and_not1_b32 s14, s14, exec_lo
	s_delay_alu instid0(VALU_DEP_1) | instskip(NEXT) | instid1(VALU_DEP_1)
	v_and_b32_e32 v1, 0xff, v1
	v_cmp_ne_u32_e32 vcc_lo, 0, v1
	s_and_b32 s16, vcc_lo, exec_lo
	s_delay_alu instid0(SALU_CYCLE_1)
	s_or_b32 s14, s14, s16
	s_or_b32 exec_lo, exec_lo, s15
	v_mov_b32_e32 v5, 0
	s_and_saveexec_b32 s15, s14
	s_cbranch_execnz .LBB95_1702
	s_branch .LBB95_1703
.LBB95_2154:
	s_or_b32 s3, s3, exec_lo
	s_trap 2
	s_cbranch_execz .LBB95_1749
	s_branch .LBB95_1750
.LBB95_2155:
	s_and_not1_saveexec_b32 s14, s14
	s_cbranch_execz .LBB95_1714
.LBB95_2156:
	v_add_f32_e32 v1, 0x42800000, v3
	s_and_not1_b32 s13, s13, exec_lo
	s_delay_alu instid0(VALU_DEP_1) | instskip(NEXT) | instid1(VALU_DEP_1)
	v_and_b32_e32 v1, 0xff, v1
	v_cmp_ne_u32_e32 vcc_lo, 0, v1
	s_and_b32 s15, vcc_lo, exec_lo
	s_delay_alu instid0(SALU_CYCLE_1)
	s_or_b32 s13, s13, s15
	s_or_b32 exec_lo, exec_lo, s14
	v_mov_b32_e32 v5, 0
	s_and_saveexec_b32 s14, s13
	s_cbranch_execnz .LBB95_1715
	s_branch .LBB95_1716
.LBB95_2157:
	s_and_not1_saveexec_b32 s15, s15
	s_cbranch_execz .LBB95_1819
.LBB95_2158:
	v_add_f32_e32 v1, 0x46000000, v3
	s_and_not1_b32 s14, s14, exec_lo
	s_delay_alu instid0(VALU_DEP_1) | instskip(NEXT) | instid1(VALU_DEP_1)
	v_and_b32_e32 v1, 0xff, v1
	v_cmp_ne_u32_e32 vcc_lo, 0, v1
	s_and_b32 s16, vcc_lo, exec_lo
	s_delay_alu instid0(SALU_CYCLE_1)
	s_or_b32 s14, s14, s16
	s_or_b32 exec_lo, exec_lo, s15
	v_mov_b32_e32 v6, 0
	s_and_saveexec_b32 s15, s14
	s_cbranch_execnz .LBB95_1820
	s_branch .LBB95_1821
.LBB95_2159:
	s_or_b32 s3, s3, exec_lo
	s_trap 2
	s_cbranch_execz .LBB95_1867
	s_branch .LBB95_1868
.LBB95_2160:
	s_and_not1_saveexec_b32 s14, s14
	s_cbranch_execz .LBB95_1832
.LBB95_2161:
	v_add_f32_e32 v1, 0x42800000, v3
	s_and_not1_b32 s13, s13, exec_lo
	s_delay_alu instid0(VALU_DEP_1) | instskip(NEXT) | instid1(VALU_DEP_1)
	v_and_b32_e32 v1, 0xff, v1
	v_cmp_ne_u32_e32 vcc_lo, 0, v1
	s_and_b32 s15, vcc_lo, exec_lo
	s_delay_alu instid0(SALU_CYCLE_1)
	s_or_b32 s13, s13, s15
	s_or_b32 exec_lo, exec_lo, s14
	v_mov_b32_e32 v6, 0
	s_and_saveexec_b32 s14, s13
	s_cbranch_execnz .LBB95_1833
	s_branch .LBB95_1834
.LBB95_2162:
	s_and_not1_saveexec_b32 s15, s15
	s_cbranch_execz .LBB95_1938
.LBB95_2163:
	v_add_f32_e32 v1, 0x46000000, v4
	s_and_not1_b32 s14, s14, exec_lo
	s_delay_alu instid0(VALU_DEP_1) | instskip(NEXT) | instid1(VALU_DEP_1)
	v_and_b32_e32 v1, 0xff, v1
	v_cmp_ne_u32_e32 vcc_lo, 0, v1
	s_and_b32 s16, vcc_lo, exec_lo
	s_delay_alu instid0(SALU_CYCLE_1)
	s_or_b32 s14, s14, s16
	s_or_b32 exec_lo, exec_lo, s15
	v_mov_b32_e32 v5, 0
	s_and_saveexec_b32 s15, s14
	s_cbranch_execnz .LBB95_1939
	s_branch .LBB95_1940
.LBB95_2164:
	s_or_b32 s3, s3, exec_lo
	s_trap 2
	s_cbranch_execz .LBB95_1986
	s_branch .LBB95_1987
.LBB95_2165:
	s_and_not1_saveexec_b32 s14, s14
	s_cbranch_execz .LBB95_1951
.LBB95_2166:
	v_add_f32_e32 v1, 0x42800000, v4
	s_and_not1_b32 s13, s13, exec_lo
	s_delay_alu instid0(VALU_DEP_1) | instskip(NEXT) | instid1(VALU_DEP_1)
	v_and_b32_e32 v1, 0xff, v1
	v_cmp_ne_u32_e32 vcc_lo, 0, v1
	s_and_b32 s15, vcc_lo, exec_lo
	s_delay_alu instid0(SALU_CYCLE_1)
	s_or_b32 s13, s13, s15
	s_or_b32 exec_lo, exec_lo, s14
	v_mov_b32_e32 v5, 0
	s_and_saveexec_b32 s14, s13
	s_cbranch_execnz .LBB95_1952
	s_branch .LBB95_1953
.LBB95_2167:
	s_and_not1_saveexec_b32 s8, s8
	s_cbranch_execz .LBB95_2058
.LBB95_2168:
	v_add_f32_e32 v0, 0x46000000, v1
	s_and_not1_b32 s5, s5, exec_lo
	s_delay_alu instid0(VALU_DEP_1) | instskip(NEXT) | instid1(VALU_DEP_1)
	v_and_b32_e32 v0, 0xff, v0
	v_cmp_ne_u32_e32 vcc_lo, 0, v0
	s_and_b32 s9, vcc_lo, exec_lo
	s_delay_alu instid0(SALU_CYCLE_1)
	s_or_b32 s5, s5, s9
	s_or_b32 exec_lo, exec_lo, s8
	v_mov_b32_e32 v4, 0
	s_and_saveexec_b32 s8, s5
	s_cbranch_execnz .LBB95_2059
	s_branch .LBB95_2060
.LBB95_2169:
	s_mov_b32 s2, 0
	s_or_b32 s3, s3, exec_lo
	s_trap 2
	s_branch .LBB95_2104
.LBB95_2170:
	s_and_not1_saveexec_b32 s5, s5
	s_cbranch_execz .LBB95_2070
.LBB95_2171:
	v_add_f32_e32 v0, 0x42800000, v1
	s_and_not1_b32 s4, s4, exec_lo
	s_delay_alu instid0(VALU_DEP_1) | instskip(NEXT) | instid1(VALU_DEP_1)
	v_and_b32_e32 v0, 0xff, v0
	v_cmp_ne_u32_e32 vcc_lo, 0, v0
	s_and_b32 s8, vcc_lo, exec_lo
	s_delay_alu instid0(SALU_CYCLE_1)
	s_or_b32 s4, s4, s8
	s_or_b32 exec_lo, exec_lo, s5
	v_mov_b32_e32 v4, 0
	s_and_saveexec_b32 s5, s4
	s_cbranch_execnz .LBB95_2071
	s_branch .LBB95_2072
	.section	.rodata,"a",@progbits
	.p2align	6, 0x0
	.amdhsa_kernel _ZN2at6native32elementwise_kernel_manual_unrollILi128ELi4EZNS0_15gpu_kernel_implINS0_13AUnaryFunctorIddbNS0_12_GLOBAL__N_116CompareEqFunctorIdEEEEEEvRNS_18TensorIteratorBaseERKT_EUlibE0_EEviT1_
		.amdhsa_group_segment_fixed_size 0
		.amdhsa_private_segment_fixed_size 0
		.amdhsa_kernarg_size 376
		.amdhsa_user_sgpr_count 2
		.amdhsa_user_sgpr_dispatch_ptr 0
		.amdhsa_user_sgpr_queue_ptr 0
		.amdhsa_user_sgpr_kernarg_segment_ptr 1
		.amdhsa_user_sgpr_dispatch_id 0
		.amdhsa_user_sgpr_kernarg_preload_length 0
		.amdhsa_user_sgpr_kernarg_preload_offset 0
		.amdhsa_user_sgpr_private_segment_size 0
		.amdhsa_wavefront_size32 1
		.amdhsa_uses_dynamic_stack 0
		.amdhsa_enable_private_segment 0
		.amdhsa_system_sgpr_workgroup_id_x 1
		.amdhsa_system_sgpr_workgroup_id_y 0
		.amdhsa_system_sgpr_workgroup_id_z 0
		.amdhsa_system_sgpr_workgroup_info 0
		.amdhsa_system_vgpr_workitem_id 0
		.amdhsa_next_free_vgpr 20
		.amdhsa_next_free_sgpr 72
		.amdhsa_named_barrier_count 0
		.amdhsa_reserve_vcc 1
		.amdhsa_float_round_mode_32 0
		.amdhsa_float_round_mode_16_64 0
		.amdhsa_float_denorm_mode_32 3
		.amdhsa_float_denorm_mode_16_64 3
		.amdhsa_fp16_overflow 0
		.amdhsa_memory_ordered 1
		.amdhsa_forward_progress 1
		.amdhsa_inst_pref_size 255
		.amdhsa_round_robin_scheduling 0
		.amdhsa_exception_fp_ieee_invalid_op 0
		.amdhsa_exception_fp_denorm_src 0
		.amdhsa_exception_fp_ieee_div_zero 0
		.amdhsa_exception_fp_ieee_overflow 0
		.amdhsa_exception_fp_ieee_underflow 0
		.amdhsa_exception_fp_ieee_inexact 0
		.amdhsa_exception_int_div_zero 0
	.end_amdhsa_kernel
	.section	.text._ZN2at6native32elementwise_kernel_manual_unrollILi128ELi4EZNS0_15gpu_kernel_implINS0_13AUnaryFunctorIddbNS0_12_GLOBAL__N_116CompareEqFunctorIdEEEEEEvRNS_18TensorIteratorBaseERKT_EUlibE0_EEviT1_,"axG",@progbits,_ZN2at6native32elementwise_kernel_manual_unrollILi128ELi4EZNS0_15gpu_kernel_implINS0_13AUnaryFunctorIddbNS0_12_GLOBAL__N_116CompareEqFunctorIdEEEEEEvRNS_18TensorIteratorBaseERKT_EUlibE0_EEviT1_,comdat
.Lfunc_end95:
	.size	_ZN2at6native32elementwise_kernel_manual_unrollILi128ELi4EZNS0_15gpu_kernel_implINS0_13AUnaryFunctorIddbNS0_12_GLOBAL__N_116CompareEqFunctorIdEEEEEEvRNS_18TensorIteratorBaseERKT_EUlibE0_EEviT1_, .Lfunc_end95-_ZN2at6native32elementwise_kernel_manual_unrollILi128ELi4EZNS0_15gpu_kernel_implINS0_13AUnaryFunctorIddbNS0_12_GLOBAL__N_116CompareEqFunctorIdEEEEEEvRNS_18TensorIteratorBaseERKT_EUlibE0_EEviT1_
                                        ; -- End function
	.set _ZN2at6native32elementwise_kernel_manual_unrollILi128ELi4EZNS0_15gpu_kernel_implINS0_13AUnaryFunctorIddbNS0_12_GLOBAL__N_116CompareEqFunctorIdEEEEEEvRNS_18TensorIteratorBaseERKT_EUlibE0_EEviT1_.num_vgpr, 20
	.set _ZN2at6native32elementwise_kernel_manual_unrollILi128ELi4EZNS0_15gpu_kernel_implINS0_13AUnaryFunctorIddbNS0_12_GLOBAL__N_116CompareEqFunctorIdEEEEEEvRNS_18TensorIteratorBaseERKT_EUlibE0_EEviT1_.num_agpr, 0
	.set _ZN2at6native32elementwise_kernel_manual_unrollILi128ELi4EZNS0_15gpu_kernel_implINS0_13AUnaryFunctorIddbNS0_12_GLOBAL__N_116CompareEqFunctorIdEEEEEEvRNS_18TensorIteratorBaseERKT_EUlibE0_EEviT1_.numbered_sgpr, 72
	.set _ZN2at6native32elementwise_kernel_manual_unrollILi128ELi4EZNS0_15gpu_kernel_implINS0_13AUnaryFunctorIddbNS0_12_GLOBAL__N_116CompareEqFunctorIdEEEEEEvRNS_18TensorIteratorBaseERKT_EUlibE0_EEviT1_.num_named_barrier, 0
	.set _ZN2at6native32elementwise_kernel_manual_unrollILi128ELi4EZNS0_15gpu_kernel_implINS0_13AUnaryFunctorIddbNS0_12_GLOBAL__N_116CompareEqFunctorIdEEEEEEvRNS_18TensorIteratorBaseERKT_EUlibE0_EEviT1_.private_seg_size, 0
	.set _ZN2at6native32elementwise_kernel_manual_unrollILi128ELi4EZNS0_15gpu_kernel_implINS0_13AUnaryFunctorIddbNS0_12_GLOBAL__N_116CompareEqFunctorIdEEEEEEvRNS_18TensorIteratorBaseERKT_EUlibE0_EEviT1_.uses_vcc, 1
	.set _ZN2at6native32elementwise_kernel_manual_unrollILi128ELi4EZNS0_15gpu_kernel_implINS0_13AUnaryFunctorIddbNS0_12_GLOBAL__N_116CompareEqFunctorIdEEEEEEvRNS_18TensorIteratorBaseERKT_EUlibE0_EEviT1_.uses_flat_scratch, 0
	.set _ZN2at6native32elementwise_kernel_manual_unrollILi128ELi4EZNS0_15gpu_kernel_implINS0_13AUnaryFunctorIddbNS0_12_GLOBAL__N_116CompareEqFunctorIdEEEEEEvRNS_18TensorIteratorBaseERKT_EUlibE0_EEviT1_.has_dyn_sized_stack, 0
	.set _ZN2at6native32elementwise_kernel_manual_unrollILi128ELi4EZNS0_15gpu_kernel_implINS0_13AUnaryFunctorIddbNS0_12_GLOBAL__N_116CompareEqFunctorIdEEEEEEvRNS_18TensorIteratorBaseERKT_EUlibE0_EEviT1_.has_recursion, 0
	.set _ZN2at6native32elementwise_kernel_manual_unrollILi128ELi4EZNS0_15gpu_kernel_implINS0_13AUnaryFunctorIddbNS0_12_GLOBAL__N_116CompareEqFunctorIdEEEEEEvRNS_18TensorIteratorBaseERKT_EUlibE0_EEviT1_.has_indirect_call, 0
	.section	.AMDGPU.csdata,"",@progbits
; Kernel info:
; codeLenInByte = 42036
; TotalNumSgprs: 74
; NumVgprs: 20
; ScratchSize: 0
; MemoryBound: 1
; FloatMode: 240
; IeeeMode: 1
; LDSByteSize: 0 bytes/workgroup (compile time only)
; SGPRBlocks: 0
; VGPRBlocks: 1
; NumSGPRsForWavesPerEU: 74
; NumVGPRsForWavesPerEU: 20
; NamedBarCnt: 0
; Occupancy: 16
; WaveLimiterHint : 1
; COMPUTE_PGM_RSRC2:SCRATCH_EN: 0
; COMPUTE_PGM_RSRC2:USER_SGPR: 2
; COMPUTE_PGM_RSRC2:TRAP_HANDLER: 0
; COMPUTE_PGM_RSRC2:TGID_X_EN: 1
; COMPUTE_PGM_RSRC2:TGID_Y_EN: 0
; COMPUTE_PGM_RSRC2:TGID_Z_EN: 0
; COMPUTE_PGM_RSRC2:TIDIG_COMP_CNT: 0
	.section	.text._ZN2at6native29vectorized_elementwise_kernelILi16ENS0_13BinaryFunctorIffbNS0_12_GLOBAL__N_116CompareEqFunctorIfEEEESt5arrayIPcLm3EEEEviT0_T1_,"axG",@progbits,_ZN2at6native29vectorized_elementwise_kernelILi16ENS0_13BinaryFunctorIffbNS0_12_GLOBAL__N_116CompareEqFunctorIfEEEESt5arrayIPcLm3EEEEviT0_T1_,comdat
	.globl	_ZN2at6native29vectorized_elementwise_kernelILi16ENS0_13BinaryFunctorIffbNS0_12_GLOBAL__N_116CompareEqFunctorIfEEEESt5arrayIPcLm3EEEEviT0_T1_ ; -- Begin function _ZN2at6native29vectorized_elementwise_kernelILi16ENS0_13BinaryFunctorIffbNS0_12_GLOBAL__N_116CompareEqFunctorIfEEEESt5arrayIPcLm3EEEEviT0_T1_
	.p2align	8
	.type	_ZN2at6native29vectorized_elementwise_kernelILi16ENS0_13BinaryFunctorIffbNS0_12_GLOBAL__N_116CompareEqFunctorIfEEEESt5arrayIPcLm3EEEEviT0_T1_,@function
_ZN2at6native29vectorized_elementwise_kernelILi16ENS0_13BinaryFunctorIffbNS0_12_GLOBAL__N_116CompareEqFunctorIfEEEESt5arrayIPcLm3EEEEviT0_T1_: ; @_ZN2at6native29vectorized_elementwise_kernelILi16ENS0_13BinaryFunctorIffbNS0_12_GLOBAL__N_116CompareEqFunctorIfEEEESt5arrayIPcLm3EEEEviT0_T1_
; %bb.0:
	s_clause 0x2
	s_load_b64 s[8:9], s[0:1], 0x0
	s_load_b128 s[4:7], s[0:1], 0x8
	s_load_b64 s[10:11], s[0:1], 0x18
	s_wait_xcnt 0x0
	s_bfe_u32 s0, ttmp6, 0x4000c
	s_and_b32 s1, ttmp6, 15
	s_add_co_i32 s0, s0, 1
	s_getreg_b32 s2, hwreg(HW_REG_IB_STS2, 6, 4)
	s_mul_i32 s0, ttmp9, s0
	s_delay_alu instid0(SALU_CYCLE_1) | instskip(SKIP_2) | instid1(SALU_CYCLE_1)
	s_add_co_i32 s1, s1, s0
	s_cmp_eq_u32 s2, 0
	s_cselect_b32 s0, ttmp9, s1
	s_lshl_b32 s2, s0, 12
	s_mov_b32 s0, -1
	s_wait_kmcnt 0x0
	s_sub_co_i32 s1, s8, s2
	s_delay_alu instid0(SALU_CYCLE_1)
	s_cmp_gt_i32 s1, 0xfff
	s_cbranch_scc0 .LBB96_2
; %bb.1:
	s_ashr_i32 s3, s2, 31
	v_lshlrev_b32_e32 v1, 6, v0
	s_lshl_b64 s[12:13], s[2:3], 2
	s_cmp_eq_u32 s9, 0
	s_add_nc_u64 s[14:15], s[10:11], s[12:13]
	s_add_nc_u64 s[12:13], s[6:7], s[12:13]
	s_clause 0x7
	global_load_b128 v[2:5], v1, s[14:15]
	global_load_b128 v[6:9], v1, s[12:13]
	global_load_b128 v[10:13], v1, s[12:13] offset:16
	global_load_b128 v[14:17], v1, s[14:15] offset:16
	;; [unrolled: 1-line block ×6, first 2 shown]
	s_wait_xcnt 0x1
	s_add_nc_u64 s[12:13], s[4:5], s[2:3]
	s_mov_b32 s0, 0
	s_wait_loadcnt 0x6
	v_cmp_eq_f32_e32 vcc_lo, v8, v4
	s_wait_xcnt 0x0
	v_cndmask_b32_e64 v1, 0, 1, vcc_lo
	v_cmp_neq_f32_e32 vcc_lo, v8, v4
	v_cndmask_b32_e64 v4, 0, 1, vcc_lo
	v_cmp_eq_f32_e32 vcc_lo, v9, v5
	v_cndmask_b32_e64 v8, 0, 1, vcc_lo
	v_cmp_neq_f32_e32 vcc_lo, v9, v5
	v_cndmask_b32_e64 v5, 0, 1, vcc_lo
	v_cmp_eq_f32_e32 vcc_lo, v6, v2
	v_cndmask_b32_e64 v9, 0, 1, vcc_lo
	v_cmp_neq_f32_e32 vcc_lo, v6, v2
	v_cndmask_b32_e64 v2, 0, 1, vcc_lo
	v_cmp_eq_f32_e32 vcc_lo, v7, v3
	v_cndmask_b32_e64 v6, 0, 1, vcc_lo
	v_cmp_neq_f32_e32 vcc_lo, v7, v3
	v_cndmask_b32_e64 v3, 0, 1, vcc_lo
	s_wait_loadcnt 0x4
	v_cmp_eq_f32_e32 vcc_lo, v12, v16
	v_cndmask_b32_e64 v7, 0, 1, vcc_lo
	v_cmp_neq_f32_e32 vcc_lo, v12, v16
	v_cndmask_b32_e64 v12, 0, 1, vcc_lo
	v_cmp_eq_f32_e32 vcc_lo, v13, v17
	v_cndmask_b32_e64 v16, 0, 1, vcc_lo
	v_cmp_neq_f32_e32 vcc_lo, v13, v17
	v_cndmask_b32_e64 v13, 0, 1, vcc_lo
	v_cmp_eq_f32_e32 vcc_lo, v10, v14
	v_cndmask_b32_e64 v17, 0, 1, vcc_lo
	v_cmp_neq_f32_e32 vcc_lo, v10, v14
	v_cndmask_b32_e64 v10, 0, 1, vcc_lo
	v_cmp_eq_f32_e32 vcc_lo, v11, v15
	v_cndmask_b32_e64 v14, 0, 1, vcc_lo
	v_cmp_neq_f32_e32 vcc_lo, v11, v15
	v_cndmask_b32_e64 v11, 0, 1, vcc_lo
	s_wait_loadcnt 0x2
	v_cmp_eq_f32_e32 vcc_lo, v24, v20
	;; [unrolled: 17-line block ×3, first 2 shown]
	v_cndmask_b32_e64 v23, 0, 1, vcc_lo
	v_cmp_neq_f32_e32 vcc_lo, v28, v32
	v_cndmask_b32_e64 v28, 0, 1, vcc_lo
	v_cmp_eq_f32_e32 vcc_lo, v29, v33
	v_cndmask_b32_e64 v32, 0, 1, vcc_lo
	v_cmp_neq_f32_e32 vcc_lo, v29, v33
	v_cndmask_b32_e64 v29, 0, 1, vcc_lo
	v_cmp_eq_f32_e32 vcc_lo, v26, v30
	;; [unrolled: 4-line block ×3, first 2 shown]
	v_cndmask_b32_e64 v30, 0, 1, vcc_lo
	v_cmp_neq_f32_e32 vcc_lo, v27, v31
	v_cndmask_b32_e64 v27, 0, 1, vcc_lo
	s_cselect_b32 vcc_lo, -1, 0
	v_dual_cndmask_b32 v1, v4, v1 :: v_dual_cndmask_b32 v4, v5, v8
	v_dual_cndmask_b32 v2, v2, v9 :: v_dual_cndmask_b32 v3, v3, v6
	;; [unrolled: 1-line block ×3, first 2 shown]
	s_delay_alu instid0(VALU_DEP_3) | instskip(SKIP_4) | instid1(VALU_DEP_4)
	v_dual_cndmask_b32 v7, v10, v17, vcc_lo :: v_dual_bitop2_b32 v4, 1, v4 bitop3:0x40
	v_dual_cndmask_b32 v8, v11, v14 :: v_dual_cndmask_b32 v9, v20, v15
	v_dual_cndmask_b32 v10, v21, v24 :: v_dual_cndmask_b32 v11, v18, v25
	;; [unrolled: 1-line block ×4, first 2 shown]
	v_dual_cndmask_b32 v16, v27, v30, vcc_lo :: v_dual_bitop2_b32 v8, 1, v8 bitop3:0x40
	v_lshlrev_b16 v4, 8, v4
	v_and_b32_e32 v6, 1, v6
	s_delay_alu instid0(VALU_DEP_4) | instskip(NEXT) | instid1(VALU_DEP_4)
	v_and_b32_e32 v14, 1, v14
	v_and_b32_e32 v16, 1, v16
	;; [unrolled: 1-line block ×4, first 2 shown]
	v_bitop3_b16 v1, v1, v4, 1 bitop3:0xec
	v_and_b32_e32 v3, 1, v3
	v_lshlrev_b16 v8, 8, v8
	v_lshlrev_b16 v6, 8, v6
	;; [unrolled: 1-line block ×6, first 2 shown]
	v_lshlrev_b32_e32 v1, 16, v1
	v_lshlrev_b16 v3, 8, v3
	v_bitop3_b16 v7, v7, v8, 1 bitop3:0xec
	v_bitop3_b16 v5, v5, v6, 1 bitop3:0xec
	v_bitop3_b16 v4, v13, v14, 1 bitop3:0xec
	v_bitop3_b16 v6, v11, v12, 1 bitop3:0xec
	v_bitop3_b16 v2, v2, v3, 1 bitop3:0xec
	v_bitop3_b16 v3, v15, v16, 1 bitop3:0xec
	v_bitop3_b16 v8, v9, v10, 1 bitop3:0xec
	v_and_b32_e32 v7, 0xffff, v7
	v_lshlrev_b32_e32 v5, 16, v5
	v_and_b32_e32 v2, 0xffff, v2
	v_and_b32_e32 v9, 0xffff, v3
	v_lshlrev_b32_e32 v4, 16, v4
	v_and_b32_e32 v6, 0xffff, v6
	v_dual_lshlrev_b32 v8, 16, v8 :: v_dual_bitop2_b32 v3, v7, v5 bitop3:0x54
	v_or_b32_e32 v2, v2, v1
	s_delay_alu instid0(VALU_DEP_4) | instskip(NEXT) | instid1(VALU_DEP_3)
	v_or_b32_e32 v5, v9, v4
	v_or_b32_e32 v4, v6, v8
	global_store_b128 v0, v[2:5], s[12:13] scale_offset
.LBB96_2:
	s_and_not1_b32 vcc_lo, exec_lo, s0
	s_cbranch_vccnz .LBB96_52
; %bb.3:
	v_cmp_gt_i32_e32 vcc_lo, s1, v0
	s_wait_xcnt 0x0
	v_dual_mov_b32 v1, 0 :: v_dual_bitop2_b32 v4, s2, v0 bitop3:0x54
	v_or_b32_e32 v5, 0x100, v0
	v_dual_mov_b32 v8, 0 :: v_dual_mov_b32 v9, 0
	v_mov_b32_e32 v35, v0
	s_and_saveexec_b32 s0, vcc_lo
	s_cbranch_execz .LBB96_5
; %bb.4:
	s_clause 0x1
	global_load_b32 v8, v4, s[6:7] scale_offset
	global_load_b32 v9, v4, s[10:11] scale_offset
	v_or_b32_e32 v35, 0x100, v0
.LBB96_5:
	s_wait_xcnt 0x0
	s_or_b32 exec_lo, exec_lo, s0
	v_mov_b32_e32 v11, 0
	s_mov_b32 s3, exec_lo
	v_cmpx_gt_i32_e64 s1, v35
	s_cbranch_execz .LBB96_7
; %bb.6:
	v_add_nc_u32_e32 v2, s2, v35
	v_add_nc_u32_e32 v35, 0x100, v35
	s_clause 0x1
	global_load_b32 v1, v2, s[6:7] scale_offset
	global_load_b32 v11, v2, s[10:11] scale_offset
.LBB96_7:
	s_wait_xcnt 0x0
	s_or_b32 exec_lo, exec_lo, s3
	v_dual_mov_b32 v2, 0 :: v_dual_mov_b32 v12, 0
	v_mov_b32_e32 v13, 0
	s_mov_b32 s3, exec_lo
	v_cmpx_gt_i32_e64 s1, v35
	s_cbranch_execz .LBB96_9
; %bb.8:
	v_add_nc_u32_e32 v3, s2, v35
	v_add_nc_u32_e32 v35, 0x100, v35
	s_clause 0x1
	global_load_b32 v12, v3, s[6:7] scale_offset
	global_load_b32 v13, v3, s[10:11] scale_offset
.LBB96_9:
	s_wait_xcnt 0x0
	s_or_b32 exec_lo, exec_lo, s3
	v_mov_b32_e32 v15, 0
	s_mov_b32 s3, exec_lo
	v_cmpx_gt_i32_e64 s1, v35
	s_cbranch_execz .LBB96_11
; %bb.10:
	v_add_nc_u32_e32 v3, s2, v35
	v_add_nc_u32_e32 v35, 0x100, v35
	s_clause 0x1
	global_load_b32 v2, v3, s[6:7] scale_offset
	global_load_b32 v15, v3, s[10:11] scale_offset
.LBB96_11:
	s_wait_xcnt 0x0
	s_or_b32 exec_lo, exec_lo, s3
	v_dual_mov_b32 v3, 0 :: v_dual_mov_b32 v16, 0
	v_mov_b32_e32 v17, 0
	s_mov_b32 s3, exec_lo
	v_cmpx_gt_i32_e64 s1, v35
	s_cbranch_execz .LBB96_13
; %bb.12:
	v_add_nc_u32_e32 v6, s2, v35
	v_add_nc_u32_e32 v35, 0x100, v35
	s_clause 0x1
	global_load_b32 v16, v6, s[6:7] scale_offset
	global_load_b32 v17, v6, s[10:11] scale_offset
.LBB96_13:
	s_wait_xcnt 0x0
	s_or_b32 exec_lo, exec_lo, s3
	v_mov_b32_e32 v19, 0
	s_mov_b32 s3, exec_lo
	v_cmpx_gt_i32_e64 s1, v35
	s_cbranch_execz .LBB96_15
; %bb.14:
	v_add_nc_u32_e32 v6, s2, v35
	v_add_nc_u32_e32 v35, 0x100, v35
	s_clause 0x1
	global_load_b32 v3, v6, s[6:7] scale_offset
	global_load_b32 v19, v6, s[10:11] scale_offset
.LBB96_15:
	s_wait_xcnt 0x0
	s_or_b32 exec_lo, exec_lo, s3
	v_dual_mov_b32 v6, 0 :: v_dual_mov_b32 v20, 0
	v_mov_b32_e32 v21, 0
	s_mov_b32 s3, exec_lo
	v_cmpx_gt_i32_e64 s1, v35
	s_cbranch_execz .LBB96_17
; %bb.16:
	v_add_nc_u32_e32 v7, s2, v35
	v_add_nc_u32_e32 v35, 0x100, v35
	s_clause 0x1
	global_load_b32 v20, v7, s[6:7] scale_offset
	global_load_b32 v21, v7, s[10:11] scale_offset
.LBB96_17:
	s_wait_xcnt 0x0
	s_or_b32 exec_lo, exec_lo, s3
	v_mov_b32_e32 v22, 0
	s_mov_b32 s3, exec_lo
	v_cmpx_gt_i32_e64 s1, v35
	s_cbranch_execz .LBB96_19
; %bb.18:
	v_add_nc_u32_e32 v7, s2, v35
	v_add_nc_u32_e32 v35, 0x100, v35
	s_clause 0x1
	global_load_b32 v6, v7, s[6:7] scale_offset
	global_load_b32 v22, v7, s[10:11] scale_offset
.LBB96_19:
	s_wait_xcnt 0x0
	s_or_b32 exec_lo, exec_lo, s3
	v_dual_mov_b32 v7, 0 :: v_dual_mov_b32 v23, 0
	v_mov_b32_e32 v24, 0
	s_mov_b32 s3, exec_lo
	v_cmpx_gt_i32_e64 s1, v35
	s_cbranch_execz .LBB96_21
; %bb.20:
	v_add_nc_u32_e32 v10, s2, v35
	v_add_nc_u32_e32 v35, 0x100, v35
	s_clause 0x1
	global_load_b32 v23, v10, s[6:7] scale_offset
	global_load_b32 v24, v10, s[10:11] scale_offset
.LBB96_21:
	s_wait_xcnt 0x0
	s_or_b32 exec_lo, exec_lo, s3
	v_mov_b32_e32 v25, 0
	s_mov_b32 s3, exec_lo
	v_cmpx_gt_i32_e64 s1, v35
	s_cbranch_execz .LBB96_23
; %bb.22:
	v_add_nc_u32_e32 v10, s2, v35
	v_add_nc_u32_e32 v35, 0x100, v35
	s_clause 0x1
	global_load_b32 v7, v10, s[6:7] scale_offset
	global_load_b32 v25, v10, s[10:11] scale_offset
.LBB96_23:
	s_wait_xcnt 0x0
	s_or_b32 exec_lo, exec_lo, s3
	v_dual_mov_b32 v10, 0 :: v_dual_mov_b32 v26, 0
	v_mov_b32_e32 v27, 0
	s_mov_b32 s3, exec_lo
	v_cmpx_gt_i32_e64 s1, v35
	s_cbranch_execz .LBB96_25
; %bb.24:
	v_add_nc_u32_e32 v14, s2, v35
	v_add_nc_u32_e32 v35, 0x100, v35
	s_clause 0x1
	global_load_b32 v26, v14, s[6:7] scale_offset
	global_load_b32 v27, v14, s[10:11] scale_offset
.LBB96_25:
	s_wait_xcnt 0x0
	s_or_b32 exec_lo, exec_lo, s3
	v_mov_b32_e32 v28, 0
	s_mov_b32 s3, exec_lo
	v_cmpx_gt_i32_e64 s1, v35
	s_cbranch_execz .LBB96_27
; %bb.26:
	v_add_nc_u32_e32 v14, s2, v35
	v_add_nc_u32_e32 v35, 0x100, v35
	s_clause 0x1
	global_load_b32 v10, v14, s[6:7] scale_offset
	global_load_b32 v28, v14, s[10:11] scale_offset
.LBB96_27:
	s_wait_xcnt 0x0
	s_or_b32 exec_lo, exec_lo, s3
	v_dual_mov_b32 v14, 0 :: v_dual_mov_b32 v29, 0
	v_mov_b32_e32 v30, 0
	s_mov_b32 s3, exec_lo
	v_cmpx_gt_i32_e64 s1, v35
	s_cbranch_execz .LBB96_29
; %bb.28:
	v_add_nc_u32_e32 v18, s2, v35
	v_add_nc_u32_e32 v35, 0x100, v35
	s_clause 0x1
	global_load_b32 v29, v18, s[6:7] scale_offset
	global_load_b32 v30, v18, s[10:11] scale_offset
.LBB96_29:
	s_wait_xcnt 0x0
	s_or_b32 exec_lo, exec_lo, s3
	v_mov_b32_e32 v31, 0
	s_mov_b32 s3, exec_lo
	v_cmpx_gt_i32_e64 s1, v35
	s_cbranch_execz .LBB96_31
; %bb.30:
	v_add_nc_u32_e32 v18, s2, v35
	v_add_nc_u32_e32 v35, 0x100, v35
	s_clause 0x1
	global_load_b32 v14, v18, s[6:7] scale_offset
	global_load_b32 v31, v18, s[10:11] scale_offset
.LBB96_31:
	s_wait_xcnt 0x0
	s_or_b32 exec_lo, exec_lo, s3
	v_dual_mov_b32 v18, 0 :: v_dual_mov_b32 v32, 0
	v_mov_b32_e32 v33, 0
	s_mov_b32 s3, exec_lo
	v_cmpx_gt_i32_e64 s1, v35
	s_cbranch_execz .LBB96_33
; %bb.32:
	v_add_nc_u32_e32 v34, s2, v35
	v_add_nc_u32_e32 v35, 0x100, v35
	s_clause 0x1
	global_load_b32 v32, v34, s[6:7] scale_offset
	global_load_b32 v33, v34, s[10:11] scale_offset
.LBB96_33:
	s_wait_xcnt 0x0
	s_or_b32 exec_lo, exec_lo, s3
	v_mov_b32_e32 v34, 0
	s_mov_b32 s3, exec_lo
	v_cmpx_gt_i32_e64 s1, v35
	s_cbranch_execz .LBB96_35
; %bb.34:
	v_add_nc_u32_e32 v35, s2, v35
	s_clause 0x1
	global_load_b32 v18, v35, s[6:7] scale_offset
	global_load_b32 v34, v35, s[10:11] scale_offset
.LBB96_35:
	s_wait_xcnt 0x0
	s_or_b32 exec_lo, exec_lo, s3
	s_cmp_eq_u32 s9, 0
	s_cselect_b32 s0, -1, 0
	s_and_saveexec_b32 s3, vcc_lo
	s_cbranch_execnz .LBB96_53
; %bb.36:
	s_or_b32 exec_lo, exec_lo, s3
	s_delay_alu instid0(SALU_CYCLE_1)
	s_mov_b32 s3, exec_lo
	v_cmpx_gt_i32_e64 s1, v0
	s_cbranch_execnz .LBB96_54
.LBB96_37:
	s_or_b32 exec_lo, exec_lo, s3
	s_delay_alu instid0(SALU_CYCLE_1)
	s_mov_b32 s3, exec_lo
	v_cmpx_gt_i32_e64 s1, v0
	s_cbranch_execnz .LBB96_55
.LBB96_38:
	s_or_b32 exec_lo, exec_lo, s3
	s_delay_alu instid0(SALU_CYCLE_1)
	s_mov_b32 s3, exec_lo
	v_cmpx_gt_i32_e64 s1, v0
	s_cbranch_execnz .LBB96_56
.LBB96_39:
	s_or_b32 exec_lo, exec_lo, s3
	s_delay_alu instid0(SALU_CYCLE_1)
	s_mov_b32 s3, exec_lo
	v_cmpx_gt_i32_e64 s1, v0
	s_cbranch_execnz .LBB96_57
.LBB96_40:
	s_or_b32 exec_lo, exec_lo, s3
	s_delay_alu instid0(SALU_CYCLE_1)
	s_mov_b32 s3, exec_lo
	v_cmpx_gt_i32_e64 s1, v0
	s_cbranch_execnz .LBB96_58
.LBB96_41:
	s_or_b32 exec_lo, exec_lo, s3
	s_delay_alu instid0(SALU_CYCLE_1)
	s_mov_b32 s3, exec_lo
	v_cmpx_gt_i32_e64 s1, v0
	s_cbranch_execnz .LBB96_59
.LBB96_42:
	s_or_b32 exec_lo, exec_lo, s3
	s_delay_alu instid0(SALU_CYCLE_1)
	s_mov_b32 s3, exec_lo
	v_cmpx_gt_i32_e64 s1, v0
	s_cbranch_execnz .LBB96_60
.LBB96_43:
	s_or_b32 exec_lo, exec_lo, s3
	s_delay_alu instid0(SALU_CYCLE_1)
	s_mov_b32 s3, exec_lo
	v_cmpx_gt_i32_e64 s1, v0
	s_cbranch_execnz .LBB96_61
.LBB96_44:
	s_or_b32 exec_lo, exec_lo, s3
	s_delay_alu instid0(SALU_CYCLE_1)
	s_mov_b32 s3, exec_lo
	v_cmpx_gt_i32_e64 s1, v0
	s_cbranch_execnz .LBB96_62
.LBB96_45:
	s_or_b32 exec_lo, exec_lo, s3
	s_delay_alu instid0(SALU_CYCLE_1)
	s_mov_b32 s3, exec_lo
	v_cmpx_gt_i32_e64 s1, v0
	s_cbranch_execnz .LBB96_63
.LBB96_46:
	s_or_b32 exec_lo, exec_lo, s3
	s_delay_alu instid0(SALU_CYCLE_1)
	s_mov_b32 s3, exec_lo
	v_cmpx_gt_i32_e64 s1, v0
	s_cbranch_execnz .LBB96_64
.LBB96_47:
	s_or_b32 exec_lo, exec_lo, s3
	s_delay_alu instid0(SALU_CYCLE_1)
	s_mov_b32 s3, exec_lo
	v_cmpx_gt_i32_e64 s1, v0
	s_cbranch_execnz .LBB96_65
.LBB96_48:
	s_or_b32 exec_lo, exec_lo, s3
	s_delay_alu instid0(SALU_CYCLE_1)
	s_mov_b32 s3, exec_lo
	v_cmpx_gt_i32_e64 s1, v0
	s_cbranch_execnz .LBB96_66
.LBB96_49:
	s_or_b32 exec_lo, exec_lo, s3
	s_delay_alu instid0(SALU_CYCLE_1)
	s_mov_b32 s3, exec_lo
	v_cmpx_gt_i32_e64 s1, v0
	s_cbranch_execnz .LBB96_67
.LBB96_50:
	s_or_b32 exec_lo, exec_lo, s3
	v_cmp_gt_i32_e32 vcc_lo, s1, v0
	s_and_saveexec_b32 s1, vcc_lo
	s_cbranch_execz .LBB96_52
.LBB96_51:
	s_wait_loadcnt 0x0
	v_cmp_eq_f32_e32 vcc_lo, v18, v34
	v_add_nc_u32_e32 v0, s2, v0
	v_cndmask_b32_e64 v1, 0, 1, vcc_lo
	v_cmp_neq_f32_e32 vcc_lo, v18, v34
	v_cndmask_b32_e64 v2, 0, 1, vcc_lo
	s_delay_alu instid0(VALU_DEP_1) | instskip(NEXT) | instid1(VALU_DEP_1)
	v_cndmask_b32_e64 v1, v2, v1, s0
	v_and_b32_e32 v1, 1, v1
	global_store_b8 v0, v1, s[4:5]
.LBB96_52:
	s_endpgm
.LBB96_53:
	s_wait_loadcnt 0x0
	v_cmp_eq_f32_e32 vcc_lo, v8, v9
	v_cndmask_b32_e64 v0, 0, 1, vcc_lo
	v_cmp_neq_f32_e32 vcc_lo, v8, v9
	v_cndmask_b32_e64 v8, 0, 1, vcc_lo
	s_delay_alu instid0(VALU_DEP_1) | instskip(NEXT) | instid1(VALU_DEP_1)
	v_cndmask_b32_e64 v0, v8, v0, s0
	v_dual_mov_b32 v0, v5 :: v_dual_bitop2_b32 v8, 1, v0 bitop3:0x40
	global_store_b8 v4, v8, s[4:5]
	s_wait_xcnt 0x0
	s_or_b32 exec_lo, exec_lo, s3
	s_delay_alu instid0(SALU_CYCLE_1)
	s_mov_b32 s3, exec_lo
	v_cmpx_gt_i32_e64 s1, v0
	s_cbranch_execz .LBB96_37
.LBB96_54:
	s_wait_loadcnt 0x0
	v_cmp_eq_f32_e32 vcc_lo, v1, v11
	v_cndmask_b32_e64 v4, 0, 1, vcc_lo
	v_cmp_neq_f32_e32 vcc_lo, v1, v11
	v_cndmask_b32_e64 v1, 0, 1, vcc_lo
	s_delay_alu instid0(VALU_DEP_1) | instskip(SKIP_2) | instid1(VALU_DEP_3)
	v_cndmask_b32_e64 v1, v1, v4, s0
	v_add_nc_u32_e32 v4, s2, v0
	v_add_nc_u32_e32 v0, 0x100, v0
	v_and_b32_e32 v1, 1, v1
	global_store_b8 v4, v1, s[4:5]
	s_wait_xcnt 0x0
	s_or_b32 exec_lo, exec_lo, s3
	s_delay_alu instid0(SALU_CYCLE_1)
	s_mov_b32 s3, exec_lo
	v_cmpx_gt_i32_e64 s1, v0
	s_cbranch_execz .LBB96_38
.LBB96_55:
	s_wait_loadcnt 0x0
	v_cmp_eq_f32_e32 vcc_lo, v12, v13
	v_cndmask_b32_e64 v1, 0, 1, vcc_lo
	v_cmp_neq_f32_e32 vcc_lo, v12, v13
	v_cndmask_b32_e64 v4, 0, 1, vcc_lo
	s_delay_alu instid0(VALU_DEP_1) | instskip(SKIP_1) | instid1(VALU_DEP_2)
	v_dual_cndmask_b32 v1, v4, v1, s0 :: v_dual_add_nc_u32 v4, s2, v0
	v_add_nc_u32_e32 v0, 0x100, v0
	v_and_b32_e32 v1, 1, v1
	global_store_b8 v4, v1, s[4:5]
	s_wait_xcnt 0x0
	s_or_b32 exec_lo, exec_lo, s3
	s_delay_alu instid0(SALU_CYCLE_1)
	s_mov_b32 s3, exec_lo
	v_cmpx_gt_i32_e64 s1, v0
	s_cbranch_execz .LBB96_39
.LBB96_56:
	s_wait_loadcnt 0x0
	v_cmp_eq_f32_e32 vcc_lo, v2, v15
	v_cndmask_b32_e64 v1, 0, 1, vcc_lo
	v_cmp_neq_f32_e32 vcc_lo, v2, v15
	v_cndmask_b32_e64 v2, 0, 1, vcc_lo
	s_delay_alu instid0(VALU_DEP_1) | instskip(SKIP_1) | instid1(VALU_DEP_2)
	v_dual_cndmask_b32 v1, v2, v1, s0 :: v_dual_add_nc_u32 v2, s2, v0
	v_add_nc_u32_e32 v0, 0x100, v0
	v_and_b32_e32 v1, 1, v1
	global_store_b8 v2, v1, s[4:5]
	s_wait_xcnt 0x0
	s_or_b32 exec_lo, exec_lo, s3
	s_delay_alu instid0(SALU_CYCLE_1)
	s_mov_b32 s3, exec_lo
	v_cmpx_gt_i32_e64 s1, v0
	s_cbranch_execz .LBB96_40
.LBB96_57:
	s_wait_loadcnt 0x0
	v_cmp_eq_f32_e32 vcc_lo, v16, v17
	v_cndmask_b32_e64 v1, 0, 1, vcc_lo
	v_cmp_neq_f32_e32 vcc_lo, v16, v17
	v_cndmask_b32_e64 v2, 0, 1, vcc_lo
	s_delay_alu instid0(VALU_DEP_1) | instskip(SKIP_1) | instid1(VALU_DEP_2)
	v_dual_cndmask_b32 v1, v2, v1, s0 :: v_dual_add_nc_u32 v2, s2, v0
	v_add_nc_u32_e32 v0, 0x100, v0
	v_and_b32_e32 v1, 1, v1
	global_store_b8 v2, v1, s[4:5]
	s_wait_xcnt 0x0
	s_or_b32 exec_lo, exec_lo, s3
	s_delay_alu instid0(SALU_CYCLE_1)
	s_mov_b32 s3, exec_lo
	v_cmpx_gt_i32_e64 s1, v0
	s_cbranch_execz .LBB96_41
.LBB96_58:
	s_wait_loadcnt 0x0
	v_cmp_eq_f32_e32 vcc_lo, v3, v19
	v_cndmask_b32_e64 v1, 0, 1, vcc_lo
	v_cmp_neq_f32_e32 vcc_lo, v3, v19
	v_cndmask_b32_e64 v2, 0, 1, vcc_lo
	s_delay_alu instid0(VALU_DEP_1) | instskip(SKIP_1) | instid1(VALU_DEP_2)
	v_dual_cndmask_b32 v1, v2, v1, s0 :: v_dual_add_nc_u32 v2, s2, v0
	v_add_nc_u32_e32 v0, 0x100, v0
	v_and_b32_e32 v1, 1, v1
	global_store_b8 v2, v1, s[4:5]
	s_wait_xcnt 0x0
	s_or_b32 exec_lo, exec_lo, s3
	s_delay_alu instid0(SALU_CYCLE_1)
	s_mov_b32 s3, exec_lo
	v_cmpx_gt_i32_e64 s1, v0
	s_cbranch_execz .LBB96_42
.LBB96_59:
	s_wait_loadcnt 0x0
	v_cmp_eq_f32_e32 vcc_lo, v20, v21
	v_cndmask_b32_e64 v1, 0, 1, vcc_lo
	v_cmp_neq_f32_e32 vcc_lo, v20, v21
	v_cndmask_b32_e64 v2, 0, 1, vcc_lo
	s_delay_alu instid0(VALU_DEP_1) | instskip(SKIP_1) | instid1(VALU_DEP_2)
	v_dual_cndmask_b32 v1, v2, v1, s0 :: v_dual_add_nc_u32 v2, s2, v0
	v_add_nc_u32_e32 v0, 0x100, v0
	v_and_b32_e32 v1, 1, v1
	global_store_b8 v2, v1, s[4:5]
	s_wait_xcnt 0x0
	s_or_b32 exec_lo, exec_lo, s3
	s_delay_alu instid0(SALU_CYCLE_1)
	s_mov_b32 s3, exec_lo
	v_cmpx_gt_i32_e64 s1, v0
	s_cbranch_execz .LBB96_43
.LBB96_60:
	s_wait_loadcnt 0x0
	v_cmp_eq_f32_e32 vcc_lo, v6, v22
	v_cndmask_b32_e64 v1, 0, 1, vcc_lo
	v_cmp_neq_f32_e32 vcc_lo, v6, v22
	v_cndmask_b32_e64 v2, 0, 1, vcc_lo
	s_delay_alu instid0(VALU_DEP_1) | instskip(SKIP_1) | instid1(VALU_DEP_2)
	v_dual_cndmask_b32 v1, v2, v1, s0 :: v_dual_add_nc_u32 v2, s2, v0
	v_add_nc_u32_e32 v0, 0x100, v0
	v_and_b32_e32 v1, 1, v1
	global_store_b8 v2, v1, s[4:5]
	s_wait_xcnt 0x0
	s_or_b32 exec_lo, exec_lo, s3
	s_delay_alu instid0(SALU_CYCLE_1)
	s_mov_b32 s3, exec_lo
	v_cmpx_gt_i32_e64 s1, v0
	s_cbranch_execz .LBB96_44
.LBB96_61:
	s_wait_loadcnt 0x0
	v_cmp_eq_f32_e32 vcc_lo, v23, v24
	v_cndmask_b32_e64 v1, 0, 1, vcc_lo
	v_cmp_neq_f32_e32 vcc_lo, v23, v24
	v_cndmask_b32_e64 v2, 0, 1, vcc_lo
	s_delay_alu instid0(VALU_DEP_1) | instskip(SKIP_1) | instid1(VALU_DEP_2)
	v_dual_cndmask_b32 v1, v2, v1, s0 :: v_dual_add_nc_u32 v2, s2, v0
	v_add_nc_u32_e32 v0, 0x100, v0
	v_and_b32_e32 v1, 1, v1
	global_store_b8 v2, v1, s[4:5]
	s_wait_xcnt 0x0
	s_or_b32 exec_lo, exec_lo, s3
	s_delay_alu instid0(SALU_CYCLE_1)
	s_mov_b32 s3, exec_lo
	v_cmpx_gt_i32_e64 s1, v0
	s_cbranch_execz .LBB96_45
.LBB96_62:
	s_wait_loadcnt 0x0
	v_cmp_eq_f32_e32 vcc_lo, v7, v25
	v_cndmask_b32_e64 v1, 0, 1, vcc_lo
	v_cmp_neq_f32_e32 vcc_lo, v7, v25
	v_cndmask_b32_e64 v2, 0, 1, vcc_lo
	s_delay_alu instid0(VALU_DEP_1) | instskip(SKIP_1) | instid1(VALU_DEP_2)
	v_dual_cndmask_b32 v1, v2, v1, s0 :: v_dual_add_nc_u32 v2, s2, v0
	v_add_nc_u32_e32 v0, 0x100, v0
	v_and_b32_e32 v1, 1, v1
	global_store_b8 v2, v1, s[4:5]
	s_wait_xcnt 0x0
	s_or_b32 exec_lo, exec_lo, s3
	s_delay_alu instid0(SALU_CYCLE_1)
	s_mov_b32 s3, exec_lo
	v_cmpx_gt_i32_e64 s1, v0
	s_cbranch_execz .LBB96_46
.LBB96_63:
	s_wait_loadcnt 0x0
	v_cmp_eq_f32_e32 vcc_lo, v26, v27
	v_cndmask_b32_e64 v1, 0, 1, vcc_lo
	v_cmp_neq_f32_e32 vcc_lo, v26, v27
	v_cndmask_b32_e64 v2, 0, 1, vcc_lo
	s_delay_alu instid0(VALU_DEP_1) | instskip(SKIP_1) | instid1(VALU_DEP_2)
	v_dual_cndmask_b32 v1, v2, v1, s0 :: v_dual_add_nc_u32 v2, s2, v0
	v_add_nc_u32_e32 v0, 0x100, v0
	v_and_b32_e32 v1, 1, v1
	global_store_b8 v2, v1, s[4:5]
	s_wait_xcnt 0x0
	s_or_b32 exec_lo, exec_lo, s3
	s_delay_alu instid0(SALU_CYCLE_1)
	s_mov_b32 s3, exec_lo
	v_cmpx_gt_i32_e64 s1, v0
	s_cbranch_execz .LBB96_47
.LBB96_64:
	s_wait_loadcnt 0x0
	v_cmp_eq_f32_e32 vcc_lo, v10, v28
	v_cndmask_b32_e64 v1, 0, 1, vcc_lo
	v_cmp_neq_f32_e32 vcc_lo, v10, v28
	v_cndmask_b32_e64 v2, 0, 1, vcc_lo
	s_delay_alu instid0(VALU_DEP_1) | instskip(SKIP_1) | instid1(VALU_DEP_2)
	v_dual_cndmask_b32 v1, v2, v1, s0 :: v_dual_add_nc_u32 v2, s2, v0
	v_add_nc_u32_e32 v0, 0x100, v0
	v_and_b32_e32 v1, 1, v1
	global_store_b8 v2, v1, s[4:5]
	s_wait_xcnt 0x0
	s_or_b32 exec_lo, exec_lo, s3
	s_delay_alu instid0(SALU_CYCLE_1)
	s_mov_b32 s3, exec_lo
	v_cmpx_gt_i32_e64 s1, v0
	s_cbranch_execz .LBB96_48
.LBB96_65:
	s_wait_loadcnt 0x0
	v_cmp_eq_f32_e32 vcc_lo, v29, v30
	v_cndmask_b32_e64 v1, 0, 1, vcc_lo
	v_cmp_neq_f32_e32 vcc_lo, v29, v30
	v_cndmask_b32_e64 v2, 0, 1, vcc_lo
	s_delay_alu instid0(VALU_DEP_1) | instskip(SKIP_1) | instid1(VALU_DEP_2)
	v_dual_cndmask_b32 v1, v2, v1, s0 :: v_dual_add_nc_u32 v2, s2, v0
	v_add_nc_u32_e32 v0, 0x100, v0
	v_and_b32_e32 v1, 1, v1
	global_store_b8 v2, v1, s[4:5]
	s_wait_xcnt 0x0
	s_or_b32 exec_lo, exec_lo, s3
	s_delay_alu instid0(SALU_CYCLE_1)
	s_mov_b32 s3, exec_lo
	v_cmpx_gt_i32_e64 s1, v0
	s_cbranch_execz .LBB96_49
.LBB96_66:
	s_wait_loadcnt 0x0
	v_cmp_eq_f32_e32 vcc_lo, v14, v31
	v_cndmask_b32_e64 v1, 0, 1, vcc_lo
	v_cmp_neq_f32_e32 vcc_lo, v14, v31
	v_cndmask_b32_e64 v2, 0, 1, vcc_lo
	s_delay_alu instid0(VALU_DEP_1) | instskip(SKIP_1) | instid1(VALU_DEP_2)
	v_dual_cndmask_b32 v1, v2, v1, s0 :: v_dual_add_nc_u32 v2, s2, v0
	v_add_nc_u32_e32 v0, 0x100, v0
	v_and_b32_e32 v1, 1, v1
	global_store_b8 v2, v1, s[4:5]
	s_wait_xcnt 0x0
	s_or_b32 exec_lo, exec_lo, s3
	s_delay_alu instid0(SALU_CYCLE_1)
	s_mov_b32 s3, exec_lo
	v_cmpx_gt_i32_e64 s1, v0
	s_cbranch_execz .LBB96_50
.LBB96_67:
	s_wait_loadcnt 0x0
	v_cmp_eq_f32_e32 vcc_lo, v32, v33
	v_cndmask_b32_e64 v1, 0, 1, vcc_lo
	v_cmp_neq_f32_e32 vcc_lo, v32, v33
	v_cndmask_b32_e64 v2, 0, 1, vcc_lo
	s_delay_alu instid0(VALU_DEP_1) | instskip(SKIP_1) | instid1(VALU_DEP_2)
	v_dual_cndmask_b32 v1, v2, v1, s0 :: v_dual_add_nc_u32 v2, s2, v0
	v_add_nc_u32_e32 v0, 0x100, v0
	v_and_b32_e32 v1, 1, v1
	global_store_b8 v2, v1, s[4:5]
	s_wait_xcnt 0x0
	s_or_b32 exec_lo, exec_lo, s3
	v_cmp_gt_i32_e32 vcc_lo, s1, v0
	s_and_saveexec_b32 s1, vcc_lo
	s_cbranch_execnz .LBB96_51
	s_branch .LBB96_52
	.section	.rodata,"a",@progbits
	.p2align	6, 0x0
	.amdhsa_kernel _ZN2at6native29vectorized_elementwise_kernelILi16ENS0_13BinaryFunctorIffbNS0_12_GLOBAL__N_116CompareEqFunctorIfEEEESt5arrayIPcLm3EEEEviT0_T1_
		.amdhsa_group_segment_fixed_size 0
		.amdhsa_private_segment_fixed_size 0
		.amdhsa_kernarg_size 32
		.amdhsa_user_sgpr_count 2
		.amdhsa_user_sgpr_dispatch_ptr 0
		.amdhsa_user_sgpr_queue_ptr 0
		.amdhsa_user_sgpr_kernarg_segment_ptr 1
		.amdhsa_user_sgpr_dispatch_id 0
		.amdhsa_user_sgpr_kernarg_preload_length 0
		.amdhsa_user_sgpr_kernarg_preload_offset 0
		.amdhsa_user_sgpr_private_segment_size 0
		.amdhsa_wavefront_size32 1
		.amdhsa_uses_dynamic_stack 0
		.amdhsa_enable_private_segment 0
		.amdhsa_system_sgpr_workgroup_id_x 1
		.amdhsa_system_sgpr_workgroup_id_y 0
		.amdhsa_system_sgpr_workgroup_id_z 0
		.amdhsa_system_sgpr_workgroup_info 0
		.amdhsa_system_vgpr_workitem_id 0
		.amdhsa_next_free_vgpr 36
		.amdhsa_next_free_sgpr 16
		.amdhsa_named_barrier_count 0
		.amdhsa_reserve_vcc 1
		.amdhsa_float_round_mode_32 0
		.amdhsa_float_round_mode_16_64 0
		.amdhsa_float_denorm_mode_32 3
		.amdhsa_float_denorm_mode_16_64 3
		.amdhsa_fp16_overflow 0
		.amdhsa_memory_ordered 1
		.amdhsa_forward_progress 1
		.amdhsa_inst_pref_size 32
		.amdhsa_round_robin_scheduling 0
		.amdhsa_exception_fp_ieee_invalid_op 0
		.amdhsa_exception_fp_denorm_src 0
		.amdhsa_exception_fp_ieee_div_zero 0
		.amdhsa_exception_fp_ieee_overflow 0
		.amdhsa_exception_fp_ieee_underflow 0
		.amdhsa_exception_fp_ieee_inexact 0
		.amdhsa_exception_int_div_zero 0
	.end_amdhsa_kernel
	.section	.text._ZN2at6native29vectorized_elementwise_kernelILi16ENS0_13BinaryFunctorIffbNS0_12_GLOBAL__N_116CompareEqFunctorIfEEEESt5arrayIPcLm3EEEEviT0_T1_,"axG",@progbits,_ZN2at6native29vectorized_elementwise_kernelILi16ENS0_13BinaryFunctorIffbNS0_12_GLOBAL__N_116CompareEqFunctorIfEEEESt5arrayIPcLm3EEEEviT0_T1_,comdat
.Lfunc_end96:
	.size	_ZN2at6native29vectorized_elementwise_kernelILi16ENS0_13BinaryFunctorIffbNS0_12_GLOBAL__N_116CompareEqFunctorIfEEEESt5arrayIPcLm3EEEEviT0_T1_, .Lfunc_end96-_ZN2at6native29vectorized_elementwise_kernelILi16ENS0_13BinaryFunctorIffbNS0_12_GLOBAL__N_116CompareEqFunctorIfEEEESt5arrayIPcLm3EEEEviT0_T1_
                                        ; -- End function
	.set _ZN2at6native29vectorized_elementwise_kernelILi16ENS0_13BinaryFunctorIffbNS0_12_GLOBAL__N_116CompareEqFunctorIfEEEESt5arrayIPcLm3EEEEviT0_T1_.num_vgpr, 36
	.set _ZN2at6native29vectorized_elementwise_kernelILi16ENS0_13BinaryFunctorIffbNS0_12_GLOBAL__N_116CompareEqFunctorIfEEEESt5arrayIPcLm3EEEEviT0_T1_.num_agpr, 0
	.set _ZN2at6native29vectorized_elementwise_kernelILi16ENS0_13BinaryFunctorIffbNS0_12_GLOBAL__N_116CompareEqFunctorIfEEEESt5arrayIPcLm3EEEEviT0_T1_.numbered_sgpr, 16
	.set _ZN2at6native29vectorized_elementwise_kernelILi16ENS0_13BinaryFunctorIffbNS0_12_GLOBAL__N_116CompareEqFunctorIfEEEESt5arrayIPcLm3EEEEviT0_T1_.num_named_barrier, 0
	.set _ZN2at6native29vectorized_elementwise_kernelILi16ENS0_13BinaryFunctorIffbNS0_12_GLOBAL__N_116CompareEqFunctorIfEEEESt5arrayIPcLm3EEEEviT0_T1_.private_seg_size, 0
	.set _ZN2at6native29vectorized_elementwise_kernelILi16ENS0_13BinaryFunctorIffbNS0_12_GLOBAL__N_116CompareEqFunctorIfEEEESt5arrayIPcLm3EEEEviT0_T1_.uses_vcc, 1
	.set _ZN2at6native29vectorized_elementwise_kernelILi16ENS0_13BinaryFunctorIffbNS0_12_GLOBAL__N_116CompareEqFunctorIfEEEESt5arrayIPcLm3EEEEviT0_T1_.uses_flat_scratch, 0
	.set _ZN2at6native29vectorized_elementwise_kernelILi16ENS0_13BinaryFunctorIffbNS0_12_GLOBAL__N_116CompareEqFunctorIfEEEESt5arrayIPcLm3EEEEviT0_T1_.has_dyn_sized_stack, 0
	.set _ZN2at6native29vectorized_elementwise_kernelILi16ENS0_13BinaryFunctorIffbNS0_12_GLOBAL__N_116CompareEqFunctorIfEEEESt5arrayIPcLm3EEEEviT0_T1_.has_recursion, 0
	.set _ZN2at6native29vectorized_elementwise_kernelILi16ENS0_13BinaryFunctorIffbNS0_12_GLOBAL__N_116CompareEqFunctorIfEEEESt5arrayIPcLm3EEEEviT0_T1_.has_indirect_call, 0
	.section	.AMDGPU.csdata,"",@progbits
; Kernel info:
; codeLenInByte = 4024
; TotalNumSgprs: 18
; NumVgprs: 36
; ScratchSize: 0
; MemoryBound: 0
; FloatMode: 240
; IeeeMode: 1
; LDSByteSize: 0 bytes/workgroup (compile time only)
; SGPRBlocks: 0
; VGPRBlocks: 2
; NumSGPRsForWavesPerEU: 18
; NumVGPRsForWavesPerEU: 36
; NamedBarCnt: 0
; Occupancy: 16
; WaveLimiterHint : 0
; COMPUTE_PGM_RSRC2:SCRATCH_EN: 0
; COMPUTE_PGM_RSRC2:USER_SGPR: 2
; COMPUTE_PGM_RSRC2:TRAP_HANDLER: 0
; COMPUTE_PGM_RSRC2:TGID_X_EN: 1
; COMPUTE_PGM_RSRC2:TGID_Y_EN: 0
; COMPUTE_PGM_RSRC2:TGID_Z_EN: 0
; COMPUTE_PGM_RSRC2:TIDIG_COMP_CNT: 0
	.section	.text._ZN2at6native29vectorized_elementwise_kernelILi8ENS0_13BinaryFunctorIffbNS0_12_GLOBAL__N_116CompareEqFunctorIfEEEESt5arrayIPcLm3EEEEviT0_T1_,"axG",@progbits,_ZN2at6native29vectorized_elementwise_kernelILi8ENS0_13BinaryFunctorIffbNS0_12_GLOBAL__N_116CompareEqFunctorIfEEEESt5arrayIPcLm3EEEEviT0_T1_,comdat
	.globl	_ZN2at6native29vectorized_elementwise_kernelILi8ENS0_13BinaryFunctorIffbNS0_12_GLOBAL__N_116CompareEqFunctorIfEEEESt5arrayIPcLm3EEEEviT0_T1_ ; -- Begin function _ZN2at6native29vectorized_elementwise_kernelILi8ENS0_13BinaryFunctorIffbNS0_12_GLOBAL__N_116CompareEqFunctorIfEEEESt5arrayIPcLm3EEEEviT0_T1_
	.p2align	8
	.type	_ZN2at6native29vectorized_elementwise_kernelILi8ENS0_13BinaryFunctorIffbNS0_12_GLOBAL__N_116CompareEqFunctorIfEEEESt5arrayIPcLm3EEEEviT0_T1_,@function
_ZN2at6native29vectorized_elementwise_kernelILi8ENS0_13BinaryFunctorIffbNS0_12_GLOBAL__N_116CompareEqFunctorIfEEEESt5arrayIPcLm3EEEEviT0_T1_: ; @_ZN2at6native29vectorized_elementwise_kernelILi8ENS0_13BinaryFunctorIffbNS0_12_GLOBAL__N_116CompareEqFunctorIfEEEESt5arrayIPcLm3EEEEviT0_T1_
; %bb.0:
	s_clause 0x2
	s_load_b64 s[8:9], s[0:1], 0x0
	s_load_b128 s[4:7], s[0:1], 0x8
	s_load_b64 s[10:11], s[0:1], 0x18
	s_wait_xcnt 0x0
	s_bfe_u32 s0, ttmp6, 0x4000c
	s_and_b32 s1, ttmp6, 15
	s_add_co_i32 s0, s0, 1
	s_getreg_b32 s2, hwreg(HW_REG_IB_STS2, 6, 4)
	s_mul_i32 s0, ttmp9, s0
	s_delay_alu instid0(SALU_CYCLE_1) | instskip(SKIP_2) | instid1(SALU_CYCLE_1)
	s_add_co_i32 s1, s1, s0
	s_cmp_eq_u32 s2, 0
	s_cselect_b32 s0, ttmp9, s1
	s_lshl_b32 s2, s0, 12
	s_mov_b32 s0, -1
	s_wait_kmcnt 0x0
	s_sub_co_i32 s1, s8, s2
	s_delay_alu instid0(SALU_CYCLE_1)
	s_cmp_gt_i32 s1, 0xfff
	s_cbranch_scc0 .LBB97_2
; %bb.1:
	s_ashr_i32 s3, s2, 31
	v_lshlrev_b32_e32 v1, 5, v0
	s_lshl_b64 s[12:13], s[2:3], 2
	s_cmp_eq_u32 s9, 0
	s_add_nc_u64 s[14:15], s[10:11], s[12:13]
	s_add_nc_u64 s[12:13], s[6:7], s[12:13]
	s_clause 0x7
	global_load_b128 v[2:5], v1, s[14:15]
	global_load_b128 v[6:9], v1, s[12:13]
	global_load_b128 v[10:13], v1, s[12:13] offset:16
	global_load_b128 v[14:17], v1, s[14:15] offset:16
	;; [unrolled: 1-line block ×6, first 2 shown]
	s_wait_xcnt 0x0
	v_or3_b32 v1, 0, 0, 0
	s_add_nc_u64 s[12:13], s[4:5], s[2:3]
	s_mov_b32 s0, 0
	s_wait_loadcnt 0x6
	v_cmp_eq_f32_e32 vcc_lo, v6, v2
	v_cndmask_b32_e64 v34, 0, 1, vcc_lo
	v_cmp_neq_f32_e32 vcc_lo, v6, v2
	v_cndmask_b32_e64 v2, 0, 1, vcc_lo
	v_cmp_eq_f32_e32 vcc_lo, v7, v3
	v_cndmask_b32_e64 v6, 0, 1, vcc_lo
	v_cmp_neq_f32_e32 vcc_lo, v7, v3
	v_cndmask_b32_e64 v3, 0, 1, vcc_lo
	v_cmp_eq_f32_e32 vcc_lo, v8, v4
	v_cndmask_b32_e64 v7, 0, 1, vcc_lo
	v_cmp_neq_f32_e32 vcc_lo, v8, v4
	v_cndmask_b32_e64 v4, 0, 1, vcc_lo
	v_cmp_eq_f32_e32 vcc_lo, v9, v5
	v_cndmask_b32_e64 v8, 0, 1, vcc_lo
	v_cmp_neq_f32_e32 vcc_lo, v9, v5
	v_cndmask_b32_e64 v5, 0, 1, vcc_lo
	s_wait_loadcnt 0x4
	v_cmp_eq_f32_e32 vcc_lo, v10, v14
	v_cndmask_b32_e64 v9, 0, 1, vcc_lo
	v_cmp_neq_f32_e32 vcc_lo, v10, v14
	v_cndmask_b32_e64 v10, 0, 1, vcc_lo
	v_cmp_eq_f32_e32 vcc_lo, v11, v15
	v_cndmask_b32_e64 v14, 0, 1, vcc_lo
	v_cmp_neq_f32_e32 vcc_lo, v11, v15
	v_cndmask_b32_e64 v11, 0, 1, vcc_lo
	v_cmp_eq_f32_e32 vcc_lo, v12, v16
	v_cndmask_b32_e64 v15, 0, 1, vcc_lo
	v_cmp_neq_f32_e32 vcc_lo, v12, v16
	v_cndmask_b32_e64 v12, 0, 1, vcc_lo
	v_cmp_eq_f32_e32 vcc_lo, v13, v17
	v_cndmask_b32_e64 v16, 0, 1, vcc_lo
	v_cmp_neq_f32_e32 vcc_lo, v13, v17
	v_cndmask_b32_e64 v13, 0, 1, vcc_lo
	;; [unrolled: 17-line block ×4, first 2 shown]
	s_cselect_b32 vcc_lo, -1, 0
	v_dual_cndmask_b32 v3, v3, v6 :: v_dual_cndmask_b32 v4, v4, v7
	v_dual_cndmask_b32 v2, v2, v34 :: v_dual_cndmask_b32 v5, v5, v8
	s_delay_alu instid0(VALU_DEP_2)
	v_dual_cndmask_b32 v6, v10, v9, vcc_lo :: v_dual_bitop2_b32 v3, 1, v3 bitop3:0x40
	v_dual_cndmask_b32 v7, v11, v14 :: v_dual_cndmask_b32 v8, v12, v15
	v_dual_cndmask_b32 v9, v13, v16 :: v_dual_cndmask_b32 v10, v18, v17
	;; [unrolled: 1-line block ×5, first 2 shown]
	v_dual_cndmask_b32 v17, v29, v32, vcc_lo :: v_dual_bitop2_b32 v2, 1, v2 bitop3:0x40
	v_and_b32_e32 v4, 1, v4
	v_cmp_eq_u32_e32 vcc_lo, 1, v3
	v_and_b32_e32 v5, 1, v5
	v_and_b32_e32 v6, 1, v6
	v_and_b32_e32 v7, 1, v7
	v_and_b32_e32 v8, 1, v8
	v_cndmask_b32_e64 v3, 0, 0x100, vcc_lo
	v_cmp_eq_u32_e32 vcc_lo, 1, v4
	v_and_b32_e32 v9, 1, v9
	v_and_b32_e32 v11, 1, v11
	v_and_b32_e32 v12, 1, v12
	v_and_b32_e32 v13, 1, v13
	v_cndmask_b32_e64 v4, 0, 0x10000, vcc_lo
	v_cmp_eq_u32_e32 vcc_lo, 1, v5
	v_and_b32_e32 v14, 1, v14
	v_and_b32_e32 v15, 1, v15
	v_and_b32_e32 v10, 1, v10
	v_and_b32_e32 v16, 1, v16
	v_cndmask_b32_e64 v5, 0, 0x1000000, vcc_lo
	v_cmp_eq_u32_e32 vcc_lo, 1, v6
	v_or_b32_e32 v2, v3, v2
	v_and_b32_e32 v17, 1, v17
	v_cndmask_b32_e64 v6, 0, 1, vcc_lo
	v_cmp_eq_u32_e32 vcc_lo, 1, v7
	s_delay_alu instid0(VALU_DEP_4) | instskip(SKIP_2) | instid1(VALU_DEP_3)
	v_or3_b32 v2, v2, v4, v5
	v_cndmask_b32_e64 v7, 0, 0x100, vcc_lo
	v_cmp_eq_u32_e32 vcc_lo, 1, v8
	v_or3_b32 v2, v2, 0, 0
	s_delay_alu instid0(VALU_DEP_3) | instskip(SKIP_2) | instid1(VALU_DEP_4)
	v_or3_b32 v5, v1, v6, v7
	v_cndmask_b32_e64 v8, 0, 0x10000, vcc_lo
	v_cmp_eq_u32_e32 vcc_lo, 1, v9
	v_or3_b32 v2, v2, 0, 0
	v_cndmask_b32_e64 v9, 0, 0x1000000, vcc_lo
	v_cmp_eq_u32_e32 vcc_lo, 1, v11
	v_cndmask_b32_e64 v11, 0, 0x100, vcc_lo
	v_cmp_eq_u32_e32 vcc_lo, 1, v12
	s_delay_alu instid0(VALU_DEP_2) | instskip(SKIP_4) | instid1(VALU_DEP_2)
	v_or_b32_e32 v3, v11, v10
	v_cndmask_b32_e64 v12, 0, 0x10000, vcc_lo
	v_cmp_eq_u32_e32 vcc_lo, 1, v13
	v_cndmask_b32_e64 v13, 0, 0x1000000, vcc_lo
	v_cmp_eq_u32_e32 vcc_lo, 1, v14
	v_or3_b32 v3, v3, v12, v13
	v_cndmask_b32_e64 v14, 0, 1, vcc_lo
	v_cmp_eq_u32_e32 vcc_lo, 1, v15
	s_delay_alu instid0(VALU_DEP_3) | instskip(SKIP_3) | instid1(VALU_DEP_2)
	v_or3_b32 v6, v3, 0, 0
	v_or3_b32 v3, v5, v8, v9
	v_cndmask_b32_e64 v10, 0, 0x100, vcc_lo
	v_cmp_eq_u32_e32 vcc_lo, 1, v16
	v_or3_b32 v1, v1, v14, v10
	v_cndmask_b32_e64 v11, 0, 0x10000, vcc_lo
	v_cmp_eq_u32_e32 vcc_lo, 1, v17
	v_cndmask_b32_e64 v4, 0, 0x1000000, vcc_lo
	s_delay_alu instid0(VALU_DEP_1)
	v_or3_b32 v5, v1, v11, v4
	v_or3_b32 v4, v6, 0, 0
	s_clause 0x1
	global_store_b64 v0, v[2:3], s[12:13] scale_offset
	global_store_b64 v0, v[4:5], s[12:13] offset:2048 scale_offset
.LBB97_2:
	s_and_not1_b32 vcc_lo, exec_lo, s0
	s_cbranch_vccnz .LBB97_52
; %bb.3:
	v_cmp_gt_i32_e32 vcc_lo, s1, v0
	s_wait_xcnt 0x0
	v_dual_mov_b32 v1, 0 :: v_dual_bitop2_b32 v4, s2, v0 bitop3:0x54
	v_or_b32_e32 v5, 0x100, v0
	v_dual_mov_b32 v8, 0 :: v_dual_mov_b32 v9, 0
	v_mov_b32_e32 v35, v0
	s_and_saveexec_b32 s0, vcc_lo
	s_cbranch_execz .LBB97_5
; %bb.4:
	s_clause 0x1
	global_load_b32 v8, v4, s[6:7] scale_offset
	global_load_b32 v9, v4, s[10:11] scale_offset
	v_or_b32_e32 v35, 0x100, v0
.LBB97_5:
	s_wait_xcnt 0x0
	s_or_b32 exec_lo, exec_lo, s0
	v_mov_b32_e32 v11, 0
	s_mov_b32 s3, exec_lo
	v_cmpx_gt_i32_e64 s1, v35
	s_cbranch_execz .LBB97_7
; %bb.6:
	v_add_nc_u32_e32 v2, s2, v35
	v_add_nc_u32_e32 v35, 0x100, v35
	s_clause 0x1
	global_load_b32 v1, v2, s[6:7] scale_offset
	global_load_b32 v11, v2, s[10:11] scale_offset
.LBB97_7:
	s_wait_xcnt 0x0
	s_or_b32 exec_lo, exec_lo, s3
	v_dual_mov_b32 v2, 0 :: v_dual_mov_b32 v12, 0
	v_mov_b32_e32 v13, 0
	s_mov_b32 s3, exec_lo
	v_cmpx_gt_i32_e64 s1, v35
	s_cbranch_execz .LBB97_9
; %bb.8:
	v_add_nc_u32_e32 v3, s2, v35
	v_add_nc_u32_e32 v35, 0x100, v35
	s_clause 0x1
	global_load_b32 v12, v3, s[6:7] scale_offset
	global_load_b32 v13, v3, s[10:11] scale_offset
.LBB97_9:
	s_wait_xcnt 0x0
	s_or_b32 exec_lo, exec_lo, s3
	v_mov_b32_e32 v15, 0
	s_mov_b32 s3, exec_lo
	v_cmpx_gt_i32_e64 s1, v35
	s_cbranch_execz .LBB97_11
; %bb.10:
	v_add_nc_u32_e32 v3, s2, v35
	v_add_nc_u32_e32 v35, 0x100, v35
	s_clause 0x1
	global_load_b32 v2, v3, s[6:7] scale_offset
	global_load_b32 v15, v3, s[10:11] scale_offset
.LBB97_11:
	s_wait_xcnt 0x0
	s_or_b32 exec_lo, exec_lo, s3
	v_dual_mov_b32 v3, 0 :: v_dual_mov_b32 v16, 0
	v_mov_b32_e32 v17, 0
	s_mov_b32 s3, exec_lo
	v_cmpx_gt_i32_e64 s1, v35
	s_cbranch_execz .LBB97_13
; %bb.12:
	v_add_nc_u32_e32 v6, s2, v35
	v_add_nc_u32_e32 v35, 0x100, v35
	s_clause 0x1
	global_load_b32 v16, v6, s[6:7] scale_offset
	global_load_b32 v17, v6, s[10:11] scale_offset
.LBB97_13:
	;; [unrolled: 27-line block ×7, first 2 shown]
	s_wait_xcnt 0x0
	s_or_b32 exec_lo, exec_lo, s3
	v_mov_b32_e32 v34, 0
	s_mov_b32 s3, exec_lo
	v_cmpx_gt_i32_e64 s1, v35
	s_cbranch_execz .LBB97_35
; %bb.34:
	v_add_nc_u32_e32 v35, s2, v35
	s_clause 0x1
	global_load_b32 v18, v35, s[6:7] scale_offset
	global_load_b32 v34, v35, s[10:11] scale_offset
.LBB97_35:
	s_wait_xcnt 0x0
	s_or_b32 exec_lo, exec_lo, s3
	s_cmp_eq_u32 s9, 0
	s_cselect_b32 s0, -1, 0
	s_and_saveexec_b32 s3, vcc_lo
	s_cbranch_execnz .LBB97_53
; %bb.36:
	s_or_b32 exec_lo, exec_lo, s3
	s_delay_alu instid0(SALU_CYCLE_1)
	s_mov_b32 s3, exec_lo
	v_cmpx_gt_i32_e64 s1, v0
	s_cbranch_execnz .LBB97_54
.LBB97_37:
	s_or_b32 exec_lo, exec_lo, s3
	s_delay_alu instid0(SALU_CYCLE_1)
	s_mov_b32 s3, exec_lo
	v_cmpx_gt_i32_e64 s1, v0
	s_cbranch_execnz .LBB97_55
.LBB97_38:
	s_or_b32 exec_lo, exec_lo, s3
	s_delay_alu instid0(SALU_CYCLE_1)
	s_mov_b32 s3, exec_lo
	v_cmpx_gt_i32_e64 s1, v0
	s_cbranch_execnz .LBB97_56
.LBB97_39:
	s_or_b32 exec_lo, exec_lo, s3
	s_delay_alu instid0(SALU_CYCLE_1)
	s_mov_b32 s3, exec_lo
	v_cmpx_gt_i32_e64 s1, v0
	s_cbranch_execnz .LBB97_57
.LBB97_40:
	s_or_b32 exec_lo, exec_lo, s3
	s_delay_alu instid0(SALU_CYCLE_1)
	s_mov_b32 s3, exec_lo
	v_cmpx_gt_i32_e64 s1, v0
	s_cbranch_execnz .LBB97_58
.LBB97_41:
	s_or_b32 exec_lo, exec_lo, s3
	s_delay_alu instid0(SALU_CYCLE_1)
	s_mov_b32 s3, exec_lo
	v_cmpx_gt_i32_e64 s1, v0
	s_cbranch_execnz .LBB97_59
.LBB97_42:
	s_or_b32 exec_lo, exec_lo, s3
	s_delay_alu instid0(SALU_CYCLE_1)
	s_mov_b32 s3, exec_lo
	v_cmpx_gt_i32_e64 s1, v0
	s_cbranch_execnz .LBB97_60
.LBB97_43:
	s_or_b32 exec_lo, exec_lo, s3
	s_delay_alu instid0(SALU_CYCLE_1)
	s_mov_b32 s3, exec_lo
	v_cmpx_gt_i32_e64 s1, v0
	s_cbranch_execnz .LBB97_61
.LBB97_44:
	s_or_b32 exec_lo, exec_lo, s3
	s_delay_alu instid0(SALU_CYCLE_1)
	s_mov_b32 s3, exec_lo
	v_cmpx_gt_i32_e64 s1, v0
	s_cbranch_execnz .LBB97_62
.LBB97_45:
	s_or_b32 exec_lo, exec_lo, s3
	s_delay_alu instid0(SALU_CYCLE_1)
	s_mov_b32 s3, exec_lo
	v_cmpx_gt_i32_e64 s1, v0
	s_cbranch_execnz .LBB97_63
.LBB97_46:
	s_or_b32 exec_lo, exec_lo, s3
	s_delay_alu instid0(SALU_CYCLE_1)
	s_mov_b32 s3, exec_lo
	v_cmpx_gt_i32_e64 s1, v0
	s_cbranch_execnz .LBB97_64
.LBB97_47:
	s_or_b32 exec_lo, exec_lo, s3
	s_delay_alu instid0(SALU_CYCLE_1)
	s_mov_b32 s3, exec_lo
	v_cmpx_gt_i32_e64 s1, v0
	s_cbranch_execnz .LBB97_65
.LBB97_48:
	s_or_b32 exec_lo, exec_lo, s3
	s_delay_alu instid0(SALU_CYCLE_1)
	s_mov_b32 s3, exec_lo
	v_cmpx_gt_i32_e64 s1, v0
	s_cbranch_execnz .LBB97_66
.LBB97_49:
	s_or_b32 exec_lo, exec_lo, s3
	s_delay_alu instid0(SALU_CYCLE_1)
	s_mov_b32 s3, exec_lo
	v_cmpx_gt_i32_e64 s1, v0
	s_cbranch_execnz .LBB97_67
.LBB97_50:
	s_or_b32 exec_lo, exec_lo, s3
	v_cmp_gt_i32_e32 vcc_lo, s1, v0
	s_and_saveexec_b32 s1, vcc_lo
	s_cbranch_execz .LBB97_52
.LBB97_51:
	s_wait_loadcnt 0x0
	v_cmp_eq_f32_e32 vcc_lo, v18, v34
	v_add_nc_u32_e32 v0, s2, v0
	v_cndmask_b32_e64 v1, 0, 1, vcc_lo
	v_cmp_neq_f32_e32 vcc_lo, v18, v34
	v_cndmask_b32_e64 v2, 0, 1, vcc_lo
	s_delay_alu instid0(VALU_DEP_1) | instskip(NEXT) | instid1(VALU_DEP_1)
	v_cndmask_b32_e64 v1, v2, v1, s0
	v_and_b32_e32 v1, 1, v1
	global_store_b8 v0, v1, s[4:5]
.LBB97_52:
	s_endpgm
.LBB97_53:
	s_wait_loadcnt 0x0
	v_cmp_eq_f32_e32 vcc_lo, v8, v9
	v_cndmask_b32_e64 v0, 0, 1, vcc_lo
	v_cmp_neq_f32_e32 vcc_lo, v8, v9
	v_cndmask_b32_e64 v8, 0, 1, vcc_lo
	s_delay_alu instid0(VALU_DEP_1) | instskip(NEXT) | instid1(VALU_DEP_1)
	v_cndmask_b32_e64 v0, v8, v0, s0
	v_dual_mov_b32 v0, v5 :: v_dual_bitop2_b32 v8, 1, v0 bitop3:0x40
	global_store_b8 v4, v8, s[4:5]
	s_wait_xcnt 0x0
	s_or_b32 exec_lo, exec_lo, s3
	s_delay_alu instid0(SALU_CYCLE_1)
	s_mov_b32 s3, exec_lo
	v_cmpx_gt_i32_e64 s1, v0
	s_cbranch_execz .LBB97_37
.LBB97_54:
	s_wait_loadcnt 0x0
	v_cmp_eq_f32_e32 vcc_lo, v1, v11
	v_cndmask_b32_e64 v4, 0, 1, vcc_lo
	v_cmp_neq_f32_e32 vcc_lo, v1, v11
	v_cndmask_b32_e64 v1, 0, 1, vcc_lo
	s_delay_alu instid0(VALU_DEP_1) | instskip(SKIP_2) | instid1(VALU_DEP_3)
	v_cndmask_b32_e64 v1, v1, v4, s0
	v_add_nc_u32_e32 v4, s2, v0
	v_add_nc_u32_e32 v0, 0x100, v0
	v_and_b32_e32 v1, 1, v1
	global_store_b8 v4, v1, s[4:5]
	s_wait_xcnt 0x0
	s_or_b32 exec_lo, exec_lo, s3
	s_delay_alu instid0(SALU_CYCLE_1)
	s_mov_b32 s3, exec_lo
	v_cmpx_gt_i32_e64 s1, v0
	s_cbranch_execz .LBB97_38
.LBB97_55:
	s_wait_loadcnt 0x0
	v_cmp_eq_f32_e32 vcc_lo, v12, v13
	v_cndmask_b32_e64 v1, 0, 1, vcc_lo
	v_cmp_neq_f32_e32 vcc_lo, v12, v13
	v_cndmask_b32_e64 v4, 0, 1, vcc_lo
	s_delay_alu instid0(VALU_DEP_1) | instskip(SKIP_1) | instid1(VALU_DEP_2)
	v_dual_cndmask_b32 v1, v4, v1, s0 :: v_dual_add_nc_u32 v4, s2, v0
	v_add_nc_u32_e32 v0, 0x100, v0
	v_and_b32_e32 v1, 1, v1
	global_store_b8 v4, v1, s[4:5]
	s_wait_xcnt 0x0
	s_or_b32 exec_lo, exec_lo, s3
	s_delay_alu instid0(SALU_CYCLE_1)
	s_mov_b32 s3, exec_lo
	v_cmpx_gt_i32_e64 s1, v0
	s_cbranch_execz .LBB97_39
.LBB97_56:
	s_wait_loadcnt 0x0
	v_cmp_eq_f32_e32 vcc_lo, v2, v15
	v_cndmask_b32_e64 v1, 0, 1, vcc_lo
	v_cmp_neq_f32_e32 vcc_lo, v2, v15
	v_cndmask_b32_e64 v2, 0, 1, vcc_lo
	s_delay_alu instid0(VALU_DEP_1) | instskip(SKIP_1) | instid1(VALU_DEP_2)
	v_dual_cndmask_b32 v1, v2, v1, s0 :: v_dual_add_nc_u32 v2, s2, v0
	v_add_nc_u32_e32 v0, 0x100, v0
	v_and_b32_e32 v1, 1, v1
	global_store_b8 v2, v1, s[4:5]
	s_wait_xcnt 0x0
	s_or_b32 exec_lo, exec_lo, s3
	s_delay_alu instid0(SALU_CYCLE_1)
	s_mov_b32 s3, exec_lo
	v_cmpx_gt_i32_e64 s1, v0
	s_cbranch_execz .LBB97_40
.LBB97_57:
	s_wait_loadcnt 0x0
	v_cmp_eq_f32_e32 vcc_lo, v16, v17
	v_cndmask_b32_e64 v1, 0, 1, vcc_lo
	v_cmp_neq_f32_e32 vcc_lo, v16, v17
	v_cndmask_b32_e64 v2, 0, 1, vcc_lo
	s_delay_alu instid0(VALU_DEP_1) | instskip(SKIP_1) | instid1(VALU_DEP_2)
	v_dual_cndmask_b32 v1, v2, v1, s0 :: v_dual_add_nc_u32 v2, s2, v0
	v_add_nc_u32_e32 v0, 0x100, v0
	v_and_b32_e32 v1, 1, v1
	global_store_b8 v2, v1, s[4:5]
	s_wait_xcnt 0x0
	s_or_b32 exec_lo, exec_lo, s3
	s_delay_alu instid0(SALU_CYCLE_1)
	s_mov_b32 s3, exec_lo
	v_cmpx_gt_i32_e64 s1, v0
	s_cbranch_execz .LBB97_41
.LBB97_58:
	s_wait_loadcnt 0x0
	v_cmp_eq_f32_e32 vcc_lo, v3, v19
	v_cndmask_b32_e64 v1, 0, 1, vcc_lo
	v_cmp_neq_f32_e32 vcc_lo, v3, v19
	v_cndmask_b32_e64 v2, 0, 1, vcc_lo
	s_delay_alu instid0(VALU_DEP_1) | instskip(SKIP_1) | instid1(VALU_DEP_2)
	v_dual_cndmask_b32 v1, v2, v1, s0 :: v_dual_add_nc_u32 v2, s2, v0
	v_add_nc_u32_e32 v0, 0x100, v0
	v_and_b32_e32 v1, 1, v1
	global_store_b8 v2, v1, s[4:5]
	s_wait_xcnt 0x0
	s_or_b32 exec_lo, exec_lo, s3
	s_delay_alu instid0(SALU_CYCLE_1)
	s_mov_b32 s3, exec_lo
	v_cmpx_gt_i32_e64 s1, v0
	s_cbranch_execz .LBB97_42
.LBB97_59:
	s_wait_loadcnt 0x0
	v_cmp_eq_f32_e32 vcc_lo, v20, v21
	v_cndmask_b32_e64 v1, 0, 1, vcc_lo
	v_cmp_neq_f32_e32 vcc_lo, v20, v21
	v_cndmask_b32_e64 v2, 0, 1, vcc_lo
	s_delay_alu instid0(VALU_DEP_1) | instskip(SKIP_1) | instid1(VALU_DEP_2)
	v_dual_cndmask_b32 v1, v2, v1, s0 :: v_dual_add_nc_u32 v2, s2, v0
	v_add_nc_u32_e32 v0, 0x100, v0
	v_and_b32_e32 v1, 1, v1
	global_store_b8 v2, v1, s[4:5]
	s_wait_xcnt 0x0
	s_or_b32 exec_lo, exec_lo, s3
	s_delay_alu instid0(SALU_CYCLE_1)
	s_mov_b32 s3, exec_lo
	v_cmpx_gt_i32_e64 s1, v0
	s_cbranch_execz .LBB97_43
.LBB97_60:
	s_wait_loadcnt 0x0
	v_cmp_eq_f32_e32 vcc_lo, v6, v22
	v_cndmask_b32_e64 v1, 0, 1, vcc_lo
	v_cmp_neq_f32_e32 vcc_lo, v6, v22
	v_cndmask_b32_e64 v2, 0, 1, vcc_lo
	s_delay_alu instid0(VALU_DEP_1) | instskip(SKIP_1) | instid1(VALU_DEP_2)
	v_dual_cndmask_b32 v1, v2, v1, s0 :: v_dual_add_nc_u32 v2, s2, v0
	v_add_nc_u32_e32 v0, 0x100, v0
	v_and_b32_e32 v1, 1, v1
	global_store_b8 v2, v1, s[4:5]
	s_wait_xcnt 0x0
	s_or_b32 exec_lo, exec_lo, s3
	s_delay_alu instid0(SALU_CYCLE_1)
	s_mov_b32 s3, exec_lo
	v_cmpx_gt_i32_e64 s1, v0
	s_cbranch_execz .LBB97_44
.LBB97_61:
	s_wait_loadcnt 0x0
	v_cmp_eq_f32_e32 vcc_lo, v23, v24
	v_cndmask_b32_e64 v1, 0, 1, vcc_lo
	v_cmp_neq_f32_e32 vcc_lo, v23, v24
	v_cndmask_b32_e64 v2, 0, 1, vcc_lo
	s_delay_alu instid0(VALU_DEP_1) | instskip(SKIP_1) | instid1(VALU_DEP_2)
	v_dual_cndmask_b32 v1, v2, v1, s0 :: v_dual_add_nc_u32 v2, s2, v0
	v_add_nc_u32_e32 v0, 0x100, v0
	v_and_b32_e32 v1, 1, v1
	global_store_b8 v2, v1, s[4:5]
	s_wait_xcnt 0x0
	s_or_b32 exec_lo, exec_lo, s3
	s_delay_alu instid0(SALU_CYCLE_1)
	s_mov_b32 s3, exec_lo
	v_cmpx_gt_i32_e64 s1, v0
	s_cbranch_execz .LBB97_45
.LBB97_62:
	s_wait_loadcnt 0x0
	v_cmp_eq_f32_e32 vcc_lo, v7, v25
	v_cndmask_b32_e64 v1, 0, 1, vcc_lo
	v_cmp_neq_f32_e32 vcc_lo, v7, v25
	v_cndmask_b32_e64 v2, 0, 1, vcc_lo
	s_delay_alu instid0(VALU_DEP_1) | instskip(SKIP_1) | instid1(VALU_DEP_2)
	v_dual_cndmask_b32 v1, v2, v1, s0 :: v_dual_add_nc_u32 v2, s2, v0
	v_add_nc_u32_e32 v0, 0x100, v0
	v_and_b32_e32 v1, 1, v1
	global_store_b8 v2, v1, s[4:5]
	s_wait_xcnt 0x0
	s_or_b32 exec_lo, exec_lo, s3
	s_delay_alu instid0(SALU_CYCLE_1)
	s_mov_b32 s3, exec_lo
	v_cmpx_gt_i32_e64 s1, v0
	s_cbranch_execz .LBB97_46
.LBB97_63:
	s_wait_loadcnt 0x0
	v_cmp_eq_f32_e32 vcc_lo, v26, v27
	v_cndmask_b32_e64 v1, 0, 1, vcc_lo
	v_cmp_neq_f32_e32 vcc_lo, v26, v27
	v_cndmask_b32_e64 v2, 0, 1, vcc_lo
	s_delay_alu instid0(VALU_DEP_1) | instskip(SKIP_1) | instid1(VALU_DEP_2)
	v_dual_cndmask_b32 v1, v2, v1, s0 :: v_dual_add_nc_u32 v2, s2, v0
	v_add_nc_u32_e32 v0, 0x100, v0
	v_and_b32_e32 v1, 1, v1
	global_store_b8 v2, v1, s[4:5]
	s_wait_xcnt 0x0
	s_or_b32 exec_lo, exec_lo, s3
	s_delay_alu instid0(SALU_CYCLE_1)
	s_mov_b32 s3, exec_lo
	v_cmpx_gt_i32_e64 s1, v0
	s_cbranch_execz .LBB97_47
.LBB97_64:
	s_wait_loadcnt 0x0
	v_cmp_eq_f32_e32 vcc_lo, v10, v28
	v_cndmask_b32_e64 v1, 0, 1, vcc_lo
	v_cmp_neq_f32_e32 vcc_lo, v10, v28
	v_cndmask_b32_e64 v2, 0, 1, vcc_lo
	s_delay_alu instid0(VALU_DEP_1) | instskip(SKIP_1) | instid1(VALU_DEP_2)
	v_dual_cndmask_b32 v1, v2, v1, s0 :: v_dual_add_nc_u32 v2, s2, v0
	v_add_nc_u32_e32 v0, 0x100, v0
	v_and_b32_e32 v1, 1, v1
	global_store_b8 v2, v1, s[4:5]
	s_wait_xcnt 0x0
	s_or_b32 exec_lo, exec_lo, s3
	s_delay_alu instid0(SALU_CYCLE_1)
	s_mov_b32 s3, exec_lo
	v_cmpx_gt_i32_e64 s1, v0
	s_cbranch_execz .LBB97_48
.LBB97_65:
	s_wait_loadcnt 0x0
	v_cmp_eq_f32_e32 vcc_lo, v29, v30
	v_cndmask_b32_e64 v1, 0, 1, vcc_lo
	v_cmp_neq_f32_e32 vcc_lo, v29, v30
	v_cndmask_b32_e64 v2, 0, 1, vcc_lo
	s_delay_alu instid0(VALU_DEP_1) | instskip(SKIP_1) | instid1(VALU_DEP_2)
	v_dual_cndmask_b32 v1, v2, v1, s0 :: v_dual_add_nc_u32 v2, s2, v0
	v_add_nc_u32_e32 v0, 0x100, v0
	v_and_b32_e32 v1, 1, v1
	global_store_b8 v2, v1, s[4:5]
	s_wait_xcnt 0x0
	s_or_b32 exec_lo, exec_lo, s3
	s_delay_alu instid0(SALU_CYCLE_1)
	s_mov_b32 s3, exec_lo
	v_cmpx_gt_i32_e64 s1, v0
	s_cbranch_execz .LBB97_49
.LBB97_66:
	s_wait_loadcnt 0x0
	v_cmp_eq_f32_e32 vcc_lo, v14, v31
	v_cndmask_b32_e64 v1, 0, 1, vcc_lo
	v_cmp_neq_f32_e32 vcc_lo, v14, v31
	v_cndmask_b32_e64 v2, 0, 1, vcc_lo
	s_delay_alu instid0(VALU_DEP_1) | instskip(SKIP_1) | instid1(VALU_DEP_2)
	v_dual_cndmask_b32 v1, v2, v1, s0 :: v_dual_add_nc_u32 v2, s2, v0
	v_add_nc_u32_e32 v0, 0x100, v0
	v_and_b32_e32 v1, 1, v1
	global_store_b8 v2, v1, s[4:5]
	s_wait_xcnt 0x0
	s_or_b32 exec_lo, exec_lo, s3
	s_delay_alu instid0(SALU_CYCLE_1)
	s_mov_b32 s3, exec_lo
	v_cmpx_gt_i32_e64 s1, v0
	s_cbranch_execz .LBB97_50
.LBB97_67:
	s_wait_loadcnt 0x0
	v_cmp_eq_f32_e32 vcc_lo, v32, v33
	v_cndmask_b32_e64 v1, 0, 1, vcc_lo
	v_cmp_neq_f32_e32 vcc_lo, v32, v33
	v_cndmask_b32_e64 v2, 0, 1, vcc_lo
	s_delay_alu instid0(VALU_DEP_1) | instskip(SKIP_1) | instid1(VALU_DEP_2)
	v_dual_cndmask_b32 v1, v2, v1, s0 :: v_dual_add_nc_u32 v2, s2, v0
	v_add_nc_u32_e32 v0, 0x100, v0
	v_and_b32_e32 v1, 1, v1
	global_store_b8 v2, v1, s[4:5]
	s_wait_xcnt 0x0
	s_or_b32 exec_lo, exec_lo, s3
	v_cmp_gt_i32_e32 vcc_lo, s1, v0
	s_and_saveexec_b32 s1, vcc_lo
	s_cbranch_execnz .LBB97_51
	s_branch .LBB97_52
	.section	.rodata,"a",@progbits
	.p2align	6, 0x0
	.amdhsa_kernel _ZN2at6native29vectorized_elementwise_kernelILi8ENS0_13BinaryFunctorIffbNS0_12_GLOBAL__N_116CompareEqFunctorIfEEEESt5arrayIPcLm3EEEEviT0_T1_
		.amdhsa_group_segment_fixed_size 0
		.amdhsa_private_segment_fixed_size 0
		.amdhsa_kernarg_size 32
		.amdhsa_user_sgpr_count 2
		.amdhsa_user_sgpr_dispatch_ptr 0
		.amdhsa_user_sgpr_queue_ptr 0
		.amdhsa_user_sgpr_kernarg_segment_ptr 1
		.amdhsa_user_sgpr_dispatch_id 0
		.amdhsa_user_sgpr_kernarg_preload_length 0
		.amdhsa_user_sgpr_kernarg_preload_offset 0
		.amdhsa_user_sgpr_private_segment_size 0
		.amdhsa_wavefront_size32 1
		.amdhsa_uses_dynamic_stack 0
		.amdhsa_enable_private_segment 0
		.amdhsa_system_sgpr_workgroup_id_x 1
		.amdhsa_system_sgpr_workgroup_id_y 0
		.amdhsa_system_sgpr_workgroup_id_z 0
		.amdhsa_system_sgpr_workgroup_info 0
		.amdhsa_system_vgpr_workitem_id 0
		.amdhsa_next_free_vgpr 36
		.amdhsa_next_free_sgpr 16
		.amdhsa_named_barrier_count 0
		.amdhsa_reserve_vcc 1
		.amdhsa_float_round_mode_32 0
		.amdhsa_float_round_mode_16_64 0
		.amdhsa_float_denorm_mode_32 3
		.amdhsa_float_denorm_mode_16_64 3
		.amdhsa_fp16_overflow 0
		.amdhsa_memory_ordered 1
		.amdhsa_forward_progress 1
		.amdhsa_inst_pref_size 33
		.amdhsa_round_robin_scheduling 0
		.amdhsa_exception_fp_ieee_invalid_op 0
		.amdhsa_exception_fp_denorm_src 0
		.amdhsa_exception_fp_ieee_div_zero 0
		.amdhsa_exception_fp_ieee_overflow 0
		.amdhsa_exception_fp_ieee_underflow 0
		.amdhsa_exception_fp_ieee_inexact 0
		.amdhsa_exception_int_div_zero 0
	.end_amdhsa_kernel
	.section	.text._ZN2at6native29vectorized_elementwise_kernelILi8ENS0_13BinaryFunctorIffbNS0_12_GLOBAL__N_116CompareEqFunctorIfEEEESt5arrayIPcLm3EEEEviT0_T1_,"axG",@progbits,_ZN2at6native29vectorized_elementwise_kernelILi8ENS0_13BinaryFunctorIffbNS0_12_GLOBAL__N_116CompareEqFunctorIfEEEESt5arrayIPcLm3EEEEviT0_T1_,comdat
.Lfunc_end97:
	.size	_ZN2at6native29vectorized_elementwise_kernelILi8ENS0_13BinaryFunctorIffbNS0_12_GLOBAL__N_116CompareEqFunctorIfEEEESt5arrayIPcLm3EEEEviT0_T1_, .Lfunc_end97-_ZN2at6native29vectorized_elementwise_kernelILi8ENS0_13BinaryFunctorIffbNS0_12_GLOBAL__N_116CompareEqFunctorIfEEEESt5arrayIPcLm3EEEEviT0_T1_
                                        ; -- End function
	.set _ZN2at6native29vectorized_elementwise_kernelILi8ENS0_13BinaryFunctorIffbNS0_12_GLOBAL__N_116CompareEqFunctorIfEEEESt5arrayIPcLm3EEEEviT0_T1_.num_vgpr, 36
	.set _ZN2at6native29vectorized_elementwise_kernelILi8ENS0_13BinaryFunctorIffbNS0_12_GLOBAL__N_116CompareEqFunctorIfEEEESt5arrayIPcLm3EEEEviT0_T1_.num_agpr, 0
	.set _ZN2at6native29vectorized_elementwise_kernelILi8ENS0_13BinaryFunctorIffbNS0_12_GLOBAL__N_116CompareEqFunctorIfEEEESt5arrayIPcLm3EEEEviT0_T1_.numbered_sgpr, 16
	.set _ZN2at6native29vectorized_elementwise_kernelILi8ENS0_13BinaryFunctorIffbNS0_12_GLOBAL__N_116CompareEqFunctorIfEEEESt5arrayIPcLm3EEEEviT0_T1_.num_named_barrier, 0
	.set _ZN2at6native29vectorized_elementwise_kernelILi8ENS0_13BinaryFunctorIffbNS0_12_GLOBAL__N_116CompareEqFunctorIfEEEESt5arrayIPcLm3EEEEviT0_T1_.private_seg_size, 0
	.set _ZN2at6native29vectorized_elementwise_kernelILi8ENS0_13BinaryFunctorIffbNS0_12_GLOBAL__N_116CompareEqFunctorIfEEEESt5arrayIPcLm3EEEEviT0_T1_.uses_vcc, 1
	.set _ZN2at6native29vectorized_elementwise_kernelILi8ENS0_13BinaryFunctorIffbNS0_12_GLOBAL__N_116CompareEqFunctorIfEEEESt5arrayIPcLm3EEEEviT0_T1_.uses_flat_scratch, 0
	.set _ZN2at6native29vectorized_elementwise_kernelILi8ENS0_13BinaryFunctorIffbNS0_12_GLOBAL__N_116CompareEqFunctorIfEEEESt5arrayIPcLm3EEEEviT0_T1_.has_dyn_sized_stack, 0
	.set _ZN2at6native29vectorized_elementwise_kernelILi8ENS0_13BinaryFunctorIffbNS0_12_GLOBAL__N_116CompareEqFunctorIfEEEESt5arrayIPcLm3EEEEviT0_T1_.has_recursion, 0
	.set _ZN2at6native29vectorized_elementwise_kernelILi8ENS0_13BinaryFunctorIffbNS0_12_GLOBAL__N_116CompareEqFunctorIfEEEESt5arrayIPcLm3EEEEviT0_T1_.has_indirect_call, 0
	.section	.AMDGPU.csdata,"",@progbits
; Kernel info:
; codeLenInByte = 4196
; TotalNumSgprs: 18
; NumVgprs: 36
; ScratchSize: 0
; MemoryBound: 0
; FloatMode: 240
; IeeeMode: 1
; LDSByteSize: 0 bytes/workgroup (compile time only)
; SGPRBlocks: 0
; VGPRBlocks: 2
; NumSGPRsForWavesPerEU: 18
; NumVGPRsForWavesPerEU: 36
; NamedBarCnt: 0
; Occupancy: 16
; WaveLimiterHint : 1
; COMPUTE_PGM_RSRC2:SCRATCH_EN: 0
; COMPUTE_PGM_RSRC2:USER_SGPR: 2
; COMPUTE_PGM_RSRC2:TRAP_HANDLER: 0
; COMPUTE_PGM_RSRC2:TGID_X_EN: 1
; COMPUTE_PGM_RSRC2:TGID_Y_EN: 0
; COMPUTE_PGM_RSRC2:TGID_Z_EN: 0
; COMPUTE_PGM_RSRC2:TIDIG_COMP_CNT: 0
	.section	.text._ZN2at6native29vectorized_elementwise_kernelILi4ENS0_13BinaryFunctorIffbNS0_12_GLOBAL__N_116CompareEqFunctorIfEEEESt5arrayIPcLm3EEEEviT0_T1_,"axG",@progbits,_ZN2at6native29vectorized_elementwise_kernelILi4ENS0_13BinaryFunctorIffbNS0_12_GLOBAL__N_116CompareEqFunctorIfEEEESt5arrayIPcLm3EEEEviT0_T1_,comdat
	.globl	_ZN2at6native29vectorized_elementwise_kernelILi4ENS0_13BinaryFunctorIffbNS0_12_GLOBAL__N_116CompareEqFunctorIfEEEESt5arrayIPcLm3EEEEviT0_T1_ ; -- Begin function _ZN2at6native29vectorized_elementwise_kernelILi4ENS0_13BinaryFunctorIffbNS0_12_GLOBAL__N_116CompareEqFunctorIfEEEESt5arrayIPcLm3EEEEviT0_T1_
	.p2align	8
	.type	_ZN2at6native29vectorized_elementwise_kernelILi4ENS0_13BinaryFunctorIffbNS0_12_GLOBAL__N_116CompareEqFunctorIfEEEESt5arrayIPcLm3EEEEviT0_T1_,@function
_ZN2at6native29vectorized_elementwise_kernelILi4ENS0_13BinaryFunctorIffbNS0_12_GLOBAL__N_116CompareEqFunctorIfEEEESt5arrayIPcLm3EEEEviT0_T1_: ; @_ZN2at6native29vectorized_elementwise_kernelILi4ENS0_13BinaryFunctorIffbNS0_12_GLOBAL__N_116CompareEqFunctorIfEEEESt5arrayIPcLm3EEEEviT0_T1_
; %bb.0:
	s_clause 0x2
	s_load_b64 s[8:9], s[0:1], 0x0
	s_load_b128 s[4:7], s[0:1], 0x8
	s_load_b64 s[10:11], s[0:1], 0x18
	s_wait_xcnt 0x0
	s_bfe_u32 s0, ttmp6, 0x4000c
	s_and_b32 s1, ttmp6, 15
	s_add_co_i32 s0, s0, 1
	s_getreg_b32 s2, hwreg(HW_REG_IB_STS2, 6, 4)
	s_mul_i32 s0, ttmp9, s0
	s_delay_alu instid0(SALU_CYCLE_1) | instskip(SKIP_2) | instid1(SALU_CYCLE_1)
	s_add_co_i32 s1, s1, s0
	s_cmp_eq_u32 s2, 0
	s_cselect_b32 s0, ttmp9, s1
	s_lshl_b32 s2, s0, 12
	s_mov_b32 s0, -1
	s_wait_kmcnt 0x0
	s_sub_co_i32 s1, s8, s2
	s_delay_alu instid0(SALU_CYCLE_1)
	s_cmp_gt_i32 s1, 0xfff
	s_cbranch_scc0 .LBB98_2
; %bb.1:
	s_ashr_i32 s3, s2, 31
	s_mov_b32 s0, 0
	s_lshl_b64 s[12:13], s[2:3], 2
	s_cmp_eq_u32 s9, 0
	s_add_nc_u64 s[14:15], s[10:11], s[12:13]
	s_add_nc_u64 s[12:13], s[6:7], s[12:13]
	s_clause 0x7
	global_load_b128 v[2:5], v0, s[14:15] scale_offset
	global_load_b128 v[6:9], v0, s[12:13] scale_offset
	global_load_b128 v[10:13], v0, s[12:13] offset:4096 scale_offset
	global_load_b128 v[14:17], v0, s[14:15] offset:4096 scale_offset
	;; [unrolled: 1-line block ×6, first 2 shown]
	s_wait_xcnt 0x1
	s_add_nc_u64 s[12:13], s[4:5], s[2:3]
	s_wait_loadcnt 0x6
	v_cmp_eq_f32_e32 vcc_lo, v6, v2
	v_cndmask_b32_e64 v1, 0, 1, vcc_lo
	v_cmp_neq_f32_e32 vcc_lo, v6, v2
	v_cndmask_b32_e64 v2, 0, 1, vcc_lo
	v_cmp_eq_f32_e32 vcc_lo, v7, v3
	v_cndmask_b32_e64 v6, 0, 1, vcc_lo
	v_cmp_neq_f32_e32 vcc_lo, v7, v3
	v_cndmask_b32_e64 v3, 0, 1, vcc_lo
	v_cmp_eq_f32_e32 vcc_lo, v8, v4
	v_cndmask_b32_e64 v7, 0, 1, vcc_lo
	v_cmp_neq_f32_e32 vcc_lo, v8, v4
	v_cndmask_b32_e64 v4, 0, 1, vcc_lo
	v_cmp_eq_f32_e32 vcc_lo, v9, v5
	v_cndmask_b32_e64 v8, 0, 1, vcc_lo
	v_cmp_neq_f32_e32 vcc_lo, v9, v5
	v_cndmask_b32_e64 v5, 0, 1, vcc_lo
	s_wait_loadcnt 0x4
	v_cmp_eq_f32_e32 vcc_lo, v10, v14
	v_cndmask_b32_e64 v9, 0, 1, vcc_lo
	v_cmp_neq_f32_e32 vcc_lo, v10, v14
	v_cndmask_b32_e64 v10, 0, 1, vcc_lo
	v_cmp_eq_f32_e32 vcc_lo, v11, v15
	v_cndmask_b32_e64 v14, 0, 1, vcc_lo
	v_cmp_neq_f32_e32 vcc_lo, v11, v15
	v_cndmask_b32_e64 v11, 0, 1, vcc_lo
	v_cmp_eq_f32_e32 vcc_lo, v12, v16
	v_cndmask_b32_e64 v15, 0, 1, vcc_lo
	v_cmp_neq_f32_e32 vcc_lo, v12, v16
	v_cndmask_b32_e64 v12, 0, 1, vcc_lo
	v_cmp_eq_f32_e32 vcc_lo, v13, v17
	v_cndmask_b32_e64 v16, 0, 1, vcc_lo
	v_cmp_neq_f32_e32 vcc_lo, v13, v17
	v_cndmask_b32_e64 v13, 0, 1, vcc_lo
	;; [unrolled: 17-line block ×4, first 2 shown]
	s_cselect_b32 vcc_lo, -1, 0
	v_dual_cndmask_b32 v1, v2, v1 :: v_dual_cndmask_b32 v2, v3, v6
	v_dual_cndmask_b32 v3, v4, v7 :: v_dual_cndmask_b32 v4, v5, v8
	;; [unrolled: 1-line block ×3, first 2 shown]
	s_delay_alu instid0(VALU_DEP_3)
	v_dual_cndmask_b32 v7, v12, v15, vcc_lo :: v_dual_bitop2_b32 v2, 1, v2 bitop3:0x40
	v_dual_cndmask_b32 v8, v13, v16 :: v_dual_cndmask_b32 v9, v18, v17
	v_dual_cndmask_b32 v10, v19, v22 :: v_dual_cndmask_b32 v11, v20, v23
	;; [unrolled: 1-line block ×4, first 2 shown]
	v_dual_cndmask_b32 v16, v29, v32, vcc_lo :: v_dual_bitop2_b32 v3, 1, v3 bitop3:0x40
	v_cmp_eq_u32_e32 vcc_lo, 1, v2
	v_and_b32_e32 v4, 1, v4
	v_and_b32_e32 v6, 1, v6
	;; [unrolled: 1-line block ×4, first 2 shown]
	v_cndmask_b32_e64 v2, 0, 0x100, vcc_lo
	v_cmp_eq_u32_e32 vcc_lo, 1, v3
	v_and_b32_e32 v10, 1, v10
	v_and_b32_e32 v11, 1, v11
	;; [unrolled: 1-line block ×4, first 2 shown]
	v_cndmask_b32_e64 v3, 0, 0x10000, vcc_lo
	v_cmp_eq_u32_e32 vcc_lo, 1, v4
	v_and_b32_e32 v15, 1, v15
	v_and_b32_e32 v16, 1, v16
	v_and_or_b32 v1, v1, 1, v2
	v_cndmask_b32_e64 v4, 0, 0x1000000, vcc_lo
	v_cmp_eq_u32_e32 vcc_lo, 1, v6
	s_delay_alu instid0(VALU_DEP_2) | instskip(SKIP_2) | instid1(VALU_DEP_2)
	v_or3_b32 v1, v1, v3, v4
	v_cndmask_b32_e64 v6, 0, 0x100, vcc_lo
	v_cmp_eq_u32_e32 vcc_lo, 1, v7
	v_and_or_b32 v2, v5, 1, v6
	v_cndmask_b32_e64 v7, 0, 0x10000, vcc_lo
	v_cmp_eq_u32_e32 vcc_lo, 1, v8
	v_cndmask_b32_e64 v8, 0, 0x1000000, vcc_lo
	v_cmp_eq_u32_e32 vcc_lo, 1, v10
	s_delay_alu instid0(VALU_DEP_2) | instskip(SKIP_2) | instid1(VALU_DEP_2)
	v_or3_b32 v2, v2, v7, v8
	v_cndmask_b32_e64 v10, 0, 0x100, vcc_lo
	v_cmp_eq_u32_e32 vcc_lo, 1, v11
	v_and_or_b32 v5, v9, 1, v10
	v_cndmask_b32_e64 v11, 0, 0x10000, vcc_lo
	v_cmp_eq_u32_e32 vcc_lo, 1, v12
	;; [unrolled: 9-line block ×3, first 2 shown]
	v_cndmask_b32_e64 v16, 0, 0x1000000, vcc_lo
	s_delay_alu instid0(VALU_DEP_1)
	v_or3_b32 v4, v6, v15, v16
	s_clause 0x3
	global_store_b32 v0, v1, s[12:13] scale_offset
	global_store_b32 v0, v2, s[12:13] offset:1024 scale_offset
	global_store_b32 v0, v3, s[12:13] offset:2048 scale_offset
	global_store_b32 v0, v4, s[12:13] offset:3072 scale_offset
.LBB98_2:
	s_and_not1_b32 vcc_lo, exec_lo, s0
	s_cbranch_vccnz .LBB98_52
; %bb.3:
	v_cmp_gt_i32_e32 vcc_lo, s1, v0
	s_wait_xcnt 0x0
	v_dual_mov_b32 v1, 0 :: v_dual_bitop2_b32 v4, s2, v0 bitop3:0x54
	v_or_b32_e32 v5, 0x100, v0
	v_dual_mov_b32 v8, 0 :: v_dual_mov_b32 v9, 0
	v_mov_b32_e32 v35, v0
	s_and_saveexec_b32 s0, vcc_lo
	s_cbranch_execz .LBB98_5
; %bb.4:
	s_clause 0x1
	global_load_b32 v8, v4, s[6:7] scale_offset
	global_load_b32 v9, v4, s[10:11] scale_offset
	v_or_b32_e32 v35, 0x100, v0
.LBB98_5:
	s_wait_xcnt 0x0
	s_or_b32 exec_lo, exec_lo, s0
	v_mov_b32_e32 v11, 0
	s_mov_b32 s3, exec_lo
	v_cmpx_gt_i32_e64 s1, v35
	s_cbranch_execz .LBB98_7
; %bb.6:
	v_add_nc_u32_e32 v2, s2, v35
	v_add_nc_u32_e32 v35, 0x100, v35
	s_clause 0x1
	global_load_b32 v1, v2, s[6:7] scale_offset
	global_load_b32 v11, v2, s[10:11] scale_offset
.LBB98_7:
	s_wait_xcnt 0x0
	s_or_b32 exec_lo, exec_lo, s3
	v_dual_mov_b32 v2, 0 :: v_dual_mov_b32 v12, 0
	v_mov_b32_e32 v13, 0
	s_mov_b32 s3, exec_lo
	v_cmpx_gt_i32_e64 s1, v35
	s_cbranch_execz .LBB98_9
; %bb.8:
	v_add_nc_u32_e32 v3, s2, v35
	v_add_nc_u32_e32 v35, 0x100, v35
	s_clause 0x1
	global_load_b32 v12, v3, s[6:7] scale_offset
	global_load_b32 v13, v3, s[10:11] scale_offset
.LBB98_9:
	s_wait_xcnt 0x0
	s_or_b32 exec_lo, exec_lo, s3
	v_mov_b32_e32 v15, 0
	s_mov_b32 s3, exec_lo
	v_cmpx_gt_i32_e64 s1, v35
	s_cbranch_execz .LBB98_11
; %bb.10:
	v_add_nc_u32_e32 v3, s2, v35
	v_add_nc_u32_e32 v35, 0x100, v35
	s_clause 0x1
	global_load_b32 v2, v3, s[6:7] scale_offset
	global_load_b32 v15, v3, s[10:11] scale_offset
.LBB98_11:
	s_wait_xcnt 0x0
	s_or_b32 exec_lo, exec_lo, s3
	v_dual_mov_b32 v3, 0 :: v_dual_mov_b32 v16, 0
	v_mov_b32_e32 v17, 0
	s_mov_b32 s3, exec_lo
	v_cmpx_gt_i32_e64 s1, v35
	s_cbranch_execz .LBB98_13
; %bb.12:
	v_add_nc_u32_e32 v6, s2, v35
	v_add_nc_u32_e32 v35, 0x100, v35
	s_clause 0x1
	global_load_b32 v16, v6, s[6:7] scale_offset
	global_load_b32 v17, v6, s[10:11] scale_offset
.LBB98_13:
	;; [unrolled: 27-line block ×7, first 2 shown]
	s_wait_xcnt 0x0
	s_or_b32 exec_lo, exec_lo, s3
	v_mov_b32_e32 v34, 0
	s_mov_b32 s3, exec_lo
	v_cmpx_gt_i32_e64 s1, v35
	s_cbranch_execz .LBB98_35
; %bb.34:
	v_add_nc_u32_e32 v35, s2, v35
	s_clause 0x1
	global_load_b32 v18, v35, s[6:7] scale_offset
	global_load_b32 v34, v35, s[10:11] scale_offset
.LBB98_35:
	s_wait_xcnt 0x0
	s_or_b32 exec_lo, exec_lo, s3
	s_cmp_eq_u32 s9, 0
	s_cselect_b32 s0, -1, 0
	s_and_saveexec_b32 s3, vcc_lo
	s_cbranch_execnz .LBB98_53
; %bb.36:
	s_or_b32 exec_lo, exec_lo, s3
	s_delay_alu instid0(SALU_CYCLE_1)
	s_mov_b32 s3, exec_lo
	v_cmpx_gt_i32_e64 s1, v0
	s_cbranch_execnz .LBB98_54
.LBB98_37:
	s_or_b32 exec_lo, exec_lo, s3
	s_delay_alu instid0(SALU_CYCLE_1)
	s_mov_b32 s3, exec_lo
	v_cmpx_gt_i32_e64 s1, v0
	s_cbranch_execnz .LBB98_55
.LBB98_38:
	s_or_b32 exec_lo, exec_lo, s3
	s_delay_alu instid0(SALU_CYCLE_1)
	s_mov_b32 s3, exec_lo
	v_cmpx_gt_i32_e64 s1, v0
	s_cbranch_execnz .LBB98_56
.LBB98_39:
	s_or_b32 exec_lo, exec_lo, s3
	s_delay_alu instid0(SALU_CYCLE_1)
	s_mov_b32 s3, exec_lo
	v_cmpx_gt_i32_e64 s1, v0
	s_cbranch_execnz .LBB98_57
.LBB98_40:
	s_or_b32 exec_lo, exec_lo, s3
	s_delay_alu instid0(SALU_CYCLE_1)
	s_mov_b32 s3, exec_lo
	v_cmpx_gt_i32_e64 s1, v0
	s_cbranch_execnz .LBB98_58
.LBB98_41:
	s_or_b32 exec_lo, exec_lo, s3
	s_delay_alu instid0(SALU_CYCLE_1)
	s_mov_b32 s3, exec_lo
	v_cmpx_gt_i32_e64 s1, v0
	s_cbranch_execnz .LBB98_59
.LBB98_42:
	s_or_b32 exec_lo, exec_lo, s3
	s_delay_alu instid0(SALU_CYCLE_1)
	s_mov_b32 s3, exec_lo
	v_cmpx_gt_i32_e64 s1, v0
	s_cbranch_execnz .LBB98_60
.LBB98_43:
	s_or_b32 exec_lo, exec_lo, s3
	s_delay_alu instid0(SALU_CYCLE_1)
	s_mov_b32 s3, exec_lo
	v_cmpx_gt_i32_e64 s1, v0
	s_cbranch_execnz .LBB98_61
.LBB98_44:
	s_or_b32 exec_lo, exec_lo, s3
	s_delay_alu instid0(SALU_CYCLE_1)
	s_mov_b32 s3, exec_lo
	v_cmpx_gt_i32_e64 s1, v0
	s_cbranch_execnz .LBB98_62
.LBB98_45:
	s_or_b32 exec_lo, exec_lo, s3
	s_delay_alu instid0(SALU_CYCLE_1)
	s_mov_b32 s3, exec_lo
	v_cmpx_gt_i32_e64 s1, v0
	s_cbranch_execnz .LBB98_63
.LBB98_46:
	s_or_b32 exec_lo, exec_lo, s3
	s_delay_alu instid0(SALU_CYCLE_1)
	s_mov_b32 s3, exec_lo
	v_cmpx_gt_i32_e64 s1, v0
	s_cbranch_execnz .LBB98_64
.LBB98_47:
	s_or_b32 exec_lo, exec_lo, s3
	s_delay_alu instid0(SALU_CYCLE_1)
	s_mov_b32 s3, exec_lo
	v_cmpx_gt_i32_e64 s1, v0
	s_cbranch_execnz .LBB98_65
.LBB98_48:
	s_or_b32 exec_lo, exec_lo, s3
	s_delay_alu instid0(SALU_CYCLE_1)
	s_mov_b32 s3, exec_lo
	v_cmpx_gt_i32_e64 s1, v0
	s_cbranch_execnz .LBB98_66
.LBB98_49:
	s_or_b32 exec_lo, exec_lo, s3
	s_delay_alu instid0(SALU_CYCLE_1)
	s_mov_b32 s3, exec_lo
	v_cmpx_gt_i32_e64 s1, v0
	s_cbranch_execnz .LBB98_67
.LBB98_50:
	s_or_b32 exec_lo, exec_lo, s3
	v_cmp_gt_i32_e32 vcc_lo, s1, v0
	s_and_saveexec_b32 s1, vcc_lo
	s_cbranch_execz .LBB98_52
.LBB98_51:
	s_wait_loadcnt 0x0
	v_cmp_eq_f32_e32 vcc_lo, v18, v34
	v_add_nc_u32_e32 v0, s2, v0
	v_cndmask_b32_e64 v1, 0, 1, vcc_lo
	v_cmp_neq_f32_e32 vcc_lo, v18, v34
	v_cndmask_b32_e64 v2, 0, 1, vcc_lo
	s_delay_alu instid0(VALU_DEP_1) | instskip(NEXT) | instid1(VALU_DEP_1)
	v_cndmask_b32_e64 v1, v2, v1, s0
	v_and_b32_e32 v1, 1, v1
	global_store_b8 v0, v1, s[4:5]
.LBB98_52:
	s_endpgm
.LBB98_53:
	s_wait_loadcnt 0x0
	v_cmp_eq_f32_e32 vcc_lo, v8, v9
	v_cndmask_b32_e64 v0, 0, 1, vcc_lo
	v_cmp_neq_f32_e32 vcc_lo, v8, v9
	v_cndmask_b32_e64 v8, 0, 1, vcc_lo
	s_delay_alu instid0(VALU_DEP_1) | instskip(NEXT) | instid1(VALU_DEP_1)
	v_cndmask_b32_e64 v0, v8, v0, s0
	v_dual_mov_b32 v0, v5 :: v_dual_bitop2_b32 v8, 1, v0 bitop3:0x40
	global_store_b8 v4, v8, s[4:5]
	s_wait_xcnt 0x0
	s_or_b32 exec_lo, exec_lo, s3
	s_delay_alu instid0(SALU_CYCLE_1)
	s_mov_b32 s3, exec_lo
	v_cmpx_gt_i32_e64 s1, v0
	s_cbranch_execz .LBB98_37
.LBB98_54:
	s_wait_loadcnt 0x0
	v_cmp_eq_f32_e32 vcc_lo, v1, v11
	v_cndmask_b32_e64 v4, 0, 1, vcc_lo
	v_cmp_neq_f32_e32 vcc_lo, v1, v11
	v_cndmask_b32_e64 v1, 0, 1, vcc_lo
	s_delay_alu instid0(VALU_DEP_1) | instskip(SKIP_2) | instid1(VALU_DEP_3)
	v_cndmask_b32_e64 v1, v1, v4, s0
	v_add_nc_u32_e32 v4, s2, v0
	v_add_nc_u32_e32 v0, 0x100, v0
	v_and_b32_e32 v1, 1, v1
	global_store_b8 v4, v1, s[4:5]
	s_wait_xcnt 0x0
	s_or_b32 exec_lo, exec_lo, s3
	s_delay_alu instid0(SALU_CYCLE_1)
	s_mov_b32 s3, exec_lo
	v_cmpx_gt_i32_e64 s1, v0
	s_cbranch_execz .LBB98_38
.LBB98_55:
	s_wait_loadcnt 0x0
	v_cmp_eq_f32_e32 vcc_lo, v12, v13
	v_cndmask_b32_e64 v1, 0, 1, vcc_lo
	v_cmp_neq_f32_e32 vcc_lo, v12, v13
	v_cndmask_b32_e64 v4, 0, 1, vcc_lo
	s_delay_alu instid0(VALU_DEP_1) | instskip(SKIP_1) | instid1(VALU_DEP_2)
	v_dual_cndmask_b32 v1, v4, v1, s0 :: v_dual_add_nc_u32 v4, s2, v0
	v_add_nc_u32_e32 v0, 0x100, v0
	v_and_b32_e32 v1, 1, v1
	global_store_b8 v4, v1, s[4:5]
	s_wait_xcnt 0x0
	s_or_b32 exec_lo, exec_lo, s3
	s_delay_alu instid0(SALU_CYCLE_1)
	s_mov_b32 s3, exec_lo
	v_cmpx_gt_i32_e64 s1, v0
	s_cbranch_execz .LBB98_39
.LBB98_56:
	s_wait_loadcnt 0x0
	v_cmp_eq_f32_e32 vcc_lo, v2, v15
	v_cndmask_b32_e64 v1, 0, 1, vcc_lo
	v_cmp_neq_f32_e32 vcc_lo, v2, v15
	v_cndmask_b32_e64 v2, 0, 1, vcc_lo
	s_delay_alu instid0(VALU_DEP_1) | instskip(SKIP_1) | instid1(VALU_DEP_2)
	v_dual_cndmask_b32 v1, v2, v1, s0 :: v_dual_add_nc_u32 v2, s2, v0
	v_add_nc_u32_e32 v0, 0x100, v0
	v_and_b32_e32 v1, 1, v1
	global_store_b8 v2, v1, s[4:5]
	s_wait_xcnt 0x0
	s_or_b32 exec_lo, exec_lo, s3
	s_delay_alu instid0(SALU_CYCLE_1)
	s_mov_b32 s3, exec_lo
	v_cmpx_gt_i32_e64 s1, v0
	s_cbranch_execz .LBB98_40
.LBB98_57:
	s_wait_loadcnt 0x0
	v_cmp_eq_f32_e32 vcc_lo, v16, v17
	v_cndmask_b32_e64 v1, 0, 1, vcc_lo
	v_cmp_neq_f32_e32 vcc_lo, v16, v17
	v_cndmask_b32_e64 v2, 0, 1, vcc_lo
	s_delay_alu instid0(VALU_DEP_1) | instskip(SKIP_1) | instid1(VALU_DEP_2)
	v_dual_cndmask_b32 v1, v2, v1, s0 :: v_dual_add_nc_u32 v2, s2, v0
	v_add_nc_u32_e32 v0, 0x100, v0
	v_and_b32_e32 v1, 1, v1
	global_store_b8 v2, v1, s[4:5]
	s_wait_xcnt 0x0
	s_or_b32 exec_lo, exec_lo, s3
	s_delay_alu instid0(SALU_CYCLE_1)
	s_mov_b32 s3, exec_lo
	v_cmpx_gt_i32_e64 s1, v0
	s_cbranch_execz .LBB98_41
.LBB98_58:
	s_wait_loadcnt 0x0
	v_cmp_eq_f32_e32 vcc_lo, v3, v19
	v_cndmask_b32_e64 v1, 0, 1, vcc_lo
	v_cmp_neq_f32_e32 vcc_lo, v3, v19
	v_cndmask_b32_e64 v2, 0, 1, vcc_lo
	s_delay_alu instid0(VALU_DEP_1) | instskip(SKIP_1) | instid1(VALU_DEP_2)
	v_dual_cndmask_b32 v1, v2, v1, s0 :: v_dual_add_nc_u32 v2, s2, v0
	v_add_nc_u32_e32 v0, 0x100, v0
	v_and_b32_e32 v1, 1, v1
	global_store_b8 v2, v1, s[4:5]
	s_wait_xcnt 0x0
	s_or_b32 exec_lo, exec_lo, s3
	s_delay_alu instid0(SALU_CYCLE_1)
	s_mov_b32 s3, exec_lo
	v_cmpx_gt_i32_e64 s1, v0
	s_cbranch_execz .LBB98_42
.LBB98_59:
	s_wait_loadcnt 0x0
	v_cmp_eq_f32_e32 vcc_lo, v20, v21
	v_cndmask_b32_e64 v1, 0, 1, vcc_lo
	v_cmp_neq_f32_e32 vcc_lo, v20, v21
	v_cndmask_b32_e64 v2, 0, 1, vcc_lo
	s_delay_alu instid0(VALU_DEP_1) | instskip(SKIP_1) | instid1(VALU_DEP_2)
	v_dual_cndmask_b32 v1, v2, v1, s0 :: v_dual_add_nc_u32 v2, s2, v0
	v_add_nc_u32_e32 v0, 0x100, v0
	v_and_b32_e32 v1, 1, v1
	global_store_b8 v2, v1, s[4:5]
	s_wait_xcnt 0x0
	s_or_b32 exec_lo, exec_lo, s3
	s_delay_alu instid0(SALU_CYCLE_1)
	s_mov_b32 s3, exec_lo
	v_cmpx_gt_i32_e64 s1, v0
	s_cbranch_execz .LBB98_43
.LBB98_60:
	s_wait_loadcnt 0x0
	v_cmp_eq_f32_e32 vcc_lo, v6, v22
	v_cndmask_b32_e64 v1, 0, 1, vcc_lo
	v_cmp_neq_f32_e32 vcc_lo, v6, v22
	v_cndmask_b32_e64 v2, 0, 1, vcc_lo
	s_delay_alu instid0(VALU_DEP_1) | instskip(SKIP_1) | instid1(VALU_DEP_2)
	v_dual_cndmask_b32 v1, v2, v1, s0 :: v_dual_add_nc_u32 v2, s2, v0
	v_add_nc_u32_e32 v0, 0x100, v0
	v_and_b32_e32 v1, 1, v1
	global_store_b8 v2, v1, s[4:5]
	s_wait_xcnt 0x0
	s_or_b32 exec_lo, exec_lo, s3
	s_delay_alu instid0(SALU_CYCLE_1)
	s_mov_b32 s3, exec_lo
	v_cmpx_gt_i32_e64 s1, v0
	s_cbranch_execz .LBB98_44
.LBB98_61:
	s_wait_loadcnt 0x0
	v_cmp_eq_f32_e32 vcc_lo, v23, v24
	v_cndmask_b32_e64 v1, 0, 1, vcc_lo
	v_cmp_neq_f32_e32 vcc_lo, v23, v24
	v_cndmask_b32_e64 v2, 0, 1, vcc_lo
	s_delay_alu instid0(VALU_DEP_1) | instskip(SKIP_1) | instid1(VALU_DEP_2)
	v_dual_cndmask_b32 v1, v2, v1, s0 :: v_dual_add_nc_u32 v2, s2, v0
	v_add_nc_u32_e32 v0, 0x100, v0
	v_and_b32_e32 v1, 1, v1
	global_store_b8 v2, v1, s[4:5]
	s_wait_xcnt 0x0
	s_or_b32 exec_lo, exec_lo, s3
	s_delay_alu instid0(SALU_CYCLE_1)
	s_mov_b32 s3, exec_lo
	v_cmpx_gt_i32_e64 s1, v0
	s_cbranch_execz .LBB98_45
.LBB98_62:
	s_wait_loadcnt 0x0
	v_cmp_eq_f32_e32 vcc_lo, v7, v25
	v_cndmask_b32_e64 v1, 0, 1, vcc_lo
	v_cmp_neq_f32_e32 vcc_lo, v7, v25
	v_cndmask_b32_e64 v2, 0, 1, vcc_lo
	s_delay_alu instid0(VALU_DEP_1) | instskip(SKIP_1) | instid1(VALU_DEP_2)
	v_dual_cndmask_b32 v1, v2, v1, s0 :: v_dual_add_nc_u32 v2, s2, v0
	v_add_nc_u32_e32 v0, 0x100, v0
	v_and_b32_e32 v1, 1, v1
	global_store_b8 v2, v1, s[4:5]
	s_wait_xcnt 0x0
	s_or_b32 exec_lo, exec_lo, s3
	s_delay_alu instid0(SALU_CYCLE_1)
	s_mov_b32 s3, exec_lo
	v_cmpx_gt_i32_e64 s1, v0
	s_cbranch_execz .LBB98_46
.LBB98_63:
	s_wait_loadcnt 0x0
	v_cmp_eq_f32_e32 vcc_lo, v26, v27
	v_cndmask_b32_e64 v1, 0, 1, vcc_lo
	v_cmp_neq_f32_e32 vcc_lo, v26, v27
	v_cndmask_b32_e64 v2, 0, 1, vcc_lo
	s_delay_alu instid0(VALU_DEP_1) | instskip(SKIP_1) | instid1(VALU_DEP_2)
	v_dual_cndmask_b32 v1, v2, v1, s0 :: v_dual_add_nc_u32 v2, s2, v0
	v_add_nc_u32_e32 v0, 0x100, v0
	v_and_b32_e32 v1, 1, v1
	global_store_b8 v2, v1, s[4:5]
	s_wait_xcnt 0x0
	s_or_b32 exec_lo, exec_lo, s3
	s_delay_alu instid0(SALU_CYCLE_1)
	s_mov_b32 s3, exec_lo
	v_cmpx_gt_i32_e64 s1, v0
	s_cbranch_execz .LBB98_47
.LBB98_64:
	s_wait_loadcnt 0x0
	v_cmp_eq_f32_e32 vcc_lo, v10, v28
	v_cndmask_b32_e64 v1, 0, 1, vcc_lo
	v_cmp_neq_f32_e32 vcc_lo, v10, v28
	v_cndmask_b32_e64 v2, 0, 1, vcc_lo
	s_delay_alu instid0(VALU_DEP_1) | instskip(SKIP_1) | instid1(VALU_DEP_2)
	v_dual_cndmask_b32 v1, v2, v1, s0 :: v_dual_add_nc_u32 v2, s2, v0
	v_add_nc_u32_e32 v0, 0x100, v0
	v_and_b32_e32 v1, 1, v1
	global_store_b8 v2, v1, s[4:5]
	s_wait_xcnt 0x0
	s_or_b32 exec_lo, exec_lo, s3
	s_delay_alu instid0(SALU_CYCLE_1)
	s_mov_b32 s3, exec_lo
	v_cmpx_gt_i32_e64 s1, v0
	s_cbranch_execz .LBB98_48
.LBB98_65:
	s_wait_loadcnt 0x0
	v_cmp_eq_f32_e32 vcc_lo, v29, v30
	v_cndmask_b32_e64 v1, 0, 1, vcc_lo
	v_cmp_neq_f32_e32 vcc_lo, v29, v30
	v_cndmask_b32_e64 v2, 0, 1, vcc_lo
	s_delay_alu instid0(VALU_DEP_1) | instskip(SKIP_1) | instid1(VALU_DEP_2)
	v_dual_cndmask_b32 v1, v2, v1, s0 :: v_dual_add_nc_u32 v2, s2, v0
	v_add_nc_u32_e32 v0, 0x100, v0
	v_and_b32_e32 v1, 1, v1
	global_store_b8 v2, v1, s[4:5]
	s_wait_xcnt 0x0
	s_or_b32 exec_lo, exec_lo, s3
	s_delay_alu instid0(SALU_CYCLE_1)
	s_mov_b32 s3, exec_lo
	v_cmpx_gt_i32_e64 s1, v0
	s_cbranch_execz .LBB98_49
.LBB98_66:
	s_wait_loadcnt 0x0
	v_cmp_eq_f32_e32 vcc_lo, v14, v31
	v_cndmask_b32_e64 v1, 0, 1, vcc_lo
	v_cmp_neq_f32_e32 vcc_lo, v14, v31
	v_cndmask_b32_e64 v2, 0, 1, vcc_lo
	s_delay_alu instid0(VALU_DEP_1) | instskip(SKIP_1) | instid1(VALU_DEP_2)
	v_dual_cndmask_b32 v1, v2, v1, s0 :: v_dual_add_nc_u32 v2, s2, v0
	v_add_nc_u32_e32 v0, 0x100, v0
	v_and_b32_e32 v1, 1, v1
	global_store_b8 v2, v1, s[4:5]
	s_wait_xcnt 0x0
	s_or_b32 exec_lo, exec_lo, s3
	s_delay_alu instid0(SALU_CYCLE_1)
	s_mov_b32 s3, exec_lo
	v_cmpx_gt_i32_e64 s1, v0
	s_cbranch_execz .LBB98_50
.LBB98_67:
	s_wait_loadcnt 0x0
	v_cmp_eq_f32_e32 vcc_lo, v32, v33
	v_cndmask_b32_e64 v1, 0, 1, vcc_lo
	v_cmp_neq_f32_e32 vcc_lo, v32, v33
	v_cndmask_b32_e64 v2, 0, 1, vcc_lo
	s_delay_alu instid0(VALU_DEP_1) | instskip(SKIP_1) | instid1(VALU_DEP_2)
	v_dual_cndmask_b32 v1, v2, v1, s0 :: v_dual_add_nc_u32 v2, s2, v0
	v_add_nc_u32_e32 v0, 0x100, v0
	v_and_b32_e32 v1, 1, v1
	global_store_b8 v2, v1, s[4:5]
	s_wait_xcnt 0x0
	s_or_b32 exec_lo, exec_lo, s3
	v_cmp_gt_i32_e32 vcc_lo, s1, v0
	s_and_saveexec_b32 s1, vcc_lo
	s_cbranch_execnz .LBB98_51
	s_branch .LBB98_52
	.section	.rodata,"a",@progbits
	.p2align	6, 0x0
	.amdhsa_kernel _ZN2at6native29vectorized_elementwise_kernelILi4ENS0_13BinaryFunctorIffbNS0_12_GLOBAL__N_116CompareEqFunctorIfEEEESt5arrayIPcLm3EEEEviT0_T1_
		.amdhsa_group_segment_fixed_size 0
		.amdhsa_private_segment_fixed_size 0
		.amdhsa_kernarg_size 32
		.amdhsa_user_sgpr_count 2
		.amdhsa_user_sgpr_dispatch_ptr 0
		.amdhsa_user_sgpr_queue_ptr 0
		.amdhsa_user_sgpr_kernarg_segment_ptr 1
		.amdhsa_user_sgpr_dispatch_id 0
		.amdhsa_user_sgpr_kernarg_preload_length 0
		.amdhsa_user_sgpr_kernarg_preload_offset 0
		.amdhsa_user_sgpr_private_segment_size 0
		.amdhsa_wavefront_size32 1
		.amdhsa_uses_dynamic_stack 0
		.amdhsa_enable_private_segment 0
		.amdhsa_system_sgpr_workgroup_id_x 1
		.amdhsa_system_sgpr_workgroup_id_y 0
		.amdhsa_system_sgpr_workgroup_id_z 0
		.amdhsa_system_sgpr_workgroup_info 0
		.amdhsa_system_vgpr_workitem_id 0
		.amdhsa_next_free_vgpr 36
		.amdhsa_next_free_sgpr 16
		.amdhsa_named_barrier_count 0
		.amdhsa_reserve_vcc 1
		.amdhsa_float_round_mode_32 0
		.amdhsa_float_round_mode_16_64 0
		.amdhsa_float_denorm_mode_32 3
		.amdhsa_float_denorm_mode_16_64 3
		.amdhsa_fp16_overflow 0
		.amdhsa_memory_ordered 1
		.amdhsa_forward_progress 1
		.amdhsa_inst_pref_size 33
		.amdhsa_round_robin_scheduling 0
		.amdhsa_exception_fp_ieee_invalid_op 0
		.amdhsa_exception_fp_denorm_src 0
		.amdhsa_exception_fp_ieee_div_zero 0
		.amdhsa_exception_fp_ieee_overflow 0
		.amdhsa_exception_fp_ieee_underflow 0
		.amdhsa_exception_fp_ieee_inexact 0
		.amdhsa_exception_int_div_zero 0
	.end_amdhsa_kernel
	.section	.text._ZN2at6native29vectorized_elementwise_kernelILi4ENS0_13BinaryFunctorIffbNS0_12_GLOBAL__N_116CompareEqFunctorIfEEEESt5arrayIPcLm3EEEEviT0_T1_,"axG",@progbits,_ZN2at6native29vectorized_elementwise_kernelILi4ENS0_13BinaryFunctorIffbNS0_12_GLOBAL__N_116CompareEqFunctorIfEEEESt5arrayIPcLm3EEEEviT0_T1_,comdat
.Lfunc_end98:
	.size	_ZN2at6native29vectorized_elementwise_kernelILi4ENS0_13BinaryFunctorIffbNS0_12_GLOBAL__N_116CompareEqFunctorIfEEEESt5arrayIPcLm3EEEEviT0_T1_, .Lfunc_end98-_ZN2at6native29vectorized_elementwise_kernelILi4ENS0_13BinaryFunctorIffbNS0_12_GLOBAL__N_116CompareEqFunctorIfEEEESt5arrayIPcLm3EEEEviT0_T1_
                                        ; -- End function
	.set _ZN2at6native29vectorized_elementwise_kernelILi4ENS0_13BinaryFunctorIffbNS0_12_GLOBAL__N_116CompareEqFunctorIfEEEESt5arrayIPcLm3EEEEviT0_T1_.num_vgpr, 36
	.set _ZN2at6native29vectorized_elementwise_kernelILi4ENS0_13BinaryFunctorIffbNS0_12_GLOBAL__N_116CompareEqFunctorIfEEEESt5arrayIPcLm3EEEEviT0_T1_.num_agpr, 0
	.set _ZN2at6native29vectorized_elementwise_kernelILi4ENS0_13BinaryFunctorIffbNS0_12_GLOBAL__N_116CompareEqFunctorIfEEEESt5arrayIPcLm3EEEEviT0_T1_.numbered_sgpr, 16
	.set _ZN2at6native29vectorized_elementwise_kernelILi4ENS0_13BinaryFunctorIffbNS0_12_GLOBAL__N_116CompareEqFunctorIfEEEESt5arrayIPcLm3EEEEviT0_T1_.num_named_barrier, 0
	.set _ZN2at6native29vectorized_elementwise_kernelILi4ENS0_13BinaryFunctorIffbNS0_12_GLOBAL__N_116CompareEqFunctorIfEEEESt5arrayIPcLm3EEEEviT0_T1_.private_seg_size, 0
	.set _ZN2at6native29vectorized_elementwise_kernelILi4ENS0_13BinaryFunctorIffbNS0_12_GLOBAL__N_116CompareEqFunctorIfEEEESt5arrayIPcLm3EEEEviT0_T1_.uses_vcc, 1
	.set _ZN2at6native29vectorized_elementwise_kernelILi4ENS0_13BinaryFunctorIffbNS0_12_GLOBAL__N_116CompareEqFunctorIfEEEESt5arrayIPcLm3EEEEviT0_T1_.uses_flat_scratch, 0
	.set _ZN2at6native29vectorized_elementwise_kernelILi4ENS0_13BinaryFunctorIffbNS0_12_GLOBAL__N_116CompareEqFunctorIfEEEESt5arrayIPcLm3EEEEviT0_T1_.has_dyn_sized_stack, 0
	.set _ZN2at6native29vectorized_elementwise_kernelILi4ENS0_13BinaryFunctorIffbNS0_12_GLOBAL__N_116CompareEqFunctorIfEEEESt5arrayIPcLm3EEEEviT0_T1_.has_recursion, 0
	.set _ZN2at6native29vectorized_elementwise_kernelILi4ENS0_13BinaryFunctorIffbNS0_12_GLOBAL__N_116CompareEqFunctorIfEEEESt5arrayIPcLm3EEEEviT0_T1_.has_indirect_call, 0
	.section	.AMDGPU.csdata,"",@progbits
; Kernel info:
; codeLenInByte = 4140
; TotalNumSgprs: 18
; NumVgprs: 36
; ScratchSize: 0
; MemoryBound: 0
; FloatMode: 240
; IeeeMode: 1
; LDSByteSize: 0 bytes/workgroup (compile time only)
; SGPRBlocks: 0
; VGPRBlocks: 2
; NumSGPRsForWavesPerEU: 18
; NumVGPRsForWavesPerEU: 36
; NamedBarCnt: 0
; Occupancy: 16
; WaveLimiterHint : 1
; COMPUTE_PGM_RSRC2:SCRATCH_EN: 0
; COMPUTE_PGM_RSRC2:USER_SGPR: 2
; COMPUTE_PGM_RSRC2:TRAP_HANDLER: 0
; COMPUTE_PGM_RSRC2:TGID_X_EN: 1
; COMPUTE_PGM_RSRC2:TGID_Y_EN: 0
; COMPUTE_PGM_RSRC2:TGID_Z_EN: 0
; COMPUTE_PGM_RSRC2:TIDIG_COMP_CNT: 0
	.section	.text._ZN2at6native29vectorized_elementwise_kernelILi2ENS0_13BinaryFunctorIffbNS0_12_GLOBAL__N_116CompareEqFunctorIfEEEESt5arrayIPcLm3EEEEviT0_T1_,"axG",@progbits,_ZN2at6native29vectorized_elementwise_kernelILi2ENS0_13BinaryFunctorIffbNS0_12_GLOBAL__N_116CompareEqFunctorIfEEEESt5arrayIPcLm3EEEEviT0_T1_,comdat
	.globl	_ZN2at6native29vectorized_elementwise_kernelILi2ENS0_13BinaryFunctorIffbNS0_12_GLOBAL__N_116CompareEqFunctorIfEEEESt5arrayIPcLm3EEEEviT0_T1_ ; -- Begin function _ZN2at6native29vectorized_elementwise_kernelILi2ENS0_13BinaryFunctorIffbNS0_12_GLOBAL__N_116CompareEqFunctorIfEEEESt5arrayIPcLm3EEEEviT0_T1_
	.p2align	8
	.type	_ZN2at6native29vectorized_elementwise_kernelILi2ENS0_13BinaryFunctorIffbNS0_12_GLOBAL__N_116CompareEqFunctorIfEEEESt5arrayIPcLm3EEEEviT0_T1_,@function
_ZN2at6native29vectorized_elementwise_kernelILi2ENS0_13BinaryFunctorIffbNS0_12_GLOBAL__N_116CompareEqFunctorIfEEEESt5arrayIPcLm3EEEEviT0_T1_: ; @_ZN2at6native29vectorized_elementwise_kernelILi2ENS0_13BinaryFunctorIffbNS0_12_GLOBAL__N_116CompareEqFunctorIfEEEESt5arrayIPcLm3EEEEviT0_T1_
; %bb.0:
	s_clause 0x2
	s_load_b64 s[8:9], s[0:1], 0x0
	s_load_b128 s[4:7], s[0:1], 0x8
	s_load_b64 s[10:11], s[0:1], 0x18
	s_wait_xcnt 0x0
	s_bfe_u32 s0, ttmp6, 0x4000c
	s_and_b32 s1, ttmp6, 15
	s_add_co_i32 s0, s0, 1
	s_getreg_b32 s2, hwreg(HW_REG_IB_STS2, 6, 4)
	s_mul_i32 s0, ttmp9, s0
	s_mov_b32 s12, -1
	s_add_co_i32 s1, s1, s0
	s_cmp_eq_u32 s2, 0
	s_cselect_b32 s0, ttmp9, s1
	s_delay_alu instid0(SALU_CYCLE_1) | instskip(SKIP_2) | instid1(SALU_CYCLE_1)
	s_lshl_b32 s2, s0, 12
	s_wait_kmcnt 0x0
	s_sub_co_i32 s8, s8, s2
	s_cmp_gt_i32 s8, 0xfff
	s_cbranch_scc0 .LBB99_2
; %bb.1:
	s_ashr_i32 s3, s2, 31
	s_delay_alu instid0(SALU_CYCLE_1)
	s_lshl_b64 s[0:1], s[2:3], 2
	s_cmp_eq_u32 s9, 0
	s_add_nc_u64 s[12:13], s[10:11], s[0:1]
	s_add_nc_u64 s[0:1], s[6:7], s[0:1]
	s_clause 0xf
	global_load_b64 v[2:3], v0, s[12:13] scale_offset
	global_load_b64 v[4:5], v0, s[0:1] scale_offset
	global_load_b64 v[6:7], v0, s[0:1] offset:2048 scale_offset
	global_load_b64 v[8:9], v0, s[12:13] offset:2048 scale_offset
	;; [unrolled: 1-line block ×13, first 2 shown]
	; meta instruction
	global_load_b64 v[32:33], v0, s[12:13] offset:14336 scale_offset
	s_wait_xcnt 0x1
	s_add_nc_u64 s[0:1], s[4:5], s[2:3]
	s_wait_xcnt 0x0
	s_mov_b32 s12, 0
	s_wait_loadcnt 0xe
	v_cmp_eq_f32_e32 vcc_lo, v4, v2
	v_cndmask_b32_e64 v1, 0, 1, vcc_lo
	v_cmp_neq_f32_e32 vcc_lo, v4, v2
	v_cndmask_b32_e64 v2, 0, 1, vcc_lo
	v_cmp_eq_f32_e32 vcc_lo, v5, v3
	v_cndmask_b32_e64 v4, 0, 1, vcc_lo
	v_cmp_neq_f32_e32 vcc_lo, v5, v3
	v_cndmask_b32_e64 v3, 0, 1, vcc_lo
	s_wait_loadcnt 0xc
	v_cmp_eq_f32_e32 vcc_lo, v6, v8
	v_cndmask_b32_e64 v5, 0, 1, vcc_lo
	v_cmp_neq_f32_e32 vcc_lo, v6, v8
	v_cndmask_b32_e64 v6, 0, 1, vcc_lo
	v_cmp_eq_f32_e32 vcc_lo, v7, v9
	v_cndmask_b32_e64 v8, 0, 1, vcc_lo
	v_cmp_neq_f32_e32 vcc_lo, v7, v9
	v_cndmask_b32_e64 v7, 0, 1, vcc_lo
	;; [unrolled: 9-line block ×8, first 2 shown]
	s_cselect_b32 vcc_lo, -1, 0
	v_dual_cndmask_b32 v1, v2, v1 :: v_dual_cndmask_b32 v2, v3, v4
	v_dual_cndmask_b32 v3, v6, v5 :: v_dual_cndmask_b32 v4, v7, v8
	;; [unrolled: 1-line block ×3, first 2 shown]
	s_delay_alu instid0(VALU_DEP_3)
	v_dual_cndmask_b32 v7, v14, v13, vcc_lo :: v_dual_bitop2_b32 v2, 1, v2 bitop3:0x40
	v_dual_cndmask_b32 v8, v15, v16 :: v_dual_cndmask_b32 v9, v18, v17
	v_dual_cndmask_b32 v10, v19, v20 :: v_dual_cndmask_b32 v11, v22, v21
	;; [unrolled: 1-line block ×4, first 2 shown]
	v_cndmask_b32_e32 v16, v31, v32, vcc_lo
	v_and_b32_e32 v4, 1, v4
	v_cmp_eq_u32_e32 vcc_lo, 1, v2
	v_and_b32_e32 v6, 1, v6
	v_and_b32_e32 v8, 1, v8
	;; [unrolled: 1-line block ×4, first 2 shown]
	v_cndmask_b32_e64 v2, 0, 0x100, vcc_lo
	v_cmp_eq_u32_e32 vcc_lo, 1, v4
	v_and_b32_e32 v14, 1, v14
	v_and_b32_e32 v16, 1, v16
	s_delay_alu instid0(VALU_DEP_4) | instskip(SKIP_2) | instid1(VALU_DEP_2)
	v_bitop3_b16 v1, v2, v1, 1 bitop3:0xf8
	v_cndmask_b32_e64 v4, 0, 0x100, vcc_lo
	v_cmp_eq_u32_e32 vcc_lo, 1, v6
	v_bitop3_b16 v2, v4, v3, 1 bitop3:0xf8
	v_cndmask_b32_e64 v6, 0, 0x100, vcc_lo
	v_cmp_eq_u32_e32 vcc_lo, 1, v8
	s_delay_alu instid0(VALU_DEP_2) | instskip(SKIP_2) | instid1(VALU_DEP_2)
	v_bitop3_b16 v3, v6, v5, 1 bitop3:0xf8
	v_cndmask_b32_e64 v8, 0, 0x100, vcc_lo
	v_cmp_eq_u32_e32 vcc_lo, 1, v10
	v_bitop3_b16 v4, v8, v7, 1 bitop3:0xf8
	v_cndmask_b32_e64 v10, 0, 0x100, vcc_lo
	v_cmp_eq_u32_e32 vcc_lo, 1, v12
	s_delay_alu instid0(VALU_DEP_2) | instskip(SKIP_2) | instid1(VALU_DEP_2)
	v_bitop3_b16 v5, v10, v9, 1 bitop3:0xf8
	v_cndmask_b32_e64 v12, 0, 0x100, vcc_lo
	v_cmp_eq_u32_e32 vcc_lo, 1, v14
	v_bitop3_b16 v6, v12, v11, 1 bitop3:0xf8
	v_cndmask_b32_e64 v14, 0, 0x100, vcc_lo
	v_cmp_eq_u32_e32 vcc_lo, 1, v16
	s_delay_alu instid0(VALU_DEP_2) | instskip(SKIP_1) | instid1(VALU_DEP_1)
	v_bitop3_b16 v7, v14, v13, 1 bitop3:0xf8
	v_cndmask_b32_e64 v16, 0, 0x100, vcc_lo
	v_bitop3_b16 v8, v16, v15, 1 bitop3:0xf8
	s_clause 0x7
	global_store_b16 v0, v1, s[0:1] scale_offset
	global_store_b16 v0, v2, s[0:1] offset:512 scale_offset
	global_store_b16 v0, v3, s[0:1] offset:1024 scale_offset
	;; [unrolled: 1-line block ×7, first 2 shown]
.LBB99_2:
	s_and_not1_b32 vcc_lo, exec_lo, s12
	s_cbranch_vccnz .LBB99_52
; %bb.3:
	v_cmp_gt_i32_e32 vcc_lo, s8, v0
	s_wait_xcnt 0x4
	v_dual_mov_b32 v1, 0 :: v_dual_bitop2_b32 v4, s2, v0 bitop3:0x54
	s_wait_xcnt 0x3
	v_or_b32_e32 v5, 0x100, v0
	s_wait_xcnt 0x0
	v_dual_mov_b32 v8, 0 :: v_dual_mov_b32 v9, 0
	v_mov_b32_e32 v35, v0
	s_and_saveexec_b32 s0, vcc_lo
	s_cbranch_execz .LBB99_5
; %bb.4:
	s_clause 0x1
	global_load_b32 v8, v4, s[6:7] scale_offset
	global_load_b32 v9, v4, s[10:11] scale_offset
	v_or_b32_e32 v35, 0x100, v0
.LBB99_5:
	s_wait_xcnt 0x0
	s_or_b32 exec_lo, exec_lo, s0
	v_mov_b32_e32 v11, 0
	s_mov_b32 s1, exec_lo
	v_cmpx_gt_i32_e64 s8, v35
	s_cbranch_execz .LBB99_7
; %bb.6:
	v_add_nc_u32_e32 v2, s2, v35
	v_add_nc_u32_e32 v35, 0x100, v35
	s_clause 0x1
	global_load_b32 v1, v2, s[6:7] scale_offset
	global_load_b32 v11, v2, s[10:11] scale_offset
.LBB99_7:
	s_wait_xcnt 0x0
	s_or_b32 exec_lo, exec_lo, s1
	v_dual_mov_b32 v2, 0 :: v_dual_mov_b32 v12, 0
	v_mov_b32_e32 v13, 0
	s_mov_b32 s1, exec_lo
	v_cmpx_gt_i32_e64 s8, v35
	s_cbranch_execz .LBB99_9
; %bb.8:
	v_add_nc_u32_e32 v3, s2, v35
	v_add_nc_u32_e32 v35, 0x100, v35
	s_clause 0x1
	global_load_b32 v12, v3, s[6:7] scale_offset
	global_load_b32 v13, v3, s[10:11] scale_offset
.LBB99_9:
	s_wait_xcnt 0x0
	s_or_b32 exec_lo, exec_lo, s1
	v_mov_b32_e32 v15, 0
	s_mov_b32 s1, exec_lo
	v_cmpx_gt_i32_e64 s8, v35
	s_cbranch_execz .LBB99_11
; %bb.10:
	v_add_nc_u32_e32 v3, s2, v35
	v_add_nc_u32_e32 v35, 0x100, v35
	s_clause 0x1
	global_load_b32 v2, v3, s[6:7] scale_offset
	global_load_b32 v15, v3, s[10:11] scale_offset
.LBB99_11:
	s_wait_xcnt 0x0
	s_or_b32 exec_lo, exec_lo, s1
	v_dual_mov_b32 v3, 0 :: v_dual_mov_b32 v16, 0
	v_mov_b32_e32 v17, 0
	s_mov_b32 s1, exec_lo
	v_cmpx_gt_i32_e64 s8, v35
	s_cbranch_execz .LBB99_13
; %bb.12:
	v_add_nc_u32_e32 v6, s2, v35
	v_add_nc_u32_e32 v35, 0x100, v35
	s_clause 0x1
	global_load_b32 v16, v6, s[6:7] scale_offset
	global_load_b32 v17, v6, s[10:11] scale_offset
.LBB99_13:
	s_wait_xcnt 0x0
	s_or_b32 exec_lo, exec_lo, s1
	v_mov_b32_e32 v19, 0
	s_mov_b32 s1, exec_lo
	v_cmpx_gt_i32_e64 s8, v35
	s_cbranch_execz .LBB99_15
; %bb.14:
	v_add_nc_u32_e32 v6, s2, v35
	v_add_nc_u32_e32 v35, 0x100, v35
	s_clause 0x1
	global_load_b32 v3, v6, s[6:7] scale_offset
	global_load_b32 v19, v6, s[10:11] scale_offset
.LBB99_15:
	s_wait_xcnt 0x0
	s_or_b32 exec_lo, exec_lo, s1
	v_dual_mov_b32 v6, 0 :: v_dual_mov_b32 v20, 0
	v_mov_b32_e32 v21, 0
	s_mov_b32 s1, exec_lo
	v_cmpx_gt_i32_e64 s8, v35
	s_cbranch_execz .LBB99_17
; %bb.16:
	v_add_nc_u32_e32 v7, s2, v35
	v_add_nc_u32_e32 v35, 0x100, v35
	s_clause 0x1
	global_load_b32 v20, v7, s[6:7] scale_offset
	global_load_b32 v21, v7, s[10:11] scale_offset
.LBB99_17:
	s_wait_xcnt 0x0
	s_or_b32 exec_lo, exec_lo, s1
	v_mov_b32_e32 v22, 0
	s_mov_b32 s1, exec_lo
	v_cmpx_gt_i32_e64 s8, v35
	s_cbranch_execz .LBB99_19
; %bb.18:
	v_add_nc_u32_e32 v7, s2, v35
	v_add_nc_u32_e32 v35, 0x100, v35
	s_clause 0x1
	global_load_b32 v6, v7, s[6:7] scale_offset
	global_load_b32 v22, v7, s[10:11] scale_offset
.LBB99_19:
	s_wait_xcnt 0x0
	s_or_b32 exec_lo, exec_lo, s1
	v_dual_mov_b32 v7, 0 :: v_dual_mov_b32 v23, 0
	v_mov_b32_e32 v24, 0
	s_mov_b32 s1, exec_lo
	v_cmpx_gt_i32_e64 s8, v35
	s_cbranch_execz .LBB99_21
; %bb.20:
	v_add_nc_u32_e32 v10, s2, v35
	v_add_nc_u32_e32 v35, 0x100, v35
	s_clause 0x1
	global_load_b32 v23, v10, s[6:7] scale_offset
	global_load_b32 v24, v10, s[10:11] scale_offset
.LBB99_21:
	s_wait_xcnt 0x0
	s_or_b32 exec_lo, exec_lo, s1
	v_mov_b32_e32 v25, 0
	s_mov_b32 s1, exec_lo
	v_cmpx_gt_i32_e64 s8, v35
	s_cbranch_execz .LBB99_23
; %bb.22:
	v_add_nc_u32_e32 v10, s2, v35
	v_add_nc_u32_e32 v35, 0x100, v35
	s_clause 0x1
	global_load_b32 v7, v10, s[6:7] scale_offset
	global_load_b32 v25, v10, s[10:11] scale_offset
.LBB99_23:
	s_wait_xcnt 0x0
	s_or_b32 exec_lo, exec_lo, s1
	v_dual_mov_b32 v10, 0 :: v_dual_mov_b32 v26, 0
	v_mov_b32_e32 v27, 0
	s_mov_b32 s1, exec_lo
	v_cmpx_gt_i32_e64 s8, v35
	s_cbranch_execz .LBB99_25
; %bb.24:
	v_add_nc_u32_e32 v14, s2, v35
	v_add_nc_u32_e32 v35, 0x100, v35
	s_clause 0x1
	global_load_b32 v26, v14, s[6:7] scale_offset
	global_load_b32 v27, v14, s[10:11] scale_offset
.LBB99_25:
	s_wait_xcnt 0x0
	s_or_b32 exec_lo, exec_lo, s1
	v_mov_b32_e32 v28, 0
	s_mov_b32 s1, exec_lo
	v_cmpx_gt_i32_e64 s8, v35
	s_cbranch_execz .LBB99_27
; %bb.26:
	v_add_nc_u32_e32 v14, s2, v35
	v_add_nc_u32_e32 v35, 0x100, v35
	s_clause 0x1
	global_load_b32 v10, v14, s[6:7] scale_offset
	global_load_b32 v28, v14, s[10:11] scale_offset
.LBB99_27:
	s_wait_xcnt 0x0
	s_or_b32 exec_lo, exec_lo, s1
	v_dual_mov_b32 v14, 0 :: v_dual_mov_b32 v29, 0
	v_mov_b32_e32 v30, 0
	s_mov_b32 s1, exec_lo
	v_cmpx_gt_i32_e64 s8, v35
	s_cbranch_execz .LBB99_29
; %bb.28:
	v_add_nc_u32_e32 v18, s2, v35
	v_add_nc_u32_e32 v35, 0x100, v35
	s_clause 0x1
	global_load_b32 v29, v18, s[6:7] scale_offset
	global_load_b32 v30, v18, s[10:11] scale_offset
.LBB99_29:
	s_wait_xcnt 0x0
	s_or_b32 exec_lo, exec_lo, s1
	v_mov_b32_e32 v31, 0
	s_mov_b32 s1, exec_lo
	v_cmpx_gt_i32_e64 s8, v35
	s_cbranch_execz .LBB99_31
; %bb.30:
	v_add_nc_u32_e32 v18, s2, v35
	v_add_nc_u32_e32 v35, 0x100, v35
	s_clause 0x1
	global_load_b32 v14, v18, s[6:7] scale_offset
	global_load_b32 v31, v18, s[10:11] scale_offset
.LBB99_31:
	s_wait_xcnt 0x0
	s_or_b32 exec_lo, exec_lo, s1
	v_dual_mov_b32 v18, 0 :: v_dual_mov_b32 v32, 0
	v_mov_b32_e32 v33, 0
	s_mov_b32 s1, exec_lo
	v_cmpx_gt_i32_e64 s8, v35
	s_cbranch_execz .LBB99_33
; %bb.32:
	v_add_nc_u32_e32 v34, s2, v35
	v_add_nc_u32_e32 v35, 0x100, v35
	s_clause 0x1
	global_load_b32 v32, v34, s[6:7] scale_offset
	global_load_b32 v33, v34, s[10:11] scale_offset
.LBB99_33:
	s_wait_xcnt 0x0
	s_or_b32 exec_lo, exec_lo, s1
	v_mov_b32_e32 v34, 0
	s_mov_b32 s1, exec_lo
	v_cmpx_gt_i32_e64 s8, v35
	s_cbranch_execz .LBB99_35
; %bb.34:
	v_add_nc_u32_e32 v35, s2, v35
	s_clause 0x1
	global_load_b32 v18, v35, s[6:7] scale_offset
	global_load_b32 v34, v35, s[10:11] scale_offset
.LBB99_35:
	s_wait_xcnt 0x0
	s_or_b32 exec_lo, exec_lo, s1
	s_cmp_eq_u32 s9, 0
	s_cselect_b32 s0, -1, 0
	s_and_saveexec_b32 s1, vcc_lo
	s_cbranch_execnz .LBB99_53
; %bb.36:
	s_or_b32 exec_lo, exec_lo, s1
	s_delay_alu instid0(SALU_CYCLE_1)
	s_mov_b32 s1, exec_lo
	v_cmpx_gt_i32_e64 s8, v0
	s_cbranch_execnz .LBB99_54
.LBB99_37:
	s_or_b32 exec_lo, exec_lo, s1
	s_delay_alu instid0(SALU_CYCLE_1)
	s_mov_b32 s1, exec_lo
	v_cmpx_gt_i32_e64 s8, v0
	s_cbranch_execnz .LBB99_55
.LBB99_38:
	s_or_b32 exec_lo, exec_lo, s1
	s_delay_alu instid0(SALU_CYCLE_1)
	s_mov_b32 s1, exec_lo
	v_cmpx_gt_i32_e64 s8, v0
	s_cbranch_execnz .LBB99_56
.LBB99_39:
	s_or_b32 exec_lo, exec_lo, s1
	s_delay_alu instid0(SALU_CYCLE_1)
	s_mov_b32 s1, exec_lo
	v_cmpx_gt_i32_e64 s8, v0
	s_cbranch_execnz .LBB99_57
.LBB99_40:
	s_or_b32 exec_lo, exec_lo, s1
	s_delay_alu instid0(SALU_CYCLE_1)
	s_mov_b32 s1, exec_lo
	v_cmpx_gt_i32_e64 s8, v0
	s_cbranch_execnz .LBB99_58
.LBB99_41:
	s_or_b32 exec_lo, exec_lo, s1
	s_delay_alu instid0(SALU_CYCLE_1)
	s_mov_b32 s1, exec_lo
	v_cmpx_gt_i32_e64 s8, v0
	s_cbranch_execnz .LBB99_59
.LBB99_42:
	s_or_b32 exec_lo, exec_lo, s1
	s_delay_alu instid0(SALU_CYCLE_1)
	s_mov_b32 s1, exec_lo
	v_cmpx_gt_i32_e64 s8, v0
	s_cbranch_execnz .LBB99_60
.LBB99_43:
	s_or_b32 exec_lo, exec_lo, s1
	s_delay_alu instid0(SALU_CYCLE_1)
	s_mov_b32 s1, exec_lo
	v_cmpx_gt_i32_e64 s8, v0
	s_cbranch_execnz .LBB99_61
.LBB99_44:
	s_or_b32 exec_lo, exec_lo, s1
	s_delay_alu instid0(SALU_CYCLE_1)
	s_mov_b32 s1, exec_lo
	v_cmpx_gt_i32_e64 s8, v0
	s_cbranch_execnz .LBB99_62
.LBB99_45:
	s_or_b32 exec_lo, exec_lo, s1
	s_delay_alu instid0(SALU_CYCLE_1)
	s_mov_b32 s1, exec_lo
	v_cmpx_gt_i32_e64 s8, v0
	s_cbranch_execnz .LBB99_63
.LBB99_46:
	s_or_b32 exec_lo, exec_lo, s1
	s_delay_alu instid0(SALU_CYCLE_1)
	s_mov_b32 s1, exec_lo
	v_cmpx_gt_i32_e64 s8, v0
	s_cbranch_execnz .LBB99_64
.LBB99_47:
	s_or_b32 exec_lo, exec_lo, s1
	s_delay_alu instid0(SALU_CYCLE_1)
	s_mov_b32 s1, exec_lo
	v_cmpx_gt_i32_e64 s8, v0
	s_cbranch_execnz .LBB99_65
.LBB99_48:
	s_or_b32 exec_lo, exec_lo, s1
	s_delay_alu instid0(SALU_CYCLE_1)
	s_mov_b32 s1, exec_lo
	v_cmpx_gt_i32_e64 s8, v0
	s_cbranch_execnz .LBB99_66
.LBB99_49:
	s_or_b32 exec_lo, exec_lo, s1
	s_delay_alu instid0(SALU_CYCLE_1)
	s_mov_b32 s1, exec_lo
	v_cmpx_gt_i32_e64 s8, v0
	s_cbranch_execnz .LBB99_67
.LBB99_50:
	s_or_b32 exec_lo, exec_lo, s1
	s_delay_alu instid0(SALU_CYCLE_1)
	s_mov_b32 s1, exec_lo
	v_cmpx_gt_i32_e64 s8, v0
	s_cbranch_execz .LBB99_52
.LBB99_51:
	s_wait_loadcnt 0x0
	v_cmp_eq_f32_e32 vcc_lo, v18, v34
	v_add_nc_u32_e32 v0, s2, v0
	v_cndmask_b32_e64 v1, 0, 1, vcc_lo
	v_cmp_neq_f32_e32 vcc_lo, v18, v34
	v_cndmask_b32_e64 v2, 0, 1, vcc_lo
	s_delay_alu instid0(VALU_DEP_1) | instskip(NEXT) | instid1(VALU_DEP_1)
	v_cndmask_b32_e64 v1, v2, v1, s0
	v_and_b32_e32 v1, 1, v1
	global_store_b8 v0, v1, s[4:5]
.LBB99_52:
	s_endpgm
.LBB99_53:
	s_wait_loadcnt 0x0
	v_cmp_eq_f32_e32 vcc_lo, v8, v9
	v_cndmask_b32_e64 v0, 0, 1, vcc_lo
	v_cmp_neq_f32_e32 vcc_lo, v8, v9
	v_cndmask_b32_e64 v8, 0, 1, vcc_lo
	s_delay_alu instid0(VALU_DEP_1) | instskip(NEXT) | instid1(VALU_DEP_1)
	v_cndmask_b32_e64 v0, v8, v0, s0
	v_dual_mov_b32 v0, v5 :: v_dual_bitop2_b32 v8, 1, v0 bitop3:0x40
	global_store_b8 v4, v8, s[4:5]
	s_wait_xcnt 0x0
	s_or_b32 exec_lo, exec_lo, s1
	s_delay_alu instid0(SALU_CYCLE_1)
	s_mov_b32 s1, exec_lo
	v_cmpx_gt_i32_e64 s8, v0
	s_cbranch_execz .LBB99_37
.LBB99_54:
	s_wait_loadcnt 0x0
	v_cmp_eq_f32_e32 vcc_lo, v1, v11
	v_cndmask_b32_e64 v4, 0, 1, vcc_lo
	v_cmp_neq_f32_e32 vcc_lo, v1, v11
	v_cndmask_b32_e64 v1, 0, 1, vcc_lo
	s_delay_alu instid0(VALU_DEP_1) | instskip(SKIP_2) | instid1(VALU_DEP_3)
	v_cndmask_b32_e64 v1, v1, v4, s0
	v_add_nc_u32_e32 v4, s2, v0
	v_add_nc_u32_e32 v0, 0x100, v0
	v_and_b32_e32 v1, 1, v1
	global_store_b8 v4, v1, s[4:5]
	s_wait_xcnt 0x0
	s_or_b32 exec_lo, exec_lo, s1
	s_delay_alu instid0(SALU_CYCLE_1)
	s_mov_b32 s1, exec_lo
	v_cmpx_gt_i32_e64 s8, v0
	s_cbranch_execz .LBB99_38
.LBB99_55:
	s_wait_loadcnt 0x0
	v_cmp_eq_f32_e32 vcc_lo, v12, v13
	v_cndmask_b32_e64 v1, 0, 1, vcc_lo
	v_cmp_neq_f32_e32 vcc_lo, v12, v13
	v_cndmask_b32_e64 v4, 0, 1, vcc_lo
	s_delay_alu instid0(VALU_DEP_1) | instskip(SKIP_1) | instid1(VALU_DEP_2)
	v_dual_cndmask_b32 v1, v4, v1, s0 :: v_dual_add_nc_u32 v4, s2, v0
	v_add_nc_u32_e32 v0, 0x100, v0
	v_and_b32_e32 v1, 1, v1
	global_store_b8 v4, v1, s[4:5]
	s_wait_xcnt 0x0
	s_or_b32 exec_lo, exec_lo, s1
	s_delay_alu instid0(SALU_CYCLE_1)
	s_mov_b32 s1, exec_lo
	v_cmpx_gt_i32_e64 s8, v0
	s_cbranch_execz .LBB99_39
.LBB99_56:
	s_wait_loadcnt 0x0
	v_cmp_eq_f32_e32 vcc_lo, v2, v15
	v_cndmask_b32_e64 v1, 0, 1, vcc_lo
	v_cmp_neq_f32_e32 vcc_lo, v2, v15
	v_cndmask_b32_e64 v2, 0, 1, vcc_lo
	s_delay_alu instid0(VALU_DEP_1) | instskip(SKIP_1) | instid1(VALU_DEP_2)
	v_dual_cndmask_b32 v1, v2, v1, s0 :: v_dual_add_nc_u32 v2, s2, v0
	v_add_nc_u32_e32 v0, 0x100, v0
	v_and_b32_e32 v1, 1, v1
	global_store_b8 v2, v1, s[4:5]
	s_wait_xcnt 0x0
	s_or_b32 exec_lo, exec_lo, s1
	s_delay_alu instid0(SALU_CYCLE_1)
	s_mov_b32 s1, exec_lo
	v_cmpx_gt_i32_e64 s8, v0
	s_cbranch_execz .LBB99_40
.LBB99_57:
	s_wait_loadcnt 0x0
	v_cmp_eq_f32_e32 vcc_lo, v16, v17
	v_cndmask_b32_e64 v1, 0, 1, vcc_lo
	v_cmp_neq_f32_e32 vcc_lo, v16, v17
	v_cndmask_b32_e64 v2, 0, 1, vcc_lo
	s_delay_alu instid0(VALU_DEP_1) | instskip(SKIP_1) | instid1(VALU_DEP_2)
	v_dual_cndmask_b32 v1, v2, v1, s0 :: v_dual_add_nc_u32 v2, s2, v0
	v_add_nc_u32_e32 v0, 0x100, v0
	v_and_b32_e32 v1, 1, v1
	global_store_b8 v2, v1, s[4:5]
	s_wait_xcnt 0x0
	s_or_b32 exec_lo, exec_lo, s1
	s_delay_alu instid0(SALU_CYCLE_1)
	s_mov_b32 s1, exec_lo
	v_cmpx_gt_i32_e64 s8, v0
	s_cbranch_execz .LBB99_41
.LBB99_58:
	s_wait_loadcnt 0x0
	v_cmp_eq_f32_e32 vcc_lo, v3, v19
	v_cndmask_b32_e64 v1, 0, 1, vcc_lo
	v_cmp_neq_f32_e32 vcc_lo, v3, v19
	v_cndmask_b32_e64 v2, 0, 1, vcc_lo
	s_delay_alu instid0(VALU_DEP_1) | instskip(SKIP_1) | instid1(VALU_DEP_2)
	v_dual_cndmask_b32 v1, v2, v1, s0 :: v_dual_add_nc_u32 v2, s2, v0
	v_add_nc_u32_e32 v0, 0x100, v0
	v_and_b32_e32 v1, 1, v1
	global_store_b8 v2, v1, s[4:5]
	s_wait_xcnt 0x0
	s_or_b32 exec_lo, exec_lo, s1
	s_delay_alu instid0(SALU_CYCLE_1)
	s_mov_b32 s1, exec_lo
	v_cmpx_gt_i32_e64 s8, v0
	s_cbranch_execz .LBB99_42
.LBB99_59:
	s_wait_loadcnt 0x0
	v_cmp_eq_f32_e32 vcc_lo, v20, v21
	v_cndmask_b32_e64 v1, 0, 1, vcc_lo
	v_cmp_neq_f32_e32 vcc_lo, v20, v21
	v_cndmask_b32_e64 v2, 0, 1, vcc_lo
	s_delay_alu instid0(VALU_DEP_1) | instskip(SKIP_1) | instid1(VALU_DEP_2)
	v_dual_cndmask_b32 v1, v2, v1, s0 :: v_dual_add_nc_u32 v2, s2, v0
	v_add_nc_u32_e32 v0, 0x100, v0
	v_and_b32_e32 v1, 1, v1
	global_store_b8 v2, v1, s[4:5]
	s_wait_xcnt 0x0
	s_or_b32 exec_lo, exec_lo, s1
	s_delay_alu instid0(SALU_CYCLE_1)
	s_mov_b32 s1, exec_lo
	v_cmpx_gt_i32_e64 s8, v0
	s_cbranch_execz .LBB99_43
.LBB99_60:
	s_wait_loadcnt 0x0
	v_cmp_eq_f32_e32 vcc_lo, v6, v22
	v_cndmask_b32_e64 v1, 0, 1, vcc_lo
	v_cmp_neq_f32_e32 vcc_lo, v6, v22
	v_cndmask_b32_e64 v2, 0, 1, vcc_lo
	s_delay_alu instid0(VALU_DEP_1) | instskip(SKIP_1) | instid1(VALU_DEP_2)
	v_dual_cndmask_b32 v1, v2, v1, s0 :: v_dual_add_nc_u32 v2, s2, v0
	v_add_nc_u32_e32 v0, 0x100, v0
	v_and_b32_e32 v1, 1, v1
	global_store_b8 v2, v1, s[4:5]
	s_wait_xcnt 0x0
	s_or_b32 exec_lo, exec_lo, s1
	s_delay_alu instid0(SALU_CYCLE_1)
	s_mov_b32 s1, exec_lo
	v_cmpx_gt_i32_e64 s8, v0
	s_cbranch_execz .LBB99_44
.LBB99_61:
	s_wait_loadcnt 0x0
	v_cmp_eq_f32_e32 vcc_lo, v23, v24
	v_cndmask_b32_e64 v1, 0, 1, vcc_lo
	v_cmp_neq_f32_e32 vcc_lo, v23, v24
	v_cndmask_b32_e64 v2, 0, 1, vcc_lo
	s_delay_alu instid0(VALU_DEP_1) | instskip(SKIP_1) | instid1(VALU_DEP_2)
	v_dual_cndmask_b32 v1, v2, v1, s0 :: v_dual_add_nc_u32 v2, s2, v0
	v_add_nc_u32_e32 v0, 0x100, v0
	v_and_b32_e32 v1, 1, v1
	global_store_b8 v2, v1, s[4:5]
	s_wait_xcnt 0x0
	s_or_b32 exec_lo, exec_lo, s1
	s_delay_alu instid0(SALU_CYCLE_1)
	s_mov_b32 s1, exec_lo
	v_cmpx_gt_i32_e64 s8, v0
	s_cbranch_execz .LBB99_45
.LBB99_62:
	s_wait_loadcnt 0x0
	v_cmp_eq_f32_e32 vcc_lo, v7, v25
	v_cndmask_b32_e64 v1, 0, 1, vcc_lo
	v_cmp_neq_f32_e32 vcc_lo, v7, v25
	v_cndmask_b32_e64 v2, 0, 1, vcc_lo
	s_delay_alu instid0(VALU_DEP_1) | instskip(SKIP_1) | instid1(VALU_DEP_2)
	v_dual_cndmask_b32 v1, v2, v1, s0 :: v_dual_add_nc_u32 v2, s2, v0
	v_add_nc_u32_e32 v0, 0x100, v0
	v_and_b32_e32 v1, 1, v1
	global_store_b8 v2, v1, s[4:5]
	s_wait_xcnt 0x0
	s_or_b32 exec_lo, exec_lo, s1
	s_delay_alu instid0(SALU_CYCLE_1)
	s_mov_b32 s1, exec_lo
	v_cmpx_gt_i32_e64 s8, v0
	s_cbranch_execz .LBB99_46
.LBB99_63:
	s_wait_loadcnt 0x0
	v_cmp_eq_f32_e32 vcc_lo, v26, v27
	v_cndmask_b32_e64 v1, 0, 1, vcc_lo
	v_cmp_neq_f32_e32 vcc_lo, v26, v27
	v_cndmask_b32_e64 v2, 0, 1, vcc_lo
	s_delay_alu instid0(VALU_DEP_1) | instskip(SKIP_1) | instid1(VALU_DEP_2)
	v_dual_cndmask_b32 v1, v2, v1, s0 :: v_dual_add_nc_u32 v2, s2, v0
	v_add_nc_u32_e32 v0, 0x100, v0
	v_and_b32_e32 v1, 1, v1
	global_store_b8 v2, v1, s[4:5]
	s_wait_xcnt 0x0
	s_or_b32 exec_lo, exec_lo, s1
	s_delay_alu instid0(SALU_CYCLE_1)
	s_mov_b32 s1, exec_lo
	v_cmpx_gt_i32_e64 s8, v0
	s_cbranch_execz .LBB99_47
.LBB99_64:
	s_wait_loadcnt 0x0
	v_cmp_eq_f32_e32 vcc_lo, v10, v28
	v_cndmask_b32_e64 v1, 0, 1, vcc_lo
	v_cmp_neq_f32_e32 vcc_lo, v10, v28
	v_cndmask_b32_e64 v2, 0, 1, vcc_lo
	s_delay_alu instid0(VALU_DEP_1) | instskip(SKIP_1) | instid1(VALU_DEP_2)
	v_dual_cndmask_b32 v1, v2, v1, s0 :: v_dual_add_nc_u32 v2, s2, v0
	v_add_nc_u32_e32 v0, 0x100, v0
	v_and_b32_e32 v1, 1, v1
	global_store_b8 v2, v1, s[4:5]
	s_wait_xcnt 0x0
	s_or_b32 exec_lo, exec_lo, s1
	s_delay_alu instid0(SALU_CYCLE_1)
	s_mov_b32 s1, exec_lo
	v_cmpx_gt_i32_e64 s8, v0
	s_cbranch_execz .LBB99_48
.LBB99_65:
	s_wait_loadcnt 0x0
	v_cmp_eq_f32_e32 vcc_lo, v29, v30
	v_cndmask_b32_e64 v1, 0, 1, vcc_lo
	v_cmp_neq_f32_e32 vcc_lo, v29, v30
	v_cndmask_b32_e64 v2, 0, 1, vcc_lo
	s_delay_alu instid0(VALU_DEP_1) | instskip(SKIP_1) | instid1(VALU_DEP_2)
	v_dual_cndmask_b32 v1, v2, v1, s0 :: v_dual_add_nc_u32 v2, s2, v0
	v_add_nc_u32_e32 v0, 0x100, v0
	v_and_b32_e32 v1, 1, v1
	global_store_b8 v2, v1, s[4:5]
	s_wait_xcnt 0x0
	s_or_b32 exec_lo, exec_lo, s1
	s_delay_alu instid0(SALU_CYCLE_1)
	s_mov_b32 s1, exec_lo
	v_cmpx_gt_i32_e64 s8, v0
	s_cbranch_execz .LBB99_49
.LBB99_66:
	s_wait_loadcnt 0x0
	v_cmp_eq_f32_e32 vcc_lo, v14, v31
	v_cndmask_b32_e64 v1, 0, 1, vcc_lo
	v_cmp_neq_f32_e32 vcc_lo, v14, v31
	v_cndmask_b32_e64 v2, 0, 1, vcc_lo
	s_delay_alu instid0(VALU_DEP_1) | instskip(SKIP_1) | instid1(VALU_DEP_2)
	v_dual_cndmask_b32 v1, v2, v1, s0 :: v_dual_add_nc_u32 v2, s2, v0
	v_add_nc_u32_e32 v0, 0x100, v0
	v_and_b32_e32 v1, 1, v1
	global_store_b8 v2, v1, s[4:5]
	s_wait_xcnt 0x0
	s_or_b32 exec_lo, exec_lo, s1
	s_delay_alu instid0(SALU_CYCLE_1)
	s_mov_b32 s1, exec_lo
	v_cmpx_gt_i32_e64 s8, v0
	s_cbranch_execz .LBB99_50
.LBB99_67:
	s_wait_loadcnt 0x0
	v_cmp_eq_f32_e32 vcc_lo, v32, v33
	v_cndmask_b32_e64 v1, 0, 1, vcc_lo
	v_cmp_neq_f32_e32 vcc_lo, v32, v33
	v_cndmask_b32_e64 v2, 0, 1, vcc_lo
	s_delay_alu instid0(VALU_DEP_1) | instskip(SKIP_1) | instid1(VALU_DEP_2)
	v_dual_cndmask_b32 v1, v2, v1, s0 :: v_dual_add_nc_u32 v2, s2, v0
	v_add_nc_u32_e32 v0, 0x100, v0
	v_and_b32_e32 v1, 1, v1
	global_store_b8 v2, v1, s[4:5]
	s_wait_xcnt 0x0
	s_or_b32 exec_lo, exec_lo, s1
	s_delay_alu instid0(SALU_CYCLE_1)
	s_mov_b32 s1, exec_lo
	v_cmpx_gt_i32_e64 s8, v0
	s_cbranch_execnz .LBB99_51
	s_branch .LBB99_52
	.section	.rodata,"a",@progbits
	.p2align	6, 0x0
	.amdhsa_kernel _ZN2at6native29vectorized_elementwise_kernelILi2ENS0_13BinaryFunctorIffbNS0_12_GLOBAL__N_116CompareEqFunctorIfEEEESt5arrayIPcLm3EEEEviT0_T1_
		.amdhsa_group_segment_fixed_size 0
		.amdhsa_private_segment_fixed_size 0
		.amdhsa_kernarg_size 32
		.amdhsa_user_sgpr_count 2
		.amdhsa_user_sgpr_dispatch_ptr 0
		.amdhsa_user_sgpr_queue_ptr 0
		.amdhsa_user_sgpr_kernarg_segment_ptr 1
		.amdhsa_user_sgpr_dispatch_id 0
		.amdhsa_user_sgpr_kernarg_preload_length 0
		.amdhsa_user_sgpr_kernarg_preload_offset 0
		.amdhsa_user_sgpr_private_segment_size 0
		.amdhsa_wavefront_size32 1
		.amdhsa_uses_dynamic_stack 0
		.amdhsa_enable_private_segment 0
		.amdhsa_system_sgpr_workgroup_id_x 1
		.amdhsa_system_sgpr_workgroup_id_y 0
		.amdhsa_system_sgpr_workgroup_id_z 0
		.amdhsa_system_sgpr_workgroup_info 0
		.amdhsa_system_vgpr_workitem_id 0
		.amdhsa_next_free_vgpr 36
		.amdhsa_next_free_sgpr 14
		.amdhsa_named_barrier_count 0
		.amdhsa_reserve_vcc 1
		.amdhsa_float_round_mode_32 0
		.amdhsa_float_round_mode_16_64 0
		.amdhsa_float_denorm_mode_32 3
		.amdhsa_float_denorm_mode_16_64 3
		.amdhsa_fp16_overflow 0
		.amdhsa_memory_ordered 1
		.amdhsa_forward_progress 1
		.amdhsa_inst_pref_size 34
		.amdhsa_round_robin_scheduling 0
		.amdhsa_exception_fp_ieee_invalid_op 0
		.amdhsa_exception_fp_denorm_src 0
		.amdhsa_exception_fp_ieee_div_zero 0
		.amdhsa_exception_fp_ieee_overflow 0
		.amdhsa_exception_fp_ieee_underflow 0
		.amdhsa_exception_fp_ieee_inexact 0
		.amdhsa_exception_int_div_zero 0
	.end_amdhsa_kernel
	.section	.text._ZN2at6native29vectorized_elementwise_kernelILi2ENS0_13BinaryFunctorIffbNS0_12_GLOBAL__N_116CompareEqFunctorIfEEEESt5arrayIPcLm3EEEEviT0_T1_,"axG",@progbits,_ZN2at6native29vectorized_elementwise_kernelILi2ENS0_13BinaryFunctorIffbNS0_12_GLOBAL__N_116CompareEqFunctorIfEEEESt5arrayIPcLm3EEEEviT0_T1_,comdat
.Lfunc_end99:
	.size	_ZN2at6native29vectorized_elementwise_kernelILi2ENS0_13BinaryFunctorIffbNS0_12_GLOBAL__N_116CompareEqFunctorIfEEEESt5arrayIPcLm3EEEEviT0_T1_, .Lfunc_end99-_ZN2at6native29vectorized_elementwise_kernelILi2ENS0_13BinaryFunctorIffbNS0_12_GLOBAL__N_116CompareEqFunctorIfEEEESt5arrayIPcLm3EEEEviT0_T1_
                                        ; -- End function
	.set _ZN2at6native29vectorized_elementwise_kernelILi2ENS0_13BinaryFunctorIffbNS0_12_GLOBAL__N_116CompareEqFunctorIfEEEESt5arrayIPcLm3EEEEviT0_T1_.num_vgpr, 36
	.set _ZN2at6native29vectorized_elementwise_kernelILi2ENS0_13BinaryFunctorIffbNS0_12_GLOBAL__N_116CompareEqFunctorIfEEEESt5arrayIPcLm3EEEEviT0_T1_.num_agpr, 0
	.set _ZN2at6native29vectorized_elementwise_kernelILi2ENS0_13BinaryFunctorIffbNS0_12_GLOBAL__N_116CompareEqFunctorIfEEEESt5arrayIPcLm3EEEEviT0_T1_.numbered_sgpr, 14
	.set _ZN2at6native29vectorized_elementwise_kernelILi2ENS0_13BinaryFunctorIffbNS0_12_GLOBAL__N_116CompareEqFunctorIfEEEESt5arrayIPcLm3EEEEviT0_T1_.num_named_barrier, 0
	.set _ZN2at6native29vectorized_elementwise_kernelILi2ENS0_13BinaryFunctorIffbNS0_12_GLOBAL__N_116CompareEqFunctorIfEEEESt5arrayIPcLm3EEEEviT0_T1_.private_seg_size, 0
	.set _ZN2at6native29vectorized_elementwise_kernelILi2ENS0_13BinaryFunctorIffbNS0_12_GLOBAL__N_116CompareEqFunctorIfEEEESt5arrayIPcLm3EEEEviT0_T1_.uses_vcc, 1
	.set _ZN2at6native29vectorized_elementwise_kernelILi2ENS0_13BinaryFunctorIffbNS0_12_GLOBAL__N_116CompareEqFunctorIfEEEESt5arrayIPcLm3EEEEviT0_T1_.uses_flat_scratch, 0
	.set _ZN2at6native29vectorized_elementwise_kernelILi2ENS0_13BinaryFunctorIffbNS0_12_GLOBAL__N_116CompareEqFunctorIfEEEESt5arrayIPcLm3EEEEviT0_T1_.has_dyn_sized_stack, 0
	.set _ZN2at6native29vectorized_elementwise_kernelILi2ENS0_13BinaryFunctorIffbNS0_12_GLOBAL__N_116CompareEqFunctorIfEEEESt5arrayIPcLm3EEEEviT0_T1_.has_recursion, 0
	.set _ZN2at6native29vectorized_elementwise_kernelILi2ENS0_13BinaryFunctorIffbNS0_12_GLOBAL__N_116CompareEqFunctorIfEEEESt5arrayIPcLm3EEEEviT0_T1_.has_indirect_call, 0
	.section	.AMDGPU.csdata,"",@progbits
; Kernel info:
; codeLenInByte = 4244
; TotalNumSgprs: 16
; NumVgprs: 36
; ScratchSize: 0
; MemoryBound: 0
; FloatMode: 240
; IeeeMode: 1
; LDSByteSize: 0 bytes/workgroup (compile time only)
; SGPRBlocks: 0
; VGPRBlocks: 2
; NumSGPRsForWavesPerEU: 16
; NumVGPRsForWavesPerEU: 36
; NamedBarCnt: 0
; Occupancy: 16
; WaveLimiterHint : 1
; COMPUTE_PGM_RSRC2:SCRATCH_EN: 0
; COMPUTE_PGM_RSRC2:USER_SGPR: 2
; COMPUTE_PGM_RSRC2:TRAP_HANDLER: 0
; COMPUTE_PGM_RSRC2:TGID_X_EN: 1
; COMPUTE_PGM_RSRC2:TGID_Y_EN: 0
; COMPUTE_PGM_RSRC2:TGID_Z_EN: 0
; COMPUTE_PGM_RSRC2:TIDIG_COMP_CNT: 0
	.section	.text._ZN2at6native27unrolled_elementwise_kernelINS0_13BinaryFunctorIffbNS0_12_GLOBAL__N_116CompareEqFunctorIfEEEESt5arrayIPcLm3EELi4E23TrivialOffsetCalculatorILi2EjESA_ILi1EjENS0_6memory15LoadWithoutCastENSD_16StoreWithoutCastEEEviT_T0_T2_T3_T4_T5_,"axG",@progbits,_ZN2at6native27unrolled_elementwise_kernelINS0_13BinaryFunctorIffbNS0_12_GLOBAL__N_116CompareEqFunctorIfEEEESt5arrayIPcLm3EELi4E23TrivialOffsetCalculatorILi2EjESA_ILi1EjENS0_6memory15LoadWithoutCastENSD_16StoreWithoutCastEEEviT_T0_T2_T3_T4_T5_,comdat
	.globl	_ZN2at6native27unrolled_elementwise_kernelINS0_13BinaryFunctorIffbNS0_12_GLOBAL__N_116CompareEqFunctorIfEEEESt5arrayIPcLm3EELi4E23TrivialOffsetCalculatorILi2EjESA_ILi1EjENS0_6memory15LoadWithoutCastENSD_16StoreWithoutCastEEEviT_T0_T2_T3_T4_T5_ ; -- Begin function _ZN2at6native27unrolled_elementwise_kernelINS0_13BinaryFunctorIffbNS0_12_GLOBAL__N_116CompareEqFunctorIfEEEESt5arrayIPcLm3EELi4E23TrivialOffsetCalculatorILi2EjESA_ILi1EjENS0_6memory15LoadWithoutCastENSD_16StoreWithoutCastEEEviT_T0_T2_T3_T4_T5_
	.p2align	8
	.type	_ZN2at6native27unrolled_elementwise_kernelINS0_13BinaryFunctorIffbNS0_12_GLOBAL__N_116CompareEqFunctorIfEEEESt5arrayIPcLm3EELi4E23TrivialOffsetCalculatorILi2EjESA_ILi1EjENS0_6memory15LoadWithoutCastENSD_16StoreWithoutCastEEEviT_T0_T2_T3_T4_T5_,@function
_ZN2at6native27unrolled_elementwise_kernelINS0_13BinaryFunctorIffbNS0_12_GLOBAL__N_116CompareEqFunctorIfEEEESt5arrayIPcLm3EELi4E23TrivialOffsetCalculatorILi2EjESA_ILi1EjENS0_6memory15LoadWithoutCastENSD_16StoreWithoutCastEEEviT_T0_T2_T3_T4_T5_: ; @_ZN2at6native27unrolled_elementwise_kernelINS0_13BinaryFunctorIffbNS0_12_GLOBAL__N_116CompareEqFunctorIfEEEESt5arrayIPcLm3EELi4E23TrivialOffsetCalculatorILi2EjESA_ILi1EjENS0_6memory15LoadWithoutCastENSD_16StoreWithoutCastEEEviT_T0_T2_T3_T4_T5_
; %bb.0:
	s_load_b64 s[2:3], s[0:1], 0x0
	s_bfe_u32 s11, ttmp6, 0x4000c
	s_clause 0x1
	s_load_b128 s[4:7], s[0:1], 0x8
	s_load_b64 s[8:9], s[0:1], 0x18
	s_add_co_i32 s11, s11, 1
	s_and_b32 s10, ttmp6, 15
	s_wait_xcnt 0x0
	s_mul_i32 s1, ttmp9, s11
	s_getreg_b32 s0, hwreg(HW_REG_IB_STS2, 6, 4)
	s_add_co_i32 s10, s10, s1
	s_cmp_eq_u32 s0, 0
	v_dual_mov_b32 v3, 0 :: v_dual_mov_b32 v4, 0
	s_cselect_b32 s0, ttmp9, s10
	v_or_b32_e32 v1, 0x100, v0
	s_lshl_b32 s10, s0, 10
	s_delay_alu instid0(SALU_CYCLE_1) | instskip(SKIP_3) | instid1(SALU_CYCLE_1)
	v_dual_mov_b32 v5, 0 :: v_dual_bitop2_b32 v2, s10, v0 bitop3:0x54
	v_mov_b32_e32 v9, v0
	s_wait_kmcnt 0x0
	s_sub_co_i32 s2, s2, s10
	v_cmp_gt_i32_e32 vcc_lo, s2, v0
	s_and_saveexec_b32 s0, vcc_lo
	s_cbranch_execz .LBB100_2
; %bb.1:
	s_clause 0x1
	global_load_b32 v4, v2, s[6:7] scale_offset
	global_load_b32 v5, v2, s[8:9] scale_offset
	v_or_b32_e32 v9, 0x100, v0
.LBB100_2:
	s_wait_xcnt 0x0
	s_or_b32 exec_lo, exec_lo, s0
	v_mov_b32_e32 v7, 0
	s_mov_b32 s1, exec_lo
	v_cmpx_gt_i32_e64 s2, v9
	s_cbranch_execz .LBB100_4
; %bb.3:
	v_add_nc_u32_e32 v6, s10, v9
	v_add_nc_u32_e32 v9, 0x100, v9
	s_clause 0x1
	global_load_b32 v3, v6, s[6:7] scale_offset
	global_load_b32 v7, v6, s[8:9] scale_offset
.LBB100_4:
	s_wait_xcnt 0x0
	s_or_b32 exec_lo, exec_lo, s1
	v_dual_mov_b32 v6, 0 :: v_dual_mov_b32 v8, 0
	v_mov_b32_e32 v10, 0
	s_mov_b32 s1, exec_lo
	v_cmpx_gt_i32_e64 s2, v9
	s_cbranch_execz .LBB100_6
; %bb.5:
	v_add_nc_u32_e32 v11, s10, v9
	v_add_nc_u32_e32 v9, 0x100, v9
	s_clause 0x1
	global_load_b32 v8, v11, s[6:7] scale_offset
	global_load_b32 v10, v11, s[8:9] scale_offset
.LBB100_6:
	s_wait_xcnt 0x0
	s_or_b32 exec_lo, exec_lo, s1
	v_mov_b32_e32 v11, 0
	s_mov_b32 s1, exec_lo
	v_cmpx_gt_i32_e64 s2, v9
	s_cbranch_execz .LBB100_8
; %bb.7:
	v_add_nc_u32_e32 v9, s10, v9
	s_clause 0x1
	global_load_b32 v6, v9, s[6:7] scale_offset
	global_load_b32 v11, v9, s[8:9] scale_offset
.LBB100_8:
	s_wait_xcnt 0x0
	s_or_b32 exec_lo, exec_lo, s1
	s_wait_loadcnt 0x0
	v_cmp_eq_f32_e64 s0, v4, v5
	s_cmp_eq_u32 s3, 0
	v_cmp_eq_f32_e64 s1, v8, v10
	v_cndmask_b32_e64 v9, 0, 1, s0
	v_cmp_neq_f32_e64 s0, v4, v5
	s_delay_alu instid0(VALU_DEP_1) | instskip(SKIP_1) | instid1(VALU_DEP_1)
	v_cndmask_b32_e64 v4, 0, 1, s0
	v_cmp_eq_f32_e64 s0, v3, v7
	v_cndmask_b32_e64 v5, 0, 1, s0
	v_cmp_neq_f32_e64 s0, v3, v7
	v_cndmask_b32_e64 v7, 0, 1, s1
	v_cmp_neq_f32_e64 s1, v8, v10
	s_delay_alu instid0(VALU_DEP_3) | instskip(SKIP_3) | instid1(VALU_DEP_3)
	v_cndmask_b32_e64 v3, 0, 1, s0
	s_cselect_b32 s0, -1, 0
	v_cndmask_b32_e64 v8, 0, 1, s1
	v_cmp_eq_f32_e64 s1, v6, v11
	v_cndmask_b32_e64 v3, v3, v5, s0
	v_cndmask_b32_e64 v4, v4, v9, s0
	v_cndmask_b32_e64 v5, 0, 1, vcc_lo
	s_delay_alu instid0(VALU_DEP_3) | instskip(NEXT) | instid1(VALU_DEP_2)
	v_and_b32_e32 v3, 1, v3
	v_dual_cndmask_b32 v5, v8, v7, s0 :: v_dual_bitop2_b32 v4, v5, v4 bitop3:0x40
	v_cndmask_b32_e64 v7, 0, 1, s1
	s_delay_alu instid0(VALU_DEP_3) | instskip(SKIP_1) | instid1(VALU_DEP_2)
	v_lshlrev_b16 v3, 8, v3
	v_cmp_gt_i32_e64 s1, s2, v1
	v_or_b32_e32 v3, v4, v3
	s_delay_alu instid0(VALU_DEP_1) | instskip(NEXT) | instid1(VALU_DEP_1)
	v_and_b32_e32 v3, 0xffff, v3
	v_cndmask_b32_e64 v3, v4, v3, s1
	v_cmp_neq_f32_e64 s1, v6, v11
	v_or_b32_e32 v6, 0x200, v0
	s_delay_alu instid0(VALU_DEP_2) | instskip(NEXT) | instid1(VALU_DEP_1)
	v_cndmask_b32_e64 v4, 0, 1, s1
	v_cndmask_b32_e64 v4, v4, v7, s0
	s_delay_alu instid0(VALU_DEP_3) | instskip(NEXT) | instid1(VALU_DEP_2)
	v_cmp_gt_i32_e64 s0, s2, v6
	v_and_b32_e32 v4, 1, v4
	v_and_b32_e32 v5, 1, v5
	s_delay_alu instid0(VALU_DEP_2) | instskip(NEXT) | instid1(VALU_DEP_2)
	v_lshlrev_b16 v4, 8, v4
	v_lshlrev_b32_e32 v5, 16, v5
	s_delay_alu instid0(VALU_DEP_1) | instskip(NEXT) | instid1(VALU_DEP_1)
	v_or_b32_e32 v5, v3, v5
	v_cndmask_b32_e64 v3, v3, v5, s0
	s_delay_alu instid0(VALU_DEP_1) | instskip(NEXT) | instid1(VALU_DEP_1)
	v_lshrrev_b32_e32 v5, 16, v3
	v_bitop3_b16 v4, v5, v4, 0xff bitop3:0xec
	v_or_b32_e32 v5, 0x300, v0
	s_delay_alu instid0(VALU_DEP_2) | instskip(NEXT) | instid1(VALU_DEP_2)
	v_lshlrev_b32_e32 v4, 16, v4
	v_cmp_gt_i32_e64 s0, s2, v5
	s_delay_alu instid0(VALU_DEP_2) | instskip(NEXT) | instid1(VALU_DEP_1)
	v_and_or_b32 v4, 0xffff, v3, v4
	v_cndmask_b32_e64 v3, v3, v4, s0
	s_and_saveexec_b32 s0, vcc_lo
	s_cbranch_execnz .LBB100_13
; %bb.9:
	s_or_b32 exec_lo, exec_lo, s0
	s_delay_alu instid0(SALU_CYCLE_1)
	s_mov_b32 s0, exec_lo
	v_cmpx_gt_i32_e64 s2, v0
	s_cbranch_execnz .LBB100_14
.LBB100_10:
	s_or_b32 exec_lo, exec_lo, s0
	s_delay_alu instid0(SALU_CYCLE_1)
	s_mov_b32 s0, exec_lo
	v_cmpx_gt_i32_e64 s2, v0
	s_cbranch_execnz .LBB100_15
.LBB100_11:
	s_or_b32 exec_lo, exec_lo, s0
	s_delay_alu instid0(SALU_CYCLE_1)
	s_mov_b32 s0, exec_lo
	v_cmpx_gt_i32_e64 s2, v0
	s_cbranch_execnz .LBB100_16
.LBB100_12:
	s_endpgm
.LBB100_13:
	v_mov_b32_e32 v0, v1
	global_store_b8 v2, v3, s[4:5]
	s_wait_xcnt 0x0
	s_or_b32 exec_lo, exec_lo, s0
	s_delay_alu instid0(SALU_CYCLE_1)
	s_mov_b32 s0, exec_lo
	v_cmpx_gt_i32_e64 s2, v0
	s_cbranch_execz .LBB100_10
.LBB100_14:
	v_add_nc_u32_e32 v1, 0x100, v0
	v_dual_add_nc_u32 v2, s10, v0 :: v_dual_lshrrev_b32 v4, 8, v3
	s_delay_alu instid0(VALU_DEP_2) | instskip(SKIP_3) | instid1(SALU_CYCLE_1)
	v_mov_b32_e32 v0, v1
	global_store_b8 v2, v4, s[4:5]
	s_wait_xcnt 0x0
	s_or_b32 exec_lo, exec_lo, s0
	s_mov_b32 s0, exec_lo
	v_cmpx_gt_i32_e64 s2, v0
	s_cbranch_execz .LBB100_11
.LBB100_15:
	v_add_nc_u32_e32 v1, 0x100, v0
	s_delay_alu instid0(VALU_DEP_1) | instskip(SKIP_3) | instid1(SALU_CYCLE_1)
	v_dual_add_nc_u32 v2, s10, v0 :: v_dual_mov_b32 v0, v1
	global_store_d16_hi_b8 v2, v3, s[4:5]
	s_wait_xcnt 0x0
	s_or_b32 exec_lo, exec_lo, s0
	s_mov_b32 s0, exec_lo
	v_cmpx_gt_i32_e64 s2, v0
	s_cbranch_execz .LBB100_12
.LBB100_16:
	v_dual_add_nc_u32 v0, s10, v0 :: v_dual_lshrrev_b32 v1, 24, v3
	global_store_b8 v0, v1, s[4:5]
	s_endpgm
	.section	.rodata,"a",@progbits
	.p2align	6, 0x0
	.amdhsa_kernel _ZN2at6native27unrolled_elementwise_kernelINS0_13BinaryFunctorIffbNS0_12_GLOBAL__N_116CompareEqFunctorIfEEEESt5arrayIPcLm3EELi4E23TrivialOffsetCalculatorILi2EjESA_ILi1EjENS0_6memory15LoadWithoutCastENSD_16StoreWithoutCastEEEviT_T0_T2_T3_T4_T5_
		.amdhsa_group_segment_fixed_size 0
		.amdhsa_private_segment_fixed_size 0
		.amdhsa_kernarg_size 36
		.amdhsa_user_sgpr_count 2
		.amdhsa_user_sgpr_dispatch_ptr 0
		.amdhsa_user_sgpr_queue_ptr 0
		.amdhsa_user_sgpr_kernarg_segment_ptr 1
		.amdhsa_user_sgpr_dispatch_id 0
		.amdhsa_user_sgpr_kernarg_preload_length 0
		.amdhsa_user_sgpr_kernarg_preload_offset 0
		.amdhsa_user_sgpr_private_segment_size 0
		.amdhsa_wavefront_size32 1
		.amdhsa_uses_dynamic_stack 0
		.amdhsa_enable_private_segment 0
		.amdhsa_system_sgpr_workgroup_id_x 1
		.amdhsa_system_sgpr_workgroup_id_y 0
		.amdhsa_system_sgpr_workgroup_id_z 0
		.amdhsa_system_sgpr_workgroup_info 0
		.amdhsa_system_vgpr_workitem_id 0
		.amdhsa_next_free_vgpr 12
		.amdhsa_next_free_sgpr 12
		.amdhsa_named_barrier_count 0
		.amdhsa_reserve_vcc 1
		.amdhsa_float_round_mode_32 0
		.amdhsa_float_round_mode_16_64 0
		.amdhsa_float_denorm_mode_32 3
		.amdhsa_float_denorm_mode_16_64 3
		.amdhsa_fp16_overflow 0
		.amdhsa_memory_ordered 1
		.amdhsa_forward_progress 1
		.amdhsa_inst_pref_size 9
		.amdhsa_round_robin_scheduling 0
		.amdhsa_exception_fp_ieee_invalid_op 0
		.amdhsa_exception_fp_denorm_src 0
		.amdhsa_exception_fp_ieee_div_zero 0
		.amdhsa_exception_fp_ieee_overflow 0
		.amdhsa_exception_fp_ieee_underflow 0
		.amdhsa_exception_fp_ieee_inexact 0
		.amdhsa_exception_int_div_zero 0
	.end_amdhsa_kernel
	.section	.text._ZN2at6native27unrolled_elementwise_kernelINS0_13BinaryFunctorIffbNS0_12_GLOBAL__N_116CompareEqFunctorIfEEEESt5arrayIPcLm3EELi4E23TrivialOffsetCalculatorILi2EjESA_ILi1EjENS0_6memory15LoadWithoutCastENSD_16StoreWithoutCastEEEviT_T0_T2_T3_T4_T5_,"axG",@progbits,_ZN2at6native27unrolled_elementwise_kernelINS0_13BinaryFunctorIffbNS0_12_GLOBAL__N_116CompareEqFunctorIfEEEESt5arrayIPcLm3EELi4E23TrivialOffsetCalculatorILi2EjESA_ILi1EjENS0_6memory15LoadWithoutCastENSD_16StoreWithoutCastEEEviT_T0_T2_T3_T4_T5_,comdat
.Lfunc_end100:
	.size	_ZN2at6native27unrolled_elementwise_kernelINS0_13BinaryFunctorIffbNS0_12_GLOBAL__N_116CompareEqFunctorIfEEEESt5arrayIPcLm3EELi4E23TrivialOffsetCalculatorILi2EjESA_ILi1EjENS0_6memory15LoadWithoutCastENSD_16StoreWithoutCastEEEviT_T0_T2_T3_T4_T5_, .Lfunc_end100-_ZN2at6native27unrolled_elementwise_kernelINS0_13BinaryFunctorIffbNS0_12_GLOBAL__N_116CompareEqFunctorIfEEEESt5arrayIPcLm3EELi4E23TrivialOffsetCalculatorILi2EjESA_ILi1EjENS0_6memory15LoadWithoutCastENSD_16StoreWithoutCastEEEviT_T0_T2_T3_T4_T5_
                                        ; -- End function
	.set _ZN2at6native27unrolled_elementwise_kernelINS0_13BinaryFunctorIffbNS0_12_GLOBAL__N_116CompareEqFunctorIfEEEESt5arrayIPcLm3EELi4E23TrivialOffsetCalculatorILi2EjESA_ILi1EjENS0_6memory15LoadWithoutCastENSD_16StoreWithoutCastEEEviT_T0_T2_T3_T4_T5_.num_vgpr, 12
	.set _ZN2at6native27unrolled_elementwise_kernelINS0_13BinaryFunctorIffbNS0_12_GLOBAL__N_116CompareEqFunctorIfEEEESt5arrayIPcLm3EELi4E23TrivialOffsetCalculatorILi2EjESA_ILi1EjENS0_6memory15LoadWithoutCastENSD_16StoreWithoutCastEEEviT_T0_T2_T3_T4_T5_.num_agpr, 0
	.set _ZN2at6native27unrolled_elementwise_kernelINS0_13BinaryFunctorIffbNS0_12_GLOBAL__N_116CompareEqFunctorIfEEEESt5arrayIPcLm3EELi4E23TrivialOffsetCalculatorILi2EjESA_ILi1EjENS0_6memory15LoadWithoutCastENSD_16StoreWithoutCastEEEviT_T0_T2_T3_T4_T5_.numbered_sgpr, 12
	.set _ZN2at6native27unrolled_elementwise_kernelINS0_13BinaryFunctorIffbNS0_12_GLOBAL__N_116CompareEqFunctorIfEEEESt5arrayIPcLm3EELi4E23TrivialOffsetCalculatorILi2EjESA_ILi1EjENS0_6memory15LoadWithoutCastENSD_16StoreWithoutCastEEEviT_T0_T2_T3_T4_T5_.num_named_barrier, 0
	.set _ZN2at6native27unrolled_elementwise_kernelINS0_13BinaryFunctorIffbNS0_12_GLOBAL__N_116CompareEqFunctorIfEEEESt5arrayIPcLm3EELi4E23TrivialOffsetCalculatorILi2EjESA_ILi1EjENS0_6memory15LoadWithoutCastENSD_16StoreWithoutCastEEEviT_T0_T2_T3_T4_T5_.private_seg_size, 0
	.set _ZN2at6native27unrolled_elementwise_kernelINS0_13BinaryFunctorIffbNS0_12_GLOBAL__N_116CompareEqFunctorIfEEEESt5arrayIPcLm3EELi4E23TrivialOffsetCalculatorILi2EjESA_ILi1EjENS0_6memory15LoadWithoutCastENSD_16StoreWithoutCastEEEviT_T0_T2_T3_T4_T5_.uses_vcc, 1
	.set _ZN2at6native27unrolled_elementwise_kernelINS0_13BinaryFunctorIffbNS0_12_GLOBAL__N_116CompareEqFunctorIfEEEESt5arrayIPcLm3EELi4E23TrivialOffsetCalculatorILi2EjESA_ILi1EjENS0_6memory15LoadWithoutCastENSD_16StoreWithoutCastEEEviT_T0_T2_T3_T4_T5_.uses_flat_scratch, 0
	.set _ZN2at6native27unrolled_elementwise_kernelINS0_13BinaryFunctorIffbNS0_12_GLOBAL__N_116CompareEqFunctorIfEEEESt5arrayIPcLm3EELi4E23TrivialOffsetCalculatorILi2EjESA_ILi1EjENS0_6memory15LoadWithoutCastENSD_16StoreWithoutCastEEEviT_T0_T2_T3_T4_T5_.has_dyn_sized_stack, 0
	.set _ZN2at6native27unrolled_elementwise_kernelINS0_13BinaryFunctorIffbNS0_12_GLOBAL__N_116CompareEqFunctorIfEEEESt5arrayIPcLm3EELi4E23TrivialOffsetCalculatorILi2EjESA_ILi1EjENS0_6memory15LoadWithoutCastENSD_16StoreWithoutCastEEEviT_T0_T2_T3_T4_T5_.has_recursion, 0
	.set _ZN2at6native27unrolled_elementwise_kernelINS0_13BinaryFunctorIffbNS0_12_GLOBAL__N_116CompareEqFunctorIfEEEESt5arrayIPcLm3EELi4E23TrivialOffsetCalculatorILi2EjESA_ILi1EjENS0_6memory15LoadWithoutCastENSD_16StoreWithoutCastEEEviT_T0_T2_T3_T4_T5_.has_indirect_call, 0
	.section	.AMDGPU.csdata,"",@progbits
; Kernel info:
; codeLenInByte = 1036
; TotalNumSgprs: 14
; NumVgprs: 12
; ScratchSize: 0
; MemoryBound: 0
; FloatMode: 240
; IeeeMode: 1
; LDSByteSize: 0 bytes/workgroup (compile time only)
; SGPRBlocks: 0
; VGPRBlocks: 0
; NumSGPRsForWavesPerEU: 14
; NumVGPRsForWavesPerEU: 12
; NamedBarCnt: 0
; Occupancy: 16
; WaveLimiterHint : 0
; COMPUTE_PGM_RSRC2:SCRATCH_EN: 0
; COMPUTE_PGM_RSRC2:USER_SGPR: 2
; COMPUTE_PGM_RSRC2:TRAP_HANDLER: 0
; COMPUTE_PGM_RSRC2:TGID_X_EN: 1
; COMPUTE_PGM_RSRC2:TGID_Y_EN: 0
; COMPUTE_PGM_RSRC2:TGID_Z_EN: 0
; COMPUTE_PGM_RSRC2:TIDIG_COMP_CNT: 0
	.section	.text._ZN2at6native32elementwise_kernel_manual_unrollILi128ELi8EZNS0_22gpu_kernel_impl_nocastINS0_13BinaryFunctorIffbNS0_12_GLOBAL__N_116CompareEqFunctorIfEEEEEEvRNS_18TensorIteratorBaseERKT_EUlibE_EEviT1_,"axG",@progbits,_ZN2at6native32elementwise_kernel_manual_unrollILi128ELi8EZNS0_22gpu_kernel_impl_nocastINS0_13BinaryFunctorIffbNS0_12_GLOBAL__N_116CompareEqFunctorIfEEEEEEvRNS_18TensorIteratorBaseERKT_EUlibE_EEviT1_,comdat
	.globl	_ZN2at6native32elementwise_kernel_manual_unrollILi128ELi8EZNS0_22gpu_kernel_impl_nocastINS0_13BinaryFunctorIffbNS0_12_GLOBAL__N_116CompareEqFunctorIfEEEEEEvRNS_18TensorIteratorBaseERKT_EUlibE_EEviT1_ ; -- Begin function _ZN2at6native32elementwise_kernel_manual_unrollILi128ELi8EZNS0_22gpu_kernel_impl_nocastINS0_13BinaryFunctorIffbNS0_12_GLOBAL__N_116CompareEqFunctorIfEEEEEEvRNS_18TensorIteratorBaseERKT_EUlibE_EEviT1_
	.p2align	8
	.type	_ZN2at6native32elementwise_kernel_manual_unrollILi128ELi8EZNS0_22gpu_kernel_impl_nocastINS0_13BinaryFunctorIffbNS0_12_GLOBAL__N_116CompareEqFunctorIfEEEEEEvRNS_18TensorIteratorBaseERKT_EUlibE_EEviT1_,@function
_ZN2at6native32elementwise_kernel_manual_unrollILi128ELi8EZNS0_22gpu_kernel_impl_nocastINS0_13BinaryFunctorIffbNS0_12_GLOBAL__N_116CompareEqFunctorIfEEEEEEvRNS_18TensorIteratorBaseERKT_EUlibE_EEviT1_: ; @_ZN2at6native32elementwise_kernel_manual_unrollILi128ELi8EZNS0_22gpu_kernel_impl_nocastINS0_13BinaryFunctorIffbNS0_12_GLOBAL__N_116CompareEqFunctorIfEEEEEEvRNS_18TensorIteratorBaseERKT_EUlibE_EEviT1_
; %bb.0:
	s_clause 0x1
	s_load_b32 s26, s[0:1], 0x8
	s_load_b32 s33, s[0:1], 0x0
	s_bfe_u32 s2, ttmp6, 0x4000c
	s_and_b32 s3, ttmp6, 15
	s_add_co_i32 s2, s2, 1
	s_getreg_b32 s4, hwreg(HW_REG_IB_STS2, 6, 4)
	s_mul_i32 s2, ttmp9, s2
	s_add_nc_u64 s[20:21], s[0:1], 8
	s_add_co_i32 s3, s3, s2
	s_cmp_eq_u32 s4, 0
	s_wait_xcnt 0x0
	s_mov_b32 s0, exec_lo
	s_cselect_b32 s2, ttmp9, s3
	s_mov_b32 s3, 0
	v_lshl_or_b32 v0, s2, 10, v0
	s_delay_alu instid0(VALU_DEP_1) | instskip(SKIP_2) | instid1(SALU_CYCLE_1)
	v_or_b32_e32 v4, 0x380, v0
	s_wait_kmcnt 0x0
	s_add_co_i32 s27, s26, -1
	s_cmp_gt_u32 s27, 1
	s_cselect_b32 s28, -1, 0
	v_cmpx_le_i32_e64 s33, v4
	s_xor_b32 s29, exec_lo, s0
	s_cbranch_execz .LBB101_106
; %bb.1:
	s_clause 0x5
	s_load_b128 s[8:11], s[20:21], 0x4
	s_load_b64 s[0:1], s[20:21], 0x14
	s_load_b96 s[16:18], s[20:21], 0x198
	s_load_b128 s[12:15], s[20:21], 0xc4
	s_load_b64 s[22:23], s[20:21], 0xd4
	s_load_b128 s[4:7], s[20:21], 0x188
	s_cmp_lg_u32 s26, 0
	s_mov_b32 s25, s3
	s_cselect_b32 s34, -1, 0
	s_min_u32 s31, s27, 15
	s_cmp_gt_u32 s26, 1
	s_cselect_b32 s30, -1, 0
	s_wait_kmcnt 0x0
	s_mov_b32 s2, s9
	s_mov_b32 s24, s0
	s_cmp_eq_u32 s18, 0
	s_mov_b32 s9, exec_lo
	s_cselect_b32 s0, -1, 0
	v_cmpx_gt_i32_e64 s33, v0
	s_cbranch_execnz .LBB101_9
; %bb.2:
	s_or_b32 exec_lo, exec_lo, s9
	s_delay_alu instid0(SALU_CYCLE_1)
	s_mov_b32 s9, exec_lo
	v_cmpx_gt_i32_e64 s33, v0
	s_cbranch_execnz .LBB101_21
.LBB101_3:
	s_or_b32 exec_lo, exec_lo, s9
	s_delay_alu instid0(SALU_CYCLE_1)
	s_mov_b32 s9, exec_lo
	v_cmpx_gt_i32_e64 s33, v0
	s_cbranch_execnz .LBB101_33
.LBB101_4:
	s_or_b32 exec_lo, exec_lo, s9
	s_delay_alu instid0(SALU_CYCLE_1)
	s_mov_b32 s9, exec_lo
	v_cmpx_gt_i32_e64 s33, v0
	s_cbranch_execnz .LBB101_45
.LBB101_5:
	s_or_b32 exec_lo, exec_lo, s9
	s_delay_alu instid0(SALU_CYCLE_1)
	s_mov_b32 s9, exec_lo
	v_cmpx_gt_i32_e64 s33, v0
	s_cbranch_execnz .LBB101_57
.LBB101_6:
	s_or_b32 exec_lo, exec_lo, s9
	s_delay_alu instid0(SALU_CYCLE_1)
	s_mov_b32 s9, exec_lo
	v_cmpx_gt_i32_e64 s33, v0
	s_cbranch_execnz .LBB101_69
.LBB101_7:
	s_or_b32 exec_lo, exec_lo, s9
	s_delay_alu instid0(SALU_CYCLE_1)
	s_mov_b32 s9, exec_lo
	v_cmpx_gt_i32_e64 s33, v0
	s_cbranch_execnz .LBB101_81
.LBB101_8:
	s_or_b32 exec_lo, exec_lo, s9
	s_delay_alu instid0(SALU_CYCLE_1)
	s_mov_b32 s9, exec_lo
	v_cmpx_gt_i32_e64 s33, v0
	s_cbranch_execnz .LBB101_93
	s_branch .LBB101_105
.LBB101_9:
	s_and_not1_b32 vcc_lo, exec_lo, s28
	s_cbranch_vccnz .LBB101_15
; %bb.10:
	s_and_not1_b32 vcc_lo, exec_lo, s34
	s_cbranch_vccnz .LBB101_16
; %bb.11:
	v_dual_mov_b32 v4, 0 :: v_dual_mov_b32 v1, v0
	v_dual_mov_b32 v6, 0 :: v_dual_mov_b32 v5, 0
	s_add_co_i32 s35, s31, 1
	s_mov_b64 s[18:19], 0xffffffffffffffe8
	s_and_b32 s35, s35, 30
	s_add_nc_u64 s[18:19], s[20:21], s[18:19]
.LBB101_12:                             ; =>This Inner Loop Header: Depth=1
	s_clause 0x1
	s_load_b128 s[36:39], s[18:19], 0x1c
	s_load_b64 s[44:45], s[18:19], 0x2c
	s_add_co_i32 s35, s35, -2
	s_delay_alu instid0(SALU_CYCLE_1) | instskip(SKIP_2) | instid1(VALU_DEP_1)
	s_cmp_lg_u32 s35, 0
	s_wait_kmcnt 0x0
	v_mul_hi_u32 v2, s37, v1
	v_add_nc_u32_e32 v2, v1, v2
	s_delay_alu instid0(VALU_DEP_1) | instskip(NEXT) | instid1(VALU_DEP_1)
	v_lshrrev_b32_e32 v2, s38, v2
	v_mul_hi_u32 v3, s44, v2
	v_mul_lo_u32 v7, v2, s36
	s_clause 0x1
	s_load_b128 s[40:43], s[18:19], 0xdc
	s_load_b64 s[36:37], s[18:19], 0xec
	s_wait_xcnt 0x0
	s_add_nc_u64 s[18:19], s[18:19], 24
	s_delay_alu instid0(VALU_DEP_2) | instskip(NEXT) | instid1(VALU_DEP_2)
	v_add_nc_u32_e32 v3, v2, v3
	v_sub_nc_u32_e32 v7, v1, v7
	s_delay_alu instid0(VALU_DEP_2) | instskip(SKIP_1) | instid1(VALU_DEP_2)
	v_lshrrev_b32_e32 v1, s45, v3
	s_wait_kmcnt 0x0
	v_mad_u32 v4, v7, s40, v4
	s_delay_alu instid0(VALU_DEP_2) | instskip(SKIP_2) | instid1(VALU_DEP_3)
	v_mul_lo_u32 v3, v1, s39
	v_mad_u32 v5, v7, s42, v5
	v_mad_u32 v6, v7, s41, v6
	v_sub_nc_u32_e32 v2, v2, v3
	s_delay_alu instid0(VALU_DEP_1) | instskip(NEXT) | instid1(VALU_DEP_4)
	v_mad_u32 v4, v2, s43, v4
	v_mad_u32 v5, v2, s37, v5
	s_delay_alu instid0(VALU_DEP_4)
	v_mad_u32 v6, v2, s36, v6
	s_cbranch_scc1 .LBB101_12
; %bb.13:
	s_bitcmp1_b32 s31, 0
	s_cselect_b32 s35, -1, 0
	s_delay_alu instid0(SALU_CYCLE_1)
	s_and_b32 vcc_lo, exec_lo, s35
	s_cbranch_vccnz .LBB101_17
; %bb.14:
	s_clause 0x1
	s_load_b96 s[36:38], s[18:19], 0x1c
	s_load_b96 s[40:42], s[18:19], 0xdc
	s_wait_xcnt 0x0
	s_wait_kmcnt 0x0
	v_mul_hi_u32 v2, s37, v1
	s_delay_alu instid0(VALU_DEP_1) | instskip(NEXT) | instid1(VALU_DEP_1)
	v_add_nc_u32_e32 v2, v1, v2
	v_lshrrev_b32_e32 v2, s38, v2
	s_delay_alu instid0(VALU_DEP_1) | instskip(NEXT) | instid1(VALU_DEP_1)
	v_mul_lo_u32 v2, v2, s36
	v_sub_nc_u32_e32 v1, v1, v2
	s_delay_alu instid0(VALU_DEP_1)
	v_mad_u32 v4, v1, s40, v4
	v_mad_u32 v6, v1, s41, v6
	;; [unrolled: 1-line block ×3, first 2 shown]
	s_cbranch_execz .LBB101_18
	s_branch .LBB101_20
.LBB101_15:
                                        ; implicit-def: $vgpr5
                                        ; implicit-def: $vgpr6
                                        ; implicit-def: $vgpr4
	s_branch .LBB101_18
.LBB101_16:
	v_dual_mov_b32 v5, 0 :: v_dual_mov_b32 v6, 0
	v_mov_b32_e32 v4, 0
.LBB101_17:
	s_cbranch_execnz .LBB101_20
.LBB101_18:
	v_mov_b32_e32 v1, 0
	s_and_not1_b32 vcc_lo, exec_lo, s30
	s_delay_alu instid0(VALU_DEP_1) | instskip(NEXT) | instid1(VALU_DEP_1)
	v_mul_u64_e32 v[2:3], s[2:3], v[0:1]
	v_add_nc_u32_e32 v2, v0, v3
	s_delay_alu instid0(VALU_DEP_1) | instskip(NEXT) | instid1(VALU_DEP_1)
	v_lshrrev_b32_e32 v2, s10, v2
	v_mul_lo_u32 v3, v2, s8
	s_delay_alu instid0(VALU_DEP_1) | instskip(NEXT) | instid1(VALU_DEP_1)
	v_sub_nc_u32_e32 v3, v0, v3
	v_mul_lo_u32 v4, v3, s12
	v_mul_lo_u32 v5, v3, s14
	;; [unrolled: 1-line block ×3, first 2 shown]
	s_cbranch_vccnz .LBB101_20
; %bb.19:
	v_mov_b32_e32 v3, v1
	s_delay_alu instid0(VALU_DEP_1) | instskip(NEXT) | instid1(VALU_DEP_1)
	v_mul_u64_e32 v[8:9], s[24:25], v[2:3]
	v_add_nc_u32_e32 v1, v2, v9
	s_delay_alu instid0(VALU_DEP_1) | instskip(NEXT) | instid1(VALU_DEP_1)
	v_lshrrev_b32_e32 v1, s1, v1
	v_mul_lo_u32 v1, v1, s11
	s_delay_alu instid0(VALU_DEP_1) | instskip(NEXT) | instid1(VALU_DEP_1)
	v_sub_nc_u32_e32 v1, v2, v1
	v_mad_u32 v4, v1, s15, v4
	v_mad_u32 v6, v1, s22, v6
	;; [unrolled: 1-line block ×3, first 2 shown]
.LBB101_20:
	global_load_b32 v1, v6, s[6:7]
	global_load_b32 v2, v5, s[16:17]
	v_add_nc_u32_e32 v0, 0x80, v0
	s_wait_loadcnt 0x0
	v_cmp_eq_f32_e32 vcc_lo, v1, v2
	v_cndmask_b32_e64 v3, 0, 1, vcc_lo
	v_cmp_neq_f32_e32 vcc_lo, v1, v2
	v_cndmask_b32_e64 v1, 0, 1, vcc_lo
	s_delay_alu instid0(VALU_DEP_1) | instskip(NEXT) | instid1(VALU_DEP_1)
	v_cndmask_b32_e64 v1, v1, v3, s0
	v_and_b32_e32 v1, 1, v1
	global_store_b8 v4, v1, s[4:5]
	s_wait_xcnt 0x0
	s_or_b32 exec_lo, exec_lo, s9
	s_delay_alu instid0(SALU_CYCLE_1)
	s_mov_b32 s9, exec_lo
	v_cmpx_gt_i32_e64 s33, v0
	s_cbranch_execz .LBB101_3
.LBB101_21:
	s_and_not1_b32 vcc_lo, exec_lo, s28
	s_cbranch_vccnz .LBB101_27
; %bb.22:
	s_and_not1_b32 vcc_lo, exec_lo, s34
	s_cbranch_vccnz .LBB101_28
; %bb.23:
	v_dual_mov_b32 v4, 0 :: v_dual_mov_b32 v1, v0
	v_dual_mov_b32 v6, 0 :: v_dual_mov_b32 v5, 0
	s_add_co_i32 s35, s31, 1
	s_mov_b64 s[18:19], 0xffffffffffffffe8
	s_and_b32 s35, s35, 30
	s_add_nc_u64 s[18:19], s[20:21], s[18:19]
.LBB101_24:                             ; =>This Inner Loop Header: Depth=1
	s_clause 0x1
	s_load_b128 s[36:39], s[18:19], 0x1c
	s_load_b64 s[44:45], s[18:19], 0x2c
	s_add_co_i32 s35, s35, -2
	s_delay_alu instid0(SALU_CYCLE_1) | instskip(SKIP_2) | instid1(VALU_DEP_1)
	s_cmp_eq_u32 s35, 0
	s_wait_kmcnt 0x0
	v_mul_hi_u32 v2, s37, v1
	v_add_nc_u32_e32 v2, v1, v2
	s_delay_alu instid0(VALU_DEP_1) | instskip(NEXT) | instid1(VALU_DEP_1)
	v_lshrrev_b32_e32 v2, s38, v2
	v_mul_hi_u32 v3, s44, v2
	v_mul_lo_u32 v7, v2, s36
	s_clause 0x1
	s_load_b128 s[40:43], s[18:19], 0xdc
	s_load_b64 s[36:37], s[18:19], 0xec
	s_wait_xcnt 0x0
	s_add_nc_u64 s[18:19], s[18:19], 24
	s_delay_alu instid0(VALU_DEP_2) | instskip(NEXT) | instid1(VALU_DEP_2)
	v_add_nc_u32_e32 v3, v2, v3
	v_sub_nc_u32_e32 v7, v1, v7
	s_delay_alu instid0(VALU_DEP_2) | instskip(SKIP_1) | instid1(VALU_DEP_2)
	v_lshrrev_b32_e32 v1, s45, v3
	s_wait_kmcnt 0x0
	v_mad_u32 v4, v7, s40, v4
	s_delay_alu instid0(VALU_DEP_2) | instskip(SKIP_2) | instid1(VALU_DEP_3)
	v_mul_lo_u32 v3, v1, s39
	v_mad_u32 v5, v7, s42, v5
	v_mad_u32 v6, v7, s41, v6
	v_sub_nc_u32_e32 v2, v2, v3
	s_delay_alu instid0(VALU_DEP_1) | instskip(NEXT) | instid1(VALU_DEP_4)
	v_mad_u32 v4, v2, s43, v4
	v_mad_u32 v5, v2, s37, v5
	s_delay_alu instid0(VALU_DEP_4)
	v_mad_u32 v6, v2, s36, v6
	s_cbranch_scc0 .LBB101_24
; %bb.25:
	s_bitcmp1_b32 s31, 0
	s_cselect_b32 s35, -1, 0
	s_delay_alu instid0(SALU_CYCLE_1)
	s_and_b32 vcc_lo, exec_lo, s35
	s_cbranch_vccnz .LBB101_29
; %bb.26:
	s_clause 0x1
	s_load_b96 s[36:38], s[18:19], 0x1c
	s_load_b96 s[40:42], s[18:19], 0xdc
	s_wait_kmcnt 0x0
	v_mul_hi_u32 v2, s37, v1
	s_delay_alu instid0(VALU_DEP_1) | instskip(NEXT) | instid1(VALU_DEP_1)
	v_add_nc_u32_e32 v2, v1, v2
	v_lshrrev_b32_e32 v2, s38, v2
	s_delay_alu instid0(VALU_DEP_1) | instskip(NEXT) | instid1(VALU_DEP_1)
	v_mul_lo_u32 v2, v2, s36
	v_sub_nc_u32_e32 v1, v1, v2
	s_delay_alu instid0(VALU_DEP_1)
	v_mad_u32 v4, v1, s40, v4
	v_mad_u32 v6, v1, s41, v6
	;; [unrolled: 1-line block ×3, first 2 shown]
	s_branch .LBB101_29
.LBB101_27:
                                        ; implicit-def: $vgpr5
                                        ; implicit-def: $vgpr6
                                        ; implicit-def: $vgpr4
	s_branch .LBB101_30
.LBB101_28:
	v_dual_mov_b32 v5, 0 :: v_dual_mov_b32 v6, 0
	v_mov_b32_e32 v4, 0
.LBB101_29:
	s_cbranch_execnz .LBB101_32
.LBB101_30:
	v_mov_b32_e32 v1, 0
	s_and_not1_b32 vcc_lo, exec_lo, s30
	s_delay_alu instid0(VALU_DEP_1) | instskip(NEXT) | instid1(VALU_DEP_1)
	v_mul_u64_e32 v[2:3], s[2:3], v[0:1]
	v_add_nc_u32_e32 v2, v0, v3
	s_delay_alu instid0(VALU_DEP_1) | instskip(NEXT) | instid1(VALU_DEP_1)
	v_lshrrev_b32_e32 v2, s10, v2
	v_mul_lo_u32 v3, v2, s8
	s_delay_alu instid0(VALU_DEP_1) | instskip(NEXT) | instid1(VALU_DEP_1)
	v_sub_nc_u32_e32 v3, v0, v3
	v_mul_lo_u32 v4, v3, s12
	v_mul_lo_u32 v5, v3, s14
	;; [unrolled: 1-line block ×3, first 2 shown]
	s_cbranch_vccnz .LBB101_32
; %bb.31:
	v_mov_b32_e32 v3, v1
	s_delay_alu instid0(VALU_DEP_1) | instskip(NEXT) | instid1(VALU_DEP_1)
	v_mul_u64_e32 v[8:9], s[24:25], v[2:3]
	v_add_nc_u32_e32 v1, v2, v9
	s_delay_alu instid0(VALU_DEP_1) | instskip(NEXT) | instid1(VALU_DEP_1)
	v_lshrrev_b32_e32 v1, s1, v1
	v_mul_lo_u32 v1, v1, s11
	s_delay_alu instid0(VALU_DEP_1) | instskip(NEXT) | instid1(VALU_DEP_1)
	v_sub_nc_u32_e32 v1, v2, v1
	v_mad_u32 v4, v1, s15, v4
	v_mad_u32 v6, v1, s22, v6
	v_mad_u32 v5, v1, s23, v5
.LBB101_32:
	global_load_b32 v1, v6, s[6:7]
	global_load_b32 v2, v5, s[16:17]
	v_add_nc_u32_e32 v0, 0x80, v0
	s_wait_loadcnt 0x0
	v_cmp_eq_f32_e32 vcc_lo, v1, v2
	v_cndmask_b32_e64 v3, 0, 1, vcc_lo
	v_cmp_neq_f32_e32 vcc_lo, v1, v2
	v_cndmask_b32_e64 v1, 0, 1, vcc_lo
	s_delay_alu instid0(VALU_DEP_1) | instskip(NEXT) | instid1(VALU_DEP_1)
	v_cndmask_b32_e64 v1, v1, v3, s0
	v_and_b32_e32 v1, 1, v1
	global_store_b8 v4, v1, s[4:5]
	s_wait_xcnt 0x0
	s_or_b32 exec_lo, exec_lo, s9
	s_delay_alu instid0(SALU_CYCLE_1)
	s_mov_b32 s9, exec_lo
	v_cmpx_gt_i32_e64 s33, v0
	s_cbranch_execz .LBB101_4
.LBB101_33:
	s_and_not1_b32 vcc_lo, exec_lo, s28
	s_cbranch_vccnz .LBB101_39
; %bb.34:
	s_and_not1_b32 vcc_lo, exec_lo, s34
	s_cbranch_vccnz .LBB101_40
; %bb.35:
	v_dual_mov_b32 v4, 0 :: v_dual_mov_b32 v1, v0
	v_dual_mov_b32 v6, 0 :: v_dual_mov_b32 v5, 0
	s_add_co_i32 s35, s31, 1
	s_mov_b64 s[18:19], 0xffffffffffffffe8
	s_and_b32 s35, s35, 30
	s_add_nc_u64 s[18:19], s[20:21], s[18:19]
.LBB101_36:                             ; =>This Inner Loop Header: Depth=1
	s_clause 0x1
	s_load_b128 s[36:39], s[18:19], 0x1c
	s_load_b64 s[44:45], s[18:19], 0x2c
	s_add_co_i32 s35, s35, -2
	s_delay_alu instid0(SALU_CYCLE_1) | instskip(SKIP_2) | instid1(VALU_DEP_1)
	s_cmp_eq_u32 s35, 0
	s_wait_kmcnt 0x0
	v_mul_hi_u32 v2, s37, v1
	v_add_nc_u32_e32 v2, v1, v2
	s_delay_alu instid0(VALU_DEP_1) | instskip(NEXT) | instid1(VALU_DEP_1)
	v_lshrrev_b32_e32 v2, s38, v2
	v_mul_hi_u32 v3, s44, v2
	v_mul_lo_u32 v7, v2, s36
	s_clause 0x1
	s_load_b128 s[40:43], s[18:19], 0xdc
	s_load_b64 s[36:37], s[18:19], 0xec
	s_wait_xcnt 0x0
	s_add_nc_u64 s[18:19], s[18:19], 24
	s_delay_alu instid0(VALU_DEP_2) | instskip(NEXT) | instid1(VALU_DEP_2)
	v_add_nc_u32_e32 v3, v2, v3
	v_sub_nc_u32_e32 v7, v1, v7
	s_delay_alu instid0(VALU_DEP_2) | instskip(SKIP_1) | instid1(VALU_DEP_2)
	v_lshrrev_b32_e32 v1, s45, v3
	s_wait_kmcnt 0x0
	v_mad_u32 v4, v7, s40, v4
	s_delay_alu instid0(VALU_DEP_2) | instskip(SKIP_2) | instid1(VALU_DEP_3)
	v_mul_lo_u32 v3, v1, s39
	v_mad_u32 v5, v7, s42, v5
	v_mad_u32 v6, v7, s41, v6
	v_sub_nc_u32_e32 v2, v2, v3
	s_delay_alu instid0(VALU_DEP_1) | instskip(NEXT) | instid1(VALU_DEP_4)
	v_mad_u32 v4, v2, s43, v4
	v_mad_u32 v5, v2, s37, v5
	s_delay_alu instid0(VALU_DEP_4)
	v_mad_u32 v6, v2, s36, v6
	s_cbranch_scc0 .LBB101_36
; %bb.37:
	s_bitcmp1_b32 s31, 0
	s_cselect_b32 s35, -1, 0
	s_delay_alu instid0(SALU_CYCLE_1)
	s_and_b32 vcc_lo, exec_lo, s35
	s_cbranch_vccnz .LBB101_41
; %bb.38:
	s_clause 0x1
	s_load_b96 s[36:38], s[18:19], 0x1c
	s_load_b96 s[40:42], s[18:19], 0xdc
	s_wait_kmcnt 0x0
	v_mul_hi_u32 v2, s37, v1
	s_delay_alu instid0(VALU_DEP_1) | instskip(NEXT) | instid1(VALU_DEP_1)
	v_add_nc_u32_e32 v2, v1, v2
	v_lshrrev_b32_e32 v2, s38, v2
	s_delay_alu instid0(VALU_DEP_1) | instskip(NEXT) | instid1(VALU_DEP_1)
	v_mul_lo_u32 v2, v2, s36
	v_sub_nc_u32_e32 v1, v1, v2
	s_delay_alu instid0(VALU_DEP_1)
	v_mad_u32 v4, v1, s40, v4
	v_mad_u32 v6, v1, s41, v6
	;; [unrolled: 1-line block ×3, first 2 shown]
	s_branch .LBB101_41
.LBB101_39:
                                        ; implicit-def: $vgpr5
                                        ; implicit-def: $vgpr6
                                        ; implicit-def: $vgpr4
	s_branch .LBB101_42
.LBB101_40:
	v_dual_mov_b32 v5, 0 :: v_dual_mov_b32 v6, 0
	v_mov_b32_e32 v4, 0
.LBB101_41:
	s_cbranch_execnz .LBB101_44
.LBB101_42:
	v_mov_b32_e32 v1, 0
	s_and_not1_b32 vcc_lo, exec_lo, s30
	s_delay_alu instid0(VALU_DEP_1) | instskip(NEXT) | instid1(VALU_DEP_1)
	v_mul_u64_e32 v[2:3], s[2:3], v[0:1]
	v_add_nc_u32_e32 v2, v0, v3
	s_delay_alu instid0(VALU_DEP_1) | instskip(NEXT) | instid1(VALU_DEP_1)
	v_lshrrev_b32_e32 v2, s10, v2
	v_mul_lo_u32 v3, v2, s8
	s_delay_alu instid0(VALU_DEP_1) | instskip(NEXT) | instid1(VALU_DEP_1)
	v_sub_nc_u32_e32 v3, v0, v3
	v_mul_lo_u32 v4, v3, s12
	v_mul_lo_u32 v5, v3, s14
	;; [unrolled: 1-line block ×3, first 2 shown]
	s_cbranch_vccnz .LBB101_44
; %bb.43:
	v_mov_b32_e32 v3, v1
	s_delay_alu instid0(VALU_DEP_1) | instskip(NEXT) | instid1(VALU_DEP_1)
	v_mul_u64_e32 v[8:9], s[24:25], v[2:3]
	v_add_nc_u32_e32 v1, v2, v9
	s_delay_alu instid0(VALU_DEP_1) | instskip(NEXT) | instid1(VALU_DEP_1)
	v_lshrrev_b32_e32 v1, s1, v1
	v_mul_lo_u32 v1, v1, s11
	s_delay_alu instid0(VALU_DEP_1) | instskip(NEXT) | instid1(VALU_DEP_1)
	v_sub_nc_u32_e32 v1, v2, v1
	v_mad_u32 v4, v1, s15, v4
	v_mad_u32 v6, v1, s22, v6
	;; [unrolled: 1-line block ×3, first 2 shown]
.LBB101_44:
	global_load_b32 v1, v6, s[6:7]
	global_load_b32 v2, v5, s[16:17]
	v_add_nc_u32_e32 v0, 0x80, v0
	s_wait_loadcnt 0x0
	v_cmp_eq_f32_e32 vcc_lo, v1, v2
	v_cndmask_b32_e64 v3, 0, 1, vcc_lo
	v_cmp_neq_f32_e32 vcc_lo, v1, v2
	v_cndmask_b32_e64 v1, 0, 1, vcc_lo
	s_delay_alu instid0(VALU_DEP_1) | instskip(NEXT) | instid1(VALU_DEP_1)
	v_cndmask_b32_e64 v1, v1, v3, s0
	v_and_b32_e32 v1, 1, v1
	global_store_b8 v4, v1, s[4:5]
	s_wait_xcnt 0x0
	s_or_b32 exec_lo, exec_lo, s9
	s_delay_alu instid0(SALU_CYCLE_1)
	s_mov_b32 s9, exec_lo
	v_cmpx_gt_i32_e64 s33, v0
	s_cbranch_execz .LBB101_5
.LBB101_45:
	s_and_not1_b32 vcc_lo, exec_lo, s28
	s_cbranch_vccnz .LBB101_51
; %bb.46:
	s_and_not1_b32 vcc_lo, exec_lo, s34
	s_cbranch_vccnz .LBB101_52
; %bb.47:
	v_dual_mov_b32 v4, 0 :: v_dual_mov_b32 v1, v0
	v_dual_mov_b32 v6, 0 :: v_dual_mov_b32 v5, 0
	s_add_co_i32 s35, s31, 1
	s_mov_b64 s[18:19], 0xffffffffffffffe8
	s_and_b32 s35, s35, 30
	s_add_nc_u64 s[18:19], s[20:21], s[18:19]
.LBB101_48:                             ; =>This Inner Loop Header: Depth=1
	s_clause 0x1
	s_load_b128 s[36:39], s[18:19], 0x1c
	s_load_b64 s[44:45], s[18:19], 0x2c
	s_add_co_i32 s35, s35, -2
	s_delay_alu instid0(SALU_CYCLE_1) | instskip(SKIP_2) | instid1(VALU_DEP_1)
	s_cmp_eq_u32 s35, 0
	s_wait_kmcnt 0x0
	v_mul_hi_u32 v2, s37, v1
	v_add_nc_u32_e32 v2, v1, v2
	s_delay_alu instid0(VALU_DEP_1) | instskip(NEXT) | instid1(VALU_DEP_1)
	v_lshrrev_b32_e32 v2, s38, v2
	v_mul_hi_u32 v3, s44, v2
	v_mul_lo_u32 v7, v2, s36
	s_clause 0x1
	s_load_b128 s[40:43], s[18:19], 0xdc
	s_load_b64 s[36:37], s[18:19], 0xec
	s_wait_xcnt 0x0
	s_add_nc_u64 s[18:19], s[18:19], 24
	s_delay_alu instid0(VALU_DEP_2) | instskip(NEXT) | instid1(VALU_DEP_2)
	v_add_nc_u32_e32 v3, v2, v3
	v_sub_nc_u32_e32 v7, v1, v7
	s_delay_alu instid0(VALU_DEP_2) | instskip(SKIP_1) | instid1(VALU_DEP_2)
	v_lshrrev_b32_e32 v1, s45, v3
	s_wait_kmcnt 0x0
	v_mad_u32 v4, v7, s40, v4
	s_delay_alu instid0(VALU_DEP_2) | instskip(SKIP_2) | instid1(VALU_DEP_3)
	v_mul_lo_u32 v3, v1, s39
	v_mad_u32 v5, v7, s42, v5
	v_mad_u32 v6, v7, s41, v6
	v_sub_nc_u32_e32 v2, v2, v3
	s_delay_alu instid0(VALU_DEP_1) | instskip(NEXT) | instid1(VALU_DEP_4)
	v_mad_u32 v4, v2, s43, v4
	v_mad_u32 v5, v2, s37, v5
	s_delay_alu instid0(VALU_DEP_4)
	v_mad_u32 v6, v2, s36, v6
	s_cbranch_scc0 .LBB101_48
; %bb.49:
	s_bitcmp1_b32 s31, 0
	s_cselect_b32 s35, -1, 0
	s_delay_alu instid0(SALU_CYCLE_1)
	s_and_b32 vcc_lo, exec_lo, s35
	s_cbranch_vccnz .LBB101_53
; %bb.50:
	s_clause 0x1
	s_load_b96 s[36:38], s[18:19], 0x1c
	s_load_b96 s[40:42], s[18:19], 0xdc
	s_wait_kmcnt 0x0
	v_mul_hi_u32 v2, s37, v1
	s_delay_alu instid0(VALU_DEP_1) | instskip(NEXT) | instid1(VALU_DEP_1)
	v_add_nc_u32_e32 v2, v1, v2
	v_lshrrev_b32_e32 v2, s38, v2
	s_delay_alu instid0(VALU_DEP_1) | instskip(NEXT) | instid1(VALU_DEP_1)
	v_mul_lo_u32 v2, v2, s36
	v_sub_nc_u32_e32 v1, v1, v2
	s_delay_alu instid0(VALU_DEP_1)
	v_mad_u32 v4, v1, s40, v4
	v_mad_u32 v6, v1, s41, v6
	;; [unrolled: 1-line block ×3, first 2 shown]
	s_branch .LBB101_53
.LBB101_51:
                                        ; implicit-def: $vgpr5
                                        ; implicit-def: $vgpr6
                                        ; implicit-def: $vgpr4
	s_branch .LBB101_54
.LBB101_52:
	v_dual_mov_b32 v5, 0 :: v_dual_mov_b32 v6, 0
	v_mov_b32_e32 v4, 0
.LBB101_53:
	s_cbranch_execnz .LBB101_56
.LBB101_54:
	v_mov_b32_e32 v1, 0
	s_and_not1_b32 vcc_lo, exec_lo, s30
	s_delay_alu instid0(VALU_DEP_1) | instskip(NEXT) | instid1(VALU_DEP_1)
	v_mul_u64_e32 v[2:3], s[2:3], v[0:1]
	v_add_nc_u32_e32 v2, v0, v3
	s_delay_alu instid0(VALU_DEP_1) | instskip(NEXT) | instid1(VALU_DEP_1)
	v_lshrrev_b32_e32 v2, s10, v2
	v_mul_lo_u32 v3, v2, s8
	s_delay_alu instid0(VALU_DEP_1) | instskip(NEXT) | instid1(VALU_DEP_1)
	v_sub_nc_u32_e32 v3, v0, v3
	v_mul_lo_u32 v4, v3, s12
	v_mul_lo_u32 v5, v3, s14
	;; [unrolled: 1-line block ×3, first 2 shown]
	s_cbranch_vccnz .LBB101_56
; %bb.55:
	v_mov_b32_e32 v3, v1
	s_delay_alu instid0(VALU_DEP_1) | instskip(NEXT) | instid1(VALU_DEP_1)
	v_mul_u64_e32 v[8:9], s[24:25], v[2:3]
	v_add_nc_u32_e32 v1, v2, v9
	s_delay_alu instid0(VALU_DEP_1) | instskip(NEXT) | instid1(VALU_DEP_1)
	v_lshrrev_b32_e32 v1, s1, v1
	v_mul_lo_u32 v1, v1, s11
	s_delay_alu instid0(VALU_DEP_1) | instskip(NEXT) | instid1(VALU_DEP_1)
	v_sub_nc_u32_e32 v1, v2, v1
	v_mad_u32 v4, v1, s15, v4
	v_mad_u32 v6, v1, s22, v6
	;; [unrolled: 1-line block ×3, first 2 shown]
.LBB101_56:
	global_load_b32 v1, v6, s[6:7]
	global_load_b32 v2, v5, s[16:17]
	v_add_nc_u32_e32 v0, 0x80, v0
	s_wait_loadcnt 0x0
	v_cmp_eq_f32_e32 vcc_lo, v1, v2
	v_cndmask_b32_e64 v3, 0, 1, vcc_lo
	v_cmp_neq_f32_e32 vcc_lo, v1, v2
	v_cndmask_b32_e64 v1, 0, 1, vcc_lo
	s_delay_alu instid0(VALU_DEP_1) | instskip(NEXT) | instid1(VALU_DEP_1)
	v_cndmask_b32_e64 v1, v1, v3, s0
	v_and_b32_e32 v1, 1, v1
	global_store_b8 v4, v1, s[4:5]
	s_wait_xcnt 0x0
	s_or_b32 exec_lo, exec_lo, s9
	s_delay_alu instid0(SALU_CYCLE_1)
	s_mov_b32 s9, exec_lo
	v_cmpx_gt_i32_e64 s33, v0
	s_cbranch_execz .LBB101_6
.LBB101_57:
	s_and_not1_b32 vcc_lo, exec_lo, s28
	s_cbranch_vccnz .LBB101_63
; %bb.58:
	s_and_not1_b32 vcc_lo, exec_lo, s34
	s_cbranch_vccnz .LBB101_64
; %bb.59:
	v_dual_mov_b32 v4, 0 :: v_dual_mov_b32 v1, v0
	v_dual_mov_b32 v6, 0 :: v_dual_mov_b32 v5, 0
	s_add_co_i32 s35, s31, 1
	s_mov_b64 s[18:19], 0xffffffffffffffe8
	s_and_b32 s35, s35, 30
	s_add_nc_u64 s[18:19], s[20:21], s[18:19]
.LBB101_60:                             ; =>This Inner Loop Header: Depth=1
	s_clause 0x1
	s_load_b128 s[36:39], s[18:19], 0x1c
	s_load_b64 s[44:45], s[18:19], 0x2c
	s_add_co_i32 s35, s35, -2
	s_delay_alu instid0(SALU_CYCLE_1) | instskip(SKIP_2) | instid1(VALU_DEP_1)
	s_cmp_eq_u32 s35, 0
	s_wait_kmcnt 0x0
	v_mul_hi_u32 v2, s37, v1
	v_add_nc_u32_e32 v2, v1, v2
	s_delay_alu instid0(VALU_DEP_1) | instskip(NEXT) | instid1(VALU_DEP_1)
	v_lshrrev_b32_e32 v2, s38, v2
	v_mul_hi_u32 v3, s44, v2
	v_mul_lo_u32 v7, v2, s36
	s_clause 0x1
	s_load_b128 s[40:43], s[18:19], 0xdc
	s_load_b64 s[36:37], s[18:19], 0xec
	s_wait_xcnt 0x0
	s_add_nc_u64 s[18:19], s[18:19], 24
	s_delay_alu instid0(VALU_DEP_2) | instskip(NEXT) | instid1(VALU_DEP_2)
	v_add_nc_u32_e32 v3, v2, v3
	v_sub_nc_u32_e32 v7, v1, v7
	s_delay_alu instid0(VALU_DEP_2) | instskip(SKIP_1) | instid1(VALU_DEP_2)
	v_lshrrev_b32_e32 v1, s45, v3
	s_wait_kmcnt 0x0
	v_mad_u32 v4, v7, s40, v4
	s_delay_alu instid0(VALU_DEP_2) | instskip(SKIP_2) | instid1(VALU_DEP_3)
	v_mul_lo_u32 v3, v1, s39
	v_mad_u32 v5, v7, s42, v5
	v_mad_u32 v6, v7, s41, v6
	v_sub_nc_u32_e32 v2, v2, v3
	s_delay_alu instid0(VALU_DEP_1) | instskip(NEXT) | instid1(VALU_DEP_4)
	v_mad_u32 v4, v2, s43, v4
	v_mad_u32 v5, v2, s37, v5
	s_delay_alu instid0(VALU_DEP_4)
	v_mad_u32 v6, v2, s36, v6
	s_cbranch_scc0 .LBB101_60
; %bb.61:
	s_bitcmp1_b32 s31, 0
	s_cselect_b32 s35, -1, 0
	s_delay_alu instid0(SALU_CYCLE_1)
	s_and_b32 vcc_lo, exec_lo, s35
	s_cbranch_vccnz .LBB101_65
; %bb.62:
	s_clause 0x1
	s_load_b96 s[36:38], s[18:19], 0x1c
	s_load_b96 s[40:42], s[18:19], 0xdc
	s_wait_kmcnt 0x0
	v_mul_hi_u32 v2, s37, v1
	s_delay_alu instid0(VALU_DEP_1) | instskip(NEXT) | instid1(VALU_DEP_1)
	v_add_nc_u32_e32 v2, v1, v2
	v_lshrrev_b32_e32 v2, s38, v2
	s_delay_alu instid0(VALU_DEP_1) | instskip(NEXT) | instid1(VALU_DEP_1)
	v_mul_lo_u32 v2, v2, s36
	v_sub_nc_u32_e32 v1, v1, v2
	s_delay_alu instid0(VALU_DEP_1)
	v_mad_u32 v4, v1, s40, v4
	v_mad_u32 v6, v1, s41, v6
	;; [unrolled: 1-line block ×3, first 2 shown]
	s_branch .LBB101_65
.LBB101_63:
                                        ; implicit-def: $vgpr5
                                        ; implicit-def: $vgpr6
                                        ; implicit-def: $vgpr4
	s_branch .LBB101_66
.LBB101_64:
	v_dual_mov_b32 v5, 0 :: v_dual_mov_b32 v6, 0
	v_mov_b32_e32 v4, 0
.LBB101_65:
	s_cbranch_execnz .LBB101_68
.LBB101_66:
	v_mov_b32_e32 v1, 0
	s_and_not1_b32 vcc_lo, exec_lo, s30
	s_delay_alu instid0(VALU_DEP_1) | instskip(NEXT) | instid1(VALU_DEP_1)
	v_mul_u64_e32 v[2:3], s[2:3], v[0:1]
	v_add_nc_u32_e32 v2, v0, v3
	s_delay_alu instid0(VALU_DEP_1) | instskip(NEXT) | instid1(VALU_DEP_1)
	v_lshrrev_b32_e32 v2, s10, v2
	v_mul_lo_u32 v3, v2, s8
	s_delay_alu instid0(VALU_DEP_1) | instskip(NEXT) | instid1(VALU_DEP_1)
	v_sub_nc_u32_e32 v3, v0, v3
	v_mul_lo_u32 v4, v3, s12
	v_mul_lo_u32 v5, v3, s14
	;; [unrolled: 1-line block ×3, first 2 shown]
	s_cbranch_vccnz .LBB101_68
; %bb.67:
	v_mov_b32_e32 v3, v1
	s_delay_alu instid0(VALU_DEP_1) | instskip(NEXT) | instid1(VALU_DEP_1)
	v_mul_u64_e32 v[8:9], s[24:25], v[2:3]
	v_add_nc_u32_e32 v1, v2, v9
	s_delay_alu instid0(VALU_DEP_1) | instskip(NEXT) | instid1(VALU_DEP_1)
	v_lshrrev_b32_e32 v1, s1, v1
	v_mul_lo_u32 v1, v1, s11
	s_delay_alu instid0(VALU_DEP_1) | instskip(NEXT) | instid1(VALU_DEP_1)
	v_sub_nc_u32_e32 v1, v2, v1
	v_mad_u32 v4, v1, s15, v4
	v_mad_u32 v6, v1, s22, v6
	;; [unrolled: 1-line block ×3, first 2 shown]
.LBB101_68:
	global_load_b32 v1, v6, s[6:7]
	global_load_b32 v2, v5, s[16:17]
	v_add_nc_u32_e32 v0, 0x80, v0
	s_wait_loadcnt 0x0
	v_cmp_eq_f32_e32 vcc_lo, v1, v2
	v_cndmask_b32_e64 v3, 0, 1, vcc_lo
	v_cmp_neq_f32_e32 vcc_lo, v1, v2
	v_cndmask_b32_e64 v1, 0, 1, vcc_lo
	s_delay_alu instid0(VALU_DEP_1) | instskip(NEXT) | instid1(VALU_DEP_1)
	v_cndmask_b32_e64 v1, v1, v3, s0
	v_and_b32_e32 v1, 1, v1
	global_store_b8 v4, v1, s[4:5]
	s_wait_xcnt 0x0
	s_or_b32 exec_lo, exec_lo, s9
	s_delay_alu instid0(SALU_CYCLE_1)
	s_mov_b32 s9, exec_lo
	v_cmpx_gt_i32_e64 s33, v0
	s_cbranch_execz .LBB101_7
.LBB101_69:
	s_and_not1_b32 vcc_lo, exec_lo, s28
	s_cbranch_vccnz .LBB101_75
; %bb.70:
	s_and_not1_b32 vcc_lo, exec_lo, s34
	s_cbranch_vccnz .LBB101_76
; %bb.71:
	v_dual_mov_b32 v4, 0 :: v_dual_mov_b32 v1, v0
	v_dual_mov_b32 v6, 0 :: v_dual_mov_b32 v5, 0
	s_add_co_i32 s35, s31, 1
	s_mov_b64 s[18:19], 0xffffffffffffffe8
	s_and_b32 s35, s35, 30
	s_add_nc_u64 s[18:19], s[20:21], s[18:19]
.LBB101_72:                             ; =>This Inner Loop Header: Depth=1
	s_clause 0x1
	s_load_b128 s[36:39], s[18:19], 0x1c
	s_load_b64 s[44:45], s[18:19], 0x2c
	s_add_co_i32 s35, s35, -2
	s_delay_alu instid0(SALU_CYCLE_1) | instskip(SKIP_2) | instid1(VALU_DEP_1)
	s_cmp_eq_u32 s35, 0
	s_wait_kmcnt 0x0
	v_mul_hi_u32 v2, s37, v1
	v_add_nc_u32_e32 v2, v1, v2
	s_delay_alu instid0(VALU_DEP_1) | instskip(NEXT) | instid1(VALU_DEP_1)
	v_lshrrev_b32_e32 v2, s38, v2
	v_mul_hi_u32 v3, s44, v2
	v_mul_lo_u32 v7, v2, s36
	s_clause 0x1
	s_load_b128 s[40:43], s[18:19], 0xdc
	s_load_b64 s[36:37], s[18:19], 0xec
	s_wait_xcnt 0x0
	s_add_nc_u64 s[18:19], s[18:19], 24
	s_delay_alu instid0(VALU_DEP_2) | instskip(NEXT) | instid1(VALU_DEP_2)
	v_add_nc_u32_e32 v3, v2, v3
	v_sub_nc_u32_e32 v7, v1, v7
	s_delay_alu instid0(VALU_DEP_2) | instskip(SKIP_1) | instid1(VALU_DEP_2)
	v_lshrrev_b32_e32 v1, s45, v3
	s_wait_kmcnt 0x0
	v_mad_u32 v4, v7, s40, v4
	s_delay_alu instid0(VALU_DEP_2) | instskip(SKIP_2) | instid1(VALU_DEP_3)
	v_mul_lo_u32 v3, v1, s39
	v_mad_u32 v5, v7, s42, v5
	v_mad_u32 v6, v7, s41, v6
	v_sub_nc_u32_e32 v2, v2, v3
	s_delay_alu instid0(VALU_DEP_1) | instskip(NEXT) | instid1(VALU_DEP_4)
	v_mad_u32 v4, v2, s43, v4
	v_mad_u32 v5, v2, s37, v5
	s_delay_alu instid0(VALU_DEP_4)
	v_mad_u32 v6, v2, s36, v6
	s_cbranch_scc0 .LBB101_72
; %bb.73:
	s_bitcmp1_b32 s31, 0
	s_cselect_b32 s35, -1, 0
	s_delay_alu instid0(SALU_CYCLE_1)
	s_and_b32 vcc_lo, exec_lo, s35
	s_cbranch_vccnz .LBB101_77
; %bb.74:
	s_clause 0x1
	s_load_b96 s[36:38], s[18:19], 0x1c
	s_load_b96 s[40:42], s[18:19], 0xdc
	s_wait_kmcnt 0x0
	v_mul_hi_u32 v2, s37, v1
	s_delay_alu instid0(VALU_DEP_1) | instskip(NEXT) | instid1(VALU_DEP_1)
	v_add_nc_u32_e32 v2, v1, v2
	v_lshrrev_b32_e32 v2, s38, v2
	s_delay_alu instid0(VALU_DEP_1) | instskip(NEXT) | instid1(VALU_DEP_1)
	v_mul_lo_u32 v2, v2, s36
	v_sub_nc_u32_e32 v1, v1, v2
	s_delay_alu instid0(VALU_DEP_1)
	v_mad_u32 v4, v1, s40, v4
	v_mad_u32 v6, v1, s41, v6
	;; [unrolled: 1-line block ×3, first 2 shown]
	s_branch .LBB101_77
.LBB101_75:
                                        ; implicit-def: $vgpr5
                                        ; implicit-def: $vgpr6
                                        ; implicit-def: $vgpr4
	s_branch .LBB101_78
.LBB101_76:
	v_dual_mov_b32 v5, 0 :: v_dual_mov_b32 v6, 0
	v_mov_b32_e32 v4, 0
.LBB101_77:
	s_cbranch_execnz .LBB101_80
.LBB101_78:
	v_mov_b32_e32 v1, 0
	s_and_not1_b32 vcc_lo, exec_lo, s30
	s_delay_alu instid0(VALU_DEP_1) | instskip(NEXT) | instid1(VALU_DEP_1)
	v_mul_u64_e32 v[2:3], s[2:3], v[0:1]
	v_add_nc_u32_e32 v2, v0, v3
	s_delay_alu instid0(VALU_DEP_1) | instskip(NEXT) | instid1(VALU_DEP_1)
	v_lshrrev_b32_e32 v2, s10, v2
	v_mul_lo_u32 v3, v2, s8
	s_delay_alu instid0(VALU_DEP_1) | instskip(NEXT) | instid1(VALU_DEP_1)
	v_sub_nc_u32_e32 v3, v0, v3
	v_mul_lo_u32 v4, v3, s12
	v_mul_lo_u32 v5, v3, s14
	;; [unrolled: 1-line block ×3, first 2 shown]
	s_cbranch_vccnz .LBB101_80
; %bb.79:
	v_mov_b32_e32 v3, v1
	s_delay_alu instid0(VALU_DEP_1) | instskip(NEXT) | instid1(VALU_DEP_1)
	v_mul_u64_e32 v[8:9], s[24:25], v[2:3]
	v_add_nc_u32_e32 v1, v2, v9
	s_delay_alu instid0(VALU_DEP_1) | instskip(NEXT) | instid1(VALU_DEP_1)
	v_lshrrev_b32_e32 v1, s1, v1
	v_mul_lo_u32 v1, v1, s11
	s_delay_alu instid0(VALU_DEP_1) | instskip(NEXT) | instid1(VALU_DEP_1)
	v_sub_nc_u32_e32 v1, v2, v1
	v_mad_u32 v4, v1, s15, v4
	v_mad_u32 v6, v1, s22, v6
	;; [unrolled: 1-line block ×3, first 2 shown]
.LBB101_80:
	global_load_b32 v1, v6, s[6:7]
	global_load_b32 v2, v5, s[16:17]
	v_add_nc_u32_e32 v0, 0x80, v0
	s_wait_loadcnt 0x0
	v_cmp_eq_f32_e32 vcc_lo, v1, v2
	v_cndmask_b32_e64 v3, 0, 1, vcc_lo
	v_cmp_neq_f32_e32 vcc_lo, v1, v2
	v_cndmask_b32_e64 v1, 0, 1, vcc_lo
	s_delay_alu instid0(VALU_DEP_1) | instskip(NEXT) | instid1(VALU_DEP_1)
	v_cndmask_b32_e64 v1, v1, v3, s0
	v_and_b32_e32 v1, 1, v1
	global_store_b8 v4, v1, s[4:5]
	s_wait_xcnt 0x0
	s_or_b32 exec_lo, exec_lo, s9
	s_delay_alu instid0(SALU_CYCLE_1)
	s_mov_b32 s9, exec_lo
	v_cmpx_gt_i32_e64 s33, v0
	s_cbranch_execz .LBB101_8
.LBB101_81:
	s_and_not1_b32 vcc_lo, exec_lo, s28
	s_cbranch_vccnz .LBB101_87
; %bb.82:
	s_and_not1_b32 vcc_lo, exec_lo, s34
	s_cbranch_vccnz .LBB101_88
; %bb.83:
	v_dual_mov_b32 v4, 0 :: v_dual_mov_b32 v1, v0
	v_dual_mov_b32 v6, 0 :: v_dual_mov_b32 v5, 0
	s_add_co_i32 s35, s31, 1
	s_mov_b64 s[18:19], 0xffffffffffffffe8
	s_and_b32 s35, s35, 30
	s_add_nc_u64 s[18:19], s[20:21], s[18:19]
.LBB101_84:                             ; =>This Inner Loop Header: Depth=1
	s_clause 0x1
	s_load_b128 s[36:39], s[18:19], 0x1c
	s_load_b64 s[44:45], s[18:19], 0x2c
	s_add_co_i32 s35, s35, -2
	s_delay_alu instid0(SALU_CYCLE_1) | instskip(SKIP_2) | instid1(VALU_DEP_1)
	s_cmp_eq_u32 s35, 0
	s_wait_kmcnt 0x0
	v_mul_hi_u32 v2, s37, v1
	v_add_nc_u32_e32 v2, v1, v2
	s_delay_alu instid0(VALU_DEP_1) | instskip(NEXT) | instid1(VALU_DEP_1)
	v_lshrrev_b32_e32 v2, s38, v2
	v_mul_hi_u32 v3, s44, v2
	v_mul_lo_u32 v7, v2, s36
	s_clause 0x1
	s_load_b128 s[40:43], s[18:19], 0xdc
	s_load_b64 s[36:37], s[18:19], 0xec
	s_wait_xcnt 0x0
	s_add_nc_u64 s[18:19], s[18:19], 24
	s_delay_alu instid0(VALU_DEP_2) | instskip(NEXT) | instid1(VALU_DEP_2)
	v_add_nc_u32_e32 v3, v2, v3
	v_sub_nc_u32_e32 v7, v1, v7
	s_delay_alu instid0(VALU_DEP_2) | instskip(SKIP_1) | instid1(VALU_DEP_2)
	v_lshrrev_b32_e32 v1, s45, v3
	s_wait_kmcnt 0x0
	v_mad_u32 v4, v7, s40, v4
	s_delay_alu instid0(VALU_DEP_2) | instskip(SKIP_2) | instid1(VALU_DEP_3)
	v_mul_lo_u32 v3, v1, s39
	v_mad_u32 v5, v7, s42, v5
	v_mad_u32 v6, v7, s41, v6
	v_sub_nc_u32_e32 v2, v2, v3
	s_delay_alu instid0(VALU_DEP_1) | instskip(NEXT) | instid1(VALU_DEP_4)
	v_mad_u32 v4, v2, s43, v4
	v_mad_u32 v5, v2, s37, v5
	s_delay_alu instid0(VALU_DEP_4)
	v_mad_u32 v6, v2, s36, v6
	s_cbranch_scc0 .LBB101_84
; %bb.85:
	s_bitcmp1_b32 s31, 0
	s_cselect_b32 s35, -1, 0
	s_delay_alu instid0(SALU_CYCLE_1)
	s_and_b32 vcc_lo, exec_lo, s35
	s_cbranch_vccnz .LBB101_89
; %bb.86:
	s_clause 0x1
	s_load_b96 s[36:38], s[18:19], 0x1c
	s_load_b96 s[40:42], s[18:19], 0xdc
	s_wait_kmcnt 0x0
	v_mul_hi_u32 v2, s37, v1
	s_delay_alu instid0(VALU_DEP_1) | instskip(NEXT) | instid1(VALU_DEP_1)
	v_add_nc_u32_e32 v2, v1, v2
	v_lshrrev_b32_e32 v2, s38, v2
	s_delay_alu instid0(VALU_DEP_1) | instskip(NEXT) | instid1(VALU_DEP_1)
	v_mul_lo_u32 v2, v2, s36
	v_sub_nc_u32_e32 v1, v1, v2
	s_delay_alu instid0(VALU_DEP_1)
	v_mad_u32 v4, v1, s40, v4
	v_mad_u32 v6, v1, s41, v6
	;; [unrolled: 1-line block ×3, first 2 shown]
	s_branch .LBB101_89
.LBB101_87:
                                        ; implicit-def: $vgpr5
                                        ; implicit-def: $vgpr6
                                        ; implicit-def: $vgpr4
	s_branch .LBB101_90
.LBB101_88:
	v_dual_mov_b32 v5, 0 :: v_dual_mov_b32 v6, 0
	v_mov_b32_e32 v4, 0
.LBB101_89:
	s_cbranch_execnz .LBB101_92
.LBB101_90:
	v_mov_b32_e32 v1, 0
	s_and_not1_b32 vcc_lo, exec_lo, s30
	s_delay_alu instid0(VALU_DEP_1) | instskip(NEXT) | instid1(VALU_DEP_1)
	v_mul_u64_e32 v[2:3], s[2:3], v[0:1]
	v_add_nc_u32_e32 v2, v0, v3
	s_delay_alu instid0(VALU_DEP_1) | instskip(NEXT) | instid1(VALU_DEP_1)
	v_lshrrev_b32_e32 v2, s10, v2
	v_mul_lo_u32 v3, v2, s8
	s_delay_alu instid0(VALU_DEP_1) | instskip(NEXT) | instid1(VALU_DEP_1)
	v_sub_nc_u32_e32 v3, v0, v3
	v_mul_lo_u32 v4, v3, s12
	v_mul_lo_u32 v5, v3, s14
	;; [unrolled: 1-line block ×3, first 2 shown]
	s_cbranch_vccnz .LBB101_92
; %bb.91:
	v_mov_b32_e32 v3, v1
	s_delay_alu instid0(VALU_DEP_1) | instskip(NEXT) | instid1(VALU_DEP_1)
	v_mul_u64_e32 v[8:9], s[24:25], v[2:3]
	v_add_nc_u32_e32 v1, v2, v9
	s_delay_alu instid0(VALU_DEP_1) | instskip(NEXT) | instid1(VALU_DEP_1)
	v_lshrrev_b32_e32 v1, s1, v1
	v_mul_lo_u32 v1, v1, s11
	s_delay_alu instid0(VALU_DEP_1) | instskip(NEXT) | instid1(VALU_DEP_1)
	v_sub_nc_u32_e32 v1, v2, v1
	v_mad_u32 v4, v1, s15, v4
	v_mad_u32 v6, v1, s22, v6
	;; [unrolled: 1-line block ×3, first 2 shown]
.LBB101_92:
	global_load_b32 v1, v6, s[6:7]
	global_load_b32 v2, v5, s[16:17]
	v_add_nc_u32_e32 v0, 0x80, v0
	s_wait_loadcnt 0x0
	v_cmp_eq_f32_e32 vcc_lo, v1, v2
	v_cndmask_b32_e64 v3, 0, 1, vcc_lo
	v_cmp_neq_f32_e32 vcc_lo, v1, v2
	v_cndmask_b32_e64 v1, 0, 1, vcc_lo
	s_delay_alu instid0(VALU_DEP_1) | instskip(NEXT) | instid1(VALU_DEP_1)
	v_cndmask_b32_e64 v1, v1, v3, s0
	v_and_b32_e32 v1, 1, v1
	global_store_b8 v4, v1, s[4:5]
	s_wait_xcnt 0x0
	s_or_b32 exec_lo, exec_lo, s9
	s_delay_alu instid0(SALU_CYCLE_1)
	s_mov_b32 s9, exec_lo
	v_cmpx_gt_i32_e64 s33, v0
	s_cbranch_execz .LBB101_105
.LBB101_93:
	s_and_not1_b32 vcc_lo, exec_lo, s28
	s_cbranch_vccnz .LBB101_99
; %bb.94:
	s_and_not1_b32 vcc_lo, exec_lo, s34
	s_cbranch_vccnz .LBB101_100
; %bb.95:
	v_dual_mov_b32 v4, 0 :: v_dual_mov_b32 v1, v0
	v_dual_mov_b32 v6, 0 :: v_dual_mov_b32 v5, 0
	s_add_co_i32 s33, s31, 1
	s_mov_b64 s[18:19], 0xffffffffffffffe8
	s_and_b32 s33, s33, 30
	s_add_nc_u64 s[18:19], s[20:21], s[18:19]
.LBB101_96:                             ; =>This Inner Loop Header: Depth=1
	s_clause 0x1
	s_load_b128 s[36:39], s[18:19], 0x1c
	s_load_b64 s[34:35], s[18:19], 0x2c
	s_add_co_i32 s33, s33, -2
	s_delay_alu instid0(SALU_CYCLE_1) | instskip(SKIP_2) | instid1(VALU_DEP_1)
	s_cmp_eq_u32 s33, 0
	s_wait_kmcnt 0x0
	v_mul_hi_u32 v2, s37, v1
	v_add_nc_u32_e32 v2, v1, v2
	s_delay_alu instid0(VALU_DEP_1) | instskip(NEXT) | instid1(VALU_DEP_1)
	v_lshrrev_b32_e32 v2, s38, v2
	v_mul_hi_u32 v3, s34, v2
	v_mul_lo_u32 v7, v2, s36
	s_clause 0x1
	s_load_b128 s[40:43], s[18:19], 0xdc
	s_load_b64 s[36:37], s[18:19], 0xec
	s_wait_xcnt 0x0
	s_add_nc_u64 s[18:19], s[18:19], 24
	s_delay_alu instid0(VALU_DEP_2) | instskip(NEXT) | instid1(VALU_DEP_2)
	v_add_nc_u32_e32 v3, v2, v3
	v_sub_nc_u32_e32 v7, v1, v7
	s_delay_alu instid0(VALU_DEP_2) | instskip(SKIP_1) | instid1(VALU_DEP_2)
	v_lshrrev_b32_e32 v1, s35, v3
	s_wait_kmcnt 0x0
	v_mad_u32 v4, v7, s40, v4
	s_delay_alu instid0(VALU_DEP_2) | instskip(SKIP_2) | instid1(VALU_DEP_3)
	v_mul_lo_u32 v3, v1, s39
	v_mad_u32 v5, v7, s42, v5
	v_mad_u32 v6, v7, s41, v6
	v_sub_nc_u32_e32 v2, v2, v3
	s_delay_alu instid0(VALU_DEP_1) | instskip(NEXT) | instid1(VALU_DEP_4)
	v_mad_u32 v4, v2, s43, v4
	v_mad_u32 v5, v2, s37, v5
	s_delay_alu instid0(VALU_DEP_4)
	v_mad_u32 v6, v2, s36, v6
	s_cbranch_scc0 .LBB101_96
; %bb.97:
	s_bitcmp1_b32 s31, 0
	s_cselect_b32 s31, -1, 0
	s_delay_alu instid0(SALU_CYCLE_1)
	s_and_b32 vcc_lo, exec_lo, s31
	s_cbranch_vccnz .LBB101_101
; %bb.98:
	s_clause 0x1
	s_load_b96 s[36:38], s[18:19], 0x1c
	s_load_b96 s[40:42], s[18:19], 0xdc
	s_wait_kmcnt 0x0
	v_mul_hi_u32 v2, s37, v1
	s_delay_alu instid0(VALU_DEP_1) | instskip(NEXT) | instid1(VALU_DEP_1)
	v_add_nc_u32_e32 v2, v1, v2
	v_lshrrev_b32_e32 v2, s38, v2
	s_delay_alu instid0(VALU_DEP_1) | instskip(NEXT) | instid1(VALU_DEP_1)
	v_mul_lo_u32 v2, v2, s36
	v_sub_nc_u32_e32 v1, v1, v2
	s_delay_alu instid0(VALU_DEP_1)
	v_mad_u32 v4, v1, s40, v4
	v_mad_u32 v6, v1, s41, v6
	;; [unrolled: 1-line block ×3, first 2 shown]
	s_branch .LBB101_101
.LBB101_99:
                                        ; implicit-def: $vgpr5
                                        ; implicit-def: $vgpr6
                                        ; implicit-def: $vgpr4
	s_branch .LBB101_102
.LBB101_100:
	v_dual_mov_b32 v5, 0 :: v_dual_mov_b32 v6, 0
	v_mov_b32_e32 v4, 0
.LBB101_101:
	s_cbranch_execnz .LBB101_104
.LBB101_102:
	v_mov_b32_e32 v1, 0
	s_and_not1_b32 vcc_lo, exec_lo, s30
	s_delay_alu instid0(VALU_DEP_1) | instskip(NEXT) | instid1(VALU_DEP_1)
	v_mul_u64_e32 v[2:3], s[2:3], v[0:1]
	v_add_nc_u32_e32 v2, v0, v3
	s_delay_alu instid0(VALU_DEP_1) | instskip(NEXT) | instid1(VALU_DEP_1)
	v_lshrrev_b32_e32 v2, s10, v2
	v_mul_lo_u32 v3, v2, s8
	s_delay_alu instid0(VALU_DEP_1) | instskip(NEXT) | instid1(VALU_DEP_1)
	v_sub_nc_u32_e32 v0, v0, v3
	v_mul_lo_u32 v4, v0, s12
	v_mul_lo_u32 v5, v0, s14
	;; [unrolled: 1-line block ×3, first 2 shown]
	s_cbranch_vccnz .LBB101_104
; %bb.103:
	v_mov_b32_e32 v3, v1
	s_delay_alu instid0(VALU_DEP_1) | instskip(NEXT) | instid1(VALU_DEP_1)
	v_mul_u64_e32 v[0:1], s[24:25], v[2:3]
	v_add_nc_u32_e32 v0, v2, v1
	s_delay_alu instid0(VALU_DEP_1) | instskip(NEXT) | instid1(VALU_DEP_1)
	v_lshrrev_b32_e32 v0, s1, v0
	v_mul_lo_u32 v0, v0, s11
	s_delay_alu instid0(VALU_DEP_1) | instskip(NEXT) | instid1(VALU_DEP_1)
	v_sub_nc_u32_e32 v0, v2, v0
	v_mad_u32 v4, v0, s15, v4
	v_mad_u32 v6, v0, s22, v6
	v_mad_u32 v5, v0, s23, v5
.LBB101_104:
	global_load_b32 v0, v6, s[6:7]
	global_load_b32 v1, v5, s[16:17]
	s_wait_loadcnt 0x0
	v_cmp_eq_f32_e32 vcc_lo, v0, v1
	v_cndmask_b32_e64 v2, 0, 1, vcc_lo
	v_cmp_neq_f32_e32 vcc_lo, v0, v1
	v_cndmask_b32_e64 v0, 0, 1, vcc_lo
	s_delay_alu instid0(VALU_DEP_1) | instskip(NEXT) | instid1(VALU_DEP_1)
	v_cndmask_b32_e64 v0, v0, v2, s0
	v_and_b32_e32 v0, 1, v0
	global_store_b8 v4, v0, s[4:5]
.LBB101_105:
	s_wait_xcnt 0x0
	s_or_b32 exec_lo, exec_lo, s9
                                        ; implicit-def: $vgpr4
                                        ; implicit-def: $vgpr0
.LBB101_106:
	s_and_not1_saveexec_b32 s0, s29
	s_cbranch_execz .LBB101_113
; %bb.107:
	v_cndmask_b32_e64 v8, 0, 1, s28
	s_and_not1_b32 vcc_lo, exec_lo, s28
	s_cbranch_vccnz .LBB101_114
; %bb.108:
	s_cmp_lg_u32 s26, 0
	s_mov_b32 s2, 0
	s_cbranch_scc0 .LBB101_118
; %bb.109:
	s_min_u32 s3, s27, 15
	v_dual_mov_b32 v1, 0 :: v_dual_mov_b32 v5, v0
	v_dual_mov_b32 v2, 0 :: v_dual_mov_b32 v3, 0
	s_add_co_i32 s4, s3, 1
	s_mov_b64 s[0:1], 0xffffffffffffffe8
	s_and_b32 s4, s4, 30
	s_add_nc_u64 s[0:1], s[20:21], s[0:1]
.LBB101_110:                            ; =>This Inner Loop Header: Depth=1
	s_clause 0x1
	s_load_b128 s[8:11], s[0:1], 0x1c
	s_load_b64 s[6:7], s[0:1], 0x2c
	s_add_co_i32 s4, s4, -2
	s_delay_alu instid0(SALU_CYCLE_1) | instskip(SKIP_2) | instid1(VALU_DEP_1)
	s_cmp_lg_u32 s4, 0
	s_wait_kmcnt 0x0
	v_mul_hi_u32 v6, s9, v5
	v_add_nc_u32_e32 v6, v5, v6
	s_delay_alu instid0(VALU_DEP_1) | instskip(NEXT) | instid1(VALU_DEP_1)
	v_lshrrev_b32_e32 v6, s10, v6
	v_mul_hi_u32 v7, s6, v6
	v_mul_lo_u32 v9, v6, s8
	s_clause 0x1
	s_load_b128 s[12:15], s[0:1], 0xdc
	s_load_b64 s[8:9], s[0:1], 0xec
	s_wait_xcnt 0x0
	s_add_nc_u64 s[0:1], s[0:1], 24
	s_delay_alu instid0(VALU_DEP_1) | instskip(NEXT) | instid1(VALU_DEP_1)
	v_dual_add_nc_u32 v7, v6, v7 :: v_dual_sub_nc_u32 v9, v5, v9
	v_lshrrev_b32_e32 v5, s7, v7
	s_wait_kmcnt 0x0
	s_delay_alu instid0(VALU_DEP_2) | instskip(NEXT) | instid1(VALU_DEP_2)
	v_mad_u32 v1, v9, s12, v1
	v_mul_lo_u32 v7, v5, s11
	v_mad_u32 v3, v9, s14, v3
	v_mad_u32 v2, v9, s13, v2
	s_delay_alu instid0(VALU_DEP_3) | instskip(NEXT) | instid1(VALU_DEP_1)
	v_sub_nc_u32_e32 v6, v6, v7
	v_mad_u32 v1, v6, s15, v1
	s_delay_alu instid0(VALU_DEP_4) | instskip(NEXT) | instid1(VALU_DEP_4)
	v_mad_u32 v3, v6, s9, v3
	v_mad_u32 v2, v6, s8, v2
	s_cbranch_scc1 .LBB101_110
; %bb.111:
	s_bitcmp1_b32 s3, 0
	s_cselect_b32 s3, -1, 0
	s_delay_alu instid0(SALU_CYCLE_1)
	s_and_b32 vcc_lo, exec_lo, s3
	s_cbranch_vccnz .LBB101_115
; %bb.112:
	s_clause 0x1
	s_load_b96 s[4:6], s[0:1], 0x1c
	s_load_b96 s[8:10], s[0:1], 0xdc
	s_wait_kmcnt 0x0
	v_mul_hi_u32 v6, s5, v5
	s_delay_alu instid0(VALU_DEP_1) | instskip(NEXT) | instid1(VALU_DEP_1)
	v_add_nc_u32_e32 v6, v5, v6
	v_lshrrev_b32_e32 v6, s6, v6
	s_delay_alu instid0(VALU_DEP_1) | instskip(NEXT) | instid1(VALU_DEP_1)
	v_mul_lo_u32 v6, v6, s4
	v_sub_nc_u32_e32 v5, v5, v6
	s_delay_alu instid0(VALU_DEP_1)
	v_mad_u32 v1, v5, s8, v1
	v_mad_u32 v2, v5, s9, v2
	;; [unrolled: 1-line block ×3, first 2 shown]
	s_and_not1_b32 vcc_lo, exec_lo, s2
	s_cbranch_vccz .LBB101_116
	s_branch .LBB101_119
.LBB101_113:
	s_endpgm
.LBB101_114:
	s_mov_b32 s2, -1
                                        ; implicit-def: $vgpr3
                                        ; implicit-def: $vgpr2
                                        ; implicit-def: $vgpr1
.LBB101_115:
	s_delay_alu instid0(SALU_CYCLE_1)
	s_and_not1_b32 vcc_lo, exec_lo, s2
	s_cbranch_vccnz .LBB101_119
.LBB101_116:
	s_clause 0x1
	s_load_b96 s[0:2], s[20:21], 0x4
	s_load_b96 s[4:6], s[20:21], 0xc4
	s_cmp_lt_u32 s26, 2
	s_wait_kmcnt 0x0
	v_mul_hi_u32 v1, s1, v0
	s_delay_alu instid0(VALU_DEP_1) | instskip(NEXT) | instid1(VALU_DEP_1)
	v_add_nc_u32_e32 v1, v0, v1
	v_lshrrev_b32_e32 v5, s2, v1
	s_delay_alu instid0(VALU_DEP_1) | instskip(NEXT) | instid1(VALU_DEP_1)
	v_mul_lo_u32 v1, v5, s0
	v_sub_nc_u32_e32 v2, v0, v1
	s_delay_alu instid0(VALU_DEP_1)
	v_mul_lo_u32 v1, v2, s4
	v_mul_lo_u32 v3, v2, s6
	;; [unrolled: 1-line block ×3, first 2 shown]
	s_cbranch_scc1 .LBB101_119
; %bb.117:
	s_clause 0x1
	s_load_b96 s[0:2], s[20:21], 0x10
	s_load_b96 s[4:6], s[20:21], 0xd0
	s_wait_kmcnt 0x0
	v_mul_hi_u32 v6, s1, v5
	s_delay_alu instid0(VALU_DEP_1) | instskip(NEXT) | instid1(VALU_DEP_1)
	v_add_nc_u32_e32 v6, v5, v6
	v_lshrrev_b32_e32 v6, s2, v6
	s_delay_alu instid0(VALU_DEP_1) | instskip(NEXT) | instid1(VALU_DEP_1)
	v_mul_lo_u32 v6, v6, s0
	v_sub_nc_u32_e32 v5, v5, v6
	s_delay_alu instid0(VALU_DEP_1)
	v_mad_u32 v1, v5, s4, v1
	v_mad_u32 v2, v5, s5, v2
	;; [unrolled: 1-line block ×3, first 2 shown]
	s_branch .LBB101_119
.LBB101_118:
	v_dual_mov_b32 v3, 0 :: v_dual_mov_b32 v2, 0
	v_mov_b32_e32 v1, 0
	s_and_not1_b32 vcc_lo, exec_lo, s2
	s_cbranch_vccz .LBB101_116
.LBB101_119:
	v_cmp_ne_u32_e32 vcc_lo, 1, v8
	v_add_nc_u32_e32 v9, 0x80, v0
	s_cbranch_vccnz .LBB101_125
; %bb.120:
	s_cmp_lg_u32 s26, 0
	s_mov_b32 s2, 0
	s_cbranch_scc0 .LBB101_129
; %bb.121:
	s_min_u32 s3, s27, 15
	v_dual_mov_b32 v5, 0 :: v_dual_mov_b32 v10, v9
	v_dual_mov_b32 v6, 0 :: v_dual_mov_b32 v7, 0
	s_add_co_i32 s4, s3, 1
	s_mov_b64 s[0:1], 0xffffffffffffffe8
	s_and_b32 s4, s4, 30
	s_add_nc_u64 s[0:1], s[20:21], s[0:1]
.LBB101_122:                            ; =>This Inner Loop Header: Depth=1
	s_clause 0x1
	s_load_b128 s[8:11], s[0:1], 0x1c
	s_load_b64 s[6:7], s[0:1], 0x2c
	s_add_co_i32 s4, s4, -2
	s_delay_alu instid0(SALU_CYCLE_1) | instskip(SKIP_2) | instid1(VALU_DEP_1)
	s_cmp_lg_u32 s4, 0
	s_wait_kmcnt 0x0
	v_mul_hi_u32 v11, s9, v10
	v_add_nc_u32_e32 v11, v10, v11
	s_delay_alu instid0(VALU_DEP_1) | instskip(NEXT) | instid1(VALU_DEP_1)
	v_lshrrev_b32_e32 v11, s10, v11
	v_mul_hi_u32 v12, s6, v11
	v_mul_lo_u32 v13, v11, s8
	s_clause 0x1
	s_load_b128 s[12:15], s[0:1], 0xdc
	s_load_b64 s[8:9], s[0:1], 0xec
	s_wait_xcnt 0x0
	s_add_nc_u64 s[0:1], s[0:1], 24
	s_delay_alu instid0(VALU_DEP_1) | instskip(NEXT) | instid1(VALU_DEP_1)
	v_dual_add_nc_u32 v12, v11, v12 :: v_dual_sub_nc_u32 v13, v10, v13
	v_lshrrev_b32_e32 v10, s7, v12
	s_wait_kmcnt 0x0
	s_delay_alu instid0(VALU_DEP_2) | instskip(NEXT) | instid1(VALU_DEP_2)
	v_mad_u32 v5, v13, s12, v5
	v_mul_lo_u32 v12, v10, s11
	v_mad_u32 v7, v13, s14, v7
	v_mad_u32 v6, v13, s13, v6
	s_delay_alu instid0(VALU_DEP_3) | instskip(NEXT) | instid1(VALU_DEP_1)
	v_sub_nc_u32_e32 v11, v11, v12
	v_mad_u32 v5, v11, s15, v5
	s_delay_alu instid0(VALU_DEP_4) | instskip(NEXT) | instid1(VALU_DEP_4)
	v_mad_u32 v7, v11, s9, v7
	v_mad_u32 v6, v11, s8, v6
	s_cbranch_scc1 .LBB101_122
; %bb.123:
	s_bitcmp1_b32 s3, 0
	s_cselect_b32 s3, -1, 0
	s_delay_alu instid0(SALU_CYCLE_1)
	s_and_b32 vcc_lo, exec_lo, s3
	s_cbranch_vccnz .LBB101_126
; %bb.124:
	s_clause 0x1
	s_load_b96 s[4:6], s[0:1], 0x1c
	s_load_b96 s[8:10], s[0:1], 0xdc
	s_wait_kmcnt 0x0
	v_mul_hi_u32 v11, s5, v10
	s_delay_alu instid0(VALU_DEP_1) | instskip(NEXT) | instid1(VALU_DEP_1)
	v_add_nc_u32_e32 v11, v10, v11
	v_lshrrev_b32_e32 v11, s6, v11
	s_delay_alu instid0(VALU_DEP_1) | instskip(NEXT) | instid1(VALU_DEP_1)
	v_mul_lo_u32 v11, v11, s4
	v_sub_nc_u32_e32 v10, v10, v11
	s_delay_alu instid0(VALU_DEP_1)
	v_mad_u32 v5, v10, s8, v5
	v_mad_u32 v6, v10, s9, v6
	;; [unrolled: 1-line block ×3, first 2 shown]
	s_and_not1_b32 vcc_lo, exec_lo, s2
	s_cbranch_vccz .LBB101_127
	s_branch .LBB101_130
.LBB101_125:
	s_mov_b32 s2, -1
                                        ; implicit-def: $vgpr7
                                        ; implicit-def: $vgpr6
                                        ; implicit-def: $vgpr5
.LBB101_126:
	s_delay_alu instid0(SALU_CYCLE_1)
	s_and_not1_b32 vcc_lo, exec_lo, s2
	s_cbranch_vccnz .LBB101_130
.LBB101_127:
	s_clause 0x1
	s_load_b96 s[0:2], s[20:21], 0x4
	s_load_b96 s[4:6], s[20:21], 0xc4
	s_cmp_lt_u32 s26, 2
	s_wait_kmcnt 0x0
	v_mul_hi_u32 v5, s1, v9
	s_delay_alu instid0(VALU_DEP_1) | instskip(NEXT) | instid1(VALU_DEP_1)
	v_add_nc_u32_e32 v5, v9, v5
	v_lshrrev_b32_e32 v10, s2, v5
	s_delay_alu instid0(VALU_DEP_1) | instskip(NEXT) | instid1(VALU_DEP_1)
	v_mul_lo_u32 v5, v10, s0
	v_sub_nc_u32_e32 v6, v9, v5
	s_delay_alu instid0(VALU_DEP_1)
	v_mul_lo_u32 v5, v6, s4
	v_mul_lo_u32 v7, v6, s6
	;; [unrolled: 1-line block ×3, first 2 shown]
	s_cbranch_scc1 .LBB101_130
; %bb.128:
	s_clause 0x1
	s_load_b96 s[0:2], s[20:21], 0x10
	s_load_b96 s[4:6], s[20:21], 0xd0
	s_wait_kmcnt 0x0
	v_mul_hi_u32 v9, s1, v10
	s_delay_alu instid0(VALU_DEP_1) | instskip(NEXT) | instid1(VALU_DEP_1)
	v_add_nc_u32_e32 v9, v10, v9
	v_lshrrev_b32_e32 v9, s2, v9
	s_delay_alu instid0(VALU_DEP_1) | instskip(NEXT) | instid1(VALU_DEP_1)
	v_mul_lo_u32 v9, v9, s0
	v_sub_nc_u32_e32 v9, v10, v9
	s_delay_alu instid0(VALU_DEP_1)
	v_mad_u32 v5, v9, s4, v5
	v_mad_u32 v6, v9, s5, v6
	;; [unrolled: 1-line block ×3, first 2 shown]
	s_branch .LBB101_130
.LBB101_129:
	v_dual_mov_b32 v7, 0 :: v_dual_mov_b32 v6, 0
	v_mov_b32_e32 v5, 0
	s_and_not1_b32 vcc_lo, exec_lo, s2
	s_cbranch_vccz .LBB101_127
.LBB101_130:
	v_cmp_ne_u32_e32 vcc_lo, 1, v8
	v_add_nc_u32_e32 v12, 0x100, v0
	s_cbranch_vccnz .LBB101_136
; %bb.131:
	s_cmp_lg_u32 s26, 0
	s_mov_b32 s2, 0
	s_cbranch_scc0 .LBB101_140
; %bb.132:
	s_min_u32 s3, s27, 15
	v_dual_mov_b32 v9, 0 :: v_dual_mov_b32 v13, v12
	v_dual_mov_b32 v11, 0 :: v_dual_mov_b32 v10, 0
	s_add_co_i32 s4, s3, 1
	s_mov_b64 s[0:1], 0xffffffffffffffe8
	s_and_b32 s4, s4, 30
	s_add_nc_u64 s[0:1], s[20:21], s[0:1]
.LBB101_133:                            ; =>This Inner Loop Header: Depth=1
	s_clause 0x1
	s_load_b128 s[8:11], s[0:1], 0x1c
	s_load_b64 s[6:7], s[0:1], 0x2c
	s_add_co_i32 s4, s4, -2
	s_delay_alu instid0(SALU_CYCLE_1) | instskip(SKIP_2) | instid1(VALU_DEP_1)
	s_cmp_lg_u32 s4, 0
	s_wait_kmcnt 0x0
	v_mul_hi_u32 v14, s9, v13
	v_add_nc_u32_e32 v14, v13, v14
	s_delay_alu instid0(VALU_DEP_1) | instskip(NEXT) | instid1(VALU_DEP_1)
	v_lshrrev_b32_e32 v14, s10, v14
	v_mul_hi_u32 v15, s6, v14
	v_mul_lo_u32 v16, v14, s8
	s_clause 0x1
	s_load_b128 s[12:15], s[0:1], 0xdc
	s_load_b64 s[8:9], s[0:1], 0xec
	s_wait_xcnt 0x0
	s_add_nc_u64 s[0:1], s[0:1], 24
	s_delay_alu instid0(VALU_DEP_1) | instskip(NEXT) | instid1(VALU_DEP_1)
	v_dual_add_nc_u32 v15, v14, v15 :: v_dual_sub_nc_u32 v16, v13, v16
	v_lshrrev_b32_e32 v13, s7, v15
	s_wait_kmcnt 0x0
	s_delay_alu instid0(VALU_DEP_2) | instskip(NEXT) | instid1(VALU_DEP_2)
	v_mad_u32 v9, v16, s12, v9
	v_mul_lo_u32 v15, v13, s11
	v_mad_u32 v10, v16, s14, v10
	v_mad_u32 v11, v16, s13, v11
	s_delay_alu instid0(VALU_DEP_3) | instskip(NEXT) | instid1(VALU_DEP_1)
	v_sub_nc_u32_e32 v14, v14, v15
	v_mad_u32 v9, v14, s15, v9
	s_delay_alu instid0(VALU_DEP_4) | instskip(NEXT) | instid1(VALU_DEP_4)
	v_mad_u32 v10, v14, s9, v10
	v_mad_u32 v11, v14, s8, v11
	s_cbranch_scc1 .LBB101_133
; %bb.134:
	s_bitcmp1_b32 s3, 0
	s_cselect_b32 s3, -1, 0
	s_delay_alu instid0(SALU_CYCLE_1)
	s_and_b32 vcc_lo, exec_lo, s3
	s_cbranch_vccnz .LBB101_137
; %bb.135:
	s_clause 0x1
	s_load_b96 s[4:6], s[0:1], 0x1c
	s_load_b96 s[8:10], s[0:1], 0xdc
	s_wait_kmcnt 0x0
	v_mul_hi_u32 v14, s5, v13
	s_delay_alu instid0(VALU_DEP_1) | instskip(NEXT) | instid1(VALU_DEP_1)
	v_add_nc_u32_e32 v14, v13, v14
	v_lshrrev_b32_e32 v14, s6, v14
	s_delay_alu instid0(VALU_DEP_1) | instskip(NEXT) | instid1(VALU_DEP_1)
	v_mul_lo_u32 v14, v14, s4
	v_sub_nc_u32_e32 v13, v13, v14
	s_delay_alu instid0(VALU_DEP_1)
	v_mad_u32 v9, v13, s8, v9
	v_mad_u32 v11, v13, s9, v11
	;; [unrolled: 1-line block ×3, first 2 shown]
	s_and_not1_b32 vcc_lo, exec_lo, s2
	s_cbranch_vccz .LBB101_138
	s_branch .LBB101_141
.LBB101_136:
	s_mov_b32 s2, -1
                                        ; implicit-def: $vgpr10
                                        ; implicit-def: $vgpr11
                                        ; implicit-def: $vgpr9
.LBB101_137:
	s_delay_alu instid0(SALU_CYCLE_1)
	s_and_not1_b32 vcc_lo, exec_lo, s2
	s_cbranch_vccnz .LBB101_141
.LBB101_138:
	s_clause 0x1
	s_load_b96 s[0:2], s[20:21], 0x4
	s_load_b96 s[4:6], s[20:21], 0xc4
	s_cmp_lt_u32 s26, 2
	s_wait_kmcnt 0x0
	v_mul_hi_u32 v9, s1, v12
	s_delay_alu instid0(VALU_DEP_1) | instskip(NEXT) | instid1(VALU_DEP_1)
	v_add_nc_u32_e32 v9, v12, v9
	v_lshrrev_b32_e32 v13, s2, v9
	s_delay_alu instid0(VALU_DEP_1) | instskip(NEXT) | instid1(VALU_DEP_1)
	v_mul_lo_u32 v9, v13, s0
	v_sub_nc_u32_e32 v11, v12, v9
	s_delay_alu instid0(VALU_DEP_1)
	v_mul_lo_u32 v9, v11, s4
	v_mul_lo_u32 v10, v11, s6
	;; [unrolled: 1-line block ×3, first 2 shown]
	s_cbranch_scc1 .LBB101_141
; %bb.139:
	s_clause 0x1
	s_load_b96 s[0:2], s[20:21], 0x10
	s_load_b96 s[4:6], s[20:21], 0xd0
	s_wait_kmcnt 0x0
	v_mul_hi_u32 v12, s1, v13
	s_delay_alu instid0(VALU_DEP_1) | instskip(NEXT) | instid1(VALU_DEP_1)
	v_add_nc_u32_e32 v12, v13, v12
	v_lshrrev_b32_e32 v12, s2, v12
	s_delay_alu instid0(VALU_DEP_1) | instskip(NEXT) | instid1(VALU_DEP_1)
	v_mul_lo_u32 v12, v12, s0
	v_sub_nc_u32_e32 v12, v13, v12
	s_delay_alu instid0(VALU_DEP_1)
	v_mad_u32 v9, v12, s4, v9
	v_mad_u32 v11, v12, s5, v11
	;; [unrolled: 1-line block ×3, first 2 shown]
	s_branch .LBB101_141
.LBB101_140:
	v_dual_mov_b32 v10, 0 :: v_dual_mov_b32 v11, 0
	v_mov_b32_e32 v9, 0
	s_and_not1_b32 vcc_lo, exec_lo, s2
	s_cbranch_vccz .LBB101_138
.LBB101_141:
	v_cmp_ne_u32_e32 vcc_lo, 1, v8
	v_add_nc_u32_e32 v15, 0x180, v0
	s_cbranch_vccnz .LBB101_147
; %bb.142:
	s_cmp_lg_u32 s26, 0
	s_mov_b32 s2, 0
	s_cbranch_scc0 .LBB101_151
; %bb.143:
	s_min_u32 s3, s27, 15
	v_dual_mov_b32 v12, 0 :: v_dual_mov_b32 v16, v15
	v_dual_mov_b32 v14, 0 :: v_dual_mov_b32 v13, 0
	s_add_co_i32 s4, s3, 1
	s_mov_b64 s[0:1], 0xffffffffffffffe8
	s_and_b32 s4, s4, 30
	s_add_nc_u64 s[0:1], s[20:21], s[0:1]
.LBB101_144:                            ; =>This Inner Loop Header: Depth=1
	s_clause 0x1
	s_load_b128 s[8:11], s[0:1], 0x1c
	s_load_b64 s[6:7], s[0:1], 0x2c
	s_add_co_i32 s4, s4, -2
	s_delay_alu instid0(SALU_CYCLE_1) | instskip(SKIP_2) | instid1(VALU_DEP_1)
	s_cmp_lg_u32 s4, 0
	s_wait_kmcnt 0x0
	v_mul_hi_u32 v17, s9, v16
	v_add_nc_u32_e32 v17, v16, v17
	s_delay_alu instid0(VALU_DEP_1) | instskip(NEXT) | instid1(VALU_DEP_1)
	v_lshrrev_b32_e32 v17, s10, v17
	v_mul_hi_u32 v18, s6, v17
	v_mul_lo_u32 v19, v17, s8
	s_clause 0x1
	s_load_b128 s[12:15], s[0:1], 0xdc
	s_load_b64 s[8:9], s[0:1], 0xec
	s_wait_xcnt 0x0
	s_add_nc_u64 s[0:1], s[0:1], 24
	s_delay_alu instid0(VALU_DEP_1) | instskip(NEXT) | instid1(VALU_DEP_1)
	v_dual_add_nc_u32 v18, v17, v18 :: v_dual_sub_nc_u32 v19, v16, v19
	v_lshrrev_b32_e32 v16, s7, v18
	s_wait_kmcnt 0x0
	s_delay_alu instid0(VALU_DEP_2) | instskip(NEXT) | instid1(VALU_DEP_2)
	v_mad_u32 v12, v19, s12, v12
	v_mul_lo_u32 v18, v16, s11
	v_mad_u32 v13, v19, s14, v13
	v_mad_u32 v14, v19, s13, v14
	s_delay_alu instid0(VALU_DEP_3) | instskip(NEXT) | instid1(VALU_DEP_1)
	v_sub_nc_u32_e32 v17, v17, v18
	v_mad_u32 v12, v17, s15, v12
	s_delay_alu instid0(VALU_DEP_4) | instskip(NEXT) | instid1(VALU_DEP_4)
	v_mad_u32 v13, v17, s9, v13
	v_mad_u32 v14, v17, s8, v14
	s_cbranch_scc1 .LBB101_144
; %bb.145:
	s_bitcmp1_b32 s3, 0
	s_cselect_b32 s3, -1, 0
	s_delay_alu instid0(SALU_CYCLE_1)
	s_and_b32 vcc_lo, exec_lo, s3
	s_cbranch_vccnz .LBB101_148
; %bb.146:
	s_clause 0x1
	s_load_b96 s[4:6], s[0:1], 0x1c
	s_load_b96 s[8:10], s[0:1], 0xdc
	s_wait_kmcnt 0x0
	v_mul_hi_u32 v17, s5, v16
	s_delay_alu instid0(VALU_DEP_1) | instskip(NEXT) | instid1(VALU_DEP_1)
	v_add_nc_u32_e32 v17, v16, v17
	v_lshrrev_b32_e32 v17, s6, v17
	s_delay_alu instid0(VALU_DEP_1) | instskip(NEXT) | instid1(VALU_DEP_1)
	v_mul_lo_u32 v17, v17, s4
	v_sub_nc_u32_e32 v16, v16, v17
	s_delay_alu instid0(VALU_DEP_1)
	v_mad_u32 v12, v16, s8, v12
	v_mad_u32 v14, v16, s9, v14
	v_mad_u32 v13, v16, s10, v13
	s_and_not1_b32 vcc_lo, exec_lo, s2
	s_cbranch_vccz .LBB101_149
	s_branch .LBB101_152
.LBB101_147:
	s_mov_b32 s2, -1
                                        ; implicit-def: $vgpr13
                                        ; implicit-def: $vgpr14
                                        ; implicit-def: $vgpr12
.LBB101_148:
	s_delay_alu instid0(SALU_CYCLE_1)
	s_and_not1_b32 vcc_lo, exec_lo, s2
	s_cbranch_vccnz .LBB101_152
.LBB101_149:
	s_clause 0x1
	s_load_b96 s[0:2], s[20:21], 0x4
	s_load_b96 s[4:6], s[20:21], 0xc4
	s_cmp_lt_u32 s26, 2
	s_wait_kmcnt 0x0
	v_mul_hi_u32 v12, s1, v15
	s_delay_alu instid0(VALU_DEP_1) | instskip(NEXT) | instid1(VALU_DEP_1)
	v_add_nc_u32_e32 v12, v15, v12
	v_lshrrev_b32_e32 v16, s2, v12
	s_delay_alu instid0(VALU_DEP_1) | instskip(NEXT) | instid1(VALU_DEP_1)
	v_mul_lo_u32 v12, v16, s0
	v_sub_nc_u32_e32 v14, v15, v12
	s_delay_alu instid0(VALU_DEP_1)
	v_mul_lo_u32 v12, v14, s4
	v_mul_lo_u32 v13, v14, s6
	;; [unrolled: 1-line block ×3, first 2 shown]
	s_cbranch_scc1 .LBB101_152
; %bb.150:
	s_clause 0x1
	s_load_b96 s[0:2], s[20:21], 0x10
	s_load_b96 s[4:6], s[20:21], 0xd0
	s_wait_kmcnt 0x0
	v_mul_hi_u32 v15, s1, v16
	s_delay_alu instid0(VALU_DEP_1) | instskip(NEXT) | instid1(VALU_DEP_1)
	v_add_nc_u32_e32 v15, v16, v15
	v_lshrrev_b32_e32 v15, s2, v15
	s_delay_alu instid0(VALU_DEP_1) | instskip(NEXT) | instid1(VALU_DEP_1)
	v_mul_lo_u32 v15, v15, s0
	v_sub_nc_u32_e32 v15, v16, v15
	s_delay_alu instid0(VALU_DEP_1)
	v_mad_u32 v12, v15, s4, v12
	v_mad_u32 v14, v15, s5, v14
	;; [unrolled: 1-line block ×3, first 2 shown]
	s_branch .LBB101_152
.LBB101_151:
	v_dual_mov_b32 v13, 0 :: v_dual_mov_b32 v14, 0
	v_mov_b32_e32 v12, 0
	s_and_not1_b32 vcc_lo, exec_lo, s2
	s_cbranch_vccz .LBB101_149
.LBB101_152:
	v_cmp_ne_u32_e32 vcc_lo, 1, v8
	v_add_nc_u32_e32 v18, 0x200, v0
	s_cbranch_vccnz .LBB101_158
; %bb.153:
	s_cmp_lg_u32 s26, 0
	s_mov_b32 s2, 0
	s_cbranch_scc0 .LBB101_162
; %bb.154:
	s_min_u32 s3, s27, 15
	v_dual_mov_b32 v15, 0 :: v_dual_mov_b32 v19, v18
	v_dual_mov_b32 v16, 0 :: v_dual_mov_b32 v17, 0
	s_add_co_i32 s4, s3, 1
	s_mov_b64 s[0:1], 0xffffffffffffffe8
	s_and_b32 s4, s4, 30
	s_add_nc_u64 s[0:1], s[20:21], s[0:1]
.LBB101_155:                            ; =>This Inner Loop Header: Depth=1
	s_clause 0x1
	s_load_b128 s[8:11], s[0:1], 0x1c
	s_load_b64 s[6:7], s[0:1], 0x2c
	s_add_co_i32 s4, s4, -2
	s_delay_alu instid0(SALU_CYCLE_1) | instskip(SKIP_2) | instid1(VALU_DEP_1)
	s_cmp_lg_u32 s4, 0
	s_wait_kmcnt 0x0
	v_mul_hi_u32 v20, s9, v19
	v_add_nc_u32_e32 v20, v19, v20
	s_delay_alu instid0(VALU_DEP_1) | instskip(NEXT) | instid1(VALU_DEP_1)
	v_lshrrev_b32_e32 v20, s10, v20
	v_mul_hi_u32 v21, s6, v20
	v_mul_lo_u32 v22, v20, s8
	s_clause 0x1
	s_load_b128 s[12:15], s[0:1], 0xdc
	s_load_b64 s[8:9], s[0:1], 0xec
	s_wait_xcnt 0x0
	s_add_nc_u64 s[0:1], s[0:1], 24
	s_delay_alu instid0(VALU_DEP_1) | instskip(NEXT) | instid1(VALU_DEP_1)
	v_dual_add_nc_u32 v21, v20, v21 :: v_dual_sub_nc_u32 v22, v19, v22
	v_lshrrev_b32_e32 v19, s7, v21
	s_wait_kmcnt 0x0
	s_delay_alu instid0(VALU_DEP_2) | instskip(NEXT) | instid1(VALU_DEP_2)
	v_mad_u32 v15, v22, s12, v15
	v_mul_lo_u32 v21, v19, s11
	v_mad_u32 v17, v22, s14, v17
	v_mad_u32 v16, v22, s13, v16
	s_delay_alu instid0(VALU_DEP_3) | instskip(NEXT) | instid1(VALU_DEP_1)
	v_sub_nc_u32_e32 v20, v20, v21
	v_mad_u32 v15, v20, s15, v15
	s_delay_alu instid0(VALU_DEP_4) | instskip(NEXT) | instid1(VALU_DEP_4)
	v_mad_u32 v17, v20, s9, v17
	v_mad_u32 v16, v20, s8, v16
	s_cbranch_scc1 .LBB101_155
; %bb.156:
	s_bitcmp1_b32 s3, 0
	s_cselect_b32 s3, -1, 0
	s_delay_alu instid0(SALU_CYCLE_1)
	s_and_b32 vcc_lo, exec_lo, s3
	s_cbranch_vccnz .LBB101_159
; %bb.157:
	s_clause 0x1
	s_load_b96 s[4:6], s[0:1], 0x1c
	s_load_b96 s[8:10], s[0:1], 0xdc
	s_wait_kmcnt 0x0
	v_mul_hi_u32 v20, s5, v19
	s_delay_alu instid0(VALU_DEP_1) | instskip(NEXT) | instid1(VALU_DEP_1)
	v_add_nc_u32_e32 v20, v19, v20
	v_lshrrev_b32_e32 v20, s6, v20
	s_delay_alu instid0(VALU_DEP_1) | instskip(NEXT) | instid1(VALU_DEP_1)
	v_mul_lo_u32 v20, v20, s4
	v_sub_nc_u32_e32 v19, v19, v20
	s_delay_alu instid0(VALU_DEP_1)
	v_mad_u32 v15, v19, s8, v15
	v_mad_u32 v16, v19, s9, v16
	;; [unrolled: 1-line block ×3, first 2 shown]
	s_and_not1_b32 vcc_lo, exec_lo, s2
	s_cbranch_vccz .LBB101_160
	s_branch .LBB101_163
.LBB101_158:
	s_mov_b32 s2, -1
                                        ; implicit-def: $vgpr17
                                        ; implicit-def: $vgpr16
                                        ; implicit-def: $vgpr15
.LBB101_159:
	s_delay_alu instid0(SALU_CYCLE_1)
	s_and_not1_b32 vcc_lo, exec_lo, s2
	s_cbranch_vccnz .LBB101_163
.LBB101_160:
	s_clause 0x1
	s_load_b96 s[0:2], s[20:21], 0x4
	s_load_b96 s[4:6], s[20:21], 0xc4
	s_cmp_lt_u32 s26, 2
	s_wait_kmcnt 0x0
	v_mul_hi_u32 v15, s1, v18
	s_delay_alu instid0(VALU_DEP_1) | instskip(NEXT) | instid1(VALU_DEP_1)
	v_add_nc_u32_e32 v15, v18, v15
	v_lshrrev_b32_e32 v19, s2, v15
	s_delay_alu instid0(VALU_DEP_1) | instskip(NEXT) | instid1(VALU_DEP_1)
	v_mul_lo_u32 v15, v19, s0
	v_sub_nc_u32_e32 v16, v18, v15
	s_delay_alu instid0(VALU_DEP_1)
	v_mul_lo_u32 v15, v16, s4
	v_mul_lo_u32 v17, v16, s6
	;; [unrolled: 1-line block ×3, first 2 shown]
	s_cbranch_scc1 .LBB101_163
; %bb.161:
	s_clause 0x1
	s_load_b96 s[0:2], s[20:21], 0x10
	s_load_b96 s[4:6], s[20:21], 0xd0
	s_wait_kmcnt 0x0
	v_mul_hi_u32 v18, s1, v19
	s_delay_alu instid0(VALU_DEP_1) | instskip(NEXT) | instid1(VALU_DEP_1)
	v_add_nc_u32_e32 v18, v19, v18
	v_lshrrev_b32_e32 v18, s2, v18
	s_delay_alu instid0(VALU_DEP_1) | instskip(NEXT) | instid1(VALU_DEP_1)
	v_mul_lo_u32 v18, v18, s0
	v_sub_nc_u32_e32 v18, v19, v18
	s_delay_alu instid0(VALU_DEP_1)
	v_mad_u32 v15, v18, s4, v15
	v_mad_u32 v16, v18, s5, v16
	;; [unrolled: 1-line block ×3, first 2 shown]
	s_branch .LBB101_163
.LBB101_162:
	v_dual_mov_b32 v17, 0 :: v_dual_mov_b32 v16, 0
	v_mov_b32_e32 v15, 0
	s_and_not1_b32 vcc_lo, exec_lo, s2
	s_cbranch_vccz .LBB101_160
.LBB101_163:
	v_cmp_ne_u32_e32 vcc_lo, 1, v8
	v_add_nc_u32_e32 v21, 0x280, v0
	s_cbranch_vccnz .LBB101_169
; %bb.164:
	s_cmp_lg_u32 s26, 0
	s_mov_b32 s2, 0
	s_cbranch_scc0 .LBB101_173
; %bb.165:
	s_min_u32 s3, s27, 15
	v_dual_mov_b32 v18, 0 :: v_dual_mov_b32 v22, v21
	v_dual_mov_b32 v20, 0 :: v_dual_mov_b32 v19, 0
	s_add_co_i32 s4, s3, 1
	s_mov_b64 s[0:1], 0xffffffffffffffe8
	s_and_b32 s4, s4, 30
	s_add_nc_u64 s[0:1], s[20:21], s[0:1]
.LBB101_166:                            ; =>This Inner Loop Header: Depth=1
	s_clause 0x1
	s_load_b128 s[8:11], s[0:1], 0x1c
	s_load_b64 s[6:7], s[0:1], 0x2c
	s_add_co_i32 s4, s4, -2
	s_delay_alu instid0(SALU_CYCLE_1) | instskip(SKIP_2) | instid1(VALU_DEP_1)
	s_cmp_lg_u32 s4, 0
	s_wait_kmcnt 0x0
	v_mul_hi_u32 v23, s9, v22
	v_add_nc_u32_e32 v23, v22, v23
	s_delay_alu instid0(VALU_DEP_1) | instskip(NEXT) | instid1(VALU_DEP_1)
	v_lshrrev_b32_e32 v23, s10, v23
	v_mul_hi_u32 v24, s6, v23
	v_mul_lo_u32 v25, v23, s8
	s_clause 0x1
	s_load_b128 s[12:15], s[0:1], 0xdc
	s_load_b64 s[8:9], s[0:1], 0xec
	s_wait_xcnt 0x0
	s_add_nc_u64 s[0:1], s[0:1], 24
	s_delay_alu instid0(VALU_DEP_1) | instskip(NEXT) | instid1(VALU_DEP_1)
	v_dual_add_nc_u32 v24, v23, v24 :: v_dual_sub_nc_u32 v25, v22, v25
	v_lshrrev_b32_e32 v22, s7, v24
	s_wait_kmcnt 0x0
	s_delay_alu instid0(VALU_DEP_2) | instskip(NEXT) | instid1(VALU_DEP_2)
	v_mad_u32 v18, v25, s12, v18
	v_mul_lo_u32 v24, v22, s11
	v_mad_u32 v19, v25, s14, v19
	v_mad_u32 v20, v25, s13, v20
	s_delay_alu instid0(VALU_DEP_3) | instskip(NEXT) | instid1(VALU_DEP_1)
	v_sub_nc_u32_e32 v23, v23, v24
	v_mad_u32 v18, v23, s15, v18
	s_delay_alu instid0(VALU_DEP_4) | instskip(NEXT) | instid1(VALU_DEP_4)
	v_mad_u32 v19, v23, s9, v19
	v_mad_u32 v20, v23, s8, v20
	s_cbranch_scc1 .LBB101_166
; %bb.167:
	s_bitcmp1_b32 s3, 0
	s_cselect_b32 s3, -1, 0
	s_delay_alu instid0(SALU_CYCLE_1)
	s_and_b32 vcc_lo, exec_lo, s3
	s_cbranch_vccnz .LBB101_170
; %bb.168:
	s_clause 0x1
	s_load_b96 s[4:6], s[0:1], 0x1c
	s_load_b96 s[8:10], s[0:1], 0xdc
	s_wait_kmcnt 0x0
	v_mul_hi_u32 v23, s5, v22
	s_delay_alu instid0(VALU_DEP_1) | instskip(NEXT) | instid1(VALU_DEP_1)
	v_add_nc_u32_e32 v23, v22, v23
	v_lshrrev_b32_e32 v23, s6, v23
	s_delay_alu instid0(VALU_DEP_1) | instskip(NEXT) | instid1(VALU_DEP_1)
	v_mul_lo_u32 v23, v23, s4
	v_sub_nc_u32_e32 v22, v22, v23
	s_delay_alu instid0(VALU_DEP_1)
	v_mad_u32 v18, v22, s8, v18
	v_mad_u32 v20, v22, s9, v20
	;; [unrolled: 1-line block ×3, first 2 shown]
	s_and_not1_b32 vcc_lo, exec_lo, s2
	s_cbranch_vccz .LBB101_171
	s_branch .LBB101_174
.LBB101_169:
	s_mov_b32 s2, -1
                                        ; implicit-def: $vgpr19
                                        ; implicit-def: $vgpr20
                                        ; implicit-def: $vgpr18
.LBB101_170:
	s_delay_alu instid0(SALU_CYCLE_1)
	s_and_not1_b32 vcc_lo, exec_lo, s2
	s_cbranch_vccnz .LBB101_174
.LBB101_171:
	s_clause 0x1
	s_load_b96 s[0:2], s[20:21], 0x4
	s_load_b96 s[4:6], s[20:21], 0xc4
	s_cmp_lt_u32 s26, 2
	s_wait_kmcnt 0x0
	v_mul_hi_u32 v18, s1, v21
	s_delay_alu instid0(VALU_DEP_1) | instskip(NEXT) | instid1(VALU_DEP_1)
	v_add_nc_u32_e32 v18, v21, v18
	v_lshrrev_b32_e32 v22, s2, v18
	s_delay_alu instid0(VALU_DEP_1) | instskip(NEXT) | instid1(VALU_DEP_1)
	v_mul_lo_u32 v18, v22, s0
	v_sub_nc_u32_e32 v20, v21, v18
	s_delay_alu instid0(VALU_DEP_1)
	v_mul_lo_u32 v18, v20, s4
	v_mul_lo_u32 v19, v20, s6
	;; [unrolled: 1-line block ×3, first 2 shown]
	s_cbranch_scc1 .LBB101_174
; %bb.172:
	s_clause 0x1
	s_load_b96 s[0:2], s[20:21], 0x10
	s_load_b96 s[4:6], s[20:21], 0xd0
	s_wait_kmcnt 0x0
	v_mul_hi_u32 v21, s1, v22
	s_delay_alu instid0(VALU_DEP_1) | instskip(NEXT) | instid1(VALU_DEP_1)
	v_add_nc_u32_e32 v21, v22, v21
	v_lshrrev_b32_e32 v21, s2, v21
	s_delay_alu instid0(VALU_DEP_1) | instskip(NEXT) | instid1(VALU_DEP_1)
	v_mul_lo_u32 v21, v21, s0
	v_sub_nc_u32_e32 v21, v22, v21
	s_delay_alu instid0(VALU_DEP_1)
	v_mad_u32 v18, v21, s4, v18
	v_mad_u32 v20, v21, s5, v20
	;; [unrolled: 1-line block ×3, first 2 shown]
	s_branch .LBB101_174
.LBB101_173:
	v_dual_mov_b32 v19, 0 :: v_dual_mov_b32 v20, 0
	v_mov_b32_e32 v18, 0
	s_and_not1_b32 vcc_lo, exec_lo, s2
	s_cbranch_vccz .LBB101_171
.LBB101_174:
	v_cmp_ne_u32_e32 vcc_lo, 1, v8
	v_add_nc_u32_e32 v23, 0x300, v0
	s_cbranch_vccnz .LBB101_180
; %bb.175:
	s_cmp_lg_u32 s26, 0
	s_mov_b32 s2, 0
	s_cbranch_scc0 .LBB101_184
; %bb.176:
	s_min_u32 s3, s27, 15
	v_dual_mov_b32 v0, 0 :: v_dual_mov_b32 v24, v23
	v_dual_mov_b32 v22, 0 :: v_dual_mov_b32 v21, 0
	s_add_co_i32 s4, s3, 1
	s_mov_b64 s[0:1], 0xffffffffffffffe8
	s_and_b32 s4, s4, 30
	s_add_nc_u64 s[0:1], s[20:21], s[0:1]
.LBB101_177:                            ; =>This Inner Loop Header: Depth=1
	s_clause 0x1
	s_load_b128 s[8:11], s[0:1], 0x1c
	s_load_b64 s[6:7], s[0:1], 0x2c
	s_add_co_i32 s4, s4, -2
	s_delay_alu instid0(SALU_CYCLE_1) | instskip(SKIP_2) | instid1(VALU_DEP_1)
	s_cmp_lg_u32 s4, 0
	s_wait_kmcnt 0x0
	v_mul_hi_u32 v25, s9, v24
	v_add_nc_u32_e32 v25, v24, v25
	s_delay_alu instid0(VALU_DEP_1) | instskip(NEXT) | instid1(VALU_DEP_1)
	v_lshrrev_b32_e32 v25, s10, v25
	v_mul_hi_u32 v26, s6, v25
	v_mul_lo_u32 v27, v25, s8
	s_clause 0x1
	s_load_b128 s[12:15], s[0:1], 0xdc
	s_load_b64 s[8:9], s[0:1], 0xec
	s_wait_xcnt 0x0
	s_add_nc_u64 s[0:1], s[0:1], 24
	s_delay_alu instid0(VALU_DEP_1) | instskip(NEXT) | instid1(VALU_DEP_1)
	v_dual_add_nc_u32 v26, v25, v26 :: v_dual_sub_nc_u32 v27, v24, v27
	v_lshrrev_b32_e32 v24, s7, v26
	s_wait_kmcnt 0x0
	s_delay_alu instid0(VALU_DEP_2) | instskip(NEXT) | instid1(VALU_DEP_2)
	v_mad_u32 v0, v27, s12, v0
	v_mul_lo_u32 v26, v24, s11
	v_mad_u32 v21, v27, s14, v21
	v_mad_u32 v22, v27, s13, v22
	s_delay_alu instid0(VALU_DEP_3) | instskip(NEXT) | instid1(VALU_DEP_1)
	v_sub_nc_u32_e32 v25, v25, v26
	v_mad_u32 v0, v25, s15, v0
	s_delay_alu instid0(VALU_DEP_4) | instskip(NEXT) | instid1(VALU_DEP_4)
	v_mad_u32 v21, v25, s9, v21
	v_mad_u32 v22, v25, s8, v22
	s_cbranch_scc1 .LBB101_177
; %bb.178:
	s_bitcmp1_b32 s3, 0
	s_cselect_b32 s3, -1, 0
	s_delay_alu instid0(SALU_CYCLE_1)
	s_and_b32 vcc_lo, exec_lo, s3
	s_cbranch_vccnz .LBB101_181
; %bb.179:
	s_clause 0x1
	s_load_b96 s[4:6], s[0:1], 0x1c
	s_load_b96 s[8:10], s[0:1], 0xdc
	s_wait_kmcnt 0x0
	v_mul_hi_u32 v25, s5, v24
	s_delay_alu instid0(VALU_DEP_1) | instskip(NEXT) | instid1(VALU_DEP_1)
	v_add_nc_u32_e32 v25, v24, v25
	v_lshrrev_b32_e32 v25, s6, v25
	s_delay_alu instid0(VALU_DEP_1) | instskip(NEXT) | instid1(VALU_DEP_1)
	v_mul_lo_u32 v25, v25, s4
	v_sub_nc_u32_e32 v24, v24, v25
	s_delay_alu instid0(VALU_DEP_1)
	v_mad_u32 v0, v24, s8, v0
	v_mad_u32 v22, v24, s9, v22
	;; [unrolled: 1-line block ×3, first 2 shown]
	s_and_not1_b32 vcc_lo, exec_lo, s2
	s_cbranch_vccz .LBB101_182
	s_branch .LBB101_185
.LBB101_180:
	s_mov_b32 s2, -1
                                        ; implicit-def: $vgpr21
                                        ; implicit-def: $vgpr22
                                        ; implicit-def: $vgpr0
.LBB101_181:
	s_delay_alu instid0(SALU_CYCLE_1)
	s_and_not1_b32 vcc_lo, exec_lo, s2
	s_cbranch_vccnz .LBB101_185
.LBB101_182:
	s_clause 0x1
	s_load_b96 s[0:2], s[20:21], 0x4
	s_load_b96 s[4:6], s[20:21], 0xc4
	s_cmp_lt_u32 s26, 2
	s_wait_kmcnt 0x0
	v_mul_hi_u32 v0, s1, v23
	s_delay_alu instid0(VALU_DEP_1) | instskip(NEXT) | instid1(VALU_DEP_1)
	v_add_nc_u32_e32 v0, v23, v0
	v_lshrrev_b32_e32 v24, s2, v0
	s_delay_alu instid0(VALU_DEP_1) | instskip(NEXT) | instid1(VALU_DEP_1)
	v_mul_lo_u32 v0, v24, s0
	v_sub_nc_u32_e32 v22, v23, v0
	s_delay_alu instid0(VALU_DEP_1)
	v_mul_lo_u32 v0, v22, s4
	v_mul_lo_u32 v21, v22, s6
	v_mul_lo_u32 v22, v22, s5
	s_cbranch_scc1 .LBB101_185
; %bb.183:
	s_clause 0x1
	s_load_b96 s[0:2], s[20:21], 0x10
	s_load_b96 s[4:6], s[20:21], 0xd0
	s_wait_kmcnt 0x0
	v_mul_hi_u32 v23, s1, v24
	s_delay_alu instid0(VALU_DEP_1) | instskip(NEXT) | instid1(VALU_DEP_1)
	v_add_nc_u32_e32 v23, v24, v23
	v_lshrrev_b32_e32 v23, s2, v23
	s_delay_alu instid0(VALU_DEP_1) | instskip(NEXT) | instid1(VALU_DEP_1)
	v_mul_lo_u32 v23, v23, s0
	v_sub_nc_u32_e32 v23, v24, v23
	s_delay_alu instid0(VALU_DEP_1)
	v_mad_u32 v0, v23, s4, v0
	v_mad_u32 v22, v23, s5, v22
	;; [unrolled: 1-line block ×3, first 2 shown]
	s_branch .LBB101_185
.LBB101_184:
	v_dual_mov_b32 v21, 0 :: v_dual_mov_b32 v22, 0
	v_mov_b32_e32 v0, 0
	s_and_not1_b32 vcc_lo, exec_lo, s2
	s_cbranch_vccz .LBB101_182
.LBB101_185:
	v_cmp_ne_u32_e32 vcc_lo, 1, v8
	s_cbranch_vccnz .LBB101_191
; %bb.186:
	s_cmp_lg_u32 s26, 0
	s_mov_b32 s2, 0
	s_cbranch_scc0 .LBB101_195
; %bb.187:
	s_min_u32 s3, s27, 15
	v_dual_mov_b32 v8, 0 :: v_dual_mov_b32 v25, v4
	v_dual_mov_b32 v24, 0 :: v_dual_mov_b32 v23, 0
	s_add_co_i32 s4, s3, 1
	s_mov_b64 s[0:1], 0xffffffffffffffe8
	s_and_b32 s4, s4, 30
	s_add_nc_u64 s[0:1], s[20:21], s[0:1]
.LBB101_188:                            ; =>This Inner Loop Header: Depth=1
	s_clause 0x1
	s_load_b128 s[8:11], s[0:1], 0x1c
	s_load_b64 s[6:7], s[0:1], 0x2c
	s_add_co_i32 s4, s4, -2
	s_delay_alu instid0(SALU_CYCLE_1) | instskip(SKIP_2) | instid1(VALU_DEP_1)
	s_cmp_lg_u32 s4, 0
	s_wait_kmcnt 0x0
	v_mul_hi_u32 v26, s9, v25
	v_add_nc_u32_e32 v26, v25, v26
	s_delay_alu instid0(VALU_DEP_1) | instskip(NEXT) | instid1(VALU_DEP_1)
	v_lshrrev_b32_e32 v26, s10, v26
	v_mul_hi_u32 v27, s6, v26
	v_mul_lo_u32 v28, v26, s8
	s_clause 0x1
	s_load_b128 s[12:15], s[0:1], 0xdc
	s_load_b64 s[8:9], s[0:1], 0xec
	s_wait_xcnt 0x0
	s_add_nc_u64 s[0:1], s[0:1], 24
	s_delay_alu instid0(VALU_DEP_1) | instskip(NEXT) | instid1(VALU_DEP_1)
	v_dual_add_nc_u32 v27, v26, v27 :: v_dual_sub_nc_u32 v28, v25, v28
	v_lshrrev_b32_e32 v25, s7, v27
	s_wait_kmcnt 0x0
	s_delay_alu instid0(VALU_DEP_2) | instskip(NEXT) | instid1(VALU_DEP_2)
	v_mad_u32 v8, v28, s12, v8
	v_mul_lo_u32 v27, v25, s11
	v_mad_u32 v23, v28, s14, v23
	v_mad_u32 v24, v28, s13, v24
	s_delay_alu instid0(VALU_DEP_3) | instskip(NEXT) | instid1(VALU_DEP_1)
	v_sub_nc_u32_e32 v26, v26, v27
	v_mad_u32 v8, v26, s15, v8
	s_delay_alu instid0(VALU_DEP_4) | instskip(NEXT) | instid1(VALU_DEP_4)
	v_mad_u32 v23, v26, s9, v23
	v_mad_u32 v24, v26, s8, v24
	s_cbranch_scc1 .LBB101_188
; %bb.189:
	s_bitcmp1_b32 s3, 0
	s_cselect_b32 s3, -1, 0
	s_delay_alu instid0(SALU_CYCLE_1)
	s_and_b32 vcc_lo, exec_lo, s3
	s_cbranch_vccnz .LBB101_192
; %bb.190:
	s_clause 0x1
	s_load_b96 s[4:6], s[0:1], 0x1c
	s_load_b96 s[8:10], s[0:1], 0xdc
	s_wait_kmcnt 0x0
	v_mul_hi_u32 v26, s5, v25
	s_delay_alu instid0(VALU_DEP_1) | instskip(NEXT) | instid1(VALU_DEP_1)
	v_add_nc_u32_e32 v26, v25, v26
	v_lshrrev_b32_e32 v26, s6, v26
	s_delay_alu instid0(VALU_DEP_1) | instskip(NEXT) | instid1(VALU_DEP_1)
	v_mul_lo_u32 v26, v26, s4
	v_sub_nc_u32_e32 v25, v25, v26
	s_delay_alu instid0(VALU_DEP_1)
	v_mad_u32 v8, v25, s8, v8
	v_mad_u32 v24, v25, s9, v24
	;; [unrolled: 1-line block ×3, first 2 shown]
	s_and_not1_b32 vcc_lo, exec_lo, s2
	s_cbranch_vccz .LBB101_193
	s_branch .LBB101_196
.LBB101_191:
	s_mov_b32 s2, -1
                                        ; implicit-def: $vgpr23
                                        ; implicit-def: $vgpr24
                                        ; implicit-def: $vgpr8
.LBB101_192:
	s_delay_alu instid0(SALU_CYCLE_1)
	s_and_not1_b32 vcc_lo, exec_lo, s2
	s_cbranch_vccnz .LBB101_196
.LBB101_193:
	s_clause 0x1
	s_load_b96 s[0:2], s[20:21], 0x4
	s_load_b96 s[4:6], s[20:21], 0xc4
	s_cmp_lt_u32 s26, 2
	s_wait_kmcnt 0x0
	v_mul_hi_u32 v8, s1, v4
	s_delay_alu instid0(VALU_DEP_1) | instskip(NEXT) | instid1(VALU_DEP_1)
	v_add_nc_u32_e32 v8, v4, v8
	v_lshrrev_b32_e32 v25, s2, v8
	s_delay_alu instid0(VALU_DEP_1) | instskip(NEXT) | instid1(VALU_DEP_1)
	v_mul_lo_u32 v8, v25, s0
	v_sub_nc_u32_e32 v4, v4, v8
	s_delay_alu instid0(VALU_DEP_1)
	v_mul_lo_u32 v8, v4, s4
	v_mul_lo_u32 v23, v4, s6
	;; [unrolled: 1-line block ×3, first 2 shown]
	s_cbranch_scc1 .LBB101_196
; %bb.194:
	s_clause 0x1
	s_load_b96 s[0:2], s[20:21], 0x10
	s_load_b96 s[4:6], s[20:21], 0xd0
	s_wait_kmcnt 0x0
	v_mul_hi_u32 v4, s1, v25
	s_delay_alu instid0(VALU_DEP_1) | instskip(NEXT) | instid1(VALU_DEP_1)
	v_add_nc_u32_e32 v4, v25, v4
	v_lshrrev_b32_e32 v4, s2, v4
	s_delay_alu instid0(VALU_DEP_1) | instskip(NEXT) | instid1(VALU_DEP_1)
	v_mul_lo_u32 v4, v4, s0
	v_sub_nc_u32_e32 v4, v25, v4
	s_delay_alu instid0(VALU_DEP_1)
	v_mad_u32 v8, v4, s4, v8
	v_mad_u32 v24, v4, s5, v24
	;; [unrolled: 1-line block ×3, first 2 shown]
	s_branch .LBB101_196
.LBB101_195:
	v_dual_mov_b32 v23, 0 :: v_dual_mov_b32 v24, 0
	v_mov_b32_e32 v8, 0
	s_and_not1_b32 vcc_lo, exec_lo, s2
	s_cbranch_vccz .LBB101_193
.LBB101_196:
	s_clause 0x1
	s_load_b128 s[0:3], s[20:21], 0x188
	s_load_b96 s[4:6], s[20:21], 0x198
	s_wait_kmcnt 0x0
	global_load_b32 v4, v2, s[2:3]
	global_load_b32 v25, v3, s[4:5]
	;; [unrolled: 1-line block ×15, first 2 shown]
                                        ; kill: killed $vgpr20
                                        ; kill: killed $vgpr3
                                        ; kill: killed $vgpr17
                                        ; kill: killed $vgpr11
                                        ; kill: killed $vgpr22
                                        ; kill: killed $vgpr7
                                        ; kill: killed $vgpr19
                                        ; kill: killed $vgpr14
                                        ; kill: killed $sgpr2_sgpr3
                                        ; kill: killed $vgpr24
                                        ; kill: killed $vgpr10
                                        ; kill: killed $vgpr2
                                        ; kill: killed $vgpr21
                                        ; kill: killed $vgpr16
                                        ; kill: killed $vgpr13
                                        ; kill: killed $vgpr6
	global_load_b32 v2, v23, s[4:5]
	s_cmp_eq_u32 s6, 0
	s_wait_loadcnt 0xe
	v_cmp_eq_f32_e32 vcc_lo, v4, v25
	s_wait_xcnt 0xe
	v_cndmask_b32_e64 v3, 0, 1, vcc_lo
	v_cmp_neq_f32_e32 vcc_lo, v4, v25
	v_cndmask_b32_e64 v4, 0, 1, vcc_lo
	s_wait_loadcnt 0xc
	v_cmp_eq_f32_e32 vcc_lo, v26, v27
	s_wait_xcnt 0xd
	v_cndmask_b32_e64 v6, 0, 1, vcc_lo
	v_cmp_neq_f32_e32 vcc_lo, v26, v27
	s_wait_xcnt 0xc
	v_cndmask_b32_e64 v7, 0, 1, vcc_lo
	s_wait_loadcnt 0xa
	v_cmp_eq_f32_e32 vcc_lo, v28, v29
	s_wait_xcnt 0xa
	v_cndmask_b32_e64 v10, 0, 1, vcc_lo
	v_cmp_neq_f32_e32 vcc_lo, v28, v29
	v_cndmask_b32_e64 v11, 0, 1, vcc_lo
	s_wait_loadcnt 0x8
	v_cmp_eq_f32_e32 vcc_lo, v30, v31
	s_wait_xcnt 0x8
	v_cndmask_b32_e64 v13, 0, 1, vcc_lo
	v_cmp_neq_f32_e32 vcc_lo, v30, v31
	;; [unrolled: 6-line block ×3, first 2 shown]
	s_wait_xcnt 0x6
	v_cndmask_b32_e64 v17, 0, 1, vcc_lo
	s_wait_loadcnt 0x4
	v_cmp_eq_f32_e32 vcc_lo, v34, v35
	s_wait_xcnt 0x4
	v_cndmask_b32_e64 v19, 0, 1, vcc_lo
	v_cmp_neq_f32_e32 vcc_lo, v34, v35
	v_cndmask_b32_e64 v20, 0, 1, vcc_lo
	s_wait_loadcnt 0x2
	v_cmp_eq_f32_e32 vcc_lo, v36, v37
	s_wait_xcnt 0x2
	v_cndmask_b32_e64 v21, 0, 1, vcc_lo
	v_cmp_neq_f32_e32 vcc_lo, v36, v37
	;; [unrolled: 6-line block ×3, first 2 shown]
	v_cndmask_b32_e64 v2, 0, 1, vcc_lo
	s_cselect_b32 vcc_lo, -1, 0
	v_dual_cndmask_b32 v3, v4, v3 :: v_dual_cndmask_b32 v4, v7, v6
	v_dual_cndmask_b32 v6, v11, v10 :: v_dual_cndmask_b32 v7, v14, v13
	v_dual_cndmask_b32 v10, v17, v16 :: v_dual_cndmask_b32 v11, v20, v19
	s_delay_alu instid0(VALU_DEP_3) | instskip(NEXT) | instid1(VALU_DEP_4)
	v_dual_cndmask_b32 v13, v22, v21, vcc_lo :: v_dual_bitop2_b32 v3, 1, v3 bitop3:0x40
	v_dual_cndmask_b32 v2, v2, v23, vcc_lo :: v_dual_bitop2_b32 v4, 1, v4 bitop3:0x40
	s_delay_alu instid0(VALU_DEP_4)
	v_and_b32_e32 v6, 1, v6
	v_and_b32_e32 v7, 1, v7
	;; [unrolled: 1-line block ×6, first 2 shown]
	s_clause 0x7
	global_store_b8 v1, v3, s[0:1]
	global_store_b8 v5, v4, s[0:1]
	;; [unrolled: 1-line block ×8, first 2 shown]
	s_endpgm
	.section	.rodata,"a",@progbits
	.p2align	6, 0x0
	.amdhsa_kernel _ZN2at6native32elementwise_kernel_manual_unrollILi128ELi8EZNS0_22gpu_kernel_impl_nocastINS0_13BinaryFunctorIffbNS0_12_GLOBAL__N_116CompareEqFunctorIfEEEEEEvRNS_18TensorIteratorBaseERKT_EUlibE_EEviT1_
		.amdhsa_group_segment_fixed_size 0
		.amdhsa_private_segment_fixed_size 0
		.amdhsa_kernarg_size 432
		.amdhsa_user_sgpr_count 2
		.amdhsa_user_sgpr_dispatch_ptr 0
		.amdhsa_user_sgpr_queue_ptr 0
		.amdhsa_user_sgpr_kernarg_segment_ptr 1
		.amdhsa_user_sgpr_dispatch_id 0
		.amdhsa_user_sgpr_kernarg_preload_length 0
		.amdhsa_user_sgpr_kernarg_preload_offset 0
		.amdhsa_user_sgpr_private_segment_size 0
		.amdhsa_wavefront_size32 1
		.amdhsa_uses_dynamic_stack 0
		.amdhsa_enable_private_segment 0
		.amdhsa_system_sgpr_workgroup_id_x 1
		.amdhsa_system_sgpr_workgroup_id_y 0
		.amdhsa_system_sgpr_workgroup_id_z 0
		.amdhsa_system_sgpr_workgroup_info 0
		.amdhsa_system_vgpr_workitem_id 0
		.amdhsa_next_free_vgpr 39
		.amdhsa_next_free_sgpr 46
		.amdhsa_named_barrier_count 0
		.amdhsa_reserve_vcc 1
		.amdhsa_float_round_mode_32 0
		.amdhsa_float_round_mode_16_64 0
		.amdhsa_float_denorm_mode_32 3
		.amdhsa_float_denorm_mode_16_64 3
		.amdhsa_fp16_overflow 0
		.amdhsa_memory_ordered 1
		.amdhsa_forward_progress 1
		.amdhsa_inst_pref_size 87
		.amdhsa_round_robin_scheduling 0
		.amdhsa_exception_fp_ieee_invalid_op 0
		.amdhsa_exception_fp_denorm_src 0
		.amdhsa_exception_fp_ieee_div_zero 0
		.amdhsa_exception_fp_ieee_overflow 0
		.amdhsa_exception_fp_ieee_underflow 0
		.amdhsa_exception_fp_ieee_inexact 0
		.amdhsa_exception_int_div_zero 0
	.end_amdhsa_kernel
	.section	.text._ZN2at6native32elementwise_kernel_manual_unrollILi128ELi8EZNS0_22gpu_kernel_impl_nocastINS0_13BinaryFunctorIffbNS0_12_GLOBAL__N_116CompareEqFunctorIfEEEEEEvRNS_18TensorIteratorBaseERKT_EUlibE_EEviT1_,"axG",@progbits,_ZN2at6native32elementwise_kernel_manual_unrollILi128ELi8EZNS0_22gpu_kernel_impl_nocastINS0_13BinaryFunctorIffbNS0_12_GLOBAL__N_116CompareEqFunctorIfEEEEEEvRNS_18TensorIteratorBaseERKT_EUlibE_EEviT1_,comdat
.Lfunc_end101:
	.size	_ZN2at6native32elementwise_kernel_manual_unrollILi128ELi8EZNS0_22gpu_kernel_impl_nocastINS0_13BinaryFunctorIffbNS0_12_GLOBAL__N_116CompareEqFunctorIfEEEEEEvRNS_18TensorIteratorBaseERKT_EUlibE_EEviT1_, .Lfunc_end101-_ZN2at6native32elementwise_kernel_manual_unrollILi128ELi8EZNS0_22gpu_kernel_impl_nocastINS0_13BinaryFunctorIffbNS0_12_GLOBAL__N_116CompareEqFunctorIfEEEEEEvRNS_18TensorIteratorBaseERKT_EUlibE_EEviT1_
                                        ; -- End function
	.set _ZN2at6native32elementwise_kernel_manual_unrollILi128ELi8EZNS0_22gpu_kernel_impl_nocastINS0_13BinaryFunctorIffbNS0_12_GLOBAL__N_116CompareEqFunctorIfEEEEEEvRNS_18TensorIteratorBaseERKT_EUlibE_EEviT1_.num_vgpr, 39
	.set _ZN2at6native32elementwise_kernel_manual_unrollILi128ELi8EZNS0_22gpu_kernel_impl_nocastINS0_13BinaryFunctorIffbNS0_12_GLOBAL__N_116CompareEqFunctorIfEEEEEEvRNS_18TensorIteratorBaseERKT_EUlibE_EEviT1_.num_agpr, 0
	.set _ZN2at6native32elementwise_kernel_manual_unrollILi128ELi8EZNS0_22gpu_kernel_impl_nocastINS0_13BinaryFunctorIffbNS0_12_GLOBAL__N_116CompareEqFunctorIfEEEEEEvRNS_18TensorIteratorBaseERKT_EUlibE_EEviT1_.numbered_sgpr, 46
	.set _ZN2at6native32elementwise_kernel_manual_unrollILi128ELi8EZNS0_22gpu_kernel_impl_nocastINS0_13BinaryFunctorIffbNS0_12_GLOBAL__N_116CompareEqFunctorIfEEEEEEvRNS_18TensorIteratorBaseERKT_EUlibE_EEviT1_.num_named_barrier, 0
	.set _ZN2at6native32elementwise_kernel_manual_unrollILi128ELi8EZNS0_22gpu_kernel_impl_nocastINS0_13BinaryFunctorIffbNS0_12_GLOBAL__N_116CompareEqFunctorIfEEEEEEvRNS_18TensorIteratorBaseERKT_EUlibE_EEviT1_.private_seg_size, 0
	.set _ZN2at6native32elementwise_kernel_manual_unrollILi128ELi8EZNS0_22gpu_kernel_impl_nocastINS0_13BinaryFunctorIffbNS0_12_GLOBAL__N_116CompareEqFunctorIfEEEEEEvRNS_18TensorIteratorBaseERKT_EUlibE_EEviT1_.uses_vcc, 1
	.set _ZN2at6native32elementwise_kernel_manual_unrollILi128ELi8EZNS0_22gpu_kernel_impl_nocastINS0_13BinaryFunctorIffbNS0_12_GLOBAL__N_116CompareEqFunctorIfEEEEEEvRNS_18TensorIteratorBaseERKT_EUlibE_EEviT1_.uses_flat_scratch, 0
	.set _ZN2at6native32elementwise_kernel_manual_unrollILi128ELi8EZNS0_22gpu_kernel_impl_nocastINS0_13BinaryFunctorIffbNS0_12_GLOBAL__N_116CompareEqFunctorIfEEEEEEvRNS_18TensorIteratorBaseERKT_EUlibE_EEviT1_.has_dyn_sized_stack, 0
	.set _ZN2at6native32elementwise_kernel_manual_unrollILi128ELi8EZNS0_22gpu_kernel_impl_nocastINS0_13BinaryFunctorIffbNS0_12_GLOBAL__N_116CompareEqFunctorIfEEEEEEvRNS_18TensorIteratorBaseERKT_EUlibE_EEviT1_.has_recursion, 0
	.set _ZN2at6native32elementwise_kernel_manual_unrollILi128ELi8EZNS0_22gpu_kernel_impl_nocastINS0_13BinaryFunctorIffbNS0_12_GLOBAL__N_116CompareEqFunctorIfEEEEEEvRNS_18TensorIteratorBaseERKT_EUlibE_EEviT1_.has_indirect_call, 0
	.section	.AMDGPU.csdata,"",@progbits
; Kernel info:
; codeLenInByte = 11072
; TotalNumSgprs: 48
; NumVgprs: 39
; ScratchSize: 0
; MemoryBound: 0
; FloatMode: 240
; IeeeMode: 1
; LDSByteSize: 0 bytes/workgroup (compile time only)
; SGPRBlocks: 0
; VGPRBlocks: 2
; NumSGPRsForWavesPerEU: 48
; NumVGPRsForWavesPerEU: 39
; NamedBarCnt: 0
; Occupancy: 16
; WaveLimiterHint : 1
; COMPUTE_PGM_RSRC2:SCRATCH_EN: 0
; COMPUTE_PGM_RSRC2:USER_SGPR: 2
; COMPUTE_PGM_RSRC2:TRAP_HANDLER: 0
; COMPUTE_PGM_RSRC2:TGID_X_EN: 1
; COMPUTE_PGM_RSRC2:TGID_Y_EN: 0
; COMPUTE_PGM_RSRC2:TGID_Z_EN: 0
; COMPUTE_PGM_RSRC2:TIDIG_COMP_CNT: 0
	.section	.text._ZN2at6native32elementwise_kernel_manual_unrollILi128ELi4EZNS0_15gpu_kernel_implINS0_13BinaryFunctorIffbNS0_12_GLOBAL__N_116CompareEqFunctorIfEEEEEEvRNS_18TensorIteratorBaseERKT_EUlibE_EEviT1_,"axG",@progbits,_ZN2at6native32elementwise_kernel_manual_unrollILi128ELi4EZNS0_15gpu_kernel_implINS0_13BinaryFunctorIffbNS0_12_GLOBAL__N_116CompareEqFunctorIfEEEEEEvRNS_18TensorIteratorBaseERKT_EUlibE_EEviT1_,comdat
	.globl	_ZN2at6native32elementwise_kernel_manual_unrollILi128ELi4EZNS0_15gpu_kernel_implINS0_13BinaryFunctorIffbNS0_12_GLOBAL__N_116CompareEqFunctorIfEEEEEEvRNS_18TensorIteratorBaseERKT_EUlibE_EEviT1_ ; -- Begin function _ZN2at6native32elementwise_kernel_manual_unrollILi128ELi4EZNS0_15gpu_kernel_implINS0_13BinaryFunctorIffbNS0_12_GLOBAL__N_116CompareEqFunctorIfEEEEEEvRNS_18TensorIteratorBaseERKT_EUlibE_EEviT1_
	.p2align	8
	.type	_ZN2at6native32elementwise_kernel_manual_unrollILi128ELi4EZNS0_15gpu_kernel_implINS0_13BinaryFunctorIffbNS0_12_GLOBAL__N_116CompareEqFunctorIfEEEEEEvRNS_18TensorIteratorBaseERKT_EUlibE_EEviT1_,@function
_ZN2at6native32elementwise_kernel_manual_unrollILi128ELi4EZNS0_15gpu_kernel_implINS0_13BinaryFunctorIffbNS0_12_GLOBAL__N_116CompareEqFunctorIfEEEEEEvRNS_18TensorIteratorBaseERKT_EUlibE_EEviT1_: ; @_ZN2at6native32elementwise_kernel_manual_unrollILi128ELi4EZNS0_15gpu_kernel_implINS0_13BinaryFunctorIffbNS0_12_GLOBAL__N_116CompareEqFunctorIfEEEEEEvRNS_18TensorIteratorBaseERKT_EUlibE_EEviT1_
; %bb.0:
	s_load_b32 s3, s[0:1], 0x30
	s_bfe_u32 s8, ttmp6, 0x4000c
	s_clause 0x1
	s_load_b32 s19, s[0:1], 0x0
	s_load_b128 s[4:7], s[0:1], 0x8
	s_add_co_i32 s14, s8, 1
	s_clause 0x1
	s_load_b64 s[12:13], s[0:1], 0x18
	s_load_b128 s[8:11], s[0:1], 0x20
	s_and_b32 s2, ttmp6, 15
	s_wait_xcnt 0x0
	s_mul_i32 s0, ttmp9, s14
	s_getreg_b32 s15, hwreg(HW_REG_IB_STS2, 6, 4)
	s_add_co_i32 s2, s2, s0
	s_mov_b32 s18, 0
	s_wait_kmcnt 0x0
	s_lshr_b32 s16, s3, 8
	s_lshr_b32 s14, s3, 16
	s_cmp_eq_u32 s15, 0
	s_mov_b32 s15, 0
	s_cselect_b32 s0, ttmp9, s2
	s_delay_alu instid0(SALU_CYCLE_1) | instskip(SKIP_1) | instid1(VALU_DEP_1)
	v_lshl_or_b32 v6, s0, 9, v0
	s_mov_b32 s0, exec_lo
	v_or_b32_e32 v0, 0x180, v6
	s_delay_alu instid0(VALU_DEP_1)
	v_cmpx_le_i32_e64 s19, v0
	s_xor_b32 s17, exec_lo, s0
	s_cbranch_execz .LBB102_1547
; %bb.1:
	s_cmp_eq_u32 s11, 0
	s_mov_b32 s23, 0
	s_cselect_b32 s0, -1, 0
	s_mov_b32 s1, -1
	s_mov_b32 s21, 0
	s_mov_b32 s20, 0
	s_mov_b32 s22, exec_lo
	v_cmpx_gt_i32_e64 s19, v6
	s_cbranch_execz .LBB102_382
; %bb.2:
	v_mul_lo_u32 v0, v6, s9
	s_and_b32 s1, s16, 0xff
	s_delay_alu instid0(SALU_CYCLE_1) | instskip(NEXT) | instid1(VALU_DEP_1)
	s_cmp_lt_i32 s1, 11
	v_ashrrev_i32_e32 v1, 31, v0
	s_delay_alu instid0(VALU_DEP_1)
	v_add_nc_u64_e32 v[0:1], s[6:7], v[0:1]
	s_cbranch_scc1 .LBB102_9
; %bb.3:
	s_and_b32 s2, 0xffff, s1
	s_delay_alu instid0(SALU_CYCLE_1)
	s_cmp_gt_i32 s2, 25
	s_cbranch_scc0 .LBB102_18
; %bb.4:
	s_cmp_gt_i32 s2, 28
	s_cbranch_scc0 .LBB102_28
; %bb.5:
	;; [unrolled: 3-line block ×4, first 2 shown]
	s_cmp_eq_u32 s2, 46
	s_cbranch_scc0 .LBB102_37
; %bb.8:
	global_load_b32 v2, v[0:1], off
	s_mov_b32 s18, -1
	s_wait_loadcnt 0x0
	v_lshlrev_b32_e32 v2, 16, v2
	s_branch .LBB102_39
.LBB102_9:
                                        ; implicit-def: $vgpr2
	s_cbranch_execnz .LBB102_105
.LBB102_10:
	s_and_not1_b32 vcc_lo, exec_lo, s18
	s_cbranch_vccnz .LBB102_152
.LBB102_11:
	s_wait_xcnt 0x0
	v_mul_lo_u32 v0, v6, s10
	s_and_b32 s1, s14, 0xff
	s_delay_alu instid0(SALU_CYCLE_1) | instskip(NEXT) | instid1(VALU_DEP_1)
	s_cmp_lt_i32 s1, 11
	v_ashrrev_i32_e32 v1, 31, v0
	s_delay_alu instid0(VALU_DEP_1)
	v_add_nc_u64_e32 v[0:1], s[12:13], v[0:1]
	s_cbranch_scc1 .LBB102_19
; %bb.12:
	s_and_b32 s2, 0xffff, s1
	s_delay_alu instid0(SALU_CYCLE_1)
	s_cmp_gt_i32 s2, 25
	s_cbranch_scc0 .LBB102_29
; %bb.13:
	s_cmp_gt_i32 s2, 28
	s_cbranch_scc0 .LBB102_32
; %bb.14:
	s_cmp_gt_i32 s2, 43
	s_cbranch_scc0 .LBB102_35
; %bb.15:
	s_cmp_gt_i32 s2, 45
	s_cbranch_scc0 .LBB102_42
; %bb.16:
	s_cmp_eq_u32 s2, 46
	s_mov_b32 s24, 0
	s_cbranch_scc0 .LBB102_153
; %bb.17:
	global_load_b32 v3, v[0:1], off
	s_mov_b32 s18, -1
	s_mov_b32 s20, 0
	s_wait_loadcnt 0x0
	v_lshlrev_b32_e32 v3, 16, v3
	s_branch .LBB102_155
.LBB102_18:
                                        ; implicit-def: $vgpr2
	s_cbranch_execnz .LBB102_70
	s_branch .LBB102_104
.LBB102_19:
	s_mov_b32 s20, 0
	s_mov_b32 s18, 0
                                        ; implicit-def: $vgpr3
	s_cbranch_execnz .LBB102_331
.LBB102_20:
	s_and_not1_b32 vcc_lo, exec_lo, s18
	s_cbranch_vccnz .LBB102_379
.LBB102_21:
	s_wait_loadcnt 0x0
	s_delay_alu instid0(VALU_DEP_1) | instskip(SKIP_2) | instid1(SALU_CYCLE_1)
	v_cmp_eq_f32_e32 vcc_lo, v2, v3
	v_mul_lo_u32 v0, v6, s8
	s_and_b32 s18, s3, 0xff
	s_cmp_lt_i32 s18, 11
	v_cndmask_b32_e64 v1, 0, 1, vcc_lo
	v_cmp_neq_f32_e32 vcc_lo, v2, v3
	v_cndmask_b32_e64 v2, 0, 1, vcc_lo
	s_delay_alu instid0(VALU_DEP_1) | instskip(NEXT) | instid1(VALU_DEP_1)
	v_dual_cndmask_b32 v2, v2, v1, s0 :: v_dual_ashrrev_i32 v1, 31, v0
	v_and_b32_e32 v2, 1, v2
	s_delay_alu instid0(VALU_DEP_2) | instskip(NEXT) | instid1(VALU_DEP_2)
	v_add_nc_u64_e32 v[0:1], s[4:5], v[0:1]
	v_cmp_eq_u32_e64 s1, 1, v2
	s_cbranch_scc1 .LBB102_30
; %bb.22:
	s_and_b32 s24, 0xffff, s18
	s_delay_alu instid0(SALU_CYCLE_1)
	s_cmp_gt_i32 s24, 25
	s_cbranch_scc0 .LBB102_33
; %bb.23:
	s_cmp_gt_i32 s24, 28
	s_cbranch_scc0 .LBB102_36
; %bb.24:
	;; [unrolled: 3-line block ×4, first 2 shown]
	s_mov_b32 s26, 0
	s_mov_b32 s2, -1
	s_cmp_eq_u32 s24, 46
	s_mov_b32 s25, 0
	s_cbranch_scc0 .LBB102_159
; %bb.27:
	v_cndmask_b32_e64 v2, 0, 1.0, s1
	s_mov_b32 s25, -1
	s_mov_b32 s2, 0
	s_delay_alu instid0(VALU_DEP_1) | instskip(NEXT) | instid1(VALU_DEP_1)
	v_bfe_u32 v3, v2, 16, 1
	v_add3_u32 v2, v2, v3, 0x7fff
	s_delay_alu instid0(VALU_DEP_1)
	v_lshrrev_b32_e32 v2, 16, v2
	global_store_b32 v[0:1], v2, off
	s_branch .LBB102_159
.LBB102_28:
	s_mov_b32 s20, -1
                                        ; implicit-def: $vgpr2
	s_branch .LBB102_51
.LBB102_29:
	s_mov_b32 s24, -1
	s_mov_b32 s20, 0
	s_mov_b32 s18, 0
                                        ; implicit-def: $vgpr3
	s_branch .LBB102_295
.LBB102_30:
	s_mov_b32 s24, -1
	s_mov_b32 s2, 0
	s_mov_b32 s25, 0
	s_branch .LBB102_228
.LBB102_31:
	s_mov_b32 s20, -1
                                        ; implicit-def: $vgpr2
	s_branch .LBB102_46
.LBB102_32:
	s_mov_b32 s24, -1
	s_mov_b32 s20, 0
	s_mov_b32 s18, 0
                                        ; implicit-def: $vgpr3
	s_branch .LBB102_276
.LBB102_33:
	s_mov_b32 s26, -1
	s_mov_b32 s2, 0
	s_mov_b32 s25, 0
	s_branch .LBB102_186
.LBB102_34:
	s_mov_b32 s20, -1
	s_branch .LBB102_38
.LBB102_35:
	s_mov_b32 s24, -1
	s_mov_b32 s20, 0
	s_mov_b32 s18, 0
                                        ; implicit-def: $vgpr3
	s_branch .LBB102_271
.LBB102_36:
	s_mov_b32 s26, -1
	s_mov_b32 s2, 0
	s_mov_b32 s25, 0
	s_branch .LBB102_169
.LBB102_37:
	s_mov_b32 s21, -1
.LBB102_38:
                                        ; implicit-def: $vgpr2
.LBB102_39:
	s_and_b32 vcc_lo, exec_lo, s20
	s_cbranch_vccz .LBB102_45
; %bb.40:
	s_cmp_eq_u32 s2, 44
	s_cbranch_scc0 .LBB102_44
; %bb.41:
	global_load_u8 v2, v[0:1], off
	s_mov_b32 s21, 0
	s_mov_b32 s18, -1
	s_wait_loadcnt 0x0
	v_lshlrev_b32_e32 v3, 23, v2
	v_cmp_ne_u32_e32 vcc_lo, 0xff, v2
	s_delay_alu instid0(VALU_DEP_2) | instskip(SKIP_1) | instid1(VALU_DEP_2)
	v_cndmask_b32_e32 v3, 0x7f800001, v3, vcc_lo
	v_cmp_ne_u32_e32 vcc_lo, 0, v2
	v_cndmask_b32_e32 v2, 0x400000, v3, vcc_lo
	s_branch .LBB102_45
.LBB102_42:
	s_mov_b32 s24, -1
	s_mov_b32 s20, 0
	s_branch .LBB102_154
.LBB102_43:
	s_mov_b32 s26, -1
	s_mov_b32 s2, 0
	s_mov_b32 s25, 0
	s_branch .LBB102_165
.LBB102_44:
	s_mov_b32 s21, -1
                                        ; implicit-def: $vgpr2
.LBB102_45:
	s_mov_b32 s20, 0
.LBB102_46:
	s_delay_alu instid0(SALU_CYCLE_1)
	s_and_b32 vcc_lo, exec_lo, s20
	s_cbranch_vccz .LBB102_50
; %bb.47:
	s_cmp_eq_u32 s2, 29
	s_cbranch_scc0 .LBB102_49
; %bb.48:
	global_load_b64 v[2:3], v[0:1], off
	s_mov_b32 s18, -1
	s_mov_b32 s21, 0
	s_mov_b32 s20, 0
	s_wait_loadcnt 0x0
	v_clz_i32_u32_e32 v4, v3
	s_delay_alu instid0(VALU_DEP_1) | instskip(NEXT) | instid1(VALU_DEP_1)
	v_min_u32_e32 v4, 32, v4
	v_lshlrev_b64_e32 v[2:3], v4, v[2:3]
	s_delay_alu instid0(VALU_DEP_1) | instskip(NEXT) | instid1(VALU_DEP_1)
	v_min_u32_e32 v2, 1, v2
	v_dual_sub_nc_u32 v3, 32, v4 :: v_dual_bitop2_b32 v2, v3, v2 bitop3:0x54
	s_delay_alu instid0(VALU_DEP_1) | instskip(NEXT) | instid1(VALU_DEP_1)
	v_cvt_f32_u32_e32 v2, v2
	v_ldexp_f32 v2, v2, v3
	s_branch .LBB102_51
.LBB102_49:
	s_mov_b32 s21, -1
                                        ; implicit-def: $vgpr2
.LBB102_50:
	s_mov_b32 s20, 0
.LBB102_51:
	s_delay_alu instid0(SALU_CYCLE_1)
	s_and_b32 vcc_lo, exec_lo, s20
	s_cbranch_vccz .LBB102_69
; %bb.52:
	s_cmp_lt_i32 s2, 27
	s_cbranch_scc1 .LBB102_55
; %bb.53:
	s_cmp_gt_i32 s2, 27
	s_cbranch_scc0 .LBB102_56
; %bb.54:
	global_load_b32 v2, v[0:1], off
	s_mov_b32 s18, 0
	s_wait_loadcnt 0x0
	v_cvt_f32_u32_e32 v2, v2
	s_branch .LBB102_57
.LBB102_55:
	s_mov_b32 s18, -1
                                        ; implicit-def: $vgpr2
	s_branch .LBB102_60
.LBB102_56:
	s_mov_b32 s18, -1
                                        ; implicit-def: $vgpr2
.LBB102_57:
	s_delay_alu instid0(SALU_CYCLE_1)
	s_and_not1_b32 vcc_lo, exec_lo, s18
	s_cbranch_vccnz .LBB102_59
; %bb.58:
	global_load_u16 v2, v[0:1], off
	s_wait_loadcnt 0x0
	v_cvt_f32_u32_e32 v2, v2
.LBB102_59:
	s_mov_b32 s18, 0
.LBB102_60:
	s_delay_alu instid0(SALU_CYCLE_1)
	s_and_not1_b32 vcc_lo, exec_lo, s18
	s_cbranch_vccnz .LBB102_68
; %bb.61:
	global_load_u8 v3, v[0:1], off
	s_mov_b32 s18, 0
	s_mov_b32 s20, exec_lo
	s_wait_loadcnt 0x0
	v_cmpx_lt_i16_e32 0x7f, v3
	s_xor_b32 s20, exec_lo, s20
	s_cbranch_execz .LBB102_81
; %bb.62:
	s_mov_b32 s18, -1
	s_mov_b32 s24, exec_lo
	v_cmpx_eq_u16_e32 0x80, v3
; %bb.63:
	s_xor_b32 s18, exec_lo, -1
; %bb.64:
	s_or_b32 exec_lo, exec_lo, s24
	s_delay_alu instid0(SALU_CYCLE_1)
	s_and_b32 s18, s18, exec_lo
	s_or_saveexec_b32 s20, s20
	v_mov_b32_e32 v2, 0x7f800001
	s_xor_b32 exec_lo, exec_lo, s20
	s_cbranch_execnz .LBB102_82
.LBB102_65:
	s_or_b32 exec_lo, exec_lo, s20
	s_and_saveexec_b32 s20, s18
	s_cbranch_execz .LBB102_67
.LBB102_66:
	v_and_b32_e32 v2, 0xffff, v3
	s_delay_alu instid0(VALU_DEP_1) | instskip(SKIP_1) | instid1(VALU_DEP_2)
	v_and_b32_e32 v4, 7, v2
	v_bfe_u32 v8, v2, 3, 4
	v_clz_i32_u32_e32 v5, v4
	s_delay_alu instid0(VALU_DEP_2) | instskip(NEXT) | instid1(VALU_DEP_2)
	v_cmp_eq_u32_e32 vcc_lo, 0, v8
	v_min_u32_e32 v5, 32, v5
	s_delay_alu instid0(VALU_DEP_1) | instskip(NEXT) | instid1(VALU_DEP_1)
	v_subrev_nc_u32_e32 v7, 28, v5
	v_dual_lshlrev_b32 v2, v7, v2 :: v_dual_sub_nc_u32 v5, 29, v5
	s_delay_alu instid0(VALU_DEP_1) | instskip(NEXT) | instid1(VALU_DEP_2)
	v_dual_lshlrev_b32 v3, 24, v3 :: v_dual_bitop2_b32 v2, 7, v2 bitop3:0x40
	v_cndmask_b32_e32 v5, v8, v5, vcc_lo
	s_delay_alu instid0(VALU_DEP_2) | instskip(NEXT) | instid1(VALU_DEP_3)
	v_cndmask_b32_e32 v2, v4, v2, vcc_lo
	v_and_b32_e32 v3, 0x80000000, v3
	s_delay_alu instid0(VALU_DEP_3) | instskip(NEXT) | instid1(VALU_DEP_3)
	v_lshl_add_u32 v4, v5, 23, 0x3b800000
	v_lshlrev_b32_e32 v2, 20, v2
	s_delay_alu instid0(VALU_DEP_1)
	v_or3_b32 v2, v3, v4, v2
.LBB102_67:
	s_or_b32 exec_lo, exec_lo, s20
.LBB102_68:
	s_mov_b32 s18, -1
.LBB102_69:
	s_branch .LBB102_104
.LBB102_70:
	s_cmp_gt_i32 s2, 22
	s_cbranch_scc0 .LBB102_80
; %bb.71:
	s_cmp_lt_i32 s2, 24
	s_cbranch_scc1 .LBB102_83
; %bb.72:
	s_cmp_gt_i32 s2, 24
	s_cbranch_scc0 .LBB102_84
; %bb.73:
	global_load_u8 v3, v[0:1], off
	s_mov_b32 s18, 0
	s_mov_b32 s20, exec_lo
	s_wait_loadcnt 0x0
	v_cmpx_lt_i16_e32 0x7f, v3
	s_xor_b32 s20, exec_lo, s20
	s_cbranch_execz .LBB102_96
; %bb.74:
	s_mov_b32 s18, -1
	s_mov_b32 s24, exec_lo
	v_cmpx_eq_u16_e32 0x80, v3
; %bb.75:
	s_xor_b32 s18, exec_lo, -1
; %bb.76:
	s_or_b32 exec_lo, exec_lo, s24
	s_delay_alu instid0(SALU_CYCLE_1)
	s_and_b32 s18, s18, exec_lo
	s_or_saveexec_b32 s20, s20
	v_mov_b32_e32 v2, 0x7f800001
	s_xor_b32 exec_lo, exec_lo, s20
	s_cbranch_execnz .LBB102_97
.LBB102_77:
	s_or_b32 exec_lo, exec_lo, s20
	s_and_saveexec_b32 s20, s18
	s_cbranch_execz .LBB102_79
.LBB102_78:
	v_and_b32_e32 v2, 0xffff, v3
	s_delay_alu instid0(VALU_DEP_1) | instskip(SKIP_1) | instid1(VALU_DEP_2)
	v_and_b32_e32 v4, 3, v2
	v_bfe_u32 v8, v2, 2, 5
	v_clz_i32_u32_e32 v5, v4
	s_delay_alu instid0(VALU_DEP_2) | instskip(NEXT) | instid1(VALU_DEP_2)
	v_cmp_eq_u32_e32 vcc_lo, 0, v8
	v_min_u32_e32 v5, 32, v5
	s_delay_alu instid0(VALU_DEP_1) | instskip(NEXT) | instid1(VALU_DEP_1)
	v_subrev_nc_u32_e32 v7, 29, v5
	v_dual_lshlrev_b32 v2, v7, v2 :: v_dual_sub_nc_u32 v5, 30, v5
	s_delay_alu instid0(VALU_DEP_1) | instskip(NEXT) | instid1(VALU_DEP_2)
	v_dual_lshlrev_b32 v3, 24, v3 :: v_dual_bitop2_b32 v2, 3, v2 bitop3:0x40
	v_cndmask_b32_e32 v5, v8, v5, vcc_lo
	s_delay_alu instid0(VALU_DEP_2) | instskip(NEXT) | instid1(VALU_DEP_3)
	v_cndmask_b32_e32 v2, v4, v2, vcc_lo
	v_and_b32_e32 v3, 0x80000000, v3
	s_delay_alu instid0(VALU_DEP_3) | instskip(NEXT) | instid1(VALU_DEP_3)
	v_lshl_add_u32 v4, v5, 23, 0x37800000
	v_lshlrev_b32_e32 v2, 21, v2
	s_delay_alu instid0(VALU_DEP_1)
	v_or3_b32 v2, v3, v4, v2
.LBB102_79:
	s_or_b32 exec_lo, exec_lo, s20
	s_mov_b32 s18, 0
	s_branch .LBB102_85
.LBB102_80:
	s_mov_b32 s20, -1
                                        ; implicit-def: $vgpr2
	s_branch .LBB102_91
.LBB102_81:
	s_or_saveexec_b32 s20, s20
	v_mov_b32_e32 v2, 0x7f800001
	s_xor_b32 exec_lo, exec_lo, s20
	s_cbranch_execz .LBB102_65
.LBB102_82:
	v_cmp_ne_u16_e32 vcc_lo, 0, v3
	v_mov_b32_e32 v2, 0
	s_and_not1_b32 s18, s18, exec_lo
	s_and_b32 s24, vcc_lo, exec_lo
	s_delay_alu instid0(SALU_CYCLE_1)
	s_or_b32 s18, s18, s24
	s_or_b32 exec_lo, exec_lo, s20
	s_and_saveexec_b32 s20, s18
	s_cbranch_execnz .LBB102_66
	s_branch .LBB102_67
.LBB102_83:
	s_mov_b32 s18, -1
                                        ; implicit-def: $vgpr2
	s_branch .LBB102_88
.LBB102_84:
	s_mov_b32 s18, -1
                                        ; implicit-def: $vgpr2
.LBB102_85:
	s_delay_alu instid0(SALU_CYCLE_1)
	s_and_b32 vcc_lo, exec_lo, s18
	s_cbranch_vccz .LBB102_87
; %bb.86:
	global_load_u8 v2, v[0:1], off
	s_wait_loadcnt 0x0
	v_lshlrev_b32_e32 v2, 24, v2
	s_delay_alu instid0(VALU_DEP_1) | instskip(NEXT) | instid1(VALU_DEP_1)
	v_and_b32_e32 v3, 0x7f000000, v2
	v_clz_i32_u32_e32 v4, v3
	v_add_nc_u32_e32 v7, 0x1000000, v3
	v_cmp_ne_u32_e32 vcc_lo, 0, v3
	s_delay_alu instid0(VALU_DEP_3) | instskip(NEXT) | instid1(VALU_DEP_1)
	v_min_u32_e32 v4, 32, v4
	v_sub_nc_u32_e64 v4, v4, 4 clamp
	s_delay_alu instid0(VALU_DEP_1) | instskip(NEXT) | instid1(VALU_DEP_1)
	v_dual_lshlrev_b32 v5, v4, v3 :: v_dual_lshlrev_b32 v4, 23, v4
	v_lshrrev_b32_e32 v5, 4, v5
	s_delay_alu instid0(VALU_DEP_1) | instskip(NEXT) | instid1(VALU_DEP_1)
	v_dual_sub_nc_u32 v4, v5, v4 :: v_dual_ashrrev_i32 v5, 8, v7
	v_add_nc_u32_e32 v4, 0x3c000000, v4
	s_delay_alu instid0(VALU_DEP_1) | instskip(NEXT) | instid1(VALU_DEP_1)
	v_and_or_b32 v4, 0x7f800000, v5, v4
	v_cndmask_b32_e32 v3, 0, v4, vcc_lo
	s_delay_alu instid0(VALU_DEP_1)
	v_and_or_b32 v2, 0x80000000, v2, v3
.LBB102_87:
	s_mov_b32 s18, 0
.LBB102_88:
	s_delay_alu instid0(SALU_CYCLE_1)
	s_and_not1_b32 vcc_lo, exec_lo, s18
	s_cbranch_vccnz .LBB102_90
; %bb.89:
	global_load_u8 v2, v[0:1], off
	s_wait_loadcnt 0x0
	v_lshlrev_b32_e32 v3, 25, v2
	v_lshlrev_b16 v2, 8, v2
	s_delay_alu instid0(VALU_DEP_1) | instskip(SKIP_1) | instid1(VALU_DEP_2)
	v_and_or_b32 v5, 0x7f00, v2, 0.5
	v_bfe_i32 v2, v2, 0, 16
	v_dual_add_f32 v5, -0.5, v5 :: v_dual_lshrrev_b32 v4, 4, v3
	v_cmp_gt_u32_e32 vcc_lo, 0x8000000, v3
	s_delay_alu instid0(VALU_DEP_2) | instskip(NEXT) | instid1(VALU_DEP_1)
	v_or_b32_e32 v4, 0x70000000, v4
	v_mul_f32_e32 v4, 0x7800000, v4
	s_delay_alu instid0(VALU_DEP_1) | instskip(NEXT) | instid1(VALU_DEP_1)
	v_cndmask_b32_e32 v3, v4, v5, vcc_lo
	v_and_or_b32 v2, 0x80000000, v2, v3
.LBB102_90:
	s_mov_b32 s20, 0
	s_mov_b32 s18, -1
.LBB102_91:
	s_and_not1_b32 vcc_lo, exec_lo, s20
	s_cbranch_vccnz .LBB102_104
; %bb.92:
	s_cmp_gt_i32 s2, 14
	s_cbranch_scc0 .LBB102_95
; %bb.93:
	s_cmp_eq_u32 s2, 15
	s_cbranch_scc0 .LBB102_98
; %bb.94:
	global_load_u16 v2, v[0:1], off
	s_mov_b32 s18, -1
	s_mov_b32 s21, 0
	s_wait_loadcnt 0x0
	v_lshlrev_b32_e32 v2, 16, v2
	s_branch .LBB102_99
.LBB102_95:
	s_mov_b32 s20, -1
                                        ; implicit-def: $vgpr2
	s_branch .LBB102_100
.LBB102_96:
	s_or_saveexec_b32 s20, s20
	v_mov_b32_e32 v2, 0x7f800001
	s_xor_b32 exec_lo, exec_lo, s20
	s_cbranch_execz .LBB102_77
.LBB102_97:
	v_cmp_ne_u16_e32 vcc_lo, 0, v3
	v_mov_b32_e32 v2, 0
	s_and_not1_b32 s18, s18, exec_lo
	s_and_b32 s24, vcc_lo, exec_lo
	s_delay_alu instid0(SALU_CYCLE_1)
	s_or_b32 s18, s18, s24
	s_or_b32 exec_lo, exec_lo, s20
	s_and_saveexec_b32 s20, s18
	s_cbranch_execnz .LBB102_78
	s_branch .LBB102_79
.LBB102_98:
	s_mov_b32 s21, -1
                                        ; implicit-def: $vgpr2
.LBB102_99:
	s_mov_b32 s20, 0
.LBB102_100:
	s_delay_alu instid0(SALU_CYCLE_1)
	s_and_b32 vcc_lo, exec_lo, s20
	s_cbranch_vccz .LBB102_104
; %bb.101:
	s_cmp_eq_u32 s2, 11
	s_cbranch_scc0 .LBB102_103
; %bb.102:
	global_load_u8 v2, v[0:1], off
	s_mov_b32 s21, 0
	s_mov_b32 s18, -1
	s_wait_loadcnt 0x0
	v_cmp_ne_u16_e32 vcc_lo, 0, v2
	v_cndmask_b32_e64 v2, 0, 1.0, vcc_lo
	s_branch .LBB102_104
.LBB102_103:
	s_mov_b32 s21, -1
                                        ; implicit-def: $vgpr2
.LBB102_104:
	s_branch .LBB102_10
.LBB102_105:
	s_and_b32 s1, 0xffff, s1
	s_delay_alu instid0(SALU_CYCLE_1)
	s_cmp_lt_i32 s1, 5
	s_cbranch_scc1 .LBB102_110
; %bb.106:
	s_cmp_lt_i32 s1, 8
	s_cbranch_scc1 .LBB102_111
; %bb.107:
	;; [unrolled: 3-line block ×3, first 2 shown]
	s_cmp_gt_i32 s1, 9
	s_cbranch_scc0 .LBB102_113
; %bb.109:
	global_load_b64 v[2:3], v[0:1], off
	s_mov_b32 s2, 0
	s_wait_loadcnt 0x0
	v_cvt_f32_f64_e32 v2, v[2:3]
	s_branch .LBB102_114
.LBB102_110:
                                        ; implicit-def: $vgpr2
	s_branch .LBB102_132
.LBB102_111:
	s_mov_b32 s2, -1
                                        ; implicit-def: $vgpr2
	s_branch .LBB102_120
.LBB102_112:
	s_mov_b32 s2, -1
                                        ; implicit-def: $vgpr2
	s_branch .LBB102_117
.LBB102_113:
	s_mov_b32 s2, -1
                                        ; implicit-def: $vgpr2
.LBB102_114:
	s_delay_alu instid0(SALU_CYCLE_1)
	s_and_not1_b32 vcc_lo, exec_lo, s2
	s_cbranch_vccnz .LBB102_116
; %bb.115:
	global_load_b32 v2, v[0:1], off
.LBB102_116:
	s_mov_b32 s2, 0
.LBB102_117:
	s_delay_alu instid0(SALU_CYCLE_1)
	s_and_not1_b32 vcc_lo, exec_lo, s2
	s_cbranch_vccnz .LBB102_119
; %bb.118:
	s_wait_loadcnt 0x0
	global_load_b32 v2, v[0:1], off
	s_wait_loadcnt 0x0
	v_cvt_f32_f16_e32 v2, v2
.LBB102_119:
	s_mov_b32 s2, 0
.LBB102_120:
	s_delay_alu instid0(SALU_CYCLE_1)
	s_and_not1_b32 vcc_lo, exec_lo, s2
	s_cbranch_vccnz .LBB102_131
; %bb.121:
	s_cmp_lt_i32 s1, 6
	s_cbranch_scc1 .LBB102_124
; %bb.122:
	s_cmp_gt_i32 s1, 6
	s_cbranch_scc0 .LBB102_125
; %bb.123:
	s_wait_loadcnt 0x0
	global_load_b64 v[2:3], v[0:1], off
	s_mov_b32 s2, 0
	s_wait_loadcnt 0x0
	v_cvt_f32_f64_e32 v2, v[2:3]
	s_branch .LBB102_126
.LBB102_124:
	s_mov_b32 s2, -1
                                        ; implicit-def: $vgpr2
	s_branch .LBB102_129
.LBB102_125:
	s_mov_b32 s2, -1
                                        ; implicit-def: $vgpr2
.LBB102_126:
	s_delay_alu instid0(SALU_CYCLE_1)
	s_and_not1_b32 vcc_lo, exec_lo, s2
	s_cbranch_vccnz .LBB102_128
; %bb.127:
	s_wait_loadcnt 0x0
	global_load_b32 v2, v[0:1], off
.LBB102_128:
	s_mov_b32 s2, 0
.LBB102_129:
	s_delay_alu instid0(SALU_CYCLE_1)
	s_and_not1_b32 vcc_lo, exec_lo, s2
	s_cbranch_vccnz .LBB102_131
; %bb.130:
	s_wait_loadcnt 0x0
	global_load_u16 v2, v[0:1], off
	s_wait_loadcnt 0x0
	v_cvt_f32_f16_e32 v2, v2
.LBB102_131:
	s_cbranch_execnz .LBB102_151
.LBB102_132:
	s_cmp_lt_i32 s1, 2
	s_cbranch_scc1 .LBB102_136
; %bb.133:
	s_cmp_lt_i32 s1, 3
	s_cbranch_scc1 .LBB102_137
; %bb.134:
	s_cmp_gt_i32 s1, 3
	s_cbranch_scc0 .LBB102_138
; %bb.135:
	s_wait_loadcnt 0x0
	global_load_b64 v[2:3], v[0:1], off
	s_mov_b32 s2, 0
	s_wait_loadcnt 0x0
	v_xor_b32_e32 v4, v2, v3
	v_cls_i32_e32 v5, v3
	s_delay_alu instid0(VALU_DEP_2) | instskip(NEXT) | instid1(VALU_DEP_1)
	v_ashrrev_i32_e32 v4, 31, v4
	v_add_nc_u32_e32 v4, 32, v4
	s_delay_alu instid0(VALU_DEP_1) | instskip(NEXT) | instid1(VALU_DEP_1)
	v_add_min_u32_e64 v4, v5, -1, v4
	v_lshlrev_b64_e32 v[2:3], v4, v[2:3]
	s_delay_alu instid0(VALU_DEP_1) | instskip(NEXT) | instid1(VALU_DEP_1)
	v_min_u32_e32 v2, 1, v2
	v_dual_sub_nc_u32 v3, 32, v4 :: v_dual_bitop2_b32 v2, v3, v2 bitop3:0x54
	s_delay_alu instid0(VALU_DEP_1) | instskip(NEXT) | instid1(VALU_DEP_1)
	v_cvt_f32_i32_e32 v2, v2
	v_ldexp_f32 v2, v2, v3
	s_branch .LBB102_139
.LBB102_136:
	s_mov_b32 s2, -1
                                        ; implicit-def: $vgpr2
	s_branch .LBB102_145
.LBB102_137:
	s_mov_b32 s2, -1
                                        ; implicit-def: $vgpr2
	s_branch .LBB102_142
.LBB102_138:
	s_mov_b32 s2, -1
                                        ; implicit-def: $vgpr2
.LBB102_139:
	s_delay_alu instid0(SALU_CYCLE_1)
	s_and_not1_b32 vcc_lo, exec_lo, s2
	s_cbranch_vccnz .LBB102_141
; %bb.140:
	s_wait_loadcnt 0x0
	global_load_b32 v2, v[0:1], off
	s_wait_loadcnt 0x0
	v_cvt_f32_i32_e32 v2, v2
.LBB102_141:
	s_mov_b32 s2, 0
.LBB102_142:
	s_delay_alu instid0(SALU_CYCLE_1)
	s_and_not1_b32 vcc_lo, exec_lo, s2
	s_cbranch_vccnz .LBB102_144
; %bb.143:
	s_wait_loadcnt 0x0
	global_load_i16 v2, v[0:1], off
	s_wait_loadcnt 0x0
	v_cvt_f32_i32_e32 v2, v2
.LBB102_144:
	s_mov_b32 s2, 0
.LBB102_145:
	s_delay_alu instid0(SALU_CYCLE_1)
	s_and_not1_b32 vcc_lo, exec_lo, s2
	s_cbranch_vccnz .LBB102_151
; %bb.146:
	s_cmp_gt_i32 s1, 0
	s_mov_b32 s1, 0
	s_cbranch_scc0 .LBB102_148
; %bb.147:
	s_wait_loadcnt 0x0
	global_load_i8 v2, v[0:1], off
	s_wait_loadcnt 0x0
	v_cvt_f32_i32_e32 v2, v2
	s_branch .LBB102_149
.LBB102_148:
	s_mov_b32 s1, -1
                                        ; implicit-def: $vgpr2
.LBB102_149:
	s_delay_alu instid0(SALU_CYCLE_1)
	s_and_not1_b32 vcc_lo, exec_lo, s1
	s_cbranch_vccnz .LBB102_151
; %bb.150:
	global_load_u8 v0, v[0:1], off
	s_wait_loadcnt 0x0
	v_cvt_f32_ubyte0_e32 v2, v0
.LBB102_151:
	s_branch .LBB102_11
.LBB102_152:
	s_mov_b32 s2, 0
	s_mov_b32 s20, 0
	s_branch .LBB102_380
.LBB102_153:
	s_mov_b32 s20, -1
.LBB102_154:
	s_mov_b32 s18, 0
                                        ; implicit-def: $vgpr3
.LBB102_155:
	s_and_b32 vcc_lo, exec_lo, s24
	s_cbranch_vccz .LBB102_270
; %bb.156:
	s_cmp_eq_u32 s2, 44
	s_cbranch_scc0 .LBB102_269
; %bb.157:
	global_load_u8 v3, v[0:1], off
	s_mov_b32 s20, 0
	s_mov_b32 s18, -1
	s_wait_loadcnt 0x0
	v_lshlrev_b32_e32 v4, 23, v3
	v_cmp_ne_u32_e32 vcc_lo, 0xff, v3
	s_delay_alu instid0(VALU_DEP_2) | instskip(SKIP_1) | instid1(VALU_DEP_2)
	v_cndmask_b32_e32 v4, 0x7f800001, v4, vcc_lo
	v_cmp_ne_u32_e32 vcc_lo, 0, v3
	v_cndmask_b32_e32 v3, 0x400000, v4, vcc_lo
	s_branch .LBB102_270
.LBB102_158:
	s_mov_b32 s26, -1
	s_mov_b32 s2, 0
	s_mov_b32 s25, 0
.LBB102_159:
	s_and_b32 vcc_lo, exec_lo, s26
	s_cbranch_vccz .LBB102_164
; %bb.160:
	s_cmp_eq_u32 s24, 44
	s_mov_b32 s2, -1
	s_cbranch_scc0 .LBB102_164
; %bb.161:
	v_cndmask_b32_e64 v4, 0, 1.0, s1
	s_mov_b32 s25, exec_lo
	s_wait_xcnt 0x0
	s_delay_alu instid0(VALU_DEP_1) | instskip(NEXT) | instid1(VALU_DEP_1)
	v_dual_mov_b32 v3, 0xff :: v_dual_lshrrev_b32 v2, 23, v4
	v_cmpx_ne_u32_e32 0xff, v2
; %bb.162:
	v_and_b32_e32 v3, 0x400000, v4
	v_and_or_b32 v4, 0x3fffff, v4, v2
	s_delay_alu instid0(VALU_DEP_2) | instskip(NEXT) | instid1(VALU_DEP_2)
	v_cmp_ne_u32_e32 vcc_lo, 0, v3
	v_cmp_ne_u32_e64 s2, 0, v4
	s_and_b32 s2, vcc_lo, s2
	s_delay_alu instid0(SALU_CYCLE_1) | instskip(NEXT) | instid1(VALU_DEP_1)
	v_cndmask_b32_e64 v3, 0, 1, s2
	v_add_nc_u32_e32 v3, v2, v3
; %bb.163:
	s_or_b32 exec_lo, exec_lo, s25
	s_mov_b32 s25, -1
	s_mov_b32 s2, 0
	global_store_b8 v[0:1], v3, off
.LBB102_164:
	s_mov_b32 s26, 0
.LBB102_165:
	s_delay_alu instid0(SALU_CYCLE_1)
	s_and_b32 vcc_lo, exec_lo, s26
	s_cbranch_vccz .LBB102_168
; %bb.166:
	s_cmp_eq_u32 s24, 29
	s_mov_b32 s2, -1
	s_cbranch_scc0 .LBB102_168
; %bb.167:
	s_mov_b32 s2, 0
	s_wait_xcnt 0x0
	v_cndmask_b32_e64 v2, 0, 1, s1
	v_mov_b32_e32 v3, s2
	s_mov_b32 s25, -1
	s_mov_b32 s26, 0
	global_store_b64 v[0:1], v[2:3], off
	s_branch .LBB102_169
.LBB102_168:
	s_mov_b32 s26, 0
.LBB102_169:
	s_delay_alu instid0(SALU_CYCLE_1)
	s_and_b32 vcc_lo, exec_lo, s26
	s_cbranch_vccz .LBB102_185
; %bb.170:
	s_cmp_lt_i32 s24, 27
	s_mov_b32 s25, -1
	s_cbranch_scc1 .LBB102_176
; %bb.171:
	s_cmp_gt_i32 s24, 27
	s_cbranch_scc0 .LBB102_173
; %bb.172:
	s_wait_xcnt 0x0
	v_cndmask_b32_e64 v2, 0, 1, s1
	s_mov_b32 s25, 0
	global_store_b32 v[0:1], v2, off
.LBB102_173:
	s_and_not1_b32 vcc_lo, exec_lo, s25
	s_cbranch_vccnz .LBB102_175
; %bb.174:
	s_wait_xcnt 0x0
	v_cndmask_b32_e64 v2, 0, 1, s1
	global_store_b16 v[0:1], v2, off
.LBB102_175:
	s_mov_b32 s25, 0
.LBB102_176:
	s_delay_alu instid0(SALU_CYCLE_1)
	s_and_not1_b32 vcc_lo, exec_lo, s25
	s_cbranch_vccnz .LBB102_184
; %bb.177:
	s_wait_xcnt 0x0
	v_cndmask_b32_e64 v3, 0, 1.0, s1
	v_mov_b32_e32 v4, 0x80
	s_mov_b32 s25, exec_lo
	s_delay_alu instid0(VALU_DEP_2)
	v_cmpx_gt_u32_e32 0x43800000, v3
	s_cbranch_execz .LBB102_183
; %bb.178:
	s_mov_b32 s26, 0
	s_mov_b32 s27, exec_lo
                                        ; implicit-def: $vgpr2
	v_cmpx_lt_u32_e32 0x3bffffff, v3
	s_xor_b32 s27, exec_lo, s27
	s_cbranch_execz .LBB102_411
; %bb.179:
	v_bfe_u32 v2, v3, 20, 1
	s_mov_b32 s26, exec_lo
	s_delay_alu instid0(VALU_DEP_1) | instskip(NEXT) | instid1(VALU_DEP_1)
	v_add3_u32 v2, v3, v2, 0x487ffff
                                        ; implicit-def: $vgpr3
	v_lshrrev_b32_e32 v2, 20, v2
	s_and_not1_saveexec_b32 s27, s27
	s_cbranch_execnz .LBB102_412
.LBB102_180:
	s_or_b32 exec_lo, exec_lo, s27
	v_mov_b32_e32 v4, 0
	s_and_saveexec_b32 s27, s26
.LBB102_181:
	v_mov_b32_e32 v4, v2
.LBB102_182:
	s_or_b32 exec_lo, exec_lo, s27
.LBB102_183:
	s_delay_alu instid0(SALU_CYCLE_1)
	s_or_b32 exec_lo, exec_lo, s25
	global_store_b8 v[0:1], v4, off
.LBB102_184:
	s_mov_b32 s25, -1
.LBB102_185:
	s_mov_b32 s26, 0
.LBB102_186:
	s_delay_alu instid0(SALU_CYCLE_1)
	s_and_b32 vcc_lo, exec_lo, s26
	s_cbranch_vccz .LBB102_227
; %bb.187:
	s_cmp_gt_i32 s24, 22
	s_mov_b32 s26, -1
	s_cbranch_scc0 .LBB102_219
; %bb.188:
	s_cmp_lt_i32 s24, 24
	s_mov_b32 s25, -1
	s_cbranch_scc1 .LBB102_208
; %bb.189:
	s_cmp_gt_i32 s24, 24
	s_cbranch_scc0 .LBB102_197
; %bb.190:
	s_wait_xcnt 0x0
	v_cndmask_b32_e64 v3, 0, 1.0, s1
	v_mov_b32_e32 v4, 0x80
	s_mov_b32 s25, exec_lo
	s_delay_alu instid0(VALU_DEP_2)
	v_cmpx_gt_u32_e32 0x47800000, v3
	s_cbranch_execz .LBB102_196
; %bb.191:
	s_mov_b32 s26, 0
	s_mov_b32 s27, exec_lo
                                        ; implicit-def: $vgpr2
	v_cmpx_lt_u32_e32 0x37ffffff, v3
	s_xor_b32 s27, exec_lo, s27
	s_cbranch_execz .LBB102_530
; %bb.192:
	v_bfe_u32 v2, v3, 21, 1
	s_mov_b32 s26, exec_lo
	s_delay_alu instid0(VALU_DEP_1) | instskip(NEXT) | instid1(VALU_DEP_1)
	v_add3_u32 v2, v3, v2, 0x88fffff
                                        ; implicit-def: $vgpr3
	v_lshrrev_b32_e32 v2, 21, v2
	s_and_not1_saveexec_b32 s27, s27
	s_cbranch_execnz .LBB102_531
.LBB102_193:
	s_or_b32 exec_lo, exec_lo, s27
	v_mov_b32_e32 v4, 0
	s_and_saveexec_b32 s27, s26
.LBB102_194:
	v_mov_b32_e32 v4, v2
.LBB102_195:
	s_or_b32 exec_lo, exec_lo, s27
.LBB102_196:
	s_delay_alu instid0(SALU_CYCLE_1)
	s_or_b32 exec_lo, exec_lo, s25
	s_mov_b32 s25, 0
	global_store_b8 v[0:1], v4, off
.LBB102_197:
	s_and_b32 vcc_lo, exec_lo, s25
	s_cbranch_vccz .LBB102_207
; %bb.198:
	s_wait_xcnt 0x0
	v_cndmask_b32_e64 v3, 0, 1.0, s1
	s_mov_b32 s25, exec_lo
                                        ; implicit-def: $vgpr2
	s_delay_alu instid0(VALU_DEP_1)
	v_cmpx_gt_u32_e32 0x43f00000, v3
	s_xor_b32 s25, exec_lo, s25
	s_cbranch_execz .LBB102_204
; %bb.199:
	s_mov_b32 s26, exec_lo
                                        ; implicit-def: $vgpr2
	v_cmpx_lt_u32_e32 0x3c7fffff, v3
	s_xor_b32 s26, exec_lo, s26
; %bb.200:
	v_bfe_u32 v2, v3, 20, 1
	s_delay_alu instid0(VALU_DEP_1) | instskip(NEXT) | instid1(VALU_DEP_1)
	v_add3_u32 v2, v3, v2, 0x407ffff
	v_and_b32_e32 v3, 0xff00000, v2
	v_lshrrev_b32_e32 v2, 20, v2
	s_delay_alu instid0(VALU_DEP_2) | instskip(NEXT) | instid1(VALU_DEP_2)
	v_cmp_ne_u32_e32 vcc_lo, 0x7f00000, v3
                                        ; implicit-def: $vgpr3
	v_cndmask_b32_e32 v2, 0x7e, v2, vcc_lo
; %bb.201:
	s_and_not1_saveexec_b32 s26, s26
; %bb.202:
	v_add_f32_e32 v2, 0x46800000, v3
; %bb.203:
	s_or_b32 exec_lo, exec_lo, s26
                                        ; implicit-def: $vgpr3
.LBB102_204:
	s_and_not1_saveexec_b32 s25, s25
; %bb.205:
	v_mov_b32_e32 v2, 0x7f
	v_cmp_lt_u32_e32 vcc_lo, 0x7f800000, v3
	s_delay_alu instid0(VALU_DEP_2)
	v_cndmask_b32_e32 v2, 0x7e, v2, vcc_lo
; %bb.206:
	s_or_b32 exec_lo, exec_lo, s25
	global_store_b8 v[0:1], v2, off
.LBB102_207:
	s_mov_b32 s25, 0
.LBB102_208:
	s_delay_alu instid0(SALU_CYCLE_1)
	s_and_not1_b32 vcc_lo, exec_lo, s25
	s_cbranch_vccnz .LBB102_218
; %bb.209:
	s_wait_xcnt 0x0
	v_cndmask_b32_e64 v3, 0, 1.0, s1
	s_mov_b32 s25, exec_lo
                                        ; implicit-def: $vgpr2
	s_delay_alu instid0(VALU_DEP_1)
	v_cmpx_gt_u32_e32 0x47800000, v3
	s_xor_b32 s25, exec_lo, s25
	s_cbranch_execz .LBB102_215
; %bb.210:
	s_mov_b32 s26, exec_lo
                                        ; implicit-def: $vgpr2
	v_cmpx_lt_u32_e32 0x387fffff, v3
	s_xor_b32 s26, exec_lo, s26
; %bb.211:
	v_bfe_u32 v2, v3, 21, 1
	s_delay_alu instid0(VALU_DEP_1) | instskip(NEXT) | instid1(VALU_DEP_1)
	v_add3_u32 v2, v3, v2, 0x80fffff
                                        ; implicit-def: $vgpr3
	v_lshrrev_b32_e32 v2, 21, v2
; %bb.212:
	s_and_not1_saveexec_b32 s26, s26
; %bb.213:
	v_add_f32_e32 v2, 0x43000000, v3
; %bb.214:
	s_or_b32 exec_lo, exec_lo, s26
                                        ; implicit-def: $vgpr3
.LBB102_215:
	s_and_not1_saveexec_b32 s25, s25
; %bb.216:
	v_mov_b32_e32 v2, 0x7f
	v_cmp_lt_u32_e32 vcc_lo, 0x7f800000, v3
	s_delay_alu instid0(VALU_DEP_2)
	v_cndmask_b32_e32 v2, 0x7c, v2, vcc_lo
; %bb.217:
	s_or_b32 exec_lo, exec_lo, s25
	global_store_b8 v[0:1], v2, off
.LBB102_218:
	s_mov_b32 s26, 0
	s_mov_b32 s25, -1
.LBB102_219:
	s_and_not1_b32 vcc_lo, exec_lo, s26
	s_cbranch_vccnz .LBB102_227
; %bb.220:
	s_cmp_gt_i32 s24, 14
	s_mov_b32 s26, -1
	s_cbranch_scc0 .LBB102_224
; %bb.221:
	s_cmp_eq_u32 s24, 15
	s_mov_b32 s2, -1
	s_cbranch_scc0 .LBB102_223
; %bb.222:
	s_wait_xcnt 0x0
	v_cndmask_b32_e64 v2, 0, 1.0, s1
	s_mov_b32 s25, -1
	s_mov_b32 s2, 0
	s_delay_alu instid0(VALU_DEP_1) | instskip(NEXT) | instid1(VALU_DEP_1)
	v_bfe_u32 v3, v2, 16, 1
	v_add3_u32 v2, v2, v3, 0x7fff
	global_store_d16_hi_b16 v[0:1], v2, off
.LBB102_223:
	s_mov_b32 s26, 0
.LBB102_224:
	s_delay_alu instid0(SALU_CYCLE_1)
	s_and_b32 vcc_lo, exec_lo, s26
	s_cbranch_vccz .LBB102_227
; %bb.225:
	s_cmp_eq_u32 s24, 11
	s_mov_b32 s2, -1
	s_cbranch_scc0 .LBB102_227
; %bb.226:
	s_wait_xcnt 0x0
	v_cndmask_b32_e64 v2, 0, 1, s1
	s_mov_b32 s25, -1
	s_mov_b32 s2, 0
	global_store_b8 v[0:1], v2, off
.LBB102_227:
	s_mov_b32 s24, 0
.LBB102_228:
	s_delay_alu instid0(SALU_CYCLE_1)
	s_and_b32 vcc_lo, exec_lo, s24
	s_cbranch_vccz .LBB102_267
; %bb.229:
	s_and_b32 s18, 0xffff, s18
	s_mov_b32 s24, -1
	s_cmp_lt_i32 s18, 5
	s_cbranch_scc1 .LBB102_250
; %bb.230:
	s_cmp_lt_i32 s18, 8
	s_cbranch_scc1 .LBB102_240
; %bb.231:
	;; [unrolled: 3-line block ×3, first 2 shown]
	s_cmp_gt_i32 s18, 9
	s_cbranch_scc0 .LBB102_234
; %bb.233:
	s_wait_xcnt 0x0
	v_cndmask_b32_e64 v2, 0, 1, s1
	v_mov_b32_e32 v4, 0
	s_mov_b32 s24, 0
	s_delay_alu instid0(VALU_DEP_2) | instskip(NEXT) | instid1(VALU_DEP_2)
	v_cvt_f64_u32_e32 v[2:3], v2
	v_mov_b32_e32 v5, v4
	global_store_b128 v[0:1], v[2:5], off
.LBB102_234:
	s_and_not1_b32 vcc_lo, exec_lo, s24
	s_cbranch_vccnz .LBB102_236
; %bb.235:
	s_wait_xcnt 0x0
	v_cndmask_b32_e64 v2, 0, 1.0, s1
	v_mov_b32_e32 v3, 0
	global_store_b64 v[0:1], v[2:3], off
.LBB102_236:
	s_mov_b32 s24, 0
.LBB102_237:
	s_delay_alu instid0(SALU_CYCLE_1)
	s_and_not1_b32 vcc_lo, exec_lo, s24
	s_cbranch_vccnz .LBB102_239
; %bb.238:
	s_wait_xcnt 0x0
	v_cndmask_b32_e64 v2, 0, 1.0, s1
	s_delay_alu instid0(VALU_DEP_1) | instskip(NEXT) | instid1(VALU_DEP_1)
	v_cvt_f16_f32_e32 v2, v2
	v_and_b32_e32 v2, 0xffff, v2
	global_store_b32 v[0:1], v2, off
.LBB102_239:
	s_mov_b32 s24, 0
.LBB102_240:
	s_delay_alu instid0(SALU_CYCLE_1)
	s_and_not1_b32 vcc_lo, exec_lo, s24
	s_cbranch_vccnz .LBB102_249
; %bb.241:
	s_cmp_lt_i32 s18, 6
	s_mov_b32 s24, -1
	s_cbranch_scc1 .LBB102_247
; %bb.242:
	s_cmp_gt_i32 s18, 6
	s_cbranch_scc0 .LBB102_244
; %bb.243:
	s_wait_xcnt 0x0
	v_cndmask_b32_e64 v2, 0, 1, s1
	s_mov_b32 s24, 0
	s_delay_alu instid0(VALU_DEP_1)
	v_cvt_f64_u32_e32 v[2:3], v2
	global_store_b64 v[0:1], v[2:3], off
.LBB102_244:
	s_and_not1_b32 vcc_lo, exec_lo, s24
	s_cbranch_vccnz .LBB102_246
; %bb.245:
	s_wait_xcnt 0x0
	v_cndmask_b32_e64 v2, 0, 1.0, s1
	global_store_b32 v[0:1], v2, off
.LBB102_246:
	s_mov_b32 s24, 0
.LBB102_247:
	s_delay_alu instid0(SALU_CYCLE_1)
	s_and_not1_b32 vcc_lo, exec_lo, s24
	s_cbranch_vccnz .LBB102_249
; %bb.248:
	s_wait_xcnt 0x0
	v_cndmask_b32_e64 v2, 0, 1.0, s1
	s_delay_alu instid0(VALU_DEP_1)
	v_cvt_f16_f32_e32 v2, v2
	global_store_b16 v[0:1], v2, off
.LBB102_249:
	s_mov_b32 s24, 0
.LBB102_250:
	s_delay_alu instid0(SALU_CYCLE_1)
	s_and_not1_b32 vcc_lo, exec_lo, s24
	s_cbranch_vccnz .LBB102_266
; %bb.251:
	s_cmp_lt_i32 s18, 2
	s_mov_b32 s24, -1
	s_cbranch_scc1 .LBB102_261
; %bb.252:
	s_cmp_lt_i32 s18, 3
	s_cbranch_scc1 .LBB102_258
; %bb.253:
	s_cmp_gt_i32 s18, 3
	s_cbranch_scc0 .LBB102_255
; %bb.254:
	s_mov_b32 s24, 0
	s_wait_xcnt 0x0
	v_cndmask_b32_e64 v2, 0, 1, s1
	v_mov_b32_e32 v3, s24
	global_store_b64 v[0:1], v[2:3], off
.LBB102_255:
	s_and_not1_b32 vcc_lo, exec_lo, s24
	s_cbranch_vccnz .LBB102_257
; %bb.256:
	s_wait_xcnt 0x0
	v_cndmask_b32_e64 v2, 0, 1, s1
	global_store_b32 v[0:1], v2, off
.LBB102_257:
	s_mov_b32 s24, 0
.LBB102_258:
	s_delay_alu instid0(SALU_CYCLE_1)
	s_and_not1_b32 vcc_lo, exec_lo, s24
	s_cbranch_vccnz .LBB102_260
; %bb.259:
	s_wait_xcnt 0x0
	v_cndmask_b32_e64 v2, 0, 1, s1
	global_store_b16 v[0:1], v2, off
.LBB102_260:
	s_mov_b32 s24, 0
.LBB102_261:
	s_delay_alu instid0(SALU_CYCLE_1)
	s_and_not1_b32 vcc_lo, exec_lo, s24
	s_cbranch_vccnz .LBB102_266
; %bb.262:
	s_wait_xcnt 0x0
	v_cndmask_b32_e64 v2, 0, 1, s1
	s_cmp_gt_i32 s18, 0
	s_mov_b32 s1, -1
	s_cbranch_scc0 .LBB102_264
; %bb.263:
	s_mov_b32 s1, 0
	global_store_b8 v[0:1], v2, off
.LBB102_264:
	s_and_not1_b32 vcc_lo, exec_lo, s1
	s_cbranch_vccnz .LBB102_266
; %bb.265:
	global_store_b8 v[0:1], v2, off
.LBB102_266:
	s_mov_b32 s25, -1
.LBB102_267:
	s_delay_alu instid0(SALU_CYCLE_1)
	s_and_not1_b32 vcc_lo, exec_lo, s25
	s_cbranch_vccnz .LBB102_380
; %bb.268:
	v_add_nc_u32_e32 v6, 0x80, v6
	s_mov_b32 s1, -1
	s_branch .LBB102_381
.LBB102_269:
	s_mov_b32 s20, -1
                                        ; implicit-def: $vgpr3
.LBB102_270:
	s_mov_b32 s24, 0
.LBB102_271:
	s_delay_alu instid0(SALU_CYCLE_1)
	s_and_b32 vcc_lo, exec_lo, s24
	s_cbranch_vccz .LBB102_275
; %bb.272:
	s_cmp_eq_u32 s2, 29
	s_cbranch_scc0 .LBB102_274
; %bb.273:
	global_load_b64 v[4:5], v[0:1], off
	s_mov_b32 s18, -1
	s_mov_b32 s20, 0
	s_mov_b32 s24, 0
	s_wait_loadcnt 0x0
	v_clz_i32_u32_e32 v3, v5
	s_delay_alu instid0(VALU_DEP_1) | instskip(NEXT) | instid1(VALU_DEP_1)
	v_min_u32_e32 v3, 32, v3
	v_lshlrev_b64_e32 v[4:5], v3, v[4:5]
	v_sub_nc_u32_e32 v3, 32, v3
	s_delay_alu instid0(VALU_DEP_2) | instskip(NEXT) | instid1(VALU_DEP_1)
	v_min_u32_e32 v4, 1, v4
	v_or_b32_e32 v4, v5, v4
	s_delay_alu instid0(VALU_DEP_1) | instskip(NEXT) | instid1(VALU_DEP_1)
	v_cvt_f32_u32_e32 v4, v4
	v_ldexp_f32 v3, v4, v3
	s_branch .LBB102_276
.LBB102_274:
	s_mov_b32 s20, -1
                                        ; implicit-def: $vgpr3
.LBB102_275:
	s_mov_b32 s24, 0
.LBB102_276:
	s_delay_alu instid0(SALU_CYCLE_1)
	s_and_b32 vcc_lo, exec_lo, s24
	s_cbranch_vccz .LBB102_294
; %bb.277:
	s_cmp_lt_i32 s2, 27
	s_cbranch_scc1 .LBB102_280
; %bb.278:
	s_cmp_gt_i32 s2, 27
	s_cbranch_scc0 .LBB102_281
; %bb.279:
	global_load_b32 v3, v[0:1], off
	s_mov_b32 s18, 0
	s_wait_loadcnt 0x0
	v_cvt_f32_u32_e32 v3, v3
	s_branch .LBB102_282
.LBB102_280:
	s_mov_b32 s18, -1
                                        ; implicit-def: $vgpr3
	s_branch .LBB102_285
.LBB102_281:
	s_mov_b32 s18, -1
                                        ; implicit-def: $vgpr3
.LBB102_282:
	s_delay_alu instid0(SALU_CYCLE_1)
	s_and_not1_b32 vcc_lo, exec_lo, s18
	s_cbranch_vccnz .LBB102_284
; %bb.283:
	global_load_u16 v3, v[0:1], off
	s_wait_loadcnt 0x0
	v_cvt_f32_u32_e32 v3, v3
.LBB102_284:
	s_mov_b32 s18, 0
.LBB102_285:
	s_delay_alu instid0(SALU_CYCLE_1)
	s_and_not1_b32 vcc_lo, exec_lo, s18
	s_cbranch_vccnz .LBB102_293
; %bb.286:
	global_load_u8 v4, v[0:1], off
	s_mov_b32 s18, 0
	s_mov_b32 s24, exec_lo
	s_wait_loadcnt 0x0
	v_cmpx_lt_i16_e32 0x7f, v4
	s_xor_b32 s24, exec_lo, s24
	s_cbranch_execz .LBB102_307
; %bb.287:
	s_mov_b32 s18, -1
	s_mov_b32 s25, exec_lo
	v_cmpx_eq_u16_e32 0x80, v4
; %bb.288:
	s_xor_b32 s18, exec_lo, -1
; %bb.289:
	s_or_b32 exec_lo, exec_lo, s25
	s_delay_alu instid0(SALU_CYCLE_1)
	s_and_b32 s18, s18, exec_lo
	s_or_saveexec_b32 s24, s24
	v_mov_b32_e32 v3, 0x7f800001
	s_xor_b32 exec_lo, exec_lo, s24
	s_cbranch_execnz .LBB102_308
.LBB102_290:
	s_or_b32 exec_lo, exec_lo, s24
	s_and_saveexec_b32 s24, s18
	s_cbranch_execz .LBB102_292
.LBB102_291:
	v_and_b32_e32 v3, 0xffff, v4
	s_delay_alu instid0(VALU_DEP_1) | instskip(SKIP_1) | instid1(VALU_DEP_2)
	v_dual_lshlrev_b32 v4, 24, v4 :: v_dual_bitop2_b32 v5, 7, v3 bitop3:0x40
	v_bfe_u32 v9, v3, 3, 4
	v_and_b32_e32 v4, 0x80000000, v4
	s_delay_alu instid0(VALU_DEP_3) | instskip(NEXT) | instid1(VALU_DEP_3)
	v_clz_i32_u32_e32 v7, v5
	v_cmp_eq_u32_e32 vcc_lo, 0, v9
	s_delay_alu instid0(VALU_DEP_2) | instskip(NEXT) | instid1(VALU_DEP_1)
	v_min_u32_e32 v7, 32, v7
	v_subrev_nc_u32_e32 v8, 28, v7
	v_sub_nc_u32_e32 v7, 29, v7
	s_delay_alu instid0(VALU_DEP_2) | instskip(NEXT) | instid1(VALU_DEP_2)
	v_lshlrev_b32_e32 v3, v8, v3
	v_cndmask_b32_e32 v7, v9, v7, vcc_lo
	s_delay_alu instid0(VALU_DEP_2) | instskip(NEXT) | instid1(VALU_DEP_1)
	v_and_b32_e32 v3, 7, v3
	v_cndmask_b32_e32 v3, v5, v3, vcc_lo
	s_delay_alu instid0(VALU_DEP_3) | instskip(NEXT) | instid1(VALU_DEP_2)
	v_lshl_add_u32 v5, v7, 23, 0x3b800000
	v_lshlrev_b32_e32 v3, 20, v3
	s_delay_alu instid0(VALU_DEP_1)
	v_or3_b32 v3, v4, v5, v3
.LBB102_292:
	s_or_b32 exec_lo, exec_lo, s24
.LBB102_293:
	s_mov_b32 s18, -1
.LBB102_294:
	s_mov_b32 s24, 0
.LBB102_295:
	s_delay_alu instid0(SALU_CYCLE_1)
	s_and_b32 vcc_lo, exec_lo, s24
	s_cbranch_vccz .LBB102_330
; %bb.296:
	s_cmp_gt_i32 s2, 22
	s_cbranch_scc0 .LBB102_306
; %bb.297:
	s_cmp_lt_i32 s2, 24
	s_cbranch_scc1 .LBB102_309
; %bb.298:
	s_cmp_gt_i32 s2, 24
	s_cbranch_scc0 .LBB102_310
; %bb.299:
	global_load_u8 v4, v[0:1], off
	s_mov_b32 s18, 0
	s_mov_b32 s24, exec_lo
	s_wait_loadcnt 0x0
	v_cmpx_lt_i16_e32 0x7f, v4
	s_xor_b32 s24, exec_lo, s24
	s_cbranch_execz .LBB102_322
; %bb.300:
	s_mov_b32 s18, -1
	s_mov_b32 s25, exec_lo
	v_cmpx_eq_u16_e32 0x80, v4
; %bb.301:
	s_xor_b32 s18, exec_lo, -1
; %bb.302:
	s_or_b32 exec_lo, exec_lo, s25
	s_delay_alu instid0(SALU_CYCLE_1)
	s_and_b32 s18, s18, exec_lo
	s_or_saveexec_b32 s24, s24
	v_mov_b32_e32 v3, 0x7f800001
	s_xor_b32 exec_lo, exec_lo, s24
	s_cbranch_execnz .LBB102_323
.LBB102_303:
	s_or_b32 exec_lo, exec_lo, s24
	s_and_saveexec_b32 s24, s18
	s_cbranch_execz .LBB102_305
.LBB102_304:
	v_and_b32_e32 v3, 0xffff, v4
	s_delay_alu instid0(VALU_DEP_1) | instskip(SKIP_1) | instid1(VALU_DEP_2)
	v_dual_lshlrev_b32 v4, 24, v4 :: v_dual_bitop2_b32 v5, 3, v3 bitop3:0x40
	v_bfe_u32 v9, v3, 2, 5
	v_and_b32_e32 v4, 0x80000000, v4
	s_delay_alu instid0(VALU_DEP_3) | instskip(NEXT) | instid1(VALU_DEP_3)
	v_clz_i32_u32_e32 v7, v5
	v_cmp_eq_u32_e32 vcc_lo, 0, v9
	s_delay_alu instid0(VALU_DEP_2) | instskip(NEXT) | instid1(VALU_DEP_1)
	v_min_u32_e32 v7, 32, v7
	v_subrev_nc_u32_e32 v8, 29, v7
	v_sub_nc_u32_e32 v7, 30, v7
	s_delay_alu instid0(VALU_DEP_2) | instskip(NEXT) | instid1(VALU_DEP_2)
	v_lshlrev_b32_e32 v3, v8, v3
	v_cndmask_b32_e32 v7, v9, v7, vcc_lo
	s_delay_alu instid0(VALU_DEP_2) | instskip(NEXT) | instid1(VALU_DEP_1)
	v_and_b32_e32 v3, 3, v3
	v_cndmask_b32_e32 v3, v5, v3, vcc_lo
	s_delay_alu instid0(VALU_DEP_3) | instskip(NEXT) | instid1(VALU_DEP_2)
	v_lshl_add_u32 v5, v7, 23, 0x37800000
	v_lshlrev_b32_e32 v3, 21, v3
	s_delay_alu instid0(VALU_DEP_1)
	v_or3_b32 v3, v4, v5, v3
.LBB102_305:
	s_or_b32 exec_lo, exec_lo, s24
	s_mov_b32 s18, 0
	s_branch .LBB102_311
.LBB102_306:
	s_mov_b32 s24, -1
                                        ; implicit-def: $vgpr3
	s_branch .LBB102_317
.LBB102_307:
	s_or_saveexec_b32 s24, s24
	v_mov_b32_e32 v3, 0x7f800001
	s_xor_b32 exec_lo, exec_lo, s24
	s_cbranch_execz .LBB102_290
.LBB102_308:
	v_cmp_ne_u16_e32 vcc_lo, 0, v4
	v_mov_b32_e32 v3, 0
	s_and_not1_b32 s18, s18, exec_lo
	s_and_b32 s25, vcc_lo, exec_lo
	s_delay_alu instid0(SALU_CYCLE_1)
	s_or_b32 s18, s18, s25
	s_or_b32 exec_lo, exec_lo, s24
	s_and_saveexec_b32 s24, s18
	s_cbranch_execnz .LBB102_291
	s_branch .LBB102_292
.LBB102_309:
	s_mov_b32 s18, -1
                                        ; implicit-def: $vgpr3
	s_branch .LBB102_314
.LBB102_310:
	s_mov_b32 s18, -1
                                        ; implicit-def: $vgpr3
.LBB102_311:
	s_delay_alu instid0(SALU_CYCLE_1)
	s_and_b32 vcc_lo, exec_lo, s18
	s_cbranch_vccz .LBB102_313
; %bb.312:
	global_load_u8 v3, v[0:1], off
	s_wait_loadcnt 0x0
	v_lshlrev_b32_e32 v3, 24, v3
	s_delay_alu instid0(VALU_DEP_1) | instskip(NEXT) | instid1(VALU_DEP_1)
	v_and_b32_e32 v4, 0x7f000000, v3
	v_clz_i32_u32_e32 v5, v4
	v_add_nc_u32_e32 v8, 0x1000000, v4
	v_cmp_ne_u32_e32 vcc_lo, 0, v4
	s_delay_alu instid0(VALU_DEP_3) | instskip(NEXT) | instid1(VALU_DEP_1)
	v_min_u32_e32 v5, 32, v5
	v_sub_nc_u32_e64 v5, v5, 4 clamp
	s_delay_alu instid0(VALU_DEP_1) | instskip(NEXT) | instid1(VALU_DEP_1)
	v_dual_lshlrev_b32 v7, v5, v4 :: v_dual_lshlrev_b32 v5, 23, v5
	v_lshrrev_b32_e32 v7, 4, v7
	s_delay_alu instid0(VALU_DEP_1) | instskip(NEXT) | instid1(VALU_DEP_1)
	v_dual_sub_nc_u32 v5, v7, v5 :: v_dual_ashrrev_i32 v7, 8, v8
	v_add_nc_u32_e32 v5, 0x3c000000, v5
	s_delay_alu instid0(VALU_DEP_1) | instskip(NEXT) | instid1(VALU_DEP_1)
	v_and_or_b32 v5, 0x7f800000, v7, v5
	v_cndmask_b32_e32 v4, 0, v5, vcc_lo
	s_delay_alu instid0(VALU_DEP_1)
	v_and_or_b32 v3, 0x80000000, v3, v4
.LBB102_313:
	s_mov_b32 s18, 0
.LBB102_314:
	s_delay_alu instid0(SALU_CYCLE_1)
	s_and_not1_b32 vcc_lo, exec_lo, s18
	s_cbranch_vccnz .LBB102_316
; %bb.315:
	global_load_u8 v3, v[0:1], off
	s_wait_loadcnt 0x0
	v_lshlrev_b32_e32 v4, 25, v3
	v_lshlrev_b16 v3, 8, v3
	s_delay_alu instid0(VALU_DEP_1) | instskip(NEXT) | instid1(VALU_DEP_3)
	v_and_or_b32 v7, 0x7f00, v3, 0.5
	v_lshrrev_b32_e32 v5, 4, v4
	v_bfe_i32 v3, v3, 0, 16
	s_delay_alu instid0(VALU_DEP_3) | instskip(NEXT) | instid1(VALU_DEP_3)
	v_add_f32_e32 v7, -0.5, v7
	v_or_b32_e32 v5, 0x70000000, v5
	s_delay_alu instid0(VALU_DEP_1) | instskip(SKIP_1) | instid1(VALU_DEP_2)
	v_mul_f32_e32 v5, 0x7800000, v5
	v_cmp_gt_u32_e32 vcc_lo, 0x8000000, v4
	v_cndmask_b32_e32 v4, v5, v7, vcc_lo
	s_delay_alu instid0(VALU_DEP_1)
	v_and_or_b32 v3, 0x80000000, v3, v4
.LBB102_316:
	s_mov_b32 s24, 0
	s_mov_b32 s18, -1
.LBB102_317:
	s_and_not1_b32 vcc_lo, exec_lo, s24
	s_cbranch_vccnz .LBB102_330
; %bb.318:
	s_cmp_gt_i32 s2, 14
	s_cbranch_scc0 .LBB102_321
; %bb.319:
	s_cmp_eq_u32 s2, 15
	s_cbranch_scc0 .LBB102_324
; %bb.320:
	global_load_u16 v3, v[0:1], off
	s_mov_b32 s18, -1
	s_mov_b32 s20, 0
	s_wait_loadcnt 0x0
	v_lshlrev_b32_e32 v3, 16, v3
	s_branch .LBB102_325
.LBB102_321:
	s_mov_b32 s24, -1
                                        ; implicit-def: $vgpr3
	s_branch .LBB102_326
.LBB102_322:
	s_or_saveexec_b32 s24, s24
	v_mov_b32_e32 v3, 0x7f800001
	s_xor_b32 exec_lo, exec_lo, s24
	s_cbranch_execz .LBB102_303
.LBB102_323:
	v_cmp_ne_u16_e32 vcc_lo, 0, v4
	v_mov_b32_e32 v3, 0
	s_and_not1_b32 s18, s18, exec_lo
	s_and_b32 s25, vcc_lo, exec_lo
	s_delay_alu instid0(SALU_CYCLE_1)
	s_or_b32 s18, s18, s25
	s_or_b32 exec_lo, exec_lo, s24
	s_and_saveexec_b32 s24, s18
	s_cbranch_execnz .LBB102_304
	s_branch .LBB102_305
.LBB102_324:
	s_mov_b32 s20, -1
                                        ; implicit-def: $vgpr3
.LBB102_325:
	s_mov_b32 s24, 0
.LBB102_326:
	s_delay_alu instid0(SALU_CYCLE_1)
	s_and_b32 vcc_lo, exec_lo, s24
	s_cbranch_vccz .LBB102_330
; %bb.327:
	s_cmp_eq_u32 s2, 11
	s_cbranch_scc0 .LBB102_329
; %bb.328:
	global_load_u8 v3, v[0:1], off
	s_mov_b32 s20, 0
	s_mov_b32 s18, -1
	s_wait_loadcnt 0x0
	v_cmp_ne_u16_e32 vcc_lo, 0, v3
	v_cndmask_b32_e64 v3, 0, 1.0, vcc_lo
	s_branch .LBB102_330
.LBB102_329:
	s_mov_b32 s20, -1
                                        ; implicit-def: $vgpr3
.LBB102_330:
	s_branch .LBB102_20
.LBB102_331:
	s_and_b32 s1, 0xffff, s1
	s_delay_alu instid0(SALU_CYCLE_1)
	s_cmp_lt_i32 s1, 5
	s_cbranch_scc1 .LBB102_336
; %bb.332:
	s_cmp_lt_i32 s1, 8
	s_cbranch_scc1 .LBB102_337
; %bb.333:
	;; [unrolled: 3-line block ×3, first 2 shown]
	s_cmp_gt_i32 s1, 9
	s_cbranch_scc0 .LBB102_339
; %bb.335:
	global_load_b64 v[4:5], v[0:1], off
	s_mov_b32 s2, 0
	s_wait_loadcnt 0x0
	v_cvt_f32_f64_e32 v3, v[4:5]
	s_branch .LBB102_340
.LBB102_336:
	s_mov_b32 s2, -1
                                        ; implicit-def: $vgpr3
	s_branch .LBB102_358
.LBB102_337:
	s_mov_b32 s2, -1
                                        ; implicit-def: $vgpr3
	s_branch .LBB102_346
.LBB102_338:
	s_mov_b32 s2, -1
                                        ; implicit-def: $vgpr3
	s_branch .LBB102_343
.LBB102_339:
	s_mov_b32 s2, -1
                                        ; implicit-def: $vgpr3
.LBB102_340:
	s_delay_alu instid0(SALU_CYCLE_1)
	s_and_not1_b32 vcc_lo, exec_lo, s2
	s_cbranch_vccnz .LBB102_342
; %bb.341:
	global_load_b32 v3, v[0:1], off
.LBB102_342:
	s_mov_b32 s2, 0
.LBB102_343:
	s_delay_alu instid0(SALU_CYCLE_1)
	s_and_not1_b32 vcc_lo, exec_lo, s2
	s_cbranch_vccnz .LBB102_345
; %bb.344:
	s_wait_loadcnt 0x0
	global_load_b32 v3, v[0:1], off
	s_wait_loadcnt 0x0
	v_cvt_f32_f16_e32 v3, v3
.LBB102_345:
	s_mov_b32 s2, 0
.LBB102_346:
	s_delay_alu instid0(SALU_CYCLE_1)
	s_and_not1_b32 vcc_lo, exec_lo, s2
	s_cbranch_vccnz .LBB102_357
; %bb.347:
	s_cmp_lt_i32 s1, 6
	s_cbranch_scc1 .LBB102_350
; %bb.348:
	s_cmp_gt_i32 s1, 6
	s_cbranch_scc0 .LBB102_351
; %bb.349:
	global_load_b64 v[4:5], v[0:1], off
	s_mov_b32 s2, 0
	s_wait_loadcnt 0x0
	v_cvt_f32_f64_e32 v3, v[4:5]
	s_branch .LBB102_352
.LBB102_350:
	s_mov_b32 s2, -1
                                        ; implicit-def: $vgpr3
	s_branch .LBB102_355
.LBB102_351:
	s_mov_b32 s2, -1
                                        ; implicit-def: $vgpr3
.LBB102_352:
	s_delay_alu instid0(SALU_CYCLE_1)
	s_and_not1_b32 vcc_lo, exec_lo, s2
	s_cbranch_vccnz .LBB102_354
; %bb.353:
	s_wait_loadcnt 0x0
	global_load_b32 v3, v[0:1], off
.LBB102_354:
	s_mov_b32 s2, 0
.LBB102_355:
	s_delay_alu instid0(SALU_CYCLE_1)
	s_and_not1_b32 vcc_lo, exec_lo, s2
	s_cbranch_vccnz .LBB102_357
; %bb.356:
	s_wait_loadcnt 0x0
	global_load_u16 v3, v[0:1], off
	s_wait_loadcnt 0x0
	v_cvt_f32_f16_e32 v3, v3
.LBB102_357:
	s_mov_b32 s2, 0
.LBB102_358:
	s_delay_alu instid0(SALU_CYCLE_1)
	s_and_not1_b32 vcc_lo, exec_lo, s2
	s_cbranch_vccnz .LBB102_378
; %bb.359:
	s_cmp_lt_i32 s1, 2
	s_cbranch_scc1 .LBB102_363
; %bb.360:
	s_cmp_lt_i32 s1, 3
	s_cbranch_scc1 .LBB102_364
; %bb.361:
	s_cmp_gt_i32 s1, 3
	s_cbranch_scc0 .LBB102_365
; %bb.362:
	global_load_b64 v[4:5], v[0:1], off
	s_mov_b32 s2, 0
	s_wait_loadcnt 0x0
	v_xor_b32_e32 v3, v4, v5
	v_cls_i32_e32 v7, v5
	s_delay_alu instid0(VALU_DEP_2) | instskip(NEXT) | instid1(VALU_DEP_1)
	v_ashrrev_i32_e32 v3, 31, v3
	v_add_nc_u32_e32 v3, 32, v3
	s_delay_alu instid0(VALU_DEP_1) | instskip(NEXT) | instid1(VALU_DEP_1)
	v_add_min_u32_e64 v3, v7, -1, v3
	v_lshlrev_b64_e32 v[4:5], v3, v[4:5]
	v_sub_nc_u32_e32 v3, 32, v3
	s_delay_alu instid0(VALU_DEP_2) | instskip(NEXT) | instid1(VALU_DEP_1)
	v_min_u32_e32 v4, 1, v4
	v_or_b32_e32 v4, v5, v4
	s_delay_alu instid0(VALU_DEP_1) | instskip(NEXT) | instid1(VALU_DEP_1)
	v_cvt_f32_i32_e32 v4, v4
	v_ldexp_f32 v3, v4, v3
	s_branch .LBB102_366
.LBB102_363:
	s_mov_b32 s2, -1
                                        ; implicit-def: $vgpr3
	s_branch .LBB102_372
.LBB102_364:
	s_mov_b32 s2, -1
                                        ; implicit-def: $vgpr3
	s_branch .LBB102_369
.LBB102_365:
	s_mov_b32 s2, -1
                                        ; implicit-def: $vgpr3
.LBB102_366:
	s_delay_alu instid0(SALU_CYCLE_1)
	s_and_not1_b32 vcc_lo, exec_lo, s2
	s_cbranch_vccnz .LBB102_368
; %bb.367:
	s_wait_loadcnt 0x0
	global_load_b32 v3, v[0:1], off
	s_wait_loadcnt 0x0
	v_cvt_f32_i32_e32 v3, v3
.LBB102_368:
	s_mov_b32 s2, 0
.LBB102_369:
	s_delay_alu instid0(SALU_CYCLE_1)
	s_and_not1_b32 vcc_lo, exec_lo, s2
	s_cbranch_vccnz .LBB102_371
; %bb.370:
	s_wait_loadcnt 0x0
	global_load_i16 v3, v[0:1], off
	s_wait_loadcnt 0x0
	v_cvt_f32_i32_e32 v3, v3
.LBB102_371:
	s_mov_b32 s2, 0
.LBB102_372:
	s_delay_alu instid0(SALU_CYCLE_1)
	s_and_not1_b32 vcc_lo, exec_lo, s2
	s_cbranch_vccnz .LBB102_378
; %bb.373:
	s_cmp_gt_i32 s1, 0
	s_mov_b32 s1, 0
	s_cbranch_scc0 .LBB102_375
; %bb.374:
	s_wait_loadcnt 0x0
	global_load_i8 v3, v[0:1], off
	s_wait_loadcnt 0x0
	v_cvt_f32_i32_e32 v3, v3
	s_branch .LBB102_376
.LBB102_375:
	s_mov_b32 s1, -1
                                        ; implicit-def: $vgpr3
.LBB102_376:
	s_delay_alu instid0(SALU_CYCLE_1)
	s_and_not1_b32 vcc_lo, exec_lo, s1
	s_cbranch_vccnz .LBB102_378
; %bb.377:
	global_load_u8 v0, v[0:1], off
	s_wait_loadcnt 0x0
	v_cvt_f32_ubyte0_e32 v3, v0
.LBB102_378:
	s_branch .LBB102_21
.LBB102_379:
	s_mov_b32 s2, 0
.LBB102_380:
	s_mov_b32 s1, 0
                                        ; implicit-def: $vgpr6
.LBB102_381:
	s_and_b32 s18, s2, exec_lo
	s_and_b32 s20, s20, exec_lo
	s_and_b32 s21, s21, exec_lo
	s_or_not1_b32 s1, s1, exec_lo
.LBB102_382:
	s_wait_xcnt 0x0
	s_or_b32 exec_lo, exec_lo, s22
	s_mov_b32 s25, 0
	s_mov_b32 s24, 0
                                        ; implicit-def: $sgpr2
                                        ; implicit-def: $vgpr0_vgpr1
                                        ; implicit-def: $vgpr2
	s_and_saveexec_b32 s22, s1
	s_cbranch_execz .LBB102_391
; %bb.383:
	s_mov_b32 s29, -1
	s_mov_b32 s23, s21
	s_mov_b32 s25, s20
	;; [unrolled: 1-line block ×3, first 2 shown]
	s_mov_b32 s26, exec_lo
	v_cmpx_gt_i32_e64 s19, v6
	s_cbranch_execz .LBB102_775
; %bb.384:
	v_mul_lo_u32 v0, v6, s9
	s_and_b32 s1, s16, 0xff
	s_delay_alu instid0(SALU_CYCLE_1) | instskip(NEXT) | instid1(VALU_DEP_1)
	s_cmp_lt_i32 s1, 11
	v_ashrrev_i32_e32 v1, 31, v0
	s_delay_alu instid0(VALU_DEP_1)
	v_add_nc_u64_e32 v[0:1], s[6:7], v[0:1]
	s_cbranch_scc1 .LBB102_394
; %bb.385:
	s_and_b32 s2, 0xffff, s1
	s_delay_alu instid0(SALU_CYCLE_1)
	s_cmp_gt_i32 s2, 25
	s_cbranch_scc0 .LBB102_403
; %bb.386:
	s_cmp_gt_i32 s2, 28
	s_cbranch_scc0 .LBB102_405
; %bb.387:
	;; [unrolled: 3-line block ×4, first 2 shown]
	s_cmp_eq_u32 s2, 46
	s_mov_b32 s25, 0
	s_cbranch_scc0 .LBB102_413
; %bb.390:
	s_wait_loadcnt 0x0
	global_load_b32 v2, v[0:1], off
	s_mov_b32 s24, -1
	s_mov_b32 s23, 0
	s_wait_loadcnt 0x0
	v_lshlrev_b32_e32 v2, 16, v2
	s_branch .LBB102_415
.LBB102_391:
	s_or_b32 exec_lo, exec_lo, s22
	s_mov_b32 s1, 0
	s_and_saveexec_b32 s19, s21
	s_cbranch_execnz .LBB102_1251
.LBB102_392:
	s_or_b32 exec_lo, exec_lo, s19
	s_and_saveexec_b32 s19, s23
	s_delay_alu instid0(SALU_CYCLE_1)
	s_xor_b32 s19, exec_lo, s19
	s_cbranch_execz .LBB102_1252
.LBB102_393:
	s_wait_loadcnt 0x0
	global_load_u8 v2, v[0:1], off
	s_or_b32 s24, s24, exec_lo
	s_wait_loadcnt 0x0
	v_cmp_ne_u16_e32 vcc_lo, 0, v2
	v_cndmask_b32_e64 v2, 0, 1.0, vcc_lo
	s_wait_xcnt 0x0
	s_or_b32 exec_lo, exec_lo, s19
	s_and_saveexec_b32 s19, s25
	s_cbranch_execz .LBB102_1298
	s_branch .LBB102_1253
.LBB102_394:
	s_mov_b32 s24, 0
	s_mov_b32 s23, s21
                                        ; implicit-def: $vgpr2
	s_cbranch_execnz .LBB102_481
.LBB102_395:
	s_and_not1_b32 vcc_lo, exec_lo, s24
	s_cbranch_vccnz .LBB102_529
.LBB102_396:
	s_wait_xcnt 0x0
	v_mul_lo_u32 v0, v6, s10
	s_and_b32 s1, s14, 0xff
	s_delay_alu instid0(SALU_CYCLE_1) | instskip(NEXT) | instid1(VALU_DEP_1)
	s_cmp_lt_i32 s1, 11
	v_ashrrev_i32_e32 v1, 31, v0
	s_delay_alu instid0(VALU_DEP_1)
	v_add_nc_u64_e32 v[0:1], s[12:13], v[0:1]
	s_cbranch_scc1 .LBB102_404
; %bb.397:
	s_and_b32 s2, 0xffff, s1
	s_delay_alu instid0(SALU_CYCLE_1)
	s_cmp_gt_i32 s2, 25
	s_cbranch_scc0 .LBB102_406
; %bb.398:
	s_cmp_gt_i32 s2, 28
	s_cbranch_scc0 .LBB102_408
; %bb.399:
	;; [unrolled: 3-line block ×4, first 2 shown]
	s_cmp_eq_u32 s2, 46
	s_mov_b32 s27, 0
	s_cbranch_scc0 .LBB102_532
; %bb.402:
	s_wait_loadcnt 0x0
	global_load_b32 v3, v[0:1], off
	s_mov_b32 s24, -1
	s_mov_b32 s25, 0
	s_wait_loadcnt 0x0
	v_lshlrev_b32_e32 v3, 16, v3
	s_branch .LBB102_534
.LBB102_403:
	s_mov_b32 s25, -1
	s_mov_b32 s24, 0
	s_mov_b32 s23, s21
                                        ; implicit-def: $vgpr2
	s_branch .LBB102_445
.LBB102_404:
	s_mov_b32 s2, -1
	s_mov_b32 s24, 0
	s_mov_b32 s25, s20
                                        ; implicit-def: $vgpr3
	s_branch .LBB102_599
.LBB102_405:
	s_mov_b32 s25, -1
	s_mov_b32 s24, 0
	s_mov_b32 s23, s21
                                        ; implicit-def: $vgpr2
	s_branch .LBB102_426
.LBB102_406:
	s_mov_b32 s27, -1
	s_mov_b32 s24, 0
	s_mov_b32 s25, s20
                                        ; implicit-def: $vgpr3
	s_branch .LBB102_563
.LBB102_407:
	s_mov_b32 s25, -1
	s_mov_b32 s24, 0
	s_mov_b32 s23, s21
                                        ; implicit-def: $vgpr2
	s_branch .LBB102_421
.LBB102_408:
	s_mov_b32 s27, -1
	s_mov_b32 s24, 0
	s_mov_b32 s25, s20
                                        ; implicit-def: $vgpr3
	s_branch .LBB102_544
.LBB102_409:
	s_mov_b32 s25, -1
	s_mov_b32 s24, 0
	s_mov_b32 s23, s21
	s_branch .LBB102_414
.LBB102_410:
	s_mov_b32 s27, -1
	s_mov_b32 s24, 0
	s_mov_b32 s25, s20
                                        ; implicit-def: $vgpr3
	s_branch .LBB102_539
.LBB102_411:
	s_and_not1_saveexec_b32 s27, s27
	s_cbranch_execz .LBB102_180
.LBB102_412:
	v_add_f32_e32 v2, 0x46000000, v3
	s_and_not1_b32 s26, s26, exec_lo
	s_delay_alu instid0(VALU_DEP_1) | instskip(NEXT) | instid1(VALU_DEP_1)
	v_and_b32_e32 v2, 0xff, v2
	v_cmp_ne_u32_e32 vcc_lo, 0, v2
	s_and_b32 s28, vcc_lo, exec_lo
	s_delay_alu instid0(SALU_CYCLE_1)
	s_or_b32 s26, s26, s28
	s_or_b32 exec_lo, exec_lo, s27
	v_mov_b32_e32 v4, 0
	s_and_saveexec_b32 s27, s26
	s_cbranch_execnz .LBB102_181
	s_branch .LBB102_182
.LBB102_413:
	s_mov_b32 s23, -1
	s_mov_b32 s24, 0
.LBB102_414:
                                        ; implicit-def: $vgpr2
.LBB102_415:
	s_and_b32 vcc_lo, exec_lo, s25
	s_cbranch_vccz .LBB102_420
; %bb.416:
	s_cmp_eq_u32 s2, 44
	s_cbranch_scc0 .LBB102_419
; %bb.417:
	s_wait_loadcnt 0x0
	global_load_u8 v2, v[0:1], off
	s_mov_b32 s23, 0
	s_mov_b32 s24, -1
	s_wait_loadcnt 0x0
	v_lshlrev_b32_e32 v3, 23, v2
	v_cmp_ne_u32_e32 vcc_lo, 0xff, v2
	s_delay_alu instid0(VALU_DEP_2) | instskip(SKIP_1) | instid1(VALU_DEP_2)
	v_cndmask_b32_e32 v3, 0x7f800001, v3, vcc_lo
	v_cmp_ne_u32_e32 vcc_lo, 0, v2
	v_cndmask_b32_e32 v2, 0x400000, v3, vcc_lo
	s_branch .LBB102_420
.LBB102_418:
	s_mov_b32 s27, -1
	s_mov_b32 s24, 0
	s_mov_b32 s25, s20
	s_branch .LBB102_533
.LBB102_419:
	s_mov_b32 s23, -1
                                        ; implicit-def: $vgpr2
.LBB102_420:
	s_mov_b32 s25, 0
.LBB102_421:
	s_delay_alu instid0(SALU_CYCLE_1)
	s_and_b32 vcc_lo, exec_lo, s25
	s_cbranch_vccz .LBB102_425
; %bb.422:
	s_cmp_eq_u32 s2, 29
	s_cbranch_scc0 .LBB102_424
; %bb.423:
	s_wait_loadcnt 0x0
	global_load_b64 v[2:3], v[0:1], off
	s_mov_b32 s24, -1
	s_mov_b32 s23, 0
	s_mov_b32 s25, 0
	s_wait_loadcnt 0x0
	v_clz_i32_u32_e32 v4, v3
	s_delay_alu instid0(VALU_DEP_1) | instskip(NEXT) | instid1(VALU_DEP_1)
	v_min_u32_e32 v4, 32, v4
	v_lshlrev_b64_e32 v[2:3], v4, v[2:3]
	s_delay_alu instid0(VALU_DEP_1) | instskip(NEXT) | instid1(VALU_DEP_1)
	v_min_u32_e32 v2, 1, v2
	v_dual_sub_nc_u32 v3, 32, v4 :: v_dual_bitop2_b32 v2, v3, v2 bitop3:0x54
	s_delay_alu instid0(VALU_DEP_1) | instskip(NEXT) | instid1(VALU_DEP_1)
	v_cvt_f32_u32_e32 v2, v2
	v_ldexp_f32 v2, v2, v3
	s_branch .LBB102_426
.LBB102_424:
	s_mov_b32 s23, -1
                                        ; implicit-def: $vgpr2
.LBB102_425:
	s_mov_b32 s25, 0
.LBB102_426:
	s_delay_alu instid0(SALU_CYCLE_1)
	s_and_b32 vcc_lo, exec_lo, s25
	s_cbranch_vccz .LBB102_444
; %bb.427:
	s_cmp_lt_i32 s2, 27
	s_cbranch_scc1 .LBB102_430
; %bb.428:
	s_cmp_gt_i32 s2, 27
	s_cbranch_scc0 .LBB102_431
; %bb.429:
	s_wait_loadcnt 0x0
	global_load_b32 v2, v[0:1], off
	s_mov_b32 s24, 0
	s_wait_loadcnt 0x0
	v_cvt_f32_u32_e32 v2, v2
	s_branch .LBB102_432
.LBB102_430:
	s_mov_b32 s24, -1
                                        ; implicit-def: $vgpr2
	s_branch .LBB102_435
.LBB102_431:
	s_mov_b32 s24, -1
                                        ; implicit-def: $vgpr2
.LBB102_432:
	s_delay_alu instid0(SALU_CYCLE_1)
	s_and_not1_b32 vcc_lo, exec_lo, s24
	s_cbranch_vccnz .LBB102_434
; %bb.433:
	s_wait_loadcnt 0x0
	global_load_u16 v2, v[0:1], off
	s_wait_loadcnt 0x0
	v_cvt_f32_u32_e32 v2, v2
.LBB102_434:
	s_mov_b32 s24, 0
.LBB102_435:
	s_delay_alu instid0(SALU_CYCLE_1)
	s_and_not1_b32 vcc_lo, exec_lo, s24
	s_cbranch_vccnz .LBB102_443
; %bb.436:
	s_wait_loadcnt 0x0
	global_load_u8 v3, v[0:1], off
	s_mov_b32 s24, 0
	s_mov_b32 s25, exec_lo
	s_wait_loadcnt 0x0
	v_cmpx_lt_i16_e32 0x7f, v3
	s_xor_b32 s25, exec_lo, s25
	s_cbranch_execz .LBB102_457
; %bb.437:
	s_mov_b32 s24, -1
	s_mov_b32 s27, exec_lo
	v_cmpx_eq_u16_e32 0x80, v3
; %bb.438:
	s_xor_b32 s24, exec_lo, -1
; %bb.439:
	s_or_b32 exec_lo, exec_lo, s27
	s_delay_alu instid0(SALU_CYCLE_1)
	s_and_b32 s24, s24, exec_lo
	s_or_saveexec_b32 s25, s25
	v_mov_b32_e32 v2, 0x7f800001
	s_xor_b32 exec_lo, exec_lo, s25
	s_cbranch_execnz .LBB102_458
.LBB102_440:
	s_or_b32 exec_lo, exec_lo, s25
	s_and_saveexec_b32 s25, s24
	s_cbranch_execz .LBB102_442
.LBB102_441:
	v_and_b32_e32 v2, 0xffff, v3
	s_delay_alu instid0(VALU_DEP_1) | instskip(SKIP_1) | instid1(VALU_DEP_2)
	v_and_b32_e32 v4, 7, v2
	v_bfe_u32 v8, v2, 3, 4
	v_clz_i32_u32_e32 v5, v4
	s_delay_alu instid0(VALU_DEP_2) | instskip(NEXT) | instid1(VALU_DEP_2)
	v_cmp_eq_u32_e32 vcc_lo, 0, v8
	v_min_u32_e32 v5, 32, v5
	s_delay_alu instid0(VALU_DEP_1) | instskip(NEXT) | instid1(VALU_DEP_1)
	v_subrev_nc_u32_e32 v7, 28, v5
	v_dual_lshlrev_b32 v2, v7, v2 :: v_dual_sub_nc_u32 v5, 29, v5
	s_delay_alu instid0(VALU_DEP_1) | instskip(NEXT) | instid1(VALU_DEP_2)
	v_dual_lshlrev_b32 v3, 24, v3 :: v_dual_bitop2_b32 v2, 7, v2 bitop3:0x40
	v_cndmask_b32_e32 v5, v8, v5, vcc_lo
	s_delay_alu instid0(VALU_DEP_2) | instskip(NEXT) | instid1(VALU_DEP_3)
	v_cndmask_b32_e32 v2, v4, v2, vcc_lo
	v_and_b32_e32 v3, 0x80000000, v3
	s_delay_alu instid0(VALU_DEP_3) | instskip(NEXT) | instid1(VALU_DEP_3)
	v_lshl_add_u32 v4, v5, 23, 0x3b800000
	v_lshlrev_b32_e32 v2, 20, v2
	s_delay_alu instid0(VALU_DEP_1)
	v_or3_b32 v2, v3, v4, v2
.LBB102_442:
	s_or_b32 exec_lo, exec_lo, s25
.LBB102_443:
	s_mov_b32 s24, -1
.LBB102_444:
	s_mov_b32 s25, 0
.LBB102_445:
	s_delay_alu instid0(SALU_CYCLE_1)
	s_and_b32 vcc_lo, exec_lo, s25
	s_cbranch_vccz .LBB102_480
; %bb.446:
	s_cmp_gt_i32 s2, 22
	s_cbranch_scc0 .LBB102_456
; %bb.447:
	s_cmp_lt_i32 s2, 24
	s_cbranch_scc1 .LBB102_459
; %bb.448:
	s_cmp_gt_i32 s2, 24
	s_cbranch_scc0 .LBB102_460
; %bb.449:
	s_wait_loadcnt 0x0
	global_load_u8 v3, v[0:1], off
	s_mov_b32 s24, 0
	s_mov_b32 s25, exec_lo
	s_wait_loadcnt 0x0
	v_cmpx_lt_i16_e32 0x7f, v3
	s_xor_b32 s25, exec_lo, s25
	s_cbranch_execz .LBB102_472
; %bb.450:
	s_mov_b32 s24, -1
	s_mov_b32 s27, exec_lo
	v_cmpx_eq_u16_e32 0x80, v3
; %bb.451:
	s_xor_b32 s24, exec_lo, -1
; %bb.452:
	s_or_b32 exec_lo, exec_lo, s27
	s_delay_alu instid0(SALU_CYCLE_1)
	s_and_b32 s24, s24, exec_lo
	s_or_saveexec_b32 s25, s25
	v_mov_b32_e32 v2, 0x7f800001
	s_xor_b32 exec_lo, exec_lo, s25
	s_cbranch_execnz .LBB102_473
.LBB102_453:
	s_or_b32 exec_lo, exec_lo, s25
	s_and_saveexec_b32 s25, s24
	s_cbranch_execz .LBB102_455
.LBB102_454:
	v_and_b32_e32 v2, 0xffff, v3
	s_delay_alu instid0(VALU_DEP_1) | instskip(SKIP_1) | instid1(VALU_DEP_2)
	v_and_b32_e32 v4, 3, v2
	v_bfe_u32 v8, v2, 2, 5
	v_clz_i32_u32_e32 v5, v4
	s_delay_alu instid0(VALU_DEP_2) | instskip(NEXT) | instid1(VALU_DEP_2)
	v_cmp_eq_u32_e32 vcc_lo, 0, v8
	v_min_u32_e32 v5, 32, v5
	s_delay_alu instid0(VALU_DEP_1) | instskip(NEXT) | instid1(VALU_DEP_1)
	v_subrev_nc_u32_e32 v7, 29, v5
	v_dual_lshlrev_b32 v2, v7, v2 :: v_dual_sub_nc_u32 v5, 30, v5
	s_delay_alu instid0(VALU_DEP_1) | instskip(NEXT) | instid1(VALU_DEP_2)
	v_dual_lshlrev_b32 v3, 24, v3 :: v_dual_bitop2_b32 v2, 3, v2 bitop3:0x40
	v_cndmask_b32_e32 v5, v8, v5, vcc_lo
	s_delay_alu instid0(VALU_DEP_2) | instskip(NEXT) | instid1(VALU_DEP_3)
	v_cndmask_b32_e32 v2, v4, v2, vcc_lo
	v_and_b32_e32 v3, 0x80000000, v3
	s_delay_alu instid0(VALU_DEP_3) | instskip(NEXT) | instid1(VALU_DEP_3)
	v_lshl_add_u32 v4, v5, 23, 0x37800000
	v_lshlrev_b32_e32 v2, 21, v2
	s_delay_alu instid0(VALU_DEP_1)
	v_or3_b32 v2, v3, v4, v2
.LBB102_455:
	s_or_b32 exec_lo, exec_lo, s25
	s_mov_b32 s24, 0
	s_branch .LBB102_461
.LBB102_456:
	s_mov_b32 s25, -1
                                        ; implicit-def: $vgpr2
	s_branch .LBB102_467
.LBB102_457:
	s_or_saveexec_b32 s25, s25
	v_mov_b32_e32 v2, 0x7f800001
	s_xor_b32 exec_lo, exec_lo, s25
	s_cbranch_execz .LBB102_440
.LBB102_458:
	v_cmp_ne_u16_e32 vcc_lo, 0, v3
	v_mov_b32_e32 v2, 0
	s_and_not1_b32 s24, s24, exec_lo
	s_and_b32 s27, vcc_lo, exec_lo
	s_delay_alu instid0(SALU_CYCLE_1)
	s_or_b32 s24, s24, s27
	s_or_b32 exec_lo, exec_lo, s25
	s_and_saveexec_b32 s25, s24
	s_cbranch_execnz .LBB102_441
	s_branch .LBB102_442
.LBB102_459:
	s_mov_b32 s24, -1
                                        ; implicit-def: $vgpr2
	s_branch .LBB102_464
.LBB102_460:
	s_mov_b32 s24, -1
                                        ; implicit-def: $vgpr2
.LBB102_461:
	s_delay_alu instid0(SALU_CYCLE_1)
	s_and_b32 vcc_lo, exec_lo, s24
	s_cbranch_vccz .LBB102_463
; %bb.462:
	s_wait_loadcnt 0x0
	global_load_u8 v2, v[0:1], off
	s_wait_loadcnt 0x0
	v_lshlrev_b32_e32 v2, 24, v2
	s_delay_alu instid0(VALU_DEP_1) | instskip(NEXT) | instid1(VALU_DEP_1)
	v_and_b32_e32 v3, 0x7f000000, v2
	v_clz_i32_u32_e32 v4, v3
	v_add_nc_u32_e32 v7, 0x1000000, v3
	v_cmp_ne_u32_e32 vcc_lo, 0, v3
	s_delay_alu instid0(VALU_DEP_3) | instskip(NEXT) | instid1(VALU_DEP_1)
	v_min_u32_e32 v4, 32, v4
	v_sub_nc_u32_e64 v4, v4, 4 clamp
	s_delay_alu instid0(VALU_DEP_1) | instskip(NEXT) | instid1(VALU_DEP_1)
	v_dual_lshlrev_b32 v5, v4, v3 :: v_dual_lshlrev_b32 v4, 23, v4
	v_lshrrev_b32_e32 v5, 4, v5
	s_delay_alu instid0(VALU_DEP_1) | instskip(NEXT) | instid1(VALU_DEP_1)
	v_dual_sub_nc_u32 v4, v5, v4 :: v_dual_ashrrev_i32 v5, 8, v7
	v_add_nc_u32_e32 v4, 0x3c000000, v4
	s_delay_alu instid0(VALU_DEP_1) | instskip(NEXT) | instid1(VALU_DEP_1)
	v_and_or_b32 v4, 0x7f800000, v5, v4
	v_cndmask_b32_e32 v3, 0, v4, vcc_lo
	s_delay_alu instid0(VALU_DEP_1)
	v_and_or_b32 v2, 0x80000000, v2, v3
.LBB102_463:
	s_mov_b32 s24, 0
.LBB102_464:
	s_delay_alu instid0(SALU_CYCLE_1)
	s_and_not1_b32 vcc_lo, exec_lo, s24
	s_cbranch_vccnz .LBB102_466
; %bb.465:
	s_wait_loadcnt 0x0
	global_load_u8 v2, v[0:1], off
	s_wait_loadcnt 0x0
	v_lshlrev_b32_e32 v3, 25, v2
	v_lshlrev_b16 v2, 8, v2
	s_delay_alu instid0(VALU_DEP_1) | instskip(SKIP_1) | instid1(VALU_DEP_2)
	v_and_or_b32 v5, 0x7f00, v2, 0.5
	v_bfe_i32 v2, v2, 0, 16
	v_dual_add_f32 v5, -0.5, v5 :: v_dual_lshrrev_b32 v4, 4, v3
	v_cmp_gt_u32_e32 vcc_lo, 0x8000000, v3
	s_delay_alu instid0(VALU_DEP_2) | instskip(NEXT) | instid1(VALU_DEP_1)
	v_or_b32_e32 v4, 0x70000000, v4
	v_mul_f32_e32 v4, 0x7800000, v4
	s_delay_alu instid0(VALU_DEP_1) | instskip(NEXT) | instid1(VALU_DEP_1)
	v_cndmask_b32_e32 v3, v4, v5, vcc_lo
	v_and_or_b32 v2, 0x80000000, v2, v3
.LBB102_466:
	s_mov_b32 s25, 0
	s_mov_b32 s24, -1
.LBB102_467:
	s_and_not1_b32 vcc_lo, exec_lo, s25
	s_cbranch_vccnz .LBB102_480
; %bb.468:
	s_cmp_gt_i32 s2, 14
	s_cbranch_scc0 .LBB102_471
; %bb.469:
	s_cmp_eq_u32 s2, 15
	s_cbranch_scc0 .LBB102_474
; %bb.470:
	s_wait_loadcnt 0x0
	global_load_u16 v2, v[0:1], off
	s_mov_b32 s24, -1
	s_mov_b32 s23, 0
	s_wait_loadcnt 0x0
	v_lshlrev_b32_e32 v2, 16, v2
	s_branch .LBB102_475
.LBB102_471:
	s_mov_b32 s25, -1
                                        ; implicit-def: $vgpr2
	s_branch .LBB102_476
.LBB102_472:
	s_or_saveexec_b32 s25, s25
	v_mov_b32_e32 v2, 0x7f800001
	s_xor_b32 exec_lo, exec_lo, s25
	s_cbranch_execz .LBB102_453
.LBB102_473:
	v_cmp_ne_u16_e32 vcc_lo, 0, v3
	v_mov_b32_e32 v2, 0
	s_and_not1_b32 s24, s24, exec_lo
	s_and_b32 s27, vcc_lo, exec_lo
	s_delay_alu instid0(SALU_CYCLE_1)
	s_or_b32 s24, s24, s27
	s_or_b32 exec_lo, exec_lo, s25
	s_and_saveexec_b32 s25, s24
	s_cbranch_execnz .LBB102_454
	s_branch .LBB102_455
.LBB102_474:
	s_mov_b32 s23, -1
                                        ; implicit-def: $vgpr2
.LBB102_475:
	s_mov_b32 s25, 0
.LBB102_476:
	s_delay_alu instid0(SALU_CYCLE_1)
	s_and_b32 vcc_lo, exec_lo, s25
	s_cbranch_vccz .LBB102_480
; %bb.477:
	s_cmp_eq_u32 s2, 11
	s_cbranch_scc0 .LBB102_479
; %bb.478:
	s_wait_loadcnt 0x0
	global_load_u8 v2, v[0:1], off
	s_mov_b32 s23, 0
	s_mov_b32 s24, -1
	s_wait_loadcnt 0x0
	v_cmp_ne_u16_e32 vcc_lo, 0, v2
	v_cndmask_b32_e64 v2, 0, 1.0, vcc_lo
	s_branch .LBB102_480
.LBB102_479:
	s_mov_b32 s23, -1
                                        ; implicit-def: $vgpr2
.LBB102_480:
	s_branch .LBB102_395
.LBB102_481:
	s_and_b32 s1, 0xffff, s1
	s_delay_alu instid0(SALU_CYCLE_1)
	s_cmp_lt_i32 s1, 5
	s_cbranch_scc1 .LBB102_486
; %bb.482:
	s_cmp_lt_i32 s1, 8
	s_cbranch_scc1 .LBB102_487
; %bb.483:
	;; [unrolled: 3-line block ×3, first 2 shown]
	s_cmp_gt_i32 s1, 9
	s_cbranch_scc0 .LBB102_489
; %bb.485:
	s_wait_loadcnt 0x0
	global_load_b64 v[2:3], v[0:1], off
	s_mov_b32 s2, 0
	s_wait_loadcnt 0x0
	v_cvt_f32_f64_e32 v2, v[2:3]
	s_branch .LBB102_490
.LBB102_486:
	s_mov_b32 s2, -1
                                        ; implicit-def: $vgpr2
	s_branch .LBB102_508
.LBB102_487:
	s_mov_b32 s2, -1
                                        ; implicit-def: $vgpr2
	s_branch .LBB102_496
.LBB102_488:
	s_mov_b32 s2, -1
                                        ; implicit-def: $vgpr2
	s_branch .LBB102_493
.LBB102_489:
	s_mov_b32 s2, -1
                                        ; implicit-def: $vgpr2
.LBB102_490:
	s_delay_alu instid0(SALU_CYCLE_1)
	s_and_not1_b32 vcc_lo, exec_lo, s2
	s_cbranch_vccnz .LBB102_492
; %bb.491:
	s_wait_loadcnt 0x0
	global_load_b32 v2, v[0:1], off
.LBB102_492:
	s_mov_b32 s2, 0
.LBB102_493:
	s_delay_alu instid0(SALU_CYCLE_1)
	s_and_not1_b32 vcc_lo, exec_lo, s2
	s_cbranch_vccnz .LBB102_495
; %bb.494:
	s_wait_loadcnt 0x0
	global_load_b32 v2, v[0:1], off
	s_wait_loadcnt 0x0
	v_cvt_f32_f16_e32 v2, v2
.LBB102_495:
	s_mov_b32 s2, 0
.LBB102_496:
	s_delay_alu instid0(SALU_CYCLE_1)
	s_and_not1_b32 vcc_lo, exec_lo, s2
	s_cbranch_vccnz .LBB102_507
; %bb.497:
	s_cmp_lt_i32 s1, 6
	s_cbranch_scc1 .LBB102_500
; %bb.498:
	s_cmp_gt_i32 s1, 6
	s_cbranch_scc0 .LBB102_501
; %bb.499:
	s_wait_loadcnt 0x0
	global_load_b64 v[2:3], v[0:1], off
	s_mov_b32 s2, 0
	s_wait_loadcnt 0x0
	v_cvt_f32_f64_e32 v2, v[2:3]
	s_branch .LBB102_502
.LBB102_500:
	s_mov_b32 s2, -1
                                        ; implicit-def: $vgpr2
	s_branch .LBB102_505
.LBB102_501:
	s_mov_b32 s2, -1
                                        ; implicit-def: $vgpr2
.LBB102_502:
	s_delay_alu instid0(SALU_CYCLE_1)
	s_and_not1_b32 vcc_lo, exec_lo, s2
	s_cbranch_vccnz .LBB102_504
; %bb.503:
	s_wait_loadcnt 0x0
	global_load_b32 v2, v[0:1], off
.LBB102_504:
	s_mov_b32 s2, 0
.LBB102_505:
	s_delay_alu instid0(SALU_CYCLE_1)
	s_and_not1_b32 vcc_lo, exec_lo, s2
	s_cbranch_vccnz .LBB102_507
; %bb.506:
	s_wait_loadcnt 0x0
	global_load_u16 v2, v[0:1], off
	s_wait_loadcnt 0x0
	v_cvt_f32_f16_e32 v2, v2
.LBB102_507:
	s_mov_b32 s2, 0
.LBB102_508:
	s_delay_alu instid0(SALU_CYCLE_1)
	s_and_not1_b32 vcc_lo, exec_lo, s2
	s_cbranch_vccnz .LBB102_528
; %bb.509:
	s_cmp_lt_i32 s1, 2
	s_cbranch_scc1 .LBB102_513
; %bb.510:
	s_cmp_lt_i32 s1, 3
	s_cbranch_scc1 .LBB102_514
; %bb.511:
	s_cmp_gt_i32 s1, 3
	s_cbranch_scc0 .LBB102_515
; %bb.512:
	s_wait_loadcnt 0x0
	global_load_b64 v[2:3], v[0:1], off
	s_mov_b32 s2, 0
	s_wait_loadcnt 0x0
	v_xor_b32_e32 v4, v2, v3
	v_cls_i32_e32 v5, v3
	s_delay_alu instid0(VALU_DEP_2) | instskip(NEXT) | instid1(VALU_DEP_1)
	v_ashrrev_i32_e32 v4, 31, v4
	v_add_nc_u32_e32 v4, 32, v4
	s_delay_alu instid0(VALU_DEP_1) | instskip(NEXT) | instid1(VALU_DEP_1)
	v_add_min_u32_e64 v4, v5, -1, v4
	v_lshlrev_b64_e32 v[2:3], v4, v[2:3]
	s_delay_alu instid0(VALU_DEP_1) | instskip(NEXT) | instid1(VALU_DEP_1)
	v_min_u32_e32 v2, 1, v2
	v_dual_sub_nc_u32 v3, 32, v4 :: v_dual_bitop2_b32 v2, v3, v2 bitop3:0x54
	s_delay_alu instid0(VALU_DEP_1) | instskip(NEXT) | instid1(VALU_DEP_1)
	v_cvt_f32_i32_e32 v2, v2
	v_ldexp_f32 v2, v2, v3
	s_branch .LBB102_516
.LBB102_513:
	s_mov_b32 s2, -1
                                        ; implicit-def: $vgpr2
	s_branch .LBB102_522
.LBB102_514:
	s_mov_b32 s2, -1
                                        ; implicit-def: $vgpr2
	s_branch .LBB102_519
.LBB102_515:
	s_mov_b32 s2, -1
                                        ; implicit-def: $vgpr2
.LBB102_516:
	s_delay_alu instid0(SALU_CYCLE_1)
	s_and_not1_b32 vcc_lo, exec_lo, s2
	s_cbranch_vccnz .LBB102_518
; %bb.517:
	s_wait_loadcnt 0x0
	global_load_b32 v2, v[0:1], off
	s_wait_loadcnt 0x0
	v_cvt_f32_i32_e32 v2, v2
.LBB102_518:
	s_mov_b32 s2, 0
.LBB102_519:
	s_delay_alu instid0(SALU_CYCLE_1)
	s_and_not1_b32 vcc_lo, exec_lo, s2
	s_cbranch_vccnz .LBB102_521
; %bb.520:
	s_wait_loadcnt 0x0
	global_load_i16 v2, v[0:1], off
	s_wait_loadcnt 0x0
	v_cvt_f32_i32_e32 v2, v2
.LBB102_521:
	s_mov_b32 s2, 0
.LBB102_522:
	s_delay_alu instid0(SALU_CYCLE_1)
	s_and_not1_b32 vcc_lo, exec_lo, s2
	s_cbranch_vccnz .LBB102_528
; %bb.523:
	s_cmp_gt_i32 s1, 0
	s_mov_b32 s1, 0
	s_cbranch_scc0 .LBB102_525
; %bb.524:
	s_wait_loadcnt 0x0
	global_load_i8 v2, v[0:1], off
	s_wait_loadcnt 0x0
	v_cvt_f32_i32_e32 v2, v2
	s_branch .LBB102_526
.LBB102_525:
	s_mov_b32 s1, -1
                                        ; implicit-def: $vgpr2
.LBB102_526:
	s_delay_alu instid0(SALU_CYCLE_1)
	s_and_not1_b32 vcc_lo, exec_lo, s1
	s_cbranch_vccnz .LBB102_528
; %bb.527:
	global_load_u8 v0, v[0:1], off
	s_wait_loadcnt 0x0
	v_cvt_f32_ubyte0_e32 v2, v0
.LBB102_528:
	s_branch .LBB102_396
.LBB102_529:
	s_mov_b32 s1, 0
	s_mov_b32 s2, s18
	;; [unrolled: 1-line block ×3, first 2 shown]
	s_branch .LBB102_773
.LBB102_530:
	s_and_not1_saveexec_b32 s27, s27
	s_cbranch_execz .LBB102_193
.LBB102_531:
	v_add_f32_e32 v2, 0x42800000, v3
	s_and_not1_b32 s26, s26, exec_lo
	s_delay_alu instid0(VALU_DEP_1) | instskip(NEXT) | instid1(VALU_DEP_1)
	v_and_b32_e32 v2, 0xff, v2
	v_cmp_ne_u32_e32 vcc_lo, 0, v2
	s_and_b32 s28, vcc_lo, exec_lo
	s_delay_alu instid0(SALU_CYCLE_1)
	s_or_b32 s26, s26, s28
	s_or_b32 exec_lo, exec_lo, s27
	v_mov_b32_e32 v4, 0
	s_and_saveexec_b32 s27, s26
	s_cbranch_execnz .LBB102_194
	s_branch .LBB102_195
.LBB102_532:
	s_mov_b32 s25, -1
	s_mov_b32 s24, 0
.LBB102_533:
                                        ; implicit-def: $vgpr3
.LBB102_534:
	s_and_b32 vcc_lo, exec_lo, s27
	s_cbranch_vccz .LBB102_538
; %bb.535:
	s_cmp_eq_u32 s2, 44
	s_cbranch_scc0 .LBB102_537
; %bb.536:
	s_wait_loadcnt 0x0
	global_load_u8 v3, v[0:1], off
	s_mov_b32 s25, 0
	s_mov_b32 s24, -1
	s_wait_loadcnt 0x0
	v_lshlrev_b32_e32 v4, 23, v3
	v_cmp_ne_u32_e32 vcc_lo, 0xff, v3
	s_delay_alu instid0(VALU_DEP_2) | instskip(SKIP_1) | instid1(VALU_DEP_2)
	v_cndmask_b32_e32 v4, 0x7f800001, v4, vcc_lo
	v_cmp_ne_u32_e32 vcc_lo, 0, v3
	v_cndmask_b32_e32 v3, 0x400000, v4, vcc_lo
	s_branch .LBB102_538
.LBB102_537:
	s_mov_b32 s25, -1
                                        ; implicit-def: $vgpr3
.LBB102_538:
	s_mov_b32 s27, 0
.LBB102_539:
	s_delay_alu instid0(SALU_CYCLE_1)
	s_and_b32 vcc_lo, exec_lo, s27
	s_cbranch_vccz .LBB102_543
; %bb.540:
	s_cmp_eq_u32 s2, 29
	s_cbranch_scc0 .LBB102_542
; %bb.541:
	global_load_b64 v[4:5], v[0:1], off
	s_mov_b32 s24, -1
	s_mov_b32 s25, 0
	s_mov_b32 s27, 0
	s_wait_loadcnt 0x0
	v_clz_i32_u32_e32 v3, v5
	s_delay_alu instid0(VALU_DEP_1) | instskip(NEXT) | instid1(VALU_DEP_1)
	v_min_u32_e32 v3, 32, v3
	v_lshlrev_b64_e32 v[4:5], v3, v[4:5]
	v_sub_nc_u32_e32 v3, 32, v3
	s_delay_alu instid0(VALU_DEP_2) | instskip(NEXT) | instid1(VALU_DEP_1)
	v_min_u32_e32 v4, 1, v4
	v_or_b32_e32 v4, v5, v4
	s_delay_alu instid0(VALU_DEP_1) | instskip(NEXT) | instid1(VALU_DEP_1)
	v_cvt_f32_u32_e32 v4, v4
	v_ldexp_f32 v3, v4, v3
	s_branch .LBB102_544
.LBB102_542:
	s_mov_b32 s25, -1
                                        ; implicit-def: $vgpr3
.LBB102_543:
	s_mov_b32 s27, 0
.LBB102_544:
	s_delay_alu instid0(SALU_CYCLE_1)
	s_and_b32 vcc_lo, exec_lo, s27
	s_cbranch_vccz .LBB102_562
; %bb.545:
	s_cmp_lt_i32 s2, 27
	s_cbranch_scc1 .LBB102_548
; %bb.546:
	s_cmp_gt_i32 s2, 27
	s_cbranch_scc0 .LBB102_549
; %bb.547:
	s_wait_loadcnt 0x0
	global_load_b32 v3, v[0:1], off
	s_mov_b32 s24, 0
	s_wait_loadcnt 0x0
	v_cvt_f32_u32_e32 v3, v3
	s_branch .LBB102_550
.LBB102_548:
	s_mov_b32 s24, -1
                                        ; implicit-def: $vgpr3
	s_branch .LBB102_553
.LBB102_549:
	s_mov_b32 s24, -1
                                        ; implicit-def: $vgpr3
.LBB102_550:
	s_delay_alu instid0(SALU_CYCLE_1)
	s_and_not1_b32 vcc_lo, exec_lo, s24
	s_cbranch_vccnz .LBB102_552
; %bb.551:
	s_wait_loadcnt 0x0
	global_load_u16 v3, v[0:1], off
	s_wait_loadcnt 0x0
	v_cvt_f32_u32_e32 v3, v3
.LBB102_552:
	s_mov_b32 s24, 0
.LBB102_553:
	s_delay_alu instid0(SALU_CYCLE_1)
	s_and_not1_b32 vcc_lo, exec_lo, s24
	s_cbranch_vccnz .LBB102_561
; %bb.554:
	global_load_u8 v4, v[0:1], off
	s_mov_b32 s24, 0
	s_mov_b32 s27, exec_lo
	s_wait_loadcnt 0x0
	v_cmpx_lt_i16_e32 0x7f, v4
	s_xor_b32 s27, exec_lo, s27
	s_cbranch_execz .LBB102_575
; %bb.555:
	s_mov_b32 s24, -1
	s_mov_b32 s28, exec_lo
	v_cmpx_eq_u16_e32 0x80, v4
; %bb.556:
	s_xor_b32 s24, exec_lo, -1
; %bb.557:
	s_or_b32 exec_lo, exec_lo, s28
	s_delay_alu instid0(SALU_CYCLE_1)
	s_and_b32 s24, s24, exec_lo
	s_or_saveexec_b32 s27, s27
	v_mov_b32_e32 v3, 0x7f800001
	s_xor_b32 exec_lo, exec_lo, s27
	s_cbranch_execnz .LBB102_576
.LBB102_558:
	s_or_b32 exec_lo, exec_lo, s27
	s_and_saveexec_b32 s27, s24
	s_cbranch_execz .LBB102_560
.LBB102_559:
	v_and_b32_e32 v3, 0xffff, v4
	s_delay_alu instid0(VALU_DEP_1) | instskip(SKIP_1) | instid1(VALU_DEP_2)
	v_dual_lshlrev_b32 v4, 24, v4 :: v_dual_bitop2_b32 v5, 7, v3 bitop3:0x40
	v_bfe_u32 v9, v3, 3, 4
	v_and_b32_e32 v4, 0x80000000, v4
	s_delay_alu instid0(VALU_DEP_3) | instskip(NEXT) | instid1(VALU_DEP_3)
	v_clz_i32_u32_e32 v7, v5
	v_cmp_eq_u32_e32 vcc_lo, 0, v9
	s_delay_alu instid0(VALU_DEP_2) | instskip(NEXT) | instid1(VALU_DEP_1)
	v_min_u32_e32 v7, 32, v7
	v_subrev_nc_u32_e32 v8, 28, v7
	v_sub_nc_u32_e32 v7, 29, v7
	s_delay_alu instid0(VALU_DEP_2) | instskip(NEXT) | instid1(VALU_DEP_2)
	v_lshlrev_b32_e32 v3, v8, v3
	v_cndmask_b32_e32 v7, v9, v7, vcc_lo
	s_delay_alu instid0(VALU_DEP_2) | instskip(NEXT) | instid1(VALU_DEP_1)
	v_and_b32_e32 v3, 7, v3
	v_cndmask_b32_e32 v3, v5, v3, vcc_lo
	s_delay_alu instid0(VALU_DEP_3) | instskip(NEXT) | instid1(VALU_DEP_2)
	v_lshl_add_u32 v5, v7, 23, 0x3b800000
	v_lshlrev_b32_e32 v3, 20, v3
	s_delay_alu instid0(VALU_DEP_1)
	v_or3_b32 v3, v4, v5, v3
.LBB102_560:
	s_or_b32 exec_lo, exec_lo, s27
.LBB102_561:
	s_mov_b32 s24, -1
.LBB102_562:
	s_mov_b32 s27, 0
.LBB102_563:
	s_delay_alu instid0(SALU_CYCLE_1)
	s_and_b32 vcc_lo, exec_lo, s27
	s_cbranch_vccz .LBB102_598
; %bb.564:
	s_cmp_gt_i32 s2, 22
	s_cbranch_scc0 .LBB102_574
; %bb.565:
	s_cmp_lt_i32 s2, 24
	s_cbranch_scc1 .LBB102_577
; %bb.566:
	s_cmp_gt_i32 s2, 24
	s_cbranch_scc0 .LBB102_578
; %bb.567:
	global_load_u8 v4, v[0:1], off
	s_mov_b32 s24, 0
	s_mov_b32 s27, exec_lo
	s_wait_loadcnt 0x0
	v_cmpx_lt_i16_e32 0x7f, v4
	s_xor_b32 s27, exec_lo, s27
	s_cbranch_execz .LBB102_590
; %bb.568:
	s_mov_b32 s24, -1
	s_mov_b32 s28, exec_lo
	v_cmpx_eq_u16_e32 0x80, v4
; %bb.569:
	s_xor_b32 s24, exec_lo, -1
; %bb.570:
	s_or_b32 exec_lo, exec_lo, s28
	s_delay_alu instid0(SALU_CYCLE_1)
	s_and_b32 s24, s24, exec_lo
	s_or_saveexec_b32 s27, s27
	v_mov_b32_e32 v3, 0x7f800001
	s_xor_b32 exec_lo, exec_lo, s27
	s_cbranch_execnz .LBB102_591
.LBB102_571:
	s_or_b32 exec_lo, exec_lo, s27
	s_and_saveexec_b32 s27, s24
	s_cbranch_execz .LBB102_573
.LBB102_572:
	v_and_b32_e32 v3, 0xffff, v4
	s_delay_alu instid0(VALU_DEP_1) | instskip(SKIP_1) | instid1(VALU_DEP_2)
	v_dual_lshlrev_b32 v4, 24, v4 :: v_dual_bitop2_b32 v5, 3, v3 bitop3:0x40
	v_bfe_u32 v9, v3, 2, 5
	v_and_b32_e32 v4, 0x80000000, v4
	s_delay_alu instid0(VALU_DEP_3) | instskip(NEXT) | instid1(VALU_DEP_3)
	v_clz_i32_u32_e32 v7, v5
	v_cmp_eq_u32_e32 vcc_lo, 0, v9
	s_delay_alu instid0(VALU_DEP_2) | instskip(NEXT) | instid1(VALU_DEP_1)
	v_min_u32_e32 v7, 32, v7
	v_subrev_nc_u32_e32 v8, 29, v7
	v_sub_nc_u32_e32 v7, 30, v7
	s_delay_alu instid0(VALU_DEP_2) | instskip(NEXT) | instid1(VALU_DEP_2)
	v_lshlrev_b32_e32 v3, v8, v3
	v_cndmask_b32_e32 v7, v9, v7, vcc_lo
	s_delay_alu instid0(VALU_DEP_2) | instskip(NEXT) | instid1(VALU_DEP_1)
	v_and_b32_e32 v3, 3, v3
	v_cndmask_b32_e32 v3, v5, v3, vcc_lo
	s_delay_alu instid0(VALU_DEP_3) | instskip(NEXT) | instid1(VALU_DEP_2)
	v_lshl_add_u32 v5, v7, 23, 0x37800000
	v_lshlrev_b32_e32 v3, 21, v3
	s_delay_alu instid0(VALU_DEP_1)
	v_or3_b32 v3, v4, v5, v3
.LBB102_573:
	s_or_b32 exec_lo, exec_lo, s27
	s_mov_b32 s24, 0
	s_branch .LBB102_579
.LBB102_574:
	s_mov_b32 s27, -1
                                        ; implicit-def: $vgpr3
	s_branch .LBB102_585
.LBB102_575:
	s_or_saveexec_b32 s27, s27
	v_mov_b32_e32 v3, 0x7f800001
	s_xor_b32 exec_lo, exec_lo, s27
	s_cbranch_execz .LBB102_558
.LBB102_576:
	v_cmp_ne_u16_e32 vcc_lo, 0, v4
	v_mov_b32_e32 v3, 0
	s_and_not1_b32 s24, s24, exec_lo
	s_and_b32 s28, vcc_lo, exec_lo
	s_delay_alu instid0(SALU_CYCLE_1)
	s_or_b32 s24, s24, s28
	s_or_b32 exec_lo, exec_lo, s27
	s_and_saveexec_b32 s27, s24
	s_cbranch_execnz .LBB102_559
	s_branch .LBB102_560
.LBB102_577:
	s_mov_b32 s24, -1
                                        ; implicit-def: $vgpr3
	s_branch .LBB102_582
.LBB102_578:
	s_mov_b32 s24, -1
                                        ; implicit-def: $vgpr3
.LBB102_579:
	s_delay_alu instid0(SALU_CYCLE_1)
	s_and_b32 vcc_lo, exec_lo, s24
	s_cbranch_vccz .LBB102_581
; %bb.580:
	s_wait_loadcnt 0x0
	global_load_u8 v3, v[0:1], off
	s_wait_loadcnt 0x0
	v_lshlrev_b32_e32 v3, 24, v3
	s_delay_alu instid0(VALU_DEP_1) | instskip(NEXT) | instid1(VALU_DEP_1)
	v_and_b32_e32 v4, 0x7f000000, v3
	v_clz_i32_u32_e32 v5, v4
	v_add_nc_u32_e32 v8, 0x1000000, v4
	v_cmp_ne_u32_e32 vcc_lo, 0, v4
	s_delay_alu instid0(VALU_DEP_3) | instskip(NEXT) | instid1(VALU_DEP_1)
	v_min_u32_e32 v5, 32, v5
	v_sub_nc_u32_e64 v5, v5, 4 clamp
	s_delay_alu instid0(VALU_DEP_1) | instskip(NEXT) | instid1(VALU_DEP_1)
	v_dual_lshlrev_b32 v7, v5, v4 :: v_dual_lshlrev_b32 v5, 23, v5
	v_lshrrev_b32_e32 v7, 4, v7
	s_delay_alu instid0(VALU_DEP_1) | instskip(NEXT) | instid1(VALU_DEP_1)
	v_dual_sub_nc_u32 v5, v7, v5 :: v_dual_ashrrev_i32 v7, 8, v8
	v_add_nc_u32_e32 v5, 0x3c000000, v5
	s_delay_alu instid0(VALU_DEP_1) | instskip(NEXT) | instid1(VALU_DEP_1)
	v_and_or_b32 v5, 0x7f800000, v7, v5
	v_cndmask_b32_e32 v4, 0, v5, vcc_lo
	s_delay_alu instid0(VALU_DEP_1)
	v_and_or_b32 v3, 0x80000000, v3, v4
.LBB102_581:
	s_mov_b32 s24, 0
.LBB102_582:
	s_delay_alu instid0(SALU_CYCLE_1)
	s_and_not1_b32 vcc_lo, exec_lo, s24
	s_cbranch_vccnz .LBB102_584
; %bb.583:
	s_wait_loadcnt 0x0
	global_load_u8 v3, v[0:1], off
	s_wait_loadcnt 0x0
	v_lshlrev_b32_e32 v4, 25, v3
	v_lshlrev_b16 v3, 8, v3
	s_delay_alu instid0(VALU_DEP_1) | instskip(NEXT) | instid1(VALU_DEP_3)
	v_and_or_b32 v7, 0x7f00, v3, 0.5
	v_lshrrev_b32_e32 v5, 4, v4
	v_bfe_i32 v3, v3, 0, 16
	s_delay_alu instid0(VALU_DEP_3) | instskip(NEXT) | instid1(VALU_DEP_3)
	v_add_f32_e32 v7, -0.5, v7
	v_or_b32_e32 v5, 0x70000000, v5
	s_delay_alu instid0(VALU_DEP_1) | instskip(SKIP_1) | instid1(VALU_DEP_2)
	v_mul_f32_e32 v5, 0x7800000, v5
	v_cmp_gt_u32_e32 vcc_lo, 0x8000000, v4
	v_cndmask_b32_e32 v4, v5, v7, vcc_lo
	s_delay_alu instid0(VALU_DEP_1)
	v_and_or_b32 v3, 0x80000000, v3, v4
.LBB102_584:
	s_mov_b32 s27, 0
	s_mov_b32 s24, -1
.LBB102_585:
	s_and_not1_b32 vcc_lo, exec_lo, s27
	s_cbranch_vccnz .LBB102_598
; %bb.586:
	s_cmp_gt_i32 s2, 14
	s_cbranch_scc0 .LBB102_589
; %bb.587:
	s_cmp_eq_u32 s2, 15
	s_cbranch_scc0 .LBB102_592
; %bb.588:
	s_wait_loadcnt 0x0
	global_load_u16 v3, v[0:1], off
	s_mov_b32 s24, -1
	s_mov_b32 s25, 0
	s_wait_loadcnt 0x0
	v_lshlrev_b32_e32 v3, 16, v3
	s_branch .LBB102_593
.LBB102_589:
	s_mov_b32 s27, -1
                                        ; implicit-def: $vgpr3
	s_branch .LBB102_594
.LBB102_590:
	s_or_saveexec_b32 s27, s27
	v_mov_b32_e32 v3, 0x7f800001
	s_xor_b32 exec_lo, exec_lo, s27
	s_cbranch_execz .LBB102_571
.LBB102_591:
	v_cmp_ne_u16_e32 vcc_lo, 0, v4
	v_mov_b32_e32 v3, 0
	s_and_not1_b32 s24, s24, exec_lo
	s_and_b32 s28, vcc_lo, exec_lo
	s_delay_alu instid0(SALU_CYCLE_1)
	s_or_b32 s24, s24, s28
	s_or_b32 exec_lo, exec_lo, s27
	s_and_saveexec_b32 s27, s24
	s_cbranch_execnz .LBB102_572
	s_branch .LBB102_573
.LBB102_592:
	s_mov_b32 s25, -1
                                        ; implicit-def: $vgpr3
.LBB102_593:
	s_mov_b32 s27, 0
.LBB102_594:
	s_delay_alu instid0(SALU_CYCLE_1)
	s_and_b32 vcc_lo, exec_lo, s27
	s_cbranch_vccz .LBB102_598
; %bb.595:
	s_cmp_eq_u32 s2, 11
	s_cbranch_scc0 .LBB102_597
; %bb.596:
	s_wait_loadcnt 0x0
	global_load_u8 v3, v[0:1], off
	s_mov_b32 s25, 0
	s_mov_b32 s24, -1
	s_wait_loadcnt 0x0
	v_cmp_ne_u16_e32 vcc_lo, 0, v3
	v_cndmask_b32_e64 v3, 0, 1.0, vcc_lo
	s_branch .LBB102_598
.LBB102_597:
	s_mov_b32 s25, -1
                                        ; implicit-def: $vgpr3
.LBB102_598:
	s_mov_b32 s2, 0
.LBB102_599:
	s_delay_alu instid0(SALU_CYCLE_1)
	s_and_b32 vcc_lo, exec_lo, s2
	s_cbranch_vccz .LBB102_648
; %bb.600:
	s_and_b32 s1, 0xffff, s1
	s_delay_alu instid0(SALU_CYCLE_1)
	s_cmp_lt_i32 s1, 5
	s_cbranch_scc1 .LBB102_605
; %bb.601:
	s_cmp_lt_i32 s1, 8
	s_cbranch_scc1 .LBB102_606
; %bb.602:
	s_cmp_lt_i32 s1, 9
	s_cbranch_scc1 .LBB102_607
; %bb.603:
	s_cmp_gt_i32 s1, 9
	s_cbranch_scc0 .LBB102_608
; %bb.604:
	global_load_b64 v[4:5], v[0:1], off
	s_mov_b32 s2, 0
	s_wait_loadcnt 0x0
	v_cvt_f32_f64_e32 v3, v[4:5]
	s_branch .LBB102_609
.LBB102_605:
	s_mov_b32 s2, -1
                                        ; implicit-def: $vgpr3
	s_branch .LBB102_627
.LBB102_606:
	s_mov_b32 s2, -1
                                        ; implicit-def: $vgpr3
	s_branch .LBB102_615
.LBB102_607:
	s_mov_b32 s2, -1
                                        ; implicit-def: $vgpr3
	s_branch .LBB102_612
.LBB102_608:
	s_mov_b32 s2, -1
                                        ; implicit-def: $vgpr3
.LBB102_609:
	s_delay_alu instid0(SALU_CYCLE_1)
	s_and_not1_b32 vcc_lo, exec_lo, s2
	s_cbranch_vccnz .LBB102_611
; %bb.610:
	s_wait_loadcnt 0x0
	global_load_b32 v3, v[0:1], off
.LBB102_611:
	s_mov_b32 s2, 0
.LBB102_612:
	s_delay_alu instid0(SALU_CYCLE_1)
	s_and_not1_b32 vcc_lo, exec_lo, s2
	s_cbranch_vccnz .LBB102_614
; %bb.613:
	s_wait_loadcnt 0x0
	global_load_b32 v3, v[0:1], off
	s_wait_loadcnt 0x0
	v_cvt_f32_f16_e32 v3, v3
.LBB102_614:
	s_mov_b32 s2, 0
.LBB102_615:
	s_delay_alu instid0(SALU_CYCLE_1)
	s_and_not1_b32 vcc_lo, exec_lo, s2
	s_cbranch_vccnz .LBB102_626
; %bb.616:
	s_cmp_lt_i32 s1, 6
	s_cbranch_scc1 .LBB102_619
; %bb.617:
	s_cmp_gt_i32 s1, 6
	s_cbranch_scc0 .LBB102_620
; %bb.618:
	global_load_b64 v[4:5], v[0:1], off
	s_mov_b32 s2, 0
	s_wait_loadcnt 0x0
	v_cvt_f32_f64_e32 v3, v[4:5]
	s_branch .LBB102_621
.LBB102_619:
	s_mov_b32 s2, -1
                                        ; implicit-def: $vgpr3
	s_branch .LBB102_624
.LBB102_620:
	s_mov_b32 s2, -1
                                        ; implicit-def: $vgpr3
.LBB102_621:
	s_delay_alu instid0(SALU_CYCLE_1)
	s_and_not1_b32 vcc_lo, exec_lo, s2
	s_cbranch_vccnz .LBB102_623
; %bb.622:
	s_wait_loadcnt 0x0
	global_load_b32 v3, v[0:1], off
.LBB102_623:
	s_mov_b32 s2, 0
.LBB102_624:
	s_delay_alu instid0(SALU_CYCLE_1)
	s_and_not1_b32 vcc_lo, exec_lo, s2
	s_cbranch_vccnz .LBB102_626
; %bb.625:
	s_wait_loadcnt 0x0
	global_load_u16 v3, v[0:1], off
	s_wait_loadcnt 0x0
	v_cvt_f32_f16_e32 v3, v3
.LBB102_626:
	s_mov_b32 s2, 0
.LBB102_627:
	s_delay_alu instid0(SALU_CYCLE_1)
	s_and_not1_b32 vcc_lo, exec_lo, s2
	s_cbranch_vccnz .LBB102_647
; %bb.628:
	s_cmp_lt_i32 s1, 2
	s_cbranch_scc1 .LBB102_632
; %bb.629:
	s_cmp_lt_i32 s1, 3
	s_cbranch_scc1 .LBB102_633
; %bb.630:
	s_cmp_gt_i32 s1, 3
	s_cbranch_scc0 .LBB102_634
; %bb.631:
	global_load_b64 v[4:5], v[0:1], off
	s_mov_b32 s2, 0
	s_wait_loadcnt 0x0
	v_xor_b32_e32 v3, v4, v5
	v_cls_i32_e32 v7, v5
	s_delay_alu instid0(VALU_DEP_2) | instskip(NEXT) | instid1(VALU_DEP_1)
	v_ashrrev_i32_e32 v3, 31, v3
	v_add_nc_u32_e32 v3, 32, v3
	s_delay_alu instid0(VALU_DEP_1) | instskip(NEXT) | instid1(VALU_DEP_1)
	v_add_min_u32_e64 v3, v7, -1, v3
	v_lshlrev_b64_e32 v[4:5], v3, v[4:5]
	v_sub_nc_u32_e32 v3, 32, v3
	s_delay_alu instid0(VALU_DEP_2) | instskip(NEXT) | instid1(VALU_DEP_1)
	v_min_u32_e32 v4, 1, v4
	v_or_b32_e32 v4, v5, v4
	s_delay_alu instid0(VALU_DEP_1) | instskip(NEXT) | instid1(VALU_DEP_1)
	v_cvt_f32_i32_e32 v4, v4
	v_ldexp_f32 v3, v4, v3
	s_branch .LBB102_635
.LBB102_632:
	s_mov_b32 s2, -1
                                        ; implicit-def: $vgpr3
	s_branch .LBB102_641
.LBB102_633:
	s_mov_b32 s2, -1
                                        ; implicit-def: $vgpr3
	s_branch .LBB102_638
.LBB102_634:
	s_mov_b32 s2, -1
                                        ; implicit-def: $vgpr3
.LBB102_635:
	s_delay_alu instid0(SALU_CYCLE_1)
	s_and_not1_b32 vcc_lo, exec_lo, s2
	s_cbranch_vccnz .LBB102_637
; %bb.636:
	s_wait_loadcnt 0x0
	global_load_b32 v3, v[0:1], off
	s_wait_loadcnt 0x0
	v_cvt_f32_i32_e32 v3, v3
.LBB102_637:
	s_mov_b32 s2, 0
.LBB102_638:
	s_delay_alu instid0(SALU_CYCLE_1)
	s_and_not1_b32 vcc_lo, exec_lo, s2
	s_cbranch_vccnz .LBB102_640
; %bb.639:
	s_wait_loadcnt 0x0
	global_load_i16 v3, v[0:1], off
	s_wait_loadcnt 0x0
	v_cvt_f32_i32_e32 v3, v3
.LBB102_640:
	s_mov_b32 s2, 0
.LBB102_641:
	s_delay_alu instid0(SALU_CYCLE_1)
	s_and_not1_b32 vcc_lo, exec_lo, s2
	s_cbranch_vccnz .LBB102_647
; %bb.642:
	s_cmp_gt_i32 s1, 0
	s_mov_b32 s1, 0
	s_cbranch_scc0 .LBB102_644
; %bb.643:
	s_wait_loadcnt 0x0
	global_load_i8 v3, v[0:1], off
	s_wait_loadcnt 0x0
	v_cvt_f32_i32_e32 v3, v3
	s_branch .LBB102_645
.LBB102_644:
	s_mov_b32 s1, -1
                                        ; implicit-def: $vgpr3
.LBB102_645:
	s_delay_alu instid0(SALU_CYCLE_1)
	s_and_not1_b32 vcc_lo, exec_lo, s1
	s_cbranch_vccnz .LBB102_647
; %bb.646:
	global_load_u8 v0, v[0:1], off
	s_wait_loadcnt 0x0
	v_cvt_f32_ubyte0_e32 v3, v0
.LBB102_647:
	s_mov_b32 s24, -1
.LBB102_648:
	s_delay_alu instid0(SALU_CYCLE_1)
	s_and_not1_b32 vcc_lo, exec_lo, s24
	s_cbranch_vccnz .LBB102_656
; %bb.649:
	s_wait_loadcnt 0x0
	s_delay_alu instid0(VALU_DEP_1) | instskip(SKIP_3) | instid1(SALU_CYCLE_1)
	v_cmp_eq_f32_e32 vcc_lo, v2, v3
	s_wait_xcnt 0x0
	v_mul_lo_u32 v0, v6, s8
	s_and_b32 s24, s3, 0xff
	s_cmp_lt_i32 s24, 11
	v_cndmask_b32_e64 v1, 0, 1, vcc_lo
	v_cmp_neq_f32_e32 vcc_lo, v2, v3
	v_cndmask_b32_e64 v2, 0, 1, vcc_lo
	s_delay_alu instid0(VALU_DEP_1) | instskip(NEXT) | instid1(VALU_DEP_1)
	v_dual_cndmask_b32 v2, v2, v1, s0 :: v_dual_ashrrev_i32 v1, 31, v0
	v_and_b32_e32 v2, 1, v2
	s_delay_alu instid0(VALU_DEP_2) | instskip(NEXT) | instid1(VALU_DEP_2)
	v_add_nc_u64_e32 v[0:1], s[4:5], v[0:1]
	v_cmp_eq_u32_e64 s1, 1, v2
	s_cbranch_scc1 .LBB102_657
; %bb.650:
	s_and_b32 s27, 0xffff, s24
	s_delay_alu instid0(SALU_CYCLE_1)
	s_cmp_gt_i32 s27, 25
	s_cbranch_scc0 .LBB102_658
; %bb.651:
	s_cmp_gt_i32 s27, 28
	s_cbranch_scc0 .LBB102_659
; %bb.652:
	;; [unrolled: 3-line block ×4, first 2 shown]
	s_mov_b32 s29, 0
	s_mov_b32 s2, -1
	s_cmp_eq_u32 s27, 46
	s_mov_b32 s28, 0
	s_cbranch_scc0 .LBB102_662
; %bb.655:
	v_cndmask_b32_e64 v2, 0, 1.0, s1
	s_mov_b32 s28, -1
	s_mov_b32 s2, 0
	s_delay_alu instid0(VALU_DEP_1) | instskip(NEXT) | instid1(VALU_DEP_1)
	v_bfe_u32 v3, v2, 16, 1
	v_add3_u32 v2, v2, v3, 0x7fff
	s_delay_alu instid0(VALU_DEP_1)
	v_lshrrev_b32_e32 v2, 16, v2
	global_store_b32 v[0:1], v2, off
	s_branch .LBB102_662
.LBB102_656:
	s_mov_b32 s1, 0
	s_mov_b32 s2, s18
	s_branch .LBB102_773
.LBB102_657:
	s_mov_b32 s27, -1
	s_mov_b32 s28, 0
	s_mov_b32 s2, s18
	s_branch .LBB102_731
.LBB102_658:
	s_mov_b32 s28, 0
	s_mov_b32 s2, s18
	s_branch .LBB102_689
.LBB102_659:
	s_mov_b32 s28, 0
	s_mov_b32 s2, s18
	s_branch .LBB102_672
.LBB102_660:
	s_mov_b32 s28, 0
	s_mov_b32 s2, s18
	s_branch .LBB102_668
.LBB102_661:
	s_mov_b32 s28, 0
	s_mov_b32 s2, s18
.LBB102_662:
	s_and_b32 vcc_lo, exec_lo, s29
	s_cbranch_vccz .LBB102_667
; %bb.663:
	s_cmp_eq_u32 s27, 44
	s_mov_b32 s2, -1
	s_cbranch_scc0 .LBB102_667
; %bb.664:
	v_cndmask_b32_e64 v4, 0, 1.0, s1
	s_mov_b32 s28, exec_lo
	s_wait_xcnt 0x0
	s_delay_alu instid0(VALU_DEP_1) | instskip(NEXT) | instid1(VALU_DEP_1)
	v_dual_mov_b32 v3, 0xff :: v_dual_lshrrev_b32 v2, 23, v4
	v_cmpx_ne_u32_e32 0xff, v2
; %bb.665:
	v_and_b32_e32 v3, 0x400000, v4
	v_and_or_b32 v4, 0x3fffff, v4, v2
	s_delay_alu instid0(VALU_DEP_2) | instskip(NEXT) | instid1(VALU_DEP_2)
	v_cmp_ne_u32_e32 vcc_lo, 0, v3
	v_cmp_ne_u32_e64 s2, 0, v4
	s_and_b32 s2, vcc_lo, s2
	s_delay_alu instid0(SALU_CYCLE_1) | instskip(NEXT) | instid1(VALU_DEP_1)
	v_cndmask_b32_e64 v3, 0, 1, s2
	v_add_nc_u32_e32 v3, v2, v3
; %bb.666:
	s_or_b32 exec_lo, exec_lo, s28
	s_mov_b32 s28, -1
	s_mov_b32 s2, 0
	global_store_b8 v[0:1], v3, off
.LBB102_667:
	s_mov_b32 s29, 0
.LBB102_668:
	s_delay_alu instid0(SALU_CYCLE_1)
	s_and_b32 vcc_lo, exec_lo, s29
	s_cbranch_vccz .LBB102_671
; %bb.669:
	s_cmp_eq_u32 s27, 29
	s_mov_b32 s2, -1
	s_cbranch_scc0 .LBB102_671
; %bb.670:
	s_mov_b32 s2, 0
	s_wait_xcnt 0x0
	v_cndmask_b32_e64 v2, 0, 1, s1
	v_mov_b32_e32 v3, s2
	s_mov_b32 s28, -1
	s_mov_b32 s29, 0
	global_store_b64 v[0:1], v[2:3], off
	s_branch .LBB102_672
.LBB102_671:
	s_mov_b32 s29, 0
.LBB102_672:
	s_delay_alu instid0(SALU_CYCLE_1)
	s_and_b32 vcc_lo, exec_lo, s29
	s_cbranch_vccz .LBB102_688
; %bb.673:
	s_cmp_lt_i32 s27, 27
	s_mov_b32 s28, -1
	s_cbranch_scc1 .LBB102_679
; %bb.674:
	s_cmp_gt_i32 s27, 27
	s_cbranch_scc0 .LBB102_676
; %bb.675:
	s_wait_xcnt 0x0
	v_cndmask_b32_e64 v2, 0, 1, s1
	s_mov_b32 s28, 0
	global_store_b32 v[0:1], v2, off
.LBB102_676:
	s_and_not1_b32 vcc_lo, exec_lo, s28
	s_cbranch_vccnz .LBB102_678
; %bb.677:
	s_wait_xcnt 0x0
	v_cndmask_b32_e64 v2, 0, 1, s1
	global_store_b16 v[0:1], v2, off
.LBB102_678:
	s_mov_b32 s28, 0
.LBB102_679:
	s_delay_alu instid0(SALU_CYCLE_1)
	s_and_not1_b32 vcc_lo, exec_lo, s28
	s_cbranch_vccnz .LBB102_687
; %bb.680:
	s_wait_xcnt 0x0
	v_cndmask_b32_e64 v3, 0, 1.0, s1
	v_mov_b32_e32 v4, 0x80
	s_mov_b32 s28, exec_lo
	s_delay_alu instid0(VALU_DEP_2)
	v_cmpx_gt_u32_e32 0x43800000, v3
	s_cbranch_execz .LBB102_686
; %bb.681:
	s_mov_b32 s29, 0
	s_mov_b32 s30, exec_lo
                                        ; implicit-def: $vgpr2
	v_cmpx_lt_u32_e32 0x3bffffff, v3
	s_xor_b32 s30, exec_lo, s30
	s_cbranch_execz .LBB102_789
; %bb.682:
	v_bfe_u32 v2, v3, 20, 1
	s_mov_b32 s29, exec_lo
	s_delay_alu instid0(VALU_DEP_1) | instskip(NEXT) | instid1(VALU_DEP_1)
	v_add3_u32 v2, v3, v2, 0x487ffff
                                        ; implicit-def: $vgpr3
	v_lshrrev_b32_e32 v2, 20, v2
	s_and_not1_saveexec_b32 s30, s30
	s_cbranch_execnz .LBB102_790
.LBB102_683:
	s_or_b32 exec_lo, exec_lo, s30
	v_mov_b32_e32 v4, 0
	s_and_saveexec_b32 s30, s29
.LBB102_684:
	v_mov_b32_e32 v4, v2
.LBB102_685:
	s_or_b32 exec_lo, exec_lo, s30
.LBB102_686:
	s_delay_alu instid0(SALU_CYCLE_1)
	s_or_b32 exec_lo, exec_lo, s28
	global_store_b8 v[0:1], v4, off
.LBB102_687:
	s_mov_b32 s28, -1
.LBB102_688:
	s_mov_b32 s29, 0
.LBB102_689:
	s_delay_alu instid0(SALU_CYCLE_1)
	s_and_b32 vcc_lo, exec_lo, s29
	s_cbranch_vccz .LBB102_730
; %bb.690:
	s_cmp_gt_i32 s27, 22
	s_mov_b32 s29, -1
	s_cbranch_scc0 .LBB102_722
; %bb.691:
	s_cmp_lt_i32 s27, 24
	s_mov_b32 s28, -1
	s_cbranch_scc1 .LBB102_711
; %bb.692:
	s_cmp_gt_i32 s27, 24
	s_cbranch_scc0 .LBB102_700
; %bb.693:
	s_wait_xcnt 0x0
	v_cndmask_b32_e64 v3, 0, 1.0, s1
	v_mov_b32_e32 v4, 0x80
	s_mov_b32 s28, exec_lo
	s_delay_alu instid0(VALU_DEP_2)
	v_cmpx_gt_u32_e32 0x47800000, v3
	s_cbranch_execz .LBB102_699
; %bb.694:
	s_mov_b32 s29, 0
	s_mov_b32 s30, exec_lo
                                        ; implicit-def: $vgpr2
	v_cmpx_lt_u32_e32 0x37ffffff, v3
	s_xor_b32 s30, exec_lo, s30
	s_cbranch_execz .LBB102_921
; %bb.695:
	v_bfe_u32 v2, v3, 21, 1
	s_mov_b32 s29, exec_lo
	s_delay_alu instid0(VALU_DEP_1) | instskip(NEXT) | instid1(VALU_DEP_1)
	v_add3_u32 v2, v3, v2, 0x88fffff
                                        ; implicit-def: $vgpr3
	v_lshrrev_b32_e32 v2, 21, v2
	s_and_not1_saveexec_b32 s30, s30
	s_cbranch_execnz .LBB102_922
.LBB102_696:
	s_or_b32 exec_lo, exec_lo, s30
	v_mov_b32_e32 v4, 0
	s_and_saveexec_b32 s30, s29
.LBB102_697:
	v_mov_b32_e32 v4, v2
.LBB102_698:
	s_or_b32 exec_lo, exec_lo, s30
.LBB102_699:
	s_delay_alu instid0(SALU_CYCLE_1)
	s_or_b32 exec_lo, exec_lo, s28
	s_mov_b32 s28, 0
	global_store_b8 v[0:1], v4, off
.LBB102_700:
	s_and_b32 vcc_lo, exec_lo, s28
	s_cbranch_vccz .LBB102_710
; %bb.701:
	s_wait_xcnt 0x0
	v_cndmask_b32_e64 v3, 0, 1.0, s1
	s_mov_b32 s28, exec_lo
                                        ; implicit-def: $vgpr2
	s_delay_alu instid0(VALU_DEP_1)
	v_cmpx_gt_u32_e32 0x43f00000, v3
	s_xor_b32 s28, exec_lo, s28
	s_cbranch_execz .LBB102_707
; %bb.702:
	s_mov_b32 s29, exec_lo
                                        ; implicit-def: $vgpr2
	v_cmpx_lt_u32_e32 0x3c7fffff, v3
	s_xor_b32 s29, exec_lo, s29
; %bb.703:
	v_bfe_u32 v2, v3, 20, 1
	s_delay_alu instid0(VALU_DEP_1) | instskip(NEXT) | instid1(VALU_DEP_1)
	v_add3_u32 v2, v3, v2, 0x407ffff
	v_and_b32_e32 v3, 0xff00000, v2
	v_lshrrev_b32_e32 v2, 20, v2
	s_delay_alu instid0(VALU_DEP_2) | instskip(NEXT) | instid1(VALU_DEP_2)
	v_cmp_ne_u32_e32 vcc_lo, 0x7f00000, v3
                                        ; implicit-def: $vgpr3
	v_cndmask_b32_e32 v2, 0x7e, v2, vcc_lo
; %bb.704:
	s_and_not1_saveexec_b32 s29, s29
; %bb.705:
	v_add_f32_e32 v2, 0x46800000, v3
; %bb.706:
	s_or_b32 exec_lo, exec_lo, s29
                                        ; implicit-def: $vgpr3
.LBB102_707:
	s_and_not1_saveexec_b32 s28, s28
; %bb.708:
	v_mov_b32_e32 v2, 0x7f
	v_cmp_lt_u32_e32 vcc_lo, 0x7f800000, v3
	s_delay_alu instid0(VALU_DEP_2)
	v_cndmask_b32_e32 v2, 0x7e, v2, vcc_lo
; %bb.709:
	s_or_b32 exec_lo, exec_lo, s28
	global_store_b8 v[0:1], v2, off
.LBB102_710:
	s_mov_b32 s28, 0
.LBB102_711:
	s_delay_alu instid0(SALU_CYCLE_1)
	s_and_not1_b32 vcc_lo, exec_lo, s28
	s_cbranch_vccnz .LBB102_721
; %bb.712:
	s_wait_xcnt 0x0
	v_cndmask_b32_e64 v3, 0, 1.0, s1
	s_mov_b32 s28, exec_lo
                                        ; implicit-def: $vgpr2
	s_delay_alu instid0(VALU_DEP_1)
	v_cmpx_gt_u32_e32 0x47800000, v3
	s_xor_b32 s28, exec_lo, s28
	s_cbranch_execz .LBB102_718
; %bb.713:
	s_mov_b32 s29, exec_lo
                                        ; implicit-def: $vgpr2
	v_cmpx_lt_u32_e32 0x387fffff, v3
	s_xor_b32 s29, exec_lo, s29
; %bb.714:
	v_bfe_u32 v2, v3, 21, 1
	s_delay_alu instid0(VALU_DEP_1) | instskip(NEXT) | instid1(VALU_DEP_1)
	v_add3_u32 v2, v3, v2, 0x80fffff
                                        ; implicit-def: $vgpr3
	v_lshrrev_b32_e32 v2, 21, v2
; %bb.715:
	s_and_not1_saveexec_b32 s29, s29
; %bb.716:
	v_add_f32_e32 v2, 0x43000000, v3
; %bb.717:
	s_or_b32 exec_lo, exec_lo, s29
                                        ; implicit-def: $vgpr3
.LBB102_718:
	s_and_not1_saveexec_b32 s28, s28
; %bb.719:
	v_mov_b32_e32 v2, 0x7f
	v_cmp_lt_u32_e32 vcc_lo, 0x7f800000, v3
	s_delay_alu instid0(VALU_DEP_2)
	v_cndmask_b32_e32 v2, 0x7c, v2, vcc_lo
; %bb.720:
	s_or_b32 exec_lo, exec_lo, s28
	global_store_b8 v[0:1], v2, off
.LBB102_721:
	s_mov_b32 s29, 0
	s_mov_b32 s28, -1
.LBB102_722:
	s_and_not1_b32 vcc_lo, exec_lo, s29
	s_cbranch_vccnz .LBB102_730
; %bb.723:
	s_cmp_gt_i32 s27, 14
	s_mov_b32 s29, -1
	s_cbranch_scc0 .LBB102_727
; %bb.724:
	s_cmp_eq_u32 s27, 15
	s_mov_b32 s2, -1
	s_cbranch_scc0 .LBB102_726
; %bb.725:
	s_wait_xcnt 0x0
	v_cndmask_b32_e64 v2, 0, 1.0, s1
	s_mov_b32 s28, -1
	s_mov_b32 s2, 0
	s_delay_alu instid0(VALU_DEP_1) | instskip(NEXT) | instid1(VALU_DEP_1)
	v_bfe_u32 v3, v2, 16, 1
	v_add3_u32 v2, v2, v3, 0x7fff
	global_store_d16_hi_b16 v[0:1], v2, off
.LBB102_726:
	s_mov_b32 s29, 0
.LBB102_727:
	s_delay_alu instid0(SALU_CYCLE_1)
	s_and_b32 vcc_lo, exec_lo, s29
	s_cbranch_vccz .LBB102_730
; %bb.728:
	s_cmp_eq_u32 s27, 11
	s_mov_b32 s2, -1
	s_cbranch_scc0 .LBB102_730
; %bb.729:
	s_wait_xcnt 0x0
	v_cndmask_b32_e64 v2, 0, 1, s1
	s_mov_b32 s28, -1
	s_mov_b32 s2, 0
	global_store_b8 v[0:1], v2, off
.LBB102_730:
	s_mov_b32 s27, 0
.LBB102_731:
	s_delay_alu instid0(SALU_CYCLE_1)
	s_and_b32 vcc_lo, exec_lo, s27
	s_cbranch_vccz .LBB102_770
; %bb.732:
	s_and_b32 s24, 0xffff, s24
	s_mov_b32 s27, -1
	s_cmp_lt_i32 s24, 5
	s_cbranch_scc1 .LBB102_753
; %bb.733:
	s_cmp_lt_i32 s24, 8
	s_cbranch_scc1 .LBB102_743
; %bb.734:
	;; [unrolled: 3-line block ×3, first 2 shown]
	s_cmp_gt_i32 s24, 9
	s_cbranch_scc0 .LBB102_737
; %bb.736:
	s_wait_xcnt 0x0
	v_cndmask_b32_e64 v2, 0, 1, s1
	v_mov_b32_e32 v4, 0
	s_mov_b32 s27, 0
	s_delay_alu instid0(VALU_DEP_2) | instskip(NEXT) | instid1(VALU_DEP_2)
	v_cvt_f64_u32_e32 v[2:3], v2
	v_mov_b32_e32 v5, v4
	global_store_b128 v[0:1], v[2:5], off
.LBB102_737:
	s_and_not1_b32 vcc_lo, exec_lo, s27
	s_cbranch_vccnz .LBB102_739
; %bb.738:
	s_wait_xcnt 0x0
	v_cndmask_b32_e64 v2, 0, 1.0, s1
	v_mov_b32_e32 v3, 0
	global_store_b64 v[0:1], v[2:3], off
.LBB102_739:
	s_mov_b32 s27, 0
.LBB102_740:
	s_delay_alu instid0(SALU_CYCLE_1)
	s_and_not1_b32 vcc_lo, exec_lo, s27
	s_cbranch_vccnz .LBB102_742
; %bb.741:
	s_wait_xcnt 0x0
	v_cndmask_b32_e64 v2, 0, 1.0, s1
	s_delay_alu instid0(VALU_DEP_1) | instskip(NEXT) | instid1(VALU_DEP_1)
	v_cvt_f16_f32_e32 v2, v2
	v_and_b32_e32 v2, 0xffff, v2
	global_store_b32 v[0:1], v2, off
.LBB102_742:
	s_mov_b32 s27, 0
.LBB102_743:
	s_delay_alu instid0(SALU_CYCLE_1)
	s_and_not1_b32 vcc_lo, exec_lo, s27
	s_cbranch_vccnz .LBB102_752
; %bb.744:
	s_cmp_lt_i32 s24, 6
	s_mov_b32 s27, -1
	s_cbranch_scc1 .LBB102_750
; %bb.745:
	s_cmp_gt_i32 s24, 6
	s_cbranch_scc0 .LBB102_747
; %bb.746:
	s_wait_xcnt 0x0
	v_cndmask_b32_e64 v2, 0, 1, s1
	s_mov_b32 s27, 0
	s_delay_alu instid0(VALU_DEP_1)
	v_cvt_f64_u32_e32 v[2:3], v2
	global_store_b64 v[0:1], v[2:3], off
.LBB102_747:
	s_and_not1_b32 vcc_lo, exec_lo, s27
	s_cbranch_vccnz .LBB102_749
; %bb.748:
	s_wait_xcnt 0x0
	v_cndmask_b32_e64 v2, 0, 1.0, s1
	global_store_b32 v[0:1], v2, off
.LBB102_749:
	s_mov_b32 s27, 0
.LBB102_750:
	s_delay_alu instid0(SALU_CYCLE_1)
	s_and_not1_b32 vcc_lo, exec_lo, s27
	s_cbranch_vccnz .LBB102_752
; %bb.751:
	s_wait_xcnt 0x0
	v_cndmask_b32_e64 v2, 0, 1.0, s1
	s_delay_alu instid0(VALU_DEP_1)
	v_cvt_f16_f32_e32 v2, v2
	global_store_b16 v[0:1], v2, off
.LBB102_752:
	s_mov_b32 s27, 0
.LBB102_753:
	s_delay_alu instid0(SALU_CYCLE_1)
	s_and_not1_b32 vcc_lo, exec_lo, s27
	s_cbranch_vccnz .LBB102_769
; %bb.754:
	s_cmp_lt_i32 s24, 2
	s_mov_b32 s27, -1
	s_cbranch_scc1 .LBB102_764
; %bb.755:
	s_cmp_lt_i32 s24, 3
	s_cbranch_scc1 .LBB102_761
; %bb.756:
	s_cmp_gt_i32 s24, 3
	s_cbranch_scc0 .LBB102_758
; %bb.757:
	s_mov_b32 s27, 0
	s_wait_xcnt 0x0
	v_cndmask_b32_e64 v2, 0, 1, s1
	v_mov_b32_e32 v3, s27
	global_store_b64 v[0:1], v[2:3], off
.LBB102_758:
	s_and_not1_b32 vcc_lo, exec_lo, s27
	s_cbranch_vccnz .LBB102_760
; %bb.759:
	s_wait_xcnt 0x0
	v_cndmask_b32_e64 v2, 0, 1, s1
	global_store_b32 v[0:1], v2, off
.LBB102_760:
	s_mov_b32 s27, 0
.LBB102_761:
	s_delay_alu instid0(SALU_CYCLE_1)
	s_and_not1_b32 vcc_lo, exec_lo, s27
	s_cbranch_vccnz .LBB102_763
; %bb.762:
	s_wait_xcnt 0x0
	v_cndmask_b32_e64 v2, 0, 1, s1
	global_store_b16 v[0:1], v2, off
.LBB102_763:
	s_mov_b32 s27, 0
.LBB102_764:
	s_delay_alu instid0(SALU_CYCLE_1)
	s_and_not1_b32 vcc_lo, exec_lo, s27
	s_cbranch_vccnz .LBB102_769
; %bb.765:
	s_wait_xcnt 0x0
	v_cndmask_b32_e64 v2, 0, 1, s1
	s_cmp_gt_i32 s24, 0
	s_mov_b32 s1, -1
	s_cbranch_scc0 .LBB102_767
; %bb.766:
	s_mov_b32 s1, 0
	global_store_b8 v[0:1], v2, off
.LBB102_767:
	s_and_not1_b32 vcc_lo, exec_lo, s1
	s_cbranch_vccnz .LBB102_769
; %bb.768:
	global_store_b8 v[0:1], v2, off
.LBB102_769:
	s_mov_b32 s28, -1
.LBB102_770:
	s_delay_alu instid0(SALU_CYCLE_1)
	s_and_not1_b32 vcc_lo, exec_lo, s28
	s_cbranch_vccnz .LBB102_772
; %bb.771:
	v_add_nc_u32_e32 v6, 0x80, v6
	s_mov_b32 s1, -1
	s_branch .LBB102_774
.LBB102_772:
	s_mov_b32 s1, 0
.LBB102_773:
                                        ; implicit-def: $vgpr6
.LBB102_774:
	s_and_not1_b32 s24, s18, exec_lo
	s_and_b32 s2, s2, exec_lo
	s_and_b32 s25, s25, exec_lo
	s_or_b32 s24, s24, s2
	s_and_not1_b32 s2, s20, exec_lo
	s_and_not1_b32 s27, s21, exec_lo
	s_and_b32 s23, s23, exec_lo
	s_or_b32 s25, s2, s25
	s_or_b32 s23, s27, s23
	s_or_not1_b32 s29, s1, exec_lo
.LBB102_775:
	s_wait_xcnt 0x0
	s_or_b32 exec_lo, exec_lo, s26
	s_mov_b32 s1, 0
	s_mov_b32 s27, 0
	;; [unrolled: 1-line block ×3, first 2 shown]
                                        ; implicit-def: $sgpr2
                                        ; implicit-def: $vgpr0_vgpr1
                                        ; implicit-def: $vgpr2
	s_and_saveexec_b32 s26, s29
	s_cbranch_execz .LBB102_1250
; %bb.776:
	s_mov_b32 s34, -1
	s_mov_b32 s1, s23
	s_mov_b32 s28, s25
	;; [unrolled: 1-line block ×3, first 2 shown]
	s_mov_b32 s27, exec_lo
	v_cmpx_gt_i32_e64 s19, v6
	s_cbranch_execz .LBB102_1166
; %bb.777:
	v_mul_lo_u32 v0, v6, s9
	s_and_b32 s1, s16, 0xff
	s_delay_alu instid0(SALU_CYCLE_1) | instskip(NEXT) | instid1(VALU_DEP_1)
	s_cmp_lt_i32 s1, 11
	v_ashrrev_i32_e32 v1, 31, v0
	s_delay_alu instid0(VALU_DEP_1)
	v_add_nc_u64_e32 v[0:1], s[6:7], v[0:1]
	s_cbranch_scc1 .LBB102_784
; %bb.778:
	s_and_b32 s2, 0xffff, s1
	s_delay_alu instid0(SALU_CYCLE_1)
	s_cmp_gt_i32 s2, 25
	s_cbranch_scc0 .LBB102_785
; %bb.779:
	s_cmp_gt_i32 s2, 28
	s_cbranch_scc0 .LBB102_786
; %bb.780:
	;; [unrolled: 3-line block ×4, first 2 shown]
	s_cmp_eq_u32 s2, 46
	s_mov_b32 s30, 0
	s_cbranch_scc0 .LBB102_791
; %bb.783:
	s_wait_loadcnt 0x0
	global_load_b32 v2, v[0:1], off
	s_mov_b32 s29, -1
	s_mov_b32 s28, 0
	s_wait_loadcnt 0x0
	v_lshlrev_b32_e32 v2, 16, v2
	s_branch .LBB102_793
.LBB102_784:
	s_mov_b32 s2, -1
	s_mov_b32 s29, 0
	s_mov_b32 s28, s23
                                        ; implicit-def: $vgpr2
	s_branch .LBB102_858
.LBB102_785:
	s_mov_b32 s30, -1
	s_mov_b32 s29, 0
	s_mov_b32 s28, s23
                                        ; implicit-def: $vgpr2
	s_branch .LBB102_822
.LBB102_786:
	s_mov_b32 s30, -1
	s_mov_b32 s29, 0
	s_mov_b32 s28, s23
                                        ; implicit-def: $vgpr2
	s_branch .LBB102_803
.LBB102_787:
	s_mov_b32 s30, -1
	s_mov_b32 s29, 0
	s_mov_b32 s28, s23
                                        ; implicit-def: $vgpr2
	s_branch .LBB102_798
.LBB102_788:
	s_mov_b32 s30, -1
	s_mov_b32 s29, 0
	s_mov_b32 s28, s23
	s_branch .LBB102_792
.LBB102_789:
	s_and_not1_saveexec_b32 s30, s30
	s_cbranch_execz .LBB102_683
.LBB102_790:
	v_add_f32_e32 v2, 0x46000000, v3
	s_and_not1_b32 s29, s29, exec_lo
	s_delay_alu instid0(VALU_DEP_1) | instskip(NEXT) | instid1(VALU_DEP_1)
	v_and_b32_e32 v2, 0xff, v2
	v_cmp_ne_u32_e32 vcc_lo, 0, v2
	s_and_b32 s31, vcc_lo, exec_lo
	s_delay_alu instid0(SALU_CYCLE_1)
	s_or_b32 s29, s29, s31
	s_or_b32 exec_lo, exec_lo, s30
	v_mov_b32_e32 v4, 0
	s_and_saveexec_b32 s30, s29
	s_cbranch_execnz .LBB102_684
	s_branch .LBB102_685
.LBB102_791:
	s_mov_b32 s28, -1
	s_mov_b32 s29, 0
.LBB102_792:
                                        ; implicit-def: $vgpr2
.LBB102_793:
	s_and_b32 vcc_lo, exec_lo, s30
	s_cbranch_vccz .LBB102_797
; %bb.794:
	s_cmp_eq_u32 s2, 44
	s_cbranch_scc0 .LBB102_796
; %bb.795:
	s_wait_loadcnt 0x0
	global_load_u8 v2, v[0:1], off
	s_mov_b32 s28, 0
	s_mov_b32 s29, -1
	s_wait_loadcnt 0x0
	v_lshlrev_b32_e32 v3, 23, v2
	v_cmp_ne_u32_e32 vcc_lo, 0xff, v2
	s_delay_alu instid0(VALU_DEP_2) | instskip(SKIP_1) | instid1(VALU_DEP_2)
	v_cndmask_b32_e32 v3, 0x7f800001, v3, vcc_lo
	v_cmp_ne_u32_e32 vcc_lo, 0, v2
	v_cndmask_b32_e32 v2, 0x400000, v3, vcc_lo
	s_branch .LBB102_797
.LBB102_796:
	s_mov_b32 s28, -1
                                        ; implicit-def: $vgpr2
.LBB102_797:
	s_mov_b32 s30, 0
.LBB102_798:
	s_delay_alu instid0(SALU_CYCLE_1)
	s_and_b32 vcc_lo, exec_lo, s30
	s_cbranch_vccz .LBB102_802
; %bb.799:
	s_cmp_eq_u32 s2, 29
	s_cbranch_scc0 .LBB102_801
; %bb.800:
	s_wait_loadcnt 0x0
	global_load_b64 v[2:3], v[0:1], off
	s_mov_b32 s29, -1
	s_mov_b32 s28, 0
	s_mov_b32 s30, 0
	s_wait_loadcnt 0x0
	v_clz_i32_u32_e32 v4, v3
	s_delay_alu instid0(VALU_DEP_1) | instskip(NEXT) | instid1(VALU_DEP_1)
	v_min_u32_e32 v4, 32, v4
	v_lshlrev_b64_e32 v[2:3], v4, v[2:3]
	s_delay_alu instid0(VALU_DEP_1) | instskip(NEXT) | instid1(VALU_DEP_1)
	v_min_u32_e32 v2, 1, v2
	v_dual_sub_nc_u32 v3, 32, v4 :: v_dual_bitop2_b32 v2, v3, v2 bitop3:0x54
	s_delay_alu instid0(VALU_DEP_1) | instskip(NEXT) | instid1(VALU_DEP_1)
	v_cvt_f32_u32_e32 v2, v2
	v_ldexp_f32 v2, v2, v3
	s_branch .LBB102_803
.LBB102_801:
	s_mov_b32 s28, -1
                                        ; implicit-def: $vgpr2
.LBB102_802:
	s_mov_b32 s30, 0
.LBB102_803:
	s_delay_alu instid0(SALU_CYCLE_1)
	s_and_b32 vcc_lo, exec_lo, s30
	s_cbranch_vccz .LBB102_821
; %bb.804:
	s_cmp_lt_i32 s2, 27
	s_cbranch_scc1 .LBB102_807
; %bb.805:
	s_cmp_gt_i32 s2, 27
	s_cbranch_scc0 .LBB102_808
; %bb.806:
	s_wait_loadcnt 0x0
	global_load_b32 v2, v[0:1], off
	s_mov_b32 s29, 0
	s_wait_loadcnt 0x0
	v_cvt_f32_u32_e32 v2, v2
	s_branch .LBB102_809
.LBB102_807:
	s_mov_b32 s29, -1
                                        ; implicit-def: $vgpr2
	s_branch .LBB102_812
.LBB102_808:
	s_mov_b32 s29, -1
                                        ; implicit-def: $vgpr2
.LBB102_809:
	s_delay_alu instid0(SALU_CYCLE_1)
	s_and_not1_b32 vcc_lo, exec_lo, s29
	s_cbranch_vccnz .LBB102_811
; %bb.810:
	s_wait_loadcnt 0x0
	global_load_u16 v2, v[0:1], off
	s_wait_loadcnt 0x0
	v_cvt_f32_u32_e32 v2, v2
.LBB102_811:
	s_mov_b32 s29, 0
.LBB102_812:
	s_delay_alu instid0(SALU_CYCLE_1)
	s_and_not1_b32 vcc_lo, exec_lo, s29
	s_cbranch_vccnz .LBB102_820
; %bb.813:
	s_wait_loadcnt 0x0
	global_load_u8 v3, v[0:1], off
	s_mov_b32 s29, 0
	s_mov_b32 s30, exec_lo
	s_wait_loadcnt 0x0
	v_cmpx_lt_i16_e32 0x7f, v3
	s_xor_b32 s30, exec_lo, s30
	s_cbranch_execz .LBB102_834
; %bb.814:
	s_mov_b32 s29, -1
	s_mov_b32 s31, exec_lo
	v_cmpx_eq_u16_e32 0x80, v3
; %bb.815:
	s_xor_b32 s29, exec_lo, -1
; %bb.816:
	s_or_b32 exec_lo, exec_lo, s31
	s_delay_alu instid0(SALU_CYCLE_1)
	s_and_b32 s29, s29, exec_lo
	s_or_saveexec_b32 s30, s30
	v_mov_b32_e32 v2, 0x7f800001
	s_xor_b32 exec_lo, exec_lo, s30
	s_cbranch_execnz .LBB102_835
.LBB102_817:
	s_or_b32 exec_lo, exec_lo, s30
	s_and_saveexec_b32 s30, s29
	s_cbranch_execz .LBB102_819
.LBB102_818:
	v_and_b32_e32 v2, 0xffff, v3
	s_delay_alu instid0(VALU_DEP_1) | instskip(SKIP_1) | instid1(VALU_DEP_2)
	v_and_b32_e32 v4, 7, v2
	v_bfe_u32 v8, v2, 3, 4
	v_clz_i32_u32_e32 v5, v4
	s_delay_alu instid0(VALU_DEP_2) | instskip(NEXT) | instid1(VALU_DEP_2)
	v_cmp_eq_u32_e32 vcc_lo, 0, v8
	v_min_u32_e32 v5, 32, v5
	s_delay_alu instid0(VALU_DEP_1) | instskip(NEXT) | instid1(VALU_DEP_1)
	v_subrev_nc_u32_e32 v7, 28, v5
	v_dual_lshlrev_b32 v2, v7, v2 :: v_dual_sub_nc_u32 v5, 29, v5
	s_delay_alu instid0(VALU_DEP_1) | instskip(NEXT) | instid1(VALU_DEP_2)
	v_dual_lshlrev_b32 v3, 24, v3 :: v_dual_bitop2_b32 v2, 7, v2 bitop3:0x40
	v_cndmask_b32_e32 v5, v8, v5, vcc_lo
	s_delay_alu instid0(VALU_DEP_2) | instskip(NEXT) | instid1(VALU_DEP_3)
	v_cndmask_b32_e32 v2, v4, v2, vcc_lo
	v_and_b32_e32 v3, 0x80000000, v3
	s_delay_alu instid0(VALU_DEP_3) | instskip(NEXT) | instid1(VALU_DEP_3)
	v_lshl_add_u32 v4, v5, 23, 0x3b800000
	v_lshlrev_b32_e32 v2, 20, v2
	s_delay_alu instid0(VALU_DEP_1)
	v_or3_b32 v2, v3, v4, v2
.LBB102_819:
	s_or_b32 exec_lo, exec_lo, s30
.LBB102_820:
	s_mov_b32 s29, -1
.LBB102_821:
	s_mov_b32 s30, 0
.LBB102_822:
	s_delay_alu instid0(SALU_CYCLE_1)
	s_and_b32 vcc_lo, exec_lo, s30
	s_cbranch_vccz .LBB102_857
; %bb.823:
	s_cmp_gt_i32 s2, 22
	s_cbranch_scc0 .LBB102_833
; %bb.824:
	s_cmp_lt_i32 s2, 24
	s_cbranch_scc1 .LBB102_836
; %bb.825:
	s_cmp_gt_i32 s2, 24
	s_cbranch_scc0 .LBB102_837
; %bb.826:
	s_wait_loadcnt 0x0
	global_load_u8 v3, v[0:1], off
	s_mov_b32 s29, 0
	s_mov_b32 s30, exec_lo
	s_wait_loadcnt 0x0
	v_cmpx_lt_i16_e32 0x7f, v3
	s_xor_b32 s30, exec_lo, s30
	s_cbranch_execz .LBB102_849
; %bb.827:
	s_mov_b32 s29, -1
	s_mov_b32 s31, exec_lo
	v_cmpx_eq_u16_e32 0x80, v3
; %bb.828:
	s_xor_b32 s29, exec_lo, -1
; %bb.829:
	s_or_b32 exec_lo, exec_lo, s31
	s_delay_alu instid0(SALU_CYCLE_1)
	s_and_b32 s29, s29, exec_lo
	s_or_saveexec_b32 s30, s30
	v_mov_b32_e32 v2, 0x7f800001
	s_xor_b32 exec_lo, exec_lo, s30
	s_cbranch_execnz .LBB102_850
.LBB102_830:
	s_or_b32 exec_lo, exec_lo, s30
	s_and_saveexec_b32 s30, s29
	s_cbranch_execz .LBB102_832
.LBB102_831:
	v_and_b32_e32 v2, 0xffff, v3
	s_delay_alu instid0(VALU_DEP_1) | instskip(SKIP_1) | instid1(VALU_DEP_2)
	v_and_b32_e32 v4, 3, v2
	v_bfe_u32 v8, v2, 2, 5
	v_clz_i32_u32_e32 v5, v4
	s_delay_alu instid0(VALU_DEP_2) | instskip(NEXT) | instid1(VALU_DEP_2)
	v_cmp_eq_u32_e32 vcc_lo, 0, v8
	v_min_u32_e32 v5, 32, v5
	s_delay_alu instid0(VALU_DEP_1) | instskip(NEXT) | instid1(VALU_DEP_1)
	v_subrev_nc_u32_e32 v7, 29, v5
	v_dual_lshlrev_b32 v2, v7, v2 :: v_dual_sub_nc_u32 v5, 30, v5
	s_delay_alu instid0(VALU_DEP_1) | instskip(NEXT) | instid1(VALU_DEP_2)
	v_dual_lshlrev_b32 v3, 24, v3 :: v_dual_bitop2_b32 v2, 3, v2 bitop3:0x40
	v_cndmask_b32_e32 v5, v8, v5, vcc_lo
	s_delay_alu instid0(VALU_DEP_2) | instskip(NEXT) | instid1(VALU_DEP_3)
	v_cndmask_b32_e32 v2, v4, v2, vcc_lo
	v_and_b32_e32 v3, 0x80000000, v3
	s_delay_alu instid0(VALU_DEP_3) | instskip(NEXT) | instid1(VALU_DEP_3)
	v_lshl_add_u32 v4, v5, 23, 0x37800000
	v_lshlrev_b32_e32 v2, 21, v2
	s_delay_alu instid0(VALU_DEP_1)
	v_or3_b32 v2, v3, v4, v2
.LBB102_832:
	s_or_b32 exec_lo, exec_lo, s30
	s_mov_b32 s29, 0
	s_branch .LBB102_838
.LBB102_833:
	s_mov_b32 s30, -1
                                        ; implicit-def: $vgpr2
	s_branch .LBB102_844
.LBB102_834:
	s_or_saveexec_b32 s30, s30
	v_mov_b32_e32 v2, 0x7f800001
	s_xor_b32 exec_lo, exec_lo, s30
	s_cbranch_execz .LBB102_817
.LBB102_835:
	v_cmp_ne_u16_e32 vcc_lo, 0, v3
	v_mov_b32_e32 v2, 0
	s_and_not1_b32 s29, s29, exec_lo
	s_and_b32 s31, vcc_lo, exec_lo
	s_delay_alu instid0(SALU_CYCLE_1)
	s_or_b32 s29, s29, s31
	s_or_b32 exec_lo, exec_lo, s30
	s_and_saveexec_b32 s30, s29
	s_cbranch_execnz .LBB102_818
	s_branch .LBB102_819
.LBB102_836:
	s_mov_b32 s29, -1
                                        ; implicit-def: $vgpr2
	s_branch .LBB102_841
.LBB102_837:
	s_mov_b32 s29, -1
                                        ; implicit-def: $vgpr2
.LBB102_838:
	s_delay_alu instid0(SALU_CYCLE_1)
	s_and_b32 vcc_lo, exec_lo, s29
	s_cbranch_vccz .LBB102_840
; %bb.839:
	s_wait_loadcnt 0x0
	global_load_u8 v2, v[0:1], off
	s_wait_loadcnt 0x0
	v_lshlrev_b32_e32 v2, 24, v2
	s_delay_alu instid0(VALU_DEP_1) | instskip(NEXT) | instid1(VALU_DEP_1)
	v_and_b32_e32 v3, 0x7f000000, v2
	v_clz_i32_u32_e32 v4, v3
	v_add_nc_u32_e32 v7, 0x1000000, v3
	v_cmp_ne_u32_e32 vcc_lo, 0, v3
	s_delay_alu instid0(VALU_DEP_3) | instskip(NEXT) | instid1(VALU_DEP_1)
	v_min_u32_e32 v4, 32, v4
	v_sub_nc_u32_e64 v4, v4, 4 clamp
	s_delay_alu instid0(VALU_DEP_1) | instskip(NEXT) | instid1(VALU_DEP_1)
	v_dual_lshlrev_b32 v5, v4, v3 :: v_dual_lshlrev_b32 v4, 23, v4
	v_lshrrev_b32_e32 v5, 4, v5
	s_delay_alu instid0(VALU_DEP_1) | instskip(NEXT) | instid1(VALU_DEP_1)
	v_dual_sub_nc_u32 v4, v5, v4 :: v_dual_ashrrev_i32 v5, 8, v7
	v_add_nc_u32_e32 v4, 0x3c000000, v4
	s_delay_alu instid0(VALU_DEP_1) | instskip(NEXT) | instid1(VALU_DEP_1)
	v_and_or_b32 v4, 0x7f800000, v5, v4
	v_cndmask_b32_e32 v3, 0, v4, vcc_lo
	s_delay_alu instid0(VALU_DEP_1)
	v_and_or_b32 v2, 0x80000000, v2, v3
.LBB102_840:
	s_mov_b32 s29, 0
.LBB102_841:
	s_delay_alu instid0(SALU_CYCLE_1)
	s_and_not1_b32 vcc_lo, exec_lo, s29
	s_cbranch_vccnz .LBB102_843
; %bb.842:
	s_wait_loadcnt 0x0
	global_load_u8 v2, v[0:1], off
	s_wait_loadcnt 0x0
	v_lshlrev_b32_e32 v3, 25, v2
	v_lshlrev_b16 v2, 8, v2
	s_delay_alu instid0(VALU_DEP_1) | instskip(SKIP_1) | instid1(VALU_DEP_2)
	v_and_or_b32 v5, 0x7f00, v2, 0.5
	v_bfe_i32 v2, v2, 0, 16
	v_dual_add_f32 v5, -0.5, v5 :: v_dual_lshrrev_b32 v4, 4, v3
	v_cmp_gt_u32_e32 vcc_lo, 0x8000000, v3
	s_delay_alu instid0(VALU_DEP_2) | instskip(NEXT) | instid1(VALU_DEP_1)
	v_or_b32_e32 v4, 0x70000000, v4
	v_mul_f32_e32 v4, 0x7800000, v4
	s_delay_alu instid0(VALU_DEP_1) | instskip(NEXT) | instid1(VALU_DEP_1)
	v_cndmask_b32_e32 v3, v4, v5, vcc_lo
	v_and_or_b32 v2, 0x80000000, v2, v3
.LBB102_843:
	s_mov_b32 s30, 0
	s_mov_b32 s29, -1
.LBB102_844:
	s_and_not1_b32 vcc_lo, exec_lo, s30
	s_cbranch_vccnz .LBB102_857
; %bb.845:
	s_cmp_gt_i32 s2, 14
	s_cbranch_scc0 .LBB102_848
; %bb.846:
	s_cmp_eq_u32 s2, 15
	s_cbranch_scc0 .LBB102_851
; %bb.847:
	s_wait_loadcnt 0x0
	global_load_u16 v2, v[0:1], off
	s_mov_b32 s29, -1
	s_mov_b32 s28, 0
	s_wait_loadcnt 0x0
	v_lshlrev_b32_e32 v2, 16, v2
	s_branch .LBB102_852
.LBB102_848:
	s_mov_b32 s30, -1
                                        ; implicit-def: $vgpr2
	s_branch .LBB102_853
.LBB102_849:
	s_or_saveexec_b32 s30, s30
	v_mov_b32_e32 v2, 0x7f800001
	s_xor_b32 exec_lo, exec_lo, s30
	s_cbranch_execz .LBB102_830
.LBB102_850:
	v_cmp_ne_u16_e32 vcc_lo, 0, v3
	v_mov_b32_e32 v2, 0
	s_and_not1_b32 s29, s29, exec_lo
	s_and_b32 s31, vcc_lo, exec_lo
	s_delay_alu instid0(SALU_CYCLE_1)
	s_or_b32 s29, s29, s31
	s_or_b32 exec_lo, exec_lo, s30
	s_and_saveexec_b32 s30, s29
	s_cbranch_execnz .LBB102_831
	s_branch .LBB102_832
.LBB102_851:
	s_mov_b32 s28, -1
                                        ; implicit-def: $vgpr2
.LBB102_852:
	s_mov_b32 s30, 0
.LBB102_853:
	s_delay_alu instid0(SALU_CYCLE_1)
	s_and_b32 vcc_lo, exec_lo, s30
	s_cbranch_vccz .LBB102_857
; %bb.854:
	s_cmp_eq_u32 s2, 11
	s_cbranch_scc0 .LBB102_856
; %bb.855:
	s_wait_loadcnt 0x0
	global_load_u8 v2, v[0:1], off
	s_mov_b32 s28, 0
	s_mov_b32 s29, -1
	s_wait_loadcnt 0x0
	v_cmp_ne_u16_e32 vcc_lo, 0, v2
	v_cndmask_b32_e64 v2, 0, 1.0, vcc_lo
	s_branch .LBB102_857
.LBB102_856:
	s_mov_b32 s28, -1
                                        ; implicit-def: $vgpr2
.LBB102_857:
	s_mov_b32 s2, 0
.LBB102_858:
	s_delay_alu instid0(SALU_CYCLE_1)
	s_and_b32 vcc_lo, exec_lo, s2
	s_cbranch_vccz .LBB102_907
; %bb.859:
	s_and_b32 s1, 0xffff, s1
	s_delay_alu instid0(SALU_CYCLE_1)
	s_cmp_lt_i32 s1, 5
	s_cbranch_scc1 .LBB102_864
; %bb.860:
	s_cmp_lt_i32 s1, 8
	s_cbranch_scc1 .LBB102_865
; %bb.861:
	;; [unrolled: 3-line block ×3, first 2 shown]
	s_cmp_gt_i32 s1, 9
	s_cbranch_scc0 .LBB102_867
; %bb.863:
	s_wait_loadcnt 0x0
	global_load_b64 v[2:3], v[0:1], off
	s_mov_b32 s2, 0
	s_wait_loadcnt 0x0
	v_cvt_f32_f64_e32 v2, v[2:3]
	s_branch .LBB102_868
.LBB102_864:
	s_mov_b32 s2, -1
                                        ; implicit-def: $vgpr2
	s_branch .LBB102_886
.LBB102_865:
	s_mov_b32 s2, -1
                                        ; implicit-def: $vgpr2
	s_branch .LBB102_874
.LBB102_866:
	s_mov_b32 s2, -1
                                        ; implicit-def: $vgpr2
	s_branch .LBB102_871
.LBB102_867:
	s_mov_b32 s2, -1
                                        ; implicit-def: $vgpr2
.LBB102_868:
	s_delay_alu instid0(SALU_CYCLE_1)
	s_and_not1_b32 vcc_lo, exec_lo, s2
	s_cbranch_vccnz .LBB102_870
; %bb.869:
	s_wait_loadcnt 0x0
	global_load_b32 v2, v[0:1], off
.LBB102_870:
	s_mov_b32 s2, 0
.LBB102_871:
	s_delay_alu instid0(SALU_CYCLE_1)
	s_and_not1_b32 vcc_lo, exec_lo, s2
	s_cbranch_vccnz .LBB102_873
; %bb.872:
	s_wait_loadcnt 0x0
	global_load_b32 v2, v[0:1], off
	s_wait_loadcnt 0x0
	v_cvt_f32_f16_e32 v2, v2
.LBB102_873:
	s_mov_b32 s2, 0
.LBB102_874:
	s_delay_alu instid0(SALU_CYCLE_1)
	s_and_not1_b32 vcc_lo, exec_lo, s2
	s_cbranch_vccnz .LBB102_885
; %bb.875:
	s_cmp_lt_i32 s1, 6
	s_cbranch_scc1 .LBB102_878
; %bb.876:
	s_cmp_gt_i32 s1, 6
	s_cbranch_scc0 .LBB102_879
; %bb.877:
	s_wait_loadcnt 0x0
	global_load_b64 v[2:3], v[0:1], off
	s_mov_b32 s2, 0
	s_wait_loadcnt 0x0
	v_cvt_f32_f64_e32 v2, v[2:3]
	s_branch .LBB102_880
.LBB102_878:
	s_mov_b32 s2, -1
                                        ; implicit-def: $vgpr2
	s_branch .LBB102_883
.LBB102_879:
	s_mov_b32 s2, -1
                                        ; implicit-def: $vgpr2
.LBB102_880:
	s_delay_alu instid0(SALU_CYCLE_1)
	s_and_not1_b32 vcc_lo, exec_lo, s2
	s_cbranch_vccnz .LBB102_882
; %bb.881:
	s_wait_loadcnt 0x0
	global_load_b32 v2, v[0:1], off
.LBB102_882:
	s_mov_b32 s2, 0
.LBB102_883:
	s_delay_alu instid0(SALU_CYCLE_1)
	s_and_not1_b32 vcc_lo, exec_lo, s2
	s_cbranch_vccnz .LBB102_885
; %bb.884:
	s_wait_loadcnt 0x0
	global_load_u16 v2, v[0:1], off
	s_wait_loadcnt 0x0
	v_cvt_f32_f16_e32 v2, v2
.LBB102_885:
	s_mov_b32 s2, 0
.LBB102_886:
	s_delay_alu instid0(SALU_CYCLE_1)
	s_and_not1_b32 vcc_lo, exec_lo, s2
	s_cbranch_vccnz .LBB102_906
; %bb.887:
	s_cmp_lt_i32 s1, 2
	s_cbranch_scc1 .LBB102_891
; %bb.888:
	s_cmp_lt_i32 s1, 3
	s_cbranch_scc1 .LBB102_892
; %bb.889:
	s_cmp_gt_i32 s1, 3
	s_cbranch_scc0 .LBB102_893
; %bb.890:
	s_wait_loadcnt 0x0
	global_load_b64 v[2:3], v[0:1], off
	s_mov_b32 s2, 0
	s_wait_loadcnt 0x0
	v_xor_b32_e32 v4, v2, v3
	v_cls_i32_e32 v5, v3
	s_delay_alu instid0(VALU_DEP_2) | instskip(NEXT) | instid1(VALU_DEP_1)
	v_ashrrev_i32_e32 v4, 31, v4
	v_add_nc_u32_e32 v4, 32, v4
	s_delay_alu instid0(VALU_DEP_1) | instskip(NEXT) | instid1(VALU_DEP_1)
	v_add_min_u32_e64 v4, v5, -1, v4
	v_lshlrev_b64_e32 v[2:3], v4, v[2:3]
	s_delay_alu instid0(VALU_DEP_1) | instskip(NEXT) | instid1(VALU_DEP_1)
	v_min_u32_e32 v2, 1, v2
	v_dual_sub_nc_u32 v3, 32, v4 :: v_dual_bitop2_b32 v2, v3, v2 bitop3:0x54
	s_delay_alu instid0(VALU_DEP_1) | instskip(NEXT) | instid1(VALU_DEP_1)
	v_cvt_f32_i32_e32 v2, v2
	v_ldexp_f32 v2, v2, v3
	s_branch .LBB102_894
.LBB102_891:
	s_mov_b32 s2, -1
                                        ; implicit-def: $vgpr2
	s_branch .LBB102_900
.LBB102_892:
	s_mov_b32 s2, -1
                                        ; implicit-def: $vgpr2
	s_branch .LBB102_897
.LBB102_893:
	s_mov_b32 s2, -1
                                        ; implicit-def: $vgpr2
.LBB102_894:
	s_delay_alu instid0(SALU_CYCLE_1)
	s_and_not1_b32 vcc_lo, exec_lo, s2
	s_cbranch_vccnz .LBB102_896
; %bb.895:
	s_wait_loadcnt 0x0
	global_load_b32 v2, v[0:1], off
	s_wait_loadcnt 0x0
	v_cvt_f32_i32_e32 v2, v2
.LBB102_896:
	s_mov_b32 s2, 0
.LBB102_897:
	s_delay_alu instid0(SALU_CYCLE_1)
	s_and_not1_b32 vcc_lo, exec_lo, s2
	s_cbranch_vccnz .LBB102_899
; %bb.898:
	s_wait_loadcnt 0x0
	global_load_i16 v2, v[0:1], off
	s_wait_loadcnt 0x0
	v_cvt_f32_i32_e32 v2, v2
.LBB102_899:
	s_mov_b32 s2, 0
.LBB102_900:
	s_delay_alu instid0(SALU_CYCLE_1)
	s_and_not1_b32 vcc_lo, exec_lo, s2
	s_cbranch_vccnz .LBB102_906
; %bb.901:
	s_cmp_gt_i32 s1, 0
	s_mov_b32 s1, 0
	s_cbranch_scc0 .LBB102_903
; %bb.902:
	s_wait_loadcnt 0x0
	global_load_i8 v2, v[0:1], off
	s_wait_loadcnt 0x0
	v_cvt_f32_i32_e32 v2, v2
	s_branch .LBB102_904
.LBB102_903:
	s_mov_b32 s1, -1
                                        ; implicit-def: $vgpr2
.LBB102_904:
	s_delay_alu instid0(SALU_CYCLE_1)
	s_and_not1_b32 vcc_lo, exec_lo, s1
	s_cbranch_vccnz .LBB102_906
; %bb.905:
	global_load_u8 v0, v[0:1], off
	s_wait_loadcnt 0x0
	v_cvt_f32_ubyte0_e32 v2, v0
.LBB102_906:
	s_mov_b32 s29, -1
.LBB102_907:
	s_delay_alu instid0(SALU_CYCLE_1)
	s_and_not1_b32 vcc_lo, exec_lo, s29
	s_cbranch_vccnz .LBB102_915
; %bb.908:
	s_wait_xcnt 0x0
	v_mul_lo_u32 v0, v6, s10
	s_and_b32 s1, s14, 0xff
	s_delay_alu instid0(SALU_CYCLE_1) | instskip(NEXT) | instid1(VALU_DEP_1)
	s_cmp_lt_i32 s1, 11
	v_ashrrev_i32_e32 v1, 31, v0
	s_delay_alu instid0(VALU_DEP_1)
	v_add_nc_u64_e32 v[0:1], s[12:13], v[0:1]
	s_cbranch_scc1 .LBB102_916
; %bb.909:
	s_and_b32 s2, 0xffff, s1
	s_delay_alu instid0(SALU_CYCLE_1)
	s_cmp_gt_i32 s2, 25
	s_cbranch_scc0 .LBB102_917
; %bb.910:
	s_cmp_gt_i32 s2, 28
	s_cbranch_scc0 .LBB102_918
; %bb.911:
	;; [unrolled: 3-line block ×4, first 2 shown]
	s_cmp_eq_u32 s2, 46
	s_mov_b32 s31, 0
	s_cbranch_scc0 .LBB102_923
; %bb.914:
	s_wait_loadcnt 0x0
	global_load_b32 v3, v[0:1], off
	s_mov_b32 s30, -1
	s_mov_b32 s29, 0
	s_wait_loadcnt 0x0
	v_lshlrev_b32_e32 v3, 16, v3
	s_branch .LBB102_925
.LBB102_915:
	s_mov_b32 s31, 0
	s_mov_b32 s2, s24
	;; [unrolled: 1-line block ×3, first 2 shown]
	s_branch .LBB102_1164
.LBB102_916:
	s_mov_b32 s2, -1
	s_mov_b32 s30, 0
	s_mov_b32 s29, s25
                                        ; implicit-def: $vgpr3
	s_branch .LBB102_990
.LBB102_917:
	s_mov_b32 s31, -1
	s_mov_b32 s30, 0
	s_mov_b32 s29, s25
                                        ; implicit-def: $vgpr3
	s_branch .LBB102_954
.LBB102_918:
	s_mov_b32 s31, -1
	s_mov_b32 s30, 0
	s_mov_b32 s29, s25
                                        ; implicit-def: $vgpr3
	s_branch .LBB102_935
.LBB102_919:
	s_mov_b32 s31, -1
	s_mov_b32 s30, 0
	s_mov_b32 s29, s25
                                        ; implicit-def: $vgpr3
	s_branch .LBB102_930
.LBB102_920:
	s_mov_b32 s31, -1
	s_mov_b32 s30, 0
	s_mov_b32 s29, s25
	s_branch .LBB102_924
.LBB102_921:
	s_and_not1_saveexec_b32 s30, s30
	s_cbranch_execz .LBB102_696
.LBB102_922:
	v_add_f32_e32 v2, 0x42800000, v3
	s_and_not1_b32 s29, s29, exec_lo
	s_delay_alu instid0(VALU_DEP_1) | instskip(NEXT) | instid1(VALU_DEP_1)
	v_and_b32_e32 v2, 0xff, v2
	v_cmp_ne_u32_e32 vcc_lo, 0, v2
	s_and_b32 s31, vcc_lo, exec_lo
	s_delay_alu instid0(SALU_CYCLE_1)
	s_or_b32 s29, s29, s31
	s_or_b32 exec_lo, exec_lo, s30
	v_mov_b32_e32 v4, 0
	s_and_saveexec_b32 s30, s29
	s_cbranch_execnz .LBB102_697
	s_branch .LBB102_698
.LBB102_923:
	s_mov_b32 s29, -1
	s_mov_b32 s30, 0
.LBB102_924:
                                        ; implicit-def: $vgpr3
.LBB102_925:
	s_and_b32 vcc_lo, exec_lo, s31
	s_cbranch_vccz .LBB102_929
; %bb.926:
	s_cmp_eq_u32 s2, 44
	s_cbranch_scc0 .LBB102_928
; %bb.927:
	s_wait_loadcnt 0x0
	global_load_u8 v3, v[0:1], off
	s_mov_b32 s29, 0
	s_mov_b32 s30, -1
	s_wait_loadcnt 0x0
	v_lshlrev_b32_e32 v4, 23, v3
	v_cmp_ne_u32_e32 vcc_lo, 0xff, v3
	s_delay_alu instid0(VALU_DEP_2) | instskip(SKIP_1) | instid1(VALU_DEP_2)
	v_cndmask_b32_e32 v4, 0x7f800001, v4, vcc_lo
	v_cmp_ne_u32_e32 vcc_lo, 0, v3
	v_cndmask_b32_e32 v3, 0x400000, v4, vcc_lo
	s_branch .LBB102_929
.LBB102_928:
	s_mov_b32 s29, -1
                                        ; implicit-def: $vgpr3
.LBB102_929:
	s_mov_b32 s31, 0
.LBB102_930:
	s_delay_alu instid0(SALU_CYCLE_1)
	s_and_b32 vcc_lo, exec_lo, s31
	s_cbranch_vccz .LBB102_934
; %bb.931:
	s_cmp_eq_u32 s2, 29
	s_cbranch_scc0 .LBB102_933
; %bb.932:
	global_load_b64 v[4:5], v[0:1], off
	s_mov_b32 s30, -1
	s_mov_b32 s29, 0
	s_mov_b32 s31, 0
	s_wait_loadcnt 0x0
	v_clz_i32_u32_e32 v3, v5
	s_delay_alu instid0(VALU_DEP_1) | instskip(NEXT) | instid1(VALU_DEP_1)
	v_min_u32_e32 v3, 32, v3
	v_lshlrev_b64_e32 v[4:5], v3, v[4:5]
	v_sub_nc_u32_e32 v3, 32, v3
	s_delay_alu instid0(VALU_DEP_2) | instskip(NEXT) | instid1(VALU_DEP_1)
	v_min_u32_e32 v4, 1, v4
	v_or_b32_e32 v4, v5, v4
	s_delay_alu instid0(VALU_DEP_1) | instskip(NEXT) | instid1(VALU_DEP_1)
	v_cvt_f32_u32_e32 v4, v4
	v_ldexp_f32 v3, v4, v3
	s_branch .LBB102_935
.LBB102_933:
	s_mov_b32 s29, -1
                                        ; implicit-def: $vgpr3
.LBB102_934:
	s_mov_b32 s31, 0
.LBB102_935:
	s_delay_alu instid0(SALU_CYCLE_1)
	s_and_b32 vcc_lo, exec_lo, s31
	s_cbranch_vccz .LBB102_953
; %bb.936:
	s_cmp_lt_i32 s2, 27
	s_cbranch_scc1 .LBB102_939
; %bb.937:
	s_cmp_gt_i32 s2, 27
	s_cbranch_scc0 .LBB102_940
; %bb.938:
	s_wait_loadcnt 0x0
	global_load_b32 v3, v[0:1], off
	s_mov_b32 s30, 0
	s_wait_loadcnt 0x0
	v_cvt_f32_u32_e32 v3, v3
	s_branch .LBB102_941
.LBB102_939:
	s_mov_b32 s30, -1
                                        ; implicit-def: $vgpr3
	s_branch .LBB102_944
.LBB102_940:
	s_mov_b32 s30, -1
                                        ; implicit-def: $vgpr3
.LBB102_941:
	s_delay_alu instid0(SALU_CYCLE_1)
	s_and_not1_b32 vcc_lo, exec_lo, s30
	s_cbranch_vccnz .LBB102_943
; %bb.942:
	s_wait_loadcnt 0x0
	global_load_u16 v3, v[0:1], off
	s_wait_loadcnt 0x0
	v_cvt_f32_u32_e32 v3, v3
.LBB102_943:
	s_mov_b32 s30, 0
.LBB102_944:
	s_delay_alu instid0(SALU_CYCLE_1)
	s_and_not1_b32 vcc_lo, exec_lo, s30
	s_cbranch_vccnz .LBB102_952
; %bb.945:
	global_load_u8 v4, v[0:1], off
	s_mov_b32 s30, 0
	s_mov_b32 s31, exec_lo
	s_wait_loadcnt 0x0
	v_cmpx_lt_i16_e32 0x7f, v4
	s_xor_b32 s31, exec_lo, s31
	s_cbranch_execz .LBB102_966
; %bb.946:
	s_mov_b32 s30, -1
	s_mov_b32 s33, exec_lo
	v_cmpx_eq_u16_e32 0x80, v4
; %bb.947:
	s_xor_b32 s30, exec_lo, -1
; %bb.948:
	s_or_b32 exec_lo, exec_lo, s33
	s_delay_alu instid0(SALU_CYCLE_1)
	s_and_b32 s30, s30, exec_lo
	s_or_saveexec_b32 s31, s31
	v_mov_b32_e32 v3, 0x7f800001
	s_xor_b32 exec_lo, exec_lo, s31
	s_cbranch_execnz .LBB102_967
.LBB102_949:
	s_or_b32 exec_lo, exec_lo, s31
	s_and_saveexec_b32 s31, s30
	s_cbranch_execz .LBB102_951
.LBB102_950:
	v_and_b32_e32 v3, 0xffff, v4
	s_delay_alu instid0(VALU_DEP_1) | instskip(SKIP_1) | instid1(VALU_DEP_2)
	v_dual_lshlrev_b32 v4, 24, v4 :: v_dual_bitop2_b32 v5, 7, v3 bitop3:0x40
	v_bfe_u32 v9, v3, 3, 4
	v_and_b32_e32 v4, 0x80000000, v4
	s_delay_alu instid0(VALU_DEP_3) | instskip(NEXT) | instid1(VALU_DEP_3)
	v_clz_i32_u32_e32 v7, v5
	v_cmp_eq_u32_e32 vcc_lo, 0, v9
	s_delay_alu instid0(VALU_DEP_2) | instskip(NEXT) | instid1(VALU_DEP_1)
	v_min_u32_e32 v7, 32, v7
	v_subrev_nc_u32_e32 v8, 28, v7
	v_sub_nc_u32_e32 v7, 29, v7
	s_delay_alu instid0(VALU_DEP_2) | instskip(NEXT) | instid1(VALU_DEP_2)
	v_lshlrev_b32_e32 v3, v8, v3
	v_cndmask_b32_e32 v7, v9, v7, vcc_lo
	s_delay_alu instid0(VALU_DEP_2) | instskip(NEXT) | instid1(VALU_DEP_1)
	v_and_b32_e32 v3, 7, v3
	v_cndmask_b32_e32 v3, v5, v3, vcc_lo
	s_delay_alu instid0(VALU_DEP_3) | instskip(NEXT) | instid1(VALU_DEP_2)
	v_lshl_add_u32 v5, v7, 23, 0x3b800000
	v_lshlrev_b32_e32 v3, 20, v3
	s_delay_alu instid0(VALU_DEP_1)
	v_or3_b32 v3, v4, v5, v3
.LBB102_951:
	s_or_b32 exec_lo, exec_lo, s31
.LBB102_952:
	s_mov_b32 s30, -1
.LBB102_953:
	s_mov_b32 s31, 0
.LBB102_954:
	s_delay_alu instid0(SALU_CYCLE_1)
	s_and_b32 vcc_lo, exec_lo, s31
	s_cbranch_vccz .LBB102_989
; %bb.955:
	s_cmp_gt_i32 s2, 22
	s_cbranch_scc0 .LBB102_965
; %bb.956:
	s_cmp_lt_i32 s2, 24
	s_cbranch_scc1 .LBB102_968
; %bb.957:
	s_cmp_gt_i32 s2, 24
	s_cbranch_scc0 .LBB102_969
; %bb.958:
	global_load_u8 v4, v[0:1], off
	s_mov_b32 s30, 0
	s_mov_b32 s31, exec_lo
	s_wait_loadcnt 0x0
	v_cmpx_lt_i16_e32 0x7f, v4
	s_xor_b32 s31, exec_lo, s31
	s_cbranch_execz .LBB102_981
; %bb.959:
	s_mov_b32 s30, -1
	s_mov_b32 s33, exec_lo
	v_cmpx_eq_u16_e32 0x80, v4
; %bb.960:
	s_xor_b32 s30, exec_lo, -1
; %bb.961:
	s_or_b32 exec_lo, exec_lo, s33
	s_delay_alu instid0(SALU_CYCLE_1)
	s_and_b32 s30, s30, exec_lo
	s_or_saveexec_b32 s31, s31
	v_mov_b32_e32 v3, 0x7f800001
	s_xor_b32 exec_lo, exec_lo, s31
	s_cbranch_execnz .LBB102_982
.LBB102_962:
	s_or_b32 exec_lo, exec_lo, s31
	s_and_saveexec_b32 s31, s30
	s_cbranch_execz .LBB102_964
.LBB102_963:
	v_and_b32_e32 v3, 0xffff, v4
	s_delay_alu instid0(VALU_DEP_1) | instskip(SKIP_1) | instid1(VALU_DEP_2)
	v_dual_lshlrev_b32 v4, 24, v4 :: v_dual_bitop2_b32 v5, 3, v3 bitop3:0x40
	v_bfe_u32 v9, v3, 2, 5
	v_and_b32_e32 v4, 0x80000000, v4
	s_delay_alu instid0(VALU_DEP_3) | instskip(NEXT) | instid1(VALU_DEP_3)
	v_clz_i32_u32_e32 v7, v5
	v_cmp_eq_u32_e32 vcc_lo, 0, v9
	s_delay_alu instid0(VALU_DEP_2) | instskip(NEXT) | instid1(VALU_DEP_1)
	v_min_u32_e32 v7, 32, v7
	v_subrev_nc_u32_e32 v8, 29, v7
	v_sub_nc_u32_e32 v7, 30, v7
	s_delay_alu instid0(VALU_DEP_2) | instskip(NEXT) | instid1(VALU_DEP_2)
	v_lshlrev_b32_e32 v3, v8, v3
	v_cndmask_b32_e32 v7, v9, v7, vcc_lo
	s_delay_alu instid0(VALU_DEP_2) | instskip(NEXT) | instid1(VALU_DEP_1)
	v_and_b32_e32 v3, 3, v3
	v_cndmask_b32_e32 v3, v5, v3, vcc_lo
	s_delay_alu instid0(VALU_DEP_3) | instskip(NEXT) | instid1(VALU_DEP_2)
	v_lshl_add_u32 v5, v7, 23, 0x37800000
	v_lshlrev_b32_e32 v3, 21, v3
	s_delay_alu instid0(VALU_DEP_1)
	v_or3_b32 v3, v4, v5, v3
.LBB102_964:
	s_or_b32 exec_lo, exec_lo, s31
	s_mov_b32 s30, 0
	s_branch .LBB102_970
.LBB102_965:
	s_mov_b32 s31, -1
                                        ; implicit-def: $vgpr3
	s_branch .LBB102_976
.LBB102_966:
	s_or_saveexec_b32 s31, s31
	v_mov_b32_e32 v3, 0x7f800001
	s_xor_b32 exec_lo, exec_lo, s31
	s_cbranch_execz .LBB102_949
.LBB102_967:
	v_cmp_ne_u16_e32 vcc_lo, 0, v4
	v_mov_b32_e32 v3, 0
	s_and_not1_b32 s30, s30, exec_lo
	s_and_b32 s33, vcc_lo, exec_lo
	s_delay_alu instid0(SALU_CYCLE_1)
	s_or_b32 s30, s30, s33
	s_or_b32 exec_lo, exec_lo, s31
	s_and_saveexec_b32 s31, s30
	s_cbranch_execnz .LBB102_950
	s_branch .LBB102_951
.LBB102_968:
	s_mov_b32 s30, -1
                                        ; implicit-def: $vgpr3
	s_branch .LBB102_973
.LBB102_969:
	s_mov_b32 s30, -1
                                        ; implicit-def: $vgpr3
.LBB102_970:
	s_delay_alu instid0(SALU_CYCLE_1)
	s_and_b32 vcc_lo, exec_lo, s30
	s_cbranch_vccz .LBB102_972
; %bb.971:
	s_wait_loadcnt 0x0
	global_load_u8 v3, v[0:1], off
	s_wait_loadcnt 0x0
	v_lshlrev_b32_e32 v3, 24, v3
	s_delay_alu instid0(VALU_DEP_1) | instskip(NEXT) | instid1(VALU_DEP_1)
	v_and_b32_e32 v4, 0x7f000000, v3
	v_clz_i32_u32_e32 v5, v4
	v_add_nc_u32_e32 v8, 0x1000000, v4
	v_cmp_ne_u32_e32 vcc_lo, 0, v4
	s_delay_alu instid0(VALU_DEP_3) | instskip(NEXT) | instid1(VALU_DEP_1)
	v_min_u32_e32 v5, 32, v5
	v_sub_nc_u32_e64 v5, v5, 4 clamp
	s_delay_alu instid0(VALU_DEP_1) | instskip(NEXT) | instid1(VALU_DEP_1)
	v_dual_lshlrev_b32 v7, v5, v4 :: v_dual_lshlrev_b32 v5, 23, v5
	v_lshrrev_b32_e32 v7, 4, v7
	s_delay_alu instid0(VALU_DEP_1) | instskip(NEXT) | instid1(VALU_DEP_1)
	v_dual_sub_nc_u32 v5, v7, v5 :: v_dual_ashrrev_i32 v7, 8, v8
	v_add_nc_u32_e32 v5, 0x3c000000, v5
	s_delay_alu instid0(VALU_DEP_1) | instskip(NEXT) | instid1(VALU_DEP_1)
	v_and_or_b32 v5, 0x7f800000, v7, v5
	v_cndmask_b32_e32 v4, 0, v5, vcc_lo
	s_delay_alu instid0(VALU_DEP_1)
	v_and_or_b32 v3, 0x80000000, v3, v4
.LBB102_972:
	s_mov_b32 s30, 0
.LBB102_973:
	s_delay_alu instid0(SALU_CYCLE_1)
	s_and_not1_b32 vcc_lo, exec_lo, s30
	s_cbranch_vccnz .LBB102_975
; %bb.974:
	s_wait_loadcnt 0x0
	global_load_u8 v3, v[0:1], off
	s_wait_loadcnt 0x0
	v_lshlrev_b32_e32 v4, 25, v3
	v_lshlrev_b16 v3, 8, v3
	s_delay_alu instid0(VALU_DEP_1) | instskip(NEXT) | instid1(VALU_DEP_3)
	v_and_or_b32 v7, 0x7f00, v3, 0.5
	v_lshrrev_b32_e32 v5, 4, v4
	v_bfe_i32 v3, v3, 0, 16
	s_delay_alu instid0(VALU_DEP_3) | instskip(NEXT) | instid1(VALU_DEP_3)
	v_add_f32_e32 v7, -0.5, v7
	v_or_b32_e32 v5, 0x70000000, v5
	s_delay_alu instid0(VALU_DEP_1) | instskip(SKIP_1) | instid1(VALU_DEP_2)
	v_mul_f32_e32 v5, 0x7800000, v5
	v_cmp_gt_u32_e32 vcc_lo, 0x8000000, v4
	v_cndmask_b32_e32 v4, v5, v7, vcc_lo
	s_delay_alu instid0(VALU_DEP_1)
	v_and_or_b32 v3, 0x80000000, v3, v4
.LBB102_975:
	s_mov_b32 s31, 0
	s_mov_b32 s30, -1
.LBB102_976:
	s_and_not1_b32 vcc_lo, exec_lo, s31
	s_cbranch_vccnz .LBB102_989
; %bb.977:
	s_cmp_gt_i32 s2, 14
	s_cbranch_scc0 .LBB102_980
; %bb.978:
	s_cmp_eq_u32 s2, 15
	s_cbranch_scc0 .LBB102_983
; %bb.979:
	s_wait_loadcnt 0x0
	global_load_u16 v3, v[0:1], off
	s_mov_b32 s30, -1
	s_mov_b32 s29, 0
	s_wait_loadcnt 0x0
	v_lshlrev_b32_e32 v3, 16, v3
	s_branch .LBB102_984
.LBB102_980:
	s_mov_b32 s31, -1
                                        ; implicit-def: $vgpr3
	s_branch .LBB102_985
.LBB102_981:
	s_or_saveexec_b32 s31, s31
	v_mov_b32_e32 v3, 0x7f800001
	s_xor_b32 exec_lo, exec_lo, s31
	s_cbranch_execz .LBB102_962
.LBB102_982:
	v_cmp_ne_u16_e32 vcc_lo, 0, v4
	v_mov_b32_e32 v3, 0
	s_and_not1_b32 s30, s30, exec_lo
	s_and_b32 s33, vcc_lo, exec_lo
	s_delay_alu instid0(SALU_CYCLE_1)
	s_or_b32 s30, s30, s33
	s_or_b32 exec_lo, exec_lo, s31
	s_and_saveexec_b32 s31, s30
	s_cbranch_execnz .LBB102_963
	s_branch .LBB102_964
.LBB102_983:
	s_mov_b32 s29, -1
                                        ; implicit-def: $vgpr3
.LBB102_984:
	s_mov_b32 s31, 0
.LBB102_985:
	s_delay_alu instid0(SALU_CYCLE_1)
	s_and_b32 vcc_lo, exec_lo, s31
	s_cbranch_vccz .LBB102_989
; %bb.986:
	s_cmp_eq_u32 s2, 11
	s_cbranch_scc0 .LBB102_988
; %bb.987:
	s_wait_loadcnt 0x0
	global_load_u8 v3, v[0:1], off
	s_mov_b32 s29, 0
	s_mov_b32 s30, -1
	s_wait_loadcnt 0x0
	v_cmp_ne_u16_e32 vcc_lo, 0, v3
	v_cndmask_b32_e64 v3, 0, 1.0, vcc_lo
	s_branch .LBB102_989
.LBB102_988:
	s_mov_b32 s29, -1
                                        ; implicit-def: $vgpr3
.LBB102_989:
	s_mov_b32 s2, 0
.LBB102_990:
	s_delay_alu instid0(SALU_CYCLE_1)
	s_and_b32 vcc_lo, exec_lo, s2
	s_cbranch_vccz .LBB102_1039
; %bb.991:
	s_and_b32 s1, 0xffff, s1
	s_delay_alu instid0(SALU_CYCLE_1)
	s_cmp_lt_i32 s1, 5
	s_cbranch_scc1 .LBB102_996
; %bb.992:
	s_cmp_lt_i32 s1, 8
	s_cbranch_scc1 .LBB102_997
; %bb.993:
	;; [unrolled: 3-line block ×3, first 2 shown]
	s_cmp_gt_i32 s1, 9
	s_cbranch_scc0 .LBB102_999
; %bb.995:
	global_load_b64 v[4:5], v[0:1], off
	s_mov_b32 s2, 0
	s_wait_loadcnt 0x0
	v_cvt_f32_f64_e32 v3, v[4:5]
	s_branch .LBB102_1000
.LBB102_996:
	s_mov_b32 s2, -1
                                        ; implicit-def: $vgpr3
	s_branch .LBB102_1018
.LBB102_997:
	s_mov_b32 s2, -1
                                        ; implicit-def: $vgpr3
	s_branch .LBB102_1006
.LBB102_998:
	s_mov_b32 s2, -1
                                        ; implicit-def: $vgpr3
	s_branch .LBB102_1003
.LBB102_999:
	s_mov_b32 s2, -1
                                        ; implicit-def: $vgpr3
.LBB102_1000:
	s_delay_alu instid0(SALU_CYCLE_1)
	s_and_not1_b32 vcc_lo, exec_lo, s2
	s_cbranch_vccnz .LBB102_1002
; %bb.1001:
	s_wait_loadcnt 0x0
	global_load_b32 v3, v[0:1], off
.LBB102_1002:
	s_mov_b32 s2, 0
.LBB102_1003:
	s_delay_alu instid0(SALU_CYCLE_1)
	s_and_not1_b32 vcc_lo, exec_lo, s2
	s_cbranch_vccnz .LBB102_1005
; %bb.1004:
	s_wait_loadcnt 0x0
	global_load_b32 v3, v[0:1], off
	s_wait_loadcnt 0x0
	v_cvt_f32_f16_e32 v3, v3
.LBB102_1005:
	s_mov_b32 s2, 0
.LBB102_1006:
	s_delay_alu instid0(SALU_CYCLE_1)
	s_and_not1_b32 vcc_lo, exec_lo, s2
	s_cbranch_vccnz .LBB102_1017
; %bb.1007:
	s_cmp_lt_i32 s1, 6
	s_cbranch_scc1 .LBB102_1010
; %bb.1008:
	s_cmp_gt_i32 s1, 6
	s_cbranch_scc0 .LBB102_1011
; %bb.1009:
	global_load_b64 v[4:5], v[0:1], off
	s_mov_b32 s2, 0
	s_wait_loadcnt 0x0
	v_cvt_f32_f64_e32 v3, v[4:5]
	s_branch .LBB102_1012
.LBB102_1010:
	s_mov_b32 s2, -1
                                        ; implicit-def: $vgpr3
	s_branch .LBB102_1015
.LBB102_1011:
	s_mov_b32 s2, -1
                                        ; implicit-def: $vgpr3
.LBB102_1012:
	s_delay_alu instid0(SALU_CYCLE_1)
	s_and_not1_b32 vcc_lo, exec_lo, s2
	s_cbranch_vccnz .LBB102_1014
; %bb.1013:
	s_wait_loadcnt 0x0
	global_load_b32 v3, v[0:1], off
.LBB102_1014:
	s_mov_b32 s2, 0
.LBB102_1015:
	s_delay_alu instid0(SALU_CYCLE_1)
	s_and_not1_b32 vcc_lo, exec_lo, s2
	s_cbranch_vccnz .LBB102_1017
; %bb.1016:
	s_wait_loadcnt 0x0
	global_load_u16 v3, v[0:1], off
	s_wait_loadcnt 0x0
	v_cvt_f32_f16_e32 v3, v3
.LBB102_1017:
	s_mov_b32 s2, 0
.LBB102_1018:
	s_delay_alu instid0(SALU_CYCLE_1)
	s_and_not1_b32 vcc_lo, exec_lo, s2
	s_cbranch_vccnz .LBB102_1038
; %bb.1019:
	s_cmp_lt_i32 s1, 2
	s_cbranch_scc1 .LBB102_1023
; %bb.1020:
	s_cmp_lt_i32 s1, 3
	s_cbranch_scc1 .LBB102_1024
; %bb.1021:
	s_cmp_gt_i32 s1, 3
	s_cbranch_scc0 .LBB102_1025
; %bb.1022:
	global_load_b64 v[4:5], v[0:1], off
	s_mov_b32 s2, 0
	s_wait_loadcnt 0x0
	v_xor_b32_e32 v3, v4, v5
	v_cls_i32_e32 v7, v5
	s_delay_alu instid0(VALU_DEP_2) | instskip(NEXT) | instid1(VALU_DEP_1)
	v_ashrrev_i32_e32 v3, 31, v3
	v_add_nc_u32_e32 v3, 32, v3
	s_delay_alu instid0(VALU_DEP_1) | instskip(NEXT) | instid1(VALU_DEP_1)
	v_add_min_u32_e64 v3, v7, -1, v3
	v_lshlrev_b64_e32 v[4:5], v3, v[4:5]
	v_sub_nc_u32_e32 v3, 32, v3
	s_delay_alu instid0(VALU_DEP_2) | instskip(NEXT) | instid1(VALU_DEP_1)
	v_min_u32_e32 v4, 1, v4
	v_or_b32_e32 v4, v5, v4
	s_delay_alu instid0(VALU_DEP_1) | instskip(NEXT) | instid1(VALU_DEP_1)
	v_cvt_f32_i32_e32 v4, v4
	v_ldexp_f32 v3, v4, v3
	s_branch .LBB102_1026
.LBB102_1023:
	s_mov_b32 s2, -1
                                        ; implicit-def: $vgpr3
	s_branch .LBB102_1032
.LBB102_1024:
	s_mov_b32 s2, -1
                                        ; implicit-def: $vgpr3
	s_branch .LBB102_1029
.LBB102_1025:
	s_mov_b32 s2, -1
                                        ; implicit-def: $vgpr3
.LBB102_1026:
	s_delay_alu instid0(SALU_CYCLE_1)
	s_and_not1_b32 vcc_lo, exec_lo, s2
	s_cbranch_vccnz .LBB102_1028
; %bb.1027:
	s_wait_loadcnt 0x0
	global_load_b32 v3, v[0:1], off
	s_wait_loadcnt 0x0
	v_cvt_f32_i32_e32 v3, v3
.LBB102_1028:
	s_mov_b32 s2, 0
.LBB102_1029:
	s_delay_alu instid0(SALU_CYCLE_1)
	s_and_not1_b32 vcc_lo, exec_lo, s2
	s_cbranch_vccnz .LBB102_1031
; %bb.1030:
	s_wait_loadcnt 0x0
	global_load_i16 v3, v[0:1], off
	s_wait_loadcnt 0x0
	v_cvt_f32_i32_e32 v3, v3
.LBB102_1031:
	s_mov_b32 s2, 0
.LBB102_1032:
	s_delay_alu instid0(SALU_CYCLE_1)
	s_and_not1_b32 vcc_lo, exec_lo, s2
	s_cbranch_vccnz .LBB102_1038
; %bb.1033:
	s_cmp_gt_i32 s1, 0
	s_mov_b32 s1, 0
	s_cbranch_scc0 .LBB102_1035
; %bb.1034:
	s_wait_loadcnt 0x0
	global_load_i8 v3, v[0:1], off
	s_wait_loadcnt 0x0
	v_cvt_f32_i32_e32 v3, v3
	s_branch .LBB102_1036
.LBB102_1035:
	s_mov_b32 s1, -1
                                        ; implicit-def: $vgpr3
.LBB102_1036:
	s_delay_alu instid0(SALU_CYCLE_1)
	s_and_not1_b32 vcc_lo, exec_lo, s1
	s_cbranch_vccnz .LBB102_1038
; %bb.1037:
	global_load_u8 v0, v[0:1], off
	s_wait_loadcnt 0x0
	v_cvt_f32_ubyte0_e32 v3, v0
.LBB102_1038:
	s_mov_b32 s30, -1
.LBB102_1039:
	s_delay_alu instid0(SALU_CYCLE_1)
	s_and_not1_b32 vcc_lo, exec_lo, s30
	s_cbranch_vccnz .LBB102_1047
; %bb.1040:
	s_wait_loadcnt 0x0
	s_delay_alu instid0(VALU_DEP_1) | instskip(SKIP_3) | instid1(SALU_CYCLE_1)
	v_cmp_eq_f32_e32 vcc_lo, v2, v3
	s_wait_xcnt 0x0
	v_mul_lo_u32 v0, v6, s8
	s_and_b32 s30, s3, 0xff
	s_cmp_lt_i32 s30, 11
	v_cndmask_b32_e64 v1, 0, 1, vcc_lo
	v_cmp_neq_f32_e32 vcc_lo, v2, v3
	v_cndmask_b32_e64 v2, 0, 1, vcc_lo
	s_delay_alu instid0(VALU_DEP_1) | instskip(NEXT) | instid1(VALU_DEP_1)
	v_dual_cndmask_b32 v2, v2, v1, s0 :: v_dual_ashrrev_i32 v1, 31, v0
	v_and_b32_e32 v2, 1, v2
	s_delay_alu instid0(VALU_DEP_2) | instskip(NEXT) | instid1(VALU_DEP_2)
	v_add_nc_u64_e32 v[0:1], s[4:5], v[0:1]
	v_cmp_eq_u32_e64 s1, 1, v2
	s_cbranch_scc1 .LBB102_1048
; %bb.1041:
	s_and_b32 s31, 0xffff, s30
	s_delay_alu instid0(SALU_CYCLE_1)
	s_cmp_gt_i32 s31, 25
	s_cbranch_scc0 .LBB102_1049
; %bb.1042:
	s_cmp_gt_i32 s31, 28
	s_cbranch_scc0 .LBB102_1050
; %bb.1043:
	s_cmp_gt_i32 s31, 43
	s_cbranch_scc0 .LBB102_1051
; %bb.1044:
	s_cmp_gt_i32 s31, 45
	s_cbranch_scc0 .LBB102_1052
; %bb.1045:
	s_mov_b32 s34, 0
	s_mov_b32 s2, -1
	s_cmp_eq_u32 s31, 46
	s_mov_b32 s33, 0
	s_cbranch_scc0 .LBB102_1053
; %bb.1046:
	v_cndmask_b32_e64 v2, 0, 1.0, s1
	s_mov_b32 s33, -1
	s_mov_b32 s2, 0
	s_delay_alu instid0(VALU_DEP_1) | instskip(NEXT) | instid1(VALU_DEP_1)
	v_bfe_u32 v3, v2, 16, 1
	v_add3_u32 v2, v2, v3, 0x7fff
	s_delay_alu instid0(VALU_DEP_1)
	v_lshrrev_b32_e32 v2, 16, v2
	global_store_b32 v[0:1], v2, off
	s_branch .LBB102_1053
.LBB102_1047:
	s_mov_b32 s31, 0
	s_mov_b32 s2, s24
	s_branch .LBB102_1164
.LBB102_1048:
	s_mov_b32 s31, -1
	s_mov_b32 s33, 0
	s_mov_b32 s2, s24
	s_branch .LBB102_1122
.LBB102_1049:
	s_mov_b32 s33, 0
	s_mov_b32 s2, s24
	s_branch .LBB102_1080
.LBB102_1050:
	s_mov_b32 s33, 0
	s_mov_b32 s2, s24
	s_branch .LBB102_1063
.LBB102_1051:
	s_mov_b32 s33, 0
	s_mov_b32 s2, s24
	s_branch .LBB102_1059
.LBB102_1052:
	s_mov_b32 s33, 0
	s_mov_b32 s2, s24
.LBB102_1053:
	s_and_b32 vcc_lo, exec_lo, s34
	s_cbranch_vccz .LBB102_1058
; %bb.1054:
	s_cmp_eq_u32 s31, 44
	s_mov_b32 s2, -1
	s_cbranch_scc0 .LBB102_1058
; %bb.1055:
	v_cndmask_b32_e64 v4, 0, 1.0, s1
	s_mov_b32 s33, exec_lo
	s_wait_xcnt 0x0
	s_delay_alu instid0(VALU_DEP_1) | instskip(NEXT) | instid1(VALU_DEP_1)
	v_dual_mov_b32 v3, 0xff :: v_dual_lshrrev_b32 v2, 23, v4
	v_cmpx_ne_u32_e32 0xff, v2
; %bb.1056:
	v_and_b32_e32 v3, 0x400000, v4
	v_and_or_b32 v4, 0x3fffff, v4, v2
	s_delay_alu instid0(VALU_DEP_2) | instskip(NEXT) | instid1(VALU_DEP_2)
	v_cmp_ne_u32_e32 vcc_lo, 0, v3
	v_cmp_ne_u32_e64 s2, 0, v4
	s_and_b32 s2, vcc_lo, s2
	s_delay_alu instid0(SALU_CYCLE_1) | instskip(NEXT) | instid1(VALU_DEP_1)
	v_cndmask_b32_e64 v3, 0, 1, s2
	v_add_nc_u32_e32 v3, v2, v3
; %bb.1057:
	s_or_b32 exec_lo, exec_lo, s33
	s_mov_b32 s33, -1
	s_mov_b32 s2, 0
	global_store_b8 v[0:1], v3, off
.LBB102_1058:
	s_mov_b32 s34, 0
.LBB102_1059:
	s_delay_alu instid0(SALU_CYCLE_1)
	s_and_b32 vcc_lo, exec_lo, s34
	s_cbranch_vccz .LBB102_1062
; %bb.1060:
	s_cmp_eq_u32 s31, 29
	s_mov_b32 s2, -1
	s_cbranch_scc0 .LBB102_1062
; %bb.1061:
	s_mov_b32 s2, 0
	s_wait_xcnt 0x0
	v_cndmask_b32_e64 v2, 0, 1, s1
	v_mov_b32_e32 v3, s2
	s_mov_b32 s33, -1
	s_mov_b32 s34, 0
	global_store_b64 v[0:1], v[2:3], off
	s_branch .LBB102_1063
.LBB102_1062:
	s_mov_b32 s34, 0
.LBB102_1063:
	s_delay_alu instid0(SALU_CYCLE_1)
	s_and_b32 vcc_lo, exec_lo, s34
	s_cbranch_vccz .LBB102_1079
; %bb.1064:
	s_cmp_lt_i32 s31, 27
	s_mov_b32 s33, -1
	s_cbranch_scc1 .LBB102_1070
; %bb.1065:
	s_cmp_gt_i32 s31, 27
	s_cbranch_scc0 .LBB102_1067
; %bb.1066:
	s_wait_xcnt 0x0
	v_cndmask_b32_e64 v2, 0, 1, s1
	s_mov_b32 s33, 0
	global_store_b32 v[0:1], v2, off
.LBB102_1067:
	s_and_not1_b32 vcc_lo, exec_lo, s33
	s_cbranch_vccnz .LBB102_1069
; %bb.1068:
	s_wait_xcnt 0x0
	v_cndmask_b32_e64 v2, 0, 1, s1
	global_store_b16 v[0:1], v2, off
.LBB102_1069:
	s_mov_b32 s33, 0
.LBB102_1070:
	s_delay_alu instid0(SALU_CYCLE_1)
	s_and_not1_b32 vcc_lo, exec_lo, s33
	s_cbranch_vccnz .LBB102_1078
; %bb.1071:
	s_wait_xcnt 0x0
	v_cndmask_b32_e64 v3, 0, 1.0, s1
	v_mov_b32_e32 v4, 0x80
	s_mov_b32 s33, exec_lo
	s_delay_alu instid0(VALU_DEP_2)
	v_cmpx_gt_u32_e32 0x43800000, v3
	s_cbranch_execz .LBB102_1077
; %bb.1072:
	s_mov_b32 s34, 0
	s_mov_b32 s35, exec_lo
                                        ; implicit-def: $vgpr2
	v_cmpx_lt_u32_e32 0x3bffffff, v3
	s_xor_b32 s35, exec_lo, s35
	s_cbranch_execz .LBB102_1180
; %bb.1073:
	v_bfe_u32 v2, v3, 20, 1
	s_mov_b32 s34, exec_lo
	s_delay_alu instid0(VALU_DEP_1) | instskip(NEXT) | instid1(VALU_DEP_1)
	v_add3_u32 v2, v3, v2, 0x487ffff
                                        ; implicit-def: $vgpr3
	v_lshrrev_b32_e32 v2, 20, v2
	s_and_not1_saveexec_b32 s35, s35
	s_cbranch_execnz .LBB102_1181
.LBB102_1074:
	s_or_b32 exec_lo, exec_lo, s35
	v_mov_b32_e32 v4, 0
	s_and_saveexec_b32 s35, s34
.LBB102_1075:
	v_mov_b32_e32 v4, v2
.LBB102_1076:
	s_or_b32 exec_lo, exec_lo, s35
.LBB102_1077:
	s_delay_alu instid0(SALU_CYCLE_1)
	s_or_b32 exec_lo, exec_lo, s33
	global_store_b8 v[0:1], v4, off
.LBB102_1078:
	s_mov_b32 s33, -1
.LBB102_1079:
	s_mov_b32 s34, 0
.LBB102_1080:
	s_delay_alu instid0(SALU_CYCLE_1)
	s_and_b32 vcc_lo, exec_lo, s34
	s_cbranch_vccz .LBB102_1121
; %bb.1081:
	s_cmp_gt_i32 s31, 22
	s_mov_b32 s34, -1
	s_cbranch_scc0 .LBB102_1113
; %bb.1082:
	s_cmp_lt_i32 s31, 24
	s_mov_b32 s33, -1
	s_cbranch_scc1 .LBB102_1102
; %bb.1083:
	s_cmp_gt_i32 s31, 24
	s_cbranch_scc0 .LBB102_1091
; %bb.1084:
	s_wait_xcnt 0x0
	v_cndmask_b32_e64 v3, 0, 1.0, s1
	v_mov_b32_e32 v4, 0x80
	s_mov_b32 s33, exec_lo
	s_delay_alu instid0(VALU_DEP_2)
	v_cmpx_gt_u32_e32 0x47800000, v3
	s_cbranch_execz .LBB102_1090
; %bb.1085:
	s_mov_b32 s34, 0
	s_mov_b32 s35, exec_lo
                                        ; implicit-def: $vgpr2
	v_cmpx_lt_u32_e32 0x37ffffff, v3
	s_xor_b32 s35, exec_lo, s35
	s_cbranch_execz .LBB102_2208
; %bb.1086:
	v_bfe_u32 v2, v3, 21, 1
	s_mov_b32 s34, exec_lo
	s_delay_alu instid0(VALU_DEP_1) | instskip(NEXT) | instid1(VALU_DEP_1)
	v_add3_u32 v2, v3, v2, 0x88fffff
                                        ; implicit-def: $vgpr3
	v_lshrrev_b32_e32 v2, 21, v2
	s_and_not1_saveexec_b32 s35, s35
	s_cbranch_execnz .LBB102_2209
.LBB102_1087:
	s_or_b32 exec_lo, exec_lo, s35
	v_mov_b32_e32 v4, 0
	s_and_saveexec_b32 s35, s34
.LBB102_1088:
	v_mov_b32_e32 v4, v2
.LBB102_1089:
	s_or_b32 exec_lo, exec_lo, s35
.LBB102_1090:
	s_delay_alu instid0(SALU_CYCLE_1)
	s_or_b32 exec_lo, exec_lo, s33
	s_mov_b32 s33, 0
	global_store_b8 v[0:1], v4, off
.LBB102_1091:
	s_and_b32 vcc_lo, exec_lo, s33
	s_cbranch_vccz .LBB102_1101
; %bb.1092:
	s_wait_xcnt 0x0
	v_cndmask_b32_e64 v3, 0, 1.0, s1
	s_mov_b32 s33, exec_lo
                                        ; implicit-def: $vgpr2
	s_delay_alu instid0(VALU_DEP_1)
	v_cmpx_gt_u32_e32 0x43f00000, v3
	s_xor_b32 s33, exec_lo, s33
	s_cbranch_execz .LBB102_1098
; %bb.1093:
	s_mov_b32 s34, exec_lo
                                        ; implicit-def: $vgpr2
	v_cmpx_lt_u32_e32 0x3c7fffff, v3
	s_xor_b32 s34, exec_lo, s34
; %bb.1094:
	v_bfe_u32 v2, v3, 20, 1
	s_delay_alu instid0(VALU_DEP_1) | instskip(NEXT) | instid1(VALU_DEP_1)
	v_add3_u32 v2, v3, v2, 0x407ffff
	v_and_b32_e32 v3, 0xff00000, v2
	v_lshrrev_b32_e32 v2, 20, v2
	s_delay_alu instid0(VALU_DEP_2) | instskip(NEXT) | instid1(VALU_DEP_2)
	v_cmp_ne_u32_e32 vcc_lo, 0x7f00000, v3
                                        ; implicit-def: $vgpr3
	v_cndmask_b32_e32 v2, 0x7e, v2, vcc_lo
; %bb.1095:
	s_and_not1_saveexec_b32 s34, s34
; %bb.1096:
	v_add_f32_e32 v2, 0x46800000, v3
; %bb.1097:
	s_or_b32 exec_lo, exec_lo, s34
                                        ; implicit-def: $vgpr3
.LBB102_1098:
	s_and_not1_saveexec_b32 s33, s33
; %bb.1099:
	v_mov_b32_e32 v2, 0x7f
	v_cmp_lt_u32_e32 vcc_lo, 0x7f800000, v3
	s_delay_alu instid0(VALU_DEP_2)
	v_cndmask_b32_e32 v2, 0x7e, v2, vcc_lo
; %bb.1100:
	s_or_b32 exec_lo, exec_lo, s33
	global_store_b8 v[0:1], v2, off
.LBB102_1101:
	s_mov_b32 s33, 0
.LBB102_1102:
	s_delay_alu instid0(SALU_CYCLE_1)
	s_and_not1_b32 vcc_lo, exec_lo, s33
	s_cbranch_vccnz .LBB102_1112
; %bb.1103:
	s_wait_xcnt 0x0
	v_cndmask_b32_e64 v3, 0, 1.0, s1
	s_mov_b32 s33, exec_lo
                                        ; implicit-def: $vgpr2
	s_delay_alu instid0(VALU_DEP_1)
	v_cmpx_gt_u32_e32 0x47800000, v3
	s_xor_b32 s33, exec_lo, s33
	s_cbranch_execz .LBB102_1109
; %bb.1104:
	s_mov_b32 s34, exec_lo
                                        ; implicit-def: $vgpr2
	v_cmpx_lt_u32_e32 0x387fffff, v3
	s_xor_b32 s34, exec_lo, s34
; %bb.1105:
	v_bfe_u32 v2, v3, 21, 1
	s_delay_alu instid0(VALU_DEP_1) | instskip(NEXT) | instid1(VALU_DEP_1)
	v_add3_u32 v2, v3, v2, 0x80fffff
                                        ; implicit-def: $vgpr3
	v_lshrrev_b32_e32 v2, 21, v2
; %bb.1106:
	s_and_not1_saveexec_b32 s34, s34
; %bb.1107:
	v_add_f32_e32 v2, 0x43000000, v3
; %bb.1108:
	s_or_b32 exec_lo, exec_lo, s34
                                        ; implicit-def: $vgpr3
.LBB102_1109:
	s_and_not1_saveexec_b32 s33, s33
; %bb.1110:
	v_mov_b32_e32 v2, 0x7f
	v_cmp_lt_u32_e32 vcc_lo, 0x7f800000, v3
	s_delay_alu instid0(VALU_DEP_2)
	v_cndmask_b32_e32 v2, 0x7c, v2, vcc_lo
; %bb.1111:
	s_or_b32 exec_lo, exec_lo, s33
	global_store_b8 v[0:1], v2, off
.LBB102_1112:
	s_mov_b32 s34, 0
	s_mov_b32 s33, -1
.LBB102_1113:
	s_and_not1_b32 vcc_lo, exec_lo, s34
	s_cbranch_vccnz .LBB102_1121
; %bb.1114:
	s_cmp_gt_i32 s31, 14
	s_mov_b32 s34, -1
	s_cbranch_scc0 .LBB102_1118
; %bb.1115:
	s_cmp_eq_u32 s31, 15
	s_mov_b32 s2, -1
	s_cbranch_scc0 .LBB102_1117
; %bb.1116:
	s_wait_xcnt 0x0
	v_cndmask_b32_e64 v2, 0, 1.0, s1
	s_mov_b32 s33, -1
	s_mov_b32 s2, 0
	s_delay_alu instid0(VALU_DEP_1) | instskip(NEXT) | instid1(VALU_DEP_1)
	v_bfe_u32 v3, v2, 16, 1
	v_add3_u32 v2, v2, v3, 0x7fff
	global_store_d16_hi_b16 v[0:1], v2, off
.LBB102_1117:
	s_mov_b32 s34, 0
.LBB102_1118:
	s_delay_alu instid0(SALU_CYCLE_1)
	s_and_b32 vcc_lo, exec_lo, s34
	s_cbranch_vccz .LBB102_1121
; %bb.1119:
	s_cmp_eq_u32 s31, 11
	s_mov_b32 s2, -1
	s_cbranch_scc0 .LBB102_1121
; %bb.1120:
	s_wait_xcnt 0x0
	v_cndmask_b32_e64 v2, 0, 1, s1
	s_mov_b32 s33, -1
	s_mov_b32 s2, 0
	global_store_b8 v[0:1], v2, off
.LBB102_1121:
	s_mov_b32 s31, 0
.LBB102_1122:
	s_delay_alu instid0(SALU_CYCLE_1)
	s_and_b32 vcc_lo, exec_lo, s31
	s_cbranch_vccz .LBB102_1161
; %bb.1123:
	s_and_b32 s30, 0xffff, s30
	s_mov_b32 s31, -1
	s_cmp_lt_i32 s30, 5
	s_cbranch_scc1 .LBB102_1144
; %bb.1124:
	s_cmp_lt_i32 s30, 8
	s_cbranch_scc1 .LBB102_1134
; %bb.1125:
	;; [unrolled: 3-line block ×3, first 2 shown]
	s_cmp_gt_i32 s30, 9
	s_cbranch_scc0 .LBB102_1128
; %bb.1127:
	s_wait_xcnt 0x0
	v_cndmask_b32_e64 v2, 0, 1, s1
	v_mov_b32_e32 v4, 0
	s_mov_b32 s31, 0
	s_delay_alu instid0(VALU_DEP_2) | instskip(NEXT) | instid1(VALU_DEP_2)
	v_cvt_f64_u32_e32 v[2:3], v2
	v_mov_b32_e32 v5, v4
	global_store_b128 v[0:1], v[2:5], off
.LBB102_1128:
	s_and_not1_b32 vcc_lo, exec_lo, s31
	s_cbranch_vccnz .LBB102_1130
; %bb.1129:
	s_wait_xcnt 0x0
	v_cndmask_b32_e64 v2, 0, 1.0, s1
	v_mov_b32_e32 v3, 0
	global_store_b64 v[0:1], v[2:3], off
.LBB102_1130:
	s_mov_b32 s31, 0
.LBB102_1131:
	s_delay_alu instid0(SALU_CYCLE_1)
	s_and_not1_b32 vcc_lo, exec_lo, s31
	s_cbranch_vccnz .LBB102_1133
; %bb.1132:
	s_wait_xcnt 0x0
	v_cndmask_b32_e64 v2, 0, 1.0, s1
	s_delay_alu instid0(VALU_DEP_1) | instskip(NEXT) | instid1(VALU_DEP_1)
	v_cvt_f16_f32_e32 v2, v2
	v_and_b32_e32 v2, 0xffff, v2
	global_store_b32 v[0:1], v2, off
.LBB102_1133:
	s_mov_b32 s31, 0
.LBB102_1134:
	s_delay_alu instid0(SALU_CYCLE_1)
	s_and_not1_b32 vcc_lo, exec_lo, s31
	s_cbranch_vccnz .LBB102_1143
; %bb.1135:
	s_cmp_lt_i32 s30, 6
	s_mov_b32 s31, -1
	s_cbranch_scc1 .LBB102_1141
; %bb.1136:
	s_cmp_gt_i32 s30, 6
	s_cbranch_scc0 .LBB102_1138
; %bb.1137:
	s_wait_xcnt 0x0
	v_cndmask_b32_e64 v2, 0, 1, s1
	s_mov_b32 s31, 0
	s_delay_alu instid0(VALU_DEP_1)
	v_cvt_f64_u32_e32 v[2:3], v2
	global_store_b64 v[0:1], v[2:3], off
.LBB102_1138:
	s_and_not1_b32 vcc_lo, exec_lo, s31
	s_cbranch_vccnz .LBB102_1140
; %bb.1139:
	s_wait_xcnt 0x0
	v_cndmask_b32_e64 v2, 0, 1.0, s1
	global_store_b32 v[0:1], v2, off
.LBB102_1140:
	s_mov_b32 s31, 0
.LBB102_1141:
	s_delay_alu instid0(SALU_CYCLE_1)
	s_and_not1_b32 vcc_lo, exec_lo, s31
	s_cbranch_vccnz .LBB102_1143
; %bb.1142:
	s_wait_xcnt 0x0
	v_cndmask_b32_e64 v2, 0, 1.0, s1
	s_delay_alu instid0(VALU_DEP_1)
	v_cvt_f16_f32_e32 v2, v2
	global_store_b16 v[0:1], v2, off
.LBB102_1143:
	s_mov_b32 s31, 0
.LBB102_1144:
	s_delay_alu instid0(SALU_CYCLE_1)
	s_and_not1_b32 vcc_lo, exec_lo, s31
	s_cbranch_vccnz .LBB102_1160
; %bb.1145:
	s_cmp_lt_i32 s30, 2
	s_mov_b32 s31, -1
	s_cbranch_scc1 .LBB102_1155
; %bb.1146:
	s_cmp_lt_i32 s30, 3
	s_cbranch_scc1 .LBB102_1152
; %bb.1147:
	s_cmp_gt_i32 s30, 3
	s_cbranch_scc0 .LBB102_1149
; %bb.1148:
	s_mov_b32 s31, 0
	s_wait_xcnt 0x0
	v_cndmask_b32_e64 v2, 0, 1, s1
	v_mov_b32_e32 v3, s31
	global_store_b64 v[0:1], v[2:3], off
.LBB102_1149:
	s_and_not1_b32 vcc_lo, exec_lo, s31
	s_cbranch_vccnz .LBB102_1151
; %bb.1150:
	s_wait_xcnt 0x0
	v_cndmask_b32_e64 v2, 0, 1, s1
	global_store_b32 v[0:1], v2, off
.LBB102_1151:
	s_mov_b32 s31, 0
.LBB102_1152:
	s_delay_alu instid0(SALU_CYCLE_1)
	s_and_not1_b32 vcc_lo, exec_lo, s31
	s_cbranch_vccnz .LBB102_1154
; %bb.1153:
	s_wait_xcnt 0x0
	v_cndmask_b32_e64 v2, 0, 1, s1
	global_store_b16 v[0:1], v2, off
.LBB102_1154:
	s_mov_b32 s31, 0
.LBB102_1155:
	s_delay_alu instid0(SALU_CYCLE_1)
	s_and_not1_b32 vcc_lo, exec_lo, s31
	s_cbranch_vccnz .LBB102_1160
; %bb.1156:
	s_wait_xcnt 0x0
	v_cndmask_b32_e64 v2, 0, 1, s1
	s_cmp_gt_i32 s30, 0
	s_mov_b32 s1, -1
	s_cbranch_scc0 .LBB102_1158
; %bb.1157:
	s_mov_b32 s1, 0
	global_store_b8 v[0:1], v2, off
.LBB102_1158:
	s_and_not1_b32 vcc_lo, exec_lo, s1
	s_cbranch_vccnz .LBB102_1160
; %bb.1159:
	global_store_b8 v[0:1], v2, off
.LBB102_1160:
	s_mov_b32 s33, -1
.LBB102_1161:
	s_delay_alu instid0(SALU_CYCLE_1)
	s_and_not1_b32 vcc_lo, exec_lo, s33
	s_cbranch_vccnz .LBB102_1163
; %bb.1162:
	v_add_nc_u32_e32 v6, 0x80, v6
	s_mov_b32 s31, -1
	s_branch .LBB102_1165
.LBB102_1163:
	s_mov_b32 s31, 0
.LBB102_1164:
                                        ; implicit-def: $vgpr6
.LBB102_1165:
	s_and_not1_b32 s1, s24, exec_lo
	s_and_b32 s2, s2, exec_lo
	s_and_b32 s33, s28, exec_lo
	s_or_b32 s30, s1, s2
	s_and_not1_b32 s1, s25, exec_lo
	s_and_b32 s2, s29, exec_lo
	s_and_not1_b32 s29, s23, exec_lo
	s_or_b32 s28, s1, s2
	s_or_b32 s1, s29, s33
	s_or_not1_b32 s34, s31, exec_lo
.LBB102_1166:
	s_wait_xcnt 0x0
	s_or_b32 exec_lo, exec_lo, s27
	s_mov_b32 s29, 0
	s_mov_b32 s31, 0
	;; [unrolled: 1-line block ×3, first 2 shown]
                                        ; implicit-def: $sgpr2
                                        ; implicit-def: $vgpr0_vgpr1
                                        ; implicit-def: $vgpr2
	s_and_saveexec_b32 s27, s34
	s_cbranch_execz .LBB102_1249
; %bb.1167:
	v_cmp_gt_i32_e32 vcc_lo, s19, v6
	s_mov_b32 s35, s1
	s_mov_b32 s34, 0
	;; [unrolled: 1-line block ×3, first 2 shown]
                                        ; implicit-def: $sgpr2
                                        ; implicit-def: $vgpr0_vgpr1
                                        ; implicit-def: $vgpr2
	s_and_saveexec_b32 s19, vcc_lo
	s_cbranch_execz .LBB102_1248
; %bb.1168:
	v_mul_lo_u32 v0, v6, s9
	s_and_b32 s2, s16, 0xff
	s_delay_alu instid0(SALU_CYCLE_1) | instskip(NEXT) | instid1(VALU_DEP_1)
	s_cmp_lt_i32 s2, 11
	v_ashrrev_i32_e32 v1, 31, v0
	s_delay_alu instid0(VALU_DEP_1)
	v_add_nc_u64_e32 v[0:1], s[6:7], v[0:1]
	s_cbranch_scc1 .LBB102_1175
; %bb.1169:
	s_and_b32 s29, 0xffff, s2
	s_delay_alu instid0(SALU_CYCLE_1)
	s_cmp_gt_i32 s29, 25
	s_cbranch_scc0 .LBB102_1176
; %bb.1170:
	s_cmp_gt_i32 s29, 28
	s_cbranch_scc0 .LBB102_1177
; %bb.1171:
	;; [unrolled: 3-line block ×4, first 2 shown]
	s_cmp_eq_u32 s29, 46
	s_mov_b32 s35, 0
	s_cbranch_scc0 .LBB102_1182
; %bb.1174:
	s_wait_loadcnt 0x0
	global_load_b32 v2, v[0:1], off
	s_mov_b32 s34, -1
	s_wait_loadcnt 0x0
	v_lshlrev_b32_e32 v2, 16, v2
	s_branch .LBB102_1184
.LBB102_1175:
	s_mov_b32 s29, -1
	s_mov_b32 s31, s1
                                        ; implicit-def: $vgpr2
	s_branch .LBB102_1247
.LBB102_1176:
	s_mov_b32 s35, -1
	s_mov_b32 s31, s1
                                        ; implicit-def: $vgpr2
	s_branch .LBB102_1213
.LBB102_1177:
	s_mov_b32 s35, -1
	s_mov_b32 s31, s1
                                        ; implicit-def: $vgpr2
	s_branch .LBB102_1194
.LBB102_1178:
	s_mov_b32 s35, -1
	s_mov_b32 s31, s1
                                        ; implicit-def: $vgpr2
	s_branch .LBB102_1189
.LBB102_1179:
	s_mov_b32 s35, -1
	s_mov_b32 s31, s1
	s_branch .LBB102_1183
.LBB102_1180:
	s_and_not1_saveexec_b32 s35, s35
	s_cbranch_execz .LBB102_1074
.LBB102_1181:
	v_add_f32_e32 v2, 0x46000000, v3
	s_and_not1_b32 s34, s34, exec_lo
	s_delay_alu instid0(VALU_DEP_1) | instskip(NEXT) | instid1(VALU_DEP_1)
	v_and_b32_e32 v2, 0xff, v2
	v_cmp_ne_u32_e32 vcc_lo, 0, v2
	s_and_b32 s36, vcc_lo, exec_lo
	s_delay_alu instid0(SALU_CYCLE_1)
	s_or_b32 s34, s34, s36
	s_or_b32 exec_lo, exec_lo, s35
	v_mov_b32_e32 v4, 0
	s_and_saveexec_b32 s35, s34
	s_cbranch_execnz .LBB102_1075
	s_branch .LBB102_1076
.LBB102_1182:
	s_mov_b32 s31, -1
.LBB102_1183:
                                        ; implicit-def: $vgpr2
.LBB102_1184:
	s_and_b32 vcc_lo, exec_lo, s35
	s_cbranch_vccz .LBB102_1188
; %bb.1185:
	s_cmp_eq_u32 s29, 44
	s_cbranch_scc0 .LBB102_1187
; %bb.1186:
	s_wait_loadcnt 0x0
	global_load_u8 v2, v[0:1], off
	s_mov_b32 s31, 0
	s_mov_b32 s34, -1
	s_wait_loadcnt 0x0
	v_lshlrev_b32_e32 v3, 23, v2
	v_cmp_ne_u32_e32 vcc_lo, 0xff, v2
	s_delay_alu instid0(VALU_DEP_2) | instskip(SKIP_1) | instid1(VALU_DEP_2)
	v_cndmask_b32_e32 v3, 0x7f800001, v3, vcc_lo
	v_cmp_ne_u32_e32 vcc_lo, 0, v2
	v_cndmask_b32_e32 v2, 0x400000, v3, vcc_lo
	s_branch .LBB102_1188
.LBB102_1187:
	s_mov_b32 s31, -1
                                        ; implicit-def: $vgpr2
.LBB102_1188:
	s_mov_b32 s35, 0
.LBB102_1189:
	s_delay_alu instid0(SALU_CYCLE_1)
	s_and_b32 vcc_lo, exec_lo, s35
	s_cbranch_vccz .LBB102_1193
; %bb.1190:
	s_cmp_eq_u32 s29, 29
	s_cbranch_scc0 .LBB102_1192
; %bb.1191:
	s_wait_loadcnt 0x0
	global_load_b64 v[2:3], v[0:1], off
	s_mov_b32 s31, 0
	s_mov_b32 s34, -1
	s_mov_b32 s35, 0
	s_wait_loadcnt 0x0
	v_clz_i32_u32_e32 v4, v3
	s_delay_alu instid0(VALU_DEP_1) | instskip(NEXT) | instid1(VALU_DEP_1)
	v_min_u32_e32 v4, 32, v4
	v_lshlrev_b64_e32 v[2:3], v4, v[2:3]
	s_delay_alu instid0(VALU_DEP_1) | instskip(NEXT) | instid1(VALU_DEP_1)
	v_min_u32_e32 v2, 1, v2
	v_dual_sub_nc_u32 v3, 32, v4 :: v_dual_bitop2_b32 v2, v3, v2 bitop3:0x54
	s_delay_alu instid0(VALU_DEP_1) | instskip(NEXT) | instid1(VALU_DEP_1)
	v_cvt_f32_u32_e32 v2, v2
	v_ldexp_f32 v2, v2, v3
	s_branch .LBB102_1194
.LBB102_1192:
	s_mov_b32 s31, -1
                                        ; implicit-def: $vgpr2
.LBB102_1193:
	s_mov_b32 s35, 0
.LBB102_1194:
	s_delay_alu instid0(SALU_CYCLE_1)
	s_and_b32 vcc_lo, exec_lo, s35
	s_cbranch_vccz .LBB102_1212
; %bb.1195:
	s_cmp_lt_i32 s29, 27
	s_cbranch_scc1 .LBB102_1198
; %bb.1196:
	s_cmp_gt_i32 s29, 27
	s_cbranch_scc0 .LBB102_1199
; %bb.1197:
	s_wait_loadcnt 0x0
	global_load_b32 v2, v[0:1], off
	s_mov_b32 s34, 0
	s_wait_loadcnt 0x0
	v_cvt_f32_u32_e32 v2, v2
	s_branch .LBB102_1200
.LBB102_1198:
	s_mov_b32 s34, -1
                                        ; implicit-def: $vgpr2
	s_branch .LBB102_1203
.LBB102_1199:
	s_mov_b32 s34, -1
                                        ; implicit-def: $vgpr2
.LBB102_1200:
	s_delay_alu instid0(SALU_CYCLE_1)
	s_and_not1_b32 vcc_lo, exec_lo, s34
	s_cbranch_vccnz .LBB102_1202
; %bb.1201:
	s_wait_loadcnt 0x0
	global_load_u16 v2, v[0:1], off
	s_wait_loadcnt 0x0
	v_cvt_f32_u32_e32 v2, v2
.LBB102_1202:
	s_mov_b32 s34, 0
.LBB102_1203:
	s_delay_alu instid0(SALU_CYCLE_1)
	s_and_not1_b32 vcc_lo, exec_lo, s34
	s_cbranch_vccnz .LBB102_1211
; %bb.1204:
	s_wait_loadcnt 0x0
	global_load_u8 v3, v[0:1], off
	s_mov_b32 s34, 0
	s_mov_b32 s35, exec_lo
	s_wait_loadcnt 0x0
	v_cmpx_lt_i16_e32 0x7f, v3
	s_xor_b32 s35, exec_lo, s35
	s_cbranch_execz .LBB102_1225
; %bb.1205:
	s_mov_b32 s34, -1
	s_mov_b32 s36, exec_lo
	v_cmpx_eq_u16_e32 0x80, v3
; %bb.1206:
	s_xor_b32 s34, exec_lo, -1
; %bb.1207:
	s_or_b32 exec_lo, exec_lo, s36
	s_delay_alu instid0(SALU_CYCLE_1)
	s_and_b32 s34, s34, exec_lo
	s_or_saveexec_b32 s35, s35
	v_mov_b32_e32 v2, 0x7f800001
	s_xor_b32 exec_lo, exec_lo, s35
	s_cbranch_execnz .LBB102_1226
.LBB102_1208:
	s_or_b32 exec_lo, exec_lo, s35
	s_and_saveexec_b32 s35, s34
	s_cbranch_execz .LBB102_1210
.LBB102_1209:
	v_and_b32_e32 v2, 0xffff, v3
	s_delay_alu instid0(VALU_DEP_1) | instskip(SKIP_1) | instid1(VALU_DEP_2)
	v_and_b32_e32 v4, 7, v2
	v_bfe_u32 v8, v2, 3, 4
	v_clz_i32_u32_e32 v5, v4
	s_delay_alu instid0(VALU_DEP_2) | instskip(NEXT) | instid1(VALU_DEP_2)
	v_cmp_eq_u32_e32 vcc_lo, 0, v8
	v_min_u32_e32 v5, 32, v5
	s_delay_alu instid0(VALU_DEP_1) | instskip(NEXT) | instid1(VALU_DEP_1)
	v_subrev_nc_u32_e32 v7, 28, v5
	v_dual_lshlrev_b32 v2, v7, v2 :: v_dual_sub_nc_u32 v5, 29, v5
	s_delay_alu instid0(VALU_DEP_1) | instskip(NEXT) | instid1(VALU_DEP_2)
	v_dual_lshlrev_b32 v3, 24, v3 :: v_dual_bitop2_b32 v2, 7, v2 bitop3:0x40
	v_cndmask_b32_e32 v5, v8, v5, vcc_lo
	s_delay_alu instid0(VALU_DEP_2) | instskip(NEXT) | instid1(VALU_DEP_3)
	v_cndmask_b32_e32 v2, v4, v2, vcc_lo
	v_and_b32_e32 v3, 0x80000000, v3
	s_delay_alu instid0(VALU_DEP_3) | instskip(NEXT) | instid1(VALU_DEP_3)
	v_lshl_add_u32 v4, v5, 23, 0x3b800000
	v_lshlrev_b32_e32 v2, 20, v2
	s_delay_alu instid0(VALU_DEP_1)
	v_or3_b32 v2, v3, v4, v2
.LBB102_1210:
	s_or_b32 exec_lo, exec_lo, s35
.LBB102_1211:
	s_mov_b32 s34, -1
.LBB102_1212:
	s_mov_b32 s35, 0
.LBB102_1213:
	s_delay_alu instid0(SALU_CYCLE_1)
	s_and_b32 vcc_lo, exec_lo, s35
	s_cbranch_vccz .LBB102_1246
; %bb.1214:
	s_cmp_gt_i32 s29, 22
	s_cbranch_scc0 .LBB102_1224
; %bb.1215:
	s_cmp_lt_i32 s29, 24
	s_cbranch_scc1 .LBB102_1227
; %bb.1216:
	s_cmp_gt_i32 s29, 24
	s_cbranch_scc0 .LBB102_1228
; %bb.1217:
	s_wait_loadcnt 0x0
	global_load_u8 v3, v[0:1], off
	s_mov_b32 s34, exec_lo
	s_wait_loadcnt 0x0
	v_cmpx_lt_i16_e32 0x7f, v3
	s_xor_b32 s34, exec_lo, s34
	s_cbranch_execz .LBB102_1240
; %bb.1218:
	s_mov_b32 s33, -1
	s_mov_b32 s35, exec_lo
	v_cmpx_eq_u16_e32 0x80, v3
; %bb.1219:
	s_xor_b32 s33, exec_lo, -1
; %bb.1220:
	s_or_b32 exec_lo, exec_lo, s35
	s_delay_alu instid0(SALU_CYCLE_1)
	s_and_b32 s33, s33, exec_lo
	s_or_saveexec_b32 s34, s34
	v_mov_b32_e32 v2, 0x7f800001
	s_xor_b32 exec_lo, exec_lo, s34
	s_cbranch_execnz .LBB102_1241
.LBB102_1221:
	s_or_b32 exec_lo, exec_lo, s34
	s_and_saveexec_b32 s34, s33
	s_cbranch_execz .LBB102_1223
.LBB102_1222:
	v_and_b32_e32 v2, 0xffff, v3
	s_delay_alu instid0(VALU_DEP_1) | instskip(SKIP_1) | instid1(VALU_DEP_2)
	v_and_b32_e32 v4, 3, v2
	v_bfe_u32 v8, v2, 2, 5
	v_clz_i32_u32_e32 v5, v4
	s_delay_alu instid0(VALU_DEP_2) | instskip(NEXT) | instid1(VALU_DEP_2)
	v_cmp_eq_u32_e32 vcc_lo, 0, v8
	v_min_u32_e32 v5, 32, v5
	s_delay_alu instid0(VALU_DEP_1) | instskip(NEXT) | instid1(VALU_DEP_1)
	v_subrev_nc_u32_e32 v7, 29, v5
	v_dual_lshlrev_b32 v2, v7, v2 :: v_dual_sub_nc_u32 v5, 30, v5
	s_delay_alu instid0(VALU_DEP_1) | instskip(NEXT) | instid1(VALU_DEP_2)
	v_dual_lshlrev_b32 v3, 24, v3 :: v_dual_bitop2_b32 v2, 3, v2 bitop3:0x40
	v_cndmask_b32_e32 v5, v8, v5, vcc_lo
	s_delay_alu instid0(VALU_DEP_2) | instskip(NEXT) | instid1(VALU_DEP_3)
	v_cndmask_b32_e32 v2, v4, v2, vcc_lo
	v_and_b32_e32 v3, 0x80000000, v3
	s_delay_alu instid0(VALU_DEP_3) | instskip(NEXT) | instid1(VALU_DEP_3)
	v_lshl_add_u32 v4, v5, 23, 0x37800000
	v_lshlrev_b32_e32 v2, 21, v2
	s_delay_alu instid0(VALU_DEP_1)
	v_or3_b32 v2, v3, v4, v2
.LBB102_1223:
	s_or_b32 exec_lo, exec_lo, s34
	s_mov_b32 s33, 0
	s_branch .LBB102_1229
.LBB102_1224:
	s_mov_b32 s33, -1
                                        ; implicit-def: $vgpr2
	s_branch .LBB102_1235
.LBB102_1225:
	s_or_saveexec_b32 s35, s35
	v_mov_b32_e32 v2, 0x7f800001
	s_xor_b32 exec_lo, exec_lo, s35
	s_cbranch_execz .LBB102_1208
.LBB102_1226:
	v_cmp_ne_u16_e32 vcc_lo, 0, v3
	v_mov_b32_e32 v2, 0
	s_and_not1_b32 s34, s34, exec_lo
	s_and_b32 s36, vcc_lo, exec_lo
	s_delay_alu instid0(SALU_CYCLE_1)
	s_or_b32 s34, s34, s36
	s_or_b32 exec_lo, exec_lo, s35
	s_and_saveexec_b32 s35, s34
	s_cbranch_execnz .LBB102_1209
	s_branch .LBB102_1210
.LBB102_1227:
	s_mov_b32 s33, -1
                                        ; implicit-def: $vgpr2
	s_branch .LBB102_1232
.LBB102_1228:
	s_mov_b32 s33, -1
                                        ; implicit-def: $vgpr2
.LBB102_1229:
	s_delay_alu instid0(SALU_CYCLE_1)
	s_and_b32 vcc_lo, exec_lo, s33
	s_cbranch_vccz .LBB102_1231
; %bb.1230:
	s_wait_loadcnt 0x0
	global_load_u8 v2, v[0:1], off
	s_wait_loadcnt 0x0
	v_lshlrev_b32_e32 v2, 24, v2
	s_delay_alu instid0(VALU_DEP_1) | instskip(NEXT) | instid1(VALU_DEP_1)
	v_and_b32_e32 v3, 0x7f000000, v2
	v_clz_i32_u32_e32 v4, v3
	v_add_nc_u32_e32 v7, 0x1000000, v3
	v_cmp_ne_u32_e32 vcc_lo, 0, v3
	s_delay_alu instid0(VALU_DEP_3) | instskip(NEXT) | instid1(VALU_DEP_1)
	v_min_u32_e32 v4, 32, v4
	v_sub_nc_u32_e64 v4, v4, 4 clamp
	s_delay_alu instid0(VALU_DEP_1) | instskip(NEXT) | instid1(VALU_DEP_1)
	v_dual_lshlrev_b32 v5, v4, v3 :: v_dual_lshlrev_b32 v4, 23, v4
	v_lshrrev_b32_e32 v5, 4, v5
	s_delay_alu instid0(VALU_DEP_1) | instskip(NEXT) | instid1(VALU_DEP_1)
	v_dual_sub_nc_u32 v4, v5, v4 :: v_dual_ashrrev_i32 v5, 8, v7
	v_add_nc_u32_e32 v4, 0x3c000000, v4
	s_delay_alu instid0(VALU_DEP_1) | instskip(NEXT) | instid1(VALU_DEP_1)
	v_and_or_b32 v4, 0x7f800000, v5, v4
	v_cndmask_b32_e32 v3, 0, v4, vcc_lo
	s_delay_alu instid0(VALU_DEP_1)
	v_and_or_b32 v2, 0x80000000, v2, v3
.LBB102_1231:
	s_mov_b32 s33, 0
.LBB102_1232:
	s_delay_alu instid0(SALU_CYCLE_1)
	s_and_not1_b32 vcc_lo, exec_lo, s33
	s_cbranch_vccnz .LBB102_1234
; %bb.1233:
	s_wait_loadcnt 0x0
	global_load_u8 v2, v[0:1], off
	s_wait_loadcnt 0x0
	v_lshlrev_b32_e32 v3, 25, v2
	v_lshlrev_b16 v2, 8, v2
	s_delay_alu instid0(VALU_DEP_1) | instskip(SKIP_1) | instid1(VALU_DEP_2)
	v_and_or_b32 v5, 0x7f00, v2, 0.5
	v_bfe_i32 v2, v2, 0, 16
	v_dual_add_f32 v5, -0.5, v5 :: v_dual_lshrrev_b32 v4, 4, v3
	v_cmp_gt_u32_e32 vcc_lo, 0x8000000, v3
	s_delay_alu instid0(VALU_DEP_2) | instskip(NEXT) | instid1(VALU_DEP_1)
	v_or_b32_e32 v4, 0x70000000, v4
	v_mul_f32_e32 v4, 0x7800000, v4
	s_delay_alu instid0(VALU_DEP_1) | instskip(NEXT) | instid1(VALU_DEP_1)
	v_cndmask_b32_e32 v3, v4, v5, vcc_lo
	v_and_or_b32 v2, 0x80000000, v2, v3
.LBB102_1234:
	s_mov_b32 s33, 0
	s_mov_b32 s34, -1
.LBB102_1235:
	s_and_not1_b32 vcc_lo, exec_lo, s33
	s_mov_b32 s33, 0
	s_cbranch_vccnz .LBB102_1246
; %bb.1236:
	s_cmp_gt_i32 s29, 14
	s_cbranch_scc0 .LBB102_1239
; %bb.1237:
	s_cmp_eq_u32 s29, 15
	s_cbranch_scc0 .LBB102_1242
; %bb.1238:
	s_wait_loadcnt 0x0
	global_load_u16 v2, v[0:1], off
	s_mov_b32 s31, 0
	s_mov_b32 s34, -1
	s_wait_loadcnt 0x0
	v_lshlrev_b32_e32 v2, 16, v2
	s_branch .LBB102_1244
.LBB102_1239:
	s_mov_b32 s33, -1
	s_branch .LBB102_1243
.LBB102_1240:
	s_or_saveexec_b32 s34, s34
	v_mov_b32_e32 v2, 0x7f800001
	s_xor_b32 exec_lo, exec_lo, s34
	s_cbranch_execz .LBB102_1221
.LBB102_1241:
	v_cmp_ne_u16_e32 vcc_lo, 0, v3
	v_mov_b32_e32 v2, 0
	s_and_not1_b32 s33, s33, exec_lo
	s_and_b32 s35, vcc_lo, exec_lo
	s_delay_alu instid0(SALU_CYCLE_1)
	s_or_b32 s33, s33, s35
	s_or_b32 exec_lo, exec_lo, s34
	s_and_saveexec_b32 s34, s33
	s_cbranch_execnz .LBB102_1222
	s_branch .LBB102_1223
.LBB102_1242:
	s_mov_b32 s31, -1
.LBB102_1243:
                                        ; implicit-def: $vgpr2
.LBB102_1244:
	s_and_b32 vcc_lo, exec_lo, s33
	s_mov_b32 s33, 0
	s_cbranch_vccz .LBB102_1246
; %bb.1245:
	s_cmp_lg_u32 s29, 11
	s_mov_b32 s33, -1
	s_cselect_b32 s29, -1, 0
	s_and_not1_b32 s31, s31, exec_lo
	s_and_b32 s29, s29, exec_lo
	s_delay_alu instid0(SALU_CYCLE_1)
	s_or_b32 s31, s31, s29
.LBB102_1246:
	s_mov_b32 s29, 0
.LBB102_1247:
	s_and_not1_b32 s35, s1, exec_lo
	s_and_b32 s31, s31, exec_lo
	s_and_b32 s36, s34, exec_lo
	;; [unrolled: 1-line block ×4, first 2 shown]
	s_or_b32 s35, s35, s31
.LBB102_1248:
	s_wait_xcnt 0x0
	s_or_b32 exec_lo, exec_lo, s19
	s_delay_alu instid0(SALU_CYCLE_1)
	s_and_not1_b32 s1, s1, exec_lo
	s_and_b32 s19, s35, exec_lo
	s_and_b32 s33, s36, exec_lo
	;; [unrolled: 1-line block ×4, first 2 shown]
	s_or_b32 s1, s1, s19
.LBB102_1249:
	s_or_b32 exec_lo, exec_lo, s27
	s_delay_alu instid0(SALU_CYCLE_1)
	s_and_not1_b32 s19, s24, exec_lo
	s_and_b32 s24, s30, exec_lo
	s_and_not1_b32 s25, s25, exec_lo
	s_and_b32 s27, s28, exec_lo
	s_or_b32 s24, s19, s24
	s_and_not1_b32 s19, s23, exec_lo
	s_and_b32 s23, s1, exec_lo
	s_or_b32 s25, s25, s27
	s_and_b32 s28, s33, exec_lo
	s_and_b32 s27, s31, exec_lo
	;; [unrolled: 1-line block ×3, first 2 shown]
	s_or_b32 s23, s19, s23
.LBB102_1250:
	s_or_b32 exec_lo, exec_lo, s26
	s_delay_alu instid0(SALU_CYCLE_1)
	s_and_not1_b32 s18, s18, exec_lo
	s_and_b32 s19, s24, exec_lo
	s_and_not1_b32 s20, s20, exec_lo
	s_and_b32 s24, s25, exec_lo
	s_or_b32 s18, s18, s19
	s_and_not1_b32 s19, s21, exec_lo
	s_and_b32 s21, s23, exec_lo
	s_or_b32 s20, s20, s24
	s_and_b32 s24, s28, exec_lo
	s_and_b32 s25, s27, exec_lo
	;; [unrolled: 1-line block ×3, first 2 shown]
	s_or_b32 s21, s19, s21
	s_or_b32 exec_lo, exec_lo, s22
	s_mov_b32 s1, 0
	s_and_saveexec_b32 s19, s21
	s_cbranch_execz .LBB102_392
.LBB102_1251:
	s_mov_b32 s1, exec_lo
	s_and_not1_b32 s23, s23, exec_lo
	s_trap 2
	s_or_b32 exec_lo, exec_lo, s19
	s_and_saveexec_b32 s19, s23
	s_delay_alu instid0(SALU_CYCLE_1)
	s_xor_b32 s19, exec_lo, s19
	s_cbranch_execnz .LBB102_393
.LBB102_1252:
	s_or_b32 exec_lo, exec_lo, s19
	s_and_saveexec_b32 s19, s25
	s_cbranch_execz .LBB102_1298
.LBB102_1253:
	s_sext_i32_i16 s21, s2
	s_delay_alu instid0(SALU_CYCLE_1)
	s_cmp_lt_i32 s21, 5
	s_cbranch_scc1 .LBB102_1258
; %bb.1254:
	s_cmp_lt_i32 s21, 8
	s_cbranch_scc1 .LBB102_1259
; %bb.1255:
	;; [unrolled: 3-line block ×3, first 2 shown]
	s_cmp_gt_i32 s21, 9
	s_cbranch_scc0 .LBB102_1261
; %bb.1257:
	s_wait_loadcnt 0x0
	global_load_b64 v[2:3], v[0:1], off
	s_mov_b32 s21, 0
	s_wait_loadcnt 0x0
	v_cvt_f32_f64_e32 v2, v[2:3]
	s_branch .LBB102_1262
.LBB102_1258:
                                        ; implicit-def: $vgpr2
	s_branch .LBB102_1279
.LBB102_1259:
                                        ; implicit-def: $vgpr2
	s_branch .LBB102_1268
.LBB102_1260:
	s_mov_b32 s21, -1
                                        ; implicit-def: $vgpr2
	s_branch .LBB102_1265
.LBB102_1261:
	s_mov_b32 s21, -1
                                        ; implicit-def: $vgpr2
.LBB102_1262:
	s_delay_alu instid0(SALU_CYCLE_1)
	s_and_not1_b32 vcc_lo, exec_lo, s21
	s_cbranch_vccnz .LBB102_1264
; %bb.1263:
	s_wait_loadcnt 0x0
	global_load_b32 v2, v[0:1], off
.LBB102_1264:
	s_mov_b32 s21, 0
.LBB102_1265:
	s_delay_alu instid0(SALU_CYCLE_1)
	s_and_not1_b32 vcc_lo, exec_lo, s21
	s_cbranch_vccnz .LBB102_1267
; %bb.1266:
	s_wait_loadcnt 0x0
	global_load_b32 v2, v[0:1], off
	s_wait_loadcnt 0x0
	v_cvt_f32_f16_e32 v2, v2
.LBB102_1267:
	s_cbranch_execnz .LBB102_1278
.LBB102_1268:
	s_sext_i32_i16 s21, s2
	s_delay_alu instid0(SALU_CYCLE_1)
	s_cmp_lt_i32 s21, 6
	s_cbranch_scc1 .LBB102_1271
; %bb.1269:
	s_cmp_gt_i32 s21, 6
	s_cbranch_scc0 .LBB102_1272
; %bb.1270:
	s_wait_loadcnt 0x0
	global_load_b64 v[2:3], v[0:1], off
	s_mov_b32 s21, 0
	s_wait_loadcnt 0x0
	v_cvt_f32_f64_e32 v2, v[2:3]
	s_branch .LBB102_1273
.LBB102_1271:
	s_mov_b32 s21, -1
                                        ; implicit-def: $vgpr2
	s_branch .LBB102_1276
.LBB102_1272:
	s_mov_b32 s21, -1
                                        ; implicit-def: $vgpr2
.LBB102_1273:
	s_delay_alu instid0(SALU_CYCLE_1)
	s_and_not1_b32 vcc_lo, exec_lo, s21
	s_cbranch_vccnz .LBB102_1275
; %bb.1274:
	s_wait_loadcnt 0x0
	global_load_b32 v2, v[0:1], off
.LBB102_1275:
	s_mov_b32 s21, 0
.LBB102_1276:
	s_delay_alu instid0(SALU_CYCLE_1)
	s_and_not1_b32 vcc_lo, exec_lo, s21
	s_cbranch_vccnz .LBB102_1278
; %bb.1277:
	s_wait_loadcnt 0x0
	global_load_u16 v2, v[0:1], off
	s_wait_loadcnt 0x0
	v_cvt_f32_f16_e32 v2, v2
.LBB102_1278:
	s_cbranch_execnz .LBB102_1297
.LBB102_1279:
	s_sext_i32_i16 s21, s2
	s_delay_alu instid0(SALU_CYCLE_1)
	s_cmp_lt_i32 s21, 2
	s_cbranch_scc1 .LBB102_1283
; %bb.1280:
	s_cmp_lt_i32 s21, 3
	s_cbranch_scc1 .LBB102_1284
; %bb.1281:
	s_cmp_gt_i32 s21, 3
	s_cbranch_scc0 .LBB102_1285
; %bb.1282:
	s_wait_loadcnt 0x0
	global_load_b64 v[2:3], v[0:1], off
	s_mov_b32 s21, 0
	s_wait_loadcnt 0x0
	v_xor_b32_e32 v4, v2, v3
	v_cls_i32_e32 v5, v3
	s_delay_alu instid0(VALU_DEP_2) | instskip(NEXT) | instid1(VALU_DEP_1)
	v_ashrrev_i32_e32 v4, 31, v4
	v_add_nc_u32_e32 v4, 32, v4
	s_delay_alu instid0(VALU_DEP_1) | instskip(NEXT) | instid1(VALU_DEP_1)
	v_add_min_u32_e64 v4, v5, -1, v4
	v_lshlrev_b64_e32 v[2:3], v4, v[2:3]
	s_delay_alu instid0(VALU_DEP_1) | instskip(NEXT) | instid1(VALU_DEP_1)
	v_min_u32_e32 v2, 1, v2
	v_dual_sub_nc_u32 v3, 32, v4 :: v_dual_bitop2_b32 v2, v3, v2 bitop3:0x54
	s_delay_alu instid0(VALU_DEP_1) | instskip(NEXT) | instid1(VALU_DEP_1)
	v_cvt_f32_i32_e32 v2, v2
	v_ldexp_f32 v2, v2, v3
	s_branch .LBB102_1286
.LBB102_1283:
                                        ; implicit-def: $vgpr2
	s_branch .LBB102_1292
.LBB102_1284:
	s_mov_b32 s21, -1
                                        ; implicit-def: $vgpr2
	s_branch .LBB102_1289
.LBB102_1285:
	s_mov_b32 s21, -1
                                        ; implicit-def: $vgpr2
.LBB102_1286:
	s_delay_alu instid0(SALU_CYCLE_1)
	s_and_not1_b32 vcc_lo, exec_lo, s21
	s_cbranch_vccnz .LBB102_1288
; %bb.1287:
	s_wait_loadcnt 0x0
	global_load_b32 v2, v[0:1], off
	s_wait_loadcnt 0x0
	v_cvt_f32_i32_e32 v2, v2
.LBB102_1288:
	s_mov_b32 s21, 0
.LBB102_1289:
	s_delay_alu instid0(SALU_CYCLE_1)
	s_and_not1_b32 vcc_lo, exec_lo, s21
	s_cbranch_vccnz .LBB102_1291
; %bb.1290:
	s_wait_loadcnt 0x0
	global_load_i16 v2, v[0:1], off
	s_wait_loadcnt 0x0
	v_cvt_f32_i32_e32 v2, v2
.LBB102_1291:
	s_cbranch_execnz .LBB102_1297
.LBB102_1292:
	s_sext_i32_i16 s2, s2
	s_delay_alu instid0(SALU_CYCLE_1)
	s_cmp_gt_i32 s2, 0
	s_mov_b32 s2, 0
	s_cbranch_scc0 .LBB102_1294
; %bb.1293:
	s_wait_loadcnt 0x0
	global_load_i8 v2, v[0:1], off
	s_wait_loadcnt 0x0
	v_cvt_f32_i32_e32 v2, v2
	s_branch .LBB102_1295
.LBB102_1294:
	s_mov_b32 s2, -1
                                        ; implicit-def: $vgpr2
.LBB102_1295:
	s_delay_alu instid0(SALU_CYCLE_1)
	s_and_not1_b32 vcc_lo, exec_lo, s2
	s_cbranch_vccnz .LBB102_1297
; %bb.1296:
	global_load_u8 v0, v[0:1], off
	s_wait_loadcnt 0x0
	v_cvt_f32_ubyte0_e32 v2, v0
.LBB102_1297:
	s_or_b32 s24, s24, exec_lo
.LBB102_1298:
	s_wait_xcnt 0x0
	s_or_b32 exec_lo, exec_lo, s19
	s_mov_b32 s22, 0
	s_mov_b32 s25, 0
	;; [unrolled: 1-line block ×3, first 2 shown]
                                        ; implicit-def: $sgpr2
                                        ; implicit-def: $vgpr0_vgpr1
                                        ; implicit-def: $vgpr3
	s_and_saveexec_b32 s19, s24
	s_cbranch_execz .LBB102_1306
; %bb.1299:
	v_mul_lo_u32 v0, v6, s10
	s_and_b32 s2, s14, 0xff
	s_delay_alu instid0(SALU_CYCLE_1) | instskip(NEXT) | instid1(VALU_DEP_1)
	s_cmp_lt_i32 s2, 11
	v_ashrrev_i32_e32 v1, 31, v0
	s_delay_alu instid0(VALU_DEP_1)
	v_add_nc_u64_e32 v[0:1], s[12:13], v[0:1]
	s_cbranch_scc1 .LBB102_1309
; %bb.1300:
	s_and_b32 s21, 0xffff, s2
	s_mov_b32 s23, 0
	s_cmp_gt_i32 s21, 25
	s_cbranch_scc0 .LBB102_1310
; %bb.1301:
	s_cmp_gt_i32 s21, 28
	s_cbranch_scc0 .LBB102_1311
; %bb.1302:
	;; [unrolled: 3-line block ×4, first 2 shown]
	s_cmp_eq_u32 s21, 46
	s_cbranch_scc0 .LBB102_1314
; %bb.1305:
	s_wait_loadcnt 0x0
	global_load_b32 v3, v[0:1], off
	s_mov_b32 s24, -1
	s_wait_loadcnt 0x0
	v_lshlrev_b32_e32 v3, 16, v3
	s_branch .LBB102_1316
.LBB102_1306:
	s_or_b32 exec_lo, exec_lo, s19
	s_and_saveexec_b32 s19, s20
	s_cbranch_execnz .LBB102_1379
.LBB102_1307:
	s_or_b32 exec_lo, exec_lo, s19
	s_and_saveexec_b32 s19, s22
	s_delay_alu instid0(SALU_CYCLE_1)
	s_xor_b32 s19, exec_lo, s19
	s_cbranch_execz .LBB102_1380
.LBB102_1308:
	s_wait_loadcnt 0x0
	global_load_u8 v3, v[0:1], off
	s_or_b32 s21, s21, exec_lo
	s_wait_loadcnt 0x0
	v_cmp_ne_u16_e32 vcc_lo, 0, v3
	v_cndmask_b32_e64 v3, 0, 1.0, vcc_lo
	s_wait_xcnt 0x0
	s_or_b32 exec_lo, exec_lo, s19
	s_and_saveexec_b32 s19, s25
	s_cbranch_execz .LBB102_1426
	s_branch .LBB102_1381
.LBB102_1309:
	s_mov_b32 s25, -1
	s_mov_b32 s24, 0
	s_mov_b32 s23, 0
	;; [unrolled: 1-line block ×3, first 2 shown]
                                        ; implicit-def: $vgpr3
	s_branch .LBB102_1378
.LBB102_1310:
	s_mov_b32 s24, 0
	s_mov_b32 s22, s20
                                        ; implicit-def: $vgpr3
	s_cbranch_execnz .LBB102_1345
	s_branch .LBB102_1377
.LBB102_1311:
	s_mov_b32 s25, -1
	s_mov_b32 s24, 0
	s_mov_b32 s22, s20
                                        ; implicit-def: $vgpr3
	s_branch .LBB102_1326
.LBB102_1312:
	s_mov_b32 s25, -1
	s_mov_b32 s24, 0
	s_mov_b32 s22, s20
                                        ; implicit-def: $vgpr3
	s_branch .LBB102_1321
.LBB102_1313:
	s_mov_b32 s25, -1
	s_mov_b32 s24, 0
	s_mov_b32 s22, s20
	s_branch .LBB102_1315
.LBB102_1314:
	s_mov_b32 s22, -1
	s_mov_b32 s24, 0
.LBB102_1315:
                                        ; implicit-def: $vgpr3
.LBB102_1316:
	s_and_b32 vcc_lo, exec_lo, s25
	s_cbranch_vccz .LBB102_1320
; %bb.1317:
	s_cmp_eq_u32 s21, 44
	s_cbranch_scc0 .LBB102_1319
; %bb.1318:
	s_wait_loadcnt 0x0
	global_load_u8 v3, v[0:1], off
	s_mov_b32 s22, 0
	s_mov_b32 s24, -1
	s_wait_loadcnt 0x0
	v_lshlrev_b32_e32 v4, 23, v3
	v_cmp_ne_u32_e32 vcc_lo, 0xff, v3
	s_delay_alu instid0(VALU_DEP_2) | instskip(SKIP_1) | instid1(VALU_DEP_2)
	v_cndmask_b32_e32 v4, 0x7f800001, v4, vcc_lo
	v_cmp_ne_u32_e32 vcc_lo, 0, v3
	v_cndmask_b32_e32 v3, 0x400000, v4, vcc_lo
	s_branch .LBB102_1320
.LBB102_1319:
	s_mov_b32 s22, -1
                                        ; implicit-def: $vgpr3
.LBB102_1320:
	s_mov_b32 s25, 0
.LBB102_1321:
	s_delay_alu instid0(SALU_CYCLE_1)
	s_and_b32 vcc_lo, exec_lo, s25
	s_cbranch_vccz .LBB102_1325
; %bb.1322:
	s_cmp_eq_u32 s21, 29
	s_cbranch_scc0 .LBB102_1324
; %bb.1323:
	global_load_b64 v[4:5], v[0:1], off
	s_mov_b32 s22, 0
	s_mov_b32 s24, -1
	s_mov_b32 s25, 0
	s_wait_loadcnt 0x0
	v_clz_i32_u32_e32 v3, v5
	s_delay_alu instid0(VALU_DEP_1) | instskip(NEXT) | instid1(VALU_DEP_1)
	v_min_u32_e32 v3, 32, v3
	v_lshlrev_b64_e32 v[4:5], v3, v[4:5]
	v_sub_nc_u32_e32 v3, 32, v3
	s_delay_alu instid0(VALU_DEP_2) | instskip(NEXT) | instid1(VALU_DEP_1)
	v_min_u32_e32 v4, 1, v4
	v_or_b32_e32 v4, v5, v4
	s_delay_alu instid0(VALU_DEP_1) | instskip(NEXT) | instid1(VALU_DEP_1)
	v_cvt_f32_u32_e32 v4, v4
	v_ldexp_f32 v3, v4, v3
	s_branch .LBB102_1326
.LBB102_1324:
	s_mov_b32 s22, -1
                                        ; implicit-def: $vgpr3
.LBB102_1325:
	s_mov_b32 s25, 0
.LBB102_1326:
	s_delay_alu instid0(SALU_CYCLE_1)
	s_and_b32 vcc_lo, exec_lo, s25
	s_cbranch_vccz .LBB102_1344
; %bb.1327:
	s_cmp_lt_i32 s21, 27
	s_cbranch_scc1 .LBB102_1330
; %bb.1328:
	s_cmp_gt_i32 s21, 27
	s_cbranch_scc0 .LBB102_1331
; %bb.1329:
	s_wait_loadcnt 0x0
	global_load_b32 v3, v[0:1], off
	s_mov_b32 s24, 0
	s_wait_loadcnt 0x0
	v_cvt_f32_u32_e32 v3, v3
	s_branch .LBB102_1332
.LBB102_1330:
	s_mov_b32 s24, -1
                                        ; implicit-def: $vgpr3
	s_branch .LBB102_1335
.LBB102_1331:
	s_mov_b32 s24, -1
                                        ; implicit-def: $vgpr3
.LBB102_1332:
	s_delay_alu instid0(SALU_CYCLE_1)
	s_and_not1_b32 vcc_lo, exec_lo, s24
	s_cbranch_vccnz .LBB102_1334
; %bb.1333:
	s_wait_loadcnt 0x0
	global_load_u16 v3, v[0:1], off
	s_wait_loadcnt 0x0
	v_cvt_f32_u32_e32 v3, v3
.LBB102_1334:
	s_mov_b32 s24, 0
.LBB102_1335:
	s_delay_alu instid0(SALU_CYCLE_1)
	s_and_not1_b32 vcc_lo, exec_lo, s24
	s_cbranch_vccnz .LBB102_1343
; %bb.1336:
	global_load_u8 v4, v[0:1], off
	s_mov_b32 s24, 0
	s_mov_b32 s25, exec_lo
	s_wait_loadcnt 0x0
	v_cmpx_lt_i16_e32 0x7f, v4
	s_xor_b32 s25, exec_lo, s25
	s_cbranch_execz .LBB102_1356
; %bb.1337:
	s_mov_b32 s24, -1
	s_mov_b32 s26, exec_lo
	v_cmpx_eq_u16_e32 0x80, v4
; %bb.1338:
	s_xor_b32 s24, exec_lo, -1
; %bb.1339:
	s_or_b32 exec_lo, exec_lo, s26
	s_delay_alu instid0(SALU_CYCLE_1)
	s_and_b32 s24, s24, exec_lo
	s_or_saveexec_b32 s25, s25
	v_mov_b32_e32 v3, 0x7f800001
	s_xor_b32 exec_lo, exec_lo, s25
	s_cbranch_execnz .LBB102_1357
.LBB102_1340:
	s_or_b32 exec_lo, exec_lo, s25
	s_and_saveexec_b32 s25, s24
	s_cbranch_execz .LBB102_1342
.LBB102_1341:
	v_and_b32_e32 v3, 0xffff, v4
	s_delay_alu instid0(VALU_DEP_1) | instskip(SKIP_1) | instid1(VALU_DEP_2)
	v_dual_lshlrev_b32 v4, 24, v4 :: v_dual_bitop2_b32 v5, 7, v3 bitop3:0x40
	v_bfe_u32 v9, v3, 3, 4
	v_and_b32_e32 v4, 0x80000000, v4
	s_delay_alu instid0(VALU_DEP_3) | instskip(NEXT) | instid1(VALU_DEP_3)
	v_clz_i32_u32_e32 v7, v5
	v_cmp_eq_u32_e32 vcc_lo, 0, v9
	s_delay_alu instid0(VALU_DEP_2) | instskip(NEXT) | instid1(VALU_DEP_1)
	v_min_u32_e32 v7, 32, v7
	v_subrev_nc_u32_e32 v8, 28, v7
	v_sub_nc_u32_e32 v7, 29, v7
	s_delay_alu instid0(VALU_DEP_2) | instskip(NEXT) | instid1(VALU_DEP_2)
	v_lshlrev_b32_e32 v3, v8, v3
	v_cndmask_b32_e32 v7, v9, v7, vcc_lo
	s_delay_alu instid0(VALU_DEP_2) | instskip(NEXT) | instid1(VALU_DEP_1)
	v_and_b32_e32 v3, 7, v3
	v_cndmask_b32_e32 v3, v5, v3, vcc_lo
	s_delay_alu instid0(VALU_DEP_3) | instskip(NEXT) | instid1(VALU_DEP_2)
	v_lshl_add_u32 v5, v7, 23, 0x3b800000
	v_lshlrev_b32_e32 v3, 20, v3
	s_delay_alu instid0(VALU_DEP_1)
	v_or3_b32 v3, v4, v5, v3
.LBB102_1342:
	s_or_b32 exec_lo, exec_lo, s25
.LBB102_1343:
	s_mov_b32 s24, -1
.LBB102_1344:
	s_branch .LBB102_1377
.LBB102_1345:
	s_cmp_gt_i32 s21, 22
	s_cbranch_scc0 .LBB102_1355
; %bb.1346:
	s_cmp_lt_i32 s21, 24
	s_cbranch_scc1 .LBB102_1358
; %bb.1347:
	s_cmp_gt_i32 s21, 24
	s_cbranch_scc0 .LBB102_1359
; %bb.1348:
	global_load_u8 v4, v[0:1], off
	s_mov_b32 s24, exec_lo
	s_wait_loadcnt 0x0
	v_cmpx_lt_i16_e32 0x7f, v4
	s_xor_b32 s24, exec_lo, s24
	s_cbranch_execz .LBB102_1371
; %bb.1349:
	s_mov_b32 s23, -1
	s_mov_b32 s25, exec_lo
	v_cmpx_eq_u16_e32 0x80, v4
; %bb.1350:
	s_xor_b32 s23, exec_lo, -1
; %bb.1351:
	s_or_b32 exec_lo, exec_lo, s25
	s_delay_alu instid0(SALU_CYCLE_1)
	s_and_b32 s23, s23, exec_lo
	s_or_saveexec_b32 s24, s24
	v_mov_b32_e32 v3, 0x7f800001
	s_xor_b32 exec_lo, exec_lo, s24
	s_cbranch_execnz .LBB102_1372
.LBB102_1352:
	s_or_b32 exec_lo, exec_lo, s24
	s_and_saveexec_b32 s24, s23
	s_cbranch_execz .LBB102_1354
.LBB102_1353:
	v_and_b32_e32 v3, 0xffff, v4
	s_delay_alu instid0(VALU_DEP_1) | instskip(SKIP_1) | instid1(VALU_DEP_2)
	v_dual_lshlrev_b32 v4, 24, v4 :: v_dual_bitop2_b32 v5, 3, v3 bitop3:0x40
	v_bfe_u32 v9, v3, 2, 5
	v_and_b32_e32 v4, 0x80000000, v4
	s_delay_alu instid0(VALU_DEP_3) | instskip(NEXT) | instid1(VALU_DEP_3)
	v_clz_i32_u32_e32 v7, v5
	v_cmp_eq_u32_e32 vcc_lo, 0, v9
	s_delay_alu instid0(VALU_DEP_2) | instskip(NEXT) | instid1(VALU_DEP_1)
	v_min_u32_e32 v7, 32, v7
	v_subrev_nc_u32_e32 v8, 29, v7
	v_sub_nc_u32_e32 v7, 30, v7
	s_delay_alu instid0(VALU_DEP_2) | instskip(NEXT) | instid1(VALU_DEP_2)
	v_lshlrev_b32_e32 v3, v8, v3
	v_cndmask_b32_e32 v7, v9, v7, vcc_lo
	s_delay_alu instid0(VALU_DEP_2) | instskip(NEXT) | instid1(VALU_DEP_1)
	v_and_b32_e32 v3, 3, v3
	v_cndmask_b32_e32 v3, v5, v3, vcc_lo
	s_delay_alu instid0(VALU_DEP_3) | instskip(NEXT) | instid1(VALU_DEP_2)
	v_lshl_add_u32 v5, v7, 23, 0x37800000
	v_lshlrev_b32_e32 v3, 21, v3
	s_delay_alu instid0(VALU_DEP_1)
	v_or3_b32 v3, v4, v5, v3
.LBB102_1354:
	s_or_b32 exec_lo, exec_lo, s24
	s_mov_b32 s23, 0
	s_branch .LBB102_1360
.LBB102_1355:
	s_mov_b32 s23, -1
                                        ; implicit-def: $vgpr3
	s_branch .LBB102_1366
.LBB102_1356:
	s_or_saveexec_b32 s25, s25
	v_mov_b32_e32 v3, 0x7f800001
	s_xor_b32 exec_lo, exec_lo, s25
	s_cbranch_execz .LBB102_1340
.LBB102_1357:
	v_cmp_ne_u16_e32 vcc_lo, 0, v4
	v_mov_b32_e32 v3, 0
	s_and_not1_b32 s24, s24, exec_lo
	s_and_b32 s26, vcc_lo, exec_lo
	s_delay_alu instid0(SALU_CYCLE_1)
	s_or_b32 s24, s24, s26
	s_or_b32 exec_lo, exec_lo, s25
	s_and_saveexec_b32 s25, s24
	s_cbranch_execnz .LBB102_1341
	s_branch .LBB102_1342
.LBB102_1358:
	s_mov_b32 s23, -1
                                        ; implicit-def: $vgpr3
	s_branch .LBB102_1363
.LBB102_1359:
	s_mov_b32 s23, -1
                                        ; implicit-def: $vgpr3
.LBB102_1360:
	s_delay_alu instid0(SALU_CYCLE_1)
	s_and_b32 vcc_lo, exec_lo, s23
	s_cbranch_vccz .LBB102_1362
; %bb.1361:
	s_wait_loadcnt 0x0
	global_load_u8 v3, v[0:1], off
	s_wait_loadcnt 0x0
	v_lshlrev_b32_e32 v3, 24, v3
	s_delay_alu instid0(VALU_DEP_1) | instskip(NEXT) | instid1(VALU_DEP_1)
	v_and_b32_e32 v4, 0x7f000000, v3
	v_clz_i32_u32_e32 v5, v4
	v_add_nc_u32_e32 v8, 0x1000000, v4
	v_cmp_ne_u32_e32 vcc_lo, 0, v4
	s_delay_alu instid0(VALU_DEP_3) | instskip(NEXT) | instid1(VALU_DEP_1)
	v_min_u32_e32 v5, 32, v5
	v_sub_nc_u32_e64 v5, v5, 4 clamp
	s_delay_alu instid0(VALU_DEP_1) | instskip(NEXT) | instid1(VALU_DEP_1)
	v_dual_lshlrev_b32 v7, v5, v4 :: v_dual_lshlrev_b32 v5, 23, v5
	v_lshrrev_b32_e32 v7, 4, v7
	s_delay_alu instid0(VALU_DEP_1) | instskip(NEXT) | instid1(VALU_DEP_1)
	v_dual_sub_nc_u32 v5, v7, v5 :: v_dual_ashrrev_i32 v7, 8, v8
	v_add_nc_u32_e32 v5, 0x3c000000, v5
	s_delay_alu instid0(VALU_DEP_1) | instskip(NEXT) | instid1(VALU_DEP_1)
	v_and_or_b32 v5, 0x7f800000, v7, v5
	v_cndmask_b32_e32 v4, 0, v5, vcc_lo
	s_delay_alu instid0(VALU_DEP_1)
	v_and_or_b32 v3, 0x80000000, v3, v4
.LBB102_1362:
	s_mov_b32 s23, 0
.LBB102_1363:
	s_delay_alu instid0(SALU_CYCLE_1)
	s_and_not1_b32 vcc_lo, exec_lo, s23
	s_cbranch_vccnz .LBB102_1365
; %bb.1364:
	s_wait_loadcnt 0x0
	global_load_u8 v3, v[0:1], off
	s_wait_loadcnt 0x0
	v_lshlrev_b32_e32 v4, 25, v3
	v_lshlrev_b16 v3, 8, v3
	s_delay_alu instid0(VALU_DEP_1) | instskip(NEXT) | instid1(VALU_DEP_3)
	v_and_or_b32 v7, 0x7f00, v3, 0.5
	v_lshrrev_b32_e32 v5, 4, v4
	v_bfe_i32 v3, v3, 0, 16
	s_delay_alu instid0(VALU_DEP_3) | instskip(NEXT) | instid1(VALU_DEP_3)
	v_add_f32_e32 v7, -0.5, v7
	v_or_b32_e32 v5, 0x70000000, v5
	s_delay_alu instid0(VALU_DEP_1) | instskip(SKIP_1) | instid1(VALU_DEP_2)
	v_mul_f32_e32 v5, 0x7800000, v5
	v_cmp_gt_u32_e32 vcc_lo, 0x8000000, v4
	v_cndmask_b32_e32 v4, v5, v7, vcc_lo
	s_delay_alu instid0(VALU_DEP_1)
	v_and_or_b32 v3, 0x80000000, v3, v4
.LBB102_1365:
	s_mov_b32 s23, 0
	s_mov_b32 s24, -1
.LBB102_1366:
	s_and_not1_b32 vcc_lo, exec_lo, s23
	s_mov_b32 s23, 0
	s_cbranch_vccnz .LBB102_1377
; %bb.1367:
	s_cmp_gt_i32 s21, 14
	s_cbranch_scc0 .LBB102_1370
; %bb.1368:
	s_cmp_eq_u32 s21, 15
	s_cbranch_scc0 .LBB102_1373
; %bb.1369:
	s_wait_loadcnt 0x0
	global_load_u16 v3, v[0:1], off
	s_mov_b32 s22, 0
	s_mov_b32 s24, -1
	s_wait_loadcnt 0x0
	v_lshlrev_b32_e32 v3, 16, v3
	s_branch .LBB102_1375
.LBB102_1370:
	s_mov_b32 s23, -1
	s_branch .LBB102_1374
.LBB102_1371:
	s_or_saveexec_b32 s24, s24
	v_mov_b32_e32 v3, 0x7f800001
	s_xor_b32 exec_lo, exec_lo, s24
	s_cbranch_execz .LBB102_1352
.LBB102_1372:
	v_cmp_ne_u16_e32 vcc_lo, 0, v4
	v_mov_b32_e32 v3, 0
	s_and_not1_b32 s23, s23, exec_lo
	s_and_b32 s25, vcc_lo, exec_lo
	s_delay_alu instid0(SALU_CYCLE_1)
	s_or_b32 s23, s23, s25
	s_or_b32 exec_lo, exec_lo, s24
	s_and_saveexec_b32 s24, s23
	s_cbranch_execnz .LBB102_1353
	s_branch .LBB102_1354
.LBB102_1373:
	s_mov_b32 s22, -1
.LBB102_1374:
                                        ; implicit-def: $vgpr3
.LBB102_1375:
	s_and_b32 vcc_lo, exec_lo, s23
	s_mov_b32 s23, 0
	s_cbranch_vccz .LBB102_1377
; %bb.1376:
	s_cmp_lg_u32 s21, 11
	s_mov_b32 s23, -1
	s_cselect_b32 s21, -1, 0
	s_and_not1_b32 s22, s22, exec_lo
	s_and_b32 s21, s21, exec_lo
	s_delay_alu instid0(SALU_CYCLE_1)
	s_or_b32 s22, s22, s21
.LBB102_1377:
	s_mov_b32 s25, 0
.LBB102_1378:
	s_and_b32 s21, s24, exec_lo
	s_and_not1_b32 s20, s20, exec_lo
	s_and_b32 s24, s22, exec_lo
	s_and_b32 s25, s25, exec_lo
	s_and_b32 s22, s23, exec_lo
	s_or_b32 s20, s20, s24
	s_wait_xcnt 0x0
	s_or_b32 exec_lo, exec_lo, s19
	s_and_saveexec_b32 s19, s20
	s_cbranch_execz .LBB102_1307
.LBB102_1379:
	s_or_b32 s1, s1, exec_lo
	s_and_not1_b32 s22, s22, exec_lo
	s_trap 2
	s_or_b32 exec_lo, exec_lo, s19
	s_and_saveexec_b32 s19, s22
	s_delay_alu instid0(SALU_CYCLE_1)
	s_xor_b32 s19, exec_lo, s19
	s_cbranch_execnz .LBB102_1308
.LBB102_1380:
	s_or_b32 exec_lo, exec_lo, s19
	s_and_saveexec_b32 s19, s25
	s_cbranch_execz .LBB102_1426
.LBB102_1381:
	s_sext_i32_i16 s20, s2
	s_delay_alu instid0(SALU_CYCLE_1)
	s_cmp_lt_i32 s20, 5
	s_cbranch_scc1 .LBB102_1386
; %bb.1382:
	s_cmp_lt_i32 s20, 8
	s_cbranch_scc1 .LBB102_1387
; %bb.1383:
	;; [unrolled: 3-line block ×3, first 2 shown]
	s_cmp_gt_i32 s20, 9
	s_cbranch_scc0 .LBB102_1389
; %bb.1385:
	global_load_b64 v[4:5], v[0:1], off
	s_mov_b32 s20, 0
	s_wait_loadcnt 0x0
	v_cvt_f32_f64_e32 v3, v[4:5]
	s_branch .LBB102_1390
.LBB102_1386:
                                        ; implicit-def: $vgpr3
	s_branch .LBB102_1407
.LBB102_1387:
                                        ; implicit-def: $vgpr3
	s_branch .LBB102_1396
.LBB102_1388:
	s_mov_b32 s20, -1
                                        ; implicit-def: $vgpr3
	s_branch .LBB102_1393
.LBB102_1389:
	s_mov_b32 s20, -1
                                        ; implicit-def: $vgpr3
.LBB102_1390:
	s_delay_alu instid0(SALU_CYCLE_1)
	s_and_not1_b32 vcc_lo, exec_lo, s20
	s_cbranch_vccnz .LBB102_1392
; %bb.1391:
	s_wait_loadcnt 0x0
	global_load_b32 v3, v[0:1], off
.LBB102_1392:
	s_mov_b32 s20, 0
.LBB102_1393:
	s_delay_alu instid0(SALU_CYCLE_1)
	s_and_not1_b32 vcc_lo, exec_lo, s20
	s_cbranch_vccnz .LBB102_1395
; %bb.1394:
	s_wait_loadcnt 0x0
	global_load_b32 v3, v[0:1], off
	s_wait_loadcnt 0x0
	v_cvt_f32_f16_e32 v3, v3
.LBB102_1395:
	s_cbranch_execnz .LBB102_1406
.LBB102_1396:
	s_sext_i32_i16 s20, s2
	s_delay_alu instid0(SALU_CYCLE_1)
	s_cmp_lt_i32 s20, 6
	s_cbranch_scc1 .LBB102_1399
; %bb.1397:
	s_cmp_gt_i32 s20, 6
	s_cbranch_scc0 .LBB102_1400
; %bb.1398:
	global_load_b64 v[4:5], v[0:1], off
	s_mov_b32 s20, 0
	s_wait_loadcnt 0x0
	v_cvt_f32_f64_e32 v3, v[4:5]
	s_branch .LBB102_1401
.LBB102_1399:
	s_mov_b32 s20, -1
                                        ; implicit-def: $vgpr3
	s_branch .LBB102_1404
.LBB102_1400:
	s_mov_b32 s20, -1
                                        ; implicit-def: $vgpr3
.LBB102_1401:
	s_delay_alu instid0(SALU_CYCLE_1)
	s_and_not1_b32 vcc_lo, exec_lo, s20
	s_cbranch_vccnz .LBB102_1403
; %bb.1402:
	s_wait_loadcnt 0x0
	global_load_b32 v3, v[0:1], off
.LBB102_1403:
	s_mov_b32 s20, 0
.LBB102_1404:
	s_delay_alu instid0(SALU_CYCLE_1)
	s_and_not1_b32 vcc_lo, exec_lo, s20
	s_cbranch_vccnz .LBB102_1406
; %bb.1405:
	s_wait_loadcnt 0x0
	global_load_u16 v3, v[0:1], off
	s_wait_loadcnt 0x0
	v_cvt_f32_f16_e32 v3, v3
.LBB102_1406:
	s_cbranch_execnz .LBB102_1425
.LBB102_1407:
	s_sext_i32_i16 s20, s2
	s_delay_alu instid0(SALU_CYCLE_1)
	s_cmp_lt_i32 s20, 2
	s_cbranch_scc1 .LBB102_1411
; %bb.1408:
	s_cmp_lt_i32 s20, 3
	s_cbranch_scc1 .LBB102_1412
; %bb.1409:
	s_cmp_gt_i32 s20, 3
	s_cbranch_scc0 .LBB102_1413
; %bb.1410:
	global_load_b64 v[4:5], v[0:1], off
	s_mov_b32 s20, 0
	s_wait_loadcnt 0x0
	v_xor_b32_e32 v3, v4, v5
	v_cls_i32_e32 v7, v5
	s_delay_alu instid0(VALU_DEP_2) | instskip(NEXT) | instid1(VALU_DEP_1)
	v_ashrrev_i32_e32 v3, 31, v3
	v_add_nc_u32_e32 v3, 32, v3
	s_delay_alu instid0(VALU_DEP_1) | instskip(NEXT) | instid1(VALU_DEP_1)
	v_add_min_u32_e64 v3, v7, -1, v3
	v_lshlrev_b64_e32 v[4:5], v3, v[4:5]
	v_sub_nc_u32_e32 v3, 32, v3
	s_delay_alu instid0(VALU_DEP_2) | instskip(NEXT) | instid1(VALU_DEP_1)
	v_min_u32_e32 v4, 1, v4
	v_or_b32_e32 v4, v5, v4
	s_delay_alu instid0(VALU_DEP_1) | instskip(NEXT) | instid1(VALU_DEP_1)
	v_cvt_f32_i32_e32 v4, v4
	v_ldexp_f32 v3, v4, v3
	s_branch .LBB102_1414
.LBB102_1411:
                                        ; implicit-def: $vgpr3
	s_branch .LBB102_1420
.LBB102_1412:
	s_mov_b32 s20, -1
                                        ; implicit-def: $vgpr3
	s_branch .LBB102_1417
.LBB102_1413:
	s_mov_b32 s20, -1
                                        ; implicit-def: $vgpr3
.LBB102_1414:
	s_delay_alu instid0(SALU_CYCLE_1)
	s_and_not1_b32 vcc_lo, exec_lo, s20
	s_cbranch_vccnz .LBB102_1416
; %bb.1415:
	s_wait_loadcnt 0x0
	global_load_b32 v3, v[0:1], off
	s_wait_loadcnt 0x0
	v_cvt_f32_i32_e32 v3, v3
.LBB102_1416:
	s_mov_b32 s20, 0
.LBB102_1417:
	s_delay_alu instid0(SALU_CYCLE_1)
	s_and_not1_b32 vcc_lo, exec_lo, s20
	s_cbranch_vccnz .LBB102_1419
; %bb.1418:
	s_wait_loadcnt 0x0
	global_load_i16 v3, v[0:1], off
	s_wait_loadcnt 0x0
	v_cvt_f32_i32_e32 v3, v3
.LBB102_1419:
	s_cbranch_execnz .LBB102_1425
.LBB102_1420:
	s_sext_i32_i16 s2, s2
	s_delay_alu instid0(SALU_CYCLE_1)
	s_cmp_gt_i32 s2, 0
	s_mov_b32 s2, 0
	s_cbranch_scc0 .LBB102_1422
; %bb.1421:
	s_wait_loadcnt 0x0
	global_load_i8 v3, v[0:1], off
	s_wait_loadcnt 0x0
	v_cvt_f32_i32_e32 v3, v3
	s_branch .LBB102_1423
.LBB102_1422:
	s_mov_b32 s2, -1
                                        ; implicit-def: $vgpr3
.LBB102_1423:
	s_delay_alu instid0(SALU_CYCLE_1)
	s_and_not1_b32 vcc_lo, exec_lo, s2
	s_cbranch_vccnz .LBB102_1425
; %bb.1424:
	global_load_u8 v0, v[0:1], off
	s_wait_loadcnt 0x0
	v_cvt_f32_ubyte0_e32 v3, v0
.LBB102_1425:
	s_or_b32 s21, s21, exec_lo
.LBB102_1426:
	s_wait_xcnt 0x0
	s_or_b32 exec_lo, exec_lo, s19
	s_mov_b32 s23, 0
	s_mov_b32 s22, 0
                                        ; implicit-def: $sgpr2
                                        ; implicit-def: $sgpr19
                                        ; implicit-def: $vgpr0_vgpr1
	s_and_saveexec_b32 s20, s21
	s_cbranch_execz .LBB102_1434
; %bb.1427:
	s_wait_loadcnt 0x0
	s_delay_alu instid0(VALU_DEP_1) | instskip(SKIP_2) | instid1(SALU_CYCLE_1)
	v_cmp_eq_f32_e32 vcc_lo, v2, v3
	v_mul_lo_u32 v0, v6, s8
	s_and_b32 s19, s3, 0xff
	s_cmp_lt_i32 s19, 11
	v_cndmask_b32_e64 v1, 0, 1, vcc_lo
	v_cmp_neq_f32_e32 vcc_lo, v2, v3
	v_cndmask_b32_e64 v2, 0, 1, vcc_lo
	s_delay_alu instid0(VALU_DEP_1) | instskip(NEXT) | instid1(VALU_DEP_1)
	v_dual_cndmask_b32 v2, v2, v1, s0 :: v_dual_ashrrev_i32 v1, 31, v0
	v_and_b32_e32 v2, 1, v2
	s_delay_alu instid0(VALU_DEP_2) | instskip(NEXT) | instid1(VALU_DEP_2)
	v_add_nc_u64_e32 v[0:1], s[4:5], v[0:1]
	v_cmp_eq_u32_e64 s2, 1, v2
	s_cbranch_scc1 .LBB102_1437
; %bb.1428:
	s_and_b32 s21, 0xffff, s19
	s_mov_b32 s22, -1
	s_cmp_gt_i32 s21, 25
	s_mov_b32 s0, s18
	s_cbranch_scc0 .LBB102_1465
; %bb.1429:
	s_cmp_gt_i32 s21, 28
	s_mov_b32 s0, s18
	s_cbranch_scc0 .LBB102_1449
; %bb.1430:
	s_cmp_gt_i32 s21, 43
	s_mov_b32 s0, s18
	s_cbranch_scc0 .LBB102_1445
; %bb.1431:
	s_cmp_gt_i32 s21, 45
	s_mov_b32 s0, s18
	s_cbranch_scc0 .LBB102_1439
; %bb.1432:
	s_cmp_eq_u32 s21, 46
	s_mov_b32 s0, -1
	s_cbranch_scc0 .LBB102_1438
; %bb.1433:
	v_cndmask_b32_e64 v2, 0, 1.0, s2
	s_mov_b32 s0, 0
	s_mov_b32 s22, 0
	s_delay_alu instid0(VALU_DEP_1) | instskip(NEXT) | instid1(VALU_DEP_1)
	v_bfe_u32 v3, v2, 16, 1
	v_add3_u32 v2, v2, v3, 0x7fff
	s_delay_alu instid0(VALU_DEP_1)
	v_lshrrev_b32_e32 v2, 16, v2
	global_store_b32 v[0:1], v2, off
	s_branch .LBB102_1439
.LBB102_1434:
	s_or_b32 exec_lo, exec_lo, s20
	s_and_saveexec_b32 s0, s18
	s_cbranch_execnz .LBB102_1507
.LBB102_1435:
	s_or_b32 exec_lo, exec_lo, s0
	s_and_saveexec_b32 s0, s23
	s_delay_alu instid0(SALU_CYCLE_1)
	s_xor_b32 s0, exec_lo, s0
	s_cbranch_execz .LBB102_1508
.LBB102_1436:
	s_wait_loadcnt 0x0
	v_cndmask_b32_e64 v2, 0, 1, s2
	global_store_b8 v[0:1], v2, off
	s_wait_xcnt 0x0
	s_or_b32 exec_lo, exec_lo, s0
	s_and_saveexec_b32 s0, s22
	s_delay_alu instid0(SALU_CYCLE_1)
	s_xor_b32 s0, exec_lo, s0
	s_cbranch_execz .LBB102_1546
	s_branch .LBB102_1509
.LBB102_1437:
	s_mov_b32 s22, -1
	s_mov_b32 s0, s18
	s_branch .LBB102_1506
.LBB102_1438:
	s_mov_b32 s22, 0
.LBB102_1439:
	s_delay_alu instid0(SALU_CYCLE_1)
	s_and_b32 vcc_lo, exec_lo, s22
	s_cbranch_vccz .LBB102_1444
; %bb.1440:
	s_cmp_eq_u32 s21, 44
	s_mov_b32 s0, -1
	s_cbranch_scc0 .LBB102_1444
; %bb.1441:
	v_cndmask_b32_e64 v4, 0, 1.0, s2
	s_mov_b32 s22, exec_lo
	s_wait_xcnt 0x0
	s_delay_alu instid0(VALU_DEP_1) | instskip(NEXT) | instid1(VALU_DEP_1)
	v_dual_mov_b32 v3, 0xff :: v_dual_lshrrev_b32 v2, 23, v4
	v_cmpx_ne_u32_e32 0xff, v2
; %bb.1442:
	v_and_b32_e32 v3, 0x400000, v4
	v_and_or_b32 v4, 0x3fffff, v4, v2
	s_delay_alu instid0(VALU_DEP_2) | instskip(NEXT) | instid1(VALU_DEP_2)
	v_cmp_ne_u32_e32 vcc_lo, 0, v3
	v_cmp_ne_u32_e64 s0, 0, v4
	s_and_b32 s0, vcc_lo, s0
	s_delay_alu instid0(SALU_CYCLE_1) | instskip(NEXT) | instid1(VALU_DEP_1)
	v_cndmask_b32_e64 v3, 0, 1, s0
	v_add_nc_u32_e32 v3, v2, v3
; %bb.1443:
	s_or_b32 exec_lo, exec_lo, s22
	s_mov_b32 s0, 0
	global_store_b8 v[0:1], v3, off
.LBB102_1444:
	s_mov_b32 s22, 0
.LBB102_1445:
	s_delay_alu instid0(SALU_CYCLE_1)
	s_and_b32 vcc_lo, exec_lo, s22
	s_cbranch_vccz .LBB102_1448
; %bb.1446:
	s_cmp_eq_u32 s21, 29
	s_mov_b32 s0, -1
	s_cbranch_scc0 .LBB102_1448
; %bb.1447:
	s_mov_b32 s0, 0
	s_wait_xcnt 0x0
	v_cndmask_b32_e64 v2, 0, 1, s2
	v_mov_b32_e32 v3, s0
	s_mov_b32 s22, 0
	global_store_b64 v[0:1], v[2:3], off
	s_branch .LBB102_1449
.LBB102_1448:
	s_mov_b32 s22, 0
.LBB102_1449:
	s_delay_alu instid0(SALU_CYCLE_1)
	s_and_b32 vcc_lo, exec_lo, s22
	s_cbranch_vccz .LBB102_1464
; %bb.1450:
	s_cmp_lt_i32 s21, 27
	s_mov_b32 s22, -1
	s_cbranch_scc1 .LBB102_1456
; %bb.1451:
	s_wait_xcnt 0x0
	v_cndmask_b32_e64 v2, 0, 1, s2
	s_cmp_gt_i32 s21, 27
	s_cbranch_scc0 .LBB102_1453
; %bb.1452:
	s_mov_b32 s22, 0
	global_store_b32 v[0:1], v2, off
.LBB102_1453:
	s_and_not1_b32 vcc_lo, exec_lo, s22
	s_cbranch_vccnz .LBB102_1455
; %bb.1454:
	global_store_b16 v[0:1], v2, off
.LBB102_1455:
	s_mov_b32 s22, 0
.LBB102_1456:
	s_delay_alu instid0(SALU_CYCLE_1)
	s_and_not1_b32 vcc_lo, exec_lo, s22
	s_cbranch_vccnz .LBB102_1464
; %bb.1457:
	s_wait_xcnt 0x0
	v_cndmask_b32_e64 v3, 0, 1.0, s2
	v_mov_b32_e32 v4, 0x80
	s_mov_b32 s22, exec_lo
	s_delay_alu instid0(VALU_DEP_2)
	v_cmpx_gt_u32_e32 0x43800000, v3
	s_cbranch_execz .LBB102_1463
; %bb.1458:
	s_mov_b32 s24, exec_lo
                                        ; implicit-def: $vgpr2
	v_cmpx_lt_u32_e32 0x3bffffff, v3
	s_xor_b32 s24, exec_lo, s24
	s_cbranch_execz .LBB102_1561
; %bb.1459:
	v_bfe_u32 v2, v3, 20, 1
	s_mov_b32 s23, exec_lo
	s_delay_alu instid0(VALU_DEP_1) | instskip(NEXT) | instid1(VALU_DEP_1)
	v_add3_u32 v2, v3, v2, 0x487ffff
                                        ; implicit-def: $vgpr3
	v_lshrrev_b32_e32 v2, 20, v2
	s_and_not1_saveexec_b32 s24, s24
	s_cbranch_execnz .LBB102_1562
.LBB102_1460:
	s_or_b32 exec_lo, exec_lo, s24
	v_mov_b32_e32 v4, 0
	s_and_saveexec_b32 s24, s23
.LBB102_1461:
	v_mov_b32_e32 v4, v2
.LBB102_1462:
	s_or_b32 exec_lo, exec_lo, s24
.LBB102_1463:
	s_delay_alu instid0(SALU_CYCLE_1)
	s_or_b32 exec_lo, exec_lo, s22
	global_store_b8 v[0:1], v4, off
.LBB102_1464:
	s_mov_b32 s22, 0
.LBB102_1465:
	s_delay_alu instid0(SALU_CYCLE_1)
	s_and_b32 vcc_lo, exec_lo, s22
	s_mov_b32 s22, 0
	s_cbranch_vccz .LBB102_1505
; %bb.1466:
	s_cmp_gt_i32 s21, 22
	s_mov_b32 s23, -1
	s_cbranch_scc0 .LBB102_1498
; %bb.1467:
	s_cmp_lt_i32 s21, 24
	s_cbranch_scc1 .LBB102_1487
; %bb.1468:
	s_cmp_gt_i32 s21, 24
	s_cbranch_scc0 .LBB102_1476
; %bb.1469:
	s_wait_xcnt 0x0
	v_cndmask_b32_e64 v3, 0, 1.0, s2
	v_mov_b32_e32 v4, 0x80
	s_mov_b32 s23, exec_lo
	s_delay_alu instid0(VALU_DEP_2)
	v_cmpx_gt_u32_e32 0x47800000, v3
	s_cbranch_execz .LBB102_1475
; %bb.1470:
	s_mov_b32 s24, 0
	s_mov_b32 s25, exec_lo
                                        ; implicit-def: $vgpr2
	v_cmpx_lt_u32_e32 0x37ffffff, v3
	s_xor_b32 s25, exec_lo, s25
	s_cbranch_execz .LBB102_1687
; %bb.1471:
	v_bfe_u32 v2, v3, 21, 1
	s_mov_b32 s24, exec_lo
	s_delay_alu instid0(VALU_DEP_1) | instskip(NEXT) | instid1(VALU_DEP_1)
	v_add3_u32 v2, v3, v2, 0x88fffff
                                        ; implicit-def: $vgpr3
	v_lshrrev_b32_e32 v2, 21, v2
	s_and_not1_saveexec_b32 s25, s25
	s_cbranch_execnz .LBB102_1688
.LBB102_1472:
	s_or_b32 exec_lo, exec_lo, s25
	v_mov_b32_e32 v4, 0
	s_and_saveexec_b32 s25, s24
.LBB102_1473:
	v_mov_b32_e32 v4, v2
.LBB102_1474:
	s_or_b32 exec_lo, exec_lo, s25
.LBB102_1475:
	s_delay_alu instid0(SALU_CYCLE_1)
	s_or_b32 exec_lo, exec_lo, s23
	s_mov_b32 s23, 0
	global_store_b8 v[0:1], v4, off
.LBB102_1476:
	s_and_b32 vcc_lo, exec_lo, s23
	s_cbranch_vccz .LBB102_1486
; %bb.1477:
	s_wait_xcnt 0x0
	v_cndmask_b32_e64 v3, 0, 1.0, s2
	s_mov_b32 s23, exec_lo
                                        ; implicit-def: $vgpr2
	s_delay_alu instid0(VALU_DEP_1)
	v_cmpx_gt_u32_e32 0x43f00000, v3
	s_xor_b32 s23, exec_lo, s23
	s_cbranch_execz .LBB102_1483
; %bb.1478:
	s_mov_b32 s24, exec_lo
                                        ; implicit-def: $vgpr2
	v_cmpx_lt_u32_e32 0x3c7fffff, v3
	s_xor_b32 s24, exec_lo, s24
; %bb.1479:
	v_bfe_u32 v2, v3, 20, 1
	s_delay_alu instid0(VALU_DEP_1) | instskip(NEXT) | instid1(VALU_DEP_1)
	v_add3_u32 v2, v3, v2, 0x407ffff
	v_and_b32_e32 v3, 0xff00000, v2
	v_lshrrev_b32_e32 v2, 20, v2
	s_delay_alu instid0(VALU_DEP_2) | instskip(NEXT) | instid1(VALU_DEP_2)
	v_cmp_ne_u32_e32 vcc_lo, 0x7f00000, v3
                                        ; implicit-def: $vgpr3
	v_cndmask_b32_e32 v2, 0x7e, v2, vcc_lo
; %bb.1480:
	s_and_not1_saveexec_b32 s24, s24
; %bb.1481:
	v_add_f32_e32 v2, 0x46800000, v3
; %bb.1482:
	s_or_b32 exec_lo, exec_lo, s24
                                        ; implicit-def: $vgpr3
.LBB102_1483:
	s_and_not1_saveexec_b32 s23, s23
; %bb.1484:
	v_mov_b32_e32 v2, 0x7f
	v_cmp_lt_u32_e32 vcc_lo, 0x7f800000, v3
	s_delay_alu instid0(VALU_DEP_2)
	v_cndmask_b32_e32 v2, 0x7e, v2, vcc_lo
; %bb.1485:
	s_or_b32 exec_lo, exec_lo, s23
	global_store_b8 v[0:1], v2, off
.LBB102_1486:
	s_mov_b32 s23, 0
.LBB102_1487:
	s_delay_alu instid0(SALU_CYCLE_1)
	s_and_not1_b32 vcc_lo, exec_lo, s23
	s_cbranch_vccnz .LBB102_1497
; %bb.1488:
	s_wait_xcnt 0x0
	v_cndmask_b32_e64 v3, 0, 1.0, s2
	s_mov_b32 s23, exec_lo
                                        ; implicit-def: $vgpr2
	s_delay_alu instid0(VALU_DEP_1)
	v_cmpx_gt_u32_e32 0x47800000, v3
	s_xor_b32 s23, exec_lo, s23
	s_cbranch_execz .LBB102_1494
; %bb.1489:
	s_mov_b32 s24, exec_lo
                                        ; implicit-def: $vgpr2
	v_cmpx_lt_u32_e32 0x387fffff, v3
	s_xor_b32 s24, exec_lo, s24
; %bb.1490:
	v_bfe_u32 v2, v3, 21, 1
	s_delay_alu instid0(VALU_DEP_1) | instskip(NEXT) | instid1(VALU_DEP_1)
	v_add3_u32 v2, v3, v2, 0x80fffff
                                        ; implicit-def: $vgpr3
	v_lshrrev_b32_e32 v2, 21, v2
; %bb.1491:
	s_and_not1_saveexec_b32 s24, s24
; %bb.1492:
	v_add_f32_e32 v2, 0x43000000, v3
; %bb.1493:
	s_or_b32 exec_lo, exec_lo, s24
                                        ; implicit-def: $vgpr3
.LBB102_1494:
	s_and_not1_saveexec_b32 s23, s23
; %bb.1495:
	v_mov_b32_e32 v2, 0x7f
	v_cmp_lt_u32_e32 vcc_lo, 0x7f800000, v3
	s_delay_alu instid0(VALU_DEP_2)
	v_cndmask_b32_e32 v2, 0x7c, v2, vcc_lo
; %bb.1496:
	s_or_b32 exec_lo, exec_lo, s23
	global_store_b8 v[0:1], v2, off
.LBB102_1497:
	s_mov_b32 s23, 0
.LBB102_1498:
	s_delay_alu instid0(SALU_CYCLE_1)
	s_and_not1_b32 vcc_lo, exec_lo, s23
	s_mov_b32 s23, 0
	s_cbranch_vccnz .LBB102_1506
; %bb.1499:
	s_cmp_gt_i32 s21, 14
	s_mov_b32 s23, -1
	s_cbranch_scc0 .LBB102_1503
; %bb.1500:
	s_cmp_eq_u32 s21, 15
	s_mov_b32 s0, -1
	s_cbranch_scc0 .LBB102_1502
; %bb.1501:
	s_wait_xcnt 0x0
	v_cndmask_b32_e64 v2, 0, 1.0, s2
	s_mov_b32 s0, 0
	s_delay_alu instid0(VALU_DEP_1) | instskip(NEXT) | instid1(VALU_DEP_1)
	v_bfe_u32 v3, v2, 16, 1
	v_add3_u32 v2, v2, v3, 0x7fff
	global_store_d16_hi_b16 v[0:1], v2, off
.LBB102_1502:
	s_mov_b32 s23, 0
.LBB102_1503:
	s_delay_alu instid0(SALU_CYCLE_1)
	s_and_b32 vcc_lo, exec_lo, s23
	s_mov_b32 s23, 0
	s_cbranch_vccz .LBB102_1506
; %bb.1504:
	s_cmp_lg_u32 s21, 11
	s_mov_b32 s23, -1
	s_cselect_b32 s21, -1, 0
	s_and_not1_b32 s0, s0, exec_lo
	s_and_b32 s21, s21, exec_lo
	s_delay_alu instid0(SALU_CYCLE_1)
	s_or_b32 s0, s0, s21
	s_branch .LBB102_1506
.LBB102_1505:
	s_mov_b32 s23, 0
.LBB102_1506:
	s_and_not1_b32 s18, s18, exec_lo
	s_and_b32 s0, s0, exec_lo
	s_and_b32 s22, s22, exec_lo
	;; [unrolled: 1-line block ×3, first 2 shown]
	s_or_b32 s18, s18, s0
	s_wait_xcnt 0x0
	s_or_b32 exec_lo, exec_lo, s20
	s_and_saveexec_b32 s0, s18
	s_cbranch_execz .LBB102_1435
.LBB102_1507:
	s_or_b32 s1, s1, exec_lo
	s_and_not1_b32 s23, s23, exec_lo
	s_trap 2
	s_or_b32 exec_lo, exec_lo, s0
	s_and_saveexec_b32 s0, s23
	s_delay_alu instid0(SALU_CYCLE_1)
	s_xor_b32 s0, exec_lo, s0
	s_cbranch_execnz .LBB102_1436
.LBB102_1508:
	s_or_b32 exec_lo, exec_lo, s0
	s_and_saveexec_b32 s0, s22
	s_delay_alu instid0(SALU_CYCLE_1)
	s_xor_b32 s0, exec_lo, s0
	s_cbranch_execz .LBB102_1546
.LBB102_1509:
	s_sext_i32_i16 s20, s19
	s_mov_b32 s18, -1
	s_cmp_lt_i32 s20, 5
	s_cbranch_scc1 .LBB102_1530
; %bb.1510:
	s_cmp_lt_i32 s20, 8
	s_cbranch_scc1 .LBB102_1520
; %bb.1511:
	;; [unrolled: 3-line block ×3, first 2 shown]
	s_cmp_gt_i32 s20, 9
	s_cbranch_scc0 .LBB102_1514
; %bb.1513:
	s_wait_loadcnt 0x0
	v_cndmask_b32_e64 v2, 0, 1, s2
	v_mov_b32_e32 v4, 0
	s_mov_b32 s18, 0
	s_delay_alu instid0(VALU_DEP_2) | instskip(NEXT) | instid1(VALU_DEP_2)
	v_cvt_f64_u32_e32 v[2:3], v2
	v_mov_b32_e32 v5, v4
	global_store_b128 v[0:1], v[2:5], off
.LBB102_1514:
	s_and_not1_b32 vcc_lo, exec_lo, s18
	s_cbranch_vccnz .LBB102_1516
; %bb.1515:
	s_wait_loadcnt 0x0
	v_cndmask_b32_e64 v2, 0, 1.0, s2
	v_mov_b32_e32 v3, 0
	global_store_b64 v[0:1], v[2:3], off
.LBB102_1516:
	s_mov_b32 s18, 0
.LBB102_1517:
	s_delay_alu instid0(SALU_CYCLE_1)
	s_and_not1_b32 vcc_lo, exec_lo, s18
	s_cbranch_vccnz .LBB102_1519
; %bb.1518:
	s_wait_loadcnt 0x0
	v_cndmask_b32_e64 v2, 0, 1.0, s2
	s_delay_alu instid0(VALU_DEP_1) | instskip(NEXT) | instid1(VALU_DEP_1)
	v_cvt_f16_f32_e32 v2, v2
	v_and_b32_e32 v2, 0xffff, v2
	global_store_b32 v[0:1], v2, off
.LBB102_1519:
	s_mov_b32 s18, 0
.LBB102_1520:
	s_delay_alu instid0(SALU_CYCLE_1)
	s_and_not1_b32 vcc_lo, exec_lo, s18
	s_cbranch_vccnz .LBB102_1529
; %bb.1521:
	s_sext_i32_i16 s20, s19
	s_mov_b32 s18, -1
	s_cmp_lt_i32 s20, 6
	s_cbranch_scc1 .LBB102_1527
; %bb.1522:
	s_cmp_gt_i32 s20, 6
	s_cbranch_scc0 .LBB102_1524
; %bb.1523:
	s_wait_loadcnt 0x0
	v_cndmask_b32_e64 v2, 0, 1, s2
	s_mov_b32 s18, 0
	s_delay_alu instid0(VALU_DEP_1)
	v_cvt_f64_u32_e32 v[2:3], v2
	global_store_b64 v[0:1], v[2:3], off
.LBB102_1524:
	s_and_not1_b32 vcc_lo, exec_lo, s18
	s_cbranch_vccnz .LBB102_1526
; %bb.1525:
	s_wait_loadcnt 0x0
	v_cndmask_b32_e64 v2, 0, 1.0, s2
	global_store_b32 v[0:1], v2, off
.LBB102_1526:
	s_mov_b32 s18, 0
.LBB102_1527:
	s_delay_alu instid0(SALU_CYCLE_1)
	s_and_not1_b32 vcc_lo, exec_lo, s18
	s_cbranch_vccnz .LBB102_1529
; %bb.1528:
	s_wait_loadcnt 0x0
	v_cndmask_b32_e64 v2, 0, 1.0, s2
	s_delay_alu instid0(VALU_DEP_1)
	v_cvt_f16_f32_e32 v2, v2
	global_store_b16 v[0:1], v2, off
.LBB102_1529:
	s_mov_b32 s18, 0
.LBB102_1530:
	s_delay_alu instid0(SALU_CYCLE_1)
	s_and_not1_b32 vcc_lo, exec_lo, s18
	s_cbranch_vccnz .LBB102_1546
; %bb.1531:
	s_sext_i32_i16 s20, s19
	s_mov_b32 s18, -1
	s_cmp_lt_i32 s20, 2
	s_cbranch_scc1 .LBB102_1541
; %bb.1532:
	s_cmp_lt_i32 s20, 3
	s_cbranch_scc1 .LBB102_1538
; %bb.1533:
	s_cmp_gt_i32 s20, 3
	s_cbranch_scc0 .LBB102_1535
; %bb.1534:
	s_mov_b32 s18, 0
	s_wait_loadcnt 0x0
	v_cndmask_b32_e64 v2, 0, 1, s2
	v_mov_b32_e32 v3, s18
	global_store_b64 v[0:1], v[2:3], off
.LBB102_1535:
	s_and_not1_b32 vcc_lo, exec_lo, s18
	s_cbranch_vccnz .LBB102_1537
; %bb.1536:
	s_wait_loadcnt 0x0
	v_cndmask_b32_e64 v2, 0, 1, s2
	global_store_b32 v[0:1], v2, off
.LBB102_1537:
	s_mov_b32 s18, 0
.LBB102_1538:
	s_delay_alu instid0(SALU_CYCLE_1)
	s_and_not1_b32 vcc_lo, exec_lo, s18
	s_cbranch_vccnz .LBB102_1540
; %bb.1539:
	s_wait_loadcnt 0x0
	v_cndmask_b32_e64 v2, 0, 1, s2
	global_store_b16 v[0:1], v2, off
.LBB102_1540:
	s_mov_b32 s18, 0
.LBB102_1541:
	s_delay_alu instid0(SALU_CYCLE_1)
	s_and_not1_b32 vcc_lo, exec_lo, s18
	s_cbranch_vccnz .LBB102_1546
; %bb.1542:
	s_wait_loadcnt 0x0
	v_cndmask_b32_e64 v2, 0, 1, s2
	s_sext_i32_i16 s18, s19
	s_mov_b32 s2, -1
	s_cmp_gt_i32 s18, 0
	s_cbranch_scc0 .LBB102_1544
; %bb.1543:
	s_mov_b32 s2, 0
	global_store_b8 v[0:1], v2, off
.LBB102_1544:
	s_and_not1_b32 vcc_lo, exec_lo, s2
	s_cbranch_vccnz .LBB102_1546
; %bb.1545:
	global_store_b8 v[0:1], v2, off
.LBB102_1546:
	s_wait_xcnt 0x0
	s_or_b32 exec_lo, exec_lo, s0
	s_delay_alu instid0(SALU_CYCLE_1)
	s_and_b32 s18, s1, exec_lo
                                        ; implicit-def: $vgpr6
.LBB102_1547:
	s_or_saveexec_b32 s17, s17
	s_mov_b32 s0, 0
                                        ; implicit-def: $sgpr1
                                        ; implicit-def: $sgpr19
                                        ; implicit-def: $vgpr0_vgpr1
	s_xor_b32 exec_lo, exec_lo, s17
	s_cbranch_execz .LBB102_3024
; %bb.1548:
	v_mul_lo_u32 v0, s9, v6
	s_and_b32 s0, s16, 0xff
	s_delay_alu instid0(SALU_CYCLE_1) | instskip(NEXT) | instid1(VALU_DEP_1)
	s_cmp_lt_i32 s0, 11
	v_ashrrev_i32_e32 v1, 31, v0
	s_wait_loadcnt 0x0
	s_delay_alu instid0(VALU_DEP_1)
	v_add_nc_u64_e32 v[2:3], s[6:7], v[0:1]
	s_cbranch_scc1 .LBB102_1555
; %bb.1549:
	s_and_b32 s1, 0xffff, s0
	s_mov_b32 s16, 0
	s_cmp_gt_i32 s1, 25
	s_cbranch_scc0 .LBB102_1557
; %bb.1550:
	s_cmp_gt_i32 s1, 28
	s_cbranch_scc0 .LBB102_1558
; %bb.1551:
	s_cmp_gt_i32 s1, 43
	s_cbranch_scc0 .LBB102_1559
; %bb.1552:
	s_cmp_gt_i32 s1, 45
	s_cbranch_scc0 .LBB102_1560
; %bb.1553:
	s_cmp_eq_u32 s1, 46
	s_cbranch_scc0 .LBB102_1563
; %bb.1554:
	global_load_b32 v1, v[2:3], off
	s_mov_b32 s2, 0
	s_mov_b32 s19, -1
	s_wait_loadcnt 0x0
	v_lshlrev_b32_e32 v7, 16, v1
	s_branch .LBB102_1565
.LBB102_1555:
	s_mov_b32 s19, 0
	s_mov_b32 s15, s18
                                        ; implicit-def: $vgpr7
	s_cbranch_execnz .LBB102_1628
.LBB102_1556:
	s_and_not1_b32 vcc_lo, exec_lo, s19
	s_cbranch_vccz .LBB102_1673
	s_branch .LBB102_3022
.LBB102_1557:
	s_mov_b32 s19, 0
	s_mov_b32 s2, 0
                                        ; implicit-def: $vgpr7
	s_cbranch_execnz .LBB102_1593
	s_branch .LBB102_1624
.LBB102_1558:
	s_mov_b32 s15, -1
	s_mov_b32 s19, 0
	s_mov_b32 s2, 0
                                        ; implicit-def: $vgpr7
	s_branch .LBB102_1574
.LBB102_1559:
	s_mov_b32 s19, 0
	s_mov_b32 s2, 0
                                        ; implicit-def: $vgpr7
	s_cbranch_execnz .LBB102_1570
	s_branch .LBB102_1573
.LBB102_1560:
	s_mov_b32 s15, -1
	s_mov_b32 s19, 0
	s_mov_b32 s2, 0
	s_branch .LBB102_1564
.LBB102_1561:
	s_and_not1_saveexec_b32 s24, s24
	s_cbranch_execz .LBB102_1460
.LBB102_1562:
	v_add_f32_e32 v2, 0x46000000, v3
	s_and_not1_b32 s23, s23, exec_lo
	s_delay_alu instid0(VALU_DEP_1) | instskip(NEXT) | instid1(VALU_DEP_1)
	v_and_b32_e32 v2, 0xff, v2
	v_cmp_ne_u32_e32 vcc_lo, 0, v2
	s_and_b32 s25, vcc_lo, exec_lo
	s_delay_alu instid0(SALU_CYCLE_1)
	s_or_b32 s23, s23, s25
	s_or_b32 exec_lo, exec_lo, s24
	v_mov_b32_e32 v4, 0
	s_and_saveexec_b32 s24, s23
	s_cbranch_execnz .LBB102_1461
	s_branch .LBB102_1462
.LBB102_1563:
	s_mov_b32 s2, -1
	s_mov_b32 s19, 0
.LBB102_1564:
                                        ; implicit-def: $vgpr7
.LBB102_1565:
	s_and_b32 vcc_lo, exec_lo, s15
	s_cbranch_vccz .LBB102_1568
; %bb.1566:
	s_cmp_eq_u32 s1, 44
	s_cbranch_scc0 .LBB102_1569
; %bb.1567:
	global_load_u8 v1, v[2:3], off
	s_mov_b32 s2, 0
	s_mov_b32 s19, -1
	s_wait_loadcnt 0x0
	v_lshlrev_b32_e32 v4, 23, v1
	v_cmp_ne_u32_e32 vcc_lo, 0xff, v1
	s_delay_alu instid0(VALU_DEP_2) | instskip(SKIP_1) | instid1(VALU_DEP_2)
	v_cndmask_b32_e32 v4, 0x7f800001, v4, vcc_lo
	v_cmp_ne_u32_e32 vcc_lo, 0, v1
	v_cndmask_b32_e32 v7, 0x400000, v4, vcc_lo
.LBB102_1568:
	s_branch .LBB102_1573
.LBB102_1569:
	s_mov_b32 s2, -1
                                        ; implicit-def: $vgpr7
	s_branch .LBB102_1573
.LBB102_1570:
	s_cmp_eq_u32 s1, 29
	s_cbranch_scc0 .LBB102_1572
; %bb.1571:
	global_load_b64 v[4:5], v[2:3], off
	s_mov_b32 s2, 0
	s_mov_b32 s19, -1
	s_mov_b32 s15, 0
	s_wait_loadcnt 0x0
	v_clz_i32_u32_e32 v1, v5
	s_delay_alu instid0(VALU_DEP_1) | instskip(NEXT) | instid1(VALU_DEP_1)
	v_min_u32_e32 v1, 32, v1
	v_lshlrev_b64_e32 v[4:5], v1, v[4:5]
	v_sub_nc_u32_e32 v1, 32, v1
	s_delay_alu instid0(VALU_DEP_2) | instskip(NEXT) | instid1(VALU_DEP_1)
	v_min_u32_e32 v4, 1, v4
	v_or_b32_e32 v4, v5, v4
	s_delay_alu instid0(VALU_DEP_1) | instskip(NEXT) | instid1(VALU_DEP_1)
	v_cvt_f32_u32_e32 v4, v4
	v_ldexp_f32 v7, v4, v1
	s_branch .LBB102_1574
.LBB102_1572:
	s_mov_b32 s2, -1
                                        ; implicit-def: $vgpr7
.LBB102_1573:
	s_mov_b32 s15, 0
.LBB102_1574:
	s_delay_alu instid0(SALU_CYCLE_1)
	s_and_b32 vcc_lo, exec_lo, s15
	s_cbranch_vccz .LBB102_1592
; %bb.1575:
	s_cmp_lt_i32 s1, 27
	s_cbranch_scc1 .LBB102_1578
; %bb.1576:
	s_cmp_gt_i32 s1, 27
	s_cbranch_scc0 .LBB102_1579
; %bb.1577:
	global_load_b32 v1, v[2:3], off
	s_mov_b32 s15, 0
	s_wait_loadcnt 0x0
	v_cvt_f32_u32_e32 v7, v1
	s_branch .LBB102_1580
.LBB102_1578:
	s_mov_b32 s15, -1
                                        ; implicit-def: $vgpr7
	s_branch .LBB102_1583
.LBB102_1579:
	s_mov_b32 s15, -1
                                        ; implicit-def: $vgpr7
.LBB102_1580:
	s_delay_alu instid0(SALU_CYCLE_1)
	s_and_not1_b32 vcc_lo, exec_lo, s15
	s_cbranch_vccnz .LBB102_1582
; %bb.1581:
	global_load_u16 v1, v[2:3], off
	s_wait_loadcnt 0x0
	v_cvt_f32_u32_e32 v7, v1
.LBB102_1582:
	s_mov_b32 s15, 0
.LBB102_1583:
	s_delay_alu instid0(SALU_CYCLE_1)
	s_and_not1_b32 vcc_lo, exec_lo, s15
	s_cbranch_vccnz .LBB102_1591
; %bb.1584:
	global_load_u8 v1, v[2:3], off
	s_mov_b32 s15, 0
	s_mov_b32 s19, exec_lo
	s_wait_loadcnt 0x0
	v_cmpx_lt_i16_e32 0x7f, v1
	s_xor_b32 s19, exec_lo, s19
	s_cbranch_execz .LBB102_1604
; %bb.1585:
	s_mov_b32 s15, -1
	s_mov_b32 s20, exec_lo
	v_cmpx_eq_u16_e32 0x80, v1
; %bb.1586:
	s_xor_b32 s15, exec_lo, -1
; %bb.1587:
	s_or_b32 exec_lo, exec_lo, s20
	s_delay_alu instid0(SALU_CYCLE_1)
	s_and_b32 s15, s15, exec_lo
	s_or_saveexec_b32 s19, s19
	v_mov_b32_e32 v7, 0x7f800001
	s_xor_b32 exec_lo, exec_lo, s19
	s_cbranch_execnz .LBB102_1605
.LBB102_1588:
	s_or_b32 exec_lo, exec_lo, s19
	s_and_saveexec_b32 s19, s15
	s_cbranch_execz .LBB102_1590
.LBB102_1589:
	v_and_b32_e32 v4, 0xffff, v1
	s_delay_alu instid0(VALU_DEP_1) | instskip(SKIP_1) | instid1(VALU_DEP_2)
	v_and_b32_e32 v5, 7, v4
	v_bfe_u32 v9, v4, 3, 4
	v_clz_i32_u32_e32 v7, v5
	s_delay_alu instid0(VALU_DEP_2) | instskip(NEXT) | instid1(VALU_DEP_2)
	v_cmp_eq_u32_e32 vcc_lo, 0, v9
	v_min_u32_e32 v7, 32, v7
	s_delay_alu instid0(VALU_DEP_1) | instskip(NEXT) | instid1(VALU_DEP_1)
	v_subrev_nc_u32_e32 v8, 28, v7
	v_dual_lshlrev_b32 v4, v8, v4 :: v_dual_sub_nc_u32 v7, 29, v7
	s_delay_alu instid0(VALU_DEP_1) | instskip(NEXT) | instid1(VALU_DEP_2)
	v_dual_lshlrev_b32 v1, 24, v1 :: v_dual_bitop2_b32 v4, 7, v4 bitop3:0x40
	v_cndmask_b32_e32 v7, v9, v7, vcc_lo
	s_delay_alu instid0(VALU_DEP_2) | instskip(NEXT) | instid1(VALU_DEP_3)
	v_cndmask_b32_e32 v4, v5, v4, vcc_lo
	v_and_b32_e32 v1, 0x80000000, v1
	s_delay_alu instid0(VALU_DEP_3) | instskip(NEXT) | instid1(VALU_DEP_3)
	v_lshl_add_u32 v5, v7, 23, 0x3b800000
	v_lshlrev_b32_e32 v4, 20, v4
	s_delay_alu instid0(VALU_DEP_1)
	v_or3_b32 v7, v1, v5, v4
.LBB102_1590:
	s_or_b32 exec_lo, exec_lo, s19
.LBB102_1591:
	s_mov_b32 s19, -1
.LBB102_1592:
	s_branch .LBB102_1624
.LBB102_1593:
	s_cmp_gt_i32 s1, 22
	s_cbranch_scc0 .LBB102_1603
; %bb.1594:
	s_cmp_lt_i32 s1, 24
	s_cbranch_scc1 .LBB102_1606
; %bb.1595:
	s_cmp_gt_i32 s1, 24
	s_cbranch_scc0 .LBB102_1607
; %bb.1596:
	global_load_u8 v1, v[2:3], off
	s_mov_b32 s15, 0
	s_mov_b32 s16, exec_lo
	s_wait_loadcnt 0x0
	v_cmpx_lt_i16_e32 0x7f, v1
	s_xor_b32 s16, exec_lo, s16
	s_cbranch_execz .LBB102_1618
; %bb.1597:
	s_mov_b32 s15, -1
	s_mov_b32 s19, exec_lo
	v_cmpx_eq_u16_e32 0x80, v1
; %bb.1598:
	s_xor_b32 s15, exec_lo, -1
; %bb.1599:
	s_or_b32 exec_lo, exec_lo, s19
	s_delay_alu instid0(SALU_CYCLE_1)
	s_and_b32 s15, s15, exec_lo
	s_or_saveexec_b32 s16, s16
	v_mov_b32_e32 v7, 0x7f800001
	s_xor_b32 exec_lo, exec_lo, s16
	s_cbranch_execnz .LBB102_1619
.LBB102_1600:
	s_or_b32 exec_lo, exec_lo, s16
	s_and_saveexec_b32 s16, s15
	s_cbranch_execz .LBB102_1602
.LBB102_1601:
	v_and_b32_e32 v4, 0xffff, v1
	s_delay_alu instid0(VALU_DEP_1) | instskip(SKIP_1) | instid1(VALU_DEP_2)
	v_and_b32_e32 v5, 3, v4
	v_bfe_u32 v9, v4, 2, 5
	v_clz_i32_u32_e32 v7, v5
	s_delay_alu instid0(VALU_DEP_2) | instskip(NEXT) | instid1(VALU_DEP_2)
	v_cmp_eq_u32_e32 vcc_lo, 0, v9
	v_min_u32_e32 v7, 32, v7
	s_delay_alu instid0(VALU_DEP_1) | instskip(NEXT) | instid1(VALU_DEP_1)
	v_subrev_nc_u32_e32 v8, 29, v7
	v_dual_lshlrev_b32 v4, v8, v4 :: v_dual_sub_nc_u32 v7, 30, v7
	s_delay_alu instid0(VALU_DEP_1) | instskip(NEXT) | instid1(VALU_DEP_2)
	v_dual_lshlrev_b32 v1, 24, v1 :: v_dual_bitop2_b32 v4, 3, v4 bitop3:0x40
	v_cndmask_b32_e32 v7, v9, v7, vcc_lo
	s_delay_alu instid0(VALU_DEP_2) | instskip(NEXT) | instid1(VALU_DEP_3)
	v_cndmask_b32_e32 v4, v5, v4, vcc_lo
	v_and_b32_e32 v1, 0x80000000, v1
	s_delay_alu instid0(VALU_DEP_3) | instskip(NEXT) | instid1(VALU_DEP_3)
	v_lshl_add_u32 v5, v7, 23, 0x37800000
	v_lshlrev_b32_e32 v4, 21, v4
	s_delay_alu instid0(VALU_DEP_1)
	v_or3_b32 v7, v1, v5, v4
.LBB102_1602:
	s_or_b32 exec_lo, exec_lo, s16
	s_mov_b32 s15, 0
	s_branch .LBB102_1608
.LBB102_1603:
                                        ; implicit-def: $vgpr7
	s_mov_b32 s16, 0
	s_branch .LBB102_1614
.LBB102_1604:
	s_or_saveexec_b32 s19, s19
	v_mov_b32_e32 v7, 0x7f800001
	s_xor_b32 exec_lo, exec_lo, s19
	s_cbranch_execz .LBB102_1588
.LBB102_1605:
	v_cmp_ne_u16_e32 vcc_lo, 0, v1
	v_mov_b32_e32 v7, 0
	s_and_not1_b32 s15, s15, exec_lo
	s_and_b32 s20, vcc_lo, exec_lo
	s_delay_alu instid0(SALU_CYCLE_1)
	s_or_b32 s15, s15, s20
	s_or_b32 exec_lo, exec_lo, s19
	s_and_saveexec_b32 s19, s15
	s_cbranch_execnz .LBB102_1589
	s_branch .LBB102_1590
.LBB102_1606:
	s_mov_b32 s15, -1
                                        ; implicit-def: $vgpr7
	s_branch .LBB102_1611
.LBB102_1607:
	s_mov_b32 s15, -1
                                        ; implicit-def: $vgpr7
.LBB102_1608:
	s_delay_alu instid0(SALU_CYCLE_1)
	s_and_b32 vcc_lo, exec_lo, s15
	s_cbranch_vccz .LBB102_1610
; %bb.1609:
	global_load_u8 v1, v[2:3], off
	s_wait_loadcnt 0x0
	v_lshlrev_b32_e32 v1, 24, v1
	s_delay_alu instid0(VALU_DEP_1) | instskip(NEXT) | instid1(VALU_DEP_1)
	v_and_b32_e32 v4, 0x7f000000, v1
	v_clz_i32_u32_e32 v5, v4
	v_add_nc_u32_e32 v8, 0x1000000, v4
	v_cmp_ne_u32_e32 vcc_lo, 0, v4
	s_delay_alu instid0(VALU_DEP_3) | instskip(NEXT) | instid1(VALU_DEP_1)
	v_min_u32_e32 v5, 32, v5
	v_sub_nc_u32_e64 v5, v5, 4 clamp
	s_delay_alu instid0(VALU_DEP_1) | instskip(NEXT) | instid1(VALU_DEP_1)
	v_dual_lshlrev_b32 v7, v5, v4 :: v_dual_lshlrev_b32 v5, 23, v5
	v_lshrrev_b32_e32 v7, 4, v7
	s_delay_alu instid0(VALU_DEP_1) | instskip(NEXT) | instid1(VALU_DEP_1)
	v_dual_sub_nc_u32 v5, v7, v5 :: v_dual_ashrrev_i32 v7, 8, v8
	v_add_nc_u32_e32 v5, 0x3c000000, v5
	s_delay_alu instid0(VALU_DEP_1) | instskip(NEXT) | instid1(VALU_DEP_1)
	v_and_or_b32 v5, 0x7f800000, v7, v5
	v_cndmask_b32_e32 v4, 0, v5, vcc_lo
	s_delay_alu instid0(VALU_DEP_1)
	v_and_or_b32 v7, 0x80000000, v1, v4
.LBB102_1610:
	s_mov_b32 s15, 0
.LBB102_1611:
	s_delay_alu instid0(SALU_CYCLE_1)
	s_and_not1_b32 vcc_lo, exec_lo, s15
	s_cbranch_vccnz .LBB102_1613
; %bb.1612:
	global_load_u8 v1, v[2:3], off
	s_wait_loadcnt 0x0
	v_lshlrev_b32_e32 v4, 25, v1
	v_lshlrev_b16 v1, 8, v1
	s_delay_alu instid0(VALU_DEP_1) | instskip(SKIP_1) | instid1(VALU_DEP_2)
	v_and_or_b32 v7, 0x7f00, v1, 0.5
	v_bfe_i32 v1, v1, 0, 16
	v_dual_add_f32 v7, -0.5, v7 :: v_dual_lshrrev_b32 v5, 4, v4
	v_cmp_gt_u32_e32 vcc_lo, 0x8000000, v4
	s_delay_alu instid0(VALU_DEP_2) | instskip(NEXT) | instid1(VALU_DEP_1)
	v_or_b32_e32 v5, 0x70000000, v5
	v_mul_f32_e32 v5, 0x7800000, v5
	s_delay_alu instid0(VALU_DEP_1) | instskip(NEXT) | instid1(VALU_DEP_1)
	v_cndmask_b32_e32 v4, v5, v7, vcc_lo
	v_and_or_b32 v7, 0x80000000, v1, v4
.LBB102_1613:
	s_mov_b32 s19, -1
	s_mov_b32 s16, 0
	s_cbranch_execnz .LBB102_1624
.LBB102_1614:
	s_cmp_gt_i32 s1, 14
	s_cbranch_scc0 .LBB102_1617
; %bb.1615:
	s_cmp_eq_u32 s1, 15
	s_cbranch_scc0 .LBB102_1620
; %bb.1616:
	global_load_u16 v1, v[2:3], off
	s_mov_b32 s2, 0
	s_mov_b32 s19, -1
	s_wait_loadcnt 0x0
	v_lshlrev_b32_e32 v7, 16, v1
	s_branch .LBB102_1621
.LBB102_1617:
	s_mov_b32 s15, -1
                                        ; implicit-def: $vgpr7
	s_branch .LBB102_1622
.LBB102_1618:
	s_or_saveexec_b32 s16, s16
	v_mov_b32_e32 v7, 0x7f800001
	s_xor_b32 exec_lo, exec_lo, s16
	s_cbranch_execz .LBB102_1600
.LBB102_1619:
	v_cmp_ne_u16_e32 vcc_lo, 0, v1
	v_mov_b32_e32 v7, 0
	s_and_not1_b32 s15, s15, exec_lo
	s_and_b32 s19, vcc_lo, exec_lo
	s_delay_alu instid0(SALU_CYCLE_1)
	s_or_b32 s15, s15, s19
	s_or_b32 exec_lo, exec_lo, s16
	s_and_saveexec_b32 s16, s15
	s_cbranch_execnz .LBB102_1601
	s_branch .LBB102_1602
.LBB102_1620:
	s_mov_b32 s2, -1
                                        ; implicit-def: $vgpr7
.LBB102_1621:
	s_mov_b32 s15, 0
.LBB102_1622:
	s_delay_alu instid0(SALU_CYCLE_1)
	s_and_b32 vcc_lo, exec_lo, s15
	s_cbranch_vccz .LBB102_1624
; %bb.1623:
	s_cmp_lg_u32 s1, 11
	s_mov_b32 s16, -1
	s_cselect_b32 s2, -1, 0
.LBB102_1624:
	s_delay_alu instid0(SALU_CYCLE_1)
	s_and_b32 vcc_lo, exec_lo, s2
	s_mov_b32 s15, s18
	s_cbranch_vccnz .LBB102_1685
; %bb.1625:
	s_and_not1_b32 vcc_lo, exec_lo, s16
	s_cbranch_vccnz .LBB102_1627
.LBB102_1626:
	global_load_u8 v1, v[2:3], off
	s_mov_b32 s19, -1
	s_wait_loadcnt 0x0
	v_cmp_ne_u16_e32 vcc_lo, 0, v1
	v_cndmask_b32_e64 v7, 0, 1.0, vcc_lo
.LBB102_1627:
	s_branch .LBB102_1556
.LBB102_1628:
	s_and_b32 s1, 0xffff, s0
	s_delay_alu instid0(SALU_CYCLE_1)
	s_cmp_lt_i32 s1, 5
	s_cbranch_scc1 .LBB102_1633
; %bb.1629:
	s_cmp_lt_i32 s1, 8
	s_cbranch_scc1 .LBB102_1634
; %bb.1630:
	;; [unrolled: 3-line block ×3, first 2 shown]
	s_cmp_gt_i32 s1, 9
	s_cbranch_scc0 .LBB102_1636
; %bb.1632:
	global_load_b64 v[4:5], v[2:3], off
	s_mov_b32 s2, 0
	s_wait_loadcnt 0x0
	v_cvt_f32_f64_e32 v7, v[4:5]
	s_branch .LBB102_1637
.LBB102_1633:
                                        ; implicit-def: $vgpr7
	s_branch .LBB102_1654
.LBB102_1634:
                                        ; implicit-def: $vgpr7
	s_branch .LBB102_1643
.LBB102_1635:
	s_mov_b32 s2, -1
                                        ; implicit-def: $vgpr7
	s_branch .LBB102_1640
.LBB102_1636:
	s_mov_b32 s2, -1
                                        ; implicit-def: $vgpr7
.LBB102_1637:
	s_delay_alu instid0(SALU_CYCLE_1)
	s_and_not1_b32 vcc_lo, exec_lo, s2
	s_cbranch_vccnz .LBB102_1639
; %bb.1638:
	global_load_b32 v7, v[2:3], off
.LBB102_1639:
	s_mov_b32 s2, 0
.LBB102_1640:
	s_delay_alu instid0(SALU_CYCLE_1)
	s_and_not1_b32 vcc_lo, exec_lo, s2
	s_cbranch_vccnz .LBB102_1642
; %bb.1641:
	global_load_b32 v1, v[2:3], off
	s_wait_loadcnt 0x0
	v_cvt_f32_f16_e32 v7, v1
.LBB102_1642:
	s_cbranch_execnz .LBB102_1653
.LBB102_1643:
	s_cmp_lt_i32 s1, 6
	s_cbranch_scc1 .LBB102_1646
; %bb.1644:
	s_cmp_gt_i32 s1, 6
	s_cbranch_scc0 .LBB102_1647
; %bb.1645:
	global_load_b64 v[4:5], v[2:3], off
	s_mov_b32 s2, 0
	s_wait_loadcnt 0x0
	v_cvt_f32_f64_e32 v7, v[4:5]
	s_branch .LBB102_1648
.LBB102_1646:
	s_mov_b32 s2, -1
                                        ; implicit-def: $vgpr7
	s_branch .LBB102_1651
.LBB102_1647:
	s_mov_b32 s2, -1
                                        ; implicit-def: $vgpr7
.LBB102_1648:
	s_delay_alu instid0(SALU_CYCLE_1)
	s_and_not1_b32 vcc_lo, exec_lo, s2
	s_cbranch_vccnz .LBB102_1650
; %bb.1649:
	s_wait_loadcnt 0x0
	global_load_b32 v7, v[2:3], off
.LBB102_1650:
	s_mov_b32 s2, 0
.LBB102_1651:
	s_delay_alu instid0(SALU_CYCLE_1)
	s_and_not1_b32 vcc_lo, exec_lo, s2
	s_cbranch_vccnz .LBB102_1653
; %bb.1652:
	global_load_u16 v1, v[2:3], off
	s_wait_loadcnt 0x0
	v_cvt_f32_f16_e32 v7, v1
.LBB102_1653:
	s_cbranch_execnz .LBB102_1672
.LBB102_1654:
	s_cmp_lt_i32 s1, 2
	s_cbranch_scc1 .LBB102_1658
; %bb.1655:
	s_cmp_lt_i32 s1, 3
	s_cbranch_scc1 .LBB102_1659
; %bb.1656:
	s_cmp_gt_i32 s1, 3
	s_cbranch_scc0 .LBB102_1660
; %bb.1657:
	global_load_b64 v[4:5], v[2:3], off
	s_mov_b32 s2, 0
	s_wait_loadcnt 0x0
	v_xor_b32_e32 v1, v4, v5
	v_cls_i32_e32 v7, v5
	s_delay_alu instid0(VALU_DEP_2) | instskip(NEXT) | instid1(VALU_DEP_1)
	v_ashrrev_i32_e32 v1, 31, v1
	v_add_nc_u32_e32 v1, 32, v1
	s_delay_alu instid0(VALU_DEP_1) | instskip(NEXT) | instid1(VALU_DEP_1)
	v_add_min_u32_e64 v1, v7, -1, v1
	v_lshlrev_b64_e32 v[4:5], v1, v[4:5]
	v_sub_nc_u32_e32 v1, 32, v1
	s_delay_alu instid0(VALU_DEP_2) | instskip(NEXT) | instid1(VALU_DEP_1)
	v_min_u32_e32 v4, 1, v4
	v_or_b32_e32 v4, v5, v4
	s_delay_alu instid0(VALU_DEP_1) | instskip(NEXT) | instid1(VALU_DEP_1)
	v_cvt_f32_i32_e32 v4, v4
	v_ldexp_f32 v7, v4, v1
	s_branch .LBB102_1661
.LBB102_1658:
                                        ; implicit-def: $vgpr7
	s_branch .LBB102_1667
.LBB102_1659:
	s_mov_b32 s2, -1
                                        ; implicit-def: $vgpr7
	s_branch .LBB102_1664
.LBB102_1660:
	s_mov_b32 s2, -1
                                        ; implicit-def: $vgpr7
.LBB102_1661:
	s_delay_alu instid0(SALU_CYCLE_1)
	s_and_not1_b32 vcc_lo, exec_lo, s2
	s_cbranch_vccnz .LBB102_1663
; %bb.1662:
	global_load_b32 v1, v[2:3], off
	s_wait_loadcnt 0x0
	v_cvt_f32_i32_e32 v7, v1
.LBB102_1663:
	s_mov_b32 s2, 0
.LBB102_1664:
	s_delay_alu instid0(SALU_CYCLE_1)
	s_and_not1_b32 vcc_lo, exec_lo, s2
	s_cbranch_vccnz .LBB102_1666
; %bb.1665:
	global_load_i16 v1, v[2:3], off
	s_wait_loadcnt 0x0
	v_cvt_f32_i32_e32 v7, v1
.LBB102_1666:
	s_cbranch_execnz .LBB102_1672
.LBB102_1667:
	s_cmp_gt_i32 s1, 0
	s_mov_b32 s1, 0
	s_cbranch_scc0 .LBB102_1669
; %bb.1668:
	global_load_i8 v1, v[2:3], off
	s_wait_loadcnt 0x0
	v_cvt_f32_i32_e32 v7, v1
	s_branch .LBB102_1670
.LBB102_1669:
	s_mov_b32 s1, -1
                                        ; implicit-def: $vgpr7
.LBB102_1670:
	s_delay_alu instid0(SALU_CYCLE_1)
	s_and_not1_b32 vcc_lo, exec_lo, s1
	s_cbranch_vccnz .LBB102_1672
; %bb.1671:
	global_load_u8 v1, v[2:3], off
	s_wait_loadcnt 0x0
	v_cvt_f32_ubyte0_e32 v7, v1
.LBB102_1672:
.LBB102_1673:
	s_wait_xcnt 0x0
	v_mul_lo_u32 v2, s10, v6
	s_and_b32 s1, s14, 0xff
	s_delay_alu instid0(SALU_CYCLE_1) | instskip(NEXT) | instid1(VALU_DEP_1)
	s_cmp_lt_i32 s1, 11
	v_ashrrev_i32_e32 v3, 31, v2
	s_delay_alu instid0(VALU_DEP_1)
	v_add_nc_u64_e32 v[4:5], s[12:13], v[2:3]
	s_cbranch_scc1 .LBB102_1680
; %bb.1674:
	s_and_b32 s2, 0xffff, s1
	s_mov_b32 s16, 0
	s_cmp_gt_i32 s2, 25
	s_cbranch_scc0 .LBB102_1682
; %bb.1675:
	s_cmp_gt_i32 s2, 28
	s_cbranch_scc0 .LBB102_1683
; %bb.1676:
	;; [unrolled: 3-line block ×4, first 2 shown]
	s_cmp_eq_u32 s2, 46
	s_mov_b32 s20, 0
	s_cbranch_scc0 .LBB102_1689
; %bb.1679:
	global_load_b32 v1, v[4:5], off
	s_mov_b32 s14, 0
	s_mov_b32 s19, -1
	s_wait_loadcnt 0x0
	v_lshlrev_b32_e32 v8, 16, v1
	s_branch .LBB102_1691
.LBB102_1680:
	s_mov_b32 s19, 0
                                        ; implicit-def: $vgpr8
	s_cbranch_execnz .LBB102_1756
.LBB102_1681:
	s_and_not1_b32 vcc_lo, exec_lo, s19
	s_cbranch_vccnz .LBB102_3022
	s_branch .LBB102_1803
.LBB102_1682:
	s_mov_b32 s19, 0
	s_mov_b32 s14, 0
                                        ; implicit-def: $vgpr8
	s_cbranch_execnz .LBB102_1720
	s_branch .LBB102_1752
.LBB102_1683:
	s_mov_b32 s20, -1
	s_mov_b32 s19, 0
	s_mov_b32 s14, 0
                                        ; implicit-def: $vgpr8
	s_branch .LBB102_1701
.LBB102_1684:
	s_mov_b32 s20, -1
	s_mov_b32 s19, 0
	s_mov_b32 s14, 0
                                        ; implicit-def: $vgpr8
	s_branch .LBB102_1696
.LBB102_1685:
	s_or_b32 s15, s18, exec_lo
	s_trap 2
	s_cbranch_execz .LBB102_1626
	s_branch .LBB102_1627
.LBB102_1686:
	s_mov_b32 s20, -1
	s_mov_b32 s19, 0
	s_mov_b32 s14, 0
	s_branch .LBB102_1690
.LBB102_1687:
	s_and_not1_saveexec_b32 s25, s25
	s_cbranch_execz .LBB102_1472
.LBB102_1688:
	v_add_f32_e32 v2, 0x42800000, v3
	s_and_not1_b32 s24, s24, exec_lo
	s_delay_alu instid0(VALU_DEP_1) | instskip(NEXT) | instid1(VALU_DEP_1)
	v_and_b32_e32 v2, 0xff, v2
	v_cmp_ne_u32_e32 vcc_lo, 0, v2
	s_and_b32 s26, vcc_lo, exec_lo
	s_delay_alu instid0(SALU_CYCLE_1)
	s_or_b32 s24, s24, s26
	s_or_b32 exec_lo, exec_lo, s25
	v_mov_b32_e32 v4, 0
	s_and_saveexec_b32 s25, s24
	s_cbranch_execnz .LBB102_1473
	s_branch .LBB102_1474
.LBB102_1689:
	s_mov_b32 s14, -1
	s_mov_b32 s19, 0
.LBB102_1690:
                                        ; implicit-def: $vgpr8
.LBB102_1691:
	s_and_b32 vcc_lo, exec_lo, s20
	s_cbranch_vccz .LBB102_1695
; %bb.1692:
	s_cmp_eq_u32 s2, 44
	s_cbranch_scc0 .LBB102_1694
; %bb.1693:
	global_load_u8 v1, v[4:5], off
	s_mov_b32 s14, 0
	s_mov_b32 s19, -1
	s_wait_loadcnt 0x0
	v_lshlrev_b32_e32 v3, 23, v1
	v_cmp_ne_u32_e32 vcc_lo, 0xff, v1
	s_delay_alu instid0(VALU_DEP_2) | instskip(SKIP_1) | instid1(VALU_DEP_2)
	v_cndmask_b32_e32 v3, 0x7f800001, v3, vcc_lo
	v_cmp_ne_u32_e32 vcc_lo, 0, v1
	v_cndmask_b32_e32 v8, 0x400000, v3, vcc_lo
	s_branch .LBB102_1695
.LBB102_1694:
	s_mov_b32 s14, -1
                                        ; implicit-def: $vgpr8
.LBB102_1695:
	s_mov_b32 s20, 0
.LBB102_1696:
	s_delay_alu instid0(SALU_CYCLE_1)
	s_and_b32 vcc_lo, exec_lo, s20
	s_cbranch_vccz .LBB102_1700
; %bb.1697:
	s_cmp_eq_u32 s2, 29
	s_cbranch_scc0 .LBB102_1699
; %bb.1698:
	global_load_b64 v[8:9], v[4:5], off
	s_mov_b32 s14, 0
	s_mov_b32 s19, -1
	s_mov_b32 s20, 0
	s_wait_loadcnt 0x0
	v_clz_i32_u32_e32 v1, v9
	s_delay_alu instid0(VALU_DEP_1) | instskip(NEXT) | instid1(VALU_DEP_1)
	v_min_u32_e32 v1, 32, v1
	v_lshlrev_b64_e32 v[8:9], v1, v[8:9]
	v_sub_nc_u32_e32 v1, 32, v1
	s_delay_alu instid0(VALU_DEP_2) | instskip(NEXT) | instid1(VALU_DEP_1)
	v_min_u32_e32 v3, 1, v8
	v_or_b32_e32 v3, v9, v3
	s_delay_alu instid0(VALU_DEP_1) | instskip(NEXT) | instid1(VALU_DEP_1)
	v_cvt_f32_u32_e32 v3, v3
	v_ldexp_f32 v8, v3, v1
	s_branch .LBB102_1701
.LBB102_1699:
	s_mov_b32 s14, -1
                                        ; implicit-def: $vgpr8
.LBB102_1700:
	s_mov_b32 s20, 0
.LBB102_1701:
	s_delay_alu instid0(SALU_CYCLE_1)
	s_and_b32 vcc_lo, exec_lo, s20
	s_cbranch_vccz .LBB102_1719
; %bb.1702:
	s_cmp_lt_i32 s2, 27
	s_cbranch_scc1 .LBB102_1705
; %bb.1703:
	s_cmp_gt_i32 s2, 27
	s_cbranch_scc0 .LBB102_1706
; %bb.1704:
	global_load_b32 v1, v[4:5], off
	s_mov_b32 s19, 0
	s_wait_loadcnt 0x0
	v_cvt_f32_u32_e32 v8, v1
	s_branch .LBB102_1707
.LBB102_1705:
	s_mov_b32 s19, -1
                                        ; implicit-def: $vgpr8
	s_branch .LBB102_1710
.LBB102_1706:
	s_mov_b32 s19, -1
                                        ; implicit-def: $vgpr8
.LBB102_1707:
	s_delay_alu instid0(SALU_CYCLE_1)
	s_and_not1_b32 vcc_lo, exec_lo, s19
	s_cbranch_vccnz .LBB102_1709
; %bb.1708:
	global_load_u16 v1, v[4:5], off
	s_wait_loadcnt 0x0
	v_cvt_f32_u32_e32 v8, v1
.LBB102_1709:
	s_mov_b32 s19, 0
.LBB102_1710:
	s_delay_alu instid0(SALU_CYCLE_1)
	s_and_not1_b32 vcc_lo, exec_lo, s19
	s_cbranch_vccnz .LBB102_1718
; %bb.1711:
	global_load_u8 v1, v[4:5], off
	s_mov_b32 s19, 0
	s_mov_b32 s20, exec_lo
	s_wait_loadcnt 0x0
	v_cmpx_lt_i16_e32 0x7f, v1
	s_xor_b32 s20, exec_lo, s20
	s_cbranch_execz .LBB102_1731
; %bb.1712:
	s_mov_b32 s19, -1
	s_mov_b32 s21, exec_lo
	v_cmpx_eq_u16_e32 0x80, v1
; %bb.1713:
	s_xor_b32 s19, exec_lo, -1
; %bb.1714:
	s_or_b32 exec_lo, exec_lo, s21
	s_delay_alu instid0(SALU_CYCLE_1)
	s_and_b32 s19, s19, exec_lo
	s_or_saveexec_b32 s20, s20
	v_mov_b32_e32 v8, 0x7f800001
	s_xor_b32 exec_lo, exec_lo, s20
	s_cbranch_execnz .LBB102_1732
.LBB102_1715:
	s_or_b32 exec_lo, exec_lo, s20
	s_and_saveexec_b32 s20, s19
	s_cbranch_execz .LBB102_1717
.LBB102_1716:
	v_and_b32_e32 v3, 0xffff, v1
	s_delay_alu instid0(VALU_DEP_1) | instskip(SKIP_1) | instid1(VALU_DEP_2)
	v_and_b32_e32 v8, 7, v3
	v_bfe_u32 v11, v3, 3, 4
	v_clz_i32_u32_e32 v9, v8
	s_delay_alu instid0(VALU_DEP_2) | instskip(NEXT) | instid1(VALU_DEP_2)
	v_cmp_eq_u32_e32 vcc_lo, 0, v11
	v_min_u32_e32 v9, 32, v9
	s_delay_alu instid0(VALU_DEP_1) | instskip(NEXT) | instid1(VALU_DEP_1)
	v_subrev_nc_u32_e32 v10, 28, v9
	v_dual_lshlrev_b32 v3, v10, v3 :: v_dual_sub_nc_u32 v9, 29, v9
	s_delay_alu instid0(VALU_DEP_1) | instskip(NEXT) | instid1(VALU_DEP_1)
	v_dual_lshlrev_b32 v1, 24, v1 :: v_dual_bitop2_b32 v3, 7, v3 bitop3:0x40
	v_dual_cndmask_b32 v3, v8, v3, vcc_lo :: v_dual_cndmask_b32 v9, v11, v9, vcc_lo
	s_delay_alu instid0(VALU_DEP_2) | instskip(NEXT) | instid1(VALU_DEP_2)
	v_and_b32_e32 v1, 0x80000000, v1
	v_lshlrev_b32_e32 v3, 20, v3
	s_delay_alu instid0(VALU_DEP_3) | instskip(NEXT) | instid1(VALU_DEP_1)
	v_lshl_add_u32 v8, v9, 23, 0x3b800000
	v_or3_b32 v8, v1, v8, v3
.LBB102_1717:
	s_or_b32 exec_lo, exec_lo, s20
.LBB102_1718:
	s_mov_b32 s19, -1
.LBB102_1719:
	s_branch .LBB102_1752
.LBB102_1720:
	s_cmp_gt_i32 s2, 22
	s_cbranch_scc0 .LBB102_1730
; %bb.1721:
	s_cmp_lt_i32 s2, 24
	s_cbranch_scc1 .LBB102_1733
; %bb.1722:
	s_cmp_gt_i32 s2, 24
	s_cbranch_scc0 .LBB102_1734
; %bb.1723:
	global_load_u8 v1, v[4:5], off
	s_mov_b32 s19, exec_lo
	s_wait_loadcnt 0x0
	v_cmpx_lt_i16_e32 0x7f, v1
	s_xor_b32 s19, exec_lo, s19
	s_cbranch_execz .LBB102_1746
; %bb.1724:
	s_mov_b32 s16, -1
	s_mov_b32 s20, exec_lo
	v_cmpx_eq_u16_e32 0x80, v1
; %bb.1725:
	s_xor_b32 s16, exec_lo, -1
; %bb.1726:
	s_or_b32 exec_lo, exec_lo, s20
	s_delay_alu instid0(SALU_CYCLE_1)
	s_and_b32 s16, s16, exec_lo
	s_or_saveexec_b32 s19, s19
	v_mov_b32_e32 v8, 0x7f800001
	s_xor_b32 exec_lo, exec_lo, s19
	s_cbranch_execnz .LBB102_1747
.LBB102_1727:
	s_or_b32 exec_lo, exec_lo, s19
	s_and_saveexec_b32 s19, s16
	s_cbranch_execz .LBB102_1729
.LBB102_1728:
	v_and_b32_e32 v3, 0xffff, v1
	s_delay_alu instid0(VALU_DEP_1) | instskip(SKIP_1) | instid1(VALU_DEP_2)
	v_and_b32_e32 v8, 3, v3
	v_bfe_u32 v11, v3, 2, 5
	v_clz_i32_u32_e32 v9, v8
	s_delay_alu instid0(VALU_DEP_2) | instskip(NEXT) | instid1(VALU_DEP_2)
	v_cmp_eq_u32_e32 vcc_lo, 0, v11
	v_min_u32_e32 v9, 32, v9
	s_delay_alu instid0(VALU_DEP_1) | instskip(NEXT) | instid1(VALU_DEP_1)
	v_subrev_nc_u32_e32 v10, 29, v9
	v_dual_lshlrev_b32 v3, v10, v3 :: v_dual_sub_nc_u32 v9, 30, v9
	s_delay_alu instid0(VALU_DEP_1) | instskip(NEXT) | instid1(VALU_DEP_1)
	v_dual_lshlrev_b32 v1, 24, v1 :: v_dual_bitop2_b32 v3, 3, v3 bitop3:0x40
	v_dual_cndmask_b32 v3, v8, v3, vcc_lo :: v_dual_cndmask_b32 v9, v11, v9, vcc_lo
	s_delay_alu instid0(VALU_DEP_2) | instskip(NEXT) | instid1(VALU_DEP_2)
	v_and_b32_e32 v1, 0x80000000, v1
	v_lshlrev_b32_e32 v3, 21, v3
	s_delay_alu instid0(VALU_DEP_3) | instskip(NEXT) | instid1(VALU_DEP_1)
	v_lshl_add_u32 v8, v9, 23, 0x37800000
	v_or3_b32 v8, v1, v8, v3
.LBB102_1729:
	s_or_b32 exec_lo, exec_lo, s19
	s_mov_b32 s16, 0
	s_branch .LBB102_1735
.LBB102_1730:
	s_mov_b32 s16, -1
                                        ; implicit-def: $vgpr8
	s_branch .LBB102_1741
.LBB102_1731:
	s_or_saveexec_b32 s20, s20
	v_mov_b32_e32 v8, 0x7f800001
	s_xor_b32 exec_lo, exec_lo, s20
	s_cbranch_execz .LBB102_1715
.LBB102_1732:
	v_cmp_ne_u16_e32 vcc_lo, 0, v1
	v_mov_b32_e32 v8, 0
	s_and_not1_b32 s19, s19, exec_lo
	s_and_b32 s21, vcc_lo, exec_lo
	s_delay_alu instid0(SALU_CYCLE_1)
	s_or_b32 s19, s19, s21
	s_or_b32 exec_lo, exec_lo, s20
	s_and_saveexec_b32 s20, s19
	s_cbranch_execnz .LBB102_1716
	s_branch .LBB102_1717
.LBB102_1733:
	s_mov_b32 s16, -1
                                        ; implicit-def: $vgpr8
	s_branch .LBB102_1738
.LBB102_1734:
	s_mov_b32 s16, -1
                                        ; implicit-def: $vgpr8
.LBB102_1735:
	s_delay_alu instid0(SALU_CYCLE_1)
	s_and_b32 vcc_lo, exec_lo, s16
	s_cbranch_vccz .LBB102_1737
; %bb.1736:
	global_load_u8 v1, v[4:5], off
	s_wait_loadcnt 0x0
	v_lshlrev_b32_e32 v1, 24, v1
	s_delay_alu instid0(VALU_DEP_1) | instskip(NEXT) | instid1(VALU_DEP_1)
	v_and_b32_e32 v3, 0x7f000000, v1
	v_clz_i32_u32_e32 v8, v3
	v_cmp_ne_u32_e32 vcc_lo, 0, v3
	v_add_nc_u32_e32 v10, 0x1000000, v3
	s_delay_alu instid0(VALU_DEP_3) | instskip(NEXT) | instid1(VALU_DEP_1)
	v_min_u32_e32 v8, 32, v8
	v_sub_nc_u32_e64 v8, v8, 4 clamp
	s_delay_alu instid0(VALU_DEP_1) | instskip(NEXT) | instid1(VALU_DEP_1)
	v_dual_lshlrev_b32 v9, v8, v3 :: v_dual_lshlrev_b32 v8, 23, v8
	v_lshrrev_b32_e32 v9, 4, v9
	s_delay_alu instid0(VALU_DEP_1) | instskip(NEXT) | instid1(VALU_DEP_1)
	v_dual_sub_nc_u32 v8, v9, v8 :: v_dual_ashrrev_i32 v9, 8, v10
	v_add_nc_u32_e32 v8, 0x3c000000, v8
	s_delay_alu instid0(VALU_DEP_1) | instskip(NEXT) | instid1(VALU_DEP_1)
	v_and_or_b32 v8, 0x7f800000, v9, v8
	v_cndmask_b32_e32 v3, 0, v8, vcc_lo
	s_delay_alu instid0(VALU_DEP_1)
	v_and_or_b32 v8, 0x80000000, v1, v3
.LBB102_1737:
	s_mov_b32 s16, 0
.LBB102_1738:
	s_delay_alu instid0(SALU_CYCLE_1)
	s_and_not1_b32 vcc_lo, exec_lo, s16
	s_cbranch_vccnz .LBB102_1740
; %bb.1739:
	global_load_u8 v1, v[4:5], off
	s_wait_loadcnt 0x0
	v_lshlrev_b32_e32 v3, 25, v1
	v_lshlrev_b16 v1, 8, v1
	s_delay_alu instid0(VALU_DEP_1) | instskip(NEXT) | instid1(VALU_DEP_3)
	v_and_or_b32 v9, 0x7f00, v1, 0.5
	v_lshrrev_b32_e32 v8, 4, v3
	v_bfe_i32 v1, v1, 0, 16
	s_delay_alu instid0(VALU_DEP_3) | instskip(NEXT) | instid1(VALU_DEP_3)
	v_add_f32_e32 v9, -0.5, v9
	v_or_b32_e32 v8, 0x70000000, v8
	s_delay_alu instid0(VALU_DEP_1) | instskip(SKIP_1) | instid1(VALU_DEP_2)
	v_mul_f32_e32 v8, 0x7800000, v8
	v_cmp_gt_u32_e32 vcc_lo, 0x8000000, v3
	v_cndmask_b32_e32 v3, v8, v9, vcc_lo
	s_delay_alu instid0(VALU_DEP_1)
	v_and_or_b32 v8, 0x80000000, v1, v3
.LBB102_1740:
	s_mov_b32 s16, 0
	s_mov_b32 s19, -1
.LBB102_1741:
	s_and_not1_b32 vcc_lo, exec_lo, s16
	s_mov_b32 s16, 0
	s_cbranch_vccnz .LBB102_1752
; %bb.1742:
	s_cmp_gt_i32 s2, 14
	s_cbranch_scc0 .LBB102_1745
; %bb.1743:
	s_cmp_eq_u32 s2, 15
	s_cbranch_scc0 .LBB102_1748
; %bb.1744:
	global_load_u16 v1, v[4:5], off
	s_mov_b32 s14, 0
	s_mov_b32 s19, -1
	s_wait_loadcnt 0x0
	v_lshlrev_b32_e32 v8, 16, v1
	s_branch .LBB102_1750
.LBB102_1745:
	s_mov_b32 s16, -1
	s_branch .LBB102_1749
.LBB102_1746:
	s_or_saveexec_b32 s19, s19
	v_mov_b32_e32 v8, 0x7f800001
	s_xor_b32 exec_lo, exec_lo, s19
	s_cbranch_execz .LBB102_1727
.LBB102_1747:
	v_cmp_ne_u16_e32 vcc_lo, 0, v1
	v_mov_b32_e32 v8, 0
	s_and_not1_b32 s16, s16, exec_lo
	s_and_b32 s20, vcc_lo, exec_lo
	s_delay_alu instid0(SALU_CYCLE_1)
	s_or_b32 s16, s16, s20
	s_or_b32 exec_lo, exec_lo, s19
	s_and_saveexec_b32 s19, s16
	s_cbranch_execnz .LBB102_1728
	s_branch .LBB102_1729
.LBB102_1748:
	s_mov_b32 s14, -1
.LBB102_1749:
                                        ; implicit-def: $vgpr8
.LBB102_1750:
	s_and_b32 vcc_lo, exec_lo, s16
	s_mov_b32 s16, 0
	s_cbranch_vccz .LBB102_1752
; %bb.1751:
	s_cmp_lg_u32 s2, 11
	s_mov_b32 s16, -1
	s_cselect_b32 s14, -1, 0
.LBB102_1752:
	s_delay_alu instid0(SALU_CYCLE_1)
	s_and_b32 vcc_lo, exec_lo, s14
	s_cbranch_vccnz .LBB102_1815
; %bb.1753:
	s_and_not1_b32 vcc_lo, exec_lo, s16
	s_cbranch_vccnz .LBB102_1755
.LBB102_1754:
	global_load_u8 v1, v[4:5], off
	s_mov_b32 s19, -1
	s_wait_loadcnt 0x0
	v_cmp_ne_u16_e32 vcc_lo, 0, v1
	v_cndmask_b32_e64 v8, 0, 1.0, vcc_lo
.LBB102_1755:
	s_branch .LBB102_1681
.LBB102_1756:
	s_and_b32 s2, 0xffff, s1
	s_delay_alu instid0(SALU_CYCLE_1)
	s_cmp_lt_i32 s2, 5
	s_cbranch_scc1 .LBB102_1761
; %bb.1757:
	s_cmp_lt_i32 s2, 8
	s_cbranch_scc1 .LBB102_1762
; %bb.1758:
	;; [unrolled: 3-line block ×3, first 2 shown]
	s_cmp_gt_i32 s2, 9
	s_cbranch_scc0 .LBB102_1764
; %bb.1760:
	global_load_b64 v[8:9], v[4:5], off
	s_mov_b32 s14, 0
	s_wait_loadcnt 0x0
	v_cvt_f32_f64_e32 v8, v[8:9]
	s_branch .LBB102_1765
.LBB102_1761:
                                        ; implicit-def: $vgpr8
	s_branch .LBB102_1783
.LBB102_1762:
	s_mov_b32 s14, -1
                                        ; implicit-def: $vgpr8
	s_branch .LBB102_1771
.LBB102_1763:
	s_mov_b32 s14, -1
                                        ; implicit-def: $vgpr8
	s_branch .LBB102_1768
.LBB102_1764:
	s_mov_b32 s14, -1
                                        ; implicit-def: $vgpr8
.LBB102_1765:
	s_delay_alu instid0(SALU_CYCLE_1)
	s_and_not1_b32 vcc_lo, exec_lo, s14
	s_cbranch_vccnz .LBB102_1767
; %bb.1766:
	global_load_b32 v8, v[4:5], off
.LBB102_1767:
	s_mov_b32 s14, 0
.LBB102_1768:
	s_delay_alu instid0(SALU_CYCLE_1)
	s_and_not1_b32 vcc_lo, exec_lo, s14
	s_cbranch_vccnz .LBB102_1770
; %bb.1769:
	global_load_b32 v1, v[4:5], off
	s_wait_loadcnt 0x0
	v_cvt_f32_f16_e32 v8, v1
.LBB102_1770:
	s_mov_b32 s14, 0
.LBB102_1771:
	s_delay_alu instid0(SALU_CYCLE_1)
	s_and_not1_b32 vcc_lo, exec_lo, s14
	s_cbranch_vccnz .LBB102_1782
; %bb.1772:
	s_cmp_lt_i32 s2, 6
	s_cbranch_scc1 .LBB102_1775
; %bb.1773:
	s_cmp_gt_i32 s2, 6
	s_cbranch_scc0 .LBB102_1776
; %bb.1774:
	s_wait_loadcnt 0x0
	global_load_b64 v[8:9], v[4:5], off
	s_mov_b32 s14, 0
	s_wait_loadcnt 0x0
	v_cvt_f32_f64_e32 v8, v[8:9]
	s_branch .LBB102_1777
.LBB102_1775:
	s_mov_b32 s14, -1
                                        ; implicit-def: $vgpr8
	s_branch .LBB102_1780
.LBB102_1776:
	s_mov_b32 s14, -1
                                        ; implicit-def: $vgpr8
.LBB102_1777:
	s_delay_alu instid0(SALU_CYCLE_1)
	s_and_not1_b32 vcc_lo, exec_lo, s14
	s_cbranch_vccnz .LBB102_1779
; %bb.1778:
	s_wait_loadcnt 0x0
	global_load_b32 v8, v[4:5], off
.LBB102_1779:
	s_mov_b32 s14, 0
.LBB102_1780:
	s_delay_alu instid0(SALU_CYCLE_1)
	s_and_not1_b32 vcc_lo, exec_lo, s14
	s_cbranch_vccnz .LBB102_1782
; %bb.1781:
	global_load_u16 v1, v[4:5], off
	s_wait_loadcnt 0x0
	v_cvt_f32_f16_e32 v8, v1
.LBB102_1782:
	s_cbranch_execnz .LBB102_1802
.LBB102_1783:
	s_cmp_lt_i32 s2, 2
	s_cbranch_scc1 .LBB102_1787
; %bb.1784:
	s_cmp_lt_i32 s2, 3
	s_cbranch_scc1 .LBB102_1788
; %bb.1785:
	s_cmp_gt_i32 s2, 3
	s_cbranch_scc0 .LBB102_1789
; %bb.1786:
	s_wait_loadcnt 0x0
	global_load_b64 v[8:9], v[4:5], off
	s_mov_b32 s14, 0
	s_wait_loadcnt 0x0
	v_xor_b32_e32 v1, v8, v9
	v_cls_i32_e32 v3, v9
	s_delay_alu instid0(VALU_DEP_2) | instskip(NEXT) | instid1(VALU_DEP_1)
	v_ashrrev_i32_e32 v1, 31, v1
	v_add_nc_u32_e32 v1, 32, v1
	s_delay_alu instid0(VALU_DEP_1) | instskip(NEXT) | instid1(VALU_DEP_1)
	v_add_min_u32_e64 v1, v3, -1, v1
	v_lshlrev_b64_e32 v[8:9], v1, v[8:9]
	v_sub_nc_u32_e32 v1, 32, v1
	s_delay_alu instid0(VALU_DEP_2) | instskip(NEXT) | instid1(VALU_DEP_1)
	v_min_u32_e32 v3, 1, v8
	v_or_b32_e32 v3, v9, v3
	s_delay_alu instid0(VALU_DEP_1) | instskip(NEXT) | instid1(VALU_DEP_1)
	v_cvt_f32_i32_e32 v3, v3
	v_ldexp_f32 v8, v3, v1
	s_branch .LBB102_1790
.LBB102_1787:
	s_mov_b32 s14, -1
                                        ; implicit-def: $vgpr8
	s_branch .LBB102_1796
.LBB102_1788:
	s_mov_b32 s14, -1
                                        ; implicit-def: $vgpr8
	s_branch .LBB102_1793
.LBB102_1789:
	s_mov_b32 s14, -1
                                        ; implicit-def: $vgpr8
.LBB102_1790:
	s_delay_alu instid0(SALU_CYCLE_1)
	s_and_not1_b32 vcc_lo, exec_lo, s14
	s_cbranch_vccnz .LBB102_1792
; %bb.1791:
	global_load_b32 v1, v[4:5], off
	s_wait_loadcnt 0x0
	v_cvt_f32_i32_e32 v8, v1
.LBB102_1792:
	s_mov_b32 s14, 0
.LBB102_1793:
	s_delay_alu instid0(SALU_CYCLE_1)
	s_and_not1_b32 vcc_lo, exec_lo, s14
	s_cbranch_vccnz .LBB102_1795
; %bb.1794:
	global_load_i16 v1, v[4:5], off
	s_wait_loadcnt 0x0
	v_cvt_f32_i32_e32 v8, v1
.LBB102_1795:
	s_mov_b32 s14, 0
.LBB102_1796:
	s_delay_alu instid0(SALU_CYCLE_1)
	s_and_not1_b32 vcc_lo, exec_lo, s14
	s_cbranch_vccnz .LBB102_1802
; %bb.1797:
	s_cmp_gt_i32 s2, 0
	s_mov_b32 s2, 0
	s_cbranch_scc0 .LBB102_1799
; %bb.1798:
	global_load_i8 v1, v[4:5], off
	s_wait_loadcnt 0x0
	v_cvt_f32_i32_e32 v8, v1
	s_branch .LBB102_1800
.LBB102_1799:
	s_mov_b32 s2, -1
                                        ; implicit-def: $vgpr8
.LBB102_1800:
	s_delay_alu instid0(SALU_CYCLE_1)
	s_and_not1_b32 vcc_lo, exec_lo, s2
	s_cbranch_vccnz .LBB102_1802
; %bb.1801:
	global_load_u8 v1, v[4:5], off
	s_wait_loadcnt 0x0
	v_cvt_f32_ubyte0_e32 v8, v1
.LBB102_1802:
.LBB102_1803:
	s_lshl_b32 s2, s9, 7
	s_cmp_lt_i32 s0, 11
	v_add_nc_u32_e32 v0, s2, v0
	s_delay_alu instid0(VALU_DEP_1) | instskip(SKIP_1) | instid1(VALU_DEP_1)
	v_ashrrev_i32_e32 v1, 31, v0
	s_wait_xcnt 0x0
	v_add_nc_u64_e32 v[4:5], s[6:7], v[0:1]
	s_cbranch_scc1 .LBB102_1810
; %bb.1804:
	s_and_b32 s9, 0xffff, s0
	s_mov_b32 s16, 0
	s_cmp_gt_i32 s9, 25
	s_cbranch_scc0 .LBB102_1812
; %bb.1805:
	s_cmp_gt_i32 s9, 28
	s_cbranch_scc0 .LBB102_1813
; %bb.1806:
	;; [unrolled: 3-line block ×4, first 2 shown]
	s_cmp_eq_u32 s9, 46
	s_mov_b32 s20, 0
	s_cbranch_scc0 .LBB102_1817
; %bb.1809:
	global_load_b32 v1, v[4:5], off
	s_mov_b32 s14, 0
	s_mov_b32 s19, -1
	s_wait_loadcnt 0x0
	v_lshlrev_b32_e32 v9, 16, v1
	s_branch .LBB102_1819
.LBB102_1810:
	s_mov_b32 s19, 0
                                        ; implicit-def: $vgpr9
	s_cbranch_execnz .LBB102_1885
.LBB102_1811:
	s_and_not1_b32 vcc_lo, exec_lo, s19
	s_cbranch_vccnz .LBB102_3022
	s_branch .LBB102_1933
.LBB102_1812:
	s_mov_b32 s20, -1
	s_mov_b32 s19, 0
	s_mov_b32 s14, 0
                                        ; implicit-def: $vgpr9
	s_branch .LBB102_1848
.LBB102_1813:
	s_mov_b32 s20, -1
	s_mov_b32 s19, 0
	s_mov_b32 s14, 0
                                        ; implicit-def: $vgpr9
	s_branch .LBB102_1829
.LBB102_1814:
	s_mov_b32 s20, -1
	s_mov_b32 s19, 0
	s_mov_b32 s14, 0
                                        ; implicit-def: $vgpr9
	s_branch .LBB102_1824
.LBB102_1815:
	s_or_b32 s15, s15, exec_lo
	s_trap 2
	s_cbranch_execz .LBB102_1754
	s_branch .LBB102_1755
.LBB102_1816:
	s_mov_b32 s20, -1
	s_mov_b32 s19, 0
	s_mov_b32 s14, 0
	s_branch .LBB102_1818
.LBB102_1817:
	s_mov_b32 s14, -1
	s_mov_b32 s19, 0
.LBB102_1818:
                                        ; implicit-def: $vgpr9
.LBB102_1819:
	s_and_b32 vcc_lo, exec_lo, s20
	s_cbranch_vccz .LBB102_1823
; %bb.1820:
	s_cmp_eq_u32 s9, 44
	s_cbranch_scc0 .LBB102_1822
; %bb.1821:
	global_load_u8 v1, v[4:5], off
	s_mov_b32 s14, 0
	s_mov_b32 s19, -1
	s_wait_loadcnt 0x0
	v_lshlrev_b32_e32 v3, 23, v1
	v_cmp_ne_u32_e32 vcc_lo, 0xff, v1
	s_delay_alu instid0(VALU_DEP_2) | instskip(SKIP_1) | instid1(VALU_DEP_2)
	v_cndmask_b32_e32 v3, 0x7f800001, v3, vcc_lo
	v_cmp_ne_u32_e32 vcc_lo, 0, v1
	v_cndmask_b32_e32 v9, 0x400000, v3, vcc_lo
	s_branch .LBB102_1823
.LBB102_1822:
	s_mov_b32 s14, -1
                                        ; implicit-def: $vgpr9
.LBB102_1823:
	s_mov_b32 s20, 0
.LBB102_1824:
	s_delay_alu instid0(SALU_CYCLE_1)
	s_and_b32 vcc_lo, exec_lo, s20
	s_cbranch_vccz .LBB102_1828
; %bb.1825:
	s_cmp_eq_u32 s9, 29
	s_cbranch_scc0 .LBB102_1827
; %bb.1826:
	global_load_b64 v[10:11], v[4:5], off
	s_mov_b32 s14, 0
	s_mov_b32 s19, -1
	s_mov_b32 s20, 0
	s_wait_loadcnt 0x0
	v_clz_i32_u32_e32 v1, v11
	s_delay_alu instid0(VALU_DEP_1) | instskip(NEXT) | instid1(VALU_DEP_1)
	v_min_u32_e32 v1, 32, v1
	v_lshlrev_b64_e32 v[10:11], v1, v[10:11]
	v_sub_nc_u32_e32 v1, 32, v1
	s_delay_alu instid0(VALU_DEP_2) | instskip(NEXT) | instid1(VALU_DEP_1)
	v_min_u32_e32 v3, 1, v10
	v_or_b32_e32 v3, v11, v3
	s_delay_alu instid0(VALU_DEP_1) | instskip(NEXT) | instid1(VALU_DEP_1)
	v_cvt_f32_u32_e32 v3, v3
	v_ldexp_f32 v9, v3, v1
	s_branch .LBB102_1829
.LBB102_1827:
	s_mov_b32 s14, -1
                                        ; implicit-def: $vgpr9
.LBB102_1828:
	s_mov_b32 s20, 0
.LBB102_1829:
	s_delay_alu instid0(SALU_CYCLE_1)
	s_and_b32 vcc_lo, exec_lo, s20
	s_cbranch_vccz .LBB102_1847
; %bb.1830:
	s_cmp_lt_i32 s9, 27
	s_cbranch_scc1 .LBB102_1833
; %bb.1831:
	s_cmp_gt_i32 s9, 27
	s_cbranch_scc0 .LBB102_1834
; %bb.1832:
	global_load_b32 v1, v[4:5], off
	s_mov_b32 s19, 0
	s_wait_loadcnt 0x0
	v_cvt_f32_u32_e32 v9, v1
	s_branch .LBB102_1835
.LBB102_1833:
	s_mov_b32 s19, -1
                                        ; implicit-def: $vgpr9
	s_branch .LBB102_1838
.LBB102_1834:
	s_mov_b32 s19, -1
                                        ; implicit-def: $vgpr9
.LBB102_1835:
	s_delay_alu instid0(SALU_CYCLE_1)
	s_and_not1_b32 vcc_lo, exec_lo, s19
	s_cbranch_vccnz .LBB102_1837
; %bb.1836:
	global_load_u16 v1, v[4:5], off
	s_wait_loadcnt 0x0
	v_cvt_f32_u32_e32 v9, v1
.LBB102_1837:
	s_mov_b32 s19, 0
.LBB102_1838:
	s_delay_alu instid0(SALU_CYCLE_1)
	s_and_not1_b32 vcc_lo, exec_lo, s19
	s_cbranch_vccnz .LBB102_1846
; %bb.1839:
	global_load_u8 v1, v[4:5], off
	s_mov_b32 s19, 0
	s_mov_b32 s20, exec_lo
	s_wait_loadcnt 0x0
	v_cmpx_lt_i16_e32 0x7f, v1
	s_xor_b32 s20, exec_lo, s20
	s_cbranch_execz .LBB102_1860
; %bb.1840:
	s_mov_b32 s19, -1
	s_mov_b32 s21, exec_lo
	v_cmpx_eq_u16_e32 0x80, v1
; %bb.1841:
	s_xor_b32 s19, exec_lo, -1
; %bb.1842:
	s_or_b32 exec_lo, exec_lo, s21
	s_delay_alu instid0(SALU_CYCLE_1)
	s_and_b32 s19, s19, exec_lo
	s_or_saveexec_b32 s20, s20
	v_mov_b32_e32 v9, 0x7f800001
	s_xor_b32 exec_lo, exec_lo, s20
	s_cbranch_execnz .LBB102_1861
.LBB102_1843:
	s_or_b32 exec_lo, exec_lo, s20
	s_and_saveexec_b32 s20, s19
	s_cbranch_execz .LBB102_1845
.LBB102_1844:
	v_and_b32_e32 v3, 0xffff, v1
	s_delay_alu instid0(VALU_DEP_1) | instskip(SKIP_1) | instid1(VALU_DEP_2)
	v_and_b32_e32 v9, 7, v3
	v_bfe_u32 v12, v3, 3, 4
	v_clz_i32_u32_e32 v10, v9
	s_delay_alu instid0(VALU_DEP_2) | instskip(NEXT) | instid1(VALU_DEP_2)
	v_cmp_eq_u32_e32 vcc_lo, 0, v12
	v_min_u32_e32 v10, 32, v10
	s_delay_alu instid0(VALU_DEP_1) | instskip(NEXT) | instid1(VALU_DEP_1)
	v_subrev_nc_u32_e32 v11, 28, v10
	v_dual_lshlrev_b32 v3, v11, v3 :: v_dual_sub_nc_u32 v10, 29, v10
	s_delay_alu instid0(VALU_DEP_1) | instskip(NEXT) | instid1(VALU_DEP_1)
	v_dual_lshlrev_b32 v1, 24, v1 :: v_dual_bitop2_b32 v3, 7, v3 bitop3:0x40
	v_dual_cndmask_b32 v10, v12, v10 :: v_dual_cndmask_b32 v3, v9, v3
	s_delay_alu instid0(VALU_DEP_2) | instskip(NEXT) | instid1(VALU_DEP_2)
	v_and_b32_e32 v1, 0x80000000, v1
	v_lshl_add_u32 v9, v10, 23, 0x3b800000
	s_delay_alu instid0(VALU_DEP_3) | instskip(NEXT) | instid1(VALU_DEP_1)
	v_lshlrev_b32_e32 v3, 20, v3
	v_or3_b32 v9, v1, v9, v3
.LBB102_1845:
	s_or_b32 exec_lo, exec_lo, s20
.LBB102_1846:
	s_mov_b32 s19, -1
.LBB102_1847:
	s_mov_b32 s20, 0
.LBB102_1848:
	s_delay_alu instid0(SALU_CYCLE_1)
	s_and_b32 vcc_lo, exec_lo, s20
	s_cbranch_vccz .LBB102_1881
; %bb.1849:
	s_cmp_gt_i32 s9, 22
	s_cbranch_scc0 .LBB102_1859
; %bb.1850:
	s_cmp_lt_i32 s9, 24
	s_cbranch_scc1 .LBB102_1862
; %bb.1851:
	s_cmp_gt_i32 s9, 24
	s_cbranch_scc0 .LBB102_1863
; %bb.1852:
	global_load_u8 v1, v[4:5], off
	s_mov_b32 s19, exec_lo
	s_wait_loadcnt 0x0
	v_cmpx_lt_i16_e32 0x7f, v1
	s_xor_b32 s19, exec_lo, s19
	s_cbranch_execz .LBB102_1875
; %bb.1853:
	s_mov_b32 s16, -1
	s_mov_b32 s20, exec_lo
	v_cmpx_eq_u16_e32 0x80, v1
; %bb.1854:
	s_xor_b32 s16, exec_lo, -1
; %bb.1855:
	s_or_b32 exec_lo, exec_lo, s20
	s_delay_alu instid0(SALU_CYCLE_1)
	s_and_b32 s16, s16, exec_lo
	s_or_saveexec_b32 s19, s19
	v_mov_b32_e32 v9, 0x7f800001
	s_xor_b32 exec_lo, exec_lo, s19
	s_cbranch_execnz .LBB102_1876
.LBB102_1856:
	s_or_b32 exec_lo, exec_lo, s19
	s_and_saveexec_b32 s19, s16
	s_cbranch_execz .LBB102_1858
.LBB102_1857:
	v_and_b32_e32 v3, 0xffff, v1
	s_delay_alu instid0(VALU_DEP_1) | instskip(SKIP_1) | instid1(VALU_DEP_2)
	v_and_b32_e32 v9, 3, v3
	v_bfe_u32 v12, v3, 2, 5
	v_clz_i32_u32_e32 v10, v9
	s_delay_alu instid0(VALU_DEP_2) | instskip(NEXT) | instid1(VALU_DEP_2)
	v_cmp_eq_u32_e32 vcc_lo, 0, v12
	v_min_u32_e32 v10, 32, v10
	s_delay_alu instid0(VALU_DEP_1) | instskip(NEXT) | instid1(VALU_DEP_1)
	v_subrev_nc_u32_e32 v11, 29, v10
	v_dual_lshlrev_b32 v3, v11, v3 :: v_dual_sub_nc_u32 v10, 30, v10
	s_delay_alu instid0(VALU_DEP_1) | instskip(NEXT) | instid1(VALU_DEP_1)
	v_dual_lshlrev_b32 v1, 24, v1 :: v_dual_bitop2_b32 v3, 3, v3 bitop3:0x40
	v_dual_cndmask_b32 v10, v12, v10 :: v_dual_cndmask_b32 v3, v9, v3
	s_delay_alu instid0(VALU_DEP_2) | instskip(NEXT) | instid1(VALU_DEP_2)
	v_and_b32_e32 v1, 0x80000000, v1
	v_lshl_add_u32 v9, v10, 23, 0x37800000
	s_delay_alu instid0(VALU_DEP_3) | instskip(NEXT) | instid1(VALU_DEP_1)
	v_lshlrev_b32_e32 v3, 21, v3
	v_or3_b32 v9, v1, v9, v3
.LBB102_1858:
	s_or_b32 exec_lo, exec_lo, s19
	s_mov_b32 s16, 0
	s_branch .LBB102_1864
.LBB102_1859:
	s_mov_b32 s16, -1
                                        ; implicit-def: $vgpr9
	s_branch .LBB102_1870
.LBB102_1860:
	s_or_saveexec_b32 s20, s20
	v_mov_b32_e32 v9, 0x7f800001
	s_xor_b32 exec_lo, exec_lo, s20
	s_cbranch_execz .LBB102_1843
.LBB102_1861:
	v_cmp_ne_u16_e32 vcc_lo, 0, v1
	v_mov_b32_e32 v9, 0
	s_and_not1_b32 s19, s19, exec_lo
	s_and_b32 s21, vcc_lo, exec_lo
	s_delay_alu instid0(SALU_CYCLE_1)
	s_or_b32 s19, s19, s21
	s_or_b32 exec_lo, exec_lo, s20
	s_and_saveexec_b32 s20, s19
	s_cbranch_execnz .LBB102_1844
	s_branch .LBB102_1845
.LBB102_1862:
	s_mov_b32 s16, -1
                                        ; implicit-def: $vgpr9
	s_branch .LBB102_1867
.LBB102_1863:
	s_mov_b32 s16, -1
                                        ; implicit-def: $vgpr9
.LBB102_1864:
	s_delay_alu instid0(SALU_CYCLE_1)
	s_and_b32 vcc_lo, exec_lo, s16
	s_cbranch_vccz .LBB102_1866
; %bb.1865:
	global_load_u8 v1, v[4:5], off
	s_wait_loadcnt 0x0
	v_lshlrev_b32_e32 v1, 24, v1
	s_delay_alu instid0(VALU_DEP_1) | instskip(NEXT) | instid1(VALU_DEP_1)
	v_and_b32_e32 v3, 0x7f000000, v1
	v_clz_i32_u32_e32 v9, v3
	v_add_nc_u32_e32 v11, 0x1000000, v3
	v_cmp_ne_u32_e32 vcc_lo, 0, v3
	s_delay_alu instid0(VALU_DEP_3) | instskip(NEXT) | instid1(VALU_DEP_1)
	v_min_u32_e32 v9, 32, v9
	v_sub_nc_u32_e64 v9, v9, 4 clamp
	s_delay_alu instid0(VALU_DEP_1) | instskip(NEXT) | instid1(VALU_DEP_1)
	v_dual_lshlrev_b32 v10, v9, v3 :: v_dual_lshlrev_b32 v9, 23, v9
	v_lshrrev_b32_e32 v10, 4, v10
	s_delay_alu instid0(VALU_DEP_1) | instskip(NEXT) | instid1(VALU_DEP_1)
	v_dual_sub_nc_u32 v9, v10, v9 :: v_dual_ashrrev_i32 v10, 8, v11
	v_add_nc_u32_e32 v9, 0x3c000000, v9
	s_delay_alu instid0(VALU_DEP_1) | instskip(NEXT) | instid1(VALU_DEP_1)
	v_and_or_b32 v9, 0x7f800000, v10, v9
	v_cndmask_b32_e32 v3, 0, v9, vcc_lo
	s_delay_alu instid0(VALU_DEP_1)
	v_and_or_b32 v9, 0x80000000, v1, v3
.LBB102_1866:
	s_mov_b32 s16, 0
.LBB102_1867:
	s_delay_alu instid0(SALU_CYCLE_1)
	s_and_not1_b32 vcc_lo, exec_lo, s16
	s_cbranch_vccnz .LBB102_1869
; %bb.1868:
	global_load_u8 v1, v[4:5], off
	s_wait_loadcnt 0x0
	v_lshlrev_b32_e32 v3, 25, v1
	v_lshlrev_b16 v1, 8, v1
	s_delay_alu instid0(VALU_DEP_1) | instskip(SKIP_1) | instid1(VALU_DEP_2)
	v_and_or_b32 v10, 0x7f00, v1, 0.5
	v_bfe_i32 v1, v1, 0, 16
	v_dual_add_f32 v10, -0.5, v10 :: v_dual_lshrrev_b32 v9, 4, v3
	v_cmp_gt_u32_e32 vcc_lo, 0x8000000, v3
	s_delay_alu instid0(VALU_DEP_2) | instskip(NEXT) | instid1(VALU_DEP_1)
	v_or_b32_e32 v9, 0x70000000, v9
	v_mul_f32_e32 v9, 0x7800000, v9
	s_delay_alu instid0(VALU_DEP_1) | instskip(NEXT) | instid1(VALU_DEP_1)
	v_cndmask_b32_e32 v3, v9, v10, vcc_lo
	v_and_or_b32 v9, 0x80000000, v1, v3
.LBB102_1869:
	s_mov_b32 s16, 0
	s_mov_b32 s19, -1
.LBB102_1870:
	s_and_not1_b32 vcc_lo, exec_lo, s16
	s_mov_b32 s16, 0
	s_cbranch_vccnz .LBB102_1881
; %bb.1871:
	s_cmp_gt_i32 s9, 14
	s_cbranch_scc0 .LBB102_1874
; %bb.1872:
	s_cmp_eq_u32 s9, 15
	s_cbranch_scc0 .LBB102_1877
; %bb.1873:
	global_load_u16 v1, v[4:5], off
	s_mov_b32 s14, 0
	s_mov_b32 s19, -1
	s_wait_loadcnt 0x0
	v_lshlrev_b32_e32 v9, 16, v1
	s_branch .LBB102_1879
.LBB102_1874:
	s_mov_b32 s16, -1
	s_branch .LBB102_1878
.LBB102_1875:
	s_or_saveexec_b32 s19, s19
	v_mov_b32_e32 v9, 0x7f800001
	s_xor_b32 exec_lo, exec_lo, s19
	s_cbranch_execz .LBB102_1856
.LBB102_1876:
	v_cmp_ne_u16_e32 vcc_lo, 0, v1
	v_mov_b32_e32 v9, 0
	s_and_not1_b32 s16, s16, exec_lo
	s_and_b32 s20, vcc_lo, exec_lo
	s_delay_alu instid0(SALU_CYCLE_1)
	s_or_b32 s16, s16, s20
	s_or_b32 exec_lo, exec_lo, s19
	s_and_saveexec_b32 s19, s16
	s_cbranch_execnz .LBB102_1857
	s_branch .LBB102_1858
.LBB102_1877:
	s_mov_b32 s14, -1
.LBB102_1878:
                                        ; implicit-def: $vgpr9
.LBB102_1879:
	s_and_b32 vcc_lo, exec_lo, s16
	s_mov_b32 s16, 0
	s_cbranch_vccz .LBB102_1881
; %bb.1880:
	s_cmp_lg_u32 s9, 11
	s_mov_b32 s16, -1
	s_cselect_b32 s14, -1, 0
.LBB102_1881:
	s_delay_alu instid0(SALU_CYCLE_1)
	s_and_b32 vcc_lo, exec_lo, s14
	s_cbranch_vccnz .LBB102_1944
; %bb.1882:
	s_and_not1_b32 vcc_lo, exec_lo, s16
	s_cbranch_vccnz .LBB102_1884
.LBB102_1883:
	global_load_u8 v1, v[4:5], off
	s_mov_b32 s19, -1
	s_wait_loadcnt 0x0
	v_cmp_ne_u16_e32 vcc_lo, 0, v1
	v_cndmask_b32_e64 v9, 0, 1.0, vcc_lo
.LBB102_1884:
	s_branch .LBB102_1811
.LBB102_1885:
	s_and_b32 s9, 0xffff, s0
	s_delay_alu instid0(SALU_CYCLE_1)
	s_cmp_lt_i32 s9, 5
	s_cbranch_scc1 .LBB102_1890
; %bb.1886:
	s_cmp_lt_i32 s9, 8
	s_cbranch_scc1 .LBB102_1891
; %bb.1887:
	s_cmp_lt_i32 s9, 9
	s_cbranch_scc1 .LBB102_1892
; %bb.1888:
	s_cmp_gt_i32 s9, 9
	s_cbranch_scc0 .LBB102_1893
; %bb.1889:
	global_load_b64 v[10:11], v[4:5], off
	s_mov_b32 s14, 0
	s_wait_loadcnt 0x0
	v_cvt_f32_f64_e32 v9, v[10:11]
	s_branch .LBB102_1894
.LBB102_1890:
	s_mov_b32 s14, -1
                                        ; implicit-def: $vgpr9
	s_branch .LBB102_1912
.LBB102_1891:
	s_mov_b32 s14, -1
                                        ; implicit-def: $vgpr9
	s_branch .LBB102_1900
.LBB102_1892:
	s_mov_b32 s14, -1
                                        ; implicit-def: $vgpr9
	s_branch .LBB102_1897
.LBB102_1893:
	s_mov_b32 s14, -1
                                        ; implicit-def: $vgpr9
.LBB102_1894:
	s_delay_alu instid0(SALU_CYCLE_1)
	s_and_not1_b32 vcc_lo, exec_lo, s14
	s_cbranch_vccnz .LBB102_1896
; %bb.1895:
	global_load_b32 v9, v[4:5], off
.LBB102_1896:
	s_mov_b32 s14, 0
.LBB102_1897:
	s_delay_alu instid0(SALU_CYCLE_1)
	s_and_not1_b32 vcc_lo, exec_lo, s14
	s_cbranch_vccnz .LBB102_1899
; %bb.1898:
	global_load_b32 v1, v[4:5], off
	s_wait_loadcnt 0x0
	v_cvt_f32_f16_e32 v9, v1
.LBB102_1899:
	s_mov_b32 s14, 0
.LBB102_1900:
	s_delay_alu instid0(SALU_CYCLE_1)
	s_and_not1_b32 vcc_lo, exec_lo, s14
	s_cbranch_vccnz .LBB102_1911
; %bb.1901:
	s_cmp_lt_i32 s9, 6
	s_cbranch_scc1 .LBB102_1904
; %bb.1902:
	s_cmp_gt_i32 s9, 6
	s_cbranch_scc0 .LBB102_1905
; %bb.1903:
	global_load_b64 v[10:11], v[4:5], off
	s_mov_b32 s14, 0
	s_wait_loadcnt 0x0
	v_cvt_f32_f64_e32 v9, v[10:11]
	s_branch .LBB102_1906
.LBB102_1904:
	s_mov_b32 s14, -1
                                        ; implicit-def: $vgpr9
	s_branch .LBB102_1909
.LBB102_1905:
	s_mov_b32 s14, -1
                                        ; implicit-def: $vgpr9
.LBB102_1906:
	s_delay_alu instid0(SALU_CYCLE_1)
	s_and_not1_b32 vcc_lo, exec_lo, s14
	s_cbranch_vccnz .LBB102_1908
; %bb.1907:
	s_wait_loadcnt 0x0
	global_load_b32 v9, v[4:5], off
.LBB102_1908:
	s_mov_b32 s14, 0
.LBB102_1909:
	s_delay_alu instid0(SALU_CYCLE_1)
	s_and_not1_b32 vcc_lo, exec_lo, s14
	s_cbranch_vccnz .LBB102_1911
; %bb.1910:
	global_load_u16 v1, v[4:5], off
	s_wait_loadcnt 0x0
	v_cvt_f32_f16_e32 v9, v1
.LBB102_1911:
	s_mov_b32 s14, 0
.LBB102_1912:
	s_delay_alu instid0(SALU_CYCLE_1)
	s_and_not1_b32 vcc_lo, exec_lo, s14
	s_cbranch_vccnz .LBB102_1932
; %bb.1913:
	s_cmp_lt_i32 s9, 2
	s_cbranch_scc1 .LBB102_1917
; %bb.1914:
	s_cmp_lt_i32 s9, 3
	s_cbranch_scc1 .LBB102_1918
; %bb.1915:
	s_cmp_gt_i32 s9, 3
	s_cbranch_scc0 .LBB102_1919
; %bb.1916:
	global_load_b64 v[10:11], v[4:5], off
	s_mov_b32 s14, 0
	s_wait_loadcnt 0x0
	v_xor_b32_e32 v1, v10, v11
	v_cls_i32_e32 v3, v11
	s_delay_alu instid0(VALU_DEP_2) | instskip(NEXT) | instid1(VALU_DEP_1)
	v_ashrrev_i32_e32 v1, 31, v1
	v_add_nc_u32_e32 v1, 32, v1
	s_delay_alu instid0(VALU_DEP_1) | instskip(NEXT) | instid1(VALU_DEP_1)
	v_add_min_u32_e64 v1, v3, -1, v1
	v_lshlrev_b64_e32 v[10:11], v1, v[10:11]
	v_sub_nc_u32_e32 v1, 32, v1
	s_delay_alu instid0(VALU_DEP_2) | instskip(NEXT) | instid1(VALU_DEP_1)
	v_min_u32_e32 v3, 1, v10
	v_or_b32_e32 v3, v11, v3
	s_delay_alu instid0(VALU_DEP_1) | instskip(NEXT) | instid1(VALU_DEP_1)
	v_cvt_f32_i32_e32 v3, v3
	v_ldexp_f32 v9, v3, v1
	s_branch .LBB102_1920
.LBB102_1917:
	s_mov_b32 s14, -1
                                        ; implicit-def: $vgpr9
	s_branch .LBB102_1926
.LBB102_1918:
	s_mov_b32 s14, -1
                                        ; implicit-def: $vgpr9
	s_branch .LBB102_1923
.LBB102_1919:
	s_mov_b32 s14, -1
                                        ; implicit-def: $vgpr9
.LBB102_1920:
	s_delay_alu instid0(SALU_CYCLE_1)
	s_and_not1_b32 vcc_lo, exec_lo, s14
	s_cbranch_vccnz .LBB102_1922
; %bb.1921:
	global_load_b32 v1, v[4:5], off
	s_wait_loadcnt 0x0
	v_cvt_f32_i32_e32 v9, v1
.LBB102_1922:
	s_mov_b32 s14, 0
.LBB102_1923:
	s_delay_alu instid0(SALU_CYCLE_1)
	s_and_not1_b32 vcc_lo, exec_lo, s14
	s_cbranch_vccnz .LBB102_1925
; %bb.1924:
	global_load_i16 v1, v[4:5], off
	s_wait_loadcnt 0x0
	v_cvt_f32_i32_e32 v9, v1
.LBB102_1925:
	s_mov_b32 s14, 0
.LBB102_1926:
	s_delay_alu instid0(SALU_CYCLE_1)
	s_and_not1_b32 vcc_lo, exec_lo, s14
	s_cbranch_vccnz .LBB102_1932
; %bb.1927:
	s_cmp_gt_i32 s9, 0
	s_mov_b32 s9, 0
	s_cbranch_scc0 .LBB102_1929
; %bb.1928:
	global_load_i8 v1, v[4:5], off
	s_wait_loadcnt 0x0
	v_cvt_f32_i32_e32 v9, v1
	s_branch .LBB102_1930
.LBB102_1929:
	s_mov_b32 s9, -1
                                        ; implicit-def: $vgpr9
.LBB102_1930:
	s_delay_alu instid0(SALU_CYCLE_1)
	s_and_not1_b32 vcc_lo, exec_lo, s9
	s_cbranch_vccnz .LBB102_1932
; %bb.1931:
	global_load_u8 v1, v[4:5], off
	s_wait_loadcnt 0x0
	v_cvt_f32_ubyte0_e32 v9, v1
.LBB102_1932:
.LBB102_1933:
	s_lshl_b32 s9, s10, 7
	s_cmp_lt_i32 s1, 11
	v_add_nc_u32_e32 v2, s9, v2
	s_delay_alu instid0(VALU_DEP_1) | instskip(SKIP_1) | instid1(VALU_DEP_1)
	v_ashrrev_i32_e32 v3, 31, v2
	s_wait_xcnt 0x0
	v_add_nc_u64_e32 v[4:5], s[12:13], v[2:3]
	s_cbranch_scc1 .LBB102_1940
; %bb.1934:
	s_and_b32 s10, 0xffff, s1
	s_mov_b32 s16, 0
	s_cmp_gt_i32 s10, 25
	s_cbranch_scc0 .LBB102_1941
; %bb.1935:
	s_cmp_gt_i32 s10, 28
	s_cbranch_scc0 .LBB102_1942
; %bb.1936:
	;; [unrolled: 3-line block ×4, first 2 shown]
	s_cmp_eq_u32 s10, 46
	s_mov_b32 s20, 0
	s_cbranch_scc0 .LBB102_1946
; %bb.1939:
	global_load_b32 v1, v[4:5], off
	s_mov_b32 s14, 0
	s_mov_b32 s19, -1
	s_wait_loadcnt 0x0
	v_lshlrev_b32_e32 v10, 16, v1
	s_branch .LBB102_1948
.LBB102_1940:
	s_mov_b32 s10, -1
	s_mov_b32 s19, 0
                                        ; implicit-def: $vgpr10
	s_branch .LBB102_2014
.LBB102_1941:
	s_mov_b32 s20, -1
	s_mov_b32 s19, 0
	s_mov_b32 s14, 0
                                        ; implicit-def: $vgpr10
	s_branch .LBB102_1977
.LBB102_1942:
	s_mov_b32 s20, -1
	s_mov_b32 s19, 0
	s_mov_b32 s14, 0
                                        ; implicit-def: $vgpr10
	s_branch .LBB102_1958
.LBB102_1943:
	s_mov_b32 s20, -1
	s_mov_b32 s19, 0
	s_mov_b32 s14, 0
                                        ; implicit-def: $vgpr10
	s_branch .LBB102_1953
.LBB102_1944:
	s_or_b32 s15, s15, exec_lo
	s_trap 2
	s_cbranch_execz .LBB102_1883
	s_branch .LBB102_1884
.LBB102_1945:
	s_mov_b32 s20, -1
	s_mov_b32 s19, 0
	s_mov_b32 s14, 0
	s_branch .LBB102_1947
.LBB102_1946:
	s_mov_b32 s14, -1
	s_mov_b32 s19, 0
.LBB102_1947:
                                        ; implicit-def: $vgpr10
.LBB102_1948:
	s_and_b32 vcc_lo, exec_lo, s20
	s_cbranch_vccz .LBB102_1952
; %bb.1949:
	s_cmp_eq_u32 s10, 44
	s_cbranch_scc0 .LBB102_1951
; %bb.1950:
	global_load_u8 v1, v[4:5], off
	s_mov_b32 s14, 0
	s_mov_b32 s19, -1
	s_wait_loadcnt 0x0
	v_lshlrev_b32_e32 v3, 23, v1
	v_cmp_ne_u32_e32 vcc_lo, 0xff, v1
	s_delay_alu instid0(VALU_DEP_2) | instskip(SKIP_1) | instid1(VALU_DEP_2)
	v_cndmask_b32_e32 v3, 0x7f800001, v3, vcc_lo
	v_cmp_ne_u32_e32 vcc_lo, 0, v1
	v_cndmask_b32_e32 v10, 0x400000, v3, vcc_lo
	s_branch .LBB102_1952
.LBB102_1951:
	s_mov_b32 s14, -1
                                        ; implicit-def: $vgpr10
.LBB102_1952:
	s_mov_b32 s20, 0
.LBB102_1953:
	s_delay_alu instid0(SALU_CYCLE_1)
	s_and_b32 vcc_lo, exec_lo, s20
	s_cbranch_vccz .LBB102_1957
; %bb.1954:
	s_cmp_eq_u32 s10, 29
	s_cbranch_scc0 .LBB102_1956
; %bb.1955:
	global_load_b64 v[10:11], v[4:5], off
	s_mov_b32 s14, 0
	s_mov_b32 s19, -1
	s_mov_b32 s20, 0
	s_wait_loadcnt 0x0
	v_clz_i32_u32_e32 v1, v11
	s_delay_alu instid0(VALU_DEP_1) | instskip(NEXT) | instid1(VALU_DEP_1)
	v_min_u32_e32 v1, 32, v1
	v_lshlrev_b64_e32 v[10:11], v1, v[10:11]
	v_sub_nc_u32_e32 v1, 32, v1
	s_delay_alu instid0(VALU_DEP_2) | instskip(NEXT) | instid1(VALU_DEP_1)
	v_min_u32_e32 v3, 1, v10
	v_or_b32_e32 v3, v11, v3
	s_delay_alu instid0(VALU_DEP_1) | instskip(NEXT) | instid1(VALU_DEP_1)
	v_cvt_f32_u32_e32 v3, v3
	v_ldexp_f32 v10, v3, v1
	s_branch .LBB102_1958
.LBB102_1956:
	s_mov_b32 s14, -1
                                        ; implicit-def: $vgpr10
.LBB102_1957:
	s_mov_b32 s20, 0
.LBB102_1958:
	s_delay_alu instid0(SALU_CYCLE_1)
	s_and_b32 vcc_lo, exec_lo, s20
	s_cbranch_vccz .LBB102_1976
; %bb.1959:
	s_cmp_lt_i32 s10, 27
	s_cbranch_scc1 .LBB102_1962
; %bb.1960:
	s_cmp_gt_i32 s10, 27
	s_cbranch_scc0 .LBB102_1963
; %bb.1961:
	global_load_b32 v1, v[4:5], off
	s_mov_b32 s19, 0
	s_wait_loadcnt 0x0
	v_cvt_f32_u32_e32 v10, v1
	s_branch .LBB102_1964
.LBB102_1962:
	s_mov_b32 s19, -1
                                        ; implicit-def: $vgpr10
	s_branch .LBB102_1967
.LBB102_1963:
	s_mov_b32 s19, -1
                                        ; implicit-def: $vgpr10
.LBB102_1964:
	s_delay_alu instid0(SALU_CYCLE_1)
	s_and_not1_b32 vcc_lo, exec_lo, s19
	s_cbranch_vccnz .LBB102_1966
; %bb.1965:
	global_load_u16 v1, v[4:5], off
	s_wait_loadcnt 0x0
	v_cvt_f32_u32_e32 v10, v1
.LBB102_1966:
	s_mov_b32 s19, 0
.LBB102_1967:
	s_delay_alu instid0(SALU_CYCLE_1)
	s_and_not1_b32 vcc_lo, exec_lo, s19
	s_cbranch_vccnz .LBB102_1975
; %bb.1968:
	global_load_u8 v1, v[4:5], off
	s_mov_b32 s19, 0
	s_mov_b32 s20, exec_lo
	s_wait_loadcnt 0x0
	v_cmpx_lt_i16_e32 0x7f, v1
	s_xor_b32 s20, exec_lo, s20
	s_cbranch_execz .LBB102_1989
; %bb.1969:
	s_mov_b32 s19, -1
	s_mov_b32 s21, exec_lo
	v_cmpx_eq_u16_e32 0x80, v1
; %bb.1970:
	s_xor_b32 s19, exec_lo, -1
; %bb.1971:
	s_or_b32 exec_lo, exec_lo, s21
	s_delay_alu instid0(SALU_CYCLE_1)
	s_and_b32 s19, s19, exec_lo
	s_or_saveexec_b32 s20, s20
	v_mov_b32_e32 v10, 0x7f800001
	s_xor_b32 exec_lo, exec_lo, s20
	s_cbranch_execnz .LBB102_1990
.LBB102_1972:
	s_or_b32 exec_lo, exec_lo, s20
	s_and_saveexec_b32 s20, s19
	s_cbranch_execz .LBB102_1974
.LBB102_1973:
	v_and_b32_e32 v3, 0xffff, v1
	s_delay_alu instid0(VALU_DEP_1) | instskip(SKIP_1) | instid1(VALU_DEP_2)
	v_dual_lshlrev_b32 v1, 24, v1 :: v_dual_bitop2_b32 v10, 7, v3 bitop3:0x40
	v_bfe_u32 v13, v3, 3, 4
	v_and_b32_e32 v1, 0x80000000, v1
	s_delay_alu instid0(VALU_DEP_3) | instskip(NEXT) | instid1(VALU_DEP_3)
	v_clz_i32_u32_e32 v11, v10
	v_cmp_eq_u32_e32 vcc_lo, 0, v13
	s_delay_alu instid0(VALU_DEP_2) | instskip(NEXT) | instid1(VALU_DEP_1)
	v_min_u32_e32 v11, 32, v11
	v_subrev_nc_u32_e32 v12, 28, v11
	v_sub_nc_u32_e32 v11, 29, v11
	s_delay_alu instid0(VALU_DEP_2) | instskip(NEXT) | instid1(VALU_DEP_2)
	v_lshlrev_b32_e32 v3, v12, v3
	v_cndmask_b32_e32 v11, v13, v11, vcc_lo
	s_delay_alu instid0(VALU_DEP_2) | instskip(NEXT) | instid1(VALU_DEP_1)
	v_and_b32_e32 v3, 7, v3
	v_cndmask_b32_e32 v3, v10, v3, vcc_lo
	s_delay_alu instid0(VALU_DEP_3) | instskip(NEXT) | instid1(VALU_DEP_2)
	v_lshl_add_u32 v10, v11, 23, 0x3b800000
	v_lshlrev_b32_e32 v3, 20, v3
	s_delay_alu instid0(VALU_DEP_1)
	v_or3_b32 v10, v1, v10, v3
.LBB102_1974:
	s_or_b32 exec_lo, exec_lo, s20
.LBB102_1975:
	s_mov_b32 s19, -1
.LBB102_1976:
	s_mov_b32 s20, 0
.LBB102_1977:
	s_delay_alu instid0(SALU_CYCLE_1)
	s_and_b32 vcc_lo, exec_lo, s20
	s_cbranch_vccz .LBB102_2010
; %bb.1978:
	s_cmp_gt_i32 s10, 22
	s_cbranch_scc0 .LBB102_1988
; %bb.1979:
	s_cmp_lt_i32 s10, 24
	s_cbranch_scc1 .LBB102_1991
; %bb.1980:
	s_cmp_gt_i32 s10, 24
	s_cbranch_scc0 .LBB102_1992
; %bb.1981:
	global_load_u8 v1, v[4:5], off
	s_mov_b32 s19, exec_lo
	s_wait_loadcnt 0x0
	v_cmpx_lt_i16_e32 0x7f, v1
	s_xor_b32 s19, exec_lo, s19
	s_cbranch_execz .LBB102_2004
; %bb.1982:
	s_mov_b32 s16, -1
	s_mov_b32 s20, exec_lo
	v_cmpx_eq_u16_e32 0x80, v1
; %bb.1983:
	s_xor_b32 s16, exec_lo, -1
; %bb.1984:
	s_or_b32 exec_lo, exec_lo, s20
	s_delay_alu instid0(SALU_CYCLE_1)
	s_and_b32 s16, s16, exec_lo
	s_or_saveexec_b32 s19, s19
	v_mov_b32_e32 v10, 0x7f800001
	s_xor_b32 exec_lo, exec_lo, s19
	s_cbranch_execnz .LBB102_2005
.LBB102_1985:
	s_or_b32 exec_lo, exec_lo, s19
	s_and_saveexec_b32 s19, s16
	s_cbranch_execz .LBB102_1987
.LBB102_1986:
	v_and_b32_e32 v3, 0xffff, v1
	s_delay_alu instid0(VALU_DEP_1) | instskip(SKIP_1) | instid1(VALU_DEP_2)
	v_dual_lshlrev_b32 v1, 24, v1 :: v_dual_bitop2_b32 v10, 3, v3 bitop3:0x40
	v_bfe_u32 v13, v3, 2, 5
	v_and_b32_e32 v1, 0x80000000, v1
	s_delay_alu instid0(VALU_DEP_3) | instskip(NEXT) | instid1(VALU_DEP_3)
	v_clz_i32_u32_e32 v11, v10
	v_cmp_eq_u32_e32 vcc_lo, 0, v13
	s_delay_alu instid0(VALU_DEP_2) | instskip(NEXT) | instid1(VALU_DEP_1)
	v_min_u32_e32 v11, 32, v11
	v_subrev_nc_u32_e32 v12, 29, v11
	v_sub_nc_u32_e32 v11, 30, v11
	s_delay_alu instid0(VALU_DEP_2) | instskip(NEXT) | instid1(VALU_DEP_2)
	v_lshlrev_b32_e32 v3, v12, v3
	v_cndmask_b32_e32 v11, v13, v11, vcc_lo
	s_delay_alu instid0(VALU_DEP_2) | instskip(NEXT) | instid1(VALU_DEP_1)
	v_and_b32_e32 v3, 3, v3
	v_cndmask_b32_e32 v3, v10, v3, vcc_lo
	s_delay_alu instid0(VALU_DEP_3) | instskip(NEXT) | instid1(VALU_DEP_2)
	v_lshl_add_u32 v10, v11, 23, 0x37800000
	v_lshlrev_b32_e32 v3, 21, v3
	s_delay_alu instid0(VALU_DEP_1)
	v_or3_b32 v10, v1, v10, v3
.LBB102_1987:
	s_or_b32 exec_lo, exec_lo, s19
	s_mov_b32 s16, 0
	s_branch .LBB102_1993
.LBB102_1988:
	s_mov_b32 s16, -1
                                        ; implicit-def: $vgpr10
	s_branch .LBB102_1999
.LBB102_1989:
	s_or_saveexec_b32 s20, s20
	v_mov_b32_e32 v10, 0x7f800001
	s_xor_b32 exec_lo, exec_lo, s20
	s_cbranch_execz .LBB102_1972
.LBB102_1990:
	v_cmp_ne_u16_e32 vcc_lo, 0, v1
	v_mov_b32_e32 v10, 0
	s_and_not1_b32 s19, s19, exec_lo
	s_and_b32 s21, vcc_lo, exec_lo
	s_delay_alu instid0(SALU_CYCLE_1)
	s_or_b32 s19, s19, s21
	s_or_b32 exec_lo, exec_lo, s20
	s_and_saveexec_b32 s20, s19
	s_cbranch_execnz .LBB102_1973
	s_branch .LBB102_1974
.LBB102_1991:
	s_mov_b32 s16, -1
                                        ; implicit-def: $vgpr10
	s_branch .LBB102_1996
.LBB102_1992:
	s_mov_b32 s16, -1
                                        ; implicit-def: $vgpr10
.LBB102_1993:
	s_delay_alu instid0(SALU_CYCLE_1)
	s_and_b32 vcc_lo, exec_lo, s16
	s_cbranch_vccz .LBB102_1995
; %bb.1994:
	global_load_u8 v1, v[4:5], off
	s_wait_loadcnt 0x0
	v_lshlrev_b32_e32 v1, 24, v1
	s_delay_alu instid0(VALU_DEP_1) | instskip(NEXT) | instid1(VALU_DEP_1)
	v_and_b32_e32 v3, 0x7f000000, v1
	v_clz_i32_u32_e32 v10, v3
	v_cmp_ne_u32_e32 vcc_lo, 0, v3
	v_add_nc_u32_e32 v12, 0x1000000, v3
	s_delay_alu instid0(VALU_DEP_3) | instskip(NEXT) | instid1(VALU_DEP_1)
	v_min_u32_e32 v10, 32, v10
	v_sub_nc_u32_e64 v10, v10, 4 clamp
	s_delay_alu instid0(VALU_DEP_1) | instskip(NEXT) | instid1(VALU_DEP_1)
	v_dual_lshlrev_b32 v11, v10, v3 :: v_dual_lshlrev_b32 v10, 23, v10
	v_lshrrev_b32_e32 v11, 4, v11
	s_delay_alu instid0(VALU_DEP_1) | instskip(NEXT) | instid1(VALU_DEP_1)
	v_dual_sub_nc_u32 v10, v11, v10 :: v_dual_ashrrev_i32 v11, 8, v12
	v_add_nc_u32_e32 v10, 0x3c000000, v10
	s_delay_alu instid0(VALU_DEP_1) | instskip(NEXT) | instid1(VALU_DEP_1)
	v_and_or_b32 v10, 0x7f800000, v11, v10
	v_cndmask_b32_e32 v3, 0, v10, vcc_lo
	s_delay_alu instid0(VALU_DEP_1)
	v_and_or_b32 v10, 0x80000000, v1, v3
.LBB102_1995:
	s_mov_b32 s16, 0
.LBB102_1996:
	s_delay_alu instid0(SALU_CYCLE_1)
	s_and_not1_b32 vcc_lo, exec_lo, s16
	s_cbranch_vccnz .LBB102_1998
; %bb.1997:
	global_load_u8 v1, v[4:5], off
	s_wait_loadcnt 0x0
	v_lshlrev_b32_e32 v3, 25, v1
	v_lshlrev_b16 v1, 8, v1
	s_delay_alu instid0(VALU_DEP_1) | instskip(SKIP_1) | instid1(VALU_DEP_2)
	v_and_or_b32 v11, 0x7f00, v1, 0.5
	v_bfe_i32 v1, v1, 0, 16
	v_add_f32_e32 v11, -0.5, v11
	v_lshrrev_b32_e32 v10, 4, v3
	v_cmp_gt_u32_e32 vcc_lo, 0x8000000, v3
	s_delay_alu instid0(VALU_DEP_2) | instskip(NEXT) | instid1(VALU_DEP_1)
	v_or_b32_e32 v10, 0x70000000, v10
	v_mul_f32_e32 v10, 0x7800000, v10
	s_delay_alu instid0(VALU_DEP_1) | instskip(NEXT) | instid1(VALU_DEP_1)
	v_cndmask_b32_e32 v3, v10, v11, vcc_lo
	v_and_or_b32 v10, 0x80000000, v1, v3
.LBB102_1998:
	s_mov_b32 s16, 0
	s_mov_b32 s19, -1
.LBB102_1999:
	s_and_not1_b32 vcc_lo, exec_lo, s16
	s_mov_b32 s16, 0
	s_cbranch_vccnz .LBB102_2010
; %bb.2000:
	s_cmp_gt_i32 s10, 14
	s_cbranch_scc0 .LBB102_2003
; %bb.2001:
	s_cmp_eq_u32 s10, 15
	s_cbranch_scc0 .LBB102_2006
; %bb.2002:
	global_load_u16 v1, v[4:5], off
	s_mov_b32 s14, 0
	s_mov_b32 s19, -1
	s_wait_loadcnt 0x0
	v_lshlrev_b32_e32 v10, 16, v1
	s_branch .LBB102_2008
.LBB102_2003:
	s_mov_b32 s16, -1
	s_branch .LBB102_2007
.LBB102_2004:
	s_or_saveexec_b32 s19, s19
	v_mov_b32_e32 v10, 0x7f800001
	s_xor_b32 exec_lo, exec_lo, s19
	s_cbranch_execz .LBB102_1985
.LBB102_2005:
	v_cmp_ne_u16_e32 vcc_lo, 0, v1
	v_mov_b32_e32 v10, 0
	s_and_not1_b32 s16, s16, exec_lo
	s_and_b32 s20, vcc_lo, exec_lo
	s_delay_alu instid0(SALU_CYCLE_1)
	s_or_b32 s16, s16, s20
	s_or_b32 exec_lo, exec_lo, s19
	s_and_saveexec_b32 s19, s16
	s_cbranch_execnz .LBB102_1986
	s_branch .LBB102_1987
.LBB102_2006:
	s_mov_b32 s14, -1
.LBB102_2007:
                                        ; implicit-def: $vgpr10
.LBB102_2008:
	s_and_b32 vcc_lo, exec_lo, s16
	s_mov_b32 s16, 0
	s_cbranch_vccz .LBB102_2010
; %bb.2009:
	s_cmp_lg_u32 s10, 11
	s_mov_b32 s16, -1
	s_cselect_b32 s14, -1, 0
.LBB102_2010:
	s_delay_alu instid0(SALU_CYCLE_1)
	s_and_b32 vcc_lo, exec_lo, s14
	s_cbranch_vccnz .LBB102_2075
; %bb.2011:
	s_and_not1_b32 vcc_lo, exec_lo, s16
	s_cbranch_vccnz .LBB102_2013
.LBB102_2012:
	global_load_u8 v1, v[4:5], off
	s_mov_b32 s19, -1
	s_wait_loadcnt 0x0
	v_cmp_ne_u16_e32 vcc_lo, 0, v1
	v_cndmask_b32_e64 v10, 0, 1.0, vcc_lo
.LBB102_2013:
	s_mov_b32 s10, 0
.LBB102_2014:
	s_delay_alu instid0(SALU_CYCLE_1)
	s_and_b32 vcc_lo, exec_lo, s10
	s_cbranch_vccz .LBB102_2063
; %bb.2015:
	s_and_b32 s10, 0xffff, s1
	s_delay_alu instid0(SALU_CYCLE_1)
	s_cmp_lt_i32 s10, 5
	s_cbranch_scc1 .LBB102_2020
; %bb.2016:
	s_cmp_lt_i32 s10, 8
	s_cbranch_scc1 .LBB102_2021
; %bb.2017:
	;; [unrolled: 3-line block ×3, first 2 shown]
	s_cmp_gt_i32 s10, 9
	s_cbranch_scc0 .LBB102_2023
; %bb.2019:
	global_load_b64 v[10:11], v[4:5], off
	s_mov_b32 s14, 0
	s_wait_loadcnt 0x0
	v_cvt_f32_f64_e32 v10, v[10:11]
	s_branch .LBB102_2024
.LBB102_2020:
	s_mov_b32 s14, -1
                                        ; implicit-def: $vgpr10
	s_branch .LBB102_2042
.LBB102_2021:
	s_mov_b32 s14, -1
                                        ; implicit-def: $vgpr10
	s_branch .LBB102_2030
.LBB102_2022:
	s_mov_b32 s14, -1
                                        ; implicit-def: $vgpr10
	s_branch .LBB102_2027
.LBB102_2023:
	s_mov_b32 s14, -1
                                        ; implicit-def: $vgpr10
.LBB102_2024:
	s_delay_alu instid0(SALU_CYCLE_1)
	s_and_not1_b32 vcc_lo, exec_lo, s14
	s_cbranch_vccnz .LBB102_2026
; %bb.2025:
	global_load_b32 v10, v[4:5], off
.LBB102_2026:
	s_mov_b32 s14, 0
.LBB102_2027:
	s_delay_alu instid0(SALU_CYCLE_1)
	s_and_not1_b32 vcc_lo, exec_lo, s14
	s_cbranch_vccnz .LBB102_2029
; %bb.2028:
	global_load_b32 v1, v[4:5], off
	s_wait_loadcnt 0x0
	v_cvt_f32_f16_e32 v10, v1
.LBB102_2029:
	s_mov_b32 s14, 0
.LBB102_2030:
	s_delay_alu instid0(SALU_CYCLE_1)
	s_and_not1_b32 vcc_lo, exec_lo, s14
	s_cbranch_vccnz .LBB102_2041
; %bb.2031:
	s_cmp_lt_i32 s10, 6
	s_cbranch_scc1 .LBB102_2034
; %bb.2032:
	s_cmp_gt_i32 s10, 6
	s_cbranch_scc0 .LBB102_2035
; %bb.2033:
	s_wait_loadcnt 0x0
	global_load_b64 v[10:11], v[4:5], off
	s_mov_b32 s14, 0
	s_wait_loadcnt 0x0
	v_cvt_f32_f64_e32 v10, v[10:11]
	s_branch .LBB102_2036
.LBB102_2034:
	s_mov_b32 s14, -1
                                        ; implicit-def: $vgpr10
	s_branch .LBB102_2039
.LBB102_2035:
	s_mov_b32 s14, -1
                                        ; implicit-def: $vgpr10
.LBB102_2036:
	s_delay_alu instid0(SALU_CYCLE_1)
	s_and_not1_b32 vcc_lo, exec_lo, s14
	s_cbranch_vccnz .LBB102_2038
; %bb.2037:
	s_wait_loadcnt 0x0
	global_load_b32 v10, v[4:5], off
.LBB102_2038:
	s_mov_b32 s14, 0
.LBB102_2039:
	s_delay_alu instid0(SALU_CYCLE_1)
	s_and_not1_b32 vcc_lo, exec_lo, s14
	s_cbranch_vccnz .LBB102_2041
; %bb.2040:
	global_load_u16 v1, v[4:5], off
	s_wait_loadcnt 0x0
	v_cvt_f32_f16_e32 v10, v1
.LBB102_2041:
	s_mov_b32 s14, 0
.LBB102_2042:
	s_delay_alu instid0(SALU_CYCLE_1)
	s_and_not1_b32 vcc_lo, exec_lo, s14
	s_cbranch_vccnz .LBB102_2062
; %bb.2043:
	s_cmp_lt_i32 s10, 2
	s_cbranch_scc1 .LBB102_2047
; %bb.2044:
	s_cmp_lt_i32 s10, 3
	s_cbranch_scc1 .LBB102_2048
; %bb.2045:
	s_cmp_gt_i32 s10, 3
	s_cbranch_scc0 .LBB102_2049
; %bb.2046:
	s_wait_loadcnt 0x0
	global_load_b64 v[10:11], v[4:5], off
	s_mov_b32 s14, 0
	s_wait_loadcnt 0x0
	v_xor_b32_e32 v1, v10, v11
	v_cls_i32_e32 v3, v11
	s_delay_alu instid0(VALU_DEP_2) | instskip(NEXT) | instid1(VALU_DEP_1)
	v_ashrrev_i32_e32 v1, 31, v1
	v_add_nc_u32_e32 v1, 32, v1
	s_delay_alu instid0(VALU_DEP_1) | instskip(NEXT) | instid1(VALU_DEP_1)
	v_add_min_u32_e64 v1, v3, -1, v1
	v_lshlrev_b64_e32 v[10:11], v1, v[10:11]
	v_sub_nc_u32_e32 v1, 32, v1
	s_delay_alu instid0(VALU_DEP_2) | instskip(NEXT) | instid1(VALU_DEP_1)
	v_min_u32_e32 v3, 1, v10
	v_or_b32_e32 v3, v11, v3
	s_delay_alu instid0(VALU_DEP_1) | instskip(NEXT) | instid1(VALU_DEP_1)
	v_cvt_f32_i32_e32 v3, v3
	v_ldexp_f32 v10, v3, v1
	s_branch .LBB102_2050
.LBB102_2047:
	s_mov_b32 s14, -1
                                        ; implicit-def: $vgpr10
	s_branch .LBB102_2056
.LBB102_2048:
	s_mov_b32 s14, -1
                                        ; implicit-def: $vgpr10
	s_branch .LBB102_2053
.LBB102_2049:
	s_mov_b32 s14, -1
                                        ; implicit-def: $vgpr10
.LBB102_2050:
	s_delay_alu instid0(SALU_CYCLE_1)
	s_and_not1_b32 vcc_lo, exec_lo, s14
	s_cbranch_vccnz .LBB102_2052
; %bb.2051:
	global_load_b32 v1, v[4:5], off
	s_wait_loadcnt 0x0
	v_cvt_f32_i32_e32 v10, v1
.LBB102_2052:
	s_mov_b32 s14, 0
.LBB102_2053:
	s_delay_alu instid0(SALU_CYCLE_1)
	s_and_not1_b32 vcc_lo, exec_lo, s14
	s_cbranch_vccnz .LBB102_2055
; %bb.2054:
	global_load_i16 v1, v[4:5], off
	s_wait_loadcnt 0x0
	v_cvt_f32_i32_e32 v10, v1
.LBB102_2055:
	s_mov_b32 s14, 0
.LBB102_2056:
	s_delay_alu instid0(SALU_CYCLE_1)
	s_and_not1_b32 vcc_lo, exec_lo, s14
	s_cbranch_vccnz .LBB102_2062
; %bb.2057:
	s_cmp_gt_i32 s10, 0
	s_mov_b32 s10, 0
	s_cbranch_scc0 .LBB102_2059
; %bb.2058:
	global_load_i8 v1, v[4:5], off
	s_wait_loadcnt 0x0
	v_cvt_f32_i32_e32 v10, v1
	s_branch .LBB102_2060
.LBB102_2059:
	s_mov_b32 s10, -1
                                        ; implicit-def: $vgpr10
.LBB102_2060:
	s_delay_alu instid0(SALU_CYCLE_1)
	s_and_not1_b32 vcc_lo, exec_lo, s10
	s_cbranch_vccnz .LBB102_2062
; %bb.2061:
	global_load_u8 v1, v[4:5], off
	s_wait_loadcnt 0x0
	v_cvt_f32_ubyte0_e32 v10, v1
.LBB102_2062:
	s_mov_b32 s19, -1
.LBB102_2063:
	s_delay_alu instid0(SALU_CYCLE_1)
	s_and_not1_b32 vcc_lo, exec_lo, s19
	s_cbranch_vccnz .LBB102_3022
; %bb.2064:
	v_add_nc_u32_e32 v0, s2, v0
	s_cmp_lt_i32 s0, 11
	s_delay_alu instid0(VALU_DEP_1) | instskip(SKIP_1) | instid1(VALU_DEP_1)
	v_ashrrev_i32_e32 v1, 31, v0
	s_wait_xcnt 0x0
	v_add_nc_u64_e32 v[4:5], s[6:7], v[0:1]
	s_cbranch_scc1 .LBB102_2071
; %bb.2065:
	s_and_b32 s10, 0xffff, s0
	s_mov_b32 s16, 0
	s_cmp_gt_i32 s10, 25
	s_cbranch_scc0 .LBB102_2072
; %bb.2066:
	s_cmp_gt_i32 s10, 28
	s_cbranch_scc0 .LBB102_2073
; %bb.2067:
	;; [unrolled: 3-line block ×4, first 2 shown]
	s_cmp_eq_u32 s10, 46
	s_mov_b32 s20, 0
	s_cbranch_scc0 .LBB102_2077
; %bb.2070:
	global_load_b32 v1, v[4:5], off
	s_mov_b32 s14, 0
	s_mov_b32 s19, -1
	s_wait_loadcnt 0x0
	v_lshlrev_b32_e32 v11, 16, v1
	s_branch .LBB102_2079
.LBB102_2071:
	s_mov_b32 s10, -1
	s_mov_b32 s19, 0
                                        ; implicit-def: $vgpr11
	s_branch .LBB102_2145
.LBB102_2072:
	s_mov_b32 s20, -1
	s_mov_b32 s19, 0
	s_mov_b32 s14, 0
                                        ; implicit-def: $vgpr11
	s_branch .LBB102_2108
.LBB102_2073:
	s_mov_b32 s20, -1
	s_mov_b32 s19, 0
	s_mov_b32 s14, 0
                                        ; implicit-def: $vgpr11
	s_branch .LBB102_2089
.LBB102_2074:
	s_mov_b32 s20, -1
	s_mov_b32 s19, 0
	s_mov_b32 s14, 0
                                        ; implicit-def: $vgpr11
	s_branch .LBB102_2084
.LBB102_2075:
	s_or_b32 s15, s15, exec_lo
	s_trap 2
	s_cbranch_execz .LBB102_2012
	s_branch .LBB102_2013
.LBB102_2076:
	s_mov_b32 s20, -1
	s_mov_b32 s19, 0
	s_mov_b32 s14, 0
	s_branch .LBB102_2078
.LBB102_2077:
	s_mov_b32 s14, -1
	s_mov_b32 s19, 0
.LBB102_2078:
                                        ; implicit-def: $vgpr11
.LBB102_2079:
	s_and_b32 vcc_lo, exec_lo, s20
	s_cbranch_vccz .LBB102_2083
; %bb.2080:
	s_cmp_eq_u32 s10, 44
	s_cbranch_scc0 .LBB102_2082
; %bb.2081:
	global_load_u8 v1, v[4:5], off
	s_mov_b32 s14, 0
	s_mov_b32 s19, -1
	s_wait_loadcnt 0x0
	v_lshlrev_b32_e32 v3, 23, v1
	v_cmp_ne_u32_e32 vcc_lo, 0xff, v1
	s_delay_alu instid0(VALU_DEP_2) | instskip(SKIP_1) | instid1(VALU_DEP_2)
	v_cndmask_b32_e32 v3, 0x7f800001, v3, vcc_lo
	v_cmp_ne_u32_e32 vcc_lo, 0, v1
	v_cndmask_b32_e32 v11, 0x400000, v3, vcc_lo
	s_branch .LBB102_2083
.LBB102_2082:
	s_mov_b32 s14, -1
                                        ; implicit-def: $vgpr11
.LBB102_2083:
	s_mov_b32 s20, 0
.LBB102_2084:
	s_delay_alu instid0(SALU_CYCLE_1)
	s_and_b32 vcc_lo, exec_lo, s20
	s_cbranch_vccz .LBB102_2088
; %bb.2085:
	s_cmp_eq_u32 s10, 29
	s_cbranch_scc0 .LBB102_2087
; %bb.2086:
	global_load_b64 v[12:13], v[4:5], off
	s_mov_b32 s14, 0
	s_mov_b32 s19, -1
	s_mov_b32 s20, 0
	s_wait_loadcnt 0x0
	v_clz_i32_u32_e32 v1, v13
	s_delay_alu instid0(VALU_DEP_1) | instskip(NEXT) | instid1(VALU_DEP_1)
	v_min_u32_e32 v1, 32, v1
	v_lshlrev_b64_e32 v[12:13], v1, v[12:13]
	v_sub_nc_u32_e32 v1, 32, v1
	s_delay_alu instid0(VALU_DEP_2) | instskip(NEXT) | instid1(VALU_DEP_1)
	v_min_u32_e32 v3, 1, v12
	v_or_b32_e32 v3, v13, v3
	s_delay_alu instid0(VALU_DEP_1) | instskip(NEXT) | instid1(VALU_DEP_1)
	v_cvt_f32_u32_e32 v3, v3
	v_ldexp_f32 v11, v3, v1
	s_branch .LBB102_2089
.LBB102_2087:
	s_mov_b32 s14, -1
                                        ; implicit-def: $vgpr11
.LBB102_2088:
	s_mov_b32 s20, 0
.LBB102_2089:
	s_delay_alu instid0(SALU_CYCLE_1)
	s_and_b32 vcc_lo, exec_lo, s20
	s_cbranch_vccz .LBB102_2107
; %bb.2090:
	s_cmp_lt_i32 s10, 27
	s_cbranch_scc1 .LBB102_2093
; %bb.2091:
	s_cmp_gt_i32 s10, 27
	s_cbranch_scc0 .LBB102_2094
; %bb.2092:
	global_load_b32 v1, v[4:5], off
	s_mov_b32 s19, 0
	s_wait_loadcnt 0x0
	v_cvt_f32_u32_e32 v11, v1
	s_branch .LBB102_2095
.LBB102_2093:
	s_mov_b32 s19, -1
                                        ; implicit-def: $vgpr11
	s_branch .LBB102_2098
.LBB102_2094:
	s_mov_b32 s19, -1
                                        ; implicit-def: $vgpr11
.LBB102_2095:
	s_delay_alu instid0(SALU_CYCLE_1)
	s_and_not1_b32 vcc_lo, exec_lo, s19
	s_cbranch_vccnz .LBB102_2097
; %bb.2096:
	global_load_u16 v1, v[4:5], off
	s_wait_loadcnt 0x0
	v_cvt_f32_u32_e32 v11, v1
.LBB102_2097:
	s_mov_b32 s19, 0
.LBB102_2098:
	s_delay_alu instid0(SALU_CYCLE_1)
	s_and_not1_b32 vcc_lo, exec_lo, s19
	s_cbranch_vccnz .LBB102_2106
; %bb.2099:
	global_load_u8 v1, v[4:5], off
	s_mov_b32 s19, 0
	s_mov_b32 s20, exec_lo
	s_wait_loadcnt 0x0
	v_cmpx_lt_i16_e32 0x7f, v1
	s_xor_b32 s20, exec_lo, s20
	s_cbranch_execz .LBB102_2120
; %bb.2100:
	s_mov_b32 s19, -1
	s_mov_b32 s21, exec_lo
	v_cmpx_eq_u16_e32 0x80, v1
; %bb.2101:
	s_xor_b32 s19, exec_lo, -1
; %bb.2102:
	s_or_b32 exec_lo, exec_lo, s21
	s_delay_alu instid0(SALU_CYCLE_1)
	s_and_b32 s19, s19, exec_lo
	s_or_saveexec_b32 s20, s20
	v_mov_b32_e32 v11, 0x7f800001
	s_xor_b32 exec_lo, exec_lo, s20
	s_cbranch_execnz .LBB102_2121
.LBB102_2103:
	s_or_b32 exec_lo, exec_lo, s20
	s_and_saveexec_b32 s20, s19
	s_cbranch_execz .LBB102_2105
.LBB102_2104:
	v_and_b32_e32 v3, 0xffff, v1
	s_delay_alu instid0(VALU_DEP_1) | instskip(SKIP_1) | instid1(VALU_DEP_2)
	v_and_b32_e32 v11, 7, v3
	v_bfe_u32 v14, v3, 3, 4
	v_clz_i32_u32_e32 v12, v11
	s_delay_alu instid0(VALU_DEP_2) | instskip(NEXT) | instid1(VALU_DEP_2)
	v_cmp_eq_u32_e32 vcc_lo, 0, v14
	v_min_u32_e32 v12, 32, v12
	s_delay_alu instid0(VALU_DEP_1) | instskip(NEXT) | instid1(VALU_DEP_1)
	v_subrev_nc_u32_e32 v13, 28, v12
	v_dual_lshlrev_b32 v3, v13, v3 :: v_dual_sub_nc_u32 v12, 29, v12
	s_delay_alu instid0(VALU_DEP_1) | instskip(NEXT) | instid1(VALU_DEP_1)
	v_dual_lshlrev_b32 v1, 24, v1 :: v_dual_bitop2_b32 v3, 7, v3 bitop3:0x40
	v_dual_cndmask_b32 v12, v14, v12 :: v_dual_cndmask_b32 v3, v11, v3
	s_delay_alu instid0(VALU_DEP_2) | instskip(NEXT) | instid1(VALU_DEP_2)
	v_and_b32_e32 v1, 0x80000000, v1
	v_lshl_add_u32 v11, v12, 23, 0x3b800000
	s_delay_alu instid0(VALU_DEP_3) | instskip(NEXT) | instid1(VALU_DEP_1)
	v_lshlrev_b32_e32 v3, 20, v3
	v_or3_b32 v11, v1, v11, v3
.LBB102_2105:
	s_or_b32 exec_lo, exec_lo, s20
.LBB102_2106:
	s_mov_b32 s19, -1
.LBB102_2107:
	s_mov_b32 s20, 0
.LBB102_2108:
	s_delay_alu instid0(SALU_CYCLE_1)
	s_and_b32 vcc_lo, exec_lo, s20
	s_cbranch_vccz .LBB102_2141
; %bb.2109:
	s_cmp_gt_i32 s10, 22
	s_cbranch_scc0 .LBB102_2119
; %bb.2110:
	s_cmp_lt_i32 s10, 24
	s_cbranch_scc1 .LBB102_2122
; %bb.2111:
	s_cmp_gt_i32 s10, 24
	s_cbranch_scc0 .LBB102_2123
; %bb.2112:
	global_load_u8 v1, v[4:5], off
	s_mov_b32 s19, exec_lo
	s_wait_loadcnt 0x0
	v_cmpx_lt_i16_e32 0x7f, v1
	s_xor_b32 s19, exec_lo, s19
	s_cbranch_execz .LBB102_2135
; %bb.2113:
	s_mov_b32 s16, -1
	s_mov_b32 s20, exec_lo
	v_cmpx_eq_u16_e32 0x80, v1
; %bb.2114:
	s_xor_b32 s16, exec_lo, -1
; %bb.2115:
	s_or_b32 exec_lo, exec_lo, s20
	s_delay_alu instid0(SALU_CYCLE_1)
	s_and_b32 s16, s16, exec_lo
	s_or_saveexec_b32 s19, s19
	v_mov_b32_e32 v11, 0x7f800001
	s_xor_b32 exec_lo, exec_lo, s19
	s_cbranch_execnz .LBB102_2136
.LBB102_2116:
	s_or_b32 exec_lo, exec_lo, s19
	s_and_saveexec_b32 s19, s16
	s_cbranch_execz .LBB102_2118
.LBB102_2117:
	v_and_b32_e32 v3, 0xffff, v1
	s_delay_alu instid0(VALU_DEP_1) | instskip(SKIP_1) | instid1(VALU_DEP_2)
	v_and_b32_e32 v11, 3, v3
	v_bfe_u32 v14, v3, 2, 5
	v_clz_i32_u32_e32 v12, v11
	s_delay_alu instid0(VALU_DEP_2) | instskip(NEXT) | instid1(VALU_DEP_2)
	v_cmp_eq_u32_e32 vcc_lo, 0, v14
	v_min_u32_e32 v12, 32, v12
	s_delay_alu instid0(VALU_DEP_1) | instskip(NEXT) | instid1(VALU_DEP_1)
	v_subrev_nc_u32_e32 v13, 29, v12
	v_dual_lshlrev_b32 v3, v13, v3 :: v_dual_sub_nc_u32 v12, 30, v12
	s_delay_alu instid0(VALU_DEP_1) | instskip(NEXT) | instid1(VALU_DEP_1)
	v_dual_lshlrev_b32 v1, 24, v1 :: v_dual_bitop2_b32 v3, 3, v3 bitop3:0x40
	v_dual_cndmask_b32 v12, v14, v12 :: v_dual_cndmask_b32 v3, v11, v3
	s_delay_alu instid0(VALU_DEP_2) | instskip(NEXT) | instid1(VALU_DEP_2)
	v_and_b32_e32 v1, 0x80000000, v1
	v_lshl_add_u32 v11, v12, 23, 0x37800000
	s_delay_alu instid0(VALU_DEP_3) | instskip(NEXT) | instid1(VALU_DEP_1)
	v_lshlrev_b32_e32 v3, 21, v3
	v_or3_b32 v11, v1, v11, v3
.LBB102_2118:
	s_or_b32 exec_lo, exec_lo, s19
	s_mov_b32 s16, 0
	s_branch .LBB102_2124
.LBB102_2119:
	s_mov_b32 s16, -1
                                        ; implicit-def: $vgpr11
	s_branch .LBB102_2130
.LBB102_2120:
	s_or_saveexec_b32 s20, s20
	v_mov_b32_e32 v11, 0x7f800001
	s_xor_b32 exec_lo, exec_lo, s20
	s_cbranch_execz .LBB102_2103
.LBB102_2121:
	v_cmp_ne_u16_e32 vcc_lo, 0, v1
	v_mov_b32_e32 v11, 0
	s_and_not1_b32 s19, s19, exec_lo
	s_and_b32 s21, vcc_lo, exec_lo
	s_delay_alu instid0(SALU_CYCLE_1)
	s_or_b32 s19, s19, s21
	s_or_b32 exec_lo, exec_lo, s20
	s_and_saveexec_b32 s20, s19
	s_cbranch_execnz .LBB102_2104
	s_branch .LBB102_2105
.LBB102_2122:
	s_mov_b32 s16, -1
                                        ; implicit-def: $vgpr11
	s_branch .LBB102_2127
.LBB102_2123:
	s_mov_b32 s16, -1
                                        ; implicit-def: $vgpr11
.LBB102_2124:
	s_delay_alu instid0(SALU_CYCLE_1)
	s_and_b32 vcc_lo, exec_lo, s16
	s_cbranch_vccz .LBB102_2126
; %bb.2125:
	global_load_u8 v1, v[4:5], off
	s_wait_loadcnt 0x0
	v_lshlrev_b32_e32 v1, 24, v1
	s_delay_alu instid0(VALU_DEP_1) | instskip(NEXT) | instid1(VALU_DEP_1)
	v_and_b32_e32 v3, 0x7f000000, v1
	v_clz_i32_u32_e32 v11, v3
	v_add_nc_u32_e32 v13, 0x1000000, v3
	v_cmp_ne_u32_e32 vcc_lo, 0, v3
	s_delay_alu instid0(VALU_DEP_3) | instskip(NEXT) | instid1(VALU_DEP_1)
	v_min_u32_e32 v11, 32, v11
	v_sub_nc_u32_e64 v11, v11, 4 clamp
	s_delay_alu instid0(VALU_DEP_1) | instskip(NEXT) | instid1(VALU_DEP_1)
	v_lshlrev_b32_e32 v12, v11, v3
	v_dual_lshlrev_b32 v11, 23, v11 :: v_dual_lshrrev_b32 v12, 4, v12
	s_delay_alu instid0(VALU_DEP_1) | instskip(NEXT) | instid1(VALU_DEP_1)
	v_dual_sub_nc_u32 v11, v12, v11 :: v_dual_ashrrev_i32 v12, 8, v13
	v_add_nc_u32_e32 v11, 0x3c000000, v11
	s_delay_alu instid0(VALU_DEP_1) | instskip(NEXT) | instid1(VALU_DEP_1)
	v_and_or_b32 v11, 0x7f800000, v12, v11
	v_cndmask_b32_e32 v3, 0, v11, vcc_lo
	s_delay_alu instid0(VALU_DEP_1)
	v_and_or_b32 v11, 0x80000000, v1, v3
.LBB102_2126:
	s_mov_b32 s16, 0
.LBB102_2127:
	s_delay_alu instid0(SALU_CYCLE_1)
	s_and_not1_b32 vcc_lo, exec_lo, s16
	s_cbranch_vccnz .LBB102_2129
; %bb.2128:
	global_load_u8 v1, v[4:5], off
	s_wait_loadcnt 0x0
	v_lshlrev_b32_e32 v3, 25, v1
	v_lshlrev_b16 v1, 8, v1
	s_delay_alu instid0(VALU_DEP_1) | instskip(SKIP_1) | instid1(VALU_DEP_2)
	v_and_or_b32 v12, 0x7f00, v1, 0.5
	v_bfe_i32 v1, v1, 0, 16
	v_dual_add_f32 v12, -0.5, v12 :: v_dual_lshrrev_b32 v11, 4, v3
	v_cmp_gt_u32_e32 vcc_lo, 0x8000000, v3
	s_delay_alu instid0(VALU_DEP_2) | instskip(NEXT) | instid1(VALU_DEP_1)
	v_or_b32_e32 v11, 0x70000000, v11
	v_mul_f32_e32 v11, 0x7800000, v11
	s_delay_alu instid0(VALU_DEP_1) | instskip(NEXT) | instid1(VALU_DEP_1)
	v_cndmask_b32_e32 v3, v11, v12, vcc_lo
	v_and_or_b32 v11, 0x80000000, v1, v3
.LBB102_2129:
	s_mov_b32 s16, 0
	s_mov_b32 s19, -1
.LBB102_2130:
	s_and_not1_b32 vcc_lo, exec_lo, s16
	s_mov_b32 s16, 0
	s_cbranch_vccnz .LBB102_2141
; %bb.2131:
	s_cmp_gt_i32 s10, 14
	s_cbranch_scc0 .LBB102_2134
; %bb.2132:
	s_cmp_eq_u32 s10, 15
	s_cbranch_scc0 .LBB102_2137
; %bb.2133:
	global_load_u16 v1, v[4:5], off
	s_mov_b32 s14, 0
	s_mov_b32 s19, -1
	s_wait_loadcnt 0x0
	v_lshlrev_b32_e32 v11, 16, v1
	s_branch .LBB102_2139
.LBB102_2134:
	s_mov_b32 s16, -1
	s_branch .LBB102_2138
.LBB102_2135:
	s_or_saveexec_b32 s19, s19
	v_mov_b32_e32 v11, 0x7f800001
	s_xor_b32 exec_lo, exec_lo, s19
	s_cbranch_execz .LBB102_2116
.LBB102_2136:
	v_cmp_ne_u16_e32 vcc_lo, 0, v1
	v_mov_b32_e32 v11, 0
	s_and_not1_b32 s16, s16, exec_lo
	s_and_b32 s20, vcc_lo, exec_lo
	s_delay_alu instid0(SALU_CYCLE_1)
	s_or_b32 s16, s16, s20
	s_or_b32 exec_lo, exec_lo, s19
	s_and_saveexec_b32 s19, s16
	s_cbranch_execnz .LBB102_2117
	s_branch .LBB102_2118
.LBB102_2137:
	s_mov_b32 s14, -1
.LBB102_2138:
                                        ; implicit-def: $vgpr11
.LBB102_2139:
	s_and_b32 vcc_lo, exec_lo, s16
	s_mov_b32 s16, 0
	s_cbranch_vccz .LBB102_2141
; %bb.2140:
	s_cmp_lg_u32 s10, 11
	s_mov_b32 s16, -1
	s_cselect_b32 s14, -1, 0
.LBB102_2141:
	s_delay_alu instid0(SALU_CYCLE_1)
	s_and_b32 vcc_lo, exec_lo, s14
	s_cbranch_vccnz .LBB102_2206
; %bb.2142:
	s_and_not1_b32 vcc_lo, exec_lo, s16
	s_cbranch_vccnz .LBB102_2144
.LBB102_2143:
	global_load_u8 v1, v[4:5], off
	s_mov_b32 s19, -1
	s_wait_loadcnt 0x0
	v_cmp_ne_u16_e32 vcc_lo, 0, v1
	v_cndmask_b32_e64 v11, 0, 1.0, vcc_lo
.LBB102_2144:
	s_mov_b32 s10, 0
.LBB102_2145:
	s_delay_alu instid0(SALU_CYCLE_1)
	s_and_b32 vcc_lo, exec_lo, s10
	s_cbranch_vccz .LBB102_2194
; %bb.2146:
	s_and_b32 s10, 0xffff, s0
	s_delay_alu instid0(SALU_CYCLE_1)
	s_cmp_lt_i32 s10, 5
	s_cbranch_scc1 .LBB102_2151
; %bb.2147:
	s_cmp_lt_i32 s10, 8
	s_cbranch_scc1 .LBB102_2152
; %bb.2148:
	;; [unrolled: 3-line block ×3, first 2 shown]
	s_cmp_gt_i32 s10, 9
	s_cbranch_scc0 .LBB102_2154
; %bb.2150:
	global_load_b64 v[12:13], v[4:5], off
	s_mov_b32 s14, 0
	s_wait_loadcnt 0x0
	v_cvt_f32_f64_e32 v11, v[12:13]
	s_branch .LBB102_2155
.LBB102_2151:
	s_mov_b32 s14, -1
                                        ; implicit-def: $vgpr11
	s_branch .LBB102_2173
.LBB102_2152:
	s_mov_b32 s14, -1
                                        ; implicit-def: $vgpr11
	s_branch .LBB102_2161
.LBB102_2153:
	s_mov_b32 s14, -1
                                        ; implicit-def: $vgpr11
	s_branch .LBB102_2158
.LBB102_2154:
	s_mov_b32 s14, -1
                                        ; implicit-def: $vgpr11
.LBB102_2155:
	s_delay_alu instid0(SALU_CYCLE_1)
	s_and_not1_b32 vcc_lo, exec_lo, s14
	s_cbranch_vccnz .LBB102_2157
; %bb.2156:
	global_load_b32 v11, v[4:5], off
.LBB102_2157:
	s_mov_b32 s14, 0
.LBB102_2158:
	s_delay_alu instid0(SALU_CYCLE_1)
	s_and_not1_b32 vcc_lo, exec_lo, s14
	s_cbranch_vccnz .LBB102_2160
; %bb.2159:
	global_load_b32 v1, v[4:5], off
	s_wait_loadcnt 0x0
	v_cvt_f32_f16_e32 v11, v1
.LBB102_2160:
	s_mov_b32 s14, 0
.LBB102_2161:
	s_delay_alu instid0(SALU_CYCLE_1)
	s_and_not1_b32 vcc_lo, exec_lo, s14
	s_cbranch_vccnz .LBB102_2172
; %bb.2162:
	s_cmp_lt_i32 s10, 6
	s_cbranch_scc1 .LBB102_2165
; %bb.2163:
	s_cmp_gt_i32 s10, 6
	s_cbranch_scc0 .LBB102_2166
; %bb.2164:
	global_load_b64 v[12:13], v[4:5], off
	s_mov_b32 s14, 0
	s_wait_loadcnt 0x0
	v_cvt_f32_f64_e32 v11, v[12:13]
	s_branch .LBB102_2167
.LBB102_2165:
	s_mov_b32 s14, -1
                                        ; implicit-def: $vgpr11
	s_branch .LBB102_2170
.LBB102_2166:
	s_mov_b32 s14, -1
                                        ; implicit-def: $vgpr11
.LBB102_2167:
	s_delay_alu instid0(SALU_CYCLE_1)
	s_and_not1_b32 vcc_lo, exec_lo, s14
	s_cbranch_vccnz .LBB102_2169
; %bb.2168:
	s_wait_loadcnt 0x0
	global_load_b32 v11, v[4:5], off
.LBB102_2169:
	s_mov_b32 s14, 0
.LBB102_2170:
	s_delay_alu instid0(SALU_CYCLE_1)
	s_and_not1_b32 vcc_lo, exec_lo, s14
	s_cbranch_vccnz .LBB102_2172
; %bb.2171:
	global_load_u16 v1, v[4:5], off
	s_wait_loadcnt 0x0
	v_cvt_f32_f16_e32 v11, v1
.LBB102_2172:
	s_mov_b32 s14, 0
.LBB102_2173:
	s_delay_alu instid0(SALU_CYCLE_1)
	s_and_not1_b32 vcc_lo, exec_lo, s14
	s_cbranch_vccnz .LBB102_2193
; %bb.2174:
	s_cmp_lt_i32 s10, 2
	s_cbranch_scc1 .LBB102_2178
; %bb.2175:
	s_cmp_lt_i32 s10, 3
	s_cbranch_scc1 .LBB102_2179
; %bb.2176:
	s_cmp_gt_i32 s10, 3
	s_cbranch_scc0 .LBB102_2180
; %bb.2177:
	global_load_b64 v[12:13], v[4:5], off
	s_mov_b32 s14, 0
	s_wait_loadcnt 0x0
	v_xor_b32_e32 v1, v12, v13
	v_cls_i32_e32 v3, v13
	s_delay_alu instid0(VALU_DEP_2) | instskip(NEXT) | instid1(VALU_DEP_1)
	v_ashrrev_i32_e32 v1, 31, v1
	v_add_nc_u32_e32 v1, 32, v1
	s_delay_alu instid0(VALU_DEP_1) | instskip(NEXT) | instid1(VALU_DEP_1)
	v_add_min_u32_e64 v1, v3, -1, v1
	v_lshlrev_b64_e32 v[12:13], v1, v[12:13]
	v_sub_nc_u32_e32 v1, 32, v1
	s_delay_alu instid0(VALU_DEP_2) | instskip(NEXT) | instid1(VALU_DEP_1)
	v_min_u32_e32 v3, 1, v12
	v_or_b32_e32 v3, v13, v3
	s_delay_alu instid0(VALU_DEP_1) | instskip(NEXT) | instid1(VALU_DEP_1)
	v_cvt_f32_i32_e32 v3, v3
	v_ldexp_f32 v11, v3, v1
	s_branch .LBB102_2181
.LBB102_2178:
	s_mov_b32 s14, -1
                                        ; implicit-def: $vgpr11
	s_branch .LBB102_2187
.LBB102_2179:
	s_mov_b32 s14, -1
                                        ; implicit-def: $vgpr11
	s_branch .LBB102_2184
.LBB102_2180:
	s_mov_b32 s14, -1
                                        ; implicit-def: $vgpr11
.LBB102_2181:
	s_delay_alu instid0(SALU_CYCLE_1)
	s_and_not1_b32 vcc_lo, exec_lo, s14
	s_cbranch_vccnz .LBB102_2183
; %bb.2182:
	global_load_b32 v1, v[4:5], off
	s_wait_loadcnt 0x0
	v_cvt_f32_i32_e32 v11, v1
.LBB102_2183:
	s_mov_b32 s14, 0
.LBB102_2184:
	s_delay_alu instid0(SALU_CYCLE_1)
	s_and_not1_b32 vcc_lo, exec_lo, s14
	s_cbranch_vccnz .LBB102_2186
; %bb.2185:
	global_load_i16 v1, v[4:5], off
	s_wait_loadcnt 0x0
	v_cvt_f32_i32_e32 v11, v1
.LBB102_2186:
	s_mov_b32 s14, 0
.LBB102_2187:
	s_delay_alu instid0(SALU_CYCLE_1)
	s_and_not1_b32 vcc_lo, exec_lo, s14
	s_cbranch_vccnz .LBB102_2193
; %bb.2188:
	s_cmp_gt_i32 s10, 0
	s_mov_b32 s10, 0
	s_cbranch_scc0 .LBB102_2190
; %bb.2189:
	global_load_i8 v1, v[4:5], off
	s_wait_loadcnt 0x0
	v_cvt_f32_i32_e32 v11, v1
	s_branch .LBB102_2191
.LBB102_2190:
	s_mov_b32 s10, -1
                                        ; implicit-def: $vgpr11
.LBB102_2191:
	s_delay_alu instid0(SALU_CYCLE_1)
	s_and_not1_b32 vcc_lo, exec_lo, s10
	s_cbranch_vccnz .LBB102_2193
; %bb.2192:
	global_load_u8 v1, v[4:5], off
	s_wait_loadcnt 0x0
	v_cvt_f32_ubyte0_e32 v11, v1
.LBB102_2193:
	s_mov_b32 s19, -1
.LBB102_2194:
	s_delay_alu instid0(SALU_CYCLE_1)
	s_and_not1_b32 vcc_lo, exec_lo, s19
	s_cbranch_vccnz .LBB102_3022
; %bb.2195:
	v_add_nc_u32_e32 v2, s9, v2
	s_cmp_lt_i32 s1, 11
	s_delay_alu instid0(VALU_DEP_1) | instskip(SKIP_1) | instid1(VALU_DEP_1)
	v_ashrrev_i32_e32 v3, 31, v2
	s_wait_xcnt 0x0
	v_add_nc_u64_e32 v[4:5], s[12:13], v[2:3]
	s_cbranch_scc1 .LBB102_2202
; %bb.2196:
	s_and_b32 s10, 0xffff, s1
	s_mov_b32 s16, 0
	s_cmp_gt_i32 s10, 25
	s_cbranch_scc0 .LBB102_2203
; %bb.2197:
	s_cmp_gt_i32 s10, 28
	s_cbranch_scc0 .LBB102_2204
; %bb.2198:
	;; [unrolled: 3-line block ×4, first 2 shown]
	s_cmp_eq_u32 s10, 46
	s_mov_b32 s20, 0
	s_cbranch_scc0 .LBB102_2210
; %bb.2201:
	global_load_b32 v1, v[4:5], off
	s_mov_b32 s14, 0
	s_mov_b32 s19, -1
	s_wait_loadcnt 0x0
	v_lshlrev_b32_e32 v12, 16, v1
	s_branch .LBB102_2212
.LBB102_2202:
	s_mov_b32 s10, -1
	s_mov_b32 s19, 0
                                        ; implicit-def: $vgpr12
	s_branch .LBB102_2278
.LBB102_2203:
	s_mov_b32 s20, -1
	s_mov_b32 s19, 0
	s_mov_b32 s14, 0
                                        ; implicit-def: $vgpr12
	s_branch .LBB102_2241
.LBB102_2204:
	s_mov_b32 s20, -1
	s_mov_b32 s19, 0
	s_mov_b32 s14, 0
                                        ; implicit-def: $vgpr12
	s_branch .LBB102_2222
.LBB102_2205:
	s_mov_b32 s20, -1
	s_mov_b32 s19, 0
	s_mov_b32 s14, 0
                                        ; implicit-def: $vgpr12
	s_branch .LBB102_2217
.LBB102_2206:
	s_or_b32 s15, s15, exec_lo
	s_trap 2
	s_cbranch_execz .LBB102_2143
	s_branch .LBB102_2144
.LBB102_2207:
	s_mov_b32 s20, -1
	s_mov_b32 s19, 0
	s_mov_b32 s14, 0
	s_branch .LBB102_2211
.LBB102_2208:
	s_and_not1_saveexec_b32 s35, s35
	s_cbranch_execz .LBB102_1087
.LBB102_2209:
	v_add_f32_e32 v2, 0x42800000, v3
	s_and_not1_b32 s34, s34, exec_lo
	s_delay_alu instid0(VALU_DEP_1) | instskip(NEXT) | instid1(VALU_DEP_1)
	v_and_b32_e32 v2, 0xff, v2
	v_cmp_ne_u32_e32 vcc_lo, 0, v2
	s_and_b32 s36, vcc_lo, exec_lo
	s_delay_alu instid0(SALU_CYCLE_1)
	s_or_b32 s34, s34, s36
	s_or_b32 exec_lo, exec_lo, s35
	v_mov_b32_e32 v4, 0
	s_and_saveexec_b32 s35, s34
	s_cbranch_execnz .LBB102_1088
	s_branch .LBB102_1089
.LBB102_2210:
	s_mov_b32 s14, -1
	s_mov_b32 s19, 0
.LBB102_2211:
                                        ; implicit-def: $vgpr12
.LBB102_2212:
	s_and_b32 vcc_lo, exec_lo, s20
	s_cbranch_vccz .LBB102_2216
; %bb.2213:
	s_cmp_eq_u32 s10, 44
	s_cbranch_scc0 .LBB102_2215
; %bb.2214:
	global_load_u8 v1, v[4:5], off
	s_mov_b32 s14, 0
	s_mov_b32 s19, -1
	s_wait_loadcnt 0x0
	v_lshlrev_b32_e32 v3, 23, v1
	v_cmp_ne_u32_e32 vcc_lo, 0xff, v1
	s_delay_alu instid0(VALU_DEP_2) | instskip(SKIP_1) | instid1(VALU_DEP_2)
	v_cndmask_b32_e32 v3, 0x7f800001, v3, vcc_lo
	v_cmp_ne_u32_e32 vcc_lo, 0, v1
	v_cndmask_b32_e32 v12, 0x400000, v3, vcc_lo
	s_branch .LBB102_2216
.LBB102_2215:
	s_mov_b32 s14, -1
                                        ; implicit-def: $vgpr12
.LBB102_2216:
	s_mov_b32 s20, 0
.LBB102_2217:
	s_delay_alu instid0(SALU_CYCLE_1)
	s_and_b32 vcc_lo, exec_lo, s20
	s_cbranch_vccz .LBB102_2221
; %bb.2218:
	s_cmp_eq_u32 s10, 29
	s_cbranch_scc0 .LBB102_2220
; %bb.2219:
	global_load_b64 v[12:13], v[4:5], off
	s_mov_b32 s14, 0
	s_mov_b32 s19, -1
	s_mov_b32 s20, 0
	s_wait_loadcnt 0x0
	v_clz_i32_u32_e32 v1, v13
	s_delay_alu instid0(VALU_DEP_1) | instskip(NEXT) | instid1(VALU_DEP_1)
	v_min_u32_e32 v1, 32, v1
	v_lshlrev_b64_e32 v[12:13], v1, v[12:13]
	v_sub_nc_u32_e32 v1, 32, v1
	s_delay_alu instid0(VALU_DEP_2) | instskip(NEXT) | instid1(VALU_DEP_1)
	v_min_u32_e32 v3, 1, v12
	v_or_b32_e32 v3, v13, v3
	s_delay_alu instid0(VALU_DEP_1) | instskip(NEXT) | instid1(VALU_DEP_1)
	v_cvt_f32_u32_e32 v3, v3
	v_ldexp_f32 v12, v3, v1
	s_branch .LBB102_2222
.LBB102_2220:
	s_mov_b32 s14, -1
                                        ; implicit-def: $vgpr12
.LBB102_2221:
	s_mov_b32 s20, 0
.LBB102_2222:
	s_delay_alu instid0(SALU_CYCLE_1)
	s_and_b32 vcc_lo, exec_lo, s20
	s_cbranch_vccz .LBB102_2240
; %bb.2223:
	s_cmp_lt_i32 s10, 27
	s_cbranch_scc1 .LBB102_2226
; %bb.2224:
	s_cmp_gt_i32 s10, 27
	s_cbranch_scc0 .LBB102_2227
; %bb.2225:
	global_load_b32 v1, v[4:5], off
	s_mov_b32 s19, 0
	s_wait_loadcnt 0x0
	v_cvt_f32_u32_e32 v12, v1
	s_branch .LBB102_2228
.LBB102_2226:
	s_mov_b32 s19, -1
                                        ; implicit-def: $vgpr12
	s_branch .LBB102_2231
.LBB102_2227:
	s_mov_b32 s19, -1
                                        ; implicit-def: $vgpr12
.LBB102_2228:
	s_delay_alu instid0(SALU_CYCLE_1)
	s_and_not1_b32 vcc_lo, exec_lo, s19
	s_cbranch_vccnz .LBB102_2230
; %bb.2229:
	global_load_u16 v1, v[4:5], off
	s_wait_loadcnt 0x0
	v_cvt_f32_u32_e32 v12, v1
.LBB102_2230:
	s_mov_b32 s19, 0
.LBB102_2231:
	s_delay_alu instid0(SALU_CYCLE_1)
	s_and_not1_b32 vcc_lo, exec_lo, s19
	s_cbranch_vccnz .LBB102_2239
; %bb.2232:
	global_load_u8 v1, v[4:5], off
	s_mov_b32 s19, 0
	s_mov_b32 s20, exec_lo
	s_wait_loadcnt 0x0
	v_cmpx_lt_i16_e32 0x7f, v1
	s_xor_b32 s20, exec_lo, s20
	s_cbranch_execz .LBB102_2253
; %bb.2233:
	s_mov_b32 s19, -1
	s_mov_b32 s21, exec_lo
	v_cmpx_eq_u16_e32 0x80, v1
; %bb.2234:
	s_xor_b32 s19, exec_lo, -1
; %bb.2235:
	s_or_b32 exec_lo, exec_lo, s21
	s_delay_alu instid0(SALU_CYCLE_1)
	s_and_b32 s19, s19, exec_lo
	s_or_saveexec_b32 s20, s20
	v_mov_b32_e32 v12, 0x7f800001
	s_xor_b32 exec_lo, exec_lo, s20
	s_cbranch_execnz .LBB102_2254
.LBB102_2236:
	s_or_b32 exec_lo, exec_lo, s20
	s_and_saveexec_b32 s20, s19
	s_cbranch_execz .LBB102_2238
.LBB102_2237:
	v_and_b32_e32 v3, 0xffff, v1
	s_delay_alu instid0(VALU_DEP_1) | instskip(SKIP_1) | instid1(VALU_DEP_2)
	v_and_b32_e32 v12, 7, v3
	v_bfe_u32 v15, v3, 3, 4
	v_clz_i32_u32_e32 v13, v12
	s_delay_alu instid0(VALU_DEP_2) | instskip(NEXT) | instid1(VALU_DEP_2)
	v_cmp_eq_u32_e32 vcc_lo, 0, v15
	v_min_u32_e32 v13, 32, v13
	s_delay_alu instid0(VALU_DEP_1) | instskip(NEXT) | instid1(VALU_DEP_1)
	v_subrev_nc_u32_e32 v14, 28, v13
	v_dual_lshlrev_b32 v3, v14, v3 :: v_dual_sub_nc_u32 v13, 29, v13
	s_delay_alu instid0(VALU_DEP_1) | instskip(NEXT) | instid1(VALU_DEP_1)
	v_dual_lshlrev_b32 v1, 24, v1 :: v_dual_bitop2_b32 v3, 7, v3 bitop3:0x40
	v_dual_cndmask_b32 v3, v12, v3, vcc_lo :: v_dual_cndmask_b32 v13, v15, v13, vcc_lo
	s_delay_alu instid0(VALU_DEP_2) | instskip(NEXT) | instid1(VALU_DEP_2)
	v_and_b32_e32 v1, 0x80000000, v1
	v_lshlrev_b32_e32 v3, 20, v3
	s_delay_alu instid0(VALU_DEP_3) | instskip(NEXT) | instid1(VALU_DEP_1)
	v_lshl_add_u32 v12, v13, 23, 0x3b800000
	v_or3_b32 v12, v1, v12, v3
.LBB102_2238:
	s_or_b32 exec_lo, exec_lo, s20
.LBB102_2239:
	s_mov_b32 s19, -1
.LBB102_2240:
	s_mov_b32 s20, 0
.LBB102_2241:
	s_delay_alu instid0(SALU_CYCLE_1)
	s_and_b32 vcc_lo, exec_lo, s20
	s_cbranch_vccz .LBB102_2274
; %bb.2242:
	s_cmp_gt_i32 s10, 22
	s_cbranch_scc0 .LBB102_2252
; %bb.2243:
	s_cmp_lt_i32 s10, 24
	s_cbranch_scc1 .LBB102_2255
; %bb.2244:
	s_cmp_gt_i32 s10, 24
	s_cbranch_scc0 .LBB102_2256
; %bb.2245:
	global_load_u8 v1, v[4:5], off
	s_mov_b32 s19, exec_lo
	s_wait_loadcnt 0x0
	v_cmpx_lt_i16_e32 0x7f, v1
	s_xor_b32 s19, exec_lo, s19
	s_cbranch_execz .LBB102_2268
; %bb.2246:
	s_mov_b32 s16, -1
	s_mov_b32 s20, exec_lo
	v_cmpx_eq_u16_e32 0x80, v1
; %bb.2247:
	s_xor_b32 s16, exec_lo, -1
; %bb.2248:
	s_or_b32 exec_lo, exec_lo, s20
	s_delay_alu instid0(SALU_CYCLE_1)
	s_and_b32 s16, s16, exec_lo
	s_or_saveexec_b32 s19, s19
	v_mov_b32_e32 v12, 0x7f800001
	s_xor_b32 exec_lo, exec_lo, s19
	s_cbranch_execnz .LBB102_2269
.LBB102_2249:
	s_or_b32 exec_lo, exec_lo, s19
	s_and_saveexec_b32 s19, s16
	s_cbranch_execz .LBB102_2251
.LBB102_2250:
	v_and_b32_e32 v3, 0xffff, v1
	s_delay_alu instid0(VALU_DEP_1) | instskip(SKIP_1) | instid1(VALU_DEP_2)
	v_and_b32_e32 v12, 3, v3
	v_bfe_u32 v15, v3, 2, 5
	v_clz_i32_u32_e32 v13, v12
	s_delay_alu instid0(VALU_DEP_2) | instskip(NEXT) | instid1(VALU_DEP_2)
	v_cmp_eq_u32_e32 vcc_lo, 0, v15
	v_min_u32_e32 v13, 32, v13
	s_delay_alu instid0(VALU_DEP_1) | instskip(NEXT) | instid1(VALU_DEP_1)
	v_subrev_nc_u32_e32 v14, 29, v13
	v_dual_lshlrev_b32 v3, v14, v3 :: v_dual_sub_nc_u32 v13, 30, v13
	s_delay_alu instid0(VALU_DEP_1) | instskip(NEXT) | instid1(VALU_DEP_1)
	v_dual_lshlrev_b32 v1, 24, v1 :: v_dual_bitop2_b32 v3, 3, v3 bitop3:0x40
	v_dual_cndmask_b32 v3, v12, v3, vcc_lo :: v_dual_cndmask_b32 v13, v15, v13, vcc_lo
	s_delay_alu instid0(VALU_DEP_2) | instskip(NEXT) | instid1(VALU_DEP_2)
	v_and_b32_e32 v1, 0x80000000, v1
	v_lshlrev_b32_e32 v3, 21, v3
	s_delay_alu instid0(VALU_DEP_3) | instskip(NEXT) | instid1(VALU_DEP_1)
	v_lshl_add_u32 v12, v13, 23, 0x37800000
	v_or3_b32 v12, v1, v12, v3
.LBB102_2251:
	s_or_b32 exec_lo, exec_lo, s19
	s_mov_b32 s16, 0
	s_branch .LBB102_2257
.LBB102_2252:
	s_mov_b32 s16, -1
                                        ; implicit-def: $vgpr12
	s_branch .LBB102_2263
.LBB102_2253:
	s_or_saveexec_b32 s20, s20
	v_mov_b32_e32 v12, 0x7f800001
	s_xor_b32 exec_lo, exec_lo, s20
	s_cbranch_execz .LBB102_2236
.LBB102_2254:
	v_cmp_ne_u16_e32 vcc_lo, 0, v1
	v_mov_b32_e32 v12, 0
	s_and_not1_b32 s19, s19, exec_lo
	s_and_b32 s21, vcc_lo, exec_lo
	s_delay_alu instid0(SALU_CYCLE_1)
	s_or_b32 s19, s19, s21
	s_or_b32 exec_lo, exec_lo, s20
	s_and_saveexec_b32 s20, s19
	s_cbranch_execnz .LBB102_2237
	s_branch .LBB102_2238
.LBB102_2255:
	s_mov_b32 s16, -1
                                        ; implicit-def: $vgpr12
	s_branch .LBB102_2260
.LBB102_2256:
	s_mov_b32 s16, -1
                                        ; implicit-def: $vgpr12
.LBB102_2257:
	s_delay_alu instid0(SALU_CYCLE_1)
	s_and_b32 vcc_lo, exec_lo, s16
	s_cbranch_vccz .LBB102_2259
; %bb.2258:
	global_load_u8 v1, v[4:5], off
	s_wait_loadcnt 0x0
	v_lshlrev_b32_e32 v1, 24, v1
	s_delay_alu instid0(VALU_DEP_1) | instskip(NEXT) | instid1(VALU_DEP_1)
	v_and_b32_e32 v3, 0x7f000000, v1
	v_clz_i32_u32_e32 v12, v3
	v_cmp_ne_u32_e32 vcc_lo, 0, v3
	v_add_nc_u32_e32 v14, 0x1000000, v3
	s_delay_alu instid0(VALU_DEP_3) | instskip(NEXT) | instid1(VALU_DEP_1)
	v_min_u32_e32 v12, 32, v12
	v_sub_nc_u32_e64 v12, v12, 4 clamp
	s_delay_alu instid0(VALU_DEP_1) | instskip(NEXT) | instid1(VALU_DEP_1)
	v_dual_lshlrev_b32 v13, v12, v3 :: v_dual_lshlrev_b32 v12, 23, v12
	v_lshrrev_b32_e32 v13, 4, v13
	s_delay_alu instid0(VALU_DEP_1) | instskip(NEXT) | instid1(VALU_DEP_1)
	v_dual_sub_nc_u32 v12, v13, v12 :: v_dual_ashrrev_i32 v13, 8, v14
	v_add_nc_u32_e32 v12, 0x3c000000, v12
	s_delay_alu instid0(VALU_DEP_1) | instskip(NEXT) | instid1(VALU_DEP_1)
	v_and_or_b32 v12, 0x7f800000, v13, v12
	v_cndmask_b32_e32 v3, 0, v12, vcc_lo
	s_delay_alu instid0(VALU_DEP_1)
	v_and_or_b32 v12, 0x80000000, v1, v3
.LBB102_2259:
	s_mov_b32 s16, 0
.LBB102_2260:
	s_delay_alu instid0(SALU_CYCLE_1)
	s_and_not1_b32 vcc_lo, exec_lo, s16
	s_cbranch_vccnz .LBB102_2262
; %bb.2261:
	global_load_u8 v1, v[4:5], off
	s_wait_loadcnt 0x0
	v_lshlrev_b32_e32 v3, 25, v1
	v_lshlrev_b16 v1, 8, v1
	s_delay_alu instid0(VALU_DEP_1) | instskip(NEXT) | instid1(VALU_DEP_3)
	v_and_or_b32 v13, 0x7f00, v1, 0.5
	v_lshrrev_b32_e32 v12, 4, v3
	v_bfe_i32 v1, v1, 0, 16
	s_delay_alu instid0(VALU_DEP_3) | instskip(NEXT) | instid1(VALU_DEP_3)
	v_add_f32_e32 v13, -0.5, v13
	v_or_b32_e32 v12, 0x70000000, v12
	s_delay_alu instid0(VALU_DEP_1) | instskip(SKIP_1) | instid1(VALU_DEP_2)
	v_mul_f32_e32 v12, 0x7800000, v12
	v_cmp_gt_u32_e32 vcc_lo, 0x8000000, v3
	v_cndmask_b32_e32 v3, v12, v13, vcc_lo
	s_delay_alu instid0(VALU_DEP_1)
	v_and_or_b32 v12, 0x80000000, v1, v3
.LBB102_2262:
	s_mov_b32 s16, 0
	s_mov_b32 s19, -1
.LBB102_2263:
	s_and_not1_b32 vcc_lo, exec_lo, s16
	s_mov_b32 s16, 0
	s_cbranch_vccnz .LBB102_2274
; %bb.2264:
	s_cmp_gt_i32 s10, 14
	s_cbranch_scc0 .LBB102_2267
; %bb.2265:
	s_cmp_eq_u32 s10, 15
	s_cbranch_scc0 .LBB102_2270
; %bb.2266:
	global_load_u16 v1, v[4:5], off
	s_mov_b32 s14, 0
	s_mov_b32 s19, -1
	s_wait_loadcnt 0x0
	v_lshlrev_b32_e32 v12, 16, v1
	s_branch .LBB102_2272
.LBB102_2267:
	s_mov_b32 s16, -1
	s_branch .LBB102_2271
.LBB102_2268:
	s_or_saveexec_b32 s19, s19
	v_mov_b32_e32 v12, 0x7f800001
	s_xor_b32 exec_lo, exec_lo, s19
	s_cbranch_execz .LBB102_2249
.LBB102_2269:
	v_cmp_ne_u16_e32 vcc_lo, 0, v1
	v_mov_b32_e32 v12, 0
	s_and_not1_b32 s16, s16, exec_lo
	s_and_b32 s20, vcc_lo, exec_lo
	s_delay_alu instid0(SALU_CYCLE_1)
	s_or_b32 s16, s16, s20
	s_or_b32 exec_lo, exec_lo, s19
	s_and_saveexec_b32 s19, s16
	s_cbranch_execnz .LBB102_2250
	s_branch .LBB102_2251
.LBB102_2270:
	s_mov_b32 s14, -1
.LBB102_2271:
                                        ; implicit-def: $vgpr12
.LBB102_2272:
	s_and_b32 vcc_lo, exec_lo, s16
	s_mov_b32 s16, 0
	s_cbranch_vccz .LBB102_2274
; %bb.2273:
	s_cmp_lg_u32 s10, 11
	s_mov_b32 s16, -1
	s_cselect_b32 s14, -1, 0
.LBB102_2274:
	s_delay_alu instid0(SALU_CYCLE_1)
	s_and_b32 vcc_lo, exec_lo, s14
	s_cbranch_vccnz .LBB102_2339
; %bb.2275:
	s_and_not1_b32 vcc_lo, exec_lo, s16
	s_cbranch_vccnz .LBB102_2277
.LBB102_2276:
	global_load_u8 v1, v[4:5], off
	s_mov_b32 s19, -1
	s_wait_loadcnt 0x0
	v_cmp_ne_u16_e32 vcc_lo, 0, v1
	v_cndmask_b32_e64 v12, 0, 1.0, vcc_lo
.LBB102_2277:
	s_mov_b32 s10, 0
.LBB102_2278:
	s_delay_alu instid0(SALU_CYCLE_1)
	s_and_b32 vcc_lo, exec_lo, s10
	s_cbranch_vccz .LBB102_2327
; %bb.2279:
	s_and_b32 s10, 0xffff, s1
	s_delay_alu instid0(SALU_CYCLE_1)
	s_cmp_lt_i32 s10, 5
	s_cbranch_scc1 .LBB102_2284
; %bb.2280:
	s_cmp_lt_i32 s10, 8
	s_cbranch_scc1 .LBB102_2285
; %bb.2281:
	;; [unrolled: 3-line block ×3, first 2 shown]
	s_cmp_gt_i32 s10, 9
	s_cbranch_scc0 .LBB102_2287
; %bb.2283:
	global_load_b64 v[12:13], v[4:5], off
	s_mov_b32 s14, 0
	s_wait_loadcnt 0x0
	v_cvt_f32_f64_e32 v12, v[12:13]
	s_branch .LBB102_2288
.LBB102_2284:
	s_mov_b32 s14, -1
                                        ; implicit-def: $vgpr12
	s_branch .LBB102_2306
.LBB102_2285:
	s_mov_b32 s14, -1
                                        ; implicit-def: $vgpr12
	s_branch .LBB102_2294
.LBB102_2286:
	s_mov_b32 s14, -1
                                        ; implicit-def: $vgpr12
	s_branch .LBB102_2291
.LBB102_2287:
	s_mov_b32 s14, -1
                                        ; implicit-def: $vgpr12
.LBB102_2288:
	s_delay_alu instid0(SALU_CYCLE_1)
	s_and_not1_b32 vcc_lo, exec_lo, s14
	s_cbranch_vccnz .LBB102_2290
; %bb.2289:
	global_load_b32 v12, v[4:5], off
.LBB102_2290:
	s_mov_b32 s14, 0
.LBB102_2291:
	s_delay_alu instid0(SALU_CYCLE_1)
	s_and_not1_b32 vcc_lo, exec_lo, s14
	s_cbranch_vccnz .LBB102_2293
; %bb.2292:
	global_load_b32 v1, v[4:5], off
	s_wait_loadcnt 0x0
	v_cvt_f32_f16_e32 v12, v1
.LBB102_2293:
	s_mov_b32 s14, 0
.LBB102_2294:
	s_delay_alu instid0(SALU_CYCLE_1)
	s_and_not1_b32 vcc_lo, exec_lo, s14
	s_cbranch_vccnz .LBB102_2305
; %bb.2295:
	s_cmp_lt_i32 s10, 6
	s_cbranch_scc1 .LBB102_2298
; %bb.2296:
	s_cmp_gt_i32 s10, 6
	s_cbranch_scc0 .LBB102_2299
; %bb.2297:
	s_wait_loadcnt 0x0
	global_load_b64 v[12:13], v[4:5], off
	s_mov_b32 s14, 0
	s_wait_loadcnt 0x0
	v_cvt_f32_f64_e32 v12, v[12:13]
	s_branch .LBB102_2300
.LBB102_2298:
	s_mov_b32 s14, -1
                                        ; implicit-def: $vgpr12
	s_branch .LBB102_2303
.LBB102_2299:
	s_mov_b32 s14, -1
                                        ; implicit-def: $vgpr12
.LBB102_2300:
	s_delay_alu instid0(SALU_CYCLE_1)
	s_and_not1_b32 vcc_lo, exec_lo, s14
	s_cbranch_vccnz .LBB102_2302
; %bb.2301:
	s_wait_loadcnt 0x0
	global_load_b32 v12, v[4:5], off
.LBB102_2302:
	s_mov_b32 s14, 0
.LBB102_2303:
	s_delay_alu instid0(SALU_CYCLE_1)
	s_and_not1_b32 vcc_lo, exec_lo, s14
	s_cbranch_vccnz .LBB102_2305
; %bb.2304:
	global_load_u16 v1, v[4:5], off
	s_wait_loadcnt 0x0
	v_cvt_f32_f16_e32 v12, v1
.LBB102_2305:
	s_mov_b32 s14, 0
.LBB102_2306:
	s_delay_alu instid0(SALU_CYCLE_1)
	s_and_not1_b32 vcc_lo, exec_lo, s14
	s_cbranch_vccnz .LBB102_2326
; %bb.2307:
	s_cmp_lt_i32 s10, 2
	s_cbranch_scc1 .LBB102_2311
; %bb.2308:
	s_cmp_lt_i32 s10, 3
	s_cbranch_scc1 .LBB102_2312
; %bb.2309:
	s_cmp_gt_i32 s10, 3
	s_cbranch_scc0 .LBB102_2313
; %bb.2310:
	s_wait_loadcnt 0x0
	global_load_b64 v[12:13], v[4:5], off
	s_mov_b32 s14, 0
	s_wait_loadcnt 0x0
	v_xor_b32_e32 v1, v12, v13
	v_cls_i32_e32 v3, v13
	s_delay_alu instid0(VALU_DEP_2) | instskip(NEXT) | instid1(VALU_DEP_1)
	v_ashrrev_i32_e32 v1, 31, v1
	v_add_nc_u32_e32 v1, 32, v1
	s_delay_alu instid0(VALU_DEP_1) | instskip(NEXT) | instid1(VALU_DEP_1)
	v_add_min_u32_e64 v1, v3, -1, v1
	v_lshlrev_b64_e32 v[12:13], v1, v[12:13]
	v_sub_nc_u32_e32 v1, 32, v1
	s_delay_alu instid0(VALU_DEP_2) | instskip(NEXT) | instid1(VALU_DEP_1)
	v_min_u32_e32 v3, 1, v12
	v_or_b32_e32 v3, v13, v3
	s_delay_alu instid0(VALU_DEP_1) | instskip(NEXT) | instid1(VALU_DEP_1)
	v_cvt_f32_i32_e32 v3, v3
	v_ldexp_f32 v12, v3, v1
	s_branch .LBB102_2314
.LBB102_2311:
	s_mov_b32 s14, -1
                                        ; implicit-def: $vgpr12
	s_branch .LBB102_2320
.LBB102_2312:
	s_mov_b32 s14, -1
                                        ; implicit-def: $vgpr12
	s_branch .LBB102_2317
.LBB102_2313:
	s_mov_b32 s14, -1
                                        ; implicit-def: $vgpr12
.LBB102_2314:
	s_delay_alu instid0(SALU_CYCLE_1)
	s_and_not1_b32 vcc_lo, exec_lo, s14
	s_cbranch_vccnz .LBB102_2316
; %bb.2315:
	global_load_b32 v1, v[4:5], off
	s_wait_loadcnt 0x0
	v_cvt_f32_i32_e32 v12, v1
.LBB102_2316:
	s_mov_b32 s14, 0
.LBB102_2317:
	s_delay_alu instid0(SALU_CYCLE_1)
	s_and_not1_b32 vcc_lo, exec_lo, s14
	s_cbranch_vccnz .LBB102_2319
; %bb.2318:
	global_load_i16 v1, v[4:5], off
	s_wait_loadcnt 0x0
	v_cvt_f32_i32_e32 v12, v1
.LBB102_2319:
	s_mov_b32 s14, 0
.LBB102_2320:
	s_delay_alu instid0(SALU_CYCLE_1)
	s_and_not1_b32 vcc_lo, exec_lo, s14
	s_cbranch_vccnz .LBB102_2326
; %bb.2321:
	s_cmp_gt_i32 s10, 0
	s_mov_b32 s10, 0
	s_cbranch_scc0 .LBB102_2323
; %bb.2322:
	global_load_i8 v1, v[4:5], off
	s_wait_loadcnt 0x0
	v_cvt_f32_i32_e32 v12, v1
	s_branch .LBB102_2324
.LBB102_2323:
	s_mov_b32 s10, -1
                                        ; implicit-def: $vgpr12
.LBB102_2324:
	s_delay_alu instid0(SALU_CYCLE_1)
	s_and_not1_b32 vcc_lo, exec_lo, s10
	s_cbranch_vccnz .LBB102_2326
; %bb.2325:
	global_load_u8 v1, v[4:5], off
	s_wait_loadcnt 0x0
	v_cvt_f32_ubyte0_e32 v12, v1
.LBB102_2326:
	s_mov_b32 s19, -1
.LBB102_2327:
	s_delay_alu instid0(SALU_CYCLE_1)
	s_and_not1_b32 vcc_lo, exec_lo, s19
	s_cbranch_vccnz .LBB102_3022
; %bb.2328:
	v_add_nc_u32_e32 v0, s2, v0
	s_cmp_lt_i32 s0, 11
	s_delay_alu instid0(VALU_DEP_1) | instskip(NEXT) | instid1(VALU_DEP_1)
	v_ashrrev_i32_e32 v1, 31, v0
	v_add_nc_u64_e32 v[0:1], s[6:7], v[0:1]
	s_cbranch_scc1 .LBB102_2335
; %bb.2329:
	s_and_b32 s2, 0xffff, s0
	s_mov_b32 s7, 0
	s_cmp_gt_i32 s2, 25
	s_cbranch_scc0 .LBB102_2336
; %bb.2330:
	s_cmp_gt_i32 s2, 28
	s_cbranch_scc0 .LBB102_2337
; %bb.2331:
	;; [unrolled: 3-line block ×4, first 2 shown]
	s_cmp_eq_u32 s2, 46
	s_mov_b32 s14, 0
	s_cbranch_scc0 .LBB102_2341
; %bb.2334:
	global_load_b32 v3, v[0:1], off
	s_mov_b32 s6, 0
	s_mov_b32 s10, -1
	s_wait_loadcnt 0x0
	s_wait_xcnt 0x1
	v_lshlrev_b32_e32 v4, 16, v3
	s_branch .LBB102_2343
.LBB102_2335:
	s_mov_b32 s2, -1
	s_mov_b32 s10, 0
                                        ; implicit-def: $vgpr4
	s_branch .LBB102_2409
.LBB102_2336:
	s_mov_b32 s14, -1
	s_mov_b32 s10, 0
	s_mov_b32 s6, 0
                                        ; implicit-def: $vgpr4
	s_branch .LBB102_2372
.LBB102_2337:
	s_mov_b32 s14, -1
	s_mov_b32 s10, 0
	s_mov_b32 s6, 0
                                        ; implicit-def: $vgpr4
	s_branch .LBB102_2353
.LBB102_2338:
	s_mov_b32 s14, -1
	s_mov_b32 s10, 0
	s_mov_b32 s6, 0
                                        ; implicit-def: $vgpr4
	s_branch .LBB102_2348
.LBB102_2339:
	s_or_b32 s15, s15, exec_lo
	s_trap 2
	s_cbranch_execz .LBB102_2276
	s_branch .LBB102_2277
.LBB102_2340:
	s_mov_b32 s14, -1
	s_mov_b32 s10, 0
	s_mov_b32 s6, 0
	s_branch .LBB102_2342
.LBB102_2341:
	s_mov_b32 s6, -1
	s_mov_b32 s10, 0
.LBB102_2342:
                                        ; implicit-def: $vgpr4
.LBB102_2343:
	s_and_b32 vcc_lo, exec_lo, s14
	s_cbranch_vccz .LBB102_2347
; %bb.2344:
	s_cmp_eq_u32 s2, 44
	s_cbranch_scc0 .LBB102_2346
; %bb.2345:
	global_load_u8 v3, v[0:1], off
	s_mov_b32 s6, 0
	s_mov_b32 s10, -1
	s_wait_loadcnt 0x0
	s_wait_xcnt 0x1
	v_lshlrev_b32_e32 v4, 23, v3
	v_cmp_ne_u32_e32 vcc_lo, 0xff, v3
	s_delay_alu instid0(VALU_DEP_2) | instskip(SKIP_1) | instid1(VALU_DEP_2)
	v_cndmask_b32_e32 v4, 0x7f800001, v4, vcc_lo
	v_cmp_ne_u32_e32 vcc_lo, 0, v3
	v_cndmask_b32_e32 v4, 0x400000, v4, vcc_lo
	s_branch .LBB102_2347
.LBB102_2346:
	s_mov_b32 s6, -1
                                        ; implicit-def: $vgpr4
.LBB102_2347:
	s_mov_b32 s14, 0
.LBB102_2348:
	s_delay_alu instid0(SALU_CYCLE_1)
	s_and_b32 vcc_lo, exec_lo, s14
	s_cbranch_vccz .LBB102_2352
; %bb.2349:
	s_cmp_eq_u32 s2, 29
	s_cbranch_scc0 .LBB102_2351
; %bb.2350:
	global_load_b64 v[4:5], v[0:1], off
	s_mov_b32 s6, 0
	s_mov_b32 s10, -1
	s_mov_b32 s14, 0
	s_wait_loadcnt 0x0
	v_clz_i32_u32_e32 v3, v5
	s_delay_alu instid0(VALU_DEP_1) | instskip(NEXT) | instid1(VALU_DEP_1)
	v_min_u32_e32 v3, 32, v3
	v_lshlrev_b64_e32 v[4:5], v3, v[4:5]
	v_sub_nc_u32_e32 v3, 32, v3
	s_delay_alu instid0(VALU_DEP_2) | instskip(NEXT) | instid1(VALU_DEP_1)
	v_min_u32_e32 v4, 1, v4
	v_or_b32_e32 v4, v5, v4
	s_delay_alu instid0(VALU_DEP_1) | instskip(NEXT) | instid1(VALU_DEP_1)
	v_cvt_f32_u32_e32 v4, v4
	v_ldexp_f32 v4, v4, v3
	s_branch .LBB102_2353
.LBB102_2351:
	s_mov_b32 s6, -1
                                        ; implicit-def: $vgpr4
.LBB102_2352:
	s_mov_b32 s14, 0
.LBB102_2353:
	s_delay_alu instid0(SALU_CYCLE_1)
	s_and_b32 vcc_lo, exec_lo, s14
	s_cbranch_vccz .LBB102_2371
; %bb.2354:
	s_cmp_lt_i32 s2, 27
	s_cbranch_scc1 .LBB102_2357
; %bb.2355:
	s_cmp_gt_i32 s2, 27
	s_cbranch_scc0 .LBB102_2358
; %bb.2356:
	global_load_b32 v3, v[0:1], off
	s_mov_b32 s10, 0
	s_wait_loadcnt 0x0
	s_wait_xcnt 0x1
	v_cvt_f32_u32_e32 v4, v3
	s_branch .LBB102_2359
.LBB102_2357:
	s_mov_b32 s10, -1
                                        ; implicit-def: $vgpr4
	s_branch .LBB102_2362
.LBB102_2358:
	s_mov_b32 s10, -1
                                        ; implicit-def: $vgpr4
.LBB102_2359:
	s_delay_alu instid0(SALU_CYCLE_1)
	s_and_not1_b32 vcc_lo, exec_lo, s10
	s_cbranch_vccnz .LBB102_2361
; %bb.2360:
	global_load_u16 v3, v[0:1], off
	s_wait_loadcnt 0x0
	s_wait_xcnt 0x1
	v_cvt_f32_u32_e32 v4, v3
.LBB102_2361:
	s_mov_b32 s10, 0
.LBB102_2362:
	s_delay_alu instid0(SALU_CYCLE_1)
	s_and_not1_b32 vcc_lo, exec_lo, s10
	s_cbranch_vccnz .LBB102_2370
; %bb.2363:
	global_load_u8 v3, v[0:1], off
	s_mov_b32 s10, 0
	s_mov_b32 s14, exec_lo
	s_wait_loadcnt 0x0
	v_cmpx_lt_i16_e32 0x7f, v3
	s_xor_b32 s14, exec_lo, s14
	s_cbranch_execz .LBB102_2384
; %bb.2364:
	s_mov_b32 s10, -1
	s_mov_b32 s16, exec_lo
	v_cmpx_eq_u16_e32 0x80, v3
; %bb.2365:
	s_xor_b32 s10, exec_lo, -1
; %bb.2366:
	s_or_b32 exec_lo, exec_lo, s16
	s_delay_alu instid0(SALU_CYCLE_1)
	s_and_b32 s10, s10, exec_lo
	s_or_saveexec_b32 s14, s14
	v_mov_b32_e32 v4, 0x7f800001
	s_xor_b32 exec_lo, exec_lo, s14
	s_cbranch_execnz .LBB102_2385
.LBB102_2367:
	s_or_b32 exec_lo, exec_lo, s14
	s_and_saveexec_b32 s14, s10
	s_cbranch_execz .LBB102_2369
.LBB102_2368:
	v_and_b32_e32 v4, 0xffff, v3
	s_delay_alu instid0(VALU_DEP_1) | instskip(SKIP_1) | instid1(VALU_DEP_2)
	v_and_b32_e32 v5, 7, v4
	v_bfe_u32 v15, v4, 3, 4
	v_clz_i32_u32_e32 v13, v5
	s_delay_alu instid0(VALU_DEP_2) | instskip(NEXT) | instid1(VALU_DEP_2)
	v_cmp_eq_u32_e32 vcc_lo, 0, v15
	v_min_u32_e32 v13, 32, v13
	s_delay_alu instid0(VALU_DEP_1) | instskip(NEXT) | instid1(VALU_DEP_1)
	v_subrev_nc_u32_e32 v14, 28, v13
	v_dual_lshlrev_b32 v4, v14, v4 :: v_dual_sub_nc_u32 v13, 29, v13
	s_delay_alu instid0(VALU_DEP_1) | instskip(NEXT) | instid1(VALU_DEP_1)
	v_dual_lshlrev_b32 v3, 24, v3 :: v_dual_bitop2_b32 v4, 7, v4 bitop3:0x40
	v_dual_cndmask_b32 v13, v15, v13 :: v_dual_cndmask_b32 v4, v5, v4
	s_delay_alu instid0(VALU_DEP_2) | instskip(NEXT) | instid1(VALU_DEP_2)
	v_and_b32_e32 v3, 0x80000000, v3
	v_lshl_add_u32 v5, v13, 23, 0x3b800000
	s_delay_alu instid0(VALU_DEP_3) | instskip(NEXT) | instid1(VALU_DEP_1)
	v_lshlrev_b32_e32 v4, 20, v4
	v_or3_b32 v4, v3, v5, v4
.LBB102_2369:
	s_or_b32 exec_lo, exec_lo, s14
.LBB102_2370:
	s_mov_b32 s10, -1
.LBB102_2371:
	s_mov_b32 s14, 0
.LBB102_2372:
	s_delay_alu instid0(SALU_CYCLE_1)
	s_and_b32 vcc_lo, exec_lo, s14
	s_cbranch_vccz .LBB102_2405
; %bb.2373:
	s_cmp_gt_i32 s2, 22
	s_cbranch_scc0 .LBB102_2383
; %bb.2374:
	s_cmp_lt_i32 s2, 24
	s_cbranch_scc1 .LBB102_2386
; %bb.2375:
	s_cmp_gt_i32 s2, 24
	s_cbranch_scc0 .LBB102_2387
; %bb.2376:
	global_load_u8 v3, v[0:1], off
	s_mov_b32 s10, exec_lo
	s_wait_loadcnt 0x0
	v_cmpx_lt_i16_e32 0x7f, v3
	s_xor_b32 s10, exec_lo, s10
	s_cbranch_execz .LBB102_2399
; %bb.2377:
	s_mov_b32 s7, -1
	s_mov_b32 s14, exec_lo
	v_cmpx_eq_u16_e32 0x80, v3
; %bb.2378:
	s_xor_b32 s7, exec_lo, -1
; %bb.2379:
	s_or_b32 exec_lo, exec_lo, s14
	s_delay_alu instid0(SALU_CYCLE_1)
	s_and_b32 s7, s7, exec_lo
	s_or_saveexec_b32 s10, s10
	v_mov_b32_e32 v4, 0x7f800001
	s_xor_b32 exec_lo, exec_lo, s10
	s_cbranch_execnz .LBB102_2400
.LBB102_2380:
	s_or_b32 exec_lo, exec_lo, s10
	s_and_saveexec_b32 s10, s7
	s_cbranch_execz .LBB102_2382
.LBB102_2381:
	v_and_b32_e32 v4, 0xffff, v3
	s_delay_alu instid0(VALU_DEP_1) | instskip(SKIP_1) | instid1(VALU_DEP_2)
	v_and_b32_e32 v5, 3, v4
	v_bfe_u32 v15, v4, 2, 5
	v_clz_i32_u32_e32 v13, v5
	s_delay_alu instid0(VALU_DEP_2) | instskip(NEXT) | instid1(VALU_DEP_2)
	v_cmp_eq_u32_e32 vcc_lo, 0, v15
	v_min_u32_e32 v13, 32, v13
	s_delay_alu instid0(VALU_DEP_1) | instskip(NEXT) | instid1(VALU_DEP_1)
	v_subrev_nc_u32_e32 v14, 29, v13
	v_dual_lshlrev_b32 v4, v14, v4 :: v_dual_sub_nc_u32 v13, 30, v13
	s_delay_alu instid0(VALU_DEP_1) | instskip(NEXT) | instid1(VALU_DEP_1)
	v_dual_lshlrev_b32 v3, 24, v3 :: v_dual_bitop2_b32 v4, 3, v4 bitop3:0x40
	v_dual_cndmask_b32 v13, v15, v13 :: v_dual_cndmask_b32 v4, v5, v4
	s_delay_alu instid0(VALU_DEP_2) | instskip(NEXT) | instid1(VALU_DEP_2)
	v_and_b32_e32 v3, 0x80000000, v3
	v_lshl_add_u32 v5, v13, 23, 0x37800000
	s_delay_alu instid0(VALU_DEP_3) | instskip(NEXT) | instid1(VALU_DEP_1)
	v_lshlrev_b32_e32 v4, 21, v4
	v_or3_b32 v4, v3, v5, v4
.LBB102_2382:
	s_or_b32 exec_lo, exec_lo, s10
	s_mov_b32 s7, 0
	s_branch .LBB102_2388
.LBB102_2383:
	s_mov_b32 s7, -1
                                        ; implicit-def: $vgpr4
	s_branch .LBB102_2394
.LBB102_2384:
	s_or_saveexec_b32 s14, s14
	v_mov_b32_e32 v4, 0x7f800001
	s_xor_b32 exec_lo, exec_lo, s14
	s_cbranch_execz .LBB102_2367
.LBB102_2385:
	v_cmp_ne_u16_e32 vcc_lo, 0, v3
	v_mov_b32_e32 v4, 0
	s_and_not1_b32 s10, s10, exec_lo
	s_and_b32 s16, vcc_lo, exec_lo
	s_delay_alu instid0(SALU_CYCLE_1)
	s_or_b32 s10, s10, s16
	s_or_b32 exec_lo, exec_lo, s14
	s_and_saveexec_b32 s14, s10
	s_cbranch_execnz .LBB102_2368
	s_branch .LBB102_2369
.LBB102_2386:
	s_mov_b32 s7, -1
                                        ; implicit-def: $vgpr4
	s_branch .LBB102_2391
.LBB102_2387:
	s_mov_b32 s7, -1
                                        ; implicit-def: $vgpr4
.LBB102_2388:
	s_delay_alu instid0(SALU_CYCLE_1)
	s_and_b32 vcc_lo, exec_lo, s7
	s_cbranch_vccz .LBB102_2390
; %bb.2389:
	global_load_u8 v3, v[0:1], off
	s_wait_loadcnt 0x0
	v_lshlrev_b32_e32 v3, 24, v3
	s_wait_xcnt 0x1
	s_delay_alu instid0(VALU_DEP_1) | instskip(NEXT) | instid1(VALU_DEP_1)
	v_and_b32_e32 v4, 0x7f000000, v3
	v_clz_i32_u32_e32 v5, v4
	v_add_nc_u32_e32 v14, 0x1000000, v4
	v_cmp_ne_u32_e32 vcc_lo, 0, v4
	s_delay_alu instid0(VALU_DEP_3) | instskip(NEXT) | instid1(VALU_DEP_1)
	v_min_u32_e32 v5, 32, v5
	v_sub_nc_u32_e64 v5, v5, 4 clamp
	s_delay_alu instid0(VALU_DEP_1) | instskip(NEXT) | instid1(VALU_DEP_1)
	v_dual_lshlrev_b32 v13, v5, v4 :: v_dual_lshlrev_b32 v5, 23, v5
	v_lshrrev_b32_e32 v13, 4, v13
	s_delay_alu instid0(VALU_DEP_1) | instskip(NEXT) | instid1(VALU_DEP_1)
	v_dual_sub_nc_u32 v5, v13, v5 :: v_dual_ashrrev_i32 v13, 8, v14
	v_add_nc_u32_e32 v5, 0x3c000000, v5
	s_delay_alu instid0(VALU_DEP_1) | instskip(NEXT) | instid1(VALU_DEP_1)
	v_and_or_b32 v5, 0x7f800000, v13, v5
	v_cndmask_b32_e32 v4, 0, v5, vcc_lo
	s_delay_alu instid0(VALU_DEP_1)
	v_and_or_b32 v4, 0x80000000, v3, v4
.LBB102_2390:
	s_mov_b32 s7, 0
.LBB102_2391:
	s_delay_alu instid0(SALU_CYCLE_1)
	s_and_not1_b32 vcc_lo, exec_lo, s7
	s_cbranch_vccnz .LBB102_2393
; %bb.2392:
	global_load_u8 v3, v[0:1], off
	s_wait_loadcnt 0x0
	s_wait_xcnt 0x1
	v_lshlrev_b32_e32 v4, 25, v3
	v_lshlrev_b16 v3, 8, v3
	s_delay_alu instid0(VALU_DEP_1) | instskip(SKIP_1) | instid1(VALU_DEP_2)
	v_and_or_b32 v13, 0x7f00, v3, 0.5
	v_bfe_i32 v3, v3, 0, 16
	v_dual_add_f32 v13, -0.5, v13 :: v_dual_lshrrev_b32 v5, 4, v4
	v_cmp_gt_u32_e32 vcc_lo, 0x8000000, v4
	s_delay_alu instid0(VALU_DEP_2) | instskip(NEXT) | instid1(VALU_DEP_1)
	v_or_b32_e32 v5, 0x70000000, v5
	v_mul_f32_e32 v5, 0x7800000, v5
	s_delay_alu instid0(VALU_DEP_1) | instskip(NEXT) | instid1(VALU_DEP_1)
	v_cndmask_b32_e32 v4, v5, v13, vcc_lo
	v_and_or_b32 v4, 0x80000000, v3, v4
.LBB102_2393:
	s_mov_b32 s7, 0
	s_mov_b32 s10, -1
.LBB102_2394:
	s_and_not1_b32 vcc_lo, exec_lo, s7
	s_mov_b32 s7, 0
	s_cbranch_vccnz .LBB102_2405
; %bb.2395:
	s_cmp_gt_i32 s2, 14
	s_cbranch_scc0 .LBB102_2398
; %bb.2396:
	s_cmp_eq_u32 s2, 15
	s_cbranch_scc0 .LBB102_2401
; %bb.2397:
	global_load_u16 v3, v[0:1], off
	s_mov_b32 s6, 0
	s_mov_b32 s10, -1
	s_wait_loadcnt 0x0
	s_wait_xcnt 0x1
	v_lshlrev_b32_e32 v4, 16, v3
	s_branch .LBB102_2403
.LBB102_2398:
	s_mov_b32 s7, -1
	s_branch .LBB102_2402
.LBB102_2399:
	s_or_saveexec_b32 s10, s10
	v_mov_b32_e32 v4, 0x7f800001
	s_xor_b32 exec_lo, exec_lo, s10
	s_cbranch_execz .LBB102_2380
.LBB102_2400:
	v_cmp_ne_u16_e32 vcc_lo, 0, v3
	v_mov_b32_e32 v4, 0
	s_and_not1_b32 s7, s7, exec_lo
	s_and_b32 s14, vcc_lo, exec_lo
	s_delay_alu instid0(SALU_CYCLE_1)
	s_or_b32 s7, s7, s14
	s_or_b32 exec_lo, exec_lo, s10
	s_and_saveexec_b32 s10, s7
	s_cbranch_execnz .LBB102_2381
	s_branch .LBB102_2382
.LBB102_2401:
	s_mov_b32 s6, -1
.LBB102_2402:
                                        ; implicit-def: $vgpr4
.LBB102_2403:
	s_and_b32 vcc_lo, exec_lo, s7
	s_mov_b32 s7, 0
	s_cbranch_vccz .LBB102_2405
; %bb.2404:
	s_cmp_lg_u32 s2, 11
	s_mov_b32 s7, -1
	s_cselect_b32 s6, -1, 0
.LBB102_2405:
	s_delay_alu instid0(SALU_CYCLE_1)
	s_and_b32 vcc_lo, exec_lo, s6
	s_cbranch_vccnz .LBB102_2470
; %bb.2406:
	s_and_not1_b32 vcc_lo, exec_lo, s7
	s_cbranch_vccnz .LBB102_2408
.LBB102_2407:
	global_load_u8 v3, v[0:1], off
	s_mov_b32 s10, -1
	s_wait_loadcnt 0x0
	v_cmp_ne_u16_e32 vcc_lo, 0, v3
	s_wait_xcnt 0x1
	v_cndmask_b32_e64 v4, 0, 1.0, vcc_lo
.LBB102_2408:
	s_mov_b32 s2, 0
.LBB102_2409:
	s_delay_alu instid0(SALU_CYCLE_1)
	s_and_b32 vcc_lo, exec_lo, s2
	s_cbranch_vccz .LBB102_2458
; %bb.2410:
	s_and_b32 s0, 0xffff, s0
	s_delay_alu instid0(SALU_CYCLE_1)
	s_cmp_lt_i32 s0, 5
	s_cbranch_scc1 .LBB102_2415
; %bb.2411:
	s_cmp_lt_i32 s0, 8
	s_cbranch_scc1 .LBB102_2416
; %bb.2412:
	;; [unrolled: 3-line block ×3, first 2 shown]
	s_cmp_gt_i32 s0, 9
	s_cbranch_scc0 .LBB102_2418
; %bb.2414:
	global_load_b64 v[4:5], v[0:1], off
	s_mov_b32 s2, 0
	s_wait_loadcnt 0x0
	v_cvt_f32_f64_e32 v4, v[4:5]
	s_branch .LBB102_2419
.LBB102_2415:
	s_mov_b32 s2, -1
                                        ; implicit-def: $vgpr4
	s_branch .LBB102_2437
.LBB102_2416:
	s_mov_b32 s2, -1
                                        ; implicit-def: $vgpr4
	s_branch .LBB102_2425
.LBB102_2417:
	s_mov_b32 s2, -1
                                        ; implicit-def: $vgpr4
	s_branch .LBB102_2422
.LBB102_2418:
	s_mov_b32 s2, -1
                                        ; implicit-def: $vgpr4
.LBB102_2419:
	s_delay_alu instid0(SALU_CYCLE_1)
	s_and_not1_b32 vcc_lo, exec_lo, s2
	s_cbranch_vccnz .LBB102_2421
; %bb.2420:
	global_load_b32 v4, v[0:1], off
.LBB102_2421:
	s_mov_b32 s2, 0
.LBB102_2422:
	s_delay_alu instid0(SALU_CYCLE_1)
	s_and_not1_b32 vcc_lo, exec_lo, s2
	s_cbranch_vccnz .LBB102_2424
; %bb.2423:
	global_load_b32 v3, v[0:1], off
	s_wait_loadcnt 0x0
	s_wait_xcnt 0x1
	v_cvt_f32_f16_e32 v4, v3
.LBB102_2424:
	s_mov_b32 s2, 0
.LBB102_2425:
	s_delay_alu instid0(SALU_CYCLE_1)
	s_and_not1_b32 vcc_lo, exec_lo, s2
	s_cbranch_vccnz .LBB102_2436
; %bb.2426:
	s_cmp_lt_i32 s0, 6
	s_cbranch_scc1 .LBB102_2429
; %bb.2427:
	s_cmp_gt_i32 s0, 6
	s_cbranch_scc0 .LBB102_2430
; %bb.2428:
	s_wait_loadcnt 0x0
	global_load_b64 v[4:5], v[0:1], off
	s_mov_b32 s2, 0
	s_wait_loadcnt 0x0
	v_cvt_f32_f64_e32 v4, v[4:5]
	s_branch .LBB102_2431
.LBB102_2429:
	s_mov_b32 s2, -1
                                        ; implicit-def: $vgpr4
	s_branch .LBB102_2434
.LBB102_2430:
	s_mov_b32 s2, -1
                                        ; implicit-def: $vgpr4
.LBB102_2431:
	s_delay_alu instid0(SALU_CYCLE_1)
	s_and_not1_b32 vcc_lo, exec_lo, s2
	s_cbranch_vccnz .LBB102_2433
; %bb.2432:
	s_wait_loadcnt 0x0
	global_load_b32 v4, v[0:1], off
.LBB102_2433:
	s_mov_b32 s2, 0
.LBB102_2434:
	s_delay_alu instid0(SALU_CYCLE_1)
	s_and_not1_b32 vcc_lo, exec_lo, s2
	s_cbranch_vccnz .LBB102_2436
; %bb.2435:
	global_load_u16 v3, v[0:1], off
	s_wait_loadcnt 0x0
	s_wait_xcnt 0x1
	v_cvt_f32_f16_e32 v4, v3
.LBB102_2436:
	s_mov_b32 s2, 0
.LBB102_2437:
	s_delay_alu instid0(SALU_CYCLE_1)
	s_and_not1_b32 vcc_lo, exec_lo, s2
	s_cbranch_vccnz .LBB102_2457
; %bb.2438:
	s_cmp_lt_i32 s0, 2
	s_cbranch_scc1 .LBB102_2442
; %bb.2439:
	s_cmp_lt_i32 s0, 3
	s_cbranch_scc1 .LBB102_2443
; %bb.2440:
	s_cmp_gt_i32 s0, 3
	s_cbranch_scc0 .LBB102_2444
; %bb.2441:
	s_wait_loadcnt 0x0
	global_load_b64 v[4:5], v[0:1], off
	s_mov_b32 s2, 0
	s_wait_loadcnt 0x0
	v_xor_b32_e32 v3, v4, v5
	v_cls_i32_e32 v13, v5
	s_delay_alu instid0(VALU_DEP_2) | instskip(NEXT) | instid1(VALU_DEP_1)
	v_ashrrev_i32_e32 v3, 31, v3
	v_add_nc_u32_e32 v3, 32, v3
	s_delay_alu instid0(VALU_DEP_1) | instskip(NEXT) | instid1(VALU_DEP_1)
	v_add_min_u32_e64 v3, v13, -1, v3
	v_lshlrev_b64_e32 v[4:5], v3, v[4:5]
	v_sub_nc_u32_e32 v3, 32, v3
	s_delay_alu instid0(VALU_DEP_2) | instskip(NEXT) | instid1(VALU_DEP_1)
	v_min_u32_e32 v4, 1, v4
	v_or_b32_e32 v4, v5, v4
	s_delay_alu instid0(VALU_DEP_1) | instskip(NEXT) | instid1(VALU_DEP_1)
	v_cvt_f32_i32_e32 v4, v4
	v_ldexp_f32 v4, v4, v3
	s_branch .LBB102_2445
.LBB102_2442:
	s_mov_b32 s2, -1
                                        ; implicit-def: $vgpr4
	s_branch .LBB102_2451
.LBB102_2443:
	s_mov_b32 s2, -1
                                        ; implicit-def: $vgpr4
	s_branch .LBB102_2448
.LBB102_2444:
	s_mov_b32 s2, -1
                                        ; implicit-def: $vgpr4
.LBB102_2445:
	s_delay_alu instid0(SALU_CYCLE_1)
	s_and_not1_b32 vcc_lo, exec_lo, s2
	s_cbranch_vccnz .LBB102_2447
; %bb.2446:
	global_load_b32 v3, v[0:1], off
	s_wait_loadcnt 0x0
	s_wait_xcnt 0x1
	v_cvt_f32_i32_e32 v4, v3
.LBB102_2447:
	s_mov_b32 s2, 0
.LBB102_2448:
	s_delay_alu instid0(SALU_CYCLE_1)
	s_and_not1_b32 vcc_lo, exec_lo, s2
	s_cbranch_vccnz .LBB102_2450
; %bb.2449:
	global_load_i16 v3, v[0:1], off
	s_wait_loadcnt 0x0
	s_wait_xcnt 0x1
	v_cvt_f32_i32_e32 v4, v3
.LBB102_2450:
	s_mov_b32 s2, 0
.LBB102_2451:
	s_delay_alu instid0(SALU_CYCLE_1)
	s_and_not1_b32 vcc_lo, exec_lo, s2
	s_cbranch_vccnz .LBB102_2457
; %bb.2452:
	s_cmp_gt_i32 s0, 0
	s_mov_b32 s0, 0
	s_cbranch_scc0 .LBB102_2454
; %bb.2453:
	global_load_i8 v3, v[0:1], off
	s_wait_loadcnt 0x0
	s_wait_xcnt 0x1
	v_cvt_f32_i32_e32 v4, v3
	s_branch .LBB102_2455
.LBB102_2454:
	s_mov_b32 s0, -1
                                        ; implicit-def: $vgpr4
.LBB102_2455:
	s_delay_alu instid0(SALU_CYCLE_1)
	s_and_not1_b32 vcc_lo, exec_lo, s0
	s_cbranch_vccnz .LBB102_2457
; %bb.2456:
	global_load_u8 v0, v[0:1], off
	s_wait_loadcnt 0x0
	v_cvt_f32_ubyte0_e32 v4, v0
.LBB102_2457:
	s_mov_b32 s10, -1
.LBB102_2458:
	s_delay_alu instid0(SALU_CYCLE_1)
	s_and_not1_b32 vcc_lo, exec_lo, s10
	s_cbranch_vccnz .LBB102_3022
; %bb.2459:
	s_wait_xcnt 0x0
	v_add_nc_u32_e32 v0, s9, v2
	s_cmp_lt_i32 s1, 11
	s_delay_alu instid0(VALU_DEP_1) | instskip(NEXT) | instid1(VALU_DEP_1)
	v_ashrrev_i32_e32 v1, 31, v0
	v_add_nc_u64_e32 v[0:1], s[12:13], v[0:1]
	s_cbranch_scc1 .LBB102_2466
; %bb.2460:
	s_and_b32 s0, 0xffff, s1
	s_mov_b32 s6, 0
	s_cmp_gt_i32 s0, 25
	s_cbranch_scc0 .LBB102_2467
; %bb.2461:
	s_cmp_gt_i32 s0, 28
	s_cbranch_scc0 .LBB102_2468
; %bb.2462:
	;; [unrolled: 3-line block ×4, first 2 shown]
	s_cmp_eq_u32 s0, 46
	s_mov_b32 s9, 0
	s_cbranch_scc0 .LBB102_2472
; %bb.2465:
	global_load_b32 v2, v[0:1], off
	s_mov_b32 s2, 0
	s_mov_b32 s7, -1
	s_wait_loadcnt 0x0
	v_lshlrev_b32_e32 v5, 16, v2
	s_branch .LBB102_2474
.LBB102_2466:
	s_mov_b32 s0, -1
	s_mov_b32 s7, 0
                                        ; implicit-def: $vgpr5
	s_branch .LBB102_2540
.LBB102_2467:
	s_mov_b32 s9, -1
	s_mov_b32 s7, 0
	s_mov_b32 s2, 0
                                        ; implicit-def: $vgpr5
	s_branch .LBB102_2503
.LBB102_2468:
	s_mov_b32 s9, -1
	s_mov_b32 s7, 0
	s_mov_b32 s2, 0
                                        ; implicit-def: $vgpr5
	s_branch .LBB102_2484
.LBB102_2469:
	s_mov_b32 s9, -1
	s_mov_b32 s7, 0
	s_mov_b32 s2, 0
                                        ; implicit-def: $vgpr5
	s_branch .LBB102_2479
.LBB102_2470:
	s_or_b32 s15, s15, exec_lo
	s_trap 2
	s_cbranch_execz .LBB102_2407
	s_branch .LBB102_2408
.LBB102_2471:
	s_mov_b32 s9, -1
	s_mov_b32 s7, 0
	s_mov_b32 s2, 0
	s_branch .LBB102_2473
.LBB102_2472:
	s_mov_b32 s2, -1
	s_mov_b32 s7, 0
.LBB102_2473:
                                        ; implicit-def: $vgpr5
.LBB102_2474:
	s_and_b32 vcc_lo, exec_lo, s9
	s_cbranch_vccz .LBB102_2478
; %bb.2475:
	s_cmp_eq_u32 s0, 44
	s_cbranch_scc0 .LBB102_2477
; %bb.2476:
	global_load_u8 v2, v[0:1], off
	s_mov_b32 s2, 0
	s_mov_b32 s7, -1
	s_wait_loadcnt 0x0
	v_lshlrev_b32_e32 v3, 23, v2
	v_cmp_ne_u32_e32 vcc_lo, 0xff, v2
	s_delay_alu instid0(VALU_DEP_2) | instskip(SKIP_1) | instid1(VALU_DEP_2)
	v_cndmask_b32_e32 v3, 0x7f800001, v3, vcc_lo
	v_cmp_ne_u32_e32 vcc_lo, 0, v2
	v_cndmask_b32_e32 v5, 0x400000, v3, vcc_lo
	s_branch .LBB102_2478
.LBB102_2477:
	s_mov_b32 s2, -1
                                        ; implicit-def: $vgpr5
.LBB102_2478:
	s_mov_b32 s9, 0
.LBB102_2479:
	s_delay_alu instid0(SALU_CYCLE_1)
	s_and_b32 vcc_lo, exec_lo, s9
	s_cbranch_vccz .LBB102_2483
; %bb.2480:
	s_cmp_eq_u32 s0, 29
	s_cbranch_scc0 .LBB102_2482
; %bb.2481:
	global_load_b64 v[2:3], v[0:1], off
	s_mov_b32 s2, 0
	s_mov_b32 s7, -1
	s_mov_b32 s9, 0
	s_wait_loadcnt 0x0
	v_clz_i32_u32_e32 v5, v3
	s_delay_alu instid0(VALU_DEP_1) | instskip(NEXT) | instid1(VALU_DEP_1)
	v_min_u32_e32 v5, 32, v5
	v_lshlrev_b64_e32 v[2:3], v5, v[2:3]
	s_delay_alu instid0(VALU_DEP_1) | instskip(NEXT) | instid1(VALU_DEP_1)
	v_min_u32_e32 v2, 1, v2
	v_dual_sub_nc_u32 v3, 32, v5 :: v_dual_bitop2_b32 v2, v3, v2 bitop3:0x54
	s_delay_alu instid0(VALU_DEP_1) | instskip(NEXT) | instid1(VALU_DEP_1)
	v_cvt_f32_u32_e32 v2, v2
	v_ldexp_f32 v5, v2, v3
	s_branch .LBB102_2484
.LBB102_2482:
	s_mov_b32 s2, -1
                                        ; implicit-def: $vgpr5
.LBB102_2483:
	s_mov_b32 s9, 0
.LBB102_2484:
	s_delay_alu instid0(SALU_CYCLE_1)
	s_and_b32 vcc_lo, exec_lo, s9
	s_cbranch_vccz .LBB102_2502
; %bb.2485:
	s_cmp_lt_i32 s0, 27
	s_cbranch_scc1 .LBB102_2488
; %bb.2486:
	s_cmp_gt_i32 s0, 27
	s_cbranch_scc0 .LBB102_2489
; %bb.2487:
	global_load_b32 v2, v[0:1], off
	s_mov_b32 s7, 0
	s_wait_loadcnt 0x0
	v_cvt_f32_u32_e32 v5, v2
	s_branch .LBB102_2490
.LBB102_2488:
	s_mov_b32 s7, -1
                                        ; implicit-def: $vgpr5
	s_branch .LBB102_2493
.LBB102_2489:
	s_mov_b32 s7, -1
                                        ; implicit-def: $vgpr5
.LBB102_2490:
	s_delay_alu instid0(SALU_CYCLE_1)
	s_and_not1_b32 vcc_lo, exec_lo, s7
	s_cbranch_vccnz .LBB102_2492
; %bb.2491:
	global_load_u16 v2, v[0:1], off
	s_wait_loadcnt 0x0
	v_cvt_f32_u32_e32 v5, v2
.LBB102_2492:
	s_mov_b32 s7, 0
.LBB102_2493:
	s_delay_alu instid0(SALU_CYCLE_1)
	s_and_not1_b32 vcc_lo, exec_lo, s7
	s_cbranch_vccnz .LBB102_2501
; %bb.2494:
	global_load_u8 v2, v[0:1], off
	s_mov_b32 s7, 0
	s_mov_b32 s9, exec_lo
	s_wait_loadcnt 0x0
	v_cmpx_lt_i16_e32 0x7f, v2
	s_xor_b32 s9, exec_lo, s9
	s_cbranch_execz .LBB102_2515
; %bb.2495:
	s_mov_b32 s7, -1
	s_mov_b32 s10, exec_lo
	v_cmpx_eq_u16_e32 0x80, v2
; %bb.2496:
	s_xor_b32 s7, exec_lo, -1
; %bb.2497:
	s_or_b32 exec_lo, exec_lo, s10
	s_delay_alu instid0(SALU_CYCLE_1)
	s_and_b32 s7, s7, exec_lo
	s_or_saveexec_b32 s9, s9
	v_mov_b32_e32 v5, 0x7f800001
	s_xor_b32 exec_lo, exec_lo, s9
	s_cbranch_execnz .LBB102_2516
.LBB102_2498:
	s_or_b32 exec_lo, exec_lo, s9
	s_and_saveexec_b32 s9, s7
	s_cbranch_execz .LBB102_2500
.LBB102_2499:
	v_and_b32_e32 v3, 0xffff, v2
	s_delay_alu instid0(VALU_DEP_1) | instskip(SKIP_1) | instid1(VALU_DEP_2)
	v_and_b32_e32 v5, 7, v3
	v_bfe_u32 v15, v3, 3, 4
	v_clz_i32_u32_e32 v13, v5
	s_delay_alu instid0(VALU_DEP_2) | instskip(NEXT) | instid1(VALU_DEP_2)
	v_cmp_eq_u32_e32 vcc_lo, 0, v15
	v_min_u32_e32 v13, 32, v13
	s_delay_alu instid0(VALU_DEP_1) | instskip(NEXT) | instid1(VALU_DEP_1)
	v_subrev_nc_u32_e32 v14, 28, v13
	v_dual_lshlrev_b32 v3, v14, v3 :: v_dual_sub_nc_u32 v13, 29, v13
	s_delay_alu instid0(VALU_DEP_1) | instskip(NEXT) | instid1(VALU_DEP_1)
	v_dual_lshlrev_b32 v2, 24, v2 :: v_dual_bitop2_b32 v3, 7, v3 bitop3:0x40
	v_dual_cndmask_b32 v13, v15, v13, vcc_lo :: v_dual_cndmask_b32 v3, v5, v3, vcc_lo
	s_delay_alu instid0(VALU_DEP_2) | instskip(NEXT) | instid1(VALU_DEP_2)
	v_and_b32_e32 v2, 0x80000000, v2
	v_lshl_add_u32 v5, v13, 23, 0x3b800000
	s_delay_alu instid0(VALU_DEP_3) | instskip(NEXT) | instid1(VALU_DEP_1)
	v_lshlrev_b32_e32 v3, 20, v3
	v_or3_b32 v5, v2, v5, v3
.LBB102_2500:
	s_or_b32 exec_lo, exec_lo, s9
.LBB102_2501:
	s_mov_b32 s7, -1
.LBB102_2502:
	s_mov_b32 s9, 0
.LBB102_2503:
	s_delay_alu instid0(SALU_CYCLE_1)
	s_and_b32 vcc_lo, exec_lo, s9
	s_cbranch_vccz .LBB102_2536
; %bb.2504:
	s_cmp_gt_i32 s0, 22
	s_cbranch_scc0 .LBB102_2514
; %bb.2505:
	s_cmp_lt_i32 s0, 24
	s_cbranch_scc1 .LBB102_2517
; %bb.2506:
	s_cmp_gt_i32 s0, 24
	s_cbranch_scc0 .LBB102_2518
; %bb.2507:
	global_load_u8 v2, v[0:1], off
	s_mov_b32 s7, exec_lo
	s_wait_loadcnt 0x0
	v_cmpx_lt_i16_e32 0x7f, v2
	s_xor_b32 s7, exec_lo, s7
	s_cbranch_execz .LBB102_2530
; %bb.2508:
	s_mov_b32 s6, -1
	s_mov_b32 s9, exec_lo
	v_cmpx_eq_u16_e32 0x80, v2
; %bb.2509:
	s_xor_b32 s6, exec_lo, -1
; %bb.2510:
	s_or_b32 exec_lo, exec_lo, s9
	s_delay_alu instid0(SALU_CYCLE_1)
	s_and_b32 s6, s6, exec_lo
	s_or_saveexec_b32 s7, s7
	v_mov_b32_e32 v5, 0x7f800001
	s_xor_b32 exec_lo, exec_lo, s7
	s_cbranch_execnz .LBB102_2531
.LBB102_2511:
	s_or_b32 exec_lo, exec_lo, s7
	s_and_saveexec_b32 s7, s6
	s_cbranch_execz .LBB102_2513
.LBB102_2512:
	v_and_b32_e32 v3, 0xffff, v2
	s_delay_alu instid0(VALU_DEP_1) | instskip(SKIP_1) | instid1(VALU_DEP_2)
	v_and_b32_e32 v5, 3, v3
	v_bfe_u32 v15, v3, 2, 5
	v_clz_i32_u32_e32 v13, v5
	s_delay_alu instid0(VALU_DEP_2) | instskip(NEXT) | instid1(VALU_DEP_2)
	v_cmp_eq_u32_e32 vcc_lo, 0, v15
	v_min_u32_e32 v13, 32, v13
	s_delay_alu instid0(VALU_DEP_1) | instskip(NEXT) | instid1(VALU_DEP_1)
	v_subrev_nc_u32_e32 v14, 29, v13
	v_dual_lshlrev_b32 v3, v14, v3 :: v_dual_sub_nc_u32 v13, 30, v13
	s_delay_alu instid0(VALU_DEP_1) | instskip(NEXT) | instid1(VALU_DEP_1)
	v_dual_lshlrev_b32 v2, 24, v2 :: v_dual_bitop2_b32 v3, 3, v3 bitop3:0x40
	v_dual_cndmask_b32 v13, v15, v13, vcc_lo :: v_dual_cndmask_b32 v3, v5, v3, vcc_lo
	s_delay_alu instid0(VALU_DEP_2) | instskip(NEXT) | instid1(VALU_DEP_2)
	v_and_b32_e32 v2, 0x80000000, v2
	v_lshl_add_u32 v5, v13, 23, 0x37800000
	s_delay_alu instid0(VALU_DEP_3) | instskip(NEXT) | instid1(VALU_DEP_1)
	v_lshlrev_b32_e32 v3, 21, v3
	v_or3_b32 v5, v2, v5, v3
.LBB102_2513:
	s_or_b32 exec_lo, exec_lo, s7
	s_mov_b32 s6, 0
	s_branch .LBB102_2519
.LBB102_2514:
	s_mov_b32 s6, -1
                                        ; implicit-def: $vgpr5
	s_branch .LBB102_2525
.LBB102_2515:
	s_or_saveexec_b32 s9, s9
	v_mov_b32_e32 v5, 0x7f800001
	s_xor_b32 exec_lo, exec_lo, s9
	s_cbranch_execz .LBB102_2498
.LBB102_2516:
	v_cmp_ne_u16_e32 vcc_lo, 0, v2
	v_mov_b32_e32 v5, 0
	s_and_not1_b32 s7, s7, exec_lo
	s_and_b32 s10, vcc_lo, exec_lo
	s_delay_alu instid0(SALU_CYCLE_1)
	s_or_b32 s7, s7, s10
	s_or_b32 exec_lo, exec_lo, s9
	s_and_saveexec_b32 s9, s7
	s_cbranch_execnz .LBB102_2499
	s_branch .LBB102_2500
.LBB102_2517:
	s_mov_b32 s6, -1
                                        ; implicit-def: $vgpr5
	s_branch .LBB102_2522
.LBB102_2518:
	s_mov_b32 s6, -1
                                        ; implicit-def: $vgpr5
.LBB102_2519:
	s_delay_alu instid0(SALU_CYCLE_1)
	s_and_b32 vcc_lo, exec_lo, s6
	s_cbranch_vccz .LBB102_2521
; %bb.2520:
	global_load_u8 v2, v[0:1], off
	s_wait_loadcnt 0x0
	v_lshlrev_b32_e32 v2, 24, v2
	s_delay_alu instid0(VALU_DEP_1) | instskip(NEXT) | instid1(VALU_DEP_1)
	v_and_b32_e32 v3, 0x7f000000, v2
	v_clz_i32_u32_e32 v5, v3
	v_cmp_ne_u32_e32 vcc_lo, 0, v3
	v_add_nc_u32_e32 v14, 0x1000000, v3
	s_delay_alu instid0(VALU_DEP_3) | instskip(NEXT) | instid1(VALU_DEP_1)
	v_min_u32_e32 v5, 32, v5
	v_sub_nc_u32_e64 v5, v5, 4 clamp
	s_delay_alu instid0(VALU_DEP_1) | instskip(NEXT) | instid1(VALU_DEP_1)
	v_dual_lshlrev_b32 v13, v5, v3 :: v_dual_lshlrev_b32 v5, 23, v5
	v_lshrrev_b32_e32 v13, 4, v13
	s_delay_alu instid0(VALU_DEP_1) | instskip(NEXT) | instid1(VALU_DEP_1)
	v_dual_sub_nc_u32 v5, v13, v5 :: v_dual_ashrrev_i32 v13, 8, v14
	v_add_nc_u32_e32 v5, 0x3c000000, v5
	s_delay_alu instid0(VALU_DEP_1) | instskip(NEXT) | instid1(VALU_DEP_1)
	v_and_or_b32 v5, 0x7f800000, v13, v5
	v_cndmask_b32_e32 v3, 0, v5, vcc_lo
	s_delay_alu instid0(VALU_DEP_1)
	v_and_or_b32 v5, 0x80000000, v2, v3
.LBB102_2521:
	s_mov_b32 s6, 0
.LBB102_2522:
	s_delay_alu instid0(SALU_CYCLE_1)
	s_and_not1_b32 vcc_lo, exec_lo, s6
	s_cbranch_vccnz .LBB102_2524
; %bb.2523:
	global_load_u8 v2, v[0:1], off
	s_wait_loadcnt 0x0
	v_lshlrev_b32_e32 v3, 25, v2
	v_lshlrev_b16 v2, 8, v2
	s_delay_alu instid0(VALU_DEP_1) | instskip(SKIP_1) | instid1(VALU_DEP_2)
	v_and_or_b32 v13, 0x7f00, v2, 0.5
	v_bfe_i32 v2, v2, 0, 16
	v_dual_add_f32 v13, -0.5, v13 :: v_dual_lshrrev_b32 v5, 4, v3
	v_cmp_gt_u32_e32 vcc_lo, 0x8000000, v3
	s_delay_alu instid0(VALU_DEP_2) | instskip(NEXT) | instid1(VALU_DEP_1)
	v_or_b32_e32 v5, 0x70000000, v5
	v_mul_f32_e32 v5, 0x7800000, v5
	s_delay_alu instid0(VALU_DEP_1) | instskip(NEXT) | instid1(VALU_DEP_1)
	v_cndmask_b32_e32 v3, v5, v13, vcc_lo
	v_and_or_b32 v5, 0x80000000, v2, v3
.LBB102_2524:
	s_mov_b32 s6, 0
	s_mov_b32 s7, -1
.LBB102_2525:
	s_and_not1_b32 vcc_lo, exec_lo, s6
	s_mov_b32 s6, 0
	s_cbranch_vccnz .LBB102_2536
; %bb.2526:
	s_cmp_gt_i32 s0, 14
	s_cbranch_scc0 .LBB102_2529
; %bb.2527:
	s_cmp_eq_u32 s0, 15
	s_cbranch_scc0 .LBB102_2532
; %bb.2528:
	global_load_u16 v2, v[0:1], off
	s_mov_b32 s2, 0
	s_mov_b32 s7, -1
	s_wait_loadcnt 0x0
	v_lshlrev_b32_e32 v5, 16, v2
	s_branch .LBB102_2534
.LBB102_2529:
	s_mov_b32 s6, -1
	s_branch .LBB102_2533
.LBB102_2530:
	s_or_saveexec_b32 s7, s7
	v_mov_b32_e32 v5, 0x7f800001
	s_xor_b32 exec_lo, exec_lo, s7
	s_cbranch_execz .LBB102_2511
.LBB102_2531:
	v_cmp_ne_u16_e32 vcc_lo, 0, v2
	v_mov_b32_e32 v5, 0
	s_and_not1_b32 s6, s6, exec_lo
	s_and_b32 s9, vcc_lo, exec_lo
	s_delay_alu instid0(SALU_CYCLE_1)
	s_or_b32 s6, s6, s9
	s_or_b32 exec_lo, exec_lo, s7
	s_and_saveexec_b32 s7, s6
	s_cbranch_execnz .LBB102_2512
	s_branch .LBB102_2513
.LBB102_2532:
	s_mov_b32 s2, -1
.LBB102_2533:
                                        ; implicit-def: $vgpr5
.LBB102_2534:
	s_and_b32 vcc_lo, exec_lo, s6
	s_mov_b32 s6, 0
	s_cbranch_vccz .LBB102_2536
; %bb.2535:
	s_cmp_lg_u32 s0, 11
	s_mov_b32 s6, -1
	s_cselect_b32 s2, -1, 0
.LBB102_2536:
	s_delay_alu instid0(SALU_CYCLE_1)
	s_and_b32 vcc_lo, exec_lo, s2
	s_cbranch_vccnz .LBB102_3068
; %bb.2537:
	s_and_not1_b32 vcc_lo, exec_lo, s6
	s_cbranch_vccnz .LBB102_2539
.LBB102_2538:
	global_load_u8 v2, v[0:1], off
	s_mov_b32 s7, -1
	s_wait_loadcnt 0x0
	v_cmp_ne_u16_e32 vcc_lo, 0, v2
	v_cndmask_b32_e64 v5, 0, 1.0, vcc_lo
.LBB102_2539:
	s_mov_b32 s0, 0
.LBB102_2540:
	s_delay_alu instid0(SALU_CYCLE_1)
	s_and_b32 vcc_lo, exec_lo, s0
	s_cbranch_vccz .LBB102_2589
; %bb.2541:
	s_and_b32 s0, 0xffff, s1
	s_delay_alu instid0(SALU_CYCLE_1)
	s_cmp_lt_i32 s0, 5
	s_cbranch_scc1 .LBB102_2546
; %bb.2542:
	s_cmp_lt_i32 s0, 8
	s_cbranch_scc1 .LBB102_2547
; %bb.2543:
	;; [unrolled: 3-line block ×3, first 2 shown]
	s_cmp_gt_i32 s0, 9
	s_cbranch_scc0 .LBB102_2549
; %bb.2545:
	global_load_b64 v[2:3], v[0:1], off
	s_mov_b32 s1, 0
	s_wait_loadcnt 0x0
	v_cvt_f32_f64_e32 v5, v[2:3]
	s_branch .LBB102_2550
.LBB102_2546:
	s_mov_b32 s1, -1
                                        ; implicit-def: $vgpr5
	s_branch .LBB102_2568
.LBB102_2547:
	s_mov_b32 s1, -1
                                        ; implicit-def: $vgpr5
	s_branch .LBB102_2556
.LBB102_2548:
	s_mov_b32 s1, -1
                                        ; implicit-def: $vgpr5
	s_branch .LBB102_2553
.LBB102_2549:
	s_mov_b32 s1, -1
                                        ; implicit-def: $vgpr5
.LBB102_2550:
	s_delay_alu instid0(SALU_CYCLE_1)
	s_and_not1_b32 vcc_lo, exec_lo, s1
	s_cbranch_vccnz .LBB102_2552
; %bb.2551:
	global_load_b32 v5, v[0:1], off
.LBB102_2552:
	s_mov_b32 s1, 0
.LBB102_2553:
	s_delay_alu instid0(SALU_CYCLE_1)
	s_and_not1_b32 vcc_lo, exec_lo, s1
	s_cbranch_vccnz .LBB102_2555
; %bb.2554:
	global_load_b32 v2, v[0:1], off
	s_wait_loadcnt 0x0
	v_cvt_f32_f16_e32 v5, v2
.LBB102_2555:
	s_mov_b32 s1, 0
.LBB102_2556:
	s_delay_alu instid0(SALU_CYCLE_1)
	s_and_not1_b32 vcc_lo, exec_lo, s1
	s_cbranch_vccnz .LBB102_2567
; %bb.2557:
	s_cmp_lt_i32 s0, 6
	s_cbranch_scc1 .LBB102_2560
; %bb.2558:
	s_cmp_gt_i32 s0, 6
	s_cbranch_scc0 .LBB102_2561
; %bb.2559:
	global_load_b64 v[2:3], v[0:1], off
	s_mov_b32 s1, 0
	s_wait_loadcnt 0x0
	v_cvt_f32_f64_e32 v5, v[2:3]
	s_branch .LBB102_2562
.LBB102_2560:
	s_mov_b32 s1, -1
                                        ; implicit-def: $vgpr5
	s_branch .LBB102_2565
.LBB102_2561:
	s_mov_b32 s1, -1
                                        ; implicit-def: $vgpr5
.LBB102_2562:
	s_delay_alu instid0(SALU_CYCLE_1)
	s_and_not1_b32 vcc_lo, exec_lo, s1
	s_cbranch_vccnz .LBB102_2564
; %bb.2563:
	s_wait_loadcnt 0x0
	global_load_b32 v5, v[0:1], off
.LBB102_2564:
	s_mov_b32 s1, 0
.LBB102_2565:
	s_delay_alu instid0(SALU_CYCLE_1)
	s_and_not1_b32 vcc_lo, exec_lo, s1
	s_cbranch_vccnz .LBB102_2567
; %bb.2566:
	global_load_u16 v2, v[0:1], off
	s_wait_loadcnt 0x0
	v_cvt_f32_f16_e32 v5, v2
.LBB102_2567:
	s_mov_b32 s1, 0
.LBB102_2568:
	s_delay_alu instid0(SALU_CYCLE_1)
	s_and_not1_b32 vcc_lo, exec_lo, s1
	s_cbranch_vccnz .LBB102_2588
; %bb.2569:
	s_cmp_lt_i32 s0, 2
	s_cbranch_scc1 .LBB102_2573
; %bb.2570:
	s_cmp_lt_i32 s0, 3
	s_cbranch_scc1 .LBB102_2574
; %bb.2571:
	s_cmp_gt_i32 s0, 3
	s_cbranch_scc0 .LBB102_2575
; %bb.2572:
	global_load_b64 v[2:3], v[0:1], off
	s_mov_b32 s1, 0
	s_wait_loadcnt 0x0
	v_xor_b32_e32 v5, v2, v3
	v_cls_i32_e32 v13, v3
	s_delay_alu instid0(VALU_DEP_2) | instskip(NEXT) | instid1(VALU_DEP_1)
	v_ashrrev_i32_e32 v5, 31, v5
	v_add_nc_u32_e32 v5, 32, v5
	s_delay_alu instid0(VALU_DEP_1) | instskip(NEXT) | instid1(VALU_DEP_1)
	v_add_min_u32_e64 v5, v13, -1, v5
	v_lshlrev_b64_e32 v[2:3], v5, v[2:3]
	s_delay_alu instid0(VALU_DEP_1) | instskip(NEXT) | instid1(VALU_DEP_1)
	v_min_u32_e32 v2, 1, v2
	v_dual_sub_nc_u32 v3, 32, v5 :: v_dual_bitop2_b32 v2, v3, v2 bitop3:0x54
	s_delay_alu instid0(VALU_DEP_1) | instskip(NEXT) | instid1(VALU_DEP_1)
	v_cvt_f32_i32_e32 v2, v2
	v_ldexp_f32 v5, v2, v3
	s_branch .LBB102_2576
.LBB102_2573:
	s_mov_b32 s1, -1
                                        ; implicit-def: $vgpr5
	s_branch .LBB102_2582
.LBB102_2574:
	s_mov_b32 s1, -1
                                        ; implicit-def: $vgpr5
	s_branch .LBB102_2579
.LBB102_2575:
	s_mov_b32 s1, -1
                                        ; implicit-def: $vgpr5
.LBB102_2576:
	s_delay_alu instid0(SALU_CYCLE_1)
	s_and_not1_b32 vcc_lo, exec_lo, s1
	s_cbranch_vccnz .LBB102_2578
; %bb.2577:
	global_load_b32 v2, v[0:1], off
	s_wait_loadcnt 0x0
	v_cvt_f32_i32_e32 v5, v2
.LBB102_2578:
	s_mov_b32 s1, 0
.LBB102_2579:
	s_delay_alu instid0(SALU_CYCLE_1)
	s_and_not1_b32 vcc_lo, exec_lo, s1
	s_cbranch_vccnz .LBB102_2581
; %bb.2580:
	global_load_i16 v2, v[0:1], off
	s_wait_loadcnt 0x0
	v_cvt_f32_i32_e32 v5, v2
.LBB102_2581:
	s_mov_b32 s1, 0
.LBB102_2582:
	s_delay_alu instid0(SALU_CYCLE_1)
	s_and_not1_b32 vcc_lo, exec_lo, s1
	s_cbranch_vccnz .LBB102_2588
; %bb.2583:
	s_cmp_gt_i32 s0, 0
	s_mov_b32 s0, 0
	s_cbranch_scc0 .LBB102_2585
; %bb.2584:
	global_load_i8 v2, v[0:1], off
	s_wait_loadcnt 0x0
	v_cvt_f32_i32_e32 v5, v2
	s_branch .LBB102_2586
.LBB102_2585:
	s_mov_b32 s0, -1
                                        ; implicit-def: $vgpr5
.LBB102_2586:
	s_delay_alu instid0(SALU_CYCLE_1)
	s_and_not1_b32 vcc_lo, exec_lo, s0
	s_cbranch_vccnz .LBB102_2588
; %bb.2587:
	global_load_u8 v0, v[0:1], off
	s_wait_loadcnt 0x0
	v_cvt_f32_ubyte0_e32 v5, v0
.LBB102_2588:
	s_mov_b32 s7, -1
.LBB102_2589:
	s_delay_alu instid0(SALU_CYCLE_1)
	s_and_not1_b32 vcc_lo, exec_lo, s7
	s_cbranch_vccnz .LBB102_3022
; %bb.2590:
	s_wait_loadcnt 0x0
	v_cmp_eq_f32_e32 vcc_lo, v7, v8
	s_wait_xcnt 0x0
	v_mul_lo_u32 v0, s8, v6
	s_cmp_eq_u32 s11, 0
	s_mov_b32 s7, 0
	s_cselect_b32 s0, -1, 0
	v_cndmask_b32_e64 v1, 0, 1, vcc_lo
	v_cmp_neq_f32_e32 vcc_lo, v7, v8
	s_and_b32 s19, s3, 0xff
	s_mov_b32 s2, -1
	s_cmp_lt_i32 s19, 11
	v_cndmask_b32_e64 v2, 0, 1, vcc_lo
	s_delay_alu instid0(VALU_DEP_1) | instskip(NEXT) | instid1(VALU_DEP_1)
	v_dual_cndmask_b32 v2, v2, v1, s0 :: v_dual_ashrrev_i32 v1, 31, v0
	v_and_b32_e32 v6, 1, v2
	s_delay_alu instid0(VALU_DEP_2) | instskip(NEXT) | instid1(VALU_DEP_2)
	v_add_nc_u64_e32 v[2:3], s[4:5], v[0:1]
	v_cmp_eq_u32_e64 s1, 1, v6
	s_cbranch_scc1 .LBB102_2669
; %bb.2591:
	s_and_b32 s3, 0xffff, s19
	s_mov_b32 s9, -1
	s_mov_b32 s6, 0
	s_cmp_gt_i32 s3, 25
	s_mov_b32 s2, 0
	s_cbranch_scc0 .LBB102_2624
; %bb.2592:
	s_cmp_gt_i32 s3, 28
	s_cbranch_scc0 .LBB102_2607
; %bb.2593:
	s_cmp_gt_i32 s3, 43
	;; [unrolled: 3-line block ×3, first 2 shown]
	s_cbranch_scc0 .LBB102_2597
; %bb.2595:
	s_mov_b32 s2, -1
	s_mov_b32 s9, 0
	s_cmp_eq_u32 s3, 46
	s_cbranch_scc0 .LBB102_2597
; %bb.2596:
	v_cndmask_b32_e64 v1, 0, 1.0, s1
	s_mov_b32 s2, 0
	s_mov_b32 s7, -1
	s_delay_alu instid0(VALU_DEP_1) | instskip(NEXT) | instid1(VALU_DEP_1)
	v_bfe_u32 v6, v1, 16, 1
	v_add3_u32 v1, v1, v6, 0x7fff
	s_delay_alu instid0(VALU_DEP_1)
	v_lshrrev_b32_e32 v1, 16, v1
	global_store_b32 v[2:3], v1, off
.LBB102_2597:
	s_and_b32 vcc_lo, exec_lo, s9
	s_cbranch_vccz .LBB102_2602
; %bb.2598:
	s_cmp_eq_u32 s3, 44
	s_mov_b32 s2, -1
	s_cbranch_scc0 .LBB102_2602
; %bb.2599:
	v_cndmask_b32_e64 v7, 0, 1.0, s1
	s_mov_b32 s7, exec_lo
	s_wait_xcnt 0x0
	s_delay_alu instid0(VALU_DEP_1) | instskip(NEXT) | instid1(VALU_DEP_1)
	v_dual_mov_b32 v6, 0xff :: v_dual_lshrrev_b32 v1, 23, v7
	v_cmpx_ne_u32_e32 0xff, v1
; %bb.2600:
	v_and_b32_e32 v6, 0x400000, v7
	v_and_or_b32 v7, 0x3fffff, v7, v1
	s_delay_alu instid0(VALU_DEP_2) | instskip(NEXT) | instid1(VALU_DEP_2)
	v_cmp_ne_u32_e32 vcc_lo, 0, v6
	v_cmp_ne_u32_e64 s2, 0, v7
	s_and_b32 s2, vcc_lo, s2
	s_delay_alu instid0(SALU_CYCLE_1) | instskip(NEXT) | instid1(VALU_DEP_1)
	v_cndmask_b32_e64 v6, 0, 1, s2
	v_add_nc_u32_e32 v6, v1, v6
; %bb.2601:
	s_or_b32 exec_lo, exec_lo, s7
	s_mov_b32 s2, 0
	s_mov_b32 s7, -1
	global_store_b8 v[2:3], v6, off
.LBB102_2602:
	s_mov_b32 s9, 0
.LBB102_2603:
	s_delay_alu instid0(SALU_CYCLE_1)
	s_and_b32 vcc_lo, exec_lo, s9
	s_cbranch_vccz .LBB102_2606
; %bb.2604:
	s_cmp_eq_u32 s3, 29
	s_mov_b32 s2, -1
	s_cbranch_scc0 .LBB102_2606
; %bb.2605:
	s_mov_b32 s2, 0
	s_wait_xcnt 0x0
	v_cndmask_b32_e64 v6, 0, 1, s1
	v_mov_b32_e32 v7, s2
	s_mov_b32 s7, -1
	global_store_b64 v[2:3], v[6:7], off
.LBB102_2606:
	s_mov_b32 s9, 0
.LBB102_2607:
	s_delay_alu instid0(SALU_CYCLE_1)
	s_and_b32 vcc_lo, exec_lo, s9
	s_cbranch_vccz .LBB102_2623
; %bb.2608:
	s_cmp_lt_i32 s3, 27
	s_mov_b32 s7, -1
	s_cbranch_scc1 .LBB102_2614
; %bb.2609:
	s_cmp_gt_i32 s3, 27
	s_cbranch_scc0 .LBB102_2611
; %bb.2610:
	s_wait_xcnt 0x0
	v_cndmask_b32_e64 v1, 0, 1, s1
	s_mov_b32 s7, 0
	global_store_b32 v[2:3], v1, off
.LBB102_2611:
	s_and_not1_b32 vcc_lo, exec_lo, s7
	s_cbranch_vccnz .LBB102_2613
; %bb.2612:
	s_wait_xcnt 0x0
	v_cndmask_b32_e64 v1, 0, 1, s1
	global_store_b16 v[2:3], v1, off
.LBB102_2613:
	s_mov_b32 s7, 0
.LBB102_2614:
	s_delay_alu instid0(SALU_CYCLE_1)
	s_and_not1_b32 vcc_lo, exec_lo, s7
	s_cbranch_vccnz .LBB102_2622
; %bb.2615:
	s_wait_xcnt 0x0
	v_cndmask_b32_e64 v6, 0, 1.0, s1
	v_mov_b32_e32 v7, 0x80
	s_mov_b32 s7, exec_lo
	s_delay_alu instid0(VALU_DEP_2)
	v_cmpx_gt_u32_e32 0x43800000, v6
	s_cbranch_execz .LBB102_2621
; %bb.2616:
	s_mov_b32 s9, 0
	s_mov_b32 s10, exec_lo
                                        ; implicit-def: $vgpr1
	v_cmpx_lt_u32_e32 0x3bffffff, v6
	s_xor_b32 s10, exec_lo, s10
	s_cbranch_execz .LBB102_3069
; %bb.2617:
	v_bfe_u32 v1, v6, 20, 1
	s_mov_b32 s9, exec_lo
	s_delay_alu instid0(VALU_DEP_1) | instskip(NEXT) | instid1(VALU_DEP_1)
	v_add3_u32 v1, v6, v1, 0x487ffff
                                        ; implicit-def: $vgpr6
	v_lshrrev_b32_e32 v1, 20, v1
	s_and_not1_saveexec_b32 s10, s10
	s_cbranch_execnz .LBB102_3070
.LBB102_2618:
	s_or_b32 exec_lo, exec_lo, s10
	v_mov_b32_e32 v7, 0
	s_and_saveexec_b32 s10, s9
.LBB102_2619:
	v_mov_b32_e32 v7, v1
.LBB102_2620:
	s_or_b32 exec_lo, exec_lo, s10
.LBB102_2621:
	s_delay_alu instid0(SALU_CYCLE_1)
	s_or_b32 exec_lo, exec_lo, s7
	global_store_b8 v[2:3], v7, off
.LBB102_2622:
	s_mov_b32 s7, -1
.LBB102_2623:
	s_mov_b32 s9, 0
.LBB102_2624:
	s_delay_alu instid0(SALU_CYCLE_1)
	s_and_b32 vcc_lo, exec_lo, s9
	s_cbranch_vccz .LBB102_2664
; %bb.2625:
	s_cmp_gt_i32 s3, 22
	s_mov_b32 s6, -1
	s_cbranch_scc0 .LBB102_2657
; %bb.2626:
	s_cmp_lt_i32 s3, 24
	s_cbranch_scc1 .LBB102_2646
; %bb.2627:
	s_cmp_gt_i32 s3, 24
	s_cbranch_scc0 .LBB102_2635
; %bb.2628:
	s_wait_xcnt 0x0
	v_cndmask_b32_e64 v6, 0, 1.0, s1
	v_mov_b32_e32 v7, 0x80
	s_mov_b32 s6, exec_lo
	s_delay_alu instid0(VALU_DEP_2)
	v_cmpx_gt_u32_e32 0x47800000, v6
	s_cbranch_execz .LBB102_2634
; %bb.2629:
	s_mov_b32 s7, 0
	s_mov_b32 s9, exec_lo
                                        ; implicit-def: $vgpr1
	v_cmpx_lt_u32_e32 0x37ffffff, v6
	s_xor_b32 s9, exec_lo, s9
	s_cbranch_execz .LBB102_3072
; %bb.2630:
	v_bfe_u32 v1, v6, 21, 1
	s_mov_b32 s7, exec_lo
	s_delay_alu instid0(VALU_DEP_1) | instskip(NEXT) | instid1(VALU_DEP_1)
	v_add3_u32 v1, v6, v1, 0x88fffff
                                        ; implicit-def: $vgpr6
	v_lshrrev_b32_e32 v1, 21, v1
	s_and_not1_saveexec_b32 s9, s9
	s_cbranch_execnz .LBB102_3073
.LBB102_2631:
	s_or_b32 exec_lo, exec_lo, s9
	v_mov_b32_e32 v7, 0
	s_and_saveexec_b32 s9, s7
.LBB102_2632:
	v_mov_b32_e32 v7, v1
.LBB102_2633:
	s_or_b32 exec_lo, exec_lo, s9
.LBB102_2634:
	s_delay_alu instid0(SALU_CYCLE_1)
	s_or_b32 exec_lo, exec_lo, s6
	s_mov_b32 s6, 0
	global_store_b8 v[2:3], v7, off
.LBB102_2635:
	s_and_b32 vcc_lo, exec_lo, s6
	s_cbranch_vccz .LBB102_2645
; %bb.2636:
	s_wait_xcnt 0x0
	v_cndmask_b32_e64 v6, 0, 1.0, s1
	s_mov_b32 s6, exec_lo
                                        ; implicit-def: $vgpr1
	s_delay_alu instid0(VALU_DEP_1)
	v_cmpx_gt_u32_e32 0x43f00000, v6
	s_xor_b32 s6, exec_lo, s6
	s_cbranch_execz .LBB102_2642
; %bb.2637:
	s_mov_b32 s7, exec_lo
                                        ; implicit-def: $vgpr1
	v_cmpx_lt_u32_e32 0x3c7fffff, v6
	s_xor_b32 s7, exec_lo, s7
; %bb.2638:
	v_bfe_u32 v1, v6, 20, 1
	s_delay_alu instid0(VALU_DEP_1) | instskip(NEXT) | instid1(VALU_DEP_1)
	v_add3_u32 v1, v6, v1, 0x407ffff
	v_and_b32_e32 v6, 0xff00000, v1
	v_lshrrev_b32_e32 v1, 20, v1
	s_delay_alu instid0(VALU_DEP_2) | instskip(NEXT) | instid1(VALU_DEP_2)
	v_cmp_ne_u32_e32 vcc_lo, 0x7f00000, v6
                                        ; implicit-def: $vgpr6
	v_cndmask_b32_e32 v1, 0x7e, v1, vcc_lo
; %bb.2639:
	s_and_not1_saveexec_b32 s7, s7
; %bb.2640:
	v_add_f32_e32 v1, 0x46800000, v6
; %bb.2641:
	s_or_b32 exec_lo, exec_lo, s7
                                        ; implicit-def: $vgpr6
.LBB102_2642:
	s_and_not1_saveexec_b32 s6, s6
; %bb.2643:
	v_mov_b32_e32 v1, 0x7f
	v_cmp_lt_u32_e32 vcc_lo, 0x7f800000, v6
	s_delay_alu instid0(VALU_DEP_2)
	v_cndmask_b32_e32 v1, 0x7e, v1, vcc_lo
; %bb.2644:
	s_or_b32 exec_lo, exec_lo, s6
	global_store_b8 v[2:3], v1, off
.LBB102_2645:
	s_mov_b32 s6, 0
.LBB102_2646:
	s_delay_alu instid0(SALU_CYCLE_1)
	s_and_not1_b32 vcc_lo, exec_lo, s6
	s_cbranch_vccnz .LBB102_2656
; %bb.2647:
	s_wait_xcnt 0x0
	v_cndmask_b32_e64 v6, 0, 1.0, s1
	s_mov_b32 s6, exec_lo
                                        ; implicit-def: $vgpr1
	s_delay_alu instid0(VALU_DEP_1)
	v_cmpx_gt_u32_e32 0x47800000, v6
	s_xor_b32 s6, exec_lo, s6
	s_cbranch_execz .LBB102_2653
; %bb.2648:
	s_mov_b32 s7, exec_lo
                                        ; implicit-def: $vgpr1
	v_cmpx_lt_u32_e32 0x387fffff, v6
	s_xor_b32 s7, exec_lo, s7
; %bb.2649:
	v_bfe_u32 v1, v6, 21, 1
	s_delay_alu instid0(VALU_DEP_1) | instskip(NEXT) | instid1(VALU_DEP_1)
	v_add3_u32 v1, v6, v1, 0x80fffff
                                        ; implicit-def: $vgpr6
	v_lshrrev_b32_e32 v1, 21, v1
; %bb.2650:
	s_and_not1_saveexec_b32 s7, s7
; %bb.2651:
	v_add_f32_e32 v1, 0x43000000, v6
; %bb.2652:
	s_or_b32 exec_lo, exec_lo, s7
                                        ; implicit-def: $vgpr6
.LBB102_2653:
	s_and_not1_saveexec_b32 s6, s6
; %bb.2654:
	v_mov_b32_e32 v1, 0x7f
	v_cmp_lt_u32_e32 vcc_lo, 0x7f800000, v6
	s_delay_alu instid0(VALU_DEP_2)
	v_cndmask_b32_e32 v1, 0x7c, v1, vcc_lo
; %bb.2655:
	s_or_b32 exec_lo, exec_lo, s6
	global_store_b8 v[2:3], v1, off
.LBB102_2656:
	s_mov_b32 s6, 0
	s_mov_b32 s7, -1
.LBB102_2657:
	s_and_not1_b32 vcc_lo, exec_lo, s6
	s_mov_b32 s6, 0
	s_cbranch_vccnz .LBB102_2664
; %bb.2658:
	s_cmp_gt_i32 s3, 14
	s_mov_b32 s6, -1
	s_cbranch_scc0 .LBB102_2662
; %bb.2659:
	s_cmp_eq_u32 s3, 15
	s_mov_b32 s2, -1
	s_cbranch_scc0 .LBB102_2661
; %bb.2660:
	s_wait_xcnt 0x0
	v_cndmask_b32_e64 v1, 0, 1.0, s1
	s_mov_b32 s2, 0
	s_mov_b32 s7, -1
	s_delay_alu instid0(VALU_DEP_1) | instskip(NEXT) | instid1(VALU_DEP_1)
	v_bfe_u32 v6, v1, 16, 1
	v_add3_u32 v1, v1, v6, 0x7fff
	global_store_d16_hi_b16 v[2:3], v1, off
.LBB102_2661:
	s_mov_b32 s6, 0
.LBB102_2662:
	s_delay_alu instid0(SALU_CYCLE_1)
	s_and_b32 vcc_lo, exec_lo, s6
	s_mov_b32 s6, 0
	s_cbranch_vccz .LBB102_2664
; %bb.2663:
	s_cmp_lg_u32 s3, 11
	s_mov_b32 s6, -1
	s_cselect_b32 s2, -1, 0
.LBB102_2664:
	s_delay_alu instid0(SALU_CYCLE_1)
	s_and_b32 vcc_lo, exec_lo, s2
	s_cbranch_vccnz .LBB102_3071
; %bb.2665:
	s_and_not1_b32 vcc_lo, exec_lo, s6
	s_cbranch_vccnz .LBB102_2667
.LBB102_2666:
	s_wait_xcnt 0x0
	v_cndmask_b32_e64 v1, 0, 1, s1
	s_mov_b32 s7, -1
	global_store_b8 v[2:3], v1, off
.LBB102_2667:
.LBB102_2668:
	s_and_not1_b32 vcc_lo, exec_lo, s7
	s_cbranch_vccnz .LBB102_3022
	s_branch .LBB102_2708
.LBB102_2669:
	s_and_b32 vcc_lo, exec_lo, s2
	s_cbranch_vccz .LBB102_2668
; %bb.2670:
	s_and_b32 s2, 0xffff, s19
	s_mov_b32 s3, -1
	s_cmp_lt_i32 s2, 5
	s_cbranch_scc1 .LBB102_2691
; %bb.2671:
	s_cmp_lt_i32 s2, 8
	s_cbranch_scc1 .LBB102_2681
; %bb.2672:
	;; [unrolled: 3-line block ×3, first 2 shown]
	s_cmp_gt_i32 s2, 9
	s_cbranch_scc0 .LBB102_2675
; %bb.2674:
	s_wait_xcnt 0x0
	v_cndmask_b32_e64 v1, 0, 1, s1
	v_mov_b32_e32 v16, 0
	s_mov_b32 s3, 0
	s_delay_alu instid0(VALU_DEP_2) | instskip(NEXT) | instid1(VALU_DEP_2)
	v_cvt_f64_u32_e32 v[14:15], v1
	v_mov_b32_e32 v17, v16
	global_store_b128 v[2:3], v[14:17], off
.LBB102_2675:
	s_and_not1_b32 vcc_lo, exec_lo, s3
	s_cbranch_vccnz .LBB102_2677
; %bb.2676:
	s_wait_xcnt 0x0
	v_cndmask_b32_e64 v6, 0, 1.0, s1
	v_mov_b32_e32 v7, 0
	global_store_b64 v[2:3], v[6:7], off
.LBB102_2677:
	s_mov_b32 s3, 0
.LBB102_2678:
	s_delay_alu instid0(SALU_CYCLE_1)
	s_and_not1_b32 vcc_lo, exec_lo, s3
	s_cbranch_vccnz .LBB102_2680
; %bb.2679:
	s_wait_xcnt 0x0
	v_cndmask_b32_e64 v1, 0, 1.0, s1
	s_delay_alu instid0(VALU_DEP_1) | instskip(NEXT) | instid1(VALU_DEP_1)
	v_cvt_f16_f32_e32 v1, v1
	v_and_b32_e32 v1, 0xffff, v1
	global_store_b32 v[2:3], v1, off
.LBB102_2680:
	s_mov_b32 s3, 0
.LBB102_2681:
	s_delay_alu instid0(SALU_CYCLE_1)
	s_and_not1_b32 vcc_lo, exec_lo, s3
	s_cbranch_vccnz .LBB102_2690
; %bb.2682:
	s_cmp_lt_i32 s2, 6
	s_mov_b32 s3, -1
	s_cbranch_scc1 .LBB102_2688
; %bb.2683:
	s_cmp_gt_i32 s2, 6
	s_cbranch_scc0 .LBB102_2685
; %bb.2684:
	s_wait_xcnt 0x0
	v_cndmask_b32_e64 v1, 0, 1, s1
	s_mov_b32 s3, 0
	s_delay_alu instid0(VALU_DEP_1)
	v_cvt_f64_u32_e32 v[6:7], v1
	global_store_b64 v[2:3], v[6:7], off
.LBB102_2685:
	s_and_not1_b32 vcc_lo, exec_lo, s3
	s_cbranch_vccnz .LBB102_2687
; %bb.2686:
	s_wait_xcnt 0x0
	v_cndmask_b32_e64 v1, 0, 1.0, s1
	global_store_b32 v[2:3], v1, off
.LBB102_2687:
	s_mov_b32 s3, 0
.LBB102_2688:
	s_delay_alu instid0(SALU_CYCLE_1)
	s_and_not1_b32 vcc_lo, exec_lo, s3
	s_cbranch_vccnz .LBB102_2690
; %bb.2689:
	s_wait_xcnt 0x0
	v_cndmask_b32_e64 v1, 0, 1.0, s1
	s_delay_alu instid0(VALU_DEP_1)
	v_cvt_f16_f32_e32 v1, v1
	global_store_b16 v[2:3], v1, off
.LBB102_2690:
	s_mov_b32 s3, 0
.LBB102_2691:
	s_delay_alu instid0(SALU_CYCLE_1)
	s_and_not1_b32 vcc_lo, exec_lo, s3
	s_cbranch_vccnz .LBB102_2707
; %bb.2692:
	s_cmp_lt_i32 s2, 2
	s_mov_b32 s3, -1
	s_cbranch_scc1 .LBB102_2702
; %bb.2693:
	s_cmp_lt_i32 s2, 3
	s_cbranch_scc1 .LBB102_2699
; %bb.2694:
	s_cmp_gt_i32 s2, 3
	s_cbranch_scc0 .LBB102_2696
; %bb.2695:
	s_mov_b32 s3, 0
	s_wait_xcnt 0x0
	v_cndmask_b32_e64 v6, 0, 1, s1
	v_mov_b32_e32 v7, s3
	global_store_b64 v[2:3], v[6:7], off
.LBB102_2696:
	s_and_not1_b32 vcc_lo, exec_lo, s3
	s_cbranch_vccnz .LBB102_2698
; %bb.2697:
	s_wait_xcnt 0x0
	v_cndmask_b32_e64 v1, 0, 1, s1
	global_store_b32 v[2:3], v1, off
.LBB102_2698:
	s_mov_b32 s3, 0
.LBB102_2699:
	s_delay_alu instid0(SALU_CYCLE_1)
	s_and_not1_b32 vcc_lo, exec_lo, s3
	s_cbranch_vccnz .LBB102_2701
; %bb.2700:
	s_wait_xcnt 0x0
	v_cndmask_b32_e64 v1, 0, 1, s1
	global_store_b16 v[2:3], v1, off
.LBB102_2701:
	s_mov_b32 s3, 0
.LBB102_2702:
	s_delay_alu instid0(SALU_CYCLE_1)
	s_and_not1_b32 vcc_lo, exec_lo, s3
	s_cbranch_vccnz .LBB102_2707
; %bb.2703:
	s_wait_xcnt 0x0
	v_cndmask_b32_e64 v1, 0, 1, s1
	s_cmp_gt_i32 s2, 0
	s_mov_b32 s1, -1
	s_cbranch_scc0 .LBB102_2705
; %bb.2704:
	s_mov_b32 s1, 0
	global_store_b8 v[2:3], v1, off
.LBB102_2705:
	s_and_not1_b32 vcc_lo, exec_lo, s1
	s_cbranch_vccnz .LBB102_2707
; %bb.2706:
	global_store_b8 v[2:3], v1, off
.LBB102_2707:
.LBB102_2708:
	v_cmp_eq_f32_e32 vcc_lo, v9, v10
	s_lshl_b32 s3, s8, 7
	s_cmp_lt_i32 s19, 11
	s_wait_xcnt 0x0
	v_cndmask_b32_e64 v1, 0, 1, vcc_lo
	v_cmp_neq_f32_e32 vcc_lo, v9, v10
	v_cndmask_b32_e64 v2, 0, 1, vcc_lo
	s_delay_alu instid0(VALU_DEP_1) | instskip(NEXT) | instid1(VALU_DEP_1)
	v_dual_add_nc_u32 v0, s3, v0 :: v_dual_cndmask_b32 v2, v2, v1, s0
	v_dual_ashrrev_i32 v1, 31, v0 :: v_dual_bitop2_b32 v6, 1, v2 bitop3:0x40
	s_delay_alu instid0(VALU_DEP_1) | instskip(NEXT) | instid1(VALU_DEP_2)
	v_add_nc_u64_e32 v[2:3], s[4:5], v[0:1]
	v_cmp_eq_u32_e64 s1, 1, v6
	s_cbranch_scc1 .LBB102_2786
; %bb.2709:
	s_and_b32 s6, 0xffff, s19
	s_mov_b32 s9, -1
	s_mov_b32 s7, 0
	s_cmp_gt_i32 s6, 25
	s_mov_b32 s8, 0
	s_mov_b32 s2, 0
	s_cbranch_scc0 .LBB102_2742
; %bb.2710:
	s_cmp_gt_i32 s6, 28
	s_cbranch_scc0 .LBB102_2725
; %bb.2711:
	s_cmp_gt_i32 s6, 43
	;; [unrolled: 3-line block ×3, first 2 shown]
	s_cbranch_scc0 .LBB102_2715
; %bb.2713:
	s_mov_b32 s2, -1
	s_mov_b32 s9, 0
	s_cmp_eq_u32 s6, 46
	s_cbranch_scc0 .LBB102_2715
; %bb.2714:
	v_cndmask_b32_e64 v1, 0, 1.0, s1
	s_mov_b32 s2, 0
	s_mov_b32 s8, -1
	s_delay_alu instid0(VALU_DEP_1) | instskip(NEXT) | instid1(VALU_DEP_1)
	v_bfe_u32 v6, v1, 16, 1
	v_add3_u32 v1, v1, v6, 0x7fff
	s_delay_alu instid0(VALU_DEP_1)
	v_lshrrev_b32_e32 v1, 16, v1
	global_store_b32 v[2:3], v1, off
.LBB102_2715:
	s_and_b32 vcc_lo, exec_lo, s9
	s_cbranch_vccz .LBB102_2720
; %bb.2716:
	s_cmp_eq_u32 s6, 44
	s_mov_b32 s2, -1
	s_cbranch_scc0 .LBB102_2720
; %bb.2717:
	v_cndmask_b32_e64 v7, 0, 1.0, s1
	s_mov_b32 s8, exec_lo
	s_wait_xcnt 0x0
	s_delay_alu instid0(VALU_DEP_1) | instskip(NEXT) | instid1(VALU_DEP_1)
	v_dual_mov_b32 v6, 0xff :: v_dual_lshrrev_b32 v1, 23, v7
	v_cmpx_ne_u32_e32 0xff, v1
; %bb.2718:
	v_and_b32_e32 v6, 0x400000, v7
	v_and_or_b32 v7, 0x3fffff, v7, v1
	s_delay_alu instid0(VALU_DEP_2) | instskip(NEXT) | instid1(VALU_DEP_2)
	v_cmp_ne_u32_e32 vcc_lo, 0, v6
	v_cmp_ne_u32_e64 s2, 0, v7
	s_and_b32 s2, vcc_lo, s2
	s_delay_alu instid0(SALU_CYCLE_1) | instskip(NEXT) | instid1(VALU_DEP_1)
	v_cndmask_b32_e64 v6, 0, 1, s2
	v_add_nc_u32_e32 v6, v1, v6
; %bb.2719:
	s_or_b32 exec_lo, exec_lo, s8
	s_mov_b32 s2, 0
	s_mov_b32 s8, -1
	global_store_b8 v[2:3], v6, off
.LBB102_2720:
	s_mov_b32 s9, 0
.LBB102_2721:
	s_delay_alu instid0(SALU_CYCLE_1)
	s_and_b32 vcc_lo, exec_lo, s9
	s_cbranch_vccz .LBB102_2724
; %bb.2722:
	s_cmp_eq_u32 s6, 29
	s_mov_b32 s2, -1
	s_cbranch_scc0 .LBB102_2724
; %bb.2723:
	s_mov_b32 s2, 0
	s_wait_xcnt 0x0
	v_cndmask_b32_e64 v6, 0, 1, s1
	v_mov_b32_e32 v7, s2
	s_mov_b32 s8, -1
	global_store_b64 v[2:3], v[6:7], off
.LBB102_2724:
	s_mov_b32 s9, 0
.LBB102_2725:
	s_delay_alu instid0(SALU_CYCLE_1)
	s_and_b32 vcc_lo, exec_lo, s9
	s_cbranch_vccz .LBB102_2741
; %bb.2726:
	s_cmp_lt_i32 s6, 27
	s_mov_b32 s8, -1
	s_cbranch_scc1 .LBB102_2732
; %bb.2727:
	s_cmp_gt_i32 s6, 27
	s_cbranch_scc0 .LBB102_2729
; %bb.2728:
	s_wait_xcnt 0x0
	v_cndmask_b32_e64 v1, 0, 1, s1
	s_mov_b32 s8, 0
	global_store_b32 v[2:3], v1, off
.LBB102_2729:
	s_and_not1_b32 vcc_lo, exec_lo, s8
	s_cbranch_vccnz .LBB102_2731
; %bb.2730:
	s_wait_xcnt 0x0
	v_cndmask_b32_e64 v1, 0, 1, s1
	global_store_b16 v[2:3], v1, off
.LBB102_2731:
	s_mov_b32 s8, 0
.LBB102_2732:
	s_delay_alu instid0(SALU_CYCLE_1)
	s_and_not1_b32 vcc_lo, exec_lo, s8
	s_cbranch_vccnz .LBB102_2740
; %bb.2733:
	s_wait_xcnt 0x0
	v_cndmask_b32_e64 v6, 0, 1.0, s1
	v_mov_b32_e32 v7, 0x80
	s_mov_b32 s8, exec_lo
	s_delay_alu instid0(VALU_DEP_2)
	v_cmpx_gt_u32_e32 0x43800000, v6
	s_cbranch_execz .LBB102_2739
; %bb.2734:
	s_mov_b32 s9, 0
	s_mov_b32 s10, exec_lo
                                        ; implicit-def: $vgpr1
	v_cmpx_lt_u32_e32 0x3bffffff, v6
	s_xor_b32 s10, exec_lo, s10
	s_cbranch_execz .LBB102_3074
; %bb.2735:
	v_bfe_u32 v1, v6, 20, 1
	s_mov_b32 s9, exec_lo
	s_delay_alu instid0(VALU_DEP_1) | instskip(NEXT) | instid1(VALU_DEP_1)
	v_add3_u32 v1, v6, v1, 0x487ffff
                                        ; implicit-def: $vgpr6
	v_lshrrev_b32_e32 v1, 20, v1
	s_and_not1_saveexec_b32 s10, s10
	s_cbranch_execnz .LBB102_3075
.LBB102_2736:
	s_or_b32 exec_lo, exec_lo, s10
	v_mov_b32_e32 v7, 0
	s_and_saveexec_b32 s10, s9
.LBB102_2737:
	v_mov_b32_e32 v7, v1
.LBB102_2738:
	s_or_b32 exec_lo, exec_lo, s10
.LBB102_2739:
	s_delay_alu instid0(SALU_CYCLE_1)
	s_or_b32 exec_lo, exec_lo, s8
	global_store_b8 v[2:3], v7, off
.LBB102_2740:
	s_mov_b32 s8, -1
.LBB102_2741:
	s_mov_b32 s9, 0
.LBB102_2742:
	s_delay_alu instid0(SALU_CYCLE_1)
	s_and_b32 vcc_lo, exec_lo, s9
	s_cbranch_vccz .LBB102_2782
; %bb.2743:
	s_cmp_gt_i32 s6, 22
	s_mov_b32 s7, -1
	s_cbranch_scc0 .LBB102_2775
; %bb.2744:
	s_cmp_lt_i32 s6, 24
	s_cbranch_scc1 .LBB102_2764
; %bb.2745:
	s_cmp_gt_i32 s6, 24
	s_cbranch_scc0 .LBB102_2753
; %bb.2746:
	s_wait_xcnt 0x0
	v_cndmask_b32_e64 v6, 0, 1.0, s1
	v_mov_b32_e32 v7, 0x80
	s_mov_b32 s7, exec_lo
	s_delay_alu instid0(VALU_DEP_2)
	v_cmpx_gt_u32_e32 0x47800000, v6
	s_cbranch_execz .LBB102_2752
; %bb.2747:
	s_mov_b32 s8, 0
	s_mov_b32 s9, exec_lo
                                        ; implicit-def: $vgpr1
	v_cmpx_lt_u32_e32 0x37ffffff, v6
	s_xor_b32 s9, exec_lo, s9
	s_cbranch_execz .LBB102_3077
; %bb.2748:
	v_bfe_u32 v1, v6, 21, 1
	s_mov_b32 s8, exec_lo
	s_delay_alu instid0(VALU_DEP_1) | instskip(NEXT) | instid1(VALU_DEP_1)
	v_add3_u32 v1, v6, v1, 0x88fffff
                                        ; implicit-def: $vgpr6
	v_lshrrev_b32_e32 v1, 21, v1
	s_and_not1_saveexec_b32 s9, s9
	s_cbranch_execnz .LBB102_3078
.LBB102_2749:
	s_or_b32 exec_lo, exec_lo, s9
	v_mov_b32_e32 v7, 0
	s_and_saveexec_b32 s9, s8
.LBB102_2750:
	v_mov_b32_e32 v7, v1
.LBB102_2751:
	s_or_b32 exec_lo, exec_lo, s9
.LBB102_2752:
	s_delay_alu instid0(SALU_CYCLE_1)
	s_or_b32 exec_lo, exec_lo, s7
	s_mov_b32 s7, 0
	global_store_b8 v[2:3], v7, off
.LBB102_2753:
	s_and_b32 vcc_lo, exec_lo, s7
	s_cbranch_vccz .LBB102_2763
; %bb.2754:
	s_wait_xcnt 0x0
	v_cndmask_b32_e64 v6, 0, 1.0, s1
	s_mov_b32 s7, exec_lo
                                        ; implicit-def: $vgpr1
	s_delay_alu instid0(VALU_DEP_1)
	v_cmpx_gt_u32_e32 0x43f00000, v6
	s_xor_b32 s7, exec_lo, s7
	s_cbranch_execz .LBB102_2760
; %bb.2755:
	s_mov_b32 s8, exec_lo
                                        ; implicit-def: $vgpr1
	v_cmpx_lt_u32_e32 0x3c7fffff, v6
	s_xor_b32 s8, exec_lo, s8
; %bb.2756:
	v_bfe_u32 v1, v6, 20, 1
	s_delay_alu instid0(VALU_DEP_1) | instskip(NEXT) | instid1(VALU_DEP_1)
	v_add3_u32 v1, v6, v1, 0x407ffff
	v_and_b32_e32 v6, 0xff00000, v1
	v_lshrrev_b32_e32 v1, 20, v1
	s_delay_alu instid0(VALU_DEP_2) | instskip(NEXT) | instid1(VALU_DEP_2)
	v_cmp_ne_u32_e32 vcc_lo, 0x7f00000, v6
                                        ; implicit-def: $vgpr6
	v_cndmask_b32_e32 v1, 0x7e, v1, vcc_lo
; %bb.2757:
	s_and_not1_saveexec_b32 s8, s8
; %bb.2758:
	v_add_f32_e32 v1, 0x46800000, v6
; %bb.2759:
	s_or_b32 exec_lo, exec_lo, s8
                                        ; implicit-def: $vgpr6
.LBB102_2760:
	s_and_not1_saveexec_b32 s7, s7
; %bb.2761:
	v_mov_b32_e32 v1, 0x7f
	v_cmp_lt_u32_e32 vcc_lo, 0x7f800000, v6
	s_delay_alu instid0(VALU_DEP_2)
	v_cndmask_b32_e32 v1, 0x7e, v1, vcc_lo
; %bb.2762:
	s_or_b32 exec_lo, exec_lo, s7
	global_store_b8 v[2:3], v1, off
.LBB102_2763:
	s_mov_b32 s7, 0
.LBB102_2764:
	s_delay_alu instid0(SALU_CYCLE_1)
	s_and_not1_b32 vcc_lo, exec_lo, s7
	s_cbranch_vccnz .LBB102_2774
; %bb.2765:
	s_wait_xcnt 0x0
	v_cndmask_b32_e64 v6, 0, 1.0, s1
	s_mov_b32 s7, exec_lo
                                        ; implicit-def: $vgpr1
	s_delay_alu instid0(VALU_DEP_1)
	v_cmpx_gt_u32_e32 0x47800000, v6
	s_xor_b32 s7, exec_lo, s7
	s_cbranch_execz .LBB102_2771
; %bb.2766:
	s_mov_b32 s8, exec_lo
                                        ; implicit-def: $vgpr1
	v_cmpx_lt_u32_e32 0x387fffff, v6
	s_xor_b32 s8, exec_lo, s8
; %bb.2767:
	v_bfe_u32 v1, v6, 21, 1
	s_delay_alu instid0(VALU_DEP_1) | instskip(NEXT) | instid1(VALU_DEP_1)
	v_add3_u32 v1, v6, v1, 0x80fffff
                                        ; implicit-def: $vgpr6
	v_lshrrev_b32_e32 v1, 21, v1
; %bb.2768:
	s_and_not1_saveexec_b32 s8, s8
; %bb.2769:
	v_add_f32_e32 v1, 0x43000000, v6
; %bb.2770:
	s_or_b32 exec_lo, exec_lo, s8
                                        ; implicit-def: $vgpr6
.LBB102_2771:
	s_and_not1_saveexec_b32 s7, s7
; %bb.2772:
	v_mov_b32_e32 v1, 0x7f
	v_cmp_lt_u32_e32 vcc_lo, 0x7f800000, v6
	s_delay_alu instid0(VALU_DEP_2)
	v_cndmask_b32_e32 v1, 0x7c, v1, vcc_lo
; %bb.2773:
	s_or_b32 exec_lo, exec_lo, s7
	global_store_b8 v[2:3], v1, off
.LBB102_2774:
	s_mov_b32 s7, 0
	s_mov_b32 s8, -1
.LBB102_2775:
	s_and_not1_b32 vcc_lo, exec_lo, s7
	s_mov_b32 s7, 0
	s_cbranch_vccnz .LBB102_2782
; %bb.2776:
	s_cmp_gt_i32 s6, 14
	s_mov_b32 s7, -1
	s_cbranch_scc0 .LBB102_2780
; %bb.2777:
	s_cmp_eq_u32 s6, 15
	s_mov_b32 s2, -1
	s_cbranch_scc0 .LBB102_2779
; %bb.2778:
	s_wait_xcnt 0x0
	v_cndmask_b32_e64 v1, 0, 1.0, s1
	s_mov_b32 s2, 0
	s_mov_b32 s8, -1
	s_delay_alu instid0(VALU_DEP_1) | instskip(NEXT) | instid1(VALU_DEP_1)
	v_bfe_u32 v6, v1, 16, 1
	v_add3_u32 v1, v1, v6, 0x7fff
	global_store_d16_hi_b16 v[2:3], v1, off
.LBB102_2779:
	s_mov_b32 s7, 0
.LBB102_2780:
	s_delay_alu instid0(SALU_CYCLE_1)
	s_and_b32 vcc_lo, exec_lo, s7
	s_mov_b32 s7, 0
	s_cbranch_vccz .LBB102_2782
; %bb.2781:
	s_cmp_lg_u32 s6, 11
	s_mov_b32 s7, -1
	s_cselect_b32 s2, -1, 0
.LBB102_2782:
	s_delay_alu instid0(SALU_CYCLE_1)
	s_and_b32 vcc_lo, exec_lo, s2
	s_cbranch_vccnz .LBB102_3076
; %bb.2783:
	s_and_not1_b32 vcc_lo, exec_lo, s7
	s_cbranch_vccnz .LBB102_2785
.LBB102_2784:
	s_wait_xcnt 0x0
	v_cndmask_b32_e64 v1, 0, 1, s1
	s_mov_b32 s8, -1
	global_store_b8 v[2:3], v1, off
.LBB102_2785:
	s_mov_b32 s2, 0
	s_branch .LBB102_2787
.LBB102_2786:
	s_mov_b32 s2, -1
	s_mov_b32 s8, 0
.LBB102_2787:
	s_and_b32 vcc_lo, exec_lo, s2
	s_cbranch_vccz .LBB102_2826
; %bb.2788:
	s_and_b32 s2, 0xffff, s19
	s_mov_b32 s6, -1
	s_cmp_lt_i32 s2, 5
	s_cbranch_scc1 .LBB102_2809
; %bb.2789:
	s_cmp_lt_i32 s2, 8
	s_cbranch_scc1 .LBB102_2799
; %bb.2790:
	s_cmp_lt_i32 s2, 9
	s_cbranch_scc1 .LBB102_2796
; %bb.2791:
	s_cmp_gt_i32 s2, 9
	s_cbranch_scc0 .LBB102_2793
; %bb.2792:
	s_wait_xcnt 0x0
	v_cndmask_b32_e64 v1, 0, 1, s1
	v_mov_b32_e32 v8, 0
	s_mov_b32 s6, 0
	s_delay_alu instid0(VALU_DEP_2) | instskip(NEXT) | instid1(VALU_DEP_2)
	v_cvt_f64_u32_e32 v[6:7], v1
	v_mov_b32_e32 v9, v8
	global_store_b128 v[2:3], v[6:9], off
.LBB102_2793:
	s_and_not1_b32 vcc_lo, exec_lo, s6
	s_cbranch_vccnz .LBB102_2795
; %bb.2794:
	s_wait_xcnt 0x0
	v_cndmask_b32_e64 v6, 0, 1.0, s1
	v_mov_b32_e32 v7, 0
	global_store_b64 v[2:3], v[6:7], off
.LBB102_2795:
	s_mov_b32 s6, 0
.LBB102_2796:
	s_delay_alu instid0(SALU_CYCLE_1)
	s_and_not1_b32 vcc_lo, exec_lo, s6
	s_cbranch_vccnz .LBB102_2798
; %bb.2797:
	s_wait_xcnt 0x0
	v_cndmask_b32_e64 v1, 0, 1.0, s1
	s_delay_alu instid0(VALU_DEP_1) | instskip(NEXT) | instid1(VALU_DEP_1)
	v_cvt_f16_f32_e32 v1, v1
	v_and_b32_e32 v1, 0xffff, v1
	global_store_b32 v[2:3], v1, off
.LBB102_2798:
	s_mov_b32 s6, 0
.LBB102_2799:
	s_delay_alu instid0(SALU_CYCLE_1)
	s_and_not1_b32 vcc_lo, exec_lo, s6
	s_cbranch_vccnz .LBB102_2808
; %bb.2800:
	s_cmp_lt_i32 s2, 6
	s_mov_b32 s6, -1
	s_cbranch_scc1 .LBB102_2806
; %bb.2801:
	s_cmp_gt_i32 s2, 6
	s_cbranch_scc0 .LBB102_2803
; %bb.2802:
	s_wait_xcnt 0x0
	v_cndmask_b32_e64 v1, 0, 1, s1
	s_mov_b32 s6, 0
	s_delay_alu instid0(VALU_DEP_1)
	v_cvt_f64_u32_e32 v[6:7], v1
	global_store_b64 v[2:3], v[6:7], off
.LBB102_2803:
	s_and_not1_b32 vcc_lo, exec_lo, s6
	s_cbranch_vccnz .LBB102_2805
; %bb.2804:
	s_wait_xcnt 0x0
	v_cndmask_b32_e64 v1, 0, 1.0, s1
	global_store_b32 v[2:3], v1, off
.LBB102_2805:
	s_mov_b32 s6, 0
.LBB102_2806:
	s_delay_alu instid0(SALU_CYCLE_1)
	s_and_not1_b32 vcc_lo, exec_lo, s6
	s_cbranch_vccnz .LBB102_2808
; %bb.2807:
	s_wait_xcnt 0x0
	v_cndmask_b32_e64 v1, 0, 1.0, s1
	s_delay_alu instid0(VALU_DEP_1)
	v_cvt_f16_f32_e32 v1, v1
	global_store_b16 v[2:3], v1, off
.LBB102_2808:
	s_mov_b32 s6, 0
.LBB102_2809:
	s_delay_alu instid0(SALU_CYCLE_1)
	s_and_not1_b32 vcc_lo, exec_lo, s6
	s_cbranch_vccnz .LBB102_2825
; %bb.2810:
	s_cmp_lt_i32 s2, 2
	s_mov_b32 s6, -1
	s_cbranch_scc1 .LBB102_2820
; %bb.2811:
	s_cmp_lt_i32 s2, 3
	s_cbranch_scc1 .LBB102_2817
; %bb.2812:
	s_cmp_gt_i32 s2, 3
	s_cbranch_scc0 .LBB102_2814
; %bb.2813:
	s_mov_b32 s6, 0
	s_wait_xcnt 0x0
	v_cndmask_b32_e64 v6, 0, 1, s1
	v_mov_b32_e32 v7, s6
	global_store_b64 v[2:3], v[6:7], off
.LBB102_2814:
	s_and_not1_b32 vcc_lo, exec_lo, s6
	s_cbranch_vccnz .LBB102_2816
; %bb.2815:
	s_wait_xcnt 0x0
	v_cndmask_b32_e64 v1, 0, 1, s1
	global_store_b32 v[2:3], v1, off
.LBB102_2816:
	s_mov_b32 s6, 0
.LBB102_2817:
	s_delay_alu instid0(SALU_CYCLE_1)
	s_and_not1_b32 vcc_lo, exec_lo, s6
	s_cbranch_vccnz .LBB102_2819
; %bb.2818:
	s_wait_xcnt 0x0
	v_cndmask_b32_e64 v1, 0, 1, s1
	global_store_b16 v[2:3], v1, off
.LBB102_2819:
	s_mov_b32 s6, 0
.LBB102_2820:
	s_delay_alu instid0(SALU_CYCLE_1)
	s_and_not1_b32 vcc_lo, exec_lo, s6
	s_cbranch_vccnz .LBB102_2825
; %bb.2821:
	s_wait_xcnt 0x0
	v_cndmask_b32_e64 v1, 0, 1, s1
	s_cmp_gt_i32 s2, 0
	s_mov_b32 s1, -1
	s_cbranch_scc0 .LBB102_2823
; %bb.2822:
	s_mov_b32 s1, 0
	global_store_b8 v[2:3], v1, off
.LBB102_2823:
	s_and_not1_b32 vcc_lo, exec_lo, s1
	s_cbranch_vccnz .LBB102_2825
; %bb.2824:
	global_store_b8 v[2:3], v1, off
.LBB102_2825:
	s_mov_b32 s8, -1
.LBB102_2826:
	s_delay_alu instid0(SALU_CYCLE_1)
	s_and_not1_b32 vcc_lo, exec_lo, s8
	s_cbranch_vccnz .LBB102_3022
; %bb.2827:
	v_cmp_eq_f32_e32 vcc_lo, v11, v12
	s_cmp_lt_i32 s19, 11
	s_wait_xcnt 0x0
	v_cndmask_b32_e64 v1, 0, 1, vcc_lo
	v_cmp_neq_f32_e32 vcc_lo, v11, v12
	v_cndmask_b32_e64 v2, 0, 1, vcc_lo
	s_delay_alu instid0(VALU_DEP_1) | instskip(NEXT) | instid1(VALU_DEP_1)
	v_dual_add_nc_u32 v0, s3, v0 :: v_dual_cndmask_b32 v2, v2, v1, s0
	v_dual_ashrrev_i32 v1, 31, v0 :: v_dual_bitop2_b32 v6, 1, v2 bitop3:0x40
	s_delay_alu instid0(VALU_DEP_1) | instskip(NEXT) | instid1(VALU_DEP_2)
	v_add_nc_u64_e32 v[2:3], s[4:5], v[0:1]
	v_cmp_eq_u32_e64 s1, 1, v6
	s_cbranch_scc1 .LBB102_2905
; %bb.2828:
	s_and_b32 s6, 0xffff, s19
	s_mov_b32 s9, -1
	s_mov_b32 s7, 0
	s_cmp_gt_i32 s6, 25
	s_mov_b32 s8, 0
	s_mov_b32 s2, 0
	s_cbranch_scc0 .LBB102_2861
; %bb.2829:
	s_cmp_gt_i32 s6, 28
	s_cbranch_scc0 .LBB102_2844
; %bb.2830:
	s_cmp_gt_i32 s6, 43
	s_cbranch_scc0 .LBB102_2840
; %bb.2831:
	s_cmp_gt_i32 s6, 45
	s_cbranch_scc0 .LBB102_2834
; %bb.2832:
	s_mov_b32 s2, -1
	s_mov_b32 s9, 0
	s_cmp_eq_u32 s6, 46
	s_cbranch_scc0 .LBB102_2834
; %bb.2833:
	v_cndmask_b32_e64 v1, 0, 1.0, s1
	s_mov_b32 s2, 0
	s_mov_b32 s8, -1
	s_delay_alu instid0(VALU_DEP_1) | instskip(NEXT) | instid1(VALU_DEP_1)
	v_bfe_u32 v6, v1, 16, 1
	v_add3_u32 v1, v1, v6, 0x7fff
	s_delay_alu instid0(VALU_DEP_1)
	v_lshrrev_b32_e32 v1, 16, v1
	global_store_b32 v[2:3], v1, off
.LBB102_2834:
	s_and_b32 vcc_lo, exec_lo, s9
	s_cbranch_vccz .LBB102_2839
; %bb.2835:
	s_cmp_eq_u32 s6, 44
	s_mov_b32 s2, -1
	s_cbranch_scc0 .LBB102_2839
; %bb.2836:
	v_cndmask_b32_e64 v7, 0, 1.0, s1
	s_mov_b32 s8, exec_lo
	s_wait_xcnt 0x0
	s_delay_alu instid0(VALU_DEP_1) | instskip(NEXT) | instid1(VALU_DEP_1)
	v_dual_mov_b32 v6, 0xff :: v_dual_lshrrev_b32 v1, 23, v7
	v_cmpx_ne_u32_e32 0xff, v1
; %bb.2837:
	v_and_b32_e32 v6, 0x400000, v7
	v_and_or_b32 v7, 0x3fffff, v7, v1
	s_delay_alu instid0(VALU_DEP_2) | instskip(NEXT) | instid1(VALU_DEP_2)
	v_cmp_ne_u32_e32 vcc_lo, 0, v6
	v_cmp_ne_u32_e64 s2, 0, v7
	s_and_b32 s2, vcc_lo, s2
	s_delay_alu instid0(SALU_CYCLE_1) | instskip(NEXT) | instid1(VALU_DEP_1)
	v_cndmask_b32_e64 v6, 0, 1, s2
	v_add_nc_u32_e32 v6, v1, v6
; %bb.2838:
	s_or_b32 exec_lo, exec_lo, s8
	s_mov_b32 s2, 0
	s_mov_b32 s8, -1
	global_store_b8 v[2:3], v6, off
.LBB102_2839:
	s_mov_b32 s9, 0
.LBB102_2840:
	s_delay_alu instid0(SALU_CYCLE_1)
	s_and_b32 vcc_lo, exec_lo, s9
	s_cbranch_vccz .LBB102_2843
; %bb.2841:
	s_cmp_eq_u32 s6, 29
	s_mov_b32 s2, -1
	s_cbranch_scc0 .LBB102_2843
; %bb.2842:
	s_mov_b32 s2, 0
	s_wait_xcnt 0x0
	v_cndmask_b32_e64 v6, 0, 1, s1
	v_mov_b32_e32 v7, s2
	s_mov_b32 s8, -1
	global_store_b64 v[2:3], v[6:7], off
.LBB102_2843:
	s_mov_b32 s9, 0
.LBB102_2844:
	s_delay_alu instid0(SALU_CYCLE_1)
	s_and_b32 vcc_lo, exec_lo, s9
	s_cbranch_vccz .LBB102_2860
; %bb.2845:
	s_cmp_lt_i32 s6, 27
	s_mov_b32 s8, -1
	s_cbranch_scc1 .LBB102_2851
; %bb.2846:
	s_cmp_gt_i32 s6, 27
	s_cbranch_scc0 .LBB102_2848
; %bb.2847:
	s_wait_xcnt 0x0
	v_cndmask_b32_e64 v1, 0, 1, s1
	s_mov_b32 s8, 0
	global_store_b32 v[2:3], v1, off
.LBB102_2848:
	s_and_not1_b32 vcc_lo, exec_lo, s8
	s_cbranch_vccnz .LBB102_2850
; %bb.2849:
	s_wait_xcnt 0x0
	v_cndmask_b32_e64 v1, 0, 1, s1
	global_store_b16 v[2:3], v1, off
.LBB102_2850:
	s_mov_b32 s8, 0
.LBB102_2851:
	s_delay_alu instid0(SALU_CYCLE_1)
	s_and_not1_b32 vcc_lo, exec_lo, s8
	s_cbranch_vccnz .LBB102_2859
; %bb.2852:
	s_wait_xcnt 0x0
	v_cndmask_b32_e64 v6, 0, 1.0, s1
	v_mov_b32_e32 v7, 0x80
	s_mov_b32 s8, exec_lo
	s_delay_alu instid0(VALU_DEP_2)
	v_cmpx_gt_u32_e32 0x43800000, v6
	s_cbranch_execz .LBB102_2858
; %bb.2853:
	s_mov_b32 s9, 0
	s_mov_b32 s10, exec_lo
                                        ; implicit-def: $vgpr1
	v_cmpx_lt_u32_e32 0x3bffffff, v6
	s_xor_b32 s10, exec_lo, s10
	s_cbranch_execz .LBB102_3079
; %bb.2854:
	v_bfe_u32 v1, v6, 20, 1
	s_mov_b32 s9, exec_lo
	s_delay_alu instid0(VALU_DEP_1) | instskip(NEXT) | instid1(VALU_DEP_1)
	v_add3_u32 v1, v6, v1, 0x487ffff
                                        ; implicit-def: $vgpr6
	v_lshrrev_b32_e32 v1, 20, v1
	s_and_not1_saveexec_b32 s10, s10
	s_cbranch_execnz .LBB102_3080
.LBB102_2855:
	s_or_b32 exec_lo, exec_lo, s10
	v_mov_b32_e32 v7, 0
	s_and_saveexec_b32 s10, s9
.LBB102_2856:
	v_mov_b32_e32 v7, v1
.LBB102_2857:
	s_or_b32 exec_lo, exec_lo, s10
.LBB102_2858:
	s_delay_alu instid0(SALU_CYCLE_1)
	s_or_b32 exec_lo, exec_lo, s8
	global_store_b8 v[2:3], v7, off
.LBB102_2859:
	s_mov_b32 s8, -1
.LBB102_2860:
	s_mov_b32 s9, 0
.LBB102_2861:
	s_delay_alu instid0(SALU_CYCLE_1)
	s_and_b32 vcc_lo, exec_lo, s9
	s_cbranch_vccz .LBB102_2901
; %bb.2862:
	s_cmp_gt_i32 s6, 22
	s_mov_b32 s7, -1
	s_cbranch_scc0 .LBB102_2894
; %bb.2863:
	s_cmp_lt_i32 s6, 24
	s_cbranch_scc1 .LBB102_2883
; %bb.2864:
	s_cmp_gt_i32 s6, 24
	s_cbranch_scc0 .LBB102_2872
; %bb.2865:
	s_wait_xcnt 0x0
	v_cndmask_b32_e64 v6, 0, 1.0, s1
	v_mov_b32_e32 v7, 0x80
	s_mov_b32 s7, exec_lo
	s_delay_alu instid0(VALU_DEP_2)
	v_cmpx_gt_u32_e32 0x47800000, v6
	s_cbranch_execz .LBB102_2871
; %bb.2866:
	s_mov_b32 s8, 0
	s_mov_b32 s9, exec_lo
                                        ; implicit-def: $vgpr1
	v_cmpx_lt_u32_e32 0x37ffffff, v6
	s_xor_b32 s9, exec_lo, s9
	s_cbranch_execz .LBB102_3082
; %bb.2867:
	v_bfe_u32 v1, v6, 21, 1
	s_mov_b32 s8, exec_lo
	s_delay_alu instid0(VALU_DEP_1) | instskip(NEXT) | instid1(VALU_DEP_1)
	v_add3_u32 v1, v6, v1, 0x88fffff
                                        ; implicit-def: $vgpr6
	v_lshrrev_b32_e32 v1, 21, v1
	s_and_not1_saveexec_b32 s9, s9
	s_cbranch_execnz .LBB102_3083
.LBB102_2868:
	s_or_b32 exec_lo, exec_lo, s9
	v_mov_b32_e32 v7, 0
	s_and_saveexec_b32 s9, s8
.LBB102_2869:
	v_mov_b32_e32 v7, v1
.LBB102_2870:
	s_or_b32 exec_lo, exec_lo, s9
.LBB102_2871:
	s_delay_alu instid0(SALU_CYCLE_1)
	s_or_b32 exec_lo, exec_lo, s7
	s_mov_b32 s7, 0
	global_store_b8 v[2:3], v7, off
.LBB102_2872:
	s_and_b32 vcc_lo, exec_lo, s7
	s_cbranch_vccz .LBB102_2882
; %bb.2873:
	s_wait_xcnt 0x0
	v_cndmask_b32_e64 v6, 0, 1.0, s1
	s_mov_b32 s7, exec_lo
                                        ; implicit-def: $vgpr1
	s_delay_alu instid0(VALU_DEP_1)
	v_cmpx_gt_u32_e32 0x43f00000, v6
	s_xor_b32 s7, exec_lo, s7
	s_cbranch_execz .LBB102_2879
; %bb.2874:
	s_mov_b32 s8, exec_lo
                                        ; implicit-def: $vgpr1
	v_cmpx_lt_u32_e32 0x3c7fffff, v6
	s_xor_b32 s8, exec_lo, s8
; %bb.2875:
	v_bfe_u32 v1, v6, 20, 1
	s_delay_alu instid0(VALU_DEP_1) | instskip(NEXT) | instid1(VALU_DEP_1)
	v_add3_u32 v1, v6, v1, 0x407ffff
	v_and_b32_e32 v6, 0xff00000, v1
	v_lshrrev_b32_e32 v1, 20, v1
	s_delay_alu instid0(VALU_DEP_2) | instskip(NEXT) | instid1(VALU_DEP_2)
	v_cmp_ne_u32_e32 vcc_lo, 0x7f00000, v6
                                        ; implicit-def: $vgpr6
	v_cndmask_b32_e32 v1, 0x7e, v1, vcc_lo
; %bb.2876:
	s_and_not1_saveexec_b32 s8, s8
; %bb.2877:
	v_add_f32_e32 v1, 0x46800000, v6
; %bb.2878:
	s_or_b32 exec_lo, exec_lo, s8
                                        ; implicit-def: $vgpr6
.LBB102_2879:
	s_and_not1_saveexec_b32 s7, s7
; %bb.2880:
	v_mov_b32_e32 v1, 0x7f
	v_cmp_lt_u32_e32 vcc_lo, 0x7f800000, v6
	s_delay_alu instid0(VALU_DEP_2)
	v_cndmask_b32_e32 v1, 0x7e, v1, vcc_lo
; %bb.2881:
	s_or_b32 exec_lo, exec_lo, s7
	global_store_b8 v[2:3], v1, off
.LBB102_2882:
	s_mov_b32 s7, 0
.LBB102_2883:
	s_delay_alu instid0(SALU_CYCLE_1)
	s_and_not1_b32 vcc_lo, exec_lo, s7
	s_cbranch_vccnz .LBB102_2893
; %bb.2884:
	s_wait_xcnt 0x0
	v_cndmask_b32_e64 v6, 0, 1.0, s1
	s_mov_b32 s7, exec_lo
                                        ; implicit-def: $vgpr1
	s_delay_alu instid0(VALU_DEP_1)
	v_cmpx_gt_u32_e32 0x47800000, v6
	s_xor_b32 s7, exec_lo, s7
	s_cbranch_execz .LBB102_2890
; %bb.2885:
	s_mov_b32 s8, exec_lo
                                        ; implicit-def: $vgpr1
	v_cmpx_lt_u32_e32 0x387fffff, v6
	s_xor_b32 s8, exec_lo, s8
; %bb.2886:
	v_bfe_u32 v1, v6, 21, 1
	s_delay_alu instid0(VALU_DEP_1) | instskip(NEXT) | instid1(VALU_DEP_1)
	v_add3_u32 v1, v6, v1, 0x80fffff
                                        ; implicit-def: $vgpr6
	v_lshrrev_b32_e32 v1, 21, v1
; %bb.2887:
	s_and_not1_saveexec_b32 s8, s8
; %bb.2888:
	v_add_f32_e32 v1, 0x43000000, v6
; %bb.2889:
	s_or_b32 exec_lo, exec_lo, s8
                                        ; implicit-def: $vgpr6
.LBB102_2890:
	s_and_not1_saveexec_b32 s7, s7
; %bb.2891:
	v_mov_b32_e32 v1, 0x7f
	v_cmp_lt_u32_e32 vcc_lo, 0x7f800000, v6
	s_delay_alu instid0(VALU_DEP_2)
	v_cndmask_b32_e32 v1, 0x7c, v1, vcc_lo
; %bb.2892:
	s_or_b32 exec_lo, exec_lo, s7
	global_store_b8 v[2:3], v1, off
.LBB102_2893:
	s_mov_b32 s7, 0
	s_mov_b32 s8, -1
.LBB102_2894:
	s_and_not1_b32 vcc_lo, exec_lo, s7
	s_mov_b32 s7, 0
	s_cbranch_vccnz .LBB102_2901
; %bb.2895:
	s_cmp_gt_i32 s6, 14
	s_mov_b32 s7, -1
	s_cbranch_scc0 .LBB102_2899
; %bb.2896:
	s_cmp_eq_u32 s6, 15
	s_mov_b32 s2, -1
	s_cbranch_scc0 .LBB102_2898
; %bb.2897:
	s_wait_xcnt 0x0
	v_cndmask_b32_e64 v1, 0, 1.0, s1
	s_mov_b32 s2, 0
	s_mov_b32 s8, -1
	s_delay_alu instid0(VALU_DEP_1) | instskip(NEXT) | instid1(VALU_DEP_1)
	v_bfe_u32 v6, v1, 16, 1
	v_add3_u32 v1, v1, v6, 0x7fff
	global_store_d16_hi_b16 v[2:3], v1, off
.LBB102_2898:
	s_mov_b32 s7, 0
.LBB102_2899:
	s_delay_alu instid0(SALU_CYCLE_1)
	s_and_b32 vcc_lo, exec_lo, s7
	s_mov_b32 s7, 0
	s_cbranch_vccz .LBB102_2901
; %bb.2900:
	s_cmp_lg_u32 s6, 11
	s_mov_b32 s7, -1
	s_cselect_b32 s2, -1, 0
.LBB102_2901:
	s_delay_alu instid0(SALU_CYCLE_1)
	s_and_b32 vcc_lo, exec_lo, s2
	s_cbranch_vccnz .LBB102_3081
; %bb.2902:
	s_and_not1_b32 vcc_lo, exec_lo, s7
	s_cbranch_vccnz .LBB102_2904
.LBB102_2903:
	s_wait_xcnt 0x0
	v_cndmask_b32_e64 v1, 0, 1, s1
	s_mov_b32 s8, -1
	global_store_b8 v[2:3], v1, off
.LBB102_2904:
	s_mov_b32 s2, 0
	s_branch .LBB102_2906
.LBB102_2905:
	s_mov_b32 s2, -1
	s_mov_b32 s8, 0
.LBB102_2906:
	s_and_b32 vcc_lo, exec_lo, s2
	s_cbranch_vccz .LBB102_2945
; %bb.2907:
	s_and_b32 s2, 0xffff, s19
	s_mov_b32 s6, -1
	s_cmp_lt_i32 s2, 5
	s_cbranch_scc1 .LBB102_2928
; %bb.2908:
	s_cmp_lt_i32 s2, 8
	s_cbranch_scc1 .LBB102_2918
; %bb.2909:
	s_cmp_lt_i32 s2, 9
	s_cbranch_scc1 .LBB102_2915
; %bb.2910:
	s_cmp_gt_i32 s2, 9
	s_cbranch_scc0 .LBB102_2912
; %bb.2911:
	s_wait_xcnt 0x0
	v_cndmask_b32_e64 v1, 0, 1, s1
	v_mov_b32_e32 v8, 0
	s_mov_b32 s6, 0
	s_delay_alu instid0(VALU_DEP_2) | instskip(NEXT) | instid1(VALU_DEP_2)
	v_cvt_f64_u32_e32 v[6:7], v1
	v_mov_b32_e32 v9, v8
	global_store_b128 v[2:3], v[6:9], off
.LBB102_2912:
	s_and_not1_b32 vcc_lo, exec_lo, s6
	s_cbranch_vccnz .LBB102_2914
; %bb.2913:
	s_wait_xcnt 0x0
	v_cndmask_b32_e64 v6, 0, 1.0, s1
	v_mov_b32_e32 v7, 0
	global_store_b64 v[2:3], v[6:7], off
.LBB102_2914:
	s_mov_b32 s6, 0
.LBB102_2915:
	s_delay_alu instid0(SALU_CYCLE_1)
	s_and_not1_b32 vcc_lo, exec_lo, s6
	s_cbranch_vccnz .LBB102_2917
; %bb.2916:
	s_wait_xcnt 0x0
	v_cndmask_b32_e64 v1, 0, 1.0, s1
	s_delay_alu instid0(VALU_DEP_1) | instskip(NEXT) | instid1(VALU_DEP_1)
	v_cvt_f16_f32_e32 v1, v1
	v_and_b32_e32 v1, 0xffff, v1
	global_store_b32 v[2:3], v1, off
.LBB102_2917:
	s_mov_b32 s6, 0
.LBB102_2918:
	s_delay_alu instid0(SALU_CYCLE_1)
	s_and_not1_b32 vcc_lo, exec_lo, s6
	s_cbranch_vccnz .LBB102_2927
; %bb.2919:
	s_cmp_lt_i32 s2, 6
	s_mov_b32 s6, -1
	s_cbranch_scc1 .LBB102_2925
; %bb.2920:
	s_cmp_gt_i32 s2, 6
	s_cbranch_scc0 .LBB102_2922
; %bb.2921:
	s_wait_xcnt 0x0
	v_cndmask_b32_e64 v1, 0, 1, s1
	s_mov_b32 s6, 0
	s_delay_alu instid0(VALU_DEP_1)
	v_cvt_f64_u32_e32 v[6:7], v1
	global_store_b64 v[2:3], v[6:7], off
.LBB102_2922:
	s_and_not1_b32 vcc_lo, exec_lo, s6
	s_cbranch_vccnz .LBB102_2924
; %bb.2923:
	s_wait_xcnt 0x0
	v_cndmask_b32_e64 v1, 0, 1.0, s1
	global_store_b32 v[2:3], v1, off
.LBB102_2924:
	s_mov_b32 s6, 0
.LBB102_2925:
	s_delay_alu instid0(SALU_CYCLE_1)
	s_and_not1_b32 vcc_lo, exec_lo, s6
	s_cbranch_vccnz .LBB102_2927
; %bb.2926:
	s_wait_xcnt 0x0
	v_cndmask_b32_e64 v1, 0, 1.0, s1
	s_delay_alu instid0(VALU_DEP_1)
	v_cvt_f16_f32_e32 v1, v1
	global_store_b16 v[2:3], v1, off
.LBB102_2927:
	s_mov_b32 s6, 0
.LBB102_2928:
	s_delay_alu instid0(SALU_CYCLE_1)
	s_and_not1_b32 vcc_lo, exec_lo, s6
	s_cbranch_vccnz .LBB102_2944
; %bb.2929:
	s_cmp_lt_i32 s2, 2
	s_mov_b32 s6, -1
	s_cbranch_scc1 .LBB102_2939
; %bb.2930:
	s_cmp_lt_i32 s2, 3
	s_cbranch_scc1 .LBB102_2936
; %bb.2931:
	s_cmp_gt_i32 s2, 3
	s_cbranch_scc0 .LBB102_2933
; %bb.2932:
	s_mov_b32 s6, 0
	s_wait_xcnt 0x0
	v_cndmask_b32_e64 v6, 0, 1, s1
	v_mov_b32_e32 v7, s6
	global_store_b64 v[2:3], v[6:7], off
.LBB102_2933:
	s_and_not1_b32 vcc_lo, exec_lo, s6
	s_cbranch_vccnz .LBB102_2935
; %bb.2934:
	s_wait_xcnt 0x0
	v_cndmask_b32_e64 v1, 0, 1, s1
	global_store_b32 v[2:3], v1, off
.LBB102_2935:
	s_mov_b32 s6, 0
.LBB102_2936:
	s_delay_alu instid0(SALU_CYCLE_1)
	s_and_not1_b32 vcc_lo, exec_lo, s6
	s_cbranch_vccnz .LBB102_2938
; %bb.2937:
	s_wait_xcnt 0x0
	v_cndmask_b32_e64 v1, 0, 1, s1
	global_store_b16 v[2:3], v1, off
.LBB102_2938:
	s_mov_b32 s6, 0
.LBB102_2939:
	s_delay_alu instid0(SALU_CYCLE_1)
	s_and_not1_b32 vcc_lo, exec_lo, s6
	s_cbranch_vccnz .LBB102_2944
; %bb.2940:
	s_wait_xcnt 0x0
	v_cndmask_b32_e64 v1, 0, 1, s1
	s_cmp_gt_i32 s2, 0
	s_mov_b32 s1, -1
	s_cbranch_scc0 .LBB102_2942
; %bb.2941:
	s_mov_b32 s1, 0
	global_store_b8 v[2:3], v1, off
.LBB102_2942:
	s_and_not1_b32 vcc_lo, exec_lo, s1
	s_cbranch_vccnz .LBB102_2944
; %bb.2943:
	global_store_b8 v[2:3], v1, off
.LBB102_2944:
	s_mov_b32 s8, -1
.LBB102_2945:
	s_delay_alu instid0(SALU_CYCLE_1)
	s_and_not1_b32 vcc_lo, exec_lo, s8
	s_cbranch_vccnz .LBB102_3022
; %bb.2946:
	v_cmp_eq_f32_e32 vcc_lo, v4, v5
	s_cmp_lt_i32 s19, 11
	s_wait_xcnt 0x0
	v_cndmask_b32_e64 v1, 0, 1, vcc_lo
	v_cmp_neq_f32_e32 vcc_lo, v4, v5
	v_cndmask_b32_e64 v2, 0, 1, vcc_lo
	s_delay_alu instid0(VALU_DEP_1) | instskip(NEXT) | instid1(VALU_DEP_1)
	v_dual_add_nc_u32 v0, s3, v0 :: v_dual_cndmask_b32 v2, v2, v1, s0
	v_dual_ashrrev_i32 v1, 31, v0 :: v_dual_bitop2_b32 v2, 1, v2 bitop3:0x40
	s_delay_alu instid0(VALU_DEP_1) | instskip(NEXT) | instid1(VALU_DEP_2)
	v_add_nc_u64_e32 v[0:1], s[4:5], v[0:1]
	v_cmp_eq_u32_e64 s1, 1, v2
	s_cbranch_scc1 .LBB102_3067
; %bb.2947:
	s_and_b32 s2, 0xffff, s19
	s_mov_b32 s4, -1
	s_mov_b32 s3, 0
	s_cmp_gt_i32 s2, 25
	s_mov_b32 s0, 0
	s_cbranch_scc0 .LBB102_2980
; %bb.2948:
	s_cmp_gt_i32 s2, 28
	s_cbranch_scc0 .LBB102_2964
; %bb.2949:
	s_cmp_gt_i32 s2, 43
	;; [unrolled: 3-line block ×3, first 2 shown]
	s_cbranch_scc0 .LBB102_2954
; %bb.2951:
	s_cmp_eq_u32 s2, 46
	s_mov_b32 s0, -1
	s_cbranch_scc0 .LBB102_2953
; %bb.2952:
	v_cndmask_b32_e64 v2, 0, 1.0, s1
	s_mov_b32 s0, 0
	s_delay_alu instid0(VALU_DEP_1) | instskip(NEXT) | instid1(VALU_DEP_1)
	v_bfe_u32 v3, v2, 16, 1
	v_add3_u32 v2, v2, v3, 0x7fff
	s_delay_alu instid0(VALU_DEP_1)
	v_lshrrev_b32_e32 v2, 16, v2
	global_store_b32 v[0:1], v2, off
.LBB102_2953:
	s_mov_b32 s4, 0
.LBB102_2954:
	s_delay_alu instid0(SALU_CYCLE_1)
	s_and_b32 vcc_lo, exec_lo, s4
	s_cbranch_vccz .LBB102_2959
; %bb.2955:
	s_cmp_eq_u32 s2, 44
	s_mov_b32 s0, -1
	s_cbranch_scc0 .LBB102_2959
; %bb.2956:
	v_cndmask_b32_e64 v4, 0, 1.0, s1
	s_mov_b32 s4, exec_lo
	s_wait_xcnt 0x0
	s_delay_alu instid0(VALU_DEP_1) | instskip(NEXT) | instid1(VALU_DEP_1)
	v_dual_mov_b32 v3, 0xff :: v_dual_lshrrev_b32 v2, 23, v4
	v_cmpx_ne_u32_e32 0xff, v2
; %bb.2957:
	v_and_b32_e32 v3, 0x400000, v4
	v_and_or_b32 v4, 0x3fffff, v4, v2
	s_delay_alu instid0(VALU_DEP_2) | instskip(NEXT) | instid1(VALU_DEP_2)
	v_cmp_ne_u32_e32 vcc_lo, 0, v3
	v_cmp_ne_u32_e64 s0, 0, v4
	s_and_b32 s0, vcc_lo, s0
	s_delay_alu instid0(SALU_CYCLE_1) | instskip(NEXT) | instid1(VALU_DEP_1)
	v_cndmask_b32_e64 v3, 0, 1, s0
	v_add_nc_u32_e32 v3, v2, v3
; %bb.2958:
	s_or_b32 exec_lo, exec_lo, s4
	s_mov_b32 s0, 0
	global_store_b8 v[0:1], v3, off
.LBB102_2959:
	s_mov_b32 s4, 0
.LBB102_2960:
	s_delay_alu instid0(SALU_CYCLE_1)
	s_and_b32 vcc_lo, exec_lo, s4
	s_cbranch_vccz .LBB102_2963
; %bb.2961:
	s_cmp_eq_u32 s2, 29
	s_mov_b32 s0, -1
	s_cbranch_scc0 .LBB102_2963
; %bb.2962:
	s_mov_b32 s0, 0
	s_wait_xcnt 0x0
	v_cndmask_b32_e64 v2, 0, 1, s1
	v_mov_b32_e32 v3, s0
	global_store_b64 v[0:1], v[2:3], off
.LBB102_2963:
	s_mov_b32 s4, 0
.LBB102_2964:
	s_delay_alu instid0(SALU_CYCLE_1)
	s_and_b32 vcc_lo, exec_lo, s4
	s_cbranch_vccz .LBB102_2979
; %bb.2965:
	s_cmp_lt_i32 s2, 27
	s_mov_b32 s4, -1
	s_cbranch_scc1 .LBB102_2971
; %bb.2966:
	s_wait_xcnt 0x0
	v_cndmask_b32_e64 v2, 0, 1, s1
	s_cmp_gt_i32 s2, 27
	s_cbranch_scc0 .LBB102_2968
; %bb.2967:
	s_mov_b32 s4, 0
	global_store_b32 v[0:1], v2, off
.LBB102_2968:
	s_and_not1_b32 vcc_lo, exec_lo, s4
	s_cbranch_vccnz .LBB102_2970
; %bb.2969:
	global_store_b16 v[0:1], v2, off
.LBB102_2970:
	s_mov_b32 s4, 0
.LBB102_2971:
	s_delay_alu instid0(SALU_CYCLE_1)
	s_and_not1_b32 vcc_lo, exec_lo, s4
	s_cbranch_vccnz .LBB102_2979
; %bb.2972:
	s_wait_xcnt 0x0
	v_cndmask_b32_e64 v3, 0, 1.0, s1
	v_mov_b32_e32 v4, 0x80
	s_mov_b32 s4, exec_lo
	s_delay_alu instid0(VALU_DEP_2)
	v_cmpx_gt_u32_e32 0x43800000, v3
	s_cbranch_execz .LBB102_2978
; %bb.2973:
	s_mov_b32 s5, 0
	s_mov_b32 s6, exec_lo
                                        ; implicit-def: $vgpr2
	v_cmpx_lt_u32_e32 0x3bffffff, v3
	s_xor_b32 s6, exec_lo, s6
	s_cbranch_execz .LBB102_3084
; %bb.2974:
	v_bfe_u32 v2, v3, 20, 1
	s_mov_b32 s5, exec_lo
	s_delay_alu instid0(VALU_DEP_1) | instskip(NEXT) | instid1(VALU_DEP_1)
	v_add3_u32 v2, v3, v2, 0x487ffff
                                        ; implicit-def: $vgpr3
	v_lshrrev_b32_e32 v2, 20, v2
	s_and_not1_saveexec_b32 s6, s6
	s_cbranch_execnz .LBB102_3085
.LBB102_2975:
	s_or_b32 exec_lo, exec_lo, s6
	v_mov_b32_e32 v4, 0
	s_and_saveexec_b32 s6, s5
.LBB102_2976:
	v_mov_b32_e32 v4, v2
.LBB102_2977:
	s_or_b32 exec_lo, exec_lo, s6
.LBB102_2978:
	s_delay_alu instid0(SALU_CYCLE_1)
	s_or_b32 exec_lo, exec_lo, s4
	global_store_b8 v[0:1], v4, off
.LBB102_2979:
	s_mov_b32 s4, 0
.LBB102_2980:
	s_delay_alu instid0(SALU_CYCLE_1)
	s_and_b32 vcc_lo, exec_lo, s4
	s_cbranch_vccz .LBB102_3020
; %bb.2981:
	s_cmp_gt_i32 s2, 22
	s_mov_b32 s3, -1
	s_cbranch_scc0 .LBB102_3013
; %bb.2982:
	s_cmp_lt_i32 s2, 24
	s_cbranch_scc1 .LBB102_3002
; %bb.2983:
	s_cmp_gt_i32 s2, 24
	s_cbranch_scc0 .LBB102_2991
; %bb.2984:
	s_wait_xcnt 0x0
	v_cndmask_b32_e64 v3, 0, 1.0, s1
	v_mov_b32_e32 v4, 0x80
	s_mov_b32 s3, exec_lo
	s_delay_alu instid0(VALU_DEP_2)
	v_cmpx_gt_u32_e32 0x47800000, v3
	s_cbranch_execz .LBB102_2990
; %bb.2985:
	s_mov_b32 s4, 0
	s_mov_b32 s5, exec_lo
                                        ; implicit-def: $vgpr2
	v_cmpx_lt_u32_e32 0x37ffffff, v3
	s_xor_b32 s5, exec_lo, s5
	s_cbranch_execz .LBB102_3087
; %bb.2986:
	v_bfe_u32 v2, v3, 21, 1
	s_mov_b32 s4, exec_lo
	s_delay_alu instid0(VALU_DEP_1) | instskip(NEXT) | instid1(VALU_DEP_1)
	v_add3_u32 v2, v3, v2, 0x88fffff
                                        ; implicit-def: $vgpr3
	v_lshrrev_b32_e32 v2, 21, v2
	s_and_not1_saveexec_b32 s5, s5
	s_cbranch_execnz .LBB102_3088
.LBB102_2987:
	s_or_b32 exec_lo, exec_lo, s5
	v_mov_b32_e32 v4, 0
	s_and_saveexec_b32 s5, s4
.LBB102_2988:
	v_mov_b32_e32 v4, v2
.LBB102_2989:
	s_or_b32 exec_lo, exec_lo, s5
.LBB102_2990:
	s_delay_alu instid0(SALU_CYCLE_1)
	s_or_b32 exec_lo, exec_lo, s3
	s_mov_b32 s3, 0
	global_store_b8 v[0:1], v4, off
.LBB102_2991:
	s_and_b32 vcc_lo, exec_lo, s3
	s_cbranch_vccz .LBB102_3001
; %bb.2992:
	s_wait_xcnt 0x0
	v_cndmask_b32_e64 v3, 0, 1.0, s1
	s_mov_b32 s3, exec_lo
                                        ; implicit-def: $vgpr2
	s_delay_alu instid0(VALU_DEP_1)
	v_cmpx_gt_u32_e32 0x43f00000, v3
	s_xor_b32 s3, exec_lo, s3
	s_cbranch_execz .LBB102_2998
; %bb.2993:
	s_mov_b32 s4, exec_lo
                                        ; implicit-def: $vgpr2
	v_cmpx_lt_u32_e32 0x3c7fffff, v3
	s_xor_b32 s4, exec_lo, s4
; %bb.2994:
	v_bfe_u32 v2, v3, 20, 1
	s_delay_alu instid0(VALU_DEP_1) | instskip(NEXT) | instid1(VALU_DEP_1)
	v_add3_u32 v2, v3, v2, 0x407ffff
	v_and_b32_e32 v3, 0xff00000, v2
	v_lshrrev_b32_e32 v2, 20, v2
	s_delay_alu instid0(VALU_DEP_2) | instskip(NEXT) | instid1(VALU_DEP_2)
	v_cmp_ne_u32_e32 vcc_lo, 0x7f00000, v3
                                        ; implicit-def: $vgpr3
	v_cndmask_b32_e32 v2, 0x7e, v2, vcc_lo
; %bb.2995:
	s_and_not1_saveexec_b32 s4, s4
; %bb.2996:
	v_add_f32_e32 v2, 0x46800000, v3
; %bb.2997:
	s_or_b32 exec_lo, exec_lo, s4
                                        ; implicit-def: $vgpr3
.LBB102_2998:
	s_and_not1_saveexec_b32 s3, s3
; %bb.2999:
	v_mov_b32_e32 v2, 0x7f
	v_cmp_lt_u32_e32 vcc_lo, 0x7f800000, v3
	s_delay_alu instid0(VALU_DEP_2)
	v_cndmask_b32_e32 v2, 0x7e, v2, vcc_lo
; %bb.3000:
	s_or_b32 exec_lo, exec_lo, s3
	global_store_b8 v[0:1], v2, off
.LBB102_3001:
	s_mov_b32 s3, 0
.LBB102_3002:
	s_delay_alu instid0(SALU_CYCLE_1)
	s_and_not1_b32 vcc_lo, exec_lo, s3
	s_cbranch_vccnz .LBB102_3012
; %bb.3003:
	s_wait_xcnt 0x0
	v_cndmask_b32_e64 v3, 0, 1.0, s1
	s_mov_b32 s3, exec_lo
                                        ; implicit-def: $vgpr2
	s_delay_alu instid0(VALU_DEP_1)
	v_cmpx_gt_u32_e32 0x47800000, v3
	s_xor_b32 s3, exec_lo, s3
	s_cbranch_execz .LBB102_3009
; %bb.3004:
	s_mov_b32 s4, exec_lo
                                        ; implicit-def: $vgpr2
	v_cmpx_lt_u32_e32 0x387fffff, v3
	s_xor_b32 s4, exec_lo, s4
; %bb.3005:
	v_bfe_u32 v2, v3, 21, 1
	s_delay_alu instid0(VALU_DEP_1) | instskip(NEXT) | instid1(VALU_DEP_1)
	v_add3_u32 v2, v3, v2, 0x80fffff
                                        ; implicit-def: $vgpr3
	v_lshrrev_b32_e32 v2, 21, v2
; %bb.3006:
	s_and_not1_saveexec_b32 s4, s4
; %bb.3007:
	v_add_f32_e32 v2, 0x43000000, v3
; %bb.3008:
	s_or_b32 exec_lo, exec_lo, s4
                                        ; implicit-def: $vgpr3
.LBB102_3009:
	s_and_not1_saveexec_b32 s3, s3
; %bb.3010:
	v_mov_b32_e32 v2, 0x7f
	v_cmp_lt_u32_e32 vcc_lo, 0x7f800000, v3
	s_delay_alu instid0(VALU_DEP_2)
	v_cndmask_b32_e32 v2, 0x7c, v2, vcc_lo
; %bb.3011:
	s_or_b32 exec_lo, exec_lo, s3
	global_store_b8 v[0:1], v2, off
.LBB102_3012:
	s_mov_b32 s3, 0
.LBB102_3013:
	s_delay_alu instid0(SALU_CYCLE_1)
	s_and_not1_b32 vcc_lo, exec_lo, s3
	s_mov_b32 s3, 0
	s_cbranch_vccnz .LBB102_3020
; %bb.3014:
	s_cmp_gt_i32 s2, 14
	s_mov_b32 s3, -1
	s_cbranch_scc0 .LBB102_3018
; %bb.3015:
	s_cmp_eq_u32 s2, 15
	s_mov_b32 s0, -1
	s_cbranch_scc0 .LBB102_3017
; %bb.3016:
	s_wait_xcnt 0x0
	v_cndmask_b32_e64 v2, 0, 1.0, s1
	s_mov_b32 s0, 0
	s_delay_alu instid0(VALU_DEP_1) | instskip(NEXT) | instid1(VALU_DEP_1)
	v_bfe_u32 v3, v2, 16, 1
	v_add3_u32 v2, v2, v3, 0x7fff
	global_store_d16_hi_b16 v[0:1], v2, off
.LBB102_3017:
	s_mov_b32 s3, 0
.LBB102_3018:
	s_delay_alu instid0(SALU_CYCLE_1)
	s_and_b32 vcc_lo, exec_lo, s3
	s_mov_b32 s3, 0
	s_cbranch_vccz .LBB102_3020
; %bb.3019:
	s_cmp_lg_u32 s2, 11
	s_mov_b32 s3, -1
	s_cselect_b32 s0, -1, 0
.LBB102_3020:
	s_delay_alu instid0(SALU_CYCLE_1)
	s_and_b32 vcc_lo, exec_lo, s0
	s_cbranch_vccnz .LBB102_3086
.LBB102_3021:
	s_mov_b32 s0, 0
	s_branch .LBB102_3023
.LBB102_3022:
	s_mov_b32 s0, 0
	s_mov_b32 s3, 0
                                        ; implicit-def: $sgpr1
                                        ; implicit-def: $sgpr19
                                        ; implicit-def: $vgpr0_vgpr1
.LBB102_3023:
	s_and_not1_b32 s2, s18, exec_lo
	s_and_b32 s4, s15, exec_lo
	s_and_b32 s0, s0, exec_lo
	;; [unrolled: 1-line block ×3, first 2 shown]
	s_or_b32 s18, s2, s4
.LBB102_3024:
	s_wait_xcnt 0x0
	s_or_b32 exec_lo, exec_lo, s17
	s_and_saveexec_b32 s2, s18
	s_cbranch_execz .LBB102_3027
; %bb.3025:
	; divergent unreachable
	s_or_b32 exec_lo, exec_lo, s2
	s_and_saveexec_b32 s2, s15
	s_delay_alu instid0(SALU_CYCLE_1)
	s_xor_b32 s2, exec_lo, s2
	s_cbranch_execnz .LBB102_3028
.LBB102_3026:
	s_or_b32 exec_lo, exec_lo, s2
	s_and_saveexec_b32 s2, s0
	s_cbranch_execnz .LBB102_3029
	s_branch .LBB102_3066
.LBB102_3027:
	s_or_b32 exec_lo, exec_lo, s2
	s_and_saveexec_b32 s2, s15
	s_delay_alu instid0(SALU_CYCLE_1)
	s_xor_b32 s2, exec_lo, s2
	s_cbranch_execz .LBB102_3026
.LBB102_3028:
	s_wait_loadcnt 0x0
	v_cndmask_b32_e64 v2, 0, 1, s1
	global_store_b8 v[0:1], v2, off
	s_wait_xcnt 0x0
	s_or_b32 exec_lo, exec_lo, s2
	s_and_saveexec_b32 s2, s0
	s_cbranch_execz .LBB102_3066
.LBB102_3029:
	s_sext_i32_i16 s2, s19
	s_mov_b32 s0, -1
	s_cmp_lt_i32 s2, 5
	s_cbranch_scc1 .LBB102_3050
; %bb.3030:
	s_cmp_lt_i32 s2, 8
	s_cbranch_scc1 .LBB102_3040
; %bb.3031:
	s_cmp_lt_i32 s2, 9
	s_cbranch_scc1 .LBB102_3037
; %bb.3032:
	s_cmp_gt_i32 s2, 9
	s_cbranch_scc0 .LBB102_3034
; %bb.3033:
	s_wait_loadcnt 0x0
	v_cndmask_b32_e64 v2, 0, 1, s1
	v_mov_b32_e32 v4, 0
	s_mov_b32 s0, 0
	s_delay_alu instid0(VALU_DEP_2) | instskip(NEXT) | instid1(VALU_DEP_2)
	v_cvt_f64_u32_e32 v[2:3], v2
	v_mov_b32_e32 v5, v4
	global_store_b128 v[0:1], v[2:5], off
.LBB102_3034:
	s_and_not1_b32 vcc_lo, exec_lo, s0
	s_cbranch_vccnz .LBB102_3036
; %bb.3035:
	s_wait_loadcnt 0x0
	v_cndmask_b32_e64 v2, 0, 1.0, s1
	v_mov_b32_e32 v3, 0
	global_store_b64 v[0:1], v[2:3], off
.LBB102_3036:
	s_mov_b32 s0, 0
.LBB102_3037:
	s_delay_alu instid0(SALU_CYCLE_1)
	s_and_not1_b32 vcc_lo, exec_lo, s0
	s_cbranch_vccnz .LBB102_3039
; %bb.3038:
	s_wait_loadcnt 0x0
	v_cndmask_b32_e64 v2, 0, 1.0, s1
	s_delay_alu instid0(VALU_DEP_1) | instskip(NEXT) | instid1(VALU_DEP_1)
	v_cvt_f16_f32_e32 v2, v2
	v_and_b32_e32 v2, 0xffff, v2
	global_store_b32 v[0:1], v2, off
.LBB102_3039:
	s_mov_b32 s0, 0
.LBB102_3040:
	s_delay_alu instid0(SALU_CYCLE_1)
	s_and_not1_b32 vcc_lo, exec_lo, s0
	s_cbranch_vccnz .LBB102_3049
; %bb.3041:
	s_sext_i32_i16 s2, s19
	s_mov_b32 s0, -1
	s_cmp_lt_i32 s2, 6
	s_cbranch_scc1 .LBB102_3047
; %bb.3042:
	s_cmp_gt_i32 s2, 6
	s_cbranch_scc0 .LBB102_3044
; %bb.3043:
	s_wait_loadcnt 0x0
	v_cndmask_b32_e64 v2, 0, 1, s1
	s_mov_b32 s0, 0
	s_delay_alu instid0(VALU_DEP_1)
	v_cvt_f64_u32_e32 v[2:3], v2
	global_store_b64 v[0:1], v[2:3], off
.LBB102_3044:
	s_and_not1_b32 vcc_lo, exec_lo, s0
	s_cbranch_vccnz .LBB102_3046
; %bb.3045:
	s_wait_loadcnt 0x0
	v_cndmask_b32_e64 v2, 0, 1.0, s1
	global_store_b32 v[0:1], v2, off
.LBB102_3046:
	s_mov_b32 s0, 0
.LBB102_3047:
	s_delay_alu instid0(SALU_CYCLE_1)
	s_and_not1_b32 vcc_lo, exec_lo, s0
	s_cbranch_vccnz .LBB102_3049
; %bb.3048:
	s_wait_loadcnt 0x0
	v_cndmask_b32_e64 v2, 0, 1.0, s1
	s_delay_alu instid0(VALU_DEP_1)
	v_cvt_f16_f32_e32 v2, v2
	global_store_b16 v[0:1], v2, off
.LBB102_3049:
	s_mov_b32 s0, 0
.LBB102_3050:
	s_delay_alu instid0(SALU_CYCLE_1)
	s_and_not1_b32 vcc_lo, exec_lo, s0
	s_cbranch_vccnz .LBB102_3066
; %bb.3051:
	s_sext_i32_i16 s2, s19
	s_mov_b32 s0, -1
	s_cmp_lt_i32 s2, 2
	s_cbranch_scc1 .LBB102_3061
; %bb.3052:
	s_cmp_lt_i32 s2, 3
	s_cbranch_scc1 .LBB102_3058
; %bb.3053:
	s_cmp_gt_i32 s2, 3
	s_cbranch_scc0 .LBB102_3055
; %bb.3054:
	s_mov_b32 s0, 0
	s_wait_loadcnt 0x0
	v_cndmask_b32_e64 v2, 0, 1, s1
	v_mov_b32_e32 v3, s0
	global_store_b64 v[0:1], v[2:3], off
.LBB102_3055:
	s_and_not1_b32 vcc_lo, exec_lo, s0
	s_cbranch_vccnz .LBB102_3057
; %bb.3056:
	s_wait_loadcnt 0x0
	v_cndmask_b32_e64 v2, 0, 1, s1
	global_store_b32 v[0:1], v2, off
.LBB102_3057:
	s_mov_b32 s0, 0
.LBB102_3058:
	s_delay_alu instid0(SALU_CYCLE_1)
	s_and_not1_b32 vcc_lo, exec_lo, s0
	s_cbranch_vccnz .LBB102_3060
; %bb.3059:
	s_wait_loadcnt 0x0
	v_cndmask_b32_e64 v2, 0, 1, s1
	global_store_b16 v[0:1], v2, off
.LBB102_3060:
	s_mov_b32 s0, 0
.LBB102_3061:
	s_delay_alu instid0(SALU_CYCLE_1)
	s_and_not1_b32 vcc_lo, exec_lo, s0
	s_cbranch_vccnz .LBB102_3066
; %bb.3062:
	s_wait_loadcnt 0x0
	v_cndmask_b32_e64 v2, 0, 1, s1
	s_sext_i32_i16 s0, s19
	s_delay_alu instid0(SALU_CYCLE_1)
	s_cmp_gt_i32 s0, 0
	s_mov_b32 s0, -1
	s_cbranch_scc0 .LBB102_3064
; %bb.3063:
	s_mov_b32 s0, 0
	global_store_b8 v[0:1], v2, off
.LBB102_3064:
	s_and_not1_b32 vcc_lo, exec_lo, s0
	s_cbranch_vccnz .LBB102_3066
; %bb.3065:
	global_store_b8 v[0:1], v2, off
	s_endpgm
.LBB102_3066:
	s_endpgm
.LBB102_3067:
	s_mov_b32 s3, 0
	s_mov_b32 s0, -1
	s_branch .LBB102_3023
.LBB102_3068:
	s_or_b32 s15, s15, exec_lo
	s_trap 2
	s_cbranch_execz .LBB102_2538
	s_branch .LBB102_2539
.LBB102_3069:
	s_and_not1_saveexec_b32 s10, s10
	s_cbranch_execz .LBB102_2618
.LBB102_3070:
	v_add_f32_e32 v1, 0x46000000, v6
	s_and_not1_b32 s9, s9, exec_lo
	s_delay_alu instid0(VALU_DEP_1) | instskip(NEXT) | instid1(VALU_DEP_1)
	v_and_b32_e32 v1, 0xff, v1
	v_cmp_ne_u32_e32 vcc_lo, 0, v1
	s_and_b32 s11, vcc_lo, exec_lo
	s_delay_alu instid0(SALU_CYCLE_1)
	s_or_b32 s9, s9, s11
	s_or_b32 exec_lo, exec_lo, s10
	v_mov_b32_e32 v7, 0
	s_and_saveexec_b32 s10, s9
	s_cbranch_execnz .LBB102_2619
	s_branch .LBB102_2620
.LBB102_3071:
	s_or_b32 s15, s15, exec_lo
	s_trap 2
	s_cbranch_execz .LBB102_2666
	s_branch .LBB102_2667
.LBB102_3072:
	s_and_not1_saveexec_b32 s9, s9
	s_cbranch_execz .LBB102_2631
.LBB102_3073:
	v_add_f32_e32 v1, 0x42800000, v6
	s_and_not1_b32 s7, s7, exec_lo
	s_delay_alu instid0(VALU_DEP_1) | instskip(NEXT) | instid1(VALU_DEP_1)
	v_and_b32_e32 v1, 0xff, v1
	v_cmp_ne_u32_e32 vcc_lo, 0, v1
	s_and_b32 s10, vcc_lo, exec_lo
	s_delay_alu instid0(SALU_CYCLE_1)
	s_or_b32 s7, s7, s10
	s_or_b32 exec_lo, exec_lo, s9
	v_mov_b32_e32 v7, 0
	s_and_saveexec_b32 s9, s7
	s_cbranch_execnz .LBB102_2632
	s_branch .LBB102_2633
.LBB102_3074:
	s_and_not1_saveexec_b32 s10, s10
	s_cbranch_execz .LBB102_2736
.LBB102_3075:
	v_add_f32_e32 v1, 0x46000000, v6
	s_and_not1_b32 s9, s9, exec_lo
	s_delay_alu instid0(VALU_DEP_1) | instskip(NEXT) | instid1(VALU_DEP_1)
	v_and_b32_e32 v1, 0xff, v1
	v_cmp_ne_u32_e32 vcc_lo, 0, v1
	s_and_b32 s11, vcc_lo, exec_lo
	s_delay_alu instid0(SALU_CYCLE_1)
	s_or_b32 s9, s9, s11
	s_or_b32 exec_lo, exec_lo, s10
	v_mov_b32_e32 v7, 0
	s_and_saveexec_b32 s10, s9
	s_cbranch_execnz .LBB102_2737
	s_branch .LBB102_2738
.LBB102_3076:
	s_or_b32 s15, s15, exec_lo
	s_trap 2
	s_cbranch_execz .LBB102_2784
	s_branch .LBB102_2785
.LBB102_3077:
	s_and_not1_saveexec_b32 s9, s9
	s_cbranch_execz .LBB102_2749
.LBB102_3078:
	v_add_f32_e32 v1, 0x42800000, v6
	s_and_not1_b32 s8, s8, exec_lo
	s_delay_alu instid0(VALU_DEP_1) | instskip(NEXT) | instid1(VALU_DEP_1)
	v_and_b32_e32 v1, 0xff, v1
	v_cmp_ne_u32_e32 vcc_lo, 0, v1
	s_and_b32 s10, vcc_lo, exec_lo
	s_delay_alu instid0(SALU_CYCLE_1)
	s_or_b32 s8, s8, s10
	s_or_b32 exec_lo, exec_lo, s9
	v_mov_b32_e32 v7, 0
	s_and_saveexec_b32 s9, s8
	s_cbranch_execnz .LBB102_2750
	s_branch .LBB102_2751
.LBB102_3079:
	s_and_not1_saveexec_b32 s10, s10
	s_cbranch_execz .LBB102_2855
.LBB102_3080:
	v_add_f32_e32 v1, 0x46000000, v6
	s_and_not1_b32 s9, s9, exec_lo
	s_delay_alu instid0(VALU_DEP_1) | instskip(NEXT) | instid1(VALU_DEP_1)
	v_and_b32_e32 v1, 0xff, v1
	v_cmp_ne_u32_e32 vcc_lo, 0, v1
	s_and_b32 s11, vcc_lo, exec_lo
	s_delay_alu instid0(SALU_CYCLE_1)
	s_or_b32 s9, s9, s11
	s_or_b32 exec_lo, exec_lo, s10
	v_mov_b32_e32 v7, 0
	s_and_saveexec_b32 s10, s9
	s_cbranch_execnz .LBB102_2856
	s_branch .LBB102_2857
.LBB102_3081:
	s_or_b32 s15, s15, exec_lo
	s_trap 2
	s_cbranch_execz .LBB102_2903
	s_branch .LBB102_2904
.LBB102_3082:
	s_and_not1_saveexec_b32 s9, s9
	s_cbranch_execz .LBB102_2868
.LBB102_3083:
	v_add_f32_e32 v1, 0x42800000, v6
	s_and_not1_b32 s8, s8, exec_lo
	s_delay_alu instid0(VALU_DEP_1) | instskip(NEXT) | instid1(VALU_DEP_1)
	v_and_b32_e32 v1, 0xff, v1
	v_cmp_ne_u32_e32 vcc_lo, 0, v1
	s_and_b32 s10, vcc_lo, exec_lo
	s_delay_alu instid0(SALU_CYCLE_1)
	s_or_b32 s8, s8, s10
	s_or_b32 exec_lo, exec_lo, s9
	v_mov_b32_e32 v7, 0
	s_and_saveexec_b32 s9, s8
	s_cbranch_execnz .LBB102_2869
	s_branch .LBB102_2870
.LBB102_3084:
	s_and_not1_saveexec_b32 s6, s6
	s_cbranch_execz .LBB102_2975
.LBB102_3085:
	v_add_f32_e32 v2, 0x46000000, v3
	s_and_not1_b32 s5, s5, exec_lo
	s_delay_alu instid0(VALU_DEP_1) | instskip(NEXT) | instid1(VALU_DEP_1)
	v_and_b32_e32 v2, 0xff, v2
	v_cmp_ne_u32_e32 vcc_lo, 0, v2
	s_and_b32 s7, vcc_lo, exec_lo
	s_delay_alu instid0(SALU_CYCLE_1)
	s_or_b32 s5, s5, s7
	s_or_b32 exec_lo, exec_lo, s6
	v_mov_b32_e32 v4, 0
	s_and_saveexec_b32 s6, s5
	s_cbranch_execnz .LBB102_2976
	s_branch .LBB102_2977
.LBB102_3086:
	s_mov_b32 s3, 0
	s_or_b32 s15, s15, exec_lo
	s_trap 2
	s_branch .LBB102_3021
.LBB102_3087:
	s_and_not1_saveexec_b32 s5, s5
	s_cbranch_execz .LBB102_2987
.LBB102_3088:
	v_add_f32_e32 v2, 0x42800000, v3
	s_and_not1_b32 s4, s4, exec_lo
	s_delay_alu instid0(VALU_DEP_1) | instskip(NEXT) | instid1(VALU_DEP_1)
	v_and_b32_e32 v2, 0xff, v2
	v_cmp_ne_u32_e32 vcc_lo, 0, v2
	s_and_b32 s6, vcc_lo, exec_lo
	s_delay_alu instid0(SALU_CYCLE_1)
	s_or_b32 s4, s4, s6
	s_or_b32 exec_lo, exec_lo, s5
	v_mov_b32_e32 v4, 0
	s_and_saveexec_b32 s5, s4
	s_cbranch_execnz .LBB102_2988
	s_branch .LBB102_2989
	.section	.rodata,"a",@progbits
	.p2align	6, 0x0
	.amdhsa_kernel _ZN2at6native32elementwise_kernel_manual_unrollILi128ELi4EZNS0_15gpu_kernel_implINS0_13BinaryFunctorIffbNS0_12_GLOBAL__N_116CompareEqFunctorIfEEEEEEvRNS_18TensorIteratorBaseERKT_EUlibE_EEviT1_
		.amdhsa_group_segment_fixed_size 0
		.amdhsa_private_segment_fixed_size 0
		.amdhsa_kernarg_size 56
		.amdhsa_user_sgpr_count 2
		.amdhsa_user_sgpr_dispatch_ptr 0
		.amdhsa_user_sgpr_queue_ptr 0
		.amdhsa_user_sgpr_kernarg_segment_ptr 1
		.amdhsa_user_sgpr_dispatch_id 0
		.amdhsa_user_sgpr_kernarg_preload_length 0
		.amdhsa_user_sgpr_kernarg_preload_offset 0
		.amdhsa_user_sgpr_private_segment_size 0
		.amdhsa_wavefront_size32 1
		.amdhsa_uses_dynamic_stack 0
		.amdhsa_enable_private_segment 0
		.amdhsa_system_sgpr_workgroup_id_x 1
		.amdhsa_system_sgpr_workgroup_id_y 0
		.amdhsa_system_sgpr_workgroup_id_z 0
		.amdhsa_system_sgpr_workgroup_info 0
		.amdhsa_system_vgpr_workitem_id 0
		.amdhsa_next_free_vgpr 18
		.amdhsa_next_free_sgpr 37
		.amdhsa_named_barrier_count 0
		.amdhsa_reserve_vcc 1
		.amdhsa_float_round_mode_32 0
		.amdhsa_float_round_mode_16_64 0
		.amdhsa_float_denorm_mode_32 3
		.amdhsa_float_denorm_mode_16_64 3
		.amdhsa_fp16_overflow 0
		.amdhsa_memory_ordered 1
		.amdhsa_forward_progress 1
		.amdhsa_inst_pref_size 255
		.amdhsa_round_robin_scheduling 0
		.amdhsa_exception_fp_ieee_invalid_op 0
		.amdhsa_exception_fp_denorm_src 0
		.amdhsa_exception_fp_ieee_div_zero 0
		.amdhsa_exception_fp_ieee_overflow 0
		.amdhsa_exception_fp_ieee_underflow 0
		.amdhsa_exception_fp_ieee_inexact 0
		.amdhsa_exception_int_div_zero 0
	.end_amdhsa_kernel
	.section	.text._ZN2at6native32elementwise_kernel_manual_unrollILi128ELi4EZNS0_15gpu_kernel_implINS0_13BinaryFunctorIffbNS0_12_GLOBAL__N_116CompareEqFunctorIfEEEEEEvRNS_18TensorIteratorBaseERKT_EUlibE_EEviT1_,"axG",@progbits,_ZN2at6native32elementwise_kernel_manual_unrollILi128ELi4EZNS0_15gpu_kernel_implINS0_13BinaryFunctorIffbNS0_12_GLOBAL__N_116CompareEqFunctorIfEEEEEEvRNS_18TensorIteratorBaseERKT_EUlibE_EEviT1_,comdat
.Lfunc_end102:
	.size	_ZN2at6native32elementwise_kernel_manual_unrollILi128ELi4EZNS0_15gpu_kernel_implINS0_13BinaryFunctorIffbNS0_12_GLOBAL__N_116CompareEqFunctorIfEEEEEEvRNS_18TensorIteratorBaseERKT_EUlibE_EEviT1_, .Lfunc_end102-_ZN2at6native32elementwise_kernel_manual_unrollILi128ELi4EZNS0_15gpu_kernel_implINS0_13BinaryFunctorIffbNS0_12_GLOBAL__N_116CompareEqFunctorIfEEEEEEvRNS_18TensorIteratorBaseERKT_EUlibE_EEviT1_
                                        ; -- End function
	.set _ZN2at6native32elementwise_kernel_manual_unrollILi128ELi4EZNS0_15gpu_kernel_implINS0_13BinaryFunctorIffbNS0_12_GLOBAL__N_116CompareEqFunctorIfEEEEEEvRNS_18TensorIteratorBaseERKT_EUlibE_EEviT1_.num_vgpr, 18
	.set _ZN2at6native32elementwise_kernel_manual_unrollILi128ELi4EZNS0_15gpu_kernel_implINS0_13BinaryFunctorIffbNS0_12_GLOBAL__N_116CompareEqFunctorIfEEEEEEvRNS_18TensorIteratorBaseERKT_EUlibE_EEviT1_.num_agpr, 0
	.set _ZN2at6native32elementwise_kernel_manual_unrollILi128ELi4EZNS0_15gpu_kernel_implINS0_13BinaryFunctorIffbNS0_12_GLOBAL__N_116CompareEqFunctorIfEEEEEEvRNS_18TensorIteratorBaseERKT_EUlibE_EEviT1_.numbered_sgpr, 37
	.set _ZN2at6native32elementwise_kernel_manual_unrollILi128ELi4EZNS0_15gpu_kernel_implINS0_13BinaryFunctorIffbNS0_12_GLOBAL__N_116CompareEqFunctorIfEEEEEEvRNS_18TensorIteratorBaseERKT_EUlibE_EEviT1_.num_named_barrier, 0
	.set _ZN2at6native32elementwise_kernel_manual_unrollILi128ELi4EZNS0_15gpu_kernel_implINS0_13BinaryFunctorIffbNS0_12_GLOBAL__N_116CompareEqFunctorIfEEEEEEvRNS_18TensorIteratorBaseERKT_EUlibE_EEviT1_.private_seg_size, 0
	.set _ZN2at6native32elementwise_kernel_manual_unrollILi128ELi4EZNS0_15gpu_kernel_implINS0_13BinaryFunctorIffbNS0_12_GLOBAL__N_116CompareEqFunctorIfEEEEEEvRNS_18TensorIteratorBaseERKT_EUlibE_EEviT1_.uses_vcc, 1
	.set _ZN2at6native32elementwise_kernel_manual_unrollILi128ELi4EZNS0_15gpu_kernel_implINS0_13BinaryFunctorIffbNS0_12_GLOBAL__N_116CompareEqFunctorIfEEEEEEvRNS_18TensorIteratorBaseERKT_EUlibE_EEviT1_.uses_flat_scratch, 0
	.set _ZN2at6native32elementwise_kernel_manual_unrollILi128ELi4EZNS0_15gpu_kernel_implINS0_13BinaryFunctorIffbNS0_12_GLOBAL__N_116CompareEqFunctorIfEEEEEEvRNS_18TensorIteratorBaseERKT_EUlibE_EEviT1_.has_dyn_sized_stack, 0
	.set _ZN2at6native32elementwise_kernel_manual_unrollILi128ELi4EZNS0_15gpu_kernel_implINS0_13BinaryFunctorIffbNS0_12_GLOBAL__N_116CompareEqFunctorIfEEEEEEvRNS_18TensorIteratorBaseERKT_EUlibE_EEviT1_.has_recursion, 0
	.set _ZN2at6native32elementwise_kernel_manual_unrollILi128ELi4EZNS0_15gpu_kernel_implINS0_13BinaryFunctorIffbNS0_12_GLOBAL__N_116CompareEqFunctorIfEEEEEEvRNS_18TensorIteratorBaseERKT_EUlibE_EEviT1_.has_indirect_call, 0
	.section	.AMDGPU.csdata,"",@progbits
; Kernel info:
; codeLenInByte = 54756
; TotalNumSgprs: 39
; NumVgprs: 18
; ScratchSize: 0
; MemoryBound: 1
; FloatMode: 240
; IeeeMode: 1
; LDSByteSize: 0 bytes/workgroup (compile time only)
; SGPRBlocks: 0
; VGPRBlocks: 1
; NumSGPRsForWavesPerEU: 39
; NumVGPRsForWavesPerEU: 18
; NamedBarCnt: 0
; Occupancy: 16
; WaveLimiterHint : 0
; COMPUTE_PGM_RSRC2:SCRATCH_EN: 0
; COMPUTE_PGM_RSRC2:USER_SGPR: 2
; COMPUTE_PGM_RSRC2:TRAP_HANDLER: 0
; COMPUTE_PGM_RSRC2:TGID_X_EN: 1
; COMPUTE_PGM_RSRC2:TGID_Y_EN: 0
; COMPUTE_PGM_RSRC2:TGID_Z_EN: 0
; COMPUTE_PGM_RSRC2:TIDIG_COMP_CNT: 0
	.section	.text._ZN2at6native32elementwise_kernel_manual_unrollILi128ELi4EZNS0_15gpu_kernel_implINS0_13BinaryFunctorIffbNS0_12_GLOBAL__N_116CompareEqFunctorIfEEEEEEvRNS_18TensorIteratorBaseERKT_EUlibE0_EEviT1_,"axG",@progbits,_ZN2at6native32elementwise_kernel_manual_unrollILi128ELi4EZNS0_15gpu_kernel_implINS0_13BinaryFunctorIffbNS0_12_GLOBAL__N_116CompareEqFunctorIfEEEEEEvRNS_18TensorIteratorBaseERKT_EUlibE0_EEviT1_,comdat
	.globl	_ZN2at6native32elementwise_kernel_manual_unrollILi128ELi4EZNS0_15gpu_kernel_implINS0_13BinaryFunctorIffbNS0_12_GLOBAL__N_116CompareEqFunctorIfEEEEEEvRNS_18TensorIteratorBaseERKT_EUlibE0_EEviT1_ ; -- Begin function _ZN2at6native32elementwise_kernel_manual_unrollILi128ELi4EZNS0_15gpu_kernel_implINS0_13BinaryFunctorIffbNS0_12_GLOBAL__N_116CompareEqFunctorIfEEEEEEvRNS_18TensorIteratorBaseERKT_EUlibE0_EEviT1_
	.p2align	8
	.type	_ZN2at6native32elementwise_kernel_manual_unrollILi128ELi4EZNS0_15gpu_kernel_implINS0_13BinaryFunctorIffbNS0_12_GLOBAL__N_116CompareEqFunctorIfEEEEEEvRNS_18TensorIteratorBaseERKT_EUlibE0_EEviT1_,@function
_ZN2at6native32elementwise_kernel_manual_unrollILi128ELi4EZNS0_15gpu_kernel_implINS0_13BinaryFunctorIffbNS0_12_GLOBAL__N_116CompareEqFunctorIfEEEEEEvRNS_18TensorIteratorBaseERKT_EUlibE0_EEviT1_: ; @_ZN2at6native32elementwise_kernel_manual_unrollILi128ELi4EZNS0_15gpu_kernel_implINS0_13BinaryFunctorIffbNS0_12_GLOBAL__N_116CompareEqFunctorIfEEEEEEvRNS_18TensorIteratorBaseERKT_EUlibE0_EEviT1_
; %bb.0:
	s_clause 0x1
	s_load_b32 s30, s[0:1], 0x8
	s_load_b32 s39, s[0:1], 0x0
	s_bfe_u32 s2, ttmp6, 0x4000c
	s_and_b32 s3, ttmp6, 15
	s_add_co_i32 s2, s2, 1
	s_getreg_b32 s4, hwreg(HW_REG_IB_STS2, 6, 4)
	s_mul_i32 s2, ttmp9, s2
	s_mov_b32 s33, 0
	s_add_co_i32 s3, s3, s2
	s_cmp_eq_u32 s4, 0
	s_mov_b32 s29, -1
	s_cselect_b32 s2, ttmp9, s3
	s_add_nc_u64 s[20:21], s[0:1], 8
	v_lshl_or_b32 v0, s2, 9, v0
	s_mov_b32 s3, 0
	s_wait_xcnt 0x0
	s_mov_b32 s0, exec_lo
	s_delay_alu instid0(VALU_DEP_1) | instskip(SKIP_2) | instid1(SALU_CYCLE_1)
	v_or_b32_e32 v1, 0x180, v0
	s_wait_kmcnt 0x0
	s_add_co_i32 s31, s30, -1
	s_cmp_gt_u32 s31, 1
	s_cselect_b32 s34, -1, 0
	v_cmpx_le_i32_e64 s39, v1
	s_xor_b32 s35, exec_lo, s0
	s_cbranch_execz .LBB103_1593
; %bb.1:
	s_clause 0x4
	s_load_b128 s[12:15], s[20:21], 0x4
	s_load_b256 s[4:11], s[20:21], 0x188
	s_load_b64 s[2:3], s[20:21], 0x14
	s_load_b128 s[16:19], s[20:21], 0xc4
	s_load_b64 s[24:25], s[20:21], 0xd4
	s_cmp_lg_u32 s30, 0
	s_mov_b32 s23, 0
	s_cselect_b32 s40, -1, 0
	s_min_u32 s38, s31, 15
	s_cmp_gt_u32 s30, 1
	s_mov_b32 s27, s23
	s_cselect_b32 s37, -1, 0
	s_mov_b32 s42, s23
	s_mov_b32 s41, s23
	s_mov_b32 s43, exec_lo
	s_wait_kmcnt 0x0
	s_mov_b32 s22, s13
	s_lshr_b32 s36, s11, 8
	s_lshr_b32 s13, s11, 16
	s_cmp_eq_u32 s10, 0
	s_mov_b32 s26, s2
	s_cselect_b32 s0, -1, 0
	s_mov_b32 s10, s23
	v_cmpx_gt_i32_e64 s39, v0
	s_cbranch_execz .LBB103_393
; %bb.2:
	s_and_not1_b32 vcc_lo, exec_lo, s34
	s_cbranch_vccnz .LBB103_8
; %bb.3:
	s_and_not1_b32 vcc_lo, exec_lo, s40
	s_cbranch_vccnz .LBB103_9
; %bb.4:
	v_dual_mov_b32 v2, 0 :: v_dual_mov_b32 v1, v0
	v_dual_mov_b32 v6, 0 :: v_dual_mov_b32 v4, 0
	s_add_co_i32 s1, s38, 1
	s_mov_b64 s[28:29], 0xffffffffffffffe8
	s_and_b32 s1, s1, 30
	s_add_nc_u64 s[28:29], s[20:21], s[28:29]
.LBB103_5:                              ; =>This Inner Loop Header: Depth=1
	s_clause 0x1
	s_load_b128 s[44:47], s[28:29], 0x1c
	s_load_b64 s[52:53], s[28:29], 0x2c
	s_add_co_i32 s1, s1, -2
	s_delay_alu instid0(SALU_CYCLE_1) | instskip(SKIP_2) | instid1(VALU_DEP_1)
	s_cmp_lg_u32 s1, 0
	s_wait_kmcnt 0x0
	v_mul_hi_u32 v3, s45, v1
	v_add_nc_u32_e32 v3, v1, v3
	s_delay_alu instid0(VALU_DEP_1) | instskip(NEXT) | instid1(VALU_DEP_1)
	v_lshrrev_b32_e32 v3, s46, v3
	v_mul_hi_u32 v5, s52, v3
	v_mul_lo_u32 v7, v3, s44
	s_clause 0x1
	s_load_b128 s[48:51], s[28:29], 0xdc
	s_load_b64 s[44:45], s[28:29], 0xec
	s_wait_xcnt 0x0
	s_add_nc_u64 s[28:29], s[28:29], 24
	s_delay_alu instid0(VALU_DEP_1) | instskip(NEXT) | instid1(VALU_DEP_1)
	v_dual_add_nc_u32 v5, v3, v5 :: v_dual_sub_nc_u32 v7, v1, v7
	v_lshrrev_b32_e32 v1, s53, v5
	s_wait_kmcnt 0x0
	s_delay_alu instid0(VALU_DEP_2) | instskip(NEXT) | instid1(VALU_DEP_2)
	v_mad_u32 v2, v7, s48, v2
	v_mul_lo_u32 v5, v1, s47
	v_mad_u32 v4, v7, s50, v4
	v_mad_u32 v6, v7, s49, v6
	s_delay_alu instid0(VALU_DEP_3) | instskip(NEXT) | instid1(VALU_DEP_1)
	v_sub_nc_u32_e32 v3, v3, v5
	v_mad_u32 v2, v3, s51, v2
	s_delay_alu instid0(VALU_DEP_4) | instskip(NEXT) | instid1(VALU_DEP_4)
	v_mad_u32 v4, v3, s45, v4
	v_mad_u32 v6, v3, s44, v6
	s_cbranch_scc1 .LBB103_5
; %bb.6:
	s_bitcmp1_b32 s38, 0
	s_cselect_b32 s1, -1, 0
	s_delay_alu instid0(SALU_CYCLE_1)
	s_and_b32 vcc_lo, exec_lo, s1
	s_cbranch_vccnz .LBB103_10
; %bb.7:
	s_clause 0x1
	s_load_b96 s[44:46], s[28:29], 0x1c
	s_load_b96 s[48:50], s[28:29], 0xdc
	s_wait_kmcnt 0x0
	v_mul_hi_u32 v3, s45, v1
	s_delay_alu instid0(VALU_DEP_1) | instskip(NEXT) | instid1(VALU_DEP_1)
	v_add_nc_u32_e32 v3, v1, v3
	v_lshrrev_b32_e32 v3, s46, v3
	s_delay_alu instid0(VALU_DEP_1) | instskip(NEXT) | instid1(VALU_DEP_1)
	v_mul_lo_u32 v3, v3, s44
	v_sub_nc_u32_e32 v1, v1, v3
	s_delay_alu instid0(VALU_DEP_1)
	v_mad_u32 v2, v1, s48, v2
	v_mad_u32 v6, v1, s49, v6
	;; [unrolled: 1-line block ×3, first 2 shown]
	s_cbranch_execz .LBB103_11
	s_branch .LBB103_13
.LBB103_8:
                                        ; implicit-def: $vgpr4
                                        ; implicit-def: $vgpr6
                                        ; implicit-def: $vgpr2
	s_branch .LBB103_11
.LBB103_9:
	v_dual_mov_b32 v4, 0 :: v_dual_mov_b32 v6, 0
	v_mov_b32_e32 v2, 0
.LBB103_10:
	s_cbranch_execnz .LBB103_13
.LBB103_11:
	v_mov_b32_e32 v1, 0
	s_and_not1_b32 vcc_lo, exec_lo, s37
	s_delay_alu instid0(VALU_DEP_1) | instskip(NEXT) | instid1(VALU_DEP_1)
	v_mul_u64_e32 v[2:3], s[22:23], v[0:1]
	v_add_nc_u32_e32 v2, v0, v3
	s_delay_alu instid0(VALU_DEP_1) | instskip(NEXT) | instid1(VALU_DEP_1)
	v_lshrrev_b32_e32 v8, s14, v2
	v_mul_lo_u32 v2, v8, s12
	s_delay_alu instid0(VALU_DEP_1) | instskip(NEXT) | instid1(VALU_DEP_1)
	v_sub_nc_u32_e32 v3, v0, v2
	v_mul_lo_u32 v2, v3, s16
	v_mul_lo_u32 v4, v3, s18
	;; [unrolled: 1-line block ×3, first 2 shown]
	s_cbranch_vccnz .LBB103_13
; %bb.12:
	v_mov_b32_e32 v9, v1
	s_delay_alu instid0(VALU_DEP_1) | instskip(NEXT) | instid1(VALU_DEP_1)
	v_mul_u64_e32 v[10:11], s[26:27], v[8:9]
	v_add_nc_u32_e32 v1, v8, v11
	s_delay_alu instid0(VALU_DEP_1) | instskip(NEXT) | instid1(VALU_DEP_1)
	v_lshrrev_b32_e32 v1, s3, v1
	v_mul_lo_u32 v1, v1, s15
	s_delay_alu instid0(VALU_DEP_1) | instskip(NEXT) | instid1(VALU_DEP_1)
	v_sub_nc_u32_e32 v1, v8, v1
	v_mad_u32 v2, v1, s19, v2
	v_mad_u32 v6, v1, s24, v6
	;; [unrolled: 1-line block ×3, first 2 shown]
.LBB103_13:
	v_mov_b32_e32 v7, 0
	s_and_b32 s1, s36, 0xff
	s_delay_alu instid0(SALU_CYCLE_1) | instskip(NEXT) | instid1(VALU_DEP_1)
	s_cmp_lt_i32 s1, 11
	v_add_nc_u64_e32 v[6:7], s[6:7], v[6:7]
	s_cbranch_scc1 .LBB103_20
; %bb.14:
	s_and_b32 s2, 0xffff, s1
	s_delay_alu instid0(SALU_CYCLE_1)
	s_cmp_gt_i32 s2, 25
	s_cbranch_scc0 .LBB103_29
; %bb.15:
	s_cmp_gt_i32 s2, 28
	s_cbranch_scc0 .LBB103_39
; %bb.16:
	s_cmp_gt_i32 s2, 43
	s_cbranch_scc0 .LBB103_42
; %bb.17:
	s_cmp_gt_i32 s2, 45
	s_cbranch_scc0 .LBB103_45
; %bb.18:
	s_cmp_eq_u32 s2, 46
	s_mov_b32 s29, 0
	s_cbranch_scc0 .LBB103_48
; %bb.19:
	global_load_b32 v1, v[6:7], off
	s_mov_b32 s10, -1
	s_mov_b32 s28, 0
	s_wait_loadcnt 0x0
	v_lshlrev_b32_e32 v1, 16, v1
	s_branch .LBB103_50
.LBB103_20:
	s_mov_b32 s28, 0
	s_mov_b32 s10, 0
                                        ; implicit-def: $vgpr1
	s_cbranch_execnz .LBB103_116
.LBB103_21:
	s_and_not1_b32 vcc_lo, exec_lo, s10
	s_cbranch_vccnz .LBB103_163
.LBB103_22:
	v_mov_b32_e32 v5, 0
	s_and_b32 s1, s13, 0xff
	s_delay_alu instid0(SALU_CYCLE_1) | instskip(NEXT) | instid1(VALU_DEP_1)
	s_cmp_lt_i32 s1, 11
	v_add_nc_u64_e32 v[4:5], s[8:9], v[4:5]
	s_cbranch_scc1 .LBB103_30
; %bb.23:
	s_and_b32 s2, 0xffff, s1
	s_delay_alu instid0(SALU_CYCLE_1)
	s_cmp_gt_i32 s2, 25
	s_cbranch_scc0 .LBB103_40
; %bb.24:
	s_cmp_gt_i32 s2, 28
	s_cbranch_scc0 .LBB103_43
; %bb.25:
	;; [unrolled: 3-line block ×4, first 2 shown]
	s_cmp_eq_u32 s2, 46
	s_mov_b32 s41, 0
	s_cbranch_scc0 .LBB103_164
; %bb.28:
	global_load_b32 v3, v[4:5], off
	s_mov_b32 s10, -1
	s_mov_b32 s29, 0
	s_wait_loadcnt 0x0
	v_lshlrev_b32_e32 v3, 16, v3
	s_branch .LBB103_166
.LBB103_29:
	s_mov_b32 s28, 0
	s_mov_b32 s10, 0
                                        ; implicit-def: $vgpr1
	s_cbranch_execnz .LBB103_81
	s_branch .LBB103_115
.LBB103_30:
	s_mov_b32 s29, 0
	s_mov_b32 s10, 0
                                        ; implicit-def: $vgpr3
	s_cbranch_execnz .LBB103_342
.LBB103_31:
	s_and_not1_b32 vcc_lo, exec_lo, s10
	s_cbranch_vccnz .LBB103_390
.LBB103_32:
	s_wait_loadcnt 0x0
	s_delay_alu instid0(VALU_DEP_1) | instskip(SKIP_1) | instid1(SALU_CYCLE_1)
	v_cmp_eq_f32_e32 vcc_lo, v1, v3
	s_and_b32 s10, s11, 0xff
	s_cmp_lt_i32 s10, 11
	v_cndmask_b32_e64 v4, 0, 1, vcc_lo
	v_cmp_neq_f32_e32 vcc_lo, v1, v3
	v_mov_b32_e32 v3, 0
	v_cndmask_b32_e64 v1, 0, 1, vcc_lo
	s_delay_alu instid0(VALU_DEP_2) | instskip(NEXT) | instid1(VALU_DEP_2)
	v_add_nc_u64_e32 v[2:3], s[4:5], v[2:3]
	v_cndmask_b32_e64 v1, v1, v4, s0
	s_delay_alu instid0(VALU_DEP_1) | instskip(NEXT) | instid1(VALU_DEP_1)
	v_and_b32_e32 v1, 1, v1
	v_cmp_eq_u32_e64 s1, 1, v1
	s_cbranch_scc1 .LBB103_41
; %bb.33:
	s_and_b32 s41, 0xffff, s10
	s_delay_alu instid0(SALU_CYCLE_1)
	s_cmp_gt_i32 s41, 25
	s_cbranch_scc0 .LBB103_44
; %bb.34:
	s_cmp_gt_i32 s41, 28
	s_cbranch_scc0 .LBB103_47
; %bb.35:
	;; [unrolled: 3-line block ×4, first 2 shown]
	s_mov_b32 s44, 0
	s_mov_b32 s2, -1
	s_cmp_eq_u32 s41, 46
	s_mov_b32 s42, 0
	s_cbranch_scc0 .LBB103_170
; %bb.38:
	v_cndmask_b32_e64 v1, 0, 1.0, s1
	s_mov_b32 s42, -1
	s_mov_b32 s2, 0
	s_delay_alu instid0(VALU_DEP_1) | instskip(NEXT) | instid1(VALU_DEP_1)
	v_bfe_u32 v4, v1, 16, 1
	v_add3_u32 v1, v1, v4, 0x7fff
	s_delay_alu instid0(VALU_DEP_1)
	v_lshrrev_b32_e32 v1, 16, v1
	global_store_b32 v[2:3], v1, off
	s_branch .LBB103_170
.LBB103_39:
	s_mov_b32 s29, -1
	s_mov_b32 s28, 0
	s_mov_b32 s10, 0
                                        ; implicit-def: $vgpr1
	s_branch .LBB103_62
.LBB103_40:
	s_mov_b32 s41, -1
	s_mov_b32 s29, 0
	s_mov_b32 s10, 0
                                        ; implicit-def: $vgpr3
	s_branch .LBB103_306
.LBB103_41:
	s_mov_b32 s41, -1
	s_mov_b32 s2, 0
	s_mov_b32 s42, 0
	s_branch .LBB103_239
.LBB103_42:
	s_mov_b32 s29, -1
	s_mov_b32 s28, 0
	s_mov_b32 s10, 0
                                        ; implicit-def: $vgpr1
	s_branch .LBB103_57
.LBB103_43:
	s_mov_b32 s41, -1
	s_mov_b32 s29, 0
	s_mov_b32 s10, 0
                                        ; implicit-def: $vgpr3
	s_branch .LBB103_287
.LBB103_44:
	s_mov_b32 s44, -1
	s_mov_b32 s2, 0
	s_mov_b32 s42, 0
	s_branch .LBB103_197
.LBB103_45:
	s_mov_b32 s29, -1
	s_mov_b32 s28, 0
	s_branch .LBB103_49
.LBB103_46:
	s_mov_b32 s41, -1
	s_mov_b32 s29, 0
	s_mov_b32 s10, 0
                                        ; implicit-def: $vgpr3
	s_branch .LBB103_282
.LBB103_47:
	s_mov_b32 s44, -1
	s_mov_b32 s2, 0
	s_mov_b32 s42, 0
	s_branch .LBB103_180
.LBB103_48:
	s_mov_b32 s28, -1
.LBB103_49:
	s_mov_b32 s10, 0
                                        ; implicit-def: $vgpr1
.LBB103_50:
	s_and_b32 vcc_lo, exec_lo, s29
	s_cbranch_vccz .LBB103_56
; %bb.51:
	s_cmp_eq_u32 s2, 44
	s_cbranch_scc0 .LBB103_55
; %bb.52:
	global_load_u8 v1, v[6:7], off
	s_mov_b32 s28, 0
	s_mov_b32 s10, -1
	s_wait_loadcnt 0x0
	v_lshlrev_b32_e32 v3, 23, v1
	v_cmp_ne_u32_e32 vcc_lo, 0xff, v1
	s_delay_alu instid0(VALU_DEP_2) | instskip(SKIP_1) | instid1(VALU_DEP_2)
	v_cndmask_b32_e32 v3, 0x7f800001, v3, vcc_lo
	v_cmp_ne_u32_e32 vcc_lo, 0, v1
	v_cndmask_b32_e32 v1, 0x400000, v3, vcc_lo
	s_branch .LBB103_56
.LBB103_53:
	s_mov_b32 s41, -1
	s_mov_b32 s29, 0
	s_branch .LBB103_165
.LBB103_54:
	s_mov_b32 s44, -1
	s_mov_b32 s2, 0
	s_mov_b32 s42, 0
	s_branch .LBB103_176
.LBB103_55:
	s_mov_b32 s28, -1
                                        ; implicit-def: $vgpr1
.LBB103_56:
	s_mov_b32 s29, 0
.LBB103_57:
	s_delay_alu instid0(SALU_CYCLE_1)
	s_and_b32 vcc_lo, exec_lo, s29
	s_cbranch_vccz .LBB103_61
; %bb.58:
	s_cmp_eq_u32 s2, 29
	s_cbranch_scc0 .LBB103_60
; %bb.59:
	global_load_b64 v[8:9], v[6:7], off
	s_mov_b32 s10, -1
	s_mov_b32 s28, 0
	s_mov_b32 s29, 0
	s_wait_loadcnt 0x0
	v_clz_i32_u32_e32 v1, v9
	s_delay_alu instid0(VALU_DEP_1) | instskip(NEXT) | instid1(VALU_DEP_1)
	v_min_u32_e32 v1, 32, v1
	v_lshlrev_b64_e32 v[8:9], v1, v[8:9]
	v_sub_nc_u32_e32 v1, 32, v1
	s_delay_alu instid0(VALU_DEP_2) | instskip(NEXT) | instid1(VALU_DEP_1)
	v_min_u32_e32 v3, 1, v8
	v_or_b32_e32 v3, v9, v3
	s_delay_alu instid0(VALU_DEP_1) | instskip(NEXT) | instid1(VALU_DEP_1)
	v_cvt_f32_u32_e32 v3, v3
	v_ldexp_f32 v1, v3, v1
	s_branch .LBB103_62
.LBB103_60:
	s_mov_b32 s28, -1
                                        ; implicit-def: $vgpr1
.LBB103_61:
	s_mov_b32 s29, 0
.LBB103_62:
	s_delay_alu instid0(SALU_CYCLE_1)
	s_and_b32 vcc_lo, exec_lo, s29
	s_cbranch_vccz .LBB103_80
; %bb.63:
	s_cmp_lt_i32 s2, 27
	s_cbranch_scc1 .LBB103_66
; %bb.64:
	s_cmp_gt_i32 s2, 27
	s_cbranch_scc0 .LBB103_67
; %bb.65:
	global_load_b32 v1, v[6:7], off
	s_mov_b32 s10, 0
	s_wait_loadcnt 0x0
	v_cvt_f32_u32_e32 v1, v1
	s_branch .LBB103_68
.LBB103_66:
	s_mov_b32 s10, -1
                                        ; implicit-def: $vgpr1
	s_branch .LBB103_71
.LBB103_67:
	s_mov_b32 s10, -1
                                        ; implicit-def: $vgpr1
.LBB103_68:
	s_delay_alu instid0(SALU_CYCLE_1)
	s_and_not1_b32 vcc_lo, exec_lo, s10
	s_cbranch_vccnz .LBB103_70
; %bb.69:
	global_load_u16 v1, v[6:7], off
	s_wait_loadcnt 0x0
	v_cvt_f32_u32_e32 v1, v1
.LBB103_70:
	s_mov_b32 s10, 0
.LBB103_71:
	s_delay_alu instid0(SALU_CYCLE_1)
	s_and_not1_b32 vcc_lo, exec_lo, s10
	s_cbranch_vccnz .LBB103_79
; %bb.72:
	global_load_u8 v3, v[6:7], off
	s_mov_b32 s10, 0
	s_mov_b32 s29, exec_lo
	s_wait_loadcnt 0x0
	v_cmpx_lt_i16_e32 0x7f, v3
	s_xor_b32 s29, exec_lo, s29
	s_cbranch_execz .LBB103_92
; %bb.73:
	s_mov_b32 s10, -1
	s_mov_b32 s41, exec_lo
	v_cmpx_eq_u16_e32 0x80, v3
; %bb.74:
	s_xor_b32 s10, exec_lo, -1
; %bb.75:
	s_or_b32 exec_lo, exec_lo, s41
	s_delay_alu instid0(SALU_CYCLE_1)
	s_and_b32 s10, s10, exec_lo
	s_or_saveexec_b32 s29, s29
	v_mov_b32_e32 v1, 0x7f800001
	s_xor_b32 exec_lo, exec_lo, s29
	s_cbranch_execnz .LBB103_93
.LBB103_76:
	s_or_b32 exec_lo, exec_lo, s29
	s_and_saveexec_b32 s29, s10
	s_cbranch_execz .LBB103_78
.LBB103_77:
	v_and_b32_e32 v1, 0xffff, v3
	s_delay_alu instid0(VALU_DEP_1) | instskip(SKIP_1) | instid1(VALU_DEP_2)
	v_and_b32_e32 v5, 7, v1
	v_bfe_u32 v10, v1, 3, 4
	v_clz_i32_u32_e32 v8, v5
	s_delay_alu instid0(VALU_DEP_2) | instskip(NEXT) | instid1(VALU_DEP_2)
	v_cmp_eq_u32_e32 vcc_lo, 0, v10
	v_min_u32_e32 v8, 32, v8
	s_delay_alu instid0(VALU_DEP_1) | instskip(NEXT) | instid1(VALU_DEP_1)
	v_subrev_nc_u32_e32 v9, 28, v8
	v_dual_lshlrev_b32 v1, v9, v1 :: v_dual_sub_nc_u32 v8, 29, v8
	s_delay_alu instid0(VALU_DEP_1) | instskip(NEXT) | instid1(VALU_DEP_1)
	v_dual_lshlrev_b32 v3, 24, v3 :: v_dual_bitop2_b32 v1, 7, v1 bitop3:0x40
	v_dual_cndmask_b32 v8, v10, v8 :: v_dual_cndmask_b32 v1, v5, v1
	s_delay_alu instid0(VALU_DEP_2) | instskip(NEXT) | instid1(VALU_DEP_2)
	v_and_b32_e32 v3, 0x80000000, v3
	v_lshl_add_u32 v5, v8, 23, 0x3b800000
	s_delay_alu instid0(VALU_DEP_3) | instskip(NEXT) | instid1(VALU_DEP_1)
	v_lshlrev_b32_e32 v1, 20, v1
	v_or3_b32 v1, v3, v5, v1
.LBB103_78:
	s_or_b32 exec_lo, exec_lo, s29
.LBB103_79:
	s_mov_b32 s10, -1
.LBB103_80:
	s_branch .LBB103_115
.LBB103_81:
	s_cmp_gt_i32 s2, 22
	s_cbranch_scc0 .LBB103_91
; %bb.82:
	s_cmp_lt_i32 s2, 24
	s_cbranch_scc1 .LBB103_94
; %bb.83:
	s_cmp_gt_i32 s2, 24
	s_cbranch_scc0 .LBB103_95
; %bb.84:
	global_load_u8 v3, v[6:7], off
	s_mov_b32 s10, 0
	s_mov_b32 s29, exec_lo
	s_wait_loadcnt 0x0
	v_cmpx_lt_i16_e32 0x7f, v3
	s_xor_b32 s29, exec_lo, s29
	s_cbranch_execz .LBB103_107
; %bb.85:
	s_mov_b32 s10, -1
	s_mov_b32 s41, exec_lo
	v_cmpx_eq_u16_e32 0x80, v3
; %bb.86:
	s_xor_b32 s10, exec_lo, -1
; %bb.87:
	s_or_b32 exec_lo, exec_lo, s41
	s_delay_alu instid0(SALU_CYCLE_1)
	s_and_b32 s10, s10, exec_lo
	s_or_saveexec_b32 s29, s29
	v_mov_b32_e32 v1, 0x7f800001
	s_xor_b32 exec_lo, exec_lo, s29
	s_cbranch_execnz .LBB103_108
.LBB103_88:
	s_or_b32 exec_lo, exec_lo, s29
	s_and_saveexec_b32 s29, s10
	s_cbranch_execz .LBB103_90
.LBB103_89:
	v_and_b32_e32 v1, 0xffff, v3
	s_delay_alu instid0(VALU_DEP_1) | instskip(SKIP_1) | instid1(VALU_DEP_2)
	v_and_b32_e32 v5, 3, v1
	v_bfe_u32 v10, v1, 2, 5
	v_clz_i32_u32_e32 v8, v5
	s_delay_alu instid0(VALU_DEP_2) | instskip(NEXT) | instid1(VALU_DEP_2)
	v_cmp_eq_u32_e32 vcc_lo, 0, v10
	v_min_u32_e32 v8, 32, v8
	s_delay_alu instid0(VALU_DEP_1) | instskip(NEXT) | instid1(VALU_DEP_1)
	v_subrev_nc_u32_e32 v9, 29, v8
	v_dual_lshlrev_b32 v1, v9, v1 :: v_dual_sub_nc_u32 v8, 30, v8
	s_delay_alu instid0(VALU_DEP_1) | instskip(NEXT) | instid1(VALU_DEP_1)
	v_dual_lshlrev_b32 v3, 24, v3 :: v_dual_bitop2_b32 v1, 3, v1 bitop3:0x40
	v_dual_cndmask_b32 v8, v10, v8 :: v_dual_cndmask_b32 v1, v5, v1
	s_delay_alu instid0(VALU_DEP_2) | instskip(NEXT) | instid1(VALU_DEP_2)
	v_and_b32_e32 v3, 0x80000000, v3
	v_lshl_add_u32 v5, v8, 23, 0x37800000
	s_delay_alu instid0(VALU_DEP_3) | instskip(NEXT) | instid1(VALU_DEP_1)
	v_lshlrev_b32_e32 v1, 21, v1
	v_or3_b32 v1, v3, v5, v1
.LBB103_90:
	s_or_b32 exec_lo, exec_lo, s29
	s_mov_b32 s10, 0
	s_branch .LBB103_96
.LBB103_91:
	s_mov_b32 s29, -1
                                        ; implicit-def: $vgpr1
	s_branch .LBB103_102
.LBB103_92:
	s_or_saveexec_b32 s29, s29
	v_mov_b32_e32 v1, 0x7f800001
	s_xor_b32 exec_lo, exec_lo, s29
	s_cbranch_execz .LBB103_76
.LBB103_93:
	v_cmp_ne_u16_e32 vcc_lo, 0, v3
	v_mov_b32_e32 v1, 0
	s_and_not1_b32 s10, s10, exec_lo
	s_and_b32 s41, vcc_lo, exec_lo
	s_delay_alu instid0(SALU_CYCLE_1)
	s_or_b32 s10, s10, s41
	s_or_b32 exec_lo, exec_lo, s29
	s_and_saveexec_b32 s29, s10
	s_cbranch_execnz .LBB103_77
	s_branch .LBB103_78
.LBB103_94:
	s_mov_b32 s10, -1
                                        ; implicit-def: $vgpr1
	s_branch .LBB103_99
.LBB103_95:
	s_mov_b32 s10, -1
                                        ; implicit-def: $vgpr1
.LBB103_96:
	s_delay_alu instid0(SALU_CYCLE_1)
	s_and_b32 vcc_lo, exec_lo, s10
	s_cbranch_vccz .LBB103_98
; %bb.97:
	global_load_u8 v1, v[6:7], off
	s_wait_loadcnt 0x0
	v_lshlrev_b32_e32 v1, 24, v1
	s_delay_alu instid0(VALU_DEP_1) | instskip(NEXT) | instid1(VALU_DEP_1)
	v_and_b32_e32 v3, 0x7f000000, v1
	v_clz_i32_u32_e32 v5, v3
	v_add_nc_u32_e32 v9, 0x1000000, v3
	v_cmp_ne_u32_e32 vcc_lo, 0, v3
	s_delay_alu instid0(VALU_DEP_3) | instskip(NEXT) | instid1(VALU_DEP_1)
	v_min_u32_e32 v5, 32, v5
	v_sub_nc_u32_e64 v5, v5, 4 clamp
	s_delay_alu instid0(VALU_DEP_1) | instskip(NEXT) | instid1(VALU_DEP_1)
	v_dual_lshlrev_b32 v8, v5, v3 :: v_dual_lshlrev_b32 v5, 23, v5
	v_lshrrev_b32_e32 v8, 4, v8
	s_delay_alu instid0(VALU_DEP_1) | instskip(SKIP_1) | instid1(VALU_DEP_2)
	v_sub_nc_u32_e32 v5, v8, v5
	v_ashrrev_i32_e32 v8, 8, v9
	v_add_nc_u32_e32 v5, 0x3c000000, v5
	s_delay_alu instid0(VALU_DEP_1) | instskip(NEXT) | instid1(VALU_DEP_1)
	v_and_or_b32 v5, 0x7f800000, v8, v5
	v_cndmask_b32_e32 v3, 0, v5, vcc_lo
	s_delay_alu instid0(VALU_DEP_1)
	v_and_or_b32 v1, 0x80000000, v1, v3
.LBB103_98:
	s_mov_b32 s10, 0
.LBB103_99:
	s_delay_alu instid0(SALU_CYCLE_1)
	s_and_not1_b32 vcc_lo, exec_lo, s10
	s_cbranch_vccnz .LBB103_101
; %bb.100:
	global_load_u8 v1, v[6:7], off
	s_wait_loadcnt 0x0
	v_lshlrev_b32_e32 v3, 25, v1
	v_lshlrev_b16 v1, 8, v1
	s_delay_alu instid0(VALU_DEP_1) | instskip(SKIP_1) | instid1(VALU_DEP_2)
	v_and_or_b32 v8, 0x7f00, v1, 0.5
	v_bfe_i32 v1, v1, 0, 16
	v_dual_add_f32 v8, -0.5, v8 :: v_dual_lshrrev_b32 v5, 4, v3
	v_cmp_gt_u32_e32 vcc_lo, 0x8000000, v3
	s_delay_alu instid0(VALU_DEP_2) | instskip(NEXT) | instid1(VALU_DEP_1)
	v_or_b32_e32 v5, 0x70000000, v5
	v_mul_f32_e32 v5, 0x7800000, v5
	s_delay_alu instid0(VALU_DEP_1) | instskip(NEXT) | instid1(VALU_DEP_1)
	v_cndmask_b32_e32 v3, v5, v8, vcc_lo
	v_and_or_b32 v1, 0x80000000, v1, v3
.LBB103_101:
	s_mov_b32 s29, 0
	s_mov_b32 s10, -1
.LBB103_102:
	s_and_not1_b32 vcc_lo, exec_lo, s29
	s_cbranch_vccnz .LBB103_115
; %bb.103:
	s_cmp_gt_i32 s2, 14
	s_cbranch_scc0 .LBB103_106
; %bb.104:
	s_cmp_eq_u32 s2, 15
	s_cbranch_scc0 .LBB103_109
; %bb.105:
	global_load_u16 v1, v[6:7], off
	s_mov_b32 s10, -1
	s_mov_b32 s28, 0
	s_wait_loadcnt 0x0
	v_lshlrev_b32_e32 v1, 16, v1
	s_branch .LBB103_110
.LBB103_106:
	s_mov_b32 s29, -1
                                        ; implicit-def: $vgpr1
	s_branch .LBB103_111
.LBB103_107:
	s_or_saveexec_b32 s29, s29
	v_mov_b32_e32 v1, 0x7f800001
	s_xor_b32 exec_lo, exec_lo, s29
	s_cbranch_execz .LBB103_88
.LBB103_108:
	v_cmp_ne_u16_e32 vcc_lo, 0, v3
	v_mov_b32_e32 v1, 0
	s_and_not1_b32 s10, s10, exec_lo
	s_and_b32 s41, vcc_lo, exec_lo
	s_delay_alu instid0(SALU_CYCLE_1)
	s_or_b32 s10, s10, s41
	s_or_b32 exec_lo, exec_lo, s29
	s_and_saveexec_b32 s29, s10
	s_cbranch_execnz .LBB103_89
	s_branch .LBB103_90
.LBB103_109:
	s_mov_b32 s28, -1
                                        ; implicit-def: $vgpr1
.LBB103_110:
	s_mov_b32 s29, 0
.LBB103_111:
	s_delay_alu instid0(SALU_CYCLE_1)
	s_and_b32 vcc_lo, exec_lo, s29
	s_cbranch_vccz .LBB103_115
; %bb.112:
	s_cmp_eq_u32 s2, 11
	s_cbranch_scc0 .LBB103_114
; %bb.113:
	global_load_u8 v1, v[6:7], off
	s_mov_b32 s28, 0
	s_mov_b32 s10, -1
	s_wait_loadcnt 0x0
	v_cmp_ne_u16_e32 vcc_lo, 0, v1
	v_cndmask_b32_e64 v1, 0, 1.0, vcc_lo
	s_branch .LBB103_115
.LBB103_114:
	s_mov_b32 s28, -1
                                        ; implicit-def: $vgpr1
.LBB103_115:
	s_branch .LBB103_21
.LBB103_116:
	s_and_b32 s1, 0xffff, s1
	s_delay_alu instid0(SALU_CYCLE_1)
	s_cmp_lt_i32 s1, 5
	s_cbranch_scc1 .LBB103_121
; %bb.117:
	s_cmp_lt_i32 s1, 8
	s_cbranch_scc1 .LBB103_122
; %bb.118:
	;; [unrolled: 3-line block ×3, first 2 shown]
	s_cmp_gt_i32 s1, 9
	s_cbranch_scc0 .LBB103_124
; %bb.120:
	global_load_b64 v[8:9], v[6:7], off
	s_mov_b32 s2, 0
	s_wait_loadcnt 0x0
	v_cvt_f32_f64_e32 v1, v[8:9]
	s_branch .LBB103_125
.LBB103_121:
                                        ; implicit-def: $vgpr1
	s_branch .LBB103_143
.LBB103_122:
	s_mov_b32 s2, -1
                                        ; implicit-def: $vgpr1
	s_branch .LBB103_131
.LBB103_123:
	s_mov_b32 s2, -1
                                        ; implicit-def: $vgpr1
	s_branch .LBB103_128
.LBB103_124:
	s_mov_b32 s2, -1
                                        ; implicit-def: $vgpr1
.LBB103_125:
	s_delay_alu instid0(SALU_CYCLE_1)
	s_and_not1_b32 vcc_lo, exec_lo, s2
	s_cbranch_vccnz .LBB103_127
; %bb.126:
	global_load_b32 v1, v[6:7], off
.LBB103_127:
	s_mov_b32 s2, 0
.LBB103_128:
	s_delay_alu instid0(SALU_CYCLE_1)
	s_and_not1_b32 vcc_lo, exec_lo, s2
	s_cbranch_vccnz .LBB103_130
; %bb.129:
	s_wait_loadcnt 0x0
	global_load_b32 v1, v[6:7], off
	s_wait_loadcnt 0x0
	v_cvt_f32_f16_e32 v1, v1
.LBB103_130:
	s_mov_b32 s2, 0
.LBB103_131:
	s_delay_alu instid0(SALU_CYCLE_1)
	s_and_not1_b32 vcc_lo, exec_lo, s2
	s_cbranch_vccnz .LBB103_142
; %bb.132:
	s_cmp_lt_i32 s1, 6
	s_cbranch_scc1 .LBB103_135
; %bb.133:
	s_cmp_gt_i32 s1, 6
	s_cbranch_scc0 .LBB103_136
; %bb.134:
	global_load_b64 v[8:9], v[6:7], off
	s_mov_b32 s2, 0
	s_wait_loadcnt 0x0
	v_cvt_f32_f64_e32 v1, v[8:9]
	s_branch .LBB103_137
.LBB103_135:
	s_mov_b32 s2, -1
                                        ; implicit-def: $vgpr1
	s_branch .LBB103_140
.LBB103_136:
	s_mov_b32 s2, -1
                                        ; implicit-def: $vgpr1
.LBB103_137:
	s_delay_alu instid0(SALU_CYCLE_1)
	s_and_not1_b32 vcc_lo, exec_lo, s2
	s_cbranch_vccnz .LBB103_139
; %bb.138:
	s_wait_loadcnt 0x0
	global_load_b32 v1, v[6:7], off
.LBB103_139:
	s_mov_b32 s2, 0
.LBB103_140:
	s_delay_alu instid0(SALU_CYCLE_1)
	s_and_not1_b32 vcc_lo, exec_lo, s2
	s_cbranch_vccnz .LBB103_142
; %bb.141:
	s_wait_loadcnt 0x0
	global_load_u16 v1, v[6:7], off
	s_wait_loadcnt 0x0
	v_cvt_f32_f16_e32 v1, v1
.LBB103_142:
	s_cbranch_execnz .LBB103_162
.LBB103_143:
	s_cmp_lt_i32 s1, 2
	s_cbranch_scc1 .LBB103_147
; %bb.144:
	s_cmp_lt_i32 s1, 3
	s_cbranch_scc1 .LBB103_148
; %bb.145:
	s_cmp_gt_i32 s1, 3
	s_cbranch_scc0 .LBB103_149
; %bb.146:
	global_load_b64 v[8:9], v[6:7], off
	s_mov_b32 s2, 0
	s_wait_loadcnt 0x0
	v_xor_b32_e32 v1, v8, v9
	v_cls_i32_e32 v3, v9
	s_delay_alu instid0(VALU_DEP_2) | instskip(NEXT) | instid1(VALU_DEP_1)
	v_ashrrev_i32_e32 v1, 31, v1
	v_add_nc_u32_e32 v1, 32, v1
	s_delay_alu instid0(VALU_DEP_1) | instskip(NEXT) | instid1(VALU_DEP_1)
	v_add_min_u32_e64 v1, v3, -1, v1
	v_lshlrev_b64_e32 v[8:9], v1, v[8:9]
	v_sub_nc_u32_e32 v1, 32, v1
	s_delay_alu instid0(VALU_DEP_2) | instskip(NEXT) | instid1(VALU_DEP_1)
	v_min_u32_e32 v3, 1, v8
	v_or_b32_e32 v3, v9, v3
	s_delay_alu instid0(VALU_DEP_1) | instskip(NEXT) | instid1(VALU_DEP_1)
	v_cvt_f32_i32_e32 v3, v3
	v_ldexp_f32 v1, v3, v1
	s_branch .LBB103_150
.LBB103_147:
	s_mov_b32 s2, -1
                                        ; implicit-def: $vgpr1
	s_branch .LBB103_156
.LBB103_148:
	s_mov_b32 s2, -1
                                        ; implicit-def: $vgpr1
	s_branch .LBB103_153
.LBB103_149:
	s_mov_b32 s2, -1
                                        ; implicit-def: $vgpr1
.LBB103_150:
	s_delay_alu instid0(SALU_CYCLE_1)
	s_and_not1_b32 vcc_lo, exec_lo, s2
	s_cbranch_vccnz .LBB103_152
; %bb.151:
	s_wait_loadcnt 0x0
	global_load_b32 v1, v[6:7], off
	s_wait_loadcnt 0x0
	v_cvt_f32_i32_e32 v1, v1
.LBB103_152:
	s_mov_b32 s2, 0
.LBB103_153:
	s_delay_alu instid0(SALU_CYCLE_1)
	s_and_not1_b32 vcc_lo, exec_lo, s2
	s_cbranch_vccnz .LBB103_155
; %bb.154:
	s_wait_loadcnt 0x0
	global_load_i16 v1, v[6:7], off
	s_wait_loadcnt 0x0
	v_cvt_f32_i32_e32 v1, v1
.LBB103_155:
	s_mov_b32 s2, 0
.LBB103_156:
	s_delay_alu instid0(SALU_CYCLE_1)
	s_and_not1_b32 vcc_lo, exec_lo, s2
	s_cbranch_vccnz .LBB103_162
; %bb.157:
	s_cmp_gt_i32 s1, 0
	s_mov_b32 s1, 0
	s_cbranch_scc0 .LBB103_159
; %bb.158:
	s_wait_loadcnt 0x0
	global_load_i8 v1, v[6:7], off
	s_wait_loadcnt 0x0
	v_cvt_f32_i32_e32 v1, v1
	s_branch .LBB103_160
.LBB103_159:
	s_mov_b32 s1, -1
                                        ; implicit-def: $vgpr1
.LBB103_160:
	s_delay_alu instid0(SALU_CYCLE_1)
	s_and_not1_b32 vcc_lo, exec_lo, s1
	s_cbranch_vccnz .LBB103_162
; %bb.161:
	s_wait_loadcnt 0x0
	global_load_u8 v1, v[6:7], off
	s_wait_loadcnt 0x0
	v_cvt_f32_ubyte0_e32 v1, v1
.LBB103_162:
	s_branch .LBB103_22
.LBB103_163:
	s_mov_b32 s2, 0
	s_mov_b32 s29, 0
	s_branch .LBB103_391
.LBB103_164:
	s_mov_b32 s29, -1
.LBB103_165:
	s_mov_b32 s10, 0
                                        ; implicit-def: $vgpr3
.LBB103_166:
	s_and_b32 vcc_lo, exec_lo, s41
	s_cbranch_vccz .LBB103_281
; %bb.167:
	s_cmp_eq_u32 s2, 44
	s_cbranch_scc0 .LBB103_280
; %bb.168:
	global_load_u8 v3, v[4:5], off
	s_mov_b32 s29, 0
	s_mov_b32 s10, -1
	s_wait_loadcnt 0x0
	v_lshlrev_b32_e32 v6, 23, v3
	v_cmp_ne_u32_e32 vcc_lo, 0xff, v3
	s_delay_alu instid0(VALU_DEP_2) | instskip(SKIP_1) | instid1(VALU_DEP_2)
	v_cndmask_b32_e32 v6, 0x7f800001, v6, vcc_lo
	v_cmp_ne_u32_e32 vcc_lo, 0, v3
	v_cndmask_b32_e32 v3, 0x400000, v6, vcc_lo
	s_branch .LBB103_281
.LBB103_169:
	s_mov_b32 s44, -1
	s_mov_b32 s2, 0
	s_mov_b32 s42, 0
.LBB103_170:
	s_and_b32 vcc_lo, exec_lo, s44
	s_cbranch_vccz .LBB103_175
; %bb.171:
	s_cmp_eq_u32 s41, 44
	s_mov_b32 s2, -1
	s_cbranch_scc0 .LBB103_175
; %bb.172:
	v_cndmask_b32_e64 v5, 0, 1.0, s1
	s_mov_b32 s42, exec_lo
	s_wait_xcnt 0x0
	s_delay_alu instid0(VALU_DEP_1) | instskip(NEXT) | instid1(VALU_DEP_1)
	v_dual_mov_b32 v4, 0xff :: v_dual_lshrrev_b32 v1, 23, v5
	v_cmpx_ne_u32_e32 0xff, v1
; %bb.173:
	v_and_b32_e32 v4, 0x400000, v5
	v_and_or_b32 v5, 0x3fffff, v5, v1
	s_delay_alu instid0(VALU_DEP_2) | instskip(NEXT) | instid1(VALU_DEP_2)
	v_cmp_ne_u32_e32 vcc_lo, 0, v4
	v_cmp_ne_u32_e64 s2, 0, v5
	s_and_b32 s2, vcc_lo, s2
	s_delay_alu instid0(SALU_CYCLE_1) | instskip(NEXT) | instid1(VALU_DEP_1)
	v_cndmask_b32_e64 v4, 0, 1, s2
	v_add_nc_u32_e32 v4, v1, v4
; %bb.174:
	s_or_b32 exec_lo, exec_lo, s42
	s_mov_b32 s42, -1
	s_mov_b32 s2, 0
	global_store_b8 v[2:3], v4, off
.LBB103_175:
	s_mov_b32 s44, 0
.LBB103_176:
	s_delay_alu instid0(SALU_CYCLE_1)
	s_and_b32 vcc_lo, exec_lo, s44
	s_cbranch_vccz .LBB103_179
; %bb.177:
	s_cmp_eq_u32 s41, 29
	s_mov_b32 s2, -1
	s_cbranch_scc0 .LBB103_179
; %bb.178:
	s_mov_b32 s2, 0
	s_wait_xcnt 0x0
	v_cndmask_b32_e64 v4, 0, 1, s1
	v_mov_b32_e32 v5, s2
	s_mov_b32 s42, -1
	s_mov_b32 s44, 0
	global_store_b64 v[2:3], v[4:5], off
	s_branch .LBB103_180
.LBB103_179:
	s_mov_b32 s44, 0
.LBB103_180:
	s_delay_alu instid0(SALU_CYCLE_1)
	s_and_b32 vcc_lo, exec_lo, s44
	s_cbranch_vccz .LBB103_196
; %bb.181:
	s_cmp_lt_i32 s41, 27
	s_mov_b32 s42, -1
	s_cbranch_scc1 .LBB103_187
; %bb.182:
	s_cmp_gt_i32 s41, 27
	s_cbranch_scc0 .LBB103_184
; %bb.183:
	s_wait_xcnt 0x0
	v_cndmask_b32_e64 v1, 0, 1, s1
	s_mov_b32 s42, 0
	global_store_b32 v[2:3], v1, off
.LBB103_184:
	s_and_not1_b32 vcc_lo, exec_lo, s42
	s_cbranch_vccnz .LBB103_186
; %bb.185:
	s_wait_xcnt 0x0
	v_cndmask_b32_e64 v1, 0, 1, s1
	global_store_b16 v[2:3], v1, off
.LBB103_186:
	s_mov_b32 s42, 0
.LBB103_187:
	s_delay_alu instid0(SALU_CYCLE_1)
	s_and_not1_b32 vcc_lo, exec_lo, s42
	s_cbranch_vccnz .LBB103_195
; %bb.188:
	s_wait_xcnt 0x0
	v_cndmask_b32_e64 v4, 0, 1.0, s1
	v_mov_b32_e32 v5, 0x80
	s_mov_b32 s42, exec_lo
	s_delay_alu instid0(VALU_DEP_2)
	v_cmpx_gt_u32_e32 0x43800000, v4
	s_cbranch_execz .LBB103_194
; %bb.189:
	s_mov_b32 s44, 0
	s_mov_b32 s45, exec_lo
                                        ; implicit-def: $vgpr1
	v_cmpx_lt_u32_e32 0x3bffffff, v4
	s_xor_b32 s45, exec_lo, s45
	s_cbranch_execz .LBB103_433
; %bb.190:
	v_bfe_u32 v1, v4, 20, 1
	s_mov_b32 s44, exec_lo
	s_delay_alu instid0(VALU_DEP_1) | instskip(NEXT) | instid1(VALU_DEP_1)
	v_add3_u32 v1, v4, v1, 0x487ffff
                                        ; implicit-def: $vgpr4
	v_lshrrev_b32_e32 v1, 20, v1
	s_and_not1_saveexec_b32 s45, s45
	s_cbranch_execnz .LBB103_434
.LBB103_191:
	s_or_b32 exec_lo, exec_lo, s45
	v_mov_b32_e32 v5, 0
	s_and_saveexec_b32 s45, s44
.LBB103_192:
	v_mov_b32_e32 v5, v1
.LBB103_193:
	s_or_b32 exec_lo, exec_lo, s45
.LBB103_194:
	s_delay_alu instid0(SALU_CYCLE_1)
	s_or_b32 exec_lo, exec_lo, s42
	global_store_b8 v[2:3], v5, off
.LBB103_195:
	s_mov_b32 s42, -1
.LBB103_196:
	s_mov_b32 s44, 0
.LBB103_197:
	s_delay_alu instid0(SALU_CYCLE_1)
	s_and_b32 vcc_lo, exec_lo, s44
	s_cbranch_vccz .LBB103_238
; %bb.198:
	s_cmp_gt_i32 s41, 22
	s_mov_b32 s44, -1
	s_cbranch_scc0 .LBB103_230
; %bb.199:
	s_cmp_lt_i32 s41, 24
	s_mov_b32 s42, -1
	s_cbranch_scc1 .LBB103_219
; %bb.200:
	s_cmp_gt_i32 s41, 24
	s_cbranch_scc0 .LBB103_208
; %bb.201:
	s_wait_xcnt 0x0
	v_cndmask_b32_e64 v4, 0, 1.0, s1
	v_mov_b32_e32 v5, 0x80
	s_mov_b32 s42, exec_lo
	s_delay_alu instid0(VALU_DEP_2)
	v_cmpx_gt_u32_e32 0x47800000, v4
	s_cbranch_execz .LBB103_207
; %bb.202:
	s_mov_b32 s44, 0
	s_mov_b32 s45, exec_lo
                                        ; implicit-def: $vgpr1
	v_cmpx_lt_u32_e32 0x37ffffff, v4
	s_xor_b32 s45, exec_lo, s45
	s_cbranch_execz .LBB103_552
; %bb.203:
	v_bfe_u32 v1, v4, 21, 1
	s_mov_b32 s44, exec_lo
	s_delay_alu instid0(VALU_DEP_1) | instskip(NEXT) | instid1(VALU_DEP_1)
	v_add3_u32 v1, v4, v1, 0x88fffff
                                        ; implicit-def: $vgpr4
	v_lshrrev_b32_e32 v1, 21, v1
	s_and_not1_saveexec_b32 s45, s45
	s_cbranch_execnz .LBB103_553
.LBB103_204:
	s_or_b32 exec_lo, exec_lo, s45
	v_mov_b32_e32 v5, 0
	s_and_saveexec_b32 s45, s44
.LBB103_205:
	v_mov_b32_e32 v5, v1
.LBB103_206:
	s_or_b32 exec_lo, exec_lo, s45
.LBB103_207:
	s_delay_alu instid0(SALU_CYCLE_1)
	s_or_b32 exec_lo, exec_lo, s42
	s_mov_b32 s42, 0
	global_store_b8 v[2:3], v5, off
.LBB103_208:
	s_and_b32 vcc_lo, exec_lo, s42
	s_cbranch_vccz .LBB103_218
; %bb.209:
	s_wait_xcnt 0x0
	v_cndmask_b32_e64 v4, 0, 1.0, s1
	s_mov_b32 s42, exec_lo
                                        ; implicit-def: $vgpr1
	s_delay_alu instid0(VALU_DEP_1)
	v_cmpx_gt_u32_e32 0x43f00000, v4
	s_xor_b32 s42, exec_lo, s42
	s_cbranch_execz .LBB103_215
; %bb.210:
	s_mov_b32 s44, exec_lo
                                        ; implicit-def: $vgpr1
	v_cmpx_lt_u32_e32 0x3c7fffff, v4
	s_xor_b32 s44, exec_lo, s44
; %bb.211:
	v_bfe_u32 v1, v4, 20, 1
	s_delay_alu instid0(VALU_DEP_1) | instskip(NEXT) | instid1(VALU_DEP_1)
	v_add3_u32 v1, v4, v1, 0x407ffff
	v_and_b32_e32 v4, 0xff00000, v1
	v_lshrrev_b32_e32 v1, 20, v1
	s_delay_alu instid0(VALU_DEP_2) | instskip(NEXT) | instid1(VALU_DEP_2)
	v_cmp_ne_u32_e32 vcc_lo, 0x7f00000, v4
                                        ; implicit-def: $vgpr4
	v_cndmask_b32_e32 v1, 0x7e, v1, vcc_lo
; %bb.212:
	s_and_not1_saveexec_b32 s44, s44
; %bb.213:
	v_add_f32_e32 v1, 0x46800000, v4
; %bb.214:
	s_or_b32 exec_lo, exec_lo, s44
                                        ; implicit-def: $vgpr4
.LBB103_215:
	s_and_not1_saveexec_b32 s42, s42
; %bb.216:
	v_mov_b32_e32 v1, 0x7f
	v_cmp_lt_u32_e32 vcc_lo, 0x7f800000, v4
	s_delay_alu instid0(VALU_DEP_2)
	v_cndmask_b32_e32 v1, 0x7e, v1, vcc_lo
; %bb.217:
	s_or_b32 exec_lo, exec_lo, s42
	global_store_b8 v[2:3], v1, off
.LBB103_218:
	s_mov_b32 s42, 0
.LBB103_219:
	s_delay_alu instid0(SALU_CYCLE_1)
	s_and_not1_b32 vcc_lo, exec_lo, s42
	s_cbranch_vccnz .LBB103_229
; %bb.220:
	s_wait_xcnt 0x0
	v_cndmask_b32_e64 v4, 0, 1.0, s1
	s_mov_b32 s42, exec_lo
                                        ; implicit-def: $vgpr1
	s_delay_alu instid0(VALU_DEP_1)
	v_cmpx_gt_u32_e32 0x47800000, v4
	s_xor_b32 s42, exec_lo, s42
	s_cbranch_execz .LBB103_226
; %bb.221:
	s_mov_b32 s44, exec_lo
                                        ; implicit-def: $vgpr1
	v_cmpx_lt_u32_e32 0x387fffff, v4
	s_xor_b32 s44, exec_lo, s44
; %bb.222:
	v_bfe_u32 v1, v4, 21, 1
	s_delay_alu instid0(VALU_DEP_1) | instskip(NEXT) | instid1(VALU_DEP_1)
	v_add3_u32 v1, v4, v1, 0x80fffff
                                        ; implicit-def: $vgpr4
	v_lshrrev_b32_e32 v1, 21, v1
; %bb.223:
	s_and_not1_saveexec_b32 s44, s44
; %bb.224:
	v_add_f32_e32 v1, 0x43000000, v4
; %bb.225:
	s_or_b32 exec_lo, exec_lo, s44
                                        ; implicit-def: $vgpr4
.LBB103_226:
	s_and_not1_saveexec_b32 s42, s42
; %bb.227:
	v_mov_b32_e32 v1, 0x7f
	v_cmp_lt_u32_e32 vcc_lo, 0x7f800000, v4
	s_delay_alu instid0(VALU_DEP_2)
	v_cndmask_b32_e32 v1, 0x7c, v1, vcc_lo
; %bb.228:
	s_or_b32 exec_lo, exec_lo, s42
	global_store_b8 v[2:3], v1, off
.LBB103_229:
	s_mov_b32 s44, 0
	s_mov_b32 s42, -1
.LBB103_230:
	s_and_not1_b32 vcc_lo, exec_lo, s44
	s_cbranch_vccnz .LBB103_238
; %bb.231:
	s_cmp_gt_i32 s41, 14
	s_mov_b32 s44, -1
	s_cbranch_scc0 .LBB103_235
; %bb.232:
	s_cmp_eq_u32 s41, 15
	s_mov_b32 s2, -1
	s_cbranch_scc0 .LBB103_234
; %bb.233:
	s_wait_xcnt 0x0
	v_cndmask_b32_e64 v1, 0, 1.0, s1
	s_mov_b32 s42, -1
	s_mov_b32 s2, 0
	s_delay_alu instid0(VALU_DEP_1) | instskip(NEXT) | instid1(VALU_DEP_1)
	v_bfe_u32 v4, v1, 16, 1
	v_add3_u32 v1, v1, v4, 0x7fff
	global_store_d16_hi_b16 v[2:3], v1, off
.LBB103_234:
	s_mov_b32 s44, 0
.LBB103_235:
	s_delay_alu instid0(SALU_CYCLE_1)
	s_and_b32 vcc_lo, exec_lo, s44
	s_cbranch_vccz .LBB103_238
; %bb.236:
	s_cmp_eq_u32 s41, 11
	s_mov_b32 s2, -1
	s_cbranch_scc0 .LBB103_238
; %bb.237:
	s_wait_xcnt 0x0
	v_cndmask_b32_e64 v1, 0, 1, s1
	s_mov_b32 s42, -1
	s_mov_b32 s2, 0
	global_store_b8 v[2:3], v1, off
.LBB103_238:
	s_mov_b32 s41, 0
.LBB103_239:
	s_delay_alu instid0(SALU_CYCLE_1)
	s_and_b32 vcc_lo, exec_lo, s41
	s_cbranch_vccz .LBB103_278
; %bb.240:
	s_and_b32 s10, 0xffff, s10
	s_mov_b32 s41, -1
	s_cmp_lt_i32 s10, 5
	s_cbranch_scc1 .LBB103_261
; %bb.241:
	s_cmp_lt_i32 s10, 8
	s_cbranch_scc1 .LBB103_251
; %bb.242:
	;; [unrolled: 3-line block ×3, first 2 shown]
	s_cmp_gt_i32 s10, 9
	s_cbranch_scc0 .LBB103_245
; %bb.244:
	s_wait_xcnt 0x0
	v_cndmask_b32_e64 v1, 0, 1, s1
	v_mov_b32_e32 v6, 0
	s_mov_b32 s41, 0
	s_delay_alu instid0(VALU_DEP_2) | instskip(NEXT) | instid1(VALU_DEP_2)
	v_cvt_f64_u32_e32 v[4:5], v1
	v_mov_b32_e32 v7, v6
	global_store_b128 v[2:3], v[4:7], off
.LBB103_245:
	s_and_not1_b32 vcc_lo, exec_lo, s41
	s_cbranch_vccnz .LBB103_247
; %bb.246:
	s_wait_xcnt 0x0
	v_cndmask_b32_e64 v4, 0, 1.0, s1
	v_mov_b32_e32 v5, 0
	global_store_b64 v[2:3], v[4:5], off
.LBB103_247:
	s_mov_b32 s41, 0
.LBB103_248:
	s_delay_alu instid0(SALU_CYCLE_1)
	s_and_not1_b32 vcc_lo, exec_lo, s41
	s_cbranch_vccnz .LBB103_250
; %bb.249:
	s_wait_xcnt 0x0
	v_cndmask_b32_e64 v1, 0, 1.0, s1
	s_delay_alu instid0(VALU_DEP_1) | instskip(NEXT) | instid1(VALU_DEP_1)
	v_cvt_f16_f32_e32 v1, v1
	v_and_b32_e32 v1, 0xffff, v1
	global_store_b32 v[2:3], v1, off
.LBB103_250:
	s_mov_b32 s41, 0
.LBB103_251:
	s_delay_alu instid0(SALU_CYCLE_1)
	s_and_not1_b32 vcc_lo, exec_lo, s41
	s_cbranch_vccnz .LBB103_260
; %bb.252:
	s_cmp_lt_i32 s10, 6
	s_mov_b32 s41, -1
	s_cbranch_scc1 .LBB103_258
; %bb.253:
	s_cmp_gt_i32 s10, 6
	s_cbranch_scc0 .LBB103_255
; %bb.254:
	s_wait_xcnt 0x0
	v_cndmask_b32_e64 v1, 0, 1, s1
	s_mov_b32 s41, 0
	s_delay_alu instid0(VALU_DEP_1)
	v_cvt_f64_u32_e32 v[4:5], v1
	global_store_b64 v[2:3], v[4:5], off
.LBB103_255:
	s_and_not1_b32 vcc_lo, exec_lo, s41
	s_cbranch_vccnz .LBB103_257
; %bb.256:
	s_wait_xcnt 0x0
	v_cndmask_b32_e64 v1, 0, 1.0, s1
	global_store_b32 v[2:3], v1, off
.LBB103_257:
	s_mov_b32 s41, 0
.LBB103_258:
	s_delay_alu instid0(SALU_CYCLE_1)
	s_and_not1_b32 vcc_lo, exec_lo, s41
	s_cbranch_vccnz .LBB103_260
; %bb.259:
	s_wait_xcnt 0x0
	v_cndmask_b32_e64 v1, 0, 1.0, s1
	s_delay_alu instid0(VALU_DEP_1)
	v_cvt_f16_f32_e32 v1, v1
	global_store_b16 v[2:3], v1, off
.LBB103_260:
	s_mov_b32 s41, 0
.LBB103_261:
	s_delay_alu instid0(SALU_CYCLE_1)
	s_and_not1_b32 vcc_lo, exec_lo, s41
	s_cbranch_vccnz .LBB103_277
; %bb.262:
	s_cmp_lt_i32 s10, 2
	s_mov_b32 s41, -1
	s_cbranch_scc1 .LBB103_272
; %bb.263:
	s_cmp_lt_i32 s10, 3
	s_cbranch_scc1 .LBB103_269
; %bb.264:
	s_cmp_gt_i32 s10, 3
	s_cbranch_scc0 .LBB103_266
; %bb.265:
	s_mov_b32 s41, 0
	s_wait_xcnt 0x0
	v_cndmask_b32_e64 v4, 0, 1, s1
	v_mov_b32_e32 v5, s41
	global_store_b64 v[2:3], v[4:5], off
.LBB103_266:
	s_and_not1_b32 vcc_lo, exec_lo, s41
	s_cbranch_vccnz .LBB103_268
; %bb.267:
	s_wait_xcnt 0x0
	v_cndmask_b32_e64 v1, 0, 1, s1
	global_store_b32 v[2:3], v1, off
.LBB103_268:
	s_mov_b32 s41, 0
.LBB103_269:
	s_delay_alu instid0(SALU_CYCLE_1)
	s_and_not1_b32 vcc_lo, exec_lo, s41
	s_cbranch_vccnz .LBB103_271
; %bb.270:
	s_wait_xcnt 0x0
	v_cndmask_b32_e64 v1, 0, 1, s1
	global_store_b16 v[2:3], v1, off
.LBB103_271:
	s_mov_b32 s41, 0
.LBB103_272:
	s_delay_alu instid0(SALU_CYCLE_1)
	s_and_not1_b32 vcc_lo, exec_lo, s41
	s_cbranch_vccnz .LBB103_277
; %bb.273:
	s_cmp_gt_i32 s10, 0
	s_mov_b32 s10, -1
	s_cbranch_scc0 .LBB103_275
; %bb.274:
	s_wait_xcnt 0x0
	v_cndmask_b32_e64 v1, 0, 1, s1
	s_mov_b32 s10, 0
	global_store_b8 v[2:3], v1, off
.LBB103_275:
	s_and_not1_b32 vcc_lo, exec_lo, s10
	s_cbranch_vccnz .LBB103_277
; %bb.276:
	s_wait_xcnt 0x0
	v_cndmask_b32_e64 v1, 0, 1, s1
	global_store_b8 v[2:3], v1, off
.LBB103_277:
	s_mov_b32 s42, -1
.LBB103_278:
	s_delay_alu instid0(SALU_CYCLE_1)
	s_and_not1_b32 vcc_lo, exec_lo, s42
	s_cbranch_vccnz .LBB103_391
; %bb.279:
	v_add_nc_u32_e32 v0, 0x80, v0
	s_mov_b32 s1, -1
	s_branch .LBB103_392
.LBB103_280:
	s_mov_b32 s29, -1
                                        ; implicit-def: $vgpr3
.LBB103_281:
	s_mov_b32 s41, 0
.LBB103_282:
	s_delay_alu instid0(SALU_CYCLE_1)
	s_and_b32 vcc_lo, exec_lo, s41
	s_cbranch_vccz .LBB103_286
; %bb.283:
	s_cmp_eq_u32 s2, 29
	s_cbranch_scc0 .LBB103_285
; %bb.284:
	global_load_b64 v[6:7], v[4:5], off
	s_mov_b32 s10, -1
	s_mov_b32 s29, 0
	s_mov_b32 s41, 0
	s_wait_loadcnt 0x0
	v_clz_i32_u32_e32 v3, v7
	s_delay_alu instid0(VALU_DEP_1) | instskip(NEXT) | instid1(VALU_DEP_1)
	v_min_u32_e32 v3, 32, v3
	v_lshlrev_b64_e32 v[6:7], v3, v[6:7]
	v_sub_nc_u32_e32 v3, 32, v3
	s_delay_alu instid0(VALU_DEP_2) | instskip(NEXT) | instid1(VALU_DEP_1)
	v_min_u32_e32 v6, 1, v6
	v_or_b32_e32 v6, v7, v6
	s_delay_alu instid0(VALU_DEP_1) | instskip(NEXT) | instid1(VALU_DEP_1)
	v_cvt_f32_u32_e32 v6, v6
	v_ldexp_f32 v3, v6, v3
	s_branch .LBB103_287
.LBB103_285:
	s_mov_b32 s29, -1
                                        ; implicit-def: $vgpr3
.LBB103_286:
	s_mov_b32 s41, 0
.LBB103_287:
	s_delay_alu instid0(SALU_CYCLE_1)
	s_and_b32 vcc_lo, exec_lo, s41
	s_cbranch_vccz .LBB103_305
; %bb.288:
	s_cmp_lt_i32 s2, 27
	s_cbranch_scc1 .LBB103_291
; %bb.289:
	s_cmp_gt_i32 s2, 27
	s_cbranch_scc0 .LBB103_292
; %bb.290:
	global_load_b32 v3, v[4:5], off
	s_mov_b32 s10, 0
	s_wait_loadcnt 0x0
	v_cvt_f32_u32_e32 v3, v3
	s_branch .LBB103_293
.LBB103_291:
	s_mov_b32 s10, -1
                                        ; implicit-def: $vgpr3
	s_branch .LBB103_296
.LBB103_292:
	s_mov_b32 s10, -1
                                        ; implicit-def: $vgpr3
.LBB103_293:
	s_delay_alu instid0(SALU_CYCLE_1)
	s_and_not1_b32 vcc_lo, exec_lo, s10
	s_cbranch_vccnz .LBB103_295
; %bb.294:
	global_load_u16 v3, v[4:5], off
	s_wait_loadcnt 0x0
	v_cvt_f32_u32_e32 v3, v3
.LBB103_295:
	s_mov_b32 s10, 0
.LBB103_296:
	s_delay_alu instid0(SALU_CYCLE_1)
	s_and_not1_b32 vcc_lo, exec_lo, s10
	s_cbranch_vccnz .LBB103_304
; %bb.297:
	global_load_u8 v6, v[4:5], off
	s_mov_b32 s10, 0
	s_mov_b32 s41, exec_lo
	s_wait_loadcnt 0x0
	v_cmpx_lt_i16_e32 0x7f, v6
	s_xor_b32 s41, exec_lo, s41
	s_cbranch_execz .LBB103_318
; %bb.298:
	s_mov_b32 s10, -1
	s_mov_b32 s42, exec_lo
	v_cmpx_eq_u16_e32 0x80, v6
; %bb.299:
	s_xor_b32 s10, exec_lo, -1
; %bb.300:
	s_or_b32 exec_lo, exec_lo, s42
	s_delay_alu instid0(SALU_CYCLE_1)
	s_and_b32 s10, s10, exec_lo
	s_or_saveexec_b32 s41, s41
	v_mov_b32_e32 v3, 0x7f800001
	s_xor_b32 exec_lo, exec_lo, s41
	s_cbranch_execnz .LBB103_319
.LBB103_301:
	s_or_b32 exec_lo, exec_lo, s41
	s_and_saveexec_b32 s41, s10
	s_cbranch_execz .LBB103_303
.LBB103_302:
	v_and_b32_e32 v3, 0xffff, v6
	s_delay_alu instid0(VALU_DEP_1) | instskip(SKIP_1) | instid1(VALU_DEP_2)
	v_and_b32_e32 v7, 7, v3
	v_bfe_u32 v10, v3, 3, 4
	v_clz_i32_u32_e32 v8, v7
	s_delay_alu instid0(VALU_DEP_2) | instskip(NEXT) | instid1(VALU_DEP_2)
	v_cmp_eq_u32_e32 vcc_lo, 0, v10
	v_min_u32_e32 v8, 32, v8
	s_delay_alu instid0(VALU_DEP_1) | instskip(NEXT) | instid1(VALU_DEP_1)
	v_subrev_nc_u32_e32 v9, 28, v8
	v_dual_lshlrev_b32 v3, v9, v3 :: v_dual_sub_nc_u32 v8, 29, v8
	s_delay_alu instid0(VALU_DEP_1) | instskip(NEXT) | instid1(VALU_DEP_1)
	v_dual_lshlrev_b32 v6, 24, v6 :: v_dual_bitop2_b32 v3, 7, v3 bitop3:0x40
	v_dual_cndmask_b32 v8, v10, v8 :: v_dual_cndmask_b32 v3, v7, v3
	s_delay_alu instid0(VALU_DEP_2) | instskip(NEXT) | instid1(VALU_DEP_2)
	v_and_b32_e32 v6, 0x80000000, v6
	v_lshl_add_u32 v7, v8, 23, 0x3b800000
	s_delay_alu instid0(VALU_DEP_3) | instskip(NEXT) | instid1(VALU_DEP_1)
	v_lshlrev_b32_e32 v3, 20, v3
	v_or3_b32 v3, v6, v7, v3
.LBB103_303:
	s_or_b32 exec_lo, exec_lo, s41
.LBB103_304:
	s_mov_b32 s10, -1
.LBB103_305:
	s_mov_b32 s41, 0
.LBB103_306:
	s_delay_alu instid0(SALU_CYCLE_1)
	s_and_b32 vcc_lo, exec_lo, s41
	s_cbranch_vccz .LBB103_341
; %bb.307:
	s_cmp_gt_i32 s2, 22
	s_cbranch_scc0 .LBB103_317
; %bb.308:
	s_cmp_lt_i32 s2, 24
	s_cbranch_scc1 .LBB103_320
; %bb.309:
	s_cmp_gt_i32 s2, 24
	s_cbranch_scc0 .LBB103_321
; %bb.310:
	global_load_u8 v6, v[4:5], off
	s_mov_b32 s10, 0
	s_mov_b32 s41, exec_lo
	s_wait_loadcnt 0x0
	v_cmpx_lt_i16_e32 0x7f, v6
	s_xor_b32 s41, exec_lo, s41
	s_cbranch_execz .LBB103_333
; %bb.311:
	s_mov_b32 s10, -1
	s_mov_b32 s42, exec_lo
	v_cmpx_eq_u16_e32 0x80, v6
; %bb.312:
	s_xor_b32 s10, exec_lo, -1
; %bb.313:
	s_or_b32 exec_lo, exec_lo, s42
	s_delay_alu instid0(SALU_CYCLE_1)
	s_and_b32 s10, s10, exec_lo
	s_or_saveexec_b32 s41, s41
	v_mov_b32_e32 v3, 0x7f800001
	s_xor_b32 exec_lo, exec_lo, s41
	s_cbranch_execnz .LBB103_334
.LBB103_314:
	s_or_b32 exec_lo, exec_lo, s41
	s_and_saveexec_b32 s41, s10
	s_cbranch_execz .LBB103_316
.LBB103_315:
	v_and_b32_e32 v3, 0xffff, v6
	s_delay_alu instid0(VALU_DEP_1) | instskip(SKIP_1) | instid1(VALU_DEP_2)
	v_and_b32_e32 v7, 3, v3
	v_bfe_u32 v10, v3, 2, 5
	v_clz_i32_u32_e32 v8, v7
	s_delay_alu instid0(VALU_DEP_2) | instskip(NEXT) | instid1(VALU_DEP_2)
	v_cmp_eq_u32_e32 vcc_lo, 0, v10
	v_min_u32_e32 v8, 32, v8
	s_delay_alu instid0(VALU_DEP_1) | instskip(NEXT) | instid1(VALU_DEP_1)
	v_subrev_nc_u32_e32 v9, 29, v8
	v_dual_lshlrev_b32 v3, v9, v3 :: v_dual_sub_nc_u32 v8, 30, v8
	s_delay_alu instid0(VALU_DEP_1) | instskip(NEXT) | instid1(VALU_DEP_1)
	v_dual_lshlrev_b32 v6, 24, v6 :: v_dual_bitop2_b32 v3, 3, v3 bitop3:0x40
	v_dual_cndmask_b32 v8, v10, v8 :: v_dual_cndmask_b32 v3, v7, v3
	s_delay_alu instid0(VALU_DEP_2) | instskip(NEXT) | instid1(VALU_DEP_2)
	v_and_b32_e32 v6, 0x80000000, v6
	v_lshl_add_u32 v7, v8, 23, 0x37800000
	s_delay_alu instid0(VALU_DEP_3) | instskip(NEXT) | instid1(VALU_DEP_1)
	v_lshlrev_b32_e32 v3, 21, v3
	v_or3_b32 v3, v6, v7, v3
.LBB103_316:
	s_or_b32 exec_lo, exec_lo, s41
	s_mov_b32 s10, 0
	s_branch .LBB103_322
.LBB103_317:
	s_mov_b32 s41, -1
                                        ; implicit-def: $vgpr3
	s_branch .LBB103_328
.LBB103_318:
	s_or_saveexec_b32 s41, s41
	v_mov_b32_e32 v3, 0x7f800001
	s_xor_b32 exec_lo, exec_lo, s41
	s_cbranch_execz .LBB103_301
.LBB103_319:
	v_cmp_ne_u16_e32 vcc_lo, 0, v6
	v_mov_b32_e32 v3, 0
	s_and_not1_b32 s10, s10, exec_lo
	s_and_b32 s42, vcc_lo, exec_lo
	s_delay_alu instid0(SALU_CYCLE_1)
	s_or_b32 s10, s10, s42
	s_or_b32 exec_lo, exec_lo, s41
	s_and_saveexec_b32 s41, s10
	s_cbranch_execnz .LBB103_302
	s_branch .LBB103_303
.LBB103_320:
	s_mov_b32 s10, -1
                                        ; implicit-def: $vgpr3
	s_branch .LBB103_325
.LBB103_321:
	s_mov_b32 s10, -1
                                        ; implicit-def: $vgpr3
.LBB103_322:
	s_delay_alu instid0(SALU_CYCLE_1)
	s_and_b32 vcc_lo, exec_lo, s10
	s_cbranch_vccz .LBB103_324
; %bb.323:
	global_load_u8 v3, v[4:5], off
	s_wait_loadcnt 0x0
	v_lshlrev_b32_e32 v3, 24, v3
	s_delay_alu instid0(VALU_DEP_1) | instskip(NEXT) | instid1(VALU_DEP_1)
	v_and_b32_e32 v6, 0x7f000000, v3
	v_clz_i32_u32_e32 v7, v6
	v_cmp_ne_u32_e32 vcc_lo, 0, v6
	v_add_nc_u32_e32 v9, 0x1000000, v6
	s_delay_alu instid0(VALU_DEP_3) | instskip(NEXT) | instid1(VALU_DEP_1)
	v_min_u32_e32 v7, 32, v7
	v_sub_nc_u32_e64 v7, v7, 4 clamp
	s_delay_alu instid0(VALU_DEP_1) | instskip(NEXT) | instid1(VALU_DEP_1)
	v_dual_lshlrev_b32 v8, v7, v6 :: v_dual_lshlrev_b32 v7, 23, v7
	v_lshrrev_b32_e32 v8, 4, v8
	s_delay_alu instid0(VALU_DEP_1) | instskip(NEXT) | instid1(VALU_DEP_1)
	v_dual_sub_nc_u32 v7, v8, v7 :: v_dual_ashrrev_i32 v8, 8, v9
	v_add_nc_u32_e32 v7, 0x3c000000, v7
	s_delay_alu instid0(VALU_DEP_1) | instskip(NEXT) | instid1(VALU_DEP_1)
	v_and_or_b32 v7, 0x7f800000, v8, v7
	v_cndmask_b32_e32 v6, 0, v7, vcc_lo
	s_delay_alu instid0(VALU_DEP_1)
	v_and_or_b32 v3, 0x80000000, v3, v6
.LBB103_324:
	s_mov_b32 s10, 0
.LBB103_325:
	s_delay_alu instid0(SALU_CYCLE_1)
	s_and_not1_b32 vcc_lo, exec_lo, s10
	s_cbranch_vccnz .LBB103_327
; %bb.326:
	global_load_u8 v3, v[4:5], off
	s_wait_loadcnt 0x0
	v_lshlrev_b32_e32 v6, 25, v3
	v_lshlrev_b16 v3, 8, v3
	s_delay_alu instid0(VALU_DEP_1) | instskip(SKIP_1) | instid1(VALU_DEP_2)
	v_and_or_b32 v8, 0x7f00, v3, 0.5
	v_bfe_i32 v3, v3, 0, 16
	v_dual_add_f32 v8, -0.5, v8 :: v_dual_lshrrev_b32 v7, 4, v6
	v_cmp_gt_u32_e32 vcc_lo, 0x8000000, v6
	s_delay_alu instid0(VALU_DEP_2) | instskip(NEXT) | instid1(VALU_DEP_1)
	v_or_b32_e32 v7, 0x70000000, v7
	v_mul_f32_e32 v7, 0x7800000, v7
	s_delay_alu instid0(VALU_DEP_1) | instskip(NEXT) | instid1(VALU_DEP_1)
	v_cndmask_b32_e32 v6, v7, v8, vcc_lo
	v_and_or_b32 v3, 0x80000000, v3, v6
.LBB103_327:
	s_mov_b32 s41, 0
	s_mov_b32 s10, -1
.LBB103_328:
	s_and_not1_b32 vcc_lo, exec_lo, s41
	s_cbranch_vccnz .LBB103_341
; %bb.329:
	s_cmp_gt_i32 s2, 14
	s_cbranch_scc0 .LBB103_332
; %bb.330:
	s_cmp_eq_u32 s2, 15
	s_cbranch_scc0 .LBB103_335
; %bb.331:
	global_load_u16 v3, v[4:5], off
	s_mov_b32 s10, -1
	s_mov_b32 s29, 0
	s_wait_loadcnt 0x0
	v_lshlrev_b32_e32 v3, 16, v3
	s_branch .LBB103_336
.LBB103_332:
	s_mov_b32 s41, -1
                                        ; implicit-def: $vgpr3
	s_branch .LBB103_337
.LBB103_333:
	s_or_saveexec_b32 s41, s41
	v_mov_b32_e32 v3, 0x7f800001
	s_xor_b32 exec_lo, exec_lo, s41
	s_cbranch_execz .LBB103_314
.LBB103_334:
	v_cmp_ne_u16_e32 vcc_lo, 0, v6
	v_mov_b32_e32 v3, 0
	s_and_not1_b32 s10, s10, exec_lo
	s_and_b32 s42, vcc_lo, exec_lo
	s_delay_alu instid0(SALU_CYCLE_1)
	s_or_b32 s10, s10, s42
	s_or_b32 exec_lo, exec_lo, s41
	s_and_saveexec_b32 s41, s10
	s_cbranch_execnz .LBB103_315
	s_branch .LBB103_316
.LBB103_335:
	s_mov_b32 s29, -1
                                        ; implicit-def: $vgpr3
.LBB103_336:
	s_mov_b32 s41, 0
.LBB103_337:
	s_delay_alu instid0(SALU_CYCLE_1)
	s_and_b32 vcc_lo, exec_lo, s41
	s_cbranch_vccz .LBB103_341
; %bb.338:
	s_cmp_eq_u32 s2, 11
	s_cbranch_scc0 .LBB103_340
; %bb.339:
	global_load_u8 v3, v[4:5], off
	s_mov_b32 s29, 0
	s_mov_b32 s10, -1
	s_wait_loadcnt 0x0
	v_cmp_ne_u16_e32 vcc_lo, 0, v3
	v_cndmask_b32_e64 v3, 0, 1.0, vcc_lo
	s_branch .LBB103_341
.LBB103_340:
	s_mov_b32 s29, -1
                                        ; implicit-def: $vgpr3
.LBB103_341:
	s_branch .LBB103_31
.LBB103_342:
	s_and_b32 s1, 0xffff, s1
	s_delay_alu instid0(SALU_CYCLE_1)
	s_cmp_lt_i32 s1, 5
	s_cbranch_scc1 .LBB103_347
; %bb.343:
	s_cmp_lt_i32 s1, 8
	s_cbranch_scc1 .LBB103_348
; %bb.344:
	s_cmp_lt_i32 s1, 9
	s_cbranch_scc1 .LBB103_349
; %bb.345:
	s_cmp_gt_i32 s1, 9
	s_cbranch_scc0 .LBB103_350
; %bb.346:
	global_load_b64 v[6:7], v[4:5], off
	s_mov_b32 s2, 0
	s_wait_loadcnt 0x0
	v_cvt_f32_f64_e32 v3, v[6:7]
	s_branch .LBB103_351
.LBB103_347:
	s_mov_b32 s2, -1
                                        ; implicit-def: $vgpr3
	s_branch .LBB103_369
.LBB103_348:
	s_mov_b32 s2, -1
                                        ; implicit-def: $vgpr3
	s_branch .LBB103_357
.LBB103_349:
	s_mov_b32 s2, -1
                                        ; implicit-def: $vgpr3
	s_branch .LBB103_354
.LBB103_350:
	s_mov_b32 s2, -1
                                        ; implicit-def: $vgpr3
.LBB103_351:
	s_delay_alu instid0(SALU_CYCLE_1)
	s_and_not1_b32 vcc_lo, exec_lo, s2
	s_cbranch_vccnz .LBB103_353
; %bb.352:
	global_load_b32 v3, v[4:5], off
.LBB103_353:
	s_mov_b32 s2, 0
.LBB103_354:
	s_delay_alu instid0(SALU_CYCLE_1)
	s_and_not1_b32 vcc_lo, exec_lo, s2
	s_cbranch_vccnz .LBB103_356
; %bb.355:
	s_wait_loadcnt 0x0
	global_load_b32 v3, v[4:5], off
	s_wait_loadcnt 0x0
	v_cvt_f32_f16_e32 v3, v3
.LBB103_356:
	s_mov_b32 s2, 0
.LBB103_357:
	s_delay_alu instid0(SALU_CYCLE_1)
	s_and_not1_b32 vcc_lo, exec_lo, s2
	s_cbranch_vccnz .LBB103_368
; %bb.358:
	s_cmp_lt_i32 s1, 6
	s_cbranch_scc1 .LBB103_361
; %bb.359:
	s_cmp_gt_i32 s1, 6
	s_cbranch_scc0 .LBB103_362
; %bb.360:
	global_load_b64 v[6:7], v[4:5], off
	s_mov_b32 s2, 0
	s_wait_loadcnt 0x0
	v_cvt_f32_f64_e32 v3, v[6:7]
	s_branch .LBB103_363
.LBB103_361:
	s_mov_b32 s2, -1
                                        ; implicit-def: $vgpr3
	s_branch .LBB103_366
.LBB103_362:
	s_mov_b32 s2, -1
                                        ; implicit-def: $vgpr3
.LBB103_363:
	s_delay_alu instid0(SALU_CYCLE_1)
	s_and_not1_b32 vcc_lo, exec_lo, s2
	s_cbranch_vccnz .LBB103_365
; %bb.364:
	s_wait_loadcnt 0x0
	global_load_b32 v3, v[4:5], off
.LBB103_365:
	s_mov_b32 s2, 0
.LBB103_366:
	s_delay_alu instid0(SALU_CYCLE_1)
	s_and_not1_b32 vcc_lo, exec_lo, s2
	s_cbranch_vccnz .LBB103_368
; %bb.367:
	s_wait_loadcnt 0x0
	global_load_u16 v3, v[4:5], off
	s_wait_loadcnt 0x0
	v_cvt_f32_f16_e32 v3, v3
.LBB103_368:
	s_mov_b32 s2, 0
.LBB103_369:
	s_delay_alu instid0(SALU_CYCLE_1)
	s_and_not1_b32 vcc_lo, exec_lo, s2
	s_cbranch_vccnz .LBB103_389
; %bb.370:
	s_cmp_lt_i32 s1, 2
	s_cbranch_scc1 .LBB103_374
; %bb.371:
	s_cmp_lt_i32 s1, 3
	s_cbranch_scc1 .LBB103_375
; %bb.372:
	s_cmp_gt_i32 s1, 3
	s_cbranch_scc0 .LBB103_376
; %bb.373:
	global_load_b64 v[6:7], v[4:5], off
	s_mov_b32 s2, 0
	s_wait_loadcnt 0x0
	v_xor_b32_e32 v3, v6, v7
	v_cls_i32_e32 v8, v7
	s_delay_alu instid0(VALU_DEP_2) | instskip(NEXT) | instid1(VALU_DEP_1)
	v_ashrrev_i32_e32 v3, 31, v3
	v_add_nc_u32_e32 v3, 32, v3
	s_delay_alu instid0(VALU_DEP_1) | instskip(NEXT) | instid1(VALU_DEP_1)
	v_add_min_u32_e64 v3, v8, -1, v3
	v_lshlrev_b64_e32 v[6:7], v3, v[6:7]
	v_sub_nc_u32_e32 v3, 32, v3
	s_delay_alu instid0(VALU_DEP_2) | instskip(NEXT) | instid1(VALU_DEP_1)
	v_min_u32_e32 v6, 1, v6
	v_or_b32_e32 v6, v7, v6
	s_delay_alu instid0(VALU_DEP_1) | instskip(NEXT) | instid1(VALU_DEP_1)
	v_cvt_f32_i32_e32 v6, v6
	v_ldexp_f32 v3, v6, v3
	s_branch .LBB103_377
.LBB103_374:
	s_mov_b32 s2, -1
                                        ; implicit-def: $vgpr3
	s_branch .LBB103_383
.LBB103_375:
	s_mov_b32 s2, -1
                                        ; implicit-def: $vgpr3
	s_branch .LBB103_380
.LBB103_376:
	s_mov_b32 s2, -1
                                        ; implicit-def: $vgpr3
.LBB103_377:
	s_delay_alu instid0(SALU_CYCLE_1)
	s_and_not1_b32 vcc_lo, exec_lo, s2
	s_cbranch_vccnz .LBB103_379
; %bb.378:
	s_wait_loadcnt 0x0
	global_load_b32 v3, v[4:5], off
	s_wait_loadcnt 0x0
	v_cvt_f32_i32_e32 v3, v3
.LBB103_379:
	s_mov_b32 s2, 0
.LBB103_380:
	s_delay_alu instid0(SALU_CYCLE_1)
	s_and_not1_b32 vcc_lo, exec_lo, s2
	s_cbranch_vccnz .LBB103_382
; %bb.381:
	s_wait_loadcnt 0x0
	global_load_i16 v3, v[4:5], off
	s_wait_loadcnt 0x0
	v_cvt_f32_i32_e32 v3, v3
.LBB103_382:
	s_mov_b32 s2, 0
.LBB103_383:
	s_delay_alu instid0(SALU_CYCLE_1)
	s_and_not1_b32 vcc_lo, exec_lo, s2
	s_cbranch_vccnz .LBB103_389
; %bb.384:
	s_cmp_gt_i32 s1, 0
	s_mov_b32 s1, 0
	s_cbranch_scc0 .LBB103_386
; %bb.385:
	s_wait_loadcnt 0x0
	global_load_i8 v3, v[4:5], off
	s_wait_loadcnt 0x0
	v_cvt_f32_i32_e32 v3, v3
	s_branch .LBB103_387
.LBB103_386:
	s_mov_b32 s1, -1
                                        ; implicit-def: $vgpr3
.LBB103_387:
	s_delay_alu instid0(SALU_CYCLE_1)
	s_and_not1_b32 vcc_lo, exec_lo, s1
	s_cbranch_vccnz .LBB103_389
; %bb.388:
	s_wait_loadcnt 0x0
	global_load_u8 v3, v[4:5], off
	s_wait_loadcnt 0x0
	v_cvt_f32_ubyte0_e32 v3, v3
.LBB103_389:
	s_branch .LBB103_32
.LBB103_390:
	s_mov_b32 s2, 0
.LBB103_391:
	s_mov_b32 s1, 0
                                        ; implicit-def: $vgpr0
.LBB103_392:
	s_and_b32 s10, s2, exec_lo
	s_and_b32 s41, s29, exec_lo
	;; [unrolled: 1-line block ×3, first 2 shown]
	s_or_not1_b32 s29, s1, exec_lo
.LBB103_393:
	s_wait_xcnt 0x0
	s_or_b32 exec_lo, exec_lo, s43
	s_mov_b32 s45, 0
	s_mov_b32 s28, 0
                                        ; implicit-def: $sgpr2
                                        ; implicit-def: $vgpr6_vgpr7
                                        ; implicit-def: $vgpr4
                                        ; implicit-def: $vgpr2
                                        ; implicit-def: $vgpr3
	s_and_saveexec_b32 s43, s29
	s_cbranch_execz .LBB103_401
; %bb.394:
	s_mov_b32 s48, -1
	s_mov_b32 s44, s42
	s_mov_b32 s46, s41
	;; [unrolled: 1-line block ×3, first 2 shown]
	s_mov_b32 s47, exec_lo
	v_cmpx_gt_i32_e64 s39, v0
	s_cbranch_execz .LBB103_797
; %bb.395:
	s_and_not1_b32 vcc_lo, exec_lo, s34
	s_cbranch_vccnz .LBB103_404
; %bb.396:
	s_and_not1_b32 vcc_lo, exec_lo, s40
	s_cbranch_vccnz .LBB103_405
; %bb.397:
	s_wait_loadcnt 0x0
	v_dual_mov_b32 v2, 0 :: v_dual_mov_b32 v1, v0
	v_dual_mov_b32 v6, 0 :: v_dual_mov_b32 v4, 0
	s_add_co_i32 s1, s38, 1
	s_mov_b64 s[28:29], 0xffffffffffffffe8
	s_and_b32 s1, s1, 30
	s_add_nc_u64 s[28:29], s[20:21], s[28:29]
.LBB103_398:                            ; =>This Inner Loop Header: Depth=1
	s_clause 0x1
	s_load_b128 s[48:51], s[28:29], 0x1c
	s_load_b64 s[44:45], s[28:29], 0x2c
	s_add_co_i32 s1, s1, -2
	s_delay_alu instid0(SALU_CYCLE_1) | instskip(SKIP_2) | instid1(VALU_DEP_1)
	s_cmp_eq_u32 s1, 0
	s_wait_kmcnt 0x0
	v_mul_hi_u32 v3, s49, v1
	v_add_nc_u32_e32 v3, v1, v3
	s_delay_alu instid0(VALU_DEP_1) | instskip(NEXT) | instid1(VALU_DEP_1)
	v_lshrrev_b32_e32 v3, s50, v3
	v_mul_hi_u32 v5, s44, v3
	v_mul_lo_u32 v7, v3, s48
	s_clause 0x1
	s_load_b128 s[52:55], s[28:29], 0xdc
	s_load_b64 s[48:49], s[28:29], 0xec
	s_wait_xcnt 0x0
	s_add_nc_u64 s[28:29], s[28:29], 24
	s_delay_alu instid0(VALU_DEP_1) | instskip(NEXT) | instid1(VALU_DEP_1)
	v_dual_add_nc_u32 v5, v3, v5 :: v_dual_sub_nc_u32 v7, v1, v7
	v_lshrrev_b32_e32 v1, s45, v5
	s_wait_kmcnt 0x0
	s_delay_alu instid0(VALU_DEP_2) | instskip(NEXT) | instid1(VALU_DEP_2)
	v_mad_u32 v2, v7, s52, v2
	v_mul_lo_u32 v5, v1, s51
	v_mad_u32 v4, v7, s54, v4
	v_mad_u32 v6, v7, s53, v6
	s_delay_alu instid0(VALU_DEP_3) | instskip(NEXT) | instid1(VALU_DEP_1)
	v_sub_nc_u32_e32 v3, v3, v5
	v_mad_u32 v2, v3, s55, v2
	s_delay_alu instid0(VALU_DEP_4) | instskip(NEXT) | instid1(VALU_DEP_4)
	v_mad_u32 v4, v3, s49, v4
	v_mad_u32 v6, v3, s48, v6
	s_cbranch_scc0 .LBB103_398
; %bb.399:
	s_bitcmp1_b32 s38, 0
	s_cselect_b32 s1, -1, 0
	s_delay_alu instid0(SALU_CYCLE_1)
	s_and_b32 vcc_lo, exec_lo, s1
	s_cbranch_vccnz .LBB103_406
; %bb.400:
	s_clause 0x1
	s_load_b96 s[44:46], s[28:29], 0x1c
	s_load_b96 s[48:50], s[28:29], 0xdc
	s_wait_kmcnt 0x0
	v_mul_hi_u32 v3, s45, v1
	s_delay_alu instid0(VALU_DEP_1) | instskip(NEXT) | instid1(VALU_DEP_1)
	v_add_nc_u32_e32 v3, v1, v3
	v_lshrrev_b32_e32 v3, s46, v3
	s_delay_alu instid0(VALU_DEP_1) | instskip(NEXT) | instid1(VALU_DEP_1)
	v_mul_lo_u32 v3, v3, s44
	v_sub_nc_u32_e32 v1, v1, v3
	s_delay_alu instid0(VALU_DEP_1)
	v_mad_u32 v2, v1, s48, v2
	v_mad_u32 v6, v1, s49, v6
	;; [unrolled: 1-line block ×3, first 2 shown]
	s_branch .LBB103_406
.LBB103_401:
	s_or_b32 exec_lo, exec_lo, s43
	s_mov_b32 s1, 0
	s_and_saveexec_b32 s3, s42
	s_cbranch_execnz .LBB103_1297
.LBB103_402:
	s_or_b32 exec_lo, exec_lo, s3
	s_and_saveexec_b32 s3, s23
	s_delay_alu instid0(SALU_CYCLE_1)
	s_xor_b32 s3, exec_lo, s3
	s_cbranch_execz .LBB103_1298
.LBB103_403:
	global_load_u8 v0, v[6:7], off
	s_or_b32 s28, s28, exec_lo
	s_wait_loadcnt 0x0
	v_cmp_ne_u16_e32 vcc_lo, 0, v0
	v_cndmask_b32_e64 v3, 0, 1.0, vcc_lo
	s_wait_xcnt 0x0
	s_or_b32 exec_lo, exec_lo, s3
	s_and_saveexec_b32 s3, s45
	s_cbranch_execz .LBB103_1344
	s_branch .LBB103_1299
.LBB103_404:
                                        ; implicit-def: $vgpr4
                                        ; implicit-def: $vgpr6
                                        ; implicit-def: $vgpr2
	s_branch .LBB103_407
.LBB103_405:
	v_dual_mov_b32 v4, 0 :: v_dual_mov_b32 v6, 0
	v_mov_b32_e32 v2, 0
.LBB103_406:
	s_cbranch_execnz .LBB103_409
.LBB103_407:
	s_wait_loadcnt 0x0
	v_mov_b32_e32 v1, 0
	s_and_not1_b32 vcc_lo, exec_lo, s37
	s_delay_alu instid0(VALU_DEP_1) | instskip(NEXT) | instid1(VALU_DEP_1)
	v_mul_u64_e32 v[2:3], s[22:23], v[0:1]
	v_add_nc_u32_e32 v2, v0, v3
	s_delay_alu instid0(VALU_DEP_1) | instskip(NEXT) | instid1(VALU_DEP_1)
	v_lshrrev_b32_e32 v8, s14, v2
	v_mul_lo_u32 v2, v8, s12
	s_delay_alu instid0(VALU_DEP_1) | instskip(NEXT) | instid1(VALU_DEP_1)
	v_sub_nc_u32_e32 v3, v0, v2
	v_mul_lo_u32 v2, v3, s16
	v_mul_lo_u32 v4, v3, s18
	;; [unrolled: 1-line block ×3, first 2 shown]
	s_cbranch_vccnz .LBB103_409
; %bb.408:
	v_mov_b32_e32 v9, v1
	s_delay_alu instid0(VALU_DEP_1) | instskip(NEXT) | instid1(VALU_DEP_1)
	v_mul_u64_e32 v[10:11], s[26:27], v[8:9]
	v_add_nc_u32_e32 v1, v8, v11
	s_delay_alu instid0(VALU_DEP_1) | instskip(NEXT) | instid1(VALU_DEP_1)
	v_lshrrev_b32_e32 v1, s3, v1
	v_mul_lo_u32 v1, v1, s15
	s_delay_alu instid0(VALU_DEP_1) | instskip(NEXT) | instid1(VALU_DEP_1)
	v_sub_nc_u32_e32 v1, v8, v1
	v_mad_u32 v2, v1, s19, v2
	v_mad_u32 v6, v1, s24, v6
	;; [unrolled: 1-line block ×3, first 2 shown]
.LBB103_409:
	v_mov_b32_e32 v7, 0
	s_and_b32 s1, s36, 0xff
	s_delay_alu instid0(SALU_CYCLE_1) | instskip(NEXT) | instid1(VALU_DEP_1)
	s_cmp_lt_i32 s1, 11
	v_add_nc_u64_e32 v[6:7], s[6:7], v[6:7]
	s_cbranch_scc1 .LBB103_416
; %bb.410:
	s_and_b32 s2, 0xffff, s1
	s_delay_alu instid0(SALU_CYCLE_1)
	s_cmp_gt_i32 s2, 25
	s_cbranch_scc0 .LBB103_425
; %bb.411:
	s_cmp_gt_i32 s2, 28
	s_cbranch_scc0 .LBB103_427
; %bb.412:
	;; [unrolled: 3-line block ×4, first 2 shown]
	s_cmp_eq_u32 s2, 46
	s_mov_b32 s44, 0
	s_cbranch_scc0 .LBB103_435
; %bb.415:
	s_wait_loadcnt 0x0
	global_load_b32 v1, v[6:7], off
	s_mov_b32 s29, -1
	s_mov_b32 s28, 0
	s_wait_loadcnt 0x0
	v_lshlrev_b32_e32 v1, 16, v1
	s_branch .LBB103_437
.LBB103_416:
	s_mov_b32 s29, 0
	s_mov_b32 s28, s42
                                        ; implicit-def: $vgpr1
	s_cbranch_execnz .LBB103_503
.LBB103_417:
	s_and_not1_b32 vcc_lo, exec_lo, s29
	s_cbranch_vccnz .LBB103_551
.LBB103_418:
	v_mov_b32_e32 v5, 0
	s_and_b32 s1, s13, 0xff
	s_delay_alu instid0(SALU_CYCLE_1) | instskip(NEXT) | instid1(VALU_DEP_1)
	s_cmp_lt_i32 s1, 11
	v_add_nc_u64_e32 v[4:5], s[8:9], v[4:5]
	s_cbranch_scc1 .LBB103_426
; %bb.419:
	s_and_b32 s2, 0xffff, s1
	s_delay_alu instid0(SALU_CYCLE_1)
	s_cmp_gt_i32 s2, 25
	s_cbranch_scc0 .LBB103_428
; %bb.420:
	s_cmp_gt_i32 s2, 28
	s_cbranch_scc0 .LBB103_430
; %bb.421:
	;; [unrolled: 3-line block ×4, first 2 shown]
	s_cmp_eq_u32 s2, 46
	s_mov_b32 s45, 0
	s_cbranch_scc0 .LBB103_554
; %bb.424:
	s_wait_loadcnt 0x0
	global_load_b32 v3, v[4:5], off
	s_mov_b32 s44, -1
	s_mov_b32 s29, 0
	s_wait_loadcnt 0x0
	v_lshlrev_b32_e32 v3, 16, v3
	s_branch .LBB103_556
.LBB103_425:
	s_mov_b32 s44, -1
	s_mov_b32 s29, 0
	s_mov_b32 s28, s42
                                        ; implicit-def: $vgpr1
	s_branch .LBB103_467
.LBB103_426:
	s_mov_b32 s2, -1
	s_mov_b32 s44, 0
	s_mov_b32 s29, s41
                                        ; implicit-def: $vgpr3
	s_branch .LBB103_621
.LBB103_427:
	s_mov_b32 s44, -1
	s_mov_b32 s29, 0
	s_mov_b32 s28, s42
                                        ; implicit-def: $vgpr1
	s_branch .LBB103_448
.LBB103_428:
	s_mov_b32 s45, -1
	s_mov_b32 s44, 0
	s_mov_b32 s29, s41
                                        ; implicit-def: $vgpr3
	s_branch .LBB103_585
.LBB103_429:
	s_mov_b32 s44, -1
	s_mov_b32 s29, 0
	s_mov_b32 s28, s42
                                        ; implicit-def: $vgpr1
	s_branch .LBB103_443
.LBB103_430:
	s_mov_b32 s45, -1
	s_mov_b32 s44, 0
	s_mov_b32 s29, s41
                                        ; implicit-def: $vgpr3
	s_branch .LBB103_566
.LBB103_431:
	s_mov_b32 s44, -1
	s_mov_b32 s29, 0
	s_mov_b32 s28, s42
	s_branch .LBB103_436
.LBB103_432:
	s_mov_b32 s45, -1
	s_mov_b32 s44, 0
	s_mov_b32 s29, s41
                                        ; implicit-def: $vgpr3
	s_branch .LBB103_561
.LBB103_433:
	s_and_not1_saveexec_b32 s45, s45
	s_cbranch_execz .LBB103_191
.LBB103_434:
	v_add_f32_e32 v1, 0x46000000, v4
	s_and_not1_b32 s44, s44, exec_lo
	s_delay_alu instid0(VALU_DEP_1) | instskip(NEXT) | instid1(VALU_DEP_1)
	v_and_b32_e32 v1, 0xff, v1
	v_cmp_ne_u32_e32 vcc_lo, 0, v1
	s_and_b32 s46, vcc_lo, exec_lo
	s_delay_alu instid0(SALU_CYCLE_1)
	s_or_b32 s44, s44, s46
	s_or_b32 exec_lo, exec_lo, s45
	v_mov_b32_e32 v5, 0
	s_and_saveexec_b32 s45, s44
	s_cbranch_execnz .LBB103_192
	s_branch .LBB103_193
.LBB103_435:
	s_mov_b32 s28, -1
	s_mov_b32 s29, 0
.LBB103_436:
                                        ; implicit-def: $vgpr1
.LBB103_437:
	s_and_b32 vcc_lo, exec_lo, s44
	s_cbranch_vccz .LBB103_442
; %bb.438:
	s_cmp_eq_u32 s2, 44
	s_cbranch_scc0 .LBB103_441
; %bb.439:
	s_wait_loadcnt 0x0
	global_load_u8 v1, v[6:7], off
	s_mov_b32 s28, 0
	s_mov_b32 s29, -1
	s_wait_loadcnt 0x0
	v_lshlrev_b32_e32 v3, 23, v1
	v_cmp_ne_u32_e32 vcc_lo, 0xff, v1
	s_delay_alu instid0(VALU_DEP_2) | instskip(SKIP_1) | instid1(VALU_DEP_2)
	v_cndmask_b32_e32 v3, 0x7f800001, v3, vcc_lo
	v_cmp_ne_u32_e32 vcc_lo, 0, v1
	v_cndmask_b32_e32 v1, 0x400000, v3, vcc_lo
	s_branch .LBB103_442
.LBB103_440:
	s_mov_b32 s45, -1
	s_mov_b32 s44, 0
	s_mov_b32 s29, s41
	s_branch .LBB103_555
.LBB103_441:
	s_mov_b32 s28, -1
                                        ; implicit-def: $vgpr1
.LBB103_442:
	s_mov_b32 s44, 0
.LBB103_443:
	s_delay_alu instid0(SALU_CYCLE_1)
	s_and_b32 vcc_lo, exec_lo, s44
	s_cbranch_vccz .LBB103_447
; %bb.444:
	s_cmp_eq_u32 s2, 29
	s_cbranch_scc0 .LBB103_446
; %bb.445:
	global_load_b64 v[8:9], v[6:7], off
	s_mov_b32 s29, -1
	s_mov_b32 s28, 0
	s_mov_b32 s44, 0
	s_wait_loadcnt 0x0
	v_clz_i32_u32_e32 v1, v9
	s_delay_alu instid0(VALU_DEP_1) | instskip(NEXT) | instid1(VALU_DEP_1)
	v_min_u32_e32 v1, 32, v1
	v_lshlrev_b64_e32 v[8:9], v1, v[8:9]
	v_sub_nc_u32_e32 v1, 32, v1
	s_delay_alu instid0(VALU_DEP_2) | instskip(NEXT) | instid1(VALU_DEP_1)
	v_min_u32_e32 v3, 1, v8
	v_or_b32_e32 v3, v9, v3
	s_delay_alu instid0(VALU_DEP_1) | instskip(NEXT) | instid1(VALU_DEP_1)
	v_cvt_f32_u32_e32 v3, v3
	v_ldexp_f32 v1, v3, v1
	s_branch .LBB103_448
.LBB103_446:
	s_mov_b32 s28, -1
                                        ; implicit-def: $vgpr1
.LBB103_447:
	s_mov_b32 s44, 0
.LBB103_448:
	s_delay_alu instid0(SALU_CYCLE_1)
	s_and_b32 vcc_lo, exec_lo, s44
	s_cbranch_vccz .LBB103_466
; %bb.449:
	s_cmp_lt_i32 s2, 27
	s_cbranch_scc1 .LBB103_452
; %bb.450:
	s_cmp_gt_i32 s2, 27
	s_cbranch_scc0 .LBB103_453
; %bb.451:
	s_wait_loadcnt 0x0
	global_load_b32 v1, v[6:7], off
	s_mov_b32 s29, 0
	s_wait_loadcnt 0x0
	v_cvt_f32_u32_e32 v1, v1
	s_branch .LBB103_454
.LBB103_452:
	s_mov_b32 s29, -1
                                        ; implicit-def: $vgpr1
	s_branch .LBB103_457
.LBB103_453:
	s_mov_b32 s29, -1
                                        ; implicit-def: $vgpr1
.LBB103_454:
	s_delay_alu instid0(SALU_CYCLE_1)
	s_and_not1_b32 vcc_lo, exec_lo, s29
	s_cbranch_vccnz .LBB103_456
; %bb.455:
	s_wait_loadcnt 0x0
	global_load_u16 v1, v[6:7], off
	s_wait_loadcnt 0x0
	v_cvt_f32_u32_e32 v1, v1
.LBB103_456:
	s_mov_b32 s29, 0
.LBB103_457:
	s_delay_alu instid0(SALU_CYCLE_1)
	s_and_not1_b32 vcc_lo, exec_lo, s29
	s_cbranch_vccnz .LBB103_465
; %bb.458:
	s_wait_loadcnt 0x0
	global_load_u8 v3, v[6:7], off
	s_mov_b32 s29, 0
	s_mov_b32 s44, exec_lo
	s_wait_loadcnt 0x0
	v_cmpx_lt_i16_e32 0x7f, v3
	s_xor_b32 s44, exec_lo, s44
	s_cbranch_execz .LBB103_479
; %bb.459:
	s_mov_b32 s29, -1
	s_mov_b32 s45, exec_lo
	v_cmpx_eq_u16_e32 0x80, v3
; %bb.460:
	s_xor_b32 s29, exec_lo, -1
; %bb.461:
	s_or_b32 exec_lo, exec_lo, s45
	s_delay_alu instid0(SALU_CYCLE_1)
	s_and_b32 s29, s29, exec_lo
	s_or_saveexec_b32 s44, s44
	v_mov_b32_e32 v1, 0x7f800001
	s_xor_b32 exec_lo, exec_lo, s44
	s_cbranch_execnz .LBB103_480
.LBB103_462:
	s_or_b32 exec_lo, exec_lo, s44
	s_and_saveexec_b32 s44, s29
	s_cbranch_execz .LBB103_464
.LBB103_463:
	v_and_b32_e32 v1, 0xffff, v3
	s_delay_alu instid0(VALU_DEP_1) | instskip(SKIP_1) | instid1(VALU_DEP_2)
	v_and_b32_e32 v5, 7, v1
	v_bfe_u32 v10, v1, 3, 4
	v_clz_i32_u32_e32 v8, v5
	s_delay_alu instid0(VALU_DEP_2) | instskip(NEXT) | instid1(VALU_DEP_2)
	v_cmp_eq_u32_e32 vcc_lo, 0, v10
	v_min_u32_e32 v8, 32, v8
	s_delay_alu instid0(VALU_DEP_1) | instskip(NEXT) | instid1(VALU_DEP_1)
	v_subrev_nc_u32_e32 v9, 28, v8
	v_dual_lshlrev_b32 v1, v9, v1 :: v_dual_sub_nc_u32 v8, 29, v8
	s_delay_alu instid0(VALU_DEP_1) | instskip(NEXT) | instid1(VALU_DEP_1)
	v_dual_lshlrev_b32 v3, 24, v3 :: v_dual_bitop2_b32 v1, 7, v1 bitop3:0x40
	v_dual_cndmask_b32 v8, v10, v8 :: v_dual_cndmask_b32 v1, v5, v1
	s_delay_alu instid0(VALU_DEP_2) | instskip(NEXT) | instid1(VALU_DEP_2)
	v_and_b32_e32 v3, 0x80000000, v3
	v_lshl_add_u32 v5, v8, 23, 0x3b800000
	s_delay_alu instid0(VALU_DEP_3) | instskip(NEXT) | instid1(VALU_DEP_1)
	v_lshlrev_b32_e32 v1, 20, v1
	v_or3_b32 v1, v3, v5, v1
.LBB103_464:
	s_or_b32 exec_lo, exec_lo, s44
.LBB103_465:
	s_mov_b32 s29, -1
.LBB103_466:
	s_mov_b32 s44, 0
.LBB103_467:
	s_delay_alu instid0(SALU_CYCLE_1)
	s_and_b32 vcc_lo, exec_lo, s44
	s_cbranch_vccz .LBB103_502
; %bb.468:
	s_cmp_gt_i32 s2, 22
	s_cbranch_scc0 .LBB103_478
; %bb.469:
	s_cmp_lt_i32 s2, 24
	s_cbranch_scc1 .LBB103_481
; %bb.470:
	s_cmp_gt_i32 s2, 24
	s_cbranch_scc0 .LBB103_482
; %bb.471:
	s_wait_loadcnt 0x0
	global_load_u8 v3, v[6:7], off
	s_mov_b32 s29, 0
	s_mov_b32 s44, exec_lo
	s_wait_loadcnt 0x0
	v_cmpx_lt_i16_e32 0x7f, v3
	s_xor_b32 s44, exec_lo, s44
	s_cbranch_execz .LBB103_494
; %bb.472:
	s_mov_b32 s29, -1
	s_mov_b32 s45, exec_lo
	v_cmpx_eq_u16_e32 0x80, v3
; %bb.473:
	s_xor_b32 s29, exec_lo, -1
; %bb.474:
	s_or_b32 exec_lo, exec_lo, s45
	s_delay_alu instid0(SALU_CYCLE_1)
	s_and_b32 s29, s29, exec_lo
	s_or_saveexec_b32 s44, s44
	v_mov_b32_e32 v1, 0x7f800001
	s_xor_b32 exec_lo, exec_lo, s44
	s_cbranch_execnz .LBB103_495
.LBB103_475:
	s_or_b32 exec_lo, exec_lo, s44
	s_and_saveexec_b32 s44, s29
	s_cbranch_execz .LBB103_477
.LBB103_476:
	v_and_b32_e32 v1, 0xffff, v3
	s_delay_alu instid0(VALU_DEP_1) | instskip(SKIP_1) | instid1(VALU_DEP_2)
	v_and_b32_e32 v5, 3, v1
	v_bfe_u32 v10, v1, 2, 5
	v_clz_i32_u32_e32 v8, v5
	s_delay_alu instid0(VALU_DEP_2) | instskip(NEXT) | instid1(VALU_DEP_2)
	v_cmp_eq_u32_e32 vcc_lo, 0, v10
	v_min_u32_e32 v8, 32, v8
	s_delay_alu instid0(VALU_DEP_1) | instskip(NEXT) | instid1(VALU_DEP_1)
	v_subrev_nc_u32_e32 v9, 29, v8
	v_dual_lshlrev_b32 v1, v9, v1 :: v_dual_sub_nc_u32 v8, 30, v8
	s_delay_alu instid0(VALU_DEP_1) | instskip(NEXT) | instid1(VALU_DEP_1)
	v_dual_lshlrev_b32 v3, 24, v3 :: v_dual_bitop2_b32 v1, 3, v1 bitop3:0x40
	v_dual_cndmask_b32 v8, v10, v8 :: v_dual_cndmask_b32 v1, v5, v1
	s_delay_alu instid0(VALU_DEP_2) | instskip(NEXT) | instid1(VALU_DEP_2)
	v_and_b32_e32 v3, 0x80000000, v3
	v_lshl_add_u32 v5, v8, 23, 0x37800000
	s_delay_alu instid0(VALU_DEP_3) | instskip(NEXT) | instid1(VALU_DEP_1)
	v_lshlrev_b32_e32 v1, 21, v1
	v_or3_b32 v1, v3, v5, v1
.LBB103_477:
	s_or_b32 exec_lo, exec_lo, s44
	s_mov_b32 s29, 0
	s_branch .LBB103_483
.LBB103_478:
	s_mov_b32 s44, -1
                                        ; implicit-def: $vgpr1
	s_branch .LBB103_489
.LBB103_479:
	s_or_saveexec_b32 s44, s44
	v_mov_b32_e32 v1, 0x7f800001
	s_xor_b32 exec_lo, exec_lo, s44
	s_cbranch_execz .LBB103_462
.LBB103_480:
	v_cmp_ne_u16_e32 vcc_lo, 0, v3
	v_mov_b32_e32 v1, 0
	s_and_not1_b32 s29, s29, exec_lo
	s_and_b32 s45, vcc_lo, exec_lo
	s_delay_alu instid0(SALU_CYCLE_1)
	s_or_b32 s29, s29, s45
	s_or_b32 exec_lo, exec_lo, s44
	s_and_saveexec_b32 s44, s29
	s_cbranch_execnz .LBB103_463
	s_branch .LBB103_464
.LBB103_481:
	s_mov_b32 s29, -1
                                        ; implicit-def: $vgpr1
	s_branch .LBB103_486
.LBB103_482:
	s_mov_b32 s29, -1
                                        ; implicit-def: $vgpr1
.LBB103_483:
	s_delay_alu instid0(SALU_CYCLE_1)
	s_and_b32 vcc_lo, exec_lo, s29
	s_cbranch_vccz .LBB103_485
; %bb.484:
	s_wait_loadcnt 0x0
	global_load_u8 v1, v[6:7], off
	s_wait_loadcnt 0x0
	v_lshlrev_b32_e32 v1, 24, v1
	s_delay_alu instid0(VALU_DEP_1) | instskip(NEXT) | instid1(VALU_DEP_1)
	v_and_b32_e32 v3, 0x7f000000, v1
	v_clz_i32_u32_e32 v5, v3
	v_add_nc_u32_e32 v9, 0x1000000, v3
	v_cmp_ne_u32_e32 vcc_lo, 0, v3
	s_delay_alu instid0(VALU_DEP_3) | instskip(NEXT) | instid1(VALU_DEP_1)
	v_min_u32_e32 v5, 32, v5
	v_sub_nc_u32_e64 v5, v5, 4 clamp
	s_delay_alu instid0(VALU_DEP_1) | instskip(NEXT) | instid1(VALU_DEP_1)
	v_dual_lshlrev_b32 v8, v5, v3 :: v_dual_lshlrev_b32 v5, 23, v5
	v_lshrrev_b32_e32 v8, 4, v8
	s_delay_alu instid0(VALU_DEP_1) | instskip(SKIP_1) | instid1(VALU_DEP_2)
	v_sub_nc_u32_e32 v5, v8, v5
	v_ashrrev_i32_e32 v8, 8, v9
	v_add_nc_u32_e32 v5, 0x3c000000, v5
	s_delay_alu instid0(VALU_DEP_1) | instskip(NEXT) | instid1(VALU_DEP_1)
	v_and_or_b32 v5, 0x7f800000, v8, v5
	v_cndmask_b32_e32 v3, 0, v5, vcc_lo
	s_delay_alu instid0(VALU_DEP_1)
	v_and_or_b32 v1, 0x80000000, v1, v3
.LBB103_485:
	s_mov_b32 s29, 0
.LBB103_486:
	s_delay_alu instid0(SALU_CYCLE_1)
	s_and_not1_b32 vcc_lo, exec_lo, s29
	s_cbranch_vccnz .LBB103_488
; %bb.487:
	s_wait_loadcnt 0x0
	global_load_u8 v1, v[6:7], off
	s_wait_loadcnt 0x0
	v_lshlrev_b32_e32 v3, 25, v1
	v_lshlrev_b16 v1, 8, v1
	s_delay_alu instid0(VALU_DEP_1) | instskip(SKIP_1) | instid1(VALU_DEP_2)
	v_and_or_b32 v8, 0x7f00, v1, 0.5
	v_bfe_i32 v1, v1, 0, 16
	v_dual_add_f32 v8, -0.5, v8 :: v_dual_lshrrev_b32 v5, 4, v3
	v_cmp_gt_u32_e32 vcc_lo, 0x8000000, v3
	s_delay_alu instid0(VALU_DEP_2) | instskip(NEXT) | instid1(VALU_DEP_1)
	v_or_b32_e32 v5, 0x70000000, v5
	v_mul_f32_e32 v5, 0x7800000, v5
	s_delay_alu instid0(VALU_DEP_1) | instskip(NEXT) | instid1(VALU_DEP_1)
	v_cndmask_b32_e32 v3, v5, v8, vcc_lo
	v_and_or_b32 v1, 0x80000000, v1, v3
.LBB103_488:
	s_mov_b32 s44, 0
	s_mov_b32 s29, -1
.LBB103_489:
	s_and_not1_b32 vcc_lo, exec_lo, s44
	s_cbranch_vccnz .LBB103_502
; %bb.490:
	s_cmp_gt_i32 s2, 14
	s_cbranch_scc0 .LBB103_493
; %bb.491:
	s_cmp_eq_u32 s2, 15
	s_cbranch_scc0 .LBB103_496
; %bb.492:
	s_wait_loadcnt 0x0
	global_load_u16 v1, v[6:7], off
	s_mov_b32 s29, -1
	s_mov_b32 s28, 0
	s_wait_loadcnt 0x0
	v_lshlrev_b32_e32 v1, 16, v1
	s_branch .LBB103_497
.LBB103_493:
	s_mov_b32 s44, -1
                                        ; implicit-def: $vgpr1
	s_branch .LBB103_498
.LBB103_494:
	s_or_saveexec_b32 s44, s44
	v_mov_b32_e32 v1, 0x7f800001
	s_xor_b32 exec_lo, exec_lo, s44
	s_cbranch_execz .LBB103_475
.LBB103_495:
	v_cmp_ne_u16_e32 vcc_lo, 0, v3
	v_mov_b32_e32 v1, 0
	s_and_not1_b32 s29, s29, exec_lo
	s_and_b32 s45, vcc_lo, exec_lo
	s_delay_alu instid0(SALU_CYCLE_1)
	s_or_b32 s29, s29, s45
	s_or_b32 exec_lo, exec_lo, s44
	s_and_saveexec_b32 s44, s29
	s_cbranch_execnz .LBB103_476
	s_branch .LBB103_477
.LBB103_496:
	s_mov_b32 s28, -1
                                        ; implicit-def: $vgpr1
.LBB103_497:
	s_mov_b32 s44, 0
.LBB103_498:
	s_delay_alu instid0(SALU_CYCLE_1)
	s_and_b32 vcc_lo, exec_lo, s44
	s_cbranch_vccz .LBB103_502
; %bb.499:
	s_cmp_eq_u32 s2, 11
	s_cbranch_scc0 .LBB103_501
; %bb.500:
	s_wait_loadcnt 0x0
	global_load_u8 v1, v[6:7], off
	s_mov_b32 s28, 0
	s_mov_b32 s29, -1
	s_wait_loadcnt 0x0
	v_cmp_ne_u16_e32 vcc_lo, 0, v1
	v_cndmask_b32_e64 v1, 0, 1.0, vcc_lo
	s_branch .LBB103_502
.LBB103_501:
	s_mov_b32 s28, -1
                                        ; implicit-def: $vgpr1
.LBB103_502:
	s_branch .LBB103_417
.LBB103_503:
	s_and_b32 s1, 0xffff, s1
	s_delay_alu instid0(SALU_CYCLE_1)
	s_cmp_lt_i32 s1, 5
	s_cbranch_scc1 .LBB103_508
; %bb.504:
	s_cmp_lt_i32 s1, 8
	s_cbranch_scc1 .LBB103_509
; %bb.505:
	;; [unrolled: 3-line block ×3, first 2 shown]
	s_cmp_gt_i32 s1, 9
	s_cbranch_scc0 .LBB103_511
; %bb.507:
	global_load_b64 v[8:9], v[6:7], off
	s_mov_b32 s2, 0
	s_wait_loadcnt 0x0
	v_cvt_f32_f64_e32 v1, v[8:9]
	s_branch .LBB103_512
.LBB103_508:
	s_mov_b32 s2, -1
                                        ; implicit-def: $vgpr1
	s_branch .LBB103_530
.LBB103_509:
	s_mov_b32 s2, -1
                                        ; implicit-def: $vgpr1
	s_branch .LBB103_518
.LBB103_510:
	s_mov_b32 s2, -1
                                        ; implicit-def: $vgpr1
	s_branch .LBB103_515
.LBB103_511:
	s_mov_b32 s2, -1
                                        ; implicit-def: $vgpr1
.LBB103_512:
	s_delay_alu instid0(SALU_CYCLE_1)
	s_and_not1_b32 vcc_lo, exec_lo, s2
	s_cbranch_vccnz .LBB103_514
; %bb.513:
	s_wait_loadcnt 0x0
	global_load_b32 v1, v[6:7], off
.LBB103_514:
	s_mov_b32 s2, 0
.LBB103_515:
	s_delay_alu instid0(SALU_CYCLE_1)
	s_and_not1_b32 vcc_lo, exec_lo, s2
	s_cbranch_vccnz .LBB103_517
; %bb.516:
	s_wait_loadcnt 0x0
	global_load_b32 v1, v[6:7], off
	s_wait_loadcnt 0x0
	v_cvt_f32_f16_e32 v1, v1
.LBB103_517:
	s_mov_b32 s2, 0
.LBB103_518:
	s_delay_alu instid0(SALU_CYCLE_1)
	s_and_not1_b32 vcc_lo, exec_lo, s2
	s_cbranch_vccnz .LBB103_529
; %bb.519:
	s_cmp_lt_i32 s1, 6
	s_cbranch_scc1 .LBB103_522
; %bb.520:
	s_cmp_gt_i32 s1, 6
	s_cbranch_scc0 .LBB103_523
; %bb.521:
	global_load_b64 v[8:9], v[6:7], off
	s_mov_b32 s2, 0
	s_wait_loadcnt 0x0
	v_cvt_f32_f64_e32 v1, v[8:9]
	s_branch .LBB103_524
.LBB103_522:
	s_mov_b32 s2, -1
                                        ; implicit-def: $vgpr1
	s_branch .LBB103_527
.LBB103_523:
	s_mov_b32 s2, -1
                                        ; implicit-def: $vgpr1
.LBB103_524:
	s_delay_alu instid0(SALU_CYCLE_1)
	s_and_not1_b32 vcc_lo, exec_lo, s2
	s_cbranch_vccnz .LBB103_526
; %bb.525:
	s_wait_loadcnt 0x0
	global_load_b32 v1, v[6:7], off
.LBB103_526:
	s_mov_b32 s2, 0
.LBB103_527:
	s_delay_alu instid0(SALU_CYCLE_1)
	s_and_not1_b32 vcc_lo, exec_lo, s2
	s_cbranch_vccnz .LBB103_529
; %bb.528:
	s_wait_loadcnt 0x0
	global_load_u16 v1, v[6:7], off
	s_wait_loadcnt 0x0
	v_cvt_f32_f16_e32 v1, v1
.LBB103_529:
	s_mov_b32 s2, 0
.LBB103_530:
	s_delay_alu instid0(SALU_CYCLE_1)
	s_and_not1_b32 vcc_lo, exec_lo, s2
	s_cbranch_vccnz .LBB103_550
; %bb.531:
	s_cmp_lt_i32 s1, 2
	s_cbranch_scc1 .LBB103_535
; %bb.532:
	s_cmp_lt_i32 s1, 3
	s_cbranch_scc1 .LBB103_536
; %bb.533:
	s_cmp_gt_i32 s1, 3
	s_cbranch_scc0 .LBB103_537
; %bb.534:
	global_load_b64 v[8:9], v[6:7], off
	s_mov_b32 s2, 0
	s_wait_loadcnt 0x0
	v_xor_b32_e32 v1, v8, v9
	v_cls_i32_e32 v3, v9
	s_delay_alu instid0(VALU_DEP_2) | instskip(NEXT) | instid1(VALU_DEP_1)
	v_ashrrev_i32_e32 v1, 31, v1
	v_add_nc_u32_e32 v1, 32, v1
	s_delay_alu instid0(VALU_DEP_1) | instskip(NEXT) | instid1(VALU_DEP_1)
	v_add_min_u32_e64 v1, v3, -1, v1
	v_lshlrev_b64_e32 v[8:9], v1, v[8:9]
	v_sub_nc_u32_e32 v1, 32, v1
	s_delay_alu instid0(VALU_DEP_2) | instskip(NEXT) | instid1(VALU_DEP_1)
	v_min_u32_e32 v3, 1, v8
	v_or_b32_e32 v3, v9, v3
	s_delay_alu instid0(VALU_DEP_1) | instskip(NEXT) | instid1(VALU_DEP_1)
	v_cvt_f32_i32_e32 v3, v3
	v_ldexp_f32 v1, v3, v1
	s_branch .LBB103_538
.LBB103_535:
	s_mov_b32 s2, -1
                                        ; implicit-def: $vgpr1
	s_branch .LBB103_544
.LBB103_536:
	s_mov_b32 s2, -1
                                        ; implicit-def: $vgpr1
	s_branch .LBB103_541
.LBB103_537:
	s_mov_b32 s2, -1
                                        ; implicit-def: $vgpr1
.LBB103_538:
	s_delay_alu instid0(SALU_CYCLE_1)
	s_and_not1_b32 vcc_lo, exec_lo, s2
	s_cbranch_vccnz .LBB103_540
; %bb.539:
	s_wait_loadcnt 0x0
	global_load_b32 v1, v[6:7], off
	s_wait_loadcnt 0x0
	v_cvt_f32_i32_e32 v1, v1
.LBB103_540:
	s_mov_b32 s2, 0
.LBB103_541:
	s_delay_alu instid0(SALU_CYCLE_1)
	s_and_not1_b32 vcc_lo, exec_lo, s2
	s_cbranch_vccnz .LBB103_543
; %bb.542:
	s_wait_loadcnt 0x0
	global_load_i16 v1, v[6:7], off
	s_wait_loadcnt 0x0
	v_cvt_f32_i32_e32 v1, v1
.LBB103_543:
	s_mov_b32 s2, 0
.LBB103_544:
	s_delay_alu instid0(SALU_CYCLE_1)
	s_and_not1_b32 vcc_lo, exec_lo, s2
	s_cbranch_vccnz .LBB103_550
; %bb.545:
	s_cmp_gt_i32 s1, 0
	s_mov_b32 s1, 0
	s_cbranch_scc0 .LBB103_547
; %bb.546:
	s_wait_loadcnt 0x0
	global_load_i8 v1, v[6:7], off
	s_wait_loadcnt 0x0
	v_cvt_f32_i32_e32 v1, v1
	s_branch .LBB103_548
.LBB103_547:
	s_mov_b32 s1, -1
                                        ; implicit-def: $vgpr1
.LBB103_548:
	s_delay_alu instid0(SALU_CYCLE_1)
	s_and_not1_b32 vcc_lo, exec_lo, s1
	s_cbranch_vccnz .LBB103_550
; %bb.549:
	s_wait_loadcnt 0x0
	global_load_u8 v1, v[6:7], off
	s_wait_loadcnt 0x0
	v_cvt_f32_ubyte0_e32 v1, v1
.LBB103_550:
	s_branch .LBB103_418
.LBB103_551:
	s_mov_b32 s1, 0
	s_mov_b32 s2, s10
	;; [unrolled: 1-line block ×3, first 2 shown]
	s_branch .LBB103_795
.LBB103_552:
	s_and_not1_saveexec_b32 s45, s45
	s_cbranch_execz .LBB103_204
.LBB103_553:
	v_add_f32_e32 v1, 0x42800000, v4
	s_and_not1_b32 s44, s44, exec_lo
	s_delay_alu instid0(VALU_DEP_1) | instskip(NEXT) | instid1(VALU_DEP_1)
	v_and_b32_e32 v1, 0xff, v1
	v_cmp_ne_u32_e32 vcc_lo, 0, v1
	s_and_b32 s46, vcc_lo, exec_lo
	s_delay_alu instid0(SALU_CYCLE_1)
	s_or_b32 s44, s44, s46
	s_or_b32 exec_lo, exec_lo, s45
	v_mov_b32_e32 v5, 0
	s_and_saveexec_b32 s45, s44
	s_cbranch_execnz .LBB103_205
	s_branch .LBB103_206
.LBB103_554:
	s_mov_b32 s29, -1
	s_mov_b32 s44, 0
.LBB103_555:
                                        ; implicit-def: $vgpr3
.LBB103_556:
	s_and_b32 vcc_lo, exec_lo, s45
	s_cbranch_vccz .LBB103_560
; %bb.557:
	s_cmp_eq_u32 s2, 44
	s_cbranch_scc0 .LBB103_559
; %bb.558:
	s_wait_loadcnt 0x0
	global_load_u8 v3, v[4:5], off
	s_mov_b32 s29, 0
	s_mov_b32 s44, -1
	s_wait_loadcnt 0x0
	s_wait_xcnt 0x1
	v_lshlrev_b32_e32 v6, 23, v3
	v_cmp_ne_u32_e32 vcc_lo, 0xff, v3
	s_delay_alu instid0(VALU_DEP_2) | instskip(SKIP_1) | instid1(VALU_DEP_2)
	v_cndmask_b32_e32 v6, 0x7f800001, v6, vcc_lo
	v_cmp_ne_u32_e32 vcc_lo, 0, v3
	v_cndmask_b32_e32 v3, 0x400000, v6, vcc_lo
	s_branch .LBB103_560
.LBB103_559:
	s_mov_b32 s29, -1
                                        ; implicit-def: $vgpr3
.LBB103_560:
	s_mov_b32 s45, 0
.LBB103_561:
	s_delay_alu instid0(SALU_CYCLE_1)
	s_and_b32 vcc_lo, exec_lo, s45
	s_cbranch_vccz .LBB103_565
; %bb.562:
	s_cmp_eq_u32 s2, 29
	s_cbranch_scc0 .LBB103_564
; %bb.563:
	global_load_b64 v[6:7], v[4:5], off
	s_mov_b32 s44, -1
	s_mov_b32 s29, 0
	s_mov_b32 s45, 0
	s_wait_loadcnt 0x0
	v_clz_i32_u32_e32 v3, v7
	s_delay_alu instid0(VALU_DEP_1) | instskip(NEXT) | instid1(VALU_DEP_1)
	v_min_u32_e32 v3, 32, v3
	v_lshlrev_b64_e32 v[6:7], v3, v[6:7]
	v_sub_nc_u32_e32 v3, 32, v3
	s_delay_alu instid0(VALU_DEP_2) | instskip(NEXT) | instid1(VALU_DEP_1)
	v_min_u32_e32 v6, 1, v6
	v_or_b32_e32 v6, v7, v6
	s_delay_alu instid0(VALU_DEP_1) | instskip(NEXT) | instid1(VALU_DEP_1)
	v_cvt_f32_u32_e32 v6, v6
	v_ldexp_f32 v3, v6, v3
	s_branch .LBB103_566
.LBB103_564:
	s_mov_b32 s29, -1
                                        ; implicit-def: $vgpr3
.LBB103_565:
	s_mov_b32 s45, 0
.LBB103_566:
	s_delay_alu instid0(SALU_CYCLE_1)
	s_and_b32 vcc_lo, exec_lo, s45
	s_cbranch_vccz .LBB103_584
; %bb.567:
	s_cmp_lt_i32 s2, 27
	s_cbranch_scc1 .LBB103_570
; %bb.568:
	s_cmp_gt_i32 s2, 27
	s_cbranch_scc0 .LBB103_571
; %bb.569:
	s_wait_loadcnt 0x0
	global_load_b32 v3, v[4:5], off
	s_mov_b32 s44, 0
	s_wait_loadcnt 0x0
	v_cvt_f32_u32_e32 v3, v3
	s_branch .LBB103_572
.LBB103_570:
	s_mov_b32 s44, -1
                                        ; implicit-def: $vgpr3
	s_branch .LBB103_575
.LBB103_571:
	s_mov_b32 s44, -1
                                        ; implicit-def: $vgpr3
.LBB103_572:
	s_delay_alu instid0(SALU_CYCLE_1)
	s_and_not1_b32 vcc_lo, exec_lo, s44
	s_cbranch_vccnz .LBB103_574
; %bb.573:
	s_wait_loadcnt 0x0
	global_load_u16 v3, v[4:5], off
	s_wait_loadcnt 0x0
	v_cvt_f32_u32_e32 v3, v3
.LBB103_574:
	s_mov_b32 s44, 0
.LBB103_575:
	s_delay_alu instid0(SALU_CYCLE_1)
	s_and_not1_b32 vcc_lo, exec_lo, s44
	s_cbranch_vccnz .LBB103_583
; %bb.576:
	global_load_u8 v6, v[4:5], off
	s_mov_b32 s44, 0
	s_mov_b32 s45, exec_lo
	s_wait_loadcnt 0x0
	v_cmpx_lt_i16_e32 0x7f, v6
	s_xor_b32 s45, exec_lo, s45
	s_cbranch_execz .LBB103_597
; %bb.577:
	s_mov_b32 s44, -1
	s_mov_b32 s46, exec_lo
	v_cmpx_eq_u16_e32 0x80, v6
; %bb.578:
	s_xor_b32 s44, exec_lo, -1
; %bb.579:
	s_or_b32 exec_lo, exec_lo, s46
	s_delay_alu instid0(SALU_CYCLE_1)
	s_and_b32 s44, s44, exec_lo
	s_or_saveexec_b32 s45, s45
	v_mov_b32_e32 v3, 0x7f800001
	s_xor_b32 exec_lo, exec_lo, s45
	s_cbranch_execnz .LBB103_598
.LBB103_580:
	s_or_b32 exec_lo, exec_lo, s45
	s_and_saveexec_b32 s45, s44
	s_cbranch_execz .LBB103_582
.LBB103_581:
	v_and_b32_e32 v3, 0xffff, v6
	s_delay_alu instid0(VALU_DEP_1) | instskip(SKIP_1) | instid1(VALU_DEP_2)
	v_and_b32_e32 v7, 7, v3
	v_bfe_u32 v10, v3, 3, 4
	v_clz_i32_u32_e32 v8, v7
	s_delay_alu instid0(VALU_DEP_2) | instskip(NEXT) | instid1(VALU_DEP_2)
	v_cmp_eq_u32_e32 vcc_lo, 0, v10
	v_min_u32_e32 v8, 32, v8
	s_delay_alu instid0(VALU_DEP_1) | instskip(NEXT) | instid1(VALU_DEP_1)
	v_subrev_nc_u32_e32 v9, 28, v8
	v_dual_lshlrev_b32 v3, v9, v3 :: v_dual_sub_nc_u32 v8, 29, v8
	s_delay_alu instid0(VALU_DEP_1) | instskip(NEXT) | instid1(VALU_DEP_1)
	v_dual_lshlrev_b32 v6, 24, v6 :: v_dual_bitop2_b32 v3, 7, v3 bitop3:0x40
	v_dual_cndmask_b32 v8, v10, v8 :: v_dual_cndmask_b32 v3, v7, v3
	s_delay_alu instid0(VALU_DEP_2) | instskip(NEXT) | instid1(VALU_DEP_2)
	v_and_b32_e32 v6, 0x80000000, v6
	v_lshl_add_u32 v7, v8, 23, 0x3b800000
	s_delay_alu instid0(VALU_DEP_3) | instskip(NEXT) | instid1(VALU_DEP_1)
	v_lshlrev_b32_e32 v3, 20, v3
	v_or3_b32 v3, v6, v7, v3
.LBB103_582:
	s_or_b32 exec_lo, exec_lo, s45
.LBB103_583:
	s_mov_b32 s44, -1
.LBB103_584:
	s_mov_b32 s45, 0
.LBB103_585:
	s_delay_alu instid0(SALU_CYCLE_1)
	s_and_b32 vcc_lo, exec_lo, s45
	s_cbranch_vccz .LBB103_620
; %bb.586:
	s_cmp_gt_i32 s2, 22
	s_cbranch_scc0 .LBB103_596
; %bb.587:
	s_cmp_lt_i32 s2, 24
	s_cbranch_scc1 .LBB103_599
; %bb.588:
	s_cmp_gt_i32 s2, 24
	s_cbranch_scc0 .LBB103_600
; %bb.589:
	global_load_u8 v6, v[4:5], off
	s_mov_b32 s44, 0
	s_mov_b32 s45, exec_lo
	s_wait_loadcnt 0x0
	v_cmpx_lt_i16_e32 0x7f, v6
	s_xor_b32 s45, exec_lo, s45
	s_cbranch_execz .LBB103_612
; %bb.590:
	s_mov_b32 s44, -1
	s_mov_b32 s46, exec_lo
	v_cmpx_eq_u16_e32 0x80, v6
; %bb.591:
	s_xor_b32 s44, exec_lo, -1
; %bb.592:
	s_or_b32 exec_lo, exec_lo, s46
	s_delay_alu instid0(SALU_CYCLE_1)
	s_and_b32 s44, s44, exec_lo
	s_or_saveexec_b32 s45, s45
	v_mov_b32_e32 v3, 0x7f800001
	s_xor_b32 exec_lo, exec_lo, s45
	s_cbranch_execnz .LBB103_613
.LBB103_593:
	s_or_b32 exec_lo, exec_lo, s45
	s_and_saveexec_b32 s45, s44
	s_cbranch_execz .LBB103_595
.LBB103_594:
	v_and_b32_e32 v3, 0xffff, v6
	s_delay_alu instid0(VALU_DEP_1) | instskip(SKIP_1) | instid1(VALU_DEP_2)
	v_and_b32_e32 v7, 3, v3
	v_bfe_u32 v10, v3, 2, 5
	v_clz_i32_u32_e32 v8, v7
	s_delay_alu instid0(VALU_DEP_2) | instskip(NEXT) | instid1(VALU_DEP_2)
	v_cmp_eq_u32_e32 vcc_lo, 0, v10
	v_min_u32_e32 v8, 32, v8
	s_delay_alu instid0(VALU_DEP_1) | instskip(NEXT) | instid1(VALU_DEP_1)
	v_subrev_nc_u32_e32 v9, 29, v8
	v_dual_lshlrev_b32 v3, v9, v3 :: v_dual_sub_nc_u32 v8, 30, v8
	s_delay_alu instid0(VALU_DEP_1) | instskip(NEXT) | instid1(VALU_DEP_1)
	v_dual_lshlrev_b32 v6, 24, v6 :: v_dual_bitop2_b32 v3, 3, v3 bitop3:0x40
	v_dual_cndmask_b32 v8, v10, v8 :: v_dual_cndmask_b32 v3, v7, v3
	s_delay_alu instid0(VALU_DEP_2) | instskip(NEXT) | instid1(VALU_DEP_2)
	v_and_b32_e32 v6, 0x80000000, v6
	v_lshl_add_u32 v7, v8, 23, 0x37800000
	s_delay_alu instid0(VALU_DEP_3) | instskip(NEXT) | instid1(VALU_DEP_1)
	v_lshlrev_b32_e32 v3, 21, v3
	v_or3_b32 v3, v6, v7, v3
.LBB103_595:
	s_or_b32 exec_lo, exec_lo, s45
	s_mov_b32 s44, 0
	s_branch .LBB103_601
.LBB103_596:
	s_mov_b32 s45, -1
                                        ; implicit-def: $vgpr3
	s_branch .LBB103_607
.LBB103_597:
	s_or_saveexec_b32 s45, s45
	v_mov_b32_e32 v3, 0x7f800001
	s_xor_b32 exec_lo, exec_lo, s45
	s_cbranch_execz .LBB103_580
.LBB103_598:
	v_cmp_ne_u16_e32 vcc_lo, 0, v6
	v_mov_b32_e32 v3, 0
	s_and_not1_b32 s44, s44, exec_lo
	s_and_b32 s46, vcc_lo, exec_lo
	s_delay_alu instid0(SALU_CYCLE_1)
	s_or_b32 s44, s44, s46
	s_or_b32 exec_lo, exec_lo, s45
	s_and_saveexec_b32 s45, s44
	s_cbranch_execnz .LBB103_581
	s_branch .LBB103_582
.LBB103_599:
	s_mov_b32 s44, -1
                                        ; implicit-def: $vgpr3
	s_branch .LBB103_604
.LBB103_600:
	s_mov_b32 s44, -1
                                        ; implicit-def: $vgpr3
.LBB103_601:
	s_delay_alu instid0(SALU_CYCLE_1)
	s_and_b32 vcc_lo, exec_lo, s44
	s_cbranch_vccz .LBB103_603
; %bb.602:
	s_wait_loadcnt 0x0
	global_load_u8 v3, v[4:5], off
	s_wait_loadcnt 0x0
	v_lshlrev_b32_e32 v3, 24, v3
	s_wait_xcnt 0x1
	s_delay_alu instid0(VALU_DEP_1) | instskip(NEXT) | instid1(VALU_DEP_1)
	v_and_b32_e32 v6, 0x7f000000, v3
	v_clz_i32_u32_e32 v7, v6
	v_cmp_ne_u32_e32 vcc_lo, 0, v6
	v_add_nc_u32_e32 v9, 0x1000000, v6
	s_delay_alu instid0(VALU_DEP_3) | instskip(NEXT) | instid1(VALU_DEP_1)
	v_min_u32_e32 v7, 32, v7
	v_sub_nc_u32_e64 v7, v7, 4 clamp
	s_delay_alu instid0(VALU_DEP_1) | instskip(NEXT) | instid1(VALU_DEP_1)
	v_dual_lshlrev_b32 v8, v7, v6 :: v_dual_lshlrev_b32 v7, 23, v7
	v_lshrrev_b32_e32 v8, 4, v8
	s_delay_alu instid0(VALU_DEP_1) | instskip(NEXT) | instid1(VALU_DEP_1)
	v_dual_sub_nc_u32 v7, v8, v7 :: v_dual_ashrrev_i32 v8, 8, v9
	v_add_nc_u32_e32 v7, 0x3c000000, v7
	s_delay_alu instid0(VALU_DEP_1) | instskip(NEXT) | instid1(VALU_DEP_1)
	v_and_or_b32 v7, 0x7f800000, v8, v7
	v_cndmask_b32_e32 v6, 0, v7, vcc_lo
	s_delay_alu instid0(VALU_DEP_1)
	v_and_or_b32 v3, 0x80000000, v3, v6
.LBB103_603:
	s_mov_b32 s44, 0
.LBB103_604:
	s_delay_alu instid0(SALU_CYCLE_1)
	s_and_not1_b32 vcc_lo, exec_lo, s44
	s_cbranch_vccnz .LBB103_606
; %bb.605:
	s_wait_loadcnt 0x0
	global_load_u8 v3, v[4:5], off
	s_wait_loadcnt 0x0
	s_wait_xcnt 0x1
	v_lshlrev_b32_e32 v6, 25, v3
	v_lshlrev_b16 v3, 8, v3
	s_delay_alu instid0(VALU_DEP_1) | instskip(SKIP_1) | instid1(VALU_DEP_2)
	v_and_or_b32 v8, 0x7f00, v3, 0.5
	v_bfe_i32 v3, v3, 0, 16
	v_dual_add_f32 v8, -0.5, v8 :: v_dual_lshrrev_b32 v7, 4, v6
	v_cmp_gt_u32_e32 vcc_lo, 0x8000000, v6
	s_delay_alu instid0(VALU_DEP_2) | instskip(NEXT) | instid1(VALU_DEP_1)
	v_or_b32_e32 v7, 0x70000000, v7
	v_mul_f32_e32 v7, 0x7800000, v7
	s_delay_alu instid0(VALU_DEP_1) | instskip(NEXT) | instid1(VALU_DEP_1)
	v_cndmask_b32_e32 v6, v7, v8, vcc_lo
	v_and_or_b32 v3, 0x80000000, v3, v6
.LBB103_606:
	s_mov_b32 s45, 0
	s_mov_b32 s44, -1
.LBB103_607:
	s_and_not1_b32 vcc_lo, exec_lo, s45
	s_cbranch_vccnz .LBB103_620
; %bb.608:
	s_cmp_gt_i32 s2, 14
	s_cbranch_scc0 .LBB103_611
; %bb.609:
	s_cmp_eq_u32 s2, 15
	s_cbranch_scc0 .LBB103_614
; %bb.610:
	s_wait_loadcnt 0x0
	global_load_u16 v3, v[4:5], off
	s_mov_b32 s44, -1
	s_mov_b32 s29, 0
	s_wait_loadcnt 0x0
	v_lshlrev_b32_e32 v3, 16, v3
	s_branch .LBB103_615
.LBB103_611:
	s_mov_b32 s45, -1
                                        ; implicit-def: $vgpr3
	s_branch .LBB103_616
.LBB103_612:
	s_or_saveexec_b32 s45, s45
	v_mov_b32_e32 v3, 0x7f800001
	s_xor_b32 exec_lo, exec_lo, s45
	s_cbranch_execz .LBB103_593
.LBB103_613:
	v_cmp_ne_u16_e32 vcc_lo, 0, v6
	v_mov_b32_e32 v3, 0
	s_and_not1_b32 s44, s44, exec_lo
	s_and_b32 s46, vcc_lo, exec_lo
	s_delay_alu instid0(SALU_CYCLE_1)
	s_or_b32 s44, s44, s46
	s_or_b32 exec_lo, exec_lo, s45
	s_and_saveexec_b32 s45, s44
	s_cbranch_execnz .LBB103_594
	s_branch .LBB103_595
.LBB103_614:
	s_mov_b32 s29, -1
                                        ; implicit-def: $vgpr3
.LBB103_615:
	s_mov_b32 s45, 0
.LBB103_616:
	s_delay_alu instid0(SALU_CYCLE_1)
	s_and_b32 vcc_lo, exec_lo, s45
	s_cbranch_vccz .LBB103_620
; %bb.617:
	s_cmp_eq_u32 s2, 11
	s_cbranch_scc0 .LBB103_619
; %bb.618:
	s_wait_loadcnt 0x0
	global_load_u8 v3, v[4:5], off
	s_mov_b32 s29, 0
	s_mov_b32 s44, -1
	s_wait_loadcnt 0x0
	v_cmp_ne_u16_e32 vcc_lo, 0, v3
	v_cndmask_b32_e64 v3, 0, 1.0, vcc_lo
	s_branch .LBB103_620
.LBB103_619:
	s_mov_b32 s29, -1
                                        ; implicit-def: $vgpr3
.LBB103_620:
	s_mov_b32 s2, 0
.LBB103_621:
	s_delay_alu instid0(SALU_CYCLE_1)
	s_and_b32 vcc_lo, exec_lo, s2
	s_cbranch_vccz .LBB103_670
; %bb.622:
	s_and_b32 s1, 0xffff, s1
	s_delay_alu instid0(SALU_CYCLE_1)
	s_cmp_lt_i32 s1, 5
	s_cbranch_scc1 .LBB103_627
; %bb.623:
	s_cmp_lt_i32 s1, 8
	s_cbranch_scc1 .LBB103_628
; %bb.624:
	;; [unrolled: 3-line block ×3, first 2 shown]
	s_cmp_gt_i32 s1, 9
	s_cbranch_scc0 .LBB103_630
; %bb.626:
	global_load_b64 v[6:7], v[4:5], off
	s_mov_b32 s2, 0
	s_wait_loadcnt 0x0
	v_cvt_f32_f64_e32 v3, v[6:7]
	s_branch .LBB103_631
.LBB103_627:
	s_mov_b32 s2, -1
                                        ; implicit-def: $vgpr3
	s_branch .LBB103_649
.LBB103_628:
	s_mov_b32 s2, -1
                                        ; implicit-def: $vgpr3
	s_branch .LBB103_637
.LBB103_629:
	s_mov_b32 s2, -1
                                        ; implicit-def: $vgpr3
	s_branch .LBB103_634
.LBB103_630:
	s_mov_b32 s2, -1
                                        ; implicit-def: $vgpr3
.LBB103_631:
	s_delay_alu instid0(SALU_CYCLE_1)
	s_and_not1_b32 vcc_lo, exec_lo, s2
	s_cbranch_vccnz .LBB103_633
; %bb.632:
	s_wait_loadcnt 0x0
	global_load_b32 v3, v[4:5], off
.LBB103_633:
	s_mov_b32 s2, 0
.LBB103_634:
	s_delay_alu instid0(SALU_CYCLE_1)
	s_and_not1_b32 vcc_lo, exec_lo, s2
	s_cbranch_vccnz .LBB103_636
; %bb.635:
	s_wait_loadcnt 0x0
	global_load_b32 v3, v[4:5], off
	s_wait_loadcnt 0x0
	v_cvt_f32_f16_e32 v3, v3
.LBB103_636:
	s_mov_b32 s2, 0
.LBB103_637:
	s_delay_alu instid0(SALU_CYCLE_1)
	s_and_not1_b32 vcc_lo, exec_lo, s2
	s_cbranch_vccnz .LBB103_648
; %bb.638:
	s_cmp_lt_i32 s1, 6
	s_cbranch_scc1 .LBB103_641
; %bb.639:
	s_cmp_gt_i32 s1, 6
	s_cbranch_scc0 .LBB103_642
; %bb.640:
	global_load_b64 v[6:7], v[4:5], off
	s_mov_b32 s2, 0
	s_wait_loadcnt 0x0
	v_cvt_f32_f64_e32 v3, v[6:7]
	s_branch .LBB103_643
.LBB103_641:
	s_mov_b32 s2, -1
                                        ; implicit-def: $vgpr3
	s_branch .LBB103_646
.LBB103_642:
	s_mov_b32 s2, -1
                                        ; implicit-def: $vgpr3
.LBB103_643:
	s_delay_alu instid0(SALU_CYCLE_1)
	s_and_not1_b32 vcc_lo, exec_lo, s2
	s_cbranch_vccnz .LBB103_645
; %bb.644:
	s_wait_loadcnt 0x0
	global_load_b32 v3, v[4:5], off
.LBB103_645:
	s_mov_b32 s2, 0
.LBB103_646:
	s_delay_alu instid0(SALU_CYCLE_1)
	s_and_not1_b32 vcc_lo, exec_lo, s2
	s_cbranch_vccnz .LBB103_648
; %bb.647:
	s_wait_loadcnt 0x0
	global_load_u16 v3, v[4:5], off
	s_wait_loadcnt 0x0
	v_cvt_f32_f16_e32 v3, v3
.LBB103_648:
	s_mov_b32 s2, 0
.LBB103_649:
	s_delay_alu instid0(SALU_CYCLE_1)
	s_and_not1_b32 vcc_lo, exec_lo, s2
	s_cbranch_vccnz .LBB103_669
; %bb.650:
	s_cmp_lt_i32 s1, 2
	s_cbranch_scc1 .LBB103_654
; %bb.651:
	s_cmp_lt_i32 s1, 3
	s_cbranch_scc1 .LBB103_655
; %bb.652:
	s_cmp_gt_i32 s1, 3
	s_cbranch_scc0 .LBB103_656
; %bb.653:
	global_load_b64 v[6:7], v[4:5], off
	s_mov_b32 s2, 0
	s_wait_loadcnt 0x0
	v_xor_b32_e32 v3, v6, v7
	v_cls_i32_e32 v8, v7
	s_delay_alu instid0(VALU_DEP_2) | instskip(NEXT) | instid1(VALU_DEP_1)
	v_ashrrev_i32_e32 v3, 31, v3
	v_add_nc_u32_e32 v3, 32, v3
	s_delay_alu instid0(VALU_DEP_1) | instskip(NEXT) | instid1(VALU_DEP_1)
	v_add_min_u32_e64 v3, v8, -1, v3
	v_lshlrev_b64_e32 v[6:7], v3, v[6:7]
	v_sub_nc_u32_e32 v3, 32, v3
	s_delay_alu instid0(VALU_DEP_2) | instskip(NEXT) | instid1(VALU_DEP_1)
	v_min_u32_e32 v6, 1, v6
	v_or_b32_e32 v6, v7, v6
	s_delay_alu instid0(VALU_DEP_1) | instskip(NEXT) | instid1(VALU_DEP_1)
	v_cvt_f32_i32_e32 v6, v6
	v_ldexp_f32 v3, v6, v3
	s_branch .LBB103_657
.LBB103_654:
	s_mov_b32 s2, -1
                                        ; implicit-def: $vgpr3
	s_branch .LBB103_663
.LBB103_655:
	s_mov_b32 s2, -1
                                        ; implicit-def: $vgpr3
	s_branch .LBB103_660
.LBB103_656:
	s_mov_b32 s2, -1
                                        ; implicit-def: $vgpr3
.LBB103_657:
	s_delay_alu instid0(SALU_CYCLE_1)
	s_and_not1_b32 vcc_lo, exec_lo, s2
	s_cbranch_vccnz .LBB103_659
; %bb.658:
	s_wait_loadcnt 0x0
	global_load_b32 v3, v[4:5], off
	s_wait_loadcnt 0x0
	v_cvt_f32_i32_e32 v3, v3
.LBB103_659:
	s_mov_b32 s2, 0
.LBB103_660:
	s_delay_alu instid0(SALU_CYCLE_1)
	s_and_not1_b32 vcc_lo, exec_lo, s2
	s_cbranch_vccnz .LBB103_662
; %bb.661:
	s_wait_loadcnt 0x0
	global_load_i16 v3, v[4:5], off
	s_wait_loadcnt 0x0
	v_cvt_f32_i32_e32 v3, v3
.LBB103_662:
	s_mov_b32 s2, 0
.LBB103_663:
	s_delay_alu instid0(SALU_CYCLE_1)
	s_and_not1_b32 vcc_lo, exec_lo, s2
	s_cbranch_vccnz .LBB103_669
; %bb.664:
	s_cmp_gt_i32 s1, 0
	s_mov_b32 s1, 0
	s_cbranch_scc0 .LBB103_666
; %bb.665:
	s_wait_loadcnt 0x0
	global_load_i8 v3, v[4:5], off
	s_wait_loadcnt 0x0
	v_cvt_f32_i32_e32 v3, v3
	s_branch .LBB103_667
.LBB103_666:
	s_mov_b32 s1, -1
                                        ; implicit-def: $vgpr3
.LBB103_667:
	s_delay_alu instid0(SALU_CYCLE_1)
	s_and_not1_b32 vcc_lo, exec_lo, s1
	s_cbranch_vccnz .LBB103_669
; %bb.668:
	s_wait_loadcnt 0x0
	global_load_u8 v3, v[4:5], off
	s_wait_loadcnt 0x0
	v_cvt_f32_ubyte0_e32 v3, v3
.LBB103_669:
	s_mov_b32 s44, -1
.LBB103_670:
	s_delay_alu instid0(SALU_CYCLE_1)
	s_and_not1_b32 vcc_lo, exec_lo, s44
	s_cbranch_vccnz .LBB103_678
; %bb.671:
	s_wait_loadcnt 0x0
	s_delay_alu instid0(VALU_DEP_1) | instskip(SKIP_1) | instid1(SALU_CYCLE_1)
	v_cmp_eq_f32_e32 vcc_lo, v1, v3
	s_and_b32 s44, s11, 0xff
	s_cmp_lt_i32 s44, 11
	s_wait_xcnt 0x0
	v_cndmask_b32_e64 v4, 0, 1, vcc_lo
	v_cmp_neq_f32_e32 vcc_lo, v1, v3
	v_mov_b32_e32 v3, 0
	v_cndmask_b32_e64 v1, 0, 1, vcc_lo
	s_delay_alu instid0(VALU_DEP_2) | instskip(NEXT) | instid1(VALU_DEP_2)
	v_add_nc_u64_e32 v[2:3], s[4:5], v[2:3]
	v_cndmask_b32_e64 v1, v1, v4, s0
	s_delay_alu instid0(VALU_DEP_1) | instskip(NEXT) | instid1(VALU_DEP_1)
	v_and_b32_e32 v1, 1, v1
	v_cmp_eq_u32_e64 s1, 1, v1
	s_cbranch_scc1 .LBB103_679
; %bb.672:
	s_and_b32 s45, 0xffff, s44
	s_delay_alu instid0(SALU_CYCLE_1)
	s_cmp_gt_i32 s45, 25
	s_cbranch_scc0 .LBB103_680
; %bb.673:
	s_cmp_gt_i32 s45, 28
	s_cbranch_scc0 .LBB103_681
; %bb.674:
	;; [unrolled: 3-line block ×4, first 2 shown]
	s_mov_b32 s48, 0
	s_mov_b32 s2, -1
	s_cmp_eq_u32 s45, 46
	s_mov_b32 s46, 0
	s_cbranch_scc0 .LBB103_684
; %bb.677:
	v_cndmask_b32_e64 v1, 0, 1.0, s1
	s_mov_b32 s46, -1
	s_mov_b32 s2, 0
	s_delay_alu instid0(VALU_DEP_1) | instskip(NEXT) | instid1(VALU_DEP_1)
	v_bfe_u32 v4, v1, 16, 1
	v_add3_u32 v1, v1, v4, 0x7fff
	s_delay_alu instid0(VALU_DEP_1)
	v_lshrrev_b32_e32 v1, 16, v1
	global_store_b32 v[2:3], v1, off
	s_branch .LBB103_684
.LBB103_678:
	s_mov_b32 s1, 0
	s_mov_b32 s2, s10
	s_branch .LBB103_795
.LBB103_679:
	s_mov_b32 s45, -1
	s_mov_b32 s46, 0
	s_mov_b32 s2, s10
	s_branch .LBB103_753
.LBB103_680:
	s_mov_b32 s48, -1
	s_mov_b32 s46, 0
	s_mov_b32 s2, s10
	s_branch .LBB103_711
.LBB103_681:
	s_mov_b32 s48, -1
	s_mov_b32 s46, 0
	s_mov_b32 s2, s10
	s_branch .LBB103_694
.LBB103_682:
	s_mov_b32 s48, -1
	s_mov_b32 s46, 0
	s_mov_b32 s2, s10
	s_branch .LBB103_690
.LBB103_683:
	s_mov_b32 s48, -1
	s_mov_b32 s46, 0
	s_mov_b32 s2, s10
.LBB103_684:
	s_and_b32 vcc_lo, exec_lo, s48
	s_cbranch_vccz .LBB103_689
; %bb.685:
	s_cmp_eq_u32 s45, 44
	s_mov_b32 s2, -1
	s_cbranch_scc0 .LBB103_689
; %bb.686:
	v_cndmask_b32_e64 v5, 0, 1.0, s1
	s_mov_b32 s46, exec_lo
	s_wait_xcnt 0x0
	s_delay_alu instid0(VALU_DEP_1) | instskip(NEXT) | instid1(VALU_DEP_1)
	v_dual_mov_b32 v4, 0xff :: v_dual_lshrrev_b32 v1, 23, v5
	v_cmpx_ne_u32_e32 0xff, v1
; %bb.687:
	v_and_b32_e32 v4, 0x400000, v5
	v_and_or_b32 v5, 0x3fffff, v5, v1
	s_delay_alu instid0(VALU_DEP_2) | instskip(NEXT) | instid1(VALU_DEP_2)
	v_cmp_ne_u32_e32 vcc_lo, 0, v4
	v_cmp_ne_u32_e64 s2, 0, v5
	s_and_b32 s2, vcc_lo, s2
	s_delay_alu instid0(SALU_CYCLE_1) | instskip(NEXT) | instid1(VALU_DEP_1)
	v_cndmask_b32_e64 v4, 0, 1, s2
	v_add_nc_u32_e32 v4, v1, v4
; %bb.688:
	s_or_b32 exec_lo, exec_lo, s46
	s_mov_b32 s46, -1
	s_mov_b32 s2, 0
	global_store_b8 v[2:3], v4, off
.LBB103_689:
	s_mov_b32 s48, 0
.LBB103_690:
	s_delay_alu instid0(SALU_CYCLE_1)
	s_and_b32 vcc_lo, exec_lo, s48
	s_cbranch_vccz .LBB103_693
; %bb.691:
	s_cmp_eq_u32 s45, 29
	s_mov_b32 s2, -1
	s_cbranch_scc0 .LBB103_693
; %bb.692:
	s_mov_b32 s2, 0
	s_wait_xcnt 0x0
	v_cndmask_b32_e64 v4, 0, 1, s1
	v_mov_b32_e32 v5, s2
	s_mov_b32 s46, -1
	s_mov_b32 s48, 0
	global_store_b64 v[2:3], v[4:5], off
	s_branch .LBB103_694
.LBB103_693:
	s_mov_b32 s48, 0
.LBB103_694:
	s_delay_alu instid0(SALU_CYCLE_1)
	s_and_b32 vcc_lo, exec_lo, s48
	s_cbranch_vccz .LBB103_710
; %bb.695:
	s_cmp_lt_i32 s45, 27
	s_mov_b32 s46, -1
	s_cbranch_scc1 .LBB103_701
; %bb.696:
	s_cmp_gt_i32 s45, 27
	s_cbranch_scc0 .LBB103_698
; %bb.697:
	s_wait_xcnt 0x0
	v_cndmask_b32_e64 v1, 0, 1, s1
	s_mov_b32 s46, 0
	global_store_b32 v[2:3], v1, off
.LBB103_698:
	s_and_not1_b32 vcc_lo, exec_lo, s46
	s_cbranch_vccnz .LBB103_700
; %bb.699:
	s_wait_xcnt 0x0
	v_cndmask_b32_e64 v1, 0, 1, s1
	global_store_b16 v[2:3], v1, off
.LBB103_700:
	s_mov_b32 s46, 0
.LBB103_701:
	s_delay_alu instid0(SALU_CYCLE_1)
	s_and_not1_b32 vcc_lo, exec_lo, s46
	s_cbranch_vccnz .LBB103_709
; %bb.702:
	s_wait_xcnt 0x0
	v_cndmask_b32_e64 v4, 0, 1.0, s1
	v_mov_b32_e32 v5, 0x80
	s_mov_b32 s46, exec_lo
	s_delay_alu instid0(VALU_DEP_2)
	v_cmpx_gt_u32_e32 0x43800000, v4
	s_cbranch_execz .LBB103_708
; %bb.703:
	s_mov_b32 s48, 0
	s_mov_b32 s49, exec_lo
                                        ; implicit-def: $vgpr1
	v_cmpx_lt_u32_e32 0x3bffffff, v4
	s_xor_b32 s49, exec_lo, s49
	s_cbranch_execz .LBB103_823
; %bb.704:
	v_bfe_u32 v1, v4, 20, 1
	s_mov_b32 s48, exec_lo
	s_delay_alu instid0(VALU_DEP_1) | instskip(NEXT) | instid1(VALU_DEP_1)
	v_add3_u32 v1, v4, v1, 0x487ffff
                                        ; implicit-def: $vgpr4
	v_lshrrev_b32_e32 v1, 20, v1
	s_and_not1_saveexec_b32 s49, s49
	s_cbranch_execnz .LBB103_824
.LBB103_705:
	s_or_b32 exec_lo, exec_lo, s49
	v_mov_b32_e32 v5, 0
	s_and_saveexec_b32 s49, s48
.LBB103_706:
	v_mov_b32_e32 v5, v1
.LBB103_707:
	s_or_b32 exec_lo, exec_lo, s49
.LBB103_708:
	s_delay_alu instid0(SALU_CYCLE_1)
	s_or_b32 exec_lo, exec_lo, s46
	global_store_b8 v[2:3], v5, off
.LBB103_709:
	s_mov_b32 s46, -1
.LBB103_710:
	s_mov_b32 s48, 0
.LBB103_711:
	s_delay_alu instid0(SALU_CYCLE_1)
	s_and_b32 vcc_lo, exec_lo, s48
	s_cbranch_vccz .LBB103_752
; %bb.712:
	s_cmp_gt_i32 s45, 22
	s_mov_b32 s48, -1
	s_cbranch_scc0 .LBB103_744
; %bb.713:
	s_cmp_lt_i32 s45, 24
	s_mov_b32 s46, -1
	s_cbranch_scc1 .LBB103_733
; %bb.714:
	s_cmp_gt_i32 s45, 24
	s_cbranch_scc0 .LBB103_722
; %bb.715:
	s_wait_xcnt 0x0
	v_cndmask_b32_e64 v4, 0, 1.0, s1
	v_mov_b32_e32 v5, 0x80
	s_mov_b32 s46, exec_lo
	s_delay_alu instid0(VALU_DEP_2)
	v_cmpx_gt_u32_e32 0x47800000, v4
	s_cbranch_execz .LBB103_721
; %bb.716:
	s_mov_b32 s48, 0
	s_mov_b32 s49, exec_lo
                                        ; implicit-def: $vgpr1
	v_cmpx_lt_u32_e32 0x37ffffff, v4
	s_xor_b32 s49, exec_lo, s49
	s_cbranch_execz .LBB103_955
; %bb.717:
	v_bfe_u32 v1, v4, 21, 1
	s_mov_b32 s48, exec_lo
	s_delay_alu instid0(VALU_DEP_1) | instskip(NEXT) | instid1(VALU_DEP_1)
	v_add3_u32 v1, v4, v1, 0x88fffff
                                        ; implicit-def: $vgpr4
	v_lshrrev_b32_e32 v1, 21, v1
	s_and_not1_saveexec_b32 s49, s49
	s_cbranch_execnz .LBB103_956
.LBB103_718:
	s_or_b32 exec_lo, exec_lo, s49
	v_mov_b32_e32 v5, 0
	s_and_saveexec_b32 s49, s48
.LBB103_719:
	v_mov_b32_e32 v5, v1
.LBB103_720:
	s_or_b32 exec_lo, exec_lo, s49
.LBB103_721:
	s_delay_alu instid0(SALU_CYCLE_1)
	s_or_b32 exec_lo, exec_lo, s46
	s_mov_b32 s46, 0
	global_store_b8 v[2:3], v5, off
.LBB103_722:
	s_and_b32 vcc_lo, exec_lo, s46
	s_cbranch_vccz .LBB103_732
; %bb.723:
	s_wait_xcnt 0x0
	v_cndmask_b32_e64 v4, 0, 1.0, s1
	s_mov_b32 s46, exec_lo
                                        ; implicit-def: $vgpr1
	s_delay_alu instid0(VALU_DEP_1)
	v_cmpx_gt_u32_e32 0x43f00000, v4
	s_xor_b32 s46, exec_lo, s46
	s_cbranch_execz .LBB103_729
; %bb.724:
	s_mov_b32 s48, exec_lo
                                        ; implicit-def: $vgpr1
	v_cmpx_lt_u32_e32 0x3c7fffff, v4
	s_xor_b32 s48, exec_lo, s48
; %bb.725:
	v_bfe_u32 v1, v4, 20, 1
	s_delay_alu instid0(VALU_DEP_1) | instskip(NEXT) | instid1(VALU_DEP_1)
	v_add3_u32 v1, v4, v1, 0x407ffff
	v_and_b32_e32 v4, 0xff00000, v1
	v_lshrrev_b32_e32 v1, 20, v1
	s_delay_alu instid0(VALU_DEP_2) | instskip(NEXT) | instid1(VALU_DEP_2)
	v_cmp_ne_u32_e32 vcc_lo, 0x7f00000, v4
                                        ; implicit-def: $vgpr4
	v_cndmask_b32_e32 v1, 0x7e, v1, vcc_lo
; %bb.726:
	s_and_not1_saveexec_b32 s48, s48
; %bb.727:
	v_add_f32_e32 v1, 0x46800000, v4
; %bb.728:
	s_or_b32 exec_lo, exec_lo, s48
                                        ; implicit-def: $vgpr4
.LBB103_729:
	s_and_not1_saveexec_b32 s46, s46
; %bb.730:
	v_mov_b32_e32 v1, 0x7f
	v_cmp_lt_u32_e32 vcc_lo, 0x7f800000, v4
	s_delay_alu instid0(VALU_DEP_2)
	v_cndmask_b32_e32 v1, 0x7e, v1, vcc_lo
; %bb.731:
	s_or_b32 exec_lo, exec_lo, s46
	global_store_b8 v[2:3], v1, off
.LBB103_732:
	s_mov_b32 s46, 0
.LBB103_733:
	s_delay_alu instid0(SALU_CYCLE_1)
	s_and_not1_b32 vcc_lo, exec_lo, s46
	s_cbranch_vccnz .LBB103_743
; %bb.734:
	s_wait_xcnt 0x0
	v_cndmask_b32_e64 v4, 0, 1.0, s1
	s_mov_b32 s46, exec_lo
                                        ; implicit-def: $vgpr1
	s_delay_alu instid0(VALU_DEP_1)
	v_cmpx_gt_u32_e32 0x47800000, v4
	s_xor_b32 s46, exec_lo, s46
	s_cbranch_execz .LBB103_740
; %bb.735:
	s_mov_b32 s48, exec_lo
                                        ; implicit-def: $vgpr1
	v_cmpx_lt_u32_e32 0x387fffff, v4
	s_xor_b32 s48, exec_lo, s48
; %bb.736:
	v_bfe_u32 v1, v4, 21, 1
	s_delay_alu instid0(VALU_DEP_1) | instskip(NEXT) | instid1(VALU_DEP_1)
	v_add3_u32 v1, v4, v1, 0x80fffff
                                        ; implicit-def: $vgpr4
	v_lshrrev_b32_e32 v1, 21, v1
; %bb.737:
	s_and_not1_saveexec_b32 s48, s48
; %bb.738:
	v_add_f32_e32 v1, 0x43000000, v4
; %bb.739:
	s_or_b32 exec_lo, exec_lo, s48
                                        ; implicit-def: $vgpr4
.LBB103_740:
	s_and_not1_saveexec_b32 s46, s46
; %bb.741:
	v_mov_b32_e32 v1, 0x7f
	v_cmp_lt_u32_e32 vcc_lo, 0x7f800000, v4
	s_delay_alu instid0(VALU_DEP_2)
	v_cndmask_b32_e32 v1, 0x7c, v1, vcc_lo
; %bb.742:
	s_or_b32 exec_lo, exec_lo, s46
	global_store_b8 v[2:3], v1, off
.LBB103_743:
	s_mov_b32 s48, 0
	s_mov_b32 s46, -1
.LBB103_744:
	s_and_not1_b32 vcc_lo, exec_lo, s48
	s_cbranch_vccnz .LBB103_752
; %bb.745:
	s_cmp_gt_i32 s45, 14
	s_mov_b32 s48, -1
	s_cbranch_scc0 .LBB103_749
; %bb.746:
	s_cmp_eq_u32 s45, 15
	s_mov_b32 s2, -1
	s_cbranch_scc0 .LBB103_748
; %bb.747:
	s_wait_xcnt 0x0
	v_cndmask_b32_e64 v1, 0, 1.0, s1
	s_mov_b32 s46, -1
	s_mov_b32 s2, 0
	s_delay_alu instid0(VALU_DEP_1) | instskip(NEXT) | instid1(VALU_DEP_1)
	v_bfe_u32 v4, v1, 16, 1
	v_add3_u32 v1, v1, v4, 0x7fff
	global_store_d16_hi_b16 v[2:3], v1, off
.LBB103_748:
	s_mov_b32 s48, 0
.LBB103_749:
	s_delay_alu instid0(SALU_CYCLE_1)
	s_and_b32 vcc_lo, exec_lo, s48
	s_cbranch_vccz .LBB103_752
; %bb.750:
	s_cmp_eq_u32 s45, 11
	s_mov_b32 s2, -1
	s_cbranch_scc0 .LBB103_752
; %bb.751:
	s_wait_xcnt 0x0
	v_cndmask_b32_e64 v1, 0, 1, s1
	s_mov_b32 s46, -1
	s_mov_b32 s2, 0
	global_store_b8 v[2:3], v1, off
.LBB103_752:
	s_mov_b32 s45, 0
.LBB103_753:
	s_delay_alu instid0(SALU_CYCLE_1)
	s_and_b32 vcc_lo, exec_lo, s45
	s_cbranch_vccz .LBB103_792
; %bb.754:
	s_and_b32 s44, 0xffff, s44
	s_mov_b32 s45, -1
	s_cmp_lt_i32 s44, 5
	s_cbranch_scc1 .LBB103_775
; %bb.755:
	s_cmp_lt_i32 s44, 8
	s_cbranch_scc1 .LBB103_765
; %bb.756:
	;; [unrolled: 3-line block ×3, first 2 shown]
	s_cmp_gt_i32 s44, 9
	s_cbranch_scc0 .LBB103_759
; %bb.758:
	s_wait_xcnt 0x0
	v_cndmask_b32_e64 v1, 0, 1, s1
	v_mov_b32_e32 v6, 0
	s_mov_b32 s45, 0
	s_delay_alu instid0(VALU_DEP_2) | instskip(NEXT) | instid1(VALU_DEP_2)
	v_cvt_f64_u32_e32 v[4:5], v1
	v_mov_b32_e32 v7, v6
	global_store_b128 v[2:3], v[4:7], off
.LBB103_759:
	s_and_not1_b32 vcc_lo, exec_lo, s45
	s_cbranch_vccnz .LBB103_761
; %bb.760:
	s_wait_xcnt 0x0
	v_cndmask_b32_e64 v4, 0, 1.0, s1
	v_mov_b32_e32 v5, 0
	global_store_b64 v[2:3], v[4:5], off
.LBB103_761:
	s_mov_b32 s45, 0
.LBB103_762:
	s_delay_alu instid0(SALU_CYCLE_1)
	s_and_not1_b32 vcc_lo, exec_lo, s45
	s_cbranch_vccnz .LBB103_764
; %bb.763:
	s_wait_xcnt 0x0
	v_cndmask_b32_e64 v1, 0, 1.0, s1
	s_delay_alu instid0(VALU_DEP_1) | instskip(NEXT) | instid1(VALU_DEP_1)
	v_cvt_f16_f32_e32 v1, v1
	v_and_b32_e32 v1, 0xffff, v1
	global_store_b32 v[2:3], v1, off
.LBB103_764:
	s_mov_b32 s45, 0
.LBB103_765:
	s_delay_alu instid0(SALU_CYCLE_1)
	s_and_not1_b32 vcc_lo, exec_lo, s45
	s_cbranch_vccnz .LBB103_774
; %bb.766:
	s_cmp_lt_i32 s44, 6
	s_mov_b32 s45, -1
	s_cbranch_scc1 .LBB103_772
; %bb.767:
	s_cmp_gt_i32 s44, 6
	s_cbranch_scc0 .LBB103_769
; %bb.768:
	s_wait_xcnt 0x0
	v_cndmask_b32_e64 v1, 0, 1, s1
	s_mov_b32 s45, 0
	s_delay_alu instid0(VALU_DEP_1)
	v_cvt_f64_u32_e32 v[4:5], v1
	global_store_b64 v[2:3], v[4:5], off
.LBB103_769:
	s_and_not1_b32 vcc_lo, exec_lo, s45
	s_cbranch_vccnz .LBB103_771
; %bb.770:
	s_wait_xcnt 0x0
	v_cndmask_b32_e64 v1, 0, 1.0, s1
	global_store_b32 v[2:3], v1, off
.LBB103_771:
	s_mov_b32 s45, 0
.LBB103_772:
	s_delay_alu instid0(SALU_CYCLE_1)
	s_and_not1_b32 vcc_lo, exec_lo, s45
	s_cbranch_vccnz .LBB103_774
; %bb.773:
	s_wait_xcnt 0x0
	v_cndmask_b32_e64 v1, 0, 1.0, s1
	s_delay_alu instid0(VALU_DEP_1)
	v_cvt_f16_f32_e32 v1, v1
	global_store_b16 v[2:3], v1, off
.LBB103_774:
	s_mov_b32 s45, 0
.LBB103_775:
	s_delay_alu instid0(SALU_CYCLE_1)
	s_and_not1_b32 vcc_lo, exec_lo, s45
	s_cbranch_vccnz .LBB103_791
; %bb.776:
	s_cmp_lt_i32 s44, 2
	s_mov_b32 s45, -1
	s_cbranch_scc1 .LBB103_786
; %bb.777:
	s_cmp_lt_i32 s44, 3
	s_cbranch_scc1 .LBB103_783
; %bb.778:
	s_cmp_gt_i32 s44, 3
	s_cbranch_scc0 .LBB103_780
; %bb.779:
	s_mov_b32 s45, 0
	s_wait_xcnt 0x0
	v_cndmask_b32_e64 v4, 0, 1, s1
	v_mov_b32_e32 v5, s45
	global_store_b64 v[2:3], v[4:5], off
.LBB103_780:
	s_and_not1_b32 vcc_lo, exec_lo, s45
	s_cbranch_vccnz .LBB103_782
; %bb.781:
	s_wait_xcnt 0x0
	v_cndmask_b32_e64 v1, 0, 1, s1
	global_store_b32 v[2:3], v1, off
.LBB103_782:
	s_mov_b32 s45, 0
.LBB103_783:
	s_delay_alu instid0(SALU_CYCLE_1)
	s_and_not1_b32 vcc_lo, exec_lo, s45
	s_cbranch_vccnz .LBB103_785
; %bb.784:
	s_wait_xcnt 0x0
	v_cndmask_b32_e64 v1, 0, 1, s1
	global_store_b16 v[2:3], v1, off
.LBB103_785:
	s_mov_b32 s45, 0
.LBB103_786:
	s_delay_alu instid0(SALU_CYCLE_1)
	s_and_not1_b32 vcc_lo, exec_lo, s45
	s_cbranch_vccnz .LBB103_791
; %bb.787:
	s_wait_xcnt 0x0
	v_cndmask_b32_e64 v1, 0, 1, s1
	s_cmp_gt_i32 s44, 0
	s_mov_b32 s1, -1
	s_cbranch_scc0 .LBB103_789
; %bb.788:
	s_mov_b32 s1, 0
	global_store_b8 v[2:3], v1, off
.LBB103_789:
	s_and_not1_b32 vcc_lo, exec_lo, s1
	s_cbranch_vccnz .LBB103_791
; %bb.790:
	global_store_b8 v[2:3], v1, off
.LBB103_791:
	s_mov_b32 s46, -1
.LBB103_792:
	s_delay_alu instid0(SALU_CYCLE_1)
	s_and_not1_b32 vcc_lo, exec_lo, s46
	s_cbranch_vccnz .LBB103_794
; %bb.793:
	v_add_nc_u32_e32 v0, 0x80, v0
	s_mov_b32 s1, -1
	s_branch .LBB103_796
.LBB103_794:
	s_mov_b32 s1, 0
.LBB103_795:
                                        ; implicit-def: $vgpr0
.LBB103_796:
	s_and_not1_b32 s44, s10, exec_lo
	s_and_b32 s2, s2, exec_lo
	s_and_b32 s29, s29, exec_lo
	s_or_b32 s45, s44, s2
	s_and_not1_b32 s2, s41, exec_lo
	s_and_not1_b32 s44, s42, exec_lo
	s_and_b32 s28, s28, exec_lo
	s_or_b32 s46, s2, s29
	s_or_b32 s44, s44, s28
	s_or_not1_b32 s48, s1, exec_lo
.LBB103_797:
	s_wait_xcnt 0x0
	s_or_b32 exec_lo, exec_lo, s47
	s_mov_b32 s1, 0
	s_mov_b32 s29, 0
	;; [unrolled: 1-line block ×3, first 2 shown]
                                        ; implicit-def: $sgpr2
                                        ; implicit-def: $vgpr6_vgpr7
                                        ; implicit-def: $vgpr4
                                        ; implicit-def: $vgpr2
                                        ; implicit-def: $vgpr3
	s_and_saveexec_b32 s47, s48
	s_cbranch_execz .LBB103_1296
; %bb.798:
	s_mov_b32 s52, -1
	s_mov_b32 s1, s44
	s_mov_b32 s50, s46
	;; [unrolled: 1-line block ×3, first 2 shown]
	s_mov_b32 s48, exec_lo
	v_cmpx_gt_i32_e64 s39, v0
	s_cbranch_execz .LBB103_1200
; %bb.799:
	s_and_not1_b32 vcc_lo, exec_lo, s34
	s_cbranch_vccnz .LBB103_805
; %bb.800:
	s_and_not1_b32 vcc_lo, exec_lo, s40
	s_cbranch_vccnz .LBB103_806
; %bb.801:
	s_wait_loadcnt 0x0
	v_dual_mov_b32 v2, 0 :: v_dual_mov_b32 v1, v0
	v_dual_mov_b32 v6, 0 :: v_dual_mov_b32 v4, 0
	s_add_co_i32 s1, s38, 1
	s_mov_b64 s[28:29], 0xffffffffffffffe8
	s_and_b32 s1, s1, 30
	s_add_nc_u64 s[28:29], s[20:21], s[28:29]
.LBB103_802:                            ; =>This Inner Loop Header: Depth=1
	s_clause 0x1
	s_load_b128 s[52:55], s[28:29], 0x1c
	s_load_b64 s[50:51], s[28:29], 0x2c
	s_add_co_i32 s1, s1, -2
	s_delay_alu instid0(SALU_CYCLE_1) | instskip(SKIP_2) | instid1(VALU_DEP_1)
	s_cmp_eq_u32 s1, 0
	s_wait_kmcnt 0x0
	v_mul_hi_u32 v3, s53, v1
	v_add_nc_u32_e32 v3, v1, v3
	s_delay_alu instid0(VALU_DEP_1) | instskip(NEXT) | instid1(VALU_DEP_1)
	v_lshrrev_b32_e32 v3, s54, v3
	v_mul_hi_u32 v5, s50, v3
	v_mul_lo_u32 v7, v3, s52
	s_clause 0x1
	s_load_b128 s[56:59], s[28:29], 0xdc
	s_load_b64 s[52:53], s[28:29], 0xec
	s_wait_xcnt 0x0
	s_add_nc_u64 s[28:29], s[28:29], 24
	s_delay_alu instid0(VALU_DEP_1) | instskip(NEXT) | instid1(VALU_DEP_1)
	v_dual_add_nc_u32 v5, v3, v5 :: v_dual_sub_nc_u32 v7, v1, v7
	v_lshrrev_b32_e32 v1, s51, v5
	s_wait_kmcnt 0x0
	s_delay_alu instid0(VALU_DEP_2) | instskip(NEXT) | instid1(VALU_DEP_2)
	v_mad_u32 v2, v7, s56, v2
	v_mul_lo_u32 v5, v1, s55
	v_mad_u32 v4, v7, s58, v4
	v_mad_u32 v6, v7, s57, v6
	s_delay_alu instid0(VALU_DEP_3) | instskip(NEXT) | instid1(VALU_DEP_1)
	v_sub_nc_u32_e32 v3, v3, v5
	v_mad_u32 v2, v3, s59, v2
	s_delay_alu instid0(VALU_DEP_4) | instskip(NEXT) | instid1(VALU_DEP_4)
	v_mad_u32 v4, v3, s53, v4
	v_mad_u32 v6, v3, s52, v6
	s_cbranch_scc0 .LBB103_802
; %bb.803:
	s_bitcmp1_b32 s38, 0
	s_cselect_b32 s1, -1, 0
	s_delay_alu instid0(SALU_CYCLE_1)
	s_and_b32 vcc_lo, exec_lo, s1
	s_cbranch_vccnz .LBB103_807
; %bb.804:
	s_clause 0x1
	s_load_b96 s[52:54], s[28:29], 0x1c
	s_load_b96 s[56:58], s[28:29], 0xdc
	s_wait_kmcnt 0x0
	v_mul_hi_u32 v3, s53, v1
	s_delay_alu instid0(VALU_DEP_1) | instskip(NEXT) | instid1(VALU_DEP_1)
	v_add_nc_u32_e32 v3, v1, v3
	v_lshrrev_b32_e32 v3, s54, v3
	s_delay_alu instid0(VALU_DEP_1) | instskip(NEXT) | instid1(VALU_DEP_1)
	v_mul_lo_u32 v3, v3, s52
	v_sub_nc_u32_e32 v1, v1, v3
	s_delay_alu instid0(VALU_DEP_1)
	v_mad_u32 v2, v1, s56, v2
	v_mad_u32 v6, v1, s57, v6
	;; [unrolled: 1-line block ×3, first 2 shown]
	s_branch .LBB103_807
.LBB103_805:
	s_mov_b32 s1, -1
                                        ; implicit-def: $vgpr4
                                        ; implicit-def: $vgpr6
                                        ; implicit-def: $vgpr2
	s_branch .LBB103_808
.LBB103_806:
	v_dual_mov_b32 v4, 0 :: v_dual_mov_b32 v6, 0
	v_mov_b32_e32 v2, 0
.LBB103_807:
	s_mov_b32 s1, 0
.LBB103_808:
	s_delay_alu instid0(SALU_CYCLE_1)
	s_and_not1_b32 vcc_lo, exec_lo, s1
	s_cbranch_vccnz .LBB103_811
; %bb.809:
	s_wait_loadcnt 0x0
	v_mov_b32_e32 v1, 0
	s_and_not1_b32 vcc_lo, exec_lo, s37
	s_delay_alu instid0(VALU_DEP_1) | instskip(NEXT) | instid1(VALU_DEP_1)
	v_mul_u64_e32 v[2:3], s[22:23], v[0:1]
	v_add_nc_u32_e32 v2, v0, v3
	s_delay_alu instid0(VALU_DEP_1) | instskip(NEXT) | instid1(VALU_DEP_1)
	v_lshrrev_b32_e32 v8, s14, v2
	v_mul_lo_u32 v2, v8, s12
	s_delay_alu instid0(VALU_DEP_1) | instskip(NEXT) | instid1(VALU_DEP_1)
	v_sub_nc_u32_e32 v3, v0, v2
	v_mul_lo_u32 v2, v3, s16
	v_mul_lo_u32 v4, v3, s18
	;; [unrolled: 1-line block ×3, first 2 shown]
	s_cbranch_vccnz .LBB103_811
; %bb.810:
	v_mov_b32_e32 v9, v1
	s_delay_alu instid0(VALU_DEP_1) | instskip(NEXT) | instid1(VALU_DEP_1)
	v_mul_u64_e32 v[10:11], s[26:27], v[8:9]
	v_add_nc_u32_e32 v1, v8, v11
	s_delay_alu instid0(VALU_DEP_1) | instskip(NEXT) | instid1(VALU_DEP_1)
	v_lshrrev_b32_e32 v1, s3, v1
	v_mul_lo_u32 v1, v1, s15
	s_delay_alu instid0(VALU_DEP_1) | instskip(NEXT) | instid1(VALU_DEP_1)
	v_sub_nc_u32_e32 v1, v8, v1
	v_mad_u32 v2, v1, s19, v2
	v_mad_u32 v6, v1, s24, v6
	;; [unrolled: 1-line block ×3, first 2 shown]
.LBB103_811:
	v_mov_b32_e32 v7, 0
	s_and_b32 s1, s36, 0xff
	s_delay_alu instid0(SALU_CYCLE_1) | instskip(NEXT) | instid1(VALU_DEP_1)
	s_cmp_lt_i32 s1, 11
	v_add_nc_u64_e32 v[6:7], s[6:7], v[6:7]
	s_cbranch_scc1 .LBB103_818
; %bb.812:
	s_and_b32 s2, 0xffff, s1
	s_delay_alu instid0(SALU_CYCLE_1)
	s_cmp_gt_i32 s2, 25
	s_cbranch_scc0 .LBB103_819
; %bb.813:
	s_cmp_gt_i32 s2, 28
	s_cbranch_scc0 .LBB103_820
; %bb.814:
	;; [unrolled: 3-line block ×4, first 2 shown]
	s_cmp_eq_u32 s2, 46
	s_mov_b32 s49, 0
	s_cbranch_scc0 .LBB103_825
; %bb.817:
	s_wait_loadcnt 0x0
	global_load_b32 v1, v[6:7], off
	s_mov_b32 s29, -1
	s_mov_b32 s28, 0
	s_wait_loadcnt 0x0
	v_lshlrev_b32_e32 v1, 16, v1
	s_branch .LBB103_827
.LBB103_818:
	s_mov_b32 s2, -1
	s_mov_b32 s29, 0
	s_mov_b32 s28, s44
                                        ; implicit-def: $vgpr1
	s_branch .LBB103_892
.LBB103_819:
	s_mov_b32 s49, -1
	s_mov_b32 s29, 0
	s_mov_b32 s28, s44
                                        ; implicit-def: $vgpr1
	s_branch .LBB103_856
.LBB103_820:
	s_mov_b32 s49, -1
	s_mov_b32 s29, 0
	s_mov_b32 s28, s44
                                        ; implicit-def: $vgpr1
	s_branch .LBB103_837
.LBB103_821:
	s_mov_b32 s49, -1
	s_mov_b32 s29, 0
	s_mov_b32 s28, s44
                                        ; implicit-def: $vgpr1
	s_branch .LBB103_832
.LBB103_822:
	s_mov_b32 s49, -1
	s_mov_b32 s29, 0
	s_mov_b32 s28, s44
	s_branch .LBB103_826
.LBB103_823:
	s_and_not1_saveexec_b32 s49, s49
	s_cbranch_execz .LBB103_705
.LBB103_824:
	v_add_f32_e32 v1, 0x46000000, v4
	s_and_not1_b32 s48, s48, exec_lo
	s_delay_alu instid0(VALU_DEP_1) | instskip(NEXT) | instid1(VALU_DEP_1)
	v_and_b32_e32 v1, 0xff, v1
	v_cmp_ne_u32_e32 vcc_lo, 0, v1
	s_and_b32 s50, vcc_lo, exec_lo
	s_delay_alu instid0(SALU_CYCLE_1)
	s_or_b32 s48, s48, s50
	s_or_b32 exec_lo, exec_lo, s49
	v_mov_b32_e32 v5, 0
	s_and_saveexec_b32 s49, s48
	s_cbranch_execnz .LBB103_706
	s_branch .LBB103_707
.LBB103_825:
	s_mov_b32 s28, -1
	s_mov_b32 s29, 0
.LBB103_826:
                                        ; implicit-def: $vgpr1
.LBB103_827:
	s_and_b32 vcc_lo, exec_lo, s49
	s_cbranch_vccz .LBB103_831
; %bb.828:
	s_cmp_eq_u32 s2, 44
	s_cbranch_scc0 .LBB103_830
; %bb.829:
	s_wait_loadcnt 0x0
	global_load_u8 v1, v[6:7], off
	s_mov_b32 s28, 0
	s_mov_b32 s29, -1
	s_wait_loadcnt 0x0
	v_lshlrev_b32_e32 v3, 23, v1
	v_cmp_ne_u32_e32 vcc_lo, 0xff, v1
	s_delay_alu instid0(VALU_DEP_2) | instskip(SKIP_1) | instid1(VALU_DEP_2)
	v_cndmask_b32_e32 v3, 0x7f800001, v3, vcc_lo
	v_cmp_ne_u32_e32 vcc_lo, 0, v1
	v_cndmask_b32_e32 v1, 0x400000, v3, vcc_lo
	s_branch .LBB103_831
.LBB103_830:
	s_mov_b32 s28, -1
                                        ; implicit-def: $vgpr1
.LBB103_831:
	s_mov_b32 s49, 0
.LBB103_832:
	s_delay_alu instid0(SALU_CYCLE_1)
	s_and_b32 vcc_lo, exec_lo, s49
	s_cbranch_vccz .LBB103_836
; %bb.833:
	s_cmp_eq_u32 s2, 29
	s_cbranch_scc0 .LBB103_835
; %bb.834:
	global_load_b64 v[8:9], v[6:7], off
	s_mov_b32 s29, -1
	s_mov_b32 s28, 0
	s_mov_b32 s49, 0
	s_wait_loadcnt 0x0
	v_clz_i32_u32_e32 v1, v9
	s_delay_alu instid0(VALU_DEP_1) | instskip(NEXT) | instid1(VALU_DEP_1)
	v_min_u32_e32 v1, 32, v1
	v_lshlrev_b64_e32 v[8:9], v1, v[8:9]
	v_sub_nc_u32_e32 v1, 32, v1
	s_delay_alu instid0(VALU_DEP_2) | instskip(NEXT) | instid1(VALU_DEP_1)
	v_min_u32_e32 v3, 1, v8
	v_or_b32_e32 v3, v9, v3
	s_delay_alu instid0(VALU_DEP_1) | instskip(NEXT) | instid1(VALU_DEP_1)
	v_cvt_f32_u32_e32 v3, v3
	v_ldexp_f32 v1, v3, v1
	s_branch .LBB103_837
.LBB103_835:
	s_mov_b32 s28, -1
                                        ; implicit-def: $vgpr1
.LBB103_836:
	s_mov_b32 s49, 0
.LBB103_837:
	s_delay_alu instid0(SALU_CYCLE_1)
	s_and_b32 vcc_lo, exec_lo, s49
	s_cbranch_vccz .LBB103_855
; %bb.838:
	s_cmp_lt_i32 s2, 27
	s_cbranch_scc1 .LBB103_841
; %bb.839:
	s_cmp_gt_i32 s2, 27
	s_cbranch_scc0 .LBB103_842
; %bb.840:
	s_wait_loadcnt 0x0
	global_load_b32 v1, v[6:7], off
	s_mov_b32 s29, 0
	s_wait_loadcnt 0x0
	v_cvt_f32_u32_e32 v1, v1
	s_branch .LBB103_843
.LBB103_841:
	s_mov_b32 s29, -1
                                        ; implicit-def: $vgpr1
	s_branch .LBB103_846
.LBB103_842:
	s_mov_b32 s29, -1
                                        ; implicit-def: $vgpr1
.LBB103_843:
	s_delay_alu instid0(SALU_CYCLE_1)
	s_and_not1_b32 vcc_lo, exec_lo, s29
	s_cbranch_vccnz .LBB103_845
; %bb.844:
	s_wait_loadcnt 0x0
	global_load_u16 v1, v[6:7], off
	s_wait_loadcnt 0x0
	v_cvt_f32_u32_e32 v1, v1
.LBB103_845:
	s_mov_b32 s29, 0
.LBB103_846:
	s_delay_alu instid0(SALU_CYCLE_1)
	s_and_not1_b32 vcc_lo, exec_lo, s29
	s_cbranch_vccnz .LBB103_854
; %bb.847:
	s_wait_loadcnt 0x0
	global_load_u8 v3, v[6:7], off
	s_mov_b32 s29, 0
	s_mov_b32 s49, exec_lo
	s_wait_loadcnt 0x0
	v_cmpx_lt_i16_e32 0x7f, v3
	s_xor_b32 s49, exec_lo, s49
	s_cbranch_execz .LBB103_868
; %bb.848:
	s_mov_b32 s29, -1
	s_mov_b32 s50, exec_lo
	v_cmpx_eq_u16_e32 0x80, v3
; %bb.849:
	s_xor_b32 s29, exec_lo, -1
; %bb.850:
	s_or_b32 exec_lo, exec_lo, s50
	s_delay_alu instid0(SALU_CYCLE_1)
	s_and_b32 s29, s29, exec_lo
	s_or_saveexec_b32 s49, s49
	v_mov_b32_e32 v1, 0x7f800001
	s_xor_b32 exec_lo, exec_lo, s49
	s_cbranch_execnz .LBB103_869
.LBB103_851:
	s_or_b32 exec_lo, exec_lo, s49
	s_and_saveexec_b32 s49, s29
	s_cbranch_execz .LBB103_853
.LBB103_852:
	v_and_b32_e32 v1, 0xffff, v3
	s_delay_alu instid0(VALU_DEP_1) | instskip(SKIP_1) | instid1(VALU_DEP_2)
	v_and_b32_e32 v5, 7, v1
	v_bfe_u32 v10, v1, 3, 4
	v_clz_i32_u32_e32 v8, v5
	s_delay_alu instid0(VALU_DEP_2) | instskip(NEXT) | instid1(VALU_DEP_2)
	v_cmp_eq_u32_e32 vcc_lo, 0, v10
	v_min_u32_e32 v8, 32, v8
	s_delay_alu instid0(VALU_DEP_1) | instskip(NEXT) | instid1(VALU_DEP_1)
	v_subrev_nc_u32_e32 v9, 28, v8
	v_dual_lshlrev_b32 v1, v9, v1 :: v_dual_sub_nc_u32 v8, 29, v8
	s_delay_alu instid0(VALU_DEP_1) | instskip(NEXT) | instid1(VALU_DEP_1)
	v_dual_lshlrev_b32 v3, 24, v3 :: v_dual_bitop2_b32 v1, 7, v1 bitop3:0x40
	v_dual_cndmask_b32 v8, v10, v8 :: v_dual_cndmask_b32 v1, v5, v1
	s_delay_alu instid0(VALU_DEP_2) | instskip(NEXT) | instid1(VALU_DEP_2)
	v_and_b32_e32 v3, 0x80000000, v3
	v_lshl_add_u32 v5, v8, 23, 0x3b800000
	s_delay_alu instid0(VALU_DEP_3) | instskip(NEXT) | instid1(VALU_DEP_1)
	v_lshlrev_b32_e32 v1, 20, v1
	v_or3_b32 v1, v3, v5, v1
.LBB103_853:
	s_or_b32 exec_lo, exec_lo, s49
.LBB103_854:
	s_mov_b32 s29, -1
.LBB103_855:
	s_mov_b32 s49, 0
.LBB103_856:
	s_delay_alu instid0(SALU_CYCLE_1)
	s_and_b32 vcc_lo, exec_lo, s49
	s_cbranch_vccz .LBB103_891
; %bb.857:
	s_cmp_gt_i32 s2, 22
	s_cbranch_scc0 .LBB103_867
; %bb.858:
	s_cmp_lt_i32 s2, 24
	s_cbranch_scc1 .LBB103_870
; %bb.859:
	s_cmp_gt_i32 s2, 24
	s_cbranch_scc0 .LBB103_871
; %bb.860:
	s_wait_loadcnt 0x0
	global_load_u8 v3, v[6:7], off
	s_mov_b32 s29, 0
	s_mov_b32 s49, exec_lo
	s_wait_loadcnt 0x0
	v_cmpx_lt_i16_e32 0x7f, v3
	s_xor_b32 s49, exec_lo, s49
	s_cbranch_execz .LBB103_883
; %bb.861:
	s_mov_b32 s29, -1
	s_mov_b32 s50, exec_lo
	v_cmpx_eq_u16_e32 0x80, v3
; %bb.862:
	s_xor_b32 s29, exec_lo, -1
; %bb.863:
	s_or_b32 exec_lo, exec_lo, s50
	s_delay_alu instid0(SALU_CYCLE_1)
	s_and_b32 s29, s29, exec_lo
	s_or_saveexec_b32 s49, s49
	v_mov_b32_e32 v1, 0x7f800001
	s_xor_b32 exec_lo, exec_lo, s49
	s_cbranch_execnz .LBB103_884
.LBB103_864:
	s_or_b32 exec_lo, exec_lo, s49
	s_and_saveexec_b32 s49, s29
	s_cbranch_execz .LBB103_866
.LBB103_865:
	v_and_b32_e32 v1, 0xffff, v3
	s_delay_alu instid0(VALU_DEP_1) | instskip(SKIP_1) | instid1(VALU_DEP_2)
	v_and_b32_e32 v5, 3, v1
	v_bfe_u32 v10, v1, 2, 5
	v_clz_i32_u32_e32 v8, v5
	s_delay_alu instid0(VALU_DEP_2) | instskip(NEXT) | instid1(VALU_DEP_2)
	v_cmp_eq_u32_e32 vcc_lo, 0, v10
	v_min_u32_e32 v8, 32, v8
	s_delay_alu instid0(VALU_DEP_1) | instskip(NEXT) | instid1(VALU_DEP_1)
	v_subrev_nc_u32_e32 v9, 29, v8
	v_dual_lshlrev_b32 v1, v9, v1 :: v_dual_sub_nc_u32 v8, 30, v8
	s_delay_alu instid0(VALU_DEP_1) | instskip(NEXT) | instid1(VALU_DEP_1)
	v_dual_lshlrev_b32 v3, 24, v3 :: v_dual_bitop2_b32 v1, 3, v1 bitop3:0x40
	v_dual_cndmask_b32 v8, v10, v8 :: v_dual_cndmask_b32 v1, v5, v1
	s_delay_alu instid0(VALU_DEP_2) | instskip(NEXT) | instid1(VALU_DEP_2)
	v_and_b32_e32 v3, 0x80000000, v3
	v_lshl_add_u32 v5, v8, 23, 0x37800000
	s_delay_alu instid0(VALU_DEP_3) | instskip(NEXT) | instid1(VALU_DEP_1)
	v_lshlrev_b32_e32 v1, 21, v1
	v_or3_b32 v1, v3, v5, v1
.LBB103_866:
	s_or_b32 exec_lo, exec_lo, s49
	s_mov_b32 s29, 0
	s_branch .LBB103_872
.LBB103_867:
	s_mov_b32 s49, -1
                                        ; implicit-def: $vgpr1
	s_branch .LBB103_878
.LBB103_868:
	s_or_saveexec_b32 s49, s49
	v_mov_b32_e32 v1, 0x7f800001
	s_xor_b32 exec_lo, exec_lo, s49
	s_cbranch_execz .LBB103_851
.LBB103_869:
	v_cmp_ne_u16_e32 vcc_lo, 0, v3
	v_mov_b32_e32 v1, 0
	s_and_not1_b32 s29, s29, exec_lo
	s_and_b32 s50, vcc_lo, exec_lo
	s_delay_alu instid0(SALU_CYCLE_1)
	s_or_b32 s29, s29, s50
	s_or_b32 exec_lo, exec_lo, s49
	s_and_saveexec_b32 s49, s29
	s_cbranch_execnz .LBB103_852
	s_branch .LBB103_853
.LBB103_870:
	s_mov_b32 s29, -1
                                        ; implicit-def: $vgpr1
	s_branch .LBB103_875
.LBB103_871:
	s_mov_b32 s29, -1
                                        ; implicit-def: $vgpr1
.LBB103_872:
	s_delay_alu instid0(SALU_CYCLE_1)
	s_and_b32 vcc_lo, exec_lo, s29
	s_cbranch_vccz .LBB103_874
; %bb.873:
	s_wait_loadcnt 0x0
	global_load_u8 v1, v[6:7], off
	s_wait_loadcnt 0x0
	v_lshlrev_b32_e32 v1, 24, v1
	s_delay_alu instid0(VALU_DEP_1) | instskip(NEXT) | instid1(VALU_DEP_1)
	v_and_b32_e32 v3, 0x7f000000, v1
	v_clz_i32_u32_e32 v5, v3
	v_add_nc_u32_e32 v9, 0x1000000, v3
	v_cmp_ne_u32_e32 vcc_lo, 0, v3
	s_delay_alu instid0(VALU_DEP_3) | instskip(NEXT) | instid1(VALU_DEP_1)
	v_min_u32_e32 v5, 32, v5
	v_sub_nc_u32_e64 v5, v5, 4 clamp
	s_delay_alu instid0(VALU_DEP_1) | instskip(NEXT) | instid1(VALU_DEP_1)
	v_dual_lshlrev_b32 v8, v5, v3 :: v_dual_lshlrev_b32 v5, 23, v5
	v_lshrrev_b32_e32 v8, 4, v8
	s_delay_alu instid0(VALU_DEP_1) | instskip(SKIP_1) | instid1(VALU_DEP_2)
	v_sub_nc_u32_e32 v5, v8, v5
	v_ashrrev_i32_e32 v8, 8, v9
	v_add_nc_u32_e32 v5, 0x3c000000, v5
	s_delay_alu instid0(VALU_DEP_1) | instskip(NEXT) | instid1(VALU_DEP_1)
	v_and_or_b32 v5, 0x7f800000, v8, v5
	v_cndmask_b32_e32 v3, 0, v5, vcc_lo
	s_delay_alu instid0(VALU_DEP_1)
	v_and_or_b32 v1, 0x80000000, v1, v3
.LBB103_874:
	s_mov_b32 s29, 0
.LBB103_875:
	s_delay_alu instid0(SALU_CYCLE_1)
	s_and_not1_b32 vcc_lo, exec_lo, s29
	s_cbranch_vccnz .LBB103_877
; %bb.876:
	s_wait_loadcnt 0x0
	global_load_u8 v1, v[6:7], off
	s_wait_loadcnt 0x0
	v_lshlrev_b32_e32 v3, 25, v1
	v_lshlrev_b16 v1, 8, v1
	s_delay_alu instid0(VALU_DEP_1) | instskip(SKIP_1) | instid1(VALU_DEP_2)
	v_and_or_b32 v8, 0x7f00, v1, 0.5
	v_bfe_i32 v1, v1, 0, 16
	v_dual_add_f32 v8, -0.5, v8 :: v_dual_lshrrev_b32 v5, 4, v3
	v_cmp_gt_u32_e32 vcc_lo, 0x8000000, v3
	s_delay_alu instid0(VALU_DEP_2) | instskip(NEXT) | instid1(VALU_DEP_1)
	v_or_b32_e32 v5, 0x70000000, v5
	v_mul_f32_e32 v5, 0x7800000, v5
	s_delay_alu instid0(VALU_DEP_1) | instskip(NEXT) | instid1(VALU_DEP_1)
	v_cndmask_b32_e32 v3, v5, v8, vcc_lo
	v_and_or_b32 v1, 0x80000000, v1, v3
.LBB103_877:
	s_mov_b32 s49, 0
	s_mov_b32 s29, -1
.LBB103_878:
	s_and_not1_b32 vcc_lo, exec_lo, s49
	s_cbranch_vccnz .LBB103_891
; %bb.879:
	s_cmp_gt_i32 s2, 14
	s_cbranch_scc0 .LBB103_882
; %bb.880:
	s_cmp_eq_u32 s2, 15
	s_cbranch_scc0 .LBB103_885
; %bb.881:
	s_wait_loadcnt 0x0
	global_load_u16 v1, v[6:7], off
	s_mov_b32 s29, -1
	s_mov_b32 s28, 0
	s_wait_loadcnt 0x0
	v_lshlrev_b32_e32 v1, 16, v1
	s_branch .LBB103_886
.LBB103_882:
	s_mov_b32 s49, -1
                                        ; implicit-def: $vgpr1
	s_branch .LBB103_887
.LBB103_883:
	s_or_saveexec_b32 s49, s49
	v_mov_b32_e32 v1, 0x7f800001
	s_xor_b32 exec_lo, exec_lo, s49
	s_cbranch_execz .LBB103_864
.LBB103_884:
	v_cmp_ne_u16_e32 vcc_lo, 0, v3
	v_mov_b32_e32 v1, 0
	s_and_not1_b32 s29, s29, exec_lo
	s_and_b32 s50, vcc_lo, exec_lo
	s_delay_alu instid0(SALU_CYCLE_1)
	s_or_b32 s29, s29, s50
	s_or_b32 exec_lo, exec_lo, s49
	s_and_saveexec_b32 s49, s29
	s_cbranch_execnz .LBB103_865
	s_branch .LBB103_866
.LBB103_885:
	s_mov_b32 s28, -1
                                        ; implicit-def: $vgpr1
.LBB103_886:
	s_mov_b32 s49, 0
.LBB103_887:
	s_delay_alu instid0(SALU_CYCLE_1)
	s_and_b32 vcc_lo, exec_lo, s49
	s_cbranch_vccz .LBB103_891
; %bb.888:
	s_cmp_eq_u32 s2, 11
	s_cbranch_scc0 .LBB103_890
; %bb.889:
	s_wait_loadcnt 0x0
	global_load_u8 v1, v[6:7], off
	s_mov_b32 s28, 0
	s_mov_b32 s29, -1
	s_wait_loadcnt 0x0
	v_cmp_ne_u16_e32 vcc_lo, 0, v1
	v_cndmask_b32_e64 v1, 0, 1.0, vcc_lo
	s_branch .LBB103_891
.LBB103_890:
	s_mov_b32 s28, -1
                                        ; implicit-def: $vgpr1
.LBB103_891:
	s_mov_b32 s2, 0
.LBB103_892:
	s_delay_alu instid0(SALU_CYCLE_1)
	s_and_b32 vcc_lo, exec_lo, s2
	s_cbranch_vccz .LBB103_941
; %bb.893:
	s_and_b32 s1, 0xffff, s1
	s_delay_alu instid0(SALU_CYCLE_1)
	s_cmp_lt_i32 s1, 5
	s_cbranch_scc1 .LBB103_898
; %bb.894:
	s_cmp_lt_i32 s1, 8
	s_cbranch_scc1 .LBB103_899
; %bb.895:
	;; [unrolled: 3-line block ×3, first 2 shown]
	s_cmp_gt_i32 s1, 9
	s_cbranch_scc0 .LBB103_901
; %bb.897:
	global_load_b64 v[8:9], v[6:7], off
	s_mov_b32 s2, 0
	s_wait_loadcnt 0x0
	v_cvt_f32_f64_e32 v1, v[8:9]
	s_branch .LBB103_902
.LBB103_898:
	s_mov_b32 s2, -1
                                        ; implicit-def: $vgpr1
	s_branch .LBB103_920
.LBB103_899:
	s_mov_b32 s2, -1
                                        ; implicit-def: $vgpr1
	s_branch .LBB103_908
.LBB103_900:
	s_mov_b32 s2, -1
                                        ; implicit-def: $vgpr1
	s_branch .LBB103_905
.LBB103_901:
	s_mov_b32 s2, -1
                                        ; implicit-def: $vgpr1
.LBB103_902:
	s_delay_alu instid0(SALU_CYCLE_1)
	s_and_not1_b32 vcc_lo, exec_lo, s2
	s_cbranch_vccnz .LBB103_904
; %bb.903:
	s_wait_loadcnt 0x0
	global_load_b32 v1, v[6:7], off
.LBB103_904:
	s_mov_b32 s2, 0
.LBB103_905:
	s_delay_alu instid0(SALU_CYCLE_1)
	s_and_not1_b32 vcc_lo, exec_lo, s2
	s_cbranch_vccnz .LBB103_907
; %bb.906:
	s_wait_loadcnt 0x0
	global_load_b32 v1, v[6:7], off
	s_wait_loadcnt 0x0
	v_cvt_f32_f16_e32 v1, v1
.LBB103_907:
	s_mov_b32 s2, 0
.LBB103_908:
	s_delay_alu instid0(SALU_CYCLE_1)
	s_and_not1_b32 vcc_lo, exec_lo, s2
	s_cbranch_vccnz .LBB103_919
; %bb.909:
	s_cmp_lt_i32 s1, 6
	s_cbranch_scc1 .LBB103_912
; %bb.910:
	s_cmp_gt_i32 s1, 6
	s_cbranch_scc0 .LBB103_913
; %bb.911:
	global_load_b64 v[8:9], v[6:7], off
	s_mov_b32 s2, 0
	s_wait_loadcnt 0x0
	v_cvt_f32_f64_e32 v1, v[8:9]
	s_branch .LBB103_914
.LBB103_912:
	s_mov_b32 s2, -1
                                        ; implicit-def: $vgpr1
	s_branch .LBB103_917
.LBB103_913:
	s_mov_b32 s2, -1
                                        ; implicit-def: $vgpr1
.LBB103_914:
	s_delay_alu instid0(SALU_CYCLE_1)
	s_and_not1_b32 vcc_lo, exec_lo, s2
	s_cbranch_vccnz .LBB103_916
; %bb.915:
	s_wait_loadcnt 0x0
	global_load_b32 v1, v[6:7], off
.LBB103_916:
	s_mov_b32 s2, 0
.LBB103_917:
	s_delay_alu instid0(SALU_CYCLE_1)
	s_and_not1_b32 vcc_lo, exec_lo, s2
	s_cbranch_vccnz .LBB103_919
; %bb.918:
	s_wait_loadcnt 0x0
	global_load_u16 v1, v[6:7], off
	s_wait_loadcnt 0x0
	v_cvt_f32_f16_e32 v1, v1
.LBB103_919:
	s_mov_b32 s2, 0
.LBB103_920:
	s_delay_alu instid0(SALU_CYCLE_1)
	s_and_not1_b32 vcc_lo, exec_lo, s2
	s_cbranch_vccnz .LBB103_940
; %bb.921:
	s_cmp_lt_i32 s1, 2
	s_cbranch_scc1 .LBB103_925
; %bb.922:
	s_cmp_lt_i32 s1, 3
	s_cbranch_scc1 .LBB103_926
; %bb.923:
	s_cmp_gt_i32 s1, 3
	s_cbranch_scc0 .LBB103_927
; %bb.924:
	global_load_b64 v[8:9], v[6:7], off
	s_mov_b32 s2, 0
	s_wait_loadcnt 0x0
	v_xor_b32_e32 v1, v8, v9
	v_cls_i32_e32 v3, v9
	s_delay_alu instid0(VALU_DEP_2) | instskip(NEXT) | instid1(VALU_DEP_1)
	v_ashrrev_i32_e32 v1, 31, v1
	v_add_nc_u32_e32 v1, 32, v1
	s_delay_alu instid0(VALU_DEP_1) | instskip(NEXT) | instid1(VALU_DEP_1)
	v_add_min_u32_e64 v1, v3, -1, v1
	v_lshlrev_b64_e32 v[8:9], v1, v[8:9]
	v_sub_nc_u32_e32 v1, 32, v1
	s_delay_alu instid0(VALU_DEP_2) | instskip(NEXT) | instid1(VALU_DEP_1)
	v_min_u32_e32 v3, 1, v8
	v_or_b32_e32 v3, v9, v3
	s_delay_alu instid0(VALU_DEP_1) | instskip(NEXT) | instid1(VALU_DEP_1)
	v_cvt_f32_i32_e32 v3, v3
	v_ldexp_f32 v1, v3, v1
	s_branch .LBB103_928
.LBB103_925:
	s_mov_b32 s2, -1
                                        ; implicit-def: $vgpr1
	s_branch .LBB103_934
.LBB103_926:
	s_mov_b32 s2, -1
                                        ; implicit-def: $vgpr1
	s_branch .LBB103_931
.LBB103_927:
	s_mov_b32 s2, -1
                                        ; implicit-def: $vgpr1
.LBB103_928:
	s_delay_alu instid0(SALU_CYCLE_1)
	s_and_not1_b32 vcc_lo, exec_lo, s2
	s_cbranch_vccnz .LBB103_930
; %bb.929:
	s_wait_loadcnt 0x0
	global_load_b32 v1, v[6:7], off
	s_wait_loadcnt 0x0
	v_cvt_f32_i32_e32 v1, v1
.LBB103_930:
	s_mov_b32 s2, 0
.LBB103_931:
	s_delay_alu instid0(SALU_CYCLE_1)
	s_and_not1_b32 vcc_lo, exec_lo, s2
	s_cbranch_vccnz .LBB103_933
; %bb.932:
	s_wait_loadcnt 0x0
	global_load_i16 v1, v[6:7], off
	s_wait_loadcnt 0x0
	v_cvt_f32_i32_e32 v1, v1
.LBB103_933:
	s_mov_b32 s2, 0
.LBB103_934:
	s_delay_alu instid0(SALU_CYCLE_1)
	s_and_not1_b32 vcc_lo, exec_lo, s2
	s_cbranch_vccnz .LBB103_940
; %bb.935:
	s_cmp_gt_i32 s1, 0
	s_mov_b32 s1, 0
	s_cbranch_scc0 .LBB103_937
; %bb.936:
	s_wait_loadcnt 0x0
	global_load_i8 v1, v[6:7], off
	s_wait_loadcnt 0x0
	v_cvt_f32_i32_e32 v1, v1
	s_branch .LBB103_938
.LBB103_937:
	s_mov_b32 s1, -1
                                        ; implicit-def: $vgpr1
.LBB103_938:
	s_delay_alu instid0(SALU_CYCLE_1)
	s_and_not1_b32 vcc_lo, exec_lo, s1
	s_cbranch_vccnz .LBB103_940
; %bb.939:
	s_wait_loadcnt 0x0
	global_load_u8 v1, v[6:7], off
	s_wait_loadcnt 0x0
	v_cvt_f32_ubyte0_e32 v1, v1
.LBB103_940:
	s_mov_b32 s29, -1
.LBB103_941:
	s_delay_alu instid0(SALU_CYCLE_1)
	s_and_not1_b32 vcc_lo, exec_lo, s29
	s_cbranch_vccnz .LBB103_949
; %bb.942:
	v_mov_b32_e32 v5, 0
	s_and_b32 s1, s13, 0xff
	s_delay_alu instid0(SALU_CYCLE_1) | instskip(NEXT) | instid1(VALU_DEP_1)
	s_cmp_lt_i32 s1, 11
	v_add_nc_u64_e32 v[4:5], s[8:9], v[4:5]
	s_cbranch_scc1 .LBB103_950
; %bb.943:
	s_and_b32 s2, 0xffff, s1
	s_delay_alu instid0(SALU_CYCLE_1)
	s_cmp_gt_i32 s2, 25
	s_cbranch_scc0 .LBB103_951
; %bb.944:
	s_cmp_gt_i32 s2, 28
	s_cbranch_scc0 .LBB103_952
; %bb.945:
	;; [unrolled: 3-line block ×4, first 2 shown]
	s_cmp_eq_u32 s2, 46
	s_mov_b32 s50, 0
	s_cbranch_scc0 .LBB103_957
; %bb.948:
	s_wait_loadcnt 0x0
	global_load_b32 v3, v[4:5], off
	s_mov_b32 s49, -1
	s_mov_b32 s29, 0
	s_wait_loadcnt 0x0
	v_lshlrev_b32_e32 v3, 16, v3
	s_branch .LBB103_959
.LBB103_949:
	s_mov_b32 s51, 0
	s_mov_b32 s2, s45
	;; [unrolled: 1-line block ×3, first 2 shown]
	s_branch .LBB103_1198
.LBB103_950:
	s_mov_b32 s2, -1
	s_mov_b32 s49, 0
	s_mov_b32 s29, s46
                                        ; implicit-def: $vgpr3
	s_branch .LBB103_1024
.LBB103_951:
	s_mov_b32 s50, -1
	s_mov_b32 s49, 0
	s_mov_b32 s29, s46
                                        ; implicit-def: $vgpr3
	s_branch .LBB103_988
.LBB103_952:
	s_mov_b32 s50, -1
	s_mov_b32 s49, 0
	s_mov_b32 s29, s46
                                        ; implicit-def: $vgpr3
	s_branch .LBB103_969
.LBB103_953:
	s_mov_b32 s50, -1
	s_mov_b32 s49, 0
	s_mov_b32 s29, s46
                                        ; implicit-def: $vgpr3
	s_branch .LBB103_964
.LBB103_954:
	s_mov_b32 s50, -1
	s_mov_b32 s49, 0
	s_mov_b32 s29, s46
	s_branch .LBB103_958
.LBB103_955:
	s_and_not1_saveexec_b32 s49, s49
	s_cbranch_execz .LBB103_718
.LBB103_956:
	v_add_f32_e32 v1, 0x42800000, v4
	s_and_not1_b32 s48, s48, exec_lo
	s_delay_alu instid0(VALU_DEP_1) | instskip(NEXT) | instid1(VALU_DEP_1)
	v_and_b32_e32 v1, 0xff, v1
	v_cmp_ne_u32_e32 vcc_lo, 0, v1
	s_and_b32 s50, vcc_lo, exec_lo
	s_delay_alu instid0(SALU_CYCLE_1)
	s_or_b32 s48, s48, s50
	s_or_b32 exec_lo, exec_lo, s49
	v_mov_b32_e32 v5, 0
	s_and_saveexec_b32 s49, s48
	s_cbranch_execnz .LBB103_719
	s_branch .LBB103_720
.LBB103_957:
	s_mov_b32 s29, -1
	s_mov_b32 s49, 0
.LBB103_958:
                                        ; implicit-def: $vgpr3
.LBB103_959:
	s_and_b32 vcc_lo, exec_lo, s50
	s_cbranch_vccz .LBB103_963
; %bb.960:
	s_cmp_eq_u32 s2, 44
	s_cbranch_scc0 .LBB103_962
; %bb.961:
	s_wait_loadcnt 0x0
	global_load_u8 v3, v[4:5], off
	s_mov_b32 s29, 0
	s_mov_b32 s49, -1
	s_wait_loadcnt 0x0
	s_wait_xcnt 0x1
	v_lshlrev_b32_e32 v6, 23, v3
	v_cmp_ne_u32_e32 vcc_lo, 0xff, v3
	s_delay_alu instid0(VALU_DEP_2) | instskip(SKIP_1) | instid1(VALU_DEP_2)
	v_cndmask_b32_e32 v6, 0x7f800001, v6, vcc_lo
	v_cmp_ne_u32_e32 vcc_lo, 0, v3
	v_cndmask_b32_e32 v3, 0x400000, v6, vcc_lo
	s_branch .LBB103_963
.LBB103_962:
	s_mov_b32 s29, -1
                                        ; implicit-def: $vgpr3
.LBB103_963:
	s_mov_b32 s50, 0
.LBB103_964:
	s_delay_alu instid0(SALU_CYCLE_1)
	s_and_b32 vcc_lo, exec_lo, s50
	s_cbranch_vccz .LBB103_968
; %bb.965:
	s_cmp_eq_u32 s2, 29
	s_cbranch_scc0 .LBB103_967
; %bb.966:
	global_load_b64 v[6:7], v[4:5], off
	s_mov_b32 s49, -1
	s_mov_b32 s29, 0
	s_mov_b32 s50, 0
	s_wait_loadcnt 0x0
	v_clz_i32_u32_e32 v3, v7
	s_delay_alu instid0(VALU_DEP_1) | instskip(NEXT) | instid1(VALU_DEP_1)
	v_min_u32_e32 v3, 32, v3
	v_lshlrev_b64_e32 v[6:7], v3, v[6:7]
	v_sub_nc_u32_e32 v3, 32, v3
	s_delay_alu instid0(VALU_DEP_2) | instskip(NEXT) | instid1(VALU_DEP_1)
	v_min_u32_e32 v6, 1, v6
	v_or_b32_e32 v6, v7, v6
	s_delay_alu instid0(VALU_DEP_1) | instskip(NEXT) | instid1(VALU_DEP_1)
	v_cvt_f32_u32_e32 v6, v6
	v_ldexp_f32 v3, v6, v3
	s_branch .LBB103_969
.LBB103_967:
	s_mov_b32 s29, -1
                                        ; implicit-def: $vgpr3
.LBB103_968:
	s_mov_b32 s50, 0
.LBB103_969:
	s_delay_alu instid0(SALU_CYCLE_1)
	s_and_b32 vcc_lo, exec_lo, s50
	s_cbranch_vccz .LBB103_987
; %bb.970:
	s_cmp_lt_i32 s2, 27
	s_cbranch_scc1 .LBB103_973
; %bb.971:
	s_cmp_gt_i32 s2, 27
	s_cbranch_scc0 .LBB103_974
; %bb.972:
	s_wait_loadcnt 0x0
	global_load_b32 v3, v[4:5], off
	s_mov_b32 s49, 0
	s_wait_loadcnt 0x0
	v_cvt_f32_u32_e32 v3, v3
	s_branch .LBB103_975
.LBB103_973:
	s_mov_b32 s49, -1
                                        ; implicit-def: $vgpr3
	s_branch .LBB103_978
.LBB103_974:
	s_mov_b32 s49, -1
                                        ; implicit-def: $vgpr3
.LBB103_975:
	s_delay_alu instid0(SALU_CYCLE_1)
	s_and_not1_b32 vcc_lo, exec_lo, s49
	s_cbranch_vccnz .LBB103_977
; %bb.976:
	s_wait_loadcnt 0x0
	global_load_u16 v3, v[4:5], off
	s_wait_loadcnt 0x0
	v_cvt_f32_u32_e32 v3, v3
.LBB103_977:
	s_mov_b32 s49, 0
.LBB103_978:
	s_delay_alu instid0(SALU_CYCLE_1)
	s_and_not1_b32 vcc_lo, exec_lo, s49
	s_cbranch_vccnz .LBB103_986
; %bb.979:
	global_load_u8 v6, v[4:5], off
	s_mov_b32 s49, 0
	s_mov_b32 s50, exec_lo
	s_wait_loadcnt 0x0
	v_cmpx_lt_i16_e32 0x7f, v6
	s_xor_b32 s50, exec_lo, s50
	s_cbranch_execz .LBB103_1000
; %bb.980:
	s_mov_b32 s49, -1
	s_mov_b32 s51, exec_lo
	v_cmpx_eq_u16_e32 0x80, v6
; %bb.981:
	s_xor_b32 s49, exec_lo, -1
; %bb.982:
	s_or_b32 exec_lo, exec_lo, s51
	s_delay_alu instid0(SALU_CYCLE_1)
	s_and_b32 s49, s49, exec_lo
	s_or_saveexec_b32 s50, s50
	v_mov_b32_e32 v3, 0x7f800001
	s_xor_b32 exec_lo, exec_lo, s50
	s_cbranch_execnz .LBB103_1001
.LBB103_983:
	s_or_b32 exec_lo, exec_lo, s50
	s_and_saveexec_b32 s50, s49
	s_cbranch_execz .LBB103_985
.LBB103_984:
	v_and_b32_e32 v3, 0xffff, v6
	s_delay_alu instid0(VALU_DEP_1) | instskip(SKIP_1) | instid1(VALU_DEP_2)
	v_and_b32_e32 v7, 7, v3
	v_bfe_u32 v10, v3, 3, 4
	v_clz_i32_u32_e32 v8, v7
	s_delay_alu instid0(VALU_DEP_2) | instskip(NEXT) | instid1(VALU_DEP_2)
	v_cmp_eq_u32_e32 vcc_lo, 0, v10
	v_min_u32_e32 v8, 32, v8
	s_delay_alu instid0(VALU_DEP_1) | instskip(NEXT) | instid1(VALU_DEP_1)
	v_subrev_nc_u32_e32 v9, 28, v8
	v_dual_lshlrev_b32 v3, v9, v3 :: v_dual_sub_nc_u32 v8, 29, v8
	s_delay_alu instid0(VALU_DEP_1) | instskip(NEXT) | instid1(VALU_DEP_1)
	v_dual_lshlrev_b32 v6, 24, v6 :: v_dual_bitop2_b32 v3, 7, v3 bitop3:0x40
	v_dual_cndmask_b32 v8, v10, v8 :: v_dual_cndmask_b32 v3, v7, v3
	s_delay_alu instid0(VALU_DEP_2) | instskip(NEXT) | instid1(VALU_DEP_2)
	v_and_b32_e32 v6, 0x80000000, v6
	v_lshl_add_u32 v7, v8, 23, 0x3b800000
	s_delay_alu instid0(VALU_DEP_3) | instskip(NEXT) | instid1(VALU_DEP_1)
	v_lshlrev_b32_e32 v3, 20, v3
	v_or3_b32 v3, v6, v7, v3
.LBB103_985:
	s_or_b32 exec_lo, exec_lo, s50
.LBB103_986:
	s_mov_b32 s49, -1
.LBB103_987:
	s_mov_b32 s50, 0
.LBB103_988:
	s_delay_alu instid0(SALU_CYCLE_1)
	s_and_b32 vcc_lo, exec_lo, s50
	s_cbranch_vccz .LBB103_1023
; %bb.989:
	s_cmp_gt_i32 s2, 22
	s_cbranch_scc0 .LBB103_999
; %bb.990:
	s_cmp_lt_i32 s2, 24
	s_cbranch_scc1 .LBB103_1002
; %bb.991:
	s_cmp_gt_i32 s2, 24
	s_cbranch_scc0 .LBB103_1003
; %bb.992:
	global_load_u8 v6, v[4:5], off
	s_mov_b32 s49, 0
	s_mov_b32 s50, exec_lo
	s_wait_loadcnt 0x0
	v_cmpx_lt_i16_e32 0x7f, v6
	s_xor_b32 s50, exec_lo, s50
	s_cbranch_execz .LBB103_1015
; %bb.993:
	s_mov_b32 s49, -1
	s_mov_b32 s51, exec_lo
	v_cmpx_eq_u16_e32 0x80, v6
; %bb.994:
	s_xor_b32 s49, exec_lo, -1
; %bb.995:
	s_or_b32 exec_lo, exec_lo, s51
	s_delay_alu instid0(SALU_CYCLE_1)
	s_and_b32 s49, s49, exec_lo
	s_or_saveexec_b32 s50, s50
	v_mov_b32_e32 v3, 0x7f800001
	s_xor_b32 exec_lo, exec_lo, s50
	s_cbranch_execnz .LBB103_1016
.LBB103_996:
	s_or_b32 exec_lo, exec_lo, s50
	s_and_saveexec_b32 s50, s49
	s_cbranch_execz .LBB103_998
.LBB103_997:
	v_and_b32_e32 v3, 0xffff, v6
	s_delay_alu instid0(VALU_DEP_1) | instskip(SKIP_1) | instid1(VALU_DEP_2)
	v_and_b32_e32 v7, 3, v3
	v_bfe_u32 v10, v3, 2, 5
	v_clz_i32_u32_e32 v8, v7
	s_delay_alu instid0(VALU_DEP_2) | instskip(NEXT) | instid1(VALU_DEP_2)
	v_cmp_eq_u32_e32 vcc_lo, 0, v10
	v_min_u32_e32 v8, 32, v8
	s_delay_alu instid0(VALU_DEP_1) | instskip(NEXT) | instid1(VALU_DEP_1)
	v_subrev_nc_u32_e32 v9, 29, v8
	v_dual_lshlrev_b32 v3, v9, v3 :: v_dual_sub_nc_u32 v8, 30, v8
	s_delay_alu instid0(VALU_DEP_1) | instskip(NEXT) | instid1(VALU_DEP_1)
	v_dual_lshlrev_b32 v6, 24, v6 :: v_dual_bitop2_b32 v3, 3, v3 bitop3:0x40
	v_dual_cndmask_b32 v8, v10, v8 :: v_dual_cndmask_b32 v3, v7, v3
	s_delay_alu instid0(VALU_DEP_2) | instskip(NEXT) | instid1(VALU_DEP_2)
	v_and_b32_e32 v6, 0x80000000, v6
	v_lshl_add_u32 v7, v8, 23, 0x37800000
	s_delay_alu instid0(VALU_DEP_3) | instskip(NEXT) | instid1(VALU_DEP_1)
	v_lshlrev_b32_e32 v3, 21, v3
	v_or3_b32 v3, v6, v7, v3
.LBB103_998:
	s_or_b32 exec_lo, exec_lo, s50
	s_mov_b32 s49, 0
	s_branch .LBB103_1004
.LBB103_999:
	s_mov_b32 s50, -1
                                        ; implicit-def: $vgpr3
	s_branch .LBB103_1010
.LBB103_1000:
	s_or_saveexec_b32 s50, s50
	v_mov_b32_e32 v3, 0x7f800001
	s_xor_b32 exec_lo, exec_lo, s50
	s_cbranch_execz .LBB103_983
.LBB103_1001:
	v_cmp_ne_u16_e32 vcc_lo, 0, v6
	v_mov_b32_e32 v3, 0
	s_and_not1_b32 s49, s49, exec_lo
	s_and_b32 s51, vcc_lo, exec_lo
	s_delay_alu instid0(SALU_CYCLE_1)
	s_or_b32 s49, s49, s51
	s_or_b32 exec_lo, exec_lo, s50
	s_and_saveexec_b32 s50, s49
	s_cbranch_execnz .LBB103_984
	s_branch .LBB103_985
.LBB103_1002:
	s_mov_b32 s49, -1
                                        ; implicit-def: $vgpr3
	s_branch .LBB103_1007
.LBB103_1003:
	s_mov_b32 s49, -1
                                        ; implicit-def: $vgpr3
.LBB103_1004:
	s_delay_alu instid0(SALU_CYCLE_1)
	s_and_b32 vcc_lo, exec_lo, s49
	s_cbranch_vccz .LBB103_1006
; %bb.1005:
	s_wait_loadcnt 0x0
	global_load_u8 v3, v[4:5], off
	s_wait_loadcnt 0x0
	v_lshlrev_b32_e32 v3, 24, v3
	s_wait_xcnt 0x1
	s_delay_alu instid0(VALU_DEP_1) | instskip(NEXT) | instid1(VALU_DEP_1)
	v_and_b32_e32 v6, 0x7f000000, v3
	v_clz_i32_u32_e32 v7, v6
	v_cmp_ne_u32_e32 vcc_lo, 0, v6
	v_add_nc_u32_e32 v9, 0x1000000, v6
	s_delay_alu instid0(VALU_DEP_3) | instskip(NEXT) | instid1(VALU_DEP_1)
	v_min_u32_e32 v7, 32, v7
	v_sub_nc_u32_e64 v7, v7, 4 clamp
	s_delay_alu instid0(VALU_DEP_1) | instskip(NEXT) | instid1(VALU_DEP_1)
	v_dual_lshlrev_b32 v8, v7, v6 :: v_dual_lshlrev_b32 v7, 23, v7
	v_lshrrev_b32_e32 v8, 4, v8
	s_delay_alu instid0(VALU_DEP_1) | instskip(NEXT) | instid1(VALU_DEP_1)
	v_dual_sub_nc_u32 v7, v8, v7 :: v_dual_ashrrev_i32 v8, 8, v9
	v_add_nc_u32_e32 v7, 0x3c000000, v7
	s_delay_alu instid0(VALU_DEP_1) | instskip(NEXT) | instid1(VALU_DEP_1)
	v_and_or_b32 v7, 0x7f800000, v8, v7
	v_cndmask_b32_e32 v6, 0, v7, vcc_lo
	s_delay_alu instid0(VALU_DEP_1)
	v_and_or_b32 v3, 0x80000000, v3, v6
.LBB103_1006:
	s_mov_b32 s49, 0
.LBB103_1007:
	s_delay_alu instid0(SALU_CYCLE_1)
	s_and_not1_b32 vcc_lo, exec_lo, s49
	s_cbranch_vccnz .LBB103_1009
; %bb.1008:
	s_wait_loadcnt 0x0
	global_load_u8 v3, v[4:5], off
	s_wait_loadcnt 0x0
	s_wait_xcnt 0x1
	v_lshlrev_b32_e32 v6, 25, v3
	v_lshlrev_b16 v3, 8, v3
	s_delay_alu instid0(VALU_DEP_1) | instskip(SKIP_1) | instid1(VALU_DEP_2)
	v_and_or_b32 v8, 0x7f00, v3, 0.5
	v_bfe_i32 v3, v3, 0, 16
	v_dual_add_f32 v8, -0.5, v8 :: v_dual_lshrrev_b32 v7, 4, v6
	v_cmp_gt_u32_e32 vcc_lo, 0x8000000, v6
	s_delay_alu instid0(VALU_DEP_2) | instskip(NEXT) | instid1(VALU_DEP_1)
	v_or_b32_e32 v7, 0x70000000, v7
	v_mul_f32_e32 v7, 0x7800000, v7
	s_delay_alu instid0(VALU_DEP_1) | instskip(NEXT) | instid1(VALU_DEP_1)
	v_cndmask_b32_e32 v6, v7, v8, vcc_lo
	v_and_or_b32 v3, 0x80000000, v3, v6
.LBB103_1009:
	s_mov_b32 s50, 0
	s_mov_b32 s49, -1
.LBB103_1010:
	s_and_not1_b32 vcc_lo, exec_lo, s50
	s_cbranch_vccnz .LBB103_1023
; %bb.1011:
	s_cmp_gt_i32 s2, 14
	s_cbranch_scc0 .LBB103_1014
; %bb.1012:
	s_cmp_eq_u32 s2, 15
	s_cbranch_scc0 .LBB103_1017
; %bb.1013:
	s_wait_loadcnt 0x0
	global_load_u16 v3, v[4:5], off
	s_mov_b32 s49, -1
	s_mov_b32 s29, 0
	s_wait_loadcnt 0x0
	v_lshlrev_b32_e32 v3, 16, v3
	s_branch .LBB103_1018
.LBB103_1014:
	s_mov_b32 s50, -1
                                        ; implicit-def: $vgpr3
	s_branch .LBB103_1019
.LBB103_1015:
	s_or_saveexec_b32 s50, s50
	v_mov_b32_e32 v3, 0x7f800001
	s_xor_b32 exec_lo, exec_lo, s50
	s_cbranch_execz .LBB103_996
.LBB103_1016:
	v_cmp_ne_u16_e32 vcc_lo, 0, v6
	v_mov_b32_e32 v3, 0
	s_and_not1_b32 s49, s49, exec_lo
	s_and_b32 s51, vcc_lo, exec_lo
	s_delay_alu instid0(SALU_CYCLE_1)
	s_or_b32 s49, s49, s51
	s_or_b32 exec_lo, exec_lo, s50
	s_and_saveexec_b32 s50, s49
	s_cbranch_execnz .LBB103_997
	s_branch .LBB103_998
.LBB103_1017:
	s_mov_b32 s29, -1
                                        ; implicit-def: $vgpr3
.LBB103_1018:
	s_mov_b32 s50, 0
.LBB103_1019:
	s_delay_alu instid0(SALU_CYCLE_1)
	s_and_b32 vcc_lo, exec_lo, s50
	s_cbranch_vccz .LBB103_1023
; %bb.1020:
	s_cmp_eq_u32 s2, 11
	s_cbranch_scc0 .LBB103_1022
; %bb.1021:
	s_wait_loadcnt 0x0
	global_load_u8 v3, v[4:5], off
	s_mov_b32 s29, 0
	s_mov_b32 s49, -1
	s_wait_loadcnt 0x0
	v_cmp_ne_u16_e32 vcc_lo, 0, v3
	v_cndmask_b32_e64 v3, 0, 1.0, vcc_lo
	s_branch .LBB103_1023
.LBB103_1022:
	s_mov_b32 s29, -1
                                        ; implicit-def: $vgpr3
.LBB103_1023:
	s_mov_b32 s2, 0
.LBB103_1024:
	s_delay_alu instid0(SALU_CYCLE_1)
	s_and_b32 vcc_lo, exec_lo, s2
	s_cbranch_vccz .LBB103_1073
; %bb.1025:
	s_and_b32 s1, 0xffff, s1
	s_delay_alu instid0(SALU_CYCLE_1)
	s_cmp_lt_i32 s1, 5
	s_cbranch_scc1 .LBB103_1030
; %bb.1026:
	s_cmp_lt_i32 s1, 8
	s_cbranch_scc1 .LBB103_1031
; %bb.1027:
	;; [unrolled: 3-line block ×3, first 2 shown]
	s_cmp_gt_i32 s1, 9
	s_cbranch_scc0 .LBB103_1033
; %bb.1029:
	global_load_b64 v[6:7], v[4:5], off
	s_mov_b32 s2, 0
	s_wait_loadcnt 0x0
	v_cvt_f32_f64_e32 v3, v[6:7]
	s_branch .LBB103_1034
.LBB103_1030:
	s_mov_b32 s2, -1
                                        ; implicit-def: $vgpr3
	s_branch .LBB103_1052
.LBB103_1031:
	s_mov_b32 s2, -1
                                        ; implicit-def: $vgpr3
	s_branch .LBB103_1040
.LBB103_1032:
	s_mov_b32 s2, -1
                                        ; implicit-def: $vgpr3
	s_branch .LBB103_1037
.LBB103_1033:
	s_mov_b32 s2, -1
                                        ; implicit-def: $vgpr3
.LBB103_1034:
	s_delay_alu instid0(SALU_CYCLE_1)
	s_and_not1_b32 vcc_lo, exec_lo, s2
	s_cbranch_vccnz .LBB103_1036
; %bb.1035:
	s_wait_loadcnt 0x0
	global_load_b32 v3, v[4:5], off
.LBB103_1036:
	s_mov_b32 s2, 0
.LBB103_1037:
	s_delay_alu instid0(SALU_CYCLE_1)
	s_and_not1_b32 vcc_lo, exec_lo, s2
	s_cbranch_vccnz .LBB103_1039
; %bb.1038:
	s_wait_loadcnt 0x0
	global_load_b32 v3, v[4:5], off
	s_wait_loadcnt 0x0
	v_cvt_f32_f16_e32 v3, v3
.LBB103_1039:
	s_mov_b32 s2, 0
.LBB103_1040:
	s_delay_alu instid0(SALU_CYCLE_1)
	s_and_not1_b32 vcc_lo, exec_lo, s2
	s_cbranch_vccnz .LBB103_1051
; %bb.1041:
	s_cmp_lt_i32 s1, 6
	s_cbranch_scc1 .LBB103_1044
; %bb.1042:
	s_cmp_gt_i32 s1, 6
	s_cbranch_scc0 .LBB103_1045
; %bb.1043:
	global_load_b64 v[6:7], v[4:5], off
	s_mov_b32 s2, 0
	s_wait_loadcnt 0x0
	v_cvt_f32_f64_e32 v3, v[6:7]
	s_branch .LBB103_1046
.LBB103_1044:
	s_mov_b32 s2, -1
                                        ; implicit-def: $vgpr3
	s_branch .LBB103_1049
.LBB103_1045:
	s_mov_b32 s2, -1
                                        ; implicit-def: $vgpr3
.LBB103_1046:
	s_delay_alu instid0(SALU_CYCLE_1)
	s_and_not1_b32 vcc_lo, exec_lo, s2
	s_cbranch_vccnz .LBB103_1048
; %bb.1047:
	s_wait_loadcnt 0x0
	global_load_b32 v3, v[4:5], off
.LBB103_1048:
	s_mov_b32 s2, 0
.LBB103_1049:
	s_delay_alu instid0(SALU_CYCLE_1)
	s_and_not1_b32 vcc_lo, exec_lo, s2
	s_cbranch_vccnz .LBB103_1051
; %bb.1050:
	s_wait_loadcnt 0x0
	global_load_u16 v3, v[4:5], off
	s_wait_loadcnt 0x0
	v_cvt_f32_f16_e32 v3, v3
.LBB103_1051:
	s_mov_b32 s2, 0
.LBB103_1052:
	s_delay_alu instid0(SALU_CYCLE_1)
	s_and_not1_b32 vcc_lo, exec_lo, s2
	s_cbranch_vccnz .LBB103_1072
; %bb.1053:
	s_cmp_lt_i32 s1, 2
	s_cbranch_scc1 .LBB103_1057
; %bb.1054:
	s_cmp_lt_i32 s1, 3
	s_cbranch_scc1 .LBB103_1058
; %bb.1055:
	s_cmp_gt_i32 s1, 3
	s_cbranch_scc0 .LBB103_1059
; %bb.1056:
	global_load_b64 v[6:7], v[4:5], off
	s_mov_b32 s2, 0
	s_wait_loadcnt 0x0
	v_xor_b32_e32 v3, v6, v7
	v_cls_i32_e32 v8, v7
	s_delay_alu instid0(VALU_DEP_2) | instskip(NEXT) | instid1(VALU_DEP_1)
	v_ashrrev_i32_e32 v3, 31, v3
	v_add_nc_u32_e32 v3, 32, v3
	s_delay_alu instid0(VALU_DEP_1) | instskip(NEXT) | instid1(VALU_DEP_1)
	v_add_min_u32_e64 v3, v8, -1, v3
	v_lshlrev_b64_e32 v[6:7], v3, v[6:7]
	v_sub_nc_u32_e32 v3, 32, v3
	s_delay_alu instid0(VALU_DEP_2) | instskip(NEXT) | instid1(VALU_DEP_1)
	v_min_u32_e32 v6, 1, v6
	v_or_b32_e32 v6, v7, v6
	s_delay_alu instid0(VALU_DEP_1) | instskip(NEXT) | instid1(VALU_DEP_1)
	v_cvt_f32_i32_e32 v6, v6
	v_ldexp_f32 v3, v6, v3
	s_branch .LBB103_1060
.LBB103_1057:
	s_mov_b32 s2, -1
                                        ; implicit-def: $vgpr3
	s_branch .LBB103_1066
.LBB103_1058:
	s_mov_b32 s2, -1
                                        ; implicit-def: $vgpr3
	s_branch .LBB103_1063
.LBB103_1059:
	s_mov_b32 s2, -1
                                        ; implicit-def: $vgpr3
.LBB103_1060:
	s_delay_alu instid0(SALU_CYCLE_1)
	s_and_not1_b32 vcc_lo, exec_lo, s2
	s_cbranch_vccnz .LBB103_1062
; %bb.1061:
	s_wait_loadcnt 0x0
	global_load_b32 v3, v[4:5], off
	s_wait_loadcnt 0x0
	v_cvt_f32_i32_e32 v3, v3
.LBB103_1062:
	s_mov_b32 s2, 0
.LBB103_1063:
	s_delay_alu instid0(SALU_CYCLE_1)
	s_and_not1_b32 vcc_lo, exec_lo, s2
	s_cbranch_vccnz .LBB103_1065
; %bb.1064:
	s_wait_loadcnt 0x0
	global_load_i16 v3, v[4:5], off
	s_wait_loadcnt 0x0
	v_cvt_f32_i32_e32 v3, v3
.LBB103_1065:
	s_mov_b32 s2, 0
.LBB103_1066:
	s_delay_alu instid0(SALU_CYCLE_1)
	s_and_not1_b32 vcc_lo, exec_lo, s2
	s_cbranch_vccnz .LBB103_1072
; %bb.1067:
	s_cmp_gt_i32 s1, 0
	s_mov_b32 s1, 0
	s_cbranch_scc0 .LBB103_1069
; %bb.1068:
	s_wait_loadcnt 0x0
	global_load_i8 v3, v[4:5], off
	s_wait_loadcnt 0x0
	v_cvt_f32_i32_e32 v3, v3
	s_branch .LBB103_1070
.LBB103_1069:
	s_mov_b32 s1, -1
                                        ; implicit-def: $vgpr3
.LBB103_1070:
	s_delay_alu instid0(SALU_CYCLE_1)
	s_and_not1_b32 vcc_lo, exec_lo, s1
	s_cbranch_vccnz .LBB103_1072
; %bb.1071:
	s_wait_loadcnt 0x0
	global_load_u8 v3, v[4:5], off
	s_wait_loadcnt 0x0
	v_cvt_f32_ubyte0_e32 v3, v3
.LBB103_1072:
	s_mov_b32 s49, -1
.LBB103_1073:
	s_delay_alu instid0(SALU_CYCLE_1)
	s_and_not1_b32 vcc_lo, exec_lo, s49
	s_cbranch_vccnz .LBB103_1081
; %bb.1074:
	s_wait_loadcnt 0x0
	s_delay_alu instid0(VALU_DEP_1) | instskip(SKIP_1) | instid1(SALU_CYCLE_1)
	v_cmp_eq_f32_e32 vcc_lo, v1, v3
	s_and_b32 s49, s11, 0xff
	s_cmp_lt_i32 s49, 11
	s_wait_xcnt 0x0
	v_cndmask_b32_e64 v4, 0, 1, vcc_lo
	v_cmp_neq_f32_e32 vcc_lo, v1, v3
	v_mov_b32_e32 v3, 0
	v_cndmask_b32_e64 v1, 0, 1, vcc_lo
	s_delay_alu instid0(VALU_DEP_2) | instskip(NEXT) | instid1(VALU_DEP_2)
	v_add_nc_u64_e32 v[2:3], s[4:5], v[2:3]
	v_cndmask_b32_e64 v1, v1, v4, s0
	s_delay_alu instid0(VALU_DEP_1) | instskip(NEXT) | instid1(VALU_DEP_1)
	v_and_b32_e32 v1, 1, v1
	v_cmp_eq_u32_e64 s1, 1, v1
	s_cbranch_scc1 .LBB103_1082
; %bb.1075:
	s_and_b32 s50, 0xffff, s49
	s_delay_alu instid0(SALU_CYCLE_1)
	s_cmp_gt_i32 s50, 25
	s_cbranch_scc0 .LBB103_1083
; %bb.1076:
	s_cmp_gt_i32 s50, 28
	s_cbranch_scc0 .LBB103_1084
; %bb.1077:
	;; [unrolled: 3-line block ×4, first 2 shown]
	s_mov_b32 s52, 0
	s_mov_b32 s2, -1
	s_cmp_eq_u32 s50, 46
	s_mov_b32 s51, 0
	s_cbranch_scc0 .LBB103_1087
; %bb.1080:
	v_cndmask_b32_e64 v1, 0, 1.0, s1
	s_mov_b32 s51, -1
	s_mov_b32 s2, 0
	s_delay_alu instid0(VALU_DEP_1) | instskip(NEXT) | instid1(VALU_DEP_1)
	v_bfe_u32 v4, v1, 16, 1
	v_add3_u32 v1, v1, v4, 0x7fff
	s_delay_alu instid0(VALU_DEP_1)
	v_lshrrev_b32_e32 v1, 16, v1
	global_store_b32 v[2:3], v1, off
	s_branch .LBB103_1087
.LBB103_1081:
	s_mov_b32 s51, 0
	s_mov_b32 s2, s45
	s_branch .LBB103_1198
.LBB103_1082:
	s_mov_b32 s50, -1
	s_mov_b32 s51, 0
	s_mov_b32 s2, s45
	s_branch .LBB103_1156
.LBB103_1083:
	s_mov_b32 s52, -1
	s_mov_b32 s51, 0
	s_mov_b32 s2, s45
	s_branch .LBB103_1114
.LBB103_1084:
	s_mov_b32 s52, -1
	s_mov_b32 s51, 0
	s_mov_b32 s2, s45
	s_branch .LBB103_1097
.LBB103_1085:
	s_mov_b32 s52, -1
	s_mov_b32 s51, 0
	s_mov_b32 s2, s45
	s_branch .LBB103_1093
.LBB103_1086:
	s_mov_b32 s52, -1
	s_mov_b32 s51, 0
	s_mov_b32 s2, s45
.LBB103_1087:
	s_and_b32 vcc_lo, exec_lo, s52
	s_cbranch_vccz .LBB103_1092
; %bb.1088:
	s_cmp_eq_u32 s50, 44
	s_mov_b32 s2, -1
	s_cbranch_scc0 .LBB103_1092
; %bb.1089:
	v_cndmask_b32_e64 v5, 0, 1.0, s1
	s_mov_b32 s51, exec_lo
	s_wait_xcnt 0x0
	s_delay_alu instid0(VALU_DEP_1) | instskip(NEXT) | instid1(VALU_DEP_1)
	v_dual_mov_b32 v4, 0xff :: v_dual_lshrrev_b32 v1, 23, v5
	v_cmpx_ne_u32_e32 0xff, v1
; %bb.1090:
	v_and_b32_e32 v4, 0x400000, v5
	v_and_or_b32 v5, 0x3fffff, v5, v1
	s_delay_alu instid0(VALU_DEP_2) | instskip(NEXT) | instid1(VALU_DEP_2)
	v_cmp_ne_u32_e32 vcc_lo, 0, v4
	v_cmp_ne_u32_e64 s2, 0, v5
	s_and_b32 s2, vcc_lo, s2
	s_delay_alu instid0(SALU_CYCLE_1) | instskip(NEXT) | instid1(VALU_DEP_1)
	v_cndmask_b32_e64 v4, 0, 1, s2
	v_add_nc_u32_e32 v4, v1, v4
; %bb.1091:
	s_or_b32 exec_lo, exec_lo, s51
	s_mov_b32 s51, -1
	s_mov_b32 s2, 0
	global_store_b8 v[2:3], v4, off
.LBB103_1092:
	s_mov_b32 s52, 0
.LBB103_1093:
	s_delay_alu instid0(SALU_CYCLE_1)
	s_and_b32 vcc_lo, exec_lo, s52
	s_cbranch_vccz .LBB103_1096
; %bb.1094:
	s_cmp_eq_u32 s50, 29
	s_mov_b32 s2, -1
	s_cbranch_scc0 .LBB103_1096
; %bb.1095:
	s_mov_b32 s2, 0
	s_wait_xcnt 0x0
	v_cndmask_b32_e64 v4, 0, 1, s1
	v_mov_b32_e32 v5, s2
	s_mov_b32 s51, -1
	s_mov_b32 s52, 0
	global_store_b64 v[2:3], v[4:5], off
	s_branch .LBB103_1097
.LBB103_1096:
	s_mov_b32 s52, 0
.LBB103_1097:
	s_delay_alu instid0(SALU_CYCLE_1)
	s_and_b32 vcc_lo, exec_lo, s52
	s_cbranch_vccz .LBB103_1113
; %bb.1098:
	s_cmp_lt_i32 s50, 27
	s_mov_b32 s51, -1
	s_cbranch_scc1 .LBB103_1104
; %bb.1099:
	s_cmp_gt_i32 s50, 27
	s_cbranch_scc0 .LBB103_1101
; %bb.1100:
	s_wait_xcnt 0x0
	v_cndmask_b32_e64 v1, 0, 1, s1
	s_mov_b32 s51, 0
	global_store_b32 v[2:3], v1, off
.LBB103_1101:
	s_and_not1_b32 vcc_lo, exec_lo, s51
	s_cbranch_vccnz .LBB103_1103
; %bb.1102:
	s_wait_xcnt 0x0
	v_cndmask_b32_e64 v1, 0, 1, s1
	global_store_b16 v[2:3], v1, off
.LBB103_1103:
	s_mov_b32 s51, 0
.LBB103_1104:
	s_delay_alu instid0(SALU_CYCLE_1)
	s_and_not1_b32 vcc_lo, exec_lo, s51
	s_cbranch_vccnz .LBB103_1112
; %bb.1105:
	s_wait_xcnt 0x0
	v_cndmask_b32_e64 v4, 0, 1.0, s1
	v_mov_b32_e32 v5, 0x80
	s_mov_b32 s51, exec_lo
	s_delay_alu instid0(VALU_DEP_2)
	v_cmpx_gt_u32_e32 0x43800000, v4
	s_cbranch_execz .LBB103_1111
; %bb.1106:
	s_mov_b32 s52, 0
	s_mov_b32 s53, exec_lo
                                        ; implicit-def: $vgpr1
	v_cmpx_lt_u32_e32 0x3bffffff, v4
	s_xor_b32 s53, exec_lo, s53
	s_cbranch_execz .LBB103_1226
; %bb.1107:
	v_bfe_u32 v1, v4, 20, 1
	s_mov_b32 s52, exec_lo
	s_delay_alu instid0(VALU_DEP_1) | instskip(NEXT) | instid1(VALU_DEP_1)
	v_add3_u32 v1, v4, v1, 0x487ffff
                                        ; implicit-def: $vgpr4
	v_lshrrev_b32_e32 v1, 20, v1
	s_and_not1_saveexec_b32 s53, s53
	s_cbranch_execnz .LBB103_1227
.LBB103_1108:
	s_or_b32 exec_lo, exec_lo, s53
	v_mov_b32_e32 v5, 0
	s_and_saveexec_b32 s53, s52
.LBB103_1109:
	v_mov_b32_e32 v5, v1
.LBB103_1110:
	s_or_b32 exec_lo, exec_lo, s53
.LBB103_1111:
	s_delay_alu instid0(SALU_CYCLE_1)
	s_or_b32 exec_lo, exec_lo, s51
	global_store_b8 v[2:3], v5, off
.LBB103_1112:
	s_mov_b32 s51, -1
.LBB103_1113:
	s_mov_b32 s52, 0
.LBB103_1114:
	s_delay_alu instid0(SALU_CYCLE_1)
	s_and_b32 vcc_lo, exec_lo, s52
	s_cbranch_vccz .LBB103_1155
; %bb.1115:
	s_cmp_gt_i32 s50, 22
	s_mov_b32 s52, -1
	s_cbranch_scc0 .LBB103_1147
; %bb.1116:
	s_cmp_lt_i32 s50, 24
	s_mov_b32 s51, -1
	s_cbranch_scc1 .LBB103_1136
; %bb.1117:
	s_cmp_gt_i32 s50, 24
	s_cbranch_scc0 .LBB103_1125
; %bb.1118:
	s_wait_xcnt 0x0
	v_cndmask_b32_e64 v4, 0, 1.0, s1
	v_mov_b32_e32 v5, 0x80
	s_mov_b32 s51, exec_lo
	s_delay_alu instid0(VALU_DEP_2)
	v_cmpx_gt_u32_e32 0x47800000, v4
	s_cbranch_execz .LBB103_1124
; %bb.1119:
	s_mov_b32 s52, 0
	s_mov_b32 s53, exec_lo
                                        ; implicit-def: $vgpr1
	v_cmpx_lt_u32_e32 0x37ffffff, v4
	s_xor_b32 s53, exec_lo, s53
	s_cbranch_execz .LBB103_2298
; %bb.1120:
	v_bfe_u32 v1, v4, 21, 1
	s_mov_b32 s52, exec_lo
	s_delay_alu instid0(VALU_DEP_1) | instskip(NEXT) | instid1(VALU_DEP_1)
	v_add3_u32 v1, v4, v1, 0x88fffff
                                        ; implicit-def: $vgpr4
	v_lshrrev_b32_e32 v1, 21, v1
	s_and_not1_saveexec_b32 s53, s53
	s_cbranch_execnz .LBB103_2299
.LBB103_1121:
	s_or_b32 exec_lo, exec_lo, s53
	v_mov_b32_e32 v5, 0
	s_and_saveexec_b32 s53, s52
.LBB103_1122:
	v_mov_b32_e32 v5, v1
.LBB103_1123:
	s_or_b32 exec_lo, exec_lo, s53
.LBB103_1124:
	s_delay_alu instid0(SALU_CYCLE_1)
	s_or_b32 exec_lo, exec_lo, s51
	s_mov_b32 s51, 0
	global_store_b8 v[2:3], v5, off
.LBB103_1125:
	s_and_b32 vcc_lo, exec_lo, s51
	s_cbranch_vccz .LBB103_1135
; %bb.1126:
	s_wait_xcnt 0x0
	v_cndmask_b32_e64 v4, 0, 1.0, s1
	s_mov_b32 s51, exec_lo
                                        ; implicit-def: $vgpr1
	s_delay_alu instid0(VALU_DEP_1)
	v_cmpx_gt_u32_e32 0x43f00000, v4
	s_xor_b32 s51, exec_lo, s51
	s_cbranch_execz .LBB103_1132
; %bb.1127:
	s_mov_b32 s52, exec_lo
                                        ; implicit-def: $vgpr1
	v_cmpx_lt_u32_e32 0x3c7fffff, v4
	s_xor_b32 s52, exec_lo, s52
; %bb.1128:
	v_bfe_u32 v1, v4, 20, 1
	s_delay_alu instid0(VALU_DEP_1) | instskip(NEXT) | instid1(VALU_DEP_1)
	v_add3_u32 v1, v4, v1, 0x407ffff
	v_and_b32_e32 v4, 0xff00000, v1
	v_lshrrev_b32_e32 v1, 20, v1
	s_delay_alu instid0(VALU_DEP_2) | instskip(NEXT) | instid1(VALU_DEP_2)
	v_cmp_ne_u32_e32 vcc_lo, 0x7f00000, v4
                                        ; implicit-def: $vgpr4
	v_cndmask_b32_e32 v1, 0x7e, v1, vcc_lo
; %bb.1129:
	s_and_not1_saveexec_b32 s52, s52
; %bb.1130:
	v_add_f32_e32 v1, 0x46800000, v4
; %bb.1131:
	s_or_b32 exec_lo, exec_lo, s52
                                        ; implicit-def: $vgpr4
.LBB103_1132:
	s_and_not1_saveexec_b32 s51, s51
; %bb.1133:
	v_mov_b32_e32 v1, 0x7f
	v_cmp_lt_u32_e32 vcc_lo, 0x7f800000, v4
	s_delay_alu instid0(VALU_DEP_2)
	v_cndmask_b32_e32 v1, 0x7e, v1, vcc_lo
; %bb.1134:
	s_or_b32 exec_lo, exec_lo, s51
	global_store_b8 v[2:3], v1, off
.LBB103_1135:
	s_mov_b32 s51, 0
.LBB103_1136:
	s_delay_alu instid0(SALU_CYCLE_1)
	s_and_not1_b32 vcc_lo, exec_lo, s51
	s_cbranch_vccnz .LBB103_1146
; %bb.1137:
	s_wait_xcnt 0x0
	v_cndmask_b32_e64 v4, 0, 1.0, s1
	s_mov_b32 s51, exec_lo
                                        ; implicit-def: $vgpr1
	s_delay_alu instid0(VALU_DEP_1)
	v_cmpx_gt_u32_e32 0x47800000, v4
	s_xor_b32 s51, exec_lo, s51
	s_cbranch_execz .LBB103_1143
; %bb.1138:
	s_mov_b32 s52, exec_lo
                                        ; implicit-def: $vgpr1
	v_cmpx_lt_u32_e32 0x387fffff, v4
	s_xor_b32 s52, exec_lo, s52
; %bb.1139:
	v_bfe_u32 v1, v4, 21, 1
	s_delay_alu instid0(VALU_DEP_1) | instskip(NEXT) | instid1(VALU_DEP_1)
	v_add3_u32 v1, v4, v1, 0x80fffff
                                        ; implicit-def: $vgpr4
	v_lshrrev_b32_e32 v1, 21, v1
; %bb.1140:
	s_and_not1_saveexec_b32 s52, s52
; %bb.1141:
	v_add_f32_e32 v1, 0x43000000, v4
; %bb.1142:
	s_or_b32 exec_lo, exec_lo, s52
                                        ; implicit-def: $vgpr4
.LBB103_1143:
	s_and_not1_saveexec_b32 s51, s51
; %bb.1144:
	v_mov_b32_e32 v1, 0x7f
	v_cmp_lt_u32_e32 vcc_lo, 0x7f800000, v4
	s_delay_alu instid0(VALU_DEP_2)
	v_cndmask_b32_e32 v1, 0x7c, v1, vcc_lo
; %bb.1145:
	s_or_b32 exec_lo, exec_lo, s51
	global_store_b8 v[2:3], v1, off
.LBB103_1146:
	s_mov_b32 s52, 0
	s_mov_b32 s51, -1
.LBB103_1147:
	s_and_not1_b32 vcc_lo, exec_lo, s52
	s_cbranch_vccnz .LBB103_1155
; %bb.1148:
	s_cmp_gt_i32 s50, 14
	s_mov_b32 s52, -1
	s_cbranch_scc0 .LBB103_1152
; %bb.1149:
	s_cmp_eq_u32 s50, 15
	s_mov_b32 s2, -1
	s_cbranch_scc0 .LBB103_1151
; %bb.1150:
	s_wait_xcnt 0x0
	v_cndmask_b32_e64 v1, 0, 1.0, s1
	s_mov_b32 s51, -1
	s_mov_b32 s2, 0
	s_delay_alu instid0(VALU_DEP_1) | instskip(NEXT) | instid1(VALU_DEP_1)
	v_bfe_u32 v4, v1, 16, 1
	v_add3_u32 v1, v1, v4, 0x7fff
	global_store_d16_hi_b16 v[2:3], v1, off
.LBB103_1151:
	s_mov_b32 s52, 0
.LBB103_1152:
	s_delay_alu instid0(SALU_CYCLE_1)
	s_and_b32 vcc_lo, exec_lo, s52
	s_cbranch_vccz .LBB103_1155
; %bb.1153:
	s_cmp_eq_u32 s50, 11
	s_mov_b32 s2, -1
	s_cbranch_scc0 .LBB103_1155
; %bb.1154:
	s_wait_xcnt 0x0
	v_cndmask_b32_e64 v1, 0, 1, s1
	s_mov_b32 s51, -1
	s_mov_b32 s2, 0
	global_store_b8 v[2:3], v1, off
.LBB103_1155:
	s_mov_b32 s50, 0
.LBB103_1156:
	s_delay_alu instid0(SALU_CYCLE_1)
	s_and_b32 vcc_lo, exec_lo, s50
	s_cbranch_vccz .LBB103_1195
; %bb.1157:
	s_and_b32 s49, 0xffff, s49
	s_mov_b32 s50, -1
	s_cmp_lt_i32 s49, 5
	s_cbranch_scc1 .LBB103_1178
; %bb.1158:
	s_cmp_lt_i32 s49, 8
	s_cbranch_scc1 .LBB103_1168
; %bb.1159:
	;; [unrolled: 3-line block ×3, first 2 shown]
	s_cmp_gt_i32 s49, 9
	s_cbranch_scc0 .LBB103_1162
; %bb.1161:
	s_wait_xcnt 0x0
	v_cndmask_b32_e64 v1, 0, 1, s1
	v_mov_b32_e32 v6, 0
	s_mov_b32 s50, 0
	s_delay_alu instid0(VALU_DEP_2) | instskip(NEXT) | instid1(VALU_DEP_2)
	v_cvt_f64_u32_e32 v[4:5], v1
	v_mov_b32_e32 v7, v6
	global_store_b128 v[2:3], v[4:7], off
.LBB103_1162:
	s_and_not1_b32 vcc_lo, exec_lo, s50
	s_cbranch_vccnz .LBB103_1164
; %bb.1163:
	s_wait_xcnt 0x0
	v_cndmask_b32_e64 v4, 0, 1.0, s1
	v_mov_b32_e32 v5, 0
	global_store_b64 v[2:3], v[4:5], off
.LBB103_1164:
	s_mov_b32 s50, 0
.LBB103_1165:
	s_delay_alu instid0(SALU_CYCLE_1)
	s_and_not1_b32 vcc_lo, exec_lo, s50
	s_cbranch_vccnz .LBB103_1167
; %bb.1166:
	s_wait_xcnt 0x0
	v_cndmask_b32_e64 v1, 0, 1.0, s1
	s_delay_alu instid0(VALU_DEP_1) | instskip(NEXT) | instid1(VALU_DEP_1)
	v_cvt_f16_f32_e32 v1, v1
	v_and_b32_e32 v1, 0xffff, v1
	global_store_b32 v[2:3], v1, off
.LBB103_1167:
	s_mov_b32 s50, 0
.LBB103_1168:
	s_delay_alu instid0(SALU_CYCLE_1)
	s_and_not1_b32 vcc_lo, exec_lo, s50
	s_cbranch_vccnz .LBB103_1177
; %bb.1169:
	s_cmp_lt_i32 s49, 6
	s_mov_b32 s50, -1
	s_cbranch_scc1 .LBB103_1175
; %bb.1170:
	s_cmp_gt_i32 s49, 6
	s_cbranch_scc0 .LBB103_1172
; %bb.1171:
	s_wait_xcnt 0x0
	v_cndmask_b32_e64 v1, 0, 1, s1
	s_mov_b32 s50, 0
	s_delay_alu instid0(VALU_DEP_1)
	v_cvt_f64_u32_e32 v[4:5], v1
	global_store_b64 v[2:3], v[4:5], off
.LBB103_1172:
	s_and_not1_b32 vcc_lo, exec_lo, s50
	s_cbranch_vccnz .LBB103_1174
; %bb.1173:
	s_wait_xcnt 0x0
	v_cndmask_b32_e64 v1, 0, 1.0, s1
	global_store_b32 v[2:3], v1, off
.LBB103_1174:
	s_mov_b32 s50, 0
.LBB103_1175:
	s_delay_alu instid0(SALU_CYCLE_1)
	s_and_not1_b32 vcc_lo, exec_lo, s50
	s_cbranch_vccnz .LBB103_1177
; %bb.1176:
	s_wait_xcnt 0x0
	v_cndmask_b32_e64 v1, 0, 1.0, s1
	s_delay_alu instid0(VALU_DEP_1)
	v_cvt_f16_f32_e32 v1, v1
	global_store_b16 v[2:3], v1, off
.LBB103_1177:
	s_mov_b32 s50, 0
.LBB103_1178:
	s_delay_alu instid0(SALU_CYCLE_1)
	s_and_not1_b32 vcc_lo, exec_lo, s50
	s_cbranch_vccnz .LBB103_1194
; %bb.1179:
	s_cmp_lt_i32 s49, 2
	s_mov_b32 s50, -1
	s_cbranch_scc1 .LBB103_1189
; %bb.1180:
	s_cmp_lt_i32 s49, 3
	s_cbranch_scc1 .LBB103_1186
; %bb.1181:
	s_cmp_gt_i32 s49, 3
	s_cbranch_scc0 .LBB103_1183
; %bb.1182:
	s_mov_b32 s50, 0
	s_wait_xcnt 0x0
	v_cndmask_b32_e64 v4, 0, 1, s1
	v_mov_b32_e32 v5, s50
	global_store_b64 v[2:3], v[4:5], off
.LBB103_1183:
	s_and_not1_b32 vcc_lo, exec_lo, s50
	s_cbranch_vccnz .LBB103_1185
; %bb.1184:
	s_wait_xcnt 0x0
	v_cndmask_b32_e64 v1, 0, 1, s1
	global_store_b32 v[2:3], v1, off
.LBB103_1185:
	s_mov_b32 s50, 0
.LBB103_1186:
	s_delay_alu instid0(SALU_CYCLE_1)
	s_and_not1_b32 vcc_lo, exec_lo, s50
	s_cbranch_vccnz .LBB103_1188
; %bb.1187:
	s_wait_xcnt 0x0
	v_cndmask_b32_e64 v1, 0, 1, s1
	global_store_b16 v[2:3], v1, off
.LBB103_1188:
	s_mov_b32 s50, 0
.LBB103_1189:
	s_delay_alu instid0(SALU_CYCLE_1)
	s_and_not1_b32 vcc_lo, exec_lo, s50
	s_cbranch_vccnz .LBB103_1194
; %bb.1190:
	s_wait_xcnt 0x0
	v_cndmask_b32_e64 v1, 0, 1, s1
	s_cmp_gt_i32 s49, 0
	s_mov_b32 s1, -1
	s_cbranch_scc0 .LBB103_1192
; %bb.1191:
	s_mov_b32 s1, 0
	global_store_b8 v[2:3], v1, off
.LBB103_1192:
	s_and_not1_b32 vcc_lo, exec_lo, s1
	s_cbranch_vccnz .LBB103_1194
; %bb.1193:
	global_store_b8 v[2:3], v1, off
.LBB103_1194:
	s_mov_b32 s51, -1
.LBB103_1195:
	s_delay_alu instid0(SALU_CYCLE_1)
	s_and_not1_b32 vcc_lo, exec_lo, s51
	s_cbranch_vccnz .LBB103_1197
; %bb.1196:
	v_add_nc_u32_e32 v0, 0x80, v0
	s_mov_b32 s51, -1
	s_branch .LBB103_1199
.LBB103_1197:
	s_mov_b32 s51, 0
.LBB103_1198:
                                        ; implicit-def: $vgpr0
.LBB103_1199:
	s_and_not1_b32 s1, s45, exec_lo
	s_and_b32 s2, s2, exec_lo
	s_and_b32 s28, s28, exec_lo
	s_or_b32 s49, s1, s2
	s_and_not1_b32 s1, s46, exec_lo
	s_and_b32 s2, s29, exec_lo
	s_and_not1_b32 s29, s44, exec_lo
	s_or_b32 s50, s1, s2
	s_or_b32 s1, s29, s28
	s_or_not1_b32 s52, s51, exec_lo
.LBB103_1200:
	s_wait_xcnt 0x0
	s_or_b32 exec_lo, exec_lo, s48
	s_mov_b32 s51, 0
	s_mov_b32 s29, 0
	;; [unrolled: 1-line block ×3, first 2 shown]
                                        ; implicit-def: $sgpr2
                                        ; implicit-def: $vgpr6_vgpr7
                                        ; implicit-def: $vgpr4
                                        ; implicit-def: $vgpr2
                                        ; implicit-def: $vgpr3
	s_and_saveexec_b32 s48, s52
	s_cbranch_execz .LBB103_1295
; %bb.1201:
	v_cmp_gt_i32_e32 vcc_lo, s39, v0
	s_mov_b32 s52, s1
                                        ; implicit-def: $sgpr2
                                        ; implicit-def: $vgpr6_vgpr7
                                        ; implicit-def: $vgpr4
                                        ; implicit-def: $vgpr2
                                        ; implicit-def: $vgpr3
	s_and_saveexec_b32 s39, vcc_lo
	s_cbranch_execz .LBB103_1294
; %bb.1202:
	s_and_not1_b32 vcc_lo, exec_lo, s34
	s_cbranch_vccnz .LBB103_1208
; %bb.1203:
	s_and_not1_b32 vcc_lo, exec_lo, s40
	s_cbranch_vccnz .LBB103_1209
; %bb.1204:
	s_wait_loadcnt 0x0
	v_dual_mov_b32 v2, 0 :: v_dual_mov_b32 v1, v0
	v_dual_mov_b32 v6, 0 :: v_dual_mov_b32 v4, 0
	s_add_co_i32 s2, s38, 1
	s_mov_b64 s[28:29], 0xffffffffffffffe8
	s_and_b32 s2, s2, 30
	s_add_nc_u64 s[28:29], s[20:21], s[28:29]
.LBB103_1205:                           ; =>This Inner Loop Header: Depth=1
	s_clause 0x1
	s_load_b128 s[52:55], s[28:29], 0x1c
	s_load_b64 s[60:61], s[28:29], 0x2c
	s_add_co_i32 s2, s2, -2
	s_delay_alu instid0(SALU_CYCLE_1) | instskip(SKIP_2) | instid1(VALU_DEP_1)
	s_cmp_eq_u32 s2, 0
	s_wait_kmcnt 0x0
	v_mul_hi_u32 v3, s53, v1
	v_add_nc_u32_e32 v3, v1, v3
	s_delay_alu instid0(VALU_DEP_1) | instskip(NEXT) | instid1(VALU_DEP_1)
	v_lshrrev_b32_e32 v3, s54, v3
	v_mul_hi_u32 v5, s60, v3
	v_mul_lo_u32 v7, v3, s52
	s_clause 0x1
	s_load_b128 s[56:59], s[28:29], 0xdc
	s_load_b64 s[52:53], s[28:29], 0xec
	s_wait_xcnt 0x0
	s_add_nc_u64 s[28:29], s[28:29], 24
	s_delay_alu instid0(VALU_DEP_1) | instskip(NEXT) | instid1(VALU_DEP_1)
	v_dual_add_nc_u32 v5, v3, v5 :: v_dual_sub_nc_u32 v7, v1, v7
	v_lshrrev_b32_e32 v1, s61, v5
	s_wait_kmcnt 0x0
	s_delay_alu instid0(VALU_DEP_2) | instskip(NEXT) | instid1(VALU_DEP_2)
	v_mad_u32 v2, v7, s56, v2
	v_mul_lo_u32 v5, v1, s55
	v_mad_u32 v4, v7, s58, v4
	v_mad_u32 v6, v7, s57, v6
	s_delay_alu instid0(VALU_DEP_3) | instskip(NEXT) | instid1(VALU_DEP_1)
	v_sub_nc_u32_e32 v3, v3, v5
	v_mad_u32 v2, v3, s59, v2
	s_delay_alu instid0(VALU_DEP_4) | instskip(NEXT) | instid1(VALU_DEP_4)
	v_mad_u32 v4, v3, s53, v4
	v_mad_u32 v6, v3, s52, v6
	s_cbranch_scc0 .LBB103_1205
; %bb.1206:
	s_bitcmp1_b32 s38, 0
	s_cselect_b32 s2, -1, 0
	s_delay_alu instid0(SALU_CYCLE_1)
	s_and_b32 vcc_lo, exec_lo, s2
	s_cbranch_vccnz .LBB103_1210
; %bb.1207:
	s_clause 0x1
	s_load_b96 s[52:54], s[28:29], 0x1c
	s_load_b96 s[56:58], s[28:29], 0xdc
	s_wait_kmcnt 0x0
	v_mul_hi_u32 v3, s53, v1
	s_delay_alu instid0(VALU_DEP_1) | instskip(NEXT) | instid1(VALU_DEP_1)
	v_add_nc_u32_e32 v3, v1, v3
	v_lshrrev_b32_e32 v3, s54, v3
	s_delay_alu instid0(VALU_DEP_1) | instskip(NEXT) | instid1(VALU_DEP_1)
	v_mul_lo_u32 v3, v3, s52
	v_sub_nc_u32_e32 v1, v1, v3
	s_delay_alu instid0(VALU_DEP_1)
	v_mad_u32 v2, v1, s56, v2
	v_mad_u32 v6, v1, s57, v6
	;; [unrolled: 1-line block ×3, first 2 shown]
	s_branch .LBB103_1210
.LBB103_1208:
	s_mov_b32 s2, -1
                                        ; implicit-def: $vgpr4
                                        ; implicit-def: $vgpr6
                                        ; implicit-def: $vgpr2
	s_branch .LBB103_1211
.LBB103_1209:
	v_dual_mov_b32 v4, 0 :: v_dual_mov_b32 v6, 0
	v_mov_b32_e32 v2, 0
.LBB103_1210:
	s_mov_b32 s2, 0
.LBB103_1211:
	s_delay_alu instid0(SALU_CYCLE_1)
	s_and_not1_b32 vcc_lo, exec_lo, s2
	s_cbranch_vccnz .LBB103_1214
; %bb.1212:
	s_wait_loadcnt 0x0
	v_mov_b32_e32 v1, 0
	s_and_not1_b32 vcc_lo, exec_lo, s37
	s_delay_alu instid0(VALU_DEP_1) | instskip(NEXT) | instid1(VALU_DEP_1)
	v_mul_u64_e32 v[2:3], s[22:23], v[0:1]
	v_add_nc_u32_e32 v2, v0, v3
	s_delay_alu instid0(VALU_DEP_1) | instskip(NEXT) | instid1(VALU_DEP_1)
	v_lshrrev_b32_e32 v8, s14, v2
	v_mul_lo_u32 v2, v8, s12
	s_delay_alu instid0(VALU_DEP_1) | instskip(NEXT) | instid1(VALU_DEP_1)
	v_sub_nc_u32_e32 v0, v0, v2
	v_mul_lo_u32 v2, v0, s16
	v_mul_lo_u32 v4, v0, s18
	;; [unrolled: 1-line block ×3, first 2 shown]
	s_cbranch_vccnz .LBB103_1214
; %bb.1213:
	v_mov_b32_e32 v9, v1
	s_delay_alu instid0(VALU_DEP_1) | instskip(NEXT) | instid1(VALU_DEP_1)
	v_mul_u64_e32 v[0:1], s[26:27], v[8:9]
	v_add_nc_u32_e32 v0, v8, v1
	s_delay_alu instid0(VALU_DEP_1) | instskip(NEXT) | instid1(VALU_DEP_1)
	v_lshrrev_b32_e32 v0, s3, v0
	v_mul_lo_u32 v0, v0, s15
	s_delay_alu instid0(VALU_DEP_1) | instskip(NEXT) | instid1(VALU_DEP_1)
	v_sub_nc_u32_e32 v0, v8, v0
	v_mad_u32 v2, v0, s19, v2
	v_mad_u32 v6, v0, s24, v6
	;; [unrolled: 1-line block ×3, first 2 shown]
.LBB103_1214:
	v_mov_b32_e32 v7, 0
	s_and_b32 s2, s36, 0xff
	s_delay_alu instid0(SALU_CYCLE_1) | instskip(NEXT) | instid1(VALU_DEP_1)
	s_cmp_lt_i32 s2, 11
	v_add_nc_u64_e32 v[6:7], s[6:7], v[6:7]
	s_cbranch_scc1 .LBB103_1221
; %bb.1215:
	s_and_b32 s3, 0xffff, s2
	s_mov_b32 s7, 0
	s_cmp_gt_i32 s3, 25
	s_cbranch_scc0 .LBB103_1222
; %bb.1216:
	s_cmp_gt_i32 s3, 28
	s_cbranch_scc0 .LBB103_1223
; %bb.1217:
	;; [unrolled: 3-line block ×4, first 2 shown]
	s_cmp_eq_u32 s3, 46
	s_mov_b32 s14, 0
	s_cbranch_scc0 .LBB103_1228
; %bb.1220:
	global_load_b32 v0, v[6:7], off
	s_mov_b32 s6, 0
	s_mov_b32 s12, -1
	s_wait_loadcnt 0x0
	v_lshlrev_b32_e32 v3, 16, v0
	s_branch .LBB103_1230
.LBB103_1221:
	s_mov_b32 s3, -1
	s_mov_b32 s12, 0
	s_mov_b32 s7, 0
	;; [unrolled: 1-line block ×3, first 2 shown]
                                        ; implicit-def: $vgpr3
	s_branch .LBB103_1293
.LBB103_1222:
	s_mov_b32 s14, -1
	s_mov_b32 s12, 0
	s_mov_b32 s6, s1
                                        ; implicit-def: $vgpr3
	s_branch .LBB103_1259
.LBB103_1223:
	s_mov_b32 s14, -1
	s_mov_b32 s12, 0
	s_mov_b32 s6, s1
                                        ; implicit-def: $vgpr3
	s_branch .LBB103_1240
.LBB103_1224:
	s_mov_b32 s14, -1
	s_mov_b32 s12, 0
	s_mov_b32 s6, s1
                                        ; implicit-def: $vgpr3
	s_branch .LBB103_1235
.LBB103_1225:
	s_mov_b32 s14, -1
	s_mov_b32 s12, 0
	s_mov_b32 s6, s1
	s_branch .LBB103_1229
.LBB103_1226:
	s_and_not1_saveexec_b32 s53, s53
	s_cbranch_execz .LBB103_1108
.LBB103_1227:
	v_add_f32_e32 v1, 0x46000000, v4
	s_and_not1_b32 s52, s52, exec_lo
	s_delay_alu instid0(VALU_DEP_1) | instskip(NEXT) | instid1(VALU_DEP_1)
	v_and_b32_e32 v1, 0xff, v1
	v_cmp_ne_u32_e32 vcc_lo, 0, v1
	s_and_b32 s54, vcc_lo, exec_lo
	s_delay_alu instid0(SALU_CYCLE_1)
	s_or_b32 s52, s52, s54
	s_or_b32 exec_lo, exec_lo, s53
	v_mov_b32_e32 v5, 0
	s_and_saveexec_b32 s53, s52
	s_cbranch_execnz .LBB103_1109
	s_branch .LBB103_1110
.LBB103_1228:
	s_mov_b32 s6, -1
	s_mov_b32 s12, 0
.LBB103_1229:
                                        ; implicit-def: $vgpr3
.LBB103_1230:
	s_and_b32 vcc_lo, exec_lo, s14
	s_cbranch_vccz .LBB103_1234
; %bb.1231:
	s_cmp_eq_u32 s3, 44
	s_cbranch_scc0 .LBB103_1233
; %bb.1232:
	global_load_u8 v0, v[6:7], off
	s_mov_b32 s6, 0
	s_mov_b32 s12, -1
	s_wait_loadcnt 0x0
	v_lshlrev_b32_e32 v1, 23, v0
	v_cmp_ne_u32_e32 vcc_lo, 0xff, v0
	s_delay_alu instid0(VALU_DEP_2) | instskip(SKIP_1) | instid1(VALU_DEP_2)
	v_cndmask_b32_e32 v1, 0x7f800001, v1, vcc_lo
	v_cmp_ne_u32_e32 vcc_lo, 0, v0
	v_cndmask_b32_e32 v3, 0x400000, v1, vcc_lo
	s_branch .LBB103_1234
.LBB103_1233:
	s_mov_b32 s6, -1
                                        ; implicit-def: $vgpr3
.LBB103_1234:
	s_mov_b32 s14, 0
.LBB103_1235:
	s_delay_alu instid0(SALU_CYCLE_1)
	s_and_b32 vcc_lo, exec_lo, s14
	s_cbranch_vccz .LBB103_1239
; %bb.1236:
	s_cmp_eq_u32 s3, 29
	s_cbranch_scc0 .LBB103_1238
; %bb.1237:
	s_wait_loadcnt 0x0
	global_load_b64 v[0:1], v[6:7], off
	s_mov_b32 s6, 0
	s_mov_b32 s12, -1
	s_mov_b32 s14, 0
	s_wait_loadcnt 0x0
	v_clz_i32_u32_e32 v3, v1
	s_delay_alu instid0(VALU_DEP_1) | instskip(NEXT) | instid1(VALU_DEP_1)
	v_min_u32_e32 v3, 32, v3
	v_lshlrev_b64_e32 v[0:1], v3, v[0:1]
	s_delay_alu instid0(VALU_DEP_1) | instskip(NEXT) | instid1(VALU_DEP_1)
	v_min_u32_e32 v0, 1, v0
	v_dual_sub_nc_u32 v1, 32, v3 :: v_dual_bitop2_b32 v0, v1, v0 bitop3:0x54
	s_delay_alu instid0(VALU_DEP_1) | instskip(NEXT) | instid1(VALU_DEP_1)
	v_cvt_f32_u32_e32 v0, v0
	v_ldexp_f32 v3, v0, v1
	s_branch .LBB103_1240
.LBB103_1238:
	s_mov_b32 s6, -1
                                        ; implicit-def: $vgpr3
.LBB103_1239:
	s_mov_b32 s14, 0
.LBB103_1240:
	s_delay_alu instid0(SALU_CYCLE_1)
	s_and_b32 vcc_lo, exec_lo, s14
	s_cbranch_vccz .LBB103_1258
; %bb.1241:
	s_cmp_lt_i32 s3, 27
	s_cbranch_scc1 .LBB103_1244
; %bb.1242:
	s_cmp_gt_i32 s3, 27
	s_cbranch_scc0 .LBB103_1245
; %bb.1243:
	global_load_b32 v0, v[6:7], off
	s_mov_b32 s12, 0
	s_wait_loadcnt 0x0
	v_cvt_f32_u32_e32 v3, v0
	s_branch .LBB103_1246
.LBB103_1244:
	s_mov_b32 s12, -1
                                        ; implicit-def: $vgpr3
	s_branch .LBB103_1249
.LBB103_1245:
	s_mov_b32 s12, -1
                                        ; implicit-def: $vgpr3
.LBB103_1246:
	s_delay_alu instid0(SALU_CYCLE_1)
	s_and_not1_b32 vcc_lo, exec_lo, s12
	s_cbranch_vccnz .LBB103_1248
; %bb.1247:
	global_load_u16 v0, v[6:7], off
	s_wait_loadcnt 0x0
	v_cvt_f32_u32_e32 v3, v0
.LBB103_1248:
	s_mov_b32 s12, 0
.LBB103_1249:
	s_delay_alu instid0(SALU_CYCLE_1)
	s_and_not1_b32 vcc_lo, exec_lo, s12
	s_cbranch_vccnz .LBB103_1257
; %bb.1250:
	global_load_u8 v0, v[6:7], off
	s_mov_b32 s12, 0
	s_mov_b32 s14, exec_lo
	s_wait_loadcnt 0x0
	v_cmpx_lt_i16_e32 0x7f, v0
	s_xor_b32 s14, exec_lo, s14
	s_cbranch_execz .LBB103_1271
; %bb.1251:
	s_mov_b32 s12, -1
	s_mov_b32 s15, exec_lo
	v_cmpx_eq_u16_e32 0x80, v0
; %bb.1252:
	s_xor_b32 s12, exec_lo, -1
; %bb.1253:
	s_or_b32 exec_lo, exec_lo, s15
	s_delay_alu instid0(SALU_CYCLE_1)
	s_and_b32 s12, s12, exec_lo
	s_or_saveexec_b32 s14, s14
	v_mov_b32_e32 v3, 0x7f800001
	s_xor_b32 exec_lo, exec_lo, s14
	s_cbranch_execnz .LBB103_1272
.LBB103_1254:
	s_or_b32 exec_lo, exec_lo, s14
	s_and_saveexec_b32 s14, s12
	s_cbranch_execz .LBB103_1256
.LBB103_1255:
	v_and_b32_e32 v1, 0xffff, v0
	s_delay_alu instid0(VALU_DEP_1) | instskip(SKIP_1) | instid1(VALU_DEP_2)
	v_dual_lshlrev_b32 v0, 24, v0 :: v_dual_bitop2_b32 v3, 7, v1 bitop3:0x40
	v_bfe_u32 v9, v1, 3, 4
	v_and_b32_e32 v0, 0x80000000, v0
	s_delay_alu instid0(VALU_DEP_3) | instskip(NEXT) | instid1(VALU_DEP_3)
	v_clz_i32_u32_e32 v5, v3
	v_cmp_eq_u32_e32 vcc_lo, 0, v9
	s_delay_alu instid0(VALU_DEP_2) | instskip(NEXT) | instid1(VALU_DEP_1)
	v_min_u32_e32 v5, 32, v5
	v_subrev_nc_u32_e32 v8, 28, v5
	v_sub_nc_u32_e32 v5, 29, v5
	s_delay_alu instid0(VALU_DEP_2) | instskip(NEXT) | instid1(VALU_DEP_2)
	v_lshlrev_b32_e32 v1, v8, v1
	v_cndmask_b32_e32 v5, v9, v5, vcc_lo
	s_delay_alu instid0(VALU_DEP_2) | instskip(NEXT) | instid1(VALU_DEP_1)
	v_and_b32_e32 v1, 7, v1
	v_cndmask_b32_e32 v1, v3, v1, vcc_lo
	s_delay_alu instid0(VALU_DEP_3) | instskip(NEXT) | instid1(VALU_DEP_2)
	v_lshl_add_u32 v3, v5, 23, 0x3b800000
	v_lshlrev_b32_e32 v1, 20, v1
	s_delay_alu instid0(VALU_DEP_1)
	v_or3_b32 v3, v0, v3, v1
.LBB103_1256:
	s_or_b32 exec_lo, exec_lo, s14
.LBB103_1257:
	s_mov_b32 s12, -1
.LBB103_1258:
	s_mov_b32 s14, 0
.LBB103_1259:
	s_delay_alu instid0(SALU_CYCLE_1)
	s_and_b32 vcc_lo, exec_lo, s14
	s_cbranch_vccz .LBB103_1292
; %bb.1260:
	s_cmp_gt_i32 s3, 22
	s_cbranch_scc0 .LBB103_1270
; %bb.1261:
	s_cmp_lt_i32 s3, 24
	s_cbranch_scc1 .LBB103_1273
; %bb.1262:
	s_cmp_gt_i32 s3, 24
	s_cbranch_scc0 .LBB103_1274
; %bb.1263:
	global_load_u8 v0, v[6:7], off
	s_mov_b32 s12, exec_lo
	s_wait_loadcnt 0x0
	v_cmpx_lt_i16_e32 0x7f, v0
	s_xor_b32 s12, exec_lo, s12
	s_cbranch_execz .LBB103_1286
; %bb.1264:
	s_mov_b32 s7, -1
	s_mov_b32 s14, exec_lo
	v_cmpx_eq_u16_e32 0x80, v0
; %bb.1265:
	s_xor_b32 s7, exec_lo, -1
; %bb.1266:
	s_or_b32 exec_lo, exec_lo, s14
	s_delay_alu instid0(SALU_CYCLE_1)
	s_and_b32 s7, s7, exec_lo
	s_or_saveexec_b32 s12, s12
	v_mov_b32_e32 v3, 0x7f800001
	s_xor_b32 exec_lo, exec_lo, s12
	s_cbranch_execnz .LBB103_1287
.LBB103_1267:
	s_or_b32 exec_lo, exec_lo, s12
	s_and_saveexec_b32 s12, s7
	s_cbranch_execz .LBB103_1269
.LBB103_1268:
	v_and_b32_e32 v1, 0xffff, v0
	s_delay_alu instid0(VALU_DEP_1) | instskip(SKIP_1) | instid1(VALU_DEP_2)
	v_dual_lshlrev_b32 v0, 24, v0 :: v_dual_bitop2_b32 v3, 3, v1 bitop3:0x40
	v_bfe_u32 v9, v1, 2, 5
	v_and_b32_e32 v0, 0x80000000, v0
	s_delay_alu instid0(VALU_DEP_3) | instskip(NEXT) | instid1(VALU_DEP_3)
	v_clz_i32_u32_e32 v5, v3
	v_cmp_eq_u32_e32 vcc_lo, 0, v9
	s_delay_alu instid0(VALU_DEP_2) | instskip(NEXT) | instid1(VALU_DEP_1)
	v_min_u32_e32 v5, 32, v5
	v_subrev_nc_u32_e32 v8, 29, v5
	v_sub_nc_u32_e32 v5, 30, v5
	s_delay_alu instid0(VALU_DEP_2) | instskip(NEXT) | instid1(VALU_DEP_2)
	v_lshlrev_b32_e32 v1, v8, v1
	v_cndmask_b32_e32 v5, v9, v5, vcc_lo
	s_delay_alu instid0(VALU_DEP_2) | instskip(NEXT) | instid1(VALU_DEP_1)
	v_and_b32_e32 v1, 3, v1
	v_cndmask_b32_e32 v1, v3, v1, vcc_lo
	s_delay_alu instid0(VALU_DEP_3) | instskip(NEXT) | instid1(VALU_DEP_2)
	v_lshl_add_u32 v3, v5, 23, 0x37800000
	v_lshlrev_b32_e32 v1, 21, v1
	s_delay_alu instid0(VALU_DEP_1)
	v_or3_b32 v3, v0, v3, v1
.LBB103_1269:
	s_or_b32 exec_lo, exec_lo, s12
	s_mov_b32 s7, 0
	s_branch .LBB103_1275
.LBB103_1270:
	s_mov_b32 s7, -1
                                        ; implicit-def: $vgpr3
	s_branch .LBB103_1281
.LBB103_1271:
	s_or_saveexec_b32 s14, s14
	v_mov_b32_e32 v3, 0x7f800001
	s_xor_b32 exec_lo, exec_lo, s14
	s_cbranch_execz .LBB103_1254
.LBB103_1272:
	v_cmp_ne_u16_e32 vcc_lo, 0, v0
	v_mov_b32_e32 v3, 0
	s_and_not1_b32 s12, s12, exec_lo
	s_and_b32 s15, vcc_lo, exec_lo
	s_delay_alu instid0(SALU_CYCLE_1)
	s_or_b32 s12, s12, s15
	s_or_b32 exec_lo, exec_lo, s14
	s_and_saveexec_b32 s14, s12
	s_cbranch_execnz .LBB103_1255
	s_branch .LBB103_1256
.LBB103_1273:
	s_mov_b32 s7, -1
                                        ; implicit-def: $vgpr3
	s_branch .LBB103_1278
.LBB103_1274:
	s_mov_b32 s7, -1
                                        ; implicit-def: $vgpr3
.LBB103_1275:
	s_delay_alu instid0(SALU_CYCLE_1)
	s_and_b32 vcc_lo, exec_lo, s7
	s_cbranch_vccz .LBB103_1277
; %bb.1276:
	global_load_u8 v0, v[6:7], off
	s_wait_loadcnt 0x0
	v_lshlrev_b32_e32 v0, 24, v0
	s_delay_alu instid0(VALU_DEP_1) | instskip(NEXT) | instid1(VALU_DEP_1)
	v_and_b32_e32 v1, 0x7f000000, v0
	v_clz_i32_u32_e32 v3, v1
	v_cmp_ne_u32_e32 vcc_lo, 0, v1
	v_add_nc_u32_e32 v8, 0x1000000, v1
	s_delay_alu instid0(VALU_DEP_3) | instskip(NEXT) | instid1(VALU_DEP_1)
	v_min_u32_e32 v3, 32, v3
	v_sub_nc_u32_e64 v3, v3, 4 clamp
	s_delay_alu instid0(VALU_DEP_1) | instskip(NEXT) | instid1(VALU_DEP_1)
	v_dual_lshlrev_b32 v5, v3, v1 :: v_dual_lshlrev_b32 v3, 23, v3
	v_lshrrev_b32_e32 v5, 4, v5
	s_delay_alu instid0(VALU_DEP_1) | instskip(NEXT) | instid1(VALU_DEP_1)
	v_dual_sub_nc_u32 v3, v5, v3 :: v_dual_ashrrev_i32 v5, 8, v8
	v_add_nc_u32_e32 v3, 0x3c000000, v3
	s_delay_alu instid0(VALU_DEP_1) | instskip(NEXT) | instid1(VALU_DEP_1)
	v_and_or_b32 v3, 0x7f800000, v5, v3
	v_cndmask_b32_e32 v1, 0, v3, vcc_lo
	s_delay_alu instid0(VALU_DEP_1)
	v_and_or_b32 v3, 0x80000000, v0, v1
.LBB103_1277:
	s_mov_b32 s7, 0
.LBB103_1278:
	s_delay_alu instid0(SALU_CYCLE_1)
	s_and_not1_b32 vcc_lo, exec_lo, s7
	s_cbranch_vccnz .LBB103_1280
; %bb.1279:
	global_load_u8 v0, v[6:7], off
	s_wait_loadcnt 0x0
	v_lshlrev_b32_e32 v1, 25, v0
	v_lshlrev_b16 v0, 8, v0
	s_delay_alu instid0(VALU_DEP_1) | instskip(SKIP_1) | instid1(VALU_DEP_2)
	v_and_or_b32 v5, 0x7f00, v0, 0.5
	v_bfe_i32 v0, v0, 0, 16
	v_add_f32_e32 v5, -0.5, v5
	v_lshrrev_b32_e32 v3, 4, v1
	v_cmp_gt_u32_e32 vcc_lo, 0x8000000, v1
	s_delay_alu instid0(VALU_DEP_2) | instskip(NEXT) | instid1(VALU_DEP_1)
	v_or_b32_e32 v3, 0x70000000, v3
	v_mul_f32_e32 v3, 0x7800000, v3
	s_delay_alu instid0(VALU_DEP_1) | instskip(NEXT) | instid1(VALU_DEP_1)
	v_cndmask_b32_e32 v1, v3, v5, vcc_lo
	v_and_or_b32 v3, 0x80000000, v0, v1
.LBB103_1280:
	s_mov_b32 s7, 0
	s_mov_b32 s12, -1
.LBB103_1281:
	s_and_not1_b32 vcc_lo, exec_lo, s7
	s_mov_b32 s7, 0
	s_cbranch_vccnz .LBB103_1292
; %bb.1282:
	s_cmp_gt_i32 s3, 14
	s_cbranch_scc0 .LBB103_1285
; %bb.1283:
	s_cmp_eq_u32 s3, 15
	s_cbranch_scc0 .LBB103_1288
; %bb.1284:
	global_load_u16 v0, v[6:7], off
	s_mov_b32 s6, 0
	s_mov_b32 s12, -1
	s_wait_loadcnt 0x0
	v_lshlrev_b32_e32 v3, 16, v0
	s_branch .LBB103_1290
.LBB103_1285:
	s_mov_b32 s7, -1
	s_branch .LBB103_1289
.LBB103_1286:
	s_or_saveexec_b32 s12, s12
	v_mov_b32_e32 v3, 0x7f800001
	s_xor_b32 exec_lo, exec_lo, s12
	s_cbranch_execz .LBB103_1267
.LBB103_1287:
	v_cmp_ne_u16_e32 vcc_lo, 0, v0
	v_mov_b32_e32 v3, 0
	s_and_not1_b32 s7, s7, exec_lo
	s_and_b32 s14, vcc_lo, exec_lo
	s_delay_alu instid0(SALU_CYCLE_1)
	s_or_b32 s7, s7, s14
	s_or_b32 exec_lo, exec_lo, s12
	s_and_saveexec_b32 s12, s7
	s_cbranch_execnz .LBB103_1268
	s_branch .LBB103_1269
.LBB103_1288:
	s_mov_b32 s6, -1
.LBB103_1289:
                                        ; implicit-def: $vgpr3
.LBB103_1290:
	s_and_b32 vcc_lo, exec_lo, s7
	s_mov_b32 s7, 0
	s_cbranch_vccz .LBB103_1292
; %bb.1291:
	s_cmp_lg_u32 s3, 11
	s_mov_b32 s7, -1
	s_cselect_b32 s3, -1, 0
	s_and_not1_b32 s6, s6, exec_lo
	s_and_b32 s3, s3, exec_lo
	s_delay_alu instid0(SALU_CYCLE_1)
	s_or_b32 s6, s6, s3
.LBB103_1292:
	s_mov_b32 s3, 0
.LBB103_1293:
	s_delay_alu instid0(SALU_CYCLE_1)
	s_and_b32 s29, s3, exec_lo
	s_and_not1_b32 s3, s1, exec_lo
	s_and_b32 s6, s6, exec_lo
	s_and_b32 s28, s12, exec_lo
	;; [unrolled: 1-line block ×3, first 2 shown]
	s_or_b32 s52, s3, s6
.LBB103_1294:
	s_wait_xcnt 0x0
	s_or_b32 exec_lo, exec_lo, s39
	s_delay_alu instid0(SALU_CYCLE_1)
	s_and_not1_b32 s1, s1, exec_lo
	s_and_b32 s3, s52, exec_lo
	s_and_b32 s28, s28, exec_lo
	;; [unrolled: 1-line block ×4, first 2 shown]
	s_or_b32 s1, s1, s3
.LBB103_1295:
	s_or_b32 exec_lo, exec_lo, s48
	s_delay_alu instid0(SALU_CYCLE_1)
	s_and_not1_b32 s3, s45, exec_lo
	s_and_b32 s6, s49, exec_lo
	s_and_not1_b32 s7, s46, exec_lo
	s_and_b32 s12, s50, exec_lo
	s_or_b32 s45, s3, s6
	s_and_not1_b32 s3, s44, exec_lo
	s_and_b32 s6, s1, exec_lo
	s_or_b32 s46, s7, s12
	s_and_b32 s28, s28, exec_lo
	s_and_b32 s29, s29, exec_lo
	;; [unrolled: 1-line block ×3, first 2 shown]
	s_or_b32 s44, s3, s6
.LBB103_1296:
	s_or_b32 exec_lo, exec_lo, s47
	s_delay_alu instid0(SALU_CYCLE_1)
	s_and_not1_b32 s3, s10, exec_lo
	s_and_b32 s6, s45, exec_lo
	s_and_not1_b32 s7, s41, exec_lo
	s_and_b32 s12, s46, exec_lo
	s_or_b32 s10, s3, s6
	s_and_not1_b32 s3, s42, exec_lo
	s_and_b32 s6, s44, exec_lo
	s_or_b32 s41, s7, s12
	s_and_b32 s28, s28, exec_lo
	s_and_b32 s45, s29, exec_lo
	;; [unrolled: 1-line block ×3, first 2 shown]
	s_or_b32 s42, s3, s6
	s_or_b32 exec_lo, exec_lo, s43
	s_mov_b32 s1, 0
	s_and_saveexec_b32 s3, s42
	s_cbranch_execz .LBB103_402
.LBB103_1297:
	s_mov_b32 s1, exec_lo
	s_and_not1_b32 s23, s23, exec_lo
	s_trap 2
	s_or_b32 exec_lo, exec_lo, s3
	s_and_saveexec_b32 s3, s23
	s_delay_alu instid0(SALU_CYCLE_1)
	s_xor_b32 s3, exec_lo, s3
	s_cbranch_execnz .LBB103_403
.LBB103_1298:
	s_or_b32 exec_lo, exec_lo, s3
	s_and_saveexec_b32 s3, s45
	s_cbranch_execz .LBB103_1344
.LBB103_1299:
	s_sext_i32_i16 s6, s2
	s_delay_alu instid0(SALU_CYCLE_1)
	s_cmp_lt_i32 s6, 5
	s_cbranch_scc1 .LBB103_1304
; %bb.1300:
	s_cmp_lt_i32 s6, 8
	s_cbranch_scc1 .LBB103_1305
; %bb.1301:
	;; [unrolled: 3-line block ×3, first 2 shown]
	s_cmp_gt_i32 s6, 9
	s_cbranch_scc0 .LBB103_1307
; %bb.1303:
	s_wait_loadcnt 0x0
	global_load_b64 v[0:1], v[6:7], off
	s_mov_b32 s6, 0
	s_wait_loadcnt 0x0
	v_cvt_f32_f64_e32 v3, v[0:1]
	s_branch .LBB103_1308
.LBB103_1304:
                                        ; implicit-def: $vgpr3
	s_branch .LBB103_1325
.LBB103_1305:
                                        ; implicit-def: $vgpr3
	s_branch .LBB103_1314
.LBB103_1306:
	s_mov_b32 s6, -1
                                        ; implicit-def: $vgpr3
	s_branch .LBB103_1311
.LBB103_1307:
	s_mov_b32 s6, -1
                                        ; implicit-def: $vgpr3
.LBB103_1308:
	s_delay_alu instid0(SALU_CYCLE_1)
	s_and_not1_b32 vcc_lo, exec_lo, s6
	s_cbranch_vccnz .LBB103_1310
; %bb.1309:
	s_wait_loadcnt 0x0
	global_load_b32 v3, v[6:7], off
.LBB103_1310:
	s_mov_b32 s6, 0
.LBB103_1311:
	s_delay_alu instid0(SALU_CYCLE_1)
	s_and_not1_b32 vcc_lo, exec_lo, s6
	s_cbranch_vccnz .LBB103_1313
; %bb.1312:
	global_load_b32 v0, v[6:7], off
	s_wait_loadcnt 0x0
	v_cvt_f32_f16_e32 v3, v0
.LBB103_1313:
	s_cbranch_execnz .LBB103_1324
.LBB103_1314:
	s_sext_i32_i16 s6, s2
	s_delay_alu instid0(SALU_CYCLE_1)
	s_cmp_lt_i32 s6, 6
	s_cbranch_scc1 .LBB103_1317
; %bb.1315:
	s_cmp_gt_i32 s6, 6
	s_cbranch_scc0 .LBB103_1318
; %bb.1316:
	s_wait_loadcnt 0x0
	global_load_b64 v[0:1], v[6:7], off
	s_mov_b32 s6, 0
	s_wait_loadcnt 0x0
	v_cvt_f32_f64_e32 v3, v[0:1]
	s_branch .LBB103_1319
.LBB103_1317:
	s_mov_b32 s6, -1
                                        ; implicit-def: $vgpr3
	s_branch .LBB103_1322
.LBB103_1318:
	s_mov_b32 s6, -1
                                        ; implicit-def: $vgpr3
.LBB103_1319:
	s_delay_alu instid0(SALU_CYCLE_1)
	s_and_not1_b32 vcc_lo, exec_lo, s6
	s_cbranch_vccnz .LBB103_1321
; %bb.1320:
	s_wait_loadcnt 0x0
	global_load_b32 v3, v[6:7], off
.LBB103_1321:
	s_mov_b32 s6, 0
.LBB103_1322:
	s_delay_alu instid0(SALU_CYCLE_1)
	s_and_not1_b32 vcc_lo, exec_lo, s6
	s_cbranch_vccnz .LBB103_1324
; %bb.1323:
	global_load_u16 v0, v[6:7], off
	s_wait_loadcnt 0x0
	v_cvt_f32_f16_e32 v3, v0
.LBB103_1324:
	s_cbranch_execnz .LBB103_1343
.LBB103_1325:
	s_sext_i32_i16 s6, s2
	s_delay_alu instid0(SALU_CYCLE_1)
	s_cmp_lt_i32 s6, 2
	s_cbranch_scc1 .LBB103_1329
; %bb.1326:
	s_cmp_lt_i32 s6, 3
	s_cbranch_scc1 .LBB103_1330
; %bb.1327:
	s_cmp_gt_i32 s6, 3
	s_cbranch_scc0 .LBB103_1331
; %bb.1328:
	s_wait_loadcnt 0x0
	global_load_b64 v[0:1], v[6:7], off
	s_mov_b32 s6, 0
	s_wait_loadcnt 0x0
	v_xor_b32_e32 v3, v0, v1
	v_cls_i32_e32 v5, v1
	s_delay_alu instid0(VALU_DEP_2) | instskip(NEXT) | instid1(VALU_DEP_1)
	v_ashrrev_i32_e32 v3, 31, v3
	v_add_nc_u32_e32 v3, 32, v3
	s_delay_alu instid0(VALU_DEP_1) | instskip(NEXT) | instid1(VALU_DEP_1)
	v_add_min_u32_e64 v3, v5, -1, v3
	v_lshlrev_b64_e32 v[0:1], v3, v[0:1]
	s_delay_alu instid0(VALU_DEP_1) | instskip(NEXT) | instid1(VALU_DEP_1)
	v_min_u32_e32 v0, 1, v0
	v_dual_sub_nc_u32 v1, 32, v3 :: v_dual_bitop2_b32 v0, v1, v0 bitop3:0x54
	s_delay_alu instid0(VALU_DEP_1) | instskip(NEXT) | instid1(VALU_DEP_1)
	v_cvt_f32_i32_e32 v0, v0
	v_ldexp_f32 v3, v0, v1
	s_branch .LBB103_1332
.LBB103_1329:
                                        ; implicit-def: $vgpr3
	s_branch .LBB103_1338
.LBB103_1330:
	s_mov_b32 s6, -1
                                        ; implicit-def: $vgpr3
	s_branch .LBB103_1335
.LBB103_1331:
	s_mov_b32 s6, -1
                                        ; implicit-def: $vgpr3
.LBB103_1332:
	s_delay_alu instid0(SALU_CYCLE_1)
	s_and_not1_b32 vcc_lo, exec_lo, s6
	s_cbranch_vccnz .LBB103_1334
; %bb.1333:
	global_load_b32 v0, v[6:7], off
	s_wait_loadcnt 0x0
	v_cvt_f32_i32_e32 v3, v0
.LBB103_1334:
	s_mov_b32 s6, 0
.LBB103_1335:
	s_delay_alu instid0(SALU_CYCLE_1)
	s_and_not1_b32 vcc_lo, exec_lo, s6
	s_cbranch_vccnz .LBB103_1337
; %bb.1336:
	global_load_i16 v0, v[6:7], off
	s_wait_loadcnt 0x0
	v_cvt_f32_i32_e32 v3, v0
.LBB103_1337:
	s_cbranch_execnz .LBB103_1343
.LBB103_1338:
	s_sext_i32_i16 s2, s2
	s_delay_alu instid0(SALU_CYCLE_1)
	s_cmp_gt_i32 s2, 0
	s_mov_b32 s2, 0
	s_cbranch_scc0 .LBB103_1340
; %bb.1339:
	global_load_i8 v0, v[6:7], off
	s_wait_loadcnt 0x0
	v_cvt_f32_i32_e32 v3, v0
	s_branch .LBB103_1341
.LBB103_1340:
	s_mov_b32 s2, -1
                                        ; implicit-def: $vgpr3
.LBB103_1341:
	s_delay_alu instid0(SALU_CYCLE_1)
	s_and_not1_b32 vcc_lo, exec_lo, s2
	s_cbranch_vccnz .LBB103_1343
; %bb.1342:
	global_load_u8 v0, v[6:7], off
	s_wait_loadcnt 0x0
	v_cvt_f32_ubyte0_e32 v3, v0
.LBB103_1343:
	s_or_b32 s28, s28, exec_lo
.LBB103_1344:
	s_wait_xcnt 0x0
	s_or_b32 exec_lo, exec_lo, s3
	s_mov_b32 s7, 0
	s_mov_b32 s6, 0
	;; [unrolled: 1-line block ×3, first 2 shown]
                                        ; implicit-def: $sgpr2
                                        ; implicit-def: $vgpr0_vgpr1
                                        ; implicit-def: $vgpr5
	s_and_saveexec_b32 s3, s28
	s_cbranch_execz .LBB103_1352
; %bb.1345:
	v_mov_b32_e32 v5, 0
	s_and_b32 s2, s13, 0xff
	s_delay_alu instid0(SALU_CYCLE_1) | instskip(SKIP_1) | instid1(VALU_DEP_1)
	s_cmp_lt_i32 s2, 11
	s_wait_loadcnt 0x0
	v_add_nc_u64_e32 v[0:1], s[8:9], v[4:5]
	s_cbranch_scc1 .LBB103_1355
; %bb.1346:
	s_and_b32 s6, 0xffff, s2
	s_mov_b32 s8, 0
	s_cmp_gt_i32 s6, 25
	s_cbranch_scc0 .LBB103_1356
; %bb.1347:
	s_cmp_gt_i32 s6, 28
	s_cbranch_scc0 .LBB103_1357
; %bb.1348:
	;; [unrolled: 3-line block ×4, first 2 shown]
	s_cmp_eq_u32 s6, 46
	s_cbranch_scc0 .LBB103_1360
; %bb.1351:
	global_load_b32 v4, v[0:1], off
	s_mov_b32 s9, -1
	s_wait_loadcnt 0x0
	v_lshlrev_b32_e32 v5, 16, v4
	s_branch .LBB103_1362
.LBB103_1352:
	s_or_b32 exec_lo, exec_lo, s3
	s_and_saveexec_b32 s3, s41
	s_cbranch_execnz .LBB103_1425
.LBB103_1353:
	s_or_b32 exec_lo, exec_lo, s3
	s_and_saveexec_b32 s3, s7
	s_delay_alu instid0(SALU_CYCLE_1)
	s_xor_b32 s3, exec_lo, s3
	s_cbranch_execz .LBB103_1426
.LBB103_1354:
	s_wait_loadcnt 0x0
	global_load_u8 v4, v[0:1], off
	s_or_b32 s12, s12, exec_lo
	s_wait_loadcnt 0x0
	v_cmp_ne_u16_e32 vcc_lo, 0, v4
	v_cndmask_b32_e64 v5, 0, 1.0, vcc_lo
	s_wait_xcnt 0x0
	s_or_b32 exec_lo, exec_lo, s3
	s_and_saveexec_b32 s3, s6
	s_cbranch_execz .LBB103_1472
	s_branch .LBB103_1427
.LBB103_1355:
	s_mov_b32 s6, -1
	s_mov_b32 s9, 0
	s_mov_b32 s8, 0
	;; [unrolled: 1-line block ×3, first 2 shown]
                                        ; implicit-def: $vgpr5
	s_branch .LBB103_1424
.LBB103_1356:
	s_mov_b32 s9, 0
	s_mov_b32 s7, s41
                                        ; implicit-def: $vgpr5
	s_cbranch_execnz .LBB103_1391
	s_branch .LBB103_1423
.LBB103_1357:
	s_mov_b32 s12, -1
	s_mov_b32 s9, 0
	s_mov_b32 s7, s41
                                        ; implicit-def: $vgpr5
	s_branch .LBB103_1372
.LBB103_1358:
	s_mov_b32 s12, -1
	s_mov_b32 s9, 0
	s_mov_b32 s7, s41
                                        ; implicit-def: $vgpr5
	s_branch .LBB103_1367
.LBB103_1359:
	s_mov_b32 s12, -1
	s_mov_b32 s9, 0
	s_mov_b32 s7, s41
	s_branch .LBB103_1361
.LBB103_1360:
	s_mov_b32 s7, -1
	s_mov_b32 s9, 0
.LBB103_1361:
                                        ; implicit-def: $vgpr5
.LBB103_1362:
	s_and_b32 vcc_lo, exec_lo, s12
	s_cbranch_vccz .LBB103_1366
; %bb.1363:
	s_cmp_eq_u32 s6, 44
	s_cbranch_scc0 .LBB103_1365
; %bb.1364:
	global_load_u8 v4, v[0:1], off
	s_mov_b32 s7, 0
	s_mov_b32 s9, -1
	s_wait_loadcnt 0x0
	v_lshlrev_b32_e32 v5, 23, v4
	v_cmp_ne_u32_e32 vcc_lo, 0xff, v4
	s_delay_alu instid0(VALU_DEP_2) | instskip(SKIP_1) | instid1(VALU_DEP_2)
	v_cndmask_b32_e32 v5, 0x7f800001, v5, vcc_lo
	v_cmp_ne_u32_e32 vcc_lo, 0, v4
	v_cndmask_b32_e32 v5, 0x400000, v5, vcc_lo
	s_branch .LBB103_1366
.LBB103_1365:
	s_mov_b32 s7, -1
                                        ; implicit-def: $vgpr5
.LBB103_1366:
	s_mov_b32 s12, 0
.LBB103_1367:
	s_delay_alu instid0(SALU_CYCLE_1)
	s_and_b32 vcc_lo, exec_lo, s12
	s_cbranch_vccz .LBB103_1371
; %bb.1368:
	s_cmp_eq_u32 s6, 29
	s_cbranch_scc0 .LBB103_1370
; %bb.1369:
	global_load_b64 v[4:5], v[0:1], off
	s_mov_b32 s7, 0
	s_mov_b32 s9, -1
	s_mov_b32 s12, 0
	s_wait_loadcnt 0x0
	v_clz_i32_u32_e32 v6, v5
	s_delay_alu instid0(VALU_DEP_1) | instskip(NEXT) | instid1(VALU_DEP_1)
	v_min_u32_e32 v6, 32, v6
	v_lshlrev_b64_e32 v[4:5], v6, v[4:5]
	s_delay_alu instid0(VALU_DEP_1) | instskip(NEXT) | instid1(VALU_DEP_1)
	v_min_u32_e32 v4, 1, v4
	v_dual_sub_nc_u32 v5, 32, v6 :: v_dual_bitop2_b32 v4, v5, v4 bitop3:0x54
	s_delay_alu instid0(VALU_DEP_1) | instskip(NEXT) | instid1(VALU_DEP_1)
	v_cvt_f32_u32_e32 v4, v4
	v_ldexp_f32 v5, v4, v5
	s_branch .LBB103_1372
.LBB103_1370:
	s_mov_b32 s7, -1
                                        ; implicit-def: $vgpr5
.LBB103_1371:
	s_mov_b32 s12, 0
.LBB103_1372:
	s_delay_alu instid0(SALU_CYCLE_1)
	s_and_b32 vcc_lo, exec_lo, s12
	s_cbranch_vccz .LBB103_1390
; %bb.1373:
	s_cmp_lt_i32 s6, 27
	s_cbranch_scc1 .LBB103_1376
; %bb.1374:
	s_cmp_gt_i32 s6, 27
	s_cbranch_scc0 .LBB103_1377
; %bb.1375:
	global_load_b32 v4, v[0:1], off
	s_mov_b32 s9, 0
	s_wait_loadcnt 0x0
	v_cvt_f32_u32_e32 v5, v4
	s_branch .LBB103_1378
.LBB103_1376:
	s_mov_b32 s9, -1
                                        ; implicit-def: $vgpr5
	s_branch .LBB103_1381
.LBB103_1377:
	s_mov_b32 s9, -1
                                        ; implicit-def: $vgpr5
.LBB103_1378:
	s_delay_alu instid0(SALU_CYCLE_1)
	s_and_not1_b32 vcc_lo, exec_lo, s9
	s_cbranch_vccnz .LBB103_1380
; %bb.1379:
	global_load_u16 v4, v[0:1], off
	s_wait_loadcnt 0x0
	v_cvt_f32_u32_e32 v5, v4
.LBB103_1380:
	s_mov_b32 s9, 0
.LBB103_1381:
	s_delay_alu instid0(SALU_CYCLE_1)
	s_and_not1_b32 vcc_lo, exec_lo, s9
	s_cbranch_vccnz .LBB103_1389
; %bb.1382:
	global_load_u8 v4, v[0:1], off
	s_mov_b32 s9, 0
	s_mov_b32 s12, exec_lo
	s_wait_loadcnt 0x0
	v_cmpx_lt_i16_e32 0x7f, v4
	s_xor_b32 s12, exec_lo, s12
	s_cbranch_execz .LBB103_1402
; %bb.1383:
	s_mov_b32 s9, -1
	s_mov_b32 s13, exec_lo
	v_cmpx_eq_u16_e32 0x80, v4
; %bb.1384:
	s_xor_b32 s9, exec_lo, -1
; %bb.1385:
	s_or_b32 exec_lo, exec_lo, s13
	s_delay_alu instid0(SALU_CYCLE_1)
	s_and_b32 s9, s9, exec_lo
	s_or_saveexec_b32 s12, s12
	v_mov_b32_e32 v5, 0x7f800001
	s_xor_b32 exec_lo, exec_lo, s12
	s_cbranch_execnz .LBB103_1403
.LBB103_1386:
	s_or_b32 exec_lo, exec_lo, s12
	s_and_saveexec_b32 s12, s9
	s_cbranch_execz .LBB103_1388
.LBB103_1387:
	v_and_b32_e32 v5, 0xffff, v4
	s_delay_alu instid0(VALU_DEP_1) | instskip(SKIP_1) | instid1(VALU_DEP_2)
	v_and_b32_e32 v6, 7, v5
	v_bfe_u32 v9, v5, 3, 4
	v_clz_i32_u32_e32 v7, v6
	s_delay_alu instid0(VALU_DEP_2) | instskip(NEXT) | instid1(VALU_DEP_2)
	v_cmp_eq_u32_e32 vcc_lo, 0, v9
	v_min_u32_e32 v7, 32, v7
	s_delay_alu instid0(VALU_DEP_1) | instskip(NEXT) | instid1(VALU_DEP_1)
	v_subrev_nc_u32_e32 v8, 28, v7
	v_dual_lshlrev_b32 v5, v8, v5 :: v_dual_sub_nc_u32 v7, 29, v7
	s_delay_alu instid0(VALU_DEP_1) | instskip(NEXT) | instid1(VALU_DEP_1)
	v_dual_lshlrev_b32 v4, 24, v4 :: v_dual_bitop2_b32 v5, 7, v5 bitop3:0x40
	v_dual_cndmask_b32 v7, v9, v7, vcc_lo :: v_dual_cndmask_b32 v5, v6, v5, vcc_lo
	s_delay_alu instid0(VALU_DEP_2) | instskip(NEXT) | instid1(VALU_DEP_2)
	v_and_b32_e32 v4, 0x80000000, v4
	v_lshl_add_u32 v6, v7, 23, 0x3b800000
	s_delay_alu instid0(VALU_DEP_3) | instskip(NEXT) | instid1(VALU_DEP_1)
	v_lshlrev_b32_e32 v5, 20, v5
	v_or3_b32 v5, v4, v6, v5
.LBB103_1388:
	s_or_b32 exec_lo, exec_lo, s12
.LBB103_1389:
	s_mov_b32 s9, -1
.LBB103_1390:
	s_branch .LBB103_1423
.LBB103_1391:
	s_cmp_gt_i32 s6, 22
	s_cbranch_scc0 .LBB103_1401
; %bb.1392:
	s_cmp_lt_i32 s6, 24
	s_cbranch_scc1 .LBB103_1404
; %bb.1393:
	s_cmp_gt_i32 s6, 24
	s_cbranch_scc0 .LBB103_1405
; %bb.1394:
	global_load_u8 v4, v[0:1], off
	s_mov_b32 s9, exec_lo
	s_wait_loadcnt 0x0
	v_cmpx_lt_i16_e32 0x7f, v4
	s_xor_b32 s9, exec_lo, s9
	s_cbranch_execz .LBB103_1417
; %bb.1395:
	s_mov_b32 s8, -1
	s_mov_b32 s12, exec_lo
	v_cmpx_eq_u16_e32 0x80, v4
; %bb.1396:
	s_xor_b32 s8, exec_lo, -1
; %bb.1397:
	s_or_b32 exec_lo, exec_lo, s12
	s_delay_alu instid0(SALU_CYCLE_1)
	s_and_b32 s8, s8, exec_lo
	s_or_saveexec_b32 s9, s9
	v_mov_b32_e32 v5, 0x7f800001
	s_xor_b32 exec_lo, exec_lo, s9
	s_cbranch_execnz .LBB103_1418
.LBB103_1398:
	s_or_b32 exec_lo, exec_lo, s9
	s_and_saveexec_b32 s9, s8
	s_cbranch_execz .LBB103_1400
.LBB103_1399:
	v_and_b32_e32 v5, 0xffff, v4
	s_delay_alu instid0(VALU_DEP_1) | instskip(SKIP_1) | instid1(VALU_DEP_2)
	v_and_b32_e32 v6, 3, v5
	v_bfe_u32 v9, v5, 2, 5
	v_clz_i32_u32_e32 v7, v6
	s_delay_alu instid0(VALU_DEP_2) | instskip(NEXT) | instid1(VALU_DEP_2)
	v_cmp_eq_u32_e32 vcc_lo, 0, v9
	v_min_u32_e32 v7, 32, v7
	s_delay_alu instid0(VALU_DEP_1) | instskip(NEXT) | instid1(VALU_DEP_1)
	v_subrev_nc_u32_e32 v8, 29, v7
	v_dual_lshlrev_b32 v5, v8, v5 :: v_dual_sub_nc_u32 v7, 30, v7
	s_delay_alu instid0(VALU_DEP_1) | instskip(NEXT) | instid1(VALU_DEP_1)
	v_dual_lshlrev_b32 v4, 24, v4 :: v_dual_bitop2_b32 v5, 3, v5 bitop3:0x40
	v_dual_cndmask_b32 v7, v9, v7, vcc_lo :: v_dual_cndmask_b32 v5, v6, v5, vcc_lo
	s_delay_alu instid0(VALU_DEP_2) | instskip(NEXT) | instid1(VALU_DEP_2)
	v_and_b32_e32 v4, 0x80000000, v4
	v_lshl_add_u32 v6, v7, 23, 0x37800000
	s_delay_alu instid0(VALU_DEP_3) | instskip(NEXT) | instid1(VALU_DEP_1)
	v_lshlrev_b32_e32 v5, 21, v5
	v_or3_b32 v5, v4, v6, v5
.LBB103_1400:
	s_or_b32 exec_lo, exec_lo, s9
	s_mov_b32 s8, 0
	s_branch .LBB103_1406
.LBB103_1401:
	s_mov_b32 s8, -1
                                        ; implicit-def: $vgpr5
	s_branch .LBB103_1412
.LBB103_1402:
	s_or_saveexec_b32 s12, s12
	v_mov_b32_e32 v5, 0x7f800001
	s_xor_b32 exec_lo, exec_lo, s12
	s_cbranch_execz .LBB103_1386
.LBB103_1403:
	v_cmp_ne_u16_e32 vcc_lo, 0, v4
	v_mov_b32_e32 v5, 0
	s_and_not1_b32 s9, s9, exec_lo
	s_and_b32 s13, vcc_lo, exec_lo
	s_delay_alu instid0(SALU_CYCLE_1)
	s_or_b32 s9, s9, s13
	s_or_b32 exec_lo, exec_lo, s12
	s_and_saveexec_b32 s12, s9
	s_cbranch_execnz .LBB103_1387
	s_branch .LBB103_1388
.LBB103_1404:
	s_mov_b32 s8, -1
                                        ; implicit-def: $vgpr5
	s_branch .LBB103_1409
.LBB103_1405:
	s_mov_b32 s8, -1
                                        ; implicit-def: $vgpr5
.LBB103_1406:
	s_delay_alu instid0(SALU_CYCLE_1)
	s_and_b32 vcc_lo, exec_lo, s8
	s_cbranch_vccz .LBB103_1408
; %bb.1407:
	global_load_u8 v4, v[0:1], off
	s_wait_loadcnt 0x0
	v_lshlrev_b32_e32 v4, 24, v4
	s_delay_alu instid0(VALU_DEP_1) | instskip(NEXT) | instid1(VALU_DEP_1)
	v_and_b32_e32 v5, 0x7f000000, v4
	v_clz_i32_u32_e32 v6, v5
	v_cmp_ne_u32_e32 vcc_lo, 0, v5
	v_add_nc_u32_e32 v8, 0x1000000, v5
	s_delay_alu instid0(VALU_DEP_3) | instskip(NEXT) | instid1(VALU_DEP_1)
	v_min_u32_e32 v6, 32, v6
	v_sub_nc_u32_e64 v6, v6, 4 clamp
	s_delay_alu instid0(VALU_DEP_1) | instskip(NEXT) | instid1(VALU_DEP_1)
	v_dual_lshlrev_b32 v7, v6, v5 :: v_dual_lshlrev_b32 v6, 23, v6
	v_lshrrev_b32_e32 v7, 4, v7
	s_delay_alu instid0(VALU_DEP_1) | instskip(NEXT) | instid1(VALU_DEP_1)
	v_dual_sub_nc_u32 v6, v7, v6 :: v_dual_ashrrev_i32 v7, 8, v8
	v_add_nc_u32_e32 v6, 0x3c000000, v6
	s_delay_alu instid0(VALU_DEP_1) | instskip(NEXT) | instid1(VALU_DEP_1)
	v_and_or_b32 v6, 0x7f800000, v7, v6
	v_cndmask_b32_e32 v5, 0, v6, vcc_lo
	s_delay_alu instid0(VALU_DEP_1)
	v_and_or_b32 v5, 0x80000000, v4, v5
.LBB103_1408:
	s_mov_b32 s8, 0
.LBB103_1409:
	s_delay_alu instid0(SALU_CYCLE_1)
	s_and_not1_b32 vcc_lo, exec_lo, s8
	s_cbranch_vccnz .LBB103_1411
; %bb.1410:
	global_load_u8 v4, v[0:1], off
	s_wait_loadcnt 0x0
	v_lshlrev_b32_e32 v5, 25, v4
	v_lshlrev_b16 v4, 8, v4
	s_delay_alu instid0(VALU_DEP_1) | instskip(SKIP_1) | instid1(VALU_DEP_2)
	v_and_or_b32 v7, 0x7f00, v4, 0.5
	v_bfe_i32 v4, v4, 0, 16
	v_dual_add_f32 v7, -0.5, v7 :: v_dual_lshrrev_b32 v6, 4, v5
	v_cmp_gt_u32_e32 vcc_lo, 0x8000000, v5
	s_delay_alu instid0(VALU_DEP_2) | instskip(NEXT) | instid1(VALU_DEP_1)
	v_or_b32_e32 v6, 0x70000000, v6
	v_mul_f32_e32 v6, 0x7800000, v6
	s_delay_alu instid0(VALU_DEP_1) | instskip(NEXT) | instid1(VALU_DEP_1)
	v_cndmask_b32_e32 v5, v6, v7, vcc_lo
	v_and_or_b32 v5, 0x80000000, v4, v5
.LBB103_1411:
	s_mov_b32 s8, 0
	s_mov_b32 s9, -1
.LBB103_1412:
	s_and_not1_b32 vcc_lo, exec_lo, s8
	s_mov_b32 s8, 0
	s_cbranch_vccnz .LBB103_1423
; %bb.1413:
	s_cmp_gt_i32 s6, 14
	s_cbranch_scc0 .LBB103_1416
; %bb.1414:
	s_cmp_eq_u32 s6, 15
	s_cbranch_scc0 .LBB103_1419
; %bb.1415:
	global_load_u16 v4, v[0:1], off
	s_mov_b32 s7, 0
	s_mov_b32 s9, -1
	s_wait_loadcnt 0x0
	v_lshlrev_b32_e32 v5, 16, v4
	s_branch .LBB103_1421
.LBB103_1416:
	s_mov_b32 s8, -1
	s_branch .LBB103_1420
.LBB103_1417:
	s_or_saveexec_b32 s9, s9
	v_mov_b32_e32 v5, 0x7f800001
	s_xor_b32 exec_lo, exec_lo, s9
	s_cbranch_execz .LBB103_1398
.LBB103_1418:
	v_cmp_ne_u16_e32 vcc_lo, 0, v4
	v_mov_b32_e32 v5, 0
	s_and_not1_b32 s8, s8, exec_lo
	s_and_b32 s12, vcc_lo, exec_lo
	s_delay_alu instid0(SALU_CYCLE_1)
	s_or_b32 s8, s8, s12
	s_or_b32 exec_lo, exec_lo, s9
	s_and_saveexec_b32 s9, s8
	s_cbranch_execnz .LBB103_1399
	s_branch .LBB103_1400
.LBB103_1419:
	s_mov_b32 s7, -1
.LBB103_1420:
                                        ; implicit-def: $vgpr5
.LBB103_1421:
	s_and_b32 vcc_lo, exec_lo, s8
	s_mov_b32 s8, 0
	s_cbranch_vccz .LBB103_1423
; %bb.1422:
	s_cmp_lg_u32 s6, 11
	s_mov_b32 s8, -1
	s_cselect_b32 s6, -1, 0
	s_and_not1_b32 s7, s7, exec_lo
	s_and_b32 s6, s6, exec_lo
	s_delay_alu instid0(SALU_CYCLE_1)
	s_or_b32 s7, s7, s6
.LBB103_1423:
	s_mov_b32 s6, 0
.LBB103_1424:
	s_and_b32 s12, s9, exec_lo
	s_and_not1_b32 s9, s41, exec_lo
	s_and_b32 s13, s7, exec_lo
	s_and_b32 s6, s6, exec_lo
	;; [unrolled: 1-line block ×3, first 2 shown]
	s_or_b32 s41, s9, s13
	s_wait_xcnt 0x0
	s_or_b32 exec_lo, exec_lo, s3
	s_and_saveexec_b32 s3, s41
	s_cbranch_execz .LBB103_1353
.LBB103_1425:
	s_or_b32 s1, s1, exec_lo
	s_and_not1_b32 s7, s7, exec_lo
	s_trap 2
	s_or_b32 exec_lo, exec_lo, s3
	s_and_saveexec_b32 s3, s7
	s_delay_alu instid0(SALU_CYCLE_1)
	s_xor_b32 s3, exec_lo, s3
	s_cbranch_execnz .LBB103_1354
.LBB103_1426:
	s_or_b32 exec_lo, exec_lo, s3
	s_and_saveexec_b32 s3, s6
	s_cbranch_execz .LBB103_1472
.LBB103_1427:
	s_sext_i32_i16 s6, s2
	s_delay_alu instid0(SALU_CYCLE_1)
	s_cmp_lt_i32 s6, 5
	s_cbranch_scc1 .LBB103_1432
; %bb.1428:
	s_cmp_lt_i32 s6, 8
	s_cbranch_scc1 .LBB103_1433
; %bb.1429:
	;; [unrolled: 3-line block ×3, first 2 shown]
	s_cmp_gt_i32 s6, 9
	s_cbranch_scc0 .LBB103_1435
; %bb.1431:
	s_wait_loadcnt 0x0
	global_load_b64 v[4:5], v[0:1], off
	s_mov_b32 s6, 0
	s_wait_loadcnt 0x0
	v_cvt_f32_f64_e32 v5, v[4:5]
	s_branch .LBB103_1436
.LBB103_1432:
                                        ; implicit-def: $vgpr5
	s_branch .LBB103_1453
.LBB103_1433:
                                        ; implicit-def: $vgpr5
	s_branch .LBB103_1442
.LBB103_1434:
	s_mov_b32 s6, -1
                                        ; implicit-def: $vgpr5
	s_branch .LBB103_1439
.LBB103_1435:
	s_mov_b32 s6, -1
                                        ; implicit-def: $vgpr5
.LBB103_1436:
	s_delay_alu instid0(SALU_CYCLE_1)
	s_and_not1_b32 vcc_lo, exec_lo, s6
	s_cbranch_vccnz .LBB103_1438
; %bb.1437:
	s_wait_loadcnt 0x0
	global_load_b32 v5, v[0:1], off
.LBB103_1438:
	s_mov_b32 s6, 0
.LBB103_1439:
	s_delay_alu instid0(SALU_CYCLE_1)
	s_and_not1_b32 vcc_lo, exec_lo, s6
	s_cbranch_vccnz .LBB103_1441
; %bb.1440:
	s_wait_loadcnt 0x0
	global_load_b32 v4, v[0:1], off
	s_wait_loadcnt 0x0
	v_cvt_f32_f16_e32 v5, v4
.LBB103_1441:
	s_cbranch_execnz .LBB103_1452
.LBB103_1442:
	s_sext_i32_i16 s6, s2
	s_delay_alu instid0(SALU_CYCLE_1)
	s_cmp_lt_i32 s6, 6
	s_cbranch_scc1 .LBB103_1445
; %bb.1443:
	s_cmp_gt_i32 s6, 6
	s_cbranch_scc0 .LBB103_1446
; %bb.1444:
	s_wait_loadcnt 0x0
	global_load_b64 v[4:5], v[0:1], off
	s_mov_b32 s6, 0
	s_wait_loadcnt 0x0
	v_cvt_f32_f64_e32 v5, v[4:5]
	s_branch .LBB103_1447
.LBB103_1445:
	s_mov_b32 s6, -1
                                        ; implicit-def: $vgpr5
	s_branch .LBB103_1450
.LBB103_1446:
	s_mov_b32 s6, -1
                                        ; implicit-def: $vgpr5
.LBB103_1447:
	s_delay_alu instid0(SALU_CYCLE_1)
	s_and_not1_b32 vcc_lo, exec_lo, s6
	s_cbranch_vccnz .LBB103_1449
; %bb.1448:
	s_wait_loadcnt 0x0
	global_load_b32 v5, v[0:1], off
.LBB103_1449:
	s_mov_b32 s6, 0
.LBB103_1450:
	s_delay_alu instid0(SALU_CYCLE_1)
	s_and_not1_b32 vcc_lo, exec_lo, s6
	s_cbranch_vccnz .LBB103_1452
; %bb.1451:
	s_wait_loadcnt 0x0
	global_load_u16 v4, v[0:1], off
	s_wait_loadcnt 0x0
	v_cvt_f32_f16_e32 v5, v4
.LBB103_1452:
	s_cbranch_execnz .LBB103_1471
.LBB103_1453:
	s_sext_i32_i16 s6, s2
	s_delay_alu instid0(SALU_CYCLE_1)
	s_cmp_lt_i32 s6, 2
	s_cbranch_scc1 .LBB103_1457
; %bb.1454:
	s_cmp_lt_i32 s6, 3
	s_cbranch_scc1 .LBB103_1458
; %bb.1455:
	s_cmp_gt_i32 s6, 3
	s_cbranch_scc0 .LBB103_1459
; %bb.1456:
	s_wait_loadcnt 0x0
	global_load_b64 v[4:5], v[0:1], off
	s_mov_b32 s6, 0
	s_wait_loadcnt 0x0
	v_xor_b32_e32 v6, v4, v5
	v_cls_i32_e32 v7, v5
	s_delay_alu instid0(VALU_DEP_2) | instskip(NEXT) | instid1(VALU_DEP_1)
	v_ashrrev_i32_e32 v6, 31, v6
	v_add_nc_u32_e32 v6, 32, v6
	s_delay_alu instid0(VALU_DEP_1) | instskip(NEXT) | instid1(VALU_DEP_1)
	v_add_min_u32_e64 v6, v7, -1, v6
	v_lshlrev_b64_e32 v[4:5], v6, v[4:5]
	s_delay_alu instid0(VALU_DEP_1) | instskip(NEXT) | instid1(VALU_DEP_1)
	v_min_u32_e32 v4, 1, v4
	v_dual_sub_nc_u32 v5, 32, v6 :: v_dual_bitop2_b32 v4, v5, v4 bitop3:0x54
	s_delay_alu instid0(VALU_DEP_1) | instskip(NEXT) | instid1(VALU_DEP_1)
	v_cvt_f32_i32_e32 v4, v4
	v_ldexp_f32 v5, v4, v5
	s_branch .LBB103_1460
.LBB103_1457:
                                        ; implicit-def: $vgpr5
	s_branch .LBB103_1466
.LBB103_1458:
	s_mov_b32 s6, -1
                                        ; implicit-def: $vgpr5
	s_branch .LBB103_1463
.LBB103_1459:
	s_mov_b32 s6, -1
                                        ; implicit-def: $vgpr5
.LBB103_1460:
	s_delay_alu instid0(SALU_CYCLE_1)
	s_and_not1_b32 vcc_lo, exec_lo, s6
	s_cbranch_vccnz .LBB103_1462
; %bb.1461:
	s_wait_loadcnt 0x0
	global_load_b32 v4, v[0:1], off
	s_wait_loadcnt 0x0
	v_cvt_f32_i32_e32 v5, v4
.LBB103_1462:
	s_mov_b32 s6, 0
.LBB103_1463:
	s_delay_alu instid0(SALU_CYCLE_1)
	s_and_not1_b32 vcc_lo, exec_lo, s6
	s_cbranch_vccnz .LBB103_1465
; %bb.1464:
	s_wait_loadcnt 0x0
	global_load_i16 v4, v[0:1], off
	s_wait_loadcnt 0x0
	v_cvt_f32_i32_e32 v5, v4
.LBB103_1465:
	s_cbranch_execnz .LBB103_1471
.LBB103_1466:
	s_sext_i32_i16 s2, s2
	s_delay_alu instid0(SALU_CYCLE_1)
	s_cmp_gt_i32 s2, 0
	s_mov_b32 s2, 0
	s_cbranch_scc0 .LBB103_1468
; %bb.1467:
	s_wait_loadcnt 0x0
	global_load_i8 v4, v[0:1], off
	s_wait_loadcnt 0x0
	v_cvt_f32_i32_e32 v5, v4
	s_branch .LBB103_1469
.LBB103_1468:
	s_mov_b32 s2, -1
                                        ; implicit-def: $vgpr5
.LBB103_1469:
	s_delay_alu instid0(SALU_CYCLE_1)
	s_and_not1_b32 vcc_lo, exec_lo, s2
	s_cbranch_vccnz .LBB103_1471
; %bb.1470:
	s_wait_loadcnt 0x0
	global_load_u8 v0, v[0:1], off
	s_wait_loadcnt 0x0
	v_cvt_f32_ubyte0_e32 v5, v0
.LBB103_1471:
	s_or_b32 s12, s12, exec_lo
.LBB103_1472:
	s_wait_xcnt 0x0
	s_or_b32 exec_lo, exec_lo, s3
	s_mov_b32 s8, 0
	s_mov_b32 s7, 0
                                        ; implicit-def: $sgpr2
                                        ; implicit-def: $sgpr3
                                        ; implicit-def: $vgpr0_vgpr1
	s_and_saveexec_b32 s6, s12
	s_cbranch_execz .LBB103_1480
; %bb.1473:
	s_wait_loadcnt 0x0
	s_delay_alu instid0(VALU_DEP_1) | instskip(SKIP_1) | instid1(SALU_CYCLE_1)
	v_cmp_eq_f32_e32 vcc_lo, v3, v5
	s_and_b32 s3, s11, 0xff
	s_cmp_lt_i32 s3, 11
	v_cndmask_b32_e64 v0, 0, 1, vcc_lo
	v_cmp_neq_f32_e32 vcc_lo, v3, v5
	v_mov_b32_e32 v3, 0
	v_cndmask_b32_e64 v1, 0, 1, vcc_lo
	s_delay_alu instid0(VALU_DEP_1) | instskip(NEXT) | instid1(VALU_DEP_1)
	v_cndmask_b32_e64 v0, v1, v0, s0
	v_and_b32_e32 v4, 1, v0
	s_delay_alu instid0(VALU_DEP_4) | instskip(NEXT) | instid1(VALU_DEP_2)
	v_add_nc_u64_e32 v[0:1], s[4:5], v[2:3]
	v_cmp_eq_u32_e64 s2, 1, v4
	s_cbranch_scc1 .LBB103_1483
; %bb.1474:
	s_and_b32 s4, 0xffff, s3
	s_mov_b32 s5, -1
	s_cmp_gt_i32 s4, 25
	s_mov_b32 s0, s10
	s_cbranch_scc0 .LBB103_1511
; %bb.1475:
	s_cmp_gt_i32 s4, 28
	s_mov_b32 s0, s10
	s_cbranch_scc0 .LBB103_1495
; %bb.1476:
	;; [unrolled: 4-line block ×4, first 2 shown]
	s_cmp_eq_u32 s4, 46
	s_mov_b32 s0, -1
	s_cbranch_scc0 .LBB103_1484
; %bb.1479:
	v_cndmask_b32_e64 v2, 0, 1.0, s2
	s_mov_b32 s0, 0
	s_mov_b32 s5, 0
	s_delay_alu instid0(VALU_DEP_1) | instskip(NEXT) | instid1(VALU_DEP_1)
	v_bfe_u32 v3, v2, 16, 1
	v_add3_u32 v2, v2, v3, 0x7fff
	s_delay_alu instid0(VALU_DEP_1)
	v_lshrrev_b32_e32 v2, 16, v2
	global_store_b32 v[0:1], v2, off
	s_branch .LBB103_1485
.LBB103_1480:
	s_or_b32 exec_lo, exec_lo, s6
	s_and_saveexec_b32 s0, s10
	s_cbranch_execnz .LBB103_1553
.LBB103_1481:
	s_or_b32 exec_lo, exec_lo, s0
	s_and_saveexec_b32 s0, s8
	s_delay_alu instid0(SALU_CYCLE_1)
	s_xor_b32 s0, exec_lo, s0
	s_cbranch_execz .LBB103_1554
.LBB103_1482:
	v_cndmask_b32_e64 v2, 0, 1, s2
	s_wait_loadcnt 0x0
	global_store_b8 v[0:1], v2, off
	s_wait_xcnt 0x0
	s_or_b32 exec_lo, exec_lo, s0
	s_and_saveexec_b32 s0, s7
	s_delay_alu instid0(SALU_CYCLE_1)
	s_xor_b32 s0, exec_lo, s0
	s_cbranch_execz .LBB103_1592
	s_branch .LBB103_1555
.LBB103_1483:
	s_mov_b32 s5, -1
	s_mov_b32 s0, s10
	s_branch .LBB103_1552
.LBB103_1484:
	s_mov_b32 s5, 0
.LBB103_1485:
	s_delay_alu instid0(SALU_CYCLE_1)
	s_and_b32 vcc_lo, exec_lo, s5
	s_cbranch_vccz .LBB103_1490
; %bb.1486:
	s_cmp_eq_u32 s4, 44
	s_mov_b32 s0, -1
	s_cbranch_scc0 .LBB103_1490
; %bb.1487:
	v_cndmask_b32_e64 v4, 0, 1.0, s2
	s_mov_b32 s5, exec_lo
	s_wait_xcnt 0x0
	s_delay_alu instid0(VALU_DEP_1) | instskip(NEXT) | instid1(VALU_DEP_1)
	v_dual_mov_b32 v3, 0xff :: v_dual_lshrrev_b32 v2, 23, v4
	v_cmpx_ne_u32_e32 0xff, v2
; %bb.1488:
	v_and_b32_e32 v3, 0x400000, v4
	v_and_or_b32 v4, 0x3fffff, v4, v2
	s_delay_alu instid0(VALU_DEP_2) | instskip(NEXT) | instid1(VALU_DEP_2)
	v_cmp_ne_u32_e32 vcc_lo, 0, v3
	v_cmp_ne_u32_e64 s0, 0, v4
	s_and_b32 s0, vcc_lo, s0
	s_delay_alu instid0(SALU_CYCLE_1) | instskip(NEXT) | instid1(VALU_DEP_1)
	v_cndmask_b32_e64 v3, 0, 1, s0
	v_add_nc_u32_e32 v3, v2, v3
; %bb.1489:
	s_or_b32 exec_lo, exec_lo, s5
	s_mov_b32 s0, 0
	global_store_b8 v[0:1], v3, off
.LBB103_1490:
	s_mov_b32 s5, 0
.LBB103_1491:
	s_delay_alu instid0(SALU_CYCLE_1)
	s_and_b32 vcc_lo, exec_lo, s5
	s_cbranch_vccz .LBB103_1494
; %bb.1492:
	s_cmp_eq_u32 s4, 29
	s_mov_b32 s0, -1
	s_cbranch_scc0 .LBB103_1494
; %bb.1493:
	s_mov_b32 s0, 0
	s_wait_xcnt 0x0
	v_cndmask_b32_e64 v2, 0, 1, s2
	v_mov_b32_e32 v3, s0
	s_mov_b32 s5, 0
	global_store_b64 v[0:1], v[2:3], off
	s_branch .LBB103_1495
.LBB103_1494:
	s_mov_b32 s5, 0
.LBB103_1495:
	s_delay_alu instid0(SALU_CYCLE_1)
	s_and_b32 vcc_lo, exec_lo, s5
	s_cbranch_vccz .LBB103_1510
; %bb.1496:
	s_cmp_lt_i32 s4, 27
	s_mov_b32 s5, -1
	s_cbranch_scc1 .LBB103_1502
; %bb.1497:
	s_cmp_gt_i32 s4, 27
	s_cbranch_scc0 .LBB103_1499
; %bb.1498:
	s_wait_xcnt 0x0
	v_cndmask_b32_e64 v2, 0, 1, s2
	s_mov_b32 s5, 0
	global_store_b32 v[0:1], v2, off
.LBB103_1499:
	s_and_not1_b32 vcc_lo, exec_lo, s5
	s_cbranch_vccnz .LBB103_1501
; %bb.1500:
	s_wait_xcnt 0x0
	v_cndmask_b32_e64 v2, 0, 1, s2
	global_store_b16 v[0:1], v2, off
.LBB103_1501:
	s_mov_b32 s5, 0
.LBB103_1502:
	s_delay_alu instid0(SALU_CYCLE_1)
	s_and_not1_b32 vcc_lo, exec_lo, s5
	s_cbranch_vccnz .LBB103_1510
; %bb.1503:
	s_wait_xcnt 0x0
	v_cndmask_b32_e64 v3, 0, 1.0, s2
	v_mov_b32_e32 v4, 0x80
	s_mov_b32 s5, exec_lo
	s_delay_alu instid0(VALU_DEP_2)
	v_cmpx_gt_u32_e32 0x43800000, v3
	s_cbranch_execz .LBB103_1509
; %bb.1504:
	s_mov_b32 s8, exec_lo
                                        ; implicit-def: $vgpr2
	v_cmpx_lt_u32_e32 0x3bffffff, v3
	s_xor_b32 s8, exec_lo, s8
	s_cbranch_execz .LBB103_1651
; %bb.1505:
	v_bfe_u32 v2, v3, 20, 1
	s_mov_b32 s7, exec_lo
	s_delay_alu instid0(VALU_DEP_1) | instskip(NEXT) | instid1(VALU_DEP_1)
	v_add3_u32 v2, v3, v2, 0x487ffff
                                        ; implicit-def: $vgpr3
	v_lshrrev_b32_e32 v2, 20, v2
	s_and_not1_saveexec_b32 s8, s8
	s_cbranch_execnz .LBB103_1652
.LBB103_1506:
	s_or_b32 exec_lo, exec_lo, s8
	v_mov_b32_e32 v4, 0
	s_and_saveexec_b32 s8, s7
.LBB103_1507:
	v_mov_b32_e32 v4, v2
.LBB103_1508:
	s_or_b32 exec_lo, exec_lo, s8
.LBB103_1509:
	s_delay_alu instid0(SALU_CYCLE_1)
	s_or_b32 exec_lo, exec_lo, s5
	global_store_b8 v[0:1], v4, off
.LBB103_1510:
	s_mov_b32 s5, 0
.LBB103_1511:
	s_delay_alu instid0(SALU_CYCLE_1)
	s_and_b32 vcc_lo, exec_lo, s5
	s_mov_b32 s5, 0
	s_cbranch_vccz .LBB103_1551
; %bb.1512:
	s_cmp_gt_i32 s4, 22
	s_mov_b32 s7, -1
	s_cbranch_scc0 .LBB103_1544
; %bb.1513:
	s_cmp_lt_i32 s4, 24
	s_cbranch_scc1 .LBB103_1533
; %bb.1514:
	s_cmp_gt_i32 s4, 24
	s_cbranch_scc0 .LBB103_1522
; %bb.1515:
	s_wait_xcnt 0x0
	v_cndmask_b32_e64 v3, 0, 1.0, s2
	v_mov_b32_e32 v4, 0x80
	s_mov_b32 s7, exec_lo
	s_delay_alu instid0(VALU_DEP_2)
	v_cmpx_gt_u32_e32 0x47800000, v3
	s_cbranch_execz .LBB103_1521
; %bb.1516:
	s_mov_b32 s8, 0
	s_mov_b32 s9, exec_lo
                                        ; implicit-def: $vgpr2
	v_cmpx_lt_u32_e32 0x37ffffff, v3
	s_xor_b32 s9, exec_lo, s9
	s_cbranch_execz .LBB103_1777
; %bb.1517:
	v_bfe_u32 v2, v3, 21, 1
	s_mov_b32 s8, exec_lo
	s_delay_alu instid0(VALU_DEP_1) | instskip(NEXT) | instid1(VALU_DEP_1)
	v_add3_u32 v2, v3, v2, 0x88fffff
                                        ; implicit-def: $vgpr3
	v_lshrrev_b32_e32 v2, 21, v2
	s_and_not1_saveexec_b32 s9, s9
	s_cbranch_execnz .LBB103_1778
.LBB103_1518:
	s_or_b32 exec_lo, exec_lo, s9
	v_mov_b32_e32 v4, 0
	s_and_saveexec_b32 s9, s8
.LBB103_1519:
	v_mov_b32_e32 v4, v2
.LBB103_1520:
	s_or_b32 exec_lo, exec_lo, s9
.LBB103_1521:
	s_delay_alu instid0(SALU_CYCLE_1)
	s_or_b32 exec_lo, exec_lo, s7
	s_mov_b32 s7, 0
	global_store_b8 v[0:1], v4, off
.LBB103_1522:
	s_and_b32 vcc_lo, exec_lo, s7
	s_cbranch_vccz .LBB103_1532
; %bb.1523:
	s_wait_xcnt 0x0
	v_cndmask_b32_e64 v3, 0, 1.0, s2
	s_mov_b32 s7, exec_lo
                                        ; implicit-def: $vgpr2
	s_delay_alu instid0(VALU_DEP_1)
	v_cmpx_gt_u32_e32 0x43f00000, v3
	s_xor_b32 s7, exec_lo, s7
	s_cbranch_execz .LBB103_1529
; %bb.1524:
	s_mov_b32 s8, exec_lo
                                        ; implicit-def: $vgpr2
	v_cmpx_lt_u32_e32 0x3c7fffff, v3
	s_xor_b32 s8, exec_lo, s8
; %bb.1525:
	v_bfe_u32 v2, v3, 20, 1
	s_delay_alu instid0(VALU_DEP_1) | instskip(NEXT) | instid1(VALU_DEP_1)
	v_add3_u32 v2, v3, v2, 0x407ffff
	v_and_b32_e32 v3, 0xff00000, v2
	v_lshrrev_b32_e32 v2, 20, v2
	s_delay_alu instid0(VALU_DEP_2) | instskip(NEXT) | instid1(VALU_DEP_2)
	v_cmp_ne_u32_e32 vcc_lo, 0x7f00000, v3
                                        ; implicit-def: $vgpr3
	v_cndmask_b32_e32 v2, 0x7e, v2, vcc_lo
; %bb.1526:
	s_and_not1_saveexec_b32 s8, s8
; %bb.1527:
	v_add_f32_e32 v2, 0x46800000, v3
; %bb.1528:
	s_or_b32 exec_lo, exec_lo, s8
                                        ; implicit-def: $vgpr3
.LBB103_1529:
	s_and_not1_saveexec_b32 s7, s7
; %bb.1530:
	v_mov_b32_e32 v2, 0x7f
	v_cmp_lt_u32_e32 vcc_lo, 0x7f800000, v3
	s_delay_alu instid0(VALU_DEP_2)
	v_cndmask_b32_e32 v2, 0x7e, v2, vcc_lo
; %bb.1531:
	s_or_b32 exec_lo, exec_lo, s7
	global_store_b8 v[0:1], v2, off
.LBB103_1532:
	s_mov_b32 s7, 0
.LBB103_1533:
	s_delay_alu instid0(SALU_CYCLE_1)
	s_and_not1_b32 vcc_lo, exec_lo, s7
	s_cbranch_vccnz .LBB103_1543
; %bb.1534:
	s_wait_xcnt 0x0
	v_cndmask_b32_e64 v3, 0, 1.0, s2
	s_mov_b32 s7, exec_lo
                                        ; implicit-def: $vgpr2
	s_delay_alu instid0(VALU_DEP_1)
	v_cmpx_gt_u32_e32 0x47800000, v3
	s_xor_b32 s7, exec_lo, s7
	s_cbranch_execz .LBB103_1540
; %bb.1535:
	s_mov_b32 s8, exec_lo
                                        ; implicit-def: $vgpr2
	v_cmpx_lt_u32_e32 0x387fffff, v3
	s_xor_b32 s8, exec_lo, s8
; %bb.1536:
	v_bfe_u32 v2, v3, 21, 1
	s_delay_alu instid0(VALU_DEP_1) | instskip(NEXT) | instid1(VALU_DEP_1)
	v_add3_u32 v2, v3, v2, 0x80fffff
                                        ; implicit-def: $vgpr3
	v_lshrrev_b32_e32 v2, 21, v2
; %bb.1537:
	s_and_not1_saveexec_b32 s8, s8
; %bb.1538:
	v_add_f32_e32 v2, 0x43000000, v3
; %bb.1539:
	s_or_b32 exec_lo, exec_lo, s8
                                        ; implicit-def: $vgpr3
.LBB103_1540:
	s_and_not1_saveexec_b32 s7, s7
; %bb.1541:
	v_mov_b32_e32 v2, 0x7f
	v_cmp_lt_u32_e32 vcc_lo, 0x7f800000, v3
	s_delay_alu instid0(VALU_DEP_2)
	v_cndmask_b32_e32 v2, 0x7c, v2, vcc_lo
; %bb.1542:
	s_or_b32 exec_lo, exec_lo, s7
	global_store_b8 v[0:1], v2, off
.LBB103_1543:
	s_mov_b32 s7, 0
.LBB103_1544:
	s_delay_alu instid0(SALU_CYCLE_1)
	s_and_not1_b32 vcc_lo, exec_lo, s7
	s_mov_b32 s8, 0
	s_cbranch_vccnz .LBB103_1552
; %bb.1545:
	s_cmp_gt_i32 s4, 14
	s_mov_b32 s7, -1
	s_cbranch_scc0 .LBB103_1549
; %bb.1546:
	s_cmp_eq_u32 s4, 15
	s_mov_b32 s0, -1
	s_cbranch_scc0 .LBB103_1548
; %bb.1547:
	s_wait_xcnt 0x0
	v_cndmask_b32_e64 v2, 0, 1.0, s2
	s_mov_b32 s0, 0
	s_delay_alu instid0(VALU_DEP_1) | instskip(NEXT) | instid1(VALU_DEP_1)
	v_bfe_u32 v3, v2, 16, 1
	v_add3_u32 v2, v2, v3, 0x7fff
	global_store_d16_hi_b16 v[0:1], v2, off
.LBB103_1548:
	s_mov_b32 s7, 0
.LBB103_1549:
	s_delay_alu instid0(SALU_CYCLE_1)
	s_and_b32 vcc_lo, exec_lo, s7
	s_cbranch_vccz .LBB103_1552
; %bb.1550:
	s_cmp_lg_u32 s4, 11
	s_mov_b32 s8, -1
	s_cselect_b32 s4, -1, 0
	s_and_not1_b32 s0, s0, exec_lo
	s_and_b32 s4, s4, exec_lo
	s_delay_alu instid0(SALU_CYCLE_1)
	s_or_b32 s0, s0, s4
	s_branch .LBB103_1552
.LBB103_1551:
	s_mov_b32 s8, 0
.LBB103_1552:
	s_and_not1_b32 s4, s10, exec_lo
	s_and_b32 s0, s0, exec_lo
	s_and_b32 s7, s5, exec_lo
	;; [unrolled: 1-line block ×3, first 2 shown]
	s_or_b32 s10, s4, s0
	s_wait_xcnt 0x0
	s_or_b32 exec_lo, exec_lo, s6
	s_and_saveexec_b32 s0, s10
	s_cbranch_execz .LBB103_1481
.LBB103_1553:
	s_or_b32 s1, s1, exec_lo
	s_and_not1_b32 s8, s8, exec_lo
	s_trap 2
	s_or_b32 exec_lo, exec_lo, s0
	s_and_saveexec_b32 s0, s8
	s_delay_alu instid0(SALU_CYCLE_1)
	s_xor_b32 s0, exec_lo, s0
	s_cbranch_execnz .LBB103_1482
.LBB103_1554:
	s_or_b32 exec_lo, exec_lo, s0
	s_and_saveexec_b32 s0, s7
	s_delay_alu instid0(SALU_CYCLE_1)
	s_xor_b32 s0, exec_lo, s0
	s_cbranch_execz .LBB103_1592
.LBB103_1555:
	s_sext_i32_i16 s5, s3
	s_mov_b32 s4, -1
	s_cmp_lt_i32 s5, 5
	s_cbranch_scc1 .LBB103_1576
; %bb.1556:
	s_cmp_lt_i32 s5, 8
	s_cbranch_scc1 .LBB103_1566
; %bb.1557:
	;; [unrolled: 3-line block ×3, first 2 shown]
	s_cmp_gt_i32 s5, 9
	s_cbranch_scc0 .LBB103_1560
; %bb.1559:
	v_cndmask_b32_e64 v2, 0, 1, s2
	v_mov_b32_e32 v4, 0
	s_mov_b32 s4, 0
	s_wait_loadcnt 0x0
	s_delay_alu instid0(VALU_DEP_2) | instskip(NEXT) | instid1(VALU_DEP_2)
	v_cvt_f64_u32_e32 v[2:3], v2
	v_mov_b32_e32 v5, v4
	global_store_b128 v[0:1], v[2:5], off
.LBB103_1560:
	s_and_not1_b32 vcc_lo, exec_lo, s4
	s_cbranch_vccnz .LBB103_1562
; %bb.1561:
	s_wait_xcnt 0x0
	v_cndmask_b32_e64 v2, 0, 1.0, s2
	s_wait_loadcnt 0x0
	v_mov_b32_e32 v3, 0
	global_store_b64 v[0:1], v[2:3], off
.LBB103_1562:
	s_mov_b32 s4, 0
.LBB103_1563:
	s_delay_alu instid0(SALU_CYCLE_1)
	s_and_not1_b32 vcc_lo, exec_lo, s4
	s_cbranch_vccnz .LBB103_1565
; %bb.1564:
	s_wait_xcnt 0x0
	v_cndmask_b32_e64 v2, 0, 1.0, s2
	s_delay_alu instid0(VALU_DEP_1) | instskip(NEXT) | instid1(VALU_DEP_1)
	v_cvt_f16_f32_e32 v2, v2
	v_and_b32_e32 v2, 0xffff, v2
	s_wait_loadcnt 0x0
	global_store_b32 v[0:1], v2, off
.LBB103_1565:
	s_mov_b32 s4, 0
.LBB103_1566:
	s_delay_alu instid0(SALU_CYCLE_1)
	s_and_not1_b32 vcc_lo, exec_lo, s4
	s_cbranch_vccnz .LBB103_1575
; %bb.1567:
	s_sext_i32_i16 s5, s3
	s_mov_b32 s4, -1
	s_cmp_lt_i32 s5, 6
	s_cbranch_scc1 .LBB103_1573
; %bb.1568:
	s_cmp_gt_i32 s5, 6
	s_cbranch_scc0 .LBB103_1570
; %bb.1569:
	s_wait_xcnt 0x0
	v_cndmask_b32_e64 v2, 0, 1, s2
	s_mov_b32 s4, 0
	s_wait_loadcnt 0x0
	s_delay_alu instid0(VALU_DEP_1)
	v_cvt_f64_u32_e32 v[2:3], v2
	global_store_b64 v[0:1], v[2:3], off
.LBB103_1570:
	s_and_not1_b32 vcc_lo, exec_lo, s4
	s_cbranch_vccnz .LBB103_1572
; %bb.1571:
	s_wait_xcnt 0x0
	v_cndmask_b32_e64 v2, 0, 1.0, s2
	s_wait_loadcnt 0x0
	global_store_b32 v[0:1], v2, off
.LBB103_1572:
	s_mov_b32 s4, 0
.LBB103_1573:
	s_delay_alu instid0(SALU_CYCLE_1)
	s_and_not1_b32 vcc_lo, exec_lo, s4
	s_cbranch_vccnz .LBB103_1575
; %bb.1574:
	s_wait_xcnt 0x0
	v_cndmask_b32_e64 v2, 0, 1.0, s2
	s_delay_alu instid0(VALU_DEP_1)
	v_cvt_f16_f32_e32 v2, v2
	s_wait_loadcnt 0x0
	global_store_b16 v[0:1], v2, off
.LBB103_1575:
	s_mov_b32 s4, 0
.LBB103_1576:
	s_delay_alu instid0(SALU_CYCLE_1)
	s_and_not1_b32 vcc_lo, exec_lo, s4
	s_cbranch_vccnz .LBB103_1592
; %bb.1577:
	s_sext_i32_i16 s5, s3
	s_mov_b32 s4, -1
	s_cmp_lt_i32 s5, 2
	s_cbranch_scc1 .LBB103_1587
; %bb.1578:
	s_cmp_lt_i32 s5, 3
	s_cbranch_scc1 .LBB103_1584
; %bb.1579:
	s_cmp_gt_i32 s5, 3
	s_cbranch_scc0 .LBB103_1581
; %bb.1580:
	s_mov_b32 s4, 0
	s_wait_xcnt 0x0
	v_cndmask_b32_e64 v2, 0, 1, s2
	s_wait_loadcnt 0x0
	v_mov_b32_e32 v3, s4
	global_store_b64 v[0:1], v[2:3], off
.LBB103_1581:
	s_and_not1_b32 vcc_lo, exec_lo, s4
	s_cbranch_vccnz .LBB103_1583
; %bb.1582:
	s_wait_xcnt 0x0
	v_cndmask_b32_e64 v2, 0, 1, s2
	s_wait_loadcnt 0x0
	global_store_b32 v[0:1], v2, off
.LBB103_1583:
	s_mov_b32 s4, 0
.LBB103_1584:
	s_delay_alu instid0(SALU_CYCLE_1)
	s_and_not1_b32 vcc_lo, exec_lo, s4
	s_cbranch_vccnz .LBB103_1586
; %bb.1585:
	s_wait_xcnt 0x0
	v_cndmask_b32_e64 v2, 0, 1, s2
	s_wait_loadcnt 0x0
	global_store_b16 v[0:1], v2, off
.LBB103_1586:
	s_mov_b32 s4, 0
.LBB103_1587:
	s_delay_alu instid0(SALU_CYCLE_1)
	s_and_not1_b32 vcc_lo, exec_lo, s4
	s_cbranch_vccnz .LBB103_1592
; %bb.1588:
	s_wait_xcnt 0x0
	v_cndmask_b32_e64 v2, 0, 1, s2
	s_sext_i32_i16 s3, s3
	s_mov_b32 s2, -1
	s_cmp_gt_i32 s3, 0
	s_cbranch_scc0 .LBB103_1590
; %bb.1589:
	s_mov_b32 s2, 0
	s_wait_loadcnt 0x0
	global_store_b8 v[0:1], v2, off
.LBB103_1590:
	s_and_not1_b32 vcc_lo, exec_lo, s2
	s_cbranch_vccnz .LBB103_1592
; %bb.1591:
	s_wait_loadcnt 0x0
	global_store_b8 v[0:1], v2, off
.LBB103_1592:
	s_wait_xcnt 0x0
	s_or_b32 exec_lo, exec_lo, s0
	s_delay_alu instid0(SALU_CYCLE_1)
	s_and_b32 s3, s1, exec_lo
                                        ; implicit-def: $vgpr1
                                        ; implicit-def: $vgpr0
.LBB103_1593:
	s_or_saveexec_b32 s8, s35
	s_mov_b32 s0, 0
                                        ; implicit-def: $sgpr1
                                        ; implicit-def: $vgpr2_vgpr3
                                        ; implicit-def: $sgpr6
	s_xor_b32 exec_lo, exec_lo, s8
	s_cbranch_execz .LBB103_3114
; %bb.1594:
	s_wait_loadcnt 0x0
	v_cndmask_b32_e64 v3, 0, 1, s34
	s_and_not1_b32 vcc_lo, exec_lo, s34
	s_cbranch_vccnz .LBB103_1600
; %bb.1595:
	s_cmp_lg_u32 s30, 0
	s_mov_b32 s2, 0
	s_cbranch_scc0 .LBB103_1604
; %bb.1596:
	s_min_u32 s4, s31, 15
	v_dual_mov_b32 v6, 0 :: v_dual_mov_b32 v2, v0
	v_dual_mov_b32 v22, 0 :: v_dual_mov_b32 v20, 0
	s_add_co_i32 s5, s4, 1
	s_mov_b64 s[0:1], 0xffffffffffffffe8
	s_and_b32 s5, s5, 30
	s_add_nc_u64 s[0:1], s[20:21], s[0:1]
.LBB103_1597:                           ; =>This Inner Loop Header: Depth=1
	s_clause 0x3
	s_load_b128 s[12:15], s[0:1], 0x1c
	s_load_b64 s[6:7], s[0:1], 0x2c
	s_load_b128 s[16:19], s[0:1], 0xdc
	s_load_b64 s[10:11], s[0:1], 0xec
	s_add_co_i32 s5, s5, -2
	s_wait_xcnt 0x0
	s_add_nc_u64 s[0:1], s[0:1], 24
	s_cmp_lg_u32 s5, 0
	s_wait_kmcnt 0x0
	v_mul_hi_u32 v4, s13, v2
	s_delay_alu instid0(VALU_DEP_1) | instskip(NEXT) | instid1(VALU_DEP_1)
	v_add_nc_u32_e32 v4, v2, v4
	v_lshrrev_b32_e32 v4, s14, v4
	s_delay_alu instid0(VALU_DEP_1) | instskip(SKIP_1) | instid1(VALU_DEP_1)
	v_mul_hi_u32 v5, s6, v4
	v_mul_lo_u32 v7, v4, s12
	v_dual_add_nc_u32 v5, v4, v5 :: v_dual_sub_nc_u32 v7, v2, v7
	s_delay_alu instid0(VALU_DEP_1) | instskip(NEXT) | instid1(VALU_DEP_2)
	v_lshrrev_b32_e32 v2, s7, v5
	v_mad_u32 v6, v7, s16, v6
	v_mad_u32 v8, v7, s18, v20
	v_mad_u32 v7, v7, s17, v22
	s_delay_alu instid0(VALU_DEP_4) | instskip(NEXT) | instid1(VALU_DEP_1)
	v_mul_lo_u32 v5, v2, s15
	v_sub_nc_u32_e32 v4, v4, v5
	s_delay_alu instid0(VALU_DEP_1)
	v_mad_u32 v6, v4, s19, v6
	v_mad_u32 v20, v4, s11, v8
	;; [unrolled: 1-line block ×3, first 2 shown]
	s_cbranch_scc1 .LBB103_1597
; %bb.1598:
	s_bitcmp1_b32 s4, 0
	s_cselect_b32 s4, -1, 0
	s_delay_alu instid0(SALU_CYCLE_1)
	s_and_b32 vcc_lo, exec_lo, s4
	s_cbranch_vccnz .LBB103_1601
; %bb.1599:
	s_clause 0x1
	s_load_b96 s[4:6], s[0:1], 0x1c
	s_load_b96 s[12:14], s[0:1], 0xdc
	s_wait_kmcnt 0x0
	v_mul_hi_u32 v4, s5, v2
	s_delay_alu instid0(VALU_DEP_1) | instskip(NEXT) | instid1(VALU_DEP_1)
	v_add_nc_u32_e32 v4, v2, v4
	v_lshrrev_b32_e32 v4, s6, v4
	s_delay_alu instid0(VALU_DEP_1) | instskip(NEXT) | instid1(VALU_DEP_1)
	v_mul_lo_u32 v4, v4, s4
	v_sub_nc_u32_e32 v2, v2, v4
	s_delay_alu instid0(VALU_DEP_1)
	v_mad_u32 v6, v2, s12, v6
	v_mad_u32 v22, v2, s13, v22
	;; [unrolled: 1-line block ×3, first 2 shown]
	s_and_not1_b32 vcc_lo, exec_lo, s2
	s_cbranch_vccz .LBB103_1602
	s_branch .LBB103_1605
.LBB103_1600:
	s_mov_b32 s2, -1
                                        ; implicit-def: $vgpr20
                                        ; implicit-def: $vgpr22
                                        ; implicit-def: $vgpr6
.LBB103_1601:
	s_delay_alu instid0(SALU_CYCLE_1)
	s_and_not1_b32 vcc_lo, exec_lo, s2
	s_cbranch_vccnz .LBB103_1605
.LBB103_1602:
	s_clause 0x1
	s_load_b96 s[0:2], s[20:21], 0x4
	s_load_b96 s[4:6], s[20:21], 0xc4
	s_cmp_lt_u32 s30, 2
	s_wait_kmcnt 0x0
	v_mul_hi_u32 v2, s1, v0
	s_delay_alu instid0(VALU_DEP_1) | instskip(NEXT) | instid1(VALU_DEP_1)
	v_add_nc_u32_e32 v2, v0, v2
	v_lshrrev_b32_e32 v2, s2, v2
	s_delay_alu instid0(VALU_DEP_1) | instskip(NEXT) | instid1(VALU_DEP_1)
	v_mul_lo_u32 v4, v2, s0
	v_sub_nc_u32_e32 v4, v0, v4
	s_delay_alu instid0(VALU_DEP_1)
	v_mul_lo_u32 v6, v4, s4
	v_mul_lo_u32 v20, v4, s6
	;; [unrolled: 1-line block ×3, first 2 shown]
	s_cbranch_scc1 .LBB103_1605
; %bb.1603:
	s_clause 0x1
	s_load_b96 s[0:2], s[20:21], 0x10
	s_load_b96 s[4:6], s[20:21], 0xd0
	s_wait_kmcnt 0x0
	v_mul_hi_u32 v4, s1, v2
	s_delay_alu instid0(VALU_DEP_1) | instskip(NEXT) | instid1(VALU_DEP_1)
	v_add_nc_u32_e32 v4, v2, v4
	v_lshrrev_b32_e32 v4, s2, v4
	s_delay_alu instid0(VALU_DEP_1) | instskip(NEXT) | instid1(VALU_DEP_1)
	v_mul_lo_u32 v4, v4, s0
	v_sub_nc_u32_e32 v2, v2, v4
	s_delay_alu instid0(VALU_DEP_1)
	v_mad_u32 v6, v2, s4, v6
	v_mad_u32 v22, v2, s5, v22
	;; [unrolled: 1-line block ×3, first 2 shown]
	s_branch .LBB103_1605
.LBB103_1604:
	v_dual_mov_b32 v20, 0 :: v_dual_mov_b32 v22, 0
	v_mov_b32_e32 v6, 0
	s_and_not1_b32 vcc_lo, exec_lo, s2
	s_cbranch_vccz .LBB103_1602
.LBB103_1605:
	v_cmp_ne_u32_e32 vcc_lo, 1, v3
	v_add_nc_u32_e32 v2, 0x80, v0
	s_cbranch_vccnz .LBB103_1611
; %bb.1606:
	s_cmp_lg_u32 s30, 0
	s_mov_b32 s2, 0
	s_cbranch_scc0 .LBB103_1615
; %bb.1607:
	s_min_u32 s4, s31, 15
	v_dual_mov_b32 v4, 0 :: v_dual_mov_b32 v5, v2
	v_dual_mov_b32 v18, 0 :: v_dual_mov_b32 v16, 0
	s_add_co_i32 s5, s4, 1
	s_mov_b64 s[0:1], 0xffffffffffffffe8
	s_and_b32 s5, s5, 30
	s_add_nc_u64 s[0:1], s[20:21], s[0:1]
.LBB103_1608:                           ; =>This Inner Loop Header: Depth=1
	s_clause 0x3
	s_load_b128 s[12:15], s[0:1], 0x1c
	s_load_b64 s[6:7], s[0:1], 0x2c
	s_load_b128 s[16:19], s[0:1], 0xdc
	s_load_b64 s[10:11], s[0:1], 0xec
	s_add_co_i32 s5, s5, -2
	s_wait_xcnt 0x0
	s_add_nc_u64 s[0:1], s[0:1], 24
	s_cmp_lg_u32 s5, 0
	s_wait_kmcnt 0x0
	v_mul_hi_u32 v7, s13, v5
	s_delay_alu instid0(VALU_DEP_1) | instskip(NEXT) | instid1(VALU_DEP_1)
	v_add_nc_u32_e32 v7, v5, v7
	v_lshrrev_b32_e32 v7, s14, v7
	s_delay_alu instid0(VALU_DEP_1) | instskip(SKIP_1) | instid1(VALU_DEP_1)
	v_mul_hi_u32 v8, s6, v7
	v_mul_lo_u32 v9, v7, s12
	v_dual_add_nc_u32 v8, v7, v8 :: v_dual_sub_nc_u32 v9, v5, v9
	s_delay_alu instid0(VALU_DEP_1) | instskip(NEXT) | instid1(VALU_DEP_2)
	v_lshrrev_b32_e32 v5, s7, v8
	v_mad_u32 v4, v9, s16, v4
	v_mad_u32 v10, v9, s18, v16
	;; [unrolled: 1-line block ×3, first 2 shown]
	s_delay_alu instid0(VALU_DEP_4) | instskip(NEXT) | instid1(VALU_DEP_1)
	v_mul_lo_u32 v8, v5, s15
	v_sub_nc_u32_e32 v7, v7, v8
	s_delay_alu instid0(VALU_DEP_1)
	v_mad_u32 v4, v7, s19, v4
	v_mad_u32 v16, v7, s11, v10
	;; [unrolled: 1-line block ×3, first 2 shown]
	s_cbranch_scc1 .LBB103_1608
; %bb.1609:
	s_bitcmp1_b32 s4, 0
	s_cselect_b32 s4, -1, 0
	s_delay_alu instid0(SALU_CYCLE_1)
	s_and_b32 vcc_lo, exec_lo, s4
	s_cbranch_vccnz .LBB103_1612
; %bb.1610:
	s_clause 0x1
	s_load_b96 s[4:6], s[0:1], 0x1c
	s_load_b96 s[12:14], s[0:1], 0xdc
	s_wait_kmcnt 0x0
	v_mul_hi_u32 v7, s5, v5
	s_delay_alu instid0(VALU_DEP_1) | instskip(NEXT) | instid1(VALU_DEP_1)
	v_add_nc_u32_e32 v7, v5, v7
	v_lshrrev_b32_e32 v7, s6, v7
	s_delay_alu instid0(VALU_DEP_1) | instskip(NEXT) | instid1(VALU_DEP_1)
	v_mul_lo_u32 v7, v7, s4
	v_sub_nc_u32_e32 v5, v5, v7
	s_delay_alu instid0(VALU_DEP_1)
	v_mad_u32 v4, v5, s12, v4
	v_mad_u32 v18, v5, s13, v18
	;; [unrolled: 1-line block ×3, first 2 shown]
	s_and_not1_b32 vcc_lo, exec_lo, s2
	s_cbranch_vccz .LBB103_1613
	s_branch .LBB103_1616
.LBB103_1611:
	s_mov_b32 s2, -1
                                        ; implicit-def: $vgpr16
                                        ; implicit-def: $vgpr18
                                        ; implicit-def: $vgpr4
.LBB103_1612:
	s_delay_alu instid0(SALU_CYCLE_1)
	s_and_not1_b32 vcc_lo, exec_lo, s2
	s_cbranch_vccnz .LBB103_1616
.LBB103_1613:
	s_clause 0x1
	s_load_b96 s[0:2], s[20:21], 0x4
	s_load_b96 s[4:6], s[20:21], 0xc4
	s_cmp_lt_u32 s30, 2
	s_wait_kmcnt 0x0
	v_mul_hi_u32 v4, s1, v2
	s_delay_alu instid0(VALU_DEP_1) | instskip(NEXT) | instid1(VALU_DEP_1)
	v_add_nc_u32_e32 v4, v2, v4
	v_lshrrev_b32_e32 v5, s2, v4
	s_delay_alu instid0(VALU_DEP_1) | instskip(NEXT) | instid1(VALU_DEP_1)
	v_mul_lo_u32 v4, v5, s0
	v_sub_nc_u32_e32 v2, v2, v4
	s_delay_alu instid0(VALU_DEP_1)
	v_mul_lo_u32 v4, v2, s4
	v_mul_lo_u32 v16, v2, s6
	;; [unrolled: 1-line block ×3, first 2 shown]
	s_cbranch_scc1 .LBB103_1616
; %bb.1614:
	s_clause 0x1
	s_load_b96 s[0:2], s[20:21], 0x10
	s_load_b96 s[4:6], s[20:21], 0xd0
	s_wait_kmcnt 0x0
	v_mul_hi_u32 v2, s1, v5
	s_delay_alu instid0(VALU_DEP_1) | instskip(NEXT) | instid1(VALU_DEP_1)
	v_add_nc_u32_e32 v2, v5, v2
	v_lshrrev_b32_e32 v2, s2, v2
	s_delay_alu instid0(VALU_DEP_1) | instskip(NEXT) | instid1(VALU_DEP_1)
	v_mul_lo_u32 v2, v2, s0
	v_sub_nc_u32_e32 v2, v5, v2
	s_delay_alu instid0(VALU_DEP_1)
	v_mad_u32 v4, v2, s4, v4
	v_mad_u32 v18, v2, s5, v18
	;; [unrolled: 1-line block ×3, first 2 shown]
	s_branch .LBB103_1616
.LBB103_1615:
	v_dual_mov_b32 v16, 0 :: v_dual_mov_b32 v18, 0
	v_mov_b32_e32 v4, 0
	s_and_not1_b32 vcc_lo, exec_lo, s2
	s_cbranch_vccz .LBB103_1613
.LBB103_1616:
	v_cmp_ne_u32_e32 vcc_lo, 1, v3
	v_add_nc_u32_e32 v0, 0x100, v0
	s_cbranch_vccnz .LBB103_1622
; %bb.1617:
	s_cmp_lg_u32 s30, 0
	s_mov_b32 s2, 0
	s_cbranch_scc0 .LBB103_1626
; %bb.1618:
	s_min_u32 s4, s31, 15
	v_dual_mov_b32 v2, 0 :: v_dual_mov_b32 v5, v0
	v_dual_mov_b32 v14, 0 :: v_dual_mov_b32 v12, 0
	s_add_co_i32 s5, s4, 1
	s_mov_b64 s[0:1], 0xffffffffffffffe8
	s_and_b32 s5, s5, 30
	s_add_nc_u64 s[0:1], s[20:21], s[0:1]
.LBB103_1619:                           ; =>This Inner Loop Header: Depth=1
	s_clause 0x3
	s_load_b128 s[12:15], s[0:1], 0x1c
	s_load_b64 s[6:7], s[0:1], 0x2c
	s_load_b128 s[16:19], s[0:1], 0xdc
	s_load_b64 s[10:11], s[0:1], 0xec
	s_add_co_i32 s5, s5, -2
	s_wait_xcnt 0x0
	s_add_nc_u64 s[0:1], s[0:1], 24
	s_cmp_lg_u32 s5, 0
	s_wait_kmcnt 0x0
	v_mul_hi_u32 v7, s13, v5
	s_delay_alu instid0(VALU_DEP_1) | instskip(NEXT) | instid1(VALU_DEP_1)
	v_add_nc_u32_e32 v7, v5, v7
	v_lshrrev_b32_e32 v7, s14, v7
	s_delay_alu instid0(VALU_DEP_1) | instskip(SKIP_1) | instid1(VALU_DEP_1)
	v_mul_hi_u32 v8, s6, v7
	v_mul_lo_u32 v9, v7, s12
	v_dual_add_nc_u32 v8, v7, v8 :: v_dual_sub_nc_u32 v9, v5, v9
	s_delay_alu instid0(VALU_DEP_1) | instskip(NEXT) | instid1(VALU_DEP_2)
	v_lshrrev_b32_e32 v5, s7, v8
	v_mad_u32 v2, v9, s16, v2
	v_mad_u32 v10, v9, s18, v12
	;; [unrolled: 1-line block ×3, first 2 shown]
	s_delay_alu instid0(VALU_DEP_4) | instskip(NEXT) | instid1(VALU_DEP_1)
	v_mul_lo_u32 v8, v5, s15
	v_sub_nc_u32_e32 v7, v7, v8
	s_delay_alu instid0(VALU_DEP_1)
	v_mad_u32 v2, v7, s19, v2
	v_mad_u32 v12, v7, s11, v10
	;; [unrolled: 1-line block ×3, first 2 shown]
	s_cbranch_scc1 .LBB103_1619
; %bb.1620:
	s_bitcmp1_b32 s4, 0
	s_cselect_b32 s4, -1, 0
	s_delay_alu instid0(SALU_CYCLE_1)
	s_and_b32 vcc_lo, exec_lo, s4
	s_cbranch_vccnz .LBB103_1623
; %bb.1621:
	s_clause 0x1
	s_load_b96 s[4:6], s[0:1], 0x1c
	s_load_b96 s[12:14], s[0:1], 0xdc
	s_wait_kmcnt 0x0
	v_mul_hi_u32 v7, s5, v5
	s_delay_alu instid0(VALU_DEP_1) | instskip(NEXT) | instid1(VALU_DEP_1)
	v_add_nc_u32_e32 v7, v5, v7
	v_lshrrev_b32_e32 v7, s6, v7
	s_delay_alu instid0(VALU_DEP_1) | instskip(NEXT) | instid1(VALU_DEP_1)
	v_mul_lo_u32 v7, v7, s4
	v_sub_nc_u32_e32 v5, v5, v7
	s_delay_alu instid0(VALU_DEP_1)
	v_mad_u32 v2, v5, s12, v2
	v_mad_u32 v14, v5, s13, v14
	;; [unrolled: 1-line block ×3, first 2 shown]
	s_and_not1_b32 vcc_lo, exec_lo, s2
	s_cbranch_vccz .LBB103_1624
	s_branch .LBB103_1627
.LBB103_1622:
	s_mov_b32 s2, -1
                                        ; implicit-def: $vgpr12
                                        ; implicit-def: $vgpr14
                                        ; implicit-def: $vgpr2
.LBB103_1623:
	s_delay_alu instid0(SALU_CYCLE_1)
	s_and_not1_b32 vcc_lo, exec_lo, s2
	s_cbranch_vccnz .LBB103_1627
.LBB103_1624:
	s_clause 0x1
	s_load_b96 s[0:2], s[20:21], 0x4
	s_load_b96 s[4:6], s[20:21], 0xc4
	s_cmp_lt_u32 s30, 2
	s_wait_kmcnt 0x0
	v_mul_hi_u32 v2, s1, v0
	s_delay_alu instid0(VALU_DEP_1) | instskip(NEXT) | instid1(VALU_DEP_1)
	v_add_nc_u32_e32 v2, v0, v2
	v_lshrrev_b32_e32 v5, s2, v2
	s_delay_alu instid0(VALU_DEP_1) | instskip(NEXT) | instid1(VALU_DEP_1)
	v_mul_lo_u32 v2, v5, s0
	v_sub_nc_u32_e32 v0, v0, v2
	s_delay_alu instid0(VALU_DEP_1)
	v_mul_lo_u32 v2, v0, s4
	v_mul_lo_u32 v12, v0, s6
	;; [unrolled: 1-line block ×3, first 2 shown]
	s_cbranch_scc1 .LBB103_1627
; %bb.1625:
	s_clause 0x1
	s_load_b96 s[0:2], s[20:21], 0x10
	s_load_b96 s[4:6], s[20:21], 0xd0
	s_wait_kmcnt 0x0
	v_mul_hi_u32 v0, s1, v5
	s_delay_alu instid0(VALU_DEP_1) | instskip(NEXT) | instid1(VALU_DEP_1)
	v_add_nc_u32_e32 v0, v5, v0
	v_lshrrev_b32_e32 v0, s2, v0
	s_delay_alu instid0(VALU_DEP_1) | instskip(NEXT) | instid1(VALU_DEP_1)
	v_mul_lo_u32 v0, v0, s0
	v_sub_nc_u32_e32 v0, v5, v0
	s_delay_alu instid0(VALU_DEP_1)
	v_mad_u32 v2, v0, s4, v2
	v_mad_u32 v14, v0, s5, v14
	;; [unrolled: 1-line block ×3, first 2 shown]
	s_branch .LBB103_1627
.LBB103_1626:
	v_dual_mov_b32 v12, 0 :: v_dual_mov_b32 v14, 0
	v_mov_b32_e32 v2, 0
	s_and_not1_b32 vcc_lo, exec_lo, s2
	s_cbranch_vccz .LBB103_1624
.LBB103_1627:
	v_cmp_ne_u32_e32 vcc_lo, 1, v3
	s_cbranch_vccnz .LBB103_1633
; %bb.1628:
	s_cmp_lg_u32 s30, 0
	s_mov_b32 s2, 0
	s_cbranch_scc0 .LBB103_1637
; %bb.1629:
	s_min_u32 s4, s31, 15
	v_dual_mov_b32 v0, 0 :: v_dual_mov_b32 v3, v1
	v_dual_mov_b32 v10, 0 :: v_dual_mov_b32 v8, 0
	s_add_co_i32 s5, s4, 1
	s_mov_b64 s[0:1], 0xffffffffffffffe8
	s_and_b32 s5, s5, 30
	s_add_nc_u64 s[0:1], s[20:21], s[0:1]
.LBB103_1630:                           ; =>This Inner Loop Header: Depth=1
	s_clause 0x3
	s_load_b128 s[12:15], s[0:1], 0x1c
	s_load_b64 s[6:7], s[0:1], 0x2c
	s_load_b128 s[16:19], s[0:1], 0xdc
	s_load_b64 s[10:11], s[0:1], 0xec
	s_add_co_i32 s5, s5, -2
	s_wait_xcnt 0x0
	s_add_nc_u64 s[0:1], s[0:1], 24
	s_cmp_lg_u32 s5, 0
	s_wait_kmcnt 0x0
	v_mul_hi_u32 v5, s13, v3
	s_delay_alu instid0(VALU_DEP_1) | instskip(NEXT) | instid1(VALU_DEP_1)
	v_add_nc_u32_e32 v5, v3, v5
	v_lshrrev_b32_e32 v5, s14, v5
	s_delay_alu instid0(VALU_DEP_1) | instskip(SKIP_1) | instid1(VALU_DEP_1)
	v_mul_hi_u32 v7, s6, v5
	v_mul_lo_u32 v9, v5, s12
	v_dual_add_nc_u32 v7, v5, v7 :: v_dual_sub_nc_u32 v9, v3, v9
	s_delay_alu instid0(VALU_DEP_1) | instskip(NEXT) | instid1(VALU_DEP_2)
	v_lshrrev_b32_e32 v3, s7, v7
	v_mad_u32 v0, v9, s16, v0
	v_mad_u32 v8, v9, s18, v8
	;; [unrolled: 1-line block ×3, first 2 shown]
	s_delay_alu instid0(VALU_DEP_4) | instskip(NEXT) | instid1(VALU_DEP_1)
	v_mul_lo_u32 v7, v3, s15
	v_sub_nc_u32_e32 v5, v5, v7
	s_delay_alu instid0(VALU_DEP_1)
	v_mad_u32 v0, v5, s19, v0
	v_mad_u32 v8, v5, s11, v8
	;; [unrolled: 1-line block ×3, first 2 shown]
	s_cbranch_scc1 .LBB103_1630
; %bb.1631:
	s_bitcmp1_b32 s4, 0
	s_cselect_b32 s4, -1, 0
	s_delay_alu instid0(SALU_CYCLE_1)
	s_and_b32 vcc_lo, exec_lo, s4
	s_cbranch_vccnz .LBB103_1634
; %bb.1632:
	s_clause 0x1
	s_load_b96 s[4:6], s[0:1], 0x1c
	s_load_b96 s[12:14], s[0:1], 0xdc
	s_wait_kmcnt 0x0
	v_mul_hi_u32 v5, s5, v3
	s_delay_alu instid0(VALU_DEP_1) | instskip(NEXT) | instid1(VALU_DEP_1)
	v_add_nc_u32_e32 v5, v3, v5
	v_lshrrev_b32_e32 v5, s6, v5
	s_delay_alu instid0(VALU_DEP_1) | instskip(NEXT) | instid1(VALU_DEP_1)
	v_mul_lo_u32 v5, v5, s4
	v_sub_nc_u32_e32 v3, v3, v5
	s_delay_alu instid0(VALU_DEP_1)
	v_mad_u32 v0, v3, s12, v0
	v_mad_u32 v10, v3, s13, v10
	;; [unrolled: 1-line block ×3, first 2 shown]
	s_and_not1_b32 vcc_lo, exec_lo, s2
	s_cbranch_vccz .LBB103_1635
	s_branch .LBB103_1638
.LBB103_1633:
	s_mov_b32 s2, -1
                                        ; implicit-def: $vgpr8
                                        ; implicit-def: $vgpr10
                                        ; implicit-def: $vgpr0
.LBB103_1634:
	s_delay_alu instid0(SALU_CYCLE_1)
	s_and_not1_b32 vcc_lo, exec_lo, s2
	s_cbranch_vccnz .LBB103_1638
.LBB103_1635:
	s_clause 0x1
	s_load_b96 s[0:2], s[20:21], 0x4
	s_load_b96 s[4:6], s[20:21], 0xc4
	s_cmp_lt_u32 s30, 2
	s_wait_kmcnt 0x0
	v_mul_hi_u32 v0, s1, v1
	s_delay_alu instid0(VALU_DEP_1) | instskip(NEXT) | instid1(VALU_DEP_1)
	v_add_nc_u32_e32 v0, v1, v0
	v_lshrrev_b32_e32 v3, s2, v0
	s_delay_alu instid0(VALU_DEP_1) | instskip(NEXT) | instid1(VALU_DEP_1)
	v_mul_lo_u32 v0, v3, s0
	v_sub_nc_u32_e32 v1, v1, v0
	s_delay_alu instid0(VALU_DEP_1)
	v_mul_lo_u32 v0, v1, s4
	v_mul_lo_u32 v8, v1, s6
	v_mul_lo_u32 v10, v1, s5
	s_cbranch_scc1 .LBB103_1638
; %bb.1636:
	s_clause 0x1
	s_load_b96 s[0:2], s[20:21], 0x10
	s_load_b96 s[4:6], s[20:21], 0xd0
	s_wait_kmcnt 0x0
	v_mul_hi_u32 v1, s1, v3
	s_delay_alu instid0(VALU_DEP_1) | instskip(NEXT) | instid1(VALU_DEP_1)
	v_add_nc_u32_e32 v1, v3, v1
	v_lshrrev_b32_e32 v1, s2, v1
	s_delay_alu instid0(VALU_DEP_1) | instskip(NEXT) | instid1(VALU_DEP_1)
	v_mul_lo_u32 v1, v1, s0
	v_sub_nc_u32_e32 v1, v3, v1
	s_delay_alu instid0(VALU_DEP_1)
	v_mad_u32 v0, v1, s4, v0
	v_mad_u32 v10, v1, s5, v10
	;; [unrolled: 1-line block ×3, first 2 shown]
	s_branch .LBB103_1638
.LBB103_1637:
	v_dual_mov_b32 v8, 0 :: v_dual_mov_b32 v10, 0
	v_mov_b32_e32 v0, 0
	s_and_not1_b32 vcc_lo, exec_lo, s2
	s_cbranch_vccz .LBB103_1635
.LBB103_1638:
	v_mov_b32_e32 v23, 0
	s_load_b128 s[4:7], s[20:21], 0x188
	global_load_u8 v1, v23, s[20:21] offset:421
	s_wait_kmcnt 0x0
	v_add_nc_u64_e32 v[22:23], s[6:7], v[22:23]
	s_wait_loadcnt 0x0
	v_and_b32_e32 v3, 0xffff, v1
	v_readfirstlane_b32 s2, v1
	s_delay_alu instid0(VALU_DEP_2)
	v_cmp_gt_i32_e32 vcc_lo, 11, v3
	s_cbranch_vccnz .LBB103_1645
; %bb.1639:
	s_and_b32 s0, 0xffff, s2
	s_mov_b32 s10, 0
	s_cmp_gt_i32 s0, 25
	s_cbranch_scc0 .LBB103_1647
; %bb.1640:
	s_cmp_gt_i32 s0, 28
	s_cbranch_scc0 .LBB103_1648
; %bb.1641:
	;; [unrolled: 3-line block ×4, first 2 shown]
	s_cmp_eq_u32 s0, 46
	s_mov_b32 s9, 0
	s_cbranch_scc0 .LBB103_1653
; %bb.1644:
	global_load_b32 v1, v[22:23], off
	s_mov_b32 s1, 0
	s_mov_b32 s11, -1
	s_wait_loadcnt 0x0
	v_lshlrev_b32_e32 v1, 16, v1
	s_branch .LBB103_1655
.LBB103_1645:
	s_mov_b32 s11, 0
	s_mov_b32 s9, s3
                                        ; implicit-def: $vgpr1
	s_cbranch_execnz .LBB103_1718
.LBB103_1646:
	s_and_not1_b32 vcc_lo, exec_lo, s11
	s_cbranch_vccz .LBB103_1763
	s_branch .LBB103_3112
.LBB103_1647:
	s_mov_b32 s11, 0
	s_mov_b32 s1, 0
                                        ; implicit-def: $vgpr1
	s_cbranch_execnz .LBB103_1683
	s_branch .LBB103_1714
.LBB103_1648:
	s_mov_b32 s9, -1
	s_mov_b32 s11, 0
	s_mov_b32 s1, 0
                                        ; implicit-def: $vgpr1
	s_branch .LBB103_1664
.LBB103_1649:
	s_mov_b32 s11, 0
	s_mov_b32 s1, 0
                                        ; implicit-def: $vgpr1
	s_cbranch_execnz .LBB103_1660
	s_branch .LBB103_1663
.LBB103_1650:
	s_mov_b32 s9, -1
	s_mov_b32 s11, 0
	s_mov_b32 s1, 0
	s_branch .LBB103_1654
.LBB103_1651:
	s_and_not1_saveexec_b32 s8, s8
	s_cbranch_execz .LBB103_1506
.LBB103_1652:
	v_add_f32_e32 v2, 0x46000000, v3
	s_and_not1_b32 s7, s7, exec_lo
	s_delay_alu instid0(VALU_DEP_1) | instskip(NEXT) | instid1(VALU_DEP_1)
	v_and_b32_e32 v2, 0xff, v2
	v_cmp_ne_u32_e32 vcc_lo, 0, v2
	s_and_b32 s9, vcc_lo, exec_lo
	s_delay_alu instid0(SALU_CYCLE_1)
	s_or_b32 s7, s7, s9
	s_or_b32 exec_lo, exec_lo, s8
	v_mov_b32_e32 v4, 0
	s_and_saveexec_b32 s8, s7
	s_cbranch_execnz .LBB103_1507
	s_branch .LBB103_1508
.LBB103_1653:
	s_mov_b32 s1, -1
	s_mov_b32 s11, 0
.LBB103_1654:
                                        ; implicit-def: $vgpr1
.LBB103_1655:
	s_and_b32 vcc_lo, exec_lo, s9
	s_cbranch_vccz .LBB103_1658
; %bb.1656:
	s_cmp_eq_u32 s0, 44
	s_cbranch_scc0 .LBB103_1659
; %bb.1657:
	global_load_u8 v1, v[22:23], off
	s_mov_b32 s1, 0
	s_mov_b32 s11, -1
	s_wait_loadcnt 0x0
	v_lshlrev_b32_e32 v3, 23, v1
	v_cmp_ne_u32_e32 vcc_lo, 0xff, v1
	s_delay_alu instid0(VALU_DEP_2) | instskip(SKIP_1) | instid1(VALU_DEP_2)
	v_cndmask_b32_e32 v3, 0x7f800001, v3, vcc_lo
	v_cmp_ne_u32_e32 vcc_lo, 0, v1
	v_cndmask_b32_e32 v1, 0x400000, v3, vcc_lo
.LBB103_1658:
	s_branch .LBB103_1663
.LBB103_1659:
	s_mov_b32 s1, -1
                                        ; implicit-def: $vgpr1
	s_branch .LBB103_1663
.LBB103_1660:
	s_cmp_eq_u32 s0, 29
	s_cbranch_scc0 .LBB103_1662
; %bb.1661:
	global_load_b64 v[24:25], v[22:23], off
	s_mov_b32 s1, 0
	s_mov_b32 s11, -1
	s_mov_b32 s9, 0
	s_wait_loadcnt 0x0
	v_clz_i32_u32_e32 v1, v25
	s_delay_alu instid0(VALU_DEP_1) | instskip(NEXT) | instid1(VALU_DEP_1)
	v_min_u32_e32 v1, 32, v1
	v_lshlrev_b64_e32 v[24:25], v1, v[24:25]
	v_sub_nc_u32_e32 v1, 32, v1
	s_delay_alu instid0(VALU_DEP_2) | instskip(NEXT) | instid1(VALU_DEP_1)
	v_min_u32_e32 v3, 1, v24
	v_or_b32_e32 v3, v25, v3
	s_delay_alu instid0(VALU_DEP_1) | instskip(NEXT) | instid1(VALU_DEP_1)
	v_cvt_f32_u32_e32 v3, v3
	v_ldexp_f32 v1, v3, v1
	s_branch .LBB103_1664
.LBB103_1662:
	s_mov_b32 s1, -1
                                        ; implicit-def: $vgpr1
.LBB103_1663:
	s_mov_b32 s9, 0
.LBB103_1664:
	s_delay_alu instid0(SALU_CYCLE_1)
	s_and_b32 vcc_lo, exec_lo, s9
	s_cbranch_vccz .LBB103_1682
; %bb.1665:
	s_cmp_lt_i32 s0, 27
	s_cbranch_scc1 .LBB103_1668
; %bb.1666:
	s_cmp_gt_i32 s0, 27
	s_cbranch_scc0 .LBB103_1669
; %bb.1667:
	global_load_b32 v1, v[22:23], off
	s_mov_b32 s9, 0
	s_wait_loadcnt 0x0
	v_cvt_f32_u32_e32 v1, v1
	s_branch .LBB103_1670
.LBB103_1668:
	s_mov_b32 s9, -1
                                        ; implicit-def: $vgpr1
	s_branch .LBB103_1673
.LBB103_1669:
	s_mov_b32 s9, -1
                                        ; implicit-def: $vgpr1
.LBB103_1670:
	s_delay_alu instid0(SALU_CYCLE_1)
	s_and_not1_b32 vcc_lo, exec_lo, s9
	s_cbranch_vccnz .LBB103_1672
; %bb.1671:
	global_load_u16 v1, v[22:23], off
	s_wait_loadcnt 0x0
	v_cvt_f32_u32_e32 v1, v1
.LBB103_1672:
	s_mov_b32 s9, 0
.LBB103_1673:
	s_delay_alu instid0(SALU_CYCLE_1)
	s_and_not1_b32 vcc_lo, exec_lo, s9
	s_cbranch_vccnz .LBB103_1681
; %bb.1674:
	global_load_u8 v3, v[22:23], off
	s_mov_b32 s9, 0
	s_mov_b32 s11, exec_lo
	s_wait_loadcnt 0x0
	v_cmpx_lt_i16_e32 0x7f, v3
	s_xor_b32 s11, exec_lo, s11
	s_cbranch_execz .LBB103_1694
; %bb.1675:
	s_mov_b32 s9, -1
	s_mov_b32 s12, exec_lo
	v_cmpx_eq_u16_e32 0x80, v3
; %bb.1676:
	s_xor_b32 s9, exec_lo, -1
; %bb.1677:
	s_or_b32 exec_lo, exec_lo, s12
	s_delay_alu instid0(SALU_CYCLE_1)
	s_and_b32 s9, s9, exec_lo
	s_or_saveexec_b32 s11, s11
	v_mov_b32_e32 v1, 0x7f800001
	s_xor_b32 exec_lo, exec_lo, s11
	s_cbranch_execnz .LBB103_1695
.LBB103_1678:
	s_or_b32 exec_lo, exec_lo, s11
	s_and_saveexec_b32 s11, s9
	s_cbranch_execz .LBB103_1680
.LBB103_1679:
	v_and_b32_e32 v1, 0xffff, v3
	s_delay_alu instid0(VALU_DEP_1) | instskip(SKIP_1) | instid1(VALU_DEP_2)
	v_and_b32_e32 v5, 7, v1
	v_bfe_u32 v11, v1, 3, 4
	v_clz_i32_u32_e32 v7, v5
	s_delay_alu instid0(VALU_DEP_2) | instskip(NEXT) | instid1(VALU_DEP_2)
	v_cmp_eq_u32_e32 vcc_lo, 0, v11
	v_min_u32_e32 v7, 32, v7
	s_delay_alu instid0(VALU_DEP_1) | instskip(NEXT) | instid1(VALU_DEP_1)
	v_subrev_nc_u32_e32 v9, 28, v7
	v_dual_lshlrev_b32 v1, v9, v1 :: v_dual_sub_nc_u32 v7, 29, v7
	s_delay_alu instid0(VALU_DEP_1) | instskip(NEXT) | instid1(VALU_DEP_1)
	v_dual_lshlrev_b32 v3, 24, v3 :: v_dual_bitop2_b32 v1, 7, v1 bitop3:0x40
	v_dual_cndmask_b32 v1, v5, v1, vcc_lo :: v_dual_cndmask_b32 v7, v11, v7, vcc_lo
	s_delay_alu instid0(VALU_DEP_2) | instskip(NEXT) | instid1(VALU_DEP_2)
	v_and_b32_e32 v3, 0x80000000, v3
	v_lshlrev_b32_e32 v1, 20, v1
	s_delay_alu instid0(VALU_DEP_3) | instskip(NEXT) | instid1(VALU_DEP_1)
	v_lshl_add_u32 v5, v7, 23, 0x3b800000
	v_or3_b32 v1, v3, v5, v1
.LBB103_1680:
	s_or_b32 exec_lo, exec_lo, s11
.LBB103_1681:
	s_mov_b32 s11, -1
.LBB103_1682:
	s_branch .LBB103_1714
.LBB103_1683:
	s_cmp_gt_i32 s0, 22
	s_cbranch_scc0 .LBB103_1693
; %bb.1684:
	s_cmp_lt_i32 s0, 24
	s_cbranch_scc1 .LBB103_1696
; %bb.1685:
	s_cmp_gt_i32 s0, 24
	s_cbranch_scc0 .LBB103_1697
; %bb.1686:
	global_load_u8 v3, v[22:23], off
	s_mov_b32 s9, 0
	s_mov_b32 s10, exec_lo
	s_wait_loadcnt 0x0
	v_cmpx_lt_i16_e32 0x7f, v3
	s_xor_b32 s10, exec_lo, s10
	s_cbranch_execz .LBB103_1708
; %bb.1687:
	s_mov_b32 s9, -1
	s_mov_b32 s11, exec_lo
	v_cmpx_eq_u16_e32 0x80, v3
; %bb.1688:
	s_xor_b32 s9, exec_lo, -1
; %bb.1689:
	s_or_b32 exec_lo, exec_lo, s11
	s_delay_alu instid0(SALU_CYCLE_1)
	s_and_b32 s9, s9, exec_lo
	s_or_saveexec_b32 s10, s10
	v_mov_b32_e32 v1, 0x7f800001
	s_xor_b32 exec_lo, exec_lo, s10
	s_cbranch_execnz .LBB103_1709
.LBB103_1690:
	s_or_b32 exec_lo, exec_lo, s10
	s_and_saveexec_b32 s10, s9
	s_cbranch_execz .LBB103_1692
.LBB103_1691:
	v_and_b32_e32 v1, 0xffff, v3
	s_delay_alu instid0(VALU_DEP_1) | instskip(SKIP_1) | instid1(VALU_DEP_2)
	v_and_b32_e32 v5, 3, v1
	v_bfe_u32 v11, v1, 2, 5
	v_clz_i32_u32_e32 v7, v5
	s_delay_alu instid0(VALU_DEP_2) | instskip(NEXT) | instid1(VALU_DEP_2)
	v_cmp_eq_u32_e32 vcc_lo, 0, v11
	v_min_u32_e32 v7, 32, v7
	s_delay_alu instid0(VALU_DEP_1) | instskip(NEXT) | instid1(VALU_DEP_1)
	v_subrev_nc_u32_e32 v9, 29, v7
	v_dual_lshlrev_b32 v1, v9, v1 :: v_dual_sub_nc_u32 v7, 30, v7
	s_delay_alu instid0(VALU_DEP_1) | instskip(NEXT) | instid1(VALU_DEP_1)
	v_dual_lshlrev_b32 v3, 24, v3 :: v_dual_bitop2_b32 v1, 3, v1 bitop3:0x40
	v_dual_cndmask_b32 v1, v5, v1, vcc_lo :: v_dual_cndmask_b32 v7, v11, v7, vcc_lo
	s_delay_alu instid0(VALU_DEP_2) | instskip(NEXT) | instid1(VALU_DEP_2)
	v_and_b32_e32 v3, 0x80000000, v3
	v_lshlrev_b32_e32 v1, 21, v1
	s_delay_alu instid0(VALU_DEP_3) | instskip(NEXT) | instid1(VALU_DEP_1)
	v_lshl_add_u32 v5, v7, 23, 0x37800000
	v_or3_b32 v1, v3, v5, v1
.LBB103_1692:
	s_or_b32 exec_lo, exec_lo, s10
	s_mov_b32 s9, 0
	s_branch .LBB103_1698
.LBB103_1693:
                                        ; implicit-def: $vgpr1
	s_mov_b32 s10, 0
	s_branch .LBB103_1704
.LBB103_1694:
	s_or_saveexec_b32 s11, s11
	v_mov_b32_e32 v1, 0x7f800001
	s_xor_b32 exec_lo, exec_lo, s11
	s_cbranch_execz .LBB103_1678
.LBB103_1695:
	v_cmp_ne_u16_e32 vcc_lo, 0, v3
	v_mov_b32_e32 v1, 0
	s_and_not1_b32 s9, s9, exec_lo
	s_and_b32 s12, vcc_lo, exec_lo
	s_delay_alu instid0(SALU_CYCLE_1)
	s_or_b32 s9, s9, s12
	s_or_b32 exec_lo, exec_lo, s11
	s_and_saveexec_b32 s11, s9
	s_cbranch_execnz .LBB103_1679
	s_branch .LBB103_1680
.LBB103_1696:
	s_mov_b32 s9, -1
                                        ; implicit-def: $vgpr1
	s_branch .LBB103_1701
.LBB103_1697:
	s_mov_b32 s9, -1
                                        ; implicit-def: $vgpr1
.LBB103_1698:
	s_delay_alu instid0(SALU_CYCLE_1)
	s_and_b32 vcc_lo, exec_lo, s9
	s_cbranch_vccz .LBB103_1700
; %bb.1699:
	global_load_u8 v1, v[22:23], off
	s_wait_loadcnt 0x0
	v_lshlrev_b32_e32 v1, 24, v1
	s_delay_alu instid0(VALU_DEP_1) | instskip(NEXT) | instid1(VALU_DEP_1)
	v_and_b32_e32 v3, 0x7f000000, v1
	v_clz_i32_u32_e32 v5, v3
	v_add_nc_u32_e32 v9, 0x1000000, v3
	v_cmp_ne_u32_e32 vcc_lo, 0, v3
	s_delay_alu instid0(VALU_DEP_3) | instskip(NEXT) | instid1(VALU_DEP_1)
	v_min_u32_e32 v5, 32, v5
	v_sub_nc_u32_e64 v5, v5, 4 clamp
	s_delay_alu instid0(VALU_DEP_1) | instskip(NEXT) | instid1(VALU_DEP_1)
	v_dual_lshlrev_b32 v7, v5, v3 :: v_dual_lshlrev_b32 v5, 23, v5
	v_lshrrev_b32_e32 v7, 4, v7
	s_delay_alu instid0(VALU_DEP_1) | instskip(SKIP_1) | instid1(VALU_DEP_2)
	v_sub_nc_u32_e32 v5, v7, v5
	v_ashrrev_i32_e32 v7, 8, v9
	v_add_nc_u32_e32 v5, 0x3c000000, v5
	s_delay_alu instid0(VALU_DEP_1) | instskip(NEXT) | instid1(VALU_DEP_1)
	v_and_or_b32 v5, 0x7f800000, v7, v5
	v_cndmask_b32_e32 v3, 0, v5, vcc_lo
	s_delay_alu instid0(VALU_DEP_1)
	v_and_or_b32 v1, 0x80000000, v1, v3
.LBB103_1700:
	s_mov_b32 s9, 0
.LBB103_1701:
	s_delay_alu instid0(SALU_CYCLE_1)
	s_and_not1_b32 vcc_lo, exec_lo, s9
	s_cbranch_vccnz .LBB103_1703
; %bb.1702:
	global_load_u8 v1, v[22:23], off
	s_wait_loadcnt 0x0
	v_lshlrev_b32_e32 v3, 25, v1
	v_lshlrev_b16 v1, 8, v1
	s_delay_alu instid0(VALU_DEP_1) | instskip(SKIP_1) | instid1(VALU_DEP_2)
	v_and_or_b32 v7, 0x7f00, v1, 0.5
	v_bfe_i32 v1, v1, 0, 16
	v_add_f32_e32 v7, -0.5, v7
	v_lshrrev_b32_e32 v5, 4, v3
	v_cmp_gt_u32_e32 vcc_lo, 0x8000000, v3
	s_delay_alu instid0(VALU_DEP_2) | instskip(NEXT) | instid1(VALU_DEP_1)
	v_or_b32_e32 v5, 0x70000000, v5
	v_mul_f32_e32 v5, 0x7800000, v5
	s_delay_alu instid0(VALU_DEP_1) | instskip(NEXT) | instid1(VALU_DEP_1)
	v_cndmask_b32_e32 v3, v5, v7, vcc_lo
	v_and_or_b32 v1, 0x80000000, v1, v3
.LBB103_1703:
	s_mov_b32 s11, -1
	s_mov_b32 s10, 0
	s_cbranch_execnz .LBB103_1714
.LBB103_1704:
	s_cmp_gt_i32 s0, 14
	s_cbranch_scc0 .LBB103_1707
; %bb.1705:
	s_cmp_eq_u32 s0, 15
	s_cbranch_scc0 .LBB103_1710
; %bb.1706:
	global_load_u16 v1, v[22:23], off
	s_mov_b32 s1, 0
	s_mov_b32 s11, -1
	s_wait_loadcnt 0x0
	v_lshlrev_b32_e32 v1, 16, v1
	s_branch .LBB103_1711
.LBB103_1707:
	s_mov_b32 s9, -1
                                        ; implicit-def: $vgpr1
	s_branch .LBB103_1712
.LBB103_1708:
	s_or_saveexec_b32 s10, s10
	v_mov_b32_e32 v1, 0x7f800001
	s_xor_b32 exec_lo, exec_lo, s10
	s_cbranch_execz .LBB103_1690
.LBB103_1709:
	v_cmp_ne_u16_e32 vcc_lo, 0, v3
	v_mov_b32_e32 v1, 0
	s_and_not1_b32 s9, s9, exec_lo
	s_and_b32 s11, vcc_lo, exec_lo
	s_delay_alu instid0(SALU_CYCLE_1)
	s_or_b32 s9, s9, s11
	s_or_b32 exec_lo, exec_lo, s10
	s_and_saveexec_b32 s10, s9
	s_cbranch_execnz .LBB103_1691
	s_branch .LBB103_1692
.LBB103_1710:
	s_mov_b32 s1, -1
                                        ; implicit-def: $vgpr1
.LBB103_1711:
	s_mov_b32 s9, 0
.LBB103_1712:
	s_delay_alu instid0(SALU_CYCLE_1)
	s_and_b32 vcc_lo, exec_lo, s9
	s_cbranch_vccz .LBB103_1714
; %bb.1713:
	s_cmp_lg_u32 s0, 11
	s_mov_b32 s10, -1
	s_cselect_b32 s1, -1, 0
.LBB103_1714:
	s_delay_alu instid0(SALU_CYCLE_1)
	s_and_b32 vcc_lo, exec_lo, s1
	s_mov_b32 s9, s3
	s_cbranch_vccnz .LBB103_1775
; %bb.1715:
	s_and_not1_b32 vcc_lo, exec_lo, s10
	s_cbranch_vccnz .LBB103_1717
.LBB103_1716:
	global_load_u8 v1, v[22:23], off
	s_mov_b32 s11, -1
	s_wait_loadcnt 0x0
	v_cmp_ne_u16_e32 vcc_lo, 0, v1
	v_cndmask_b32_e64 v1, 0, 1.0, vcc_lo
.LBB103_1717:
	s_branch .LBB103_1646
.LBB103_1718:
	s_and_b32 s0, 0xffff, s2
	s_delay_alu instid0(SALU_CYCLE_1)
	s_cmp_lt_i32 s0, 5
	s_cbranch_scc1 .LBB103_1723
; %bb.1719:
	s_cmp_lt_i32 s0, 8
	s_cbranch_scc1 .LBB103_1724
; %bb.1720:
	;; [unrolled: 3-line block ×3, first 2 shown]
	s_cmp_gt_i32 s0, 9
	s_cbranch_scc0 .LBB103_1726
; %bb.1722:
	global_load_b64 v[24:25], v[22:23], off
	s_mov_b32 s1, 0
	s_wait_loadcnt 0x0
	v_cvt_f32_f64_e32 v1, v[24:25]
	s_branch .LBB103_1727
.LBB103_1723:
                                        ; implicit-def: $vgpr1
	s_branch .LBB103_1744
.LBB103_1724:
                                        ; implicit-def: $vgpr1
	s_branch .LBB103_1733
.LBB103_1725:
	s_mov_b32 s1, -1
                                        ; implicit-def: $vgpr1
	s_branch .LBB103_1730
.LBB103_1726:
	s_mov_b32 s1, -1
                                        ; implicit-def: $vgpr1
.LBB103_1727:
	s_delay_alu instid0(SALU_CYCLE_1)
	s_and_not1_b32 vcc_lo, exec_lo, s1
	s_cbranch_vccnz .LBB103_1729
; %bb.1728:
	global_load_b32 v1, v[22:23], off
.LBB103_1729:
	s_mov_b32 s1, 0
.LBB103_1730:
	s_delay_alu instid0(SALU_CYCLE_1)
	s_and_not1_b32 vcc_lo, exec_lo, s1
	s_cbranch_vccnz .LBB103_1732
; %bb.1731:
	s_wait_loadcnt 0x0
	global_load_b32 v1, v[22:23], off
	s_wait_loadcnt 0x0
	v_cvt_f32_f16_e32 v1, v1
.LBB103_1732:
	s_cbranch_execnz .LBB103_1743
.LBB103_1733:
	s_cmp_lt_i32 s0, 6
	s_cbranch_scc1 .LBB103_1736
; %bb.1734:
	s_cmp_gt_i32 s0, 6
	s_cbranch_scc0 .LBB103_1737
; %bb.1735:
	global_load_b64 v[24:25], v[22:23], off
	s_mov_b32 s1, 0
	s_wait_loadcnt 0x0
	v_cvt_f32_f64_e32 v1, v[24:25]
	s_branch .LBB103_1738
.LBB103_1736:
	s_mov_b32 s1, -1
                                        ; implicit-def: $vgpr1
	s_branch .LBB103_1741
.LBB103_1737:
	s_mov_b32 s1, -1
                                        ; implicit-def: $vgpr1
.LBB103_1738:
	s_delay_alu instid0(SALU_CYCLE_1)
	s_and_not1_b32 vcc_lo, exec_lo, s1
	s_cbranch_vccnz .LBB103_1740
; %bb.1739:
	s_wait_loadcnt 0x0
	global_load_b32 v1, v[22:23], off
.LBB103_1740:
	s_mov_b32 s1, 0
.LBB103_1741:
	s_delay_alu instid0(SALU_CYCLE_1)
	s_and_not1_b32 vcc_lo, exec_lo, s1
	s_cbranch_vccnz .LBB103_1743
; %bb.1742:
	s_wait_loadcnt 0x0
	global_load_u16 v1, v[22:23], off
	s_wait_loadcnt 0x0
	v_cvt_f32_f16_e32 v1, v1
.LBB103_1743:
	s_cbranch_execnz .LBB103_1762
.LBB103_1744:
	s_cmp_lt_i32 s0, 2
	s_cbranch_scc1 .LBB103_1748
; %bb.1745:
	s_cmp_lt_i32 s0, 3
	s_cbranch_scc1 .LBB103_1749
; %bb.1746:
	s_cmp_gt_i32 s0, 3
	s_cbranch_scc0 .LBB103_1750
; %bb.1747:
	global_load_b64 v[24:25], v[22:23], off
	s_mov_b32 s1, 0
	s_wait_loadcnt 0x0
	v_xor_b32_e32 v1, v24, v25
	v_cls_i32_e32 v3, v25
	s_delay_alu instid0(VALU_DEP_2) | instskip(NEXT) | instid1(VALU_DEP_1)
	v_ashrrev_i32_e32 v1, 31, v1
	v_add_nc_u32_e32 v1, 32, v1
	s_delay_alu instid0(VALU_DEP_1) | instskip(NEXT) | instid1(VALU_DEP_1)
	v_add_min_u32_e64 v1, v3, -1, v1
	v_lshlrev_b64_e32 v[24:25], v1, v[24:25]
	v_sub_nc_u32_e32 v1, 32, v1
	s_delay_alu instid0(VALU_DEP_2) | instskip(NEXT) | instid1(VALU_DEP_1)
	v_min_u32_e32 v3, 1, v24
	v_or_b32_e32 v3, v25, v3
	s_delay_alu instid0(VALU_DEP_1) | instskip(NEXT) | instid1(VALU_DEP_1)
	v_cvt_f32_i32_e32 v3, v3
	v_ldexp_f32 v1, v3, v1
	s_branch .LBB103_1751
.LBB103_1748:
                                        ; implicit-def: $vgpr1
	s_branch .LBB103_1757
.LBB103_1749:
	s_mov_b32 s1, -1
                                        ; implicit-def: $vgpr1
	s_branch .LBB103_1754
.LBB103_1750:
	s_mov_b32 s1, -1
                                        ; implicit-def: $vgpr1
.LBB103_1751:
	s_delay_alu instid0(SALU_CYCLE_1)
	s_and_not1_b32 vcc_lo, exec_lo, s1
	s_cbranch_vccnz .LBB103_1753
; %bb.1752:
	s_wait_loadcnt 0x0
	global_load_b32 v1, v[22:23], off
	s_wait_loadcnt 0x0
	v_cvt_f32_i32_e32 v1, v1
.LBB103_1753:
	s_mov_b32 s1, 0
.LBB103_1754:
	s_delay_alu instid0(SALU_CYCLE_1)
	s_and_not1_b32 vcc_lo, exec_lo, s1
	s_cbranch_vccnz .LBB103_1756
; %bb.1755:
	s_wait_loadcnt 0x0
	global_load_i16 v1, v[22:23], off
	s_wait_loadcnt 0x0
	v_cvt_f32_i32_e32 v1, v1
.LBB103_1756:
	s_cbranch_execnz .LBB103_1762
.LBB103_1757:
	s_cmp_gt_i32 s0, 0
	s_mov_b32 s0, 0
	s_cbranch_scc0 .LBB103_1759
; %bb.1758:
	s_wait_loadcnt 0x0
	global_load_i8 v1, v[22:23], off
	s_wait_loadcnt 0x0
	v_cvt_f32_i32_e32 v1, v1
	s_branch .LBB103_1760
.LBB103_1759:
	s_mov_b32 s0, -1
                                        ; implicit-def: $vgpr1
.LBB103_1760:
	s_delay_alu instid0(SALU_CYCLE_1)
	s_and_not1_b32 vcc_lo, exec_lo, s0
	s_cbranch_vccnz .LBB103_1762
; %bb.1761:
	s_wait_loadcnt 0x0
	global_load_u8 v1, v[22:23], off
	s_wait_loadcnt 0x0
	v_cvt_f32_ubyte0_e32 v1, v1
.LBB103_1762:
.LBB103_1763:
	v_mov_b32_e32 v21, 0
	s_load_b64 s[0:1], s[20:21], 0x198
	global_load_u8 v3, v21, s[20:21] offset:422
	s_wait_kmcnt 0x0
	v_add_nc_u64_e32 v[20:21], s[0:1], v[20:21]
	s_wait_loadcnt 0x0
	v_and_b32_e32 v5, 0xffff, v3
	v_readfirstlane_b32 s10, v3
	s_delay_alu instid0(VALU_DEP_2)
	v_cmp_gt_i32_e32 vcc_lo, 11, v5
	s_cbranch_vccnz .LBB103_1770
; %bb.1764:
	s_and_b32 s11, 0xffff, s10
	s_mov_b32 s13, 0
	s_cmp_gt_i32 s11, 25
	s_cbranch_scc0 .LBB103_1772
; %bb.1765:
	s_cmp_gt_i32 s11, 28
	s_cbranch_scc0 .LBB103_1773
; %bb.1766:
	;; [unrolled: 3-line block ×4, first 2 shown]
	s_cmp_eq_u32 s11, 46
	s_mov_b32 s15, 0
	s_cbranch_scc0 .LBB103_1779
; %bb.1769:
	global_load_b32 v3, v[20:21], off
	s_mov_b32 s12, 0
	s_mov_b32 s14, -1
	s_wait_loadcnt 0x0
	v_lshlrev_b32_e32 v3, 16, v3
	s_branch .LBB103_1781
.LBB103_1770:
	s_mov_b32 s14, 0
                                        ; implicit-def: $vgpr3
	s_cbranch_execnz .LBB103_1846
.LBB103_1771:
	s_and_not1_b32 vcc_lo, exec_lo, s14
	s_cbranch_vccnz .LBB103_3112
	s_branch .LBB103_1893
.LBB103_1772:
	s_mov_b32 s14, 0
	s_mov_b32 s12, 0
                                        ; implicit-def: $vgpr3
	s_cbranch_execnz .LBB103_1810
	s_branch .LBB103_1842
.LBB103_1773:
	s_mov_b32 s15, -1
	s_mov_b32 s14, 0
	s_mov_b32 s12, 0
                                        ; implicit-def: $vgpr3
	s_branch .LBB103_1791
.LBB103_1774:
	s_mov_b32 s15, -1
	s_mov_b32 s14, 0
	s_mov_b32 s12, 0
                                        ; implicit-def: $vgpr3
	s_branch .LBB103_1786
.LBB103_1775:
	s_or_b32 s9, s3, exec_lo
	s_trap 2
	s_cbranch_execz .LBB103_1716
	s_branch .LBB103_1717
.LBB103_1776:
	s_mov_b32 s15, -1
	s_mov_b32 s14, 0
	s_mov_b32 s12, 0
	s_branch .LBB103_1780
.LBB103_1777:
	s_and_not1_saveexec_b32 s9, s9
	s_cbranch_execz .LBB103_1518
.LBB103_1778:
	v_add_f32_e32 v2, 0x42800000, v3
	s_and_not1_b32 s8, s8, exec_lo
	s_delay_alu instid0(VALU_DEP_1) | instskip(NEXT) | instid1(VALU_DEP_1)
	v_and_b32_e32 v2, 0xff, v2
	v_cmp_ne_u32_e32 vcc_lo, 0, v2
	s_and_b32 s11, vcc_lo, exec_lo
	s_delay_alu instid0(SALU_CYCLE_1)
	s_or_b32 s8, s8, s11
	s_or_b32 exec_lo, exec_lo, s9
	v_mov_b32_e32 v4, 0
	s_and_saveexec_b32 s9, s8
	s_cbranch_execnz .LBB103_1519
	s_branch .LBB103_1520
.LBB103_1779:
	s_mov_b32 s12, -1
	s_mov_b32 s14, 0
.LBB103_1780:
                                        ; implicit-def: $vgpr3
.LBB103_1781:
	s_and_b32 vcc_lo, exec_lo, s15
	s_cbranch_vccz .LBB103_1785
; %bb.1782:
	s_cmp_eq_u32 s11, 44
	s_cbranch_scc0 .LBB103_1784
; %bb.1783:
	global_load_u8 v3, v[20:21], off
	s_mov_b32 s12, 0
	s_mov_b32 s14, -1
	s_wait_loadcnt 0x0
	v_lshlrev_b32_e32 v5, 23, v3
	v_cmp_ne_u32_e32 vcc_lo, 0xff, v3
	s_delay_alu instid0(VALU_DEP_2) | instskip(SKIP_1) | instid1(VALU_DEP_2)
	v_cndmask_b32_e32 v5, 0x7f800001, v5, vcc_lo
	v_cmp_ne_u32_e32 vcc_lo, 0, v3
	v_cndmask_b32_e32 v3, 0x400000, v5, vcc_lo
	s_branch .LBB103_1785
.LBB103_1784:
	s_mov_b32 s12, -1
                                        ; implicit-def: $vgpr3
.LBB103_1785:
	s_mov_b32 s15, 0
.LBB103_1786:
	s_delay_alu instid0(SALU_CYCLE_1)
	s_and_b32 vcc_lo, exec_lo, s15
	s_cbranch_vccz .LBB103_1790
; %bb.1787:
	s_cmp_eq_u32 s11, 29
	s_cbranch_scc0 .LBB103_1789
; %bb.1788:
	global_load_b64 v[22:23], v[20:21], off
	s_mov_b32 s12, 0
	s_mov_b32 s14, -1
	s_mov_b32 s15, 0
	s_wait_loadcnt 0x0
	v_clz_i32_u32_e32 v3, v23
	s_delay_alu instid0(VALU_DEP_1) | instskip(NEXT) | instid1(VALU_DEP_1)
	v_min_u32_e32 v3, 32, v3
	v_lshlrev_b64_e32 v[22:23], v3, v[22:23]
	v_sub_nc_u32_e32 v3, 32, v3
	s_delay_alu instid0(VALU_DEP_2) | instskip(NEXT) | instid1(VALU_DEP_1)
	v_min_u32_e32 v5, 1, v22
	v_or_b32_e32 v5, v23, v5
	s_delay_alu instid0(VALU_DEP_1) | instskip(NEXT) | instid1(VALU_DEP_1)
	v_cvt_f32_u32_e32 v5, v5
	v_ldexp_f32 v3, v5, v3
	s_branch .LBB103_1791
.LBB103_1789:
	s_mov_b32 s12, -1
                                        ; implicit-def: $vgpr3
.LBB103_1790:
	s_mov_b32 s15, 0
.LBB103_1791:
	s_delay_alu instid0(SALU_CYCLE_1)
	s_and_b32 vcc_lo, exec_lo, s15
	s_cbranch_vccz .LBB103_1809
; %bb.1792:
	s_cmp_lt_i32 s11, 27
	s_cbranch_scc1 .LBB103_1795
; %bb.1793:
	s_cmp_gt_i32 s11, 27
	s_cbranch_scc0 .LBB103_1796
; %bb.1794:
	global_load_b32 v3, v[20:21], off
	s_mov_b32 s14, 0
	s_wait_loadcnt 0x0
	v_cvt_f32_u32_e32 v3, v3
	s_branch .LBB103_1797
.LBB103_1795:
	s_mov_b32 s14, -1
                                        ; implicit-def: $vgpr3
	s_branch .LBB103_1800
.LBB103_1796:
	s_mov_b32 s14, -1
                                        ; implicit-def: $vgpr3
.LBB103_1797:
	s_delay_alu instid0(SALU_CYCLE_1)
	s_and_not1_b32 vcc_lo, exec_lo, s14
	s_cbranch_vccnz .LBB103_1799
; %bb.1798:
	global_load_u16 v3, v[20:21], off
	s_wait_loadcnt 0x0
	v_cvt_f32_u32_e32 v3, v3
.LBB103_1799:
	s_mov_b32 s14, 0
.LBB103_1800:
	s_delay_alu instid0(SALU_CYCLE_1)
	s_and_not1_b32 vcc_lo, exec_lo, s14
	s_cbranch_vccnz .LBB103_1808
; %bb.1801:
	global_load_u8 v5, v[20:21], off
	s_mov_b32 s14, 0
	s_mov_b32 s15, exec_lo
	s_wait_loadcnt 0x0
	v_cmpx_lt_i16_e32 0x7f, v5
	s_xor_b32 s15, exec_lo, s15
	s_cbranch_execz .LBB103_1821
; %bb.1802:
	s_mov_b32 s14, -1
	s_mov_b32 s16, exec_lo
	v_cmpx_eq_u16_e32 0x80, v5
; %bb.1803:
	s_xor_b32 s14, exec_lo, -1
; %bb.1804:
	s_or_b32 exec_lo, exec_lo, s16
	s_delay_alu instid0(SALU_CYCLE_1)
	s_and_b32 s14, s14, exec_lo
	s_or_saveexec_b32 s15, s15
	v_mov_b32_e32 v3, 0x7f800001
	s_xor_b32 exec_lo, exec_lo, s15
	s_cbranch_execnz .LBB103_1822
.LBB103_1805:
	s_or_b32 exec_lo, exec_lo, s15
	s_and_saveexec_b32 s15, s14
	s_cbranch_execz .LBB103_1807
.LBB103_1806:
	v_and_b32_e32 v3, 0xffff, v5
	s_delay_alu instid0(VALU_DEP_1) | instskip(SKIP_1) | instid1(VALU_DEP_2)
	v_and_b32_e32 v7, 7, v3
	v_bfe_u32 v13, v3, 3, 4
	v_clz_i32_u32_e32 v9, v7
	s_delay_alu instid0(VALU_DEP_2) | instskip(NEXT) | instid1(VALU_DEP_2)
	v_cmp_eq_u32_e32 vcc_lo, 0, v13
	v_min_u32_e32 v9, 32, v9
	s_delay_alu instid0(VALU_DEP_1) | instskip(NEXT) | instid1(VALU_DEP_1)
	v_subrev_nc_u32_e32 v11, 28, v9
	v_dual_lshlrev_b32 v3, v11, v3 :: v_dual_sub_nc_u32 v9, 29, v9
	s_delay_alu instid0(VALU_DEP_1) | instskip(NEXT) | instid1(VALU_DEP_1)
	v_dual_lshlrev_b32 v5, 24, v5 :: v_dual_bitop2_b32 v3, 7, v3 bitop3:0x40
	v_dual_cndmask_b32 v3, v7, v3, vcc_lo :: v_dual_cndmask_b32 v9, v13, v9, vcc_lo
	s_delay_alu instid0(VALU_DEP_2) | instskip(NEXT) | instid1(VALU_DEP_2)
	v_and_b32_e32 v5, 0x80000000, v5
	v_lshlrev_b32_e32 v3, 20, v3
	s_delay_alu instid0(VALU_DEP_3) | instskip(NEXT) | instid1(VALU_DEP_1)
	v_lshl_add_u32 v7, v9, 23, 0x3b800000
	v_or3_b32 v3, v5, v7, v3
.LBB103_1807:
	s_or_b32 exec_lo, exec_lo, s15
.LBB103_1808:
	s_mov_b32 s14, -1
.LBB103_1809:
	s_branch .LBB103_1842
.LBB103_1810:
	s_cmp_gt_i32 s11, 22
	s_cbranch_scc0 .LBB103_1820
; %bb.1811:
	s_cmp_lt_i32 s11, 24
	s_cbranch_scc1 .LBB103_1823
; %bb.1812:
	s_cmp_gt_i32 s11, 24
	s_cbranch_scc0 .LBB103_1824
; %bb.1813:
	global_load_u8 v5, v[20:21], off
	s_mov_b32 s14, exec_lo
	s_wait_loadcnt 0x0
	v_cmpx_lt_i16_e32 0x7f, v5
	s_xor_b32 s14, exec_lo, s14
	s_cbranch_execz .LBB103_1836
; %bb.1814:
	s_mov_b32 s13, -1
	s_mov_b32 s15, exec_lo
	v_cmpx_eq_u16_e32 0x80, v5
; %bb.1815:
	s_xor_b32 s13, exec_lo, -1
; %bb.1816:
	s_or_b32 exec_lo, exec_lo, s15
	s_delay_alu instid0(SALU_CYCLE_1)
	s_and_b32 s13, s13, exec_lo
	s_or_saveexec_b32 s14, s14
	v_mov_b32_e32 v3, 0x7f800001
	s_xor_b32 exec_lo, exec_lo, s14
	s_cbranch_execnz .LBB103_1837
.LBB103_1817:
	s_or_b32 exec_lo, exec_lo, s14
	s_and_saveexec_b32 s14, s13
	s_cbranch_execz .LBB103_1819
.LBB103_1818:
	v_and_b32_e32 v3, 0xffff, v5
	s_delay_alu instid0(VALU_DEP_1) | instskip(SKIP_1) | instid1(VALU_DEP_2)
	v_and_b32_e32 v7, 3, v3
	v_bfe_u32 v13, v3, 2, 5
	v_clz_i32_u32_e32 v9, v7
	s_delay_alu instid0(VALU_DEP_2) | instskip(NEXT) | instid1(VALU_DEP_2)
	v_cmp_eq_u32_e32 vcc_lo, 0, v13
	v_min_u32_e32 v9, 32, v9
	s_delay_alu instid0(VALU_DEP_1) | instskip(NEXT) | instid1(VALU_DEP_1)
	v_subrev_nc_u32_e32 v11, 29, v9
	v_dual_lshlrev_b32 v3, v11, v3 :: v_dual_sub_nc_u32 v9, 30, v9
	s_delay_alu instid0(VALU_DEP_1) | instskip(NEXT) | instid1(VALU_DEP_1)
	v_dual_lshlrev_b32 v5, 24, v5 :: v_dual_bitop2_b32 v3, 3, v3 bitop3:0x40
	v_dual_cndmask_b32 v3, v7, v3, vcc_lo :: v_dual_cndmask_b32 v9, v13, v9, vcc_lo
	s_delay_alu instid0(VALU_DEP_2) | instskip(NEXT) | instid1(VALU_DEP_2)
	v_and_b32_e32 v5, 0x80000000, v5
	v_lshlrev_b32_e32 v3, 21, v3
	s_delay_alu instid0(VALU_DEP_3) | instskip(NEXT) | instid1(VALU_DEP_1)
	v_lshl_add_u32 v7, v9, 23, 0x37800000
	v_or3_b32 v3, v5, v7, v3
.LBB103_1819:
	s_or_b32 exec_lo, exec_lo, s14
	s_mov_b32 s13, 0
	s_branch .LBB103_1825
.LBB103_1820:
	s_mov_b32 s13, -1
                                        ; implicit-def: $vgpr3
	s_branch .LBB103_1831
.LBB103_1821:
	s_or_saveexec_b32 s15, s15
	v_mov_b32_e32 v3, 0x7f800001
	s_xor_b32 exec_lo, exec_lo, s15
	s_cbranch_execz .LBB103_1805
.LBB103_1822:
	v_cmp_ne_u16_e32 vcc_lo, 0, v5
	v_mov_b32_e32 v3, 0
	s_and_not1_b32 s14, s14, exec_lo
	s_and_b32 s16, vcc_lo, exec_lo
	s_delay_alu instid0(SALU_CYCLE_1)
	s_or_b32 s14, s14, s16
	s_or_b32 exec_lo, exec_lo, s15
	s_and_saveexec_b32 s15, s14
	s_cbranch_execnz .LBB103_1806
	s_branch .LBB103_1807
.LBB103_1823:
	s_mov_b32 s13, -1
                                        ; implicit-def: $vgpr3
	s_branch .LBB103_1828
.LBB103_1824:
	s_mov_b32 s13, -1
                                        ; implicit-def: $vgpr3
.LBB103_1825:
	s_delay_alu instid0(SALU_CYCLE_1)
	s_and_b32 vcc_lo, exec_lo, s13
	s_cbranch_vccz .LBB103_1827
; %bb.1826:
	global_load_u8 v3, v[20:21], off
	s_wait_loadcnt 0x0
	v_lshlrev_b32_e32 v3, 24, v3
	s_delay_alu instid0(VALU_DEP_1) | instskip(NEXT) | instid1(VALU_DEP_1)
	v_and_b32_e32 v5, 0x7f000000, v3
	v_clz_i32_u32_e32 v7, v5
	v_add_nc_u32_e32 v11, 0x1000000, v5
	v_cmp_ne_u32_e32 vcc_lo, 0, v5
	s_delay_alu instid0(VALU_DEP_3) | instskip(NEXT) | instid1(VALU_DEP_1)
	v_min_u32_e32 v7, 32, v7
	v_sub_nc_u32_e64 v7, v7, 4 clamp
	s_delay_alu instid0(VALU_DEP_1) | instskip(NEXT) | instid1(VALU_DEP_1)
	v_dual_lshlrev_b32 v9, v7, v5 :: v_dual_lshlrev_b32 v7, 23, v7
	v_lshrrev_b32_e32 v9, 4, v9
	s_delay_alu instid0(VALU_DEP_1) | instskip(SKIP_1) | instid1(VALU_DEP_2)
	v_sub_nc_u32_e32 v7, v9, v7
	v_ashrrev_i32_e32 v9, 8, v11
	v_add_nc_u32_e32 v7, 0x3c000000, v7
	s_delay_alu instid0(VALU_DEP_1) | instskip(NEXT) | instid1(VALU_DEP_1)
	v_and_or_b32 v7, 0x7f800000, v9, v7
	v_cndmask_b32_e32 v5, 0, v7, vcc_lo
	s_delay_alu instid0(VALU_DEP_1)
	v_and_or_b32 v3, 0x80000000, v3, v5
.LBB103_1827:
	s_mov_b32 s13, 0
.LBB103_1828:
	s_delay_alu instid0(SALU_CYCLE_1)
	s_and_not1_b32 vcc_lo, exec_lo, s13
	s_cbranch_vccnz .LBB103_1830
; %bb.1829:
	global_load_u8 v3, v[20:21], off
	s_wait_loadcnt 0x0
	v_lshlrev_b32_e32 v5, 25, v3
	v_lshlrev_b16 v3, 8, v3
	s_delay_alu instid0(VALU_DEP_1) | instskip(SKIP_1) | instid1(VALU_DEP_2)
	v_and_or_b32 v9, 0x7f00, v3, 0.5
	v_bfe_i32 v3, v3, 0, 16
	v_add_f32_e32 v9, -0.5, v9
	v_lshrrev_b32_e32 v7, 4, v5
	v_cmp_gt_u32_e32 vcc_lo, 0x8000000, v5
	s_delay_alu instid0(VALU_DEP_2) | instskip(NEXT) | instid1(VALU_DEP_1)
	v_or_b32_e32 v7, 0x70000000, v7
	v_mul_f32_e32 v7, 0x7800000, v7
	s_delay_alu instid0(VALU_DEP_1) | instskip(NEXT) | instid1(VALU_DEP_1)
	v_cndmask_b32_e32 v5, v7, v9, vcc_lo
	v_and_or_b32 v3, 0x80000000, v3, v5
.LBB103_1830:
	s_mov_b32 s13, 0
	s_mov_b32 s14, -1
.LBB103_1831:
	s_and_not1_b32 vcc_lo, exec_lo, s13
	s_mov_b32 s13, 0
	s_cbranch_vccnz .LBB103_1842
; %bb.1832:
	s_cmp_gt_i32 s11, 14
	s_cbranch_scc0 .LBB103_1835
; %bb.1833:
	s_cmp_eq_u32 s11, 15
	s_cbranch_scc0 .LBB103_1838
; %bb.1834:
	global_load_u16 v3, v[20:21], off
	s_mov_b32 s12, 0
	s_mov_b32 s14, -1
	s_wait_loadcnt 0x0
	v_lshlrev_b32_e32 v3, 16, v3
	s_branch .LBB103_1840
.LBB103_1835:
	s_mov_b32 s13, -1
	s_branch .LBB103_1839
.LBB103_1836:
	s_or_saveexec_b32 s14, s14
	v_mov_b32_e32 v3, 0x7f800001
	s_xor_b32 exec_lo, exec_lo, s14
	s_cbranch_execz .LBB103_1817
.LBB103_1837:
	v_cmp_ne_u16_e32 vcc_lo, 0, v5
	v_mov_b32_e32 v3, 0
	s_and_not1_b32 s13, s13, exec_lo
	s_and_b32 s15, vcc_lo, exec_lo
	s_delay_alu instid0(SALU_CYCLE_1)
	s_or_b32 s13, s13, s15
	s_or_b32 exec_lo, exec_lo, s14
	s_and_saveexec_b32 s14, s13
	s_cbranch_execnz .LBB103_1818
	s_branch .LBB103_1819
.LBB103_1838:
	s_mov_b32 s12, -1
.LBB103_1839:
                                        ; implicit-def: $vgpr3
.LBB103_1840:
	s_and_b32 vcc_lo, exec_lo, s13
	s_mov_b32 s13, 0
	s_cbranch_vccz .LBB103_1842
; %bb.1841:
	s_cmp_lg_u32 s11, 11
	s_mov_b32 s13, -1
	s_cselect_b32 s12, -1, 0
.LBB103_1842:
	s_delay_alu instid0(SALU_CYCLE_1)
	s_and_b32 vcc_lo, exec_lo, s12
	s_cbranch_vccnz .LBB103_1905
; %bb.1843:
	s_and_not1_b32 vcc_lo, exec_lo, s13
	s_cbranch_vccnz .LBB103_1845
.LBB103_1844:
	global_load_u8 v3, v[20:21], off
	s_mov_b32 s14, -1
	s_wait_loadcnt 0x0
	v_cmp_ne_u16_e32 vcc_lo, 0, v3
	v_cndmask_b32_e64 v3, 0, 1.0, vcc_lo
.LBB103_1845:
	s_branch .LBB103_1771
.LBB103_1846:
	s_and_b32 s11, 0xffff, s10
	s_delay_alu instid0(SALU_CYCLE_1)
	s_cmp_lt_i32 s11, 5
	s_cbranch_scc1 .LBB103_1851
; %bb.1847:
	s_cmp_lt_i32 s11, 8
	s_cbranch_scc1 .LBB103_1852
; %bb.1848:
	;; [unrolled: 3-line block ×3, first 2 shown]
	s_cmp_gt_i32 s11, 9
	s_cbranch_scc0 .LBB103_1854
; %bb.1850:
	global_load_b64 v[22:23], v[20:21], off
	s_mov_b32 s12, 0
	s_wait_loadcnt 0x0
	v_cvt_f32_f64_e32 v3, v[22:23]
	s_branch .LBB103_1855
.LBB103_1851:
                                        ; implicit-def: $vgpr3
	s_branch .LBB103_1873
.LBB103_1852:
	s_mov_b32 s12, -1
                                        ; implicit-def: $vgpr3
	s_branch .LBB103_1861
.LBB103_1853:
	s_mov_b32 s12, -1
                                        ; implicit-def: $vgpr3
	s_branch .LBB103_1858
.LBB103_1854:
	s_mov_b32 s12, -1
                                        ; implicit-def: $vgpr3
.LBB103_1855:
	s_delay_alu instid0(SALU_CYCLE_1)
	s_and_not1_b32 vcc_lo, exec_lo, s12
	s_cbranch_vccnz .LBB103_1857
; %bb.1856:
	global_load_b32 v3, v[20:21], off
.LBB103_1857:
	s_mov_b32 s12, 0
.LBB103_1858:
	s_delay_alu instid0(SALU_CYCLE_1)
	s_and_not1_b32 vcc_lo, exec_lo, s12
	s_cbranch_vccnz .LBB103_1860
; %bb.1859:
	s_wait_loadcnt 0x0
	global_load_b32 v3, v[20:21], off
	s_wait_loadcnt 0x0
	v_cvt_f32_f16_e32 v3, v3
.LBB103_1860:
	s_mov_b32 s12, 0
.LBB103_1861:
	s_delay_alu instid0(SALU_CYCLE_1)
	s_and_not1_b32 vcc_lo, exec_lo, s12
	s_cbranch_vccnz .LBB103_1872
; %bb.1862:
	s_cmp_lt_i32 s11, 6
	s_cbranch_scc1 .LBB103_1865
; %bb.1863:
	s_cmp_gt_i32 s11, 6
	s_cbranch_scc0 .LBB103_1866
; %bb.1864:
	global_load_b64 v[22:23], v[20:21], off
	s_mov_b32 s12, 0
	s_wait_loadcnt 0x0
	v_cvt_f32_f64_e32 v3, v[22:23]
	s_branch .LBB103_1867
.LBB103_1865:
	s_mov_b32 s12, -1
                                        ; implicit-def: $vgpr3
	s_branch .LBB103_1870
.LBB103_1866:
	s_mov_b32 s12, -1
                                        ; implicit-def: $vgpr3
.LBB103_1867:
	s_delay_alu instid0(SALU_CYCLE_1)
	s_and_not1_b32 vcc_lo, exec_lo, s12
	s_cbranch_vccnz .LBB103_1869
; %bb.1868:
	s_wait_loadcnt 0x0
	global_load_b32 v3, v[20:21], off
.LBB103_1869:
	s_mov_b32 s12, 0
.LBB103_1870:
	s_delay_alu instid0(SALU_CYCLE_1)
	s_and_not1_b32 vcc_lo, exec_lo, s12
	s_cbranch_vccnz .LBB103_1872
; %bb.1871:
	s_wait_loadcnt 0x0
	global_load_u16 v3, v[20:21], off
	s_wait_loadcnt 0x0
	v_cvt_f32_f16_e32 v3, v3
.LBB103_1872:
	s_cbranch_execnz .LBB103_1892
.LBB103_1873:
	s_cmp_lt_i32 s11, 2
	s_cbranch_scc1 .LBB103_1877
; %bb.1874:
	s_cmp_lt_i32 s11, 3
	s_cbranch_scc1 .LBB103_1878
; %bb.1875:
	s_cmp_gt_i32 s11, 3
	s_cbranch_scc0 .LBB103_1879
; %bb.1876:
	global_load_b64 v[22:23], v[20:21], off
	s_mov_b32 s12, 0
	s_wait_loadcnt 0x0
	v_xor_b32_e32 v3, v22, v23
	v_cls_i32_e32 v5, v23
	s_delay_alu instid0(VALU_DEP_2) | instskip(NEXT) | instid1(VALU_DEP_1)
	v_ashrrev_i32_e32 v3, 31, v3
	v_add_nc_u32_e32 v3, 32, v3
	s_delay_alu instid0(VALU_DEP_1) | instskip(NEXT) | instid1(VALU_DEP_1)
	v_add_min_u32_e64 v3, v5, -1, v3
	v_lshlrev_b64_e32 v[22:23], v3, v[22:23]
	v_sub_nc_u32_e32 v3, 32, v3
	s_delay_alu instid0(VALU_DEP_2) | instskip(NEXT) | instid1(VALU_DEP_1)
	v_min_u32_e32 v5, 1, v22
	v_or_b32_e32 v5, v23, v5
	s_delay_alu instid0(VALU_DEP_1) | instskip(NEXT) | instid1(VALU_DEP_1)
	v_cvt_f32_i32_e32 v5, v5
	v_ldexp_f32 v3, v5, v3
	s_branch .LBB103_1880
.LBB103_1877:
	s_mov_b32 s12, -1
                                        ; implicit-def: $vgpr3
	s_branch .LBB103_1886
.LBB103_1878:
	s_mov_b32 s12, -1
                                        ; implicit-def: $vgpr3
	s_branch .LBB103_1883
.LBB103_1879:
	s_mov_b32 s12, -1
                                        ; implicit-def: $vgpr3
.LBB103_1880:
	s_delay_alu instid0(SALU_CYCLE_1)
	s_and_not1_b32 vcc_lo, exec_lo, s12
	s_cbranch_vccnz .LBB103_1882
; %bb.1881:
	s_wait_loadcnt 0x0
	global_load_b32 v3, v[20:21], off
	s_wait_loadcnt 0x0
	v_cvt_f32_i32_e32 v3, v3
.LBB103_1882:
	s_mov_b32 s12, 0
.LBB103_1883:
	s_delay_alu instid0(SALU_CYCLE_1)
	s_and_not1_b32 vcc_lo, exec_lo, s12
	s_cbranch_vccnz .LBB103_1885
; %bb.1884:
	s_wait_loadcnt 0x0
	global_load_i16 v3, v[20:21], off
	s_wait_loadcnt 0x0
	v_cvt_f32_i32_e32 v3, v3
.LBB103_1885:
	s_mov_b32 s12, 0
.LBB103_1886:
	s_delay_alu instid0(SALU_CYCLE_1)
	s_and_not1_b32 vcc_lo, exec_lo, s12
	s_cbranch_vccnz .LBB103_1892
; %bb.1887:
	s_cmp_gt_i32 s11, 0
	s_mov_b32 s11, 0
	s_cbranch_scc0 .LBB103_1889
; %bb.1888:
	s_wait_loadcnt 0x0
	global_load_i8 v3, v[20:21], off
	s_wait_loadcnt 0x0
	v_cvt_f32_i32_e32 v3, v3
	s_branch .LBB103_1890
.LBB103_1889:
	s_mov_b32 s11, -1
                                        ; implicit-def: $vgpr3
.LBB103_1890:
	s_delay_alu instid0(SALU_CYCLE_1)
	s_and_not1_b32 vcc_lo, exec_lo, s11
	s_cbranch_vccnz .LBB103_1892
; %bb.1891:
	s_wait_loadcnt 0x0
	global_load_u8 v3, v[20:21], off
	s_wait_loadcnt 0x0
	v_cvt_f32_ubyte0_e32 v3, v3
.LBB103_1892:
.LBB103_1893:
	v_mov_b32_e32 v19, 0
	s_and_b32 s2, 0xffff, s2
	s_delay_alu instid0(SALU_CYCLE_1) | instskip(NEXT) | instid1(VALU_DEP_1)
	s_cmp_lt_i32 s2, 11
	v_add_nc_u64_e32 v[18:19], s[6:7], v[18:19]
	s_cbranch_scc1 .LBB103_1900
; %bb.1894:
	s_cmp_gt_i32 s2, 25
	s_mov_b32 s12, 0
	s_cbranch_scc0 .LBB103_1902
; %bb.1895:
	s_cmp_gt_i32 s2, 28
	s_cbranch_scc0 .LBB103_1903
; %bb.1896:
	s_cmp_gt_i32 s2, 43
	;; [unrolled: 3-line block ×3, first 2 shown]
	s_cbranch_scc0 .LBB103_1906
; %bb.1898:
	s_cmp_eq_u32 s2, 46
	s_mov_b32 s14, 0
	s_cbranch_scc0 .LBB103_1907
; %bb.1899:
	global_load_b32 v5, v[18:19], off
	s_mov_b32 s11, 0
	s_mov_b32 s13, -1
	s_wait_loadcnt 0x0
	v_lshlrev_b32_e32 v5, 16, v5
	s_branch .LBB103_1909
.LBB103_1900:
	s_mov_b32 s13, 0
                                        ; implicit-def: $vgpr5
	s_cbranch_execnz .LBB103_1975
.LBB103_1901:
	s_and_not1_b32 vcc_lo, exec_lo, s13
	s_cbranch_vccnz .LBB103_3112
	s_branch .LBB103_2023
.LBB103_1902:
	s_mov_b32 s14, -1
	s_mov_b32 s13, 0
	s_mov_b32 s11, 0
                                        ; implicit-def: $vgpr5
	s_branch .LBB103_1938
.LBB103_1903:
	s_mov_b32 s14, -1
	s_mov_b32 s13, 0
	s_mov_b32 s11, 0
                                        ; implicit-def: $vgpr5
	s_branch .LBB103_1919
.LBB103_1904:
	s_mov_b32 s14, -1
	s_mov_b32 s13, 0
	s_mov_b32 s11, 0
                                        ; implicit-def: $vgpr5
	s_branch .LBB103_1914
.LBB103_1905:
	s_or_b32 s9, s9, exec_lo
	s_trap 2
	s_cbranch_execz .LBB103_1844
	s_branch .LBB103_1845
.LBB103_1906:
	s_mov_b32 s14, -1
	s_mov_b32 s13, 0
	s_mov_b32 s11, 0
	s_branch .LBB103_1908
.LBB103_1907:
	s_mov_b32 s11, -1
	s_mov_b32 s13, 0
.LBB103_1908:
                                        ; implicit-def: $vgpr5
.LBB103_1909:
	s_and_b32 vcc_lo, exec_lo, s14
	s_cbranch_vccz .LBB103_1913
; %bb.1910:
	s_cmp_eq_u32 s2, 44
	s_cbranch_scc0 .LBB103_1912
; %bb.1911:
	global_load_u8 v5, v[18:19], off
	s_mov_b32 s11, 0
	s_mov_b32 s13, -1
	s_wait_loadcnt 0x0
	v_lshlrev_b32_e32 v7, 23, v5
	v_cmp_ne_u32_e32 vcc_lo, 0xff, v5
	s_delay_alu instid0(VALU_DEP_2) | instskip(SKIP_1) | instid1(VALU_DEP_2)
	v_cndmask_b32_e32 v7, 0x7f800001, v7, vcc_lo
	v_cmp_ne_u32_e32 vcc_lo, 0, v5
	v_cndmask_b32_e32 v5, 0x400000, v7, vcc_lo
	s_branch .LBB103_1913
.LBB103_1912:
	s_mov_b32 s11, -1
                                        ; implicit-def: $vgpr5
.LBB103_1913:
	s_mov_b32 s14, 0
.LBB103_1914:
	s_delay_alu instid0(SALU_CYCLE_1)
	s_and_b32 vcc_lo, exec_lo, s14
	s_cbranch_vccz .LBB103_1918
; %bb.1915:
	s_cmp_eq_u32 s2, 29
	s_cbranch_scc0 .LBB103_1917
; %bb.1916:
	global_load_b64 v[20:21], v[18:19], off
	s_mov_b32 s11, 0
	s_mov_b32 s13, -1
	s_mov_b32 s14, 0
	s_wait_loadcnt 0x0
	v_clz_i32_u32_e32 v5, v21
	s_delay_alu instid0(VALU_DEP_1) | instskip(NEXT) | instid1(VALU_DEP_1)
	v_min_u32_e32 v5, 32, v5
	v_lshlrev_b64_e32 v[20:21], v5, v[20:21]
	v_sub_nc_u32_e32 v5, 32, v5
	s_delay_alu instid0(VALU_DEP_2) | instskip(NEXT) | instid1(VALU_DEP_1)
	v_min_u32_e32 v7, 1, v20
	v_or_b32_e32 v7, v21, v7
	s_delay_alu instid0(VALU_DEP_1) | instskip(NEXT) | instid1(VALU_DEP_1)
	v_cvt_f32_u32_e32 v7, v7
	v_ldexp_f32 v5, v7, v5
	s_branch .LBB103_1919
.LBB103_1917:
	s_mov_b32 s11, -1
                                        ; implicit-def: $vgpr5
.LBB103_1918:
	s_mov_b32 s14, 0
.LBB103_1919:
	s_delay_alu instid0(SALU_CYCLE_1)
	s_and_b32 vcc_lo, exec_lo, s14
	s_cbranch_vccz .LBB103_1937
; %bb.1920:
	s_cmp_lt_i32 s2, 27
	s_cbranch_scc1 .LBB103_1923
; %bb.1921:
	s_cmp_gt_i32 s2, 27
	s_cbranch_scc0 .LBB103_1924
; %bb.1922:
	global_load_b32 v5, v[18:19], off
	s_mov_b32 s13, 0
	s_wait_loadcnt 0x0
	v_cvt_f32_u32_e32 v5, v5
	s_branch .LBB103_1925
.LBB103_1923:
	s_mov_b32 s13, -1
                                        ; implicit-def: $vgpr5
	s_branch .LBB103_1928
.LBB103_1924:
	s_mov_b32 s13, -1
                                        ; implicit-def: $vgpr5
.LBB103_1925:
	s_delay_alu instid0(SALU_CYCLE_1)
	s_and_not1_b32 vcc_lo, exec_lo, s13
	s_cbranch_vccnz .LBB103_1927
; %bb.1926:
	global_load_u16 v5, v[18:19], off
	s_wait_loadcnt 0x0
	v_cvt_f32_u32_e32 v5, v5
.LBB103_1927:
	s_mov_b32 s13, 0
.LBB103_1928:
	s_delay_alu instid0(SALU_CYCLE_1)
	s_and_not1_b32 vcc_lo, exec_lo, s13
	s_cbranch_vccnz .LBB103_1936
; %bb.1929:
	global_load_u8 v7, v[18:19], off
	s_mov_b32 s13, 0
	s_mov_b32 s14, exec_lo
	s_wait_loadcnt 0x0
	v_cmpx_lt_i16_e32 0x7f, v7
	s_xor_b32 s14, exec_lo, s14
	s_cbranch_execz .LBB103_1950
; %bb.1930:
	s_mov_b32 s13, -1
	s_mov_b32 s15, exec_lo
	v_cmpx_eq_u16_e32 0x80, v7
; %bb.1931:
	s_xor_b32 s13, exec_lo, -1
; %bb.1932:
	s_or_b32 exec_lo, exec_lo, s15
	s_delay_alu instid0(SALU_CYCLE_1)
	s_and_b32 s13, s13, exec_lo
	s_or_saveexec_b32 s14, s14
	v_mov_b32_e32 v5, 0x7f800001
	s_xor_b32 exec_lo, exec_lo, s14
	s_cbranch_execnz .LBB103_1951
.LBB103_1933:
	s_or_b32 exec_lo, exec_lo, s14
	s_and_saveexec_b32 s14, s13
	s_cbranch_execz .LBB103_1935
.LBB103_1934:
	v_and_b32_e32 v5, 0xffff, v7
	s_delay_alu instid0(VALU_DEP_1) | instskip(SKIP_1) | instid1(VALU_DEP_2)
	v_and_b32_e32 v9, 7, v5
	v_bfe_u32 v15, v5, 3, 4
	v_clz_i32_u32_e32 v11, v9
	s_delay_alu instid0(VALU_DEP_2) | instskip(NEXT) | instid1(VALU_DEP_2)
	v_cmp_eq_u32_e32 vcc_lo, 0, v15
	v_min_u32_e32 v11, 32, v11
	s_delay_alu instid0(VALU_DEP_1) | instskip(NEXT) | instid1(VALU_DEP_1)
	v_subrev_nc_u32_e32 v13, 28, v11
	v_dual_lshlrev_b32 v5, v13, v5 :: v_dual_sub_nc_u32 v11, 29, v11
	s_delay_alu instid0(VALU_DEP_1) | instskip(NEXT) | instid1(VALU_DEP_1)
	v_dual_lshlrev_b32 v7, 24, v7 :: v_dual_bitop2_b32 v5, 7, v5 bitop3:0x40
	v_dual_cndmask_b32 v5, v9, v5, vcc_lo :: v_dual_cndmask_b32 v11, v15, v11, vcc_lo
	s_delay_alu instid0(VALU_DEP_2) | instskip(NEXT) | instid1(VALU_DEP_2)
	v_and_b32_e32 v7, 0x80000000, v7
	v_lshlrev_b32_e32 v5, 20, v5
	s_delay_alu instid0(VALU_DEP_3) | instskip(NEXT) | instid1(VALU_DEP_1)
	v_lshl_add_u32 v9, v11, 23, 0x3b800000
	v_or3_b32 v5, v7, v9, v5
.LBB103_1935:
	s_or_b32 exec_lo, exec_lo, s14
.LBB103_1936:
	s_mov_b32 s13, -1
.LBB103_1937:
	s_mov_b32 s14, 0
.LBB103_1938:
	s_delay_alu instid0(SALU_CYCLE_1)
	s_and_b32 vcc_lo, exec_lo, s14
	s_cbranch_vccz .LBB103_1971
; %bb.1939:
	s_cmp_gt_i32 s2, 22
	s_cbranch_scc0 .LBB103_1949
; %bb.1940:
	s_cmp_lt_i32 s2, 24
	s_cbranch_scc1 .LBB103_1952
; %bb.1941:
	s_cmp_gt_i32 s2, 24
	s_cbranch_scc0 .LBB103_1953
; %bb.1942:
	global_load_u8 v7, v[18:19], off
	s_mov_b32 s13, exec_lo
	s_wait_loadcnt 0x0
	v_cmpx_lt_i16_e32 0x7f, v7
	s_xor_b32 s13, exec_lo, s13
	s_cbranch_execz .LBB103_1965
; %bb.1943:
	s_mov_b32 s12, -1
	s_mov_b32 s14, exec_lo
	v_cmpx_eq_u16_e32 0x80, v7
; %bb.1944:
	s_xor_b32 s12, exec_lo, -1
; %bb.1945:
	s_or_b32 exec_lo, exec_lo, s14
	s_delay_alu instid0(SALU_CYCLE_1)
	s_and_b32 s12, s12, exec_lo
	s_or_saveexec_b32 s13, s13
	v_mov_b32_e32 v5, 0x7f800001
	s_xor_b32 exec_lo, exec_lo, s13
	s_cbranch_execnz .LBB103_1966
.LBB103_1946:
	s_or_b32 exec_lo, exec_lo, s13
	s_and_saveexec_b32 s13, s12
	s_cbranch_execz .LBB103_1948
.LBB103_1947:
	v_and_b32_e32 v5, 0xffff, v7
	s_delay_alu instid0(VALU_DEP_1) | instskip(SKIP_1) | instid1(VALU_DEP_2)
	v_and_b32_e32 v9, 3, v5
	v_bfe_u32 v15, v5, 2, 5
	v_clz_i32_u32_e32 v11, v9
	s_delay_alu instid0(VALU_DEP_2) | instskip(NEXT) | instid1(VALU_DEP_2)
	v_cmp_eq_u32_e32 vcc_lo, 0, v15
	v_min_u32_e32 v11, 32, v11
	s_delay_alu instid0(VALU_DEP_1) | instskip(NEXT) | instid1(VALU_DEP_1)
	v_subrev_nc_u32_e32 v13, 29, v11
	v_dual_lshlrev_b32 v5, v13, v5 :: v_dual_sub_nc_u32 v11, 30, v11
	s_delay_alu instid0(VALU_DEP_1) | instskip(NEXT) | instid1(VALU_DEP_1)
	v_dual_lshlrev_b32 v7, 24, v7 :: v_dual_bitop2_b32 v5, 3, v5 bitop3:0x40
	v_dual_cndmask_b32 v5, v9, v5, vcc_lo :: v_dual_cndmask_b32 v11, v15, v11, vcc_lo
	s_delay_alu instid0(VALU_DEP_2) | instskip(NEXT) | instid1(VALU_DEP_2)
	v_and_b32_e32 v7, 0x80000000, v7
	v_lshlrev_b32_e32 v5, 21, v5
	s_delay_alu instid0(VALU_DEP_3) | instskip(NEXT) | instid1(VALU_DEP_1)
	v_lshl_add_u32 v9, v11, 23, 0x37800000
	v_or3_b32 v5, v7, v9, v5
.LBB103_1948:
	s_or_b32 exec_lo, exec_lo, s13
	s_mov_b32 s12, 0
	s_branch .LBB103_1954
.LBB103_1949:
	s_mov_b32 s12, -1
                                        ; implicit-def: $vgpr5
	s_branch .LBB103_1960
.LBB103_1950:
	s_or_saveexec_b32 s14, s14
	v_mov_b32_e32 v5, 0x7f800001
	s_xor_b32 exec_lo, exec_lo, s14
	s_cbranch_execz .LBB103_1933
.LBB103_1951:
	v_cmp_ne_u16_e32 vcc_lo, 0, v7
	v_mov_b32_e32 v5, 0
	s_and_not1_b32 s13, s13, exec_lo
	s_and_b32 s15, vcc_lo, exec_lo
	s_delay_alu instid0(SALU_CYCLE_1)
	s_or_b32 s13, s13, s15
	s_or_b32 exec_lo, exec_lo, s14
	s_and_saveexec_b32 s14, s13
	s_cbranch_execnz .LBB103_1934
	s_branch .LBB103_1935
.LBB103_1952:
	s_mov_b32 s12, -1
                                        ; implicit-def: $vgpr5
	s_branch .LBB103_1957
.LBB103_1953:
	s_mov_b32 s12, -1
                                        ; implicit-def: $vgpr5
.LBB103_1954:
	s_delay_alu instid0(SALU_CYCLE_1)
	s_and_b32 vcc_lo, exec_lo, s12
	s_cbranch_vccz .LBB103_1956
; %bb.1955:
	global_load_u8 v5, v[18:19], off
	s_wait_loadcnt 0x0
	v_lshlrev_b32_e32 v5, 24, v5
	s_delay_alu instid0(VALU_DEP_1) | instskip(NEXT) | instid1(VALU_DEP_1)
	v_and_b32_e32 v7, 0x7f000000, v5
	v_clz_i32_u32_e32 v9, v7
	v_add_nc_u32_e32 v13, 0x1000000, v7
	v_cmp_ne_u32_e32 vcc_lo, 0, v7
	s_delay_alu instid0(VALU_DEP_3) | instskip(NEXT) | instid1(VALU_DEP_1)
	v_min_u32_e32 v9, 32, v9
	v_sub_nc_u32_e64 v9, v9, 4 clamp
	s_delay_alu instid0(VALU_DEP_1) | instskip(NEXT) | instid1(VALU_DEP_1)
	v_dual_lshlrev_b32 v11, v9, v7 :: v_dual_lshlrev_b32 v9, 23, v9
	v_lshrrev_b32_e32 v11, 4, v11
	s_delay_alu instid0(VALU_DEP_1) | instskip(SKIP_1) | instid1(VALU_DEP_2)
	v_sub_nc_u32_e32 v9, v11, v9
	v_ashrrev_i32_e32 v11, 8, v13
	v_add_nc_u32_e32 v9, 0x3c000000, v9
	s_delay_alu instid0(VALU_DEP_1) | instskip(NEXT) | instid1(VALU_DEP_1)
	v_and_or_b32 v9, 0x7f800000, v11, v9
	v_cndmask_b32_e32 v7, 0, v9, vcc_lo
	s_delay_alu instid0(VALU_DEP_1)
	v_and_or_b32 v5, 0x80000000, v5, v7
.LBB103_1956:
	s_mov_b32 s12, 0
.LBB103_1957:
	s_delay_alu instid0(SALU_CYCLE_1)
	s_and_not1_b32 vcc_lo, exec_lo, s12
	s_cbranch_vccnz .LBB103_1959
; %bb.1958:
	global_load_u8 v5, v[18:19], off
	s_wait_loadcnt 0x0
	v_lshlrev_b32_e32 v7, 25, v5
	v_lshlrev_b16 v5, 8, v5
	s_delay_alu instid0(VALU_DEP_1) | instskip(SKIP_1) | instid1(VALU_DEP_2)
	v_and_or_b32 v11, 0x7f00, v5, 0.5
	v_bfe_i32 v5, v5, 0, 16
	v_add_f32_e32 v11, -0.5, v11
	v_lshrrev_b32_e32 v9, 4, v7
	v_cmp_gt_u32_e32 vcc_lo, 0x8000000, v7
	s_delay_alu instid0(VALU_DEP_2) | instskip(NEXT) | instid1(VALU_DEP_1)
	v_or_b32_e32 v9, 0x70000000, v9
	v_mul_f32_e32 v9, 0x7800000, v9
	s_delay_alu instid0(VALU_DEP_1) | instskip(NEXT) | instid1(VALU_DEP_1)
	v_cndmask_b32_e32 v7, v9, v11, vcc_lo
	v_and_or_b32 v5, 0x80000000, v5, v7
.LBB103_1959:
	s_mov_b32 s12, 0
	s_mov_b32 s13, -1
.LBB103_1960:
	s_and_not1_b32 vcc_lo, exec_lo, s12
	s_mov_b32 s12, 0
	s_cbranch_vccnz .LBB103_1971
; %bb.1961:
	s_cmp_gt_i32 s2, 14
	s_cbranch_scc0 .LBB103_1964
; %bb.1962:
	s_cmp_eq_u32 s2, 15
	s_cbranch_scc0 .LBB103_1967
; %bb.1963:
	global_load_u16 v5, v[18:19], off
	s_mov_b32 s11, 0
	s_mov_b32 s13, -1
	s_wait_loadcnt 0x0
	v_lshlrev_b32_e32 v5, 16, v5
	s_branch .LBB103_1969
.LBB103_1964:
	s_mov_b32 s12, -1
	s_branch .LBB103_1968
.LBB103_1965:
	s_or_saveexec_b32 s13, s13
	v_mov_b32_e32 v5, 0x7f800001
	s_xor_b32 exec_lo, exec_lo, s13
	s_cbranch_execz .LBB103_1946
.LBB103_1966:
	v_cmp_ne_u16_e32 vcc_lo, 0, v7
	v_mov_b32_e32 v5, 0
	s_and_not1_b32 s12, s12, exec_lo
	s_and_b32 s14, vcc_lo, exec_lo
	s_delay_alu instid0(SALU_CYCLE_1)
	s_or_b32 s12, s12, s14
	s_or_b32 exec_lo, exec_lo, s13
	s_and_saveexec_b32 s13, s12
	s_cbranch_execnz .LBB103_1947
	s_branch .LBB103_1948
.LBB103_1967:
	s_mov_b32 s11, -1
.LBB103_1968:
                                        ; implicit-def: $vgpr5
.LBB103_1969:
	s_and_b32 vcc_lo, exec_lo, s12
	s_mov_b32 s12, 0
	s_cbranch_vccz .LBB103_1971
; %bb.1970:
	s_cmp_lg_u32 s2, 11
	s_mov_b32 s12, -1
	s_cselect_b32 s11, -1, 0
.LBB103_1971:
	s_delay_alu instid0(SALU_CYCLE_1)
	s_and_b32 vcc_lo, exec_lo, s11
	s_cbranch_vccnz .LBB103_2034
; %bb.1972:
	s_and_not1_b32 vcc_lo, exec_lo, s12
	s_cbranch_vccnz .LBB103_1974
.LBB103_1973:
	global_load_u8 v5, v[18:19], off
	s_mov_b32 s13, -1
	s_wait_loadcnt 0x0
	v_cmp_ne_u16_e32 vcc_lo, 0, v5
	v_cndmask_b32_e64 v5, 0, 1.0, vcc_lo
.LBB103_1974:
	s_branch .LBB103_1901
.LBB103_1975:
	s_cmp_lt_i32 s2, 5
	s_cbranch_scc1 .LBB103_1980
; %bb.1976:
	s_cmp_lt_i32 s2, 8
	s_cbranch_scc1 .LBB103_1981
; %bb.1977:
	;; [unrolled: 3-line block ×3, first 2 shown]
	s_cmp_gt_i32 s2, 9
	s_cbranch_scc0 .LBB103_1983
; %bb.1979:
	global_load_b64 v[20:21], v[18:19], off
	s_mov_b32 s11, 0
	s_wait_loadcnt 0x0
	v_cvt_f32_f64_e32 v5, v[20:21]
	s_branch .LBB103_1984
.LBB103_1980:
	s_mov_b32 s11, -1
                                        ; implicit-def: $vgpr5
	s_branch .LBB103_2002
.LBB103_1981:
	s_mov_b32 s11, -1
                                        ; implicit-def: $vgpr5
	s_branch .LBB103_1990
.LBB103_1982:
	s_mov_b32 s11, -1
                                        ; implicit-def: $vgpr5
	s_branch .LBB103_1987
.LBB103_1983:
	s_mov_b32 s11, -1
                                        ; implicit-def: $vgpr5
.LBB103_1984:
	s_delay_alu instid0(SALU_CYCLE_1)
	s_and_not1_b32 vcc_lo, exec_lo, s11
	s_cbranch_vccnz .LBB103_1986
; %bb.1985:
	global_load_b32 v5, v[18:19], off
.LBB103_1986:
	s_mov_b32 s11, 0
.LBB103_1987:
	s_delay_alu instid0(SALU_CYCLE_1)
	s_and_not1_b32 vcc_lo, exec_lo, s11
	s_cbranch_vccnz .LBB103_1989
; %bb.1988:
	s_wait_loadcnt 0x0
	global_load_b32 v5, v[18:19], off
	s_wait_loadcnt 0x0
	v_cvt_f32_f16_e32 v5, v5
.LBB103_1989:
	s_mov_b32 s11, 0
.LBB103_1990:
	s_delay_alu instid0(SALU_CYCLE_1)
	s_and_not1_b32 vcc_lo, exec_lo, s11
	s_cbranch_vccnz .LBB103_2001
; %bb.1991:
	s_cmp_lt_i32 s2, 6
	s_cbranch_scc1 .LBB103_1994
; %bb.1992:
	s_cmp_gt_i32 s2, 6
	s_cbranch_scc0 .LBB103_1995
; %bb.1993:
	global_load_b64 v[20:21], v[18:19], off
	s_mov_b32 s11, 0
	s_wait_loadcnt 0x0
	v_cvt_f32_f64_e32 v5, v[20:21]
	s_branch .LBB103_1996
.LBB103_1994:
	s_mov_b32 s11, -1
                                        ; implicit-def: $vgpr5
	s_branch .LBB103_1999
.LBB103_1995:
	s_mov_b32 s11, -1
                                        ; implicit-def: $vgpr5
.LBB103_1996:
	s_delay_alu instid0(SALU_CYCLE_1)
	s_and_not1_b32 vcc_lo, exec_lo, s11
	s_cbranch_vccnz .LBB103_1998
; %bb.1997:
	s_wait_loadcnt 0x0
	global_load_b32 v5, v[18:19], off
.LBB103_1998:
	s_mov_b32 s11, 0
.LBB103_1999:
	s_delay_alu instid0(SALU_CYCLE_1)
	s_and_not1_b32 vcc_lo, exec_lo, s11
	s_cbranch_vccnz .LBB103_2001
; %bb.2000:
	s_wait_loadcnt 0x0
	global_load_u16 v5, v[18:19], off
	s_wait_loadcnt 0x0
	v_cvt_f32_f16_e32 v5, v5
.LBB103_2001:
	s_mov_b32 s11, 0
.LBB103_2002:
	s_delay_alu instid0(SALU_CYCLE_1)
	s_and_not1_b32 vcc_lo, exec_lo, s11
	s_cbranch_vccnz .LBB103_2022
; %bb.2003:
	s_cmp_lt_i32 s2, 2
	s_cbranch_scc1 .LBB103_2007
; %bb.2004:
	s_cmp_lt_i32 s2, 3
	s_cbranch_scc1 .LBB103_2008
; %bb.2005:
	s_cmp_gt_i32 s2, 3
	s_cbranch_scc0 .LBB103_2009
; %bb.2006:
	global_load_b64 v[20:21], v[18:19], off
	s_mov_b32 s11, 0
	s_wait_loadcnt 0x0
	v_xor_b32_e32 v5, v20, v21
	v_cls_i32_e32 v7, v21
	s_delay_alu instid0(VALU_DEP_2) | instskip(NEXT) | instid1(VALU_DEP_1)
	v_ashrrev_i32_e32 v5, 31, v5
	v_add_nc_u32_e32 v5, 32, v5
	s_delay_alu instid0(VALU_DEP_1) | instskip(NEXT) | instid1(VALU_DEP_1)
	v_add_min_u32_e64 v5, v7, -1, v5
	v_lshlrev_b64_e32 v[20:21], v5, v[20:21]
	v_sub_nc_u32_e32 v5, 32, v5
	s_delay_alu instid0(VALU_DEP_2) | instskip(NEXT) | instid1(VALU_DEP_1)
	v_min_u32_e32 v7, 1, v20
	v_or_b32_e32 v7, v21, v7
	s_delay_alu instid0(VALU_DEP_1) | instskip(NEXT) | instid1(VALU_DEP_1)
	v_cvt_f32_i32_e32 v7, v7
	v_ldexp_f32 v5, v7, v5
	s_branch .LBB103_2010
.LBB103_2007:
	s_mov_b32 s11, -1
                                        ; implicit-def: $vgpr5
	s_branch .LBB103_2016
.LBB103_2008:
	s_mov_b32 s11, -1
                                        ; implicit-def: $vgpr5
	s_branch .LBB103_2013
.LBB103_2009:
	s_mov_b32 s11, -1
                                        ; implicit-def: $vgpr5
.LBB103_2010:
	s_delay_alu instid0(SALU_CYCLE_1)
	s_and_not1_b32 vcc_lo, exec_lo, s11
	s_cbranch_vccnz .LBB103_2012
; %bb.2011:
	s_wait_loadcnt 0x0
	global_load_b32 v5, v[18:19], off
	s_wait_loadcnt 0x0
	v_cvt_f32_i32_e32 v5, v5
.LBB103_2012:
	s_mov_b32 s11, 0
.LBB103_2013:
	s_delay_alu instid0(SALU_CYCLE_1)
	s_and_not1_b32 vcc_lo, exec_lo, s11
	s_cbranch_vccnz .LBB103_2015
; %bb.2014:
	s_wait_loadcnt 0x0
	global_load_i16 v5, v[18:19], off
	s_wait_loadcnt 0x0
	v_cvt_f32_i32_e32 v5, v5
.LBB103_2015:
	s_mov_b32 s11, 0
.LBB103_2016:
	s_delay_alu instid0(SALU_CYCLE_1)
	s_and_not1_b32 vcc_lo, exec_lo, s11
	s_cbranch_vccnz .LBB103_2022
; %bb.2017:
	s_cmp_gt_i32 s2, 0
	s_mov_b32 s11, 0
	s_cbranch_scc0 .LBB103_2019
; %bb.2018:
	s_wait_loadcnt 0x0
	global_load_i8 v5, v[18:19], off
	s_wait_loadcnt 0x0
	v_cvt_f32_i32_e32 v5, v5
	s_branch .LBB103_2020
.LBB103_2019:
	s_mov_b32 s11, -1
                                        ; implicit-def: $vgpr5
.LBB103_2020:
	s_delay_alu instid0(SALU_CYCLE_1)
	s_and_not1_b32 vcc_lo, exec_lo, s11
	s_cbranch_vccnz .LBB103_2022
; %bb.2021:
	s_wait_loadcnt 0x0
	global_load_u8 v5, v[18:19], off
	s_wait_loadcnt 0x0
	v_cvt_f32_ubyte0_e32 v5, v5
.LBB103_2022:
.LBB103_2023:
	v_mov_b32_e32 v17, 0
	s_and_b32 s10, 0xffff, s10
	s_delay_alu instid0(SALU_CYCLE_1) | instskip(NEXT) | instid1(VALU_DEP_1)
	s_cmp_lt_i32 s10, 11
	v_add_nc_u64_e32 v[16:17], s[0:1], v[16:17]
	s_cbranch_scc1 .LBB103_2030
; %bb.2024:
	s_cmp_gt_i32 s10, 25
	s_mov_b32 s12, 0
	s_cbranch_scc0 .LBB103_2031
; %bb.2025:
	s_cmp_gt_i32 s10, 28
	s_cbranch_scc0 .LBB103_2032
; %bb.2026:
	s_cmp_gt_i32 s10, 43
	;; [unrolled: 3-line block ×3, first 2 shown]
	s_cbranch_scc0 .LBB103_2035
; %bb.2028:
	s_cmp_eq_u32 s10, 46
	s_mov_b32 s14, 0
	s_cbranch_scc0 .LBB103_2036
; %bb.2029:
	global_load_b32 v7, v[16:17], off
	s_mov_b32 s11, 0
	s_mov_b32 s13, -1
	s_wait_loadcnt 0x0
	s_wait_xcnt 0x1
	v_lshlrev_b32_e32 v18, 16, v7
	s_branch .LBB103_2038
.LBB103_2030:
	s_mov_b32 s11, -1
	s_mov_b32 s13, 0
                                        ; implicit-def: $vgpr18
	s_branch .LBB103_2104
.LBB103_2031:
	s_mov_b32 s14, -1
	s_mov_b32 s13, 0
	s_mov_b32 s11, 0
                                        ; implicit-def: $vgpr18
	s_branch .LBB103_2067
.LBB103_2032:
	s_mov_b32 s14, -1
	s_mov_b32 s13, 0
	s_mov_b32 s11, 0
                                        ; implicit-def: $vgpr18
	s_branch .LBB103_2048
.LBB103_2033:
	s_mov_b32 s14, -1
	s_mov_b32 s13, 0
	s_mov_b32 s11, 0
                                        ; implicit-def: $vgpr18
	s_branch .LBB103_2043
.LBB103_2034:
	s_or_b32 s9, s9, exec_lo
	s_trap 2
	s_cbranch_execz .LBB103_1973
	s_branch .LBB103_1974
.LBB103_2035:
	s_mov_b32 s14, -1
	s_mov_b32 s13, 0
	s_mov_b32 s11, 0
	s_branch .LBB103_2037
.LBB103_2036:
	s_mov_b32 s11, -1
	s_mov_b32 s13, 0
.LBB103_2037:
                                        ; implicit-def: $vgpr18
.LBB103_2038:
	s_and_b32 vcc_lo, exec_lo, s14
	s_cbranch_vccz .LBB103_2042
; %bb.2039:
	s_cmp_eq_u32 s10, 44
	s_cbranch_scc0 .LBB103_2041
; %bb.2040:
	global_load_u8 v7, v[16:17], off
	s_mov_b32 s11, 0
	s_mov_b32 s13, -1
	s_wait_loadcnt 0x0
	v_lshlrev_b32_e32 v9, 23, v7
	v_cmp_ne_u32_e32 vcc_lo, 0xff, v7
	s_delay_alu instid0(VALU_DEP_2) | instskip(SKIP_2) | instid1(VALU_DEP_2)
	v_cndmask_b32_e32 v9, 0x7f800001, v9, vcc_lo
	v_cmp_ne_u32_e32 vcc_lo, 0, v7
	s_wait_xcnt 0x1
	v_cndmask_b32_e32 v18, 0x400000, v9, vcc_lo
	s_branch .LBB103_2042
.LBB103_2041:
	s_mov_b32 s11, -1
                                        ; implicit-def: $vgpr18
.LBB103_2042:
	s_mov_b32 s14, 0
.LBB103_2043:
	s_delay_alu instid0(SALU_CYCLE_1)
	s_and_b32 vcc_lo, exec_lo, s14
	s_cbranch_vccz .LBB103_2047
; %bb.2044:
	s_cmp_eq_u32 s10, 29
	s_cbranch_scc0 .LBB103_2046
; %bb.2045:
	global_load_b64 v[18:19], v[16:17], off
	s_mov_b32 s11, 0
	s_mov_b32 s13, -1
	s_mov_b32 s14, 0
	s_wait_loadcnt 0x0
	v_clz_i32_u32_e32 v7, v19
	s_delay_alu instid0(VALU_DEP_1) | instskip(NEXT) | instid1(VALU_DEP_1)
	v_min_u32_e32 v7, 32, v7
	v_lshlrev_b64_e32 v[18:19], v7, v[18:19]
	v_sub_nc_u32_e32 v7, 32, v7
	s_delay_alu instid0(VALU_DEP_2) | instskip(NEXT) | instid1(VALU_DEP_1)
	v_min_u32_e32 v9, 1, v18
	v_or_b32_e32 v9, v19, v9
	s_delay_alu instid0(VALU_DEP_1) | instskip(NEXT) | instid1(VALU_DEP_1)
	v_cvt_f32_u32_e32 v9, v9
	v_ldexp_f32 v18, v9, v7
	s_branch .LBB103_2048
.LBB103_2046:
	s_mov_b32 s11, -1
                                        ; implicit-def: $vgpr18
.LBB103_2047:
	s_mov_b32 s14, 0
.LBB103_2048:
	s_delay_alu instid0(SALU_CYCLE_1)
	s_and_b32 vcc_lo, exec_lo, s14
	s_cbranch_vccz .LBB103_2066
; %bb.2049:
	s_cmp_lt_i32 s10, 27
	s_cbranch_scc1 .LBB103_2052
; %bb.2050:
	s_cmp_gt_i32 s10, 27
	s_cbranch_scc0 .LBB103_2053
; %bb.2051:
	global_load_b32 v7, v[16:17], off
	s_mov_b32 s13, 0
	s_wait_loadcnt 0x0
	s_wait_xcnt 0x1
	v_cvt_f32_u32_e32 v18, v7
	s_branch .LBB103_2054
.LBB103_2052:
	s_mov_b32 s13, -1
                                        ; implicit-def: $vgpr18
	s_branch .LBB103_2057
.LBB103_2053:
	s_mov_b32 s13, -1
                                        ; implicit-def: $vgpr18
.LBB103_2054:
	s_delay_alu instid0(SALU_CYCLE_1)
	s_and_not1_b32 vcc_lo, exec_lo, s13
	s_cbranch_vccnz .LBB103_2056
; %bb.2055:
	global_load_u16 v7, v[16:17], off
	s_wait_loadcnt 0x0
	s_wait_xcnt 0x1
	v_cvt_f32_u32_e32 v18, v7
.LBB103_2056:
	s_mov_b32 s13, 0
.LBB103_2057:
	s_delay_alu instid0(SALU_CYCLE_1)
	s_and_not1_b32 vcc_lo, exec_lo, s13
	s_cbranch_vccnz .LBB103_2065
; %bb.2058:
	global_load_u8 v7, v[16:17], off
	s_mov_b32 s13, 0
	s_mov_b32 s14, exec_lo
	s_wait_loadcnt 0x0
	v_cmpx_lt_i16_e32 0x7f, v7
	s_xor_b32 s14, exec_lo, s14
	s_cbranch_execz .LBB103_2079
; %bb.2059:
	s_mov_b32 s13, -1
	s_mov_b32 s15, exec_lo
	v_cmpx_eq_u16_e32 0x80, v7
; %bb.2060:
	s_xor_b32 s13, exec_lo, -1
; %bb.2061:
	s_or_b32 exec_lo, exec_lo, s15
	s_delay_alu instid0(SALU_CYCLE_1)
	s_and_b32 s13, s13, exec_lo
	s_or_saveexec_b32 s14, s14
	v_mov_b32_e32 v18, 0x7f800001
	s_xor_b32 exec_lo, exec_lo, s14
	s_cbranch_execnz .LBB103_2080
.LBB103_2062:
	s_or_b32 exec_lo, exec_lo, s14
	s_and_saveexec_b32 s14, s13
	s_cbranch_execz .LBB103_2064
.LBB103_2063:
	v_and_b32_e32 v9, 0xffff, v7
	s_delay_alu instid0(VALU_DEP_1) | instskip(SKIP_1) | instid1(VALU_DEP_2)
	v_dual_lshlrev_b32 v7, 24, v7 :: v_dual_bitop2_b32 v11, 7, v9 bitop3:0x40
	v_bfe_u32 v18, v9, 3, 4
	v_and_b32_e32 v7, 0x80000000, v7
	s_delay_alu instid0(VALU_DEP_3) | instskip(NEXT) | instid1(VALU_DEP_3)
	v_clz_i32_u32_e32 v13, v11
	v_cmp_eq_u32_e32 vcc_lo, 0, v18
	s_delay_alu instid0(VALU_DEP_2) | instskip(NEXT) | instid1(VALU_DEP_1)
	v_min_u32_e32 v13, 32, v13
	v_subrev_nc_u32_e32 v15, 28, v13
	v_sub_nc_u32_e32 v13, 29, v13
	s_delay_alu instid0(VALU_DEP_2) | instskip(NEXT) | instid1(VALU_DEP_2)
	v_lshlrev_b32_e32 v9, v15, v9
	v_cndmask_b32_e32 v13, v18, v13, vcc_lo
	s_delay_alu instid0(VALU_DEP_2) | instskip(NEXT) | instid1(VALU_DEP_1)
	v_and_b32_e32 v9, 7, v9
	v_cndmask_b32_e32 v9, v11, v9, vcc_lo
	s_delay_alu instid0(VALU_DEP_3) | instskip(NEXT) | instid1(VALU_DEP_2)
	v_lshl_add_u32 v11, v13, 23, 0x3b800000
	v_lshlrev_b32_e32 v9, 20, v9
	s_delay_alu instid0(VALU_DEP_1)
	v_or3_b32 v18, v7, v11, v9
.LBB103_2064:
	s_or_b32 exec_lo, exec_lo, s14
.LBB103_2065:
	s_mov_b32 s13, -1
.LBB103_2066:
	s_mov_b32 s14, 0
.LBB103_2067:
	s_delay_alu instid0(SALU_CYCLE_1)
	s_and_b32 vcc_lo, exec_lo, s14
	s_cbranch_vccz .LBB103_2100
; %bb.2068:
	s_cmp_gt_i32 s10, 22
	s_cbranch_scc0 .LBB103_2078
; %bb.2069:
	s_cmp_lt_i32 s10, 24
	s_cbranch_scc1 .LBB103_2081
; %bb.2070:
	s_cmp_gt_i32 s10, 24
	s_cbranch_scc0 .LBB103_2082
; %bb.2071:
	global_load_u8 v7, v[16:17], off
	s_mov_b32 s13, exec_lo
	s_wait_loadcnt 0x0
	v_cmpx_lt_i16_e32 0x7f, v7
	s_xor_b32 s13, exec_lo, s13
	s_cbranch_execz .LBB103_2094
; %bb.2072:
	s_mov_b32 s12, -1
	s_mov_b32 s14, exec_lo
	v_cmpx_eq_u16_e32 0x80, v7
; %bb.2073:
	s_xor_b32 s12, exec_lo, -1
; %bb.2074:
	s_or_b32 exec_lo, exec_lo, s14
	s_delay_alu instid0(SALU_CYCLE_1)
	s_and_b32 s12, s12, exec_lo
	s_or_saveexec_b32 s13, s13
	v_mov_b32_e32 v18, 0x7f800001
	s_xor_b32 exec_lo, exec_lo, s13
	s_cbranch_execnz .LBB103_2095
.LBB103_2075:
	s_or_b32 exec_lo, exec_lo, s13
	s_and_saveexec_b32 s13, s12
	s_cbranch_execz .LBB103_2077
.LBB103_2076:
	v_and_b32_e32 v9, 0xffff, v7
	s_delay_alu instid0(VALU_DEP_1) | instskip(SKIP_1) | instid1(VALU_DEP_2)
	v_dual_lshlrev_b32 v7, 24, v7 :: v_dual_bitop2_b32 v11, 3, v9 bitop3:0x40
	v_bfe_u32 v18, v9, 2, 5
	v_and_b32_e32 v7, 0x80000000, v7
	s_delay_alu instid0(VALU_DEP_3) | instskip(NEXT) | instid1(VALU_DEP_3)
	v_clz_i32_u32_e32 v13, v11
	v_cmp_eq_u32_e32 vcc_lo, 0, v18
	s_delay_alu instid0(VALU_DEP_2) | instskip(NEXT) | instid1(VALU_DEP_1)
	v_min_u32_e32 v13, 32, v13
	v_subrev_nc_u32_e32 v15, 29, v13
	v_sub_nc_u32_e32 v13, 30, v13
	s_delay_alu instid0(VALU_DEP_2) | instskip(NEXT) | instid1(VALU_DEP_2)
	v_lshlrev_b32_e32 v9, v15, v9
	v_cndmask_b32_e32 v13, v18, v13, vcc_lo
	s_delay_alu instid0(VALU_DEP_2) | instskip(NEXT) | instid1(VALU_DEP_1)
	v_and_b32_e32 v9, 3, v9
	v_cndmask_b32_e32 v9, v11, v9, vcc_lo
	s_delay_alu instid0(VALU_DEP_3) | instskip(NEXT) | instid1(VALU_DEP_2)
	v_lshl_add_u32 v11, v13, 23, 0x37800000
	v_lshlrev_b32_e32 v9, 21, v9
	s_delay_alu instid0(VALU_DEP_1)
	v_or3_b32 v18, v7, v11, v9
.LBB103_2077:
	s_or_b32 exec_lo, exec_lo, s13
	s_mov_b32 s12, 0
	s_branch .LBB103_2083
.LBB103_2078:
	s_mov_b32 s12, -1
                                        ; implicit-def: $vgpr18
	s_branch .LBB103_2089
.LBB103_2079:
	s_or_saveexec_b32 s14, s14
	v_mov_b32_e32 v18, 0x7f800001
	s_xor_b32 exec_lo, exec_lo, s14
	s_cbranch_execz .LBB103_2062
.LBB103_2080:
	v_cmp_ne_u16_e32 vcc_lo, 0, v7
	v_mov_b32_e32 v18, 0
	s_and_not1_b32 s13, s13, exec_lo
	s_and_b32 s15, vcc_lo, exec_lo
	s_delay_alu instid0(SALU_CYCLE_1)
	s_or_b32 s13, s13, s15
	s_or_b32 exec_lo, exec_lo, s14
	s_and_saveexec_b32 s14, s13
	s_cbranch_execnz .LBB103_2063
	s_branch .LBB103_2064
.LBB103_2081:
	s_mov_b32 s12, -1
                                        ; implicit-def: $vgpr18
	s_branch .LBB103_2086
.LBB103_2082:
	s_mov_b32 s12, -1
                                        ; implicit-def: $vgpr18
.LBB103_2083:
	s_delay_alu instid0(SALU_CYCLE_1)
	s_and_b32 vcc_lo, exec_lo, s12
	s_cbranch_vccz .LBB103_2085
; %bb.2084:
	global_load_u8 v7, v[16:17], off
	s_wait_loadcnt 0x0
	v_lshlrev_b32_e32 v7, 24, v7
	s_delay_alu instid0(VALU_DEP_1) | instskip(NEXT) | instid1(VALU_DEP_1)
	v_and_b32_e32 v9, 0x7f000000, v7
	v_clz_i32_u32_e32 v11, v9
	v_add_nc_u32_e32 v15, 0x1000000, v9
	v_cmp_ne_u32_e32 vcc_lo, 0, v9
	s_delay_alu instid0(VALU_DEP_3) | instskip(NEXT) | instid1(VALU_DEP_1)
	v_min_u32_e32 v11, 32, v11
	v_sub_nc_u32_e64 v11, v11, 4 clamp
	s_delay_alu instid0(VALU_DEP_1) | instskip(NEXT) | instid1(VALU_DEP_1)
	v_dual_lshlrev_b32 v13, v11, v9 :: v_dual_lshlrev_b32 v11, 23, v11
	v_lshrrev_b32_e32 v13, 4, v13
	s_delay_alu instid0(VALU_DEP_1) | instskip(SKIP_1) | instid1(VALU_DEP_2)
	v_sub_nc_u32_e32 v11, v13, v11
	v_ashrrev_i32_e32 v13, 8, v15
	v_add_nc_u32_e32 v11, 0x3c000000, v11
	s_delay_alu instid0(VALU_DEP_1) | instskip(NEXT) | instid1(VALU_DEP_1)
	v_and_or_b32 v11, 0x7f800000, v13, v11
	v_cndmask_b32_e32 v9, 0, v11, vcc_lo
	s_wait_xcnt 0x1
	s_delay_alu instid0(VALU_DEP_1)
	v_and_or_b32 v18, 0x80000000, v7, v9
.LBB103_2085:
	s_mov_b32 s12, 0
.LBB103_2086:
	s_delay_alu instid0(SALU_CYCLE_1)
	s_and_not1_b32 vcc_lo, exec_lo, s12
	s_cbranch_vccnz .LBB103_2088
; %bb.2087:
	global_load_u8 v7, v[16:17], off
	s_wait_loadcnt 0x0
	v_lshlrev_b32_e32 v9, 25, v7
	v_lshlrev_b16 v7, 8, v7
	s_delay_alu instid0(VALU_DEP_1) | instskip(SKIP_1) | instid1(VALU_DEP_2)
	v_and_or_b32 v13, 0x7f00, v7, 0.5
	v_bfe_i32 v7, v7, 0, 16
	v_add_f32_e32 v13, -0.5, v13
	v_lshrrev_b32_e32 v11, 4, v9
	v_cmp_gt_u32_e32 vcc_lo, 0x8000000, v9
	s_delay_alu instid0(VALU_DEP_2) | instskip(NEXT) | instid1(VALU_DEP_1)
	v_or_b32_e32 v11, 0x70000000, v11
	v_mul_f32_e32 v11, 0x7800000, v11
	s_delay_alu instid0(VALU_DEP_1) | instskip(SKIP_1) | instid1(VALU_DEP_1)
	v_cndmask_b32_e32 v9, v11, v13, vcc_lo
	s_wait_xcnt 0x1
	v_and_or_b32 v18, 0x80000000, v7, v9
.LBB103_2088:
	s_mov_b32 s12, 0
	s_mov_b32 s13, -1
.LBB103_2089:
	s_and_not1_b32 vcc_lo, exec_lo, s12
	s_mov_b32 s12, 0
	s_cbranch_vccnz .LBB103_2100
; %bb.2090:
	s_cmp_gt_i32 s10, 14
	s_cbranch_scc0 .LBB103_2093
; %bb.2091:
	s_cmp_eq_u32 s10, 15
	s_cbranch_scc0 .LBB103_2096
; %bb.2092:
	global_load_u16 v7, v[16:17], off
	s_mov_b32 s11, 0
	s_mov_b32 s13, -1
	s_wait_loadcnt 0x0
	s_wait_xcnt 0x1
	v_lshlrev_b32_e32 v18, 16, v7
	s_branch .LBB103_2098
.LBB103_2093:
	s_mov_b32 s12, -1
	s_branch .LBB103_2097
.LBB103_2094:
	s_or_saveexec_b32 s13, s13
	v_mov_b32_e32 v18, 0x7f800001
	s_xor_b32 exec_lo, exec_lo, s13
	s_cbranch_execz .LBB103_2075
.LBB103_2095:
	v_cmp_ne_u16_e32 vcc_lo, 0, v7
	v_mov_b32_e32 v18, 0
	s_and_not1_b32 s12, s12, exec_lo
	s_and_b32 s14, vcc_lo, exec_lo
	s_delay_alu instid0(SALU_CYCLE_1)
	s_or_b32 s12, s12, s14
	s_or_b32 exec_lo, exec_lo, s13
	s_and_saveexec_b32 s13, s12
	s_cbranch_execnz .LBB103_2076
	s_branch .LBB103_2077
.LBB103_2096:
	s_mov_b32 s11, -1
.LBB103_2097:
                                        ; implicit-def: $vgpr18
.LBB103_2098:
	s_and_b32 vcc_lo, exec_lo, s12
	s_mov_b32 s12, 0
	s_cbranch_vccz .LBB103_2100
; %bb.2099:
	s_cmp_lg_u32 s10, 11
	s_mov_b32 s12, -1
	s_cselect_b32 s11, -1, 0
.LBB103_2100:
	s_delay_alu instid0(SALU_CYCLE_1)
	s_and_b32 vcc_lo, exec_lo, s11
	s_cbranch_vccnz .LBB103_2165
; %bb.2101:
	s_and_not1_b32 vcc_lo, exec_lo, s12
	s_cbranch_vccnz .LBB103_2103
.LBB103_2102:
	global_load_u8 v7, v[16:17], off
	s_mov_b32 s13, -1
	s_wait_loadcnt 0x0
	v_cmp_ne_u16_e32 vcc_lo, 0, v7
	s_wait_xcnt 0x1
	v_cndmask_b32_e64 v18, 0, 1.0, vcc_lo
.LBB103_2103:
	s_mov_b32 s11, 0
.LBB103_2104:
	s_delay_alu instid0(SALU_CYCLE_1)
	s_and_b32 vcc_lo, exec_lo, s11
	s_cbranch_vccz .LBB103_2153
; %bb.2105:
	s_cmp_lt_i32 s10, 5
	s_cbranch_scc1 .LBB103_2110
; %bb.2106:
	s_cmp_lt_i32 s10, 8
	s_cbranch_scc1 .LBB103_2111
	;; [unrolled: 3-line block ×3, first 2 shown]
; %bb.2108:
	s_cmp_gt_i32 s10, 9
	s_cbranch_scc0 .LBB103_2113
; %bb.2109:
	global_load_b64 v[18:19], v[16:17], off
	s_mov_b32 s11, 0
	s_wait_loadcnt 0x0
	v_cvt_f32_f64_e32 v18, v[18:19]
	s_branch .LBB103_2114
.LBB103_2110:
	s_mov_b32 s11, -1
                                        ; implicit-def: $vgpr18
	s_branch .LBB103_2132
.LBB103_2111:
	s_mov_b32 s11, -1
                                        ; implicit-def: $vgpr18
	s_branch .LBB103_2120
.LBB103_2112:
	s_mov_b32 s11, -1
                                        ; implicit-def: $vgpr18
	s_branch .LBB103_2117
.LBB103_2113:
	s_mov_b32 s11, -1
                                        ; implicit-def: $vgpr18
.LBB103_2114:
	s_delay_alu instid0(SALU_CYCLE_1)
	s_and_not1_b32 vcc_lo, exec_lo, s11
	s_cbranch_vccnz .LBB103_2116
; %bb.2115:
	global_load_b32 v18, v[16:17], off
.LBB103_2116:
	s_mov_b32 s11, 0
.LBB103_2117:
	s_delay_alu instid0(SALU_CYCLE_1)
	s_and_not1_b32 vcc_lo, exec_lo, s11
	s_cbranch_vccnz .LBB103_2119
; %bb.2118:
	global_load_b32 v7, v[16:17], off
	s_wait_loadcnt 0x0
	s_wait_xcnt 0x1
	v_cvt_f32_f16_e32 v18, v7
.LBB103_2119:
	s_mov_b32 s11, 0
.LBB103_2120:
	s_delay_alu instid0(SALU_CYCLE_1)
	s_and_not1_b32 vcc_lo, exec_lo, s11
	s_cbranch_vccnz .LBB103_2131
; %bb.2121:
	s_cmp_lt_i32 s10, 6
	s_cbranch_scc1 .LBB103_2124
; %bb.2122:
	s_cmp_gt_i32 s10, 6
	s_cbranch_scc0 .LBB103_2125
; %bb.2123:
	s_wait_loadcnt 0x0
	global_load_b64 v[18:19], v[16:17], off
	s_mov_b32 s11, 0
	s_wait_loadcnt 0x0
	v_cvt_f32_f64_e32 v18, v[18:19]
	s_branch .LBB103_2126
.LBB103_2124:
	s_mov_b32 s11, -1
                                        ; implicit-def: $vgpr18
	s_branch .LBB103_2129
.LBB103_2125:
	s_mov_b32 s11, -1
                                        ; implicit-def: $vgpr18
.LBB103_2126:
	s_delay_alu instid0(SALU_CYCLE_1)
	s_and_not1_b32 vcc_lo, exec_lo, s11
	s_cbranch_vccnz .LBB103_2128
; %bb.2127:
	s_wait_loadcnt 0x0
	global_load_b32 v18, v[16:17], off
.LBB103_2128:
	s_mov_b32 s11, 0
.LBB103_2129:
	s_delay_alu instid0(SALU_CYCLE_1)
	s_and_not1_b32 vcc_lo, exec_lo, s11
	s_cbranch_vccnz .LBB103_2131
; %bb.2130:
	global_load_u16 v7, v[16:17], off
	s_wait_loadcnt 0x0
	s_wait_xcnt 0x1
	v_cvt_f32_f16_e32 v18, v7
.LBB103_2131:
	s_mov_b32 s11, 0
.LBB103_2132:
	s_delay_alu instid0(SALU_CYCLE_1)
	s_and_not1_b32 vcc_lo, exec_lo, s11
	s_cbranch_vccnz .LBB103_2152
; %bb.2133:
	s_cmp_lt_i32 s10, 2
	s_cbranch_scc1 .LBB103_2137
; %bb.2134:
	s_cmp_lt_i32 s10, 3
	s_cbranch_scc1 .LBB103_2138
; %bb.2135:
	s_cmp_gt_i32 s10, 3
	s_cbranch_scc0 .LBB103_2139
; %bb.2136:
	s_wait_loadcnt 0x0
	global_load_b64 v[18:19], v[16:17], off
	s_mov_b32 s11, 0
	s_wait_loadcnt 0x0
	v_xor_b32_e32 v7, v18, v19
	v_cls_i32_e32 v9, v19
	s_delay_alu instid0(VALU_DEP_2) | instskip(NEXT) | instid1(VALU_DEP_1)
	v_ashrrev_i32_e32 v7, 31, v7
	v_add_nc_u32_e32 v7, 32, v7
	s_delay_alu instid0(VALU_DEP_1) | instskip(NEXT) | instid1(VALU_DEP_1)
	v_add_min_u32_e64 v7, v9, -1, v7
	v_lshlrev_b64_e32 v[18:19], v7, v[18:19]
	v_sub_nc_u32_e32 v7, 32, v7
	s_delay_alu instid0(VALU_DEP_2) | instskip(NEXT) | instid1(VALU_DEP_1)
	v_min_u32_e32 v9, 1, v18
	v_or_b32_e32 v9, v19, v9
	s_delay_alu instid0(VALU_DEP_1) | instskip(NEXT) | instid1(VALU_DEP_1)
	v_cvt_f32_i32_e32 v9, v9
	v_ldexp_f32 v18, v9, v7
	s_branch .LBB103_2140
.LBB103_2137:
	s_mov_b32 s11, -1
                                        ; implicit-def: $vgpr18
	s_branch .LBB103_2146
.LBB103_2138:
	s_mov_b32 s11, -1
                                        ; implicit-def: $vgpr18
	s_branch .LBB103_2143
.LBB103_2139:
	s_mov_b32 s11, -1
                                        ; implicit-def: $vgpr18
.LBB103_2140:
	s_delay_alu instid0(SALU_CYCLE_1)
	s_and_not1_b32 vcc_lo, exec_lo, s11
	s_cbranch_vccnz .LBB103_2142
; %bb.2141:
	global_load_b32 v7, v[16:17], off
	s_wait_loadcnt 0x0
	s_wait_xcnt 0x1
	v_cvt_f32_i32_e32 v18, v7
.LBB103_2142:
	s_mov_b32 s11, 0
.LBB103_2143:
	s_delay_alu instid0(SALU_CYCLE_1)
	s_and_not1_b32 vcc_lo, exec_lo, s11
	s_cbranch_vccnz .LBB103_2145
; %bb.2144:
	global_load_i16 v7, v[16:17], off
	s_wait_loadcnt 0x0
	s_wait_xcnt 0x1
	v_cvt_f32_i32_e32 v18, v7
.LBB103_2145:
	s_mov_b32 s11, 0
.LBB103_2146:
	s_delay_alu instid0(SALU_CYCLE_1)
	s_and_not1_b32 vcc_lo, exec_lo, s11
	s_cbranch_vccnz .LBB103_2152
; %bb.2147:
	s_cmp_gt_i32 s10, 0
	s_mov_b32 s11, 0
	s_cbranch_scc0 .LBB103_2149
; %bb.2148:
	global_load_i8 v7, v[16:17], off
	s_wait_loadcnt 0x0
	s_wait_xcnt 0x1
	v_cvt_f32_i32_e32 v18, v7
	s_branch .LBB103_2150
.LBB103_2149:
	s_mov_b32 s11, -1
                                        ; implicit-def: $vgpr18
.LBB103_2150:
	s_delay_alu instid0(SALU_CYCLE_1)
	s_and_not1_b32 vcc_lo, exec_lo, s11
	s_cbranch_vccnz .LBB103_2152
; %bb.2151:
	global_load_u8 v7, v[16:17], off
	s_wait_loadcnt 0x0
	s_wait_xcnt 0x1
	v_cvt_f32_ubyte0_e32 v18, v7
.LBB103_2152:
	s_mov_b32 s13, -1
.LBB103_2153:
	s_delay_alu instid0(SALU_CYCLE_1)
	s_and_not1_b32 vcc_lo, exec_lo, s13
	s_cbranch_vccnz .LBB103_3112
; %bb.2154:
	v_mov_b32_e32 v15, 0
	s_cmp_lt_i32 s2, 11
	s_delay_alu instid0(VALU_DEP_1)
	v_add_nc_u64_e32 v[14:15], s[6:7], v[14:15]
	s_cbranch_scc1 .LBB103_2161
; %bb.2155:
	s_cmp_gt_i32 s2, 25
	s_mov_b32 s12, 0
	s_cbranch_scc0 .LBB103_2162
; %bb.2156:
	s_cmp_gt_i32 s2, 28
	s_cbranch_scc0 .LBB103_2163
; %bb.2157:
	s_cmp_gt_i32 s2, 43
	;; [unrolled: 3-line block ×3, first 2 shown]
	s_cbranch_scc0 .LBB103_2166
; %bb.2159:
	s_cmp_eq_u32 s2, 46
	s_mov_b32 s14, 0
	s_cbranch_scc0 .LBB103_2167
; %bb.2160:
	global_load_b32 v7, v[14:15], off
	s_mov_b32 s11, 0
	s_mov_b32 s13, -1
	s_wait_loadcnt 0x0
	s_wait_xcnt 0x1
	v_lshlrev_b32_e32 v16, 16, v7
	s_branch .LBB103_2169
.LBB103_2161:
	s_mov_b32 s11, -1
	s_mov_b32 s13, 0
                                        ; implicit-def: $vgpr16
	s_branch .LBB103_2235
.LBB103_2162:
	s_mov_b32 s14, -1
	s_mov_b32 s13, 0
	s_mov_b32 s11, 0
                                        ; implicit-def: $vgpr16
	s_branch .LBB103_2198
.LBB103_2163:
	s_mov_b32 s14, -1
	s_mov_b32 s13, 0
	s_mov_b32 s11, 0
                                        ; implicit-def: $vgpr16
	s_branch .LBB103_2179
.LBB103_2164:
	s_mov_b32 s14, -1
	s_mov_b32 s13, 0
	s_mov_b32 s11, 0
                                        ; implicit-def: $vgpr16
	s_branch .LBB103_2174
.LBB103_2165:
	s_or_b32 s9, s9, exec_lo
	s_trap 2
	s_cbranch_execz .LBB103_2102
	s_branch .LBB103_2103
.LBB103_2166:
	s_mov_b32 s14, -1
	s_mov_b32 s13, 0
	s_mov_b32 s11, 0
	s_branch .LBB103_2168
.LBB103_2167:
	s_mov_b32 s11, -1
	s_mov_b32 s13, 0
.LBB103_2168:
                                        ; implicit-def: $vgpr16
.LBB103_2169:
	s_and_b32 vcc_lo, exec_lo, s14
	s_cbranch_vccz .LBB103_2173
; %bb.2170:
	s_cmp_eq_u32 s2, 44
	s_cbranch_scc0 .LBB103_2172
; %bb.2171:
	global_load_u8 v7, v[14:15], off
	s_mov_b32 s11, 0
	s_mov_b32 s13, -1
	s_wait_loadcnt 0x0
	v_lshlrev_b32_e32 v9, 23, v7
	v_cmp_ne_u32_e32 vcc_lo, 0xff, v7
	s_delay_alu instid0(VALU_DEP_2) | instskip(SKIP_2) | instid1(VALU_DEP_2)
	v_cndmask_b32_e32 v9, 0x7f800001, v9, vcc_lo
	v_cmp_ne_u32_e32 vcc_lo, 0, v7
	s_wait_xcnt 0x1
	v_cndmask_b32_e32 v16, 0x400000, v9, vcc_lo
	s_branch .LBB103_2173
.LBB103_2172:
	s_mov_b32 s11, -1
                                        ; implicit-def: $vgpr16
.LBB103_2173:
	s_mov_b32 s14, 0
.LBB103_2174:
	s_delay_alu instid0(SALU_CYCLE_1)
	s_and_b32 vcc_lo, exec_lo, s14
	s_cbranch_vccz .LBB103_2178
; %bb.2175:
	s_cmp_eq_u32 s2, 29
	s_cbranch_scc0 .LBB103_2177
; %bb.2176:
	global_load_b64 v[16:17], v[14:15], off
	s_mov_b32 s11, 0
	s_mov_b32 s13, -1
	s_mov_b32 s14, 0
	s_wait_loadcnt 0x0
	v_clz_i32_u32_e32 v7, v17
	s_delay_alu instid0(VALU_DEP_1) | instskip(NEXT) | instid1(VALU_DEP_1)
	v_min_u32_e32 v7, 32, v7
	v_lshlrev_b64_e32 v[16:17], v7, v[16:17]
	v_sub_nc_u32_e32 v7, 32, v7
	s_delay_alu instid0(VALU_DEP_2) | instskip(NEXT) | instid1(VALU_DEP_1)
	v_min_u32_e32 v9, 1, v16
	v_or_b32_e32 v9, v17, v9
	s_delay_alu instid0(VALU_DEP_1) | instskip(NEXT) | instid1(VALU_DEP_1)
	v_cvt_f32_u32_e32 v9, v9
	v_ldexp_f32 v16, v9, v7
	s_branch .LBB103_2179
.LBB103_2177:
	s_mov_b32 s11, -1
                                        ; implicit-def: $vgpr16
.LBB103_2178:
	s_mov_b32 s14, 0
.LBB103_2179:
	s_delay_alu instid0(SALU_CYCLE_1)
	s_and_b32 vcc_lo, exec_lo, s14
	s_cbranch_vccz .LBB103_2197
; %bb.2180:
	s_cmp_lt_i32 s2, 27
	s_cbranch_scc1 .LBB103_2183
; %bb.2181:
	s_cmp_gt_i32 s2, 27
	s_cbranch_scc0 .LBB103_2184
; %bb.2182:
	global_load_b32 v7, v[14:15], off
	s_mov_b32 s13, 0
	s_wait_loadcnt 0x0
	s_wait_xcnt 0x1
	v_cvt_f32_u32_e32 v16, v7
	s_branch .LBB103_2185
.LBB103_2183:
	s_mov_b32 s13, -1
                                        ; implicit-def: $vgpr16
	s_branch .LBB103_2188
.LBB103_2184:
	s_mov_b32 s13, -1
                                        ; implicit-def: $vgpr16
.LBB103_2185:
	s_delay_alu instid0(SALU_CYCLE_1)
	s_and_not1_b32 vcc_lo, exec_lo, s13
	s_cbranch_vccnz .LBB103_2187
; %bb.2186:
	global_load_u16 v7, v[14:15], off
	s_wait_loadcnt 0x0
	s_wait_xcnt 0x1
	v_cvt_f32_u32_e32 v16, v7
.LBB103_2187:
	s_mov_b32 s13, 0
.LBB103_2188:
	s_delay_alu instid0(SALU_CYCLE_1)
	s_and_not1_b32 vcc_lo, exec_lo, s13
	s_cbranch_vccnz .LBB103_2196
; %bb.2189:
	global_load_u8 v7, v[14:15], off
	s_mov_b32 s13, 0
	s_mov_b32 s14, exec_lo
	s_wait_loadcnt 0x0
	v_cmpx_lt_i16_e32 0x7f, v7
	s_xor_b32 s14, exec_lo, s14
	s_cbranch_execz .LBB103_2210
; %bb.2190:
	s_mov_b32 s13, -1
	s_mov_b32 s15, exec_lo
	v_cmpx_eq_u16_e32 0x80, v7
; %bb.2191:
	s_xor_b32 s13, exec_lo, -1
; %bb.2192:
	s_or_b32 exec_lo, exec_lo, s15
	s_delay_alu instid0(SALU_CYCLE_1)
	s_and_b32 s13, s13, exec_lo
	s_or_saveexec_b32 s14, s14
	v_mov_b32_e32 v16, 0x7f800001
	s_xor_b32 exec_lo, exec_lo, s14
	s_cbranch_execnz .LBB103_2211
.LBB103_2193:
	s_or_b32 exec_lo, exec_lo, s14
	s_and_saveexec_b32 s14, s13
	s_cbranch_execz .LBB103_2195
.LBB103_2194:
	v_and_b32_e32 v9, 0xffff, v7
	s_delay_alu instid0(VALU_DEP_1) | instskip(SKIP_1) | instid1(VALU_DEP_2)
	v_dual_lshlrev_b32 v7, 24, v7 :: v_dual_bitop2_b32 v11, 7, v9 bitop3:0x40
	v_bfe_u32 v17, v9, 3, 4
	v_and_b32_e32 v7, 0x80000000, v7
	s_delay_alu instid0(VALU_DEP_3) | instskip(NEXT) | instid1(VALU_DEP_3)
	v_clz_i32_u32_e32 v13, v11
	v_cmp_eq_u32_e32 vcc_lo, 0, v17
	s_delay_alu instid0(VALU_DEP_2) | instskip(NEXT) | instid1(VALU_DEP_1)
	v_min_u32_e32 v13, 32, v13
	v_subrev_nc_u32_e32 v16, 28, v13
	v_sub_nc_u32_e32 v13, 29, v13
	s_delay_alu instid0(VALU_DEP_2) | instskip(NEXT) | instid1(VALU_DEP_2)
	v_lshlrev_b32_e32 v9, v16, v9
	v_cndmask_b32_e32 v13, v17, v13, vcc_lo
	s_delay_alu instid0(VALU_DEP_2) | instskip(NEXT) | instid1(VALU_DEP_1)
	v_and_b32_e32 v9, 7, v9
	v_cndmask_b32_e32 v9, v11, v9, vcc_lo
	s_delay_alu instid0(VALU_DEP_3) | instskip(NEXT) | instid1(VALU_DEP_2)
	v_lshl_add_u32 v11, v13, 23, 0x3b800000
	v_lshlrev_b32_e32 v9, 20, v9
	s_delay_alu instid0(VALU_DEP_1)
	v_or3_b32 v16, v7, v11, v9
.LBB103_2195:
	s_or_b32 exec_lo, exec_lo, s14
.LBB103_2196:
	s_mov_b32 s13, -1
.LBB103_2197:
	s_mov_b32 s14, 0
.LBB103_2198:
	s_delay_alu instid0(SALU_CYCLE_1)
	s_and_b32 vcc_lo, exec_lo, s14
	s_cbranch_vccz .LBB103_2231
; %bb.2199:
	s_cmp_gt_i32 s2, 22
	s_cbranch_scc0 .LBB103_2209
; %bb.2200:
	s_cmp_lt_i32 s2, 24
	s_cbranch_scc1 .LBB103_2212
; %bb.2201:
	s_cmp_gt_i32 s2, 24
	s_cbranch_scc0 .LBB103_2213
; %bb.2202:
	global_load_u8 v7, v[14:15], off
	s_mov_b32 s13, exec_lo
	s_wait_loadcnt 0x0
	v_cmpx_lt_i16_e32 0x7f, v7
	s_xor_b32 s13, exec_lo, s13
	s_cbranch_execz .LBB103_2225
; %bb.2203:
	s_mov_b32 s12, -1
	s_mov_b32 s14, exec_lo
	v_cmpx_eq_u16_e32 0x80, v7
; %bb.2204:
	s_xor_b32 s12, exec_lo, -1
; %bb.2205:
	s_or_b32 exec_lo, exec_lo, s14
	s_delay_alu instid0(SALU_CYCLE_1)
	s_and_b32 s12, s12, exec_lo
	s_or_saveexec_b32 s13, s13
	v_mov_b32_e32 v16, 0x7f800001
	s_xor_b32 exec_lo, exec_lo, s13
	s_cbranch_execnz .LBB103_2226
.LBB103_2206:
	s_or_b32 exec_lo, exec_lo, s13
	s_and_saveexec_b32 s13, s12
	s_cbranch_execz .LBB103_2208
.LBB103_2207:
	v_and_b32_e32 v9, 0xffff, v7
	s_delay_alu instid0(VALU_DEP_1) | instskip(SKIP_1) | instid1(VALU_DEP_2)
	v_dual_lshlrev_b32 v7, 24, v7 :: v_dual_bitop2_b32 v11, 3, v9 bitop3:0x40
	v_bfe_u32 v17, v9, 2, 5
	v_and_b32_e32 v7, 0x80000000, v7
	s_delay_alu instid0(VALU_DEP_3) | instskip(NEXT) | instid1(VALU_DEP_3)
	v_clz_i32_u32_e32 v13, v11
	v_cmp_eq_u32_e32 vcc_lo, 0, v17
	s_delay_alu instid0(VALU_DEP_2) | instskip(NEXT) | instid1(VALU_DEP_1)
	v_min_u32_e32 v13, 32, v13
	v_subrev_nc_u32_e32 v16, 29, v13
	v_sub_nc_u32_e32 v13, 30, v13
	s_delay_alu instid0(VALU_DEP_2) | instskip(NEXT) | instid1(VALU_DEP_2)
	v_lshlrev_b32_e32 v9, v16, v9
	v_cndmask_b32_e32 v13, v17, v13, vcc_lo
	s_delay_alu instid0(VALU_DEP_2) | instskip(NEXT) | instid1(VALU_DEP_1)
	v_and_b32_e32 v9, 3, v9
	v_cndmask_b32_e32 v9, v11, v9, vcc_lo
	s_delay_alu instid0(VALU_DEP_3) | instskip(NEXT) | instid1(VALU_DEP_2)
	v_lshl_add_u32 v11, v13, 23, 0x37800000
	v_lshlrev_b32_e32 v9, 21, v9
	s_delay_alu instid0(VALU_DEP_1)
	v_or3_b32 v16, v7, v11, v9
.LBB103_2208:
	s_or_b32 exec_lo, exec_lo, s13
	s_mov_b32 s12, 0
	s_branch .LBB103_2214
.LBB103_2209:
	s_mov_b32 s12, -1
                                        ; implicit-def: $vgpr16
	s_branch .LBB103_2220
.LBB103_2210:
	s_or_saveexec_b32 s14, s14
	v_mov_b32_e32 v16, 0x7f800001
	s_xor_b32 exec_lo, exec_lo, s14
	s_cbranch_execz .LBB103_2193
.LBB103_2211:
	v_cmp_ne_u16_e32 vcc_lo, 0, v7
	v_mov_b32_e32 v16, 0
	s_and_not1_b32 s13, s13, exec_lo
	s_and_b32 s15, vcc_lo, exec_lo
	s_delay_alu instid0(SALU_CYCLE_1)
	s_or_b32 s13, s13, s15
	s_or_b32 exec_lo, exec_lo, s14
	s_and_saveexec_b32 s14, s13
	s_cbranch_execnz .LBB103_2194
	s_branch .LBB103_2195
.LBB103_2212:
	s_mov_b32 s12, -1
                                        ; implicit-def: $vgpr16
	s_branch .LBB103_2217
.LBB103_2213:
	s_mov_b32 s12, -1
                                        ; implicit-def: $vgpr16
.LBB103_2214:
	s_delay_alu instid0(SALU_CYCLE_1)
	s_and_b32 vcc_lo, exec_lo, s12
	s_cbranch_vccz .LBB103_2216
; %bb.2215:
	global_load_u8 v7, v[14:15], off
	s_wait_loadcnt 0x0
	v_lshlrev_b32_e32 v7, 24, v7
	s_delay_alu instid0(VALU_DEP_1) | instskip(NEXT) | instid1(VALU_DEP_1)
	v_and_b32_e32 v9, 0x7f000000, v7
	v_clz_i32_u32_e32 v11, v9
	v_cmp_ne_u32_e32 vcc_lo, 0, v9
	s_wait_xcnt 0x1
	v_add_nc_u32_e32 v16, 0x1000000, v9
	s_delay_alu instid0(VALU_DEP_3) | instskip(NEXT) | instid1(VALU_DEP_1)
	v_min_u32_e32 v11, 32, v11
	v_sub_nc_u32_e64 v11, v11, 4 clamp
	s_delay_alu instid0(VALU_DEP_1) | instskip(NEXT) | instid1(VALU_DEP_1)
	v_dual_lshlrev_b32 v13, v11, v9 :: v_dual_lshlrev_b32 v11, 23, v11
	v_lshrrev_b32_e32 v13, 4, v13
	s_delay_alu instid0(VALU_DEP_1) | instskip(NEXT) | instid1(VALU_DEP_1)
	v_dual_sub_nc_u32 v11, v13, v11 :: v_dual_ashrrev_i32 v13, 8, v16
	v_add_nc_u32_e32 v11, 0x3c000000, v11
	s_delay_alu instid0(VALU_DEP_1) | instskip(NEXT) | instid1(VALU_DEP_1)
	v_and_or_b32 v11, 0x7f800000, v13, v11
	v_cndmask_b32_e32 v9, 0, v11, vcc_lo
	s_delay_alu instid0(VALU_DEP_1)
	v_and_or_b32 v16, 0x80000000, v7, v9
.LBB103_2216:
	s_mov_b32 s12, 0
.LBB103_2217:
	s_delay_alu instid0(SALU_CYCLE_1)
	s_and_not1_b32 vcc_lo, exec_lo, s12
	s_cbranch_vccnz .LBB103_2219
; %bb.2218:
	global_load_u8 v7, v[14:15], off
	s_wait_loadcnt 0x0
	v_lshlrev_b32_e32 v9, 25, v7
	v_lshlrev_b16 v7, 8, v7
	s_delay_alu instid0(VALU_DEP_1) | instskip(SKIP_1) | instid1(VALU_DEP_2)
	v_and_or_b32 v13, 0x7f00, v7, 0.5
	v_bfe_i32 v7, v7, 0, 16
	v_add_f32_e32 v13, -0.5, v13
	v_lshrrev_b32_e32 v11, 4, v9
	v_cmp_gt_u32_e32 vcc_lo, 0x8000000, v9
	s_delay_alu instid0(VALU_DEP_2) | instskip(NEXT) | instid1(VALU_DEP_1)
	v_or_b32_e32 v11, 0x70000000, v11
	v_mul_f32_e32 v11, 0x7800000, v11
	s_delay_alu instid0(VALU_DEP_1) | instskip(SKIP_1) | instid1(VALU_DEP_1)
	v_cndmask_b32_e32 v9, v11, v13, vcc_lo
	s_wait_xcnt 0x1
	v_and_or_b32 v16, 0x80000000, v7, v9
.LBB103_2219:
	s_mov_b32 s12, 0
	s_mov_b32 s13, -1
.LBB103_2220:
	s_and_not1_b32 vcc_lo, exec_lo, s12
	s_mov_b32 s12, 0
	s_cbranch_vccnz .LBB103_2231
; %bb.2221:
	s_cmp_gt_i32 s2, 14
	s_cbranch_scc0 .LBB103_2224
; %bb.2222:
	s_cmp_eq_u32 s2, 15
	s_cbranch_scc0 .LBB103_2227
; %bb.2223:
	global_load_u16 v7, v[14:15], off
	s_mov_b32 s11, 0
	s_mov_b32 s13, -1
	s_wait_loadcnt 0x0
	s_wait_xcnt 0x1
	v_lshlrev_b32_e32 v16, 16, v7
	s_branch .LBB103_2229
.LBB103_2224:
	s_mov_b32 s12, -1
	s_branch .LBB103_2228
.LBB103_2225:
	s_or_saveexec_b32 s13, s13
	v_mov_b32_e32 v16, 0x7f800001
	s_xor_b32 exec_lo, exec_lo, s13
	s_cbranch_execz .LBB103_2206
.LBB103_2226:
	v_cmp_ne_u16_e32 vcc_lo, 0, v7
	v_mov_b32_e32 v16, 0
	s_and_not1_b32 s12, s12, exec_lo
	s_and_b32 s14, vcc_lo, exec_lo
	s_delay_alu instid0(SALU_CYCLE_1)
	s_or_b32 s12, s12, s14
	s_or_b32 exec_lo, exec_lo, s13
	s_and_saveexec_b32 s13, s12
	s_cbranch_execnz .LBB103_2207
	s_branch .LBB103_2208
.LBB103_2227:
	s_mov_b32 s11, -1
.LBB103_2228:
                                        ; implicit-def: $vgpr16
.LBB103_2229:
	s_and_b32 vcc_lo, exec_lo, s12
	s_mov_b32 s12, 0
	s_cbranch_vccz .LBB103_2231
; %bb.2230:
	s_cmp_lg_u32 s2, 11
	s_mov_b32 s12, -1
	s_cselect_b32 s11, -1, 0
.LBB103_2231:
	s_delay_alu instid0(SALU_CYCLE_1)
	s_and_b32 vcc_lo, exec_lo, s11
	s_cbranch_vccnz .LBB103_2296
; %bb.2232:
	s_and_not1_b32 vcc_lo, exec_lo, s12
	s_cbranch_vccnz .LBB103_2234
.LBB103_2233:
	global_load_u8 v7, v[14:15], off
	s_mov_b32 s13, -1
	s_wait_loadcnt 0x0
	v_cmp_ne_u16_e32 vcc_lo, 0, v7
	s_wait_xcnt 0x1
	v_cndmask_b32_e64 v16, 0, 1.0, vcc_lo
.LBB103_2234:
	s_mov_b32 s11, 0
.LBB103_2235:
	s_delay_alu instid0(SALU_CYCLE_1)
	s_and_b32 vcc_lo, exec_lo, s11
	s_cbranch_vccz .LBB103_2284
; %bb.2236:
	s_cmp_lt_i32 s2, 5
	s_cbranch_scc1 .LBB103_2241
; %bb.2237:
	s_cmp_lt_i32 s2, 8
	s_cbranch_scc1 .LBB103_2242
	;; [unrolled: 3-line block ×3, first 2 shown]
; %bb.2239:
	s_cmp_gt_i32 s2, 9
	s_cbranch_scc0 .LBB103_2244
; %bb.2240:
	global_load_b64 v[16:17], v[14:15], off
	s_mov_b32 s11, 0
	s_wait_loadcnt 0x0
	v_cvt_f32_f64_e32 v16, v[16:17]
	s_branch .LBB103_2245
.LBB103_2241:
	s_mov_b32 s11, -1
                                        ; implicit-def: $vgpr16
	s_branch .LBB103_2263
.LBB103_2242:
	s_mov_b32 s11, -1
                                        ; implicit-def: $vgpr16
	s_branch .LBB103_2251
.LBB103_2243:
	s_mov_b32 s11, -1
                                        ; implicit-def: $vgpr16
	s_branch .LBB103_2248
.LBB103_2244:
	s_mov_b32 s11, -1
                                        ; implicit-def: $vgpr16
.LBB103_2245:
	s_delay_alu instid0(SALU_CYCLE_1)
	s_and_not1_b32 vcc_lo, exec_lo, s11
	s_cbranch_vccnz .LBB103_2247
; %bb.2246:
	global_load_b32 v16, v[14:15], off
.LBB103_2247:
	s_mov_b32 s11, 0
.LBB103_2248:
	s_delay_alu instid0(SALU_CYCLE_1)
	s_and_not1_b32 vcc_lo, exec_lo, s11
	s_cbranch_vccnz .LBB103_2250
; %bb.2249:
	global_load_b32 v7, v[14:15], off
	s_wait_loadcnt 0x0
	s_wait_xcnt 0x1
	v_cvt_f32_f16_e32 v16, v7
.LBB103_2250:
	s_mov_b32 s11, 0
.LBB103_2251:
	s_delay_alu instid0(SALU_CYCLE_1)
	s_and_not1_b32 vcc_lo, exec_lo, s11
	s_cbranch_vccnz .LBB103_2262
; %bb.2252:
	s_cmp_lt_i32 s2, 6
	s_cbranch_scc1 .LBB103_2255
; %bb.2253:
	s_cmp_gt_i32 s2, 6
	s_cbranch_scc0 .LBB103_2256
; %bb.2254:
	s_wait_loadcnt 0x0
	global_load_b64 v[16:17], v[14:15], off
	s_mov_b32 s11, 0
	s_wait_loadcnt 0x0
	v_cvt_f32_f64_e32 v16, v[16:17]
	s_branch .LBB103_2257
.LBB103_2255:
	s_mov_b32 s11, -1
                                        ; implicit-def: $vgpr16
	s_branch .LBB103_2260
.LBB103_2256:
	s_mov_b32 s11, -1
                                        ; implicit-def: $vgpr16
.LBB103_2257:
	s_delay_alu instid0(SALU_CYCLE_1)
	s_and_not1_b32 vcc_lo, exec_lo, s11
	s_cbranch_vccnz .LBB103_2259
; %bb.2258:
	s_wait_loadcnt 0x0
	global_load_b32 v16, v[14:15], off
.LBB103_2259:
	s_mov_b32 s11, 0
.LBB103_2260:
	s_delay_alu instid0(SALU_CYCLE_1)
	s_and_not1_b32 vcc_lo, exec_lo, s11
	s_cbranch_vccnz .LBB103_2262
; %bb.2261:
	global_load_u16 v7, v[14:15], off
	s_wait_loadcnt 0x0
	s_wait_xcnt 0x1
	v_cvt_f32_f16_e32 v16, v7
.LBB103_2262:
	s_mov_b32 s11, 0
.LBB103_2263:
	s_delay_alu instid0(SALU_CYCLE_1)
	s_and_not1_b32 vcc_lo, exec_lo, s11
	s_cbranch_vccnz .LBB103_2283
; %bb.2264:
	s_cmp_lt_i32 s2, 2
	s_cbranch_scc1 .LBB103_2268
; %bb.2265:
	s_cmp_lt_i32 s2, 3
	s_cbranch_scc1 .LBB103_2269
; %bb.2266:
	s_cmp_gt_i32 s2, 3
	s_cbranch_scc0 .LBB103_2270
; %bb.2267:
	s_wait_loadcnt 0x0
	global_load_b64 v[16:17], v[14:15], off
	s_mov_b32 s11, 0
	s_wait_loadcnt 0x0
	v_xor_b32_e32 v7, v16, v17
	v_cls_i32_e32 v9, v17
	s_delay_alu instid0(VALU_DEP_2) | instskip(NEXT) | instid1(VALU_DEP_1)
	v_ashrrev_i32_e32 v7, 31, v7
	v_add_nc_u32_e32 v7, 32, v7
	s_delay_alu instid0(VALU_DEP_1) | instskip(NEXT) | instid1(VALU_DEP_1)
	v_add_min_u32_e64 v7, v9, -1, v7
	v_lshlrev_b64_e32 v[16:17], v7, v[16:17]
	v_sub_nc_u32_e32 v7, 32, v7
	s_delay_alu instid0(VALU_DEP_2) | instskip(NEXT) | instid1(VALU_DEP_1)
	v_min_u32_e32 v9, 1, v16
	v_or_b32_e32 v9, v17, v9
	s_delay_alu instid0(VALU_DEP_1) | instskip(NEXT) | instid1(VALU_DEP_1)
	v_cvt_f32_i32_e32 v9, v9
	v_ldexp_f32 v16, v9, v7
	s_branch .LBB103_2271
.LBB103_2268:
	s_mov_b32 s11, -1
                                        ; implicit-def: $vgpr16
	s_branch .LBB103_2277
.LBB103_2269:
	s_mov_b32 s11, -1
                                        ; implicit-def: $vgpr16
	s_branch .LBB103_2274
.LBB103_2270:
	s_mov_b32 s11, -1
                                        ; implicit-def: $vgpr16
.LBB103_2271:
	s_delay_alu instid0(SALU_CYCLE_1)
	s_and_not1_b32 vcc_lo, exec_lo, s11
	s_cbranch_vccnz .LBB103_2273
; %bb.2272:
	global_load_b32 v7, v[14:15], off
	s_wait_loadcnt 0x0
	s_wait_xcnt 0x1
	v_cvt_f32_i32_e32 v16, v7
.LBB103_2273:
	s_mov_b32 s11, 0
.LBB103_2274:
	s_delay_alu instid0(SALU_CYCLE_1)
	s_and_not1_b32 vcc_lo, exec_lo, s11
	s_cbranch_vccnz .LBB103_2276
; %bb.2275:
	global_load_i16 v7, v[14:15], off
	s_wait_loadcnt 0x0
	s_wait_xcnt 0x1
	v_cvt_f32_i32_e32 v16, v7
.LBB103_2276:
	s_mov_b32 s11, 0
.LBB103_2277:
	s_delay_alu instid0(SALU_CYCLE_1)
	s_and_not1_b32 vcc_lo, exec_lo, s11
	s_cbranch_vccnz .LBB103_2283
; %bb.2278:
	s_cmp_gt_i32 s2, 0
	s_mov_b32 s11, 0
	s_cbranch_scc0 .LBB103_2280
; %bb.2279:
	global_load_i8 v7, v[14:15], off
	s_wait_loadcnt 0x0
	s_wait_xcnt 0x1
	v_cvt_f32_i32_e32 v16, v7
	s_branch .LBB103_2281
.LBB103_2280:
	s_mov_b32 s11, -1
                                        ; implicit-def: $vgpr16
.LBB103_2281:
	s_delay_alu instid0(SALU_CYCLE_1)
	s_and_not1_b32 vcc_lo, exec_lo, s11
	s_cbranch_vccnz .LBB103_2283
; %bb.2282:
	global_load_u8 v7, v[14:15], off
	s_wait_loadcnt 0x0
	s_wait_xcnt 0x1
	v_cvt_f32_ubyte0_e32 v16, v7
.LBB103_2283:
	s_mov_b32 s13, -1
.LBB103_2284:
	s_delay_alu instid0(SALU_CYCLE_1)
	s_and_not1_b32 vcc_lo, exec_lo, s13
	s_cbranch_vccnz .LBB103_3112
; %bb.2285:
	v_mov_b32_e32 v13, 0
	s_cmp_lt_i32 s10, 11
	s_delay_alu instid0(VALU_DEP_1)
	v_add_nc_u64_e32 v[12:13], s[0:1], v[12:13]
	s_cbranch_scc1 .LBB103_2292
; %bb.2286:
	s_cmp_gt_i32 s10, 25
	s_mov_b32 s12, 0
	s_cbranch_scc0 .LBB103_2293
; %bb.2287:
	s_cmp_gt_i32 s10, 28
	s_cbranch_scc0 .LBB103_2294
; %bb.2288:
	s_cmp_gt_i32 s10, 43
	;; [unrolled: 3-line block ×3, first 2 shown]
	s_cbranch_scc0 .LBB103_2297
; %bb.2290:
	s_cmp_eq_u32 s10, 46
	s_mov_b32 s14, 0
	s_cbranch_scc0 .LBB103_2300
; %bb.2291:
	global_load_b32 v7, v[12:13], off
	s_mov_b32 s11, 0
	s_mov_b32 s13, -1
	s_wait_loadcnt 0x0
	s_wait_xcnt 0x1
	v_lshlrev_b32_e32 v14, 16, v7
	s_branch .LBB103_2302
.LBB103_2292:
	s_mov_b32 s11, -1
	s_mov_b32 s13, 0
                                        ; implicit-def: $vgpr14
	s_branch .LBB103_2368
.LBB103_2293:
	s_mov_b32 s14, -1
	s_mov_b32 s13, 0
	s_mov_b32 s11, 0
                                        ; implicit-def: $vgpr14
	s_branch .LBB103_2331
.LBB103_2294:
	s_mov_b32 s14, -1
	s_mov_b32 s13, 0
	s_mov_b32 s11, 0
                                        ; implicit-def: $vgpr14
	s_branch .LBB103_2312
.LBB103_2295:
	s_mov_b32 s14, -1
	s_mov_b32 s13, 0
	s_mov_b32 s11, 0
                                        ; implicit-def: $vgpr14
	s_branch .LBB103_2307
.LBB103_2296:
	s_or_b32 s9, s9, exec_lo
	s_trap 2
	s_cbranch_execz .LBB103_2233
	s_branch .LBB103_2234
.LBB103_2297:
	s_mov_b32 s14, -1
	s_mov_b32 s13, 0
	s_mov_b32 s11, 0
	s_branch .LBB103_2301
.LBB103_2298:
	s_and_not1_saveexec_b32 s53, s53
	s_cbranch_execz .LBB103_1121
.LBB103_2299:
	v_add_f32_e32 v1, 0x42800000, v4
	s_and_not1_b32 s52, s52, exec_lo
	s_delay_alu instid0(VALU_DEP_1) | instskip(NEXT) | instid1(VALU_DEP_1)
	v_and_b32_e32 v1, 0xff, v1
	v_cmp_ne_u32_e32 vcc_lo, 0, v1
	s_and_b32 s54, vcc_lo, exec_lo
	s_delay_alu instid0(SALU_CYCLE_1)
	s_or_b32 s52, s52, s54
	s_or_b32 exec_lo, exec_lo, s53
	v_mov_b32_e32 v5, 0
	s_and_saveexec_b32 s53, s52
	s_cbranch_execnz .LBB103_1122
	s_branch .LBB103_1123
.LBB103_2300:
	s_mov_b32 s11, -1
	s_mov_b32 s13, 0
.LBB103_2301:
                                        ; implicit-def: $vgpr14
.LBB103_2302:
	s_and_b32 vcc_lo, exec_lo, s14
	s_cbranch_vccz .LBB103_2306
; %bb.2303:
	s_cmp_eq_u32 s10, 44
	s_cbranch_scc0 .LBB103_2305
; %bb.2304:
	global_load_u8 v7, v[12:13], off
	s_mov_b32 s11, 0
	s_mov_b32 s13, -1
	s_wait_loadcnt 0x0
	v_lshlrev_b32_e32 v9, 23, v7
	v_cmp_ne_u32_e32 vcc_lo, 0xff, v7
	s_delay_alu instid0(VALU_DEP_2) | instskip(SKIP_2) | instid1(VALU_DEP_2)
	v_cndmask_b32_e32 v9, 0x7f800001, v9, vcc_lo
	v_cmp_ne_u32_e32 vcc_lo, 0, v7
	s_wait_xcnt 0x1
	v_cndmask_b32_e32 v14, 0x400000, v9, vcc_lo
	s_branch .LBB103_2306
.LBB103_2305:
	s_mov_b32 s11, -1
                                        ; implicit-def: $vgpr14
.LBB103_2306:
	s_mov_b32 s14, 0
.LBB103_2307:
	s_delay_alu instid0(SALU_CYCLE_1)
	s_and_b32 vcc_lo, exec_lo, s14
	s_cbranch_vccz .LBB103_2311
; %bb.2308:
	s_cmp_eq_u32 s10, 29
	s_cbranch_scc0 .LBB103_2310
; %bb.2309:
	global_load_b64 v[14:15], v[12:13], off
	s_mov_b32 s11, 0
	s_mov_b32 s13, -1
	s_mov_b32 s14, 0
	s_wait_loadcnt 0x0
	v_clz_i32_u32_e32 v7, v15
	s_delay_alu instid0(VALU_DEP_1) | instskip(NEXT) | instid1(VALU_DEP_1)
	v_min_u32_e32 v7, 32, v7
	v_lshlrev_b64_e32 v[14:15], v7, v[14:15]
	v_sub_nc_u32_e32 v7, 32, v7
	s_delay_alu instid0(VALU_DEP_2) | instskip(NEXT) | instid1(VALU_DEP_1)
	v_min_u32_e32 v9, 1, v14
	v_or_b32_e32 v9, v15, v9
	s_delay_alu instid0(VALU_DEP_1) | instskip(NEXT) | instid1(VALU_DEP_1)
	v_cvt_f32_u32_e32 v9, v9
	v_ldexp_f32 v14, v9, v7
	s_branch .LBB103_2312
.LBB103_2310:
	s_mov_b32 s11, -1
                                        ; implicit-def: $vgpr14
.LBB103_2311:
	s_mov_b32 s14, 0
.LBB103_2312:
	s_delay_alu instid0(SALU_CYCLE_1)
	s_and_b32 vcc_lo, exec_lo, s14
	s_cbranch_vccz .LBB103_2330
; %bb.2313:
	s_cmp_lt_i32 s10, 27
	s_cbranch_scc1 .LBB103_2316
; %bb.2314:
	s_cmp_gt_i32 s10, 27
	s_cbranch_scc0 .LBB103_2317
; %bb.2315:
	global_load_b32 v7, v[12:13], off
	s_mov_b32 s13, 0
	s_wait_loadcnt 0x0
	s_wait_xcnt 0x1
	v_cvt_f32_u32_e32 v14, v7
	s_branch .LBB103_2318
.LBB103_2316:
	s_mov_b32 s13, -1
                                        ; implicit-def: $vgpr14
	s_branch .LBB103_2321
.LBB103_2317:
	s_mov_b32 s13, -1
                                        ; implicit-def: $vgpr14
.LBB103_2318:
	s_delay_alu instid0(SALU_CYCLE_1)
	s_and_not1_b32 vcc_lo, exec_lo, s13
	s_cbranch_vccnz .LBB103_2320
; %bb.2319:
	global_load_u16 v7, v[12:13], off
	s_wait_loadcnt 0x0
	s_wait_xcnt 0x1
	v_cvt_f32_u32_e32 v14, v7
.LBB103_2320:
	s_mov_b32 s13, 0
.LBB103_2321:
	s_delay_alu instid0(SALU_CYCLE_1)
	s_and_not1_b32 vcc_lo, exec_lo, s13
	s_cbranch_vccnz .LBB103_2329
; %bb.2322:
	global_load_u8 v7, v[12:13], off
	s_mov_b32 s13, 0
	s_mov_b32 s14, exec_lo
	s_wait_loadcnt 0x0
	v_cmpx_lt_i16_e32 0x7f, v7
	s_xor_b32 s14, exec_lo, s14
	s_cbranch_execz .LBB103_2343
; %bb.2323:
	s_mov_b32 s13, -1
	s_mov_b32 s15, exec_lo
	v_cmpx_eq_u16_e32 0x80, v7
; %bb.2324:
	s_xor_b32 s13, exec_lo, -1
; %bb.2325:
	s_or_b32 exec_lo, exec_lo, s15
	s_delay_alu instid0(SALU_CYCLE_1)
	s_and_b32 s13, s13, exec_lo
	s_or_saveexec_b32 s14, s14
	v_mov_b32_e32 v14, 0x7f800001
	s_xor_b32 exec_lo, exec_lo, s14
	s_cbranch_execnz .LBB103_2344
.LBB103_2326:
	s_or_b32 exec_lo, exec_lo, s14
	s_and_saveexec_b32 s14, s13
	s_cbranch_execz .LBB103_2328
.LBB103_2327:
	v_and_b32_e32 v9, 0xffff, v7
	s_delay_alu instid0(VALU_DEP_1) | instskip(SKIP_1) | instid1(VALU_DEP_2)
	v_and_b32_e32 v11, 7, v9
	v_bfe_u32 v17, v9, 3, 4
	v_clz_i32_u32_e32 v14, v11
	s_delay_alu instid0(VALU_DEP_2) | instskip(NEXT) | instid1(VALU_DEP_2)
	v_cmp_eq_u32_e32 vcc_lo, 0, v17
	v_min_u32_e32 v14, 32, v14
	s_delay_alu instid0(VALU_DEP_1) | instskip(NEXT) | instid1(VALU_DEP_1)
	v_subrev_nc_u32_e32 v15, 28, v14
	v_dual_lshlrev_b32 v9, v15, v9 :: v_dual_sub_nc_u32 v14, 29, v14
	s_delay_alu instid0(VALU_DEP_1) | instskip(NEXT) | instid1(VALU_DEP_1)
	v_dual_lshlrev_b32 v7, 24, v7 :: v_dual_bitop2_b32 v9, 7, v9 bitop3:0x40
	v_dual_cndmask_b32 v14, v17, v14 :: v_dual_cndmask_b32 v9, v11, v9
	s_delay_alu instid0(VALU_DEP_2) | instskip(NEXT) | instid1(VALU_DEP_2)
	v_and_b32_e32 v7, 0x80000000, v7
	v_lshl_add_u32 v11, v14, 23, 0x3b800000
	s_delay_alu instid0(VALU_DEP_3) | instskip(NEXT) | instid1(VALU_DEP_1)
	v_lshlrev_b32_e32 v9, 20, v9
	v_or3_b32 v14, v7, v11, v9
.LBB103_2328:
	s_or_b32 exec_lo, exec_lo, s14
.LBB103_2329:
	s_mov_b32 s13, -1
.LBB103_2330:
	s_mov_b32 s14, 0
.LBB103_2331:
	s_delay_alu instid0(SALU_CYCLE_1)
	s_and_b32 vcc_lo, exec_lo, s14
	s_cbranch_vccz .LBB103_2364
; %bb.2332:
	s_cmp_gt_i32 s10, 22
	s_cbranch_scc0 .LBB103_2342
; %bb.2333:
	s_cmp_lt_i32 s10, 24
	s_cbranch_scc1 .LBB103_2345
; %bb.2334:
	s_cmp_gt_i32 s10, 24
	s_cbranch_scc0 .LBB103_2346
; %bb.2335:
	global_load_u8 v7, v[12:13], off
	s_mov_b32 s13, exec_lo
	s_wait_loadcnt 0x0
	v_cmpx_lt_i16_e32 0x7f, v7
	s_xor_b32 s13, exec_lo, s13
	s_cbranch_execz .LBB103_2358
; %bb.2336:
	s_mov_b32 s12, -1
	s_mov_b32 s14, exec_lo
	v_cmpx_eq_u16_e32 0x80, v7
; %bb.2337:
	s_xor_b32 s12, exec_lo, -1
; %bb.2338:
	s_or_b32 exec_lo, exec_lo, s14
	s_delay_alu instid0(SALU_CYCLE_1)
	s_and_b32 s12, s12, exec_lo
	s_or_saveexec_b32 s13, s13
	v_mov_b32_e32 v14, 0x7f800001
	s_xor_b32 exec_lo, exec_lo, s13
	s_cbranch_execnz .LBB103_2359
.LBB103_2339:
	s_or_b32 exec_lo, exec_lo, s13
	s_and_saveexec_b32 s13, s12
	s_cbranch_execz .LBB103_2341
.LBB103_2340:
	v_and_b32_e32 v9, 0xffff, v7
	s_delay_alu instid0(VALU_DEP_1) | instskip(SKIP_1) | instid1(VALU_DEP_2)
	v_and_b32_e32 v11, 3, v9
	v_bfe_u32 v17, v9, 2, 5
	v_clz_i32_u32_e32 v14, v11
	s_delay_alu instid0(VALU_DEP_2) | instskip(NEXT) | instid1(VALU_DEP_2)
	v_cmp_eq_u32_e32 vcc_lo, 0, v17
	v_min_u32_e32 v14, 32, v14
	s_delay_alu instid0(VALU_DEP_1) | instskip(NEXT) | instid1(VALU_DEP_1)
	v_subrev_nc_u32_e32 v15, 29, v14
	v_dual_lshlrev_b32 v9, v15, v9 :: v_dual_sub_nc_u32 v14, 30, v14
	s_delay_alu instid0(VALU_DEP_1) | instskip(NEXT) | instid1(VALU_DEP_1)
	v_dual_lshlrev_b32 v7, 24, v7 :: v_dual_bitop2_b32 v9, 3, v9 bitop3:0x40
	v_dual_cndmask_b32 v14, v17, v14 :: v_dual_cndmask_b32 v9, v11, v9
	s_delay_alu instid0(VALU_DEP_2) | instskip(NEXT) | instid1(VALU_DEP_2)
	v_and_b32_e32 v7, 0x80000000, v7
	v_lshl_add_u32 v11, v14, 23, 0x37800000
	s_delay_alu instid0(VALU_DEP_3) | instskip(NEXT) | instid1(VALU_DEP_1)
	v_lshlrev_b32_e32 v9, 21, v9
	v_or3_b32 v14, v7, v11, v9
.LBB103_2341:
	s_or_b32 exec_lo, exec_lo, s13
	s_mov_b32 s12, 0
	s_branch .LBB103_2347
.LBB103_2342:
	s_mov_b32 s12, -1
                                        ; implicit-def: $vgpr14
	s_branch .LBB103_2353
.LBB103_2343:
	s_or_saveexec_b32 s14, s14
	v_mov_b32_e32 v14, 0x7f800001
	s_xor_b32 exec_lo, exec_lo, s14
	s_cbranch_execz .LBB103_2326
.LBB103_2344:
	v_cmp_ne_u16_e32 vcc_lo, 0, v7
	v_mov_b32_e32 v14, 0
	s_and_not1_b32 s13, s13, exec_lo
	s_and_b32 s15, vcc_lo, exec_lo
	s_delay_alu instid0(SALU_CYCLE_1)
	s_or_b32 s13, s13, s15
	s_or_b32 exec_lo, exec_lo, s14
	s_and_saveexec_b32 s14, s13
	s_cbranch_execnz .LBB103_2327
	s_branch .LBB103_2328
.LBB103_2345:
	s_mov_b32 s12, -1
                                        ; implicit-def: $vgpr14
	s_branch .LBB103_2350
.LBB103_2346:
	s_mov_b32 s12, -1
                                        ; implicit-def: $vgpr14
.LBB103_2347:
	s_delay_alu instid0(SALU_CYCLE_1)
	s_and_b32 vcc_lo, exec_lo, s12
	s_cbranch_vccz .LBB103_2349
; %bb.2348:
	global_load_u8 v7, v[12:13], off
	s_wait_loadcnt 0x0
	v_lshlrev_b32_e32 v7, 24, v7
	s_delay_alu instid0(VALU_DEP_1) | instskip(NEXT) | instid1(VALU_DEP_1)
	v_and_b32_e32 v9, 0x7f000000, v7
	v_clz_i32_u32_e32 v11, v9
	s_wait_xcnt 0x1
	v_add_nc_u32_e32 v15, 0x1000000, v9
	v_cmp_ne_u32_e32 vcc_lo, 0, v9
	s_delay_alu instid0(VALU_DEP_3) | instskip(NEXT) | instid1(VALU_DEP_1)
	v_min_u32_e32 v11, 32, v11
	v_sub_nc_u32_e64 v11, v11, 4 clamp
	s_delay_alu instid0(VALU_DEP_1) | instskip(NEXT) | instid1(VALU_DEP_1)
	v_dual_lshlrev_b32 v14, v11, v9 :: v_dual_lshlrev_b32 v11, 23, v11
	v_lshrrev_b32_e32 v14, 4, v14
	s_delay_alu instid0(VALU_DEP_1) | instskip(SKIP_1) | instid1(VALU_DEP_2)
	v_sub_nc_u32_e32 v11, v14, v11
	v_ashrrev_i32_e32 v14, 8, v15
	v_add_nc_u32_e32 v11, 0x3c000000, v11
	s_delay_alu instid0(VALU_DEP_1) | instskip(NEXT) | instid1(VALU_DEP_1)
	v_and_or_b32 v11, 0x7f800000, v14, v11
	v_cndmask_b32_e32 v9, 0, v11, vcc_lo
	s_delay_alu instid0(VALU_DEP_1)
	v_and_or_b32 v14, 0x80000000, v7, v9
.LBB103_2349:
	s_mov_b32 s12, 0
.LBB103_2350:
	s_delay_alu instid0(SALU_CYCLE_1)
	s_and_not1_b32 vcc_lo, exec_lo, s12
	s_cbranch_vccnz .LBB103_2352
; %bb.2351:
	global_load_u8 v7, v[12:13], off
	s_wait_loadcnt 0x0
	v_lshlrev_b32_e32 v9, 25, v7
	v_lshlrev_b16 v7, 8, v7
	s_wait_xcnt 0x1
	s_delay_alu instid0(VALU_DEP_1) | instskip(SKIP_1) | instid1(VALU_DEP_2)
	v_and_or_b32 v14, 0x7f00, v7, 0.5
	v_bfe_i32 v7, v7, 0, 16
	v_dual_add_f32 v14, -0.5, v14 :: v_dual_lshrrev_b32 v11, 4, v9
	v_cmp_gt_u32_e32 vcc_lo, 0x8000000, v9
	s_delay_alu instid0(VALU_DEP_2) | instskip(NEXT) | instid1(VALU_DEP_1)
	v_or_b32_e32 v11, 0x70000000, v11
	v_mul_f32_e32 v11, 0x7800000, v11
	s_delay_alu instid0(VALU_DEP_1) | instskip(NEXT) | instid1(VALU_DEP_1)
	v_cndmask_b32_e32 v9, v11, v14, vcc_lo
	v_and_or_b32 v14, 0x80000000, v7, v9
.LBB103_2352:
	s_mov_b32 s12, 0
	s_mov_b32 s13, -1
.LBB103_2353:
	s_and_not1_b32 vcc_lo, exec_lo, s12
	s_mov_b32 s12, 0
	s_cbranch_vccnz .LBB103_2364
; %bb.2354:
	s_cmp_gt_i32 s10, 14
	s_cbranch_scc0 .LBB103_2357
; %bb.2355:
	s_cmp_eq_u32 s10, 15
	s_cbranch_scc0 .LBB103_2360
; %bb.2356:
	global_load_u16 v7, v[12:13], off
	s_mov_b32 s11, 0
	s_mov_b32 s13, -1
	s_wait_loadcnt 0x0
	s_wait_xcnt 0x1
	v_lshlrev_b32_e32 v14, 16, v7
	s_branch .LBB103_2362
.LBB103_2357:
	s_mov_b32 s12, -1
	s_branch .LBB103_2361
.LBB103_2358:
	s_or_saveexec_b32 s13, s13
	v_mov_b32_e32 v14, 0x7f800001
	s_xor_b32 exec_lo, exec_lo, s13
	s_cbranch_execz .LBB103_2339
.LBB103_2359:
	v_cmp_ne_u16_e32 vcc_lo, 0, v7
	v_mov_b32_e32 v14, 0
	s_and_not1_b32 s12, s12, exec_lo
	s_and_b32 s14, vcc_lo, exec_lo
	s_delay_alu instid0(SALU_CYCLE_1)
	s_or_b32 s12, s12, s14
	s_or_b32 exec_lo, exec_lo, s13
	s_and_saveexec_b32 s13, s12
	s_cbranch_execnz .LBB103_2340
	s_branch .LBB103_2341
.LBB103_2360:
	s_mov_b32 s11, -1
.LBB103_2361:
                                        ; implicit-def: $vgpr14
.LBB103_2362:
	s_and_b32 vcc_lo, exec_lo, s12
	s_mov_b32 s12, 0
	s_cbranch_vccz .LBB103_2364
; %bb.2363:
	s_cmp_lg_u32 s10, 11
	s_mov_b32 s12, -1
	s_cselect_b32 s11, -1, 0
.LBB103_2364:
	s_delay_alu instid0(SALU_CYCLE_1)
	s_and_b32 vcc_lo, exec_lo, s11
	s_cbranch_vccnz .LBB103_2429
; %bb.2365:
	s_and_not1_b32 vcc_lo, exec_lo, s12
	s_cbranch_vccnz .LBB103_2367
.LBB103_2366:
	global_load_u8 v7, v[12:13], off
	s_mov_b32 s13, -1
	s_wait_loadcnt 0x0
	v_cmp_ne_u16_e32 vcc_lo, 0, v7
	s_wait_xcnt 0x1
	v_cndmask_b32_e64 v14, 0, 1.0, vcc_lo
.LBB103_2367:
	s_mov_b32 s11, 0
.LBB103_2368:
	s_delay_alu instid0(SALU_CYCLE_1)
	s_and_b32 vcc_lo, exec_lo, s11
	s_cbranch_vccz .LBB103_2417
; %bb.2369:
	s_cmp_lt_i32 s10, 5
	s_cbranch_scc1 .LBB103_2374
; %bb.2370:
	s_cmp_lt_i32 s10, 8
	s_cbranch_scc1 .LBB103_2375
	;; [unrolled: 3-line block ×3, first 2 shown]
; %bb.2372:
	s_cmp_gt_i32 s10, 9
	s_cbranch_scc0 .LBB103_2377
; %bb.2373:
	global_load_b64 v[14:15], v[12:13], off
	s_mov_b32 s11, 0
	s_wait_loadcnt 0x0
	v_cvt_f32_f64_e32 v14, v[14:15]
	s_branch .LBB103_2378
.LBB103_2374:
	s_mov_b32 s11, -1
                                        ; implicit-def: $vgpr14
	s_branch .LBB103_2396
.LBB103_2375:
	s_mov_b32 s11, -1
                                        ; implicit-def: $vgpr14
	s_branch .LBB103_2384
.LBB103_2376:
	s_mov_b32 s11, -1
                                        ; implicit-def: $vgpr14
	s_branch .LBB103_2381
.LBB103_2377:
	s_mov_b32 s11, -1
                                        ; implicit-def: $vgpr14
.LBB103_2378:
	s_delay_alu instid0(SALU_CYCLE_1)
	s_and_not1_b32 vcc_lo, exec_lo, s11
	s_cbranch_vccnz .LBB103_2380
; %bb.2379:
	global_load_b32 v14, v[12:13], off
.LBB103_2380:
	s_mov_b32 s11, 0
.LBB103_2381:
	s_delay_alu instid0(SALU_CYCLE_1)
	s_and_not1_b32 vcc_lo, exec_lo, s11
	s_cbranch_vccnz .LBB103_2383
; %bb.2382:
	global_load_b32 v7, v[12:13], off
	s_wait_loadcnt 0x0
	s_wait_xcnt 0x1
	v_cvt_f32_f16_e32 v14, v7
.LBB103_2383:
	s_mov_b32 s11, 0
.LBB103_2384:
	s_delay_alu instid0(SALU_CYCLE_1)
	s_and_not1_b32 vcc_lo, exec_lo, s11
	s_cbranch_vccnz .LBB103_2395
; %bb.2385:
	s_cmp_lt_i32 s10, 6
	s_cbranch_scc1 .LBB103_2388
; %bb.2386:
	s_cmp_gt_i32 s10, 6
	s_cbranch_scc0 .LBB103_2389
; %bb.2387:
	s_wait_loadcnt 0x0
	global_load_b64 v[14:15], v[12:13], off
	s_mov_b32 s11, 0
	s_wait_loadcnt 0x0
	v_cvt_f32_f64_e32 v14, v[14:15]
	s_branch .LBB103_2390
.LBB103_2388:
	s_mov_b32 s11, -1
                                        ; implicit-def: $vgpr14
	s_branch .LBB103_2393
.LBB103_2389:
	s_mov_b32 s11, -1
                                        ; implicit-def: $vgpr14
.LBB103_2390:
	s_delay_alu instid0(SALU_CYCLE_1)
	s_and_not1_b32 vcc_lo, exec_lo, s11
	s_cbranch_vccnz .LBB103_2392
; %bb.2391:
	s_wait_loadcnt 0x0
	global_load_b32 v14, v[12:13], off
.LBB103_2392:
	s_mov_b32 s11, 0
.LBB103_2393:
	s_delay_alu instid0(SALU_CYCLE_1)
	s_and_not1_b32 vcc_lo, exec_lo, s11
	s_cbranch_vccnz .LBB103_2395
; %bb.2394:
	global_load_u16 v7, v[12:13], off
	s_wait_loadcnt 0x0
	s_wait_xcnt 0x1
	v_cvt_f32_f16_e32 v14, v7
.LBB103_2395:
	s_mov_b32 s11, 0
.LBB103_2396:
	s_delay_alu instid0(SALU_CYCLE_1)
	s_and_not1_b32 vcc_lo, exec_lo, s11
	s_cbranch_vccnz .LBB103_2416
; %bb.2397:
	s_cmp_lt_i32 s10, 2
	s_cbranch_scc1 .LBB103_2401
; %bb.2398:
	s_cmp_lt_i32 s10, 3
	s_cbranch_scc1 .LBB103_2402
; %bb.2399:
	s_cmp_gt_i32 s10, 3
	s_cbranch_scc0 .LBB103_2403
; %bb.2400:
	s_wait_loadcnt 0x0
	global_load_b64 v[14:15], v[12:13], off
	s_mov_b32 s11, 0
	s_wait_loadcnt 0x0
	v_xor_b32_e32 v7, v14, v15
	v_cls_i32_e32 v9, v15
	s_delay_alu instid0(VALU_DEP_2) | instskip(NEXT) | instid1(VALU_DEP_1)
	v_ashrrev_i32_e32 v7, 31, v7
	v_add_nc_u32_e32 v7, 32, v7
	s_delay_alu instid0(VALU_DEP_1) | instskip(NEXT) | instid1(VALU_DEP_1)
	v_add_min_u32_e64 v7, v9, -1, v7
	v_lshlrev_b64_e32 v[14:15], v7, v[14:15]
	v_sub_nc_u32_e32 v7, 32, v7
	s_delay_alu instid0(VALU_DEP_2) | instskip(NEXT) | instid1(VALU_DEP_1)
	v_min_u32_e32 v9, 1, v14
	v_or_b32_e32 v9, v15, v9
	s_delay_alu instid0(VALU_DEP_1) | instskip(NEXT) | instid1(VALU_DEP_1)
	v_cvt_f32_i32_e32 v9, v9
	v_ldexp_f32 v14, v9, v7
	s_branch .LBB103_2404
.LBB103_2401:
	s_mov_b32 s11, -1
                                        ; implicit-def: $vgpr14
	s_branch .LBB103_2410
.LBB103_2402:
	s_mov_b32 s11, -1
                                        ; implicit-def: $vgpr14
	s_branch .LBB103_2407
.LBB103_2403:
	s_mov_b32 s11, -1
                                        ; implicit-def: $vgpr14
.LBB103_2404:
	s_delay_alu instid0(SALU_CYCLE_1)
	s_and_not1_b32 vcc_lo, exec_lo, s11
	s_cbranch_vccnz .LBB103_2406
; %bb.2405:
	global_load_b32 v7, v[12:13], off
	s_wait_loadcnt 0x0
	s_wait_xcnt 0x1
	v_cvt_f32_i32_e32 v14, v7
.LBB103_2406:
	s_mov_b32 s11, 0
.LBB103_2407:
	s_delay_alu instid0(SALU_CYCLE_1)
	s_and_not1_b32 vcc_lo, exec_lo, s11
	s_cbranch_vccnz .LBB103_2409
; %bb.2408:
	global_load_i16 v7, v[12:13], off
	s_wait_loadcnt 0x0
	s_wait_xcnt 0x1
	v_cvt_f32_i32_e32 v14, v7
.LBB103_2409:
	s_mov_b32 s11, 0
.LBB103_2410:
	s_delay_alu instid0(SALU_CYCLE_1)
	s_and_not1_b32 vcc_lo, exec_lo, s11
	s_cbranch_vccnz .LBB103_2416
; %bb.2411:
	s_cmp_gt_i32 s10, 0
	s_mov_b32 s11, 0
	s_cbranch_scc0 .LBB103_2413
; %bb.2412:
	global_load_i8 v7, v[12:13], off
	s_wait_loadcnt 0x0
	s_wait_xcnt 0x1
	v_cvt_f32_i32_e32 v14, v7
	s_branch .LBB103_2414
.LBB103_2413:
	s_mov_b32 s11, -1
                                        ; implicit-def: $vgpr14
.LBB103_2414:
	s_delay_alu instid0(SALU_CYCLE_1)
	s_and_not1_b32 vcc_lo, exec_lo, s11
	s_cbranch_vccnz .LBB103_2416
; %bb.2415:
	global_load_u8 v7, v[12:13], off
	s_wait_loadcnt 0x0
	s_wait_xcnt 0x1
	v_cvt_f32_ubyte0_e32 v14, v7
.LBB103_2416:
	s_mov_b32 s13, -1
.LBB103_2417:
	s_delay_alu instid0(SALU_CYCLE_1)
	s_and_not1_b32 vcc_lo, exec_lo, s13
	s_cbranch_vccnz .LBB103_3112
; %bb.2418:
	v_mov_b32_e32 v11, 0
	s_cmp_lt_i32 s2, 11
	s_delay_alu instid0(VALU_DEP_1)
	v_add_nc_u64_e32 v[10:11], s[6:7], v[10:11]
	s_cbranch_scc1 .LBB103_2425
; %bb.2419:
	s_cmp_gt_i32 s2, 25
	s_mov_b32 s7, 0
	s_cbranch_scc0 .LBB103_2426
; %bb.2420:
	s_cmp_gt_i32 s2, 28
	s_cbranch_scc0 .LBB103_2427
; %bb.2421:
	s_cmp_gt_i32 s2, 43
	;; [unrolled: 3-line block ×3, first 2 shown]
	s_cbranch_scc0 .LBB103_2430
; %bb.2423:
	s_cmp_eq_u32 s2, 46
	s_mov_b32 s12, 0
	s_cbranch_scc0 .LBB103_2431
; %bb.2424:
	global_load_b32 v7, v[10:11], off
	s_mov_b32 s6, 0
	s_mov_b32 s11, -1
	s_wait_loadcnt 0x0
	s_wait_xcnt 0x1
	v_lshlrev_b32_e32 v12, 16, v7
	s_branch .LBB103_2433
.LBB103_2425:
	s_mov_b32 s6, -1
	s_mov_b32 s11, 0
                                        ; implicit-def: $vgpr12
	s_branch .LBB103_2499
.LBB103_2426:
	s_mov_b32 s12, -1
	s_mov_b32 s11, 0
	s_mov_b32 s6, 0
                                        ; implicit-def: $vgpr12
	s_branch .LBB103_2462
.LBB103_2427:
	s_mov_b32 s12, -1
	s_mov_b32 s11, 0
	s_mov_b32 s6, 0
                                        ; implicit-def: $vgpr12
	s_branch .LBB103_2443
.LBB103_2428:
	s_mov_b32 s12, -1
	s_mov_b32 s11, 0
	s_mov_b32 s6, 0
                                        ; implicit-def: $vgpr12
	s_branch .LBB103_2438
.LBB103_2429:
	s_or_b32 s9, s9, exec_lo
	s_trap 2
	s_cbranch_execz .LBB103_2366
	s_branch .LBB103_2367
.LBB103_2430:
	s_mov_b32 s12, -1
	s_mov_b32 s11, 0
	s_mov_b32 s6, 0
	s_branch .LBB103_2432
.LBB103_2431:
	s_mov_b32 s6, -1
	s_mov_b32 s11, 0
.LBB103_2432:
                                        ; implicit-def: $vgpr12
.LBB103_2433:
	s_and_b32 vcc_lo, exec_lo, s12
	s_cbranch_vccz .LBB103_2437
; %bb.2434:
	s_cmp_eq_u32 s2, 44
	s_cbranch_scc0 .LBB103_2436
; %bb.2435:
	global_load_u8 v7, v[10:11], off
	s_mov_b32 s6, 0
	s_mov_b32 s11, -1
	s_wait_loadcnt 0x0
	v_lshlrev_b32_e32 v9, 23, v7
	v_cmp_ne_u32_e32 vcc_lo, 0xff, v7
	s_delay_alu instid0(VALU_DEP_2) | instskip(SKIP_2) | instid1(VALU_DEP_2)
	v_cndmask_b32_e32 v9, 0x7f800001, v9, vcc_lo
	v_cmp_ne_u32_e32 vcc_lo, 0, v7
	s_wait_xcnt 0x1
	v_cndmask_b32_e32 v12, 0x400000, v9, vcc_lo
	s_branch .LBB103_2437
.LBB103_2436:
	s_mov_b32 s6, -1
                                        ; implicit-def: $vgpr12
.LBB103_2437:
	s_mov_b32 s12, 0
.LBB103_2438:
	s_delay_alu instid0(SALU_CYCLE_1)
	s_and_b32 vcc_lo, exec_lo, s12
	s_cbranch_vccz .LBB103_2442
; %bb.2439:
	s_cmp_eq_u32 s2, 29
	s_cbranch_scc0 .LBB103_2441
; %bb.2440:
	global_load_b64 v[12:13], v[10:11], off
	s_mov_b32 s6, 0
	s_mov_b32 s11, -1
	s_mov_b32 s12, 0
	s_wait_loadcnt 0x0
	v_clz_i32_u32_e32 v7, v13
	s_delay_alu instid0(VALU_DEP_1) | instskip(NEXT) | instid1(VALU_DEP_1)
	v_min_u32_e32 v7, 32, v7
	v_lshlrev_b64_e32 v[12:13], v7, v[12:13]
	v_sub_nc_u32_e32 v7, 32, v7
	s_delay_alu instid0(VALU_DEP_2) | instskip(NEXT) | instid1(VALU_DEP_1)
	v_min_u32_e32 v9, 1, v12
	v_or_b32_e32 v9, v13, v9
	s_delay_alu instid0(VALU_DEP_1) | instskip(NEXT) | instid1(VALU_DEP_1)
	v_cvt_f32_u32_e32 v9, v9
	v_ldexp_f32 v12, v9, v7
	s_branch .LBB103_2443
.LBB103_2441:
	s_mov_b32 s6, -1
                                        ; implicit-def: $vgpr12
.LBB103_2442:
	s_mov_b32 s12, 0
.LBB103_2443:
	s_delay_alu instid0(SALU_CYCLE_1)
	s_and_b32 vcc_lo, exec_lo, s12
	s_cbranch_vccz .LBB103_2461
; %bb.2444:
	s_cmp_lt_i32 s2, 27
	s_cbranch_scc1 .LBB103_2447
; %bb.2445:
	s_cmp_gt_i32 s2, 27
	s_cbranch_scc0 .LBB103_2448
; %bb.2446:
	global_load_b32 v7, v[10:11], off
	s_mov_b32 s11, 0
	s_wait_loadcnt 0x0
	s_wait_xcnt 0x1
	v_cvt_f32_u32_e32 v12, v7
	s_branch .LBB103_2449
.LBB103_2447:
	s_mov_b32 s11, -1
                                        ; implicit-def: $vgpr12
	s_branch .LBB103_2452
.LBB103_2448:
	s_mov_b32 s11, -1
                                        ; implicit-def: $vgpr12
.LBB103_2449:
	s_delay_alu instid0(SALU_CYCLE_1)
	s_and_not1_b32 vcc_lo, exec_lo, s11
	s_cbranch_vccnz .LBB103_2451
; %bb.2450:
	global_load_u16 v7, v[10:11], off
	s_wait_loadcnt 0x0
	s_wait_xcnt 0x1
	v_cvt_f32_u32_e32 v12, v7
.LBB103_2451:
	s_mov_b32 s11, 0
.LBB103_2452:
	s_delay_alu instid0(SALU_CYCLE_1)
	s_and_not1_b32 vcc_lo, exec_lo, s11
	s_cbranch_vccnz .LBB103_2460
; %bb.2453:
	global_load_u8 v7, v[10:11], off
	s_mov_b32 s11, 0
	s_mov_b32 s12, exec_lo
	s_wait_loadcnt 0x0
	v_cmpx_lt_i16_e32 0x7f, v7
	s_xor_b32 s12, exec_lo, s12
	s_cbranch_execz .LBB103_2474
; %bb.2454:
	s_mov_b32 s11, -1
	s_mov_b32 s13, exec_lo
	v_cmpx_eq_u16_e32 0x80, v7
; %bb.2455:
	s_xor_b32 s11, exec_lo, -1
; %bb.2456:
	s_or_b32 exec_lo, exec_lo, s13
	s_delay_alu instid0(SALU_CYCLE_1)
	s_and_b32 s11, s11, exec_lo
	s_or_saveexec_b32 s12, s12
	v_mov_b32_e32 v12, 0x7f800001
	s_xor_b32 exec_lo, exec_lo, s12
	s_cbranch_execnz .LBB103_2475
.LBB103_2457:
	s_or_b32 exec_lo, exec_lo, s12
	s_and_saveexec_b32 s12, s11
	s_cbranch_execz .LBB103_2459
.LBB103_2458:
	v_and_b32_e32 v9, 0xffff, v7
	s_delay_alu instid0(VALU_DEP_1) | instskip(SKIP_1) | instid1(VALU_DEP_2)
	v_dual_lshlrev_b32 v7, 24, v7 :: v_dual_bitop2_b32 v12, 7, v9 bitop3:0x40
	v_bfe_u32 v17, v9, 3, 4
	v_and_b32_e32 v7, 0x80000000, v7
	s_delay_alu instid0(VALU_DEP_3) | instskip(NEXT) | instid1(VALU_DEP_3)
	v_clz_i32_u32_e32 v13, v12
	v_cmp_eq_u32_e32 vcc_lo, 0, v17
	s_delay_alu instid0(VALU_DEP_2) | instskip(NEXT) | instid1(VALU_DEP_1)
	v_min_u32_e32 v13, 32, v13
	v_subrev_nc_u32_e32 v15, 28, v13
	v_sub_nc_u32_e32 v13, 29, v13
	s_delay_alu instid0(VALU_DEP_2) | instskip(NEXT) | instid1(VALU_DEP_2)
	v_lshlrev_b32_e32 v9, v15, v9
	v_cndmask_b32_e32 v13, v17, v13, vcc_lo
	s_delay_alu instid0(VALU_DEP_2) | instskip(NEXT) | instid1(VALU_DEP_1)
	v_and_b32_e32 v9, 7, v9
	v_cndmask_b32_e32 v9, v12, v9, vcc_lo
	s_delay_alu instid0(VALU_DEP_3) | instskip(NEXT) | instid1(VALU_DEP_2)
	v_lshl_add_u32 v12, v13, 23, 0x3b800000
	v_lshlrev_b32_e32 v9, 20, v9
	s_delay_alu instid0(VALU_DEP_1)
	v_or3_b32 v12, v7, v12, v9
.LBB103_2459:
	s_or_b32 exec_lo, exec_lo, s12
.LBB103_2460:
	s_mov_b32 s11, -1
.LBB103_2461:
	s_mov_b32 s12, 0
.LBB103_2462:
	s_delay_alu instid0(SALU_CYCLE_1)
	s_and_b32 vcc_lo, exec_lo, s12
	s_cbranch_vccz .LBB103_2495
; %bb.2463:
	s_cmp_gt_i32 s2, 22
	s_cbranch_scc0 .LBB103_2473
; %bb.2464:
	s_cmp_lt_i32 s2, 24
	s_cbranch_scc1 .LBB103_2476
; %bb.2465:
	s_cmp_gt_i32 s2, 24
	s_cbranch_scc0 .LBB103_2477
; %bb.2466:
	global_load_u8 v7, v[10:11], off
	s_mov_b32 s11, exec_lo
	s_wait_loadcnt 0x0
	v_cmpx_lt_i16_e32 0x7f, v7
	s_xor_b32 s11, exec_lo, s11
	s_cbranch_execz .LBB103_2489
; %bb.2467:
	s_mov_b32 s7, -1
	s_mov_b32 s12, exec_lo
	v_cmpx_eq_u16_e32 0x80, v7
; %bb.2468:
	s_xor_b32 s7, exec_lo, -1
; %bb.2469:
	s_or_b32 exec_lo, exec_lo, s12
	s_delay_alu instid0(SALU_CYCLE_1)
	s_and_b32 s7, s7, exec_lo
	s_or_saveexec_b32 s11, s11
	v_mov_b32_e32 v12, 0x7f800001
	s_xor_b32 exec_lo, exec_lo, s11
	s_cbranch_execnz .LBB103_2490
.LBB103_2470:
	s_or_b32 exec_lo, exec_lo, s11
	s_and_saveexec_b32 s11, s7
	s_cbranch_execz .LBB103_2472
.LBB103_2471:
	v_and_b32_e32 v9, 0xffff, v7
	s_delay_alu instid0(VALU_DEP_1) | instskip(SKIP_1) | instid1(VALU_DEP_2)
	v_dual_lshlrev_b32 v7, 24, v7 :: v_dual_bitop2_b32 v12, 3, v9 bitop3:0x40
	v_bfe_u32 v17, v9, 2, 5
	v_and_b32_e32 v7, 0x80000000, v7
	s_delay_alu instid0(VALU_DEP_3) | instskip(NEXT) | instid1(VALU_DEP_3)
	v_clz_i32_u32_e32 v13, v12
	v_cmp_eq_u32_e32 vcc_lo, 0, v17
	s_delay_alu instid0(VALU_DEP_2) | instskip(NEXT) | instid1(VALU_DEP_1)
	v_min_u32_e32 v13, 32, v13
	v_subrev_nc_u32_e32 v15, 29, v13
	v_sub_nc_u32_e32 v13, 30, v13
	s_delay_alu instid0(VALU_DEP_2) | instskip(NEXT) | instid1(VALU_DEP_2)
	v_lshlrev_b32_e32 v9, v15, v9
	v_cndmask_b32_e32 v13, v17, v13, vcc_lo
	s_delay_alu instid0(VALU_DEP_2) | instskip(NEXT) | instid1(VALU_DEP_1)
	v_and_b32_e32 v9, 3, v9
	v_cndmask_b32_e32 v9, v12, v9, vcc_lo
	s_delay_alu instid0(VALU_DEP_3) | instskip(NEXT) | instid1(VALU_DEP_2)
	v_lshl_add_u32 v12, v13, 23, 0x37800000
	v_lshlrev_b32_e32 v9, 21, v9
	s_delay_alu instid0(VALU_DEP_1)
	v_or3_b32 v12, v7, v12, v9
.LBB103_2472:
	s_or_b32 exec_lo, exec_lo, s11
	s_mov_b32 s7, 0
	s_branch .LBB103_2478
.LBB103_2473:
	s_mov_b32 s7, -1
                                        ; implicit-def: $vgpr12
	s_branch .LBB103_2484
.LBB103_2474:
	s_or_saveexec_b32 s12, s12
	v_mov_b32_e32 v12, 0x7f800001
	s_xor_b32 exec_lo, exec_lo, s12
	s_cbranch_execz .LBB103_2457
.LBB103_2475:
	v_cmp_ne_u16_e32 vcc_lo, 0, v7
	v_mov_b32_e32 v12, 0
	s_and_not1_b32 s11, s11, exec_lo
	s_and_b32 s13, vcc_lo, exec_lo
	s_delay_alu instid0(SALU_CYCLE_1)
	s_or_b32 s11, s11, s13
	s_or_b32 exec_lo, exec_lo, s12
	s_and_saveexec_b32 s12, s11
	s_cbranch_execnz .LBB103_2458
	s_branch .LBB103_2459
.LBB103_2476:
	s_mov_b32 s7, -1
                                        ; implicit-def: $vgpr12
	s_branch .LBB103_2481
.LBB103_2477:
	s_mov_b32 s7, -1
                                        ; implicit-def: $vgpr12
.LBB103_2478:
	s_delay_alu instid0(SALU_CYCLE_1)
	s_and_b32 vcc_lo, exec_lo, s7
	s_cbranch_vccz .LBB103_2480
; %bb.2479:
	global_load_u8 v7, v[10:11], off
	s_wait_loadcnt 0x0
	v_lshlrev_b32_e32 v7, 24, v7
	s_delay_alu instid0(VALU_DEP_1) | instskip(SKIP_1) | instid1(VALU_DEP_1)
	v_and_b32_e32 v9, 0x7f000000, v7
	s_wait_xcnt 0x1
	v_clz_i32_u32_e32 v12, v9
	v_add_nc_u32_e32 v15, 0x1000000, v9
	v_cmp_ne_u32_e32 vcc_lo, 0, v9
	s_delay_alu instid0(VALU_DEP_3) | instskip(NEXT) | instid1(VALU_DEP_1)
	v_min_u32_e32 v12, 32, v12
	v_sub_nc_u32_e64 v12, v12, 4 clamp
	s_delay_alu instid0(VALU_DEP_1) | instskip(NEXT) | instid1(VALU_DEP_1)
	v_dual_lshlrev_b32 v13, v12, v9 :: v_dual_lshlrev_b32 v12, 23, v12
	v_lshrrev_b32_e32 v13, 4, v13
	s_delay_alu instid0(VALU_DEP_1) | instskip(NEXT) | instid1(VALU_DEP_1)
	v_dual_sub_nc_u32 v12, v13, v12 :: v_dual_ashrrev_i32 v13, 8, v15
	v_add_nc_u32_e32 v12, 0x3c000000, v12
	s_delay_alu instid0(VALU_DEP_1) | instskip(NEXT) | instid1(VALU_DEP_1)
	v_and_or_b32 v12, 0x7f800000, v13, v12
	v_cndmask_b32_e32 v9, 0, v12, vcc_lo
	s_delay_alu instid0(VALU_DEP_1)
	v_and_or_b32 v12, 0x80000000, v7, v9
.LBB103_2480:
	s_mov_b32 s7, 0
.LBB103_2481:
	s_delay_alu instid0(SALU_CYCLE_1)
	s_and_not1_b32 vcc_lo, exec_lo, s7
	s_cbranch_vccnz .LBB103_2483
; %bb.2482:
	global_load_u8 v7, v[10:11], off
	s_wait_loadcnt 0x0
	v_lshlrev_b32_e32 v9, 25, v7
	v_lshlrev_b16 v7, 8, v7
	s_wait_xcnt 0x1
	s_delay_alu instid0(VALU_DEP_1) | instskip(SKIP_1) | instid1(VALU_DEP_2)
	v_and_or_b32 v13, 0x7f00, v7, 0.5
	v_bfe_i32 v7, v7, 0, 16
	v_add_f32_e32 v13, -0.5, v13
	v_lshrrev_b32_e32 v12, 4, v9
	v_cmp_gt_u32_e32 vcc_lo, 0x8000000, v9
	s_delay_alu instid0(VALU_DEP_2) | instskip(NEXT) | instid1(VALU_DEP_1)
	v_or_b32_e32 v12, 0x70000000, v12
	v_mul_f32_e32 v12, 0x7800000, v12
	s_delay_alu instid0(VALU_DEP_1) | instskip(NEXT) | instid1(VALU_DEP_1)
	v_cndmask_b32_e32 v9, v12, v13, vcc_lo
	v_and_or_b32 v12, 0x80000000, v7, v9
.LBB103_2483:
	s_mov_b32 s7, 0
	s_mov_b32 s11, -1
.LBB103_2484:
	s_and_not1_b32 vcc_lo, exec_lo, s7
	s_mov_b32 s7, 0
	s_cbranch_vccnz .LBB103_2495
; %bb.2485:
	s_cmp_gt_i32 s2, 14
	s_cbranch_scc0 .LBB103_2488
; %bb.2486:
	s_cmp_eq_u32 s2, 15
	s_cbranch_scc0 .LBB103_2491
; %bb.2487:
	global_load_u16 v7, v[10:11], off
	s_mov_b32 s6, 0
	s_mov_b32 s11, -1
	s_wait_loadcnt 0x0
	s_wait_xcnt 0x1
	v_lshlrev_b32_e32 v12, 16, v7
	s_branch .LBB103_2493
.LBB103_2488:
	s_mov_b32 s7, -1
	s_branch .LBB103_2492
.LBB103_2489:
	s_or_saveexec_b32 s11, s11
	v_mov_b32_e32 v12, 0x7f800001
	s_xor_b32 exec_lo, exec_lo, s11
	s_cbranch_execz .LBB103_2470
.LBB103_2490:
	v_cmp_ne_u16_e32 vcc_lo, 0, v7
	v_mov_b32_e32 v12, 0
	s_and_not1_b32 s7, s7, exec_lo
	s_and_b32 s12, vcc_lo, exec_lo
	s_delay_alu instid0(SALU_CYCLE_1)
	s_or_b32 s7, s7, s12
	s_or_b32 exec_lo, exec_lo, s11
	s_and_saveexec_b32 s11, s7
	s_cbranch_execnz .LBB103_2471
	s_branch .LBB103_2472
.LBB103_2491:
	s_mov_b32 s6, -1
.LBB103_2492:
                                        ; implicit-def: $vgpr12
.LBB103_2493:
	s_and_b32 vcc_lo, exec_lo, s7
	s_mov_b32 s7, 0
	s_cbranch_vccz .LBB103_2495
; %bb.2494:
	s_cmp_lg_u32 s2, 11
	s_mov_b32 s7, -1
	s_cselect_b32 s6, -1, 0
.LBB103_2495:
	s_delay_alu instid0(SALU_CYCLE_1)
	s_and_b32 vcc_lo, exec_lo, s6
	s_cbranch_vccnz .LBB103_2560
; %bb.2496:
	s_and_not1_b32 vcc_lo, exec_lo, s7
	s_cbranch_vccnz .LBB103_2498
.LBB103_2497:
	global_load_u8 v7, v[10:11], off
	s_mov_b32 s11, -1
	s_wait_loadcnt 0x0
	v_cmp_ne_u16_e32 vcc_lo, 0, v7
	s_wait_xcnt 0x1
	v_cndmask_b32_e64 v12, 0, 1.0, vcc_lo
.LBB103_2498:
	s_mov_b32 s6, 0
.LBB103_2499:
	s_delay_alu instid0(SALU_CYCLE_1)
	s_and_b32 vcc_lo, exec_lo, s6
	s_cbranch_vccz .LBB103_2548
; %bb.2500:
	s_cmp_lt_i32 s2, 5
	s_cbranch_scc1 .LBB103_2505
; %bb.2501:
	s_cmp_lt_i32 s2, 8
	s_cbranch_scc1 .LBB103_2506
	;; [unrolled: 3-line block ×3, first 2 shown]
; %bb.2503:
	s_cmp_gt_i32 s2, 9
	s_cbranch_scc0 .LBB103_2508
; %bb.2504:
	global_load_b64 v[12:13], v[10:11], off
	s_mov_b32 s6, 0
	s_wait_loadcnt 0x0
	v_cvt_f32_f64_e32 v12, v[12:13]
	s_branch .LBB103_2509
.LBB103_2505:
	s_mov_b32 s6, -1
                                        ; implicit-def: $vgpr12
	s_branch .LBB103_2527
.LBB103_2506:
	s_mov_b32 s6, -1
                                        ; implicit-def: $vgpr12
	s_branch .LBB103_2515
.LBB103_2507:
	s_mov_b32 s6, -1
                                        ; implicit-def: $vgpr12
	s_branch .LBB103_2512
.LBB103_2508:
	s_mov_b32 s6, -1
                                        ; implicit-def: $vgpr12
.LBB103_2509:
	s_delay_alu instid0(SALU_CYCLE_1)
	s_and_not1_b32 vcc_lo, exec_lo, s6
	s_cbranch_vccnz .LBB103_2511
; %bb.2510:
	global_load_b32 v12, v[10:11], off
.LBB103_2511:
	s_mov_b32 s6, 0
.LBB103_2512:
	s_delay_alu instid0(SALU_CYCLE_1)
	s_and_not1_b32 vcc_lo, exec_lo, s6
	s_cbranch_vccnz .LBB103_2514
; %bb.2513:
	global_load_b32 v7, v[10:11], off
	s_wait_loadcnt 0x0
	s_wait_xcnt 0x1
	v_cvt_f32_f16_e32 v12, v7
.LBB103_2514:
	s_mov_b32 s6, 0
.LBB103_2515:
	s_delay_alu instid0(SALU_CYCLE_1)
	s_and_not1_b32 vcc_lo, exec_lo, s6
	s_cbranch_vccnz .LBB103_2526
; %bb.2516:
	s_cmp_lt_i32 s2, 6
	s_cbranch_scc1 .LBB103_2519
; %bb.2517:
	s_cmp_gt_i32 s2, 6
	s_cbranch_scc0 .LBB103_2520
; %bb.2518:
	s_wait_loadcnt 0x0
	global_load_b64 v[12:13], v[10:11], off
	s_mov_b32 s6, 0
	s_wait_loadcnt 0x0
	v_cvt_f32_f64_e32 v12, v[12:13]
	s_branch .LBB103_2521
.LBB103_2519:
	s_mov_b32 s6, -1
                                        ; implicit-def: $vgpr12
	s_branch .LBB103_2524
.LBB103_2520:
	s_mov_b32 s6, -1
                                        ; implicit-def: $vgpr12
.LBB103_2521:
	s_delay_alu instid0(SALU_CYCLE_1)
	s_and_not1_b32 vcc_lo, exec_lo, s6
	s_cbranch_vccnz .LBB103_2523
; %bb.2522:
	s_wait_loadcnt 0x0
	global_load_b32 v12, v[10:11], off
.LBB103_2523:
	s_mov_b32 s6, 0
.LBB103_2524:
	s_delay_alu instid0(SALU_CYCLE_1)
	s_and_not1_b32 vcc_lo, exec_lo, s6
	s_cbranch_vccnz .LBB103_2526
; %bb.2525:
	global_load_u16 v7, v[10:11], off
	s_wait_loadcnt 0x0
	s_wait_xcnt 0x1
	v_cvt_f32_f16_e32 v12, v7
.LBB103_2526:
	s_mov_b32 s6, 0
.LBB103_2527:
	s_delay_alu instid0(SALU_CYCLE_1)
	s_and_not1_b32 vcc_lo, exec_lo, s6
	s_cbranch_vccnz .LBB103_2547
; %bb.2528:
	s_cmp_lt_i32 s2, 2
	s_cbranch_scc1 .LBB103_2532
; %bb.2529:
	s_cmp_lt_i32 s2, 3
	s_cbranch_scc1 .LBB103_2533
; %bb.2530:
	s_cmp_gt_i32 s2, 3
	s_cbranch_scc0 .LBB103_2534
; %bb.2531:
	s_wait_loadcnt 0x0
	global_load_b64 v[12:13], v[10:11], off
	s_mov_b32 s6, 0
	s_wait_loadcnt 0x0
	v_xor_b32_e32 v7, v12, v13
	v_cls_i32_e32 v9, v13
	s_delay_alu instid0(VALU_DEP_2) | instskip(NEXT) | instid1(VALU_DEP_1)
	v_ashrrev_i32_e32 v7, 31, v7
	v_add_nc_u32_e32 v7, 32, v7
	s_delay_alu instid0(VALU_DEP_1) | instskip(NEXT) | instid1(VALU_DEP_1)
	v_add_min_u32_e64 v7, v9, -1, v7
	v_lshlrev_b64_e32 v[12:13], v7, v[12:13]
	v_sub_nc_u32_e32 v7, 32, v7
	s_delay_alu instid0(VALU_DEP_2) | instskip(NEXT) | instid1(VALU_DEP_1)
	v_min_u32_e32 v9, 1, v12
	v_or_b32_e32 v9, v13, v9
	s_delay_alu instid0(VALU_DEP_1) | instskip(NEXT) | instid1(VALU_DEP_1)
	v_cvt_f32_i32_e32 v9, v9
	v_ldexp_f32 v12, v9, v7
	s_branch .LBB103_2535
.LBB103_2532:
	s_mov_b32 s6, -1
                                        ; implicit-def: $vgpr12
	s_branch .LBB103_2541
.LBB103_2533:
	s_mov_b32 s6, -1
                                        ; implicit-def: $vgpr12
	s_branch .LBB103_2538
.LBB103_2534:
	s_mov_b32 s6, -1
                                        ; implicit-def: $vgpr12
.LBB103_2535:
	s_delay_alu instid0(SALU_CYCLE_1)
	s_and_not1_b32 vcc_lo, exec_lo, s6
	s_cbranch_vccnz .LBB103_2537
; %bb.2536:
	global_load_b32 v7, v[10:11], off
	s_wait_loadcnt 0x0
	s_wait_xcnt 0x1
	v_cvt_f32_i32_e32 v12, v7
.LBB103_2537:
	s_mov_b32 s6, 0
.LBB103_2538:
	s_delay_alu instid0(SALU_CYCLE_1)
	s_and_not1_b32 vcc_lo, exec_lo, s6
	s_cbranch_vccnz .LBB103_2540
; %bb.2539:
	global_load_i16 v7, v[10:11], off
	s_wait_loadcnt 0x0
	s_wait_xcnt 0x1
	v_cvt_f32_i32_e32 v12, v7
.LBB103_2540:
	s_mov_b32 s6, 0
.LBB103_2541:
	s_delay_alu instid0(SALU_CYCLE_1)
	s_and_not1_b32 vcc_lo, exec_lo, s6
	s_cbranch_vccnz .LBB103_2547
; %bb.2542:
	s_cmp_gt_i32 s2, 0
	s_mov_b32 s2, 0
	s_cbranch_scc0 .LBB103_2544
; %bb.2543:
	global_load_i8 v7, v[10:11], off
	s_wait_loadcnt 0x0
	s_wait_xcnt 0x1
	v_cvt_f32_i32_e32 v12, v7
	s_branch .LBB103_2545
.LBB103_2544:
	s_mov_b32 s2, -1
                                        ; implicit-def: $vgpr12
.LBB103_2545:
	s_delay_alu instid0(SALU_CYCLE_1)
	s_and_not1_b32 vcc_lo, exec_lo, s2
	s_cbranch_vccnz .LBB103_2547
; %bb.2546:
	global_load_u8 v7, v[10:11], off
	s_wait_loadcnt 0x0
	s_wait_xcnt 0x1
	v_cvt_f32_ubyte0_e32 v12, v7
.LBB103_2547:
	s_mov_b32 s11, -1
.LBB103_2548:
	s_delay_alu instid0(SALU_CYCLE_1)
	s_and_not1_b32 vcc_lo, exec_lo, s11
	s_cbranch_vccnz .LBB103_3112
; %bb.2549:
	v_mov_b32_e32 v9, 0
	s_cmp_lt_i32 s10, 11
	s_delay_alu instid0(VALU_DEP_1)
	v_add_nc_u64_e32 v[8:9], s[0:1], v[8:9]
	s_cbranch_scc1 .LBB103_2556
; %bb.2550:
	s_cmp_gt_i32 s10, 25
	s_mov_b32 s1, 0
	s_cbranch_scc0 .LBB103_2557
; %bb.2551:
	s_cmp_gt_i32 s10, 28
	s_cbranch_scc0 .LBB103_2558
; %bb.2552:
	s_cmp_gt_i32 s10, 43
	;; [unrolled: 3-line block ×3, first 2 shown]
	s_cbranch_scc0 .LBB103_2561
; %bb.2554:
	s_cmp_eq_u32 s10, 46
	s_mov_b32 s6, 0
	s_cbranch_scc0 .LBB103_2562
; %bb.2555:
	global_load_b32 v7, v[8:9], off
	s_mov_b32 s0, 0
	s_mov_b32 s2, -1
	s_wait_loadcnt 0x0
	s_wait_xcnt 0x1
	v_lshlrev_b32_e32 v10, 16, v7
	s_branch .LBB103_2564
.LBB103_2556:
	s_mov_b32 s0, -1
	s_mov_b32 s2, 0
                                        ; implicit-def: $vgpr10
	s_branch .LBB103_2630
.LBB103_2557:
	s_mov_b32 s6, -1
	s_mov_b32 s2, 0
	s_mov_b32 s0, 0
                                        ; implicit-def: $vgpr10
	s_branch .LBB103_2593
.LBB103_2558:
	s_mov_b32 s6, -1
	s_mov_b32 s2, 0
	s_mov_b32 s0, 0
                                        ; implicit-def: $vgpr10
	s_branch .LBB103_2574
.LBB103_2559:
	s_mov_b32 s6, -1
	s_mov_b32 s2, 0
	s_mov_b32 s0, 0
                                        ; implicit-def: $vgpr10
	s_branch .LBB103_2569
.LBB103_2560:
	s_or_b32 s9, s9, exec_lo
	s_trap 2
	s_cbranch_execz .LBB103_2497
	s_branch .LBB103_2498
.LBB103_2561:
	s_mov_b32 s6, -1
	s_mov_b32 s2, 0
	s_mov_b32 s0, 0
	s_branch .LBB103_2563
.LBB103_2562:
	s_mov_b32 s0, -1
	s_mov_b32 s2, 0
.LBB103_2563:
                                        ; implicit-def: $vgpr10
.LBB103_2564:
	s_and_b32 vcc_lo, exec_lo, s6
	s_cbranch_vccz .LBB103_2568
; %bb.2565:
	s_cmp_eq_u32 s10, 44
	s_cbranch_scc0 .LBB103_2567
; %bb.2566:
	global_load_u8 v7, v[8:9], off
	s_mov_b32 s0, 0
	s_mov_b32 s2, -1
	s_wait_loadcnt 0x0
	s_wait_xcnt 0x1
	v_lshlrev_b32_e32 v10, 23, v7
	v_cmp_ne_u32_e32 vcc_lo, 0xff, v7
	s_delay_alu instid0(VALU_DEP_2) | instskip(SKIP_1) | instid1(VALU_DEP_2)
	v_cndmask_b32_e32 v10, 0x7f800001, v10, vcc_lo
	v_cmp_ne_u32_e32 vcc_lo, 0, v7
	v_cndmask_b32_e32 v10, 0x400000, v10, vcc_lo
	s_branch .LBB103_2568
.LBB103_2567:
	s_mov_b32 s0, -1
                                        ; implicit-def: $vgpr10
.LBB103_2568:
	s_mov_b32 s6, 0
.LBB103_2569:
	s_delay_alu instid0(SALU_CYCLE_1)
	s_and_b32 vcc_lo, exec_lo, s6
	s_cbranch_vccz .LBB103_2573
; %bb.2570:
	s_cmp_eq_u32 s10, 29
	s_cbranch_scc0 .LBB103_2572
; %bb.2571:
	global_load_b64 v[10:11], v[8:9], off
	s_mov_b32 s0, 0
	s_mov_b32 s2, -1
	s_mov_b32 s6, 0
	s_wait_loadcnt 0x0
	v_clz_i32_u32_e32 v7, v11
	s_delay_alu instid0(VALU_DEP_1) | instskip(NEXT) | instid1(VALU_DEP_1)
	v_min_u32_e32 v7, 32, v7
	v_lshlrev_b64_e32 v[10:11], v7, v[10:11]
	v_sub_nc_u32_e32 v7, 32, v7
	s_delay_alu instid0(VALU_DEP_2) | instskip(NEXT) | instid1(VALU_DEP_1)
	v_min_u32_e32 v10, 1, v10
	v_or_b32_e32 v10, v11, v10
	s_delay_alu instid0(VALU_DEP_1) | instskip(NEXT) | instid1(VALU_DEP_1)
	v_cvt_f32_u32_e32 v10, v10
	v_ldexp_f32 v10, v10, v7
	s_branch .LBB103_2574
.LBB103_2572:
	s_mov_b32 s0, -1
                                        ; implicit-def: $vgpr10
.LBB103_2573:
	s_mov_b32 s6, 0
.LBB103_2574:
	s_delay_alu instid0(SALU_CYCLE_1)
	s_and_b32 vcc_lo, exec_lo, s6
	s_cbranch_vccz .LBB103_2592
; %bb.2575:
	s_cmp_lt_i32 s10, 27
	s_cbranch_scc1 .LBB103_2578
; %bb.2576:
	s_cmp_gt_i32 s10, 27
	s_cbranch_scc0 .LBB103_2579
; %bb.2577:
	global_load_b32 v7, v[8:9], off
	s_mov_b32 s2, 0
	s_wait_loadcnt 0x0
	s_wait_xcnt 0x1
	v_cvt_f32_u32_e32 v10, v7
	s_branch .LBB103_2580
.LBB103_2578:
	s_mov_b32 s2, -1
                                        ; implicit-def: $vgpr10
	s_branch .LBB103_2583
.LBB103_2579:
	s_mov_b32 s2, -1
                                        ; implicit-def: $vgpr10
.LBB103_2580:
	s_delay_alu instid0(SALU_CYCLE_1)
	s_and_not1_b32 vcc_lo, exec_lo, s2
	s_cbranch_vccnz .LBB103_2582
; %bb.2581:
	global_load_u16 v7, v[8:9], off
	s_wait_loadcnt 0x0
	s_wait_xcnt 0x1
	v_cvt_f32_u32_e32 v10, v7
.LBB103_2582:
	s_mov_b32 s2, 0
.LBB103_2583:
	s_delay_alu instid0(SALU_CYCLE_1)
	s_and_not1_b32 vcc_lo, exec_lo, s2
	s_cbranch_vccnz .LBB103_2591
; %bb.2584:
	global_load_u8 v7, v[8:9], off
	s_mov_b32 s2, 0
	s_mov_b32 s6, exec_lo
	s_wait_loadcnt 0x0
	v_cmpx_lt_i16_e32 0x7f, v7
	s_xor_b32 s6, exec_lo, s6
	s_cbranch_execz .LBB103_2605
; %bb.2585:
	s_mov_b32 s2, -1
	s_mov_b32 s7, exec_lo
	v_cmpx_eq_u16_e32 0x80, v7
; %bb.2586:
	s_xor_b32 s2, exec_lo, -1
; %bb.2587:
	s_or_b32 exec_lo, exec_lo, s7
	s_delay_alu instid0(SALU_CYCLE_1)
	s_and_b32 s2, s2, exec_lo
	s_or_saveexec_b32 s6, s6
	v_mov_b32_e32 v10, 0x7f800001
	s_xor_b32 exec_lo, exec_lo, s6
	s_cbranch_execnz .LBB103_2606
.LBB103_2588:
	s_or_b32 exec_lo, exec_lo, s6
	s_and_saveexec_b32 s6, s2
	s_cbranch_execz .LBB103_2590
.LBB103_2589:
	v_and_b32_e32 v10, 0xffff, v7
	s_delay_alu instid0(VALU_DEP_1) | instskip(SKIP_1) | instid1(VALU_DEP_2)
	v_and_b32_e32 v11, 7, v10
	v_bfe_u32 v17, v10, 3, 4
	v_clz_i32_u32_e32 v13, v11
	s_delay_alu instid0(VALU_DEP_2) | instskip(NEXT) | instid1(VALU_DEP_2)
	v_cmp_eq_u32_e32 vcc_lo, 0, v17
	v_min_u32_e32 v13, 32, v13
	s_delay_alu instid0(VALU_DEP_1) | instskip(NEXT) | instid1(VALU_DEP_1)
	v_subrev_nc_u32_e32 v15, 28, v13
	v_dual_lshlrev_b32 v10, v15, v10 :: v_dual_sub_nc_u32 v13, 29, v13
	s_delay_alu instid0(VALU_DEP_1) | instskip(NEXT) | instid1(VALU_DEP_1)
	v_dual_lshlrev_b32 v7, 24, v7 :: v_dual_bitop2_b32 v10, 7, v10 bitop3:0x40
	v_dual_cndmask_b32 v13, v17, v13 :: v_dual_cndmask_b32 v10, v11, v10
	s_delay_alu instid0(VALU_DEP_2) | instskip(NEXT) | instid1(VALU_DEP_2)
	v_and_b32_e32 v7, 0x80000000, v7
	v_lshl_add_u32 v11, v13, 23, 0x3b800000
	s_delay_alu instid0(VALU_DEP_3) | instskip(NEXT) | instid1(VALU_DEP_1)
	v_lshlrev_b32_e32 v10, 20, v10
	v_or3_b32 v10, v7, v11, v10
.LBB103_2590:
	s_or_b32 exec_lo, exec_lo, s6
.LBB103_2591:
	s_mov_b32 s2, -1
.LBB103_2592:
	s_mov_b32 s6, 0
.LBB103_2593:
	s_delay_alu instid0(SALU_CYCLE_1)
	s_and_b32 vcc_lo, exec_lo, s6
	s_cbranch_vccz .LBB103_2626
; %bb.2594:
	s_cmp_gt_i32 s10, 22
	s_cbranch_scc0 .LBB103_2604
; %bb.2595:
	s_cmp_lt_i32 s10, 24
	s_cbranch_scc1 .LBB103_2607
; %bb.2596:
	s_cmp_gt_i32 s10, 24
	s_cbranch_scc0 .LBB103_2608
; %bb.2597:
	global_load_u8 v7, v[8:9], off
	s_mov_b32 s2, exec_lo
	s_wait_loadcnt 0x0
	v_cmpx_lt_i16_e32 0x7f, v7
	s_xor_b32 s2, exec_lo, s2
	s_cbranch_execz .LBB103_2620
; %bb.2598:
	s_mov_b32 s1, -1
	s_mov_b32 s6, exec_lo
	v_cmpx_eq_u16_e32 0x80, v7
; %bb.2599:
	s_xor_b32 s1, exec_lo, -1
; %bb.2600:
	s_or_b32 exec_lo, exec_lo, s6
	s_delay_alu instid0(SALU_CYCLE_1)
	s_and_b32 s1, s1, exec_lo
	s_or_saveexec_b32 s2, s2
	v_mov_b32_e32 v10, 0x7f800001
	s_xor_b32 exec_lo, exec_lo, s2
	s_cbranch_execnz .LBB103_2621
.LBB103_2601:
	s_or_b32 exec_lo, exec_lo, s2
	s_and_saveexec_b32 s2, s1
	s_cbranch_execz .LBB103_2603
.LBB103_2602:
	v_and_b32_e32 v10, 0xffff, v7
	s_delay_alu instid0(VALU_DEP_1) | instskip(SKIP_1) | instid1(VALU_DEP_2)
	v_and_b32_e32 v11, 3, v10
	v_bfe_u32 v17, v10, 2, 5
	v_clz_i32_u32_e32 v13, v11
	s_delay_alu instid0(VALU_DEP_2) | instskip(NEXT) | instid1(VALU_DEP_2)
	v_cmp_eq_u32_e32 vcc_lo, 0, v17
	v_min_u32_e32 v13, 32, v13
	s_delay_alu instid0(VALU_DEP_1) | instskip(NEXT) | instid1(VALU_DEP_1)
	v_subrev_nc_u32_e32 v15, 29, v13
	v_dual_lshlrev_b32 v10, v15, v10 :: v_dual_sub_nc_u32 v13, 30, v13
	s_delay_alu instid0(VALU_DEP_1) | instskip(NEXT) | instid1(VALU_DEP_1)
	v_dual_lshlrev_b32 v7, 24, v7 :: v_dual_bitop2_b32 v10, 3, v10 bitop3:0x40
	v_dual_cndmask_b32 v13, v17, v13 :: v_dual_cndmask_b32 v10, v11, v10
	s_delay_alu instid0(VALU_DEP_2) | instskip(NEXT) | instid1(VALU_DEP_2)
	v_and_b32_e32 v7, 0x80000000, v7
	v_lshl_add_u32 v11, v13, 23, 0x37800000
	s_delay_alu instid0(VALU_DEP_3) | instskip(NEXT) | instid1(VALU_DEP_1)
	v_lshlrev_b32_e32 v10, 21, v10
	v_or3_b32 v10, v7, v11, v10
.LBB103_2603:
	s_or_b32 exec_lo, exec_lo, s2
	s_mov_b32 s1, 0
	s_branch .LBB103_2609
.LBB103_2604:
	s_mov_b32 s1, -1
                                        ; implicit-def: $vgpr10
	s_branch .LBB103_2615
.LBB103_2605:
	s_or_saveexec_b32 s6, s6
	v_mov_b32_e32 v10, 0x7f800001
	s_xor_b32 exec_lo, exec_lo, s6
	s_cbranch_execz .LBB103_2588
.LBB103_2606:
	v_cmp_ne_u16_e32 vcc_lo, 0, v7
	v_mov_b32_e32 v10, 0
	s_and_not1_b32 s2, s2, exec_lo
	s_and_b32 s7, vcc_lo, exec_lo
	s_delay_alu instid0(SALU_CYCLE_1)
	s_or_b32 s2, s2, s7
	s_or_b32 exec_lo, exec_lo, s6
	s_and_saveexec_b32 s6, s2
	s_cbranch_execnz .LBB103_2589
	s_branch .LBB103_2590
.LBB103_2607:
	s_mov_b32 s1, -1
                                        ; implicit-def: $vgpr10
	s_branch .LBB103_2612
.LBB103_2608:
	s_mov_b32 s1, -1
                                        ; implicit-def: $vgpr10
.LBB103_2609:
	s_delay_alu instid0(SALU_CYCLE_1)
	s_and_b32 vcc_lo, exec_lo, s1
	s_cbranch_vccz .LBB103_2611
; %bb.2610:
	global_load_u8 v7, v[8:9], off
	s_wait_loadcnt 0x0
	v_lshlrev_b32_e32 v7, 24, v7
	s_wait_xcnt 0x1
	s_delay_alu instid0(VALU_DEP_1) | instskip(NEXT) | instid1(VALU_DEP_1)
	v_and_b32_e32 v10, 0x7f000000, v7
	v_clz_i32_u32_e32 v11, v10
	v_cmp_ne_u32_e32 vcc_lo, 0, v10
	v_add_nc_u32_e32 v15, 0x1000000, v10
	s_delay_alu instid0(VALU_DEP_3) | instskip(NEXT) | instid1(VALU_DEP_1)
	v_min_u32_e32 v11, 32, v11
	v_sub_nc_u32_e64 v11, v11, 4 clamp
	s_delay_alu instid0(VALU_DEP_1) | instskip(NEXT) | instid1(VALU_DEP_1)
	v_dual_lshlrev_b32 v13, v11, v10 :: v_dual_lshlrev_b32 v11, 23, v11
	v_lshrrev_b32_e32 v13, 4, v13
	s_delay_alu instid0(VALU_DEP_1) | instskip(SKIP_1) | instid1(VALU_DEP_2)
	v_sub_nc_u32_e32 v11, v13, v11
	v_ashrrev_i32_e32 v13, 8, v15
	v_add_nc_u32_e32 v11, 0x3c000000, v11
	s_delay_alu instid0(VALU_DEP_1) | instskip(NEXT) | instid1(VALU_DEP_1)
	v_and_or_b32 v11, 0x7f800000, v13, v11
	v_cndmask_b32_e32 v10, 0, v11, vcc_lo
	s_delay_alu instid0(VALU_DEP_1)
	v_and_or_b32 v10, 0x80000000, v7, v10
.LBB103_2611:
	s_mov_b32 s1, 0
.LBB103_2612:
	s_delay_alu instid0(SALU_CYCLE_1)
	s_and_not1_b32 vcc_lo, exec_lo, s1
	s_cbranch_vccnz .LBB103_2614
; %bb.2613:
	global_load_u8 v7, v[8:9], off
	s_wait_loadcnt 0x0
	s_wait_xcnt 0x1
	v_lshlrev_b32_e32 v10, 25, v7
	v_lshlrev_b16 v7, 8, v7
	s_delay_alu instid0(VALU_DEP_1) | instskip(SKIP_1) | instid1(VALU_DEP_2)
	v_and_or_b32 v13, 0x7f00, v7, 0.5
	v_bfe_i32 v7, v7, 0, 16
	v_dual_add_f32 v13, -0.5, v13 :: v_dual_lshrrev_b32 v11, 4, v10
	v_cmp_gt_u32_e32 vcc_lo, 0x8000000, v10
	s_delay_alu instid0(VALU_DEP_2) | instskip(NEXT) | instid1(VALU_DEP_1)
	v_or_b32_e32 v11, 0x70000000, v11
	v_mul_f32_e32 v11, 0x7800000, v11
	s_delay_alu instid0(VALU_DEP_1) | instskip(NEXT) | instid1(VALU_DEP_1)
	v_cndmask_b32_e32 v10, v11, v13, vcc_lo
	v_and_or_b32 v10, 0x80000000, v7, v10
.LBB103_2614:
	s_mov_b32 s1, 0
	s_mov_b32 s2, -1
.LBB103_2615:
	s_and_not1_b32 vcc_lo, exec_lo, s1
	s_mov_b32 s1, 0
	s_cbranch_vccnz .LBB103_2626
; %bb.2616:
	s_cmp_gt_i32 s10, 14
	s_cbranch_scc0 .LBB103_2619
; %bb.2617:
	s_cmp_eq_u32 s10, 15
	s_cbranch_scc0 .LBB103_2622
; %bb.2618:
	global_load_u16 v7, v[8:9], off
	s_mov_b32 s0, 0
	s_mov_b32 s2, -1
	s_wait_loadcnt 0x0
	s_wait_xcnt 0x1
	v_lshlrev_b32_e32 v10, 16, v7
	s_branch .LBB103_2624
.LBB103_2619:
	s_mov_b32 s1, -1
	s_branch .LBB103_2623
.LBB103_2620:
	s_or_saveexec_b32 s2, s2
	v_mov_b32_e32 v10, 0x7f800001
	s_xor_b32 exec_lo, exec_lo, s2
	s_cbranch_execz .LBB103_2601
.LBB103_2621:
	v_cmp_ne_u16_e32 vcc_lo, 0, v7
	v_mov_b32_e32 v10, 0
	s_and_not1_b32 s1, s1, exec_lo
	s_and_b32 s6, vcc_lo, exec_lo
	s_delay_alu instid0(SALU_CYCLE_1)
	s_or_b32 s1, s1, s6
	s_or_b32 exec_lo, exec_lo, s2
	s_and_saveexec_b32 s2, s1
	s_cbranch_execnz .LBB103_2602
	s_branch .LBB103_2603
.LBB103_2622:
	s_mov_b32 s0, -1
.LBB103_2623:
                                        ; implicit-def: $vgpr10
.LBB103_2624:
	s_and_b32 vcc_lo, exec_lo, s1
	s_mov_b32 s1, 0
	s_cbranch_vccz .LBB103_2626
; %bb.2625:
	s_cmp_lg_u32 s10, 11
	s_mov_b32 s1, -1
	s_cselect_b32 s0, -1, 0
.LBB103_2626:
	s_delay_alu instid0(SALU_CYCLE_1)
	s_and_b32 vcc_lo, exec_lo, s0
	s_cbranch_vccnz .LBB103_3158
; %bb.2627:
	s_and_not1_b32 vcc_lo, exec_lo, s1
	s_cbranch_vccnz .LBB103_2629
.LBB103_2628:
	global_load_u8 v7, v[8:9], off
	s_mov_b32 s2, -1
	s_wait_loadcnt 0x0
	v_cmp_ne_u16_e32 vcc_lo, 0, v7
	s_wait_xcnt 0x1
	v_cndmask_b32_e64 v10, 0, 1.0, vcc_lo
.LBB103_2629:
	s_mov_b32 s0, 0
.LBB103_2630:
	s_delay_alu instid0(SALU_CYCLE_1)
	s_and_b32 vcc_lo, exec_lo, s0
	s_cbranch_vccz .LBB103_2679
; %bb.2631:
	s_cmp_lt_i32 s10, 5
	s_cbranch_scc1 .LBB103_2636
; %bb.2632:
	s_cmp_lt_i32 s10, 8
	s_cbranch_scc1 .LBB103_2637
	;; [unrolled: 3-line block ×3, first 2 shown]
; %bb.2634:
	s_cmp_gt_i32 s10, 9
	s_cbranch_scc0 .LBB103_2639
; %bb.2635:
	global_load_b64 v[10:11], v[8:9], off
	s_mov_b32 s0, 0
	s_wait_loadcnt 0x0
	v_cvt_f32_f64_e32 v10, v[10:11]
	s_branch .LBB103_2640
.LBB103_2636:
	s_mov_b32 s0, -1
                                        ; implicit-def: $vgpr10
	s_branch .LBB103_2658
.LBB103_2637:
	s_mov_b32 s0, -1
                                        ; implicit-def: $vgpr10
	s_branch .LBB103_2646
.LBB103_2638:
	s_mov_b32 s0, -1
                                        ; implicit-def: $vgpr10
	s_branch .LBB103_2643
.LBB103_2639:
	s_mov_b32 s0, -1
                                        ; implicit-def: $vgpr10
.LBB103_2640:
	s_delay_alu instid0(SALU_CYCLE_1)
	s_and_not1_b32 vcc_lo, exec_lo, s0
	s_cbranch_vccnz .LBB103_2642
; %bb.2641:
	global_load_b32 v10, v[8:9], off
.LBB103_2642:
	s_mov_b32 s0, 0
.LBB103_2643:
	s_delay_alu instid0(SALU_CYCLE_1)
	s_and_not1_b32 vcc_lo, exec_lo, s0
	s_cbranch_vccnz .LBB103_2645
; %bb.2644:
	global_load_b32 v7, v[8:9], off
	s_wait_loadcnt 0x0
	s_wait_xcnt 0x1
	v_cvt_f32_f16_e32 v10, v7
.LBB103_2645:
	s_mov_b32 s0, 0
.LBB103_2646:
	s_delay_alu instid0(SALU_CYCLE_1)
	s_and_not1_b32 vcc_lo, exec_lo, s0
	s_cbranch_vccnz .LBB103_2657
; %bb.2647:
	s_cmp_lt_i32 s10, 6
	s_cbranch_scc1 .LBB103_2650
; %bb.2648:
	s_cmp_gt_i32 s10, 6
	s_cbranch_scc0 .LBB103_2651
; %bb.2649:
	s_wait_loadcnt 0x0
	global_load_b64 v[10:11], v[8:9], off
	s_mov_b32 s0, 0
	s_wait_loadcnt 0x0
	v_cvt_f32_f64_e32 v10, v[10:11]
	s_branch .LBB103_2652
.LBB103_2650:
	s_mov_b32 s0, -1
                                        ; implicit-def: $vgpr10
	s_branch .LBB103_2655
.LBB103_2651:
	s_mov_b32 s0, -1
                                        ; implicit-def: $vgpr10
.LBB103_2652:
	s_delay_alu instid0(SALU_CYCLE_1)
	s_and_not1_b32 vcc_lo, exec_lo, s0
	s_cbranch_vccnz .LBB103_2654
; %bb.2653:
	s_wait_loadcnt 0x0
	global_load_b32 v10, v[8:9], off
.LBB103_2654:
	s_mov_b32 s0, 0
.LBB103_2655:
	s_delay_alu instid0(SALU_CYCLE_1)
	s_and_not1_b32 vcc_lo, exec_lo, s0
	s_cbranch_vccnz .LBB103_2657
; %bb.2656:
	global_load_u16 v7, v[8:9], off
	s_wait_loadcnt 0x0
	s_wait_xcnt 0x1
	v_cvt_f32_f16_e32 v10, v7
.LBB103_2657:
	s_mov_b32 s0, 0
.LBB103_2658:
	s_delay_alu instid0(SALU_CYCLE_1)
	s_and_not1_b32 vcc_lo, exec_lo, s0
	s_cbranch_vccnz .LBB103_2678
; %bb.2659:
	s_cmp_lt_i32 s10, 2
	s_cbranch_scc1 .LBB103_2663
; %bb.2660:
	s_cmp_lt_i32 s10, 3
	s_cbranch_scc1 .LBB103_2664
; %bb.2661:
	s_cmp_gt_i32 s10, 3
	s_cbranch_scc0 .LBB103_2665
; %bb.2662:
	s_wait_loadcnt 0x0
	global_load_b64 v[10:11], v[8:9], off
	s_mov_b32 s0, 0
	s_wait_loadcnt 0x0
	v_xor_b32_e32 v7, v10, v11
	v_cls_i32_e32 v13, v11
	s_delay_alu instid0(VALU_DEP_2) | instskip(NEXT) | instid1(VALU_DEP_1)
	v_ashrrev_i32_e32 v7, 31, v7
	v_add_nc_u32_e32 v7, 32, v7
	s_delay_alu instid0(VALU_DEP_1) | instskip(NEXT) | instid1(VALU_DEP_1)
	v_add_min_u32_e64 v7, v13, -1, v7
	v_lshlrev_b64_e32 v[10:11], v7, v[10:11]
	v_sub_nc_u32_e32 v7, 32, v7
	s_delay_alu instid0(VALU_DEP_2) | instskip(NEXT) | instid1(VALU_DEP_1)
	v_min_u32_e32 v10, 1, v10
	v_or_b32_e32 v10, v11, v10
	s_delay_alu instid0(VALU_DEP_1) | instskip(NEXT) | instid1(VALU_DEP_1)
	v_cvt_f32_i32_e32 v10, v10
	v_ldexp_f32 v10, v10, v7
	s_branch .LBB103_2666
.LBB103_2663:
	s_mov_b32 s0, -1
                                        ; implicit-def: $vgpr10
	s_branch .LBB103_2672
.LBB103_2664:
	s_mov_b32 s0, -1
                                        ; implicit-def: $vgpr10
	s_branch .LBB103_2669
.LBB103_2665:
	s_mov_b32 s0, -1
                                        ; implicit-def: $vgpr10
.LBB103_2666:
	s_delay_alu instid0(SALU_CYCLE_1)
	s_and_not1_b32 vcc_lo, exec_lo, s0
	s_cbranch_vccnz .LBB103_2668
; %bb.2667:
	global_load_b32 v7, v[8:9], off
	s_wait_loadcnt 0x0
	s_wait_xcnt 0x1
	v_cvt_f32_i32_e32 v10, v7
.LBB103_2668:
	s_mov_b32 s0, 0
.LBB103_2669:
	s_delay_alu instid0(SALU_CYCLE_1)
	s_and_not1_b32 vcc_lo, exec_lo, s0
	s_cbranch_vccnz .LBB103_2671
; %bb.2670:
	global_load_i16 v7, v[8:9], off
	s_wait_loadcnt 0x0
	s_wait_xcnt 0x1
	v_cvt_f32_i32_e32 v10, v7
.LBB103_2671:
	s_mov_b32 s0, 0
.LBB103_2672:
	s_delay_alu instid0(SALU_CYCLE_1)
	s_and_not1_b32 vcc_lo, exec_lo, s0
	s_cbranch_vccnz .LBB103_2678
; %bb.2673:
	s_cmp_gt_i32 s10, 0
	s_mov_b32 s0, 0
	s_cbranch_scc0 .LBB103_2675
; %bb.2674:
	global_load_i8 v7, v[8:9], off
	s_wait_loadcnt 0x0
	s_wait_xcnt 0x1
	v_cvt_f32_i32_e32 v10, v7
	s_branch .LBB103_2676
.LBB103_2675:
	s_mov_b32 s0, -1
                                        ; implicit-def: $vgpr10
.LBB103_2676:
	s_delay_alu instid0(SALU_CYCLE_1)
	s_and_not1_b32 vcc_lo, exec_lo, s0
	s_cbranch_vccnz .LBB103_2678
; %bb.2677:
	global_load_u8 v7, v[8:9], off
	s_wait_loadcnt 0x0
	s_wait_xcnt 0x1
	v_cvt_f32_ubyte0_e32 v10, v7
.LBB103_2678:
	s_mov_b32 s2, -1
.LBB103_2679:
	s_delay_alu instid0(SALU_CYCLE_1)
	s_and_not1_b32 vcc_lo, exec_lo, s2
	s_cbranch_vccnz .LBB103_3112
; %bb.2680:
	s_load_b64 s[0:1], s[20:21], 0x1a0
	s_wait_loadcnt 0x0
	v_cmp_eq_f32_e32 vcc_lo, v1, v3
	s_mov_b32 s11, 0
	s_mov_b32 s2, -1
	v_cndmask_b32_e64 v7, 0, 1, vcc_lo
	v_cmp_neq_f32_e32 vcc_lo, v1, v3
	v_cndmask_b32_e64 v1, 0, 1, vcc_lo
	s_wait_kmcnt 0x0
	s_cmp_eq_u32 s0, 0
	s_cselect_b32 s0, -1, 0
	s_and_b32 s6, s1, 0xff
	v_dual_cndmask_b32 v1, v1, v7, s0 :: v_dual_mov_b32 v7, 0
	s_cmp_lt_i32 s6, 11
	s_delay_alu instid0(VALU_DEP_1) | instskip(NEXT) | instid1(VALU_DEP_2)
	v_and_b32_e32 v1, 1, v1
	v_add_nc_u64_e32 v[6:7], s[4:5], v[6:7]
	s_delay_alu instid0(VALU_DEP_2)
	v_cmp_eq_u32_e64 s1, 1, v1
	s_cbranch_scc1 .LBB103_2759
; %bb.2681:
	s_and_b32 s7, 0xffff, s6
	s_mov_b32 s12, -1
	s_mov_b32 s10, 0
	s_cmp_gt_i32 s7, 25
	s_mov_b32 s2, 0
	s_cbranch_scc0 .LBB103_2714
; %bb.2682:
	s_cmp_gt_i32 s7, 28
	s_cbranch_scc0 .LBB103_2697
; %bb.2683:
	s_cmp_gt_i32 s7, 43
	;; [unrolled: 3-line block ×3, first 2 shown]
	s_cbranch_scc0 .LBB103_2687
; %bb.2685:
	s_mov_b32 s2, -1
	s_mov_b32 s12, 0
	s_cmp_eq_u32 s7, 46
	s_cbranch_scc0 .LBB103_2687
; %bb.2686:
	v_cndmask_b32_e64 v1, 0, 1.0, s1
	s_mov_b32 s2, 0
	s_mov_b32 s11, -1
	s_delay_alu instid0(VALU_DEP_1) | instskip(NEXT) | instid1(VALU_DEP_1)
	v_bfe_u32 v3, v1, 16, 1
	v_add3_u32 v1, v1, v3, 0x7fff
	s_delay_alu instid0(VALU_DEP_1)
	v_lshrrev_b32_e32 v1, 16, v1
	global_store_b32 v[6:7], v1, off
.LBB103_2687:
	s_and_b32 vcc_lo, exec_lo, s12
	s_cbranch_vccz .LBB103_2692
; %bb.2688:
	s_cmp_eq_u32 s7, 44
	s_mov_b32 s2, -1
	s_cbranch_scc0 .LBB103_2692
; %bb.2689:
	v_cndmask_b32_e64 v8, 0, 1.0, s1
	v_mov_b32_e32 v3, 0xff
	s_mov_b32 s11, exec_lo
	s_wait_xcnt 0x0
	s_delay_alu instid0(VALU_DEP_2) | instskip(NEXT) | instid1(VALU_DEP_1)
	v_lshrrev_b32_e32 v1, 23, v8
	v_cmpx_ne_u32_e32 0xff, v1
; %bb.2690:
	v_and_b32_e32 v3, 0x400000, v8
	v_and_or_b32 v8, 0x3fffff, v8, v1
	s_delay_alu instid0(VALU_DEP_2) | instskip(NEXT) | instid1(VALU_DEP_2)
	v_cmp_ne_u32_e32 vcc_lo, 0, v3
	v_cmp_ne_u32_e64 s2, 0, v8
	s_and_b32 s2, vcc_lo, s2
	s_delay_alu instid0(SALU_CYCLE_1) | instskip(NEXT) | instid1(VALU_DEP_1)
	v_cndmask_b32_e64 v3, 0, 1, s2
	v_add_nc_u32_e32 v3, v1, v3
; %bb.2691:
	s_or_b32 exec_lo, exec_lo, s11
	s_mov_b32 s2, 0
	s_mov_b32 s11, -1
	global_store_b8 v[6:7], v3, off
.LBB103_2692:
	s_mov_b32 s12, 0
.LBB103_2693:
	s_delay_alu instid0(SALU_CYCLE_1)
	s_and_b32 vcc_lo, exec_lo, s12
	s_cbranch_vccz .LBB103_2696
; %bb.2694:
	s_cmp_eq_u32 s7, 29
	s_mov_b32 s2, -1
	s_cbranch_scc0 .LBB103_2696
; %bb.2695:
	s_mov_b32 s2, 0
	v_cndmask_b32_e64 v8, 0, 1, s1
	v_mov_b32_e32 v9, s2
	s_mov_b32 s11, -1
	global_store_b64 v[6:7], v[8:9], off
.LBB103_2696:
	s_mov_b32 s12, 0
.LBB103_2697:
	s_delay_alu instid0(SALU_CYCLE_1)
	s_and_b32 vcc_lo, exec_lo, s12
	s_cbranch_vccz .LBB103_2713
; %bb.2698:
	s_cmp_lt_i32 s7, 27
	s_mov_b32 s11, -1
	s_cbranch_scc1 .LBB103_2704
; %bb.2699:
	s_cmp_gt_i32 s7, 27
	s_cbranch_scc0 .LBB103_2701
; %bb.2700:
	s_wait_xcnt 0x0
	v_cndmask_b32_e64 v1, 0, 1, s1
	s_mov_b32 s11, 0
	global_store_b32 v[6:7], v1, off
.LBB103_2701:
	s_and_not1_b32 vcc_lo, exec_lo, s11
	s_cbranch_vccnz .LBB103_2703
; %bb.2702:
	s_wait_xcnt 0x0
	v_cndmask_b32_e64 v1, 0, 1, s1
	global_store_b16 v[6:7], v1, off
.LBB103_2703:
	s_mov_b32 s11, 0
.LBB103_2704:
	s_delay_alu instid0(SALU_CYCLE_1)
	s_and_not1_b32 vcc_lo, exec_lo, s11
	s_cbranch_vccnz .LBB103_2712
; %bb.2705:
	s_wait_xcnt 0x0
	v_cndmask_b32_e64 v3, 0, 1.0, s1
	v_mov_b32_e32 v8, 0x80
	s_mov_b32 s11, exec_lo
	s_delay_alu instid0(VALU_DEP_2)
	v_cmpx_gt_u32_e32 0x43800000, v3
	s_cbranch_execz .LBB103_2711
; %bb.2706:
	s_mov_b32 s12, 0
	s_mov_b32 s13, exec_lo
                                        ; implicit-def: $vgpr1
	v_cmpx_lt_u32_e32 0x3bffffff, v3
	s_xor_b32 s13, exec_lo, s13
	s_cbranch_execz .LBB103_3159
; %bb.2707:
	v_bfe_u32 v1, v3, 20, 1
	s_mov_b32 s12, exec_lo
	s_delay_alu instid0(VALU_DEP_1) | instskip(NEXT) | instid1(VALU_DEP_1)
	v_add3_u32 v1, v3, v1, 0x487ffff
                                        ; implicit-def: $vgpr3
	v_lshrrev_b32_e32 v1, 20, v1
	s_and_not1_saveexec_b32 s13, s13
	s_cbranch_execnz .LBB103_3160
.LBB103_2708:
	s_or_b32 exec_lo, exec_lo, s13
	v_mov_b32_e32 v8, 0
	s_and_saveexec_b32 s13, s12
.LBB103_2709:
	v_mov_b32_e32 v8, v1
.LBB103_2710:
	s_or_b32 exec_lo, exec_lo, s13
.LBB103_2711:
	s_delay_alu instid0(SALU_CYCLE_1)
	s_or_b32 exec_lo, exec_lo, s11
	global_store_b8 v[6:7], v8, off
.LBB103_2712:
	s_mov_b32 s11, -1
.LBB103_2713:
	s_mov_b32 s12, 0
.LBB103_2714:
	s_delay_alu instid0(SALU_CYCLE_1)
	s_and_b32 vcc_lo, exec_lo, s12
	s_cbranch_vccz .LBB103_2754
; %bb.2715:
	s_cmp_gt_i32 s7, 22
	s_mov_b32 s10, -1
	s_cbranch_scc0 .LBB103_2747
; %bb.2716:
	s_cmp_lt_i32 s7, 24
	s_cbranch_scc1 .LBB103_2736
; %bb.2717:
	s_cmp_gt_i32 s7, 24
	s_cbranch_scc0 .LBB103_2725
; %bb.2718:
	s_wait_xcnt 0x0
	v_cndmask_b32_e64 v3, 0, 1.0, s1
	v_mov_b32_e32 v8, 0x80
	s_mov_b32 s10, exec_lo
	s_delay_alu instid0(VALU_DEP_2)
	v_cmpx_gt_u32_e32 0x47800000, v3
	s_cbranch_execz .LBB103_2724
; %bb.2719:
	s_mov_b32 s11, 0
	s_mov_b32 s12, exec_lo
                                        ; implicit-def: $vgpr1
	v_cmpx_lt_u32_e32 0x37ffffff, v3
	s_xor_b32 s12, exec_lo, s12
	s_cbranch_execz .LBB103_3162
; %bb.2720:
	v_bfe_u32 v1, v3, 21, 1
	s_mov_b32 s11, exec_lo
	s_delay_alu instid0(VALU_DEP_1) | instskip(NEXT) | instid1(VALU_DEP_1)
	v_add3_u32 v1, v3, v1, 0x88fffff
                                        ; implicit-def: $vgpr3
	v_lshrrev_b32_e32 v1, 21, v1
	s_and_not1_saveexec_b32 s12, s12
	s_cbranch_execnz .LBB103_3163
.LBB103_2721:
	s_or_b32 exec_lo, exec_lo, s12
	v_mov_b32_e32 v8, 0
	s_and_saveexec_b32 s12, s11
.LBB103_2722:
	v_mov_b32_e32 v8, v1
.LBB103_2723:
	s_or_b32 exec_lo, exec_lo, s12
.LBB103_2724:
	s_delay_alu instid0(SALU_CYCLE_1)
	s_or_b32 exec_lo, exec_lo, s10
	s_mov_b32 s10, 0
	global_store_b8 v[6:7], v8, off
.LBB103_2725:
	s_and_b32 vcc_lo, exec_lo, s10
	s_cbranch_vccz .LBB103_2735
; %bb.2726:
	s_wait_xcnt 0x0
	v_cndmask_b32_e64 v3, 0, 1.0, s1
	s_mov_b32 s10, exec_lo
                                        ; implicit-def: $vgpr1
	s_delay_alu instid0(VALU_DEP_1)
	v_cmpx_gt_u32_e32 0x43f00000, v3
	s_xor_b32 s10, exec_lo, s10
	s_cbranch_execz .LBB103_2732
; %bb.2727:
	s_mov_b32 s11, exec_lo
                                        ; implicit-def: $vgpr1
	v_cmpx_lt_u32_e32 0x3c7fffff, v3
	s_xor_b32 s11, exec_lo, s11
; %bb.2728:
	v_bfe_u32 v1, v3, 20, 1
	s_delay_alu instid0(VALU_DEP_1) | instskip(NEXT) | instid1(VALU_DEP_1)
	v_add3_u32 v1, v3, v1, 0x407ffff
	v_and_b32_e32 v3, 0xff00000, v1
	v_lshrrev_b32_e32 v1, 20, v1
	s_delay_alu instid0(VALU_DEP_2) | instskip(NEXT) | instid1(VALU_DEP_2)
	v_cmp_ne_u32_e32 vcc_lo, 0x7f00000, v3
                                        ; implicit-def: $vgpr3
	v_cndmask_b32_e32 v1, 0x7e, v1, vcc_lo
; %bb.2729:
	s_and_not1_saveexec_b32 s11, s11
; %bb.2730:
	v_add_f32_e32 v1, 0x46800000, v3
; %bb.2731:
	s_or_b32 exec_lo, exec_lo, s11
                                        ; implicit-def: $vgpr3
.LBB103_2732:
	s_and_not1_saveexec_b32 s10, s10
; %bb.2733:
	v_mov_b32_e32 v1, 0x7f
	v_cmp_lt_u32_e32 vcc_lo, 0x7f800000, v3
	s_delay_alu instid0(VALU_DEP_2)
	v_cndmask_b32_e32 v1, 0x7e, v1, vcc_lo
; %bb.2734:
	s_or_b32 exec_lo, exec_lo, s10
	global_store_b8 v[6:7], v1, off
.LBB103_2735:
	s_mov_b32 s10, 0
.LBB103_2736:
	s_delay_alu instid0(SALU_CYCLE_1)
	s_and_not1_b32 vcc_lo, exec_lo, s10
	s_cbranch_vccnz .LBB103_2746
; %bb.2737:
	s_wait_xcnt 0x0
	v_cndmask_b32_e64 v3, 0, 1.0, s1
	s_mov_b32 s10, exec_lo
                                        ; implicit-def: $vgpr1
	s_delay_alu instid0(VALU_DEP_1)
	v_cmpx_gt_u32_e32 0x47800000, v3
	s_xor_b32 s10, exec_lo, s10
	s_cbranch_execz .LBB103_2743
; %bb.2738:
	s_mov_b32 s11, exec_lo
                                        ; implicit-def: $vgpr1
	v_cmpx_lt_u32_e32 0x387fffff, v3
	s_xor_b32 s11, exec_lo, s11
; %bb.2739:
	v_bfe_u32 v1, v3, 21, 1
	s_delay_alu instid0(VALU_DEP_1) | instskip(NEXT) | instid1(VALU_DEP_1)
	v_add3_u32 v1, v3, v1, 0x80fffff
                                        ; implicit-def: $vgpr3
	v_lshrrev_b32_e32 v1, 21, v1
; %bb.2740:
	s_and_not1_saveexec_b32 s11, s11
; %bb.2741:
	v_add_f32_e32 v1, 0x43000000, v3
; %bb.2742:
	s_or_b32 exec_lo, exec_lo, s11
                                        ; implicit-def: $vgpr3
.LBB103_2743:
	s_and_not1_saveexec_b32 s10, s10
; %bb.2744:
	v_mov_b32_e32 v1, 0x7f
	v_cmp_lt_u32_e32 vcc_lo, 0x7f800000, v3
	s_delay_alu instid0(VALU_DEP_2)
	v_cndmask_b32_e32 v1, 0x7c, v1, vcc_lo
; %bb.2745:
	s_or_b32 exec_lo, exec_lo, s10
	global_store_b8 v[6:7], v1, off
.LBB103_2746:
	s_mov_b32 s10, 0
	s_mov_b32 s11, -1
.LBB103_2747:
	s_and_not1_b32 vcc_lo, exec_lo, s10
	s_mov_b32 s10, 0
	s_cbranch_vccnz .LBB103_2754
; %bb.2748:
	s_cmp_gt_i32 s7, 14
	s_mov_b32 s10, -1
	s_cbranch_scc0 .LBB103_2752
; %bb.2749:
	s_cmp_eq_u32 s7, 15
	s_mov_b32 s2, -1
	s_cbranch_scc0 .LBB103_2751
; %bb.2750:
	s_wait_xcnt 0x0
	v_cndmask_b32_e64 v1, 0, 1.0, s1
	s_mov_b32 s2, 0
	s_mov_b32 s11, -1
	s_delay_alu instid0(VALU_DEP_1) | instskip(NEXT) | instid1(VALU_DEP_1)
	v_bfe_u32 v3, v1, 16, 1
	v_add3_u32 v1, v1, v3, 0x7fff
	global_store_d16_hi_b16 v[6:7], v1, off
.LBB103_2751:
	s_mov_b32 s10, 0
.LBB103_2752:
	s_delay_alu instid0(SALU_CYCLE_1)
	s_and_b32 vcc_lo, exec_lo, s10
	s_mov_b32 s10, 0
	s_cbranch_vccz .LBB103_2754
; %bb.2753:
	s_cmp_lg_u32 s7, 11
	s_mov_b32 s10, -1
	s_cselect_b32 s2, -1, 0
.LBB103_2754:
	s_delay_alu instid0(SALU_CYCLE_1)
	s_and_b32 vcc_lo, exec_lo, s2
	s_cbranch_vccnz .LBB103_3161
; %bb.2755:
	s_and_not1_b32 vcc_lo, exec_lo, s10
	s_cbranch_vccnz .LBB103_2757
.LBB103_2756:
	s_wait_xcnt 0x0
	v_cndmask_b32_e64 v1, 0, 1, s1
	s_mov_b32 s11, -1
	global_store_b8 v[6:7], v1, off
.LBB103_2757:
.LBB103_2758:
	s_and_not1_b32 vcc_lo, exec_lo, s11
	s_cbranch_vccnz .LBB103_3112
	s_branch .LBB103_2798
.LBB103_2759:
	s_and_b32 vcc_lo, exec_lo, s2
	s_cbranch_vccz .LBB103_2758
; %bb.2760:
	s_and_b32 s2, 0xffff, s6
	s_mov_b32 s7, -1
	s_cmp_lt_i32 s2, 5
	s_cbranch_scc1 .LBB103_2781
; %bb.2761:
	s_cmp_lt_i32 s2, 8
	s_cbranch_scc1 .LBB103_2771
; %bb.2762:
	;; [unrolled: 3-line block ×3, first 2 shown]
	s_cmp_gt_i32 s2, 9
	s_cbranch_scc0 .LBB103_2765
; %bb.2764:
	s_wait_xcnt 0x0
	v_cndmask_b32_e64 v1, 0, 1, s1
	v_mov_b32_e32 v22, 0
	s_mov_b32 s7, 0
	s_delay_alu instid0(VALU_DEP_2) | instskip(NEXT) | instid1(VALU_DEP_2)
	v_cvt_f64_u32_e32 v[20:21], v1
	v_mov_b32_e32 v23, v22
	global_store_b128 v[6:7], v[20:23], off
.LBB103_2765:
	s_and_not1_b32 vcc_lo, exec_lo, s7
	s_cbranch_vccnz .LBB103_2767
; %bb.2766:
	s_wait_xcnt 0x0
	v_cndmask_b32_e64 v8, 0, 1.0, s1
	v_mov_b32_e32 v9, 0
	global_store_b64 v[6:7], v[8:9], off
.LBB103_2767:
	s_mov_b32 s7, 0
.LBB103_2768:
	s_delay_alu instid0(SALU_CYCLE_1)
	s_and_not1_b32 vcc_lo, exec_lo, s7
	s_cbranch_vccnz .LBB103_2770
; %bb.2769:
	s_wait_xcnt 0x0
	v_cndmask_b32_e64 v1, 0, 1.0, s1
	s_delay_alu instid0(VALU_DEP_1) | instskip(NEXT) | instid1(VALU_DEP_1)
	v_cvt_f16_f32_e32 v1, v1
	v_and_b32_e32 v1, 0xffff, v1
	global_store_b32 v[6:7], v1, off
.LBB103_2770:
	s_mov_b32 s7, 0
.LBB103_2771:
	s_delay_alu instid0(SALU_CYCLE_1)
	s_and_not1_b32 vcc_lo, exec_lo, s7
	s_cbranch_vccnz .LBB103_2780
; %bb.2772:
	s_cmp_lt_i32 s2, 6
	s_mov_b32 s7, -1
	s_cbranch_scc1 .LBB103_2778
; %bb.2773:
	s_cmp_gt_i32 s2, 6
	s_cbranch_scc0 .LBB103_2775
; %bb.2774:
	s_wait_xcnt 0x0
	v_cndmask_b32_e64 v1, 0, 1, s1
	s_mov_b32 s7, 0
	s_delay_alu instid0(VALU_DEP_1)
	v_cvt_f64_u32_e32 v[8:9], v1
	global_store_b64 v[6:7], v[8:9], off
.LBB103_2775:
	s_and_not1_b32 vcc_lo, exec_lo, s7
	s_cbranch_vccnz .LBB103_2777
; %bb.2776:
	s_wait_xcnt 0x0
	v_cndmask_b32_e64 v1, 0, 1.0, s1
	global_store_b32 v[6:7], v1, off
.LBB103_2777:
	s_mov_b32 s7, 0
.LBB103_2778:
	s_delay_alu instid0(SALU_CYCLE_1)
	s_and_not1_b32 vcc_lo, exec_lo, s7
	s_cbranch_vccnz .LBB103_2780
; %bb.2779:
	s_wait_xcnt 0x0
	v_cndmask_b32_e64 v1, 0, 1.0, s1
	s_delay_alu instid0(VALU_DEP_1)
	v_cvt_f16_f32_e32 v1, v1
	global_store_b16 v[6:7], v1, off
.LBB103_2780:
	s_mov_b32 s7, 0
.LBB103_2781:
	s_delay_alu instid0(SALU_CYCLE_1)
	s_and_not1_b32 vcc_lo, exec_lo, s7
	s_cbranch_vccnz .LBB103_2797
; %bb.2782:
	s_cmp_lt_i32 s2, 2
	s_mov_b32 s7, -1
	s_cbranch_scc1 .LBB103_2792
; %bb.2783:
	s_cmp_lt_i32 s2, 3
	s_cbranch_scc1 .LBB103_2789
; %bb.2784:
	s_cmp_gt_i32 s2, 3
	s_cbranch_scc0 .LBB103_2786
; %bb.2785:
	s_mov_b32 s7, 0
	s_wait_xcnt 0x0
	v_cndmask_b32_e64 v8, 0, 1, s1
	v_mov_b32_e32 v9, s7
	global_store_b64 v[6:7], v[8:9], off
.LBB103_2786:
	s_and_not1_b32 vcc_lo, exec_lo, s7
	s_cbranch_vccnz .LBB103_2788
; %bb.2787:
	s_wait_xcnt 0x0
	v_cndmask_b32_e64 v1, 0, 1, s1
	global_store_b32 v[6:7], v1, off
.LBB103_2788:
	s_mov_b32 s7, 0
.LBB103_2789:
	s_delay_alu instid0(SALU_CYCLE_1)
	s_and_not1_b32 vcc_lo, exec_lo, s7
	s_cbranch_vccnz .LBB103_2791
; %bb.2790:
	s_wait_xcnt 0x0
	v_cndmask_b32_e64 v1, 0, 1, s1
	global_store_b16 v[6:7], v1, off
.LBB103_2791:
	s_mov_b32 s7, 0
.LBB103_2792:
	s_delay_alu instid0(SALU_CYCLE_1)
	s_and_not1_b32 vcc_lo, exec_lo, s7
	s_cbranch_vccnz .LBB103_2797
; %bb.2793:
	s_wait_xcnt 0x0
	v_cndmask_b32_e64 v1, 0, 1, s1
	s_cmp_gt_i32 s2, 0
	s_mov_b32 s1, -1
	s_cbranch_scc0 .LBB103_2795
; %bb.2794:
	s_mov_b32 s1, 0
	global_store_b8 v[6:7], v1, off
.LBB103_2795:
	s_and_not1_b32 vcc_lo, exec_lo, s1
	s_cbranch_vccnz .LBB103_2797
; %bb.2796:
	global_store_b8 v[6:7], v1, off
.LBB103_2797:
.LBB103_2798:
	v_cmp_eq_f32_e32 vcc_lo, v5, v18
	s_and_b32 s7, 0xffff, s6
	s_delay_alu instid0(SALU_CYCLE_1)
	s_cmp_lt_i32 s7, 11
	s_wait_xcnt 0x0
	v_cndmask_b32_e64 v1, 0, 1, vcc_lo
	v_cmp_neq_f32_e32 vcc_lo, v5, v18
	v_mov_b32_e32 v5, 0
	v_cndmask_b32_e64 v3, 0, 1, vcc_lo
	s_delay_alu instid0(VALU_DEP_2) | instskip(NEXT) | instid1(VALU_DEP_2)
	v_add_nc_u64_e32 v[4:5], s[4:5], v[4:5]
	v_cndmask_b32_e64 v1, v3, v1, s0
	s_delay_alu instid0(VALU_DEP_1) | instskip(NEXT) | instid1(VALU_DEP_1)
	v_and_b32_e32 v1, 1, v1
	v_cmp_eq_u32_e64 s1, 1, v1
	s_cbranch_scc1 .LBB103_2876
; %bb.2799:
	s_mov_b32 s12, -1
	s_mov_b32 s10, 0
	s_cmp_gt_i32 s7, 25
	s_mov_b32 s11, 0
	s_mov_b32 s2, 0
	s_cbranch_scc0 .LBB103_2832
; %bb.2800:
	s_cmp_gt_i32 s7, 28
	s_cbranch_scc0 .LBB103_2815
; %bb.2801:
	s_cmp_gt_i32 s7, 43
	;; [unrolled: 3-line block ×3, first 2 shown]
	s_cbranch_scc0 .LBB103_2805
; %bb.2803:
	s_mov_b32 s2, -1
	s_mov_b32 s12, 0
	s_cmp_eq_u32 s7, 46
	s_cbranch_scc0 .LBB103_2805
; %bb.2804:
	v_cndmask_b32_e64 v1, 0, 1.0, s1
	s_mov_b32 s2, 0
	s_mov_b32 s11, -1
	s_delay_alu instid0(VALU_DEP_1) | instskip(NEXT) | instid1(VALU_DEP_1)
	v_bfe_u32 v3, v1, 16, 1
	v_add3_u32 v1, v1, v3, 0x7fff
	s_delay_alu instid0(VALU_DEP_1)
	v_lshrrev_b32_e32 v1, 16, v1
	global_store_b32 v[4:5], v1, off
.LBB103_2805:
	s_and_b32 vcc_lo, exec_lo, s12
	s_cbranch_vccz .LBB103_2810
; %bb.2806:
	s_cmp_eq_u32 s7, 44
	s_mov_b32 s2, -1
	s_cbranch_scc0 .LBB103_2810
; %bb.2807:
	v_cndmask_b32_e64 v6, 0, 1.0, s1
	v_mov_b32_e32 v3, 0xff
	s_mov_b32 s11, exec_lo
	s_wait_xcnt 0x0
	s_delay_alu instid0(VALU_DEP_2) | instskip(NEXT) | instid1(VALU_DEP_1)
	v_lshrrev_b32_e32 v1, 23, v6
	v_cmpx_ne_u32_e32 0xff, v1
; %bb.2808:
	v_and_b32_e32 v3, 0x400000, v6
	v_and_or_b32 v6, 0x3fffff, v6, v1
	s_delay_alu instid0(VALU_DEP_2) | instskip(NEXT) | instid1(VALU_DEP_2)
	v_cmp_ne_u32_e32 vcc_lo, 0, v3
	v_cmp_ne_u32_e64 s2, 0, v6
	s_and_b32 s2, vcc_lo, s2
	s_delay_alu instid0(SALU_CYCLE_1) | instskip(NEXT) | instid1(VALU_DEP_1)
	v_cndmask_b32_e64 v3, 0, 1, s2
	v_add_nc_u32_e32 v3, v1, v3
; %bb.2809:
	s_or_b32 exec_lo, exec_lo, s11
	s_mov_b32 s2, 0
	s_mov_b32 s11, -1
	global_store_b8 v[4:5], v3, off
.LBB103_2810:
	s_mov_b32 s12, 0
.LBB103_2811:
	s_delay_alu instid0(SALU_CYCLE_1)
	s_and_b32 vcc_lo, exec_lo, s12
	s_cbranch_vccz .LBB103_2814
; %bb.2812:
	s_cmp_eq_u32 s7, 29
	s_mov_b32 s2, -1
	s_cbranch_scc0 .LBB103_2814
; %bb.2813:
	s_mov_b32 s2, 0
	v_cndmask_b32_e64 v6, 0, 1, s1
	v_mov_b32_e32 v7, s2
	s_mov_b32 s11, -1
	global_store_b64 v[4:5], v[6:7], off
.LBB103_2814:
	s_mov_b32 s12, 0
.LBB103_2815:
	s_delay_alu instid0(SALU_CYCLE_1)
	s_and_b32 vcc_lo, exec_lo, s12
	s_cbranch_vccz .LBB103_2831
; %bb.2816:
	s_cmp_lt_i32 s7, 27
	s_mov_b32 s11, -1
	s_cbranch_scc1 .LBB103_2822
; %bb.2817:
	s_cmp_gt_i32 s7, 27
	s_cbranch_scc0 .LBB103_2819
; %bb.2818:
	s_wait_xcnt 0x0
	v_cndmask_b32_e64 v1, 0, 1, s1
	s_mov_b32 s11, 0
	global_store_b32 v[4:5], v1, off
.LBB103_2819:
	s_and_not1_b32 vcc_lo, exec_lo, s11
	s_cbranch_vccnz .LBB103_2821
; %bb.2820:
	s_wait_xcnt 0x0
	v_cndmask_b32_e64 v1, 0, 1, s1
	global_store_b16 v[4:5], v1, off
.LBB103_2821:
	s_mov_b32 s11, 0
.LBB103_2822:
	s_delay_alu instid0(SALU_CYCLE_1)
	s_and_not1_b32 vcc_lo, exec_lo, s11
	s_cbranch_vccnz .LBB103_2830
; %bb.2823:
	s_wait_xcnt 0x0
	v_cndmask_b32_e64 v3, 0, 1.0, s1
	v_mov_b32_e32 v6, 0x80
	s_mov_b32 s11, exec_lo
	s_delay_alu instid0(VALU_DEP_2)
	v_cmpx_gt_u32_e32 0x43800000, v3
	s_cbranch_execz .LBB103_2829
; %bb.2824:
	s_mov_b32 s12, 0
	s_mov_b32 s13, exec_lo
                                        ; implicit-def: $vgpr1
	v_cmpx_lt_u32_e32 0x3bffffff, v3
	s_xor_b32 s13, exec_lo, s13
	s_cbranch_execz .LBB103_3164
; %bb.2825:
	v_bfe_u32 v1, v3, 20, 1
	s_mov_b32 s12, exec_lo
	s_delay_alu instid0(VALU_DEP_1) | instskip(NEXT) | instid1(VALU_DEP_1)
	v_add3_u32 v1, v3, v1, 0x487ffff
                                        ; implicit-def: $vgpr3
	v_lshrrev_b32_e32 v1, 20, v1
	s_and_not1_saveexec_b32 s13, s13
	s_cbranch_execnz .LBB103_3165
.LBB103_2826:
	s_or_b32 exec_lo, exec_lo, s13
	v_mov_b32_e32 v6, 0
	s_and_saveexec_b32 s13, s12
.LBB103_2827:
	v_mov_b32_e32 v6, v1
.LBB103_2828:
	s_or_b32 exec_lo, exec_lo, s13
.LBB103_2829:
	s_delay_alu instid0(SALU_CYCLE_1)
	s_or_b32 exec_lo, exec_lo, s11
	global_store_b8 v[4:5], v6, off
.LBB103_2830:
	s_mov_b32 s11, -1
.LBB103_2831:
	s_mov_b32 s12, 0
.LBB103_2832:
	s_delay_alu instid0(SALU_CYCLE_1)
	s_and_b32 vcc_lo, exec_lo, s12
	s_cbranch_vccz .LBB103_2872
; %bb.2833:
	s_cmp_gt_i32 s7, 22
	s_mov_b32 s10, -1
	s_cbranch_scc0 .LBB103_2865
; %bb.2834:
	s_cmp_lt_i32 s7, 24
	s_cbranch_scc1 .LBB103_2854
; %bb.2835:
	s_cmp_gt_i32 s7, 24
	s_cbranch_scc0 .LBB103_2843
; %bb.2836:
	s_wait_xcnt 0x0
	v_cndmask_b32_e64 v3, 0, 1.0, s1
	v_mov_b32_e32 v6, 0x80
	s_mov_b32 s10, exec_lo
	s_delay_alu instid0(VALU_DEP_2)
	v_cmpx_gt_u32_e32 0x47800000, v3
	s_cbranch_execz .LBB103_2842
; %bb.2837:
	s_mov_b32 s11, 0
	s_mov_b32 s12, exec_lo
                                        ; implicit-def: $vgpr1
	v_cmpx_lt_u32_e32 0x37ffffff, v3
	s_xor_b32 s12, exec_lo, s12
	s_cbranch_execz .LBB103_3167
; %bb.2838:
	v_bfe_u32 v1, v3, 21, 1
	s_mov_b32 s11, exec_lo
	s_delay_alu instid0(VALU_DEP_1) | instskip(NEXT) | instid1(VALU_DEP_1)
	v_add3_u32 v1, v3, v1, 0x88fffff
                                        ; implicit-def: $vgpr3
	v_lshrrev_b32_e32 v1, 21, v1
	s_and_not1_saveexec_b32 s12, s12
	s_cbranch_execnz .LBB103_3168
.LBB103_2839:
	s_or_b32 exec_lo, exec_lo, s12
	v_mov_b32_e32 v6, 0
	s_and_saveexec_b32 s12, s11
.LBB103_2840:
	v_mov_b32_e32 v6, v1
.LBB103_2841:
	s_or_b32 exec_lo, exec_lo, s12
.LBB103_2842:
	s_delay_alu instid0(SALU_CYCLE_1)
	s_or_b32 exec_lo, exec_lo, s10
	s_mov_b32 s10, 0
	global_store_b8 v[4:5], v6, off
.LBB103_2843:
	s_and_b32 vcc_lo, exec_lo, s10
	s_cbranch_vccz .LBB103_2853
; %bb.2844:
	s_wait_xcnt 0x0
	v_cndmask_b32_e64 v3, 0, 1.0, s1
	s_mov_b32 s10, exec_lo
                                        ; implicit-def: $vgpr1
	s_delay_alu instid0(VALU_DEP_1)
	v_cmpx_gt_u32_e32 0x43f00000, v3
	s_xor_b32 s10, exec_lo, s10
	s_cbranch_execz .LBB103_2850
; %bb.2845:
	s_mov_b32 s11, exec_lo
                                        ; implicit-def: $vgpr1
	v_cmpx_lt_u32_e32 0x3c7fffff, v3
	s_xor_b32 s11, exec_lo, s11
; %bb.2846:
	v_bfe_u32 v1, v3, 20, 1
	s_delay_alu instid0(VALU_DEP_1) | instskip(NEXT) | instid1(VALU_DEP_1)
	v_add3_u32 v1, v3, v1, 0x407ffff
	v_and_b32_e32 v3, 0xff00000, v1
	v_lshrrev_b32_e32 v1, 20, v1
	s_delay_alu instid0(VALU_DEP_2) | instskip(NEXT) | instid1(VALU_DEP_2)
	v_cmp_ne_u32_e32 vcc_lo, 0x7f00000, v3
                                        ; implicit-def: $vgpr3
	v_cndmask_b32_e32 v1, 0x7e, v1, vcc_lo
; %bb.2847:
	s_and_not1_saveexec_b32 s11, s11
; %bb.2848:
	v_add_f32_e32 v1, 0x46800000, v3
; %bb.2849:
	s_or_b32 exec_lo, exec_lo, s11
                                        ; implicit-def: $vgpr3
.LBB103_2850:
	s_and_not1_saveexec_b32 s10, s10
; %bb.2851:
	v_mov_b32_e32 v1, 0x7f
	v_cmp_lt_u32_e32 vcc_lo, 0x7f800000, v3
	s_delay_alu instid0(VALU_DEP_2)
	v_cndmask_b32_e32 v1, 0x7e, v1, vcc_lo
; %bb.2852:
	s_or_b32 exec_lo, exec_lo, s10
	global_store_b8 v[4:5], v1, off
.LBB103_2853:
	s_mov_b32 s10, 0
.LBB103_2854:
	s_delay_alu instid0(SALU_CYCLE_1)
	s_and_not1_b32 vcc_lo, exec_lo, s10
	s_cbranch_vccnz .LBB103_2864
; %bb.2855:
	s_wait_xcnt 0x0
	v_cndmask_b32_e64 v3, 0, 1.0, s1
	s_mov_b32 s10, exec_lo
                                        ; implicit-def: $vgpr1
	s_delay_alu instid0(VALU_DEP_1)
	v_cmpx_gt_u32_e32 0x47800000, v3
	s_xor_b32 s10, exec_lo, s10
	s_cbranch_execz .LBB103_2861
; %bb.2856:
	s_mov_b32 s11, exec_lo
                                        ; implicit-def: $vgpr1
	v_cmpx_lt_u32_e32 0x387fffff, v3
	s_xor_b32 s11, exec_lo, s11
; %bb.2857:
	v_bfe_u32 v1, v3, 21, 1
	s_delay_alu instid0(VALU_DEP_1) | instskip(NEXT) | instid1(VALU_DEP_1)
	v_add3_u32 v1, v3, v1, 0x80fffff
                                        ; implicit-def: $vgpr3
	v_lshrrev_b32_e32 v1, 21, v1
; %bb.2858:
	s_and_not1_saveexec_b32 s11, s11
; %bb.2859:
	v_add_f32_e32 v1, 0x43000000, v3
; %bb.2860:
	s_or_b32 exec_lo, exec_lo, s11
                                        ; implicit-def: $vgpr3
.LBB103_2861:
	s_and_not1_saveexec_b32 s10, s10
; %bb.2862:
	v_mov_b32_e32 v1, 0x7f
	v_cmp_lt_u32_e32 vcc_lo, 0x7f800000, v3
	s_delay_alu instid0(VALU_DEP_2)
	v_cndmask_b32_e32 v1, 0x7c, v1, vcc_lo
; %bb.2863:
	s_or_b32 exec_lo, exec_lo, s10
	global_store_b8 v[4:5], v1, off
.LBB103_2864:
	s_mov_b32 s10, 0
	s_mov_b32 s11, -1
.LBB103_2865:
	s_and_not1_b32 vcc_lo, exec_lo, s10
	s_mov_b32 s10, 0
	s_cbranch_vccnz .LBB103_2872
; %bb.2866:
	s_cmp_gt_i32 s7, 14
	s_mov_b32 s10, -1
	s_cbranch_scc0 .LBB103_2870
; %bb.2867:
	s_cmp_eq_u32 s7, 15
	s_mov_b32 s2, -1
	s_cbranch_scc0 .LBB103_2869
; %bb.2868:
	s_wait_xcnt 0x0
	v_cndmask_b32_e64 v1, 0, 1.0, s1
	s_mov_b32 s2, 0
	s_mov_b32 s11, -1
	s_delay_alu instid0(VALU_DEP_1) | instskip(NEXT) | instid1(VALU_DEP_1)
	v_bfe_u32 v3, v1, 16, 1
	v_add3_u32 v1, v1, v3, 0x7fff
	global_store_d16_hi_b16 v[4:5], v1, off
.LBB103_2869:
	s_mov_b32 s10, 0
.LBB103_2870:
	s_delay_alu instid0(SALU_CYCLE_1)
	s_and_b32 vcc_lo, exec_lo, s10
	s_mov_b32 s10, 0
	s_cbranch_vccz .LBB103_2872
; %bb.2871:
	s_cmp_lg_u32 s7, 11
	s_mov_b32 s10, -1
	s_cselect_b32 s2, -1, 0
.LBB103_2872:
	s_delay_alu instid0(SALU_CYCLE_1)
	s_and_b32 vcc_lo, exec_lo, s2
	s_cbranch_vccnz .LBB103_3166
; %bb.2873:
	s_and_not1_b32 vcc_lo, exec_lo, s10
	s_cbranch_vccnz .LBB103_2875
.LBB103_2874:
	s_wait_xcnt 0x0
	v_cndmask_b32_e64 v1, 0, 1, s1
	s_mov_b32 s11, -1
	global_store_b8 v[4:5], v1, off
.LBB103_2875:
	s_mov_b32 s2, 0
	s_branch .LBB103_2877
.LBB103_2876:
	s_mov_b32 s2, -1
	s_mov_b32 s11, 0
.LBB103_2877:
	s_and_b32 vcc_lo, exec_lo, s2
	s_cbranch_vccz .LBB103_2916
; %bb.2878:
	s_cmp_lt_i32 s7, 5
	s_mov_b32 s2, -1
	s_cbranch_scc1 .LBB103_2899
; %bb.2879:
	s_cmp_lt_i32 s7, 8
	s_cbranch_scc1 .LBB103_2889
; %bb.2880:
	s_cmp_lt_i32 s7, 9
	s_cbranch_scc1 .LBB103_2886
; %bb.2881:
	s_cmp_gt_i32 s7, 9
	s_cbranch_scc0 .LBB103_2883
; %bb.2882:
	s_wait_xcnt 0x0
	v_cndmask_b32_e64 v1, 0, 1, s1
	v_mov_b32_e32 v8, 0
	s_mov_b32 s2, 0
	s_delay_alu instid0(VALU_DEP_2) | instskip(NEXT) | instid1(VALU_DEP_2)
	v_cvt_f64_u32_e32 v[6:7], v1
	v_mov_b32_e32 v9, v8
	global_store_b128 v[4:5], v[6:9], off
.LBB103_2883:
	s_and_not1_b32 vcc_lo, exec_lo, s2
	s_cbranch_vccnz .LBB103_2885
; %bb.2884:
	s_wait_xcnt 0x0
	v_cndmask_b32_e64 v6, 0, 1.0, s1
	v_mov_b32_e32 v7, 0
	global_store_b64 v[4:5], v[6:7], off
.LBB103_2885:
	s_mov_b32 s2, 0
.LBB103_2886:
	s_delay_alu instid0(SALU_CYCLE_1)
	s_and_not1_b32 vcc_lo, exec_lo, s2
	s_cbranch_vccnz .LBB103_2888
; %bb.2887:
	s_wait_xcnt 0x0
	v_cndmask_b32_e64 v1, 0, 1.0, s1
	s_delay_alu instid0(VALU_DEP_1) | instskip(NEXT) | instid1(VALU_DEP_1)
	v_cvt_f16_f32_e32 v1, v1
	v_and_b32_e32 v1, 0xffff, v1
	global_store_b32 v[4:5], v1, off
.LBB103_2888:
	s_mov_b32 s2, 0
.LBB103_2889:
	s_delay_alu instid0(SALU_CYCLE_1)
	s_and_not1_b32 vcc_lo, exec_lo, s2
	s_cbranch_vccnz .LBB103_2898
; %bb.2890:
	s_cmp_lt_i32 s7, 6
	s_mov_b32 s2, -1
	s_cbranch_scc1 .LBB103_2896
; %bb.2891:
	s_cmp_gt_i32 s7, 6
	s_cbranch_scc0 .LBB103_2893
; %bb.2892:
	s_wait_xcnt 0x0
	v_cndmask_b32_e64 v1, 0, 1, s1
	s_mov_b32 s2, 0
	s_delay_alu instid0(VALU_DEP_1)
	v_cvt_f64_u32_e32 v[6:7], v1
	global_store_b64 v[4:5], v[6:7], off
.LBB103_2893:
	s_and_not1_b32 vcc_lo, exec_lo, s2
	s_cbranch_vccnz .LBB103_2895
; %bb.2894:
	s_wait_xcnt 0x0
	v_cndmask_b32_e64 v1, 0, 1.0, s1
	global_store_b32 v[4:5], v1, off
.LBB103_2895:
	s_mov_b32 s2, 0
.LBB103_2896:
	s_delay_alu instid0(SALU_CYCLE_1)
	s_and_not1_b32 vcc_lo, exec_lo, s2
	s_cbranch_vccnz .LBB103_2898
; %bb.2897:
	s_wait_xcnt 0x0
	v_cndmask_b32_e64 v1, 0, 1.0, s1
	s_delay_alu instid0(VALU_DEP_1)
	v_cvt_f16_f32_e32 v1, v1
	global_store_b16 v[4:5], v1, off
.LBB103_2898:
	s_mov_b32 s2, 0
.LBB103_2899:
	s_delay_alu instid0(SALU_CYCLE_1)
	s_and_not1_b32 vcc_lo, exec_lo, s2
	s_cbranch_vccnz .LBB103_2915
; %bb.2900:
	s_cmp_lt_i32 s7, 2
	s_mov_b32 s2, -1
	s_cbranch_scc1 .LBB103_2910
; %bb.2901:
	s_cmp_lt_i32 s7, 3
	s_cbranch_scc1 .LBB103_2907
; %bb.2902:
	s_cmp_gt_i32 s7, 3
	s_cbranch_scc0 .LBB103_2904
; %bb.2903:
	s_mov_b32 s2, 0
	s_wait_xcnt 0x0
	v_cndmask_b32_e64 v6, 0, 1, s1
	v_mov_b32_e32 v7, s2
	global_store_b64 v[4:5], v[6:7], off
.LBB103_2904:
	s_and_not1_b32 vcc_lo, exec_lo, s2
	s_cbranch_vccnz .LBB103_2906
; %bb.2905:
	s_wait_xcnt 0x0
	v_cndmask_b32_e64 v1, 0, 1, s1
	global_store_b32 v[4:5], v1, off
.LBB103_2906:
	s_mov_b32 s2, 0
.LBB103_2907:
	s_delay_alu instid0(SALU_CYCLE_1)
	s_and_not1_b32 vcc_lo, exec_lo, s2
	s_cbranch_vccnz .LBB103_2909
; %bb.2908:
	s_wait_xcnt 0x0
	v_cndmask_b32_e64 v1, 0, 1, s1
	global_store_b16 v[4:5], v1, off
.LBB103_2909:
	s_mov_b32 s2, 0
.LBB103_2910:
	s_delay_alu instid0(SALU_CYCLE_1)
	s_and_not1_b32 vcc_lo, exec_lo, s2
	s_cbranch_vccnz .LBB103_2915
; %bb.2911:
	s_wait_xcnt 0x0
	v_cndmask_b32_e64 v1, 0, 1, s1
	s_cmp_gt_i32 s7, 0
	s_mov_b32 s1, -1
	s_cbranch_scc0 .LBB103_2913
; %bb.2912:
	s_mov_b32 s1, 0
	global_store_b8 v[4:5], v1, off
.LBB103_2913:
	s_and_not1_b32 vcc_lo, exec_lo, s1
	s_cbranch_vccnz .LBB103_2915
; %bb.2914:
	global_store_b8 v[4:5], v1, off
.LBB103_2915:
	s_mov_b32 s11, -1
.LBB103_2916:
	s_delay_alu instid0(SALU_CYCLE_1)
	s_and_not1_b32 vcc_lo, exec_lo, s11
	s_cbranch_vccnz .LBB103_3112
; %bb.2917:
	v_cmp_eq_f32_e32 vcc_lo, v16, v14
	s_cmp_lt_i32 s7, 11
	s_wait_xcnt 0x0
	v_cndmask_b32_e64 v1, 0, 1, vcc_lo
	v_cmp_neq_f32_e32 vcc_lo, v16, v14
	v_cndmask_b32_e64 v3, 0, 1, vcc_lo
	s_delay_alu instid0(VALU_DEP_1) | instskip(NEXT) | instid1(VALU_DEP_1)
	v_dual_cndmask_b32 v1, v3, v1, s0 :: v_dual_mov_b32 v3, 0
	v_and_b32_e32 v1, 1, v1
	s_delay_alu instid0(VALU_DEP_2) | instskip(NEXT) | instid1(VALU_DEP_2)
	v_add_nc_u64_e32 v[2:3], s[4:5], v[2:3]
	v_cmp_eq_u32_e64 s1, 1, v1
	s_cbranch_scc1 .LBB103_2995
; %bb.2918:
	s_mov_b32 s12, -1
	s_mov_b32 s10, 0
	s_cmp_gt_i32 s7, 25
	s_mov_b32 s11, 0
	s_mov_b32 s2, 0
	s_cbranch_scc0 .LBB103_2951
; %bb.2919:
	s_cmp_gt_i32 s7, 28
	s_cbranch_scc0 .LBB103_2934
; %bb.2920:
	s_cmp_gt_i32 s7, 43
	;; [unrolled: 3-line block ×3, first 2 shown]
	s_cbranch_scc0 .LBB103_2924
; %bb.2922:
	s_mov_b32 s2, -1
	s_mov_b32 s12, 0
	s_cmp_eq_u32 s7, 46
	s_cbranch_scc0 .LBB103_2924
; %bb.2923:
	v_cndmask_b32_e64 v1, 0, 1.0, s1
	s_mov_b32 s2, 0
	s_mov_b32 s11, -1
	s_delay_alu instid0(VALU_DEP_1) | instskip(NEXT) | instid1(VALU_DEP_1)
	v_bfe_u32 v4, v1, 16, 1
	v_add3_u32 v1, v1, v4, 0x7fff
	s_delay_alu instid0(VALU_DEP_1)
	v_lshrrev_b32_e32 v1, 16, v1
	global_store_b32 v[2:3], v1, off
.LBB103_2924:
	s_and_b32 vcc_lo, exec_lo, s12
	s_cbranch_vccz .LBB103_2929
; %bb.2925:
	s_cmp_eq_u32 s7, 44
	s_mov_b32 s2, -1
	s_cbranch_scc0 .LBB103_2929
; %bb.2926:
	v_cndmask_b32_e64 v5, 0, 1.0, s1
	s_mov_b32 s11, exec_lo
	s_wait_xcnt 0x0
	s_delay_alu instid0(VALU_DEP_1) | instskip(NEXT) | instid1(VALU_DEP_1)
	v_dual_mov_b32 v4, 0xff :: v_dual_lshrrev_b32 v1, 23, v5
	v_cmpx_ne_u32_e32 0xff, v1
; %bb.2927:
	v_and_b32_e32 v4, 0x400000, v5
	v_and_or_b32 v5, 0x3fffff, v5, v1
	s_delay_alu instid0(VALU_DEP_2) | instskip(NEXT) | instid1(VALU_DEP_2)
	v_cmp_ne_u32_e32 vcc_lo, 0, v4
	v_cmp_ne_u32_e64 s2, 0, v5
	s_and_b32 s2, vcc_lo, s2
	s_delay_alu instid0(SALU_CYCLE_1) | instskip(NEXT) | instid1(VALU_DEP_1)
	v_cndmask_b32_e64 v4, 0, 1, s2
	v_add_nc_u32_e32 v4, v1, v4
; %bb.2928:
	s_or_b32 exec_lo, exec_lo, s11
	s_mov_b32 s2, 0
	s_mov_b32 s11, -1
	global_store_b8 v[2:3], v4, off
.LBB103_2929:
	s_mov_b32 s12, 0
.LBB103_2930:
	s_delay_alu instid0(SALU_CYCLE_1)
	s_and_b32 vcc_lo, exec_lo, s12
	s_cbranch_vccz .LBB103_2933
; %bb.2931:
	s_cmp_eq_u32 s7, 29
	s_mov_b32 s2, -1
	s_cbranch_scc0 .LBB103_2933
; %bb.2932:
	s_mov_b32 s2, 0
	s_wait_xcnt 0x0
	v_cndmask_b32_e64 v4, 0, 1, s1
	v_mov_b32_e32 v5, s2
	s_mov_b32 s11, -1
	global_store_b64 v[2:3], v[4:5], off
.LBB103_2933:
	s_mov_b32 s12, 0
.LBB103_2934:
	s_delay_alu instid0(SALU_CYCLE_1)
	s_and_b32 vcc_lo, exec_lo, s12
	s_cbranch_vccz .LBB103_2950
; %bb.2935:
	s_cmp_lt_i32 s7, 27
	s_mov_b32 s11, -1
	s_cbranch_scc1 .LBB103_2941
; %bb.2936:
	s_cmp_gt_i32 s7, 27
	s_cbranch_scc0 .LBB103_2938
; %bb.2937:
	s_wait_xcnt 0x0
	v_cndmask_b32_e64 v1, 0, 1, s1
	s_mov_b32 s11, 0
	global_store_b32 v[2:3], v1, off
.LBB103_2938:
	s_and_not1_b32 vcc_lo, exec_lo, s11
	s_cbranch_vccnz .LBB103_2940
; %bb.2939:
	s_wait_xcnt 0x0
	v_cndmask_b32_e64 v1, 0, 1, s1
	global_store_b16 v[2:3], v1, off
.LBB103_2940:
	s_mov_b32 s11, 0
.LBB103_2941:
	s_delay_alu instid0(SALU_CYCLE_1)
	s_and_not1_b32 vcc_lo, exec_lo, s11
	s_cbranch_vccnz .LBB103_2949
; %bb.2942:
	s_wait_xcnt 0x0
	v_cndmask_b32_e64 v4, 0, 1.0, s1
	v_mov_b32_e32 v5, 0x80
	s_mov_b32 s11, exec_lo
	s_delay_alu instid0(VALU_DEP_2)
	v_cmpx_gt_u32_e32 0x43800000, v4
	s_cbranch_execz .LBB103_2948
; %bb.2943:
	s_mov_b32 s12, 0
	s_mov_b32 s13, exec_lo
                                        ; implicit-def: $vgpr1
	v_cmpx_lt_u32_e32 0x3bffffff, v4
	s_xor_b32 s13, exec_lo, s13
	s_cbranch_execz .LBB103_3169
; %bb.2944:
	v_bfe_u32 v1, v4, 20, 1
	s_mov_b32 s12, exec_lo
	s_delay_alu instid0(VALU_DEP_1) | instskip(NEXT) | instid1(VALU_DEP_1)
	v_add3_u32 v1, v4, v1, 0x487ffff
                                        ; implicit-def: $vgpr4
	v_lshrrev_b32_e32 v1, 20, v1
	s_and_not1_saveexec_b32 s13, s13
	s_cbranch_execnz .LBB103_3170
.LBB103_2945:
	s_or_b32 exec_lo, exec_lo, s13
	v_mov_b32_e32 v5, 0
	s_and_saveexec_b32 s13, s12
.LBB103_2946:
	v_mov_b32_e32 v5, v1
.LBB103_2947:
	s_or_b32 exec_lo, exec_lo, s13
.LBB103_2948:
	s_delay_alu instid0(SALU_CYCLE_1)
	s_or_b32 exec_lo, exec_lo, s11
	global_store_b8 v[2:3], v5, off
.LBB103_2949:
	s_mov_b32 s11, -1
.LBB103_2950:
	s_mov_b32 s12, 0
.LBB103_2951:
	s_delay_alu instid0(SALU_CYCLE_1)
	s_and_b32 vcc_lo, exec_lo, s12
	s_cbranch_vccz .LBB103_2991
; %bb.2952:
	s_cmp_gt_i32 s7, 22
	s_mov_b32 s10, -1
	s_cbranch_scc0 .LBB103_2984
; %bb.2953:
	s_cmp_lt_i32 s7, 24
	s_cbranch_scc1 .LBB103_2973
; %bb.2954:
	s_cmp_gt_i32 s7, 24
	s_cbranch_scc0 .LBB103_2962
; %bb.2955:
	s_wait_xcnt 0x0
	v_cndmask_b32_e64 v4, 0, 1.0, s1
	v_mov_b32_e32 v5, 0x80
	s_mov_b32 s10, exec_lo
	s_delay_alu instid0(VALU_DEP_2)
	v_cmpx_gt_u32_e32 0x47800000, v4
	s_cbranch_execz .LBB103_2961
; %bb.2956:
	s_mov_b32 s11, 0
	s_mov_b32 s12, exec_lo
                                        ; implicit-def: $vgpr1
	v_cmpx_lt_u32_e32 0x37ffffff, v4
	s_xor_b32 s12, exec_lo, s12
	s_cbranch_execz .LBB103_3172
; %bb.2957:
	v_bfe_u32 v1, v4, 21, 1
	s_mov_b32 s11, exec_lo
	s_delay_alu instid0(VALU_DEP_1) | instskip(NEXT) | instid1(VALU_DEP_1)
	v_add3_u32 v1, v4, v1, 0x88fffff
                                        ; implicit-def: $vgpr4
	v_lshrrev_b32_e32 v1, 21, v1
	s_and_not1_saveexec_b32 s12, s12
	s_cbranch_execnz .LBB103_3173
.LBB103_2958:
	s_or_b32 exec_lo, exec_lo, s12
	v_mov_b32_e32 v5, 0
	s_and_saveexec_b32 s12, s11
.LBB103_2959:
	v_mov_b32_e32 v5, v1
.LBB103_2960:
	s_or_b32 exec_lo, exec_lo, s12
.LBB103_2961:
	s_delay_alu instid0(SALU_CYCLE_1)
	s_or_b32 exec_lo, exec_lo, s10
	s_mov_b32 s10, 0
	global_store_b8 v[2:3], v5, off
.LBB103_2962:
	s_and_b32 vcc_lo, exec_lo, s10
	s_cbranch_vccz .LBB103_2972
; %bb.2963:
	s_wait_xcnt 0x0
	v_cndmask_b32_e64 v4, 0, 1.0, s1
	s_mov_b32 s10, exec_lo
                                        ; implicit-def: $vgpr1
	s_delay_alu instid0(VALU_DEP_1)
	v_cmpx_gt_u32_e32 0x43f00000, v4
	s_xor_b32 s10, exec_lo, s10
	s_cbranch_execz .LBB103_2969
; %bb.2964:
	s_mov_b32 s11, exec_lo
                                        ; implicit-def: $vgpr1
	v_cmpx_lt_u32_e32 0x3c7fffff, v4
	s_xor_b32 s11, exec_lo, s11
; %bb.2965:
	v_bfe_u32 v1, v4, 20, 1
	s_delay_alu instid0(VALU_DEP_1) | instskip(NEXT) | instid1(VALU_DEP_1)
	v_add3_u32 v1, v4, v1, 0x407ffff
	v_and_b32_e32 v4, 0xff00000, v1
	v_lshrrev_b32_e32 v1, 20, v1
	s_delay_alu instid0(VALU_DEP_2) | instskip(NEXT) | instid1(VALU_DEP_2)
	v_cmp_ne_u32_e32 vcc_lo, 0x7f00000, v4
                                        ; implicit-def: $vgpr4
	v_cndmask_b32_e32 v1, 0x7e, v1, vcc_lo
; %bb.2966:
	s_and_not1_saveexec_b32 s11, s11
; %bb.2967:
	v_add_f32_e32 v1, 0x46800000, v4
; %bb.2968:
	s_or_b32 exec_lo, exec_lo, s11
                                        ; implicit-def: $vgpr4
.LBB103_2969:
	s_and_not1_saveexec_b32 s10, s10
; %bb.2970:
	v_mov_b32_e32 v1, 0x7f
	v_cmp_lt_u32_e32 vcc_lo, 0x7f800000, v4
	s_delay_alu instid0(VALU_DEP_2)
	v_cndmask_b32_e32 v1, 0x7e, v1, vcc_lo
; %bb.2971:
	s_or_b32 exec_lo, exec_lo, s10
	global_store_b8 v[2:3], v1, off
.LBB103_2972:
	s_mov_b32 s10, 0
.LBB103_2973:
	s_delay_alu instid0(SALU_CYCLE_1)
	s_and_not1_b32 vcc_lo, exec_lo, s10
	s_cbranch_vccnz .LBB103_2983
; %bb.2974:
	s_wait_xcnt 0x0
	v_cndmask_b32_e64 v4, 0, 1.0, s1
	s_mov_b32 s10, exec_lo
                                        ; implicit-def: $vgpr1
	s_delay_alu instid0(VALU_DEP_1)
	v_cmpx_gt_u32_e32 0x47800000, v4
	s_xor_b32 s10, exec_lo, s10
	s_cbranch_execz .LBB103_2980
; %bb.2975:
	s_mov_b32 s11, exec_lo
                                        ; implicit-def: $vgpr1
	v_cmpx_lt_u32_e32 0x387fffff, v4
	s_xor_b32 s11, exec_lo, s11
; %bb.2976:
	v_bfe_u32 v1, v4, 21, 1
	s_delay_alu instid0(VALU_DEP_1) | instskip(NEXT) | instid1(VALU_DEP_1)
	v_add3_u32 v1, v4, v1, 0x80fffff
                                        ; implicit-def: $vgpr4
	v_lshrrev_b32_e32 v1, 21, v1
; %bb.2977:
	s_and_not1_saveexec_b32 s11, s11
; %bb.2978:
	v_add_f32_e32 v1, 0x43000000, v4
; %bb.2979:
	s_or_b32 exec_lo, exec_lo, s11
                                        ; implicit-def: $vgpr4
.LBB103_2980:
	s_and_not1_saveexec_b32 s10, s10
; %bb.2981:
	v_mov_b32_e32 v1, 0x7f
	v_cmp_lt_u32_e32 vcc_lo, 0x7f800000, v4
	s_delay_alu instid0(VALU_DEP_2)
	v_cndmask_b32_e32 v1, 0x7c, v1, vcc_lo
; %bb.2982:
	s_or_b32 exec_lo, exec_lo, s10
	global_store_b8 v[2:3], v1, off
.LBB103_2983:
	s_mov_b32 s10, 0
	s_mov_b32 s11, -1
.LBB103_2984:
	s_and_not1_b32 vcc_lo, exec_lo, s10
	s_mov_b32 s10, 0
	s_cbranch_vccnz .LBB103_2991
; %bb.2985:
	s_cmp_gt_i32 s7, 14
	s_mov_b32 s10, -1
	s_cbranch_scc0 .LBB103_2989
; %bb.2986:
	s_cmp_eq_u32 s7, 15
	s_mov_b32 s2, -1
	s_cbranch_scc0 .LBB103_2988
; %bb.2987:
	s_wait_xcnt 0x0
	v_cndmask_b32_e64 v1, 0, 1.0, s1
	s_mov_b32 s2, 0
	s_mov_b32 s11, -1
	s_delay_alu instid0(VALU_DEP_1) | instskip(NEXT) | instid1(VALU_DEP_1)
	v_bfe_u32 v4, v1, 16, 1
	v_add3_u32 v1, v1, v4, 0x7fff
	global_store_d16_hi_b16 v[2:3], v1, off
.LBB103_2988:
	s_mov_b32 s10, 0
.LBB103_2989:
	s_delay_alu instid0(SALU_CYCLE_1)
	s_and_b32 vcc_lo, exec_lo, s10
	s_mov_b32 s10, 0
	s_cbranch_vccz .LBB103_2991
; %bb.2990:
	s_cmp_lg_u32 s7, 11
	s_mov_b32 s10, -1
	s_cselect_b32 s2, -1, 0
.LBB103_2991:
	s_delay_alu instid0(SALU_CYCLE_1)
	s_and_b32 vcc_lo, exec_lo, s2
	s_cbranch_vccnz .LBB103_3171
; %bb.2992:
	s_and_not1_b32 vcc_lo, exec_lo, s10
	s_cbranch_vccnz .LBB103_2994
.LBB103_2993:
	s_wait_xcnt 0x0
	v_cndmask_b32_e64 v1, 0, 1, s1
	s_mov_b32 s11, -1
	global_store_b8 v[2:3], v1, off
.LBB103_2994:
	s_mov_b32 s2, 0
	s_branch .LBB103_2996
.LBB103_2995:
	s_mov_b32 s2, -1
	s_mov_b32 s11, 0
.LBB103_2996:
	s_and_b32 vcc_lo, exec_lo, s2
	s_cbranch_vccz .LBB103_3035
; %bb.2997:
	s_cmp_lt_i32 s7, 5
	s_mov_b32 s2, -1
	s_cbranch_scc1 .LBB103_3018
; %bb.2998:
	s_cmp_lt_i32 s7, 8
	s_cbranch_scc1 .LBB103_3008
; %bb.2999:
	s_cmp_lt_i32 s7, 9
	s_cbranch_scc1 .LBB103_3005
; %bb.3000:
	s_cmp_gt_i32 s7, 9
	s_cbranch_scc0 .LBB103_3002
; %bb.3001:
	s_wait_xcnt 0x0
	v_cndmask_b32_e64 v1, 0, 1, s1
	v_mov_b32_e32 v6, 0
	s_mov_b32 s2, 0
	s_delay_alu instid0(VALU_DEP_2) | instskip(NEXT) | instid1(VALU_DEP_2)
	v_cvt_f64_u32_e32 v[4:5], v1
	v_mov_b32_e32 v7, v6
	global_store_b128 v[2:3], v[4:7], off
.LBB103_3002:
	s_and_not1_b32 vcc_lo, exec_lo, s2
	s_cbranch_vccnz .LBB103_3004
; %bb.3003:
	s_wait_xcnt 0x0
	v_cndmask_b32_e64 v4, 0, 1.0, s1
	v_mov_b32_e32 v5, 0
	global_store_b64 v[2:3], v[4:5], off
.LBB103_3004:
	s_mov_b32 s2, 0
.LBB103_3005:
	s_delay_alu instid0(SALU_CYCLE_1)
	s_and_not1_b32 vcc_lo, exec_lo, s2
	s_cbranch_vccnz .LBB103_3007
; %bb.3006:
	s_wait_xcnt 0x0
	v_cndmask_b32_e64 v1, 0, 1.0, s1
	s_delay_alu instid0(VALU_DEP_1) | instskip(NEXT) | instid1(VALU_DEP_1)
	v_cvt_f16_f32_e32 v1, v1
	v_and_b32_e32 v1, 0xffff, v1
	global_store_b32 v[2:3], v1, off
.LBB103_3007:
	s_mov_b32 s2, 0
.LBB103_3008:
	s_delay_alu instid0(SALU_CYCLE_1)
	s_and_not1_b32 vcc_lo, exec_lo, s2
	s_cbranch_vccnz .LBB103_3017
; %bb.3009:
	s_cmp_lt_i32 s7, 6
	s_mov_b32 s2, -1
	s_cbranch_scc1 .LBB103_3015
; %bb.3010:
	s_cmp_gt_i32 s7, 6
	s_cbranch_scc0 .LBB103_3012
; %bb.3011:
	s_wait_xcnt 0x0
	v_cndmask_b32_e64 v1, 0, 1, s1
	s_mov_b32 s2, 0
	s_delay_alu instid0(VALU_DEP_1)
	v_cvt_f64_u32_e32 v[4:5], v1
	global_store_b64 v[2:3], v[4:5], off
.LBB103_3012:
	s_and_not1_b32 vcc_lo, exec_lo, s2
	s_cbranch_vccnz .LBB103_3014
; %bb.3013:
	s_wait_xcnt 0x0
	v_cndmask_b32_e64 v1, 0, 1.0, s1
	global_store_b32 v[2:3], v1, off
.LBB103_3014:
	s_mov_b32 s2, 0
.LBB103_3015:
	s_delay_alu instid0(SALU_CYCLE_1)
	s_and_not1_b32 vcc_lo, exec_lo, s2
	s_cbranch_vccnz .LBB103_3017
; %bb.3016:
	s_wait_xcnt 0x0
	v_cndmask_b32_e64 v1, 0, 1.0, s1
	s_delay_alu instid0(VALU_DEP_1)
	v_cvt_f16_f32_e32 v1, v1
	global_store_b16 v[2:3], v1, off
.LBB103_3017:
	s_mov_b32 s2, 0
.LBB103_3018:
	s_delay_alu instid0(SALU_CYCLE_1)
	s_and_not1_b32 vcc_lo, exec_lo, s2
	s_cbranch_vccnz .LBB103_3034
; %bb.3019:
	s_cmp_lt_i32 s7, 2
	s_mov_b32 s2, -1
	s_cbranch_scc1 .LBB103_3029
; %bb.3020:
	s_cmp_lt_i32 s7, 3
	s_cbranch_scc1 .LBB103_3026
; %bb.3021:
	s_cmp_gt_i32 s7, 3
	s_cbranch_scc0 .LBB103_3023
; %bb.3022:
	s_mov_b32 s2, 0
	s_wait_xcnt 0x0
	v_cndmask_b32_e64 v4, 0, 1, s1
	v_mov_b32_e32 v5, s2
	global_store_b64 v[2:3], v[4:5], off
.LBB103_3023:
	s_and_not1_b32 vcc_lo, exec_lo, s2
	s_cbranch_vccnz .LBB103_3025
; %bb.3024:
	s_wait_xcnt 0x0
	v_cndmask_b32_e64 v1, 0, 1, s1
	global_store_b32 v[2:3], v1, off
.LBB103_3025:
	s_mov_b32 s2, 0
.LBB103_3026:
	s_delay_alu instid0(SALU_CYCLE_1)
	s_and_not1_b32 vcc_lo, exec_lo, s2
	s_cbranch_vccnz .LBB103_3028
; %bb.3027:
	s_wait_xcnt 0x0
	v_cndmask_b32_e64 v1, 0, 1, s1
	global_store_b16 v[2:3], v1, off
.LBB103_3028:
	s_mov_b32 s2, 0
.LBB103_3029:
	s_delay_alu instid0(SALU_CYCLE_1)
	s_and_not1_b32 vcc_lo, exec_lo, s2
	s_cbranch_vccnz .LBB103_3034
; %bb.3030:
	s_cmp_gt_i32 s7, 0
	s_mov_b32 s2, -1
	s_cbranch_scc0 .LBB103_3032
; %bb.3031:
	s_wait_xcnt 0x0
	v_cndmask_b32_e64 v1, 0, 1, s1
	s_mov_b32 s2, 0
	global_store_b8 v[2:3], v1, off
.LBB103_3032:
	s_and_not1_b32 vcc_lo, exec_lo, s2
	s_cbranch_vccnz .LBB103_3034
; %bb.3033:
	s_wait_xcnt 0x0
	v_cndmask_b32_e64 v1, 0, 1, s1
	global_store_b8 v[2:3], v1, off
.LBB103_3034:
	s_mov_b32 s11, -1
.LBB103_3035:
	s_delay_alu instid0(SALU_CYCLE_1)
	s_and_not1_b32 vcc_lo, exec_lo, s11
	s_cbranch_vccnz .LBB103_3112
; %bb.3036:
	v_cmp_eq_f32_e32 vcc_lo, v12, v10
	s_cmp_lt_i32 s7, 11
	s_wait_xcnt 0x0
	v_cndmask_b32_e64 v1, 0, 1, vcc_lo
	v_cmp_neq_f32_e32 vcc_lo, v12, v10
	v_cndmask_b32_e64 v2, 0, 1, vcc_lo
	s_delay_alu instid0(VALU_DEP_1) | instskip(NEXT) | instid1(VALU_DEP_1)
	v_dual_cndmask_b32 v2, v2, v1, s0 :: v_dual_mov_b32 v1, 0
	v_and_b32_e32 v4, 1, v2
	s_delay_alu instid0(VALU_DEP_2) | instskip(NEXT) | instid1(VALU_DEP_2)
	v_add_nc_u64_e32 v[2:3], s[4:5], v[0:1]
	v_cmp_eq_u32_e64 s1, 1, v4
	s_cbranch_scc1 .LBB103_3157
; %bb.3037:
	s_mov_b32 s4, -1
	s_mov_b32 s2, 0
	s_cmp_gt_i32 s7, 25
	s_mov_b32 s0, 0
	s_cbranch_scc0 .LBB103_3070
; %bb.3038:
	s_cmp_gt_i32 s7, 28
	s_cbranch_scc0 .LBB103_3054
; %bb.3039:
	s_cmp_gt_i32 s7, 43
	;; [unrolled: 3-line block ×3, first 2 shown]
	s_cbranch_scc0 .LBB103_3044
; %bb.3041:
	s_cmp_eq_u32 s7, 46
	s_mov_b32 s0, -1
	s_cbranch_scc0 .LBB103_3043
; %bb.3042:
	v_cndmask_b32_e64 v0, 0, 1.0, s1
	s_mov_b32 s0, 0
	s_delay_alu instid0(VALU_DEP_1) | instskip(NEXT) | instid1(VALU_DEP_1)
	v_bfe_u32 v1, v0, 16, 1
	v_add3_u32 v0, v0, v1, 0x7fff
	s_delay_alu instid0(VALU_DEP_1)
	v_lshrrev_b32_e32 v0, 16, v0
	global_store_b32 v[2:3], v0, off
.LBB103_3043:
	s_mov_b32 s4, 0
.LBB103_3044:
	s_delay_alu instid0(SALU_CYCLE_1)
	s_and_b32 vcc_lo, exec_lo, s4
	s_cbranch_vccz .LBB103_3049
; %bb.3045:
	s_cmp_eq_u32 s7, 44
	s_mov_b32 s0, -1
	s_cbranch_scc0 .LBB103_3049
; %bb.3046:
	v_cndmask_b32_e64 v4, 0, 1.0, s1
	s_mov_b32 s4, exec_lo
	s_wait_xcnt 0x0
	s_delay_alu instid0(VALU_DEP_1) | instskip(NEXT) | instid1(VALU_DEP_1)
	v_dual_mov_b32 v1, 0xff :: v_dual_lshrrev_b32 v0, 23, v4
	v_cmpx_ne_u32_e32 0xff, v0
; %bb.3047:
	v_and_b32_e32 v1, 0x400000, v4
	v_and_or_b32 v4, 0x3fffff, v4, v0
	s_delay_alu instid0(VALU_DEP_2) | instskip(NEXT) | instid1(VALU_DEP_2)
	v_cmp_ne_u32_e32 vcc_lo, 0, v1
	v_cmp_ne_u32_e64 s0, 0, v4
	s_and_b32 s0, vcc_lo, s0
	s_delay_alu instid0(SALU_CYCLE_1) | instskip(NEXT) | instid1(VALU_DEP_1)
	v_cndmask_b32_e64 v1, 0, 1, s0
	v_add_nc_u32_e32 v1, v0, v1
; %bb.3048:
	s_or_b32 exec_lo, exec_lo, s4
	s_mov_b32 s0, 0
	global_store_b8 v[2:3], v1, off
.LBB103_3049:
	s_mov_b32 s4, 0
.LBB103_3050:
	s_delay_alu instid0(SALU_CYCLE_1)
	s_and_b32 vcc_lo, exec_lo, s4
	s_cbranch_vccz .LBB103_3053
; %bb.3051:
	s_cmp_eq_u32 s7, 29
	s_mov_b32 s0, -1
	s_cbranch_scc0 .LBB103_3053
; %bb.3052:
	s_mov_b32 s0, 0
	s_wait_xcnt 0x0
	v_cndmask_b32_e64 v0, 0, 1, s1
	v_mov_b32_e32 v1, s0
	global_store_b64 v[2:3], v[0:1], off
.LBB103_3053:
	s_mov_b32 s4, 0
.LBB103_3054:
	s_delay_alu instid0(SALU_CYCLE_1)
	s_and_b32 vcc_lo, exec_lo, s4
	s_cbranch_vccz .LBB103_3069
; %bb.3055:
	s_cmp_lt_i32 s7, 27
	s_mov_b32 s4, -1
	s_cbranch_scc1 .LBB103_3061
; %bb.3056:
	s_wait_xcnt 0x0
	v_cndmask_b32_e64 v0, 0, 1, s1
	s_cmp_gt_i32 s7, 27
	s_cbranch_scc0 .LBB103_3058
; %bb.3057:
	s_mov_b32 s4, 0
	global_store_b32 v[2:3], v0, off
.LBB103_3058:
	s_and_not1_b32 vcc_lo, exec_lo, s4
	s_cbranch_vccnz .LBB103_3060
; %bb.3059:
	global_store_b16 v[2:3], v0, off
.LBB103_3060:
	s_mov_b32 s4, 0
.LBB103_3061:
	s_delay_alu instid0(SALU_CYCLE_1)
	s_and_not1_b32 vcc_lo, exec_lo, s4
	s_cbranch_vccnz .LBB103_3069
; %bb.3062:
	s_wait_xcnt 0x0
	v_cndmask_b32_e64 v1, 0, 1.0, s1
	v_mov_b32_e32 v4, 0x80
	s_mov_b32 s4, exec_lo
	s_delay_alu instid0(VALU_DEP_2)
	v_cmpx_gt_u32_e32 0x43800000, v1
	s_cbranch_execz .LBB103_3068
; %bb.3063:
	s_mov_b32 s5, 0
	s_mov_b32 s10, exec_lo
                                        ; implicit-def: $vgpr0
	v_cmpx_lt_u32_e32 0x3bffffff, v1
	s_xor_b32 s10, exec_lo, s10
	s_cbranch_execz .LBB103_3174
; %bb.3064:
	v_bfe_u32 v0, v1, 20, 1
	s_mov_b32 s5, exec_lo
	s_delay_alu instid0(VALU_DEP_1) | instskip(NEXT) | instid1(VALU_DEP_1)
	v_add3_u32 v0, v1, v0, 0x487ffff
                                        ; implicit-def: $vgpr1
	v_lshrrev_b32_e32 v0, 20, v0
	s_and_not1_saveexec_b32 s10, s10
	s_cbranch_execnz .LBB103_3175
.LBB103_3065:
	s_or_b32 exec_lo, exec_lo, s10
	v_mov_b32_e32 v4, 0
	s_and_saveexec_b32 s10, s5
.LBB103_3066:
	v_mov_b32_e32 v4, v0
.LBB103_3067:
	s_or_b32 exec_lo, exec_lo, s10
.LBB103_3068:
	s_delay_alu instid0(SALU_CYCLE_1)
	s_or_b32 exec_lo, exec_lo, s4
	global_store_b8 v[2:3], v4, off
.LBB103_3069:
	s_mov_b32 s4, 0
.LBB103_3070:
	s_delay_alu instid0(SALU_CYCLE_1)
	s_and_b32 vcc_lo, exec_lo, s4
	s_cbranch_vccz .LBB103_3110
; %bb.3071:
	s_cmp_gt_i32 s7, 22
	s_mov_b32 s2, -1
	s_cbranch_scc0 .LBB103_3103
; %bb.3072:
	s_cmp_lt_i32 s7, 24
	s_cbranch_scc1 .LBB103_3092
; %bb.3073:
	s_cmp_gt_i32 s7, 24
	s_cbranch_scc0 .LBB103_3081
; %bb.3074:
	s_wait_xcnt 0x0
	v_cndmask_b32_e64 v1, 0, 1.0, s1
	v_mov_b32_e32 v4, 0x80
	s_mov_b32 s2, exec_lo
	s_delay_alu instid0(VALU_DEP_2)
	v_cmpx_gt_u32_e32 0x47800000, v1
	s_cbranch_execz .LBB103_3080
; %bb.3075:
	s_mov_b32 s4, 0
	s_mov_b32 s5, exec_lo
                                        ; implicit-def: $vgpr0
	v_cmpx_lt_u32_e32 0x37ffffff, v1
	s_xor_b32 s5, exec_lo, s5
	s_cbranch_execz .LBB103_3177
; %bb.3076:
	v_bfe_u32 v0, v1, 21, 1
	s_mov_b32 s4, exec_lo
	s_delay_alu instid0(VALU_DEP_1) | instskip(NEXT) | instid1(VALU_DEP_1)
	v_add3_u32 v0, v1, v0, 0x88fffff
                                        ; implicit-def: $vgpr1
	v_lshrrev_b32_e32 v0, 21, v0
	s_and_not1_saveexec_b32 s5, s5
	s_cbranch_execnz .LBB103_3178
.LBB103_3077:
	s_or_b32 exec_lo, exec_lo, s5
	v_mov_b32_e32 v4, 0
	s_and_saveexec_b32 s5, s4
.LBB103_3078:
	v_mov_b32_e32 v4, v0
.LBB103_3079:
	s_or_b32 exec_lo, exec_lo, s5
.LBB103_3080:
	s_delay_alu instid0(SALU_CYCLE_1)
	s_or_b32 exec_lo, exec_lo, s2
	s_mov_b32 s2, 0
	global_store_b8 v[2:3], v4, off
.LBB103_3081:
	s_and_b32 vcc_lo, exec_lo, s2
	s_cbranch_vccz .LBB103_3091
; %bb.3082:
	s_wait_xcnt 0x0
	v_cndmask_b32_e64 v1, 0, 1.0, s1
	s_mov_b32 s2, exec_lo
                                        ; implicit-def: $vgpr0
	s_delay_alu instid0(VALU_DEP_1)
	v_cmpx_gt_u32_e32 0x43f00000, v1
	s_xor_b32 s2, exec_lo, s2
	s_cbranch_execz .LBB103_3088
; %bb.3083:
	s_mov_b32 s4, exec_lo
                                        ; implicit-def: $vgpr0
	v_cmpx_lt_u32_e32 0x3c7fffff, v1
	s_xor_b32 s4, exec_lo, s4
; %bb.3084:
	v_bfe_u32 v0, v1, 20, 1
	s_delay_alu instid0(VALU_DEP_1) | instskip(NEXT) | instid1(VALU_DEP_1)
	v_add3_u32 v0, v1, v0, 0x407ffff
	v_and_b32_e32 v1, 0xff00000, v0
	v_lshrrev_b32_e32 v0, 20, v0
	s_delay_alu instid0(VALU_DEP_2) | instskip(NEXT) | instid1(VALU_DEP_2)
	v_cmp_ne_u32_e32 vcc_lo, 0x7f00000, v1
                                        ; implicit-def: $vgpr1
	v_cndmask_b32_e32 v0, 0x7e, v0, vcc_lo
; %bb.3085:
	s_and_not1_saveexec_b32 s4, s4
; %bb.3086:
	v_add_f32_e32 v0, 0x46800000, v1
; %bb.3087:
	s_or_b32 exec_lo, exec_lo, s4
                                        ; implicit-def: $vgpr1
.LBB103_3088:
	s_and_not1_saveexec_b32 s2, s2
; %bb.3089:
	v_mov_b32_e32 v0, 0x7f
	v_cmp_lt_u32_e32 vcc_lo, 0x7f800000, v1
	s_delay_alu instid0(VALU_DEP_2)
	v_cndmask_b32_e32 v0, 0x7e, v0, vcc_lo
; %bb.3090:
	s_or_b32 exec_lo, exec_lo, s2
	global_store_b8 v[2:3], v0, off
.LBB103_3091:
	s_mov_b32 s2, 0
.LBB103_3092:
	s_delay_alu instid0(SALU_CYCLE_1)
	s_and_not1_b32 vcc_lo, exec_lo, s2
	s_cbranch_vccnz .LBB103_3102
; %bb.3093:
	s_wait_xcnt 0x0
	v_cndmask_b32_e64 v1, 0, 1.0, s1
	s_mov_b32 s2, exec_lo
                                        ; implicit-def: $vgpr0
	s_delay_alu instid0(VALU_DEP_1)
	v_cmpx_gt_u32_e32 0x47800000, v1
	s_xor_b32 s2, exec_lo, s2
	s_cbranch_execz .LBB103_3099
; %bb.3094:
	s_mov_b32 s4, exec_lo
                                        ; implicit-def: $vgpr0
	v_cmpx_lt_u32_e32 0x387fffff, v1
	s_xor_b32 s4, exec_lo, s4
; %bb.3095:
	v_bfe_u32 v0, v1, 21, 1
	s_delay_alu instid0(VALU_DEP_1) | instskip(NEXT) | instid1(VALU_DEP_1)
	v_add3_u32 v0, v1, v0, 0x80fffff
                                        ; implicit-def: $vgpr1
	v_lshrrev_b32_e32 v0, 21, v0
; %bb.3096:
	s_and_not1_saveexec_b32 s4, s4
; %bb.3097:
	v_add_f32_e32 v0, 0x43000000, v1
; %bb.3098:
	s_or_b32 exec_lo, exec_lo, s4
                                        ; implicit-def: $vgpr1
.LBB103_3099:
	s_and_not1_saveexec_b32 s2, s2
; %bb.3100:
	v_mov_b32_e32 v0, 0x7f
	v_cmp_lt_u32_e32 vcc_lo, 0x7f800000, v1
	s_delay_alu instid0(VALU_DEP_2)
	v_cndmask_b32_e32 v0, 0x7c, v0, vcc_lo
; %bb.3101:
	s_or_b32 exec_lo, exec_lo, s2
	global_store_b8 v[2:3], v0, off
.LBB103_3102:
	s_mov_b32 s2, 0
.LBB103_3103:
	s_delay_alu instid0(SALU_CYCLE_1)
	s_and_not1_b32 vcc_lo, exec_lo, s2
	s_mov_b32 s2, 0
	s_cbranch_vccnz .LBB103_3110
; %bb.3104:
	s_cmp_gt_i32 s7, 14
	s_mov_b32 s2, -1
	s_cbranch_scc0 .LBB103_3108
; %bb.3105:
	s_cmp_eq_u32 s7, 15
	s_mov_b32 s0, -1
	s_cbranch_scc0 .LBB103_3107
; %bb.3106:
	s_wait_xcnt 0x0
	v_cndmask_b32_e64 v0, 0, 1.0, s1
	s_mov_b32 s0, 0
	s_delay_alu instid0(VALU_DEP_1) | instskip(NEXT) | instid1(VALU_DEP_1)
	v_bfe_u32 v1, v0, 16, 1
	v_add3_u32 v0, v0, v1, 0x7fff
	global_store_d16_hi_b16 v[2:3], v0, off
.LBB103_3107:
	s_mov_b32 s2, 0
.LBB103_3108:
	s_delay_alu instid0(SALU_CYCLE_1)
	s_and_b32 vcc_lo, exec_lo, s2
	s_mov_b32 s2, 0
	s_cbranch_vccz .LBB103_3110
; %bb.3109:
	s_cmp_lg_u32 s7, 11
	s_mov_b32 s2, -1
	s_cselect_b32 s0, -1, 0
.LBB103_3110:
	s_delay_alu instid0(SALU_CYCLE_1)
	s_and_b32 vcc_lo, exec_lo, s0
	s_cbranch_vccnz .LBB103_3176
.LBB103_3111:
	s_mov_b32 s0, 0
	s_branch .LBB103_3113
.LBB103_3112:
	s_mov_b32 s0, 0
	s_mov_b32 s2, 0
                                        ; implicit-def: $sgpr1
                                        ; implicit-def: $vgpr2_vgpr3
                                        ; implicit-def: $sgpr6
.LBB103_3113:
	s_and_not1_b32 s3, s3, exec_lo
	s_and_b32 s4, s9, exec_lo
	s_and_b32 s0, s0, exec_lo
	;; [unrolled: 1-line block ×3, first 2 shown]
	s_or_b32 s3, s3, s4
.LBB103_3114:
	s_wait_xcnt 0x0
	s_or_b32 exec_lo, exec_lo, s8
	s_and_saveexec_b32 s2, s3
	s_cbranch_execz .LBB103_3117
; %bb.3115:
	; divergent unreachable
	s_or_b32 exec_lo, exec_lo, s2
	s_and_saveexec_b32 s2, s33
	s_delay_alu instid0(SALU_CYCLE_1)
	s_xor_b32 s2, exec_lo, s2
	s_cbranch_execnz .LBB103_3118
.LBB103_3116:
	s_or_b32 exec_lo, exec_lo, s2
	s_and_saveexec_b32 s2, s0
	s_cbranch_execnz .LBB103_3119
	s_branch .LBB103_3156
.LBB103_3117:
	s_or_b32 exec_lo, exec_lo, s2
	s_and_saveexec_b32 s2, s33
	s_delay_alu instid0(SALU_CYCLE_1)
	s_xor_b32 s2, exec_lo, s2
	s_cbranch_execz .LBB103_3116
.LBB103_3118:
	v_cndmask_b32_e64 v0, 0, 1, s1
	s_wait_loadcnt 0x0
	global_store_b8 v[2:3], v0, off
	s_wait_xcnt 0x0
	s_or_b32 exec_lo, exec_lo, s2
	s_and_saveexec_b32 s2, s0
	s_cbranch_execz .LBB103_3156
.LBB103_3119:
	s_sext_i32_i16 s2, s6
	s_mov_b32 s0, -1
	s_cmp_lt_i32 s2, 5
	s_cbranch_scc1 .LBB103_3140
; %bb.3120:
	s_cmp_lt_i32 s2, 8
	s_cbranch_scc1 .LBB103_3130
; %bb.3121:
	;; [unrolled: 3-line block ×3, first 2 shown]
	s_cmp_gt_i32 s2, 9
	s_cbranch_scc0 .LBB103_3124
; %bb.3123:
	v_cndmask_b32_e64 v0, 0, 1, s1
	v_mov_b32_e32 v6, 0
	s_mov_b32 s0, 0
	s_wait_loadcnt 0x0
	s_delay_alu instid0(VALU_DEP_2) | instskip(NEXT) | instid1(VALU_DEP_2)
	v_cvt_f64_u32_e32 v[4:5], v0
	v_mov_b32_e32 v7, v6
	global_store_b128 v[2:3], v[4:7], off
.LBB103_3124:
	s_and_not1_b32 vcc_lo, exec_lo, s0
	s_cbranch_vccnz .LBB103_3126
; %bb.3125:
	v_cndmask_b32_e64 v0, 0, 1.0, s1
	s_wait_loadcnt 0x0
	v_mov_b32_e32 v1, 0
	global_store_b64 v[2:3], v[0:1], off
.LBB103_3126:
	s_mov_b32 s0, 0
.LBB103_3127:
	s_delay_alu instid0(SALU_CYCLE_1)
	s_and_not1_b32 vcc_lo, exec_lo, s0
	s_cbranch_vccnz .LBB103_3129
; %bb.3128:
	s_wait_xcnt 0x0
	v_cndmask_b32_e64 v0, 0, 1.0, s1
	s_delay_alu instid0(VALU_DEP_1) | instskip(NEXT) | instid1(VALU_DEP_1)
	v_cvt_f16_f32_e32 v0, v0
	v_and_b32_e32 v0, 0xffff, v0
	s_wait_loadcnt 0x0
	global_store_b32 v[2:3], v0, off
.LBB103_3129:
	s_mov_b32 s0, 0
.LBB103_3130:
	s_delay_alu instid0(SALU_CYCLE_1)
	s_and_not1_b32 vcc_lo, exec_lo, s0
	s_cbranch_vccnz .LBB103_3139
; %bb.3131:
	s_sext_i32_i16 s2, s6
	s_mov_b32 s0, -1
	s_cmp_lt_i32 s2, 6
	s_cbranch_scc1 .LBB103_3137
; %bb.3132:
	s_cmp_gt_i32 s2, 6
	s_cbranch_scc0 .LBB103_3134
; %bb.3133:
	s_wait_xcnt 0x0
	v_cndmask_b32_e64 v0, 0, 1, s1
	s_mov_b32 s0, 0
	s_wait_loadcnt 0x0
	s_delay_alu instid0(VALU_DEP_1)
	v_cvt_f64_u32_e32 v[0:1], v0
	global_store_b64 v[2:3], v[0:1], off
.LBB103_3134:
	s_and_not1_b32 vcc_lo, exec_lo, s0
	s_cbranch_vccnz .LBB103_3136
; %bb.3135:
	s_wait_xcnt 0x0
	v_cndmask_b32_e64 v0, 0, 1.0, s1
	s_wait_loadcnt 0x0
	global_store_b32 v[2:3], v0, off
.LBB103_3136:
	s_mov_b32 s0, 0
.LBB103_3137:
	s_delay_alu instid0(SALU_CYCLE_1)
	s_and_not1_b32 vcc_lo, exec_lo, s0
	s_cbranch_vccnz .LBB103_3139
; %bb.3138:
	s_wait_xcnt 0x0
	v_cndmask_b32_e64 v0, 0, 1.0, s1
	s_delay_alu instid0(VALU_DEP_1)
	v_cvt_f16_f32_e32 v0, v0
	s_wait_loadcnt 0x0
	global_store_b16 v[2:3], v0, off
.LBB103_3139:
	s_mov_b32 s0, 0
.LBB103_3140:
	s_delay_alu instid0(SALU_CYCLE_1)
	s_and_not1_b32 vcc_lo, exec_lo, s0
	s_cbranch_vccnz .LBB103_3156
; %bb.3141:
	s_sext_i32_i16 s2, s6
	s_mov_b32 s0, -1
	s_cmp_lt_i32 s2, 2
	s_cbranch_scc1 .LBB103_3151
; %bb.3142:
	s_cmp_lt_i32 s2, 3
	s_cbranch_scc1 .LBB103_3148
; %bb.3143:
	s_cmp_gt_i32 s2, 3
	s_cbranch_scc0 .LBB103_3145
; %bb.3144:
	s_mov_b32 s0, 0
	s_wait_xcnt 0x0
	v_cndmask_b32_e64 v0, 0, 1, s1
	s_wait_loadcnt 0x0
	v_mov_b32_e32 v1, s0
	global_store_b64 v[2:3], v[0:1], off
.LBB103_3145:
	s_and_not1_b32 vcc_lo, exec_lo, s0
	s_cbranch_vccnz .LBB103_3147
; %bb.3146:
	s_wait_xcnt 0x0
	v_cndmask_b32_e64 v0, 0, 1, s1
	s_wait_loadcnt 0x0
	global_store_b32 v[2:3], v0, off
.LBB103_3147:
	s_mov_b32 s0, 0
.LBB103_3148:
	s_delay_alu instid0(SALU_CYCLE_1)
	s_and_not1_b32 vcc_lo, exec_lo, s0
	s_cbranch_vccnz .LBB103_3150
; %bb.3149:
	s_wait_xcnt 0x0
	v_cndmask_b32_e64 v0, 0, 1, s1
	s_wait_loadcnt 0x0
	global_store_b16 v[2:3], v0, off
.LBB103_3150:
	s_mov_b32 s0, 0
.LBB103_3151:
	s_delay_alu instid0(SALU_CYCLE_1)
	s_and_not1_b32 vcc_lo, exec_lo, s0
	s_cbranch_vccnz .LBB103_3156
; %bb.3152:
	s_sext_i32_i16 s0, s6
	s_delay_alu instid0(SALU_CYCLE_1)
	s_cmp_gt_i32 s0, 0
	s_mov_b32 s0, -1
	s_cbranch_scc0 .LBB103_3154
; %bb.3153:
	s_wait_xcnt 0x0
	v_cndmask_b32_e64 v0, 0, 1, s1
	s_mov_b32 s0, 0
	s_wait_loadcnt 0x0
	global_store_b8 v[2:3], v0, off
.LBB103_3154:
	s_and_not1_b32 vcc_lo, exec_lo, s0
	s_cbranch_vccnz .LBB103_3156
; %bb.3155:
	s_wait_xcnt 0x0
	v_cndmask_b32_e64 v0, 0, 1, s1
	s_wait_loadcnt 0x0
	global_store_b8 v[2:3], v0, off
	s_endpgm
.LBB103_3156:
	s_endpgm
.LBB103_3157:
	s_mov_b32 s2, 0
	s_mov_b32 s0, -1
	s_branch .LBB103_3113
.LBB103_3158:
	s_or_b32 s9, s9, exec_lo
	s_trap 2
	s_cbranch_execz .LBB103_2628
	s_branch .LBB103_2629
.LBB103_3159:
	s_and_not1_saveexec_b32 s13, s13
	s_cbranch_execz .LBB103_2708
.LBB103_3160:
	v_add_f32_e32 v1, 0x46000000, v3
	s_and_not1_b32 s12, s12, exec_lo
	s_delay_alu instid0(VALU_DEP_1) | instskip(NEXT) | instid1(VALU_DEP_1)
	v_and_b32_e32 v1, 0xff, v1
	v_cmp_ne_u32_e32 vcc_lo, 0, v1
	s_and_b32 s14, vcc_lo, exec_lo
	s_delay_alu instid0(SALU_CYCLE_1)
	s_or_b32 s12, s12, s14
	s_or_b32 exec_lo, exec_lo, s13
	v_mov_b32_e32 v8, 0
	s_and_saveexec_b32 s13, s12
	s_cbranch_execnz .LBB103_2709
	s_branch .LBB103_2710
.LBB103_3161:
	s_or_b32 s9, s9, exec_lo
	s_trap 2
	s_cbranch_execz .LBB103_2756
	s_branch .LBB103_2757
.LBB103_3162:
	s_and_not1_saveexec_b32 s12, s12
	s_cbranch_execz .LBB103_2721
.LBB103_3163:
	v_add_f32_e32 v1, 0x42800000, v3
	s_and_not1_b32 s11, s11, exec_lo
	s_delay_alu instid0(VALU_DEP_1) | instskip(NEXT) | instid1(VALU_DEP_1)
	v_and_b32_e32 v1, 0xff, v1
	v_cmp_ne_u32_e32 vcc_lo, 0, v1
	s_and_b32 s13, vcc_lo, exec_lo
	s_delay_alu instid0(SALU_CYCLE_1)
	s_or_b32 s11, s11, s13
	s_or_b32 exec_lo, exec_lo, s12
	v_mov_b32_e32 v8, 0
	s_and_saveexec_b32 s12, s11
	s_cbranch_execnz .LBB103_2722
	s_branch .LBB103_2723
.LBB103_3164:
	s_and_not1_saveexec_b32 s13, s13
	s_cbranch_execz .LBB103_2826
.LBB103_3165:
	v_add_f32_e32 v1, 0x46000000, v3
	s_and_not1_b32 s12, s12, exec_lo
	s_delay_alu instid0(VALU_DEP_1) | instskip(NEXT) | instid1(VALU_DEP_1)
	v_and_b32_e32 v1, 0xff, v1
	v_cmp_ne_u32_e32 vcc_lo, 0, v1
	s_and_b32 s14, vcc_lo, exec_lo
	s_delay_alu instid0(SALU_CYCLE_1)
	s_or_b32 s12, s12, s14
	s_or_b32 exec_lo, exec_lo, s13
	v_mov_b32_e32 v6, 0
	s_and_saveexec_b32 s13, s12
	s_cbranch_execnz .LBB103_2827
	s_branch .LBB103_2828
.LBB103_3166:
	s_or_b32 s9, s9, exec_lo
	s_trap 2
	s_cbranch_execz .LBB103_2874
	s_branch .LBB103_2875
.LBB103_3167:
	s_and_not1_saveexec_b32 s12, s12
	s_cbranch_execz .LBB103_2839
.LBB103_3168:
	v_add_f32_e32 v1, 0x42800000, v3
	s_and_not1_b32 s11, s11, exec_lo
	s_delay_alu instid0(VALU_DEP_1) | instskip(NEXT) | instid1(VALU_DEP_1)
	v_and_b32_e32 v1, 0xff, v1
	v_cmp_ne_u32_e32 vcc_lo, 0, v1
	s_and_b32 s13, vcc_lo, exec_lo
	s_delay_alu instid0(SALU_CYCLE_1)
	s_or_b32 s11, s11, s13
	s_or_b32 exec_lo, exec_lo, s12
	v_mov_b32_e32 v6, 0
	s_and_saveexec_b32 s12, s11
	s_cbranch_execnz .LBB103_2840
	s_branch .LBB103_2841
.LBB103_3169:
	s_and_not1_saveexec_b32 s13, s13
	s_cbranch_execz .LBB103_2945
.LBB103_3170:
	v_add_f32_e32 v1, 0x46000000, v4
	s_and_not1_b32 s12, s12, exec_lo
	s_delay_alu instid0(VALU_DEP_1) | instskip(NEXT) | instid1(VALU_DEP_1)
	v_and_b32_e32 v1, 0xff, v1
	v_cmp_ne_u32_e32 vcc_lo, 0, v1
	s_and_b32 s14, vcc_lo, exec_lo
	s_delay_alu instid0(SALU_CYCLE_1)
	s_or_b32 s12, s12, s14
	s_or_b32 exec_lo, exec_lo, s13
	v_mov_b32_e32 v5, 0
	s_and_saveexec_b32 s13, s12
	s_cbranch_execnz .LBB103_2946
	s_branch .LBB103_2947
.LBB103_3171:
	s_or_b32 s9, s9, exec_lo
	s_trap 2
	s_cbranch_execz .LBB103_2993
	s_branch .LBB103_2994
.LBB103_3172:
	s_and_not1_saveexec_b32 s12, s12
	s_cbranch_execz .LBB103_2958
.LBB103_3173:
	v_add_f32_e32 v1, 0x42800000, v4
	s_and_not1_b32 s11, s11, exec_lo
	s_delay_alu instid0(VALU_DEP_1) | instskip(NEXT) | instid1(VALU_DEP_1)
	v_and_b32_e32 v1, 0xff, v1
	v_cmp_ne_u32_e32 vcc_lo, 0, v1
	s_and_b32 s13, vcc_lo, exec_lo
	s_delay_alu instid0(SALU_CYCLE_1)
	s_or_b32 s11, s11, s13
	s_or_b32 exec_lo, exec_lo, s12
	v_mov_b32_e32 v5, 0
	s_and_saveexec_b32 s12, s11
	s_cbranch_execnz .LBB103_2959
	s_branch .LBB103_2960
.LBB103_3174:
	s_and_not1_saveexec_b32 s10, s10
	s_cbranch_execz .LBB103_3065
.LBB103_3175:
	v_add_f32_e32 v0, 0x46000000, v1
	s_and_not1_b32 s5, s5, exec_lo
	s_delay_alu instid0(VALU_DEP_1) | instskip(NEXT) | instid1(VALU_DEP_1)
	v_and_b32_e32 v0, 0xff, v0
	v_cmp_ne_u32_e32 vcc_lo, 0, v0
	s_and_b32 s11, vcc_lo, exec_lo
	s_delay_alu instid0(SALU_CYCLE_1)
	s_or_b32 s5, s5, s11
	s_or_b32 exec_lo, exec_lo, s10
	v_mov_b32_e32 v4, 0
	s_and_saveexec_b32 s10, s5
	s_cbranch_execnz .LBB103_3066
	s_branch .LBB103_3067
.LBB103_3176:
	s_mov_b32 s2, 0
	s_or_b32 s9, s9, exec_lo
	s_trap 2
	s_branch .LBB103_3111
.LBB103_3177:
	s_and_not1_saveexec_b32 s5, s5
	s_cbranch_execz .LBB103_3077
.LBB103_3178:
	v_add_f32_e32 v0, 0x42800000, v1
	s_and_not1_b32 s4, s4, exec_lo
	s_delay_alu instid0(VALU_DEP_1) | instskip(NEXT) | instid1(VALU_DEP_1)
	v_and_b32_e32 v0, 0xff, v0
	v_cmp_ne_u32_e32 vcc_lo, 0, v0
	s_and_b32 s10, vcc_lo, exec_lo
	s_delay_alu instid0(SALU_CYCLE_1)
	s_or_b32 s4, s4, s10
	s_or_b32 exec_lo, exec_lo, s5
	v_mov_b32_e32 v4, 0
	s_and_saveexec_b32 s5, s4
	s_cbranch_execnz .LBB103_3078
	s_branch .LBB103_3079
	.section	.rodata,"a",@progbits
	.p2align	6, 0x0
	.amdhsa_kernel _ZN2at6native32elementwise_kernel_manual_unrollILi128ELi4EZNS0_15gpu_kernel_implINS0_13BinaryFunctorIffbNS0_12_GLOBAL__N_116CompareEqFunctorIfEEEEEEvRNS_18TensorIteratorBaseERKT_EUlibE0_EEviT1_
		.amdhsa_group_segment_fixed_size 0
		.amdhsa_private_segment_fixed_size 0
		.amdhsa_kernarg_size 432
		.amdhsa_user_sgpr_count 2
		.amdhsa_user_sgpr_dispatch_ptr 0
		.amdhsa_user_sgpr_queue_ptr 0
		.amdhsa_user_sgpr_kernarg_segment_ptr 1
		.amdhsa_user_sgpr_dispatch_id 0
		.amdhsa_user_sgpr_kernarg_preload_length 0
		.amdhsa_user_sgpr_kernarg_preload_offset 0
		.amdhsa_user_sgpr_private_segment_size 0
		.amdhsa_wavefront_size32 1
		.amdhsa_uses_dynamic_stack 0
		.amdhsa_enable_private_segment 0
		.amdhsa_system_sgpr_workgroup_id_x 1
		.amdhsa_system_sgpr_workgroup_id_y 0
		.amdhsa_system_sgpr_workgroup_id_z 0
		.amdhsa_system_sgpr_workgroup_info 0
		.amdhsa_system_vgpr_workitem_id 0
		.amdhsa_next_free_vgpr 26
		.amdhsa_next_free_sgpr 62
		.amdhsa_named_barrier_count 0
		.amdhsa_reserve_vcc 1
		.amdhsa_float_round_mode_32 0
		.amdhsa_float_round_mode_16_64 0
		.amdhsa_float_denorm_mode_32 3
		.amdhsa_float_denorm_mode_16_64 3
		.amdhsa_fp16_overflow 0
		.amdhsa_memory_ordered 1
		.amdhsa_forward_progress 1
		.amdhsa_inst_pref_size 255
		.amdhsa_round_robin_scheduling 0
		.amdhsa_exception_fp_ieee_invalid_op 0
		.amdhsa_exception_fp_denorm_src 0
		.amdhsa_exception_fp_ieee_div_zero 0
		.amdhsa_exception_fp_ieee_overflow 0
		.amdhsa_exception_fp_ieee_underflow 0
		.amdhsa_exception_fp_ieee_inexact 0
		.amdhsa_exception_int_div_zero 0
	.end_amdhsa_kernel
	.section	.text._ZN2at6native32elementwise_kernel_manual_unrollILi128ELi4EZNS0_15gpu_kernel_implINS0_13BinaryFunctorIffbNS0_12_GLOBAL__N_116CompareEqFunctorIfEEEEEEvRNS_18TensorIteratorBaseERKT_EUlibE0_EEviT1_,"axG",@progbits,_ZN2at6native32elementwise_kernel_manual_unrollILi128ELi4EZNS0_15gpu_kernel_implINS0_13BinaryFunctorIffbNS0_12_GLOBAL__N_116CompareEqFunctorIfEEEEEEvRNS_18TensorIteratorBaseERKT_EUlibE0_EEviT1_,comdat
.Lfunc_end103:
	.size	_ZN2at6native32elementwise_kernel_manual_unrollILi128ELi4EZNS0_15gpu_kernel_implINS0_13BinaryFunctorIffbNS0_12_GLOBAL__N_116CompareEqFunctorIfEEEEEEvRNS_18TensorIteratorBaseERKT_EUlibE0_EEviT1_, .Lfunc_end103-_ZN2at6native32elementwise_kernel_manual_unrollILi128ELi4EZNS0_15gpu_kernel_implINS0_13BinaryFunctorIffbNS0_12_GLOBAL__N_116CompareEqFunctorIfEEEEEEvRNS_18TensorIteratorBaseERKT_EUlibE0_EEviT1_
                                        ; -- End function
	.set _ZN2at6native32elementwise_kernel_manual_unrollILi128ELi4EZNS0_15gpu_kernel_implINS0_13BinaryFunctorIffbNS0_12_GLOBAL__N_116CompareEqFunctorIfEEEEEEvRNS_18TensorIteratorBaseERKT_EUlibE0_EEviT1_.num_vgpr, 26
	.set _ZN2at6native32elementwise_kernel_manual_unrollILi128ELi4EZNS0_15gpu_kernel_implINS0_13BinaryFunctorIffbNS0_12_GLOBAL__N_116CompareEqFunctorIfEEEEEEvRNS_18TensorIteratorBaseERKT_EUlibE0_EEviT1_.num_agpr, 0
	.set _ZN2at6native32elementwise_kernel_manual_unrollILi128ELi4EZNS0_15gpu_kernel_implINS0_13BinaryFunctorIffbNS0_12_GLOBAL__N_116CompareEqFunctorIfEEEEEEvRNS_18TensorIteratorBaseERKT_EUlibE0_EEviT1_.numbered_sgpr, 62
	.set _ZN2at6native32elementwise_kernel_manual_unrollILi128ELi4EZNS0_15gpu_kernel_implINS0_13BinaryFunctorIffbNS0_12_GLOBAL__N_116CompareEqFunctorIfEEEEEEvRNS_18TensorIteratorBaseERKT_EUlibE0_EEviT1_.num_named_barrier, 0
	.set _ZN2at6native32elementwise_kernel_manual_unrollILi128ELi4EZNS0_15gpu_kernel_implINS0_13BinaryFunctorIffbNS0_12_GLOBAL__N_116CompareEqFunctorIfEEEEEEvRNS_18TensorIteratorBaseERKT_EUlibE0_EEviT1_.private_seg_size, 0
	.set _ZN2at6native32elementwise_kernel_manual_unrollILi128ELi4EZNS0_15gpu_kernel_implINS0_13BinaryFunctorIffbNS0_12_GLOBAL__N_116CompareEqFunctorIfEEEEEEvRNS_18TensorIteratorBaseERKT_EUlibE0_EEviT1_.uses_vcc, 1
	.set _ZN2at6native32elementwise_kernel_manual_unrollILi128ELi4EZNS0_15gpu_kernel_implINS0_13BinaryFunctorIffbNS0_12_GLOBAL__N_116CompareEqFunctorIfEEEEEEvRNS_18TensorIteratorBaseERKT_EUlibE0_EEviT1_.uses_flat_scratch, 0
	.set _ZN2at6native32elementwise_kernel_manual_unrollILi128ELi4EZNS0_15gpu_kernel_implINS0_13BinaryFunctorIffbNS0_12_GLOBAL__N_116CompareEqFunctorIfEEEEEEvRNS_18TensorIteratorBaseERKT_EUlibE0_EEviT1_.has_dyn_sized_stack, 0
	.set _ZN2at6native32elementwise_kernel_manual_unrollILi128ELi4EZNS0_15gpu_kernel_implINS0_13BinaryFunctorIffbNS0_12_GLOBAL__N_116CompareEqFunctorIfEEEEEEvRNS_18TensorIteratorBaseERKT_EUlibE0_EEviT1_.has_recursion, 0
	.set _ZN2at6native32elementwise_kernel_manual_unrollILi128ELi4EZNS0_15gpu_kernel_implINS0_13BinaryFunctorIffbNS0_12_GLOBAL__N_116CompareEqFunctorIfEEEEEEvRNS_18TensorIteratorBaseERKT_EUlibE0_EEviT1_.has_indirect_call, 0
	.section	.AMDGPU.csdata,"",@progbits
; Kernel info:
; codeLenInByte = 59456
; TotalNumSgprs: 64
; NumVgprs: 26
; ScratchSize: 0
; MemoryBound: 1
; FloatMode: 240
; IeeeMode: 1
; LDSByteSize: 0 bytes/workgroup (compile time only)
; SGPRBlocks: 0
; VGPRBlocks: 1
; NumSGPRsForWavesPerEU: 64
; NumVGPRsForWavesPerEU: 26
; NamedBarCnt: 0
; Occupancy: 16
; WaveLimiterHint : 1
; COMPUTE_PGM_RSRC2:SCRATCH_EN: 0
; COMPUTE_PGM_RSRC2:USER_SGPR: 2
; COMPUTE_PGM_RSRC2:TRAP_HANDLER: 0
; COMPUTE_PGM_RSRC2:TGID_X_EN: 1
; COMPUTE_PGM_RSRC2:TGID_Y_EN: 0
; COMPUTE_PGM_RSRC2:TGID_Z_EN: 0
; COMPUTE_PGM_RSRC2:TIDIG_COMP_CNT: 0
	.section	.text._ZN2at6native29vectorized_elementwise_kernelILi16ENS0_13AUnaryFunctorIffbNS0_12_GLOBAL__N_116CompareEqFunctorIfEEEESt5arrayIPcLm2EEEEviT0_T1_,"axG",@progbits,_ZN2at6native29vectorized_elementwise_kernelILi16ENS0_13AUnaryFunctorIffbNS0_12_GLOBAL__N_116CompareEqFunctorIfEEEESt5arrayIPcLm2EEEEviT0_T1_,comdat
	.globl	_ZN2at6native29vectorized_elementwise_kernelILi16ENS0_13AUnaryFunctorIffbNS0_12_GLOBAL__N_116CompareEqFunctorIfEEEESt5arrayIPcLm2EEEEviT0_T1_ ; -- Begin function _ZN2at6native29vectorized_elementwise_kernelILi16ENS0_13AUnaryFunctorIffbNS0_12_GLOBAL__N_116CompareEqFunctorIfEEEESt5arrayIPcLm2EEEEviT0_T1_
	.p2align	8
	.type	_ZN2at6native29vectorized_elementwise_kernelILi16ENS0_13AUnaryFunctorIffbNS0_12_GLOBAL__N_116CompareEqFunctorIfEEEESt5arrayIPcLm2EEEEviT0_T1_,@function
_ZN2at6native29vectorized_elementwise_kernelILi16ENS0_13AUnaryFunctorIffbNS0_12_GLOBAL__N_116CompareEqFunctorIfEEEESt5arrayIPcLm2EEEEviT0_T1_: ; @_ZN2at6native29vectorized_elementwise_kernelILi16ENS0_13AUnaryFunctorIffbNS0_12_GLOBAL__N_116CompareEqFunctorIfEEEESt5arrayIPcLm2EEEEviT0_T1_
; %bb.0:
	s_clause 0x1
	s_load_b96 s[8:10], s[0:1], 0x0
	s_load_b128 s[4:7], s[0:1], 0x10
	s_wait_xcnt 0x0
	s_bfe_u32 s0, ttmp6, 0x4000c
	s_and_b32 s1, ttmp6, 15
	s_add_co_i32 s0, s0, 1
	s_getreg_b32 s2, hwreg(HW_REG_IB_STS2, 6, 4)
	s_mul_i32 s0, ttmp9, s0
	s_delay_alu instid0(SALU_CYCLE_1) | instskip(SKIP_2) | instid1(SALU_CYCLE_1)
	s_add_co_i32 s1, s1, s0
	s_cmp_eq_u32 s2, 0
	s_cselect_b32 s0, ttmp9, s1
	s_lshl_b32 s2, s0, 12
	s_mov_b32 s0, -1
	s_wait_kmcnt 0x0
	s_sub_co_i32 s1, s8, s2
	s_delay_alu instid0(SALU_CYCLE_1)
	s_cmp_gt_i32 s1, 0xfff
	s_cbranch_scc0 .LBB104_2
; %bb.1:
	s_ashr_i32 s3, s2, 31
	v_lshlrev_b32_e32 v1, 6, v0
	s_lshl_b64 s[12:13], s[2:3], 2
	s_cmp_eq_u32 s9, 0
	s_add_nc_u64 s[12:13], s[6:7], s[12:13]
	s_mov_b32 s0, 0
	s_clause 0x3
	global_load_b128 v[2:5], v1, s[12:13]
	global_load_b128 v[6:9], v1, s[12:13] offset:16
	global_load_b128 v[10:13], v1, s[12:13] offset:32
	;; [unrolled: 1-line block ×3, first 2 shown]
	s_wait_xcnt 0x0
	s_add_nc_u64 s[12:13], s[4:5], s[2:3]
	s_wait_loadcnt 0x3
	v_cmp_eq_f32_e32 vcc_lo, s10, v4
	v_cndmask_b32_e64 v1, 0, 1, vcc_lo
	v_cmp_neq_f32_e32 vcc_lo, s10, v4
	v_cndmask_b32_e64 v4, 0, 1, vcc_lo
	v_cmp_eq_f32_e32 vcc_lo, s10, v5
	v_cndmask_b32_e64 v18, 0, 1, vcc_lo
	v_cmp_neq_f32_e32 vcc_lo, s10, v5
	v_cndmask_b32_e64 v5, 0, 1, vcc_lo
	v_cmp_eq_f32_e32 vcc_lo, s10, v2
	v_cndmask_b32_e64 v19, 0, 1, vcc_lo
	v_cmp_neq_f32_e32 vcc_lo, s10, v2
	v_cndmask_b32_e64 v2, 0, 1, vcc_lo
	v_cmp_eq_f32_e32 vcc_lo, s10, v3
	v_cndmask_b32_e64 v20, 0, 1, vcc_lo
	v_cmp_neq_f32_e32 vcc_lo, s10, v3
	v_cndmask_b32_e64 v3, 0, 1, vcc_lo
	s_wait_loadcnt 0x2
	v_cmp_eq_f32_e32 vcc_lo, s10, v8
	v_cndmask_b32_e64 v21, 0, 1, vcc_lo
	v_cmp_neq_f32_e32 vcc_lo, s10, v8
	v_cndmask_b32_e64 v8, 0, 1, vcc_lo
	v_cmp_eq_f32_e32 vcc_lo, s10, v9
	v_cndmask_b32_e64 v22, 0, 1, vcc_lo
	v_cmp_neq_f32_e32 vcc_lo, s10, v9
	v_cndmask_b32_e64 v9, 0, 1, vcc_lo
	v_cmp_eq_f32_e32 vcc_lo, s10, v6
	v_cndmask_b32_e64 v23, 0, 1, vcc_lo
	v_cmp_neq_f32_e32 vcc_lo, s10, v6
	v_cndmask_b32_e64 v6, 0, 1, vcc_lo
	v_cmp_eq_f32_e32 vcc_lo, s10, v7
	v_cndmask_b32_e64 v24, 0, 1, vcc_lo
	v_cmp_neq_f32_e32 vcc_lo, s10, v7
	v_cndmask_b32_e64 v7, 0, 1, vcc_lo
	;; [unrolled: 17-line block ×4, first 2 shown]
	s_cselect_b32 vcc_lo, -1, 0
	v_dual_cndmask_b32 v1, v4, v1 :: v_dual_cndmask_b32 v2, v2, v19
	v_dual_cndmask_b32 v4, v5, v18 :: v_dual_cndmask_b32 v3, v3, v20
	;; [unrolled: 1-line block ×7, first 2 shown]
	v_dual_cndmask_b32 v14, v14, v31, vcc_lo :: v_dual_bitop2_b32 v8, 1, v8 bitop3:0x40
	v_and_b32_e32 v4, 1, v4
	v_and_b32_e32 v12, 1, v12
	s_delay_alu instid0(VALU_DEP_4) | instskip(SKIP_3) | instid1(VALU_DEP_4)
	v_and_b32_e32 v16, 1, v16
	v_dual_cndmask_b32 v15, v15, v32, vcc_lo :: v_dual_bitop2_b32 v7, 1, v7 bitop3:0x40
	v_lshlrev_b16 v8, 8, v8
	v_lshlrev_b16 v4, 8, v4
	;; [unrolled: 1-line block ×5, first 2 shown]
	v_bitop3_b16 v5, v5, v8, 1 bitop3:0xec
	v_bitop3_b16 v1, v1, v4, 1 bitop3:0xec
	v_and_b32_e32 v3, 1, v3
	v_bitop3_b16 v4, v13, v16, 1 bitop3:0xec
	v_and_b32_e32 v15, 1, v15
	v_bitop3_b16 v8, v9, v12, 1 bitop3:0xec
	v_dual_lshlrev_b32 v1, 16, v1 :: v_dual_bitop2_b32 v11, 1, v11 bitop3:0x40
	v_lshlrev_b16 v3, 8, v3
	v_lshlrev_b32_e32 v4, 16, v4
	v_lshlrev_b16 v15, 8, v15
	v_lshlrev_b32_e32 v8, 16, v8
	v_lshlrev_b16 v11, 8, v11
	v_bitop3_b16 v6, v6, v7, 1 bitop3:0xec
	v_bitop3_b16 v2, v2, v3, 1 bitop3:0xec
	;; [unrolled: 1-line block ×3, first 2 shown]
	v_lshlrev_b32_e32 v5, 16, v5
	v_bitop3_b16 v7, v10, v11, 1 bitop3:0xec
	v_and_b32_e32 v6, 0xffff, v6
	v_and_b32_e32 v2, 0xffff, v2
	;; [unrolled: 1-line block ×3, first 2 shown]
	s_delay_alu instid0(VALU_DEP_4) | instskip(NEXT) | instid1(VALU_DEP_4)
	v_and_b32_e32 v7, 0xffff, v7
	v_or_b32_e32 v3, v6, v5
	s_delay_alu instid0(VALU_DEP_4) | instskip(NEXT) | instid1(VALU_DEP_4)
	v_or_b32_e32 v2, v2, v1
	v_or_b32_e32 v5, v9, v4
	s_delay_alu instid0(VALU_DEP_4)
	v_or_b32_e32 v4, v7, v8
	global_store_b128 v0, v[2:5], s[12:13] scale_offset
.LBB104_2:
	s_and_not1_b32 vcc_lo, exec_lo, s0
	s_cbranch_vccnz .LBB104_52
; %bb.3:
	v_cmp_gt_i32_e64 s0, s1, v0
	v_dual_mov_b32 v10, 0 :: v_dual_bitop2_b32 v14, s2, v0 bitop3:0x54
	v_or_b32_e32 v15, 0x100, v0
	v_dual_mov_b32 v18, 0 :: v_dual_mov_b32 v19, v0
	s_wait_xcnt 0x0
	s_and_saveexec_b32 s3, s0
	s_cbranch_execz .LBB104_5
; %bb.4:
	global_load_b32 v18, v14, s[6:7] scale_offset
	v_or_b32_e32 v19, 0x100, v0
.LBB104_5:
	s_wait_xcnt 0x0
	s_or_b32 exec_lo, exec_lo, s3
	s_delay_alu instid0(SALU_CYCLE_1) | instskip(NEXT) | instid1(VALU_DEP_1)
	s_mov_b32 s3, exec_lo
	v_cmpx_gt_i32_e64 s1, v19
	s_cbranch_execz .LBB104_7
; %bb.6:
	v_add_nc_u32_e32 v1, s2, v19
	v_add_nc_u32_e32 v19, 0x100, v19
	global_load_b32 v10, v1, s[6:7] scale_offset
.LBB104_7:
	s_wait_xcnt 0x0
	s_or_b32 exec_lo, exec_lo, s3
	v_dual_mov_b32 v9, 0 :: v_dual_mov_b32 v17, 0
	s_mov_b32 s3, exec_lo
	v_cmpx_gt_i32_e64 s1, v19
	s_cbranch_execz .LBB104_9
; %bb.8:
	v_add_nc_u32_e32 v1, s2, v19
	v_add_nc_u32_e32 v19, 0x100, v19
	global_load_b32 v17, v1, s[6:7] scale_offset
.LBB104_9:
	s_wait_xcnt 0x0
	s_or_b32 exec_lo, exec_lo, s3
	s_delay_alu instid0(SALU_CYCLE_1)
	s_mov_b32 s3, exec_lo
	v_cmpx_gt_i32_e64 s1, v19
	s_cbranch_execz .LBB104_11
; %bb.10:
	v_add_nc_u32_e32 v1, s2, v19
	v_add_nc_u32_e32 v19, 0x100, v19
	global_load_b32 v9, v1, s[6:7] scale_offset
.LBB104_11:
	s_wait_xcnt 0x0
	s_or_b32 exec_lo, exec_lo, s3
	v_dual_mov_b32 v7, 0 :: v_dual_mov_b32 v16, 0
	s_mov_b32 s3, exec_lo
	v_cmpx_gt_i32_e64 s1, v19
	s_cbranch_execz .LBB104_13
; %bb.12:
	v_add_nc_u32_e32 v1, s2, v19
	v_add_nc_u32_e32 v19, 0x100, v19
	global_load_b32 v16, v1, s[6:7] scale_offset
.LBB104_13:
	s_wait_xcnt 0x0
	s_or_b32 exec_lo, exec_lo, s3
	s_delay_alu instid0(SALU_CYCLE_1)
	;; [unrolled: 22-line block ×7, first 2 shown]
	s_mov_b32 s3, exec_lo
	v_cmpx_gt_i32_e64 s1, v19
	s_cbranch_execz .LBB104_35
; %bb.34:
	v_add_nc_u32_e32 v1, s2, v19
	global_load_b32 v1, v1, s[6:7] scale_offset
.LBB104_35:
	s_wait_xcnt 0x0
	s_or_b32 exec_lo, exec_lo, s3
	s_cmp_eq_u32 s9, 0
	s_cselect_b32 vcc_lo, -1, 0
	s_and_saveexec_b32 s3, s0
	s_cbranch_execnz .LBB104_53
; %bb.36:
	s_or_b32 exec_lo, exec_lo, s3
	s_delay_alu instid0(SALU_CYCLE_1)
	s_mov_b32 s3, exec_lo
	v_cmpx_gt_i32_e64 s1, v0
	s_cbranch_execnz .LBB104_54
.LBB104_37:
	s_or_b32 exec_lo, exec_lo, s3
	s_delay_alu instid0(SALU_CYCLE_1)
	s_mov_b32 s3, exec_lo
	v_cmpx_gt_i32_e64 s1, v0
	s_cbranch_execnz .LBB104_55
.LBB104_38:
	s_or_b32 exec_lo, exec_lo, s3
	s_delay_alu instid0(SALU_CYCLE_1)
	s_mov_b32 s3, exec_lo
	v_cmpx_gt_i32_e64 s1, v0
	s_cbranch_execnz .LBB104_56
.LBB104_39:
	s_or_b32 exec_lo, exec_lo, s3
	s_delay_alu instid0(SALU_CYCLE_1)
	s_mov_b32 s3, exec_lo
	v_cmpx_gt_i32_e64 s1, v0
	s_cbranch_execnz .LBB104_57
.LBB104_40:
	s_or_b32 exec_lo, exec_lo, s3
	s_delay_alu instid0(SALU_CYCLE_1)
	s_mov_b32 s3, exec_lo
	v_cmpx_gt_i32_e64 s1, v0
	s_cbranch_execnz .LBB104_58
.LBB104_41:
	s_or_b32 exec_lo, exec_lo, s3
	s_delay_alu instid0(SALU_CYCLE_1)
	s_mov_b32 s3, exec_lo
	v_cmpx_gt_i32_e64 s1, v0
	s_cbranch_execnz .LBB104_59
.LBB104_42:
	s_or_b32 exec_lo, exec_lo, s3
	s_delay_alu instid0(SALU_CYCLE_1)
	s_mov_b32 s3, exec_lo
	v_cmpx_gt_i32_e64 s1, v0
	s_cbranch_execnz .LBB104_60
.LBB104_43:
	s_or_b32 exec_lo, exec_lo, s3
	s_delay_alu instid0(SALU_CYCLE_1)
	s_mov_b32 s3, exec_lo
	v_cmpx_gt_i32_e64 s1, v0
	s_cbranch_execnz .LBB104_61
.LBB104_44:
	s_or_b32 exec_lo, exec_lo, s3
	s_delay_alu instid0(SALU_CYCLE_1)
	s_mov_b32 s3, exec_lo
	v_cmpx_gt_i32_e64 s1, v0
	s_cbranch_execnz .LBB104_62
.LBB104_45:
	s_or_b32 exec_lo, exec_lo, s3
	s_delay_alu instid0(SALU_CYCLE_1)
	s_mov_b32 s3, exec_lo
	v_cmpx_gt_i32_e64 s1, v0
	s_cbranch_execnz .LBB104_63
.LBB104_46:
	s_or_b32 exec_lo, exec_lo, s3
	s_delay_alu instid0(SALU_CYCLE_1)
	s_mov_b32 s3, exec_lo
	v_cmpx_gt_i32_e64 s1, v0
	s_cbranch_execnz .LBB104_64
.LBB104_47:
	s_or_b32 exec_lo, exec_lo, s3
	s_delay_alu instid0(SALU_CYCLE_1)
	s_mov_b32 s3, exec_lo
	v_cmpx_gt_i32_e64 s1, v0
	s_cbranch_execnz .LBB104_65
.LBB104_48:
	s_or_b32 exec_lo, exec_lo, s3
	s_delay_alu instid0(SALU_CYCLE_1)
	s_mov_b32 s3, exec_lo
	v_cmpx_gt_i32_e64 s1, v0
	s_cbranch_execnz .LBB104_66
.LBB104_49:
	s_or_b32 exec_lo, exec_lo, s3
	s_delay_alu instid0(SALU_CYCLE_1)
	s_mov_b32 s3, exec_lo
	v_cmpx_gt_i32_e64 s1, v0
	s_cbranch_execnz .LBB104_67
.LBB104_50:
	s_or_b32 exec_lo, exec_lo, s3
	v_cmp_gt_i32_e64 s0, s1, v0
	s_and_saveexec_b32 s1, s0
	s_cbranch_execz .LBB104_52
.LBB104_51:
	s_wait_loadcnt 0x0
	v_cmp_eq_f32_e64 s0, s10, v1
	v_add_nc_u32_e32 v0, s2, v0
	s_delay_alu instid0(VALU_DEP_2) | instskip(SKIP_1) | instid1(VALU_DEP_1)
	v_cndmask_b32_e64 v2, 0, 1, s0
	v_cmp_neq_f32_e64 s0, s10, v1
	v_cndmask_b32_e64 v1, 0, 1, s0
	s_delay_alu instid0(VALU_DEP_1) | instskip(NEXT) | instid1(VALU_DEP_1)
	v_cndmask_b32_e32 v1, v1, v2, vcc_lo
	v_and_b32_e32 v1, 1, v1
	global_store_b8 v0, v1, s[4:5]
.LBB104_52:
	s_endpgm
.LBB104_53:
	s_wait_loadcnt 0x0
	v_cmp_eq_f32_e64 s0, s10, v18
	s_delay_alu instid0(VALU_DEP_1) | instskip(SKIP_1) | instid1(VALU_DEP_1)
	v_cndmask_b32_e64 v0, 0, 1, s0
	v_cmp_neq_f32_e64 s0, s10, v18
	v_cndmask_b32_e64 v18, 0, 1, s0
	s_delay_alu instid0(VALU_DEP_1) | instskip(NEXT) | instid1(VALU_DEP_1)
	v_cndmask_b32_e32 v0, v18, v0, vcc_lo
	v_dual_mov_b32 v0, v15 :: v_dual_bitop2_b32 v18, 1, v0 bitop3:0x40
	global_store_b8 v14, v18, s[4:5]
	s_wait_xcnt 0x0
	s_or_b32 exec_lo, exec_lo, s3
	s_delay_alu instid0(SALU_CYCLE_1)
	s_mov_b32 s3, exec_lo
	v_cmpx_gt_i32_e64 s1, v0
	s_cbranch_execz .LBB104_37
.LBB104_54:
	s_wait_loadcnt 0x0
	v_cmp_eq_f32_e64 s0, s10, v10
	s_delay_alu instid0(VALU_DEP_1) | instskip(SKIP_1) | instid1(VALU_DEP_1)
	v_cndmask_b32_e64 v14, 0, 1, s0
	v_cmp_neq_f32_e64 s0, s10, v10
	v_cndmask_b32_e64 v10, 0, 1, s0
	s_delay_alu instid0(VALU_DEP_1) | instskip(SKIP_1) | instid1(VALU_DEP_2)
	v_dual_cndmask_b32 v10, v10, v14, vcc_lo :: v_dual_add_nc_u32 v14, s2, v0
	v_add_nc_u32_e32 v0, 0x100, v0
	v_and_b32_e32 v10, 1, v10
	global_store_b8 v14, v10, s[4:5]
	s_wait_xcnt 0x0
	s_or_b32 exec_lo, exec_lo, s3
	s_delay_alu instid0(SALU_CYCLE_1)
	s_mov_b32 s3, exec_lo
	v_cmpx_gt_i32_e64 s1, v0
	s_cbranch_execz .LBB104_38
.LBB104_55:
	s_wait_loadcnt 0x0
	v_cmp_eq_f32_e64 s0, s10, v17
	s_delay_alu instid0(VALU_DEP_1) | instskip(SKIP_1) | instid1(VALU_DEP_1)
	v_cndmask_b32_e64 v10, 0, 1, s0
	v_cmp_neq_f32_e64 s0, s10, v17
	v_cndmask_b32_e64 v14, 0, 1, s0
	s_delay_alu instid0(VALU_DEP_1) | instskip(SKIP_1) | instid1(VALU_DEP_2)
	v_dual_cndmask_b32 v10, v14, v10, vcc_lo :: v_dual_add_nc_u32 v14, s2, v0
	v_add_nc_u32_e32 v0, 0x100, v0
	v_and_b32_e32 v10, 1, v10
	global_store_b8 v14, v10, s[4:5]
	s_wait_xcnt 0x0
	s_or_b32 exec_lo, exec_lo, s3
	s_delay_alu instid0(SALU_CYCLE_1)
	s_mov_b32 s3, exec_lo
	v_cmpx_gt_i32_e64 s1, v0
	s_cbranch_execz .LBB104_39
.LBB104_56:
	s_wait_loadcnt 0x0
	v_cmp_eq_f32_e64 s0, s10, v9
	s_delay_alu instid0(VALU_DEP_1) | instskip(SKIP_1) | instid1(VALU_DEP_1)
	v_cndmask_b32_e64 v10, 0, 1, s0
	v_cmp_neq_f32_e64 s0, s10, v9
	v_cndmask_b32_e64 v9, 0, 1, s0
	s_delay_alu instid0(VALU_DEP_1) | instskip(SKIP_1) | instid1(VALU_DEP_2)
	v_dual_cndmask_b32 v9, v9, v10 :: v_dual_add_nc_u32 v10, s2, v0
	v_add_nc_u32_e32 v0, 0x100, v0
	v_and_b32_e32 v9, 1, v9
	global_store_b8 v10, v9, s[4:5]
	s_wait_xcnt 0x0
	s_or_b32 exec_lo, exec_lo, s3
	s_delay_alu instid0(SALU_CYCLE_1)
	s_mov_b32 s3, exec_lo
	v_cmpx_gt_i32_e64 s1, v0
	s_cbranch_execz .LBB104_40
.LBB104_57:
	s_wait_loadcnt 0x0
	v_cmp_eq_f32_e64 s0, s10, v16
	s_delay_alu instid0(VALU_DEP_1) | instskip(SKIP_1) | instid1(VALU_DEP_1)
	v_cndmask_b32_e64 v9, 0, 1, s0
	v_cmp_neq_f32_e64 s0, s10, v16
	v_cndmask_b32_e64 v10, 0, 1, s0
	s_delay_alu instid0(VALU_DEP_1) | instskip(SKIP_1) | instid1(VALU_DEP_2)
	v_dual_cndmask_b32 v9, v10, v9 :: v_dual_add_nc_u32 v10, s2, v0
	v_add_nc_u32_e32 v0, 0x100, v0
	v_and_b32_e32 v9, 1, v9
	global_store_b8 v10, v9, s[4:5]
	s_wait_xcnt 0x0
	s_or_b32 exec_lo, exec_lo, s3
	s_delay_alu instid0(SALU_CYCLE_1)
	s_mov_b32 s3, exec_lo
	v_cmpx_gt_i32_e64 s1, v0
	s_cbranch_execz .LBB104_41
.LBB104_58:
	s_wait_loadcnt 0x0
	v_cmp_eq_f32_e64 s0, s10, v7
	s_delay_alu instid0(VALU_DEP_1) | instskip(SKIP_1) | instid1(VALU_DEP_1)
	v_cndmask_b32_e64 v9, 0, 1, s0
	v_cmp_neq_f32_e64 s0, s10, v7
	v_cndmask_b32_e64 v7, 0, 1, s0
	s_delay_alu instid0(VALU_DEP_1) | instskip(SKIP_1) | instid1(VALU_DEP_2)
	v_dual_cndmask_b32 v7, v7, v9, vcc_lo :: v_dual_add_nc_u32 v9, s2, v0
	v_add_nc_u32_e32 v0, 0x100, v0
	v_and_b32_e32 v7, 1, v7
	global_store_b8 v9, v7, s[4:5]
	s_wait_xcnt 0x0
	s_or_b32 exec_lo, exec_lo, s3
	s_delay_alu instid0(SALU_CYCLE_1)
	s_mov_b32 s3, exec_lo
	v_cmpx_gt_i32_e64 s1, v0
	s_cbranch_execz .LBB104_42
.LBB104_59:
	s_wait_loadcnt 0x0
	v_cmp_eq_f32_e64 s0, s10, v13
	s_delay_alu instid0(VALU_DEP_1) | instskip(SKIP_1) | instid1(VALU_DEP_1)
	v_cndmask_b32_e64 v7, 0, 1, s0
	v_cmp_neq_f32_e64 s0, s10, v13
	v_cndmask_b32_e64 v9, 0, 1, s0
	s_delay_alu instid0(VALU_DEP_1) | instskip(SKIP_1) | instid1(VALU_DEP_2)
	v_dual_cndmask_b32 v7, v9, v7, vcc_lo :: v_dual_add_nc_u32 v9, s2, v0
	v_add_nc_u32_e32 v0, 0x100, v0
	v_and_b32_e32 v7, 1, v7
	global_store_b8 v9, v7, s[4:5]
	s_wait_xcnt 0x0
	s_or_b32 exec_lo, exec_lo, s3
	s_delay_alu instid0(SALU_CYCLE_1)
	s_mov_b32 s3, exec_lo
	v_cmpx_gt_i32_e64 s1, v0
	s_cbranch_execz .LBB104_43
.LBB104_60:
	s_wait_loadcnt 0x0
	v_cmp_eq_f32_e64 s0, s10, v5
	s_delay_alu instid0(VALU_DEP_1) | instskip(SKIP_1) | instid1(VALU_DEP_1)
	v_cndmask_b32_e64 v7, 0, 1, s0
	v_cmp_neq_f32_e64 s0, s10, v5
	v_cndmask_b32_e64 v5, 0, 1, s0
	s_delay_alu instid0(VALU_DEP_1) | instskip(SKIP_1) | instid1(VALU_DEP_2)
	v_dual_cndmask_b32 v5, v5, v7, vcc_lo :: v_dual_add_nc_u32 v7, s2, v0
	v_add_nc_u32_e32 v0, 0x100, v0
	v_and_b32_e32 v5, 1, v5
	global_store_b8 v7, v5, s[4:5]
	s_wait_xcnt 0x0
	s_or_b32 exec_lo, exec_lo, s3
	s_delay_alu instid0(SALU_CYCLE_1)
	s_mov_b32 s3, exec_lo
	v_cmpx_gt_i32_e64 s1, v0
	s_cbranch_execz .LBB104_44
.LBB104_61:
	s_wait_loadcnt 0x0
	v_cmp_eq_f32_e64 s0, s10, v12
	s_delay_alu instid0(VALU_DEP_1) | instskip(SKIP_1) | instid1(VALU_DEP_1)
	v_cndmask_b32_e64 v5, 0, 1, s0
	v_cmp_neq_f32_e64 s0, s10, v12
	v_cndmask_b32_e64 v7, 0, 1, s0
	s_delay_alu instid0(VALU_DEP_1) | instskip(SKIP_1) | instid1(VALU_DEP_2)
	v_dual_cndmask_b32 v5, v7, v5, vcc_lo :: v_dual_add_nc_u32 v7, s2, v0
	v_add_nc_u32_e32 v0, 0x100, v0
	v_and_b32_e32 v5, 1, v5
	global_store_b8 v7, v5, s[4:5]
	s_wait_xcnt 0x0
	s_or_b32 exec_lo, exec_lo, s3
	s_delay_alu instid0(SALU_CYCLE_1)
	s_mov_b32 s3, exec_lo
	v_cmpx_gt_i32_e64 s1, v0
	s_cbranch_execz .LBB104_45
.LBB104_62:
	s_wait_loadcnt 0x0
	v_cmp_eq_f32_e64 s0, s10, v4
	s_delay_alu instid0(VALU_DEP_1) | instskip(SKIP_1) | instid1(VALU_DEP_1)
	v_cndmask_b32_e64 v5, 0, 1, s0
	v_cmp_neq_f32_e64 s0, s10, v4
	v_cndmask_b32_e64 v4, 0, 1, s0
	s_delay_alu instid0(VALU_DEP_1) | instskip(SKIP_1) | instid1(VALU_DEP_2)
	v_dual_cndmask_b32 v4, v4, v5 :: v_dual_add_nc_u32 v5, s2, v0
	v_add_nc_u32_e32 v0, 0x100, v0
	v_and_b32_e32 v4, 1, v4
	global_store_b8 v5, v4, s[4:5]
	s_wait_xcnt 0x0
	s_or_b32 exec_lo, exec_lo, s3
	s_delay_alu instid0(SALU_CYCLE_1)
	s_mov_b32 s3, exec_lo
	v_cmpx_gt_i32_e64 s1, v0
	s_cbranch_execz .LBB104_46
.LBB104_63:
	s_wait_loadcnt 0x0
	v_cmp_eq_f32_e64 s0, s10, v11
	s_delay_alu instid0(VALU_DEP_1) | instskip(SKIP_1) | instid1(VALU_DEP_1)
	v_cndmask_b32_e64 v4, 0, 1, s0
	v_cmp_neq_f32_e64 s0, s10, v11
	v_cndmask_b32_e64 v5, 0, 1, s0
	s_delay_alu instid0(VALU_DEP_1) | instskip(SKIP_2) | instid1(VALU_DEP_3)
	v_cndmask_b32_e32 v4, v5, v4, vcc_lo
	v_add_nc_u32_e32 v5, s2, v0
	v_add_nc_u32_e32 v0, 0x100, v0
	v_and_b32_e32 v4, 1, v4
	global_store_b8 v5, v4, s[4:5]
	s_wait_xcnt 0x0
	s_or_b32 exec_lo, exec_lo, s3
	s_delay_alu instid0(SALU_CYCLE_1)
	s_mov_b32 s3, exec_lo
	v_cmpx_gt_i32_e64 s1, v0
	s_cbranch_execz .LBB104_47
.LBB104_64:
	s_wait_loadcnt 0x0
	v_cmp_eq_f32_e64 s0, s10, v3
	s_delay_alu instid0(VALU_DEP_1) | instskip(SKIP_1) | instid1(VALU_DEP_1)
	v_cndmask_b32_e64 v4, 0, 1, s0
	v_cmp_neq_f32_e64 s0, s10, v3
	v_cndmask_b32_e64 v3, 0, 1, s0
	s_delay_alu instid0(VALU_DEP_1) | instskip(SKIP_2) | instid1(VALU_DEP_3)
	v_cndmask_b32_e32 v3, v3, v4, vcc_lo
	v_add_nc_u32_e32 v4, s2, v0
	v_add_nc_u32_e32 v0, 0x100, v0
	v_and_b32_e32 v3, 1, v3
	global_store_b8 v4, v3, s[4:5]
	s_wait_xcnt 0x0
	s_or_b32 exec_lo, exec_lo, s3
	s_delay_alu instid0(SALU_CYCLE_1)
	s_mov_b32 s3, exec_lo
	v_cmpx_gt_i32_e64 s1, v0
	s_cbranch_execz .LBB104_48
.LBB104_65:
	s_wait_loadcnt 0x0
	v_cmp_eq_f32_e64 s0, s10, v8
	s_delay_alu instid0(VALU_DEP_1) | instskip(SKIP_1) | instid1(VALU_DEP_1)
	v_cndmask_b32_e64 v3, 0, 1, s0
	v_cmp_neq_f32_e64 s0, s10, v8
	v_cndmask_b32_e64 v4, 0, 1, s0
	s_delay_alu instid0(VALU_DEP_1) | instskip(SKIP_1) | instid1(VALU_DEP_2)
	v_dual_cndmask_b32 v3, v4, v3 :: v_dual_add_nc_u32 v4, s2, v0
	v_add_nc_u32_e32 v0, 0x100, v0
	v_and_b32_e32 v3, 1, v3
	global_store_b8 v4, v3, s[4:5]
	s_wait_xcnt 0x0
	s_or_b32 exec_lo, exec_lo, s3
	s_delay_alu instid0(SALU_CYCLE_1)
	s_mov_b32 s3, exec_lo
	v_cmpx_gt_i32_e64 s1, v0
	s_cbranch_execz .LBB104_49
.LBB104_66:
	s_wait_loadcnt 0x0
	v_cmp_eq_f32_e64 s0, s10, v2
	s_delay_alu instid0(VALU_DEP_1) | instskip(SKIP_1) | instid1(VALU_DEP_1)
	v_cndmask_b32_e64 v3, 0, 1, s0
	v_cmp_neq_f32_e64 s0, s10, v2
	v_cndmask_b32_e64 v2, 0, 1, s0
	s_delay_alu instid0(VALU_DEP_1) | instskip(SKIP_1) | instid1(VALU_DEP_2)
	v_dual_cndmask_b32 v2, v2, v3 :: v_dual_add_nc_u32 v3, s2, v0
	v_add_nc_u32_e32 v0, 0x100, v0
	v_and_b32_e32 v2, 1, v2
	global_store_b8 v3, v2, s[4:5]
	s_wait_xcnt 0x0
	s_or_b32 exec_lo, exec_lo, s3
	s_delay_alu instid0(SALU_CYCLE_1)
	s_mov_b32 s3, exec_lo
	v_cmpx_gt_i32_e64 s1, v0
	s_cbranch_execz .LBB104_50
.LBB104_67:
	s_wait_loadcnt 0x0
	v_cmp_eq_f32_e64 s0, s10, v6
	s_delay_alu instid0(VALU_DEP_1) | instskip(SKIP_1) | instid1(VALU_DEP_1)
	v_cndmask_b32_e64 v2, 0, 1, s0
	v_cmp_neq_f32_e64 s0, s10, v6
	v_cndmask_b32_e64 v3, 0, 1, s0
	s_delay_alu instid0(VALU_DEP_1) | instskip(SKIP_1) | instid1(VALU_DEP_2)
	v_dual_cndmask_b32 v2, v3, v2 :: v_dual_add_nc_u32 v3, s2, v0
	v_add_nc_u32_e32 v0, 0x100, v0
	v_and_b32_e32 v2, 1, v2
	global_store_b8 v3, v2, s[4:5]
	s_wait_xcnt 0x0
	s_or_b32 exec_lo, exec_lo, s3
	v_cmp_gt_i32_e64 s0, s1, v0
	s_and_saveexec_b32 s1, s0
	s_cbranch_execnz .LBB104_51
	s_branch .LBB104_52
	.section	.rodata,"a",@progbits
	.p2align	6, 0x0
	.amdhsa_kernel _ZN2at6native29vectorized_elementwise_kernelILi16ENS0_13AUnaryFunctorIffbNS0_12_GLOBAL__N_116CompareEqFunctorIfEEEESt5arrayIPcLm2EEEEviT0_T1_
		.amdhsa_group_segment_fixed_size 0
		.amdhsa_private_segment_fixed_size 0
		.amdhsa_kernarg_size 32
		.amdhsa_user_sgpr_count 2
		.amdhsa_user_sgpr_dispatch_ptr 0
		.amdhsa_user_sgpr_queue_ptr 0
		.amdhsa_user_sgpr_kernarg_segment_ptr 1
		.amdhsa_user_sgpr_dispatch_id 0
		.amdhsa_user_sgpr_kernarg_preload_length 0
		.amdhsa_user_sgpr_kernarg_preload_offset 0
		.amdhsa_user_sgpr_private_segment_size 0
		.amdhsa_wavefront_size32 1
		.amdhsa_uses_dynamic_stack 0
		.amdhsa_enable_private_segment 0
		.amdhsa_system_sgpr_workgroup_id_x 1
		.amdhsa_system_sgpr_workgroup_id_y 0
		.amdhsa_system_sgpr_workgroup_id_z 0
		.amdhsa_system_sgpr_workgroup_info 0
		.amdhsa_system_vgpr_workitem_id 0
		.amdhsa_next_free_vgpr 33
		.amdhsa_next_free_sgpr 14
		.amdhsa_named_barrier_count 0
		.amdhsa_reserve_vcc 1
		.amdhsa_float_round_mode_32 0
		.amdhsa_float_round_mode_16_64 0
		.amdhsa_float_denorm_mode_32 3
		.amdhsa_float_denorm_mode_16_64 3
		.amdhsa_fp16_overflow 0
		.amdhsa_memory_ordered 1
		.amdhsa_forward_progress 1
		.amdhsa_inst_pref_size 30
		.amdhsa_round_robin_scheduling 0
		.amdhsa_exception_fp_ieee_invalid_op 0
		.amdhsa_exception_fp_denorm_src 0
		.amdhsa_exception_fp_ieee_div_zero 0
		.amdhsa_exception_fp_ieee_overflow 0
		.amdhsa_exception_fp_ieee_underflow 0
		.amdhsa_exception_fp_ieee_inexact 0
		.amdhsa_exception_int_div_zero 0
	.end_amdhsa_kernel
	.section	.text._ZN2at6native29vectorized_elementwise_kernelILi16ENS0_13AUnaryFunctorIffbNS0_12_GLOBAL__N_116CompareEqFunctorIfEEEESt5arrayIPcLm2EEEEviT0_T1_,"axG",@progbits,_ZN2at6native29vectorized_elementwise_kernelILi16ENS0_13AUnaryFunctorIffbNS0_12_GLOBAL__N_116CompareEqFunctorIfEEEESt5arrayIPcLm2EEEEviT0_T1_,comdat
.Lfunc_end104:
	.size	_ZN2at6native29vectorized_elementwise_kernelILi16ENS0_13AUnaryFunctorIffbNS0_12_GLOBAL__N_116CompareEqFunctorIfEEEESt5arrayIPcLm2EEEEviT0_T1_, .Lfunc_end104-_ZN2at6native29vectorized_elementwise_kernelILi16ENS0_13AUnaryFunctorIffbNS0_12_GLOBAL__N_116CompareEqFunctorIfEEEESt5arrayIPcLm2EEEEviT0_T1_
                                        ; -- End function
	.set _ZN2at6native29vectorized_elementwise_kernelILi16ENS0_13AUnaryFunctorIffbNS0_12_GLOBAL__N_116CompareEqFunctorIfEEEESt5arrayIPcLm2EEEEviT0_T1_.num_vgpr, 33
	.set _ZN2at6native29vectorized_elementwise_kernelILi16ENS0_13AUnaryFunctorIffbNS0_12_GLOBAL__N_116CompareEqFunctorIfEEEESt5arrayIPcLm2EEEEviT0_T1_.num_agpr, 0
	.set _ZN2at6native29vectorized_elementwise_kernelILi16ENS0_13AUnaryFunctorIffbNS0_12_GLOBAL__N_116CompareEqFunctorIfEEEESt5arrayIPcLm2EEEEviT0_T1_.numbered_sgpr, 14
	.set _ZN2at6native29vectorized_elementwise_kernelILi16ENS0_13AUnaryFunctorIffbNS0_12_GLOBAL__N_116CompareEqFunctorIfEEEESt5arrayIPcLm2EEEEviT0_T1_.num_named_barrier, 0
	.set _ZN2at6native29vectorized_elementwise_kernelILi16ENS0_13AUnaryFunctorIffbNS0_12_GLOBAL__N_116CompareEqFunctorIfEEEESt5arrayIPcLm2EEEEviT0_T1_.private_seg_size, 0
	.set _ZN2at6native29vectorized_elementwise_kernelILi16ENS0_13AUnaryFunctorIffbNS0_12_GLOBAL__N_116CompareEqFunctorIfEEEESt5arrayIPcLm2EEEEviT0_T1_.uses_vcc, 1
	.set _ZN2at6native29vectorized_elementwise_kernelILi16ENS0_13AUnaryFunctorIffbNS0_12_GLOBAL__N_116CompareEqFunctorIfEEEESt5arrayIPcLm2EEEEviT0_T1_.uses_flat_scratch, 0
	.set _ZN2at6native29vectorized_elementwise_kernelILi16ENS0_13AUnaryFunctorIffbNS0_12_GLOBAL__N_116CompareEqFunctorIfEEEESt5arrayIPcLm2EEEEviT0_T1_.has_dyn_sized_stack, 0
	.set _ZN2at6native29vectorized_elementwise_kernelILi16ENS0_13AUnaryFunctorIffbNS0_12_GLOBAL__N_116CompareEqFunctorIfEEEESt5arrayIPcLm2EEEEviT0_T1_.has_recursion, 0
	.set _ZN2at6native29vectorized_elementwise_kernelILi16ENS0_13AUnaryFunctorIffbNS0_12_GLOBAL__N_116CompareEqFunctorIfEEEESt5arrayIPcLm2EEEEviT0_T1_.has_indirect_call, 0
	.section	.AMDGPU.csdata,"",@progbits
; Kernel info:
; codeLenInByte = 3840
; TotalNumSgprs: 16
; NumVgprs: 33
; ScratchSize: 0
; MemoryBound: 0
; FloatMode: 240
; IeeeMode: 1
; LDSByteSize: 0 bytes/workgroup (compile time only)
; SGPRBlocks: 0
; VGPRBlocks: 2
; NumSGPRsForWavesPerEU: 16
; NumVGPRsForWavesPerEU: 33
; NamedBarCnt: 0
; Occupancy: 16
; WaveLimiterHint : 0
; COMPUTE_PGM_RSRC2:SCRATCH_EN: 0
; COMPUTE_PGM_RSRC2:USER_SGPR: 2
; COMPUTE_PGM_RSRC2:TRAP_HANDLER: 0
; COMPUTE_PGM_RSRC2:TGID_X_EN: 1
; COMPUTE_PGM_RSRC2:TGID_Y_EN: 0
; COMPUTE_PGM_RSRC2:TGID_Z_EN: 0
; COMPUTE_PGM_RSRC2:TIDIG_COMP_CNT: 0
	.section	.text._ZN2at6native29vectorized_elementwise_kernelILi8ENS0_13AUnaryFunctorIffbNS0_12_GLOBAL__N_116CompareEqFunctorIfEEEESt5arrayIPcLm2EEEEviT0_T1_,"axG",@progbits,_ZN2at6native29vectorized_elementwise_kernelILi8ENS0_13AUnaryFunctorIffbNS0_12_GLOBAL__N_116CompareEqFunctorIfEEEESt5arrayIPcLm2EEEEviT0_T1_,comdat
	.globl	_ZN2at6native29vectorized_elementwise_kernelILi8ENS0_13AUnaryFunctorIffbNS0_12_GLOBAL__N_116CompareEqFunctorIfEEEESt5arrayIPcLm2EEEEviT0_T1_ ; -- Begin function _ZN2at6native29vectorized_elementwise_kernelILi8ENS0_13AUnaryFunctorIffbNS0_12_GLOBAL__N_116CompareEqFunctorIfEEEESt5arrayIPcLm2EEEEviT0_T1_
	.p2align	8
	.type	_ZN2at6native29vectorized_elementwise_kernelILi8ENS0_13AUnaryFunctorIffbNS0_12_GLOBAL__N_116CompareEqFunctorIfEEEESt5arrayIPcLm2EEEEviT0_T1_,@function
_ZN2at6native29vectorized_elementwise_kernelILi8ENS0_13AUnaryFunctorIffbNS0_12_GLOBAL__N_116CompareEqFunctorIfEEEESt5arrayIPcLm2EEEEviT0_T1_: ; @_ZN2at6native29vectorized_elementwise_kernelILi8ENS0_13AUnaryFunctorIffbNS0_12_GLOBAL__N_116CompareEqFunctorIfEEEESt5arrayIPcLm2EEEEviT0_T1_
; %bb.0:
	s_clause 0x1
	s_load_b96 s[8:10], s[0:1], 0x0
	s_load_b128 s[4:7], s[0:1], 0x10
	s_wait_xcnt 0x0
	s_bfe_u32 s0, ttmp6, 0x4000c
	s_and_b32 s1, ttmp6, 15
	s_add_co_i32 s0, s0, 1
	s_getreg_b32 s2, hwreg(HW_REG_IB_STS2, 6, 4)
	s_mul_i32 s0, ttmp9, s0
	s_delay_alu instid0(SALU_CYCLE_1) | instskip(SKIP_2) | instid1(SALU_CYCLE_1)
	s_add_co_i32 s1, s1, s0
	s_cmp_eq_u32 s2, 0
	s_cselect_b32 s0, ttmp9, s1
	s_lshl_b32 s2, s0, 12
	s_mov_b32 s0, -1
	s_wait_kmcnt 0x0
	s_sub_co_i32 s1, s8, s2
	s_delay_alu instid0(SALU_CYCLE_1)
	s_cmp_gt_i32 s1, 0xfff
	s_cbranch_scc0 .LBB105_2
; %bb.1:
	s_ashr_i32 s3, s2, 31
	v_lshlrev_b32_e32 v1, 5, v0
	s_lshl_b64 s[12:13], s[2:3], 2
	s_cmp_eq_u32 s9, 0
	s_add_nc_u64 s[12:13], s[6:7], s[12:13]
	s_mov_b32 s0, 0
	s_clause 0x3
	global_load_b128 v[2:5], v1, s[12:13]
	global_load_b128 v[6:9], v1, s[12:13] offset:16
	global_load_b128 v[10:13], v1, s[12:13] offset:8192
	;; [unrolled: 1-line block ×3, first 2 shown]
	s_wait_xcnt 0x0
	v_or3_b32 v1, 0, 0, 0
	s_add_nc_u64 s[12:13], s[4:5], s[2:3]
	s_wait_loadcnt 0x3
	v_cmp_eq_f32_e32 vcc_lo, s10, v2
	v_cndmask_b32_e64 v18, 0, 1, vcc_lo
	v_cmp_neq_f32_e32 vcc_lo, s10, v2
	v_cndmask_b32_e64 v2, 0, 1, vcc_lo
	v_cmp_eq_f32_e32 vcc_lo, s10, v3
	v_cndmask_b32_e64 v19, 0, 1, vcc_lo
	v_cmp_neq_f32_e32 vcc_lo, s10, v3
	v_cndmask_b32_e64 v3, 0, 1, vcc_lo
	v_cmp_eq_f32_e32 vcc_lo, s10, v4
	v_cndmask_b32_e64 v20, 0, 1, vcc_lo
	v_cmp_neq_f32_e32 vcc_lo, s10, v4
	v_cndmask_b32_e64 v4, 0, 1, vcc_lo
	v_cmp_eq_f32_e32 vcc_lo, s10, v5
	v_cndmask_b32_e64 v21, 0, 1, vcc_lo
	v_cmp_neq_f32_e32 vcc_lo, s10, v5
	v_cndmask_b32_e64 v5, 0, 1, vcc_lo
	s_wait_loadcnt 0x2
	v_cmp_eq_f32_e32 vcc_lo, s10, v6
	v_cndmask_b32_e64 v22, 0, 1, vcc_lo
	v_cmp_neq_f32_e32 vcc_lo, s10, v6
	v_cndmask_b32_e64 v6, 0, 1, vcc_lo
	v_cmp_eq_f32_e32 vcc_lo, s10, v7
	v_cndmask_b32_e64 v23, 0, 1, vcc_lo
	v_cmp_neq_f32_e32 vcc_lo, s10, v7
	v_cndmask_b32_e64 v7, 0, 1, vcc_lo
	v_cmp_eq_f32_e32 vcc_lo, s10, v8
	v_cndmask_b32_e64 v24, 0, 1, vcc_lo
	v_cmp_neq_f32_e32 vcc_lo, s10, v8
	v_cndmask_b32_e64 v8, 0, 1, vcc_lo
	v_cmp_eq_f32_e32 vcc_lo, s10, v9
	v_cndmask_b32_e64 v25, 0, 1, vcc_lo
	v_cmp_neq_f32_e32 vcc_lo, s10, v9
	v_cndmask_b32_e64 v9, 0, 1, vcc_lo
	;; [unrolled: 17-line block ×4, first 2 shown]
	s_cselect_b32 vcc_lo, -1, 0
	v_dual_cndmask_b32 v3, v3, v19 :: v_dual_cndmask_b32 v4, v4, v20
	v_dual_cndmask_b32 v2, v2, v18 :: v_dual_cndmask_b32 v5, v5, v21
	s_delay_alu instid0(VALU_DEP_2)
	v_dual_cndmask_b32 v6, v6, v22, vcc_lo :: v_dual_bitop2_b32 v3, 1, v3 bitop3:0x40
	v_dual_cndmask_b32 v7, v7, v23 :: v_dual_cndmask_b32 v8, v8, v24
	v_dual_cndmask_b32 v9, v9, v25 :: v_dual_cndmask_b32 v10, v10, v26
	;; [unrolled: 1-line block ×5, first 2 shown]
	v_dual_cndmask_b32 v17, v17, v33, vcc_lo :: v_dual_bitop2_b32 v2, 1, v2 bitop3:0x40
	v_and_b32_e32 v4, 1, v4
	v_cmp_eq_u32_e32 vcc_lo, 1, v3
	v_and_b32_e32 v5, 1, v5
	v_and_b32_e32 v6, 1, v6
	v_and_b32_e32 v7, 1, v7
	v_and_b32_e32 v8, 1, v8
	v_cndmask_b32_e64 v3, 0, 0x100, vcc_lo
	v_cmp_eq_u32_e32 vcc_lo, 1, v4
	v_and_b32_e32 v9, 1, v9
	v_and_b32_e32 v11, 1, v11
	v_and_b32_e32 v12, 1, v12
	v_and_b32_e32 v13, 1, v13
	v_cndmask_b32_e64 v4, 0, 0x10000, vcc_lo
	;; [unrolled: 6-line block ×3, first 2 shown]
	v_cmp_eq_u32_e32 vcc_lo, 1, v6
	v_or_b32_e32 v2, v3, v2
	v_and_b32_e32 v17, 1, v17
	v_cndmask_b32_e64 v6, 0, 1, vcc_lo
	v_cmp_eq_u32_e32 vcc_lo, 1, v7
	s_delay_alu instid0(VALU_DEP_4) | instskip(SKIP_2) | instid1(VALU_DEP_3)
	v_or3_b32 v2, v2, v4, v5
	v_cndmask_b32_e64 v7, 0, 0x100, vcc_lo
	v_cmp_eq_u32_e32 vcc_lo, 1, v8
	v_or3_b32 v2, v2, 0, 0
	s_delay_alu instid0(VALU_DEP_3) | instskip(SKIP_2) | instid1(VALU_DEP_4)
	v_or3_b32 v5, v1, v6, v7
	v_cndmask_b32_e64 v8, 0, 0x10000, vcc_lo
	v_cmp_eq_u32_e32 vcc_lo, 1, v9
	v_or3_b32 v2, v2, 0, 0
	v_cndmask_b32_e64 v9, 0, 0x1000000, vcc_lo
	v_cmp_eq_u32_e32 vcc_lo, 1, v11
	v_cndmask_b32_e64 v11, 0, 0x100, vcc_lo
	v_cmp_eq_u32_e32 vcc_lo, 1, v12
	s_delay_alu instid0(VALU_DEP_2) | instskip(SKIP_4) | instid1(VALU_DEP_2)
	v_or_b32_e32 v3, v11, v10
	v_cndmask_b32_e64 v12, 0, 0x10000, vcc_lo
	v_cmp_eq_u32_e32 vcc_lo, 1, v13
	v_cndmask_b32_e64 v13, 0, 0x1000000, vcc_lo
	v_cmp_eq_u32_e32 vcc_lo, 1, v14
	v_or3_b32 v3, v3, v12, v13
	v_cndmask_b32_e64 v14, 0, 1, vcc_lo
	v_cmp_eq_u32_e32 vcc_lo, 1, v15
	s_delay_alu instid0(VALU_DEP_3) | instskip(SKIP_3) | instid1(VALU_DEP_2)
	v_or3_b32 v6, v3, 0, 0
	v_or3_b32 v3, v5, v8, v9
	v_cndmask_b32_e64 v10, 0, 0x100, vcc_lo
	v_cmp_eq_u32_e32 vcc_lo, 1, v16
	v_or3_b32 v1, v1, v14, v10
	v_cndmask_b32_e64 v11, 0, 0x10000, vcc_lo
	v_cmp_eq_u32_e32 vcc_lo, 1, v17
	v_cndmask_b32_e64 v4, 0, 0x1000000, vcc_lo
	s_delay_alu instid0(VALU_DEP_1)
	v_or3_b32 v5, v1, v11, v4
	v_or3_b32 v4, v6, 0, 0
	s_clause 0x1
	global_store_b64 v0, v[2:3], s[12:13] scale_offset
	global_store_b64 v0, v[4:5], s[12:13] offset:2048 scale_offset
.LBB105_2:
	s_and_not1_b32 vcc_lo, exec_lo, s0
	s_cbranch_vccnz .LBB105_52
; %bb.3:
	v_cmp_gt_i32_e64 s0, s1, v0
	v_dual_mov_b32 v10, 0 :: v_dual_bitop2_b32 v14, s2, v0 bitop3:0x54
	v_or_b32_e32 v15, 0x100, v0
	v_dual_mov_b32 v18, 0 :: v_dual_mov_b32 v19, v0
	s_wait_xcnt 0x0
	s_and_saveexec_b32 s3, s0
	s_cbranch_execz .LBB105_5
; %bb.4:
	global_load_b32 v18, v14, s[6:7] scale_offset
	v_or_b32_e32 v19, 0x100, v0
.LBB105_5:
	s_wait_xcnt 0x0
	s_or_b32 exec_lo, exec_lo, s3
	s_delay_alu instid0(SALU_CYCLE_1) | instskip(NEXT) | instid1(VALU_DEP_1)
	s_mov_b32 s3, exec_lo
	v_cmpx_gt_i32_e64 s1, v19
	s_cbranch_execz .LBB105_7
; %bb.6:
	v_add_nc_u32_e32 v1, s2, v19
	v_add_nc_u32_e32 v19, 0x100, v19
	global_load_b32 v10, v1, s[6:7] scale_offset
.LBB105_7:
	s_wait_xcnt 0x0
	s_or_b32 exec_lo, exec_lo, s3
	v_dual_mov_b32 v9, 0 :: v_dual_mov_b32 v17, 0
	s_mov_b32 s3, exec_lo
	v_cmpx_gt_i32_e64 s1, v19
	s_cbranch_execz .LBB105_9
; %bb.8:
	v_add_nc_u32_e32 v1, s2, v19
	v_add_nc_u32_e32 v19, 0x100, v19
	global_load_b32 v17, v1, s[6:7] scale_offset
.LBB105_9:
	s_wait_xcnt 0x0
	s_or_b32 exec_lo, exec_lo, s3
	s_delay_alu instid0(SALU_CYCLE_1)
	s_mov_b32 s3, exec_lo
	v_cmpx_gt_i32_e64 s1, v19
	s_cbranch_execz .LBB105_11
; %bb.10:
	v_add_nc_u32_e32 v1, s2, v19
	v_add_nc_u32_e32 v19, 0x100, v19
	global_load_b32 v9, v1, s[6:7] scale_offset
.LBB105_11:
	s_wait_xcnt 0x0
	s_or_b32 exec_lo, exec_lo, s3
	v_dual_mov_b32 v7, 0 :: v_dual_mov_b32 v16, 0
	s_mov_b32 s3, exec_lo
	v_cmpx_gt_i32_e64 s1, v19
	s_cbranch_execz .LBB105_13
; %bb.12:
	v_add_nc_u32_e32 v1, s2, v19
	v_add_nc_u32_e32 v19, 0x100, v19
	global_load_b32 v16, v1, s[6:7] scale_offset
.LBB105_13:
	s_wait_xcnt 0x0
	s_or_b32 exec_lo, exec_lo, s3
	s_delay_alu instid0(SALU_CYCLE_1)
	;; [unrolled: 22-line block ×7, first 2 shown]
	s_mov_b32 s3, exec_lo
	v_cmpx_gt_i32_e64 s1, v19
	s_cbranch_execz .LBB105_35
; %bb.34:
	v_add_nc_u32_e32 v1, s2, v19
	global_load_b32 v1, v1, s[6:7] scale_offset
.LBB105_35:
	s_wait_xcnt 0x0
	s_or_b32 exec_lo, exec_lo, s3
	s_cmp_eq_u32 s9, 0
	s_cselect_b32 vcc_lo, -1, 0
	s_and_saveexec_b32 s3, s0
	s_cbranch_execnz .LBB105_53
; %bb.36:
	s_or_b32 exec_lo, exec_lo, s3
	s_delay_alu instid0(SALU_CYCLE_1)
	s_mov_b32 s3, exec_lo
	v_cmpx_gt_i32_e64 s1, v0
	s_cbranch_execnz .LBB105_54
.LBB105_37:
	s_or_b32 exec_lo, exec_lo, s3
	s_delay_alu instid0(SALU_CYCLE_1)
	s_mov_b32 s3, exec_lo
	v_cmpx_gt_i32_e64 s1, v0
	s_cbranch_execnz .LBB105_55
.LBB105_38:
	s_or_b32 exec_lo, exec_lo, s3
	s_delay_alu instid0(SALU_CYCLE_1)
	s_mov_b32 s3, exec_lo
	v_cmpx_gt_i32_e64 s1, v0
	s_cbranch_execnz .LBB105_56
.LBB105_39:
	s_or_b32 exec_lo, exec_lo, s3
	s_delay_alu instid0(SALU_CYCLE_1)
	s_mov_b32 s3, exec_lo
	v_cmpx_gt_i32_e64 s1, v0
	s_cbranch_execnz .LBB105_57
.LBB105_40:
	s_or_b32 exec_lo, exec_lo, s3
	s_delay_alu instid0(SALU_CYCLE_1)
	s_mov_b32 s3, exec_lo
	v_cmpx_gt_i32_e64 s1, v0
	s_cbranch_execnz .LBB105_58
.LBB105_41:
	s_or_b32 exec_lo, exec_lo, s3
	s_delay_alu instid0(SALU_CYCLE_1)
	s_mov_b32 s3, exec_lo
	v_cmpx_gt_i32_e64 s1, v0
	s_cbranch_execnz .LBB105_59
.LBB105_42:
	s_or_b32 exec_lo, exec_lo, s3
	s_delay_alu instid0(SALU_CYCLE_1)
	s_mov_b32 s3, exec_lo
	v_cmpx_gt_i32_e64 s1, v0
	s_cbranch_execnz .LBB105_60
.LBB105_43:
	s_or_b32 exec_lo, exec_lo, s3
	s_delay_alu instid0(SALU_CYCLE_1)
	s_mov_b32 s3, exec_lo
	v_cmpx_gt_i32_e64 s1, v0
	s_cbranch_execnz .LBB105_61
.LBB105_44:
	s_or_b32 exec_lo, exec_lo, s3
	s_delay_alu instid0(SALU_CYCLE_1)
	s_mov_b32 s3, exec_lo
	v_cmpx_gt_i32_e64 s1, v0
	s_cbranch_execnz .LBB105_62
.LBB105_45:
	s_or_b32 exec_lo, exec_lo, s3
	s_delay_alu instid0(SALU_CYCLE_1)
	s_mov_b32 s3, exec_lo
	v_cmpx_gt_i32_e64 s1, v0
	s_cbranch_execnz .LBB105_63
.LBB105_46:
	s_or_b32 exec_lo, exec_lo, s3
	s_delay_alu instid0(SALU_CYCLE_1)
	s_mov_b32 s3, exec_lo
	v_cmpx_gt_i32_e64 s1, v0
	s_cbranch_execnz .LBB105_64
.LBB105_47:
	s_or_b32 exec_lo, exec_lo, s3
	s_delay_alu instid0(SALU_CYCLE_1)
	s_mov_b32 s3, exec_lo
	v_cmpx_gt_i32_e64 s1, v0
	s_cbranch_execnz .LBB105_65
.LBB105_48:
	s_or_b32 exec_lo, exec_lo, s3
	s_delay_alu instid0(SALU_CYCLE_1)
	s_mov_b32 s3, exec_lo
	v_cmpx_gt_i32_e64 s1, v0
	s_cbranch_execnz .LBB105_66
.LBB105_49:
	s_or_b32 exec_lo, exec_lo, s3
	s_delay_alu instid0(SALU_CYCLE_1)
	s_mov_b32 s3, exec_lo
	v_cmpx_gt_i32_e64 s1, v0
	s_cbranch_execnz .LBB105_67
.LBB105_50:
	s_or_b32 exec_lo, exec_lo, s3
	v_cmp_gt_i32_e64 s0, s1, v0
	s_and_saveexec_b32 s1, s0
	s_cbranch_execz .LBB105_52
.LBB105_51:
	s_wait_loadcnt 0x0
	v_cmp_eq_f32_e64 s0, s10, v1
	v_add_nc_u32_e32 v0, s2, v0
	s_delay_alu instid0(VALU_DEP_2) | instskip(SKIP_1) | instid1(VALU_DEP_1)
	v_cndmask_b32_e64 v2, 0, 1, s0
	v_cmp_neq_f32_e64 s0, s10, v1
	v_cndmask_b32_e64 v1, 0, 1, s0
	s_delay_alu instid0(VALU_DEP_1) | instskip(NEXT) | instid1(VALU_DEP_1)
	v_cndmask_b32_e32 v1, v1, v2, vcc_lo
	v_and_b32_e32 v1, 1, v1
	global_store_b8 v0, v1, s[4:5]
.LBB105_52:
	s_endpgm
.LBB105_53:
	s_wait_loadcnt 0x0
	v_cmp_eq_f32_e64 s0, s10, v18
	s_delay_alu instid0(VALU_DEP_1) | instskip(SKIP_1) | instid1(VALU_DEP_1)
	v_cndmask_b32_e64 v0, 0, 1, s0
	v_cmp_neq_f32_e64 s0, s10, v18
	v_cndmask_b32_e64 v18, 0, 1, s0
	s_delay_alu instid0(VALU_DEP_1) | instskip(NEXT) | instid1(VALU_DEP_1)
	v_cndmask_b32_e32 v0, v18, v0, vcc_lo
	v_dual_mov_b32 v0, v15 :: v_dual_bitop2_b32 v18, 1, v0 bitop3:0x40
	global_store_b8 v14, v18, s[4:5]
	s_wait_xcnt 0x0
	s_or_b32 exec_lo, exec_lo, s3
	s_delay_alu instid0(SALU_CYCLE_1)
	s_mov_b32 s3, exec_lo
	v_cmpx_gt_i32_e64 s1, v0
	s_cbranch_execz .LBB105_37
.LBB105_54:
	s_wait_loadcnt 0x0
	v_cmp_eq_f32_e64 s0, s10, v10
	s_delay_alu instid0(VALU_DEP_1) | instskip(SKIP_1) | instid1(VALU_DEP_1)
	v_cndmask_b32_e64 v14, 0, 1, s0
	v_cmp_neq_f32_e64 s0, s10, v10
	v_cndmask_b32_e64 v10, 0, 1, s0
	s_delay_alu instid0(VALU_DEP_1) | instskip(SKIP_1) | instid1(VALU_DEP_2)
	v_dual_cndmask_b32 v10, v10, v14, vcc_lo :: v_dual_add_nc_u32 v14, s2, v0
	v_add_nc_u32_e32 v0, 0x100, v0
	v_and_b32_e32 v10, 1, v10
	global_store_b8 v14, v10, s[4:5]
	s_wait_xcnt 0x0
	s_or_b32 exec_lo, exec_lo, s3
	s_delay_alu instid0(SALU_CYCLE_1)
	s_mov_b32 s3, exec_lo
	v_cmpx_gt_i32_e64 s1, v0
	s_cbranch_execz .LBB105_38
.LBB105_55:
	s_wait_loadcnt 0x0
	v_cmp_eq_f32_e64 s0, s10, v17
	s_delay_alu instid0(VALU_DEP_1) | instskip(SKIP_1) | instid1(VALU_DEP_1)
	v_cndmask_b32_e64 v10, 0, 1, s0
	v_cmp_neq_f32_e64 s0, s10, v17
	v_cndmask_b32_e64 v14, 0, 1, s0
	s_delay_alu instid0(VALU_DEP_1) | instskip(SKIP_1) | instid1(VALU_DEP_2)
	v_dual_cndmask_b32 v10, v14, v10, vcc_lo :: v_dual_add_nc_u32 v14, s2, v0
	v_add_nc_u32_e32 v0, 0x100, v0
	v_and_b32_e32 v10, 1, v10
	global_store_b8 v14, v10, s[4:5]
	s_wait_xcnt 0x0
	s_or_b32 exec_lo, exec_lo, s3
	s_delay_alu instid0(SALU_CYCLE_1)
	s_mov_b32 s3, exec_lo
	v_cmpx_gt_i32_e64 s1, v0
	s_cbranch_execz .LBB105_39
.LBB105_56:
	s_wait_loadcnt 0x0
	v_cmp_eq_f32_e64 s0, s10, v9
	s_delay_alu instid0(VALU_DEP_1) | instskip(SKIP_1) | instid1(VALU_DEP_1)
	v_cndmask_b32_e64 v10, 0, 1, s0
	v_cmp_neq_f32_e64 s0, s10, v9
	v_cndmask_b32_e64 v9, 0, 1, s0
	s_delay_alu instid0(VALU_DEP_1) | instskip(SKIP_1) | instid1(VALU_DEP_2)
	v_dual_cndmask_b32 v9, v9, v10 :: v_dual_add_nc_u32 v10, s2, v0
	v_add_nc_u32_e32 v0, 0x100, v0
	v_and_b32_e32 v9, 1, v9
	global_store_b8 v10, v9, s[4:5]
	s_wait_xcnt 0x0
	s_or_b32 exec_lo, exec_lo, s3
	s_delay_alu instid0(SALU_CYCLE_1)
	s_mov_b32 s3, exec_lo
	v_cmpx_gt_i32_e64 s1, v0
	s_cbranch_execz .LBB105_40
.LBB105_57:
	s_wait_loadcnt 0x0
	v_cmp_eq_f32_e64 s0, s10, v16
	s_delay_alu instid0(VALU_DEP_1) | instskip(SKIP_1) | instid1(VALU_DEP_1)
	v_cndmask_b32_e64 v9, 0, 1, s0
	v_cmp_neq_f32_e64 s0, s10, v16
	v_cndmask_b32_e64 v10, 0, 1, s0
	s_delay_alu instid0(VALU_DEP_1) | instskip(SKIP_1) | instid1(VALU_DEP_2)
	v_dual_cndmask_b32 v9, v10, v9 :: v_dual_add_nc_u32 v10, s2, v0
	v_add_nc_u32_e32 v0, 0x100, v0
	v_and_b32_e32 v9, 1, v9
	global_store_b8 v10, v9, s[4:5]
	s_wait_xcnt 0x0
	s_or_b32 exec_lo, exec_lo, s3
	s_delay_alu instid0(SALU_CYCLE_1)
	s_mov_b32 s3, exec_lo
	v_cmpx_gt_i32_e64 s1, v0
	s_cbranch_execz .LBB105_41
.LBB105_58:
	s_wait_loadcnt 0x0
	v_cmp_eq_f32_e64 s0, s10, v7
	s_delay_alu instid0(VALU_DEP_1) | instskip(SKIP_1) | instid1(VALU_DEP_1)
	v_cndmask_b32_e64 v9, 0, 1, s0
	v_cmp_neq_f32_e64 s0, s10, v7
	v_cndmask_b32_e64 v7, 0, 1, s0
	s_delay_alu instid0(VALU_DEP_1) | instskip(SKIP_1) | instid1(VALU_DEP_2)
	v_dual_cndmask_b32 v7, v7, v9, vcc_lo :: v_dual_add_nc_u32 v9, s2, v0
	v_add_nc_u32_e32 v0, 0x100, v0
	v_and_b32_e32 v7, 1, v7
	global_store_b8 v9, v7, s[4:5]
	s_wait_xcnt 0x0
	s_or_b32 exec_lo, exec_lo, s3
	s_delay_alu instid0(SALU_CYCLE_1)
	s_mov_b32 s3, exec_lo
	v_cmpx_gt_i32_e64 s1, v0
	s_cbranch_execz .LBB105_42
.LBB105_59:
	s_wait_loadcnt 0x0
	v_cmp_eq_f32_e64 s0, s10, v13
	s_delay_alu instid0(VALU_DEP_1) | instskip(SKIP_1) | instid1(VALU_DEP_1)
	v_cndmask_b32_e64 v7, 0, 1, s0
	v_cmp_neq_f32_e64 s0, s10, v13
	v_cndmask_b32_e64 v9, 0, 1, s0
	s_delay_alu instid0(VALU_DEP_1) | instskip(SKIP_1) | instid1(VALU_DEP_2)
	v_dual_cndmask_b32 v7, v9, v7, vcc_lo :: v_dual_add_nc_u32 v9, s2, v0
	v_add_nc_u32_e32 v0, 0x100, v0
	v_and_b32_e32 v7, 1, v7
	global_store_b8 v9, v7, s[4:5]
	s_wait_xcnt 0x0
	s_or_b32 exec_lo, exec_lo, s3
	s_delay_alu instid0(SALU_CYCLE_1)
	s_mov_b32 s3, exec_lo
	v_cmpx_gt_i32_e64 s1, v0
	s_cbranch_execz .LBB105_43
.LBB105_60:
	s_wait_loadcnt 0x0
	v_cmp_eq_f32_e64 s0, s10, v5
	s_delay_alu instid0(VALU_DEP_1) | instskip(SKIP_1) | instid1(VALU_DEP_1)
	v_cndmask_b32_e64 v7, 0, 1, s0
	v_cmp_neq_f32_e64 s0, s10, v5
	v_cndmask_b32_e64 v5, 0, 1, s0
	s_delay_alu instid0(VALU_DEP_1) | instskip(SKIP_1) | instid1(VALU_DEP_2)
	v_dual_cndmask_b32 v5, v5, v7, vcc_lo :: v_dual_add_nc_u32 v7, s2, v0
	v_add_nc_u32_e32 v0, 0x100, v0
	v_and_b32_e32 v5, 1, v5
	global_store_b8 v7, v5, s[4:5]
	s_wait_xcnt 0x0
	s_or_b32 exec_lo, exec_lo, s3
	s_delay_alu instid0(SALU_CYCLE_1)
	s_mov_b32 s3, exec_lo
	v_cmpx_gt_i32_e64 s1, v0
	s_cbranch_execz .LBB105_44
.LBB105_61:
	s_wait_loadcnt 0x0
	v_cmp_eq_f32_e64 s0, s10, v12
	s_delay_alu instid0(VALU_DEP_1) | instskip(SKIP_1) | instid1(VALU_DEP_1)
	v_cndmask_b32_e64 v5, 0, 1, s0
	v_cmp_neq_f32_e64 s0, s10, v12
	v_cndmask_b32_e64 v7, 0, 1, s0
	s_delay_alu instid0(VALU_DEP_1) | instskip(SKIP_1) | instid1(VALU_DEP_2)
	v_dual_cndmask_b32 v5, v7, v5, vcc_lo :: v_dual_add_nc_u32 v7, s2, v0
	v_add_nc_u32_e32 v0, 0x100, v0
	v_and_b32_e32 v5, 1, v5
	global_store_b8 v7, v5, s[4:5]
	s_wait_xcnt 0x0
	s_or_b32 exec_lo, exec_lo, s3
	s_delay_alu instid0(SALU_CYCLE_1)
	s_mov_b32 s3, exec_lo
	v_cmpx_gt_i32_e64 s1, v0
	s_cbranch_execz .LBB105_45
.LBB105_62:
	s_wait_loadcnt 0x0
	v_cmp_eq_f32_e64 s0, s10, v4
	s_delay_alu instid0(VALU_DEP_1) | instskip(SKIP_1) | instid1(VALU_DEP_1)
	v_cndmask_b32_e64 v5, 0, 1, s0
	v_cmp_neq_f32_e64 s0, s10, v4
	v_cndmask_b32_e64 v4, 0, 1, s0
	s_delay_alu instid0(VALU_DEP_1) | instskip(SKIP_1) | instid1(VALU_DEP_2)
	v_dual_cndmask_b32 v4, v4, v5 :: v_dual_add_nc_u32 v5, s2, v0
	v_add_nc_u32_e32 v0, 0x100, v0
	v_and_b32_e32 v4, 1, v4
	global_store_b8 v5, v4, s[4:5]
	s_wait_xcnt 0x0
	s_or_b32 exec_lo, exec_lo, s3
	s_delay_alu instid0(SALU_CYCLE_1)
	s_mov_b32 s3, exec_lo
	v_cmpx_gt_i32_e64 s1, v0
	s_cbranch_execz .LBB105_46
.LBB105_63:
	s_wait_loadcnt 0x0
	v_cmp_eq_f32_e64 s0, s10, v11
	s_delay_alu instid0(VALU_DEP_1) | instskip(SKIP_1) | instid1(VALU_DEP_1)
	v_cndmask_b32_e64 v4, 0, 1, s0
	v_cmp_neq_f32_e64 s0, s10, v11
	v_cndmask_b32_e64 v5, 0, 1, s0
	s_delay_alu instid0(VALU_DEP_1) | instskip(SKIP_2) | instid1(VALU_DEP_3)
	v_cndmask_b32_e32 v4, v5, v4, vcc_lo
	v_add_nc_u32_e32 v5, s2, v0
	v_add_nc_u32_e32 v0, 0x100, v0
	v_and_b32_e32 v4, 1, v4
	global_store_b8 v5, v4, s[4:5]
	s_wait_xcnt 0x0
	s_or_b32 exec_lo, exec_lo, s3
	s_delay_alu instid0(SALU_CYCLE_1)
	s_mov_b32 s3, exec_lo
	v_cmpx_gt_i32_e64 s1, v0
	s_cbranch_execz .LBB105_47
.LBB105_64:
	s_wait_loadcnt 0x0
	v_cmp_eq_f32_e64 s0, s10, v3
	s_delay_alu instid0(VALU_DEP_1) | instskip(SKIP_1) | instid1(VALU_DEP_1)
	v_cndmask_b32_e64 v4, 0, 1, s0
	v_cmp_neq_f32_e64 s0, s10, v3
	v_cndmask_b32_e64 v3, 0, 1, s0
	s_delay_alu instid0(VALU_DEP_1) | instskip(SKIP_2) | instid1(VALU_DEP_3)
	v_cndmask_b32_e32 v3, v3, v4, vcc_lo
	v_add_nc_u32_e32 v4, s2, v0
	v_add_nc_u32_e32 v0, 0x100, v0
	v_and_b32_e32 v3, 1, v3
	global_store_b8 v4, v3, s[4:5]
	s_wait_xcnt 0x0
	s_or_b32 exec_lo, exec_lo, s3
	s_delay_alu instid0(SALU_CYCLE_1)
	s_mov_b32 s3, exec_lo
	v_cmpx_gt_i32_e64 s1, v0
	s_cbranch_execz .LBB105_48
.LBB105_65:
	s_wait_loadcnt 0x0
	v_cmp_eq_f32_e64 s0, s10, v8
	s_delay_alu instid0(VALU_DEP_1) | instskip(SKIP_1) | instid1(VALU_DEP_1)
	v_cndmask_b32_e64 v3, 0, 1, s0
	v_cmp_neq_f32_e64 s0, s10, v8
	v_cndmask_b32_e64 v4, 0, 1, s0
	s_delay_alu instid0(VALU_DEP_1) | instskip(SKIP_1) | instid1(VALU_DEP_2)
	v_dual_cndmask_b32 v3, v4, v3 :: v_dual_add_nc_u32 v4, s2, v0
	v_add_nc_u32_e32 v0, 0x100, v0
	v_and_b32_e32 v3, 1, v3
	global_store_b8 v4, v3, s[4:5]
	s_wait_xcnt 0x0
	s_or_b32 exec_lo, exec_lo, s3
	s_delay_alu instid0(SALU_CYCLE_1)
	s_mov_b32 s3, exec_lo
	v_cmpx_gt_i32_e64 s1, v0
	s_cbranch_execz .LBB105_49
.LBB105_66:
	s_wait_loadcnt 0x0
	v_cmp_eq_f32_e64 s0, s10, v2
	s_delay_alu instid0(VALU_DEP_1) | instskip(SKIP_1) | instid1(VALU_DEP_1)
	v_cndmask_b32_e64 v3, 0, 1, s0
	v_cmp_neq_f32_e64 s0, s10, v2
	v_cndmask_b32_e64 v2, 0, 1, s0
	s_delay_alu instid0(VALU_DEP_1) | instskip(SKIP_1) | instid1(VALU_DEP_2)
	v_dual_cndmask_b32 v2, v2, v3 :: v_dual_add_nc_u32 v3, s2, v0
	v_add_nc_u32_e32 v0, 0x100, v0
	v_and_b32_e32 v2, 1, v2
	global_store_b8 v3, v2, s[4:5]
	s_wait_xcnt 0x0
	s_or_b32 exec_lo, exec_lo, s3
	s_delay_alu instid0(SALU_CYCLE_1)
	s_mov_b32 s3, exec_lo
	v_cmpx_gt_i32_e64 s1, v0
	s_cbranch_execz .LBB105_50
.LBB105_67:
	s_wait_loadcnt 0x0
	v_cmp_eq_f32_e64 s0, s10, v6
	s_delay_alu instid0(VALU_DEP_1) | instskip(SKIP_1) | instid1(VALU_DEP_1)
	v_cndmask_b32_e64 v2, 0, 1, s0
	v_cmp_neq_f32_e64 s0, s10, v6
	v_cndmask_b32_e64 v3, 0, 1, s0
	s_delay_alu instid0(VALU_DEP_1) | instskip(SKIP_1) | instid1(VALU_DEP_2)
	v_dual_cndmask_b32 v2, v3, v2 :: v_dual_add_nc_u32 v3, s2, v0
	v_add_nc_u32_e32 v0, 0x100, v0
	v_and_b32_e32 v2, 1, v2
	global_store_b8 v3, v2, s[4:5]
	s_wait_xcnt 0x0
	s_or_b32 exec_lo, exec_lo, s3
	v_cmp_gt_i32_e64 s0, s1, v0
	s_and_saveexec_b32 s1, s0
	s_cbranch_execnz .LBB105_51
	s_branch .LBB105_52
	.section	.rodata,"a",@progbits
	.p2align	6, 0x0
	.amdhsa_kernel _ZN2at6native29vectorized_elementwise_kernelILi8ENS0_13AUnaryFunctorIffbNS0_12_GLOBAL__N_116CompareEqFunctorIfEEEESt5arrayIPcLm2EEEEviT0_T1_
		.amdhsa_group_segment_fixed_size 0
		.amdhsa_private_segment_fixed_size 0
		.amdhsa_kernarg_size 32
		.amdhsa_user_sgpr_count 2
		.amdhsa_user_sgpr_dispatch_ptr 0
		.amdhsa_user_sgpr_queue_ptr 0
		.amdhsa_user_sgpr_kernarg_segment_ptr 1
		.amdhsa_user_sgpr_dispatch_id 0
		.amdhsa_user_sgpr_kernarg_preload_length 0
		.amdhsa_user_sgpr_kernarg_preload_offset 0
		.amdhsa_user_sgpr_private_segment_size 0
		.amdhsa_wavefront_size32 1
		.amdhsa_uses_dynamic_stack 0
		.amdhsa_enable_private_segment 0
		.amdhsa_system_sgpr_workgroup_id_x 1
		.amdhsa_system_sgpr_workgroup_id_y 0
		.amdhsa_system_sgpr_workgroup_id_z 0
		.amdhsa_system_sgpr_workgroup_info 0
		.amdhsa_system_vgpr_workitem_id 0
		.amdhsa_next_free_vgpr 34
		.amdhsa_next_free_sgpr 14
		.amdhsa_named_barrier_count 0
		.amdhsa_reserve_vcc 1
		.amdhsa_float_round_mode_32 0
		.amdhsa_float_round_mode_16_64 0
		.amdhsa_float_denorm_mode_32 3
		.amdhsa_float_denorm_mode_16_64 3
		.amdhsa_fp16_overflow 0
		.amdhsa_memory_ordered 1
		.amdhsa_forward_progress 1
		.amdhsa_inst_pref_size 32
		.amdhsa_round_robin_scheduling 0
		.amdhsa_exception_fp_ieee_invalid_op 0
		.amdhsa_exception_fp_denorm_src 0
		.amdhsa_exception_fp_ieee_div_zero 0
		.amdhsa_exception_fp_ieee_overflow 0
		.amdhsa_exception_fp_ieee_underflow 0
		.amdhsa_exception_fp_ieee_inexact 0
		.amdhsa_exception_int_div_zero 0
	.end_amdhsa_kernel
	.section	.text._ZN2at6native29vectorized_elementwise_kernelILi8ENS0_13AUnaryFunctorIffbNS0_12_GLOBAL__N_116CompareEqFunctorIfEEEESt5arrayIPcLm2EEEEviT0_T1_,"axG",@progbits,_ZN2at6native29vectorized_elementwise_kernelILi8ENS0_13AUnaryFunctorIffbNS0_12_GLOBAL__N_116CompareEqFunctorIfEEEESt5arrayIPcLm2EEEEviT0_T1_,comdat
.Lfunc_end105:
	.size	_ZN2at6native29vectorized_elementwise_kernelILi8ENS0_13AUnaryFunctorIffbNS0_12_GLOBAL__N_116CompareEqFunctorIfEEEESt5arrayIPcLm2EEEEviT0_T1_, .Lfunc_end105-_ZN2at6native29vectorized_elementwise_kernelILi8ENS0_13AUnaryFunctorIffbNS0_12_GLOBAL__N_116CompareEqFunctorIfEEEESt5arrayIPcLm2EEEEviT0_T1_
                                        ; -- End function
	.set _ZN2at6native29vectorized_elementwise_kernelILi8ENS0_13AUnaryFunctorIffbNS0_12_GLOBAL__N_116CompareEqFunctorIfEEEESt5arrayIPcLm2EEEEviT0_T1_.num_vgpr, 34
	.set _ZN2at6native29vectorized_elementwise_kernelILi8ENS0_13AUnaryFunctorIffbNS0_12_GLOBAL__N_116CompareEqFunctorIfEEEESt5arrayIPcLm2EEEEviT0_T1_.num_agpr, 0
	.set _ZN2at6native29vectorized_elementwise_kernelILi8ENS0_13AUnaryFunctorIffbNS0_12_GLOBAL__N_116CompareEqFunctorIfEEEESt5arrayIPcLm2EEEEviT0_T1_.numbered_sgpr, 14
	.set _ZN2at6native29vectorized_elementwise_kernelILi8ENS0_13AUnaryFunctorIffbNS0_12_GLOBAL__N_116CompareEqFunctorIfEEEESt5arrayIPcLm2EEEEviT0_T1_.num_named_barrier, 0
	.set _ZN2at6native29vectorized_elementwise_kernelILi8ENS0_13AUnaryFunctorIffbNS0_12_GLOBAL__N_116CompareEqFunctorIfEEEESt5arrayIPcLm2EEEEviT0_T1_.private_seg_size, 0
	.set _ZN2at6native29vectorized_elementwise_kernelILi8ENS0_13AUnaryFunctorIffbNS0_12_GLOBAL__N_116CompareEqFunctorIfEEEESt5arrayIPcLm2EEEEviT0_T1_.uses_vcc, 1
	.set _ZN2at6native29vectorized_elementwise_kernelILi8ENS0_13AUnaryFunctorIffbNS0_12_GLOBAL__N_116CompareEqFunctorIfEEEESt5arrayIPcLm2EEEEviT0_T1_.uses_flat_scratch, 0
	.set _ZN2at6native29vectorized_elementwise_kernelILi8ENS0_13AUnaryFunctorIffbNS0_12_GLOBAL__N_116CompareEqFunctorIfEEEESt5arrayIPcLm2EEEEviT0_T1_.has_dyn_sized_stack, 0
	.set _ZN2at6native29vectorized_elementwise_kernelILi8ENS0_13AUnaryFunctorIffbNS0_12_GLOBAL__N_116CompareEqFunctorIfEEEESt5arrayIPcLm2EEEEviT0_T1_.has_recursion, 0
	.set _ZN2at6native29vectorized_elementwise_kernelILi8ENS0_13AUnaryFunctorIffbNS0_12_GLOBAL__N_116CompareEqFunctorIfEEEESt5arrayIPcLm2EEEEviT0_T1_.has_indirect_call, 0
	.section	.AMDGPU.csdata,"",@progbits
; Kernel info:
; codeLenInByte = 4012
; TotalNumSgprs: 16
; NumVgprs: 34
; ScratchSize: 0
; MemoryBound: 0
; FloatMode: 240
; IeeeMode: 1
; LDSByteSize: 0 bytes/workgroup (compile time only)
; SGPRBlocks: 0
; VGPRBlocks: 2
; NumSGPRsForWavesPerEU: 16
; NumVGPRsForWavesPerEU: 34
; NamedBarCnt: 0
; Occupancy: 16
; WaveLimiterHint : 1
; COMPUTE_PGM_RSRC2:SCRATCH_EN: 0
; COMPUTE_PGM_RSRC2:USER_SGPR: 2
; COMPUTE_PGM_RSRC2:TRAP_HANDLER: 0
; COMPUTE_PGM_RSRC2:TGID_X_EN: 1
; COMPUTE_PGM_RSRC2:TGID_Y_EN: 0
; COMPUTE_PGM_RSRC2:TGID_Z_EN: 0
; COMPUTE_PGM_RSRC2:TIDIG_COMP_CNT: 0
	.section	.text._ZN2at6native29vectorized_elementwise_kernelILi4ENS0_13AUnaryFunctorIffbNS0_12_GLOBAL__N_116CompareEqFunctorIfEEEESt5arrayIPcLm2EEEEviT0_T1_,"axG",@progbits,_ZN2at6native29vectorized_elementwise_kernelILi4ENS0_13AUnaryFunctorIffbNS0_12_GLOBAL__N_116CompareEqFunctorIfEEEESt5arrayIPcLm2EEEEviT0_T1_,comdat
	.globl	_ZN2at6native29vectorized_elementwise_kernelILi4ENS0_13AUnaryFunctorIffbNS0_12_GLOBAL__N_116CompareEqFunctorIfEEEESt5arrayIPcLm2EEEEviT0_T1_ ; -- Begin function _ZN2at6native29vectorized_elementwise_kernelILi4ENS0_13AUnaryFunctorIffbNS0_12_GLOBAL__N_116CompareEqFunctorIfEEEESt5arrayIPcLm2EEEEviT0_T1_
	.p2align	8
	.type	_ZN2at6native29vectorized_elementwise_kernelILi4ENS0_13AUnaryFunctorIffbNS0_12_GLOBAL__N_116CompareEqFunctorIfEEEESt5arrayIPcLm2EEEEviT0_T1_,@function
_ZN2at6native29vectorized_elementwise_kernelILi4ENS0_13AUnaryFunctorIffbNS0_12_GLOBAL__N_116CompareEqFunctorIfEEEESt5arrayIPcLm2EEEEviT0_T1_: ; @_ZN2at6native29vectorized_elementwise_kernelILi4ENS0_13AUnaryFunctorIffbNS0_12_GLOBAL__N_116CompareEqFunctorIfEEEESt5arrayIPcLm2EEEEviT0_T1_
; %bb.0:
	s_clause 0x1
	s_load_b96 s[8:10], s[0:1], 0x0
	s_load_b128 s[4:7], s[0:1], 0x10
	s_wait_xcnt 0x0
	s_bfe_u32 s0, ttmp6, 0x4000c
	s_and_b32 s1, ttmp6, 15
	s_add_co_i32 s0, s0, 1
	s_getreg_b32 s2, hwreg(HW_REG_IB_STS2, 6, 4)
	s_mul_i32 s0, ttmp9, s0
	s_delay_alu instid0(SALU_CYCLE_1) | instskip(SKIP_2) | instid1(SALU_CYCLE_1)
	s_add_co_i32 s1, s1, s0
	s_cmp_eq_u32 s2, 0
	s_cselect_b32 s0, ttmp9, s1
	s_lshl_b32 s2, s0, 12
	s_mov_b32 s0, -1
	s_wait_kmcnt 0x0
	s_sub_co_i32 s1, s8, s2
	s_delay_alu instid0(SALU_CYCLE_1)
	s_cmp_gt_i32 s1, 0xfff
	s_cbranch_scc0 .LBB106_2
; %bb.1:
	s_ashr_i32 s3, s2, 31
	s_mov_b32 s0, 0
	s_lshl_b64 s[12:13], s[2:3], 2
	s_cmp_eq_u32 s9, 0
	s_add_nc_u64 s[12:13], s[6:7], s[12:13]
	s_clause 0x3
	global_load_b128 v[2:5], v0, s[12:13] scale_offset
	global_load_b128 v[6:9], v0, s[12:13] offset:4096 scale_offset
	global_load_b128 v[10:13], v0, s[12:13] offset:8192 scale_offset
	;; [unrolled: 1-line block ×3, first 2 shown]
	s_wait_xcnt 0x0
	s_add_nc_u64 s[12:13], s[4:5], s[2:3]
	s_wait_loadcnt 0x3
	v_cmp_eq_f32_e32 vcc_lo, s10, v2
	v_cndmask_b32_e64 v1, 0, 1, vcc_lo
	v_cmp_neq_f32_e32 vcc_lo, s10, v2
	v_cndmask_b32_e64 v2, 0, 1, vcc_lo
	v_cmp_eq_f32_e32 vcc_lo, s10, v3
	v_cndmask_b32_e64 v18, 0, 1, vcc_lo
	v_cmp_neq_f32_e32 vcc_lo, s10, v3
	v_cndmask_b32_e64 v3, 0, 1, vcc_lo
	v_cmp_eq_f32_e32 vcc_lo, s10, v4
	v_cndmask_b32_e64 v19, 0, 1, vcc_lo
	v_cmp_neq_f32_e32 vcc_lo, s10, v4
	v_cndmask_b32_e64 v4, 0, 1, vcc_lo
	v_cmp_eq_f32_e32 vcc_lo, s10, v5
	v_cndmask_b32_e64 v20, 0, 1, vcc_lo
	v_cmp_neq_f32_e32 vcc_lo, s10, v5
	v_cndmask_b32_e64 v5, 0, 1, vcc_lo
	s_wait_loadcnt 0x2
	v_cmp_eq_f32_e32 vcc_lo, s10, v6
	v_cndmask_b32_e64 v21, 0, 1, vcc_lo
	v_cmp_neq_f32_e32 vcc_lo, s10, v6
	v_cndmask_b32_e64 v6, 0, 1, vcc_lo
	v_cmp_eq_f32_e32 vcc_lo, s10, v7
	v_cndmask_b32_e64 v22, 0, 1, vcc_lo
	v_cmp_neq_f32_e32 vcc_lo, s10, v7
	v_cndmask_b32_e64 v7, 0, 1, vcc_lo
	v_cmp_eq_f32_e32 vcc_lo, s10, v8
	v_cndmask_b32_e64 v23, 0, 1, vcc_lo
	v_cmp_neq_f32_e32 vcc_lo, s10, v8
	v_cndmask_b32_e64 v8, 0, 1, vcc_lo
	v_cmp_eq_f32_e32 vcc_lo, s10, v9
	v_cndmask_b32_e64 v24, 0, 1, vcc_lo
	v_cmp_neq_f32_e32 vcc_lo, s10, v9
	v_cndmask_b32_e64 v9, 0, 1, vcc_lo
	s_wait_loadcnt 0x1
	v_cmp_eq_f32_e32 vcc_lo, s10, v10
	v_cndmask_b32_e64 v25, 0, 1, vcc_lo
	v_cmp_neq_f32_e32 vcc_lo, s10, v10
	v_cndmask_b32_e64 v10, 0, 1, vcc_lo
	v_cmp_eq_f32_e32 vcc_lo, s10, v11
	v_cndmask_b32_e64 v26, 0, 1, vcc_lo
	v_cmp_neq_f32_e32 vcc_lo, s10, v11
	v_cndmask_b32_e64 v11, 0, 1, vcc_lo
	v_cmp_eq_f32_e32 vcc_lo, s10, v12
	v_cndmask_b32_e64 v27, 0, 1, vcc_lo
	v_cmp_neq_f32_e32 vcc_lo, s10, v12
	v_cndmask_b32_e64 v12, 0, 1, vcc_lo
	v_cmp_eq_f32_e32 vcc_lo, s10, v13
	v_cndmask_b32_e64 v28, 0, 1, vcc_lo
	v_cmp_neq_f32_e32 vcc_lo, s10, v13
	v_cndmask_b32_e64 v13, 0, 1, vcc_lo
	s_wait_loadcnt 0x0
	v_cmp_eq_f32_e32 vcc_lo, s10, v14
	v_cndmask_b32_e64 v29, 0, 1, vcc_lo
	v_cmp_neq_f32_e32 vcc_lo, s10, v14
	v_cndmask_b32_e64 v14, 0, 1, vcc_lo
	v_cmp_eq_f32_e32 vcc_lo, s10, v15
	v_cndmask_b32_e64 v30, 0, 1, vcc_lo
	v_cmp_neq_f32_e32 vcc_lo, s10, v15
	v_cndmask_b32_e64 v15, 0, 1, vcc_lo
	v_cmp_eq_f32_e32 vcc_lo, s10, v16
	v_cndmask_b32_e64 v31, 0, 1, vcc_lo
	v_cmp_neq_f32_e32 vcc_lo, s10, v16
	v_cndmask_b32_e64 v16, 0, 1, vcc_lo
	v_cmp_eq_f32_e32 vcc_lo, s10, v17
	v_cndmask_b32_e64 v32, 0, 1, vcc_lo
	v_cmp_neq_f32_e32 vcc_lo, s10, v17
	v_cndmask_b32_e64 v17, 0, 1, vcc_lo
	s_cselect_b32 vcc_lo, -1, 0
	v_dual_cndmask_b32 v1, v2, v1 :: v_dual_cndmask_b32 v2, v3, v18
	v_dual_cndmask_b32 v3, v4, v19 :: v_dual_cndmask_b32 v4, v5, v20
	;; [unrolled: 1-line block ×3, first 2 shown]
	s_delay_alu instid0(VALU_DEP_3)
	v_dual_cndmask_b32 v7, v8, v23, vcc_lo :: v_dual_bitop2_b32 v2, 1, v2 bitop3:0x40
	v_dual_cndmask_b32 v8, v9, v24 :: v_dual_cndmask_b32 v9, v10, v25
	v_dual_cndmask_b32 v10, v11, v26 :: v_dual_cndmask_b32 v11, v12, v27
	;; [unrolled: 1-line block ×4, first 2 shown]
	v_dual_cndmask_b32 v16, v17, v32, vcc_lo :: v_dual_bitop2_b32 v3, 1, v3 bitop3:0x40
	v_cmp_eq_u32_e32 vcc_lo, 1, v2
	v_and_b32_e32 v4, 1, v4
	v_and_b32_e32 v6, 1, v6
	;; [unrolled: 1-line block ×4, first 2 shown]
	v_cndmask_b32_e64 v2, 0, 0x100, vcc_lo
	v_cmp_eq_u32_e32 vcc_lo, 1, v3
	v_and_b32_e32 v10, 1, v10
	v_and_b32_e32 v11, 1, v11
	v_and_b32_e32 v12, 1, v12
	v_and_b32_e32 v14, 1, v14
	v_cndmask_b32_e64 v3, 0, 0x10000, vcc_lo
	v_cmp_eq_u32_e32 vcc_lo, 1, v4
	v_and_b32_e32 v15, 1, v15
	v_and_b32_e32 v16, 1, v16
	v_and_or_b32 v1, v1, 1, v2
	v_cndmask_b32_e64 v4, 0, 0x1000000, vcc_lo
	v_cmp_eq_u32_e32 vcc_lo, 1, v6
	s_delay_alu instid0(VALU_DEP_2) | instskip(SKIP_2) | instid1(VALU_DEP_2)
	v_or3_b32 v1, v1, v3, v4
	v_cndmask_b32_e64 v6, 0, 0x100, vcc_lo
	v_cmp_eq_u32_e32 vcc_lo, 1, v7
	v_and_or_b32 v2, v5, 1, v6
	v_cndmask_b32_e64 v7, 0, 0x10000, vcc_lo
	v_cmp_eq_u32_e32 vcc_lo, 1, v8
	v_cndmask_b32_e64 v8, 0, 0x1000000, vcc_lo
	v_cmp_eq_u32_e32 vcc_lo, 1, v10
	s_delay_alu instid0(VALU_DEP_2) | instskip(SKIP_2) | instid1(VALU_DEP_2)
	v_or3_b32 v2, v2, v7, v8
	v_cndmask_b32_e64 v10, 0, 0x100, vcc_lo
	v_cmp_eq_u32_e32 vcc_lo, 1, v11
	v_and_or_b32 v5, v9, 1, v10
	v_cndmask_b32_e64 v11, 0, 0x10000, vcc_lo
	v_cmp_eq_u32_e32 vcc_lo, 1, v12
	;; [unrolled: 9-line block ×3, first 2 shown]
	v_cndmask_b32_e64 v16, 0, 0x1000000, vcc_lo
	s_delay_alu instid0(VALU_DEP_1)
	v_or3_b32 v4, v6, v15, v16
	s_clause 0x3
	global_store_b32 v0, v1, s[12:13] scale_offset
	global_store_b32 v0, v2, s[12:13] offset:1024 scale_offset
	global_store_b32 v0, v3, s[12:13] offset:2048 scale_offset
	;; [unrolled: 1-line block ×3, first 2 shown]
.LBB106_2:
	s_and_not1_b32 vcc_lo, exec_lo, s0
	s_cbranch_vccnz .LBB106_52
; %bb.3:
	v_cmp_gt_i32_e64 s0, s1, v0
	v_dual_mov_b32 v10, 0 :: v_dual_bitop2_b32 v14, s2, v0 bitop3:0x54
	v_or_b32_e32 v15, 0x100, v0
	v_dual_mov_b32 v18, 0 :: v_dual_mov_b32 v19, v0
	s_wait_xcnt 0x0
	s_and_saveexec_b32 s3, s0
	s_cbranch_execz .LBB106_5
; %bb.4:
	global_load_b32 v18, v14, s[6:7] scale_offset
	v_or_b32_e32 v19, 0x100, v0
.LBB106_5:
	s_wait_xcnt 0x0
	s_or_b32 exec_lo, exec_lo, s3
	s_delay_alu instid0(SALU_CYCLE_1) | instskip(NEXT) | instid1(VALU_DEP_1)
	s_mov_b32 s3, exec_lo
	v_cmpx_gt_i32_e64 s1, v19
	s_cbranch_execz .LBB106_7
; %bb.6:
	v_add_nc_u32_e32 v1, s2, v19
	v_add_nc_u32_e32 v19, 0x100, v19
	global_load_b32 v10, v1, s[6:7] scale_offset
.LBB106_7:
	s_wait_xcnt 0x0
	s_or_b32 exec_lo, exec_lo, s3
	v_dual_mov_b32 v9, 0 :: v_dual_mov_b32 v17, 0
	s_mov_b32 s3, exec_lo
	v_cmpx_gt_i32_e64 s1, v19
	s_cbranch_execz .LBB106_9
; %bb.8:
	v_add_nc_u32_e32 v1, s2, v19
	v_add_nc_u32_e32 v19, 0x100, v19
	global_load_b32 v17, v1, s[6:7] scale_offset
.LBB106_9:
	s_wait_xcnt 0x0
	s_or_b32 exec_lo, exec_lo, s3
	s_delay_alu instid0(SALU_CYCLE_1)
	s_mov_b32 s3, exec_lo
	v_cmpx_gt_i32_e64 s1, v19
	s_cbranch_execz .LBB106_11
; %bb.10:
	v_add_nc_u32_e32 v1, s2, v19
	v_add_nc_u32_e32 v19, 0x100, v19
	global_load_b32 v9, v1, s[6:7] scale_offset
.LBB106_11:
	s_wait_xcnt 0x0
	s_or_b32 exec_lo, exec_lo, s3
	v_dual_mov_b32 v7, 0 :: v_dual_mov_b32 v16, 0
	s_mov_b32 s3, exec_lo
	v_cmpx_gt_i32_e64 s1, v19
	s_cbranch_execz .LBB106_13
; %bb.12:
	v_add_nc_u32_e32 v1, s2, v19
	v_add_nc_u32_e32 v19, 0x100, v19
	global_load_b32 v16, v1, s[6:7] scale_offset
.LBB106_13:
	s_wait_xcnt 0x0
	s_or_b32 exec_lo, exec_lo, s3
	s_delay_alu instid0(SALU_CYCLE_1)
	;; [unrolled: 22-line block ×7, first 2 shown]
	s_mov_b32 s3, exec_lo
	v_cmpx_gt_i32_e64 s1, v19
	s_cbranch_execz .LBB106_35
; %bb.34:
	v_add_nc_u32_e32 v1, s2, v19
	global_load_b32 v1, v1, s[6:7] scale_offset
.LBB106_35:
	s_wait_xcnt 0x0
	s_or_b32 exec_lo, exec_lo, s3
	s_cmp_eq_u32 s9, 0
	s_cselect_b32 vcc_lo, -1, 0
	s_and_saveexec_b32 s3, s0
	s_cbranch_execnz .LBB106_53
; %bb.36:
	s_or_b32 exec_lo, exec_lo, s3
	s_delay_alu instid0(SALU_CYCLE_1)
	s_mov_b32 s3, exec_lo
	v_cmpx_gt_i32_e64 s1, v0
	s_cbranch_execnz .LBB106_54
.LBB106_37:
	s_or_b32 exec_lo, exec_lo, s3
	s_delay_alu instid0(SALU_CYCLE_1)
	s_mov_b32 s3, exec_lo
	v_cmpx_gt_i32_e64 s1, v0
	s_cbranch_execnz .LBB106_55
.LBB106_38:
	s_or_b32 exec_lo, exec_lo, s3
	s_delay_alu instid0(SALU_CYCLE_1)
	s_mov_b32 s3, exec_lo
	v_cmpx_gt_i32_e64 s1, v0
	s_cbranch_execnz .LBB106_56
.LBB106_39:
	s_or_b32 exec_lo, exec_lo, s3
	s_delay_alu instid0(SALU_CYCLE_1)
	s_mov_b32 s3, exec_lo
	v_cmpx_gt_i32_e64 s1, v0
	s_cbranch_execnz .LBB106_57
.LBB106_40:
	s_or_b32 exec_lo, exec_lo, s3
	s_delay_alu instid0(SALU_CYCLE_1)
	s_mov_b32 s3, exec_lo
	v_cmpx_gt_i32_e64 s1, v0
	s_cbranch_execnz .LBB106_58
.LBB106_41:
	s_or_b32 exec_lo, exec_lo, s3
	s_delay_alu instid0(SALU_CYCLE_1)
	s_mov_b32 s3, exec_lo
	v_cmpx_gt_i32_e64 s1, v0
	s_cbranch_execnz .LBB106_59
.LBB106_42:
	s_or_b32 exec_lo, exec_lo, s3
	s_delay_alu instid0(SALU_CYCLE_1)
	s_mov_b32 s3, exec_lo
	v_cmpx_gt_i32_e64 s1, v0
	s_cbranch_execnz .LBB106_60
.LBB106_43:
	s_or_b32 exec_lo, exec_lo, s3
	s_delay_alu instid0(SALU_CYCLE_1)
	s_mov_b32 s3, exec_lo
	v_cmpx_gt_i32_e64 s1, v0
	s_cbranch_execnz .LBB106_61
.LBB106_44:
	s_or_b32 exec_lo, exec_lo, s3
	s_delay_alu instid0(SALU_CYCLE_1)
	s_mov_b32 s3, exec_lo
	v_cmpx_gt_i32_e64 s1, v0
	s_cbranch_execnz .LBB106_62
.LBB106_45:
	s_or_b32 exec_lo, exec_lo, s3
	s_delay_alu instid0(SALU_CYCLE_1)
	s_mov_b32 s3, exec_lo
	v_cmpx_gt_i32_e64 s1, v0
	s_cbranch_execnz .LBB106_63
.LBB106_46:
	s_or_b32 exec_lo, exec_lo, s3
	s_delay_alu instid0(SALU_CYCLE_1)
	s_mov_b32 s3, exec_lo
	v_cmpx_gt_i32_e64 s1, v0
	s_cbranch_execnz .LBB106_64
.LBB106_47:
	s_or_b32 exec_lo, exec_lo, s3
	s_delay_alu instid0(SALU_CYCLE_1)
	s_mov_b32 s3, exec_lo
	v_cmpx_gt_i32_e64 s1, v0
	s_cbranch_execnz .LBB106_65
.LBB106_48:
	s_or_b32 exec_lo, exec_lo, s3
	s_delay_alu instid0(SALU_CYCLE_1)
	s_mov_b32 s3, exec_lo
	v_cmpx_gt_i32_e64 s1, v0
	s_cbranch_execnz .LBB106_66
.LBB106_49:
	s_or_b32 exec_lo, exec_lo, s3
	s_delay_alu instid0(SALU_CYCLE_1)
	s_mov_b32 s3, exec_lo
	v_cmpx_gt_i32_e64 s1, v0
	s_cbranch_execnz .LBB106_67
.LBB106_50:
	s_or_b32 exec_lo, exec_lo, s3
	v_cmp_gt_i32_e64 s0, s1, v0
	s_and_saveexec_b32 s1, s0
	s_cbranch_execz .LBB106_52
.LBB106_51:
	s_wait_loadcnt 0x0
	v_cmp_eq_f32_e64 s0, s10, v1
	v_add_nc_u32_e32 v0, s2, v0
	s_delay_alu instid0(VALU_DEP_2) | instskip(SKIP_1) | instid1(VALU_DEP_1)
	v_cndmask_b32_e64 v2, 0, 1, s0
	v_cmp_neq_f32_e64 s0, s10, v1
	v_cndmask_b32_e64 v1, 0, 1, s0
	s_delay_alu instid0(VALU_DEP_1) | instskip(NEXT) | instid1(VALU_DEP_1)
	v_cndmask_b32_e32 v1, v1, v2, vcc_lo
	v_and_b32_e32 v1, 1, v1
	global_store_b8 v0, v1, s[4:5]
.LBB106_52:
	s_endpgm
.LBB106_53:
	s_wait_loadcnt 0x0
	v_cmp_eq_f32_e64 s0, s10, v18
	s_delay_alu instid0(VALU_DEP_1) | instskip(SKIP_1) | instid1(VALU_DEP_1)
	v_cndmask_b32_e64 v0, 0, 1, s0
	v_cmp_neq_f32_e64 s0, s10, v18
	v_cndmask_b32_e64 v18, 0, 1, s0
	s_delay_alu instid0(VALU_DEP_1) | instskip(NEXT) | instid1(VALU_DEP_1)
	v_cndmask_b32_e32 v0, v18, v0, vcc_lo
	v_dual_mov_b32 v0, v15 :: v_dual_bitop2_b32 v18, 1, v0 bitop3:0x40
	global_store_b8 v14, v18, s[4:5]
	s_wait_xcnt 0x0
	s_or_b32 exec_lo, exec_lo, s3
	s_delay_alu instid0(SALU_CYCLE_1)
	s_mov_b32 s3, exec_lo
	v_cmpx_gt_i32_e64 s1, v0
	s_cbranch_execz .LBB106_37
.LBB106_54:
	s_wait_loadcnt 0x0
	v_cmp_eq_f32_e64 s0, s10, v10
	s_delay_alu instid0(VALU_DEP_1) | instskip(SKIP_1) | instid1(VALU_DEP_1)
	v_cndmask_b32_e64 v14, 0, 1, s0
	v_cmp_neq_f32_e64 s0, s10, v10
	v_cndmask_b32_e64 v10, 0, 1, s0
	s_delay_alu instid0(VALU_DEP_1) | instskip(SKIP_1) | instid1(VALU_DEP_2)
	v_dual_cndmask_b32 v10, v10, v14, vcc_lo :: v_dual_add_nc_u32 v14, s2, v0
	v_add_nc_u32_e32 v0, 0x100, v0
	v_and_b32_e32 v10, 1, v10
	global_store_b8 v14, v10, s[4:5]
	s_wait_xcnt 0x0
	s_or_b32 exec_lo, exec_lo, s3
	s_delay_alu instid0(SALU_CYCLE_1)
	s_mov_b32 s3, exec_lo
	v_cmpx_gt_i32_e64 s1, v0
	s_cbranch_execz .LBB106_38
.LBB106_55:
	s_wait_loadcnt 0x0
	v_cmp_eq_f32_e64 s0, s10, v17
	s_delay_alu instid0(VALU_DEP_1) | instskip(SKIP_1) | instid1(VALU_DEP_1)
	v_cndmask_b32_e64 v10, 0, 1, s0
	v_cmp_neq_f32_e64 s0, s10, v17
	v_cndmask_b32_e64 v14, 0, 1, s0
	s_delay_alu instid0(VALU_DEP_1) | instskip(SKIP_1) | instid1(VALU_DEP_2)
	v_dual_cndmask_b32 v10, v14, v10, vcc_lo :: v_dual_add_nc_u32 v14, s2, v0
	v_add_nc_u32_e32 v0, 0x100, v0
	v_and_b32_e32 v10, 1, v10
	global_store_b8 v14, v10, s[4:5]
	s_wait_xcnt 0x0
	s_or_b32 exec_lo, exec_lo, s3
	s_delay_alu instid0(SALU_CYCLE_1)
	s_mov_b32 s3, exec_lo
	v_cmpx_gt_i32_e64 s1, v0
	s_cbranch_execz .LBB106_39
.LBB106_56:
	s_wait_loadcnt 0x0
	v_cmp_eq_f32_e64 s0, s10, v9
	s_delay_alu instid0(VALU_DEP_1) | instskip(SKIP_1) | instid1(VALU_DEP_1)
	v_cndmask_b32_e64 v10, 0, 1, s0
	v_cmp_neq_f32_e64 s0, s10, v9
	v_cndmask_b32_e64 v9, 0, 1, s0
	s_delay_alu instid0(VALU_DEP_1) | instskip(SKIP_1) | instid1(VALU_DEP_2)
	v_dual_cndmask_b32 v9, v9, v10 :: v_dual_add_nc_u32 v10, s2, v0
	v_add_nc_u32_e32 v0, 0x100, v0
	v_and_b32_e32 v9, 1, v9
	global_store_b8 v10, v9, s[4:5]
	s_wait_xcnt 0x0
	s_or_b32 exec_lo, exec_lo, s3
	s_delay_alu instid0(SALU_CYCLE_1)
	s_mov_b32 s3, exec_lo
	v_cmpx_gt_i32_e64 s1, v0
	s_cbranch_execz .LBB106_40
.LBB106_57:
	s_wait_loadcnt 0x0
	v_cmp_eq_f32_e64 s0, s10, v16
	s_delay_alu instid0(VALU_DEP_1) | instskip(SKIP_1) | instid1(VALU_DEP_1)
	v_cndmask_b32_e64 v9, 0, 1, s0
	v_cmp_neq_f32_e64 s0, s10, v16
	v_cndmask_b32_e64 v10, 0, 1, s0
	s_delay_alu instid0(VALU_DEP_1) | instskip(SKIP_1) | instid1(VALU_DEP_2)
	v_dual_cndmask_b32 v9, v10, v9 :: v_dual_add_nc_u32 v10, s2, v0
	v_add_nc_u32_e32 v0, 0x100, v0
	v_and_b32_e32 v9, 1, v9
	global_store_b8 v10, v9, s[4:5]
	s_wait_xcnt 0x0
	s_or_b32 exec_lo, exec_lo, s3
	s_delay_alu instid0(SALU_CYCLE_1)
	s_mov_b32 s3, exec_lo
	v_cmpx_gt_i32_e64 s1, v0
	s_cbranch_execz .LBB106_41
.LBB106_58:
	s_wait_loadcnt 0x0
	v_cmp_eq_f32_e64 s0, s10, v7
	s_delay_alu instid0(VALU_DEP_1) | instskip(SKIP_1) | instid1(VALU_DEP_1)
	v_cndmask_b32_e64 v9, 0, 1, s0
	v_cmp_neq_f32_e64 s0, s10, v7
	v_cndmask_b32_e64 v7, 0, 1, s0
	s_delay_alu instid0(VALU_DEP_1) | instskip(SKIP_1) | instid1(VALU_DEP_2)
	v_dual_cndmask_b32 v7, v7, v9, vcc_lo :: v_dual_add_nc_u32 v9, s2, v0
	v_add_nc_u32_e32 v0, 0x100, v0
	v_and_b32_e32 v7, 1, v7
	global_store_b8 v9, v7, s[4:5]
	s_wait_xcnt 0x0
	s_or_b32 exec_lo, exec_lo, s3
	s_delay_alu instid0(SALU_CYCLE_1)
	s_mov_b32 s3, exec_lo
	v_cmpx_gt_i32_e64 s1, v0
	s_cbranch_execz .LBB106_42
.LBB106_59:
	s_wait_loadcnt 0x0
	v_cmp_eq_f32_e64 s0, s10, v13
	s_delay_alu instid0(VALU_DEP_1) | instskip(SKIP_1) | instid1(VALU_DEP_1)
	v_cndmask_b32_e64 v7, 0, 1, s0
	v_cmp_neq_f32_e64 s0, s10, v13
	v_cndmask_b32_e64 v9, 0, 1, s0
	s_delay_alu instid0(VALU_DEP_1) | instskip(SKIP_1) | instid1(VALU_DEP_2)
	v_dual_cndmask_b32 v7, v9, v7, vcc_lo :: v_dual_add_nc_u32 v9, s2, v0
	v_add_nc_u32_e32 v0, 0x100, v0
	v_and_b32_e32 v7, 1, v7
	global_store_b8 v9, v7, s[4:5]
	s_wait_xcnt 0x0
	s_or_b32 exec_lo, exec_lo, s3
	s_delay_alu instid0(SALU_CYCLE_1)
	s_mov_b32 s3, exec_lo
	v_cmpx_gt_i32_e64 s1, v0
	s_cbranch_execz .LBB106_43
.LBB106_60:
	s_wait_loadcnt 0x0
	v_cmp_eq_f32_e64 s0, s10, v5
	s_delay_alu instid0(VALU_DEP_1) | instskip(SKIP_1) | instid1(VALU_DEP_1)
	v_cndmask_b32_e64 v7, 0, 1, s0
	v_cmp_neq_f32_e64 s0, s10, v5
	v_cndmask_b32_e64 v5, 0, 1, s0
	s_delay_alu instid0(VALU_DEP_1) | instskip(SKIP_1) | instid1(VALU_DEP_2)
	v_dual_cndmask_b32 v5, v5, v7, vcc_lo :: v_dual_add_nc_u32 v7, s2, v0
	v_add_nc_u32_e32 v0, 0x100, v0
	v_and_b32_e32 v5, 1, v5
	global_store_b8 v7, v5, s[4:5]
	s_wait_xcnt 0x0
	s_or_b32 exec_lo, exec_lo, s3
	s_delay_alu instid0(SALU_CYCLE_1)
	s_mov_b32 s3, exec_lo
	v_cmpx_gt_i32_e64 s1, v0
	s_cbranch_execz .LBB106_44
.LBB106_61:
	s_wait_loadcnt 0x0
	v_cmp_eq_f32_e64 s0, s10, v12
	s_delay_alu instid0(VALU_DEP_1) | instskip(SKIP_1) | instid1(VALU_DEP_1)
	v_cndmask_b32_e64 v5, 0, 1, s0
	v_cmp_neq_f32_e64 s0, s10, v12
	v_cndmask_b32_e64 v7, 0, 1, s0
	s_delay_alu instid0(VALU_DEP_1) | instskip(SKIP_1) | instid1(VALU_DEP_2)
	v_dual_cndmask_b32 v5, v7, v5, vcc_lo :: v_dual_add_nc_u32 v7, s2, v0
	v_add_nc_u32_e32 v0, 0x100, v0
	v_and_b32_e32 v5, 1, v5
	global_store_b8 v7, v5, s[4:5]
	s_wait_xcnt 0x0
	s_or_b32 exec_lo, exec_lo, s3
	s_delay_alu instid0(SALU_CYCLE_1)
	s_mov_b32 s3, exec_lo
	v_cmpx_gt_i32_e64 s1, v0
	s_cbranch_execz .LBB106_45
.LBB106_62:
	s_wait_loadcnt 0x0
	v_cmp_eq_f32_e64 s0, s10, v4
	s_delay_alu instid0(VALU_DEP_1) | instskip(SKIP_1) | instid1(VALU_DEP_1)
	v_cndmask_b32_e64 v5, 0, 1, s0
	v_cmp_neq_f32_e64 s0, s10, v4
	v_cndmask_b32_e64 v4, 0, 1, s0
	s_delay_alu instid0(VALU_DEP_1) | instskip(SKIP_1) | instid1(VALU_DEP_2)
	v_dual_cndmask_b32 v4, v4, v5 :: v_dual_add_nc_u32 v5, s2, v0
	v_add_nc_u32_e32 v0, 0x100, v0
	v_and_b32_e32 v4, 1, v4
	global_store_b8 v5, v4, s[4:5]
	s_wait_xcnt 0x0
	s_or_b32 exec_lo, exec_lo, s3
	s_delay_alu instid0(SALU_CYCLE_1)
	s_mov_b32 s3, exec_lo
	v_cmpx_gt_i32_e64 s1, v0
	s_cbranch_execz .LBB106_46
.LBB106_63:
	s_wait_loadcnt 0x0
	v_cmp_eq_f32_e64 s0, s10, v11
	s_delay_alu instid0(VALU_DEP_1) | instskip(SKIP_1) | instid1(VALU_DEP_1)
	v_cndmask_b32_e64 v4, 0, 1, s0
	v_cmp_neq_f32_e64 s0, s10, v11
	v_cndmask_b32_e64 v5, 0, 1, s0
	s_delay_alu instid0(VALU_DEP_1) | instskip(SKIP_2) | instid1(VALU_DEP_3)
	v_cndmask_b32_e32 v4, v5, v4, vcc_lo
	v_add_nc_u32_e32 v5, s2, v0
	v_add_nc_u32_e32 v0, 0x100, v0
	v_and_b32_e32 v4, 1, v4
	global_store_b8 v5, v4, s[4:5]
	s_wait_xcnt 0x0
	s_or_b32 exec_lo, exec_lo, s3
	s_delay_alu instid0(SALU_CYCLE_1)
	s_mov_b32 s3, exec_lo
	v_cmpx_gt_i32_e64 s1, v0
	s_cbranch_execz .LBB106_47
.LBB106_64:
	s_wait_loadcnt 0x0
	v_cmp_eq_f32_e64 s0, s10, v3
	s_delay_alu instid0(VALU_DEP_1) | instskip(SKIP_1) | instid1(VALU_DEP_1)
	v_cndmask_b32_e64 v4, 0, 1, s0
	v_cmp_neq_f32_e64 s0, s10, v3
	v_cndmask_b32_e64 v3, 0, 1, s0
	s_delay_alu instid0(VALU_DEP_1) | instskip(SKIP_2) | instid1(VALU_DEP_3)
	v_cndmask_b32_e32 v3, v3, v4, vcc_lo
	v_add_nc_u32_e32 v4, s2, v0
	v_add_nc_u32_e32 v0, 0x100, v0
	v_and_b32_e32 v3, 1, v3
	global_store_b8 v4, v3, s[4:5]
	s_wait_xcnt 0x0
	s_or_b32 exec_lo, exec_lo, s3
	s_delay_alu instid0(SALU_CYCLE_1)
	s_mov_b32 s3, exec_lo
	v_cmpx_gt_i32_e64 s1, v0
	s_cbranch_execz .LBB106_48
.LBB106_65:
	s_wait_loadcnt 0x0
	v_cmp_eq_f32_e64 s0, s10, v8
	s_delay_alu instid0(VALU_DEP_1) | instskip(SKIP_1) | instid1(VALU_DEP_1)
	v_cndmask_b32_e64 v3, 0, 1, s0
	v_cmp_neq_f32_e64 s0, s10, v8
	v_cndmask_b32_e64 v4, 0, 1, s0
	s_delay_alu instid0(VALU_DEP_1) | instskip(SKIP_1) | instid1(VALU_DEP_2)
	v_dual_cndmask_b32 v3, v4, v3 :: v_dual_add_nc_u32 v4, s2, v0
	v_add_nc_u32_e32 v0, 0x100, v0
	v_and_b32_e32 v3, 1, v3
	global_store_b8 v4, v3, s[4:5]
	s_wait_xcnt 0x0
	s_or_b32 exec_lo, exec_lo, s3
	s_delay_alu instid0(SALU_CYCLE_1)
	s_mov_b32 s3, exec_lo
	v_cmpx_gt_i32_e64 s1, v0
	s_cbranch_execz .LBB106_49
.LBB106_66:
	s_wait_loadcnt 0x0
	v_cmp_eq_f32_e64 s0, s10, v2
	s_delay_alu instid0(VALU_DEP_1) | instskip(SKIP_1) | instid1(VALU_DEP_1)
	v_cndmask_b32_e64 v3, 0, 1, s0
	v_cmp_neq_f32_e64 s0, s10, v2
	v_cndmask_b32_e64 v2, 0, 1, s0
	s_delay_alu instid0(VALU_DEP_1) | instskip(SKIP_1) | instid1(VALU_DEP_2)
	v_dual_cndmask_b32 v2, v2, v3 :: v_dual_add_nc_u32 v3, s2, v0
	v_add_nc_u32_e32 v0, 0x100, v0
	v_and_b32_e32 v2, 1, v2
	global_store_b8 v3, v2, s[4:5]
	s_wait_xcnt 0x0
	s_or_b32 exec_lo, exec_lo, s3
	s_delay_alu instid0(SALU_CYCLE_1)
	s_mov_b32 s3, exec_lo
	v_cmpx_gt_i32_e64 s1, v0
	s_cbranch_execz .LBB106_50
.LBB106_67:
	s_wait_loadcnt 0x0
	v_cmp_eq_f32_e64 s0, s10, v6
	s_delay_alu instid0(VALU_DEP_1) | instskip(SKIP_1) | instid1(VALU_DEP_1)
	v_cndmask_b32_e64 v2, 0, 1, s0
	v_cmp_neq_f32_e64 s0, s10, v6
	v_cndmask_b32_e64 v3, 0, 1, s0
	s_delay_alu instid0(VALU_DEP_1) | instskip(SKIP_1) | instid1(VALU_DEP_2)
	v_dual_cndmask_b32 v2, v3, v2 :: v_dual_add_nc_u32 v3, s2, v0
	v_add_nc_u32_e32 v0, 0x100, v0
	v_and_b32_e32 v2, 1, v2
	global_store_b8 v3, v2, s[4:5]
	s_wait_xcnt 0x0
	s_or_b32 exec_lo, exec_lo, s3
	v_cmp_gt_i32_e64 s0, s1, v0
	s_and_saveexec_b32 s1, s0
	s_cbranch_execnz .LBB106_51
	s_branch .LBB106_52
	.section	.rodata,"a",@progbits
	.p2align	6, 0x0
	.amdhsa_kernel _ZN2at6native29vectorized_elementwise_kernelILi4ENS0_13AUnaryFunctorIffbNS0_12_GLOBAL__N_116CompareEqFunctorIfEEEESt5arrayIPcLm2EEEEviT0_T1_
		.amdhsa_group_segment_fixed_size 0
		.amdhsa_private_segment_fixed_size 0
		.amdhsa_kernarg_size 32
		.amdhsa_user_sgpr_count 2
		.amdhsa_user_sgpr_dispatch_ptr 0
		.amdhsa_user_sgpr_queue_ptr 0
		.amdhsa_user_sgpr_kernarg_segment_ptr 1
		.amdhsa_user_sgpr_dispatch_id 0
		.amdhsa_user_sgpr_kernarg_preload_length 0
		.amdhsa_user_sgpr_kernarg_preload_offset 0
		.amdhsa_user_sgpr_private_segment_size 0
		.amdhsa_wavefront_size32 1
		.amdhsa_uses_dynamic_stack 0
		.amdhsa_enable_private_segment 0
		.amdhsa_system_sgpr_workgroup_id_x 1
		.amdhsa_system_sgpr_workgroup_id_y 0
		.amdhsa_system_sgpr_workgroup_id_z 0
		.amdhsa_system_sgpr_workgroup_info 0
		.amdhsa_system_vgpr_workitem_id 0
		.amdhsa_next_free_vgpr 33
		.amdhsa_next_free_sgpr 14
		.amdhsa_named_barrier_count 0
		.amdhsa_reserve_vcc 1
		.amdhsa_float_round_mode_32 0
		.amdhsa_float_round_mode_16_64 0
		.amdhsa_float_denorm_mode_32 3
		.amdhsa_float_denorm_mode_16_64 3
		.amdhsa_fp16_overflow 0
		.amdhsa_memory_ordered 1
		.amdhsa_forward_progress 1
		.amdhsa_inst_pref_size 31
		.amdhsa_round_robin_scheduling 0
		.amdhsa_exception_fp_ieee_invalid_op 0
		.amdhsa_exception_fp_denorm_src 0
		.amdhsa_exception_fp_ieee_div_zero 0
		.amdhsa_exception_fp_ieee_overflow 0
		.amdhsa_exception_fp_ieee_underflow 0
		.amdhsa_exception_fp_ieee_inexact 0
		.amdhsa_exception_int_div_zero 0
	.end_amdhsa_kernel
	.section	.text._ZN2at6native29vectorized_elementwise_kernelILi4ENS0_13AUnaryFunctorIffbNS0_12_GLOBAL__N_116CompareEqFunctorIfEEEESt5arrayIPcLm2EEEEviT0_T1_,"axG",@progbits,_ZN2at6native29vectorized_elementwise_kernelILi4ENS0_13AUnaryFunctorIffbNS0_12_GLOBAL__N_116CompareEqFunctorIfEEEESt5arrayIPcLm2EEEEviT0_T1_,comdat
.Lfunc_end106:
	.size	_ZN2at6native29vectorized_elementwise_kernelILi4ENS0_13AUnaryFunctorIffbNS0_12_GLOBAL__N_116CompareEqFunctorIfEEEESt5arrayIPcLm2EEEEviT0_T1_, .Lfunc_end106-_ZN2at6native29vectorized_elementwise_kernelILi4ENS0_13AUnaryFunctorIffbNS0_12_GLOBAL__N_116CompareEqFunctorIfEEEESt5arrayIPcLm2EEEEviT0_T1_
                                        ; -- End function
	.set _ZN2at6native29vectorized_elementwise_kernelILi4ENS0_13AUnaryFunctorIffbNS0_12_GLOBAL__N_116CompareEqFunctorIfEEEESt5arrayIPcLm2EEEEviT0_T1_.num_vgpr, 33
	.set _ZN2at6native29vectorized_elementwise_kernelILi4ENS0_13AUnaryFunctorIffbNS0_12_GLOBAL__N_116CompareEqFunctorIfEEEESt5arrayIPcLm2EEEEviT0_T1_.num_agpr, 0
	.set _ZN2at6native29vectorized_elementwise_kernelILi4ENS0_13AUnaryFunctorIffbNS0_12_GLOBAL__N_116CompareEqFunctorIfEEEESt5arrayIPcLm2EEEEviT0_T1_.numbered_sgpr, 14
	.set _ZN2at6native29vectorized_elementwise_kernelILi4ENS0_13AUnaryFunctorIffbNS0_12_GLOBAL__N_116CompareEqFunctorIfEEEESt5arrayIPcLm2EEEEviT0_T1_.num_named_barrier, 0
	.set _ZN2at6native29vectorized_elementwise_kernelILi4ENS0_13AUnaryFunctorIffbNS0_12_GLOBAL__N_116CompareEqFunctorIfEEEESt5arrayIPcLm2EEEEviT0_T1_.private_seg_size, 0
	.set _ZN2at6native29vectorized_elementwise_kernelILi4ENS0_13AUnaryFunctorIffbNS0_12_GLOBAL__N_116CompareEqFunctorIfEEEESt5arrayIPcLm2EEEEviT0_T1_.uses_vcc, 1
	.set _ZN2at6native29vectorized_elementwise_kernelILi4ENS0_13AUnaryFunctorIffbNS0_12_GLOBAL__N_116CompareEqFunctorIfEEEESt5arrayIPcLm2EEEEviT0_T1_.uses_flat_scratch, 0
	.set _ZN2at6native29vectorized_elementwise_kernelILi4ENS0_13AUnaryFunctorIffbNS0_12_GLOBAL__N_116CompareEqFunctorIfEEEESt5arrayIPcLm2EEEEviT0_T1_.has_dyn_sized_stack, 0
	.set _ZN2at6native29vectorized_elementwise_kernelILi4ENS0_13AUnaryFunctorIffbNS0_12_GLOBAL__N_116CompareEqFunctorIfEEEESt5arrayIPcLm2EEEEviT0_T1_.has_recursion, 0
	.set _ZN2at6native29vectorized_elementwise_kernelILi4ENS0_13AUnaryFunctorIffbNS0_12_GLOBAL__N_116CompareEqFunctorIfEEEESt5arrayIPcLm2EEEEviT0_T1_.has_indirect_call, 0
	.section	.AMDGPU.csdata,"",@progbits
; Kernel info:
; codeLenInByte = 3956
; TotalNumSgprs: 16
; NumVgprs: 33
; ScratchSize: 0
; MemoryBound: 0
; FloatMode: 240
; IeeeMode: 1
; LDSByteSize: 0 bytes/workgroup (compile time only)
; SGPRBlocks: 0
; VGPRBlocks: 2
; NumSGPRsForWavesPerEU: 16
; NumVGPRsForWavesPerEU: 33
; NamedBarCnt: 0
; Occupancy: 16
; WaveLimiterHint : 1
; COMPUTE_PGM_RSRC2:SCRATCH_EN: 0
; COMPUTE_PGM_RSRC2:USER_SGPR: 2
; COMPUTE_PGM_RSRC2:TRAP_HANDLER: 0
; COMPUTE_PGM_RSRC2:TGID_X_EN: 1
; COMPUTE_PGM_RSRC2:TGID_Y_EN: 0
; COMPUTE_PGM_RSRC2:TGID_Z_EN: 0
; COMPUTE_PGM_RSRC2:TIDIG_COMP_CNT: 0
	.section	.text._ZN2at6native29vectorized_elementwise_kernelILi2ENS0_13AUnaryFunctorIffbNS0_12_GLOBAL__N_116CompareEqFunctorIfEEEESt5arrayIPcLm2EEEEviT0_T1_,"axG",@progbits,_ZN2at6native29vectorized_elementwise_kernelILi2ENS0_13AUnaryFunctorIffbNS0_12_GLOBAL__N_116CompareEqFunctorIfEEEESt5arrayIPcLm2EEEEviT0_T1_,comdat
	.globl	_ZN2at6native29vectorized_elementwise_kernelILi2ENS0_13AUnaryFunctorIffbNS0_12_GLOBAL__N_116CompareEqFunctorIfEEEESt5arrayIPcLm2EEEEviT0_T1_ ; -- Begin function _ZN2at6native29vectorized_elementwise_kernelILi2ENS0_13AUnaryFunctorIffbNS0_12_GLOBAL__N_116CompareEqFunctorIfEEEESt5arrayIPcLm2EEEEviT0_T1_
	.p2align	8
	.type	_ZN2at6native29vectorized_elementwise_kernelILi2ENS0_13AUnaryFunctorIffbNS0_12_GLOBAL__N_116CompareEqFunctorIfEEEESt5arrayIPcLm2EEEEviT0_T1_,@function
_ZN2at6native29vectorized_elementwise_kernelILi2ENS0_13AUnaryFunctorIffbNS0_12_GLOBAL__N_116CompareEqFunctorIfEEEESt5arrayIPcLm2EEEEviT0_T1_: ; @_ZN2at6native29vectorized_elementwise_kernelILi2ENS0_13AUnaryFunctorIffbNS0_12_GLOBAL__N_116CompareEqFunctorIfEEEESt5arrayIPcLm2EEEEviT0_T1_
; %bb.0:
	s_clause 0x1
	s_load_b96 s[8:10], s[0:1], 0x0
	s_load_b128 s[4:7], s[0:1], 0x10
	s_wait_xcnt 0x0
	s_bfe_u32 s0, ttmp6, 0x4000c
	s_and_b32 s1, ttmp6, 15
	s_add_co_i32 s0, s0, 1
	s_getreg_b32 s2, hwreg(HW_REG_IB_STS2, 6, 4)
	s_mul_i32 s0, ttmp9, s0
	s_mov_b32 s11, -1
	s_add_co_i32 s1, s1, s0
	s_cmp_eq_u32 s2, 0
	s_cselect_b32 s0, ttmp9, s1
	s_delay_alu instid0(SALU_CYCLE_1) | instskip(SKIP_2) | instid1(SALU_CYCLE_1)
	s_lshl_b32 s2, s0, 12
	s_wait_kmcnt 0x0
	s_sub_co_i32 s8, s8, s2
	s_cmp_gt_i32 s8, 0xfff
	s_cbranch_scc0 .LBB107_2
; %bb.1:
	s_ashr_i32 s3, s2, 31
	s_mov_b32 s11, 0
	s_lshl_b64 s[0:1], s[2:3], 2
	s_cmp_eq_u32 s9, 0
	s_add_nc_u64 s[0:1], s[6:7], s[0:1]
	s_clause 0x7
	global_load_b64 v[2:3], v0, s[0:1] scale_offset
	global_load_b64 v[4:5], v0, s[0:1] offset:2048 scale_offset
	global_load_b64 v[6:7], v0, s[0:1] offset:4096 scale_offset
	;; [unrolled: 1-line block ×7, first 2 shown]
	s_wait_xcnt 0x0
	s_add_nc_u64 s[0:1], s[4:5], s[2:3]
	s_wait_loadcnt 0x7
	v_cmp_eq_f32_e32 vcc_lo, s10, v2
	v_cndmask_b32_e64 v1, 0, 1, vcc_lo
	v_cmp_neq_f32_e32 vcc_lo, s10, v2
	v_cndmask_b32_e64 v2, 0, 1, vcc_lo
	v_cmp_eq_f32_e32 vcc_lo, s10, v3
	v_cndmask_b32_e64 v18, 0, 1, vcc_lo
	v_cmp_neq_f32_e32 vcc_lo, s10, v3
	v_cndmask_b32_e64 v3, 0, 1, vcc_lo
	s_wait_loadcnt 0x6
	v_cmp_eq_f32_e32 vcc_lo, s10, v4
	v_cndmask_b32_e64 v19, 0, 1, vcc_lo
	v_cmp_neq_f32_e32 vcc_lo, s10, v4
	v_cndmask_b32_e64 v4, 0, 1, vcc_lo
	v_cmp_eq_f32_e32 vcc_lo, s10, v5
	v_cndmask_b32_e64 v20, 0, 1, vcc_lo
	v_cmp_neq_f32_e32 vcc_lo, s10, v5
	v_cndmask_b32_e64 v5, 0, 1, vcc_lo
	;; [unrolled: 9-line block ×8, first 2 shown]
	s_cselect_b32 vcc_lo, -1, 0
	v_dual_cndmask_b32 v1, v2, v1 :: v_dual_cndmask_b32 v2, v3, v18
	v_dual_cndmask_b32 v3, v4, v19 :: v_dual_cndmask_b32 v4, v5, v20
	;; [unrolled: 1-line block ×3, first 2 shown]
	s_delay_alu instid0(VALU_DEP_3)
	v_dual_cndmask_b32 v7, v8, v23, vcc_lo :: v_dual_bitop2_b32 v2, 1, v2 bitop3:0x40
	v_dual_cndmask_b32 v8, v9, v24 :: v_dual_cndmask_b32 v9, v10, v25
	v_dual_cndmask_b32 v10, v11, v26 :: v_dual_cndmask_b32 v11, v12, v27
	;; [unrolled: 1-line block ×4, first 2 shown]
	v_cndmask_b32_e32 v16, v17, v32, vcc_lo
	v_and_b32_e32 v4, 1, v4
	v_cmp_eq_u32_e32 vcc_lo, 1, v2
	v_and_b32_e32 v6, 1, v6
	v_and_b32_e32 v8, 1, v8
	;; [unrolled: 1-line block ×4, first 2 shown]
	v_cndmask_b32_e64 v2, 0, 0x100, vcc_lo
	v_cmp_eq_u32_e32 vcc_lo, 1, v4
	v_and_b32_e32 v14, 1, v14
	v_and_b32_e32 v16, 1, v16
	s_delay_alu instid0(VALU_DEP_4) | instskip(SKIP_2) | instid1(VALU_DEP_2)
	v_bitop3_b16 v1, v2, v1, 1 bitop3:0xf8
	v_cndmask_b32_e64 v4, 0, 0x100, vcc_lo
	v_cmp_eq_u32_e32 vcc_lo, 1, v6
	v_bitop3_b16 v2, v4, v3, 1 bitop3:0xf8
	v_cndmask_b32_e64 v6, 0, 0x100, vcc_lo
	v_cmp_eq_u32_e32 vcc_lo, 1, v8
	s_delay_alu instid0(VALU_DEP_2) | instskip(SKIP_2) | instid1(VALU_DEP_2)
	v_bitop3_b16 v3, v6, v5, 1 bitop3:0xf8
	v_cndmask_b32_e64 v8, 0, 0x100, vcc_lo
	v_cmp_eq_u32_e32 vcc_lo, 1, v10
	v_bitop3_b16 v4, v8, v7, 1 bitop3:0xf8
	v_cndmask_b32_e64 v10, 0, 0x100, vcc_lo
	v_cmp_eq_u32_e32 vcc_lo, 1, v12
	s_delay_alu instid0(VALU_DEP_2) | instskip(SKIP_2) | instid1(VALU_DEP_2)
	v_bitop3_b16 v5, v10, v9, 1 bitop3:0xf8
	v_cndmask_b32_e64 v12, 0, 0x100, vcc_lo
	v_cmp_eq_u32_e32 vcc_lo, 1, v14
	v_bitop3_b16 v6, v12, v11, 1 bitop3:0xf8
	v_cndmask_b32_e64 v14, 0, 0x100, vcc_lo
	v_cmp_eq_u32_e32 vcc_lo, 1, v16
	s_delay_alu instid0(VALU_DEP_2) | instskip(SKIP_1) | instid1(VALU_DEP_1)
	v_bitop3_b16 v7, v14, v13, 1 bitop3:0xf8
	v_cndmask_b32_e64 v16, 0, 0x100, vcc_lo
	v_bitop3_b16 v8, v16, v15, 1 bitop3:0xf8
	s_clause 0x7
	global_store_b16 v0, v1, s[0:1] scale_offset
	global_store_b16 v0, v2, s[0:1] offset:512 scale_offset
	global_store_b16 v0, v3, s[0:1] offset:1024 scale_offset
	;; [unrolled: 1-line block ×7, first 2 shown]
.LBB107_2:
	s_and_not1_b32 vcc_lo, exec_lo, s11
	s_cbranch_vccnz .LBB107_52
; %bb.3:
	s_wait_xcnt 0x0
	v_cmp_gt_i32_e64 s0, s8, v0
	v_dual_mov_b32 v10, 0 :: v_dual_bitop2_b32 v14, s2, v0 bitop3:0x54
	v_or_b32_e32 v15, 0x100, v0
	v_dual_mov_b32 v18, 0 :: v_dual_mov_b32 v19, v0
	s_and_saveexec_b32 s1, s0
	s_cbranch_execz .LBB107_5
; %bb.4:
	global_load_b32 v18, v14, s[6:7] scale_offset
	v_or_b32_e32 v19, 0x100, v0
.LBB107_5:
	s_wait_xcnt 0x0
	s_or_b32 exec_lo, exec_lo, s1
	s_delay_alu instid0(SALU_CYCLE_1) | instskip(NEXT) | instid1(VALU_DEP_1)
	s_mov_b32 s1, exec_lo
	v_cmpx_gt_i32_e64 s8, v19
	s_cbranch_execz .LBB107_7
; %bb.6:
	v_add_nc_u32_e32 v1, s2, v19
	v_add_nc_u32_e32 v19, 0x100, v19
	global_load_b32 v10, v1, s[6:7] scale_offset
.LBB107_7:
	s_wait_xcnt 0x0
	s_or_b32 exec_lo, exec_lo, s1
	v_dual_mov_b32 v9, 0 :: v_dual_mov_b32 v17, 0
	s_mov_b32 s1, exec_lo
	v_cmpx_gt_i32_e64 s8, v19
	s_cbranch_execz .LBB107_9
; %bb.8:
	v_add_nc_u32_e32 v1, s2, v19
	v_add_nc_u32_e32 v19, 0x100, v19
	global_load_b32 v17, v1, s[6:7] scale_offset
.LBB107_9:
	s_wait_xcnt 0x0
	s_or_b32 exec_lo, exec_lo, s1
	s_delay_alu instid0(SALU_CYCLE_1)
	s_mov_b32 s1, exec_lo
	v_cmpx_gt_i32_e64 s8, v19
	s_cbranch_execz .LBB107_11
; %bb.10:
	v_add_nc_u32_e32 v1, s2, v19
	v_add_nc_u32_e32 v19, 0x100, v19
	global_load_b32 v9, v1, s[6:7] scale_offset
.LBB107_11:
	s_wait_xcnt 0x0
	s_or_b32 exec_lo, exec_lo, s1
	v_dual_mov_b32 v7, 0 :: v_dual_mov_b32 v16, 0
	s_mov_b32 s1, exec_lo
	v_cmpx_gt_i32_e64 s8, v19
	s_cbranch_execz .LBB107_13
; %bb.12:
	v_add_nc_u32_e32 v1, s2, v19
	v_add_nc_u32_e32 v19, 0x100, v19
	global_load_b32 v16, v1, s[6:7] scale_offset
.LBB107_13:
	s_wait_xcnt 0x0
	s_or_b32 exec_lo, exec_lo, s1
	s_delay_alu instid0(SALU_CYCLE_1)
	;; [unrolled: 22-line block ×7, first 2 shown]
	s_mov_b32 s1, exec_lo
	v_cmpx_gt_i32_e64 s8, v19
	s_cbranch_execz .LBB107_35
; %bb.34:
	v_add_nc_u32_e32 v1, s2, v19
	global_load_b32 v1, v1, s[6:7] scale_offset
.LBB107_35:
	s_wait_xcnt 0x0
	s_or_b32 exec_lo, exec_lo, s1
	s_cmp_eq_u32 s9, 0
	s_cselect_b32 vcc_lo, -1, 0
	s_and_saveexec_b32 s1, s0
	s_cbranch_execnz .LBB107_53
; %bb.36:
	s_or_b32 exec_lo, exec_lo, s1
	s_delay_alu instid0(SALU_CYCLE_1)
	s_mov_b32 s1, exec_lo
	v_cmpx_gt_i32_e64 s8, v0
	s_cbranch_execnz .LBB107_54
.LBB107_37:
	s_or_b32 exec_lo, exec_lo, s1
	s_delay_alu instid0(SALU_CYCLE_1)
	s_mov_b32 s1, exec_lo
	v_cmpx_gt_i32_e64 s8, v0
	s_cbranch_execnz .LBB107_55
.LBB107_38:
	s_or_b32 exec_lo, exec_lo, s1
	s_delay_alu instid0(SALU_CYCLE_1)
	s_mov_b32 s1, exec_lo
	v_cmpx_gt_i32_e64 s8, v0
	s_cbranch_execnz .LBB107_56
.LBB107_39:
	s_or_b32 exec_lo, exec_lo, s1
	s_delay_alu instid0(SALU_CYCLE_1)
	s_mov_b32 s1, exec_lo
	v_cmpx_gt_i32_e64 s8, v0
	s_cbranch_execnz .LBB107_57
.LBB107_40:
	s_or_b32 exec_lo, exec_lo, s1
	s_delay_alu instid0(SALU_CYCLE_1)
	s_mov_b32 s1, exec_lo
	v_cmpx_gt_i32_e64 s8, v0
	s_cbranch_execnz .LBB107_58
.LBB107_41:
	s_or_b32 exec_lo, exec_lo, s1
	s_delay_alu instid0(SALU_CYCLE_1)
	s_mov_b32 s1, exec_lo
	v_cmpx_gt_i32_e64 s8, v0
	s_cbranch_execnz .LBB107_59
.LBB107_42:
	s_or_b32 exec_lo, exec_lo, s1
	s_delay_alu instid0(SALU_CYCLE_1)
	s_mov_b32 s1, exec_lo
	v_cmpx_gt_i32_e64 s8, v0
	s_cbranch_execnz .LBB107_60
.LBB107_43:
	s_or_b32 exec_lo, exec_lo, s1
	s_delay_alu instid0(SALU_CYCLE_1)
	s_mov_b32 s1, exec_lo
	v_cmpx_gt_i32_e64 s8, v0
	s_cbranch_execnz .LBB107_61
.LBB107_44:
	s_or_b32 exec_lo, exec_lo, s1
	s_delay_alu instid0(SALU_CYCLE_1)
	s_mov_b32 s1, exec_lo
	v_cmpx_gt_i32_e64 s8, v0
	s_cbranch_execnz .LBB107_62
.LBB107_45:
	s_or_b32 exec_lo, exec_lo, s1
	s_delay_alu instid0(SALU_CYCLE_1)
	s_mov_b32 s1, exec_lo
	v_cmpx_gt_i32_e64 s8, v0
	s_cbranch_execnz .LBB107_63
.LBB107_46:
	s_or_b32 exec_lo, exec_lo, s1
	s_delay_alu instid0(SALU_CYCLE_1)
	s_mov_b32 s1, exec_lo
	v_cmpx_gt_i32_e64 s8, v0
	s_cbranch_execnz .LBB107_64
.LBB107_47:
	s_or_b32 exec_lo, exec_lo, s1
	s_delay_alu instid0(SALU_CYCLE_1)
	s_mov_b32 s1, exec_lo
	v_cmpx_gt_i32_e64 s8, v0
	s_cbranch_execnz .LBB107_65
.LBB107_48:
	s_or_b32 exec_lo, exec_lo, s1
	s_delay_alu instid0(SALU_CYCLE_1)
	s_mov_b32 s1, exec_lo
	v_cmpx_gt_i32_e64 s8, v0
	s_cbranch_execnz .LBB107_66
.LBB107_49:
	s_or_b32 exec_lo, exec_lo, s1
	s_delay_alu instid0(SALU_CYCLE_1)
	s_mov_b32 s1, exec_lo
	v_cmpx_gt_i32_e64 s8, v0
	s_cbranch_execnz .LBB107_67
.LBB107_50:
	s_or_b32 exec_lo, exec_lo, s1
	s_delay_alu instid0(SALU_CYCLE_1)
	s_mov_b32 s1, exec_lo
	v_cmpx_gt_i32_e64 s8, v0
	s_cbranch_execz .LBB107_52
.LBB107_51:
	s_wait_loadcnt 0x0
	v_cmp_eq_f32_e64 s0, s10, v1
	v_add_nc_u32_e32 v0, s2, v0
	s_delay_alu instid0(VALU_DEP_2) | instskip(SKIP_1) | instid1(VALU_DEP_1)
	v_cndmask_b32_e64 v2, 0, 1, s0
	v_cmp_neq_f32_e64 s0, s10, v1
	v_cndmask_b32_e64 v1, 0, 1, s0
	s_delay_alu instid0(VALU_DEP_1) | instskip(NEXT) | instid1(VALU_DEP_1)
	v_cndmask_b32_e32 v1, v1, v2, vcc_lo
	v_and_b32_e32 v1, 1, v1
	global_store_b8 v0, v1, s[4:5]
.LBB107_52:
	s_endpgm
.LBB107_53:
	s_wait_loadcnt 0x0
	v_cmp_eq_f32_e64 s0, s10, v18
	s_delay_alu instid0(VALU_DEP_1) | instskip(SKIP_1) | instid1(VALU_DEP_1)
	v_cndmask_b32_e64 v0, 0, 1, s0
	v_cmp_neq_f32_e64 s0, s10, v18
	v_cndmask_b32_e64 v18, 0, 1, s0
	s_delay_alu instid0(VALU_DEP_1) | instskip(NEXT) | instid1(VALU_DEP_1)
	v_cndmask_b32_e32 v0, v18, v0, vcc_lo
	v_dual_mov_b32 v0, v15 :: v_dual_bitop2_b32 v18, 1, v0 bitop3:0x40
	global_store_b8 v14, v18, s[4:5]
	s_wait_xcnt 0x0
	s_or_b32 exec_lo, exec_lo, s1
	s_delay_alu instid0(SALU_CYCLE_1)
	s_mov_b32 s1, exec_lo
	v_cmpx_gt_i32_e64 s8, v0
	s_cbranch_execz .LBB107_37
.LBB107_54:
	s_wait_loadcnt 0x0
	v_cmp_eq_f32_e64 s0, s10, v10
	s_delay_alu instid0(VALU_DEP_1) | instskip(SKIP_1) | instid1(VALU_DEP_1)
	v_cndmask_b32_e64 v14, 0, 1, s0
	v_cmp_neq_f32_e64 s0, s10, v10
	v_cndmask_b32_e64 v10, 0, 1, s0
	s_delay_alu instid0(VALU_DEP_1) | instskip(SKIP_1) | instid1(VALU_DEP_2)
	v_dual_cndmask_b32 v10, v10, v14, vcc_lo :: v_dual_add_nc_u32 v14, s2, v0
	v_add_nc_u32_e32 v0, 0x100, v0
	v_and_b32_e32 v10, 1, v10
	global_store_b8 v14, v10, s[4:5]
	s_wait_xcnt 0x0
	s_or_b32 exec_lo, exec_lo, s1
	s_delay_alu instid0(SALU_CYCLE_1)
	s_mov_b32 s1, exec_lo
	v_cmpx_gt_i32_e64 s8, v0
	s_cbranch_execz .LBB107_38
.LBB107_55:
	s_wait_loadcnt 0x0
	v_cmp_eq_f32_e64 s0, s10, v17
	s_delay_alu instid0(VALU_DEP_1) | instskip(SKIP_1) | instid1(VALU_DEP_1)
	v_cndmask_b32_e64 v10, 0, 1, s0
	v_cmp_neq_f32_e64 s0, s10, v17
	v_cndmask_b32_e64 v14, 0, 1, s0
	s_delay_alu instid0(VALU_DEP_1) | instskip(SKIP_1) | instid1(VALU_DEP_2)
	v_dual_cndmask_b32 v10, v14, v10, vcc_lo :: v_dual_add_nc_u32 v14, s2, v0
	v_add_nc_u32_e32 v0, 0x100, v0
	v_and_b32_e32 v10, 1, v10
	global_store_b8 v14, v10, s[4:5]
	s_wait_xcnt 0x0
	s_or_b32 exec_lo, exec_lo, s1
	s_delay_alu instid0(SALU_CYCLE_1)
	s_mov_b32 s1, exec_lo
	v_cmpx_gt_i32_e64 s8, v0
	s_cbranch_execz .LBB107_39
.LBB107_56:
	s_wait_loadcnt 0x0
	v_cmp_eq_f32_e64 s0, s10, v9
	s_delay_alu instid0(VALU_DEP_1) | instskip(SKIP_1) | instid1(VALU_DEP_1)
	v_cndmask_b32_e64 v10, 0, 1, s0
	v_cmp_neq_f32_e64 s0, s10, v9
	v_cndmask_b32_e64 v9, 0, 1, s0
	s_delay_alu instid0(VALU_DEP_1) | instskip(SKIP_1) | instid1(VALU_DEP_2)
	v_dual_cndmask_b32 v9, v9, v10 :: v_dual_add_nc_u32 v10, s2, v0
	v_add_nc_u32_e32 v0, 0x100, v0
	v_and_b32_e32 v9, 1, v9
	global_store_b8 v10, v9, s[4:5]
	s_wait_xcnt 0x0
	s_or_b32 exec_lo, exec_lo, s1
	s_delay_alu instid0(SALU_CYCLE_1)
	s_mov_b32 s1, exec_lo
	v_cmpx_gt_i32_e64 s8, v0
	s_cbranch_execz .LBB107_40
.LBB107_57:
	s_wait_loadcnt 0x0
	v_cmp_eq_f32_e64 s0, s10, v16
	s_delay_alu instid0(VALU_DEP_1) | instskip(SKIP_1) | instid1(VALU_DEP_1)
	v_cndmask_b32_e64 v9, 0, 1, s0
	v_cmp_neq_f32_e64 s0, s10, v16
	v_cndmask_b32_e64 v10, 0, 1, s0
	s_delay_alu instid0(VALU_DEP_1) | instskip(SKIP_1) | instid1(VALU_DEP_2)
	v_dual_cndmask_b32 v9, v10, v9 :: v_dual_add_nc_u32 v10, s2, v0
	v_add_nc_u32_e32 v0, 0x100, v0
	v_and_b32_e32 v9, 1, v9
	global_store_b8 v10, v9, s[4:5]
	s_wait_xcnt 0x0
	s_or_b32 exec_lo, exec_lo, s1
	s_delay_alu instid0(SALU_CYCLE_1)
	s_mov_b32 s1, exec_lo
	v_cmpx_gt_i32_e64 s8, v0
	s_cbranch_execz .LBB107_41
.LBB107_58:
	s_wait_loadcnt 0x0
	v_cmp_eq_f32_e64 s0, s10, v7
	s_delay_alu instid0(VALU_DEP_1) | instskip(SKIP_1) | instid1(VALU_DEP_1)
	v_cndmask_b32_e64 v9, 0, 1, s0
	v_cmp_neq_f32_e64 s0, s10, v7
	v_cndmask_b32_e64 v7, 0, 1, s0
	s_delay_alu instid0(VALU_DEP_1) | instskip(SKIP_1) | instid1(VALU_DEP_2)
	v_dual_cndmask_b32 v7, v7, v9, vcc_lo :: v_dual_add_nc_u32 v9, s2, v0
	v_add_nc_u32_e32 v0, 0x100, v0
	v_and_b32_e32 v7, 1, v7
	global_store_b8 v9, v7, s[4:5]
	s_wait_xcnt 0x0
	s_or_b32 exec_lo, exec_lo, s1
	s_delay_alu instid0(SALU_CYCLE_1)
	s_mov_b32 s1, exec_lo
	v_cmpx_gt_i32_e64 s8, v0
	s_cbranch_execz .LBB107_42
.LBB107_59:
	s_wait_loadcnt 0x0
	v_cmp_eq_f32_e64 s0, s10, v13
	s_delay_alu instid0(VALU_DEP_1) | instskip(SKIP_1) | instid1(VALU_DEP_1)
	v_cndmask_b32_e64 v7, 0, 1, s0
	v_cmp_neq_f32_e64 s0, s10, v13
	v_cndmask_b32_e64 v9, 0, 1, s0
	s_delay_alu instid0(VALU_DEP_1) | instskip(SKIP_1) | instid1(VALU_DEP_2)
	v_dual_cndmask_b32 v7, v9, v7, vcc_lo :: v_dual_add_nc_u32 v9, s2, v0
	v_add_nc_u32_e32 v0, 0x100, v0
	v_and_b32_e32 v7, 1, v7
	global_store_b8 v9, v7, s[4:5]
	s_wait_xcnt 0x0
	s_or_b32 exec_lo, exec_lo, s1
	s_delay_alu instid0(SALU_CYCLE_1)
	s_mov_b32 s1, exec_lo
	v_cmpx_gt_i32_e64 s8, v0
	s_cbranch_execz .LBB107_43
.LBB107_60:
	s_wait_loadcnt 0x0
	v_cmp_eq_f32_e64 s0, s10, v5
	s_delay_alu instid0(VALU_DEP_1) | instskip(SKIP_1) | instid1(VALU_DEP_1)
	v_cndmask_b32_e64 v7, 0, 1, s0
	v_cmp_neq_f32_e64 s0, s10, v5
	v_cndmask_b32_e64 v5, 0, 1, s0
	s_delay_alu instid0(VALU_DEP_1) | instskip(SKIP_1) | instid1(VALU_DEP_2)
	v_dual_cndmask_b32 v5, v5, v7, vcc_lo :: v_dual_add_nc_u32 v7, s2, v0
	v_add_nc_u32_e32 v0, 0x100, v0
	v_and_b32_e32 v5, 1, v5
	global_store_b8 v7, v5, s[4:5]
	s_wait_xcnt 0x0
	s_or_b32 exec_lo, exec_lo, s1
	s_delay_alu instid0(SALU_CYCLE_1)
	s_mov_b32 s1, exec_lo
	v_cmpx_gt_i32_e64 s8, v0
	s_cbranch_execz .LBB107_44
.LBB107_61:
	s_wait_loadcnt 0x0
	v_cmp_eq_f32_e64 s0, s10, v12
	s_delay_alu instid0(VALU_DEP_1) | instskip(SKIP_1) | instid1(VALU_DEP_1)
	v_cndmask_b32_e64 v5, 0, 1, s0
	v_cmp_neq_f32_e64 s0, s10, v12
	v_cndmask_b32_e64 v7, 0, 1, s0
	s_delay_alu instid0(VALU_DEP_1) | instskip(SKIP_1) | instid1(VALU_DEP_2)
	v_dual_cndmask_b32 v5, v7, v5, vcc_lo :: v_dual_add_nc_u32 v7, s2, v0
	v_add_nc_u32_e32 v0, 0x100, v0
	v_and_b32_e32 v5, 1, v5
	global_store_b8 v7, v5, s[4:5]
	s_wait_xcnt 0x0
	s_or_b32 exec_lo, exec_lo, s1
	s_delay_alu instid0(SALU_CYCLE_1)
	s_mov_b32 s1, exec_lo
	v_cmpx_gt_i32_e64 s8, v0
	s_cbranch_execz .LBB107_45
.LBB107_62:
	s_wait_loadcnt 0x0
	v_cmp_eq_f32_e64 s0, s10, v4
	s_delay_alu instid0(VALU_DEP_1) | instskip(SKIP_1) | instid1(VALU_DEP_1)
	v_cndmask_b32_e64 v5, 0, 1, s0
	v_cmp_neq_f32_e64 s0, s10, v4
	v_cndmask_b32_e64 v4, 0, 1, s0
	s_delay_alu instid0(VALU_DEP_1) | instskip(SKIP_1) | instid1(VALU_DEP_2)
	v_dual_cndmask_b32 v4, v4, v5 :: v_dual_add_nc_u32 v5, s2, v0
	v_add_nc_u32_e32 v0, 0x100, v0
	v_and_b32_e32 v4, 1, v4
	global_store_b8 v5, v4, s[4:5]
	s_wait_xcnt 0x0
	s_or_b32 exec_lo, exec_lo, s1
	s_delay_alu instid0(SALU_CYCLE_1)
	s_mov_b32 s1, exec_lo
	v_cmpx_gt_i32_e64 s8, v0
	s_cbranch_execz .LBB107_46
.LBB107_63:
	s_wait_loadcnt 0x0
	v_cmp_eq_f32_e64 s0, s10, v11
	s_delay_alu instid0(VALU_DEP_1) | instskip(SKIP_1) | instid1(VALU_DEP_1)
	v_cndmask_b32_e64 v4, 0, 1, s0
	v_cmp_neq_f32_e64 s0, s10, v11
	v_cndmask_b32_e64 v5, 0, 1, s0
	s_delay_alu instid0(VALU_DEP_1) | instskip(SKIP_2) | instid1(VALU_DEP_3)
	v_cndmask_b32_e32 v4, v5, v4, vcc_lo
	v_add_nc_u32_e32 v5, s2, v0
	v_add_nc_u32_e32 v0, 0x100, v0
	v_and_b32_e32 v4, 1, v4
	global_store_b8 v5, v4, s[4:5]
	s_wait_xcnt 0x0
	s_or_b32 exec_lo, exec_lo, s1
	s_delay_alu instid0(SALU_CYCLE_1)
	s_mov_b32 s1, exec_lo
	v_cmpx_gt_i32_e64 s8, v0
	s_cbranch_execz .LBB107_47
.LBB107_64:
	s_wait_loadcnt 0x0
	v_cmp_eq_f32_e64 s0, s10, v3
	s_delay_alu instid0(VALU_DEP_1) | instskip(SKIP_1) | instid1(VALU_DEP_1)
	v_cndmask_b32_e64 v4, 0, 1, s0
	v_cmp_neq_f32_e64 s0, s10, v3
	v_cndmask_b32_e64 v3, 0, 1, s0
	s_delay_alu instid0(VALU_DEP_1) | instskip(SKIP_2) | instid1(VALU_DEP_3)
	v_cndmask_b32_e32 v3, v3, v4, vcc_lo
	v_add_nc_u32_e32 v4, s2, v0
	v_add_nc_u32_e32 v0, 0x100, v0
	v_and_b32_e32 v3, 1, v3
	global_store_b8 v4, v3, s[4:5]
	s_wait_xcnt 0x0
	s_or_b32 exec_lo, exec_lo, s1
	s_delay_alu instid0(SALU_CYCLE_1)
	s_mov_b32 s1, exec_lo
	v_cmpx_gt_i32_e64 s8, v0
	s_cbranch_execz .LBB107_48
.LBB107_65:
	s_wait_loadcnt 0x0
	v_cmp_eq_f32_e64 s0, s10, v8
	s_delay_alu instid0(VALU_DEP_1) | instskip(SKIP_1) | instid1(VALU_DEP_1)
	v_cndmask_b32_e64 v3, 0, 1, s0
	v_cmp_neq_f32_e64 s0, s10, v8
	v_cndmask_b32_e64 v4, 0, 1, s0
	s_delay_alu instid0(VALU_DEP_1) | instskip(SKIP_1) | instid1(VALU_DEP_2)
	v_dual_cndmask_b32 v3, v4, v3 :: v_dual_add_nc_u32 v4, s2, v0
	v_add_nc_u32_e32 v0, 0x100, v0
	v_and_b32_e32 v3, 1, v3
	global_store_b8 v4, v3, s[4:5]
	s_wait_xcnt 0x0
	s_or_b32 exec_lo, exec_lo, s1
	s_delay_alu instid0(SALU_CYCLE_1)
	s_mov_b32 s1, exec_lo
	v_cmpx_gt_i32_e64 s8, v0
	s_cbranch_execz .LBB107_49
.LBB107_66:
	s_wait_loadcnt 0x0
	v_cmp_eq_f32_e64 s0, s10, v2
	s_delay_alu instid0(VALU_DEP_1) | instskip(SKIP_1) | instid1(VALU_DEP_1)
	v_cndmask_b32_e64 v3, 0, 1, s0
	v_cmp_neq_f32_e64 s0, s10, v2
	v_cndmask_b32_e64 v2, 0, 1, s0
	s_delay_alu instid0(VALU_DEP_1) | instskip(SKIP_1) | instid1(VALU_DEP_2)
	v_dual_cndmask_b32 v2, v2, v3 :: v_dual_add_nc_u32 v3, s2, v0
	v_add_nc_u32_e32 v0, 0x100, v0
	v_and_b32_e32 v2, 1, v2
	global_store_b8 v3, v2, s[4:5]
	s_wait_xcnt 0x0
	s_or_b32 exec_lo, exec_lo, s1
	s_delay_alu instid0(SALU_CYCLE_1)
	s_mov_b32 s1, exec_lo
	v_cmpx_gt_i32_e64 s8, v0
	s_cbranch_execz .LBB107_50
.LBB107_67:
	s_wait_loadcnt 0x0
	v_cmp_eq_f32_e64 s0, s10, v6
	s_delay_alu instid0(VALU_DEP_1) | instskip(SKIP_1) | instid1(VALU_DEP_1)
	v_cndmask_b32_e64 v2, 0, 1, s0
	v_cmp_neq_f32_e64 s0, s10, v6
	v_cndmask_b32_e64 v3, 0, 1, s0
	s_delay_alu instid0(VALU_DEP_1) | instskip(SKIP_1) | instid1(VALU_DEP_2)
	v_dual_cndmask_b32 v2, v3, v2 :: v_dual_add_nc_u32 v3, s2, v0
	v_add_nc_u32_e32 v0, 0x100, v0
	v_and_b32_e32 v2, 1, v2
	global_store_b8 v3, v2, s[4:5]
	s_wait_xcnt 0x0
	s_or_b32 exec_lo, exec_lo, s1
	s_delay_alu instid0(SALU_CYCLE_1)
	s_mov_b32 s1, exec_lo
	v_cmpx_gt_i32_e64 s8, v0
	s_cbranch_execnz .LBB107_51
	s_branch .LBB107_52
	.section	.rodata,"a",@progbits
	.p2align	6, 0x0
	.amdhsa_kernel _ZN2at6native29vectorized_elementwise_kernelILi2ENS0_13AUnaryFunctorIffbNS0_12_GLOBAL__N_116CompareEqFunctorIfEEEESt5arrayIPcLm2EEEEviT0_T1_
		.amdhsa_group_segment_fixed_size 0
		.amdhsa_private_segment_fixed_size 0
		.amdhsa_kernarg_size 32
		.amdhsa_user_sgpr_count 2
		.amdhsa_user_sgpr_dispatch_ptr 0
		.amdhsa_user_sgpr_queue_ptr 0
		.amdhsa_user_sgpr_kernarg_segment_ptr 1
		.amdhsa_user_sgpr_dispatch_id 0
		.amdhsa_user_sgpr_kernarg_preload_length 0
		.amdhsa_user_sgpr_kernarg_preload_offset 0
		.amdhsa_user_sgpr_private_segment_size 0
		.amdhsa_wavefront_size32 1
		.amdhsa_uses_dynamic_stack 0
		.amdhsa_enable_private_segment 0
		.amdhsa_system_sgpr_workgroup_id_x 1
		.amdhsa_system_sgpr_workgroup_id_y 0
		.amdhsa_system_sgpr_workgroup_id_z 0
		.amdhsa_system_sgpr_workgroup_info 0
		.amdhsa_system_vgpr_workitem_id 0
		.amdhsa_next_free_vgpr 33
		.amdhsa_next_free_sgpr 12
		.amdhsa_named_barrier_count 0
		.amdhsa_reserve_vcc 1
		.amdhsa_float_round_mode_32 0
		.amdhsa_float_round_mode_16_64 0
		.amdhsa_float_denorm_mode_32 3
		.amdhsa_float_denorm_mode_16_64 3
		.amdhsa_fp16_overflow 0
		.amdhsa_memory_ordered 1
		.amdhsa_forward_progress 1
		.amdhsa_inst_pref_size 32
		.amdhsa_round_robin_scheduling 0
		.amdhsa_exception_fp_ieee_invalid_op 0
		.amdhsa_exception_fp_denorm_src 0
		.amdhsa_exception_fp_ieee_div_zero 0
		.amdhsa_exception_fp_ieee_overflow 0
		.amdhsa_exception_fp_ieee_underflow 0
		.amdhsa_exception_fp_ieee_inexact 0
		.amdhsa_exception_int_div_zero 0
	.end_amdhsa_kernel
	.section	.text._ZN2at6native29vectorized_elementwise_kernelILi2ENS0_13AUnaryFunctorIffbNS0_12_GLOBAL__N_116CompareEqFunctorIfEEEESt5arrayIPcLm2EEEEviT0_T1_,"axG",@progbits,_ZN2at6native29vectorized_elementwise_kernelILi2ENS0_13AUnaryFunctorIffbNS0_12_GLOBAL__N_116CompareEqFunctorIfEEEESt5arrayIPcLm2EEEEviT0_T1_,comdat
.Lfunc_end107:
	.size	_ZN2at6native29vectorized_elementwise_kernelILi2ENS0_13AUnaryFunctorIffbNS0_12_GLOBAL__N_116CompareEqFunctorIfEEEESt5arrayIPcLm2EEEEviT0_T1_, .Lfunc_end107-_ZN2at6native29vectorized_elementwise_kernelILi2ENS0_13AUnaryFunctorIffbNS0_12_GLOBAL__N_116CompareEqFunctorIfEEEESt5arrayIPcLm2EEEEviT0_T1_
                                        ; -- End function
	.set _ZN2at6native29vectorized_elementwise_kernelILi2ENS0_13AUnaryFunctorIffbNS0_12_GLOBAL__N_116CompareEqFunctorIfEEEESt5arrayIPcLm2EEEEviT0_T1_.num_vgpr, 33
	.set _ZN2at6native29vectorized_elementwise_kernelILi2ENS0_13AUnaryFunctorIffbNS0_12_GLOBAL__N_116CompareEqFunctorIfEEEESt5arrayIPcLm2EEEEviT0_T1_.num_agpr, 0
	.set _ZN2at6native29vectorized_elementwise_kernelILi2ENS0_13AUnaryFunctorIffbNS0_12_GLOBAL__N_116CompareEqFunctorIfEEEESt5arrayIPcLm2EEEEviT0_T1_.numbered_sgpr, 12
	.set _ZN2at6native29vectorized_elementwise_kernelILi2ENS0_13AUnaryFunctorIffbNS0_12_GLOBAL__N_116CompareEqFunctorIfEEEESt5arrayIPcLm2EEEEviT0_T1_.num_named_barrier, 0
	.set _ZN2at6native29vectorized_elementwise_kernelILi2ENS0_13AUnaryFunctorIffbNS0_12_GLOBAL__N_116CompareEqFunctorIfEEEESt5arrayIPcLm2EEEEviT0_T1_.private_seg_size, 0
	.set _ZN2at6native29vectorized_elementwise_kernelILi2ENS0_13AUnaryFunctorIffbNS0_12_GLOBAL__N_116CompareEqFunctorIfEEEESt5arrayIPcLm2EEEEviT0_T1_.uses_vcc, 1
	.set _ZN2at6native29vectorized_elementwise_kernelILi2ENS0_13AUnaryFunctorIffbNS0_12_GLOBAL__N_116CompareEqFunctorIfEEEESt5arrayIPcLm2EEEEviT0_T1_.uses_flat_scratch, 0
	.set _ZN2at6native29vectorized_elementwise_kernelILi2ENS0_13AUnaryFunctorIffbNS0_12_GLOBAL__N_116CompareEqFunctorIfEEEESt5arrayIPcLm2EEEEviT0_T1_.has_dyn_sized_stack, 0
	.set _ZN2at6native29vectorized_elementwise_kernelILi2ENS0_13AUnaryFunctorIffbNS0_12_GLOBAL__N_116CompareEqFunctorIfEEEESt5arrayIPcLm2EEEEviT0_T1_.has_recursion, 0
	.set _ZN2at6native29vectorized_elementwise_kernelILi2ENS0_13AUnaryFunctorIffbNS0_12_GLOBAL__N_116CompareEqFunctorIfEEEESt5arrayIPcLm2EEEEviT0_T1_.has_indirect_call, 0
	.section	.AMDGPU.csdata,"",@progbits
; Kernel info:
; codeLenInByte = 3988
; TotalNumSgprs: 14
; NumVgprs: 33
; ScratchSize: 0
; MemoryBound: 0
; FloatMode: 240
; IeeeMode: 1
; LDSByteSize: 0 bytes/workgroup (compile time only)
; SGPRBlocks: 0
; VGPRBlocks: 2
; NumSGPRsForWavesPerEU: 14
; NumVGPRsForWavesPerEU: 33
; NamedBarCnt: 0
; Occupancy: 16
; WaveLimiterHint : 1
; COMPUTE_PGM_RSRC2:SCRATCH_EN: 0
; COMPUTE_PGM_RSRC2:USER_SGPR: 2
; COMPUTE_PGM_RSRC2:TRAP_HANDLER: 0
; COMPUTE_PGM_RSRC2:TGID_X_EN: 1
; COMPUTE_PGM_RSRC2:TGID_Y_EN: 0
; COMPUTE_PGM_RSRC2:TGID_Z_EN: 0
; COMPUTE_PGM_RSRC2:TIDIG_COMP_CNT: 0
	.section	.text._ZN2at6native27unrolled_elementwise_kernelINS0_13AUnaryFunctorIffbNS0_12_GLOBAL__N_116CompareEqFunctorIfEEEESt5arrayIPcLm2EELi4E23TrivialOffsetCalculatorILi1EjESB_NS0_6memory15LoadWithoutCastENSC_16StoreWithoutCastEEEviT_T0_T2_T3_T4_T5_,"axG",@progbits,_ZN2at6native27unrolled_elementwise_kernelINS0_13AUnaryFunctorIffbNS0_12_GLOBAL__N_116CompareEqFunctorIfEEEESt5arrayIPcLm2EELi4E23TrivialOffsetCalculatorILi1EjESB_NS0_6memory15LoadWithoutCastENSC_16StoreWithoutCastEEEviT_T0_T2_T3_T4_T5_,comdat
	.globl	_ZN2at6native27unrolled_elementwise_kernelINS0_13AUnaryFunctorIffbNS0_12_GLOBAL__N_116CompareEqFunctorIfEEEESt5arrayIPcLm2EELi4E23TrivialOffsetCalculatorILi1EjESB_NS0_6memory15LoadWithoutCastENSC_16StoreWithoutCastEEEviT_T0_T2_T3_T4_T5_ ; -- Begin function _ZN2at6native27unrolled_elementwise_kernelINS0_13AUnaryFunctorIffbNS0_12_GLOBAL__N_116CompareEqFunctorIfEEEESt5arrayIPcLm2EELi4E23TrivialOffsetCalculatorILi1EjESB_NS0_6memory15LoadWithoutCastENSC_16StoreWithoutCastEEEviT_T0_T2_T3_T4_T5_
	.p2align	8
	.type	_ZN2at6native27unrolled_elementwise_kernelINS0_13AUnaryFunctorIffbNS0_12_GLOBAL__N_116CompareEqFunctorIfEEEESt5arrayIPcLm2EELi4E23TrivialOffsetCalculatorILi1EjESB_NS0_6memory15LoadWithoutCastENSC_16StoreWithoutCastEEEviT_T0_T2_T3_T4_T5_,@function
_ZN2at6native27unrolled_elementwise_kernelINS0_13AUnaryFunctorIffbNS0_12_GLOBAL__N_116CompareEqFunctorIfEEEESt5arrayIPcLm2EELi4E23TrivialOffsetCalculatorILi1EjESB_NS0_6memory15LoadWithoutCastENSC_16StoreWithoutCastEEEviT_T0_T2_T3_T4_T5_: ; @_ZN2at6native27unrolled_elementwise_kernelINS0_13AUnaryFunctorIffbNS0_12_GLOBAL__N_116CompareEqFunctorIfEEEESt5arrayIPcLm2EELi4E23TrivialOffsetCalculatorILi1EjESB_NS0_6memory15LoadWithoutCastENSC_16StoreWithoutCastEEEviT_T0_T2_T3_T4_T5_
; %bb.0:
	s_clause 0x1
	s_load_b96 s[8:10], s[0:1], 0x0
	s_load_b128 s[4:7], s[0:1], 0x10
	s_bfe_u32 s2, ttmp6, 0x4000c
	s_wait_xcnt 0x0
	s_and_b32 s0, ttmp6, 15
	s_add_co_i32 s2, s2, 1
	v_dual_mov_b32 v3, 0 :: v_dual_mov_b32 v5, 0
	s_mul_i32 s1, ttmp9, s2
	s_getreg_b32 s2, hwreg(HW_REG_IB_STS2, 6, 4)
	s_add_co_i32 s0, s0, s1
	s_cmp_eq_u32 s2, 0
	v_or_b32_e32 v1, 0x100, v0
	s_cselect_b32 s0, ttmp9, s0
	v_mov_b32_e32 v7, v0
	s_lshl_b32 s2, s0, 10
	s_delay_alu instid0(SALU_CYCLE_1) | instskip(SKIP_2) | instid1(SALU_CYCLE_1)
	v_or_b32_e32 v2, s2, v0
	s_wait_kmcnt 0x0
	s_sub_co_i32 s3, s8, s2
	v_cmp_gt_i32_e32 vcc_lo, s3, v0
	s_and_saveexec_b32 s0, vcc_lo
	s_cbranch_execz .LBB108_2
; %bb.1:
	global_load_b32 v5, v2, s[6:7] scale_offset
	v_or_b32_e32 v7, 0x100, v0
.LBB108_2:
	s_wait_xcnt 0x0
	s_or_b32 exec_lo, exec_lo, s0
	s_delay_alu instid0(SALU_CYCLE_1) | instskip(NEXT) | instid1(VALU_DEP_1)
	s_mov_b32 s1, exec_lo
	v_cmpx_gt_i32_e64 s3, v7
	s_cbranch_execz .LBB108_4
; %bb.3:
	v_add_nc_u32_e32 v3, s2, v7
	v_add_nc_u32_e32 v7, 0x100, v7
	global_load_b32 v3, v3, s[6:7] scale_offset
.LBB108_4:
	s_wait_xcnt 0x0
	s_or_b32 exec_lo, exec_lo, s1
	v_dual_mov_b32 v4, 0 :: v_dual_mov_b32 v6, 0
	s_mov_b32 s1, exec_lo
	v_cmpx_gt_i32_e64 s3, v7
	s_cbranch_execz .LBB108_6
; %bb.5:
	v_add_nc_u32_e32 v6, s2, v7
	v_add_nc_u32_e32 v7, 0x100, v7
	global_load_b32 v6, v6, s[6:7] scale_offset
.LBB108_6:
	s_wait_xcnt 0x0
	s_or_b32 exec_lo, exec_lo, s1
	s_delay_alu instid0(SALU_CYCLE_1)
	s_mov_b32 s1, exec_lo
	v_cmpx_gt_i32_e64 s3, v7
	s_cbranch_execz .LBB108_8
; %bb.7:
	v_add_nc_u32_e32 v4, s2, v7
	global_load_b32 v4, v4, s[6:7] scale_offset
.LBB108_8:
	s_wait_xcnt 0x0
	s_or_b32 exec_lo, exec_lo, s1
	s_wait_loadcnt 0x0
	v_cmp_eq_f32_e64 s0, s10, v5
	v_cmp_eq_f32_e64 s1, s10, v6
	s_cmp_eq_u32 s9, 0
	v_cndmask_b32_e64 v7, 0, 1, s0
	v_cmp_neq_f32_e64 s0, s10, v5
	s_delay_alu instid0(VALU_DEP_1) | instskip(SKIP_1) | instid1(VALU_DEP_1)
	v_cndmask_b32_e64 v5, 0, 1, s0
	v_cmp_eq_f32_e64 s0, s10, v3
	v_cndmask_b32_e64 v8, 0, 1, s0
	v_cmp_neq_f32_e64 s0, s10, v3
	s_delay_alu instid0(VALU_DEP_1) | instskip(SKIP_1) | instid1(SALU_CYCLE_1)
	v_cndmask_b32_e64 v3, 0, 1, s0
	s_cselect_b32 s0, -1, 0
	v_cndmask_b32_e64 v5, v5, v7, s0
	v_cndmask_b32_e64 v7, 0, 1, vcc_lo
	s_delay_alu instid0(VALU_DEP_3) | instskip(SKIP_2) | instid1(VALU_DEP_1)
	v_cndmask_b32_e64 v3, v3, v8, s0
	v_cndmask_b32_e64 v8, 0, 1, s1
	v_cmp_neq_f32_e64 s1, s10, v6
	v_cndmask_b32_e64 v6, 0, 1, s1
	s_delay_alu instid0(VALU_DEP_4) | instskip(SKIP_1) | instid1(VALU_DEP_3)
	v_and_b32_e32 v3, 1, v3
	v_cmp_eq_f32_e64 s1, s10, v4
	v_cndmask_b32_e64 v6, v6, v8, s0
	s_delay_alu instid0(VALU_DEP_3) | instskip(NEXT) | instid1(VALU_DEP_2)
	v_lshlrev_b16 v3, 8, v3
	v_and_b32_e32 v6, 1, v6
	v_and_b32_e32 v5, v7, v5
	v_cndmask_b32_e64 v7, 0, 1, s1
	v_cmp_gt_i32_e64 s1, s3, v1
	s_delay_alu instid0(VALU_DEP_3) | instskip(NEXT) | instid1(VALU_DEP_1)
	v_dual_lshlrev_b32 v6, 16, v6 :: v_dual_bitop2_b32 v3, v5, v3 bitop3:0x54
	v_and_b32_e32 v3, 0xffff, v3
	s_delay_alu instid0(VALU_DEP_1) | instskip(SKIP_2) | instid1(VALU_DEP_2)
	v_cndmask_b32_e64 v3, v5, v3, s1
	v_cmp_neq_f32_e64 s1, s10, v4
	v_or_b32_e32 v5, 0x200, v0
	v_cndmask_b32_e64 v4, 0, 1, s1
	s_delay_alu instid0(VALU_DEP_1) | instskip(NEXT) | instid1(VALU_DEP_3)
	v_dual_cndmask_b32 v4, v4, v7, s0 :: v_dual_bitop2_b32 v6, v3, v6 bitop3:0x54
	v_cmp_gt_i32_e64 s0, s3, v5
	s_delay_alu instid0(VALU_DEP_1) | instskip(NEXT) | instid1(VALU_DEP_1)
	v_dual_cndmask_b32 v3, v3, v6, s0 :: v_dual_bitop2_b32 v4, 1, v4 bitop3:0x40
	v_lshlrev_b16 v4, 8, v4
	s_delay_alu instid0(VALU_DEP_2) | instskip(NEXT) | instid1(VALU_DEP_1)
	v_lshrrev_b32_e32 v5, 16, v3
	v_bitop3_b16 v4, v5, v4, 0xff bitop3:0xec
	v_or_b32_e32 v5, 0x300, v0
	s_delay_alu instid0(VALU_DEP_2) | instskip(NEXT) | instid1(VALU_DEP_2)
	v_lshlrev_b32_e32 v4, 16, v4
	v_cmp_gt_i32_e64 s0, s3, v5
	s_delay_alu instid0(VALU_DEP_2) | instskip(NEXT) | instid1(VALU_DEP_1)
	v_and_or_b32 v4, 0xffff, v3, v4
	v_cndmask_b32_e64 v3, v3, v4, s0
	s_and_saveexec_b32 s0, vcc_lo
	s_cbranch_execnz .LBB108_13
; %bb.9:
	s_or_b32 exec_lo, exec_lo, s0
	s_delay_alu instid0(SALU_CYCLE_1)
	s_mov_b32 s0, exec_lo
	v_cmpx_gt_i32_e64 s3, v0
	s_cbranch_execnz .LBB108_14
.LBB108_10:
	s_or_b32 exec_lo, exec_lo, s0
	s_delay_alu instid0(SALU_CYCLE_1)
	s_mov_b32 s0, exec_lo
	v_cmpx_gt_i32_e64 s3, v0
	s_cbranch_execnz .LBB108_15
.LBB108_11:
	s_or_b32 exec_lo, exec_lo, s0
	s_delay_alu instid0(SALU_CYCLE_1)
	s_mov_b32 s0, exec_lo
	v_cmpx_gt_i32_e64 s3, v0
	s_cbranch_execnz .LBB108_16
.LBB108_12:
	s_endpgm
.LBB108_13:
	v_mov_b32_e32 v0, v1
	global_store_b8 v2, v3, s[4:5]
	s_wait_xcnt 0x0
	s_or_b32 exec_lo, exec_lo, s0
	s_delay_alu instid0(SALU_CYCLE_1)
	s_mov_b32 s0, exec_lo
	v_cmpx_gt_i32_e64 s3, v0
	s_cbranch_execz .LBB108_10
.LBB108_14:
	v_add_nc_u32_e32 v1, 0x100, v0
	v_dual_add_nc_u32 v2, s2, v0 :: v_dual_lshrrev_b32 v4, 8, v3
	s_delay_alu instid0(VALU_DEP_2) | instskip(SKIP_3) | instid1(SALU_CYCLE_1)
	v_mov_b32_e32 v0, v1
	global_store_b8 v2, v4, s[4:5]
	s_wait_xcnt 0x0
	s_or_b32 exec_lo, exec_lo, s0
	s_mov_b32 s0, exec_lo
	v_cmpx_gt_i32_e64 s3, v0
	s_cbranch_execz .LBB108_11
.LBB108_15:
	v_add_nc_u32_e32 v1, 0x100, v0
	s_delay_alu instid0(VALU_DEP_1) | instskip(SKIP_3) | instid1(SALU_CYCLE_1)
	v_dual_add_nc_u32 v2, s2, v0 :: v_dual_mov_b32 v0, v1
	global_store_d16_hi_b8 v2, v3, s[4:5]
	s_wait_xcnt 0x0
	s_or_b32 exec_lo, exec_lo, s0
	s_mov_b32 s0, exec_lo
	v_cmpx_gt_i32_e64 s3, v0
	s_cbranch_execz .LBB108_12
.LBB108_16:
	v_dual_add_nc_u32 v0, s2, v0 :: v_dual_lshrrev_b32 v1, 24, v3
	global_store_b8 v0, v1, s[4:5]
	s_endpgm
	.section	.rodata,"a",@progbits
	.p2align	6, 0x0
	.amdhsa_kernel _ZN2at6native27unrolled_elementwise_kernelINS0_13AUnaryFunctorIffbNS0_12_GLOBAL__N_116CompareEqFunctorIfEEEESt5arrayIPcLm2EELi4E23TrivialOffsetCalculatorILi1EjESB_NS0_6memory15LoadWithoutCastENSC_16StoreWithoutCastEEEviT_T0_T2_T3_T4_T5_
		.amdhsa_group_segment_fixed_size 0
		.amdhsa_private_segment_fixed_size 0
		.amdhsa_kernarg_size 36
		.amdhsa_user_sgpr_count 2
		.amdhsa_user_sgpr_dispatch_ptr 0
		.amdhsa_user_sgpr_queue_ptr 0
		.amdhsa_user_sgpr_kernarg_segment_ptr 1
		.amdhsa_user_sgpr_dispatch_id 0
		.amdhsa_user_sgpr_kernarg_preload_length 0
		.amdhsa_user_sgpr_kernarg_preload_offset 0
		.amdhsa_user_sgpr_private_segment_size 0
		.amdhsa_wavefront_size32 1
		.amdhsa_uses_dynamic_stack 0
		.amdhsa_enable_private_segment 0
		.amdhsa_system_sgpr_workgroup_id_x 1
		.amdhsa_system_sgpr_workgroup_id_y 0
		.amdhsa_system_sgpr_workgroup_id_z 0
		.amdhsa_system_sgpr_workgroup_info 0
		.amdhsa_system_vgpr_workitem_id 0
		.amdhsa_next_free_vgpr 9
		.amdhsa_next_free_sgpr 11
		.amdhsa_named_barrier_count 0
		.amdhsa_reserve_vcc 1
		.amdhsa_float_round_mode_32 0
		.amdhsa_float_round_mode_16_64 0
		.amdhsa_float_denorm_mode_32 3
		.amdhsa_float_denorm_mode_16_64 3
		.amdhsa_fp16_overflow 0
		.amdhsa_memory_ordered 1
		.amdhsa_forward_progress 1
		.amdhsa_inst_pref_size 8
		.amdhsa_round_robin_scheduling 0
		.amdhsa_exception_fp_ieee_invalid_op 0
		.amdhsa_exception_fp_denorm_src 0
		.amdhsa_exception_fp_ieee_div_zero 0
		.amdhsa_exception_fp_ieee_overflow 0
		.amdhsa_exception_fp_ieee_underflow 0
		.amdhsa_exception_fp_ieee_inexact 0
		.amdhsa_exception_int_div_zero 0
	.end_amdhsa_kernel
	.section	.text._ZN2at6native27unrolled_elementwise_kernelINS0_13AUnaryFunctorIffbNS0_12_GLOBAL__N_116CompareEqFunctorIfEEEESt5arrayIPcLm2EELi4E23TrivialOffsetCalculatorILi1EjESB_NS0_6memory15LoadWithoutCastENSC_16StoreWithoutCastEEEviT_T0_T2_T3_T4_T5_,"axG",@progbits,_ZN2at6native27unrolled_elementwise_kernelINS0_13AUnaryFunctorIffbNS0_12_GLOBAL__N_116CompareEqFunctorIfEEEESt5arrayIPcLm2EELi4E23TrivialOffsetCalculatorILi1EjESB_NS0_6memory15LoadWithoutCastENSC_16StoreWithoutCastEEEviT_T0_T2_T3_T4_T5_,comdat
.Lfunc_end108:
	.size	_ZN2at6native27unrolled_elementwise_kernelINS0_13AUnaryFunctorIffbNS0_12_GLOBAL__N_116CompareEqFunctorIfEEEESt5arrayIPcLm2EELi4E23TrivialOffsetCalculatorILi1EjESB_NS0_6memory15LoadWithoutCastENSC_16StoreWithoutCastEEEviT_T0_T2_T3_T4_T5_, .Lfunc_end108-_ZN2at6native27unrolled_elementwise_kernelINS0_13AUnaryFunctorIffbNS0_12_GLOBAL__N_116CompareEqFunctorIfEEEESt5arrayIPcLm2EELi4E23TrivialOffsetCalculatorILi1EjESB_NS0_6memory15LoadWithoutCastENSC_16StoreWithoutCastEEEviT_T0_T2_T3_T4_T5_
                                        ; -- End function
	.set _ZN2at6native27unrolled_elementwise_kernelINS0_13AUnaryFunctorIffbNS0_12_GLOBAL__N_116CompareEqFunctorIfEEEESt5arrayIPcLm2EELi4E23TrivialOffsetCalculatorILi1EjESB_NS0_6memory15LoadWithoutCastENSC_16StoreWithoutCastEEEviT_T0_T2_T3_T4_T5_.num_vgpr, 9
	.set _ZN2at6native27unrolled_elementwise_kernelINS0_13AUnaryFunctorIffbNS0_12_GLOBAL__N_116CompareEqFunctorIfEEEESt5arrayIPcLm2EELi4E23TrivialOffsetCalculatorILi1EjESB_NS0_6memory15LoadWithoutCastENSC_16StoreWithoutCastEEEviT_T0_T2_T3_T4_T5_.num_agpr, 0
	.set _ZN2at6native27unrolled_elementwise_kernelINS0_13AUnaryFunctorIffbNS0_12_GLOBAL__N_116CompareEqFunctorIfEEEESt5arrayIPcLm2EELi4E23TrivialOffsetCalculatorILi1EjESB_NS0_6memory15LoadWithoutCastENSC_16StoreWithoutCastEEEviT_T0_T2_T3_T4_T5_.numbered_sgpr, 11
	.set _ZN2at6native27unrolled_elementwise_kernelINS0_13AUnaryFunctorIffbNS0_12_GLOBAL__N_116CompareEqFunctorIfEEEESt5arrayIPcLm2EELi4E23TrivialOffsetCalculatorILi1EjESB_NS0_6memory15LoadWithoutCastENSC_16StoreWithoutCastEEEviT_T0_T2_T3_T4_T5_.num_named_barrier, 0
	.set _ZN2at6native27unrolled_elementwise_kernelINS0_13AUnaryFunctorIffbNS0_12_GLOBAL__N_116CompareEqFunctorIfEEEESt5arrayIPcLm2EELi4E23TrivialOffsetCalculatorILi1EjESB_NS0_6memory15LoadWithoutCastENSC_16StoreWithoutCastEEEviT_T0_T2_T3_T4_T5_.private_seg_size, 0
	.set _ZN2at6native27unrolled_elementwise_kernelINS0_13AUnaryFunctorIffbNS0_12_GLOBAL__N_116CompareEqFunctorIfEEEESt5arrayIPcLm2EELi4E23TrivialOffsetCalculatorILi1EjESB_NS0_6memory15LoadWithoutCastENSC_16StoreWithoutCastEEEviT_T0_T2_T3_T4_T5_.uses_vcc, 1
	.set _ZN2at6native27unrolled_elementwise_kernelINS0_13AUnaryFunctorIffbNS0_12_GLOBAL__N_116CompareEqFunctorIfEEEESt5arrayIPcLm2EELi4E23TrivialOffsetCalculatorILi1EjESB_NS0_6memory15LoadWithoutCastENSC_16StoreWithoutCastEEEviT_T0_T2_T3_T4_T5_.uses_flat_scratch, 0
	.set _ZN2at6native27unrolled_elementwise_kernelINS0_13AUnaryFunctorIffbNS0_12_GLOBAL__N_116CompareEqFunctorIfEEEESt5arrayIPcLm2EELi4E23TrivialOffsetCalculatorILi1EjESB_NS0_6memory15LoadWithoutCastENSC_16StoreWithoutCastEEEviT_T0_T2_T3_T4_T5_.has_dyn_sized_stack, 0
	.set _ZN2at6native27unrolled_elementwise_kernelINS0_13AUnaryFunctorIffbNS0_12_GLOBAL__N_116CompareEqFunctorIfEEEESt5arrayIPcLm2EELi4E23TrivialOffsetCalculatorILi1EjESB_NS0_6memory15LoadWithoutCastENSC_16StoreWithoutCastEEEviT_T0_T2_T3_T4_T5_.has_recursion, 0
	.set _ZN2at6native27unrolled_elementwise_kernelINS0_13AUnaryFunctorIffbNS0_12_GLOBAL__N_116CompareEqFunctorIfEEEESt5arrayIPcLm2EELi4E23TrivialOffsetCalculatorILi1EjESB_NS0_6memory15LoadWithoutCastENSC_16StoreWithoutCastEEEviT_T0_T2_T3_T4_T5_.has_indirect_call, 0
	.section	.AMDGPU.csdata,"",@progbits
; Kernel info:
; codeLenInByte = 960
; TotalNumSgprs: 13
; NumVgprs: 9
; ScratchSize: 0
; MemoryBound: 0
; FloatMode: 240
; IeeeMode: 1
; LDSByteSize: 0 bytes/workgroup (compile time only)
; SGPRBlocks: 0
; VGPRBlocks: 0
; NumSGPRsForWavesPerEU: 13
; NumVGPRsForWavesPerEU: 9
; NamedBarCnt: 0
; Occupancy: 16
; WaveLimiterHint : 0
; COMPUTE_PGM_RSRC2:SCRATCH_EN: 0
; COMPUTE_PGM_RSRC2:USER_SGPR: 2
; COMPUTE_PGM_RSRC2:TRAP_HANDLER: 0
; COMPUTE_PGM_RSRC2:TGID_X_EN: 1
; COMPUTE_PGM_RSRC2:TGID_Y_EN: 0
; COMPUTE_PGM_RSRC2:TGID_Z_EN: 0
; COMPUTE_PGM_RSRC2:TIDIG_COMP_CNT: 0
	.section	.text._ZN2at6native32elementwise_kernel_manual_unrollILi128ELi8EZNS0_22gpu_kernel_impl_nocastINS0_13AUnaryFunctorIffbNS0_12_GLOBAL__N_116CompareEqFunctorIfEEEEEEvRNS_18TensorIteratorBaseERKT_EUlibE_EEviT1_,"axG",@progbits,_ZN2at6native32elementwise_kernel_manual_unrollILi128ELi8EZNS0_22gpu_kernel_impl_nocastINS0_13AUnaryFunctorIffbNS0_12_GLOBAL__N_116CompareEqFunctorIfEEEEEEvRNS_18TensorIteratorBaseERKT_EUlibE_EEviT1_,comdat
	.globl	_ZN2at6native32elementwise_kernel_manual_unrollILi128ELi8EZNS0_22gpu_kernel_impl_nocastINS0_13AUnaryFunctorIffbNS0_12_GLOBAL__N_116CompareEqFunctorIfEEEEEEvRNS_18TensorIteratorBaseERKT_EUlibE_EEviT1_ ; -- Begin function _ZN2at6native32elementwise_kernel_manual_unrollILi128ELi8EZNS0_22gpu_kernel_impl_nocastINS0_13AUnaryFunctorIffbNS0_12_GLOBAL__N_116CompareEqFunctorIfEEEEEEvRNS_18TensorIteratorBaseERKT_EUlibE_EEviT1_
	.p2align	8
	.type	_ZN2at6native32elementwise_kernel_manual_unrollILi128ELi8EZNS0_22gpu_kernel_impl_nocastINS0_13AUnaryFunctorIffbNS0_12_GLOBAL__N_116CompareEqFunctorIfEEEEEEvRNS_18TensorIteratorBaseERKT_EUlibE_EEviT1_,@function
_ZN2at6native32elementwise_kernel_manual_unrollILi128ELi8EZNS0_22gpu_kernel_impl_nocastINS0_13AUnaryFunctorIffbNS0_12_GLOBAL__N_116CompareEqFunctorIfEEEEEEvRNS_18TensorIteratorBaseERKT_EUlibE_EEviT1_: ; @_ZN2at6native32elementwise_kernel_manual_unrollILi128ELi8EZNS0_22gpu_kernel_impl_nocastINS0_13AUnaryFunctorIffbNS0_12_GLOBAL__N_116CompareEqFunctorIfEEEEEEvRNS_18TensorIteratorBaseERKT_EUlibE_EEviT1_
; %bb.0:
	s_clause 0x1
	s_load_b32 s30, s[0:1], 0x8
	s_load_b32 s36, s[0:1], 0x0
	s_bfe_u32 s2, ttmp6, 0x4000c
	s_and_b32 s3, ttmp6, 15
	s_add_co_i32 s2, s2, 1
	s_getreg_b32 s4, hwreg(HW_REG_IB_STS2, 6, 4)
	s_mul_i32 s2, ttmp9, s2
	s_add_nc_u64 s[16:17], s[0:1], 8
	s_add_co_i32 s3, s3, s2
	s_cmp_eq_u32 s4, 0
	s_mov_b32 s19, 0
	s_cselect_b32 s2, ttmp9, s3
	s_wait_xcnt 0x0
	s_mov_b32 s0, exec_lo
	v_lshl_or_b32 v0, s2, 10, v0
	s_delay_alu instid0(VALU_DEP_1) | instskip(SKIP_2) | instid1(SALU_CYCLE_1)
	v_or_b32_e32 v16, 0x380, v0
	s_wait_kmcnt 0x0
	s_add_co_i32 s31, s30, -1
	s_cmp_gt_u32 s31, 1
	s_cselect_b32 s33, -1, 0
	v_cmpx_le_i32_e64 s36, v16
	s_xor_b32 s34, exec_lo, s0
	s_cbranch_execz .LBB109_7
; %bb.1:
	s_clause 0x4
	s_load_b128 s[8:11], s[16:17], 0x4
	s_load_b64 s[2:3], s[16:17], 0x14
	s_load_b64 s[0:1], s[16:17], 0x158
	s_load_b128 s[12:15], s[16:17], 0xc4
	s_load_b128 s[4:7], s[16:17], 0x148
	s_cmp_lg_u32 s30, 0
	s_add_nc_u64 s[22:23], s[16:17], 0xc4
	s_cselect_b32 s38, -1, 0
	s_min_u32 s37, s31, 15
	s_cmp_gt_u32 s30, 1
	s_mov_b32 s21, s19
	s_cselect_b32 s35, -1, 0
	s_wait_kmcnt 0x0
	s_mov_b32 s18, s9
	s_mov_b32 s20, s2
	s_cmp_eq_u32 s0, 0
	s_mov_b32 s2, exec_lo
	s_cselect_b32 s0, -1, 0
	v_cmpx_gt_i32_e64 s36, v0
	s_cbranch_execz .LBB109_14
; %bb.2:
	s_and_not1_b32 vcc_lo, exec_lo, s33
	s_cbranch_vccnz .LBB109_21
; %bb.3:
	s_and_not1_b32 vcc_lo, exec_lo, s38
	s_cbranch_vccnz .LBB109_129
; %bb.4:
	s_add_co_i32 s9, s37, 1
	s_cmp_eq_u32 s31, 2
	s_cbranch_scc1 .LBB109_131
; %bb.5:
	v_dual_mov_b32 v2, 0 :: v_dual_mov_b32 v3, 0
	v_mov_b32_e32 v1, v0
	s_and_b32 s24, s9, 28
	s_mov_b32 s25, 0
	s_mov_b64 s[26:27], s[16:17]
	s_mov_b64 s[28:29], s[22:23]
.LBB109_6:                              ; =>This Inner Loop Header: Depth=1
	s_clause 0x1
	s_load_b256 s[40:47], s[26:27], 0x4
	s_load_b128 s[56:59], s[26:27], 0x24
	s_load_b256 s[48:55], s[28:29], 0x0
	s_add_co_i32 s25, s25, 4
	s_wait_xcnt 0x0
	s_add_nc_u64 s[26:27], s[26:27], 48
	s_cmp_lg_u32 s24, s25
	s_add_nc_u64 s[28:29], s[28:29], 32
	s_wait_kmcnt 0x0
	v_mul_hi_u32 v4, s41, v1
	s_delay_alu instid0(VALU_DEP_1) | instskip(NEXT) | instid1(VALU_DEP_1)
	v_add_nc_u32_e32 v4, v1, v4
	v_lshrrev_b32_e32 v4, s42, v4
	s_delay_alu instid0(VALU_DEP_1) | instskip(NEXT) | instid1(VALU_DEP_1)
	v_mul_hi_u32 v5, s44, v4
	v_add_nc_u32_e32 v5, v4, v5
	s_delay_alu instid0(VALU_DEP_1) | instskip(NEXT) | instid1(VALU_DEP_1)
	v_lshrrev_b32_e32 v5, s45, v5
	v_mul_hi_u32 v6, s47, v5
	s_delay_alu instid0(VALU_DEP_1) | instskip(SKIP_1) | instid1(VALU_DEP_1)
	v_add_nc_u32_e32 v6, v5, v6
	v_mul_lo_u32 v7, v4, s40
	v_sub_nc_u32_e32 v1, v1, v7
	v_mul_lo_u32 v7, v5, s43
	s_delay_alu instid0(VALU_DEP_4) | instskip(NEXT) | instid1(VALU_DEP_3)
	v_lshrrev_b32_e32 v6, s56, v6
	v_mad_u32 v3, v1, s49, v3
	v_mad_u32 v1, v1, s48, v2
	s_delay_alu instid0(VALU_DEP_4) | instskip(NEXT) | instid1(VALU_DEP_4)
	v_sub_nc_u32_e32 v2, v4, v7
	v_mul_hi_u32 v8, s58, v6
	v_mul_lo_u32 v4, v6, s46
	s_delay_alu instid0(VALU_DEP_3) | instskip(SKIP_1) | instid1(VALU_DEP_4)
	v_mad_u32 v3, v2, s51, v3
	v_mad_u32 v2, v2, s50, v1
	v_add_nc_u32_e32 v7, v6, v8
	s_delay_alu instid0(VALU_DEP_1) | instskip(NEXT) | instid1(VALU_DEP_1)
	v_dual_sub_nc_u32 v4, v5, v4 :: v_dual_lshrrev_b32 v1, s59, v7
	v_mad_u32 v3, v4, s53, v3
	s_delay_alu instid0(VALU_DEP_4) | instskip(NEXT) | instid1(VALU_DEP_3)
	v_mad_u32 v2, v4, s52, v2
	v_mul_lo_u32 v5, v1, s57
	s_delay_alu instid0(VALU_DEP_1) | instskip(NEXT) | instid1(VALU_DEP_1)
	v_sub_nc_u32_e32 v4, v6, v5
	v_mad_u32 v3, v4, s55, v3
	s_delay_alu instid0(VALU_DEP_4)
	v_mad_u32 v2, v4, s54, v2
	s_cbranch_scc1 .LBB109_6
	s_branch .LBB109_132
.LBB109_7:
	s_and_not1_saveexec_b32 s0, s34
	s_cbranch_execz .LBB109_221
.LBB109_8:
	v_cndmask_b32_e64 v14, 0, 1, s33
	s_and_not1_b32 vcc_lo, exec_lo, s33
	s_cbranch_vccnz .LBB109_20
; %bb.9:
	s_cmp_lg_u32 s30, 0
	s_mov_b32 s6, 0
	s_cbranch_scc0 .LBB109_23
; %bb.10:
	s_min_u32 s1, s31, 15
	s_delay_alu instid0(SALU_CYCLE_1)
	s_add_co_i32 s1, s1, 1
	s_cmp_eq_u32 s31, 2
	s_cbranch_scc1 .LBB109_24
; %bb.11:
	v_dual_mov_b32 v2, 0 :: v_dual_mov_b32 v3, 0
	v_mov_b32_e32 v1, v0
	s_and_b32 s0, s1, 28
	s_add_nc_u64 s[2:3], s[16:17], 0xc4
	s_mov_b32 s7, 0
	s_mov_b64 s[4:5], s[16:17]
.LBB109_12:                             ; =>This Inner Loop Header: Depth=1
	s_clause 0x1
	s_load_b256 s[8:15], s[4:5], 0x4
	s_load_b128 s[36:39], s[4:5], 0x24
	s_load_b256 s[20:27], s[2:3], 0x0
	s_add_co_i32 s7, s7, 4
	s_wait_xcnt 0x0
	s_add_nc_u64 s[4:5], s[4:5], 48
	s_cmp_lg_u32 s0, s7
	s_add_nc_u64 s[2:3], s[2:3], 32
	s_wait_kmcnt 0x0
	v_mul_hi_u32 v4, s9, v1
	s_delay_alu instid0(VALU_DEP_1) | instskip(NEXT) | instid1(VALU_DEP_1)
	v_add_nc_u32_e32 v4, v1, v4
	v_lshrrev_b32_e32 v4, s10, v4
	s_delay_alu instid0(VALU_DEP_1) | instskip(NEXT) | instid1(VALU_DEP_1)
	v_mul_hi_u32 v5, s12, v4
	v_add_nc_u32_e32 v5, v4, v5
	s_delay_alu instid0(VALU_DEP_1) | instskip(NEXT) | instid1(VALU_DEP_1)
	v_lshrrev_b32_e32 v5, s13, v5
	v_mul_hi_u32 v6, s15, v5
	s_delay_alu instid0(VALU_DEP_1) | instskip(SKIP_1) | instid1(VALU_DEP_1)
	v_add_nc_u32_e32 v6, v5, v6
	v_mul_lo_u32 v7, v4, s8
	v_sub_nc_u32_e32 v1, v1, v7
	v_mul_lo_u32 v7, v5, s11
	s_delay_alu instid0(VALU_DEP_4) | instskip(NEXT) | instid1(VALU_DEP_3)
	v_lshrrev_b32_e32 v6, s36, v6
	v_mad_u32 v3, v1, s21, v3
	v_mad_u32 v1, v1, s20, v2
	s_delay_alu instid0(VALU_DEP_4) | instskip(NEXT) | instid1(VALU_DEP_4)
	v_sub_nc_u32_e32 v2, v4, v7
	v_mul_hi_u32 v8, s38, v6
	v_mul_lo_u32 v4, v6, s14
	s_delay_alu instid0(VALU_DEP_3) | instskip(SKIP_1) | instid1(VALU_DEP_4)
	v_mad_u32 v3, v2, s23, v3
	v_mad_u32 v2, v2, s22, v1
	v_add_nc_u32_e32 v7, v6, v8
	s_delay_alu instid0(VALU_DEP_1) | instskip(NEXT) | instid1(VALU_DEP_1)
	v_dual_sub_nc_u32 v4, v5, v4 :: v_dual_lshrrev_b32 v1, s39, v7
	v_mad_u32 v3, v4, s25, v3
	s_delay_alu instid0(VALU_DEP_4) | instskip(NEXT) | instid1(VALU_DEP_3)
	v_mad_u32 v2, v4, s24, v2
	v_mul_lo_u32 v5, v1, s37
	s_delay_alu instid0(VALU_DEP_1) | instskip(NEXT) | instid1(VALU_DEP_1)
	v_sub_nc_u32_e32 v4, v6, v5
	v_mad_u32 v3, v4, s27, v3
	s_delay_alu instid0(VALU_DEP_4)
	v_mad_u32 v2, v4, s26, v2
	s_cbranch_scc1 .LBB109_12
; %bb.13:
	s_and_b32 s4, s1, 3
	s_mov_b32 s1, 0
	s_cmp_eq_u32 s4, 0
	s_cbranch_scc0 .LBB109_25
	s_branch .LBB109_27
.LBB109_14:
	s_or_b32 exec_lo, exec_lo, s2
	s_delay_alu instid0(SALU_CYCLE_1)
	s_mov_b32 s2, exec_lo
	v_cmpx_gt_i32_e64 s36, v0
	s_cbranch_execz .LBB109_139
.LBB109_15:
	s_and_not1_b32 vcc_lo, exec_lo, s33
	s_cbranch_vccnz .LBB109_22
; %bb.16:
	s_and_not1_b32 vcc_lo, exec_lo, s38
	s_cbranch_vccnz .LBB109_130
; %bb.17:
	s_add_co_i32 s9, s37, 1
	s_cmp_eq_u32 s31, 2
	s_cbranch_scc1 .LBB109_147
; %bb.18:
	v_dual_mov_b32 v2, 0 :: v_dual_mov_b32 v3, 0
	v_mov_b32_e32 v1, v0
	s_and_b32 s24, s9, 28
	s_mov_b32 s25, 0
	s_mov_b64 s[26:27], s[16:17]
	s_mov_b64 s[28:29], s[22:23]
.LBB109_19:                             ; =>This Inner Loop Header: Depth=1
	s_clause 0x1
	s_load_b256 s[40:47], s[26:27], 0x4
	s_load_b128 s[56:59], s[26:27], 0x24
	s_load_b256 s[48:55], s[28:29], 0x0
	s_add_co_i32 s25, s25, 4
	s_wait_xcnt 0x0
	s_add_nc_u64 s[26:27], s[26:27], 48
	s_cmp_eq_u32 s24, s25
	s_add_nc_u64 s[28:29], s[28:29], 32
	s_wait_kmcnt 0x0
	v_mul_hi_u32 v4, s41, v1
	s_delay_alu instid0(VALU_DEP_1) | instskip(NEXT) | instid1(VALU_DEP_1)
	v_add_nc_u32_e32 v4, v1, v4
	v_lshrrev_b32_e32 v4, s42, v4
	s_delay_alu instid0(VALU_DEP_1) | instskip(NEXT) | instid1(VALU_DEP_1)
	v_mul_hi_u32 v5, s44, v4
	v_add_nc_u32_e32 v5, v4, v5
	s_delay_alu instid0(VALU_DEP_1) | instskip(NEXT) | instid1(VALU_DEP_1)
	v_lshrrev_b32_e32 v5, s45, v5
	v_mul_hi_u32 v6, s47, v5
	s_delay_alu instid0(VALU_DEP_1) | instskip(SKIP_1) | instid1(VALU_DEP_1)
	v_add_nc_u32_e32 v6, v5, v6
	v_mul_lo_u32 v7, v4, s40
	v_sub_nc_u32_e32 v1, v1, v7
	v_mul_lo_u32 v7, v5, s43
	s_delay_alu instid0(VALU_DEP_4) | instskip(NEXT) | instid1(VALU_DEP_3)
	v_lshrrev_b32_e32 v6, s56, v6
	v_mad_u32 v3, v1, s49, v3
	v_mad_u32 v1, v1, s48, v2
	s_delay_alu instid0(VALU_DEP_4) | instskip(NEXT) | instid1(VALU_DEP_4)
	v_sub_nc_u32_e32 v2, v4, v7
	v_mul_hi_u32 v8, s58, v6
	v_mul_lo_u32 v4, v6, s46
	s_delay_alu instid0(VALU_DEP_3) | instskip(SKIP_1) | instid1(VALU_DEP_4)
	v_mad_u32 v3, v2, s51, v3
	v_mad_u32 v2, v2, s50, v1
	v_add_nc_u32_e32 v7, v6, v8
	s_delay_alu instid0(VALU_DEP_1) | instskip(NEXT) | instid1(VALU_DEP_1)
	v_dual_sub_nc_u32 v4, v5, v4 :: v_dual_lshrrev_b32 v1, s59, v7
	v_mad_u32 v3, v4, s53, v3
	s_delay_alu instid0(VALU_DEP_4) | instskip(NEXT) | instid1(VALU_DEP_3)
	v_mad_u32 v2, v4, s52, v2
	v_mul_lo_u32 v5, v1, s57
	s_delay_alu instid0(VALU_DEP_1) | instskip(NEXT) | instid1(VALU_DEP_1)
	v_sub_nc_u32_e32 v4, v6, v5
	v_mad_u32 v3, v4, s55, v3
	s_delay_alu instid0(VALU_DEP_4)
	v_mad_u32 v2, v4, s54, v2
	s_cbranch_scc0 .LBB109_19
	s_branch .LBB109_148
.LBB109_20:
	s_mov_b32 s6, -1
                                        ; implicit-def: $vgpr3
	s_branch .LBB109_27
.LBB109_21:
                                        ; implicit-def: $vgpr3
	s_branch .LBB109_136
.LBB109_22:
                                        ; implicit-def: $vgpr3
	s_branch .LBB109_152
.LBB109_23:
	v_dual_mov_b32 v3, 0 :: v_dual_mov_b32 v2, 0
	s_branch .LBB109_27
.LBB109_24:
	v_mov_b64_e32 v[2:3], 0
	v_mov_b32_e32 v1, v0
	s_mov_b32 s0, 0
	s_and_b32 s4, s1, 3
	s_mov_b32 s1, 0
	s_cmp_eq_u32 s4, 0
	s_cbranch_scc1 .LBB109_27
.LBB109_25:
	s_lshl_b32 s2, s0, 3
	s_mov_b32 s3, s1
	s_mul_u64 s[8:9], s[0:1], 12
	s_add_nc_u64 s[2:3], s[16:17], s[2:3]
	s_delay_alu instid0(SALU_CYCLE_1)
	s_add_nc_u64 s[0:1], s[2:3], 0xc4
	s_add_nc_u64 s[2:3], s[16:17], s[8:9]
.LBB109_26:                             ; =>This Inner Loop Header: Depth=1
	s_load_b96 s[8:10], s[2:3], 0x4
	s_add_co_i32 s4, s4, -1
	s_wait_xcnt 0x0
	s_add_nc_u64 s[2:3], s[2:3], 12
	s_cmp_lg_u32 s4, 0
	s_wait_kmcnt 0x0
	v_mul_hi_u32 v4, s9, v1
	s_delay_alu instid0(VALU_DEP_1) | instskip(NEXT) | instid1(VALU_DEP_1)
	v_add_nc_u32_e32 v4, v1, v4
	v_lshrrev_b32_e32 v4, s10, v4
	s_load_b64 s[10:11], s[0:1], 0x0
	s_wait_xcnt 0x0
	s_add_nc_u64 s[0:1], s[0:1], 8
	s_delay_alu instid0(VALU_DEP_1) | instskip(NEXT) | instid1(VALU_DEP_1)
	v_mul_lo_u32 v5, v4, s8
	v_sub_nc_u32_e32 v1, v1, v5
	s_wait_kmcnt 0x0
	s_delay_alu instid0(VALU_DEP_1)
	v_mad_u32 v3, v1, s11, v3
	v_mad_u32 v2, v1, s10, v2
	v_mov_b32_e32 v1, v4
	s_cbranch_scc1 .LBB109_26
.LBB109_27:
	s_and_not1_b32 vcc_lo, exec_lo, s6
	s_cbranch_vccnz .LBB109_30
; %bb.28:
	s_clause 0x1
	s_load_b96 s[0:2], s[16:17], 0x4
	s_load_b64 s[4:5], s[16:17], 0xc4
	s_cmp_lt_u32 s30, 2
	s_wait_kmcnt 0x0
	v_mul_hi_u32 v1, s1, v0
	s_delay_alu instid0(VALU_DEP_1) | instskip(NEXT) | instid1(VALU_DEP_1)
	v_add_nc_u32_e32 v1, v0, v1
	v_lshrrev_b32_e32 v1, s2, v1
	s_delay_alu instid0(VALU_DEP_1) | instskip(NEXT) | instid1(VALU_DEP_1)
	v_mul_lo_u32 v2, v1, s0
	v_sub_nc_u32_e32 v2, v0, v2
	s_delay_alu instid0(VALU_DEP_1)
	v_mul_lo_u32 v3, v2, s5
	v_mul_lo_u32 v2, v2, s4
	s_cbranch_scc1 .LBB109_30
; %bb.29:
	s_clause 0x1
	s_load_b96 s[0:2], s[16:17], 0x10
	s_load_b64 s[4:5], s[16:17], 0xcc
	s_wait_kmcnt 0x0
	v_mul_hi_u32 v4, s1, v1
	s_delay_alu instid0(VALU_DEP_1) | instskip(NEXT) | instid1(VALU_DEP_1)
	v_add_nc_u32_e32 v4, v1, v4
	v_lshrrev_b32_e32 v4, s2, v4
	s_delay_alu instid0(VALU_DEP_1) | instskip(NEXT) | instid1(VALU_DEP_1)
	v_mul_lo_u32 v4, v4, s0
	v_sub_nc_u32_e32 v1, v1, v4
	s_delay_alu instid0(VALU_DEP_1)
	v_mad_u32 v2, v1, s4, v2
	v_mad_u32 v3, v1, s5, v3
.LBB109_30:
	v_cmp_ne_u32_e32 vcc_lo, 1, v14
	v_add_nc_u32_e32 v1, 0x80, v0
	s_cbranch_vccnz .LBB109_36
; %bb.31:
	s_cmp_lg_u32 s30, 0
	s_mov_b32 s6, 0
	s_cbranch_scc0 .LBB109_37
; %bb.32:
	s_min_u32 s1, s31, 15
	s_delay_alu instid0(SALU_CYCLE_1)
	s_add_co_i32 s1, s1, 1
	s_cmp_eq_u32 s31, 2
	s_cbranch_scc1 .LBB109_38
; %bb.33:
	v_dual_mov_b32 v4, 0 :: v_dual_mov_b32 v5, 0
	v_mov_b32_e32 v6, v1
	s_and_b32 s0, s1, 28
	s_add_nc_u64 s[2:3], s[16:17], 0xc4
	s_mov_b32 s7, 0
	s_mov_b64 s[4:5], s[16:17]
.LBB109_34:                             ; =>This Inner Loop Header: Depth=1
	s_clause 0x1
	s_load_b256 s[8:15], s[4:5], 0x4
	s_load_b128 s[36:39], s[4:5], 0x24
	s_load_b256 s[20:27], s[2:3], 0x0
	s_add_co_i32 s7, s7, 4
	s_wait_xcnt 0x0
	s_add_nc_u64 s[4:5], s[4:5], 48
	s_cmp_lg_u32 s0, s7
	s_add_nc_u64 s[2:3], s[2:3], 32
	s_wait_kmcnt 0x0
	v_mul_hi_u32 v7, s9, v6
	s_delay_alu instid0(VALU_DEP_1) | instskip(NEXT) | instid1(VALU_DEP_1)
	v_add_nc_u32_e32 v7, v6, v7
	v_lshrrev_b32_e32 v7, s10, v7
	s_delay_alu instid0(VALU_DEP_1) | instskip(NEXT) | instid1(VALU_DEP_1)
	v_mul_hi_u32 v8, s12, v7
	v_add_nc_u32_e32 v8, v7, v8
	s_delay_alu instid0(VALU_DEP_1) | instskip(NEXT) | instid1(VALU_DEP_1)
	v_lshrrev_b32_e32 v8, s13, v8
	v_mul_hi_u32 v9, s15, v8
	s_delay_alu instid0(VALU_DEP_1) | instskip(SKIP_1) | instid1(VALU_DEP_1)
	v_add_nc_u32_e32 v9, v8, v9
	v_mul_lo_u32 v10, v7, s8
	v_sub_nc_u32_e32 v6, v6, v10
	v_mul_lo_u32 v10, v8, s11
	s_delay_alu instid0(VALU_DEP_4) | instskip(NEXT) | instid1(VALU_DEP_3)
	v_lshrrev_b32_e32 v9, s36, v9
	v_mad_u32 v5, v6, s21, v5
	v_mad_u32 v4, v6, s20, v4
	s_delay_alu instid0(VALU_DEP_4) | instskip(NEXT) | instid1(VALU_DEP_4)
	v_sub_nc_u32_e32 v6, v7, v10
	v_mul_hi_u32 v11, s38, v9
	v_mul_lo_u32 v7, v9, s14
	s_delay_alu instid0(VALU_DEP_3) | instskip(SKIP_1) | instid1(VALU_DEP_4)
	v_mad_u32 v5, v6, s23, v5
	v_mad_u32 v4, v6, s22, v4
	v_add_nc_u32_e32 v10, v9, v11
	s_delay_alu instid0(VALU_DEP_1) | instskip(NEXT) | instid1(VALU_DEP_1)
	v_dual_sub_nc_u32 v7, v8, v7 :: v_dual_lshrrev_b32 v6, s39, v10
	v_mad_u32 v5, v7, s25, v5
	s_delay_alu instid0(VALU_DEP_4) | instskip(NEXT) | instid1(VALU_DEP_3)
	v_mad_u32 v4, v7, s24, v4
	v_mul_lo_u32 v8, v6, s37
	s_delay_alu instid0(VALU_DEP_1) | instskip(NEXT) | instid1(VALU_DEP_1)
	v_sub_nc_u32_e32 v7, v9, v8
	v_mad_u32 v5, v7, s27, v5
	s_delay_alu instid0(VALU_DEP_4)
	v_mad_u32 v4, v7, s26, v4
	s_cbranch_scc1 .LBB109_34
; %bb.35:
	s_and_b32 s4, s1, 3
	s_mov_b32 s1, 0
	s_cmp_eq_u32 s4, 0
	s_cbranch_scc0 .LBB109_39
	s_branch .LBB109_41
.LBB109_36:
	s_mov_b32 s6, -1
                                        ; implicit-def: $vgpr5
	s_branch .LBB109_41
.LBB109_37:
	v_dual_mov_b32 v5, 0 :: v_dual_mov_b32 v4, 0
	s_branch .LBB109_41
.LBB109_38:
	v_mov_b64_e32 v[4:5], 0
	v_mov_b32_e32 v6, v1
	s_mov_b32 s0, 0
	s_and_b32 s4, s1, 3
	s_mov_b32 s1, 0
	s_cmp_eq_u32 s4, 0
	s_cbranch_scc1 .LBB109_41
.LBB109_39:
	s_lshl_b32 s2, s0, 3
	s_mov_b32 s3, s1
	s_mul_u64 s[8:9], s[0:1], 12
	s_add_nc_u64 s[2:3], s[16:17], s[2:3]
	s_delay_alu instid0(SALU_CYCLE_1)
	s_add_nc_u64 s[0:1], s[2:3], 0xc4
	s_add_nc_u64 s[2:3], s[16:17], s[8:9]
.LBB109_40:                             ; =>This Inner Loop Header: Depth=1
	s_load_b96 s[8:10], s[2:3], 0x4
	s_add_co_i32 s4, s4, -1
	s_wait_xcnt 0x0
	s_add_nc_u64 s[2:3], s[2:3], 12
	s_cmp_lg_u32 s4, 0
	s_wait_kmcnt 0x0
	v_mul_hi_u32 v7, s9, v6
	s_delay_alu instid0(VALU_DEP_1) | instskip(NEXT) | instid1(VALU_DEP_1)
	v_add_nc_u32_e32 v7, v6, v7
	v_lshrrev_b32_e32 v7, s10, v7
	s_load_b64 s[10:11], s[0:1], 0x0
	s_wait_xcnt 0x0
	s_add_nc_u64 s[0:1], s[0:1], 8
	s_delay_alu instid0(VALU_DEP_1) | instskip(NEXT) | instid1(VALU_DEP_1)
	v_mul_lo_u32 v8, v7, s8
	v_sub_nc_u32_e32 v6, v6, v8
	s_wait_kmcnt 0x0
	s_delay_alu instid0(VALU_DEP_1)
	v_mad_u32 v5, v6, s11, v5
	v_mad_u32 v4, v6, s10, v4
	v_mov_b32_e32 v6, v7
	s_cbranch_scc1 .LBB109_40
.LBB109_41:
	s_and_not1_b32 vcc_lo, exec_lo, s6
	s_cbranch_vccnz .LBB109_44
; %bb.42:
	s_clause 0x1
	s_load_b96 s[0:2], s[16:17], 0x4
	s_load_b64 s[4:5], s[16:17], 0xc4
	s_cmp_lt_u32 s30, 2
	s_wait_kmcnt 0x0
	v_mul_hi_u32 v4, s1, v1
	s_delay_alu instid0(VALU_DEP_1) | instskip(NEXT) | instid1(VALU_DEP_1)
	v_add_nc_u32_e32 v4, v1, v4
	v_lshrrev_b32_e32 v6, s2, v4
	s_delay_alu instid0(VALU_DEP_1) | instskip(NEXT) | instid1(VALU_DEP_1)
	v_mul_lo_u32 v4, v6, s0
	v_sub_nc_u32_e32 v1, v1, v4
	s_delay_alu instid0(VALU_DEP_1)
	v_mul_lo_u32 v5, v1, s5
	v_mul_lo_u32 v4, v1, s4
	s_cbranch_scc1 .LBB109_44
; %bb.43:
	s_clause 0x1
	s_load_b96 s[0:2], s[16:17], 0x10
	s_load_b64 s[4:5], s[16:17], 0xcc
	s_wait_kmcnt 0x0
	v_mul_hi_u32 v1, s1, v6
	s_delay_alu instid0(VALU_DEP_1) | instskip(NEXT) | instid1(VALU_DEP_1)
	v_add_nc_u32_e32 v1, v6, v1
	v_lshrrev_b32_e32 v1, s2, v1
	s_delay_alu instid0(VALU_DEP_1) | instskip(NEXT) | instid1(VALU_DEP_1)
	v_mul_lo_u32 v1, v1, s0
	v_sub_nc_u32_e32 v1, v6, v1
	s_delay_alu instid0(VALU_DEP_1)
	v_mad_u32 v4, v1, s4, v4
	v_mad_u32 v5, v1, s5, v5
.LBB109_44:
	v_cmp_ne_u32_e32 vcc_lo, 1, v14
	v_add_nc_u32_e32 v1, 0x100, v0
	s_cbranch_vccnz .LBB109_50
; %bb.45:
	s_cmp_lg_u32 s30, 0
	s_mov_b32 s6, 0
	s_cbranch_scc0 .LBB109_51
; %bb.46:
	s_min_u32 s1, s31, 15
	s_delay_alu instid0(SALU_CYCLE_1)
	s_add_co_i32 s1, s1, 1
	s_cmp_eq_u32 s31, 2
	s_cbranch_scc1 .LBB109_52
; %bb.47:
	v_dual_mov_b32 v6, 0 :: v_dual_mov_b32 v7, 0
	v_mov_b32_e32 v8, v1
	s_and_b32 s0, s1, 28
	s_add_nc_u64 s[2:3], s[16:17], 0xc4
	s_mov_b32 s7, 0
	s_mov_b64 s[4:5], s[16:17]
.LBB109_48:                             ; =>This Inner Loop Header: Depth=1
	s_clause 0x1
	s_load_b256 s[8:15], s[4:5], 0x4
	s_load_b128 s[36:39], s[4:5], 0x24
	s_load_b256 s[20:27], s[2:3], 0x0
	s_add_co_i32 s7, s7, 4
	s_wait_xcnt 0x0
	s_add_nc_u64 s[4:5], s[4:5], 48
	s_cmp_lg_u32 s0, s7
	s_add_nc_u64 s[2:3], s[2:3], 32
	s_wait_kmcnt 0x0
	v_mul_hi_u32 v9, s9, v8
	s_delay_alu instid0(VALU_DEP_1) | instskip(NEXT) | instid1(VALU_DEP_1)
	v_add_nc_u32_e32 v9, v8, v9
	v_lshrrev_b32_e32 v9, s10, v9
	s_delay_alu instid0(VALU_DEP_1) | instskip(NEXT) | instid1(VALU_DEP_1)
	v_mul_hi_u32 v10, s12, v9
	v_add_nc_u32_e32 v10, v9, v10
	s_delay_alu instid0(VALU_DEP_1) | instskip(NEXT) | instid1(VALU_DEP_1)
	v_lshrrev_b32_e32 v10, s13, v10
	v_mul_hi_u32 v11, s15, v10
	s_delay_alu instid0(VALU_DEP_1) | instskip(SKIP_1) | instid1(VALU_DEP_1)
	v_add_nc_u32_e32 v11, v10, v11
	v_mul_lo_u32 v12, v9, s8
	v_sub_nc_u32_e32 v8, v8, v12
	v_mul_lo_u32 v12, v10, s11
	s_delay_alu instid0(VALU_DEP_4) | instskip(NEXT) | instid1(VALU_DEP_3)
	v_lshrrev_b32_e32 v11, s36, v11
	v_mad_u32 v7, v8, s21, v7
	v_mad_u32 v6, v8, s20, v6
	s_delay_alu instid0(VALU_DEP_4) | instskip(NEXT) | instid1(VALU_DEP_4)
	v_sub_nc_u32_e32 v8, v9, v12
	v_mul_hi_u32 v13, s38, v11
	v_mul_lo_u32 v9, v11, s14
	s_delay_alu instid0(VALU_DEP_3) | instskip(SKIP_1) | instid1(VALU_DEP_4)
	v_mad_u32 v7, v8, s23, v7
	v_mad_u32 v6, v8, s22, v6
	v_add_nc_u32_e32 v12, v11, v13
	s_delay_alu instid0(VALU_DEP_1) | instskip(NEXT) | instid1(VALU_DEP_1)
	v_dual_sub_nc_u32 v9, v10, v9 :: v_dual_lshrrev_b32 v8, s39, v12
	v_mad_u32 v7, v9, s25, v7
	s_delay_alu instid0(VALU_DEP_4) | instskip(NEXT) | instid1(VALU_DEP_3)
	v_mad_u32 v6, v9, s24, v6
	v_mul_lo_u32 v10, v8, s37
	s_delay_alu instid0(VALU_DEP_1) | instskip(NEXT) | instid1(VALU_DEP_1)
	v_sub_nc_u32_e32 v9, v11, v10
	v_mad_u32 v7, v9, s27, v7
	s_delay_alu instid0(VALU_DEP_4)
	v_mad_u32 v6, v9, s26, v6
	s_cbranch_scc1 .LBB109_48
; %bb.49:
	s_and_b32 s4, s1, 3
	s_mov_b32 s1, 0
	s_cmp_eq_u32 s4, 0
	s_cbranch_scc0 .LBB109_53
	s_branch .LBB109_55
.LBB109_50:
	s_mov_b32 s6, -1
                                        ; implicit-def: $vgpr7
	s_branch .LBB109_55
.LBB109_51:
	v_dual_mov_b32 v7, 0 :: v_dual_mov_b32 v6, 0
	s_branch .LBB109_55
.LBB109_52:
	v_mov_b64_e32 v[6:7], 0
	v_mov_b32_e32 v8, v1
	s_mov_b32 s0, 0
	s_and_b32 s4, s1, 3
	s_mov_b32 s1, 0
	s_cmp_eq_u32 s4, 0
	s_cbranch_scc1 .LBB109_55
.LBB109_53:
	s_lshl_b32 s2, s0, 3
	s_mov_b32 s3, s1
	s_mul_u64 s[8:9], s[0:1], 12
	s_add_nc_u64 s[2:3], s[16:17], s[2:3]
	s_delay_alu instid0(SALU_CYCLE_1)
	s_add_nc_u64 s[0:1], s[2:3], 0xc4
	s_add_nc_u64 s[2:3], s[16:17], s[8:9]
.LBB109_54:                             ; =>This Inner Loop Header: Depth=1
	s_load_b96 s[8:10], s[2:3], 0x4
	s_add_co_i32 s4, s4, -1
	s_wait_xcnt 0x0
	s_add_nc_u64 s[2:3], s[2:3], 12
	s_cmp_lg_u32 s4, 0
	s_wait_kmcnt 0x0
	v_mul_hi_u32 v9, s9, v8
	s_delay_alu instid0(VALU_DEP_1) | instskip(NEXT) | instid1(VALU_DEP_1)
	v_add_nc_u32_e32 v9, v8, v9
	v_lshrrev_b32_e32 v9, s10, v9
	s_load_b64 s[10:11], s[0:1], 0x0
	s_wait_xcnt 0x0
	s_add_nc_u64 s[0:1], s[0:1], 8
	s_delay_alu instid0(VALU_DEP_1) | instskip(NEXT) | instid1(VALU_DEP_1)
	v_mul_lo_u32 v10, v9, s8
	v_sub_nc_u32_e32 v8, v8, v10
	s_wait_kmcnt 0x0
	s_delay_alu instid0(VALU_DEP_1)
	v_mad_u32 v7, v8, s11, v7
	v_mad_u32 v6, v8, s10, v6
	v_mov_b32_e32 v8, v9
	s_cbranch_scc1 .LBB109_54
.LBB109_55:
	s_and_not1_b32 vcc_lo, exec_lo, s6
	s_cbranch_vccnz .LBB109_58
; %bb.56:
	s_clause 0x1
	s_load_b96 s[0:2], s[16:17], 0x4
	s_load_b64 s[4:5], s[16:17], 0xc4
	s_cmp_lt_u32 s30, 2
	s_wait_kmcnt 0x0
	v_mul_hi_u32 v6, s1, v1
	s_delay_alu instid0(VALU_DEP_1) | instskip(NEXT) | instid1(VALU_DEP_1)
	v_add_nc_u32_e32 v6, v1, v6
	v_lshrrev_b32_e32 v8, s2, v6
	s_delay_alu instid0(VALU_DEP_1) | instskip(NEXT) | instid1(VALU_DEP_1)
	v_mul_lo_u32 v6, v8, s0
	v_sub_nc_u32_e32 v1, v1, v6
	s_delay_alu instid0(VALU_DEP_1)
	v_mul_lo_u32 v7, v1, s5
	v_mul_lo_u32 v6, v1, s4
	s_cbranch_scc1 .LBB109_58
; %bb.57:
	s_clause 0x1
	s_load_b96 s[0:2], s[16:17], 0x10
	s_load_b64 s[4:5], s[16:17], 0xcc
	s_wait_kmcnt 0x0
	v_mul_hi_u32 v1, s1, v8
	s_delay_alu instid0(VALU_DEP_1) | instskip(NEXT) | instid1(VALU_DEP_1)
	v_add_nc_u32_e32 v1, v8, v1
	v_lshrrev_b32_e32 v1, s2, v1
	s_delay_alu instid0(VALU_DEP_1) | instskip(NEXT) | instid1(VALU_DEP_1)
	v_mul_lo_u32 v1, v1, s0
	v_sub_nc_u32_e32 v1, v8, v1
	s_delay_alu instid0(VALU_DEP_1)
	v_mad_u32 v6, v1, s4, v6
	v_mad_u32 v7, v1, s5, v7
.LBB109_58:
	v_cmp_ne_u32_e32 vcc_lo, 1, v14
	v_add_nc_u32_e32 v1, 0x180, v0
	s_cbranch_vccnz .LBB109_64
; %bb.59:
	s_cmp_lg_u32 s30, 0
	s_mov_b32 s6, 0
	s_cbranch_scc0 .LBB109_65
; %bb.60:
	s_min_u32 s1, s31, 15
	s_delay_alu instid0(SALU_CYCLE_1)
	s_add_co_i32 s1, s1, 1
	s_cmp_eq_u32 s31, 2
	s_cbranch_scc1 .LBB109_66
; %bb.61:
	v_dual_mov_b32 v8, 0 :: v_dual_mov_b32 v9, 0
	v_mov_b32_e32 v10, v1
	s_and_b32 s0, s1, 28
	s_add_nc_u64 s[2:3], s[16:17], 0xc4
	s_mov_b32 s7, 0
	s_mov_b64 s[4:5], s[16:17]
.LBB109_62:                             ; =>This Inner Loop Header: Depth=1
	s_clause 0x1
	s_load_b256 s[8:15], s[4:5], 0x4
	s_load_b128 s[36:39], s[4:5], 0x24
	s_load_b256 s[20:27], s[2:3], 0x0
	s_add_co_i32 s7, s7, 4
	s_wait_xcnt 0x0
	s_add_nc_u64 s[4:5], s[4:5], 48
	s_cmp_lg_u32 s0, s7
	s_add_nc_u64 s[2:3], s[2:3], 32
	s_wait_kmcnt 0x0
	v_mul_hi_u32 v11, s9, v10
	s_delay_alu instid0(VALU_DEP_1) | instskip(NEXT) | instid1(VALU_DEP_1)
	v_add_nc_u32_e32 v11, v10, v11
	v_lshrrev_b32_e32 v11, s10, v11
	s_delay_alu instid0(VALU_DEP_1) | instskip(NEXT) | instid1(VALU_DEP_1)
	v_mul_hi_u32 v12, s12, v11
	v_add_nc_u32_e32 v12, v11, v12
	s_delay_alu instid0(VALU_DEP_1) | instskip(NEXT) | instid1(VALU_DEP_1)
	v_lshrrev_b32_e32 v12, s13, v12
	v_mul_hi_u32 v13, s15, v12
	s_delay_alu instid0(VALU_DEP_1) | instskip(SKIP_1) | instid1(VALU_DEP_1)
	v_add_nc_u32_e32 v13, v12, v13
	v_mul_lo_u32 v15, v11, s8
	v_sub_nc_u32_e32 v10, v10, v15
	v_mul_lo_u32 v15, v12, s11
	s_delay_alu instid0(VALU_DEP_4) | instskip(NEXT) | instid1(VALU_DEP_3)
	v_lshrrev_b32_e32 v13, s36, v13
	v_mad_u32 v9, v10, s21, v9
	v_mad_u32 v8, v10, s20, v8
	s_delay_alu instid0(VALU_DEP_4) | instskip(NEXT) | instid1(VALU_DEP_4)
	v_sub_nc_u32_e32 v10, v11, v15
	v_mul_hi_u32 v17, s38, v13
	v_mul_lo_u32 v11, v13, s14
	s_delay_alu instid0(VALU_DEP_3) | instskip(SKIP_1) | instid1(VALU_DEP_3)
	v_mad_u32 v9, v10, s23, v9
	v_mad_u32 v8, v10, s22, v8
	v_dual_add_nc_u32 v15, v13, v17 :: v_dual_sub_nc_u32 v11, v12, v11
	s_delay_alu instid0(VALU_DEP_1) | instskip(NEXT) | instid1(VALU_DEP_2)
	v_lshrrev_b32_e32 v10, s39, v15
	v_mad_u32 v9, v11, s25, v9
	s_delay_alu instid0(VALU_DEP_4) | instskip(NEXT) | instid1(VALU_DEP_3)
	v_mad_u32 v8, v11, s24, v8
	v_mul_lo_u32 v12, v10, s37
	s_delay_alu instid0(VALU_DEP_1) | instskip(NEXT) | instid1(VALU_DEP_1)
	v_sub_nc_u32_e32 v11, v13, v12
	v_mad_u32 v9, v11, s27, v9
	s_delay_alu instid0(VALU_DEP_4)
	v_mad_u32 v8, v11, s26, v8
	s_cbranch_scc1 .LBB109_62
; %bb.63:
	s_and_b32 s4, s1, 3
	s_mov_b32 s1, 0
	s_cmp_eq_u32 s4, 0
	s_cbranch_scc0 .LBB109_67
	s_branch .LBB109_69
.LBB109_64:
	s_mov_b32 s6, -1
                                        ; implicit-def: $vgpr9
	s_branch .LBB109_69
.LBB109_65:
	v_dual_mov_b32 v9, 0 :: v_dual_mov_b32 v8, 0
	s_branch .LBB109_69
.LBB109_66:
	v_mov_b64_e32 v[8:9], 0
	v_mov_b32_e32 v10, v1
	s_mov_b32 s0, 0
	s_and_b32 s4, s1, 3
	s_mov_b32 s1, 0
	s_cmp_eq_u32 s4, 0
	s_cbranch_scc1 .LBB109_69
.LBB109_67:
	s_lshl_b32 s2, s0, 3
	s_mov_b32 s3, s1
	s_mul_u64 s[8:9], s[0:1], 12
	s_add_nc_u64 s[2:3], s[16:17], s[2:3]
	s_delay_alu instid0(SALU_CYCLE_1)
	s_add_nc_u64 s[0:1], s[2:3], 0xc4
	s_add_nc_u64 s[2:3], s[16:17], s[8:9]
.LBB109_68:                             ; =>This Inner Loop Header: Depth=1
	s_load_b96 s[8:10], s[2:3], 0x4
	s_add_co_i32 s4, s4, -1
	s_wait_xcnt 0x0
	s_add_nc_u64 s[2:3], s[2:3], 12
	s_cmp_lg_u32 s4, 0
	s_wait_kmcnt 0x0
	v_mul_hi_u32 v11, s9, v10
	s_delay_alu instid0(VALU_DEP_1) | instskip(NEXT) | instid1(VALU_DEP_1)
	v_add_nc_u32_e32 v11, v10, v11
	v_lshrrev_b32_e32 v11, s10, v11
	s_load_b64 s[10:11], s[0:1], 0x0
	s_wait_xcnt 0x0
	s_add_nc_u64 s[0:1], s[0:1], 8
	s_delay_alu instid0(VALU_DEP_1) | instskip(NEXT) | instid1(VALU_DEP_1)
	v_mul_lo_u32 v12, v11, s8
	v_sub_nc_u32_e32 v10, v10, v12
	s_wait_kmcnt 0x0
	s_delay_alu instid0(VALU_DEP_1)
	v_mad_u32 v9, v10, s11, v9
	v_mad_u32 v8, v10, s10, v8
	v_mov_b32_e32 v10, v11
	s_cbranch_scc1 .LBB109_68
.LBB109_69:
	s_and_not1_b32 vcc_lo, exec_lo, s6
	s_cbranch_vccnz .LBB109_72
; %bb.70:
	s_clause 0x1
	s_load_b96 s[0:2], s[16:17], 0x4
	s_load_b64 s[4:5], s[16:17], 0xc4
	s_cmp_lt_u32 s30, 2
	s_wait_kmcnt 0x0
	v_mul_hi_u32 v8, s1, v1
	s_delay_alu instid0(VALU_DEP_1) | instskip(NEXT) | instid1(VALU_DEP_1)
	v_add_nc_u32_e32 v8, v1, v8
	v_lshrrev_b32_e32 v10, s2, v8
	s_delay_alu instid0(VALU_DEP_1) | instskip(NEXT) | instid1(VALU_DEP_1)
	v_mul_lo_u32 v8, v10, s0
	v_sub_nc_u32_e32 v1, v1, v8
	s_delay_alu instid0(VALU_DEP_1)
	v_mul_lo_u32 v9, v1, s5
	v_mul_lo_u32 v8, v1, s4
	s_cbranch_scc1 .LBB109_72
; %bb.71:
	s_clause 0x1
	s_load_b96 s[0:2], s[16:17], 0x10
	s_load_b64 s[4:5], s[16:17], 0xcc
	s_wait_kmcnt 0x0
	v_mul_hi_u32 v1, s1, v10
	s_delay_alu instid0(VALU_DEP_1) | instskip(NEXT) | instid1(VALU_DEP_1)
	v_add_nc_u32_e32 v1, v10, v1
	v_lshrrev_b32_e32 v1, s2, v1
	s_delay_alu instid0(VALU_DEP_1) | instskip(NEXT) | instid1(VALU_DEP_1)
	v_mul_lo_u32 v1, v1, s0
	v_sub_nc_u32_e32 v1, v10, v1
	s_delay_alu instid0(VALU_DEP_1)
	v_mad_u32 v8, v1, s4, v8
	v_mad_u32 v9, v1, s5, v9
.LBB109_72:
	v_cmp_ne_u32_e32 vcc_lo, 1, v14
	v_add_nc_u32_e32 v1, 0x200, v0
	s_cbranch_vccnz .LBB109_78
; %bb.73:
	s_cmp_lg_u32 s30, 0
	s_mov_b32 s6, 0
	s_cbranch_scc0 .LBB109_79
; %bb.74:
	s_min_u32 s1, s31, 15
	s_delay_alu instid0(SALU_CYCLE_1)
	s_add_co_i32 s1, s1, 1
	s_cmp_eq_u32 s31, 2
	s_cbranch_scc1 .LBB109_80
; %bb.75:
	v_dual_mov_b32 v10, 0 :: v_dual_mov_b32 v11, 0
	v_mov_b32_e32 v12, v1
	s_and_b32 s0, s1, 28
	s_add_nc_u64 s[2:3], s[16:17], 0xc4
	s_mov_b32 s7, 0
	s_mov_b64 s[4:5], s[16:17]
.LBB109_76:                             ; =>This Inner Loop Header: Depth=1
	s_clause 0x1
	s_load_b256 s[8:15], s[4:5], 0x4
	s_load_b128 s[36:39], s[4:5], 0x24
	s_load_b256 s[20:27], s[2:3], 0x0
	s_add_co_i32 s7, s7, 4
	s_wait_xcnt 0x0
	s_add_nc_u64 s[4:5], s[4:5], 48
	s_cmp_lg_u32 s0, s7
	s_add_nc_u64 s[2:3], s[2:3], 32
	s_wait_kmcnt 0x0
	v_mul_hi_u32 v13, s9, v12
	s_delay_alu instid0(VALU_DEP_1) | instskip(NEXT) | instid1(VALU_DEP_1)
	v_add_nc_u32_e32 v13, v12, v13
	v_lshrrev_b32_e32 v13, s10, v13
	s_delay_alu instid0(VALU_DEP_1) | instskip(NEXT) | instid1(VALU_DEP_1)
	v_mul_lo_u32 v18, v13, s8
	v_sub_nc_u32_e32 v12, v12, v18
	v_mul_hi_u32 v15, s12, v13
	s_delay_alu instid0(VALU_DEP_2) | instskip(SKIP_1) | instid1(VALU_DEP_3)
	v_mad_u32 v11, v12, s21, v11
	v_mad_u32 v10, v12, s20, v10
	v_add_nc_u32_e32 v15, v13, v15
	s_delay_alu instid0(VALU_DEP_1) | instskip(NEXT) | instid1(VALU_DEP_1)
	v_lshrrev_b32_e32 v15, s13, v15
	v_mul_hi_u32 v17, s15, v15
	v_mul_lo_u32 v18, v15, s11
	s_delay_alu instid0(VALU_DEP_1) | instskip(NEXT) | instid1(VALU_DEP_1)
	v_dual_add_nc_u32 v17, v15, v17 :: v_dual_sub_nc_u32 v12, v13, v18
	v_lshrrev_b32_e32 v17, s36, v17
	s_delay_alu instid0(VALU_DEP_2) | instskip(SKIP_1) | instid1(VALU_DEP_3)
	v_mad_u32 v11, v12, s23, v11
	v_mad_u32 v10, v12, s22, v10
	v_mul_hi_u32 v19, s38, v17
	v_mul_lo_u32 v13, v17, s14
	s_delay_alu instid0(VALU_DEP_1) | instskip(NEXT) | instid1(VALU_DEP_1)
	v_dual_add_nc_u32 v18, v17, v19 :: v_dual_sub_nc_u32 v13, v15, v13
	v_lshrrev_b32_e32 v12, s39, v18
	s_delay_alu instid0(VALU_DEP_2) | instskip(SKIP_1) | instid1(VALU_DEP_3)
	v_mad_u32 v11, v13, s25, v11
	v_mad_u32 v10, v13, s24, v10
	v_mul_lo_u32 v15, v12, s37
	s_delay_alu instid0(VALU_DEP_1) | instskip(NEXT) | instid1(VALU_DEP_1)
	v_sub_nc_u32_e32 v13, v17, v15
	v_mad_u32 v11, v13, s27, v11
	s_delay_alu instid0(VALU_DEP_4)
	v_mad_u32 v10, v13, s26, v10
	s_cbranch_scc1 .LBB109_76
; %bb.77:
	s_and_b32 s4, s1, 3
	s_mov_b32 s1, 0
	s_cmp_eq_u32 s4, 0
	s_cbranch_scc0 .LBB109_81
	s_branch .LBB109_83
.LBB109_78:
	s_mov_b32 s6, -1
                                        ; implicit-def: $vgpr11
	s_branch .LBB109_83
.LBB109_79:
	v_dual_mov_b32 v11, 0 :: v_dual_mov_b32 v10, 0
	s_branch .LBB109_83
.LBB109_80:
	v_mov_b64_e32 v[10:11], 0
	v_mov_b32_e32 v12, v1
	s_mov_b32 s0, 0
	s_and_b32 s4, s1, 3
	s_mov_b32 s1, 0
	s_cmp_eq_u32 s4, 0
	s_cbranch_scc1 .LBB109_83
.LBB109_81:
	s_lshl_b32 s2, s0, 3
	s_mov_b32 s3, s1
	s_mul_u64 s[8:9], s[0:1], 12
	s_add_nc_u64 s[2:3], s[16:17], s[2:3]
	s_delay_alu instid0(SALU_CYCLE_1)
	s_add_nc_u64 s[0:1], s[2:3], 0xc4
	s_add_nc_u64 s[2:3], s[16:17], s[8:9]
.LBB109_82:                             ; =>This Inner Loop Header: Depth=1
	s_load_b96 s[8:10], s[2:3], 0x4
	s_add_co_i32 s4, s4, -1
	s_wait_xcnt 0x0
	s_add_nc_u64 s[2:3], s[2:3], 12
	s_cmp_lg_u32 s4, 0
	s_wait_kmcnt 0x0
	v_mul_hi_u32 v13, s9, v12
	s_delay_alu instid0(VALU_DEP_1) | instskip(NEXT) | instid1(VALU_DEP_1)
	v_add_nc_u32_e32 v13, v12, v13
	v_lshrrev_b32_e32 v13, s10, v13
	s_load_b64 s[10:11], s[0:1], 0x0
	s_wait_xcnt 0x0
	s_add_nc_u64 s[0:1], s[0:1], 8
	s_delay_alu instid0(VALU_DEP_1) | instskip(NEXT) | instid1(VALU_DEP_1)
	v_mul_lo_u32 v15, v13, s8
	v_sub_nc_u32_e32 v12, v12, v15
	s_wait_kmcnt 0x0
	s_delay_alu instid0(VALU_DEP_1)
	v_mad_u32 v11, v12, s11, v11
	v_mad_u32 v10, v12, s10, v10
	v_mov_b32_e32 v12, v13
	s_cbranch_scc1 .LBB109_82
.LBB109_83:
	s_and_not1_b32 vcc_lo, exec_lo, s6
	s_cbranch_vccnz .LBB109_86
; %bb.84:
	s_clause 0x1
	s_load_b96 s[0:2], s[16:17], 0x4
	s_load_b64 s[4:5], s[16:17], 0xc4
	s_cmp_lt_u32 s30, 2
	s_wait_kmcnt 0x0
	v_mul_hi_u32 v10, s1, v1
	s_delay_alu instid0(VALU_DEP_1) | instskip(NEXT) | instid1(VALU_DEP_1)
	v_add_nc_u32_e32 v10, v1, v10
	v_lshrrev_b32_e32 v12, s2, v10
	s_delay_alu instid0(VALU_DEP_1) | instskip(NEXT) | instid1(VALU_DEP_1)
	v_mul_lo_u32 v10, v12, s0
	v_sub_nc_u32_e32 v1, v1, v10
	s_delay_alu instid0(VALU_DEP_1)
	v_mul_lo_u32 v11, v1, s5
	v_mul_lo_u32 v10, v1, s4
	s_cbranch_scc1 .LBB109_86
; %bb.85:
	s_clause 0x1
	s_load_b96 s[0:2], s[16:17], 0x10
	s_load_b64 s[4:5], s[16:17], 0xcc
	s_wait_kmcnt 0x0
	v_mul_hi_u32 v1, s1, v12
	s_delay_alu instid0(VALU_DEP_1) | instskip(NEXT) | instid1(VALU_DEP_1)
	v_add_nc_u32_e32 v1, v12, v1
	v_lshrrev_b32_e32 v1, s2, v1
	s_delay_alu instid0(VALU_DEP_1) | instskip(NEXT) | instid1(VALU_DEP_1)
	v_mul_lo_u32 v1, v1, s0
	v_sub_nc_u32_e32 v1, v12, v1
	s_delay_alu instid0(VALU_DEP_1)
	v_mad_u32 v10, v1, s4, v10
	v_mad_u32 v11, v1, s5, v11
.LBB109_86:
	v_cmp_ne_u32_e32 vcc_lo, 1, v14
	v_add_nc_u32_e32 v1, 0x280, v0
	s_cbranch_vccnz .LBB109_92
; %bb.87:
	s_cmp_lg_u32 s30, 0
	s_mov_b32 s6, 0
	s_cbranch_scc0 .LBB109_93
; %bb.88:
	s_min_u32 s1, s31, 15
	s_delay_alu instid0(SALU_CYCLE_1)
	s_add_co_i32 s1, s1, 1
	s_cmp_eq_u32 s31, 2
	s_cbranch_scc1 .LBB109_94
; %bb.89:
	v_dual_mov_b32 v12, 0 :: v_dual_mov_b32 v13, 0
	v_mov_b32_e32 v15, v1
	s_and_b32 s0, s1, 28
	s_add_nc_u64 s[2:3], s[16:17], 0xc4
	s_mov_b32 s7, 0
	s_mov_b64 s[4:5], s[16:17]
.LBB109_90:                             ; =>This Inner Loop Header: Depth=1
	s_clause 0x1
	s_load_b256 s[8:15], s[4:5], 0x4
	s_load_b128 s[36:39], s[4:5], 0x24
	s_load_b256 s[20:27], s[2:3], 0x0
	s_add_co_i32 s7, s7, 4
	s_wait_xcnt 0x0
	s_add_nc_u64 s[4:5], s[4:5], 48
	s_cmp_lg_u32 s0, s7
	s_add_nc_u64 s[2:3], s[2:3], 32
	s_wait_kmcnt 0x0
	v_mul_hi_u32 v17, s9, v15
	s_delay_alu instid0(VALU_DEP_1) | instskip(NEXT) | instid1(VALU_DEP_1)
	v_add_nc_u32_e32 v17, v15, v17
	v_lshrrev_b32_e32 v17, s10, v17
	s_delay_alu instid0(VALU_DEP_1) | instskip(NEXT) | instid1(VALU_DEP_1)
	v_mul_hi_u32 v18, s12, v17
	v_add_nc_u32_e32 v18, v17, v18
	s_delay_alu instid0(VALU_DEP_1) | instskip(NEXT) | instid1(VALU_DEP_1)
	v_lshrrev_b32_e32 v18, s13, v18
	v_mul_hi_u32 v19, s15, v18
	s_delay_alu instid0(VALU_DEP_1) | instskip(SKIP_1) | instid1(VALU_DEP_1)
	v_add_nc_u32_e32 v19, v18, v19
	v_mul_lo_u32 v20, v17, s8
	v_sub_nc_u32_e32 v15, v15, v20
	v_mul_lo_u32 v20, v18, s11
	s_delay_alu instid0(VALU_DEP_4) | instskip(NEXT) | instid1(VALU_DEP_3)
	v_lshrrev_b32_e32 v19, s36, v19
	v_mad_u32 v13, v15, s21, v13
	v_mad_u32 v12, v15, s20, v12
	s_delay_alu instid0(VALU_DEP_4) | instskip(NEXT) | instid1(VALU_DEP_4)
	v_sub_nc_u32_e32 v15, v17, v20
	v_mul_hi_u32 v21, s38, v19
	v_mul_lo_u32 v17, v19, s14
	s_delay_alu instid0(VALU_DEP_3) | instskip(SKIP_1) | instid1(VALU_DEP_4)
	v_mad_u32 v13, v15, s23, v13
	v_mad_u32 v12, v15, s22, v12
	v_add_nc_u32_e32 v20, v19, v21
	s_delay_alu instid0(VALU_DEP_1) | instskip(NEXT) | instid1(VALU_DEP_1)
	v_dual_sub_nc_u32 v17, v18, v17 :: v_dual_lshrrev_b32 v15, s39, v20
	v_mad_u32 v13, v17, s25, v13
	s_delay_alu instid0(VALU_DEP_4) | instskip(NEXT) | instid1(VALU_DEP_3)
	v_mad_u32 v12, v17, s24, v12
	v_mul_lo_u32 v18, v15, s37
	s_delay_alu instid0(VALU_DEP_1) | instskip(NEXT) | instid1(VALU_DEP_1)
	v_sub_nc_u32_e32 v17, v19, v18
	v_mad_u32 v13, v17, s27, v13
	s_delay_alu instid0(VALU_DEP_4)
	v_mad_u32 v12, v17, s26, v12
	s_cbranch_scc1 .LBB109_90
; %bb.91:
	s_and_b32 s4, s1, 3
	s_mov_b32 s1, 0
	s_cmp_eq_u32 s4, 0
	s_cbranch_scc0 .LBB109_95
	s_branch .LBB109_97
.LBB109_92:
	s_mov_b32 s6, -1
                                        ; implicit-def: $vgpr13
	s_branch .LBB109_97
.LBB109_93:
	v_dual_mov_b32 v13, 0 :: v_dual_mov_b32 v12, 0
	s_branch .LBB109_97
.LBB109_94:
	v_mov_b64_e32 v[12:13], 0
	v_mov_b32_e32 v15, v1
	s_mov_b32 s0, 0
	s_and_b32 s4, s1, 3
	s_mov_b32 s1, 0
	s_cmp_eq_u32 s4, 0
	s_cbranch_scc1 .LBB109_97
.LBB109_95:
	s_lshl_b32 s2, s0, 3
	s_mov_b32 s3, s1
	s_mul_u64 s[8:9], s[0:1], 12
	s_add_nc_u64 s[2:3], s[16:17], s[2:3]
	s_delay_alu instid0(SALU_CYCLE_1)
	s_add_nc_u64 s[0:1], s[2:3], 0xc4
	s_add_nc_u64 s[2:3], s[16:17], s[8:9]
.LBB109_96:                             ; =>This Inner Loop Header: Depth=1
	s_load_b96 s[8:10], s[2:3], 0x4
	s_add_co_i32 s4, s4, -1
	s_wait_xcnt 0x0
	s_add_nc_u64 s[2:3], s[2:3], 12
	s_cmp_lg_u32 s4, 0
	s_wait_kmcnt 0x0
	v_mul_hi_u32 v17, s9, v15
	s_delay_alu instid0(VALU_DEP_1) | instskip(NEXT) | instid1(VALU_DEP_1)
	v_add_nc_u32_e32 v17, v15, v17
	v_lshrrev_b32_e32 v17, s10, v17
	s_load_b64 s[10:11], s[0:1], 0x0
	s_wait_xcnt 0x0
	s_add_nc_u64 s[0:1], s[0:1], 8
	s_delay_alu instid0(VALU_DEP_1) | instskip(NEXT) | instid1(VALU_DEP_1)
	v_mul_lo_u32 v18, v17, s8
	v_sub_nc_u32_e32 v15, v15, v18
	s_wait_kmcnt 0x0
	s_delay_alu instid0(VALU_DEP_1)
	v_mad_u32 v13, v15, s11, v13
	v_mad_u32 v12, v15, s10, v12
	v_mov_b32_e32 v15, v17
	s_cbranch_scc1 .LBB109_96
.LBB109_97:
	s_and_not1_b32 vcc_lo, exec_lo, s6
	s_cbranch_vccnz .LBB109_100
; %bb.98:
	s_clause 0x1
	s_load_b96 s[0:2], s[16:17], 0x4
	s_load_b64 s[4:5], s[16:17], 0xc4
	s_cmp_lt_u32 s30, 2
	s_wait_kmcnt 0x0
	v_mul_hi_u32 v12, s1, v1
	s_delay_alu instid0(VALU_DEP_1) | instskip(NEXT) | instid1(VALU_DEP_1)
	v_add_nc_u32_e32 v12, v1, v12
	v_lshrrev_b32_e32 v15, s2, v12
	s_delay_alu instid0(VALU_DEP_1) | instskip(NEXT) | instid1(VALU_DEP_1)
	v_mul_lo_u32 v12, v15, s0
	v_sub_nc_u32_e32 v1, v1, v12
	s_delay_alu instid0(VALU_DEP_1)
	v_mul_lo_u32 v13, v1, s5
	v_mul_lo_u32 v12, v1, s4
	s_cbranch_scc1 .LBB109_100
; %bb.99:
	s_clause 0x1
	s_load_b96 s[0:2], s[16:17], 0x10
	s_load_b64 s[4:5], s[16:17], 0xcc
	s_wait_kmcnt 0x0
	v_mul_hi_u32 v1, s1, v15
	s_delay_alu instid0(VALU_DEP_1) | instskip(NEXT) | instid1(VALU_DEP_1)
	v_add_nc_u32_e32 v1, v15, v1
	v_lshrrev_b32_e32 v1, s2, v1
	s_delay_alu instid0(VALU_DEP_1) | instskip(NEXT) | instid1(VALU_DEP_1)
	v_mul_lo_u32 v1, v1, s0
	v_sub_nc_u32_e32 v1, v15, v1
	s_delay_alu instid0(VALU_DEP_1)
	v_mad_u32 v12, v1, s4, v12
	v_mad_u32 v13, v1, s5, v13
.LBB109_100:
	v_cmp_ne_u32_e32 vcc_lo, 1, v14
	v_add_nc_u32_e32 v15, 0x300, v0
	s_cbranch_vccnz .LBB109_106
; %bb.101:
	s_cmp_lg_u32 s30, 0
	s_mov_b32 s6, 0
	s_cbranch_scc0 .LBB109_107
; %bb.102:
	s_min_u32 s1, s31, 15
	s_delay_alu instid0(SALU_CYCLE_1)
	s_add_co_i32 s1, s1, 1
	s_cmp_eq_u32 s31, 2
	s_cbranch_scc1 .LBB109_108
; %bb.103:
	v_dual_mov_b32 v0, 0 :: v_dual_mov_b32 v1, 0
	v_mov_b32_e32 v17, v15
	s_and_b32 s0, s1, 28
	s_add_nc_u64 s[2:3], s[16:17], 0xc4
	s_mov_b32 s7, 0
	s_mov_b64 s[4:5], s[16:17]
.LBB109_104:                            ; =>This Inner Loop Header: Depth=1
	s_clause 0x1
	s_load_b256 s[8:15], s[4:5], 0x4
	s_load_b128 s[36:39], s[4:5], 0x24
	s_load_b256 s[20:27], s[2:3], 0x0
	s_add_co_i32 s7, s7, 4
	s_wait_xcnt 0x0
	s_add_nc_u64 s[4:5], s[4:5], 48
	s_cmp_lg_u32 s0, s7
	s_add_nc_u64 s[2:3], s[2:3], 32
	s_wait_kmcnt 0x0
	v_mul_hi_u32 v18, s9, v17
	s_delay_alu instid0(VALU_DEP_1) | instskip(NEXT) | instid1(VALU_DEP_1)
	v_add_nc_u32_e32 v18, v17, v18
	v_lshrrev_b32_e32 v18, s10, v18
	s_delay_alu instid0(VALU_DEP_1) | instskip(NEXT) | instid1(VALU_DEP_1)
	v_mul_hi_u32 v19, s12, v18
	v_add_nc_u32_e32 v19, v18, v19
	s_delay_alu instid0(VALU_DEP_1) | instskip(NEXT) | instid1(VALU_DEP_1)
	v_lshrrev_b32_e32 v19, s13, v19
	v_mul_hi_u32 v20, s15, v19
	s_delay_alu instid0(VALU_DEP_1) | instskip(SKIP_1) | instid1(VALU_DEP_1)
	v_add_nc_u32_e32 v20, v19, v20
	v_mul_lo_u32 v21, v18, s8
	v_sub_nc_u32_e32 v17, v17, v21
	v_mul_lo_u32 v21, v19, s11
	s_delay_alu instid0(VALU_DEP_4) | instskip(NEXT) | instid1(VALU_DEP_3)
	v_lshrrev_b32_e32 v20, s36, v20
	v_mad_u32 v1, v17, s21, v1
	v_mad_u32 v0, v17, s20, v0
	s_delay_alu instid0(VALU_DEP_4) | instskip(NEXT) | instid1(VALU_DEP_4)
	v_sub_nc_u32_e32 v17, v18, v21
	v_mul_hi_u32 v22, s38, v20
	v_mul_lo_u32 v18, v20, s14
	s_delay_alu instid0(VALU_DEP_3) | instskip(SKIP_1) | instid1(VALU_DEP_4)
	v_mad_u32 v1, v17, s23, v1
	v_mad_u32 v0, v17, s22, v0
	v_add_nc_u32_e32 v21, v20, v22
	s_delay_alu instid0(VALU_DEP_1) | instskip(NEXT) | instid1(VALU_DEP_1)
	v_dual_sub_nc_u32 v18, v19, v18 :: v_dual_lshrrev_b32 v17, s39, v21
	v_mad_u32 v1, v18, s25, v1
	s_delay_alu instid0(VALU_DEP_4) | instskip(NEXT) | instid1(VALU_DEP_3)
	v_mad_u32 v0, v18, s24, v0
	v_mul_lo_u32 v19, v17, s37
	s_delay_alu instid0(VALU_DEP_1) | instskip(NEXT) | instid1(VALU_DEP_1)
	v_sub_nc_u32_e32 v18, v20, v19
	v_mad_u32 v1, v18, s27, v1
	s_delay_alu instid0(VALU_DEP_4)
	v_mad_u32 v0, v18, s26, v0
	s_cbranch_scc1 .LBB109_104
; %bb.105:
	s_and_b32 s4, s1, 3
	s_mov_b32 s1, 0
	s_cmp_eq_u32 s4, 0
	s_cbranch_scc0 .LBB109_109
	s_branch .LBB109_111
.LBB109_106:
	s_mov_b32 s6, -1
                                        ; implicit-def: $vgpr1
	s_branch .LBB109_111
.LBB109_107:
	v_dual_mov_b32 v1, 0 :: v_dual_mov_b32 v0, 0
	s_branch .LBB109_111
.LBB109_108:
	v_mov_b64_e32 v[0:1], 0
	v_mov_b32_e32 v17, v15
	s_mov_b32 s0, 0
	s_and_b32 s4, s1, 3
	s_mov_b32 s1, 0
	s_cmp_eq_u32 s4, 0
	s_cbranch_scc1 .LBB109_111
.LBB109_109:
	s_lshl_b32 s2, s0, 3
	s_mov_b32 s3, s1
	s_mul_u64 s[8:9], s[0:1], 12
	s_add_nc_u64 s[2:3], s[16:17], s[2:3]
	s_delay_alu instid0(SALU_CYCLE_1)
	s_add_nc_u64 s[0:1], s[2:3], 0xc4
	s_add_nc_u64 s[2:3], s[16:17], s[8:9]
.LBB109_110:                            ; =>This Inner Loop Header: Depth=1
	s_load_b96 s[8:10], s[2:3], 0x4
	s_add_co_i32 s4, s4, -1
	s_wait_xcnt 0x0
	s_add_nc_u64 s[2:3], s[2:3], 12
	s_cmp_lg_u32 s4, 0
	s_wait_kmcnt 0x0
	v_mul_hi_u32 v18, s9, v17
	s_delay_alu instid0(VALU_DEP_1) | instskip(NEXT) | instid1(VALU_DEP_1)
	v_add_nc_u32_e32 v18, v17, v18
	v_lshrrev_b32_e32 v18, s10, v18
	s_load_b64 s[10:11], s[0:1], 0x0
	s_wait_xcnt 0x0
	s_add_nc_u64 s[0:1], s[0:1], 8
	s_delay_alu instid0(VALU_DEP_1) | instskip(NEXT) | instid1(VALU_DEP_1)
	v_mul_lo_u32 v19, v18, s8
	v_sub_nc_u32_e32 v17, v17, v19
	s_wait_kmcnt 0x0
	s_delay_alu instid0(VALU_DEP_1)
	v_mad_u32 v1, v17, s11, v1
	v_mad_u32 v0, v17, s10, v0
	v_mov_b32_e32 v17, v18
	s_cbranch_scc1 .LBB109_110
.LBB109_111:
	s_and_not1_b32 vcc_lo, exec_lo, s6
	s_cbranch_vccnz .LBB109_114
; %bb.112:
	s_clause 0x1
	s_load_b96 s[0:2], s[16:17], 0x4
	s_load_b64 s[4:5], s[16:17], 0xc4
	s_cmp_lt_u32 s30, 2
	s_wait_kmcnt 0x0
	v_mul_hi_u32 v0, s1, v15
	s_delay_alu instid0(VALU_DEP_1) | instskip(NEXT) | instid1(VALU_DEP_1)
	v_add_nc_u32_e32 v0, v15, v0
	v_lshrrev_b32_e32 v17, s2, v0
	s_delay_alu instid0(VALU_DEP_1) | instskip(NEXT) | instid1(VALU_DEP_1)
	v_mul_lo_u32 v0, v17, s0
	v_sub_nc_u32_e32 v0, v15, v0
	s_delay_alu instid0(VALU_DEP_1)
	v_mul_lo_u32 v1, v0, s5
	v_mul_lo_u32 v0, v0, s4
	s_cbranch_scc1 .LBB109_114
; %bb.113:
	s_clause 0x1
	s_load_b96 s[0:2], s[16:17], 0x10
	s_load_b64 s[4:5], s[16:17], 0xcc
	s_wait_kmcnt 0x0
	v_mul_hi_u32 v15, s1, v17
	s_delay_alu instid0(VALU_DEP_1) | instskip(NEXT) | instid1(VALU_DEP_1)
	v_add_nc_u32_e32 v15, v17, v15
	v_lshrrev_b32_e32 v15, s2, v15
	s_delay_alu instid0(VALU_DEP_1) | instskip(NEXT) | instid1(VALU_DEP_1)
	v_mul_lo_u32 v15, v15, s0
	v_sub_nc_u32_e32 v15, v17, v15
	s_delay_alu instid0(VALU_DEP_1)
	v_mad_u32 v0, v15, s4, v0
	v_mad_u32 v1, v15, s5, v1
.LBB109_114:
	v_cmp_ne_u32_e32 vcc_lo, 1, v14
	s_cbranch_vccnz .LBB109_120
; %bb.115:
	s_cmp_lg_u32 s30, 0
	s_mov_b32 s6, 0
	s_cbranch_scc0 .LBB109_121
; %bb.116:
	s_min_u32 s1, s31, 15
	s_delay_alu instid0(SALU_CYCLE_1)
	s_add_co_i32 s1, s1, 1
	s_cmp_eq_u32 s31, 2
	s_cbranch_scc1 .LBB109_122
; %bb.117:
	v_dual_mov_b32 v14, 0 :: v_dual_mov_b32 v15, 0
	v_mov_b32_e32 v17, v16
	s_and_b32 s0, s1, 28
	s_add_nc_u64 s[2:3], s[16:17], 0xc4
	s_mov_b32 s7, 0
	s_mov_b64 s[4:5], s[16:17]
.LBB109_118:                            ; =>This Inner Loop Header: Depth=1
	s_clause 0x1
	s_load_b256 s[8:15], s[4:5], 0x4
	s_load_b128 s[36:39], s[4:5], 0x24
	s_load_b256 s[20:27], s[2:3], 0x0
	s_add_co_i32 s7, s7, 4
	s_wait_xcnt 0x0
	s_add_nc_u64 s[4:5], s[4:5], 48
	s_cmp_lg_u32 s0, s7
	s_add_nc_u64 s[2:3], s[2:3], 32
	s_wait_kmcnt 0x0
	v_mul_hi_u32 v18, s9, v17
	s_delay_alu instid0(VALU_DEP_1) | instskip(NEXT) | instid1(VALU_DEP_1)
	v_add_nc_u32_e32 v18, v17, v18
	v_lshrrev_b32_e32 v18, s10, v18
	s_delay_alu instid0(VALU_DEP_1) | instskip(NEXT) | instid1(VALU_DEP_1)
	v_mul_hi_u32 v19, s12, v18
	v_add_nc_u32_e32 v19, v18, v19
	s_delay_alu instid0(VALU_DEP_1) | instskip(NEXT) | instid1(VALU_DEP_1)
	v_lshrrev_b32_e32 v19, s13, v19
	v_mul_hi_u32 v20, s15, v19
	s_delay_alu instid0(VALU_DEP_1) | instskip(SKIP_1) | instid1(VALU_DEP_1)
	v_add_nc_u32_e32 v20, v19, v20
	v_mul_lo_u32 v21, v18, s8
	v_sub_nc_u32_e32 v17, v17, v21
	v_mul_lo_u32 v21, v19, s11
	s_delay_alu instid0(VALU_DEP_4) | instskip(NEXT) | instid1(VALU_DEP_3)
	v_lshrrev_b32_e32 v20, s36, v20
	v_mad_u32 v15, v17, s21, v15
	v_mad_u32 v14, v17, s20, v14
	s_delay_alu instid0(VALU_DEP_4) | instskip(NEXT) | instid1(VALU_DEP_4)
	v_sub_nc_u32_e32 v17, v18, v21
	v_mul_hi_u32 v22, s38, v20
	v_mul_lo_u32 v18, v20, s14
	s_delay_alu instid0(VALU_DEP_3) | instskip(SKIP_1) | instid1(VALU_DEP_4)
	v_mad_u32 v15, v17, s23, v15
	v_mad_u32 v14, v17, s22, v14
	v_add_nc_u32_e32 v21, v20, v22
	s_delay_alu instid0(VALU_DEP_1) | instskip(NEXT) | instid1(VALU_DEP_1)
	v_dual_sub_nc_u32 v18, v19, v18 :: v_dual_lshrrev_b32 v17, s39, v21
	v_mad_u32 v15, v18, s25, v15
	s_delay_alu instid0(VALU_DEP_4) | instskip(NEXT) | instid1(VALU_DEP_3)
	v_mad_u32 v14, v18, s24, v14
	v_mul_lo_u32 v19, v17, s37
	s_delay_alu instid0(VALU_DEP_1) | instskip(NEXT) | instid1(VALU_DEP_1)
	v_sub_nc_u32_e32 v18, v20, v19
	v_mad_u32 v15, v18, s27, v15
	s_delay_alu instid0(VALU_DEP_4)
	v_mad_u32 v14, v18, s26, v14
	s_cbranch_scc1 .LBB109_118
; %bb.119:
	s_and_b32 s4, s1, 3
	s_mov_b32 s1, 0
	s_cmp_eq_u32 s4, 0
	s_cbranch_scc0 .LBB109_123
	s_branch .LBB109_125
.LBB109_120:
	s_mov_b32 s6, -1
                                        ; implicit-def: $vgpr15
	s_branch .LBB109_125
.LBB109_121:
	v_dual_mov_b32 v15, 0 :: v_dual_mov_b32 v14, 0
	s_branch .LBB109_125
.LBB109_122:
	v_mov_b64_e32 v[14:15], 0
	v_mov_b32_e32 v17, v16
	s_mov_b32 s0, 0
	s_and_b32 s4, s1, 3
	s_mov_b32 s1, 0
	s_cmp_eq_u32 s4, 0
	s_cbranch_scc1 .LBB109_125
.LBB109_123:
	s_lshl_b32 s2, s0, 3
	s_mov_b32 s3, s1
	s_mul_u64 s[8:9], s[0:1], 12
	s_add_nc_u64 s[2:3], s[16:17], s[2:3]
	s_delay_alu instid0(SALU_CYCLE_1)
	s_add_nc_u64 s[0:1], s[2:3], 0xc4
	s_add_nc_u64 s[2:3], s[16:17], s[8:9]
.LBB109_124:                            ; =>This Inner Loop Header: Depth=1
	s_load_b96 s[8:10], s[2:3], 0x4
	s_add_co_i32 s4, s4, -1
	s_wait_xcnt 0x0
	s_add_nc_u64 s[2:3], s[2:3], 12
	s_cmp_lg_u32 s4, 0
	s_wait_kmcnt 0x0
	v_mul_hi_u32 v18, s9, v17
	s_delay_alu instid0(VALU_DEP_1) | instskip(NEXT) | instid1(VALU_DEP_1)
	v_add_nc_u32_e32 v18, v17, v18
	v_lshrrev_b32_e32 v18, s10, v18
	s_load_b64 s[10:11], s[0:1], 0x0
	s_wait_xcnt 0x0
	s_add_nc_u64 s[0:1], s[0:1], 8
	s_delay_alu instid0(VALU_DEP_1) | instskip(NEXT) | instid1(VALU_DEP_1)
	v_mul_lo_u32 v19, v18, s8
	v_sub_nc_u32_e32 v17, v17, v19
	s_wait_kmcnt 0x0
	s_delay_alu instid0(VALU_DEP_1)
	v_mad_u32 v15, v17, s11, v15
	v_mad_u32 v14, v17, s10, v14
	v_mov_b32_e32 v17, v18
	s_cbranch_scc1 .LBB109_124
.LBB109_125:
	s_and_not1_b32 vcc_lo, exec_lo, s6
	s_cbranch_vccnz .LBB109_128
; %bb.126:
	s_clause 0x1
	s_load_b96 s[0:2], s[16:17], 0x4
	s_load_b64 s[4:5], s[16:17], 0xc4
	s_cmp_lt_u32 s30, 2
	s_wait_kmcnt 0x0
	v_mul_hi_u32 v14, s1, v16
	s_delay_alu instid0(VALU_DEP_1) | instskip(NEXT) | instid1(VALU_DEP_1)
	v_add_nc_u32_e32 v14, v16, v14
	v_lshrrev_b32_e32 v17, s2, v14
	s_delay_alu instid0(VALU_DEP_1) | instskip(NEXT) | instid1(VALU_DEP_1)
	v_mul_lo_u32 v14, v17, s0
	v_sub_nc_u32_e32 v14, v16, v14
	s_delay_alu instid0(VALU_DEP_1)
	v_mul_lo_u32 v15, v14, s5
	v_mul_lo_u32 v14, v14, s4
	s_cbranch_scc1 .LBB109_128
; %bb.127:
	s_clause 0x1
	s_load_b96 s[0:2], s[16:17], 0x10
	s_load_b64 s[4:5], s[16:17], 0xcc
	s_wait_kmcnt 0x0
	v_mul_hi_u32 v16, s1, v17
	s_delay_alu instid0(VALU_DEP_1) | instskip(NEXT) | instid1(VALU_DEP_1)
	v_add_nc_u32_e32 v16, v17, v16
	v_lshrrev_b32_e32 v16, s2, v16
	s_delay_alu instid0(VALU_DEP_1) | instskip(NEXT) | instid1(VALU_DEP_1)
	v_mul_lo_u32 v16, v16, s0
	v_sub_nc_u32_e32 v16, v17, v16
	s_delay_alu instid0(VALU_DEP_1)
	v_mad_u32 v14, v16, s4, v14
	v_mad_u32 v15, v16, s5, v15
.LBB109_128:
	s_clause 0x1
	s_load_b128 s[0:3], s[16:17], 0x148
	s_load_b64 s[4:5], s[16:17], 0x158
	s_wait_kmcnt 0x0
	s_clause 0x7
	global_load_b32 v16, v3, s[2:3]
	global_load_b32 v17, v5, s[2:3]
	;; [unrolled: 1-line block ×8, first 2 shown]
	s_cmp_eq_u32 s4, 0
	s_wait_loadcnt 0x7
	v_cmp_eq_f32_e32 vcc_lo, s5, v16
	s_wait_xcnt 0x1
	v_cndmask_b32_e64 v1, 0, 1, vcc_lo
	v_cmp_neq_f32_e32 vcc_lo, s5, v16
	v_cndmask_b32_e64 v3, 0, 1, vcc_lo
	s_wait_loadcnt 0x6
	v_cmp_eq_f32_e32 vcc_lo, s5, v17
	v_cndmask_b32_e64 v5, 0, 1, vcc_lo
	v_cmp_neq_f32_e32 vcc_lo, s5, v17
	v_cndmask_b32_e64 v7, 0, 1, vcc_lo
	s_wait_loadcnt 0x5
	v_cmp_eq_f32_e32 vcc_lo, s5, v18
	;; [unrolled: 5-line block ×3, first 2 shown]
	v_cndmask_b32_e64 v13, 0, 1, vcc_lo
	v_cmp_neq_f32_e32 vcc_lo, s5, v19
	s_wait_xcnt 0x0
	v_cndmask_b32_e64 v15, 0, 1, vcc_lo
	s_wait_loadcnt 0x3
	v_cmp_eq_f32_e32 vcc_lo, s5, v20
	v_cndmask_b32_e64 v16, 0, 1, vcc_lo
	v_cmp_neq_f32_e32 vcc_lo, s5, v20
	v_cndmask_b32_e64 v17, 0, 1, vcc_lo
	s_wait_loadcnt 0x2
	v_cmp_eq_f32_e32 vcc_lo, s5, v21
	v_cndmask_b32_e64 v18, 0, 1, vcc_lo
	v_cmp_neq_f32_e32 vcc_lo, s5, v21
	;; [unrolled: 5-line block ×4, first 2 shown]
	v_cndmask_b32_e64 v23, 0, 1, vcc_lo
	s_cselect_b32 vcc_lo, -1, 0
	v_cndmask_b32_e32 v1, v3, v1, vcc_lo
	v_cndmask_b32_e32 v3, v7, v5, vcc_lo
	v_dual_cndmask_b32 v7, v15, v13, vcc_lo :: v_dual_cndmask_b32 v13, v21, v20, vcc_lo
	v_dual_cndmask_b32 v5, v11, v9, vcc_lo :: v_dual_cndmask_b32 v9, v17, v16, vcc_lo
	s_delay_alu instid0(VALU_DEP_4) | instskip(NEXT) | instid1(VALU_DEP_4)
	v_dual_cndmask_b32 v11, v19, v18, vcc_lo :: v_dual_bitop2_b32 v1, 1, v1 bitop3:0x40
	v_dual_cndmask_b32 v15, v23, v22, vcc_lo :: v_dual_bitop2_b32 v3, 1, v3 bitop3:0x40
	s_delay_alu instid0(VALU_DEP_3) | instskip(NEXT) | instid1(VALU_DEP_3)
	v_and_b32_e32 v5, 1, v5
	v_and_b32_e32 v11, 1, v11
	;; [unrolled: 1-line block ×6, first 2 shown]
	s_clause 0x7
	global_store_b8 v2, v1, s[0:1]
	global_store_b8 v4, v3, s[0:1]
	;; [unrolled: 1-line block ×8, first 2 shown]
	s_endpgm
.LBB109_129:
	v_dual_mov_b32 v3, 0 :: v_dual_mov_b32 v2, 0
	s_branch .LBB109_135
.LBB109_130:
	v_dual_mov_b32 v3, 0 :: v_dual_mov_b32 v2, 0
	s_branch .LBB109_151
.LBB109_131:
	v_mov_b64_e32 v[2:3], 0
	v_mov_b32_e32 v1, v0
	s_mov_b32 s24, 0
.LBB109_132:
	s_and_b32 s9, s9, 3
	s_mov_b32 s25, 0
	s_cmp_eq_u32 s9, 0
	s_cbranch_scc1 .LBB109_135
; %bb.133:
	s_lshl_b32 s26, s24, 3
	s_mov_b32 s27, s25
	s_mul_u64 s[28:29], s[24:25], 12
	s_add_nc_u64 s[26:27], s[16:17], s[26:27]
	s_delay_alu instid0(SALU_CYCLE_1)
	s_add_nc_u64 s[24:25], s[26:27], 0xc4
	s_add_nc_u64 s[26:27], s[16:17], s[28:29]
.LBB109_134:                            ; =>This Inner Loop Header: Depth=1
	s_load_b96 s[40:42], s[26:27], 0x4
	s_load_b64 s[28:29], s[24:25], 0x0
	s_add_co_i32 s9, s9, -1
	s_wait_xcnt 0x0
	s_add_nc_u64 s[26:27], s[26:27], 12
	s_cmp_lg_u32 s9, 0
	s_add_nc_u64 s[24:25], s[24:25], 8
	s_wait_kmcnt 0x0
	v_mul_hi_u32 v4, s41, v1
	s_delay_alu instid0(VALU_DEP_1) | instskip(NEXT) | instid1(VALU_DEP_1)
	v_add_nc_u32_e32 v4, v1, v4
	v_lshrrev_b32_e32 v4, s42, v4
	s_delay_alu instid0(VALU_DEP_1) | instskip(NEXT) | instid1(VALU_DEP_1)
	v_mul_lo_u32 v5, v4, s40
	v_sub_nc_u32_e32 v1, v1, v5
	s_delay_alu instid0(VALU_DEP_1)
	v_mad_u32 v3, v1, s29, v3
	v_mad_u32 v2, v1, s28, v2
	v_mov_b32_e32 v1, v4
	s_cbranch_scc1 .LBB109_134
.LBB109_135:
	s_cbranch_execnz .LBB109_138
.LBB109_136:
	v_mov_b32_e32 v1, 0
	s_and_not1_b32 vcc_lo, exec_lo, s35
	s_delay_alu instid0(VALU_DEP_1) | instskip(NEXT) | instid1(VALU_DEP_1)
	v_mul_u64_e32 v[2:3], s[18:19], v[0:1]
	v_add_nc_u32_e32 v2, v0, v3
	s_delay_alu instid0(VALU_DEP_1) | instskip(NEXT) | instid1(VALU_DEP_1)
	v_lshrrev_b32_e32 v4, s10, v2
	v_mul_lo_u32 v2, v4, s8
	s_delay_alu instid0(VALU_DEP_1) | instskip(NEXT) | instid1(VALU_DEP_1)
	v_sub_nc_u32_e32 v2, v0, v2
	v_mul_lo_u32 v3, v2, s13
	v_mul_lo_u32 v2, v2, s12
	s_cbranch_vccnz .LBB109_138
; %bb.137:
	v_mov_b32_e32 v5, v1
	s_delay_alu instid0(VALU_DEP_1) | instskip(NEXT) | instid1(VALU_DEP_1)
	v_mul_u64_e32 v[6:7], s[20:21], v[4:5]
	v_add_nc_u32_e32 v1, v4, v7
	s_delay_alu instid0(VALU_DEP_1) | instskip(NEXT) | instid1(VALU_DEP_1)
	v_lshrrev_b32_e32 v1, s3, v1
	v_mul_lo_u32 v1, v1, s11
	s_delay_alu instid0(VALU_DEP_1) | instskip(NEXT) | instid1(VALU_DEP_1)
	v_sub_nc_u32_e32 v1, v4, v1
	v_mad_u32 v2, v1, s14, v2
	v_mad_u32 v3, v1, s15, v3
.LBB109_138:
	global_load_b32 v1, v3, s[6:7]
	v_add_nc_u32_e32 v0, 0x80, v0
	s_wait_loadcnt 0x0
	v_cmp_eq_f32_e32 vcc_lo, s1, v1
	v_cndmask_b32_e64 v3, 0, 1, vcc_lo
	v_cmp_neq_f32_e32 vcc_lo, s1, v1
	v_cndmask_b32_e64 v1, 0, 1, vcc_lo
	s_delay_alu instid0(VALU_DEP_1) | instskip(NEXT) | instid1(VALU_DEP_1)
	v_cndmask_b32_e64 v1, v1, v3, s0
	v_and_b32_e32 v1, 1, v1
	global_store_b8 v2, v1, s[4:5]
	s_wait_xcnt 0x0
	s_or_b32 exec_lo, exec_lo, s2
	s_delay_alu instid0(SALU_CYCLE_1)
	s_mov_b32 s2, exec_lo
	v_cmpx_gt_i32_e64 s36, v0
	s_cbranch_execnz .LBB109_15
.LBB109_139:
	s_or_b32 exec_lo, exec_lo, s2
	s_delay_alu instid0(SALU_CYCLE_1)
	s_mov_b32 s2, exec_lo
	v_cmpx_gt_i32_e64 s36, v0
	s_cbranch_execz .LBB109_155
.LBB109_140:
	s_and_not1_b32 vcc_lo, exec_lo, s33
	s_cbranch_vccnz .LBB109_145
; %bb.141:
	s_and_not1_b32 vcc_lo, exec_lo, s38
	s_cbranch_vccnz .LBB109_146
; %bb.142:
	s_add_co_i32 s9, s37, 1
	s_cmp_eq_u32 s31, 2
	s_cbranch_scc1 .LBB109_163
; %bb.143:
	v_dual_mov_b32 v2, 0 :: v_dual_mov_b32 v3, 0
	v_mov_b32_e32 v1, v0
	s_and_b32 s24, s9, 28
	s_mov_b32 s25, 0
	s_mov_b64 s[26:27], s[16:17]
	s_mov_b64 s[28:29], s[22:23]
.LBB109_144:                            ; =>This Inner Loop Header: Depth=1
	s_clause 0x1
	s_load_b256 s[40:47], s[26:27], 0x4
	s_load_b128 s[56:59], s[26:27], 0x24
	s_load_b256 s[48:55], s[28:29], 0x0
	s_add_co_i32 s25, s25, 4
	s_wait_xcnt 0x0
	s_add_nc_u64 s[26:27], s[26:27], 48
	s_cmp_eq_u32 s24, s25
	s_add_nc_u64 s[28:29], s[28:29], 32
	s_wait_kmcnt 0x0
	v_mul_hi_u32 v4, s41, v1
	s_delay_alu instid0(VALU_DEP_1) | instskip(NEXT) | instid1(VALU_DEP_1)
	v_add_nc_u32_e32 v4, v1, v4
	v_lshrrev_b32_e32 v4, s42, v4
	s_delay_alu instid0(VALU_DEP_1) | instskip(NEXT) | instid1(VALU_DEP_1)
	v_mul_hi_u32 v5, s44, v4
	v_add_nc_u32_e32 v5, v4, v5
	s_delay_alu instid0(VALU_DEP_1) | instskip(NEXT) | instid1(VALU_DEP_1)
	v_lshrrev_b32_e32 v5, s45, v5
	v_mul_hi_u32 v6, s47, v5
	s_delay_alu instid0(VALU_DEP_1) | instskip(SKIP_1) | instid1(VALU_DEP_1)
	v_add_nc_u32_e32 v6, v5, v6
	v_mul_lo_u32 v7, v4, s40
	v_sub_nc_u32_e32 v1, v1, v7
	v_mul_lo_u32 v7, v5, s43
	s_delay_alu instid0(VALU_DEP_4) | instskip(NEXT) | instid1(VALU_DEP_3)
	v_lshrrev_b32_e32 v6, s56, v6
	v_mad_u32 v3, v1, s49, v3
	v_mad_u32 v1, v1, s48, v2
	s_delay_alu instid0(VALU_DEP_4) | instskip(NEXT) | instid1(VALU_DEP_4)
	v_sub_nc_u32_e32 v2, v4, v7
	v_mul_hi_u32 v8, s58, v6
	v_mul_lo_u32 v4, v6, s46
	s_delay_alu instid0(VALU_DEP_3) | instskip(SKIP_1) | instid1(VALU_DEP_4)
	v_mad_u32 v3, v2, s51, v3
	v_mad_u32 v2, v2, s50, v1
	v_add_nc_u32_e32 v7, v6, v8
	s_delay_alu instid0(VALU_DEP_1) | instskip(NEXT) | instid1(VALU_DEP_1)
	v_dual_sub_nc_u32 v4, v5, v4 :: v_dual_lshrrev_b32 v1, s59, v7
	v_mad_u32 v3, v4, s53, v3
	s_delay_alu instid0(VALU_DEP_4) | instskip(NEXT) | instid1(VALU_DEP_3)
	v_mad_u32 v2, v4, s52, v2
	v_mul_lo_u32 v5, v1, s57
	s_delay_alu instid0(VALU_DEP_1) | instskip(NEXT) | instid1(VALU_DEP_1)
	v_sub_nc_u32_e32 v4, v6, v5
	v_mad_u32 v3, v4, s55, v3
	s_delay_alu instid0(VALU_DEP_4)
	v_mad_u32 v2, v4, s54, v2
	s_cbranch_scc0 .LBB109_144
	s_branch .LBB109_164
.LBB109_145:
                                        ; implicit-def: $vgpr3
	s_branch .LBB109_168
.LBB109_146:
	v_dual_mov_b32 v3, 0 :: v_dual_mov_b32 v2, 0
	s_branch .LBB109_167
.LBB109_147:
	v_mov_b64_e32 v[2:3], 0
	v_mov_b32_e32 v1, v0
	s_mov_b32 s24, 0
.LBB109_148:
	s_and_b32 s9, s9, 3
	s_mov_b32 s25, 0
	s_cmp_eq_u32 s9, 0
	s_cbranch_scc1 .LBB109_151
; %bb.149:
	s_lshl_b32 s26, s24, 3
	s_mov_b32 s27, s25
	s_mul_u64 s[28:29], s[24:25], 12
	s_add_nc_u64 s[26:27], s[16:17], s[26:27]
	s_delay_alu instid0(SALU_CYCLE_1)
	s_add_nc_u64 s[24:25], s[26:27], 0xc4
	s_add_nc_u64 s[26:27], s[16:17], s[28:29]
.LBB109_150:                            ; =>This Inner Loop Header: Depth=1
	s_load_b96 s[40:42], s[26:27], 0x4
	s_load_b64 s[28:29], s[24:25], 0x0
	s_add_co_i32 s9, s9, -1
	s_wait_xcnt 0x0
	s_add_nc_u64 s[26:27], s[26:27], 12
	s_cmp_lg_u32 s9, 0
	s_add_nc_u64 s[24:25], s[24:25], 8
	s_wait_kmcnt 0x0
	v_mul_hi_u32 v4, s41, v1
	s_delay_alu instid0(VALU_DEP_1) | instskip(NEXT) | instid1(VALU_DEP_1)
	v_add_nc_u32_e32 v4, v1, v4
	v_lshrrev_b32_e32 v4, s42, v4
	s_delay_alu instid0(VALU_DEP_1) | instskip(NEXT) | instid1(VALU_DEP_1)
	v_mul_lo_u32 v5, v4, s40
	v_sub_nc_u32_e32 v1, v1, v5
	s_delay_alu instid0(VALU_DEP_1)
	v_mad_u32 v3, v1, s29, v3
	v_mad_u32 v2, v1, s28, v2
	v_mov_b32_e32 v1, v4
	s_cbranch_scc1 .LBB109_150
.LBB109_151:
	s_cbranch_execnz .LBB109_154
.LBB109_152:
	v_mov_b32_e32 v1, 0
	s_and_not1_b32 vcc_lo, exec_lo, s35
	s_delay_alu instid0(VALU_DEP_1) | instskip(NEXT) | instid1(VALU_DEP_1)
	v_mul_u64_e32 v[2:3], s[18:19], v[0:1]
	v_add_nc_u32_e32 v2, v0, v3
	s_delay_alu instid0(VALU_DEP_1) | instskip(NEXT) | instid1(VALU_DEP_1)
	v_lshrrev_b32_e32 v4, s10, v2
	v_mul_lo_u32 v2, v4, s8
	s_delay_alu instid0(VALU_DEP_1) | instskip(NEXT) | instid1(VALU_DEP_1)
	v_sub_nc_u32_e32 v2, v0, v2
	v_mul_lo_u32 v3, v2, s13
	v_mul_lo_u32 v2, v2, s12
	s_cbranch_vccnz .LBB109_154
; %bb.153:
	v_mov_b32_e32 v5, v1
	s_delay_alu instid0(VALU_DEP_1) | instskip(NEXT) | instid1(VALU_DEP_1)
	v_mul_u64_e32 v[6:7], s[20:21], v[4:5]
	v_add_nc_u32_e32 v1, v4, v7
	s_delay_alu instid0(VALU_DEP_1) | instskip(NEXT) | instid1(VALU_DEP_1)
	v_lshrrev_b32_e32 v1, s3, v1
	v_mul_lo_u32 v1, v1, s11
	s_delay_alu instid0(VALU_DEP_1) | instskip(NEXT) | instid1(VALU_DEP_1)
	v_sub_nc_u32_e32 v1, v4, v1
	v_mad_u32 v2, v1, s14, v2
	v_mad_u32 v3, v1, s15, v3
.LBB109_154:
	global_load_b32 v1, v3, s[6:7]
	v_add_nc_u32_e32 v0, 0x80, v0
	s_wait_loadcnt 0x0
	v_cmp_eq_f32_e32 vcc_lo, s1, v1
	s_wait_xcnt 0x0
	v_cndmask_b32_e64 v3, 0, 1, vcc_lo
	v_cmp_neq_f32_e32 vcc_lo, s1, v1
	v_cndmask_b32_e64 v1, 0, 1, vcc_lo
	s_delay_alu instid0(VALU_DEP_1) | instskip(NEXT) | instid1(VALU_DEP_1)
	v_cndmask_b32_e64 v1, v1, v3, s0
	v_and_b32_e32 v1, 1, v1
	global_store_b8 v2, v1, s[4:5]
	s_wait_xcnt 0x0
	s_or_b32 exec_lo, exec_lo, s2
	s_delay_alu instid0(SALU_CYCLE_1)
	s_mov_b32 s2, exec_lo
	v_cmpx_gt_i32_e64 s36, v0
	s_cbranch_execnz .LBB109_140
.LBB109_155:
	s_or_b32 exec_lo, exec_lo, s2
	s_delay_alu instid0(SALU_CYCLE_1)
	s_mov_b32 s2, exec_lo
	v_cmpx_gt_i32_e64 s36, v0
	s_cbranch_execz .LBB109_171
.LBB109_156:
	s_and_not1_b32 vcc_lo, exec_lo, s33
	s_cbranch_vccnz .LBB109_161
; %bb.157:
	s_and_not1_b32 vcc_lo, exec_lo, s38
	s_cbranch_vccnz .LBB109_162
; %bb.158:
	s_add_co_i32 s9, s37, 1
	s_cmp_eq_u32 s31, 2
	s_cbranch_scc1 .LBB109_179
; %bb.159:
	v_dual_mov_b32 v2, 0 :: v_dual_mov_b32 v3, 0
	v_mov_b32_e32 v1, v0
	s_and_b32 s24, s9, 28
	s_mov_b32 s25, 0
	s_mov_b64 s[26:27], s[16:17]
	s_mov_b64 s[28:29], s[22:23]
.LBB109_160:                            ; =>This Inner Loop Header: Depth=1
	s_clause 0x1
	s_load_b256 s[40:47], s[26:27], 0x4
	s_load_b128 s[56:59], s[26:27], 0x24
	s_load_b256 s[48:55], s[28:29], 0x0
	s_add_co_i32 s25, s25, 4
	s_wait_xcnt 0x0
	s_add_nc_u64 s[26:27], s[26:27], 48
	s_cmp_eq_u32 s24, s25
	s_add_nc_u64 s[28:29], s[28:29], 32
	s_wait_kmcnt 0x0
	v_mul_hi_u32 v4, s41, v1
	s_delay_alu instid0(VALU_DEP_1) | instskip(NEXT) | instid1(VALU_DEP_1)
	v_add_nc_u32_e32 v4, v1, v4
	v_lshrrev_b32_e32 v4, s42, v4
	s_delay_alu instid0(VALU_DEP_1) | instskip(NEXT) | instid1(VALU_DEP_1)
	v_mul_hi_u32 v5, s44, v4
	v_add_nc_u32_e32 v5, v4, v5
	s_delay_alu instid0(VALU_DEP_1) | instskip(NEXT) | instid1(VALU_DEP_1)
	v_lshrrev_b32_e32 v5, s45, v5
	v_mul_hi_u32 v6, s47, v5
	s_delay_alu instid0(VALU_DEP_1) | instskip(SKIP_1) | instid1(VALU_DEP_1)
	v_add_nc_u32_e32 v6, v5, v6
	v_mul_lo_u32 v7, v4, s40
	v_sub_nc_u32_e32 v1, v1, v7
	v_mul_lo_u32 v7, v5, s43
	s_delay_alu instid0(VALU_DEP_4) | instskip(NEXT) | instid1(VALU_DEP_3)
	v_lshrrev_b32_e32 v6, s56, v6
	v_mad_u32 v3, v1, s49, v3
	v_mad_u32 v1, v1, s48, v2
	s_delay_alu instid0(VALU_DEP_4) | instskip(NEXT) | instid1(VALU_DEP_4)
	v_sub_nc_u32_e32 v2, v4, v7
	v_mul_hi_u32 v8, s58, v6
	v_mul_lo_u32 v4, v6, s46
	s_delay_alu instid0(VALU_DEP_3) | instskip(SKIP_1) | instid1(VALU_DEP_4)
	v_mad_u32 v3, v2, s51, v3
	v_mad_u32 v2, v2, s50, v1
	v_add_nc_u32_e32 v7, v6, v8
	s_delay_alu instid0(VALU_DEP_1) | instskip(NEXT) | instid1(VALU_DEP_1)
	v_dual_sub_nc_u32 v4, v5, v4 :: v_dual_lshrrev_b32 v1, s59, v7
	v_mad_u32 v3, v4, s53, v3
	s_delay_alu instid0(VALU_DEP_4) | instskip(NEXT) | instid1(VALU_DEP_3)
	v_mad_u32 v2, v4, s52, v2
	v_mul_lo_u32 v5, v1, s57
	s_delay_alu instid0(VALU_DEP_1) | instskip(NEXT) | instid1(VALU_DEP_1)
	v_sub_nc_u32_e32 v4, v6, v5
	v_mad_u32 v3, v4, s55, v3
	s_delay_alu instid0(VALU_DEP_4)
	v_mad_u32 v2, v4, s54, v2
	s_cbranch_scc0 .LBB109_160
	s_branch .LBB109_180
.LBB109_161:
                                        ; implicit-def: $vgpr3
	s_branch .LBB109_184
.LBB109_162:
	v_dual_mov_b32 v3, 0 :: v_dual_mov_b32 v2, 0
	s_branch .LBB109_183
.LBB109_163:
	v_mov_b64_e32 v[2:3], 0
	v_mov_b32_e32 v1, v0
	s_mov_b32 s24, 0
.LBB109_164:
	s_and_b32 s9, s9, 3
	s_mov_b32 s25, 0
	s_cmp_eq_u32 s9, 0
	s_cbranch_scc1 .LBB109_167
; %bb.165:
	s_lshl_b32 s26, s24, 3
	s_mov_b32 s27, s25
	s_mul_u64 s[28:29], s[24:25], 12
	s_add_nc_u64 s[26:27], s[16:17], s[26:27]
	s_delay_alu instid0(SALU_CYCLE_1)
	s_add_nc_u64 s[24:25], s[26:27], 0xc4
	s_add_nc_u64 s[26:27], s[16:17], s[28:29]
.LBB109_166:                            ; =>This Inner Loop Header: Depth=1
	s_load_b96 s[40:42], s[26:27], 0x4
	s_load_b64 s[28:29], s[24:25], 0x0
	s_add_co_i32 s9, s9, -1
	s_wait_xcnt 0x0
	s_add_nc_u64 s[26:27], s[26:27], 12
	s_cmp_lg_u32 s9, 0
	s_add_nc_u64 s[24:25], s[24:25], 8
	s_wait_kmcnt 0x0
	v_mul_hi_u32 v4, s41, v1
	s_delay_alu instid0(VALU_DEP_1) | instskip(NEXT) | instid1(VALU_DEP_1)
	v_add_nc_u32_e32 v4, v1, v4
	v_lshrrev_b32_e32 v4, s42, v4
	s_delay_alu instid0(VALU_DEP_1) | instskip(NEXT) | instid1(VALU_DEP_1)
	v_mul_lo_u32 v5, v4, s40
	v_sub_nc_u32_e32 v1, v1, v5
	s_delay_alu instid0(VALU_DEP_1)
	v_mad_u32 v3, v1, s29, v3
	v_mad_u32 v2, v1, s28, v2
	v_mov_b32_e32 v1, v4
	s_cbranch_scc1 .LBB109_166
.LBB109_167:
	s_cbranch_execnz .LBB109_170
.LBB109_168:
	v_mov_b32_e32 v1, 0
	s_and_not1_b32 vcc_lo, exec_lo, s35
	s_delay_alu instid0(VALU_DEP_1) | instskip(NEXT) | instid1(VALU_DEP_1)
	v_mul_u64_e32 v[2:3], s[18:19], v[0:1]
	v_add_nc_u32_e32 v2, v0, v3
	s_delay_alu instid0(VALU_DEP_1) | instskip(NEXT) | instid1(VALU_DEP_1)
	v_lshrrev_b32_e32 v4, s10, v2
	v_mul_lo_u32 v2, v4, s8
	s_delay_alu instid0(VALU_DEP_1) | instskip(NEXT) | instid1(VALU_DEP_1)
	v_sub_nc_u32_e32 v2, v0, v2
	v_mul_lo_u32 v3, v2, s13
	v_mul_lo_u32 v2, v2, s12
	s_cbranch_vccnz .LBB109_170
; %bb.169:
	v_mov_b32_e32 v5, v1
	s_delay_alu instid0(VALU_DEP_1) | instskip(NEXT) | instid1(VALU_DEP_1)
	v_mul_u64_e32 v[6:7], s[20:21], v[4:5]
	v_add_nc_u32_e32 v1, v4, v7
	s_delay_alu instid0(VALU_DEP_1) | instskip(NEXT) | instid1(VALU_DEP_1)
	v_lshrrev_b32_e32 v1, s3, v1
	v_mul_lo_u32 v1, v1, s11
	s_delay_alu instid0(VALU_DEP_1) | instskip(NEXT) | instid1(VALU_DEP_1)
	v_sub_nc_u32_e32 v1, v4, v1
	v_mad_u32 v2, v1, s14, v2
	v_mad_u32 v3, v1, s15, v3
.LBB109_170:
	global_load_b32 v1, v3, s[6:7]
	v_add_nc_u32_e32 v0, 0x80, v0
	s_wait_loadcnt 0x0
	v_cmp_eq_f32_e32 vcc_lo, s1, v1
	s_wait_xcnt 0x0
	v_cndmask_b32_e64 v3, 0, 1, vcc_lo
	v_cmp_neq_f32_e32 vcc_lo, s1, v1
	v_cndmask_b32_e64 v1, 0, 1, vcc_lo
	s_delay_alu instid0(VALU_DEP_1) | instskip(NEXT) | instid1(VALU_DEP_1)
	v_cndmask_b32_e64 v1, v1, v3, s0
	v_and_b32_e32 v1, 1, v1
	global_store_b8 v2, v1, s[4:5]
	s_wait_xcnt 0x0
	s_or_b32 exec_lo, exec_lo, s2
	s_delay_alu instid0(SALU_CYCLE_1)
	s_mov_b32 s2, exec_lo
	v_cmpx_gt_i32_e64 s36, v0
	s_cbranch_execnz .LBB109_156
.LBB109_171:
	s_or_b32 exec_lo, exec_lo, s2
	s_delay_alu instid0(SALU_CYCLE_1)
	s_mov_b32 s2, exec_lo
	v_cmpx_gt_i32_e64 s36, v0
	s_cbranch_execz .LBB109_187
.LBB109_172:
	s_and_not1_b32 vcc_lo, exec_lo, s33
	s_cbranch_vccnz .LBB109_177
; %bb.173:
	s_and_not1_b32 vcc_lo, exec_lo, s38
	s_cbranch_vccnz .LBB109_178
; %bb.174:
	s_add_co_i32 s9, s37, 1
	s_cmp_eq_u32 s31, 2
	s_cbranch_scc1 .LBB109_195
; %bb.175:
	v_dual_mov_b32 v2, 0 :: v_dual_mov_b32 v3, 0
	v_mov_b32_e32 v1, v0
	s_and_b32 s24, s9, 28
	s_mov_b32 s25, 0
	s_mov_b64 s[26:27], s[16:17]
	s_mov_b64 s[28:29], s[22:23]
.LBB109_176:                            ; =>This Inner Loop Header: Depth=1
	s_clause 0x1
	s_load_b256 s[40:47], s[26:27], 0x4
	s_load_b128 s[56:59], s[26:27], 0x24
	s_load_b256 s[48:55], s[28:29], 0x0
	s_add_co_i32 s25, s25, 4
	s_wait_xcnt 0x0
	s_add_nc_u64 s[26:27], s[26:27], 48
	s_cmp_eq_u32 s24, s25
	s_add_nc_u64 s[28:29], s[28:29], 32
	s_wait_kmcnt 0x0
	v_mul_hi_u32 v4, s41, v1
	s_delay_alu instid0(VALU_DEP_1) | instskip(NEXT) | instid1(VALU_DEP_1)
	v_add_nc_u32_e32 v4, v1, v4
	v_lshrrev_b32_e32 v4, s42, v4
	s_delay_alu instid0(VALU_DEP_1) | instskip(NEXT) | instid1(VALU_DEP_1)
	v_mul_hi_u32 v5, s44, v4
	v_add_nc_u32_e32 v5, v4, v5
	s_delay_alu instid0(VALU_DEP_1) | instskip(NEXT) | instid1(VALU_DEP_1)
	v_lshrrev_b32_e32 v5, s45, v5
	v_mul_hi_u32 v6, s47, v5
	s_delay_alu instid0(VALU_DEP_1) | instskip(SKIP_1) | instid1(VALU_DEP_1)
	v_add_nc_u32_e32 v6, v5, v6
	v_mul_lo_u32 v7, v4, s40
	v_sub_nc_u32_e32 v1, v1, v7
	v_mul_lo_u32 v7, v5, s43
	s_delay_alu instid0(VALU_DEP_4) | instskip(NEXT) | instid1(VALU_DEP_3)
	v_lshrrev_b32_e32 v6, s56, v6
	v_mad_u32 v3, v1, s49, v3
	v_mad_u32 v1, v1, s48, v2
	s_delay_alu instid0(VALU_DEP_4) | instskip(NEXT) | instid1(VALU_DEP_4)
	v_sub_nc_u32_e32 v2, v4, v7
	v_mul_hi_u32 v8, s58, v6
	v_mul_lo_u32 v4, v6, s46
	s_delay_alu instid0(VALU_DEP_3) | instskip(SKIP_1) | instid1(VALU_DEP_4)
	v_mad_u32 v3, v2, s51, v3
	v_mad_u32 v2, v2, s50, v1
	v_add_nc_u32_e32 v7, v6, v8
	s_delay_alu instid0(VALU_DEP_1) | instskip(NEXT) | instid1(VALU_DEP_1)
	v_dual_sub_nc_u32 v4, v5, v4 :: v_dual_lshrrev_b32 v1, s59, v7
	v_mad_u32 v3, v4, s53, v3
	s_delay_alu instid0(VALU_DEP_4) | instskip(NEXT) | instid1(VALU_DEP_3)
	v_mad_u32 v2, v4, s52, v2
	v_mul_lo_u32 v5, v1, s57
	s_delay_alu instid0(VALU_DEP_1) | instskip(NEXT) | instid1(VALU_DEP_1)
	v_sub_nc_u32_e32 v4, v6, v5
	v_mad_u32 v3, v4, s55, v3
	s_delay_alu instid0(VALU_DEP_4)
	v_mad_u32 v2, v4, s54, v2
	s_cbranch_scc0 .LBB109_176
	s_branch .LBB109_196
.LBB109_177:
                                        ; implicit-def: $vgpr3
	s_branch .LBB109_200
.LBB109_178:
	v_dual_mov_b32 v3, 0 :: v_dual_mov_b32 v2, 0
	s_branch .LBB109_199
.LBB109_179:
	v_mov_b64_e32 v[2:3], 0
	v_mov_b32_e32 v1, v0
	s_mov_b32 s24, 0
.LBB109_180:
	s_and_b32 s9, s9, 3
	s_mov_b32 s25, 0
	s_cmp_eq_u32 s9, 0
	s_cbranch_scc1 .LBB109_183
; %bb.181:
	s_lshl_b32 s26, s24, 3
	s_mov_b32 s27, s25
	s_mul_u64 s[28:29], s[24:25], 12
	s_add_nc_u64 s[26:27], s[16:17], s[26:27]
	s_delay_alu instid0(SALU_CYCLE_1)
	s_add_nc_u64 s[24:25], s[26:27], 0xc4
	s_add_nc_u64 s[26:27], s[16:17], s[28:29]
.LBB109_182:                            ; =>This Inner Loop Header: Depth=1
	s_load_b96 s[40:42], s[26:27], 0x4
	s_load_b64 s[28:29], s[24:25], 0x0
	s_add_co_i32 s9, s9, -1
	s_wait_xcnt 0x0
	s_add_nc_u64 s[26:27], s[26:27], 12
	s_cmp_lg_u32 s9, 0
	s_add_nc_u64 s[24:25], s[24:25], 8
	s_wait_kmcnt 0x0
	v_mul_hi_u32 v4, s41, v1
	s_delay_alu instid0(VALU_DEP_1) | instskip(NEXT) | instid1(VALU_DEP_1)
	v_add_nc_u32_e32 v4, v1, v4
	v_lshrrev_b32_e32 v4, s42, v4
	s_delay_alu instid0(VALU_DEP_1) | instskip(NEXT) | instid1(VALU_DEP_1)
	v_mul_lo_u32 v5, v4, s40
	v_sub_nc_u32_e32 v1, v1, v5
	s_delay_alu instid0(VALU_DEP_1)
	v_mad_u32 v3, v1, s29, v3
	v_mad_u32 v2, v1, s28, v2
	v_mov_b32_e32 v1, v4
	s_cbranch_scc1 .LBB109_182
.LBB109_183:
	s_cbranch_execnz .LBB109_186
.LBB109_184:
	v_mov_b32_e32 v1, 0
	s_and_not1_b32 vcc_lo, exec_lo, s35
	s_delay_alu instid0(VALU_DEP_1) | instskip(NEXT) | instid1(VALU_DEP_1)
	v_mul_u64_e32 v[2:3], s[18:19], v[0:1]
	v_add_nc_u32_e32 v2, v0, v3
	s_delay_alu instid0(VALU_DEP_1) | instskip(NEXT) | instid1(VALU_DEP_1)
	v_lshrrev_b32_e32 v4, s10, v2
	v_mul_lo_u32 v2, v4, s8
	s_delay_alu instid0(VALU_DEP_1) | instskip(NEXT) | instid1(VALU_DEP_1)
	v_sub_nc_u32_e32 v2, v0, v2
	v_mul_lo_u32 v3, v2, s13
	v_mul_lo_u32 v2, v2, s12
	s_cbranch_vccnz .LBB109_186
; %bb.185:
	v_mov_b32_e32 v5, v1
	s_delay_alu instid0(VALU_DEP_1) | instskip(NEXT) | instid1(VALU_DEP_1)
	v_mul_u64_e32 v[6:7], s[20:21], v[4:5]
	v_add_nc_u32_e32 v1, v4, v7
	s_delay_alu instid0(VALU_DEP_1) | instskip(NEXT) | instid1(VALU_DEP_1)
	v_lshrrev_b32_e32 v1, s3, v1
	v_mul_lo_u32 v1, v1, s11
	s_delay_alu instid0(VALU_DEP_1) | instskip(NEXT) | instid1(VALU_DEP_1)
	v_sub_nc_u32_e32 v1, v4, v1
	v_mad_u32 v2, v1, s14, v2
	v_mad_u32 v3, v1, s15, v3
.LBB109_186:
	global_load_b32 v1, v3, s[6:7]
	v_add_nc_u32_e32 v0, 0x80, v0
	s_wait_loadcnt 0x0
	v_cmp_eq_f32_e32 vcc_lo, s1, v1
	s_wait_xcnt 0x0
	v_cndmask_b32_e64 v3, 0, 1, vcc_lo
	v_cmp_neq_f32_e32 vcc_lo, s1, v1
	v_cndmask_b32_e64 v1, 0, 1, vcc_lo
	s_delay_alu instid0(VALU_DEP_1) | instskip(NEXT) | instid1(VALU_DEP_1)
	v_cndmask_b32_e64 v1, v1, v3, s0
	v_and_b32_e32 v1, 1, v1
	global_store_b8 v2, v1, s[4:5]
	s_wait_xcnt 0x0
	s_or_b32 exec_lo, exec_lo, s2
	s_delay_alu instid0(SALU_CYCLE_1)
	s_mov_b32 s2, exec_lo
	v_cmpx_gt_i32_e64 s36, v0
	s_cbranch_execnz .LBB109_172
.LBB109_187:
	s_or_b32 exec_lo, exec_lo, s2
	s_delay_alu instid0(SALU_CYCLE_1)
	s_mov_b32 s2, exec_lo
	v_cmpx_gt_i32_e64 s36, v0
	s_cbranch_execz .LBB109_203
.LBB109_188:
	s_and_not1_b32 vcc_lo, exec_lo, s33
	s_cbranch_vccnz .LBB109_193
; %bb.189:
	s_and_not1_b32 vcc_lo, exec_lo, s38
	s_cbranch_vccnz .LBB109_194
; %bb.190:
	s_add_co_i32 s9, s37, 1
	s_cmp_eq_u32 s31, 2
	s_cbranch_scc1 .LBB109_211
; %bb.191:
	v_dual_mov_b32 v2, 0 :: v_dual_mov_b32 v3, 0
	v_mov_b32_e32 v1, v0
	s_and_b32 s24, s9, 28
	s_mov_b32 s25, 0
	s_mov_b64 s[26:27], s[16:17]
	s_mov_b64 s[28:29], s[22:23]
.LBB109_192:                            ; =>This Inner Loop Header: Depth=1
	s_clause 0x1
	s_load_b256 s[40:47], s[26:27], 0x4
	s_load_b128 s[56:59], s[26:27], 0x24
	s_load_b256 s[48:55], s[28:29], 0x0
	s_add_co_i32 s25, s25, 4
	s_wait_xcnt 0x0
	s_add_nc_u64 s[26:27], s[26:27], 48
	s_cmp_eq_u32 s24, s25
	s_add_nc_u64 s[28:29], s[28:29], 32
	s_wait_kmcnt 0x0
	v_mul_hi_u32 v4, s41, v1
	s_delay_alu instid0(VALU_DEP_1) | instskip(NEXT) | instid1(VALU_DEP_1)
	v_add_nc_u32_e32 v4, v1, v4
	v_lshrrev_b32_e32 v4, s42, v4
	s_delay_alu instid0(VALU_DEP_1) | instskip(NEXT) | instid1(VALU_DEP_1)
	v_mul_hi_u32 v5, s44, v4
	v_add_nc_u32_e32 v5, v4, v5
	s_delay_alu instid0(VALU_DEP_1) | instskip(NEXT) | instid1(VALU_DEP_1)
	v_lshrrev_b32_e32 v5, s45, v5
	v_mul_hi_u32 v6, s47, v5
	s_delay_alu instid0(VALU_DEP_1) | instskip(SKIP_1) | instid1(VALU_DEP_1)
	v_add_nc_u32_e32 v6, v5, v6
	v_mul_lo_u32 v7, v4, s40
	v_sub_nc_u32_e32 v1, v1, v7
	v_mul_lo_u32 v7, v5, s43
	s_delay_alu instid0(VALU_DEP_4) | instskip(NEXT) | instid1(VALU_DEP_3)
	v_lshrrev_b32_e32 v6, s56, v6
	v_mad_u32 v3, v1, s49, v3
	v_mad_u32 v1, v1, s48, v2
	s_delay_alu instid0(VALU_DEP_4) | instskip(NEXT) | instid1(VALU_DEP_4)
	v_sub_nc_u32_e32 v2, v4, v7
	v_mul_hi_u32 v8, s58, v6
	v_mul_lo_u32 v4, v6, s46
	s_delay_alu instid0(VALU_DEP_3) | instskip(SKIP_1) | instid1(VALU_DEP_4)
	v_mad_u32 v3, v2, s51, v3
	v_mad_u32 v2, v2, s50, v1
	v_add_nc_u32_e32 v7, v6, v8
	s_delay_alu instid0(VALU_DEP_1) | instskip(NEXT) | instid1(VALU_DEP_1)
	v_dual_sub_nc_u32 v4, v5, v4 :: v_dual_lshrrev_b32 v1, s59, v7
	v_mad_u32 v3, v4, s53, v3
	s_delay_alu instid0(VALU_DEP_4) | instskip(NEXT) | instid1(VALU_DEP_3)
	v_mad_u32 v2, v4, s52, v2
	v_mul_lo_u32 v5, v1, s57
	s_delay_alu instid0(VALU_DEP_1) | instskip(NEXT) | instid1(VALU_DEP_1)
	v_sub_nc_u32_e32 v4, v6, v5
	v_mad_u32 v3, v4, s55, v3
	s_delay_alu instid0(VALU_DEP_4)
	v_mad_u32 v2, v4, s54, v2
	s_cbranch_scc0 .LBB109_192
	s_branch .LBB109_212
.LBB109_193:
                                        ; implicit-def: $vgpr3
	s_branch .LBB109_216
.LBB109_194:
	v_dual_mov_b32 v3, 0 :: v_dual_mov_b32 v2, 0
	s_branch .LBB109_215
.LBB109_195:
	v_mov_b64_e32 v[2:3], 0
	v_mov_b32_e32 v1, v0
	s_mov_b32 s24, 0
.LBB109_196:
	s_and_b32 s9, s9, 3
	s_mov_b32 s25, 0
	s_cmp_eq_u32 s9, 0
	s_cbranch_scc1 .LBB109_199
; %bb.197:
	s_lshl_b32 s26, s24, 3
	s_mov_b32 s27, s25
	s_mul_u64 s[28:29], s[24:25], 12
	s_add_nc_u64 s[26:27], s[16:17], s[26:27]
	s_delay_alu instid0(SALU_CYCLE_1)
	s_add_nc_u64 s[24:25], s[26:27], 0xc4
	s_add_nc_u64 s[26:27], s[16:17], s[28:29]
.LBB109_198:                            ; =>This Inner Loop Header: Depth=1
	s_load_b96 s[40:42], s[26:27], 0x4
	s_load_b64 s[28:29], s[24:25], 0x0
	s_add_co_i32 s9, s9, -1
	s_wait_xcnt 0x0
	s_add_nc_u64 s[26:27], s[26:27], 12
	s_cmp_lg_u32 s9, 0
	s_add_nc_u64 s[24:25], s[24:25], 8
	s_wait_kmcnt 0x0
	v_mul_hi_u32 v4, s41, v1
	s_delay_alu instid0(VALU_DEP_1) | instskip(NEXT) | instid1(VALU_DEP_1)
	v_add_nc_u32_e32 v4, v1, v4
	v_lshrrev_b32_e32 v4, s42, v4
	s_delay_alu instid0(VALU_DEP_1) | instskip(NEXT) | instid1(VALU_DEP_1)
	v_mul_lo_u32 v5, v4, s40
	v_sub_nc_u32_e32 v1, v1, v5
	s_delay_alu instid0(VALU_DEP_1)
	v_mad_u32 v3, v1, s29, v3
	v_mad_u32 v2, v1, s28, v2
	v_mov_b32_e32 v1, v4
	s_cbranch_scc1 .LBB109_198
.LBB109_199:
	s_cbranch_execnz .LBB109_202
.LBB109_200:
	v_mov_b32_e32 v1, 0
	s_and_not1_b32 vcc_lo, exec_lo, s35
	s_delay_alu instid0(VALU_DEP_1) | instskip(NEXT) | instid1(VALU_DEP_1)
	v_mul_u64_e32 v[2:3], s[18:19], v[0:1]
	v_add_nc_u32_e32 v2, v0, v3
	s_delay_alu instid0(VALU_DEP_1) | instskip(NEXT) | instid1(VALU_DEP_1)
	v_lshrrev_b32_e32 v4, s10, v2
	v_mul_lo_u32 v2, v4, s8
	s_delay_alu instid0(VALU_DEP_1) | instskip(NEXT) | instid1(VALU_DEP_1)
	v_sub_nc_u32_e32 v2, v0, v2
	v_mul_lo_u32 v3, v2, s13
	v_mul_lo_u32 v2, v2, s12
	s_cbranch_vccnz .LBB109_202
; %bb.201:
	v_mov_b32_e32 v5, v1
	s_delay_alu instid0(VALU_DEP_1) | instskip(NEXT) | instid1(VALU_DEP_1)
	v_mul_u64_e32 v[6:7], s[20:21], v[4:5]
	v_add_nc_u32_e32 v1, v4, v7
	s_delay_alu instid0(VALU_DEP_1) | instskip(NEXT) | instid1(VALU_DEP_1)
	v_lshrrev_b32_e32 v1, s3, v1
	v_mul_lo_u32 v1, v1, s11
	s_delay_alu instid0(VALU_DEP_1) | instskip(NEXT) | instid1(VALU_DEP_1)
	v_sub_nc_u32_e32 v1, v4, v1
	v_mad_u32 v2, v1, s14, v2
	v_mad_u32 v3, v1, s15, v3
.LBB109_202:
	global_load_b32 v1, v3, s[6:7]
	v_add_nc_u32_e32 v0, 0x80, v0
	s_wait_loadcnt 0x0
	v_cmp_eq_f32_e32 vcc_lo, s1, v1
	s_wait_xcnt 0x0
	v_cndmask_b32_e64 v3, 0, 1, vcc_lo
	v_cmp_neq_f32_e32 vcc_lo, s1, v1
	v_cndmask_b32_e64 v1, 0, 1, vcc_lo
	s_delay_alu instid0(VALU_DEP_1) | instskip(NEXT) | instid1(VALU_DEP_1)
	v_cndmask_b32_e64 v1, v1, v3, s0
	v_and_b32_e32 v1, 1, v1
	global_store_b8 v2, v1, s[4:5]
	s_wait_xcnt 0x0
	s_or_b32 exec_lo, exec_lo, s2
	s_delay_alu instid0(SALU_CYCLE_1)
	s_mov_b32 s2, exec_lo
	v_cmpx_gt_i32_e64 s36, v0
	s_cbranch_execnz .LBB109_188
.LBB109_203:
	s_or_b32 exec_lo, exec_lo, s2
	s_delay_alu instid0(SALU_CYCLE_1)
	s_mov_b32 s2, exec_lo
	v_cmpx_gt_i32_e64 s36, v0
	s_cbranch_execz .LBB109_219
.LBB109_204:
	s_and_not1_b32 vcc_lo, exec_lo, s33
	s_cbranch_vccnz .LBB109_209
; %bb.205:
	s_and_not1_b32 vcc_lo, exec_lo, s38
	s_cbranch_vccnz .LBB109_210
; %bb.206:
	s_add_co_i32 s9, s37, 1
	s_cmp_eq_u32 s31, 2
	s_cbranch_scc1 .LBB109_222
; %bb.207:
	v_dual_mov_b32 v2, 0 :: v_dual_mov_b32 v3, 0
	v_mov_b32_e32 v1, v0
	s_and_b32 s24, s9, 28
	s_mov_b32 s25, 0
	s_mov_b64 s[26:27], s[16:17]
	s_mov_b64 s[28:29], s[22:23]
.LBB109_208:                            ; =>This Inner Loop Header: Depth=1
	s_clause 0x1
	s_load_b256 s[40:47], s[26:27], 0x4
	s_load_b128 s[56:59], s[26:27], 0x24
	s_load_b256 s[48:55], s[28:29], 0x0
	s_add_co_i32 s25, s25, 4
	s_wait_xcnt 0x0
	s_add_nc_u64 s[26:27], s[26:27], 48
	s_cmp_eq_u32 s24, s25
	s_add_nc_u64 s[28:29], s[28:29], 32
	s_wait_kmcnt 0x0
	v_mul_hi_u32 v4, s41, v1
	s_delay_alu instid0(VALU_DEP_1) | instskip(NEXT) | instid1(VALU_DEP_1)
	v_add_nc_u32_e32 v4, v1, v4
	v_lshrrev_b32_e32 v4, s42, v4
	s_delay_alu instid0(VALU_DEP_1) | instskip(NEXT) | instid1(VALU_DEP_1)
	v_mul_hi_u32 v5, s44, v4
	v_add_nc_u32_e32 v5, v4, v5
	s_delay_alu instid0(VALU_DEP_1) | instskip(NEXT) | instid1(VALU_DEP_1)
	v_lshrrev_b32_e32 v5, s45, v5
	v_mul_hi_u32 v6, s47, v5
	s_delay_alu instid0(VALU_DEP_1) | instskip(SKIP_1) | instid1(VALU_DEP_1)
	v_add_nc_u32_e32 v6, v5, v6
	v_mul_lo_u32 v7, v4, s40
	v_sub_nc_u32_e32 v1, v1, v7
	v_mul_lo_u32 v7, v5, s43
	s_delay_alu instid0(VALU_DEP_4) | instskip(NEXT) | instid1(VALU_DEP_3)
	v_lshrrev_b32_e32 v6, s56, v6
	v_mad_u32 v3, v1, s49, v3
	v_mad_u32 v1, v1, s48, v2
	s_delay_alu instid0(VALU_DEP_4) | instskip(NEXT) | instid1(VALU_DEP_4)
	v_sub_nc_u32_e32 v2, v4, v7
	v_mul_hi_u32 v8, s58, v6
	v_mul_lo_u32 v4, v6, s46
	s_delay_alu instid0(VALU_DEP_3) | instskip(SKIP_1) | instid1(VALU_DEP_4)
	v_mad_u32 v3, v2, s51, v3
	v_mad_u32 v2, v2, s50, v1
	v_add_nc_u32_e32 v7, v6, v8
	s_delay_alu instid0(VALU_DEP_1) | instskip(NEXT) | instid1(VALU_DEP_1)
	v_dual_sub_nc_u32 v4, v5, v4 :: v_dual_lshrrev_b32 v1, s59, v7
	v_mad_u32 v3, v4, s53, v3
	s_delay_alu instid0(VALU_DEP_4) | instskip(NEXT) | instid1(VALU_DEP_3)
	v_mad_u32 v2, v4, s52, v2
	v_mul_lo_u32 v5, v1, s57
	s_delay_alu instid0(VALU_DEP_1) | instskip(NEXT) | instid1(VALU_DEP_1)
	v_sub_nc_u32_e32 v4, v6, v5
	v_mad_u32 v3, v4, s55, v3
	s_delay_alu instid0(VALU_DEP_4)
	v_mad_u32 v2, v4, s54, v2
	s_cbranch_scc0 .LBB109_208
	s_branch .LBB109_223
.LBB109_209:
                                        ; implicit-def: $vgpr3
	s_branch .LBB109_227
.LBB109_210:
	v_dual_mov_b32 v3, 0 :: v_dual_mov_b32 v2, 0
	s_branch .LBB109_226
.LBB109_211:
	v_mov_b64_e32 v[2:3], 0
	v_mov_b32_e32 v1, v0
	s_mov_b32 s24, 0
.LBB109_212:
	s_and_b32 s9, s9, 3
	s_mov_b32 s25, 0
	s_cmp_eq_u32 s9, 0
	s_cbranch_scc1 .LBB109_215
; %bb.213:
	s_lshl_b32 s26, s24, 3
	s_mov_b32 s27, s25
	s_mul_u64 s[28:29], s[24:25], 12
	s_add_nc_u64 s[26:27], s[16:17], s[26:27]
	s_delay_alu instid0(SALU_CYCLE_1)
	s_add_nc_u64 s[24:25], s[26:27], 0xc4
	s_add_nc_u64 s[26:27], s[16:17], s[28:29]
.LBB109_214:                            ; =>This Inner Loop Header: Depth=1
	s_load_b96 s[40:42], s[26:27], 0x4
	s_load_b64 s[28:29], s[24:25], 0x0
	s_add_co_i32 s9, s9, -1
	s_wait_xcnt 0x0
	s_add_nc_u64 s[26:27], s[26:27], 12
	s_cmp_lg_u32 s9, 0
	s_add_nc_u64 s[24:25], s[24:25], 8
	s_wait_kmcnt 0x0
	v_mul_hi_u32 v4, s41, v1
	s_delay_alu instid0(VALU_DEP_1) | instskip(NEXT) | instid1(VALU_DEP_1)
	v_add_nc_u32_e32 v4, v1, v4
	v_lshrrev_b32_e32 v4, s42, v4
	s_delay_alu instid0(VALU_DEP_1) | instskip(NEXT) | instid1(VALU_DEP_1)
	v_mul_lo_u32 v5, v4, s40
	v_sub_nc_u32_e32 v1, v1, v5
	s_delay_alu instid0(VALU_DEP_1)
	v_mad_u32 v3, v1, s29, v3
	v_mad_u32 v2, v1, s28, v2
	v_mov_b32_e32 v1, v4
	s_cbranch_scc1 .LBB109_214
.LBB109_215:
	s_cbranch_execnz .LBB109_218
.LBB109_216:
	v_mov_b32_e32 v1, 0
	s_and_not1_b32 vcc_lo, exec_lo, s35
	s_delay_alu instid0(VALU_DEP_1) | instskip(NEXT) | instid1(VALU_DEP_1)
	v_mul_u64_e32 v[2:3], s[18:19], v[0:1]
	v_add_nc_u32_e32 v2, v0, v3
	s_delay_alu instid0(VALU_DEP_1) | instskip(NEXT) | instid1(VALU_DEP_1)
	v_lshrrev_b32_e32 v4, s10, v2
	v_mul_lo_u32 v2, v4, s8
	s_delay_alu instid0(VALU_DEP_1) | instskip(NEXT) | instid1(VALU_DEP_1)
	v_sub_nc_u32_e32 v2, v0, v2
	v_mul_lo_u32 v3, v2, s13
	v_mul_lo_u32 v2, v2, s12
	s_cbranch_vccnz .LBB109_218
; %bb.217:
	v_mov_b32_e32 v5, v1
	s_delay_alu instid0(VALU_DEP_1) | instskip(NEXT) | instid1(VALU_DEP_1)
	v_mul_u64_e32 v[6:7], s[20:21], v[4:5]
	v_add_nc_u32_e32 v1, v4, v7
	s_delay_alu instid0(VALU_DEP_1) | instskip(NEXT) | instid1(VALU_DEP_1)
	v_lshrrev_b32_e32 v1, s3, v1
	v_mul_lo_u32 v1, v1, s11
	s_delay_alu instid0(VALU_DEP_1) | instskip(NEXT) | instid1(VALU_DEP_1)
	v_sub_nc_u32_e32 v1, v4, v1
	v_mad_u32 v2, v1, s14, v2
	v_mad_u32 v3, v1, s15, v3
.LBB109_218:
	global_load_b32 v1, v3, s[6:7]
	v_add_nc_u32_e32 v0, 0x80, v0
	s_wait_loadcnt 0x0
	v_cmp_eq_f32_e32 vcc_lo, s1, v1
	s_wait_xcnt 0x0
	v_cndmask_b32_e64 v3, 0, 1, vcc_lo
	v_cmp_neq_f32_e32 vcc_lo, s1, v1
	v_cndmask_b32_e64 v1, 0, 1, vcc_lo
	s_delay_alu instid0(VALU_DEP_1) | instskip(NEXT) | instid1(VALU_DEP_1)
	v_cndmask_b32_e64 v1, v1, v3, s0
	v_and_b32_e32 v1, 1, v1
	global_store_b8 v2, v1, s[4:5]
	s_wait_xcnt 0x0
	s_or_b32 exec_lo, exec_lo, s2
	s_delay_alu instid0(SALU_CYCLE_1)
	s_mov_b32 s2, exec_lo
	v_cmpx_gt_i32_e64 s36, v0
	s_cbranch_execnz .LBB109_204
.LBB109_219:
	s_or_b32 exec_lo, exec_lo, s2
	s_delay_alu instid0(SALU_CYCLE_1)
	s_mov_b32 s2, exec_lo
	v_cmpx_gt_i32_e64 s36, v0
	s_cbranch_execnz .LBB109_230
.LBB109_220:
	s_or_b32 exec_lo, exec_lo, s2
                                        ; implicit-def: $vgpr16
                                        ; implicit-def: $vgpr0
	s_and_not1_saveexec_b32 s0, s34
	s_cbranch_execnz .LBB109_8
.LBB109_221:
	s_endpgm
.LBB109_222:
	v_mov_b64_e32 v[2:3], 0
	v_mov_b32_e32 v1, v0
	s_mov_b32 s24, 0
.LBB109_223:
	s_and_b32 s9, s9, 3
	s_mov_b32 s25, 0
	s_cmp_eq_u32 s9, 0
	s_cbranch_scc1 .LBB109_226
; %bb.224:
	s_lshl_b32 s26, s24, 3
	s_mov_b32 s27, s25
	s_mul_u64 s[28:29], s[24:25], 12
	s_add_nc_u64 s[26:27], s[16:17], s[26:27]
	s_delay_alu instid0(SALU_CYCLE_1)
	s_add_nc_u64 s[24:25], s[26:27], 0xc4
	s_add_nc_u64 s[26:27], s[16:17], s[28:29]
.LBB109_225:                            ; =>This Inner Loop Header: Depth=1
	s_load_b96 s[40:42], s[26:27], 0x4
	s_load_b64 s[28:29], s[24:25], 0x0
	s_add_co_i32 s9, s9, -1
	s_wait_xcnt 0x0
	s_add_nc_u64 s[26:27], s[26:27], 12
	s_cmp_lg_u32 s9, 0
	s_add_nc_u64 s[24:25], s[24:25], 8
	s_wait_kmcnt 0x0
	v_mul_hi_u32 v4, s41, v1
	s_delay_alu instid0(VALU_DEP_1) | instskip(NEXT) | instid1(VALU_DEP_1)
	v_add_nc_u32_e32 v4, v1, v4
	v_lshrrev_b32_e32 v4, s42, v4
	s_delay_alu instid0(VALU_DEP_1) | instskip(NEXT) | instid1(VALU_DEP_1)
	v_mul_lo_u32 v5, v4, s40
	v_sub_nc_u32_e32 v1, v1, v5
	s_delay_alu instid0(VALU_DEP_1)
	v_mad_u32 v3, v1, s29, v3
	v_mad_u32 v2, v1, s28, v2
	v_mov_b32_e32 v1, v4
	s_cbranch_scc1 .LBB109_225
.LBB109_226:
	s_cbranch_execnz .LBB109_229
.LBB109_227:
	v_mov_b32_e32 v1, 0
	s_and_not1_b32 vcc_lo, exec_lo, s35
	s_delay_alu instid0(VALU_DEP_1) | instskip(NEXT) | instid1(VALU_DEP_1)
	v_mul_u64_e32 v[2:3], s[18:19], v[0:1]
	v_add_nc_u32_e32 v2, v0, v3
	s_delay_alu instid0(VALU_DEP_1) | instskip(NEXT) | instid1(VALU_DEP_1)
	v_lshrrev_b32_e32 v4, s10, v2
	v_mul_lo_u32 v2, v4, s8
	s_delay_alu instid0(VALU_DEP_1) | instskip(NEXT) | instid1(VALU_DEP_1)
	v_sub_nc_u32_e32 v2, v0, v2
	v_mul_lo_u32 v3, v2, s13
	v_mul_lo_u32 v2, v2, s12
	s_cbranch_vccnz .LBB109_229
; %bb.228:
	v_mov_b32_e32 v5, v1
	s_delay_alu instid0(VALU_DEP_1) | instskip(NEXT) | instid1(VALU_DEP_1)
	v_mul_u64_e32 v[6:7], s[20:21], v[4:5]
	v_add_nc_u32_e32 v1, v4, v7
	s_delay_alu instid0(VALU_DEP_1) | instskip(NEXT) | instid1(VALU_DEP_1)
	v_lshrrev_b32_e32 v1, s3, v1
	v_mul_lo_u32 v1, v1, s11
	s_delay_alu instid0(VALU_DEP_1) | instskip(NEXT) | instid1(VALU_DEP_1)
	v_sub_nc_u32_e32 v1, v4, v1
	v_mad_u32 v2, v1, s14, v2
	v_mad_u32 v3, v1, s15, v3
.LBB109_229:
	global_load_b32 v1, v3, s[6:7]
	v_add_nc_u32_e32 v0, 0x80, v0
	s_wait_loadcnt 0x0
	v_cmp_eq_f32_e32 vcc_lo, s1, v1
	s_wait_xcnt 0x0
	v_cndmask_b32_e64 v3, 0, 1, vcc_lo
	v_cmp_neq_f32_e32 vcc_lo, s1, v1
	v_cndmask_b32_e64 v1, 0, 1, vcc_lo
	s_delay_alu instid0(VALU_DEP_1) | instskip(NEXT) | instid1(VALU_DEP_1)
	v_cndmask_b32_e64 v1, v1, v3, s0
	v_and_b32_e32 v1, 1, v1
	global_store_b8 v2, v1, s[4:5]
	s_wait_xcnt 0x0
	s_or_b32 exec_lo, exec_lo, s2
	s_delay_alu instid0(SALU_CYCLE_1)
	s_mov_b32 s2, exec_lo
	v_cmpx_gt_i32_e64 s36, v0
	s_cbranch_execz .LBB109_220
.LBB109_230:
	s_and_not1_b32 vcc_lo, exec_lo, s33
	s_cbranch_vccnz .LBB109_235
; %bb.231:
	s_and_not1_b32 vcc_lo, exec_lo, s38
	s_cbranch_vccnz .LBB109_236
; %bb.232:
	s_add_co_i32 s37, s37, 1
	s_cmp_eq_u32 s31, 2
	s_cbranch_scc1 .LBB109_237
; %bb.233:
	v_dual_mov_b32 v2, 0 :: v_dual_mov_b32 v3, 0
	v_mov_b32_e32 v1, v0
	s_and_b32 s24, s37, 28
	s_mov_b32 s9, 0
	s_mov_b64 s[26:27], s[16:17]
.LBB109_234:                            ; =>This Inner Loop Header: Depth=1
	s_clause 0x1
	s_load_b256 s[40:47], s[26:27], 0x4
	s_load_b128 s[56:59], s[26:27], 0x24
	s_load_b256 s[48:55], s[22:23], 0x0
	s_add_co_i32 s9, s9, 4
	s_wait_xcnt 0x0
	s_add_nc_u64 s[26:27], s[26:27], 48
	s_cmp_eq_u32 s24, s9
	s_add_nc_u64 s[22:23], s[22:23], 32
	s_wait_kmcnt 0x0
	v_mul_hi_u32 v4, s41, v1
	s_delay_alu instid0(VALU_DEP_1) | instskip(NEXT) | instid1(VALU_DEP_1)
	v_add_nc_u32_e32 v4, v1, v4
	v_lshrrev_b32_e32 v4, s42, v4
	s_delay_alu instid0(VALU_DEP_1) | instskip(NEXT) | instid1(VALU_DEP_1)
	v_mul_hi_u32 v5, s44, v4
	v_add_nc_u32_e32 v5, v4, v5
	s_delay_alu instid0(VALU_DEP_1) | instskip(NEXT) | instid1(VALU_DEP_1)
	v_lshrrev_b32_e32 v5, s45, v5
	v_mul_hi_u32 v6, s47, v5
	s_delay_alu instid0(VALU_DEP_1) | instskip(SKIP_1) | instid1(VALU_DEP_1)
	v_add_nc_u32_e32 v6, v5, v6
	v_mul_lo_u32 v7, v4, s40
	v_sub_nc_u32_e32 v1, v1, v7
	v_mul_lo_u32 v7, v5, s43
	s_delay_alu instid0(VALU_DEP_4) | instskip(NEXT) | instid1(VALU_DEP_3)
	v_lshrrev_b32_e32 v6, s56, v6
	v_mad_u32 v3, v1, s49, v3
	v_mad_u32 v1, v1, s48, v2
	s_delay_alu instid0(VALU_DEP_4) | instskip(NEXT) | instid1(VALU_DEP_4)
	v_sub_nc_u32_e32 v2, v4, v7
	v_mul_hi_u32 v8, s58, v6
	v_mul_lo_u32 v4, v6, s46
	s_delay_alu instid0(VALU_DEP_3) | instskip(SKIP_1) | instid1(VALU_DEP_4)
	v_mad_u32 v3, v2, s51, v3
	v_mad_u32 v2, v2, s50, v1
	v_add_nc_u32_e32 v7, v6, v8
	s_delay_alu instid0(VALU_DEP_1) | instskip(NEXT) | instid1(VALU_DEP_1)
	v_dual_sub_nc_u32 v4, v5, v4 :: v_dual_lshrrev_b32 v1, s59, v7
	v_mad_u32 v3, v4, s53, v3
	s_delay_alu instid0(VALU_DEP_4) | instskip(NEXT) | instid1(VALU_DEP_3)
	v_mad_u32 v2, v4, s52, v2
	v_mul_lo_u32 v5, v1, s57
	s_delay_alu instid0(VALU_DEP_1) | instskip(NEXT) | instid1(VALU_DEP_1)
	v_sub_nc_u32_e32 v4, v6, v5
	v_mad_u32 v3, v4, s55, v3
	s_delay_alu instid0(VALU_DEP_4)
	v_mad_u32 v2, v4, s54, v2
	s_cbranch_scc0 .LBB109_234
	s_branch .LBB109_238
.LBB109_235:
                                        ; implicit-def: $vgpr3
	s_branch .LBB109_242
.LBB109_236:
	v_dual_mov_b32 v3, 0 :: v_dual_mov_b32 v2, 0
	s_branch .LBB109_241
.LBB109_237:
	v_mov_b64_e32 v[2:3], 0
	v_mov_b32_e32 v1, v0
	s_mov_b32 s24, 0
.LBB109_238:
	s_and_b32 s9, s37, 3
	s_mov_b32 s25, 0
	s_cmp_eq_u32 s9, 0
	s_cbranch_scc1 .LBB109_241
; %bb.239:
	s_lshl_b32 s22, s24, 3
	s_mov_b32 s23, s25
	s_mul_u64 s[24:25], s[24:25], 12
	s_add_nc_u64 s[22:23], s[16:17], s[22:23]
	s_add_nc_u64 s[24:25], s[16:17], s[24:25]
	;; [unrolled: 1-line block ×3, first 2 shown]
.LBB109_240:                            ; =>This Inner Loop Header: Depth=1
	s_load_b96 s[36:38], s[24:25], 0x4
	s_load_b64 s[26:27], s[22:23], 0x0
	s_add_co_i32 s9, s9, -1
	s_wait_xcnt 0x0
	s_add_nc_u64 s[24:25], s[24:25], 12
	s_cmp_lg_u32 s9, 0
	s_add_nc_u64 s[22:23], s[22:23], 8
	s_wait_kmcnt 0x0
	v_mul_hi_u32 v4, s37, v1
	s_delay_alu instid0(VALU_DEP_1) | instskip(NEXT) | instid1(VALU_DEP_1)
	v_add_nc_u32_e32 v4, v1, v4
	v_lshrrev_b32_e32 v4, s38, v4
	s_delay_alu instid0(VALU_DEP_1) | instskip(NEXT) | instid1(VALU_DEP_1)
	v_mul_lo_u32 v5, v4, s36
	v_sub_nc_u32_e32 v1, v1, v5
	s_delay_alu instid0(VALU_DEP_1)
	v_mad_u32 v3, v1, s27, v3
	v_mad_u32 v2, v1, s26, v2
	v_mov_b32_e32 v1, v4
	s_cbranch_scc1 .LBB109_240
.LBB109_241:
	s_cbranch_execnz .LBB109_244
.LBB109_242:
	v_mov_b32_e32 v1, 0
	s_and_not1_b32 vcc_lo, exec_lo, s35
	s_delay_alu instid0(VALU_DEP_1) | instskip(NEXT) | instid1(VALU_DEP_1)
	v_mul_u64_e32 v[2:3], s[18:19], v[0:1]
	v_add_nc_u32_e32 v2, v0, v3
	s_delay_alu instid0(VALU_DEP_1) | instskip(NEXT) | instid1(VALU_DEP_1)
	v_lshrrev_b32_e32 v4, s10, v2
	v_mul_lo_u32 v2, v4, s8
	s_delay_alu instid0(VALU_DEP_1) | instskip(NEXT) | instid1(VALU_DEP_1)
	v_sub_nc_u32_e32 v0, v0, v2
	v_mul_lo_u32 v3, v0, s13
	v_mul_lo_u32 v2, v0, s12
	s_cbranch_vccnz .LBB109_244
; %bb.243:
	v_mov_b32_e32 v5, v1
	s_delay_alu instid0(VALU_DEP_1) | instskip(NEXT) | instid1(VALU_DEP_1)
	v_mul_u64_e32 v[0:1], s[20:21], v[4:5]
	v_add_nc_u32_e32 v0, v4, v1
	s_delay_alu instid0(VALU_DEP_1) | instskip(NEXT) | instid1(VALU_DEP_1)
	v_lshrrev_b32_e32 v0, s3, v0
	v_mul_lo_u32 v0, v0, s11
	s_delay_alu instid0(VALU_DEP_1) | instskip(NEXT) | instid1(VALU_DEP_1)
	v_sub_nc_u32_e32 v0, v4, v0
	v_mad_u32 v2, v0, s14, v2
	v_mad_u32 v3, v0, s15, v3
.LBB109_244:
	global_load_b32 v0, v3, s[6:7]
	s_wait_loadcnt 0x0
	v_cmp_eq_f32_e32 vcc_lo, s1, v0
	v_cndmask_b32_e64 v1, 0, 1, vcc_lo
	v_cmp_neq_f32_e32 vcc_lo, s1, v0
	v_cndmask_b32_e64 v0, 0, 1, vcc_lo
	s_delay_alu instid0(VALU_DEP_1) | instskip(NEXT) | instid1(VALU_DEP_1)
	v_cndmask_b32_e64 v0, v0, v1, s0
	v_and_b32_e32 v0, 1, v0
	global_store_b8 v2, v0, s[4:5]
	s_wait_xcnt 0x0
	s_or_b32 exec_lo, exec_lo, s2
                                        ; implicit-def: $vgpr16
                                        ; implicit-def: $vgpr0
	s_and_not1_saveexec_b32 s0, s34
	s_cbranch_execz .LBB109_221
	s_branch .LBB109_8
	.section	.rodata,"a",@progbits
	.p2align	6, 0x0
	.amdhsa_kernel _ZN2at6native32elementwise_kernel_manual_unrollILi128ELi8EZNS0_22gpu_kernel_impl_nocastINS0_13AUnaryFunctorIffbNS0_12_GLOBAL__N_116CompareEqFunctorIfEEEEEEvRNS_18TensorIteratorBaseERKT_EUlibE_EEviT1_
		.amdhsa_group_segment_fixed_size 0
		.amdhsa_private_segment_fixed_size 0
		.amdhsa_kernarg_size 360
		.amdhsa_user_sgpr_count 2
		.amdhsa_user_sgpr_dispatch_ptr 0
		.amdhsa_user_sgpr_queue_ptr 0
		.amdhsa_user_sgpr_kernarg_segment_ptr 1
		.amdhsa_user_sgpr_dispatch_id 0
		.amdhsa_user_sgpr_kernarg_preload_length 0
		.amdhsa_user_sgpr_kernarg_preload_offset 0
		.amdhsa_user_sgpr_private_segment_size 0
		.amdhsa_wavefront_size32 1
		.amdhsa_uses_dynamic_stack 0
		.amdhsa_enable_private_segment 0
		.amdhsa_system_sgpr_workgroup_id_x 1
		.amdhsa_system_sgpr_workgroup_id_y 0
		.amdhsa_system_sgpr_workgroup_id_z 0
		.amdhsa_system_sgpr_workgroup_info 0
		.amdhsa_system_vgpr_workitem_id 0
		.amdhsa_next_free_vgpr 24
		.amdhsa_next_free_sgpr 60
		.amdhsa_named_barrier_count 0
		.amdhsa_reserve_vcc 1
		.amdhsa_float_round_mode_32 0
		.amdhsa_float_round_mode_16_64 0
		.amdhsa_float_denorm_mode_32 3
		.amdhsa_float_denorm_mode_16_64 3
		.amdhsa_fp16_overflow 0
		.amdhsa_memory_ordered 1
		.amdhsa_forward_progress 1
		.amdhsa_inst_pref_size 102
		.amdhsa_round_robin_scheduling 0
		.amdhsa_exception_fp_ieee_invalid_op 0
		.amdhsa_exception_fp_denorm_src 0
		.amdhsa_exception_fp_ieee_div_zero 0
		.amdhsa_exception_fp_ieee_overflow 0
		.amdhsa_exception_fp_ieee_underflow 0
		.amdhsa_exception_fp_ieee_inexact 0
		.amdhsa_exception_int_div_zero 0
	.end_amdhsa_kernel
	.section	.text._ZN2at6native32elementwise_kernel_manual_unrollILi128ELi8EZNS0_22gpu_kernel_impl_nocastINS0_13AUnaryFunctorIffbNS0_12_GLOBAL__N_116CompareEqFunctorIfEEEEEEvRNS_18TensorIteratorBaseERKT_EUlibE_EEviT1_,"axG",@progbits,_ZN2at6native32elementwise_kernel_manual_unrollILi128ELi8EZNS0_22gpu_kernel_impl_nocastINS0_13AUnaryFunctorIffbNS0_12_GLOBAL__N_116CompareEqFunctorIfEEEEEEvRNS_18TensorIteratorBaseERKT_EUlibE_EEviT1_,comdat
.Lfunc_end109:
	.size	_ZN2at6native32elementwise_kernel_manual_unrollILi128ELi8EZNS0_22gpu_kernel_impl_nocastINS0_13AUnaryFunctorIffbNS0_12_GLOBAL__N_116CompareEqFunctorIfEEEEEEvRNS_18TensorIteratorBaseERKT_EUlibE_EEviT1_, .Lfunc_end109-_ZN2at6native32elementwise_kernel_manual_unrollILi128ELi8EZNS0_22gpu_kernel_impl_nocastINS0_13AUnaryFunctorIffbNS0_12_GLOBAL__N_116CompareEqFunctorIfEEEEEEvRNS_18TensorIteratorBaseERKT_EUlibE_EEviT1_
                                        ; -- End function
	.set _ZN2at6native32elementwise_kernel_manual_unrollILi128ELi8EZNS0_22gpu_kernel_impl_nocastINS0_13AUnaryFunctorIffbNS0_12_GLOBAL__N_116CompareEqFunctorIfEEEEEEvRNS_18TensorIteratorBaseERKT_EUlibE_EEviT1_.num_vgpr, 24
	.set _ZN2at6native32elementwise_kernel_manual_unrollILi128ELi8EZNS0_22gpu_kernel_impl_nocastINS0_13AUnaryFunctorIffbNS0_12_GLOBAL__N_116CompareEqFunctorIfEEEEEEvRNS_18TensorIteratorBaseERKT_EUlibE_EEviT1_.num_agpr, 0
	.set _ZN2at6native32elementwise_kernel_manual_unrollILi128ELi8EZNS0_22gpu_kernel_impl_nocastINS0_13AUnaryFunctorIffbNS0_12_GLOBAL__N_116CompareEqFunctorIfEEEEEEvRNS_18TensorIteratorBaseERKT_EUlibE_EEviT1_.numbered_sgpr, 60
	.set _ZN2at6native32elementwise_kernel_manual_unrollILi128ELi8EZNS0_22gpu_kernel_impl_nocastINS0_13AUnaryFunctorIffbNS0_12_GLOBAL__N_116CompareEqFunctorIfEEEEEEvRNS_18TensorIteratorBaseERKT_EUlibE_EEviT1_.num_named_barrier, 0
	.set _ZN2at6native32elementwise_kernel_manual_unrollILi128ELi8EZNS0_22gpu_kernel_impl_nocastINS0_13AUnaryFunctorIffbNS0_12_GLOBAL__N_116CompareEqFunctorIfEEEEEEvRNS_18TensorIteratorBaseERKT_EUlibE_EEviT1_.private_seg_size, 0
	.set _ZN2at6native32elementwise_kernel_manual_unrollILi128ELi8EZNS0_22gpu_kernel_impl_nocastINS0_13AUnaryFunctorIffbNS0_12_GLOBAL__N_116CompareEqFunctorIfEEEEEEvRNS_18TensorIteratorBaseERKT_EUlibE_EEviT1_.uses_vcc, 1
	.set _ZN2at6native32elementwise_kernel_manual_unrollILi128ELi8EZNS0_22gpu_kernel_impl_nocastINS0_13AUnaryFunctorIffbNS0_12_GLOBAL__N_116CompareEqFunctorIfEEEEEEvRNS_18TensorIteratorBaseERKT_EUlibE_EEviT1_.uses_flat_scratch, 0
	.set _ZN2at6native32elementwise_kernel_manual_unrollILi128ELi8EZNS0_22gpu_kernel_impl_nocastINS0_13AUnaryFunctorIffbNS0_12_GLOBAL__N_116CompareEqFunctorIfEEEEEEvRNS_18TensorIteratorBaseERKT_EUlibE_EEviT1_.has_dyn_sized_stack, 0
	.set _ZN2at6native32elementwise_kernel_manual_unrollILi128ELi8EZNS0_22gpu_kernel_impl_nocastINS0_13AUnaryFunctorIffbNS0_12_GLOBAL__N_116CompareEqFunctorIfEEEEEEvRNS_18TensorIteratorBaseERKT_EUlibE_EEviT1_.has_recursion, 0
	.set _ZN2at6native32elementwise_kernel_manual_unrollILi128ELi8EZNS0_22gpu_kernel_impl_nocastINS0_13AUnaryFunctorIffbNS0_12_GLOBAL__N_116CompareEqFunctorIfEEEEEEvRNS_18TensorIteratorBaseERKT_EUlibE_EEviT1_.has_indirect_call, 0
	.section	.AMDGPU.csdata,"",@progbits
; Kernel info:
; codeLenInByte = 12944
; TotalNumSgprs: 62
; NumVgprs: 24
; ScratchSize: 0
; MemoryBound: 0
; FloatMode: 240
; IeeeMode: 1
; LDSByteSize: 0 bytes/workgroup (compile time only)
; SGPRBlocks: 0
; VGPRBlocks: 1
; NumSGPRsForWavesPerEU: 62
; NumVGPRsForWavesPerEU: 24
; NamedBarCnt: 0
; Occupancy: 16
; WaveLimiterHint : 1
; COMPUTE_PGM_RSRC2:SCRATCH_EN: 0
; COMPUTE_PGM_RSRC2:USER_SGPR: 2
; COMPUTE_PGM_RSRC2:TRAP_HANDLER: 0
; COMPUTE_PGM_RSRC2:TGID_X_EN: 1
; COMPUTE_PGM_RSRC2:TGID_Y_EN: 0
; COMPUTE_PGM_RSRC2:TGID_Z_EN: 0
; COMPUTE_PGM_RSRC2:TIDIG_COMP_CNT: 0
	.section	.text._ZN2at6native32elementwise_kernel_manual_unrollILi128ELi4EZNS0_15gpu_kernel_implINS0_13AUnaryFunctorIffbNS0_12_GLOBAL__N_116CompareEqFunctorIfEEEEEEvRNS_18TensorIteratorBaseERKT_EUlibE_EEviT1_,"axG",@progbits,_ZN2at6native32elementwise_kernel_manual_unrollILi128ELi4EZNS0_15gpu_kernel_implINS0_13AUnaryFunctorIffbNS0_12_GLOBAL__N_116CompareEqFunctorIfEEEEEEvRNS_18TensorIteratorBaseERKT_EUlibE_EEviT1_,comdat
	.globl	_ZN2at6native32elementwise_kernel_manual_unrollILi128ELi4EZNS0_15gpu_kernel_implINS0_13AUnaryFunctorIffbNS0_12_GLOBAL__N_116CompareEqFunctorIfEEEEEEvRNS_18TensorIteratorBaseERKT_EUlibE_EEviT1_ ; -- Begin function _ZN2at6native32elementwise_kernel_manual_unrollILi128ELi4EZNS0_15gpu_kernel_implINS0_13AUnaryFunctorIffbNS0_12_GLOBAL__N_116CompareEqFunctorIfEEEEEEvRNS_18TensorIteratorBaseERKT_EUlibE_EEviT1_
	.p2align	8
	.type	_ZN2at6native32elementwise_kernel_manual_unrollILi128ELi4EZNS0_15gpu_kernel_implINS0_13AUnaryFunctorIffbNS0_12_GLOBAL__N_116CompareEqFunctorIfEEEEEEvRNS_18TensorIteratorBaseERKT_EUlibE_EEviT1_,@function
_ZN2at6native32elementwise_kernel_manual_unrollILi128ELi4EZNS0_15gpu_kernel_implINS0_13AUnaryFunctorIffbNS0_12_GLOBAL__N_116CompareEqFunctorIfEEEEEEvRNS_18TensorIteratorBaseERKT_EUlibE_EEviT1_: ; @_ZN2at6native32elementwise_kernel_manual_unrollILi128ELi4EZNS0_15gpu_kernel_implINS0_13AUnaryFunctorIffbNS0_12_GLOBAL__N_116CompareEqFunctorIfEEEEEEvRNS_18TensorIteratorBaseERKT_EUlibE_EEviT1_
; %bb.0:
	s_load_b32 s3, s[0:1], 0x28
	s_bfe_u32 s4, ttmp6, 0x4000c
	s_load_b32 s16, s[0:1], 0x0
	s_add_co_i32 s13, s4, 1
	s_load_b256 s[4:11], s[0:1], 0x8
	s_and_b32 s2, ttmp6, 15
	s_wait_xcnt 0x0
	s_mul_i32 s0, ttmp9, s13
	s_getreg_b32 s12, hwreg(HW_REG_IB_STS2, 6, 4)
	s_add_co_i32 s2, s2, s0
	s_mov_b32 s15, 0
	s_wait_kmcnt 0x0
	s_bfe_u32 s13, s3, 0x80008
	s_cmp_eq_u32 s12, 0
	s_mov_b32 s12, 0
	s_cselect_b32 s0, ttmp9, s2
	s_delay_alu instid0(SALU_CYCLE_1) | instskip(SKIP_1) | instid1(VALU_DEP_1)
	v_lshl_or_b32 v4, s0, 9, v0
	s_mov_b32 s0, exec_lo
	v_or_b32_e32 v0, 0x180, v4
	s_delay_alu instid0(VALU_DEP_1)
	v_cmpx_le_i32_e64 s16, v0
	s_xor_b32 s14, exec_lo, s0
	s_cbranch_execz .LBB110_1031
; %bb.1:
	s_cmp_eq_u32 s10, 0
	s_mov_b32 s19, 0
	s_cselect_b32 s0, -1, 0
	s_mov_b32 s1, -1
	s_mov_b32 s17, 0
	s_mov_b32 s18, exec_lo
	v_cmpx_gt_i32_e64 s16, v4
	s_cbranch_execz .LBB110_252
; %bb.2:
	v_mul_lo_u32 v0, v4, s9
	s_and_b32 s1, 0xffff, s13
	s_delay_alu instid0(SALU_CYCLE_1) | instskip(NEXT) | instid1(VALU_DEP_1)
	s_cmp_lt_i32 s1, 11
	v_ashrrev_i32_e32 v1, 31, v0
	s_delay_alu instid0(VALU_DEP_1)
	v_add_nc_u64_e32 v[0:1], s[6:7], v[0:1]
	s_cbranch_scc1 .LBB110_9
; %bb.3:
	s_cmp_gt_i32 s1, 25
	s_cbranch_scc0 .LBB110_18
; %bb.4:
	s_cmp_gt_i32 s1, 28
	s_cbranch_scc0 .LBB110_21
	;; [unrolled: 3-line block ×4, first 2 shown]
; %bb.7:
	s_cmp_eq_u32 s1, 46
	s_cbranch_scc0 .LBB110_27
; %bb.8:
	global_load_b32 v2, v[0:1], off
	s_mov_b32 s2, -1
	s_wait_loadcnt 0x0
	v_lshlrev_b32_e32 v2, 16, v2
	s_branch .LBB110_29
.LBB110_9:
	s_mov_b32 s2, 0
                                        ; implicit-def: $vgpr2
	s_cbranch_execnz .LBB110_202
.LBB110_10:
	s_and_not1_b32 vcc_lo, exec_lo, s2
	s_cbranch_vccnz .LBB110_249
.LBB110_11:
	s_wait_loadcnt 0x0
	s_delay_alu instid0(VALU_DEP_1) | instskip(SKIP_2) | instid1(SALU_CYCLE_1)
	v_cmp_eq_f32_e32 vcc_lo, s11, v2
	v_mul_lo_u32 v0, v4, s8
	s_and_b32 s15, s3, 0xff
	s_cmp_lt_i32 s15, 11
	v_cndmask_b32_e64 v1, 0, 1, vcc_lo
	v_cmp_neq_f32_e32 vcc_lo, s11, v2
	v_cndmask_b32_e64 v2, 0, 1, vcc_lo
	s_delay_alu instid0(VALU_DEP_1) | instskip(NEXT) | instid1(VALU_DEP_1)
	v_dual_cndmask_b32 v2, v2, v1, s0 :: v_dual_ashrrev_i32 v1, 31, v0
	v_and_b32_e32 v2, 1, v2
	s_delay_alu instid0(VALU_DEP_2) | instskip(NEXT) | instid1(VALU_DEP_2)
	v_add_nc_u64_e32 v[0:1], s[4:5], v[0:1]
	v_cmp_eq_u32_e64 s1, 1, v2
	s_cbranch_scc1 .LBB110_19
; %bb.12:
	s_and_b32 s20, 0xffff, s15
	s_delay_alu instid0(SALU_CYCLE_1)
	s_cmp_gt_i32 s20, 25
	s_cbranch_scc0 .LBB110_22
; %bb.13:
	s_cmp_gt_i32 s20, 28
	s_cbranch_scc0 .LBB110_24
; %bb.14:
	;; [unrolled: 3-line block ×4, first 2 shown]
	s_mov_b32 s22, 0
	s_mov_b32 s2, -1
	s_cmp_eq_u32 s20, 46
	s_mov_b32 s21, 0
	s_cbranch_scc0 .LBB110_33
; %bb.17:
	v_cndmask_b32_e64 v2, 0, 1.0, s1
	s_mov_b32 s21, -1
	s_mov_b32 s2, 0
	s_delay_alu instid0(VALU_DEP_1) | instskip(NEXT) | instid1(VALU_DEP_1)
	v_bfe_u32 v3, v2, 16, 1
	v_add3_u32 v2, v2, v3, 0x7fff
	s_delay_alu instid0(VALU_DEP_1)
	v_lshrrev_b32_e32 v2, 16, v2
	global_store_b32 v[0:1], v2, off
	s_branch .LBB110_33
.LBB110_18:
	s_mov_b32 s2, 0
                                        ; implicit-def: $vgpr2
	s_cbranch_execnz .LBB110_167
	s_branch .LBB110_201
.LBB110_19:
	s_mov_b32 s2, 0
	s_mov_b32 s21, 0
	s_cbranch_execnz .LBB110_102
.LBB110_20:
	s_and_not1_b32 vcc_lo, exec_lo, s21
	s_cbranch_vccnz .LBB110_250
	s_branch .LBB110_140
.LBB110_21:
	s_mov_b32 s15, -1
	s_mov_b32 s2, 0
                                        ; implicit-def: $vgpr2
	s_branch .LBB110_148
.LBB110_22:
	s_mov_b32 s22, -1
	s_mov_b32 s2, 0
	s_mov_b32 s21, 0
	s_branch .LBB110_60
.LBB110_23:
	s_mov_b32 s15, -1
	s_mov_b32 s2, 0
                                        ; implicit-def: $vgpr2
	s_branch .LBB110_143
.LBB110_24:
	s_mov_b32 s22, -1
	s_mov_b32 s2, 0
	s_mov_b32 s21, 0
	s_branch .LBB110_43
.LBB110_25:
	s_mov_b32 s15, -1
	s_branch .LBB110_28
.LBB110_26:
	s_mov_b32 s22, -1
	s_mov_b32 s2, 0
	s_mov_b32 s21, 0
	s_branch .LBB110_39
.LBB110_27:
	s_mov_b32 s17, -1
.LBB110_28:
	s_mov_b32 s2, 0
                                        ; implicit-def: $vgpr2
.LBB110_29:
	s_and_b32 vcc_lo, exec_lo, s15
	s_cbranch_vccz .LBB110_142
; %bb.30:
	s_cmp_eq_u32 s1, 44
	s_cbranch_scc0 .LBB110_141
; %bb.31:
	global_load_u8 v2, v[0:1], off
	s_mov_b32 s17, 0
	s_mov_b32 s2, -1
	s_wait_loadcnt 0x0
	v_lshlrev_b32_e32 v3, 23, v2
	v_cmp_ne_u32_e32 vcc_lo, 0xff, v2
	s_delay_alu instid0(VALU_DEP_2) | instskip(SKIP_1) | instid1(VALU_DEP_2)
	v_cndmask_b32_e32 v3, 0x7f800001, v3, vcc_lo
	v_cmp_ne_u32_e32 vcc_lo, 0, v2
	v_cndmask_b32_e32 v2, 0x400000, v3, vcc_lo
	s_branch .LBB110_142
.LBB110_32:
	s_mov_b32 s22, -1
	s_mov_b32 s2, 0
	s_mov_b32 s21, 0
.LBB110_33:
	s_and_b32 vcc_lo, exec_lo, s22
	s_cbranch_vccz .LBB110_38
; %bb.34:
	s_cmp_eq_u32 s20, 44
	s_mov_b32 s2, -1
	s_cbranch_scc0 .LBB110_38
; %bb.35:
	v_cndmask_b32_e64 v5, 0, 1.0, s1
	s_mov_b32 s21, exec_lo
	s_wait_xcnt 0x0
	s_delay_alu instid0(VALU_DEP_1) | instskip(NEXT) | instid1(VALU_DEP_1)
	v_dual_mov_b32 v3, 0xff :: v_dual_lshrrev_b32 v2, 23, v5
	v_cmpx_ne_u32_e32 0xff, v2
; %bb.36:
	v_and_b32_e32 v3, 0x400000, v5
	v_and_or_b32 v5, 0x3fffff, v5, v2
	s_delay_alu instid0(VALU_DEP_2) | instskip(NEXT) | instid1(VALU_DEP_2)
	v_cmp_ne_u32_e32 vcc_lo, 0, v3
	v_cmp_ne_u32_e64 s2, 0, v5
	s_and_b32 s2, vcc_lo, s2
	s_delay_alu instid0(SALU_CYCLE_1) | instskip(NEXT) | instid1(VALU_DEP_1)
	v_cndmask_b32_e64 v3, 0, 1, s2
	v_add_nc_u32_e32 v3, v2, v3
; %bb.37:
	s_or_b32 exec_lo, exec_lo, s21
	s_mov_b32 s21, -1
	s_mov_b32 s2, 0
	global_store_b8 v[0:1], v3, off
.LBB110_38:
	s_mov_b32 s22, 0
.LBB110_39:
	s_delay_alu instid0(SALU_CYCLE_1)
	s_and_b32 vcc_lo, exec_lo, s22
	s_cbranch_vccz .LBB110_42
; %bb.40:
	s_cmp_eq_u32 s20, 29
	s_mov_b32 s2, -1
	s_cbranch_scc0 .LBB110_42
; %bb.41:
	s_mov_b32 s2, 0
	s_wait_xcnt 0x0
	v_cndmask_b32_e64 v2, 0, 1, s1
	v_mov_b32_e32 v3, s2
	s_mov_b32 s21, -1
	s_mov_b32 s22, 0
	global_store_b64 v[0:1], v[2:3], off
	s_branch .LBB110_43
.LBB110_42:
	s_mov_b32 s22, 0
.LBB110_43:
	s_delay_alu instid0(SALU_CYCLE_1)
	s_and_b32 vcc_lo, exec_lo, s22
	s_cbranch_vccz .LBB110_59
; %bb.44:
	s_cmp_lt_i32 s20, 27
	s_mov_b32 s21, -1
	s_cbranch_scc1 .LBB110_50
; %bb.45:
	s_cmp_gt_i32 s20, 27
	s_cbranch_scc0 .LBB110_47
; %bb.46:
	s_wait_xcnt 0x0
	v_cndmask_b32_e64 v2, 0, 1, s1
	s_mov_b32 s21, 0
	global_store_b32 v[0:1], v2, off
.LBB110_47:
	s_and_not1_b32 vcc_lo, exec_lo, s21
	s_cbranch_vccnz .LBB110_49
; %bb.48:
	s_wait_xcnt 0x0
	v_cndmask_b32_e64 v2, 0, 1, s1
	global_store_b16 v[0:1], v2, off
.LBB110_49:
	s_mov_b32 s21, 0
.LBB110_50:
	s_delay_alu instid0(SALU_CYCLE_1)
	s_and_not1_b32 vcc_lo, exec_lo, s21
	s_cbranch_vccnz .LBB110_58
; %bb.51:
	s_wait_xcnt 0x0
	v_cndmask_b32_e64 v3, 0, 1.0, s1
	v_mov_b32_e32 v5, 0x80
	s_mov_b32 s21, exec_lo
	s_delay_alu instid0(VALU_DEP_2)
	v_cmpx_gt_u32_e32 0x43800000, v3
	s_cbranch_execz .LBB110_57
; %bb.52:
	s_mov_b32 s22, 0
	s_mov_b32 s23, exec_lo
                                        ; implicit-def: $vgpr2
	v_cmpx_lt_u32_e32 0x3bffffff, v3
	s_xor_b32 s23, exec_lo, s23
	s_cbranch_execz .LBB110_279
; %bb.53:
	v_bfe_u32 v2, v3, 20, 1
	s_mov_b32 s22, exec_lo
	s_delay_alu instid0(VALU_DEP_1) | instskip(NEXT) | instid1(VALU_DEP_1)
	v_add3_u32 v2, v3, v2, 0x487ffff
                                        ; implicit-def: $vgpr3
	v_lshrrev_b32_e32 v2, 20, v2
	s_and_not1_saveexec_b32 s23, s23
	s_cbranch_execnz .LBB110_280
.LBB110_54:
	s_or_b32 exec_lo, exec_lo, s23
	v_mov_b32_e32 v5, 0
	s_and_saveexec_b32 s23, s22
.LBB110_55:
	v_mov_b32_e32 v5, v2
.LBB110_56:
	s_or_b32 exec_lo, exec_lo, s23
.LBB110_57:
	s_delay_alu instid0(SALU_CYCLE_1)
	s_or_b32 exec_lo, exec_lo, s21
	global_store_b8 v[0:1], v5, off
.LBB110_58:
	s_mov_b32 s21, -1
.LBB110_59:
	s_mov_b32 s22, 0
.LBB110_60:
	s_delay_alu instid0(SALU_CYCLE_1)
	s_and_b32 vcc_lo, exec_lo, s22
	s_cbranch_vccz .LBB110_101
; %bb.61:
	s_cmp_gt_i32 s20, 22
	s_mov_b32 s22, -1
	s_cbranch_scc0 .LBB110_93
; %bb.62:
	s_cmp_lt_i32 s20, 24
	s_mov_b32 s21, -1
	s_cbranch_scc1 .LBB110_82
; %bb.63:
	s_cmp_gt_i32 s20, 24
	s_cbranch_scc0 .LBB110_71
; %bb.64:
	s_wait_xcnt 0x0
	v_cndmask_b32_e64 v3, 0, 1.0, s1
	v_mov_b32_e32 v5, 0x80
	s_mov_b32 s21, exec_lo
	s_delay_alu instid0(VALU_DEP_2)
	v_cmpx_gt_u32_e32 0x47800000, v3
	s_cbranch_execz .LBB110_70
; %bb.65:
	s_mov_b32 s22, 0
	s_mov_b32 s23, exec_lo
                                        ; implicit-def: $vgpr2
	v_cmpx_lt_u32_e32 0x37ffffff, v3
	s_xor_b32 s23, exec_lo, s23
	s_cbranch_execz .LBB110_283
; %bb.66:
	v_bfe_u32 v2, v3, 21, 1
	s_mov_b32 s22, exec_lo
	s_delay_alu instid0(VALU_DEP_1) | instskip(NEXT) | instid1(VALU_DEP_1)
	v_add3_u32 v2, v3, v2, 0x88fffff
                                        ; implicit-def: $vgpr3
	v_lshrrev_b32_e32 v2, 21, v2
	s_and_not1_saveexec_b32 s23, s23
	s_cbranch_execnz .LBB110_284
.LBB110_67:
	s_or_b32 exec_lo, exec_lo, s23
	v_mov_b32_e32 v5, 0
	s_and_saveexec_b32 s23, s22
.LBB110_68:
	v_mov_b32_e32 v5, v2
.LBB110_69:
	s_or_b32 exec_lo, exec_lo, s23
.LBB110_70:
	s_delay_alu instid0(SALU_CYCLE_1)
	s_or_b32 exec_lo, exec_lo, s21
	s_mov_b32 s21, 0
	global_store_b8 v[0:1], v5, off
.LBB110_71:
	s_and_b32 vcc_lo, exec_lo, s21
	s_cbranch_vccz .LBB110_81
; %bb.72:
	s_wait_xcnt 0x0
	v_cndmask_b32_e64 v3, 0, 1.0, s1
	s_mov_b32 s21, exec_lo
                                        ; implicit-def: $vgpr2
	s_delay_alu instid0(VALU_DEP_1)
	v_cmpx_gt_u32_e32 0x43f00000, v3
	s_xor_b32 s21, exec_lo, s21
	s_cbranch_execz .LBB110_78
; %bb.73:
	s_mov_b32 s22, exec_lo
                                        ; implicit-def: $vgpr2
	v_cmpx_lt_u32_e32 0x3c7fffff, v3
	s_xor_b32 s22, exec_lo, s22
; %bb.74:
	v_bfe_u32 v2, v3, 20, 1
	s_delay_alu instid0(VALU_DEP_1) | instskip(NEXT) | instid1(VALU_DEP_1)
	v_add3_u32 v2, v3, v2, 0x407ffff
	v_and_b32_e32 v3, 0xff00000, v2
	v_lshrrev_b32_e32 v2, 20, v2
	s_delay_alu instid0(VALU_DEP_2) | instskip(NEXT) | instid1(VALU_DEP_2)
	v_cmp_ne_u32_e32 vcc_lo, 0x7f00000, v3
                                        ; implicit-def: $vgpr3
	v_cndmask_b32_e32 v2, 0x7e, v2, vcc_lo
; %bb.75:
	s_and_not1_saveexec_b32 s22, s22
; %bb.76:
	v_add_f32_e32 v2, 0x46800000, v3
; %bb.77:
	s_or_b32 exec_lo, exec_lo, s22
                                        ; implicit-def: $vgpr3
.LBB110_78:
	s_and_not1_saveexec_b32 s21, s21
; %bb.79:
	v_mov_b32_e32 v2, 0x7f
	v_cmp_lt_u32_e32 vcc_lo, 0x7f800000, v3
	s_delay_alu instid0(VALU_DEP_2)
	v_cndmask_b32_e32 v2, 0x7e, v2, vcc_lo
; %bb.80:
	s_or_b32 exec_lo, exec_lo, s21
	global_store_b8 v[0:1], v2, off
.LBB110_81:
	s_mov_b32 s21, 0
.LBB110_82:
	s_delay_alu instid0(SALU_CYCLE_1)
	s_and_not1_b32 vcc_lo, exec_lo, s21
	s_cbranch_vccnz .LBB110_92
; %bb.83:
	s_wait_xcnt 0x0
	v_cndmask_b32_e64 v3, 0, 1.0, s1
	s_mov_b32 s21, exec_lo
                                        ; implicit-def: $vgpr2
	s_delay_alu instid0(VALU_DEP_1)
	v_cmpx_gt_u32_e32 0x47800000, v3
	s_xor_b32 s21, exec_lo, s21
	s_cbranch_execz .LBB110_89
; %bb.84:
	s_mov_b32 s22, exec_lo
                                        ; implicit-def: $vgpr2
	v_cmpx_lt_u32_e32 0x387fffff, v3
	s_xor_b32 s22, exec_lo, s22
; %bb.85:
	v_bfe_u32 v2, v3, 21, 1
	s_delay_alu instid0(VALU_DEP_1) | instskip(NEXT) | instid1(VALU_DEP_1)
	v_add3_u32 v2, v3, v2, 0x80fffff
                                        ; implicit-def: $vgpr3
	v_lshrrev_b32_e32 v2, 21, v2
; %bb.86:
	s_and_not1_saveexec_b32 s22, s22
; %bb.87:
	v_add_f32_e32 v2, 0x43000000, v3
; %bb.88:
	s_or_b32 exec_lo, exec_lo, s22
                                        ; implicit-def: $vgpr3
.LBB110_89:
	s_and_not1_saveexec_b32 s21, s21
; %bb.90:
	v_mov_b32_e32 v2, 0x7f
	v_cmp_lt_u32_e32 vcc_lo, 0x7f800000, v3
	s_delay_alu instid0(VALU_DEP_2)
	v_cndmask_b32_e32 v2, 0x7c, v2, vcc_lo
; %bb.91:
	s_or_b32 exec_lo, exec_lo, s21
	global_store_b8 v[0:1], v2, off
.LBB110_92:
	s_mov_b32 s22, 0
	s_mov_b32 s21, -1
.LBB110_93:
	s_and_not1_b32 vcc_lo, exec_lo, s22
	s_cbranch_vccnz .LBB110_101
; %bb.94:
	s_cmp_gt_i32 s20, 14
	s_mov_b32 s22, -1
	s_cbranch_scc0 .LBB110_98
; %bb.95:
	s_cmp_eq_u32 s20, 15
	s_mov_b32 s2, -1
	s_cbranch_scc0 .LBB110_97
; %bb.96:
	s_wait_xcnt 0x0
	v_cndmask_b32_e64 v2, 0, 1.0, s1
	s_mov_b32 s21, -1
	s_mov_b32 s2, 0
	s_delay_alu instid0(VALU_DEP_1) | instskip(NEXT) | instid1(VALU_DEP_1)
	v_bfe_u32 v3, v2, 16, 1
	v_add3_u32 v2, v2, v3, 0x7fff
	global_store_d16_hi_b16 v[0:1], v2, off
.LBB110_97:
	s_mov_b32 s22, 0
.LBB110_98:
	s_delay_alu instid0(SALU_CYCLE_1)
	s_and_b32 vcc_lo, exec_lo, s22
	s_cbranch_vccz .LBB110_101
; %bb.99:
	s_cmp_eq_u32 s20, 11
	s_mov_b32 s2, -1
	s_cbranch_scc0 .LBB110_101
; %bb.100:
	s_wait_xcnt 0x0
	v_cndmask_b32_e64 v2, 0, 1, s1
	s_mov_b32 s21, -1
	s_mov_b32 s2, 0
	global_store_b8 v[0:1], v2, off
.LBB110_101:
	s_branch .LBB110_20
.LBB110_102:
	s_and_b32 s15, 0xffff, s15
	s_mov_b32 s20, -1
	s_cmp_lt_i32 s15, 5
	s_cbranch_scc1 .LBB110_123
; %bb.103:
	s_cmp_lt_i32 s15, 8
	s_cbranch_scc1 .LBB110_113
; %bb.104:
	;; [unrolled: 3-line block ×3, first 2 shown]
	s_cmp_gt_i32 s15, 9
	s_cbranch_scc0 .LBB110_107
; %bb.106:
	s_wait_xcnt 0x0
	v_cndmask_b32_e64 v2, 0, 1, s1
	v_mov_b32_e32 v8, 0
	s_mov_b32 s20, 0
	s_delay_alu instid0(VALU_DEP_2) | instskip(NEXT) | instid1(VALU_DEP_2)
	v_cvt_f64_u32_e32 v[6:7], v2
	v_mov_b32_e32 v9, v8
	global_store_b128 v[0:1], v[6:9], off
.LBB110_107:
	s_and_not1_b32 vcc_lo, exec_lo, s20
	s_cbranch_vccnz .LBB110_109
; %bb.108:
	s_wait_xcnt 0x0
	v_cndmask_b32_e64 v2, 0, 1.0, s1
	v_mov_b32_e32 v3, 0
	global_store_b64 v[0:1], v[2:3], off
.LBB110_109:
	s_mov_b32 s20, 0
.LBB110_110:
	s_delay_alu instid0(SALU_CYCLE_1)
	s_and_not1_b32 vcc_lo, exec_lo, s20
	s_cbranch_vccnz .LBB110_112
; %bb.111:
	s_wait_xcnt 0x0
	v_cndmask_b32_e64 v2, 0, 1.0, s1
	s_delay_alu instid0(VALU_DEP_1) | instskip(NEXT) | instid1(VALU_DEP_1)
	v_cvt_f16_f32_e32 v2, v2
	v_and_b32_e32 v2, 0xffff, v2
	global_store_b32 v[0:1], v2, off
.LBB110_112:
	s_mov_b32 s20, 0
.LBB110_113:
	s_delay_alu instid0(SALU_CYCLE_1)
	s_and_not1_b32 vcc_lo, exec_lo, s20
	s_cbranch_vccnz .LBB110_122
; %bb.114:
	s_cmp_lt_i32 s15, 6
	s_mov_b32 s20, -1
	s_cbranch_scc1 .LBB110_120
; %bb.115:
	s_cmp_gt_i32 s15, 6
	s_cbranch_scc0 .LBB110_117
; %bb.116:
	s_wait_xcnt 0x0
	v_cndmask_b32_e64 v2, 0, 1, s1
	s_mov_b32 s20, 0
	s_delay_alu instid0(VALU_DEP_1)
	v_cvt_f64_u32_e32 v[2:3], v2
	global_store_b64 v[0:1], v[2:3], off
.LBB110_117:
	s_and_not1_b32 vcc_lo, exec_lo, s20
	s_cbranch_vccnz .LBB110_119
; %bb.118:
	s_wait_xcnt 0x0
	v_cndmask_b32_e64 v2, 0, 1.0, s1
	global_store_b32 v[0:1], v2, off
.LBB110_119:
	s_mov_b32 s20, 0
.LBB110_120:
	s_delay_alu instid0(SALU_CYCLE_1)
	s_and_not1_b32 vcc_lo, exec_lo, s20
	s_cbranch_vccnz .LBB110_122
; %bb.121:
	s_wait_xcnt 0x0
	v_cndmask_b32_e64 v2, 0, 1.0, s1
	s_delay_alu instid0(VALU_DEP_1)
	v_cvt_f16_f32_e32 v2, v2
	global_store_b16 v[0:1], v2, off
.LBB110_122:
	s_mov_b32 s20, 0
.LBB110_123:
	s_delay_alu instid0(SALU_CYCLE_1)
	s_and_not1_b32 vcc_lo, exec_lo, s20
	s_cbranch_vccnz .LBB110_139
; %bb.124:
	s_cmp_lt_i32 s15, 2
	s_mov_b32 s20, -1
	s_cbranch_scc1 .LBB110_134
; %bb.125:
	s_cmp_lt_i32 s15, 3
	s_cbranch_scc1 .LBB110_131
; %bb.126:
	s_cmp_gt_i32 s15, 3
	s_cbranch_scc0 .LBB110_128
; %bb.127:
	s_mov_b32 s20, 0
	s_wait_xcnt 0x0
	v_cndmask_b32_e64 v2, 0, 1, s1
	v_mov_b32_e32 v3, s20
	global_store_b64 v[0:1], v[2:3], off
.LBB110_128:
	s_and_not1_b32 vcc_lo, exec_lo, s20
	s_cbranch_vccnz .LBB110_130
; %bb.129:
	s_wait_xcnt 0x0
	v_cndmask_b32_e64 v2, 0, 1, s1
	global_store_b32 v[0:1], v2, off
.LBB110_130:
	s_mov_b32 s20, 0
.LBB110_131:
	s_delay_alu instid0(SALU_CYCLE_1)
	s_and_not1_b32 vcc_lo, exec_lo, s20
	s_cbranch_vccnz .LBB110_133
; %bb.132:
	s_wait_xcnt 0x0
	v_cndmask_b32_e64 v2, 0, 1, s1
	global_store_b16 v[0:1], v2, off
.LBB110_133:
	s_mov_b32 s20, 0
.LBB110_134:
	s_delay_alu instid0(SALU_CYCLE_1)
	s_and_not1_b32 vcc_lo, exec_lo, s20
	s_cbranch_vccnz .LBB110_139
; %bb.135:
	s_wait_xcnt 0x0
	v_cndmask_b32_e64 v2, 0, 1, s1
	s_cmp_gt_i32 s15, 0
	s_mov_b32 s1, -1
	s_cbranch_scc0 .LBB110_137
; %bb.136:
	s_mov_b32 s1, 0
	global_store_b8 v[0:1], v2, off
.LBB110_137:
	s_and_not1_b32 vcc_lo, exec_lo, s1
	s_cbranch_vccnz .LBB110_139
; %bb.138:
	global_store_b8 v[0:1], v2, off
.LBB110_139:
.LBB110_140:
	v_add_nc_u32_e32 v4, 0x80, v4
	s_mov_b32 s1, -1
	s_branch .LBB110_251
.LBB110_141:
	s_mov_b32 s17, -1
                                        ; implicit-def: $vgpr2
.LBB110_142:
	s_mov_b32 s15, 0
.LBB110_143:
	s_delay_alu instid0(SALU_CYCLE_1)
	s_and_b32 vcc_lo, exec_lo, s15
	s_cbranch_vccz .LBB110_147
; %bb.144:
	s_cmp_eq_u32 s1, 29
	s_cbranch_scc0 .LBB110_146
; %bb.145:
	global_load_b64 v[2:3], v[0:1], off
	s_mov_b32 s2, -1
	s_mov_b32 s17, 0
	s_mov_b32 s15, 0
	s_wait_loadcnt 0x0
	v_clz_i32_u32_e32 v5, v3
	s_delay_alu instid0(VALU_DEP_1) | instskip(NEXT) | instid1(VALU_DEP_1)
	v_min_u32_e32 v5, 32, v5
	v_lshlrev_b64_e32 v[2:3], v5, v[2:3]
	s_delay_alu instid0(VALU_DEP_1) | instskip(NEXT) | instid1(VALU_DEP_1)
	v_min_u32_e32 v2, 1, v2
	v_dual_sub_nc_u32 v3, 32, v5 :: v_dual_bitop2_b32 v2, v3, v2 bitop3:0x54
	s_delay_alu instid0(VALU_DEP_1) | instskip(NEXT) | instid1(VALU_DEP_1)
	v_cvt_f32_u32_e32 v2, v2
	v_ldexp_f32 v2, v2, v3
	s_branch .LBB110_148
.LBB110_146:
	s_mov_b32 s17, -1
                                        ; implicit-def: $vgpr2
.LBB110_147:
	s_mov_b32 s15, 0
.LBB110_148:
	s_delay_alu instid0(SALU_CYCLE_1)
	s_and_b32 vcc_lo, exec_lo, s15
	s_cbranch_vccz .LBB110_166
; %bb.149:
	s_cmp_lt_i32 s1, 27
	s_cbranch_scc1 .LBB110_152
; %bb.150:
	s_cmp_gt_i32 s1, 27
	s_cbranch_scc0 .LBB110_153
; %bb.151:
	global_load_b32 v2, v[0:1], off
	s_mov_b32 s2, 0
	s_wait_loadcnt 0x0
	v_cvt_f32_u32_e32 v2, v2
	s_branch .LBB110_154
.LBB110_152:
	s_mov_b32 s2, -1
                                        ; implicit-def: $vgpr2
	s_branch .LBB110_157
.LBB110_153:
	s_mov_b32 s2, -1
                                        ; implicit-def: $vgpr2
.LBB110_154:
	s_delay_alu instid0(SALU_CYCLE_1)
	s_and_not1_b32 vcc_lo, exec_lo, s2
	s_cbranch_vccnz .LBB110_156
; %bb.155:
	global_load_u16 v2, v[0:1], off
	s_wait_loadcnt 0x0
	v_cvt_f32_u32_e32 v2, v2
.LBB110_156:
	s_mov_b32 s2, 0
.LBB110_157:
	s_delay_alu instid0(SALU_CYCLE_1)
	s_and_not1_b32 vcc_lo, exec_lo, s2
	s_cbranch_vccnz .LBB110_165
; %bb.158:
	global_load_u8 v3, v[0:1], off
	s_mov_b32 s2, 0
	s_mov_b32 s15, exec_lo
	s_wait_loadcnt 0x0
	v_cmpx_lt_i16_e32 0x7f, v3
	s_xor_b32 s15, exec_lo, s15
	s_cbranch_execz .LBB110_178
; %bb.159:
	s_mov_b32 s2, -1
	s_mov_b32 s20, exec_lo
	v_cmpx_eq_u16_e32 0x80, v3
; %bb.160:
	s_xor_b32 s2, exec_lo, -1
; %bb.161:
	s_or_b32 exec_lo, exec_lo, s20
	s_delay_alu instid0(SALU_CYCLE_1)
	s_and_b32 s2, s2, exec_lo
	s_or_saveexec_b32 s15, s15
	v_mov_b32_e32 v2, 0x7f800001
	s_xor_b32 exec_lo, exec_lo, s15
	s_cbranch_execnz .LBB110_179
.LBB110_162:
	s_or_b32 exec_lo, exec_lo, s15
	s_and_saveexec_b32 s15, s2
	s_cbranch_execz .LBB110_164
.LBB110_163:
	v_and_b32_e32 v2, 0xffff, v3
	s_delay_alu instid0(VALU_DEP_1) | instskip(SKIP_1) | instid1(VALU_DEP_2)
	v_dual_lshlrev_b32 v3, 24, v3 :: v_dual_bitop2_b32 v5, 7, v2 bitop3:0x40
	v_bfe_u32 v8, v2, 3, 4
	v_and_b32_e32 v3, 0x80000000, v3
	s_delay_alu instid0(VALU_DEP_3) | instskip(NEXT) | instid1(VALU_DEP_3)
	v_clz_i32_u32_e32 v6, v5
	v_cmp_eq_u32_e32 vcc_lo, 0, v8
	s_delay_alu instid0(VALU_DEP_2) | instskip(NEXT) | instid1(VALU_DEP_1)
	v_min_u32_e32 v6, 32, v6
	v_subrev_nc_u32_e32 v7, 28, v6
	v_sub_nc_u32_e32 v6, 29, v6
	s_delay_alu instid0(VALU_DEP_2) | instskip(NEXT) | instid1(VALU_DEP_2)
	v_lshlrev_b32_e32 v2, v7, v2
	v_cndmask_b32_e32 v6, v8, v6, vcc_lo
	s_delay_alu instid0(VALU_DEP_2) | instskip(NEXT) | instid1(VALU_DEP_1)
	v_and_b32_e32 v2, 7, v2
	v_cndmask_b32_e32 v2, v5, v2, vcc_lo
	s_delay_alu instid0(VALU_DEP_3) | instskip(NEXT) | instid1(VALU_DEP_2)
	v_lshl_add_u32 v5, v6, 23, 0x3b800000
	v_lshlrev_b32_e32 v2, 20, v2
	s_delay_alu instid0(VALU_DEP_1)
	v_or3_b32 v2, v3, v5, v2
.LBB110_164:
	s_or_b32 exec_lo, exec_lo, s15
.LBB110_165:
	s_mov_b32 s2, -1
.LBB110_166:
	s_branch .LBB110_201
.LBB110_167:
	s_cmp_gt_i32 s1, 22
	s_cbranch_scc0 .LBB110_177
; %bb.168:
	s_cmp_lt_i32 s1, 24
	s_cbranch_scc1 .LBB110_180
; %bb.169:
	s_cmp_gt_i32 s1, 24
	s_cbranch_scc0 .LBB110_181
; %bb.170:
	global_load_u8 v3, v[0:1], off
	s_mov_b32 s2, 0
	s_mov_b32 s15, exec_lo
	s_wait_loadcnt 0x0
	v_cmpx_lt_i16_e32 0x7f, v3
	s_xor_b32 s15, exec_lo, s15
	s_cbranch_execz .LBB110_193
; %bb.171:
	s_mov_b32 s2, -1
	s_mov_b32 s20, exec_lo
	v_cmpx_eq_u16_e32 0x80, v3
; %bb.172:
	s_xor_b32 s2, exec_lo, -1
; %bb.173:
	s_or_b32 exec_lo, exec_lo, s20
	s_delay_alu instid0(SALU_CYCLE_1)
	s_and_b32 s2, s2, exec_lo
	s_or_saveexec_b32 s15, s15
	v_mov_b32_e32 v2, 0x7f800001
	s_xor_b32 exec_lo, exec_lo, s15
	s_cbranch_execnz .LBB110_194
.LBB110_174:
	s_or_b32 exec_lo, exec_lo, s15
	s_and_saveexec_b32 s15, s2
	s_cbranch_execz .LBB110_176
.LBB110_175:
	v_and_b32_e32 v2, 0xffff, v3
	s_delay_alu instid0(VALU_DEP_1) | instskip(SKIP_1) | instid1(VALU_DEP_2)
	v_dual_lshlrev_b32 v3, 24, v3 :: v_dual_bitop2_b32 v5, 3, v2 bitop3:0x40
	v_bfe_u32 v8, v2, 2, 5
	v_and_b32_e32 v3, 0x80000000, v3
	s_delay_alu instid0(VALU_DEP_3) | instskip(NEXT) | instid1(VALU_DEP_3)
	v_clz_i32_u32_e32 v6, v5
	v_cmp_eq_u32_e32 vcc_lo, 0, v8
	s_delay_alu instid0(VALU_DEP_2) | instskip(NEXT) | instid1(VALU_DEP_1)
	v_min_u32_e32 v6, 32, v6
	v_subrev_nc_u32_e32 v7, 29, v6
	v_sub_nc_u32_e32 v6, 30, v6
	s_delay_alu instid0(VALU_DEP_2) | instskip(NEXT) | instid1(VALU_DEP_2)
	v_lshlrev_b32_e32 v2, v7, v2
	v_cndmask_b32_e32 v6, v8, v6, vcc_lo
	s_delay_alu instid0(VALU_DEP_2) | instskip(NEXT) | instid1(VALU_DEP_1)
	v_and_b32_e32 v2, 3, v2
	v_cndmask_b32_e32 v2, v5, v2, vcc_lo
	s_delay_alu instid0(VALU_DEP_3) | instskip(NEXT) | instid1(VALU_DEP_2)
	v_lshl_add_u32 v5, v6, 23, 0x37800000
	v_lshlrev_b32_e32 v2, 21, v2
	s_delay_alu instid0(VALU_DEP_1)
	v_or3_b32 v2, v3, v5, v2
.LBB110_176:
	s_or_b32 exec_lo, exec_lo, s15
	s_mov_b32 s2, 0
	s_branch .LBB110_182
.LBB110_177:
	s_mov_b32 s15, -1
                                        ; implicit-def: $vgpr2
	s_branch .LBB110_188
.LBB110_178:
	s_or_saveexec_b32 s15, s15
	v_mov_b32_e32 v2, 0x7f800001
	s_xor_b32 exec_lo, exec_lo, s15
	s_cbranch_execz .LBB110_162
.LBB110_179:
	v_cmp_ne_u16_e32 vcc_lo, 0, v3
	v_mov_b32_e32 v2, 0
	s_and_not1_b32 s2, s2, exec_lo
	s_and_b32 s20, vcc_lo, exec_lo
	s_delay_alu instid0(SALU_CYCLE_1)
	s_or_b32 s2, s2, s20
	s_or_b32 exec_lo, exec_lo, s15
	s_and_saveexec_b32 s15, s2
	s_cbranch_execnz .LBB110_163
	s_branch .LBB110_164
.LBB110_180:
	s_mov_b32 s2, -1
                                        ; implicit-def: $vgpr2
	s_branch .LBB110_185
.LBB110_181:
	s_mov_b32 s2, -1
                                        ; implicit-def: $vgpr2
.LBB110_182:
	s_delay_alu instid0(SALU_CYCLE_1)
	s_and_b32 vcc_lo, exec_lo, s2
	s_cbranch_vccz .LBB110_184
; %bb.183:
	global_load_u8 v2, v[0:1], off
	s_wait_loadcnt 0x0
	v_lshlrev_b32_e32 v2, 24, v2
	s_delay_alu instid0(VALU_DEP_1) | instskip(NEXT) | instid1(VALU_DEP_1)
	v_and_b32_e32 v3, 0x7f000000, v2
	v_clz_i32_u32_e32 v5, v3
	v_add_nc_u32_e32 v7, 0x1000000, v3
	v_cmp_ne_u32_e32 vcc_lo, 0, v3
	s_delay_alu instid0(VALU_DEP_3) | instskip(NEXT) | instid1(VALU_DEP_1)
	v_min_u32_e32 v5, 32, v5
	v_sub_nc_u32_e64 v5, v5, 4 clamp
	s_delay_alu instid0(VALU_DEP_1) | instskip(NEXT) | instid1(VALU_DEP_1)
	v_dual_lshlrev_b32 v6, v5, v3 :: v_dual_lshlrev_b32 v5, 23, v5
	v_lshrrev_b32_e32 v6, 4, v6
	s_delay_alu instid0(VALU_DEP_1) | instskip(NEXT) | instid1(VALU_DEP_1)
	v_dual_sub_nc_u32 v5, v6, v5 :: v_dual_ashrrev_i32 v6, 8, v7
	v_add_nc_u32_e32 v5, 0x3c000000, v5
	s_delay_alu instid0(VALU_DEP_1) | instskip(NEXT) | instid1(VALU_DEP_1)
	v_and_or_b32 v5, 0x7f800000, v6, v5
	v_cndmask_b32_e32 v3, 0, v5, vcc_lo
	s_delay_alu instid0(VALU_DEP_1)
	v_and_or_b32 v2, 0x80000000, v2, v3
.LBB110_184:
	s_mov_b32 s2, 0
.LBB110_185:
	s_delay_alu instid0(SALU_CYCLE_1)
	s_and_not1_b32 vcc_lo, exec_lo, s2
	s_cbranch_vccnz .LBB110_187
; %bb.186:
	global_load_u8 v2, v[0:1], off
	s_wait_loadcnt 0x0
	v_lshlrev_b32_e32 v3, 25, v2
	v_lshlrev_b16 v2, 8, v2
	s_delay_alu instid0(VALU_DEP_2) | instskip(NEXT) | instid1(VALU_DEP_2)
	v_cmp_gt_u32_e32 vcc_lo, 0x8000000, v3
	v_and_or_b32 v6, 0x7f00, v2, 0.5
	v_lshrrev_b32_e32 v5, 4, v3
	v_bfe_i32 v2, v2, 0, 16
	s_delay_alu instid0(VALU_DEP_3) | instskip(NEXT) | instid1(VALU_DEP_3)
	v_add_f32_e32 v6, -0.5, v6
	v_or_b32_e32 v5, 0x70000000, v5
	s_delay_alu instid0(VALU_DEP_1) | instskip(NEXT) | instid1(VALU_DEP_1)
	v_mul_f32_e32 v5, 0x7800000, v5
	v_cndmask_b32_e32 v3, v5, v6, vcc_lo
	s_delay_alu instid0(VALU_DEP_1)
	v_and_or_b32 v2, 0x80000000, v2, v3
.LBB110_187:
	s_mov_b32 s15, 0
	s_mov_b32 s2, -1
.LBB110_188:
	s_and_not1_b32 vcc_lo, exec_lo, s15
	s_cbranch_vccnz .LBB110_201
; %bb.189:
	s_cmp_gt_i32 s1, 14
	s_cbranch_scc0 .LBB110_192
; %bb.190:
	s_cmp_eq_u32 s1, 15
	s_cbranch_scc0 .LBB110_195
; %bb.191:
	global_load_u16 v2, v[0:1], off
	s_mov_b32 s2, -1
	s_mov_b32 s17, 0
	s_wait_loadcnt 0x0
	v_lshlrev_b32_e32 v2, 16, v2
	s_branch .LBB110_196
.LBB110_192:
	s_mov_b32 s15, -1
                                        ; implicit-def: $vgpr2
	s_branch .LBB110_197
.LBB110_193:
	s_or_saveexec_b32 s15, s15
	v_mov_b32_e32 v2, 0x7f800001
	s_xor_b32 exec_lo, exec_lo, s15
	s_cbranch_execz .LBB110_174
.LBB110_194:
	v_cmp_ne_u16_e32 vcc_lo, 0, v3
	v_mov_b32_e32 v2, 0
	s_and_not1_b32 s2, s2, exec_lo
	s_and_b32 s20, vcc_lo, exec_lo
	s_delay_alu instid0(SALU_CYCLE_1)
	s_or_b32 s2, s2, s20
	s_or_b32 exec_lo, exec_lo, s15
	s_and_saveexec_b32 s15, s2
	s_cbranch_execnz .LBB110_175
	s_branch .LBB110_176
.LBB110_195:
	s_mov_b32 s17, -1
                                        ; implicit-def: $vgpr2
.LBB110_196:
	s_mov_b32 s15, 0
.LBB110_197:
	s_delay_alu instid0(SALU_CYCLE_1)
	s_and_b32 vcc_lo, exec_lo, s15
	s_cbranch_vccz .LBB110_201
; %bb.198:
	s_cmp_eq_u32 s1, 11
	s_cbranch_scc0 .LBB110_200
; %bb.199:
	global_load_u8 v2, v[0:1], off
	s_mov_b32 s17, 0
	s_mov_b32 s2, -1
	s_wait_loadcnt 0x0
	v_cmp_ne_u16_e32 vcc_lo, 0, v2
	v_cndmask_b32_e64 v2, 0, 1.0, vcc_lo
	s_branch .LBB110_201
.LBB110_200:
	s_mov_b32 s17, -1
                                        ; implicit-def: $vgpr2
.LBB110_201:
	s_branch .LBB110_10
.LBB110_202:
	s_cmp_lt_i32 s1, 5
	s_cbranch_scc1 .LBB110_207
; %bb.203:
	s_cmp_lt_i32 s1, 8
	s_cbranch_scc1 .LBB110_208
; %bb.204:
	;; [unrolled: 3-line block ×3, first 2 shown]
	s_cmp_gt_i32 s1, 9
	s_cbranch_scc0 .LBB110_210
; %bb.206:
	global_load_b64 v[2:3], v[0:1], off
	s_mov_b32 s2, 0
	s_wait_loadcnt 0x0
	v_cvt_f32_f64_e32 v2, v[2:3]
	s_branch .LBB110_211
.LBB110_207:
                                        ; implicit-def: $vgpr2
	s_branch .LBB110_229
.LBB110_208:
	s_mov_b32 s2, -1
                                        ; implicit-def: $vgpr2
	s_branch .LBB110_217
.LBB110_209:
	s_mov_b32 s2, -1
                                        ; implicit-def: $vgpr2
	s_branch .LBB110_214
.LBB110_210:
	s_mov_b32 s2, -1
                                        ; implicit-def: $vgpr2
.LBB110_211:
	s_delay_alu instid0(SALU_CYCLE_1)
	s_and_not1_b32 vcc_lo, exec_lo, s2
	s_cbranch_vccnz .LBB110_213
; %bb.212:
	global_load_b32 v2, v[0:1], off
.LBB110_213:
	s_mov_b32 s2, 0
.LBB110_214:
	s_delay_alu instid0(SALU_CYCLE_1)
	s_and_not1_b32 vcc_lo, exec_lo, s2
	s_cbranch_vccnz .LBB110_216
; %bb.215:
	s_wait_loadcnt 0x0
	global_load_b32 v2, v[0:1], off
	s_wait_loadcnt 0x0
	v_cvt_f32_f16_e32 v2, v2
.LBB110_216:
	s_mov_b32 s2, 0
.LBB110_217:
	s_delay_alu instid0(SALU_CYCLE_1)
	s_and_not1_b32 vcc_lo, exec_lo, s2
	s_cbranch_vccnz .LBB110_228
; %bb.218:
	s_cmp_lt_i32 s1, 6
	s_cbranch_scc1 .LBB110_221
; %bb.219:
	s_cmp_gt_i32 s1, 6
	s_cbranch_scc0 .LBB110_222
; %bb.220:
	s_wait_loadcnt 0x0
	global_load_b64 v[2:3], v[0:1], off
	s_mov_b32 s2, 0
	s_wait_loadcnt 0x0
	v_cvt_f32_f64_e32 v2, v[2:3]
	s_branch .LBB110_223
.LBB110_221:
	s_mov_b32 s2, -1
                                        ; implicit-def: $vgpr2
	s_branch .LBB110_226
.LBB110_222:
	s_mov_b32 s2, -1
                                        ; implicit-def: $vgpr2
.LBB110_223:
	s_delay_alu instid0(SALU_CYCLE_1)
	s_and_not1_b32 vcc_lo, exec_lo, s2
	s_cbranch_vccnz .LBB110_225
; %bb.224:
	s_wait_loadcnt 0x0
	global_load_b32 v2, v[0:1], off
.LBB110_225:
	s_mov_b32 s2, 0
.LBB110_226:
	s_delay_alu instid0(SALU_CYCLE_1)
	s_and_not1_b32 vcc_lo, exec_lo, s2
	s_cbranch_vccnz .LBB110_228
; %bb.227:
	s_wait_loadcnt 0x0
	global_load_u16 v2, v[0:1], off
	s_wait_loadcnt 0x0
	v_cvt_f32_f16_e32 v2, v2
.LBB110_228:
	s_cbranch_execnz .LBB110_248
.LBB110_229:
	s_cmp_lt_i32 s1, 2
	s_cbranch_scc1 .LBB110_233
; %bb.230:
	s_cmp_lt_i32 s1, 3
	s_cbranch_scc1 .LBB110_234
; %bb.231:
	s_cmp_gt_i32 s1, 3
	s_cbranch_scc0 .LBB110_235
; %bb.232:
	s_wait_loadcnt 0x0
	global_load_b64 v[2:3], v[0:1], off
	s_mov_b32 s2, 0
	s_wait_loadcnt 0x0
	v_xor_b32_e32 v5, v2, v3
	v_cls_i32_e32 v6, v3
	s_delay_alu instid0(VALU_DEP_2) | instskip(NEXT) | instid1(VALU_DEP_1)
	v_ashrrev_i32_e32 v5, 31, v5
	v_add_nc_u32_e32 v5, 32, v5
	s_delay_alu instid0(VALU_DEP_1) | instskip(NEXT) | instid1(VALU_DEP_1)
	v_add_min_u32_e64 v5, v6, -1, v5
	v_lshlrev_b64_e32 v[2:3], v5, v[2:3]
	s_delay_alu instid0(VALU_DEP_1) | instskip(NEXT) | instid1(VALU_DEP_1)
	v_min_u32_e32 v2, 1, v2
	v_dual_sub_nc_u32 v3, 32, v5 :: v_dual_bitop2_b32 v2, v3, v2 bitop3:0x54
	s_delay_alu instid0(VALU_DEP_1) | instskip(NEXT) | instid1(VALU_DEP_1)
	v_cvt_f32_i32_e32 v2, v2
	v_ldexp_f32 v2, v2, v3
	s_branch .LBB110_236
.LBB110_233:
	s_mov_b32 s2, -1
                                        ; implicit-def: $vgpr2
	s_branch .LBB110_242
.LBB110_234:
	s_mov_b32 s2, -1
                                        ; implicit-def: $vgpr2
	s_branch .LBB110_239
.LBB110_235:
	s_mov_b32 s2, -1
                                        ; implicit-def: $vgpr2
.LBB110_236:
	s_delay_alu instid0(SALU_CYCLE_1)
	s_and_not1_b32 vcc_lo, exec_lo, s2
	s_cbranch_vccnz .LBB110_238
; %bb.237:
	s_wait_loadcnt 0x0
	global_load_b32 v2, v[0:1], off
	s_wait_loadcnt 0x0
	v_cvt_f32_i32_e32 v2, v2
.LBB110_238:
	s_mov_b32 s2, 0
.LBB110_239:
	s_delay_alu instid0(SALU_CYCLE_1)
	s_and_not1_b32 vcc_lo, exec_lo, s2
	s_cbranch_vccnz .LBB110_241
; %bb.240:
	s_wait_loadcnt 0x0
	global_load_i16 v2, v[0:1], off
	s_wait_loadcnt 0x0
	v_cvt_f32_i32_e32 v2, v2
.LBB110_241:
	s_mov_b32 s2, 0
.LBB110_242:
	s_delay_alu instid0(SALU_CYCLE_1)
	s_and_not1_b32 vcc_lo, exec_lo, s2
	s_cbranch_vccnz .LBB110_248
; %bb.243:
	s_cmp_gt_i32 s1, 0
	s_mov_b32 s1, 0
	s_cbranch_scc0 .LBB110_245
; %bb.244:
	s_wait_loadcnt 0x0
	global_load_i8 v2, v[0:1], off
	s_wait_loadcnt 0x0
	v_cvt_f32_i32_e32 v2, v2
	s_branch .LBB110_246
.LBB110_245:
	s_mov_b32 s1, -1
                                        ; implicit-def: $vgpr2
.LBB110_246:
	s_delay_alu instid0(SALU_CYCLE_1)
	s_and_not1_b32 vcc_lo, exec_lo, s1
	s_cbranch_vccnz .LBB110_248
; %bb.247:
	global_load_u8 v0, v[0:1], off
	s_wait_loadcnt 0x0
	v_cvt_f32_ubyte0_e32 v2, v0
.LBB110_248:
	s_branch .LBB110_11
.LBB110_249:
	s_mov_b32 s2, 0
.LBB110_250:
	s_mov_b32 s1, 0
                                        ; implicit-def: $vgpr4
.LBB110_251:
	s_and_b32 s15, s2, exec_lo
	s_and_b32 s17, s17, exec_lo
	s_or_not1_b32 s1, s1, exec_lo
.LBB110_252:
	s_wait_xcnt 0x0
	s_or_b32 exec_lo, exec_lo, s18
	s_mov_b32 s21, 0
	s_mov_b32 s20, 0
                                        ; implicit-def: $vgpr0_vgpr1
                                        ; implicit-def: $vgpr2
	s_and_saveexec_b32 s18, s1
	s_cbranch_execz .LBB110_261
; %bb.253:
	s_mov_b32 s23, -1
	s_mov_b32 s19, s17
	s_mov_b32 s20, s15
	s_mov_b32 s21, exec_lo
	v_cmpx_gt_i32_e64 s16, v4
	s_cbranch_execz .LBB110_515
; %bb.254:
	v_mul_lo_u32 v0, v4, s9
	s_and_b32 s1, 0xffff, s13
	s_delay_alu instid0(SALU_CYCLE_1) | instskip(NEXT) | instid1(VALU_DEP_1)
	s_cmp_lt_i32 s1, 11
	v_ashrrev_i32_e32 v1, 31, v0
	s_delay_alu instid0(VALU_DEP_1)
	v_add_nc_u64_e32 v[0:1], s[6:7], v[0:1]
	s_cbranch_scc1 .LBB110_264
; %bb.255:
	s_cmp_gt_i32 s1, 25
	s_cbranch_scc0 .LBB110_273
; %bb.256:
	s_cmp_gt_i32 s1, 28
	s_cbranch_scc0 .LBB110_275
	;; [unrolled: 3-line block ×4, first 2 shown]
; %bb.259:
	s_cmp_eq_u32 s1, 46
	s_mov_b32 s20, 0
	s_cbranch_scc0 .LBB110_285
; %bb.260:
	s_wait_loadcnt 0x0
	global_load_b32 v2, v[0:1], off
	s_mov_b32 s2, -1
	s_mov_b32 s19, 0
	s_wait_loadcnt 0x0
	v_lshlrev_b32_e32 v2, 16, v2
	s_branch .LBB110_287
.LBB110_261:
	s_or_b32 exec_lo, exec_lo, s18
	s_mov_b32 s1, 0
	s_and_saveexec_b32 s2, s17
	s_cbranch_execnz .LBB110_863
.LBB110_262:
	s_or_b32 exec_lo, exec_lo, s2
	s_and_saveexec_b32 s2, s19
	s_delay_alu instid0(SALU_CYCLE_1)
	s_xor_b32 s2, exec_lo, s2
	s_cbranch_execz .LBB110_864
.LBB110_263:
	s_wait_loadcnt 0x0
	global_load_u8 v2, v[0:1], off
	s_or_b32 s20, s20, exec_lo
	s_wait_loadcnt 0x0
	v_cmp_ne_u16_e32 vcc_lo, 0, v2
	v_cndmask_b32_e64 v2, 0, 1.0, vcc_lo
	s_wait_xcnt 0x0
	s_or_b32 exec_lo, exec_lo, s2
	s_and_saveexec_b32 s2, s21
	s_cbranch_execz .LBB110_910
	s_branch .LBB110_865
.LBB110_264:
	s_mov_b32 s2, 0
	s_mov_b32 s19, s17
                                        ; implicit-def: $vgpr2
	s_cbranch_execnz .LBB110_464
.LBB110_265:
	s_and_not1_b32 vcc_lo, exec_lo, s2
	s_cbranch_vccnz .LBB110_512
.LBB110_266:
	s_wait_loadcnt 0x0
	s_delay_alu instid0(VALU_DEP_1) | instskip(SKIP_3) | instid1(SALU_CYCLE_1)
	v_cmp_eq_f32_e32 vcc_lo, s11, v2
	s_wait_xcnt 0x0
	v_mul_lo_u32 v0, v4, s8
	s_and_b32 s20, s3, 0xff
	s_cmp_lt_i32 s20, 11
	v_cndmask_b32_e64 v1, 0, 1, vcc_lo
	v_cmp_neq_f32_e32 vcc_lo, s11, v2
	v_cndmask_b32_e64 v2, 0, 1, vcc_lo
	s_delay_alu instid0(VALU_DEP_1) | instskip(NEXT) | instid1(VALU_DEP_1)
	v_dual_cndmask_b32 v2, v2, v1, s0 :: v_dual_ashrrev_i32 v1, 31, v0
	v_and_b32_e32 v2, 1, v2
	s_delay_alu instid0(VALU_DEP_2) | instskip(NEXT) | instid1(VALU_DEP_2)
	v_add_nc_u64_e32 v[0:1], s[4:5], v[0:1]
	v_cmp_eq_u32_e64 s1, 1, v2
	s_cbranch_scc1 .LBB110_274
; %bb.267:
	s_and_b32 s22, 0xffff, s20
	s_delay_alu instid0(SALU_CYCLE_1)
	s_cmp_gt_i32 s22, 25
	s_cbranch_scc0 .LBB110_276
; %bb.268:
	s_cmp_gt_i32 s22, 28
	s_cbranch_scc0 .LBB110_278
; %bb.269:
	;; [unrolled: 3-line block ×4, first 2 shown]
	s_mov_b32 s24, 0
	s_mov_b32 s2, -1
	s_cmp_eq_u32 s22, 46
	s_mov_b32 s23, 0
	s_cbranch_scc0 .LBB110_291
; %bb.272:
	v_cndmask_b32_e64 v2, 0, 1.0, s1
	s_mov_b32 s23, -1
	s_mov_b32 s2, 0
	s_delay_alu instid0(VALU_DEP_1) | instskip(NEXT) | instid1(VALU_DEP_1)
	v_bfe_u32 v3, v2, 16, 1
	v_add3_u32 v2, v2, v3, 0x7fff
	s_delay_alu instid0(VALU_DEP_1)
	v_lshrrev_b32_e32 v2, 16, v2
	global_store_b32 v[0:1], v2, off
	s_branch .LBB110_291
.LBB110_273:
	s_mov_b32 s20, -1
	s_mov_b32 s2, 0
	s_mov_b32 s19, s17
                                        ; implicit-def: $vgpr2
	s_branch .LBB110_428
.LBB110_274:
	s_mov_b32 s22, -1
	s_mov_b32 s23, 0
	s_mov_b32 s2, s15
	s_branch .LBB110_360
.LBB110_275:
	s_mov_b32 s20, -1
	s_mov_b32 s2, 0
	s_mov_b32 s19, s17
                                        ; implicit-def: $vgpr2
	s_branch .LBB110_409
.LBB110_276:
	s_mov_b32 s24, -1
	s_mov_b32 s23, 0
	s_mov_b32 s2, s15
	s_branch .LBB110_318
.LBB110_277:
	s_mov_b32 s20, -1
	s_mov_b32 s2, 0
	s_mov_b32 s19, s17
                                        ; implicit-def: $vgpr2
	s_branch .LBB110_404
.LBB110_278:
	s_mov_b32 s24, -1
	s_mov_b32 s23, 0
	s_mov_b32 s2, s15
	s_branch .LBB110_301
.LBB110_279:
	s_and_not1_saveexec_b32 s23, s23
	s_cbranch_execz .LBB110_54
.LBB110_280:
	v_add_f32_e32 v2, 0x46000000, v3
	s_and_not1_b32 s22, s22, exec_lo
	s_delay_alu instid0(VALU_DEP_1) | instskip(NEXT) | instid1(VALU_DEP_1)
	v_and_b32_e32 v2, 0xff, v2
	v_cmp_ne_u32_e32 vcc_lo, 0, v2
	s_and_b32 s24, vcc_lo, exec_lo
	s_delay_alu instid0(SALU_CYCLE_1)
	s_or_b32 s22, s22, s24
	s_or_b32 exec_lo, exec_lo, s23
	v_mov_b32_e32 v5, 0
	s_and_saveexec_b32 s23, s22
	s_cbranch_execnz .LBB110_55
	s_branch .LBB110_56
.LBB110_281:
	s_mov_b32 s20, -1
	s_mov_b32 s2, 0
	s_mov_b32 s19, s17
	s_branch .LBB110_286
.LBB110_282:
	s_mov_b32 s24, -1
	s_mov_b32 s23, 0
	s_mov_b32 s2, s15
	s_branch .LBB110_297
.LBB110_283:
	s_and_not1_saveexec_b32 s23, s23
	s_cbranch_execz .LBB110_67
.LBB110_284:
	v_add_f32_e32 v2, 0x42800000, v3
	s_and_not1_b32 s22, s22, exec_lo
	s_delay_alu instid0(VALU_DEP_1) | instskip(NEXT) | instid1(VALU_DEP_1)
	v_and_b32_e32 v2, 0xff, v2
	v_cmp_ne_u32_e32 vcc_lo, 0, v2
	s_and_b32 s24, vcc_lo, exec_lo
	s_delay_alu instid0(SALU_CYCLE_1)
	s_or_b32 s22, s22, s24
	s_or_b32 exec_lo, exec_lo, s23
	v_mov_b32_e32 v5, 0
	s_and_saveexec_b32 s23, s22
	s_cbranch_execnz .LBB110_68
	s_branch .LBB110_69
.LBB110_285:
	s_mov_b32 s19, -1
	s_mov_b32 s2, 0
.LBB110_286:
                                        ; implicit-def: $vgpr2
.LBB110_287:
	s_and_b32 vcc_lo, exec_lo, s20
	s_cbranch_vccz .LBB110_403
; %bb.288:
	s_cmp_eq_u32 s1, 44
	s_cbranch_scc0 .LBB110_402
; %bb.289:
	s_wait_loadcnt 0x0
	global_load_u8 v2, v[0:1], off
	s_mov_b32 s19, 0
	s_mov_b32 s2, -1
	s_wait_loadcnt 0x0
	v_lshlrev_b32_e32 v3, 23, v2
	v_cmp_ne_u32_e32 vcc_lo, 0xff, v2
	s_delay_alu instid0(VALU_DEP_2) | instskip(SKIP_1) | instid1(VALU_DEP_2)
	v_cndmask_b32_e32 v3, 0x7f800001, v3, vcc_lo
	v_cmp_ne_u32_e32 vcc_lo, 0, v2
	v_cndmask_b32_e32 v2, 0x400000, v3, vcc_lo
	s_branch .LBB110_403
.LBB110_290:
	s_mov_b32 s24, -1
	s_mov_b32 s23, 0
	s_mov_b32 s2, s15
.LBB110_291:
	s_and_b32 vcc_lo, exec_lo, s24
	s_cbranch_vccz .LBB110_296
; %bb.292:
	s_cmp_eq_u32 s22, 44
	s_mov_b32 s2, -1
	s_cbranch_scc0 .LBB110_296
; %bb.293:
	v_cndmask_b32_e64 v5, 0, 1.0, s1
	s_mov_b32 s23, exec_lo
	s_wait_xcnt 0x0
	s_delay_alu instid0(VALU_DEP_1) | instskip(NEXT) | instid1(VALU_DEP_1)
	v_dual_mov_b32 v3, 0xff :: v_dual_lshrrev_b32 v2, 23, v5
	v_cmpx_ne_u32_e32 0xff, v2
; %bb.294:
	v_and_b32_e32 v3, 0x400000, v5
	v_and_or_b32 v5, 0x3fffff, v5, v2
	s_delay_alu instid0(VALU_DEP_2) | instskip(NEXT) | instid1(VALU_DEP_2)
	v_cmp_ne_u32_e32 vcc_lo, 0, v3
	v_cmp_ne_u32_e64 s2, 0, v5
	s_and_b32 s2, vcc_lo, s2
	s_delay_alu instid0(SALU_CYCLE_1) | instskip(NEXT) | instid1(VALU_DEP_1)
	v_cndmask_b32_e64 v3, 0, 1, s2
	v_add_nc_u32_e32 v3, v2, v3
; %bb.295:
	s_or_b32 exec_lo, exec_lo, s23
	s_mov_b32 s23, -1
	s_mov_b32 s2, 0
	global_store_b8 v[0:1], v3, off
.LBB110_296:
	s_mov_b32 s24, 0
.LBB110_297:
	s_delay_alu instid0(SALU_CYCLE_1)
	s_and_b32 vcc_lo, exec_lo, s24
	s_cbranch_vccz .LBB110_300
; %bb.298:
	s_cmp_eq_u32 s22, 29
	s_mov_b32 s2, -1
	s_cbranch_scc0 .LBB110_300
; %bb.299:
	s_mov_b32 s2, 0
	s_wait_xcnt 0x0
	v_cndmask_b32_e64 v2, 0, 1, s1
	v_mov_b32_e32 v3, s2
	s_mov_b32 s23, -1
	s_mov_b32 s24, 0
	global_store_b64 v[0:1], v[2:3], off
	s_branch .LBB110_301
.LBB110_300:
	s_mov_b32 s24, 0
.LBB110_301:
	s_delay_alu instid0(SALU_CYCLE_1)
	s_and_b32 vcc_lo, exec_lo, s24
	s_cbranch_vccz .LBB110_317
; %bb.302:
	s_cmp_lt_i32 s22, 27
	s_mov_b32 s23, -1
	s_cbranch_scc1 .LBB110_308
; %bb.303:
	s_cmp_gt_i32 s22, 27
	s_cbranch_scc0 .LBB110_305
; %bb.304:
	s_wait_xcnt 0x0
	v_cndmask_b32_e64 v2, 0, 1, s1
	s_mov_b32 s23, 0
	global_store_b32 v[0:1], v2, off
.LBB110_305:
	s_and_not1_b32 vcc_lo, exec_lo, s23
	s_cbranch_vccnz .LBB110_307
; %bb.306:
	s_wait_xcnt 0x0
	v_cndmask_b32_e64 v2, 0, 1, s1
	global_store_b16 v[0:1], v2, off
.LBB110_307:
	s_mov_b32 s23, 0
.LBB110_308:
	s_delay_alu instid0(SALU_CYCLE_1)
	s_and_not1_b32 vcc_lo, exec_lo, s23
	s_cbranch_vccnz .LBB110_316
; %bb.309:
	s_wait_xcnt 0x0
	v_cndmask_b32_e64 v3, 0, 1.0, s1
	v_mov_b32_e32 v5, 0x80
	s_mov_b32 s23, exec_lo
	s_delay_alu instid0(VALU_DEP_2)
	v_cmpx_gt_u32_e32 0x43800000, v3
	s_cbranch_execz .LBB110_315
; %bb.310:
	s_mov_b32 s24, 0
	s_mov_b32 s25, exec_lo
                                        ; implicit-def: $vgpr2
	v_cmpx_lt_u32_e32 0x3bffffff, v3
	s_xor_b32 s25, exec_lo, s25
	s_cbranch_execz .LBB110_528
; %bb.311:
	v_bfe_u32 v2, v3, 20, 1
	s_mov_b32 s24, exec_lo
	s_delay_alu instid0(VALU_DEP_1) | instskip(NEXT) | instid1(VALU_DEP_1)
	v_add3_u32 v2, v3, v2, 0x487ffff
                                        ; implicit-def: $vgpr3
	v_lshrrev_b32_e32 v2, 20, v2
	s_and_not1_saveexec_b32 s25, s25
	s_cbranch_execnz .LBB110_529
.LBB110_312:
	s_or_b32 exec_lo, exec_lo, s25
	v_mov_b32_e32 v5, 0
	s_and_saveexec_b32 s25, s24
.LBB110_313:
	v_mov_b32_e32 v5, v2
.LBB110_314:
	s_or_b32 exec_lo, exec_lo, s25
.LBB110_315:
	s_delay_alu instid0(SALU_CYCLE_1)
	s_or_b32 exec_lo, exec_lo, s23
	global_store_b8 v[0:1], v5, off
.LBB110_316:
	s_mov_b32 s23, -1
.LBB110_317:
	s_mov_b32 s24, 0
.LBB110_318:
	s_delay_alu instid0(SALU_CYCLE_1)
	s_and_b32 vcc_lo, exec_lo, s24
	s_cbranch_vccz .LBB110_359
; %bb.319:
	s_cmp_gt_i32 s22, 22
	s_mov_b32 s24, -1
	s_cbranch_scc0 .LBB110_351
; %bb.320:
	s_cmp_lt_i32 s22, 24
	s_mov_b32 s23, -1
	s_cbranch_scc1 .LBB110_340
; %bb.321:
	s_cmp_gt_i32 s22, 24
	s_cbranch_scc0 .LBB110_329
; %bb.322:
	s_wait_xcnt 0x0
	v_cndmask_b32_e64 v3, 0, 1.0, s1
	v_mov_b32_e32 v5, 0x80
	s_mov_b32 s23, exec_lo
	s_delay_alu instid0(VALU_DEP_2)
	v_cmpx_gt_u32_e32 0x47800000, v3
	s_cbranch_execz .LBB110_328
; %bb.323:
	s_mov_b32 s24, 0
	s_mov_b32 s25, exec_lo
                                        ; implicit-def: $vgpr2
	v_cmpx_lt_u32_e32 0x37ffffff, v3
	s_xor_b32 s25, exec_lo, s25
	s_cbranch_execz .LBB110_531
; %bb.324:
	v_bfe_u32 v2, v3, 21, 1
	s_mov_b32 s24, exec_lo
	s_delay_alu instid0(VALU_DEP_1) | instskip(NEXT) | instid1(VALU_DEP_1)
	v_add3_u32 v2, v3, v2, 0x88fffff
                                        ; implicit-def: $vgpr3
	v_lshrrev_b32_e32 v2, 21, v2
	s_and_not1_saveexec_b32 s25, s25
	s_cbranch_execnz .LBB110_532
.LBB110_325:
	s_or_b32 exec_lo, exec_lo, s25
	v_mov_b32_e32 v5, 0
	s_and_saveexec_b32 s25, s24
.LBB110_326:
	v_mov_b32_e32 v5, v2
.LBB110_327:
	s_or_b32 exec_lo, exec_lo, s25
.LBB110_328:
	s_delay_alu instid0(SALU_CYCLE_1)
	s_or_b32 exec_lo, exec_lo, s23
	s_mov_b32 s23, 0
	global_store_b8 v[0:1], v5, off
.LBB110_329:
	s_and_b32 vcc_lo, exec_lo, s23
	s_cbranch_vccz .LBB110_339
; %bb.330:
	s_wait_xcnt 0x0
	v_cndmask_b32_e64 v3, 0, 1.0, s1
	s_mov_b32 s23, exec_lo
                                        ; implicit-def: $vgpr2
	s_delay_alu instid0(VALU_DEP_1)
	v_cmpx_gt_u32_e32 0x43f00000, v3
	s_xor_b32 s23, exec_lo, s23
	s_cbranch_execz .LBB110_336
; %bb.331:
	s_mov_b32 s24, exec_lo
                                        ; implicit-def: $vgpr2
	v_cmpx_lt_u32_e32 0x3c7fffff, v3
	s_xor_b32 s24, exec_lo, s24
; %bb.332:
	v_bfe_u32 v2, v3, 20, 1
	s_delay_alu instid0(VALU_DEP_1) | instskip(NEXT) | instid1(VALU_DEP_1)
	v_add3_u32 v2, v3, v2, 0x407ffff
	v_and_b32_e32 v3, 0xff00000, v2
	v_lshrrev_b32_e32 v2, 20, v2
	s_delay_alu instid0(VALU_DEP_2) | instskip(NEXT) | instid1(VALU_DEP_2)
	v_cmp_ne_u32_e32 vcc_lo, 0x7f00000, v3
                                        ; implicit-def: $vgpr3
	v_cndmask_b32_e32 v2, 0x7e, v2, vcc_lo
; %bb.333:
	s_and_not1_saveexec_b32 s24, s24
; %bb.334:
	v_add_f32_e32 v2, 0x46800000, v3
; %bb.335:
	s_or_b32 exec_lo, exec_lo, s24
                                        ; implicit-def: $vgpr3
.LBB110_336:
	s_and_not1_saveexec_b32 s23, s23
; %bb.337:
	v_mov_b32_e32 v2, 0x7f
	v_cmp_lt_u32_e32 vcc_lo, 0x7f800000, v3
	s_delay_alu instid0(VALU_DEP_2)
	v_cndmask_b32_e32 v2, 0x7e, v2, vcc_lo
; %bb.338:
	s_or_b32 exec_lo, exec_lo, s23
	global_store_b8 v[0:1], v2, off
.LBB110_339:
	s_mov_b32 s23, 0
.LBB110_340:
	s_delay_alu instid0(SALU_CYCLE_1)
	s_and_not1_b32 vcc_lo, exec_lo, s23
	s_cbranch_vccnz .LBB110_350
; %bb.341:
	s_wait_xcnt 0x0
	v_cndmask_b32_e64 v3, 0, 1.0, s1
	s_mov_b32 s23, exec_lo
                                        ; implicit-def: $vgpr2
	s_delay_alu instid0(VALU_DEP_1)
	v_cmpx_gt_u32_e32 0x47800000, v3
	s_xor_b32 s23, exec_lo, s23
	s_cbranch_execz .LBB110_347
; %bb.342:
	s_mov_b32 s24, exec_lo
                                        ; implicit-def: $vgpr2
	v_cmpx_lt_u32_e32 0x387fffff, v3
	s_xor_b32 s24, exec_lo, s24
; %bb.343:
	v_bfe_u32 v2, v3, 21, 1
	s_delay_alu instid0(VALU_DEP_1) | instskip(NEXT) | instid1(VALU_DEP_1)
	v_add3_u32 v2, v3, v2, 0x80fffff
                                        ; implicit-def: $vgpr3
	v_lshrrev_b32_e32 v2, 21, v2
; %bb.344:
	s_and_not1_saveexec_b32 s24, s24
; %bb.345:
	v_add_f32_e32 v2, 0x43000000, v3
; %bb.346:
	s_or_b32 exec_lo, exec_lo, s24
                                        ; implicit-def: $vgpr3
.LBB110_347:
	s_and_not1_saveexec_b32 s23, s23
; %bb.348:
	v_mov_b32_e32 v2, 0x7f
	v_cmp_lt_u32_e32 vcc_lo, 0x7f800000, v3
	s_delay_alu instid0(VALU_DEP_2)
	v_cndmask_b32_e32 v2, 0x7c, v2, vcc_lo
; %bb.349:
	s_or_b32 exec_lo, exec_lo, s23
	global_store_b8 v[0:1], v2, off
.LBB110_350:
	s_mov_b32 s24, 0
	s_mov_b32 s23, -1
.LBB110_351:
	s_and_not1_b32 vcc_lo, exec_lo, s24
	s_cbranch_vccnz .LBB110_359
; %bb.352:
	s_cmp_gt_i32 s22, 14
	s_mov_b32 s24, -1
	s_cbranch_scc0 .LBB110_356
; %bb.353:
	s_cmp_eq_u32 s22, 15
	s_mov_b32 s2, -1
	s_cbranch_scc0 .LBB110_355
; %bb.354:
	s_wait_xcnt 0x0
	v_cndmask_b32_e64 v2, 0, 1.0, s1
	s_mov_b32 s23, -1
	s_mov_b32 s2, 0
	s_delay_alu instid0(VALU_DEP_1) | instskip(NEXT) | instid1(VALU_DEP_1)
	v_bfe_u32 v3, v2, 16, 1
	v_add3_u32 v2, v2, v3, 0x7fff
	global_store_d16_hi_b16 v[0:1], v2, off
.LBB110_355:
	s_mov_b32 s24, 0
.LBB110_356:
	s_delay_alu instid0(SALU_CYCLE_1)
	s_and_b32 vcc_lo, exec_lo, s24
	s_cbranch_vccz .LBB110_359
; %bb.357:
	s_cmp_eq_u32 s22, 11
	s_mov_b32 s2, -1
	s_cbranch_scc0 .LBB110_359
; %bb.358:
	s_wait_xcnt 0x0
	v_cndmask_b32_e64 v2, 0, 1, s1
	s_mov_b32 s23, -1
	s_mov_b32 s2, 0
	global_store_b8 v[0:1], v2, off
.LBB110_359:
	s_mov_b32 s22, 0
.LBB110_360:
	s_delay_alu instid0(SALU_CYCLE_1)
	s_and_b32 vcc_lo, exec_lo, s22
	s_cbranch_vccz .LBB110_399
; %bb.361:
	s_and_b32 s20, 0xffff, s20
	s_mov_b32 s22, -1
	s_cmp_lt_i32 s20, 5
	s_cbranch_scc1 .LBB110_382
; %bb.362:
	s_cmp_lt_i32 s20, 8
	s_cbranch_scc1 .LBB110_372
; %bb.363:
	;; [unrolled: 3-line block ×3, first 2 shown]
	s_cmp_gt_i32 s20, 9
	s_cbranch_scc0 .LBB110_366
; %bb.365:
	s_wait_xcnt 0x0
	v_cndmask_b32_e64 v2, 0, 1, s1
	v_mov_b32_e32 v8, 0
	s_mov_b32 s22, 0
	s_delay_alu instid0(VALU_DEP_2) | instskip(NEXT) | instid1(VALU_DEP_2)
	v_cvt_f64_u32_e32 v[6:7], v2
	v_mov_b32_e32 v9, v8
	global_store_b128 v[0:1], v[6:9], off
.LBB110_366:
	s_and_not1_b32 vcc_lo, exec_lo, s22
	s_cbranch_vccnz .LBB110_368
; %bb.367:
	s_wait_xcnt 0x0
	v_cndmask_b32_e64 v2, 0, 1.0, s1
	v_mov_b32_e32 v3, 0
	global_store_b64 v[0:1], v[2:3], off
.LBB110_368:
	s_mov_b32 s22, 0
.LBB110_369:
	s_delay_alu instid0(SALU_CYCLE_1)
	s_and_not1_b32 vcc_lo, exec_lo, s22
	s_cbranch_vccnz .LBB110_371
; %bb.370:
	s_wait_xcnt 0x0
	v_cndmask_b32_e64 v2, 0, 1.0, s1
	s_delay_alu instid0(VALU_DEP_1) | instskip(NEXT) | instid1(VALU_DEP_1)
	v_cvt_f16_f32_e32 v2, v2
	v_and_b32_e32 v2, 0xffff, v2
	global_store_b32 v[0:1], v2, off
.LBB110_371:
	s_mov_b32 s22, 0
.LBB110_372:
	s_delay_alu instid0(SALU_CYCLE_1)
	s_and_not1_b32 vcc_lo, exec_lo, s22
	s_cbranch_vccnz .LBB110_381
; %bb.373:
	s_cmp_lt_i32 s20, 6
	s_mov_b32 s22, -1
	s_cbranch_scc1 .LBB110_379
; %bb.374:
	s_cmp_gt_i32 s20, 6
	s_cbranch_scc0 .LBB110_376
; %bb.375:
	s_wait_xcnt 0x0
	v_cndmask_b32_e64 v2, 0, 1, s1
	s_mov_b32 s22, 0
	s_delay_alu instid0(VALU_DEP_1)
	v_cvt_f64_u32_e32 v[2:3], v2
	global_store_b64 v[0:1], v[2:3], off
.LBB110_376:
	s_and_not1_b32 vcc_lo, exec_lo, s22
	s_cbranch_vccnz .LBB110_378
; %bb.377:
	s_wait_xcnt 0x0
	v_cndmask_b32_e64 v2, 0, 1.0, s1
	global_store_b32 v[0:1], v2, off
.LBB110_378:
	s_mov_b32 s22, 0
.LBB110_379:
	s_delay_alu instid0(SALU_CYCLE_1)
	s_and_not1_b32 vcc_lo, exec_lo, s22
	s_cbranch_vccnz .LBB110_381
; %bb.380:
	s_wait_xcnt 0x0
	v_cndmask_b32_e64 v2, 0, 1.0, s1
	s_delay_alu instid0(VALU_DEP_1)
	v_cvt_f16_f32_e32 v2, v2
	global_store_b16 v[0:1], v2, off
.LBB110_381:
	s_mov_b32 s22, 0
.LBB110_382:
	s_delay_alu instid0(SALU_CYCLE_1)
	s_and_not1_b32 vcc_lo, exec_lo, s22
	s_cbranch_vccnz .LBB110_398
; %bb.383:
	s_cmp_lt_i32 s20, 2
	s_mov_b32 s22, -1
	s_cbranch_scc1 .LBB110_393
; %bb.384:
	s_cmp_lt_i32 s20, 3
	s_cbranch_scc1 .LBB110_390
; %bb.385:
	s_cmp_gt_i32 s20, 3
	s_cbranch_scc0 .LBB110_387
; %bb.386:
	s_mov_b32 s22, 0
	s_wait_xcnt 0x0
	v_cndmask_b32_e64 v2, 0, 1, s1
	v_mov_b32_e32 v3, s22
	global_store_b64 v[0:1], v[2:3], off
.LBB110_387:
	s_and_not1_b32 vcc_lo, exec_lo, s22
	s_cbranch_vccnz .LBB110_389
; %bb.388:
	s_wait_xcnt 0x0
	v_cndmask_b32_e64 v2, 0, 1, s1
	global_store_b32 v[0:1], v2, off
.LBB110_389:
	s_mov_b32 s22, 0
.LBB110_390:
	s_delay_alu instid0(SALU_CYCLE_1)
	s_and_not1_b32 vcc_lo, exec_lo, s22
	s_cbranch_vccnz .LBB110_392
; %bb.391:
	s_wait_xcnt 0x0
	v_cndmask_b32_e64 v2, 0, 1, s1
	global_store_b16 v[0:1], v2, off
.LBB110_392:
	s_mov_b32 s22, 0
.LBB110_393:
	s_delay_alu instid0(SALU_CYCLE_1)
	s_and_not1_b32 vcc_lo, exec_lo, s22
	s_cbranch_vccnz .LBB110_398
; %bb.394:
	s_wait_xcnt 0x0
	v_cndmask_b32_e64 v2, 0, 1, s1
	s_cmp_gt_i32 s20, 0
	s_mov_b32 s1, -1
	s_cbranch_scc0 .LBB110_396
; %bb.395:
	s_mov_b32 s1, 0
	global_store_b8 v[0:1], v2, off
.LBB110_396:
	s_and_not1_b32 vcc_lo, exec_lo, s1
	s_cbranch_vccnz .LBB110_398
; %bb.397:
	global_store_b8 v[0:1], v2, off
.LBB110_398:
	s_mov_b32 s23, -1
.LBB110_399:
	s_delay_alu instid0(SALU_CYCLE_1)
	s_and_not1_b32 vcc_lo, exec_lo, s23
	s_cbranch_vccnz .LBB110_401
; %bb.400:
	v_add_nc_u32_e32 v4, 0x80, v4
	s_mov_b32 s1, -1
	s_branch .LBB110_514
.LBB110_401:
	s_mov_b32 s1, 0
	s_branch .LBB110_513
.LBB110_402:
	s_mov_b32 s19, -1
                                        ; implicit-def: $vgpr2
.LBB110_403:
	s_mov_b32 s20, 0
.LBB110_404:
	s_delay_alu instid0(SALU_CYCLE_1)
	s_and_b32 vcc_lo, exec_lo, s20
	s_cbranch_vccz .LBB110_408
; %bb.405:
	s_cmp_eq_u32 s1, 29
	s_cbranch_scc0 .LBB110_407
; %bb.406:
	s_wait_loadcnt 0x0
	global_load_b64 v[2:3], v[0:1], off
	s_mov_b32 s2, -1
	s_mov_b32 s19, 0
	s_mov_b32 s20, 0
	s_wait_loadcnt 0x0
	v_clz_i32_u32_e32 v5, v3
	s_delay_alu instid0(VALU_DEP_1) | instskip(NEXT) | instid1(VALU_DEP_1)
	v_min_u32_e32 v5, 32, v5
	v_lshlrev_b64_e32 v[2:3], v5, v[2:3]
	s_delay_alu instid0(VALU_DEP_1) | instskip(NEXT) | instid1(VALU_DEP_1)
	v_min_u32_e32 v2, 1, v2
	v_dual_sub_nc_u32 v3, 32, v5 :: v_dual_bitop2_b32 v2, v3, v2 bitop3:0x54
	s_delay_alu instid0(VALU_DEP_1) | instskip(NEXT) | instid1(VALU_DEP_1)
	v_cvt_f32_u32_e32 v2, v2
	v_ldexp_f32 v2, v2, v3
	s_branch .LBB110_409
.LBB110_407:
	s_mov_b32 s19, -1
                                        ; implicit-def: $vgpr2
.LBB110_408:
	s_mov_b32 s20, 0
.LBB110_409:
	s_delay_alu instid0(SALU_CYCLE_1)
	s_and_b32 vcc_lo, exec_lo, s20
	s_cbranch_vccz .LBB110_427
; %bb.410:
	s_cmp_lt_i32 s1, 27
	s_cbranch_scc1 .LBB110_413
; %bb.411:
	s_cmp_gt_i32 s1, 27
	s_cbranch_scc0 .LBB110_414
; %bb.412:
	s_wait_loadcnt 0x0
	global_load_b32 v2, v[0:1], off
	s_mov_b32 s2, 0
	s_wait_loadcnt 0x0
	v_cvt_f32_u32_e32 v2, v2
	s_branch .LBB110_415
.LBB110_413:
	s_mov_b32 s2, -1
                                        ; implicit-def: $vgpr2
	s_branch .LBB110_418
.LBB110_414:
	s_mov_b32 s2, -1
                                        ; implicit-def: $vgpr2
.LBB110_415:
	s_delay_alu instid0(SALU_CYCLE_1)
	s_and_not1_b32 vcc_lo, exec_lo, s2
	s_cbranch_vccnz .LBB110_417
; %bb.416:
	s_wait_loadcnt 0x0
	global_load_u16 v2, v[0:1], off
	s_wait_loadcnt 0x0
	v_cvt_f32_u32_e32 v2, v2
.LBB110_417:
	s_mov_b32 s2, 0
.LBB110_418:
	s_delay_alu instid0(SALU_CYCLE_1)
	s_and_not1_b32 vcc_lo, exec_lo, s2
	s_cbranch_vccnz .LBB110_426
; %bb.419:
	global_load_u8 v3, v[0:1], off
	s_mov_b32 s2, 0
	s_mov_b32 s20, exec_lo
	s_wait_loadcnt 0x0
	v_cmpx_lt_i16_e32 0x7f, v3
	s_xor_b32 s20, exec_lo, s20
	s_cbranch_execz .LBB110_440
; %bb.420:
	s_mov_b32 s2, -1
	s_mov_b32 s22, exec_lo
	v_cmpx_eq_u16_e32 0x80, v3
; %bb.421:
	s_xor_b32 s2, exec_lo, -1
; %bb.422:
	s_or_b32 exec_lo, exec_lo, s22
	s_delay_alu instid0(SALU_CYCLE_1)
	s_and_b32 s2, s2, exec_lo
	s_or_saveexec_b32 s20, s20
	v_mov_b32_e32 v2, 0x7f800001
	s_xor_b32 exec_lo, exec_lo, s20
	s_cbranch_execnz .LBB110_441
.LBB110_423:
	s_or_b32 exec_lo, exec_lo, s20
	s_and_saveexec_b32 s20, s2
	s_cbranch_execz .LBB110_425
.LBB110_424:
	v_and_b32_e32 v2, 0xffff, v3
	s_delay_alu instid0(VALU_DEP_1) | instskip(SKIP_1) | instid1(VALU_DEP_2)
	v_dual_lshlrev_b32 v3, 24, v3 :: v_dual_bitop2_b32 v5, 7, v2 bitop3:0x40
	v_bfe_u32 v8, v2, 3, 4
	v_and_b32_e32 v3, 0x80000000, v3
	s_delay_alu instid0(VALU_DEP_3) | instskip(NEXT) | instid1(VALU_DEP_3)
	v_clz_i32_u32_e32 v6, v5
	v_cmp_eq_u32_e32 vcc_lo, 0, v8
	s_delay_alu instid0(VALU_DEP_2) | instskip(NEXT) | instid1(VALU_DEP_1)
	v_min_u32_e32 v6, 32, v6
	v_subrev_nc_u32_e32 v7, 28, v6
	v_sub_nc_u32_e32 v6, 29, v6
	s_delay_alu instid0(VALU_DEP_2) | instskip(NEXT) | instid1(VALU_DEP_2)
	v_lshlrev_b32_e32 v2, v7, v2
	v_cndmask_b32_e32 v6, v8, v6, vcc_lo
	s_delay_alu instid0(VALU_DEP_2) | instskip(NEXT) | instid1(VALU_DEP_1)
	v_and_b32_e32 v2, 7, v2
	v_cndmask_b32_e32 v2, v5, v2, vcc_lo
	s_delay_alu instid0(VALU_DEP_3) | instskip(NEXT) | instid1(VALU_DEP_2)
	v_lshl_add_u32 v5, v6, 23, 0x3b800000
	v_lshlrev_b32_e32 v2, 20, v2
	s_delay_alu instid0(VALU_DEP_1)
	v_or3_b32 v2, v3, v5, v2
.LBB110_425:
	s_or_b32 exec_lo, exec_lo, s20
.LBB110_426:
	s_mov_b32 s2, -1
.LBB110_427:
	s_mov_b32 s20, 0
.LBB110_428:
	s_delay_alu instid0(SALU_CYCLE_1)
	s_and_b32 vcc_lo, exec_lo, s20
	s_cbranch_vccz .LBB110_463
; %bb.429:
	s_cmp_gt_i32 s1, 22
	s_cbranch_scc0 .LBB110_439
; %bb.430:
	s_cmp_lt_i32 s1, 24
	s_cbranch_scc1 .LBB110_442
; %bb.431:
	s_cmp_gt_i32 s1, 24
	s_cbranch_scc0 .LBB110_443
; %bb.432:
	global_load_u8 v3, v[0:1], off
	s_mov_b32 s2, 0
	s_mov_b32 s20, exec_lo
	s_wait_loadcnt 0x0
	v_cmpx_lt_i16_e32 0x7f, v3
	s_xor_b32 s20, exec_lo, s20
	s_cbranch_execz .LBB110_455
; %bb.433:
	s_mov_b32 s2, -1
	s_mov_b32 s22, exec_lo
	v_cmpx_eq_u16_e32 0x80, v3
; %bb.434:
	s_xor_b32 s2, exec_lo, -1
; %bb.435:
	s_or_b32 exec_lo, exec_lo, s22
	s_delay_alu instid0(SALU_CYCLE_1)
	s_and_b32 s2, s2, exec_lo
	s_or_saveexec_b32 s20, s20
	v_mov_b32_e32 v2, 0x7f800001
	s_xor_b32 exec_lo, exec_lo, s20
	s_cbranch_execnz .LBB110_456
.LBB110_436:
	s_or_b32 exec_lo, exec_lo, s20
	s_and_saveexec_b32 s20, s2
	s_cbranch_execz .LBB110_438
.LBB110_437:
	v_and_b32_e32 v2, 0xffff, v3
	s_delay_alu instid0(VALU_DEP_1) | instskip(SKIP_1) | instid1(VALU_DEP_2)
	v_dual_lshlrev_b32 v3, 24, v3 :: v_dual_bitop2_b32 v5, 3, v2 bitop3:0x40
	v_bfe_u32 v8, v2, 2, 5
	v_and_b32_e32 v3, 0x80000000, v3
	s_delay_alu instid0(VALU_DEP_3) | instskip(NEXT) | instid1(VALU_DEP_3)
	v_clz_i32_u32_e32 v6, v5
	v_cmp_eq_u32_e32 vcc_lo, 0, v8
	s_delay_alu instid0(VALU_DEP_2) | instskip(NEXT) | instid1(VALU_DEP_1)
	v_min_u32_e32 v6, 32, v6
	v_subrev_nc_u32_e32 v7, 29, v6
	v_sub_nc_u32_e32 v6, 30, v6
	s_delay_alu instid0(VALU_DEP_2) | instskip(NEXT) | instid1(VALU_DEP_2)
	v_lshlrev_b32_e32 v2, v7, v2
	v_cndmask_b32_e32 v6, v8, v6, vcc_lo
	s_delay_alu instid0(VALU_DEP_2) | instskip(NEXT) | instid1(VALU_DEP_1)
	v_and_b32_e32 v2, 3, v2
	v_cndmask_b32_e32 v2, v5, v2, vcc_lo
	s_delay_alu instid0(VALU_DEP_3) | instskip(NEXT) | instid1(VALU_DEP_2)
	v_lshl_add_u32 v5, v6, 23, 0x37800000
	v_lshlrev_b32_e32 v2, 21, v2
	s_delay_alu instid0(VALU_DEP_1)
	v_or3_b32 v2, v3, v5, v2
.LBB110_438:
	s_or_b32 exec_lo, exec_lo, s20
	s_mov_b32 s2, 0
	s_branch .LBB110_444
.LBB110_439:
	s_mov_b32 s20, -1
                                        ; implicit-def: $vgpr2
	s_branch .LBB110_450
.LBB110_440:
	s_or_saveexec_b32 s20, s20
	v_mov_b32_e32 v2, 0x7f800001
	s_xor_b32 exec_lo, exec_lo, s20
	s_cbranch_execz .LBB110_423
.LBB110_441:
	v_cmp_ne_u16_e32 vcc_lo, 0, v3
	v_mov_b32_e32 v2, 0
	s_and_not1_b32 s2, s2, exec_lo
	s_and_b32 s22, vcc_lo, exec_lo
	s_delay_alu instid0(SALU_CYCLE_1)
	s_or_b32 s2, s2, s22
	s_or_b32 exec_lo, exec_lo, s20
	s_and_saveexec_b32 s20, s2
	s_cbranch_execnz .LBB110_424
	s_branch .LBB110_425
.LBB110_442:
	s_mov_b32 s2, -1
                                        ; implicit-def: $vgpr2
	s_branch .LBB110_447
.LBB110_443:
	s_mov_b32 s2, -1
                                        ; implicit-def: $vgpr2
.LBB110_444:
	s_delay_alu instid0(SALU_CYCLE_1)
	s_and_b32 vcc_lo, exec_lo, s2
	s_cbranch_vccz .LBB110_446
; %bb.445:
	s_wait_loadcnt 0x0
	global_load_u8 v2, v[0:1], off
	s_wait_loadcnt 0x0
	v_lshlrev_b32_e32 v2, 24, v2
	s_delay_alu instid0(VALU_DEP_1) | instskip(NEXT) | instid1(VALU_DEP_1)
	v_and_b32_e32 v3, 0x7f000000, v2
	v_clz_i32_u32_e32 v5, v3
	v_add_nc_u32_e32 v7, 0x1000000, v3
	v_cmp_ne_u32_e32 vcc_lo, 0, v3
	s_delay_alu instid0(VALU_DEP_3) | instskip(NEXT) | instid1(VALU_DEP_1)
	v_min_u32_e32 v5, 32, v5
	v_sub_nc_u32_e64 v5, v5, 4 clamp
	s_delay_alu instid0(VALU_DEP_1) | instskip(NEXT) | instid1(VALU_DEP_1)
	v_dual_lshlrev_b32 v6, v5, v3 :: v_dual_lshlrev_b32 v5, 23, v5
	v_lshrrev_b32_e32 v6, 4, v6
	s_delay_alu instid0(VALU_DEP_1) | instskip(NEXT) | instid1(VALU_DEP_1)
	v_dual_sub_nc_u32 v5, v6, v5 :: v_dual_ashrrev_i32 v6, 8, v7
	v_add_nc_u32_e32 v5, 0x3c000000, v5
	s_delay_alu instid0(VALU_DEP_1) | instskip(NEXT) | instid1(VALU_DEP_1)
	v_and_or_b32 v5, 0x7f800000, v6, v5
	v_cndmask_b32_e32 v3, 0, v5, vcc_lo
	s_delay_alu instid0(VALU_DEP_1)
	v_and_or_b32 v2, 0x80000000, v2, v3
.LBB110_446:
	s_mov_b32 s2, 0
.LBB110_447:
	s_delay_alu instid0(SALU_CYCLE_1)
	s_and_not1_b32 vcc_lo, exec_lo, s2
	s_cbranch_vccnz .LBB110_449
; %bb.448:
	s_wait_loadcnt 0x0
	global_load_u8 v2, v[0:1], off
	s_wait_loadcnt 0x0
	v_lshlrev_b32_e32 v3, 25, v2
	v_lshlrev_b16 v2, 8, v2
	s_delay_alu instid0(VALU_DEP_2) | instskip(NEXT) | instid1(VALU_DEP_2)
	v_cmp_gt_u32_e32 vcc_lo, 0x8000000, v3
	v_and_or_b32 v6, 0x7f00, v2, 0.5
	v_lshrrev_b32_e32 v5, 4, v3
	v_bfe_i32 v2, v2, 0, 16
	s_delay_alu instid0(VALU_DEP_3) | instskip(NEXT) | instid1(VALU_DEP_3)
	v_add_f32_e32 v6, -0.5, v6
	v_or_b32_e32 v5, 0x70000000, v5
	s_delay_alu instid0(VALU_DEP_1) | instskip(NEXT) | instid1(VALU_DEP_1)
	v_mul_f32_e32 v5, 0x7800000, v5
	v_cndmask_b32_e32 v3, v5, v6, vcc_lo
	s_delay_alu instid0(VALU_DEP_1)
	v_and_or_b32 v2, 0x80000000, v2, v3
.LBB110_449:
	s_mov_b32 s20, 0
	s_mov_b32 s2, -1
.LBB110_450:
	s_and_not1_b32 vcc_lo, exec_lo, s20
	s_cbranch_vccnz .LBB110_463
; %bb.451:
	s_cmp_gt_i32 s1, 14
	s_cbranch_scc0 .LBB110_454
; %bb.452:
	s_cmp_eq_u32 s1, 15
	s_cbranch_scc0 .LBB110_457
; %bb.453:
	s_wait_loadcnt 0x0
	global_load_u16 v2, v[0:1], off
	s_mov_b32 s2, -1
	s_mov_b32 s19, 0
	s_wait_loadcnt 0x0
	v_lshlrev_b32_e32 v2, 16, v2
	s_branch .LBB110_458
.LBB110_454:
	s_mov_b32 s20, -1
                                        ; implicit-def: $vgpr2
	s_branch .LBB110_459
.LBB110_455:
	s_or_saveexec_b32 s20, s20
	v_mov_b32_e32 v2, 0x7f800001
	s_xor_b32 exec_lo, exec_lo, s20
	s_cbranch_execz .LBB110_436
.LBB110_456:
	v_cmp_ne_u16_e32 vcc_lo, 0, v3
	v_mov_b32_e32 v2, 0
	s_and_not1_b32 s2, s2, exec_lo
	s_and_b32 s22, vcc_lo, exec_lo
	s_delay_alu instid0(SALU_CYCLE_1)
	s_or_b32 s2, s2, s22
	s_or_b32 exec_lo, exec_lo, s20
	s_and_saveexec_b32 s20, s2
	s_cbranch_execnz .LBB110_437
	s_branch .LBB110_438
.LBB110_457:
	s_mov_b32 s19, -1
                                        ; implicit-def: $vgpr2
.LBB110_458:
	s_mov_b32 s20, 0
.LBB110_459:
	s_delay_alu instid0(SALU_CYCLE_1)
	s_and_b32 vcc_lo, exec_lo, s20
	s_cbranch_vccz .LBB110_463
; %bb.460:
	s_cmp_eq_u32 s1, 11
	s_cbranch_scc0 .LBB110_462
; %bb.461:
	s_wait_loadcnt 0x0
	global_load_u8 v2, v[0:1], off
	s_mov_b32 s19, 0
	s_mov_b32 s2, -1
	s_wait_loadcnt 0x0
	v_cmp_ne_u16_e32 vcc_lo, 0, v2
	v_cndmask_b32_e64 v2, 0, 1.0, vcc_lo
	s_branch .LBB110_463
.LBB110_462:
	s_mov_b32 s19, -1
                                        ; implicit-def: $vgpr2
.LBB110_463:
	s_branch .LBB110_265
.LBB110_464:
	s_cmp_lt_i32 s1, 5
	s_cbranch_scc1 .LBB110_469
; %bb.465:
	s_cmp_lt_i32 s1, 8
	s_cbranch_scc1 .LBB110_470
; %bb.466:
	;; [unrolled: 3-line block ×3, first 2 shown]
	s_cmp_gt_i32 s1, 9
	s_cbranch_scc0 .LBB110_472
; %bb.468:
	s_wait_loadcnt 0x0
	global_load_b64 v[2:3], v[0:1], off
	s_mov_b32 s2, 0
	s_wait_loadcnt 0x0
	v_cvt_f32_f64_e32 v2, v[2:3]
	s_branch .LBB110_473
.LBB110_469:
	s_mov_b32 s2, -1
                                        ; implicit-def: $vgpr2
	s_branch .LBB110_491
.LBB110_470:
	s_mov_b32 s2, -1
                                        ; implicit-def: $vgpr2
	s_branch .LBB110_479
.LBB110_471:
	s_mov_b32 s2, -1
                                        ; implicit-def: $vgpr2
	s_branch .LBB110_476
.LBB110_472:
	s_mov_b32 s2, -1
                                        ; implicit-def: $vgpr2
.LBB110_473:
	s_delay_alu instid0(SALU_CYCLE_1)
	s_and_not1_b32 vcc_lo, exec_lo, s2
	s_cbranch_vccnz .LBB110_475
; %bb.474:
	s_wait_loadcnt 0x0
	global_load_b32 v2, v[0:1], off
.LBB110_475:
	s_mov_b32 s2, 0
.LBB110_476:
	s_delay_alu instid0(SALU_CYCLE_1)
	s_and_not1_b32 vcc_lo, exec_lo, s2
	s_cbranch_vccnz .LBB110_478
; %bb.477:
	s_wait_loadcnt 0x0
	global_load_b32 v2, v[0:1], off
	s_wait_loadcnt 0x0
	v_cvt_f32_f16_e32 v2, v2
.LBB110_478:
	s_mov_b32 s2, 0
.LBB110_479:
	s_delay_alu instid0(SALU_CYCLE_1)
	s_and_not1_b32 vcc_lo, exec_lo, s2
	s_cbranch_vccnz .LBB110_490
; %bb.480:
	s_cmp_lt_i32 s1, 6
	s_cbranch_scc1 .LBB110_483
; %bb.481:
	s_cmp_gt_i32 s1, 6
	s_cbranch_scc0 .LBB110_484
; %bb.482:
	s_wait_loadcnt 0x0
	global_load_b64 v[2:3], v[0:1], off
	s_mov_b32 s2, 0
	s_wait_loadcnt 0x0
	v_cvt_f32_f64_e32 v2, v[2:3]
	s_branch .LBB110_485
.LBB110_483:
	s_mov_b32 s2, -1
                                        ; implicit-def: $vgpr2
	s_branch .LBB110_488
.LBB110_484:
	s_mov_b32 s2, -1
                                        ; implicit-def: $vgpr2
.LBB110_485:
	s_delay_alu instid0(SALU_CYCLE_1)
	s_and_not1_b32 vcc_lo, exec_lo, s2
	s_cbranch_vccnz .LBB110_487
; %bb.486:
	s_wait_loadcnt 0x0
	global_load_b32 v2, v[0:1], off
.LBB110_487:
	s_mov_b32 s2, 0
.LBB110_488:
	s_delay_alu instid0(SALU_CYCLE_1)
	s_and_not1_b32 vcc_lo, exec_lo, s2
	s_cbranch_vccnz .LBB110_490
; %bb.489:
	s_wait_loadcnt 0x0
	global_load_u16 v2, v[0:1], off
	s_wait_loadcnt 0x0
	v_cvt_f32_f16_e32 v2, v2
.LBB110_490:
	s_mov_b32 s2, 0
.LBB110_491:
	s_delay_alu instid0(SALU_CYCLE_1)
	s_and_not1_b32 vcc_lo, exec_lo, s2
	s_cbranch_vccnz .LBB110_511
; %bb.492:
	s_cmp_lt_i32 s1, 2
	s_cbranch_scc1 .LBB110_496
; %bb.493:
	s_cmp_lt_i32 s1, 3
	s_cbranch_scc1 .LBB110_497
; %bb.494:
	s_cmp_gt_i32 s1, 3
	s_cbranch_scc0 .LBB110_498
; %bb.495:
	s_wait_loadcnt 0x0
	global_load_b64 v[2:3], v[0:1], off
	s_mov_b32 s2, 0
	s_wait_loadcnt 0x0
	v_xor_b32_e32 v5, v2, v3
	v_cls_i32_e32 v6, v3
	s_delay_alu instid0(VALU_DEP_2) | instskip(NEXT) | instid1(VALU_DEP_1)
	v_ashrrev_i32_e32 v5, 31, v5
	v_add_nc_u32_e32 v5, 32, v5
	s_delay_alu instid0(VALU_DEP_1) | instskip(NEXT) | instid1(VALU_DEP_1)
	v_add_min_u32_e64 v5, v6, -1, v5
	v_lshlrev_b64_e32 v[2:3], v5, v[2:3]
	s_delay_alu instid0(VALU_DEP_1) | instskip(NEXT) | instid1(VALU_DEP_1)
	v_min_u32_e32 v2, 1, v2
	v_dual_sub_nc_u32 v3, 32, v5 :: v_dual_bitop2_b32 v2, v3, v2 bitop3:0x54
	s_delay_alu instid0(VALU_DEP_1) | instskip(NEXT) | instid1(VALU_DEP_1)
	v_cvt_f32_i32_e32 v2, v2
	v_ldexp_f32 v2, v2, v3
	s_branch .LBB110_499
.LBB110_496:
	s_mov_b32 s2, -1
                                        ; implicit-def: $vgpr2
	s_branch .LBB110_505
.LBB110_497:
	s_mov_b32 s2, -1
                                        ; implicit-def: $vgpr2
	s_branch .LBB110_502
.LBB110_498:
	s_mov_b32 s2, -1
                                        ; implicit-def: $vgpr2
.LBB110_499:
	s_delay_alu instid0(SALU_CYCLE_1)
	s_and_not1_b32 vcc_lo, exec_lo, s2
	s_cbranch_vccnz .LBB110_501
; %bb.500:
	s_wait_loadcnt 0x0
	global_load_b32 v2, v[0:1], off
	s_wait_loadcnt 0x0
	v_cvt_f32_i32_e32 v2, v2
.LBB110_501:
	s_mov_b32 s2, 0
.LBB110_502:
	s_delay_alu instid0(SALU_CYCLE_1)
	s_and_not1_b32 vcc_lo, exec_lo, s2
	s_cbranch_vccnz .LBB110_504
; %bb.503:
	s_wait_loadcnt 0x0
	global_load_i16 v2, v[0:1], off
	s_wait_loadcnt 0x0
	v_cvt_f32_i32_e32 v2, v2
.LBB110_504:
	s_mov_b32 s2, 0
.LBB110_505:
	s_delay_alu instid0(SALU_CYCLE_1)
	s_and_not1_b32 vcc_lo, exec_lo, s2
	s_cbranch_vccnz .LBB110_511
; %bb.506:
	s_cmp_gt_i32 s1, 0
	s_mov_b32 s1, 0
	s_cbranch_scc0 .LBB110_508
; %bb.507:
	s_wait_loadcnt 0x0
	global_load_i8 v2, v[0:1], off
	s_wait_loadcnt 0x0
	v_cvt_f32_i32_e32 v2, v2
	s_branch .LBB110_509
.LBB110_508:
	s_mov_b32 s1, -1
                                        ; implicit-def: $vgpr2
.LBB110_509:
	s_delay_alu instid0(SALU_CYCLE_1)
	s_and_not1_b32 vcc_lo, exec_lo, s1
	s_cbranch_vccnz .LBB110_511
; %bb.510:
	global_load_u8 v0, v[0:1], off
	s_wait_loadcnt 0x0
	v_cvt_f32_ubyte0_e32 v2, v0
.LBB110_511:
	s_branch .LBB110_266
.LBB110_512:
	s_mov_b32 s1, 0
	s_mov_b32 s2, s15
.LBB110_513:
                                        ; implicit-def: $vgpr4
.LBB110_514:
	s_and_not1_b32 s20, s15, exec_lo
	s_and_b32 s2, s2, exec_lo
	s_and_not1_b32 s22, s17, exec_lo
	s_and_b32 s19, s19, exec_lo
	s_or_b32 s20, s20, s2
	s_or_b32 s19, s22, s19
	s_or_not1_b32 s23, s1, exec_lo
.LBB110_515:
	s_wait_xcnt 0x0
	s_or_b32 exec_lo, exec_lo, s21
	s_mov_b32 s1, 0
	s_mov_b32 s2, 0
	;; [unrolled: 1-line block ×3, first 2 shown]
                                        ; implicit-def: $vgpr0_vgpr1
                                        ; implicit-def: $vgpr2
	s_and_saveexec_b32 s21, s23
	s_cbranch_execz .LBB110_862
; %bb.516:
	s_mov_b32 s26, -1
	s_mov_b32 s1, s19
	s_mov_b32 s2, s20
	s_mov_b32 s22, exec_lo
	v_cmpx_gt_i32_e64 s16, v4
	s_cbranch_execz .LBB110_776
; %bb.517:
	v_mul_lo_u32 v0, v4, s9
	s_and_b32 s1, 0xffff, s13
	s_delay_alu instid0(SALU_CYCLE_1) | instskip(NEXT) | instid1(VALU_DEP_1)
	s_cmp_lt_i32 s1, 11
	v_ashrrev_i32_e32 v1, 31, v0
	s_delay_alu instid0(VALU_DEP_1)
	v_add_nc_u64_e32 v[0:1], s[6:7], v[0:1]
	s_cbranch_scc1 .LBB110_524
; %bb.518:
	s_cmp_gt_i32 s1, 25
	s_cbranch_scc0 .LBB110_525
; %bb.519:
	s_cmp_gt_i32 s1, 28
	s_cbranch_scc0 .LBB110_526
	;; [unrolled: 3-line block ×4, first 2 shown]
; %bb.522:
	s_cmp_eq_u32 s1, 46
	s_mov_b32 s24, 0
	s_cbranch_scc0 .LBB110_533
; %bb.523:
	s_wait_loadcnt 0x0
	global_load_b32 v2, v[0:1], off
	s_mov_b32 s2, -1
	s_mov_b32 s23, 0
	s_wait_loadcnt 0x0
	v_lshlrev_b32_e32 v2, 16, v2
	s_branch .LBB110_535
.LBB110_524:
	s_mov_b32 s24, -1
	s_mov_b32 s2, 0
	s_mov_b32 s23, s19
                                        ; implicit-def: $vgpr2
	s_branch .LBB110_600
.LBB110_525:
	s_mov_b32 s24, -1
	s_mov_b32 s2, 0
	s_mov_b32 s23, s19
                                        ; implicit-def: $vgpr2
	s_branch .LBB110_564
.LBB110_526:
	s_mov_b32 s24, -1
	s_mov_b32 s2, 0
	s_mov_b32 s23, s19
                                        ; implicit-def: $vgpr2
	s_branch .LBB110_545
.LBB110_527:
	s_mov_b32 s24, -1
	s_mov_b32 s2, 0
	s_mov_b32 s23, s19
                                        ; implicit-def: $vgpr2
	s_branch .LBB110_540
.LBB110_528:
	s_and_not1_saveexec_b32 s25, s25
	s_cbranch_execz .LBB110_312
.LBB110_529:
	v_add_f32_e32 v2, 0x46000000, v3
	s_and_not1_b32 s24, s24, exec_lo
	s_delay_alu instid0(VALU_DEP_1) | instskip(NEXT) | instid1(VALU_DEP_1)
	v_and_b32_e32 v2, 0xff, v2
	v_cmp_ne_u32_e32 vcc_lo, 0, v2
	s_and_b32 s26, vcc_lo, exec_lo
	s_delay_alu instid0(SALU_CYCLE_1)
	s_or_b32 s24, s24, s26
	s_or_b32 exec_lo, exec_lo, s25
	v_mov_b32_e32 v5, 0
	s_and_saveexec_b32 s25, s24
	s_cbranch_execnz .LBB110_313
	s_branch .LBB110_314
.LBB110_530:
	s_mov_b32 s24, -1
	s_mov_b32 s2, 0
	s_mov_b32 s23, s19
	s_branch .LBB110_534
.LBB110_531:
	s_and_not1_saveexec_b32 s25, s25
	s_cbranch_execz .LBB110_325
.LBB110_532:
	v_add_f32_e32 v2, 0x42800000, v3
	s_and_not1_b32 s24, s24, exec_lo
	s_delay_alu instid0(VALU_DEP_1) | instskip(NEXT) | instid1(VALU_DEP_1)
	v_and_b32_e32 v2, 0xff, v2
	v_cmp_ne_u32_e32 vcc_lo, 0, v2
	s_and_b32 s26, vcc_lo, exec_lo
	s_delay_alu instid0(SALU_CYCLE_1)
	s_or_b32 s24, s24, s26
	s_or_b32 exec_lo, exec_lo, s25
	v_mov_b32_e32 v5, 0
	s_and_saveexec_b32 s25, s24
	s_cbranch_execnz .LBB110_326
	s_branch .LBB110_327
.LBB110_533:
	s_mov_b32 s23, -1
	s_mov_b32 s2, 0
.LBB110_534:
                                        ; implicit-def: $vgpr2
.LBB110_535:
	s_and_b32 vcc_lo, exec_lo, s24
	s_cbranch_vccz .LBB110_539
; %bb.536:
	s_cmp_eq_u32 s1, 44
	s_cbranch_scc0 .LBB110_538
; %bb.537:
	s_wait_loadcnt 0x0
	global_load_u8 v2, v[0:1], off
	s_mov_b32 s23, 0
	s_mov_b32 s2, -1
	s_wait_loadcnt 0x0
	v_lshlrev_b32_e32 v3, 23, v2
	v_cmp_ne_u32_e32 vcc_lo, 0xff, v2
	s_delay_alu instid0(VALU_DEP_2) | instskip(SKIP_1) | instid1(VALU_DEP_2)
	v_cndmask_b32_e32 v3, 0x7f800001, v3, vcc_lo
	v_cmp_ne_u32_e32 vcc_lo, 0, v2
	v_cndmask_b32_e32 v2, 0x400000, v3, vcc_lo
	s_branch .LBB110_539
.LBB110_538:
	s_mov_b32 s23, -1
                                        ; implicit-def: $vgpr2
.LBB110_539:
	s_mov_b32 s24, 0
.LBB110_540:
	s_delay_alu instid0(SALU_CYCLE_1)
	s_and_b32 vcc_lo, exec_lo, s24
	s_cbranch_vccz .LBB110_544
; %bb.541:
	s_cmp_eq_u32 s1, 29
	s_cbranch_scc0 .LBB110_543
; %bb.542:
	s_wait_loadcnt 0x0
	global_load_b64 v[2:3], v[0:1], off
	s_mov_b32 s2, -1
	s_mov_b32 s23, 0
	s_mov_b32 s24, 0
	s_wait_loadcnt 0x0
	v_clz_i32_u32_e32 v5, v3
	s_delay_alu instid0(VALU_DEP_1) | instskip(NEXT) | instid1(VALU_DEP_1)
	v_min_u32_e32 v5, 32, v5
	v_lshlrev_b64_e32 v[2:3], v5, v[2:3]
	s_delay_alu instid0(VALU_DEP_1) | instskip(NEXT) | instid1(VALU_DEP_1)
	v_min_u32_e32 v2, 1, v2
	v_dual_sub_nc_u32 v3, 32, v5 :: v_dual_bitop2_b32 v2, v3, v2 bitop3:0x54
	s_delay_alu instid0(VALU_DEP_1) | instskip(NEXT) | instid1(VALU_DEP_1)
	v_cvt_f32_u32_e32 v2, v2
	v_ldexp_f32 v2, v2, v3
	s_branch .LBB110_545
.LBB110_543:
	s_mov_b32 s23, -1
                                        ; implicit-def: $vgpr2
.LBB110_544:
	s_mov_b32 s24, 0
.LBB110_545:
	s_delay_alu instid0(SALU_CYCLE_1)
	s_and_b32 vcc_lo, exec_lo, s24
	s_cbranch_vccz .LBB110_563
; %bb.546:
	s_cmp_lt_i32 s1, 27
	s_cbranch_scc1 .LBB110_549
; %bb.547:
	s_cmp_gt_i32 s1, 27
	s_cbranch_scc0 .LBB110_550
; %bb.548:
	s_wait_loadcnt 0x0
	global_load_b32 v2, v[0:1], off
	s_mov_b32 s2, 0
	s_wait_loadcnt 0x0
	v_cvt_f32_u32_e32 v2, v2
	s_branch .LBB110_551
.LBB110_549:
	s_mov_b32 s2, -1
                                        ; implicit-def: $vgpr2
	s_branch .LBB110_554
.LBB110_550:
	s_mov_b32 s2, -1
                                        ; implicit-def: $vgpr2
.LBB110_551:
	s_delay_alu instid0(SALU_CYCLE_1)
	s_and_not1_b32 vcc_lo, exec_lo, s2
	s_cbranch_vccnz .LBB110_553
; %bb.552:
	s_wait_loadcnt 0x0
	global_load_u16 v2, v[0:1], off
	s_wait_loadcnt 0x0
	v_cvt_f32_u32_e32 v2, v2
.LBB110_553:
	s_mov_b32 s2, 0
.LBB110_554:
	s_delay_alu instid0(SALU_CYCLE_1)
	s_and_not1_b32 vcc_lo, exec_lo, s2
	s_cbranch_vccnz .LBB110_562
; %bb.555:
	global_load_u8 v3, v[0:1], off
	s_mov_b32 s2, 0
	s_mov_b32 s24, exec_lo
	s_wait_loadcnt 0x0
	v_cmpx_lt_i16_e32 0x7f, v3
	s_xor_b32 s24, exec_lo, s24
	s_cbranch_execz .LBB110_576
; %bb.556:
	s_mov_b32 s2, -1
	s_mov_b32 s25, exec_lo
	v_cmpx_eq_u16_e32 0x80, v3
; %bb.557:
	s_xor_b32 s2, exec_lo, -1
; %bb.558:
	s_or_b32 exec_lo, exec_lo, s25
	s_delay_alu instid0(SALU_CYCLE_1)
	s_and_b32 s2, s2, exec_lo
	s_or_saveexec_b32 s24, s24
	v_mov_b32_e32 v2, 0x7f800001
	s_xor_b32 exec_lo, exec_lo, s24
	s_cbranch_execnz .LBB110_577
.LBB110_559:
	s_or_b32 exec_lo, exec_lo, s24
	s_and_saveexec_b32 s24, s2
	s_cbranch_execz .LBB110_561
.LBB110_560:
	v_and_b32_e32 v2, 0xffff, v3
	s_delay_alu instid0(VALU_DEP_1) | instskip(SKIP_1) | instid1(VALU_DEP_2)
	v_dual_lshlrev_b32 v3, 24, v3 :: v_dual_bitop2_b32 v5, 7, v2 bitop3:0x40
	v_bfe_u32 v8, v2, 3, 4
	v_and_b32_e32 v3, 0x80000000, v3
	s_delay_alu instid0(VALU_DEP_3) | instskip(NEXT) | instid1(VALU_DEP_3)
	v_clz_i32_u32_e32 v6, v5
	v_cmp_eq_u32_e32 vcc_lo, 0, v8
	s_delay_alu instid0(VALU_DEP_2) | instskip(NEXT) | instid1(VALU_DEP_1)
	v_min_u32_e32 v6, 32, v6
	v_subrev_nc_u32_e32 v7, 28, v6
	v_sub_nc_u32_e32 v6, 29, v6
	s_delay_alu instid0(VALU_DEP_2) | instskip(NEXT) | instid1(VALU_DEP_2)
	v_lshlrev_b32_e32 v2, v7, v2
	v_cndmask_b32_e32 v6, v8, v6, vcc_lo
	s_delay_alu instid0(VALU_DEP_2) | instskip(NEXT) | instid1(VALU_DEP_1)
	v_and_b32_e32 v2, 7, v2
	v_cndmask_b32_e32 v2, v5, v2, vcc_lo
	s_delay_alu instid0(VALU_DEP_3) | instskip(NEXT) | instid1(VALU_DEP_2)
	v_lshl_add_u32 v5, v6, 23, 0x3b800000
	v_lshlrev_b32_e32 v2, 20, v2
	s_delay_alu instid0(VALU_DEP_1)
	v_or3_b32 v2, v3, v5, v2
.LBB110_561:
	s_or_b32 exec_lo, exec_lo, s24
.LBB110_562:
	s_mov_b32 s2, -1
.LBB110_563:
	s_mov_b32 s24, 0
.LBB110_564:
	s_delay_alu instid0(SALU_CYCLE_1)
	s_and_b32 vcc_lo, exec_lo, s24
	s_cbranch_vccz .LBB110_599
; %bb.565:
	s_cmp_gt_i32 s1, 22
	s_cbranch_scc0 .LBB110_575
; %bb.566:
	s_cmp_lt_i32 s1, 24
	s_cbranch_scc1 .LBB110_578
; %bb.567:
	s_cmp_gt_i32 s1, 24
	s_cbranch_scc0 .LBB110_579
; %bb.568:
	global_load_u8 v3, v[0:1], off
	s_mov_b32 s2, 0
	s_mov_b32 s24, exec_lo
	s_wait_loadcnt 0x0
	v_cmpx_lt_i16_e32 0x7f, v3
	s_xor_b32 s24, exec_lo, s24
	s_cbranch_execz .LBB110_591
; %bb.569:
	s_mov_b32 s2, -1
	s_mov_b32 s25, exec_lo
	v_cmpx_eq_u16_e32 0x80, v3
; %bb.570:
	s_xor_b32 s2, exec_lo, -1
; %bb.571:
	s_or_b32 exec_lo, exec_lo, s25
	s_delay_alu instid0(SALU_CYCLE_1)
	s_and_b32 s2, s2, exec_lo
	s_or_saveexec_b32 s24, s24
	v_mov_b32_e32 v2, 0x7f800001
	s_xor_b32 exec_lo, exec_lo, s24
	s_cbranch_execnz .LBB110_592
.LBB110_572:
	s_or_b32 exec_lo, exec_lo, s24
	s_and_saveexec_b32 s24, s2
	s_cbranch_execz .LBB110_574
.LBB110_573:
	v_and_b32_e32 v2, 0xffff, v3
	s_delay_alu instid0(VALU_DEP_1) | instskip(SKIP_1) | instid1(VALU_DEP_2)
	v_dual_lshlrev_b32 v3, 24, v3 :: v_dual_bitop2_b32 v5, 3, v2 bitop3:0x40
	v_bfe_u32 v8, v2, 2, 5
	v_and_b32_e32 v3, 0x80000000, v3
	s_delay_alu instid0(VALU_DEP_3) | instskip(NEXT) | instid1(VALU_DEP_3)
	v_clz_i32_u32_e32 v6, v5
	v_cmp_eq_u32_e32 vcc_lo, 0, v8
	s_delay_alu instid0(VALU_DEP_2) | instskip(NEXT) | instid1(VALU_DEP_1)
	v_min_u32_e32 v6, 32, v6
	v_subrev_nc_u32_e32 v7, 29, v6
	v_sub_nc_u32_e32 v6, 30, v6
	s_delay_alu instid0(VALU_DEP_2) | instskip(NEXT) | instid1(VALU_DEP_2)
	v_lshlrev_b32_e32 v2, v7, v2
	v_cndmask_b32_e32 v6, v8, v6, vcc_lo
	s_delay_alu instid0(VALU_DEP_2) | instskip(NEXT) | instid1(VALU_DEP_1)
	v_and_b32_e32 v2, 3, v2
	v_cndmask_b32_e32 v2, v5, v2, vcc_lo
	s_delay_alu instid0(VALU_DEP_3) | instskip(NEXT) | instid1(VALU_DEP_2)
	v_lshl_add_u32 v5, v6, 23, 0x37800000
	v_lshlrev_b32_e32 v2, 21, v2
	s_delay_alu instid0(VALU_DEP_1)
	v_or3_b32 v2, v3, v5, v2
.LBB110_574:
	s_or_b32 exec_lo, exec_lo, s24
	s_mov_b32 s2, 0
	s_branch .LBB110_580
.LBB110_575:
	s_mov_b32 s24, -1
                                        ; implicit-def: $vgpr2
	s_branch .LBB110_586
.LBB110_576:
	s_or_saveexec_b32 s24, s24
	v_mov_b32_e32 v2, 0x7f800001
	s_xor_b32 exec_lo, exec_lo, s24
	s_cbranch_execz .LBB110_559
.LBB110_577:
	v_cmp_ne_u16_e32 vcc_lo, 0, v3
	v_mov_b32_e32 v2, 0
	s_and_not1_b32 s2, s2, exec_lo
	s_and_b32 s25, vcc_lo, exec_lo
	s_delay_alu instid0(SALU_CYCLE_1)
	s_or_b32 s2, s2, s25
	s_or_b32 exec_lo, exec_lo, s24
	s_and_saveexec_b32 s24, s2
	s_cbranch_execnz .LBB110_560
	s_branch .LBB110_561
.LBB110_578:
	s_mov_b32 s2, -1
                                        ; implicit-def: $vgpr2
	s_branch .LBB110_583
.LBB110_579:
	s_mov_b32 s2, -1
                                        ; implicit-def: $vgpr2
.LBB110_580:
	s_delay_alu instid0(SALU_CYCLE_1)
	s_and_b32 vcc_lo, exec_lo, s2
	s_cbranch_vccz .LBB110_582
; %bb.581:
	s_wait_loadcnt 0x0
	global_load_u8 v2, v[0:1], off
	s_wait_loadcnt 0x0
	v_lshlrev_b32_e32 v2, 24, v2
	s_delay_alu instid0(VALU_DEP_1) | instskip(NEXT) | instid1(VALU_DEP_1)
	v_and_b32_e32 v3, 0x7f000000, v2
	v_clz_i32_u32_e32 v5, v3
	v_add_nc_u32_e32 v7, 0x1000000, v3
	v_cmp_ne_u32_e32 vcc_lo, 0, v3
	s_delay_alu instid0(VALU_DEP_3) | instskip(NEXT) | instid1(VALU_DEP_1)
	v_min_u32_e32 v5, 32, v5
	v_sub_nc_u32_e64 v5, v5, 4 clamp
	s_delay_alu instid0(VALU_DEP_1) | instskip(NEXT) | instid1(VALU_DEP_1)
	v_dual_lshlrev_b32 v6, v5, v3 :: v_dual_lshlrev_b32 v5, 23, v5
	v_lshrrev_b32_e32 v6, 4, v6
	s_delay_alu instid0(VALU_DEP_1) | instskip(NEXT) | instid1(VALU_DEP_1)
	v_dual_sub_nc_u32 v5, v6, v5 :: v_dual_ashrrev_i32 v6, 8, v7
	v_add_nc_u32_e32 v5, 0x3c000000, v5
	s_delay_alu instid0(VALU_DEP_1) | instskip(NEXT) | instid1(VALU_DEP_1)
	v_and_or_b32 v5, 0x7f800000, v6, v5
	v_cndmask_b32_e32 v3, 0, v5, vcc_lo
	s_delay_alu instid0(VALU_DEP_1)
	v_and_or_b32 v2, 0x80000000, v2, v3
.LBB110_582:
	s_mov_b32 s2, 0
.LBB110_583:
	s_delay_alu instid0(SALU_CYCLE_1)
	s_and_not1_b32 vcc_lo, exec_lo, s2
	s_cbranch_vccnz .LBB110_585
; %bb.584:
	s_wait_loadcnt 0x0
	global_load_u8 v2, v[0:1], off
	s_wait_loadcnt 0x0
	v_lshlrev_b32_e32 v3, 25, v2
	v_lshlrev_b16 v2, 8, v2
	s_delay_alu instid0(VALU_DEP_2) | instskip(NEXT) | instid1(VALU_DEP_2)
	v_cmp_gt_u32_e32 vcc_lo, 0x8000000, v3
	v_and_or_b32 v6, 0x7f00, v2, 0.5
	v_lshrrev_b32_e32 v5, 4, v3
	v_bfe_i32 v2, v2, 0, 16
	s_delay_alu instid0(VALU_DEP_3) | instskip(NEXT) | instid1(VALU_DEP_3)
	v_add_f32_e32 v6, -0.5, v6
	v_or_b32_e32 v5, 0x70000000, v5
	s_delay_alu instid0(VALU_DEP_1) | instskip(NEXT) | instid1(VALU_DEP_1)
	v_mul_f32_e32 v5, 0x7800000, v5
	v_cndmask_b32_e32 v3, v5, v6, vcc_lo
	s_delay_alu instid0(VALU_DEP_1)
	v_and_or_b32 v2, 0x80000000, v2, v3
.LBB110_585:
	s_mov_b32 s24, 0
	s_mov_b32 s2, -1
.LBB110_586:
	s_and_not1_b32 vcc_lo, exec_lo, s24
	s_cbranch_vccnz .LBB110_599
; %bb.587:
	s_cmp_gt_i32 s1, 14
	s_cbranch_scc0 .LBB110_590
; %bb.588:
	s_cmp_eq_u32 s1, 15
	s_cbranch_scc0 .LBB110_593
; %bb.589:
	s_wait_loadcnt 0x0
	global_load_u16 v2, v[0:1], off
	s_mov_b32 s2, -1
	s_mov_b32 s23, 0
	s_wait_loadcnt 0x0
	v_lshlrev_b32_e32 v2, 16, v2
	s_branch .LBB110_594
.LBB110_590:
	s_mov_b32 s24, -1
                                        ; implicit-def: $vgpr2
	s_branch .LBB110_595
.LBB110_591:
	s_or_saveexec_b32 s24, s24
	v_mov_b32_e32 v2, 0x7f800001
	s_xor_b32 exec_lo, exec_lo, s24
	s_cbranch_execz .LBB110_572
.LBB110_592:
	v_cmp_ne_u16_e32 vcc_lo, 0, v3
	v_mov_b32_e32 v2, 0
	s_and_not1_b32 s2, s2, exec_lo
	s_and_b32 s25, vcc_lo, exec_lo
	s_delay_alu instid0(SALU_CYCLE_1)
	s_or_b32 s2, s2, s25
	s_or_b32 exec_lo, exec_lo, s24
	s_and_saveexec_b32 s24, s2
	s_cbranch_execnz .LBB110_573
	s_branch .LBB110_574
.LBB110_593:
	s_mov_b32 s23, -1
                                        ; implicit-def: $vgpr2
.LBB110_594:
	s_mov_b32 s24, 0
.LBB110_595:
	s_delay_alu instid0(SALU_CYCLE_1)
	s_and_b32 vcc_lo, exec_lo, s24
	s_cbranch_vccz .LBB110_599
; %bb.596:
	s_cmp_eq_u32 s1, 11
	s_cbranch_scc0 .LBB110_598
; %bb.597:
	s_wait_loadcnt 0x0
	global_load_u8 v2, v[0:1], off
	s_mov_b32 s23, 0
	s_mov_b32 s2, -1
	s_wait_loadcnt 0x0
	v_cmp_ne_u16_e32 vcc_lo, 0, v2
	v_cndmask_b32_e64 v2, 0, 1.0, vcc_lo
	s_branch .LBB110_599
.LBB110_598:
	s_mov_b32 s23, -1
                                        ; implicit-def: $vgpr2
.LBB110_599:
	s_mov_b32 s24, 0
.LBB110_600:
	s_delay_alu instid0(SALU_CYCLE_1)
	s_and_b32 vcc_lo, exec_lo, s24
	s_cbranch_vccz .LBB110_649
; %bb.601:
	s_cmp_lt_i32 s1, 5
	s_cbranch_scc1 .LBB110_606
; %bb.602:
	s_cmp_lt_i32 s1, 8
	s_cbranch_scc1 .LBB110_607
	;; [unrolled: 3-line block ×3, first 2 shown]
; %bb.604:
	s_cmp_gt_i32 s1, 9
	s_cbranch_scc0 .LBB110_609
; %bb.605:
	s_wait_loadcnt 0x0
	global_load_b64 v[2:3], v[0:1], off
	s_mov_b32 s2, 0
	s_wait_loadcnt 0x0
	v_cvt_f32_f64_e32 v2, v[2:3]
	s_branch .LBB110_610
.LBB110_606:
	s_mov_b32 s2, -1
                                        ; implicit-def: $vgpr2
	s_branch .LBB110_628
.LBB110_607:
	s_mov_b32 s2, -1
                                        ; implicit-def: $vgpr2
	s_branch .LBB110_616
.LBB110_608:
	s_mov_b32 s2, -1
                                        ; implicit-def: $vgpr2
	s_branch .LBB110_613
.LBB110_609:
	s_mov_b32 s2, -1
                                        ; implicit-def: $vgpr2
.LBB110_610:
	s_delay_alu instid0(SALU_CYCLE_1)
	s_and_not1_b32 vcc_lo, exec_lo, s2
	s_cbranch_vccnz .LBB110_612
; %bb.611:
	s_wait_loadcnt 0x0
	global_load_b32 v2, v[0:1], off
.LBB110_612:
	s_mov_b32 s2, 0
.LBB110_613:
	s_delay_alu instid0(SALU_CYCLE_1)
	s_and_not1_b32 vcc_lo, exec_lo, s2
	s_cbranch_vccnz .LBB110_615
; %bb.614:
	s_wait_loadcnt 0x0
	global_load_b32 v2, v[0:1], off
	s_wait_loadcnt 0x0
	v_cvt_f32_f16_e32 v2, v2
.LBB110_615:
	s_mov_b32 s2, 0
.LBB110_616:
	s_delay_alu instid0(SALU_CYCLE_1)
	s_and_not1_b32 vcc_lo, exec_lo, s2
	s_cbranch_vccnz .LBB110_627
; %bb.617:
	s_cmp_lt_i32 s1, 6
	s_cbranch_scc1 .LBB110_620
; %bb.618:
	s_cmp_gt_i32 s1, 6
	s_cbranch_scc0 .LBB110_621
; %bb.619:
	s_wait_loadcnt 0x0
	global_load_b64 v[2:3], v[0:1], off
	s_mov_b32 s2, 0
	s_wait_loadcnt 0x0
	v_cvt_f32_f64_e32 v2, v[2:3]
	s_branch .LBB110_622
.LBB110_620:
	s_mov_b32 s2, -1
                                        ; implicit-def: $vgpr2
	s_branch .LBB110_625
.LBB110_621:
	s_mov_b32 s2, -1
                                        ; implicit-def: $vgpr2
.LBB110_622:
	s_delay_alu instid0(SALU_CYCLE_1)
	s_and_not1_b32 vcc_lo, exec_lo, s2
	s_cbranch_vccnz .LBB110_624
; %bb.623:
	s_wait_loadcnt 0x0
	global_load_b32 v2, v[0:1], off
.LBB110_624:
	s_mov_b32 s2, 0
.LBB110_625:
	s_delay_alu instid0(SALU_CYCLE_1)
	s_and_not1_b32 vcc_lo, exec_lo, s2
	s_cbranch_vccnz .LBB110_627
; %bb.626:
	s_wait_loadcnt 0x0
	global_load_u16 v2, v[0:1], off
	s_wait_loadcnt 0x0
	v_cvt_f32_f16_e32 v2, v2
.LBB110_627:
	s_mov_b32 s2, 0
.LBB110_628:
	s_delay_alu instid0(SALU_CYCLE_1)
	s_and_not1_b32 vcc_lo, exec_lo, s2
	s_cbranch_vccnz .LBB110_648
; %bb.629:
	s_cmp_lt_i32 s1, 2
	s_cbranch_scc1 .LBB110_633
; %bb.630:
	s_cmp_lt_i32 s1, 3
	s_cbranch_scc1 .LBB110_634
; %bb.631:
	s_cmp_gt_i32 s1, 3
	s_cbranch_scc0 .LBB110_635
; %bb.632:
	s_wait_loadcnt 0x0
	global_load_b64 v[2:3], v[0:1], off
	s_mov_b32 s2, 0
	s_wait_loadcnt 0x0
	v_xor_b32_e32 v5, v2, v3
	v_cls_i32_e32 v6, v3
	s_delay_alu instid0(VALU_DEP_2) | instskip(NEXT) | instid1(VALU_DEP_1)
	v_ashrrev_i32_e32 v5, 31, v5
	v_add_nc_u32_e32 v5, 32, v5
	s_delay_alu instid0(VALU_DEP_1) | instskip(NEXT) | instid1(VALU_DEP_1)
	v_add_min_u32_e64 v5, v6, -1, v5
	v_lshlrev_b64_e32 v[2:3], v5, v[2:3]
	s_delay_alu instid0(VALU_DEP_1) | instskip(NEXT) | instid1(VALU_DEP_1)
	v_min_u32_e32 v2, 1, v2
	v_dual_sub_nc_u32 v3, 32, v5 :: v_dual_bitop2_b32 v2, v3, v2 bitop3:0x54
	s_delay_alu instid0(VALU_DEP_1) | instskip(NEXT) | instid1(VALU_DEP_1)
	v_cvt_f32_i32_e32 v2, v2
	v_ldexp_f32 v2, v2, v3
	s_branch .LBB110_636
.LBB110_633:
	s_mov_b32 s2, -1
                                        ; implicit-def: $vgpr2
	s_branch .LBB110_642
.LBB110_634:
	s_mov_b32 s2, -1
                                        ; implicit-def: $vgpr2
	s_branch .LBB110_639
.LBB110_635:
	s_mov_b32 s2, -1
                                        ; implicit-def: $vgpr2
.LBB110_636:
	s_delay_alu instid0(SALU_CYCLE_1)
	s_and_not1_b32 vcc_lo, exec_lo, s2
	s_cbranch_vccnz .LBB110_638
; %bb.637:
	s_wait_loadcnt 0x0
	global_load_b32 v2, v[0:1], off
	s_wait_loadcnt 0x0
	v_cvt_f32_i32_e32 v2, v2
.LBB110_638:
	s_mov_b32 s2, 0
.LBB110_639:
	s_delay_alu instid0(SALU_CYCLE_1)
	s_and_not1_b32 vcc_lo, exec_lo, s2
	s_cbranch_vccnz .LBB110_641
; %bb.640:
	s_wait_loadcnt 0x0
	global_load_i16 v2, v[0:1], off
	s_wait_loadcnt 0x0
	v_cvt_f32_i32_e32 v2, v2
.LBB110_641:
	s_mov_b32 s2, 0
.LBB110_642:
	s_delay_alu instid0(SALU_CYCLE_1)
	s_and_not1_b32 vcc_lo, exec_lo, s2
	s_cbranch_vccnz .LBB110_648
; %bb.643:
	s_cmp_gt_i32 s1, 0
	s_mov_b32 s1, 0
	s_cbranch_scc0 .LBB110_645
; %bb.644:
	s_wait_loadcnt 0x0
	global_load_i8 v2, v[0:1], off
	s_wait_loadcnt 0x0
	v_cvt_f32_i32_e32 v2, v2
	s_branch .LBB110_646
.LBB110_645:
	s_mov_b32 s1, -1
                                        ; implicit-def: $vgpr2
.LBB110_646:
	s_delay_alu instid0(SALU_CYCLE_1)
	s_and_not1_b32 vcc_lo, exec_lo, s1
	s_cbranch_vccnz .LBB110_648
; %bb.647:
	global_load_u8 v0, v[0:1], off
	s_wait_loadcnt 0x0
	v_cvt_f32_ubyte0_e32 v2, v0
.LBB110_648:
	s_mov_b32 s2, -1
.LBB110_649:
	s_delay_alu instid0(SALU_CYCLE_1)
	s_and_not1_b32 vcc_lo, exec_lo, s2
	s_cbranch_vccnz .LBB110_657
; %bb.650:
	s_wait_loadcnt 0x0
	s_delay_alu instid0(VALU_DEP_1) | instskip(SKIP_3) | instid1(SALU_CYCLE_1)
	v_cmp_eq_f32_e32 vcc_lo, s11, v2
	s_wait_xcnt 0x0
	v_mul_lo_u32 v0, v4, s8
	s_and_b32 s24, s3, 0xff
	s_cmp_lt_i32 s24, 11
	v_cndmask_b32_e64 v1, 0, 1, vcc_lo
	v_cmp_neq_f32_e32 vcc_lo, s11, v2
	v_cndmask_b32_e64 v2, 0, 1, vcc_lo
	s_delay_alu instid0(VALU_DEP_1) | instskip(NEXT) | instid1(VALU_DEP_1)
	v_dual_cndmask_b32 v2, v2, v1, s0 :: v_dual_ashrrev_i32 v1, 31, v0
	v_and_b32_e32 v2, 1, v2
	s_delay_alu instid0(VALU_DEP_2) | instskip(NEXT) | instid1(VALU_DEP_2)
	v_add_nc_u64_e32 v[0:1], s[4:5], v[0:1]
	v_cmp_eq_u32_e64 s1, 1, v2
	s_cbranch_scc1 .LBB110_658
; %bb.651:
	s_and_b32 s25, 0xffff, s24
	s_delay_alu instid0(SALU_CYCLE_1)
	s_cmp_gt_i32 s25, 25
	s_cbranch_scc0 .LBB110_659
; %bb.652:
	s_cmp_gt_i32 s25, 28
	s_cbranch_scc0 .LBB110_660
; %bb.653:
	;; [unrolled: 3-line block ×4, first 2 shown]
	s_mov_b32 s27, 0
	s_mov_b32 s2, -1
	s_cmp_eq_u32 s25, 46
	s_mov_b32 s26, 0
	s_cbranch_scc0 .LBB110_663
; %bb.656:
	v_cndmask_b32_e64 v2, 0, 1.0, s1
	s_mov_b32 s26, -1
	s_mov_b32 s2, 0
	s_delay_alu instid0(VALU_DEP_1) | instskip(NEXT) | instid1(VALU_DEP_1)
	v_bfe_u32 v3, v2, 16, 1
	v_add3_u32 v2, v2, v3, 0x7fff
	s_delay_alu instid0(VALU_DEP_1)
	v_lshrrev_b32_e32 v2, 16, v2
	global_store_b32 v[0:1], v2, off
	s_branch .LBB110_663
.LBB110_657:
	s_mov_b32 s24, 0
	s_mov_b32 s2, s20
	s_branch .LBB110_774
.LBB110_658:
	s_mov_b32 s25, -1
	s_mov_b32 s26, 0
	s_mov_b32 s2, s20
	s_branch .LBB110_732
.LBB110_659:
	s_mov_b32 s27, -1
	s_mov_b32 s26, 0
	s_mov_b32 s2, s20
	s_branch .LBB110_690
.LBB110_660:
	s_mov_b32 s27, -1
	s_mov_b32 s26, 0
	s_mov_b32 s2, s20
	s_branch .LBB110_673
.LBB110_661:
	s_mov_b32 s27, -1
	s_mov_b32 s26, 0
	s_mov_b32 s2, s20
	s_branch .LBB110_669
.LBB110_662:
	s_mov_b32 s27, -1
	s_mov_b32 s26, 0
	s_mov_b32 s2, s20
.LBB110_663:
	s_and_b32 vcc_lo, exec_lo, s27
	s_cbranch_vccz .LBB110_668
; %bb.664:
	s_cmp_eq_u32 s25, 44
	s_mov_b32 s2, -1
	s_cbranch_scc0 .LBB110_668
; %bb.665:
	v_cndmask_b32_e64 v5, 0, 1.0, s1
	s_mov_b32 s26, exec_lo
	s_wait_xcnt 0x0
	s_delay_alu instid0(VALU_DEP_1) | instskip(NEXT) | instid1(VALU_DEP_1)
	v_dual_mov_b32 v3, 0xff :: v_dual_lshrrev_b32 v2, 23, v5
	v_cmpx_ne_u32_e32 0xff, v2
; %bb.666:
	v_and_b32_e32 v3, 0x400000, v5
	v_and_or_b32 v5, 0x3fffff, v5, v2
	s_delay_alu instid0(VALU_DEP_2) | instskip(NEXT) | instid1(VALU_DEP_2)
	v_cmp_ne_u32_e32 vcc_lo, 0, v3
	v_cmp_ne_u32_e64 s2, 0, v5
	s_and_b32 s2, vcc_lo, s2
	s_delay_alu instid0(SALU_CYCLE_1) | instskip(NEXT) | instid1(VALU_DEP_1)
	v_cndmask_b32_e64 v3, 0, 1, s2
	v_add_nc_u32_e32 v3, v2, v3
; %bb.667:
	s_or_b32 exec_lo, exec_lo, s26
	s_mov_b32 s26, -1
	s_mov_b32 s2, 0
	global_store_b8 v[0:1], v3, off
.LBB110_668:
	s_mov_b32 s27, 0
.LBB110_669:
	s_delay_alu instid0(SALU_CYCLE_1)
	s_and_b32 vcc_lo, exec_lo, s27
	s_cbranch_vccz .LBB110_672
; %bb.670:
	s_cmp_eq_u32 s25, 29
	s_mov_b32 s2, -1
	s_cbranch_scc0 .LBB110_672
; %bb.671:
	s_mov_b32 s2, 0
	s_wait_xcnt 0x0
	v_cndmask_b32_e64 v2, 0, 1, s1
	v_mov_b32_e32 v3, s2
	s_mov_b32 s26, -1
	s_mov_b32 s27, 0
	global_store_b64 v[0:1], v[2:3], off
	s_branch .LBB110_673
.LBB110_672:
	s_mov_b32 s27, 0
.LBB110_673:
	s_delay_alu instid0(SALU_CYCLE_1)
	s_and_b32 vcc_lo, exec_lo, s27
	s_cbranch_vccz .LBB110_689
; %bb.674:
	s_cmp_lt_i32 s25, 27
	s_mov_b32 s26, -1
	s_cbranch_scc1 .LBB110_680
; %bb.675:
	s_cmp_gt_i32 s25, 27
	s_cbranch_scc0 .LBB110_677
; %bb.676:
	s_wait_xcnt 0x0
	v_cndmask_b32_e64 v2, 0, 1, s1
	s_mov_b32 s26, 0
	global_store_b32 v[0:1], v2, off
.LBB110_677:
	s_and_not1_b32 vcc_lo, exec_lo, s26
	s_cbranch_vccnz .LBB110_679
; %bb.678:
	s_wait_xcnt 0x0
	v_cndmask_b32_e64 v2, 0, 1, s1
	global_store_b16 v[0:1], v2, off
.LBB110_679:
	s_mov_b32 s26, 0
.LBB110_680:
	s_delay_alu instid0(SALU_CYCLE_1)
	s_and_not1_b32 vcc_lo, exec_lo, s26
	s_cbranch_vccnz .LBB110_688
; %bb.681:
	s_wait_xcnt 0x0
	v_cndmask_b32_e64 v3, 0, 1.0, s1
	v_mov_b32_e32 v5, 0x80
	s_mov_b32 s26, exec_lo
	s_delay_alu instid0(VALU_DEP_2)
	v_cmpx_gt_u32_e32 0x43800000, v3
	s_cbranch_execz .LBB110_687
; %bb.682:
	s_mov_b32 s27, 0
	s_mov_b32 s28, exec_lo
                                        ; implicit-def: $vgpr2
	v_cmpx_lt_u32_e32 0x3bffffff, v3
	s_xor_b32 s28, exec_lo, s28
	s_cbranch_execz .LBB110_789
; %bb.683:
	v_bfe_u32 v2, v3, 20, 1
	s_mov_b32 s27, exec_lo
	s_delay_alu instid0(VALU_DEP_1) | instskip(NEXT) | instid1(VALU_DEP_1)
	v_add3_u32 v2, v3, v2, 0x487ffff
                                        ; implicit-def: $vgpr3
	v_lshrrev_b32_e32 v2, 20, v2
	s_and_not1_saveexec_b32 s28, s28
	s_cbranch_execnz .LBB110_790
.LBB110_684:
	s_or_b32 exec_lo, exec_lo, s28
	v_mov_b32_e32 v5, 0
	s_and_saveexec_b32 s28, s27
.LBB110_685:
	v_mov_b32_e32 v5, v2
.LBB110_686:
	s_or_b32 exec_lo, exec_lo, s28
.LBB110_687:
	s_delay_alu instid0(SALU_CYCLE_1)
	s_or_b32 exec_lo, exec_lo, s26
	global_store_b8 v[0:1], v5, off
.LBB110_688:
	s_mov_b32 s26, -1
.LBB110_689:
	s_mov_b32 s27, 0
.LBB110_690:
	s_delay_alu instid0(SALU_CYCLE_1)
	s_and_b32 vcc_lo, exec_lo, s27
	s_cbranch_vccz .LBB110_731
; %bb.691:
	s_cmp_gt_i32 s25, 22
	s_mov_b32 s27, -1
	s_cbranch_scc0 .LBB110_723
; %bb.692:
	s_cmp_lt_i32 s25, 24
	s_mov_b32 s26, -1
	s_cbranch_scc1 .LBB110_712
; %bb.693:
	s_cmp_gt_i32 s25, 24
	s_cbranch_scc0 .LBB110_701
; %bb.694:
	s_wait_xcnt 0x0
	v_cndmask_b32_e64 v3, 0, 1.0, s1
	v_mov_b32_e32 v5, 0x80
	s_mov_b32 s26, exec_lo
	s_delay_alu instid0(VALU_DEP_2)
	v_cmpx_gt_u32_e32 0x47800000, v3
	s_cbranch_execz .LBB110_700
; %bb.695:
	s_mov_b32 s27, 0
	s_mov_b32 s28, exec_lo
                                        ; implicit-def: $vgpr2
	v_cmpx_lt_u32_e32 0x37ffffff, v3
	s_xor_b32 s28, exec_lo, s28
	s_cbranch_execz .LBB110_792
; %bb.696:
	v_bfe_u32 v2, v3, 21, 1
	s_mov_b32 s27, exec_lo
	s_delay_alu instid0(VALU_DEP_1) | instskip(NEXT) | instid1(VALU_DEP_1)
	v_add3_u32 v2, v3, v2, 0x88fffff
                                        ; implicit-def: $vgpr3
	v_lshrrev_b32_e32 v2, 21, v2
	s_and_not1_saveexec_b32 s28, s28
	s_cbranch_execnz .LBB110_793
.LBB110_697:
	s_or_b32 exec_lo, exec_lo, s28
	v_mov_b32_e32 v5, 0
	s_and_saveexec_b32 s28, s27
.LBB110_698:
	v_mov_b32_e32 v5, v2
.LBB110_699:
	s_or_b32 exec_lo, exec_lo, s28
.LBB110_700:
	s_delay_alu instid0(SALU_CYCLE_1)
	s_or_b32 exec_lo, exec_lo, s26
	s_mov_b32 s26, 0
	global_store_b8 v[0:1], v5, off
.LBB110_701:
	s_and_b32 vcc_lo, exec_lo, s26
	s_cbranch_vccz .LBB110_711
; %bb.702:
	s_wait_xcnt 0x0
	v_cndmask_b32_e64 v3, 0, 1.0, s1
	s_mov_b32 s26, exec_lo
                                        ; implicit-def: $vgpr2
	s_delay_alu instid0(VALU_DEP_1)
	v_cmpx_gt_u32_e32 0x43f00000, v3
	s_xor_b32 s26, exec_lo, s26
	s_cbranch_execz .LBB110_708
; %bb.703:
	s_mov_b32 s27, exec_lo
                                        ; implicit-def: $vgpr2
	v_cmpx_lt_u32_e32 0x3c7fffff, v3
	s_xor_b32 s27, exec_lo, s27
; %bb.704:
	v_bfe_u32 v2, v3, 20, 1
	s_delay_alu instid0(VALU_DEP_1) | instskip(NEXT) | instid1(VALU_DEP_1)
	v_add3_u32 v2, v3, v2, 0x407ffff
	v_and_b32_e32 v3, 0xff00000, v2
	v_lshrrev_b32_e32 v2, 20, v2
	s_delay_alu instid0(VALU_DEP_2) | instskip(NEXT) | instid1(VALU_DEP_2)
	v_cmp_ne_u32_e32 vcc_lo, 0x7f00000, v3
                                        ; implicit-def: $vgpr3
	v_cndmask_b32_e32 v2, 0x7e, v2, vcc_lo
; %bb.705:
	s_and_not1_saveexec_b32 s27, s27
; %bb.706:
	v_add_f32_e32 v2, 0x46800000, v3
; %bb.707:
	s_or_b32 exec_lo, exec_lo, s27
                                        ; implicit-def: $vgpr3
.LBB110_708:
	s_and_not1_saveexec_b32 s26, s26
; %bb.709:
	v_mov_b32_e32 v2, 0x7f
	v_cmp_lt_u32_e32 vcc_lo, 0x7f800000, v3
	s_delay_alu instid0(VALU_DEP_2)
	v_cndmask_b32_e32 v2, 0x7e, v2, vcc_lo
; %bb.710:
	s_or_b32 exec_lo, exec_lo, s26
	global_store_b8 v[0:1], v2, off
.LBB110_711:
	s_mov_b32 s26, 0
.LBB110_712:
	s_delay_alu instid0(SALU_CYCLE_1)
	s_and_not1_b32 vcc_lo, exec_lo, s26
	s_cbranch_vccnz .LBB110_722
; %bb.713:
	s_wait_xcnt 0x0
	v_cndmask_b32_e64 v3, 0, 1.0, s1
	s_mov_b32 s26, exec_lo
                                        ; implicit-def: $vgpr2
	s_delay_alu instid0(VALU_DEP_1)
	v_cmpx_gt_u32_e32 0x47800000, v3
	s_xor_b32 s26, exec_lo, s26
	s_cbranch_execz .LBB110_719
; %bb.714:
	s_mov_b32 s27, exec_lo
                                        ; implicit-def: $vgpr2
	v_cmpx_lt_u32_e32 0x387fffff, v3
	s_xor_b32 s27, exec_lo, s27
; %bb.715:
	v_bfe_u32 v2, v3, 21, 1
	s_delay_alu instid0(VALU_DEP_1) | instskip(NEXT) | instid1(VALU_DEP_1)
	v_add3_u32 v2, v3, v2, 0x80fffff
                                        ; implicit-def: $vgpr3
	v_lshrrev_b32_e32 v2, 21, v2
; %bb.716:
	s_and_not1_saveexec_b32 s27, s27
; %bb.717:
	v_add_f32_e32 v2, 0x43000000, v3
; %bb.718:
	s_or_b32 exec_lo, exec_lo, s27
                                        ; implicit-def: $vgpr3
.LBB110_719:
	s_and_not1_saveexec_b32 s26, s26
; %bb.720:
	v_mov_b32_e32 v2, 0x7f
	v_cmp_lt_u32_e32 vcc_lo, 0x7f800000, v3
	s_delay_alu instid0(VALU_DEP_2)
	v_cndmask_b32_e32 v2, 0x7c, v2, vcc_lo
; %bb.721:
	s_or_b32 exec_lo, exec_lo, s26
	global_store_b8 v[0:1], v2, off
.LBB110_722:
	s_mov_b32 s27, 0
	s_mov_b32 s26, -1
.LBB110_723:
	s_and_not1_b32 vcc_lo, exec_lo, s27
	s_cbranch_vccnz .LBB110_731
; %bb.724:
	s_cmp_gt_i32 s25, 14
	s_mov_b32 s27, -1
	s_cbranch_scc0 .LBB110_728
; %bb.725:
	s_cmp_eq_u32 s25, 15
	s_mov_b32 s2, -1
	s_cbranch_scc0 .LBB110_727
; %bb.726:
	s_wait_xcnt 0x0
	v_cndmask_b32_e64 v2, 0, 1.0, s1
	s_mov_b32 s26, -1
	s_mov_b32 s2, 0
	s_delay_alu instid0(VALU_DEP_1) | instskip(NEXT) | instid1(VALU_DEP_1)
	v_bfe_u32 v3, v2, 16, 1
	v_add3_u32 v2, v2, v3, 0x7fff
	global_store_d16_hi_b16 v[0:1], v2, off
.LBB110_727:
	s_mov_b32 s27, 0
.LBB110_728:
	s_delay_alu instid0(SALU_CYCLE_1)
	s_and_b32 vcc_lo, exec_lo, s27
	s_cbranch_vccz .LBB110_731
; %bb.729:
	s_cmp_eq_u32 s25, 11
	s_mov_b32 s2, -1
	s_cbranch_scc0 .LBB110_731
; %bb.730:
	s_wait_xcnt 0x0
	v_cndmask_b32_e64 v2, 0, 1, s1
	s_mov_b32 s26, -1
	s_mov_b32 s2, 0
	global_store_b8 v[0:1], v2, off
.LBB110_731:
	s_mov_b32 s25, 0
.LBB110_732:
	s_delay_alu instid0(SALU_CYCLE_1)
	s_and_b32 vcc_lo, exec_lo, s25
	s_cbranch_vccz .LBB110_771
; %bb.733:
	s_and_b32 s24, 0xffff, s24
	s_mov_b32 s25, -1
	s_cmp_lt_i32 s24, 5
	s_cbranch_scc1 .LBB110_754
; %bb.734:
	s_cmp_lt_i32 s24, 8
	s_cbranch_scc1 .LBB110_744
; %bb.735:
	s_cmp_lt_i32 s24, 9
	s_cbranch_scc1 .LBB110_741
; %bb.736:
	s_cmp_gt_i32 s24, 9
	s_cbranch_scc0 .LBB110_738
; %bb.737:
	s_wait_xcnt 0x0
	v_cndmask_b32_e64 v2, 0, 1, s1
	v_mov_b32_e32 v8, 0
	s_mov_b32 s25, 0
	s_delay_alu instid0(VALU_DEP_2) | instskip(NEXT) | instid1(VALU_DEP_2)
	v_cvt_f64_u32_e32 v[6:7], v2
	v_mov_b32_e32 v9, v8
	global_store_b128 v[0:1], v[6:9], off
.LBB110_738:
	s_and_not1_b32 vcc_lo, exec_lo, s25
	s_cbranch_vccnz .LBB110_740
; %bb.739:
	s_wait_xcnt 0x0
	v_cndmask_b32_e64 v2, 0, 1.0, s1
	v_mov_b32_e32 v3, 0
	global_store_b64 v[0:1], v[2:3], off
.LBB110_740:
	s_mov_b32 s25, 0
.LBB110_741:
	s_delay_alu instid0(SALU_CYCLE_1)
	s_and_not1_b32 vcc_lo, exec_lo, s25
	s_cbranch_vccnz .LBB110_743
; %bb.742:
	s_wait_xcnt 0x0
	v_cndmask_b32_e64 v2, 0, 1.0, s1
	s_delay_alu instid0(VALU_DEP_1) | instskip(NEXT) | instid1(VALU_DEP_1)
	v_cvt_f16_f32_e32 v2, v2
	v_and_b32_e32 v2, 0xffff, v2
	global_store_b32 v[0:1], v2, off
.LBB110_743:
	s_mov_b32 s25, 0
.LBB110_744:
	s_delay_alu instid0(SALU_CYCLE_1)
	s_and_not1_b32 vcc_lo, exec_lo, s25
	s_cbranch_vccnz .LBB110_753
; %bb.745:
	s_cmp_lt_i32 s24, 6
	s_mov_b32 s25, -1
	s_cbranch_scc1 .LBB110_751
; %bb.746:
	s_cmp_gt_i32 s24, 6
	s_cbranch_scc0 .LBB110_748
; %bb.747:
	s_wait_xcnt 0x0
	v_cndmask_b32_e64 v2, 0, 1, s1
	s_mov_b32 s25, 0
	s_delay_alu instid0(VALU_DEP_1)
	v_cvt_f64_u32_e32 v[2:3], v2
	global_store_b64 v[0:1], v[2:3], off
.LBB110_748:
	s_and_not1_b32 vcc_lo, exec_lo, s25
	s_cbranch_vccnz .LBB110_750
; %bb.749:
	s_wait_xcnt 0x0
	v_cndmask_b32_e64 v2, 0, 1.0, s1
	global_store_b32 v[0:1], v2, off
.LBB110_750:
	s_mov_b32 s25, 0
.LBB110_751:
	s_delay_alu instid0(SALU_CYCLE_1)
	s_and_not1_b32 vcc_lo, exec_lo, s25
	s_cbranch_vccnz .LBB110_753
; %bb.752:
	s_wait_xcnt 0x0
	v_cndmask_b32_e64 v2, 0, 1.0, s1
	s_delay_alu instid0(VALU_DEP_1)
	v_cvt_f16_f32_e32 v2, v2
	global_store_b16 v[0:1], v2, off
.LBB110_753:
	s_mov_b32 s25, 0
.LBB110_754:
	s_delay_alu instid0(SALU_CYCLE_1)
	s_and_not1_b32 vcc_lo, exec_lo, s25
	s_cbranch_vccnz .LBB110_770
; %bb.755:
	s_cmp_lt_i32 s24, 2
	s_mov_b32 s25, -1
	s_cbranch_scc1 .LBB110_765
; %bb.756:
	s_cmp_lt_i32 s24, 3
	s_cbranch_scc1 .LBB110_762
; %bb.757:
	s_cmp_gt_i32 s24, 3
	s_cbranch_scc0 .LBB110_759
; %bb.758:
	s_mov_b32 s25, 0
	s_wait_xcnt 0x0
	v_cndmask_b32_e64 v2, 0, 1, s1
	v_mov_b32_e32 v3, s25
	global_store_b64 v[0:1], v[2:3], off
.LBB110_759:
	s_and_not1_b32 vcc_lo, exec_lo, s25
	s_cbranch_vccnz .LBB110_761
; %bb.760:
	s_wait_xcnt 0x0
	v_cndmask_b32_e64 v2, 0, 1, s1
	global_store_b32 v[0:1], v2, off
.LBB110_761:
	s_mov_b32 s25, 0
.LBB110_762:
	s_delay_alu instid0(SALU_CYCLE_1)
	s_and_not1_b32 vcc_lo, exec_lo, s25
	s_cbranch_vccnz .LBB110_764
; %bb.763:
	s_wait_xcnt 0x0
	v_cndmask_b32_e64 v2, 0, 1, s1
	global_store_b16 v[0:1], v2, off
.LBB110_764:
	s_mov_b32 s25, 0
.LBB110_765:
	s_delay_alu instid0(SALU_CYCLE_1)
	s_and_not1_b32 vcc_lo, exec_lo, s25
	s_cbranch_vccnz .LBB110_770
; %bb.766:
	s_wait_xcnt 0x0
	v_cndmask_b32_e64 v2, 0, 1, s1
	s_cmp_gt_i32 s24, 0
	s_mov_b32 s1, -1
	s_cbranch_scc0 .LBB110_768
; %bb.767:
	s_mov_b32 s1, 0
	global_store_b8 v[0:1], v2, off
.LBB110_768:
	s_and_not1_b32 vcc_lo, exec_lo, s1
	s_cbranch_vccnz .LBB110_770
; %bb.769:
	global_store_b8 v[0:1], v2, off
.LBB110_770:
	s_mov_b32 s26, -1
.LBB110_771:
	s_delay_alu instid0(SALU_CYCLE_1)
	s_and_not1_b32 vcc_lo, exec_lo, s26
	s_cbranch_vccnz .LBB110_773
; %bb.772:
	v_add_nc_u32_e32 v4, 0x80, v4
	s_mov_b32 s24, -1
	s_branch .LBB110_775
.LBB110_773:
	s_mov_b32 s24, 0
.LBB110_774:
                                        ; implicit-def: $vgpr4
.LBB110_775:
	s_and_not1_b32 s1, s20, exec_lo
	s_and_b32 s2, s2, exec_lo
	s_and_not1_b32 s25, s19, exec_lo
	s_and_b32 s23, s23, exec_lo
	s_or_b32 s2, s1, s2
	s_or_b32 s1, s25, s23
	s_or_not1_b32 s26, s24, exec_lo
.LBB110_776:
	s_wait_xcnt 0x0
	s_or_b32 exec_lo, exec_lo, s22
	s_mov_b32 s23, 0
	s_mov_b32 s24, 0
	;; [unrolled: 1-line block ×3, first 2 shown]
                                        ; implicit-def: $vgpr0_vgpr1
                                        ; implicit-def: $vgpr2
	s_and_saveexec_b32 s22, s26
	s_cbranch_execz .LBB110_861
; %bb.777:
	v_cmp_gt_i32_e32 vcc_lo, s16, v4
	s_mov_b32 s27, s1
	s_mov_b32 s26, 0
	;; [unrolled: 1-line block ×3, first 2 shown]
                                        ; implicit-def: $vgpr0_vgpr1
                                        ; implicit-def: $vgpr2
	s_and_saveexec_b32 s16, vcc_lo
	s_cbranch_execz .LBB110_860
; %bb.778:
	v_mul_lo_u32 v0, v4, s9
	s_and_b32 s23, 0xffff, s13
	s_delay_alu instid0(SALU_CYCLE_1) | instskip(NEXT) | instid1(VALU_DEP_1)
	s_cmp_lt_i32 s23, 11
	v_ashrrev_i32_e32 v1, 31, v0
	s_delay_alu instid0(VALU_DEP_1)
	v_add_nc_u64_e32 v[0:1], s[6:7], v[0:1]
	s_cbranch_scc1 .LBB110_785
; %bb.779:
	s_cmp_gt_i32 s23, 25
	s_cbranch_scc0 .LBB110_786
; %bb.780:
	s_cmp_gt_i32 s23, 28
	s_cbranch_scc0 .LBB110_787
	;; [unrolled: 3-line block ×4, first 2 shown]
; %bb.783:
	s_cmp_eq_u32 s23, 46
	s_mov_b32 s27, 0
	s_cbranch_scc0 .LBB110_794
; %bb.784:
	s_wait_loadcnt 0x0
	global_load_b32 v2, v[0:1], off
	s_mov_b32 s26, -1
	s_wait_loadcnt 0x0
	v_lshlrev_b32_e32 v2, 16, v2
	s_branch .LBB110_796
.LBB110_785:
	s_mov_b32 s23, -1
	s_mov_b32 s24, s1
                                        ; implicit-def: $vgpr2
	s_branch .LBB110_859
.LBB110_786:
	s_mov_b32 s27, -1
	s_mov_b32 s24, s1
                                        ; implicit-def: $vgpr2
	s_branch .LBB110_825
.LBB110_787:
	s_mov_b32 s27, -1
	s_mov_b32 s24, s1
                                        ; implicit-def: $vgpr2
	s_branch .LBB110_806
.LBB110_788:
	s_mov_b32 s27, -1
	s_mov_b32 s24, s1
                                        ; implicit-def: $vgpr2
	s_branch .LBB110_801
.LBB110_789:
	s_and_not1_saveexec_b32 s28, s28
	s_cbranch_execz .LBB110_684
.LBB110_790:
	v_add_f32_e32 v2, 0x46000000, v3
	s_and_not1_b32 s27, s27, exec_lo
	s_delay_alu instid0(VALU_DEP_1) | instskip(NEXT) | instid1(VALU_DEP_1)
	v_and_b32_e32 v2, 0xff, v2
	v_cmp_ne_u32_e32 vcc_lo, 0, v2
	s_and_b32 s29, vcc_lo, exec_lo
	s_delay_alu instid0(SALU_CYCLE_1)
	s_or_b32 s27, s27, s29
	s_or_b32 exec_lo, exec_lo, s28
	v_mov_b32_e32 v5, 0
	s_and_saveexec_b32 s28, s27
	s_cbranch_execnz .LBB110_685
	s_branch .LBB110_686
.LBB110_791:
	s_mov_b32 s27, -1
	s_mov_b32 s24, s1
	s_branch .LBB110_795
.LBB110_792:
	s_and_not1_saveexec_b32 s28, s28
	s_cbranch_execz .LBB110_697
.LBB110_793:
	v_add_f32_e32 v2, 0x42800000, v3
	s_and_not1_b32 s27, s27, exec_lo
	s_delay_alu instid0(VALU_DEP_1) | instskip(NEXT) | instid1(VALU_DEP_1)
	v_and_b32_e32 v2, 0xff, v2
	v_cmp_ne_u32_e32 vcc_lo, 0, v2
	s_and_b32 s29, vcc_lo, exec_lo
	s_delay_alu instid0(SALU_CYCLE_1)
	s_or_b32 s27, s27, s29
	s_or_b32 exec_lo, exec_lo, s28
	v_mov_b32_e32 v5, 0
	s_and_saveexec_b32 s28, s27
	s_cbranch_execnz .LBB110_698
	s_branch .LBB110_699
.LBB110_794:
	s_mov_b32 s24, -1
.LBB110_795:
                                        ; implicit-def: $vgpr2
.LBB110_796:
	s_and_b32 vcc_lo, exec_lo, s27
	s_cbranch_vccz .LBB110_800
; %bb.797:
	s_cmp_eq_u32 s23, 44
	s_cbranch_scc0 .LBB110_799
; %bb.798:
	s_wait_loadcnt 0x0
	global_load_u8 v2, v[0:1], off
	s_mov_b32 s24, 0
	s_mov_b32 s26, -1
	s_wait_loadcnt 0x0
	v_lshlrev_b32_e32 v3, 23, v2
	v_cmp_ne_u32_e32 vcc_lo, 0xff, v2
	s_delay_alu instid0(VALU_DEP_2) | instskip(SKIP_1) | instid1(VALU_DEP_2)
	v_cndmask_b32_e32 v3, 0x7f800001, v3, vcc_lo
	v_cmp_ne_u32_e32 vcc_lo, 0, v2
	v_cndmask_b32_e32 v2, 0x400000, v3, vcc_lo
	s_branch .LBB110_800
.LBB110_799:
	s_mov_b32 s24, -1
                                        ; implicit-def: $vgpr2
.LBB110_800:
	s_mov_b32 s27, 0
.LBB110_801:
	s_delay_alu instid0(SALU_CYCLE_1)
	s_and_b32 vcc_lo, exec_lo, s27
	s_cbranch_vccz .LBB110_805
; %bb.802:
	s_cmp_eq_u32 s23, 29
	s_cbranch_scc0 .LBB110_804
; %bb.803:
	s_wait_loadcnt 0x0
	global_load_b64 v[2:3], v[0:1], off
	s_mov_b32 s24, 0
	s_mov_b32 s26, -1
	s_mov_b32 s27, 0
	s_wait_loadcnt 0x0
	v_clz_i32_u32_e32 v5, v3
	s_delay_alu instid0(VALU_DEP_1) | instskip(NEXT) | instid1(VALU_DEP_1)
	v_min_u32_e32 v5, 32, v5
	v_lshlrev_b64_e32 v[2:3], v5, v[2:3]
	s_delay_alu instid0(VALU_DEP_1) | instskip(NEXT) | instid1(VALU_DEP_1)
	v_min_u32_e32 v2, 1, v2
	v_dual_sub_nc_u32 v3, 32, v5 :: v_dual_bitop2_b32 v2, v3, v2 bitop3:0x54
	s_delay_alu instid0(VALU_DEP_1) | instskip(NEXT) | instid1(VALU_DEP_1)
	v_cvt_f32_u32_e32 v2, v2
	v_ldexp_f32 v2, v2, v3
	s_branch .LBB110_806
.LBB110_804:
	s_mov_b32 s24, -1
                                        ; implicit-def: $vgpr2
.LBB110_805:
	s_mov_b32 s27, 0
.LBB110_806:
	s_delay_alu instid0(SALU_CYCLE_1)
	s_and_b32 vcc_lo, exec_lo, s27
	s_cbranch_vccz .LBB110_824
; %bb.807:
	s_cmp_lt_i32 s23, 27
	s_cbranch_scc1 .LBB110_810
; %bb.808:
	s_cmp_gt_i32 s23, 27
	s_cbranch_scc0 .LBB110_811
; %bb.809:
	s_wait_loadcnt 0x0
	global_load_b32 v2, v[0:1], off
	s_mov_b32 s26, 0
	s_wait_loadcnt 0x0
	v_cvt_f32_u32_e32 v2, v2
	s_branch .LBB110_812
.LBB110_810:
	s_mov_b32 s26, -1
                                        ; implicit-def: $vgpr2
	s_branch .LBB110_815
.LBB110_811:
	s_mov_b32 s26, -1
                                        ; implicit-def: $vgpr2
.LBB110_812:
	s_delay_alu instid0(SALU_CYCLE_1)
	s_and_not1_b32 vcc_lo, exec_lo, s26
	s_cbranch_vccnz .LBB110_814
; %bb.813:
	s_wait_loadcnt 0x0
	global_load_u16 v2, v[0:1], off
	s_wait_loadcnt 0x0
	v_cvt_f32_u32_e32 v2, v2
.LBB110_814:
	s_mov_b32 s26, 0
.LBB110_815:
	s_delay_alu instid0(SALU_CYCLE_1)
	s_and_not1_b32 vcc_lo, exec_lo, s26
	s_cbranch_vccnz .LBB110_823
; %bb.816:
	global_load_u8 v3, v[0:1], off
	s_mov_b32 s26, 0
	s_mov_b32 s27, exec_lo
	s_wait_loadcnt 0x0
	v_cmpx_lt_i16_e32 0x7f, v3
	s_xor_b32 s27, exec_lo, s27
	s_cbranch_execz .LBB110_837
; %bb.817:
	s_mov_b32 s26, -1
	s_mov_b32 s28, exec_lo
	v_cmpx_eq_u16_e32 0x80, v3
; %bb.818:
	s_xor_b32 s26, exec_lo, -1
; %bb.819:
	s_or_b32 exec_lo, exec_lo, s28
	s_delay_alu instid0(SALU_CYCLE_1)
	s_and_b32 s26, s26, exec_lo
	s_or_saveexec_b32 s27, s27
	v_mov_b32_e32 v2, 0x7f800001
	s_xor_b32 exec_lo, exec_lo, s27
	s_cbranch_execnz .LBB110_838
.LBB110_820:
	s_or_b32 exec_lo, exec_lo, s27
	s_and_saveexec_b32 s27, s26
	s_cbranch_execz .LBB110_822
.LBB110_821:
	v_and_b32_e32 v2, 0xffff, v3
	s_delay_alu instid0(VALU_DEP_1) | instskip(SKIP_1) | instid1(VALU_DEP_2)
	v_dual_lshlrev_b32 v3, 24, v3 :: v_dual_bitop2_b32 v5, 7, v2 bitop3:0x40
	v_bfe_u32 v8, v2, 3, 4
	v_and_b32_e32 v3, 0x80000000, v3
	s_delay_alu instid0(VALU_DEP_3) | instskip(NEXT) | instid1(VALU_DEP_3)
	v_clz_i32_u32_e32 v6, v5
	v_cmp_eq_u32_e32 vcc_lo, 0, v8
	s_delay_alu instid0(VALU_DEP_2) | instskip(NEXT) | instid1(VALU_DEP_1)
	v_min_u32_e32 v6, 32, v6
	v_subrev_nc_u32_e32 v7, 28, v6
	v_sub_nc_u32_e32 v6, 29, v6
	s_delay_alu instid0(VALU_DEP_2) | instskip(NEXT) | instid1(VALU_DEP_2)
	v_lshlrev_b32_e32 v2, v7, v2
	v_cndmask_b32_e32 v6, v8, v6, vcc_lo
	s_delay_alu instid0(VALU_DEP_2) | instskip(NEXT) | instid1(VALU_DEP_1)
	v_and_b32_e32 v2, 7, v2
	v_cndmask_b32_e32 v2, v5, v2, vcc_lo
	s_delay_alu instid0(VALU_DEP_3) | instskip(NEXT) | instid1(VALU_DEP_2)
	v_lshl_add_u32 v5, v6, 23, 0x3b800000
	v_lshlrev_b32_e32 v2, 20, v2
	s_delay_alu instid0(VALU_DEP_1)
	v_or3_b32 v2, v3, v5, v2
.LBB110_822:
	s_or_b32 exec_lo, exec_lo, s27
.LBB110_823:
	s_mov_b32 s26, -1
.LBB110_824:
	s_mov_b32 s27, 0
.LBB110_825:
	s_delay_alu instid0(SALU_CYCLE_1)
	s_and_b32 vcc_lo, exec_lo, s27
	s_cbranch_vccz .LBB110_858
; %bb.826:
	s_cmp_gt_i32 s23, 22
	s_cbranch_scc0 .LBB110_836
; %bb.827:
	s_cmp_lt_i32 s23, 24
	s_cbranch_scc1 .LBB110_839
; %bb.828:
	s_cmp_gt_i32 s23, 24
	s_cbranch_scc0 .LBB110_840
; %bb.829:
	global_load_u8 v3, v[0:1], off
	s_mov_b32 s26, exec_lo
	s_wait_loadcnt 0x0
	v_cmpx_lt_i16_e32 0x7f, v3
	s_xor_b32 s26, exec_lo, s26
	s_cbranch_execz .LBB110_852
; %bb.830:
	s_mov_b32 s25, -1
	s_mov_b32 s27, exec_lo
	v_cmpx_eq_u16_e32 0x80, v3
; %bb.831:
	s_xor_b32 s25, exec_lo, -1
; %bb.832:
	s_or_b32 exec_lo, exec_lo, s27
	s_delay_alu instid0(SALU_CYCLE_1)
	s_and_b32 s25, s25, exec_lo
	s_or_saveexec_b32 s26, s26
	v_mov_b32_e32 v2, 0x7f800001
	s_xor_b32 exec_lo, exec_lo, s26
	s_cbranch_execnz .LBB110_853
.LBB110_833:
	s_or_b32 exec_lo, exec_lo, s26
	s_and_saveexec_b32 s26, s25
	s_cbranch_execz .LBB110_835
.LBB110_834:
	v_and_b32_e32 v2, 0xffff, v3
	s_delay_alu instid0(VALU_DEP_1) | instskip(SKIP_1) | instid1(VALU_DEP_2)
	v_dual_lshlrev_b32 v3, 24, v3 :: v_dual_bitop2_b32 v5, 3, v2 bitop3:0x40
	v_bfe_u32 v8, v2, 2, 5
	v_and_b32_e32 v3, 0x80000000, v3
	s_delay_alu instid0(VALU_DEP_3) | instskip(NEXT) | instid1(VALU_DEP_3)
	v_clz_i32_u32_e32 v6, v5
	v_cmp_eq_u32_e32 vcc_lo, 0, v8
	s_delay_alu instid0(VALU_DEP_2) | instskip(NEXT) | instid1(VALU_DEP_1)
	v_min_u32_e32 v6, 32, v6
	v_subrev_nc_u32_e32 v7, 29, v6
	v_sub_nc_u32_e32 v6, 30, v6
	s_delay_alu instid0(VALU_DEP_2) | instskip(NEXT) | instid1(VALU_DEP_2)
	v_lshlrev_b32_e32 v2, v7, v2
	v_cndmask_b32_e32 v6, v8, v6, vcc_lo
	s_delay_alu instid0(VALU_DEP_2) | instskip(NEXT) | instid1(VALU_DEP_1)
	v_and_b32_e32 v2, 3, v2
	v_cndmask_b32_e32 v2, v5, v2, vcc_lo
	s_delay_alu instid0(VALU_DEP_3) | instskip(NEXT) | instid1(VALU_DEP_2)
	v_lshl_add_u32 v5, v6, 23, 0x37800000
	v_lshlrev_b32_e32 v2, 21, v2
	s_delay_alu instid0(VALU_DEP_1)
	v_or3_b32 v2, v3, v5, v2
.LBB110_835:
	s_or_b32 exec_lo, exec_lo, s26
	s_mov_b32 s25, 0
	s_branch .LBB110_841
.LBB110_836:
	s_mov_b32 s25, -1
                                        ; implicit-def: $vgpr2
	s_branch .LBB110_847
.LBB110_837:
	s_or_saveexec_b32 s27, s27
	v_mov_b32_e32 v2, 0x7f800001
	s_xor_b32 exec_lo, exec_lo, s27
	s_cbranch_execz .LBB110_820
.LBB110_838:
	v_cmp_ne_u16_e32 vcc_lo, 0, v3
	v_mov_b32_e32 v2, 0
	s_and_not1_b32 s26, s26, exec_lo
	s_and_b32 s28, vcc_lo, exec_lo
	s_delay_alu instid0(SALU_CYCLE_1)
	s_or_b32 s26, s26, s28
	s_or_b32 exec_lo, exec_lo, s27
	s_and_saveexec_b32 s27, s26
	s_cbranch_execnz .LBB110_821
	s_branch .LBB110_822
.LBB110_839:
	s_mov_b32 s25, -1
                                        ; implicit-def: $vgpr2
	s_branch .LBB110_844
.LBB110_840:
	s_mov_b32 s25, -1
                                        ; implicit-def: $vgpr2
.LBB110_841:
	s_delay_alu instid0(SALU_CYCLE_1)
	s_and_b32 vcc_lo, exec_lo, s25
	s_cbranch_vccz .LBB110_843
; %bb.842:
	s_wait_loadcnt 0x0
	global_load_u8 v2, v[0:1], off
	s_wait_loadcnt 0x0
	v_lshlrev_b32_e32 v2, 24, v2
	s_delay_alu instid0(VALU_DEP_1) | instskip(NEXT) | instid1(VALU_DEP_1)
	v_and_b32_e32 v3, 0x7f000000, v2
	v_clz_i32_u32_e32 v5, v3
	v_add_nc_u32_e32 v7, 0x1000000, v3
	v_cmp_ne_u32_e32 vcc_lo, 0, v3
	s_delay_alu instid0(VALU_DEP_3) | instskip(NEXT) | instid1(VALU_DEP_1)
	v_min_u32_e32 v5, 32, v5
	v_sub_nc_u32_e64 v5, v5, 4 clamp
	s_delay_alu instid0(VALU_DEP_1) | instskip(NEXT) | instid1(VALU_DEP_1)
	v_dual_lshlrev_b32 v6, v5, v3 :: v_dual_lshlrev_b32 v5, 23, v5
	v_lshrrev_b32_e32 v6, 4, v6
	s_delay_alu instid0(VALU_DEP_1) | instskip(NEXT) | instid1(VALU_DEP_1)
	v_dual_sub_nc_u32 v5, v6, v5 :: v_dual_ashrrev_i32 v6, 8, v7
	v_add_nc_u32_e32 v5, 0x3c000000, v5
	s_delay_alu instid0(VALU_DEP_1) | instskip(NEXT) | instid1(VALU_DEP_1)
	v_and_or_b32 v5, 0x7f800000, v6, v5
	v_cndmask_b32_e32 v3, 0, v5, vcc_lo
	s_delay_alu instid0(VALU_DEP_1)
	v_and_or_b32 v2, 0x80000000, v2, v3
.LBB110_843:
	s_mov_b32 s25, 0
.LBB110_844:
	s_delay_alu instid0(SALU_CYCLE_1)
	s_and_not1_b32 vcc_lo, exec_lo, s25
	s_cbranch_vccnz .LBB110_846
; %bb.845:
	s_wait_loadcnt 0x0
	global_load_u8 v2, v[0:1], off
	s_wait_loadcnt 0x0
	v_lshlrev_b32_e32 v3, 25, v2
	v_lshlrev_b16 v2, 8, v2
	s_delay_alu instid0(VALU_DEP_2) | instskip(NEXT) | instid1(VALU_DEP_2)
	v_cmp_gt_u32_e32 vcc_lo, 0x8000000, v3
	v_and_or_b32 v6, 0x7f00, v2, 0.5
	v_lshrrev_b32_e32 v5, 4, v3
	v_bfe_i32 v2, v2, 0, 16
	s_delay_alu instid0(VALU_DEP_3) | instskip(NEXT) | instid1(VALU_DEP_3)
	v_add_f32_e32 v6, -0.5, v6
	v_or_b32_e32 v5, 0x70000000, v5
	s_delay_alu instid0(VALU_DEP_1) | instskip(NEXT) | instid1(VALU_DEP_1)
	v_mul_f32_e32 v5, 0x7800000, v5
	v_cndmask_b32_e32 v3, v5, v6, vcc_lo
	s_delay_alu instid0(VALU_DEP_1)
	v_and_or_b32 v2, 0x80000000, v2, v3
.LBB110_846:
	s_mov_b32 s25, 0
	s_mov_b32 s26, -1
.LBB110_847:
	s_and_not1_b32 vcc_lo, exec_lo, s25
	s_mov_b32 s25, 0
	s_cbranch_vccnz .LBB110_858
; %bb.848:
	s_cmp_gt_i32 s23, 14
	s_cbranch_scc0 .LBB110_851
; %bb.849:
	s_cmp_eq_u32 s23, 15
	s_cbranch_scc0 .LBB110_854
; %bb.850:
	s_wait_loadcnt 0x0
	global_load_u16 v2, v[0:1], off
	s_mov_b32 s24, 0
	s_mov_b32 s26, -1
	s_wait_loadcnt 0x0
	v_lshlrev_b32_e32 v2, 16, v2
	s_branch .LBB110_856
.LBB110_851:
	s_mov_b32 s25, -1
	s_branch .LBB110_855
.LBB110_852:
	s_or_saveexec_b32 s26, s26
	v_mov_b32_e32 v2, 0x7f800001
	s_xor_b32 exec_lo, exec_lo, s26
	s_cbranch_execz .LBB110_833
.LBB110_853:
	v_cmp_ne_u16_e32 vcc_lo, 0, v3
	v_mov_b32_e32 v2, 0
	s_and_not1_b32 s25, s25, exec_lo
	s_and_b32 s27, vcc_lo, exec_lo
	s_delay_alu instid0(SALU_CYCLE_1)
	s_or_b32 s25, s25, s27
	s_or_b32 exec_lo, exec_lo, s26
	s_and_saveexec_b32 s26, s25
	s_cbranch_execnz .LBB110_834
	s_branch .LBB110_835
.LBB110_854:
	s_mov_b32 s24, -1
.LBB110_855:
                                        ; implicit-def: $vgpr2
.LBB110_856:
	s_and_b32 vcc_lo, exec_lo, s25
	s_mov_b32 s25, 0
	s_cbranch_vccz .LBB110_858
; %bb.857:
	s_cmp_lg_u32 s23, 11
	s_mov_b32 s25, -1
	s_cselect_b32 s23, -1, 0
	s_and_not1_b32 s24, s24, exec_lo
	s_and_b32 s23, s23, exec_lo
	s_delay_alu instid0(SALU_CYCLE_1)
	s_or_b32 s24, s24, s23
.LBB110_858:
	s_mov_b32 s23, 0
.LBB110_859:
	s_and_not1_b32 s27, s1, exec_lo
	s_and_b32 s24, s24, exec_lo
	s_and_b32 s28, s26, exec_lo
	;; [unrolled: 1-line block ×4, first 2 shown]
	s_or_b32 s27, s27, s24
.LBB110_860:
	s_wait_xcnt 0x0
	s_or_b32 exec_lo, exec_lo, s16
	s_delay_alu instid0(SALU_CYCLE_1)
	s_and_not1_b32 s1, s1, exec_lo
	s_and_b32 s16, s27, exec_lo
	s_and_b32 s25, s28, exec_lo
	;; [unrolled: 1-line block ×4, first 2 shown]
	s_or_b32 s1, s1, s16
.LBB110_861:
	s_or_b32 exec_lo, exec_lo, s22
	s_delay_alu instid0(SALU_CYCLE_1)
	s_and_not1_b32 s16, s20, exec_lo
	s_and_b32 s2, s2, exec_lo
	s_and_b32 s22, s25, exec_lo
	s_or_b32 s20, s16, s2
	s_and_not1_b32 s16, s19, exec_lo
	s_and_b32 s19, s1, exec_lo
	s_and_b32 s2, s24, exec_lo
	;; [unrolled: 1-line block ×3, first 2 shown]
	s_or_b32 s19, s16, s19
.LBB110_862:
	s_or_b32 exec_lo, exec_lo, s21
	s_delay_alu instid0(SALU_CYCLE_1)
	s_and_not1_b32 s15, s15, exec_lo
	s_and_b32 s16, s20, exec_lo
	s_and_b32 s21, s2, exec_lo
	s_or_b32 s15, s15, s16
	s_and_not1_b32 s2, s17, exec_lo
	s_and_b32 s16, s19, exec_lo
	s_and_b32 s20, s22, exec_lo
	;; [unrolled: 1-line block ×3, first 2 shown]
	s_or_b32 s17, s2, s16
	s_or_b32 exec_lo, exec_lo, s18
	s_mov_b32 s1, 0
	s_and_saveexec_b32 s2, s17
	s_cbranch_execz .LBB110_262
.LBB110_863:
	s_mov_b32 s1, exec_lo
	s_and_not1_b32 s19, s19, exec_lo
	s_trap 2
	s_or_b32 exec_lo, exec_lo, s2
	s_and_saveexec_b32 s2, s19
	s_delay_alu instid0(SALU_CYCLE_1)
	s_xor_b32 s2, exec_lo, s2
	s_cbranch_execnz .LBB110_263
.LBB110_864:
	s_or_b32 exec_lo, exec_lo, s2
	s_and_saveexec_b32 s2, s21
	s_cbranch_execz .LBB110_910
.LBB110_865:
	s_sext_i32_i16 s16, s13
	s_delay_alu instid0(SALU_CYCLE_1)
	s_cmp_lt_i32 s16, 5
	s_cbranch_scc1 .LBB110_870
; %bb.866:
	s_cmp_lt_i32 s16, 8
	s_cbranch_scc1 .LBB110_871
; %bb.867:
	;; [unrolled: 3-line block ×3, first 2 shown]
	s_cmp_gt_i32 s16, 9
	s_cbranch_scc0 .LBB110_873
; %bb.869:
	s_wait_loadcnt 0x0
	global_load_b64 v[2:3], v[0:1], off
	s_mov_b32 s16, 0
	s_wait_loadcnt 0x0
	v_cvt_f32_f64_e32 v2, v[2:3]
	s_branch .LBB110_874
.LBB110_870:
                                        ; implicit-def: $vgpr2
	s_branch .LBB110_891
.LBB110_871:
                                        ; implicit-def: $vgpr2
	s_branch .LBB110_880
.LBB110_872:
	s_mov_b32 s16, -1
                                        ; implicit-def: $vgpr2
	s_branch .LBB110_877
.LBB110_873:
	s_mov_b32 s16, -1
                                        ; implicit-def: $vgpr2
.LBB110_874:
	s_delay_alu instid0(SALU_CYCLE_1)
	s_and_not1_b32 vcc_lo, exec_lo, s16
	s_cbranch_vccnz .LBB110_876
; %bb.875:
	s_wait_loadcnt 0x0
	global_load_b32 v2, v[0:1], off
.LBB110_876:
	s_mov_b32 s16, 0
.LBB110_877:
	s_delay_alu instid0(SALU_CYCLE_1)
	s_and_not1_b32 vcc_lo, exec_lo, s16
	s_cbranch_vccnz .LBB110_879
; %bb.878:
	s_wait_loadcnt 0x0
	global_load_b32 v2, v[0:1], off
	s_wait_loadcnt 0x0
	v_cvt_f32_f16_e32 v2, v2
.LBB110_879:
	s_cbranch_execnz .LBB110_890
.LBB110_880:
	s_sext_i32_i16 s16, s13
	s_delay_alu instid0(SALU_CYCLE_1)
	s_cmp_lt_i32 s16, 6
	s_cbranch_scc1 .LBB110_883
; %bb.881:
	s_cmp_gt_i32 s16, 6
	s_cbranch_scc0 .LBB110_884
; %bb.882:
	s_wait_loadcnt 0x0
	global_load_b64 v[2:3], v[0:1], off
	s_mov_b32 s16, 0
	s_wait_loadcnt 0x0
	v_cvt_f32_f64_e32 v2, v[2:3]
	s_branch .LBB110_885
.LBB110_883:
	s_mov_b32 s16, -1
                                        ; implicit-def: $vgpr2
	s_branch .LBB110_888
.LBB110_884:
	s_mov_b32 s16, -1
                                        ; implicit-def: $vgpr2
.LBB110_885:
	s_delay_alu instid0(SALU_CYCLE_1)
	s_and_not1_b32 vcc_lo, exec_lo, s16
	s_cbranch_vccnz .LBB110_887
; %bb.886:
	s_wait_loadcnt 0x0
	global_load_b32 v2, v[0:1], off
.LBB110_887:
	s_mov_b32 s16, 0
.LBB110_888:
	s_delay_alu instid0(SALU_CYCLE_1)
	s_and_not1_b32 vcc_lo, exec_lo, s16
	s_cbranch_vccnz .LBB110_890
; %bb.889:
	s_wait_loadcnt 0x0
	global_load_u16 v2, v[0:1], off
	s_wait_loadcnt 0x0
	v_cvt_f32_f16_e32 v2, v2
.LBB110_890:
	s_cbranch_execnz .LBB110_909
.LBB110_891:
	s_sext_i32_i16 s16, s13
	s_delay_alu instid0(SALU_CYCLE_1)
	s_cmp_lt_i32 s16, 2
	s_cbranch_scc1 .LBB110_895
; %bb.892:
	s_cmp_lt_i32 s16, 3
	s_cbranch_scc1 .LBB110_896
; %bb.893:
	s_cmp_gt_i32 s16, 3
	s_cbranch_scc0 .LBB110_897
; %bb.894:
	s_wait_loadcnt 0x0
	global_load_b64 v[2:3], v[0:1], off
	s_mov_b32 s16, 0
	s_wait_loadcnt 0x0
	v_xor_b32_e32 v5, v2, v3
	v_cls_i32_e32 v6, v3
	s_delay_alu instid0(VALU_DEP_2) | instskip(NEXT) | instid1(VALU_DEP_1)
	v_ashrrev_i32_e32 v5, 31, v5
	v_add_nc_u32_e32 v5, 32, v5
	s_delay_alu instid0(VALU_DEP_1) | instskip(NEXT) | instid1(VALU_DEP_1)
	v_add_min_u32_e64 v5, v6, -1, v5
	v_lshlrev_b64_e32 v[2:3], v5, v[2:3]
	s_delay_alu instid0(VALU_DEP_1) | instskip(NEXT) | instid1(VALU_DEP_1)
	v_min_u32_e32 v2, 1, v2
	v_dual_sub_nc_u32 v3, 32, v5 :: v_dual_bitop2_b32 v2, v3, v2 bitop3:0x54
	s_delay_alu instid0(VALU_DEP_1) | instskip(NEXT) | instid1(VALU_DEP_1)
	v_cvt_f32_i32_e32 v2, v2
	v_ldexp_f32 v2, v2, v3
	s_branch .LBB110_898
.LBB110_895:
                                        ; implicit-def: $vgpr2
	s_branch .LBB110_904
.LBB110_896:
	s_mov_b32 s16, -1
                                        ; implicit-def: $vgpr2
	s_branch .LBB110_901
.LBB110_897:
	s_mov_b32 s16, -1
                                        ; implicit-def: $vgpr2
.LBB110_898:
	s_delay_alu instid0(SALU_CYCLE_1)
	s_and_not1_b32 vcc_lo, exec_lo, s16
	s_cbranch_vccnz .LBB110_900
; %bb.899:
	s_wait_loadcnt 0x0
	global_load_b32 v2, v[0:1], off
	s_wait_loadcnt 0x0
	v_cvt_f32_i32_e32 v2, v2
.LBB110_900:
	s_mov_b32 s16, 0
.LBB110_901:
	s_delay_alu instid0(SALU_CYCLE_1)
	s_and_not1_b32 vcc_lo, exec_lo, s16
	s_cbranch_vccnz .LBB110_903
; %bb.902:
	s_wait_loadcnt 0x0
	global_load_i16 v2, v[0:1], off
	s_wait_loadcnt 0x0
	v_cvt_f32_i32_e32 v2, v2
.LBB110_903:
	s_cbranch_execnz .LBB110_909
.LBB110_904:
	s_sext_i32_i16 s16, s13
	s_delay_alu instid0(SALU_CYCLE_1)
	s_cmp_gt_i32 s16, 0
	s_mov_b32 s16, 0
	s_cbranch_scc0 .LBB110_906
; %bb.905:
	s_wait_loadcnt 0x0
	global_load_i8 v2, v[0:1], off
	s_wait_loadcnt 0x0
	v_cvt_f32_i32_e32 v2, v2
	s_branch .LBB110_907
.LBB110_906:
	s_mov_b32 s16, -1
                                        ; implicit-def: $vgpr2
.LBB110_907:
	s_delay_alu instid0(SALU_CYCLE_1)
	s_and_not1_b32 vcc_lo, exec_lo, s16
	s_cbranch_vccnz .LBB110_909
; %bb.908:
	global_load_u8 v0, v[0:1], off
	s_wait_loadcnt 0x0
	v_cvt_f32_ubyte0_e32 v2, v0
.LBB110_909:
	s_or_b32 s20, s20, exec_lo
.LBB110_910:
	s_wait_xcnt 0x0
	s_or_b32 exec_lo, exec_lo, s2
	s_mov_b32 s19, 0
	s_mov_b32 s18, 0
                                        ; implicit-def: $sgpr2
                                        ; implicit-def: $sgpr16
                                        ; implicit-def: $vgpr0_vgpr1
	s_and_saveexec_b32 s17, s20
	s_cbranch_execz .LBB110_918
; %bb.911:
	s_wait_loadcnt 0x0
	s_delay_alu instid0(VALU_DEP_1) | instskip(SKIP_2) | instid1(SALU_CYCLE_1)
	v_cmp_eq_f32_e32 vcc_lo, s11, v2
	v_mul_lo_u32 v0, v4, s8
	s_and_b32 s16, s3, 0xff
	s_cmp_lt_i32 s16, 11
	v_cndmask_b32_e64 v1, 0, 1, vcc_lo
	v_cmp_neq_f32_e32 vcc_lo, s11, v2
	v_cndmask_b32_e64 v2, 0, 1, vcc_lo
	s_delay_alu instid0(VALU_DEP_1) | instskip(NEXT) | instid1(VALU_DEP_1)
	v_dual_cndmask_b32 v2, v2, v1, s0 :: v_dual_ashrrev_i32 v1, 31, v0
	v_and_b32_e32 v2, 1, v2
	s_delay_alu instid0(VALU_DEP_2) | instskip(NEXT) | instid1(VALU_DEP_2)
	v_add_nc_u64_e32 v[0:1], s[4:5], v[0:1]
	v_cmp_eq_u32_e64 s2, 1, v2
	s_cbranch_scc1 .LBB110_921
; %bb.912:
	s_and_b32 s18, 0xffff, s16
	s_mov_b32 s19, -1
	s_cmp_gt_i32 s18, 25
	s_mov_b32 s0, s15
	s_cbranch_scc0 .LBB110_949
; %bb.913:
	s_cmp_gt_i32 s18, 28
	s_mov_b32 s0, s15
	s_cbranch_scc0 .LBB110_933
; %bb.914:
	;; [unrolled: 4-line block ×4, first 2 shown]
	s_cmp_eq_u32 s18, 46
	s_mov_b32 s0, -1
	s_cbranch_scc0 .LBB110_922
; %bb.917:
	v_cndmask_b32_e64 v2, 0, 1.0, s2
	s_mov_b32 s0, 0
	s_mov_b32 s19, 0
	s_delay_alu instid0(VALU_DEP_1) | instskip(NEXT) | instid1(VALU_DEP_1)
	v_bfe_u32 v3, v2, 16, 1
	v_add3_u32 v2, v2, v3, 0x7fff
	s_delay_alu instid0(VALU_DEP_1)
	v_lshrrev_b32_e32 v2, 16, v2
	global_store_b32 v[0:1], v2, off
	s_branch .LBB110_923
.LBB110_918:
	s_or_b32 exec_lo, exec_lo, s17
	s_and_saveexec_b32 s0, s15
	s_cbranch_execnz .LBB110_991
.LBB110_919:
	s_or_b32 exec_lo, exec_lo, s0
	s_and_saveexec_b32 s0, s19
	s_delay_alu instid0(SALU_CYCLE_1)
	s_xor_b32 s0, exec_lo, s0
	s_cbranch_execz .LBB110_992
.LBB110_920:
	s_wait_loadcnt 0x0
	v_cndmask_b32_e64 v2, 0, 1, s2
	global_store_b8 v[0:1], v2, off
	s_wait_xcnt 0x0
	s_or_b32 exec_lo, exec_lo, s0
	s_and_saveexec_b32 s0, s18
	s_delay_alu instid0(SALU_CYCLE_1)
	s_xor_b32 s0, exec_lo, s0
	s_cbranch_execz .LBB110_1030
	s_branch .LBB110_993
.LBB110_921:
	s_mov_b32 s20, 0
	s_mov_b32 s19, -1
	s_mov_b32 s0, s15
	s_branch .LBB110_990
.LBB110_922:
	s_mov_b32 s19, 0
.LBB110_923:
	s_delay_alu instid0(SALU_CYCLE_1)
	s_and_b32 vcc_lo, exec_lo, s19
	s_cbranch_vccz .LBB110_928
; %bb.924:
	s_cmp_eq_u32 s18, 44
	s_mov_b32 s0, -1
	s_cbranch_scc0 .LBB110_928
; %bb.925:
	v_cndmask_b32_e64 v4, 0, 1.0, s2
	s_mov_b32 s19, exec_lo
	s_wait_xcnt 0x0
	s_delay_alu instid0(VALU_DEP_1) | instskip(NEXT) | instid1(VALU_DEP_1)
	v_dual_mov_b32 v3, 0xff :: v_dual_lshrrev_b32 v2, 23, v4
	v_cmpx_ne_u32_e32 0xff, v2
; %bb.926:
	v_and_b32_e32 v3, 0x400000, v4
	v_and_or_b32 v4, 0x3fffff, v4, v2
	s_delay_alu instid0(VALU_DEP_2) | instskip(NEXT) | instid1(VALU_DEP_2)
	v_cmp_ne_u32_e32 vcc_lo, 0, v3
	v_cmp_ne_u32_e64 s0, 0, v4
	s_and_b32 s0, vcc_lo, s0
	s_delay_alu instid0(SALU_CYCLE_1) | instskip(NEXT) | instid1(VALU_DEP_1)
	v_cndmask_b32_e64 v3, 0, 1, s0
	v_add_nc_u32_e32 v3, v2, v3
; %bb.927:
	s_or_b32 exec_lo, exec_lo, s19
	s_mov_b32 s0, 0
	global_store_b8 v[0:1], v3, off
.LBB110_928:
	s_mov_b32 s19, 0
.LBB110_929:
	s_delay_alu instid0(SALU_CYCLE_1)
	s_and_b32 vcc_lo, exec_lo, s19
	s_cbranch_vccz .LBB110_932
; %bb.930:
	s_cmp_eq_u32 s18, 29
	s_mov_b32 s0, -1
	s_cbranch_scc0 .LBB110_932
; %bb.931:
	s_mov_b32 s0, 0
	s_wait_xcnt 0x0
	v_cndmask_b32_e64 v2, 0, 1, s2
	v_mov_b32_e32 v3, s0
	s_mov_b32 s19, 0
	global_store_b64 v[0:1], v[2:3], off
	s_branch .LBB110_933
.LBB110_932:
	s_mov_b32 s19, 0
.LBB110_933:
	s_delay_alu instid0(SALU_CYCLE_1)
	s_and_b32 vcc_lo, exec_lo, s19
	s_cbranch_vccz .LBB110_948
; %bb.934:
	s_cmp_lt_i32 s18, 27
	s_mov_b32 s19, -1
	s_cbranch_scc1 .LBB110_940
; %bb.935:
	s_wait_xcnt 0x0
	v_cndmask_b32_e64 v2, 0, 1, s2
	s_cmp_gt_i32 s18, 27
	s_cbranch_scc0 .LBB110_937
; %bb.936:
	s_mov_b32 s19, 0
	global_store_b32 v[0:1], v2, off
.LBB110_937:
	s_and_not1_b32 vcc_lo, exec_lo, s19
	s_cbranch_vccnz .LBB110_939
; %bb.938:
	global_store_b16 v[0:1], v2, off
.LBB110_939:
	s_mov_b32 s19, 0
.LBB110_940:
	s_delay_alu instid0(SALU_CYCLE_1)
	s_and_not1_b32 vcc_lo, exec_lo, s19
	s_cbranch_vccnz .LBB110_948
; %bb.941:
	s_wait_xcnt 0x0
	v_cndmask_b32_e64 v3, 0, 1.0, s2
	v_mov_b32_e32 v4, 0x80
	s_mov_b32 s19, exec_lo
	s_delay_alu instid0(VALU_DEP_2)
	v_cmpx_gt_u32_e32 0x43800000, v3
	s_cbranch_execz .LBB110_947
; %bb.942:
	s_mov_b32 s20, 0
	s_mov_b32 s21, exec_lo
                                        ; implicit-def: $vgpr2
	v_cmpx_lt_u32_e32 0x3bffffff, v3
	s_xor_b32 s21, exec_lo, s21
	s_cbranch_execz .LBB110_1045
; %bb.943:
	v_bfe_u32 v2, v3, 20, 1
	s_mov_b32 s20, exec_lo
	s_delay_alu instid0(VALU_DEP_1) | instskip(NEXT) | instid1(VALU_DEP_1)
	v_add3_u32 v2, v3, v2, 0x487ffff
                                        ; implicit-def: $vgpr3
	v_lshrrev_b32_e32 v2, 20, v2
	s_and_not1_saveexec_b32 s21, s21
	s_cbranch_execnz .LBB110_1046
.LBB110_944:
	s_or_b32 exec_lo, exec_lo, s21
	v_mov_b32_e32 v4, 0
	s_and_saveexec_b32 s21, s20
.LBB110_945:
	v_mov_b32_e32 v4, v2
.LBB110_946:
	s_or_b32 exec_lo, exec_lo, s21
.LBB110_947:
	s_delay_alu instid0(SALU_CYCLE_1)
	s_or_b32 exec_lo, exec_lo, s19
	global_store_b8 v[0:1], v4, off
.LBB110_948:
	s_mov_b32 s19, 0
.LBB110_949:
	s_delay_alu instid0(SALU_CYCLE_1)
	s_and_b32 vcc_lo, exec_lo, s19
	s_mov_b32 s19, 0
	s_cbranch_vccz .LBB110_989
; %bb.950:
	s_cmp_gt_i32 s18, 22
	s_mov_b32 s20, -1
	s_cbranch_scc0 .LBB110_982
; %bb.951:
	s_cmp_lt_i32 s18, 24
	s_cbranch_scc1 .LBB110_971
; %bb.952:
	s_cmp_gt_i32 s18, 24
	s_cbranch_scc0 .LBB110_960
; %bb.953:
	s_wait_xcnt 0x0
	v_cndmask_b32_e64 v3, 0, 1.0, s2
	v_mov_b32_e32 v4, 0x80
	s_mov_b32 s20, exec_lo
	s_delay_alu instid0(VALU_DEP_2)
	v_cmpx_gt_u32_e32 0x47800000, v3
	s_cbranch_execz .LBB110_959
; %bb.954:
	s_mov_b32 s21, 0
	s_mov_b32 s22, exec_lo
                                        ; implicit-def: $vgpr2
	v_cmpx_lt_u32_e32 0x37ffffff, v3
	s_xor_b32 s22, exec_lo, s22
	s_cbranch_execz .LBB110_1171
; %bb.955:
	v_bfe_u32 v2, v3, 21, 1
	s_mov_b32 s21, exec_lo
	s_delay_alu instid0(VALU_DEP_1) | instskip(NEXT) | instid1(VALU_DEP_1)
	v_add3_u32 v2, v3, v2, 0x88fffff
                                        ; implicit-def: $vgpr3
	v_lshrrev_b32_e32 v2, 21, v2
	s_and_not1_saveexec_b32 s22, s22
	s_cbranch_execnz .LBB110_1172
.LBB110_956:
	s_or_b32 exec_lo, exec_lo, s22
	v_mov_b32_e32 v4, 0
	s_and_saveexec_b32 s22, s21
.LBB110_957:
	v_mov_b32_e32 v4, v2
.LBB110_958:
	s_or_b32 exec_lo, exec_lo, s22
.LBB110_959:
	s_delay_alu instid0(SALU_CYCLE_1)
	s_or_b32 exec_lo, exec_lo, s20
	s_mov_b32 s20, 0
	global_store_b8 v[0:1], v4, off
.LBB110_960:
	s_and_b32 vcc_lo, exec_lo, s20
	s_cbranch_vccz .LBB110_970
; %bb.961:
	s_wait_xcnt 0x0
	v_cndmask_b32_e64 v3, 0, 1.0, s2
	s_mov_b32 s20, exec_lo
                                        ; implicit-def: $vgpr2
	s_delay_alu instid0(VALU_DEP_1)
	v_cmpx_gt_u32_e32 0x43f00000, v3
	s_xor_b32 s20, exec_lo, s20
	s_cbranch_execz .LBB110_967
; %bb.962:
	s_mov_b32 s21, exec_lo
                                        ; implicit-def: $vgpr2
	v_cmpx_lt_u32_e32 0x3c7fffff, v3
	s_xor_b32 s21, exec_lo, s21
; %bb.963:
	v_bfe_u32 v2, v3, 20, 1
	s_delay_alu instid0(VALU_DEP_1) | instskip(NEXT) | instid1(VALU_DEP_1)
	v_add3_u32 v2, v3, v2, 0x407ffff
	v_and_b32_e32 v3, 0xff00000, v2
	v_lshrrev_b32_e32 v2, 20, v2
	s_delay_alu instid0(VALU_DEP_2) | instskip(NEXT) | instid1(VALU_DEP_2)
	v_cmp_ne_u32_e32 vcc_lo, 0x7f00000, v3
                                        ; implicit-def: $vgpr3
	v_cndmask_b32_e32 v2, 0x7e, v2, vcc_lo
; %bb.964:
	s_and_not1_saveexec_b32 s21, s21
; %bb.965:
	v_add_f32_e32 v2, 0x46800000, v3
; %bb.966:
	s_or_b32 exec_lo, exec_lo, s21
                                        ; implicit-def: $vgpr3
.LBB110_967:
	s_and_not1_saveexec_b32 s20, s20
; %bb.968:
	v_mov_b32_e32 v2, 0x7f
	v_cmp_lt_u32_e32 vcc_lo, 0x7f800000, v3
	s_delay_alu instid0(VALU_DEP_2)
	v_cndmask_b32_e32 v2, 0x7e, v2, vcc_lo
; %bb.969:
	s_or_b32 exec_lo, exec_lo, s20
	global_store_b8 v[0:1], v2, off
.LBB110_970:
	s_mov_b32 s20, 0
.LBB110_971:
	s_delay_alu instid0(SALU_CYCLE_1)
	s_and_not1_b32 vcc_lo, exec_lo, s20
	s_cbranch_vccnz .LBB110_981
; %bb.972:
	s_wait_xcnt 0x0
	v_cndmask_b32_e64 v3, 0, 1.0, s2
	s_mov_b32 s20, exec_lo
                                        ; implicit-def: $vgpr2
	s_delay_alu instid0(VALU_DEP_1)
	v_cmpx_gt_u32_e32 0x47800000, v3
	s_xor_b32 s20, exec_lo, s20
	s_cbranch_execz .LBB110_978
; %bb.973:
	s_mov_b32 s21, exec_lo
                                        ; implicit-def: $vgpr2
	v_cmpx_lt_u32_e32 0x387fffff, v3
	s_xor_b32 s21, exec_lo, s21
; %bb.974:
	v_bfe_u32 v2, v3, 21, 1
	s_delay_alu instid0(VALU_DEP_1) | instskip(NEXT) | instid1(VALU_DEP_1)
	v_add3_u32 v2, v3, v2, 0x80fffff
                                        ; implicit-def: $vgpr3
	v_lshrrev_b32_e32 v2, 21, v2
; %bb.975:
	s_and_not1_saveexec_b32 s21, s21
; %bb.976:
	v_add_f32_e32 v2, 0x43000000, v3
; %bb.977:
	s_or_b32 exec_lo, exec_lo, s21
                                        ; implicit-def: $vgpr3
.LBB110_978:
	s_and_not1_saveexec_b32 s20, s20
; %bb.979:
	v_mov_b32_e32 v2, 0x7f
	v_cmp_lt_u32_e32 vcc_lo, 0x7f800000, v3
	s_delay_alu instid0(VALU_DEP_2)
	v_cndmask_b32_e32 v2, 0x7c, v2, vcc_lo
; %bb.980:
	s_or_b32 exec_lo, exec_lo, s20
	global_store_b8 v[0:1], v2, off
.LBB110_981:
	s_mov_b32 s20, 0
.LBB110_982:
	s_delay_alu instid0(SALU_CYCLE_1)
	s_and_not1_b32 vcc_lo, exec_lo, s20
	s_mov_b32 s20, 0
	s_cbranch_vccnz .LBB110_990
; %bb.983:
	s_cmp_gt_i32 s18, 14
	s_mov_b32 s20, -1
	s_cbranch_scc0 .LBB110_987
; %bb.984:
	s_cmp_eq_u32 s18, 15
	s_mov_b32 s0, -1
	s_cbranch_scc0 .LBB110_986
; %bb.985:
	s_wait_xcnt 0x0
	v_cndmask_b32_e64 v2, 0, 1.0, s2
	s_mov_b32 s0, 0
	s_delay_alu instid0(VALU_DEP_1) | instskip(NEXT) | instid1(VALU_DEP_1)
	v_bfe_u32 v3, v2, 16, 1
	v_add3_u32 v2, v2, v3, 0x7fff
	global_store_d16_hi_b16 v[0:1], v2, off
.LBB110_986:
	s_mov_b32 s20, 0
.LBB110_987:
	s_delay_alu instid0(SALU_CYCLE_1)
	s_and_b32 vcc_lo, exec_lo, s20
	s_mov_b32 s20, 0
	s_cbranch_vccz .LBB110_990
; %bb.988:
	s_cmp_lg_u32 s18, 11
	s_mov_b32 s20, -1
	s_cselect_b32 s18, -1, 0
	s_and_not1_b32 s0, s0, exec_lo
	s_and_b32 s18, s18, exec_lo
	s_delay_alu instid0(SALU_CYCLE_1)
	s_or_b32 s0, s0, s18
	s_branch .LBB110_990
.LBB110_989:
	s_mov_b32 s20, 0
.LBB110_990:
	s_and_not1_b32 s15, s15, exec_lo
	s_and_b32 s0, s0, exec_lo
	s_and_b32 s18, s19, exec_lo
	;; [unrolled: 1-line block ×3, first 2 shown]
	s_or_b32 s15, s15, s0
	s_wait_xcnt 0x0
	s_or_b32 exec_lo, exec_lo, s17
	s_and_saveexec_b32 s0, s15
	s_cbranch_execz .LBB110_919
.LBB110_991:
	s_or_b32 s1, s1, exec_lo
	s_and_not1_b32 s19, s19, exec_lo
	s_trap 2
	s_or_b32 exec_lo, exec_lo, s0
	s_and_saveexec_b32 s0, s19
	s_delay_alu instid0(SALU_CYCLE_1)
	s_xor_b32 s0, exec_lo, s0
	s_cbranch_execnz .LBB110_920
.LBB110_992:
	s_or_b32 exec_lo, exec_lo, s0
	s_and_saveexec_b32 s0, s18
	s_delay_alu instid0(SALU_CYCLE_1)
	s_xor_b32 s0, exec_lo, s0
	s_cbranch_execz .LBB110_1030
.LBB110_993:
	s_sext_i32_i16 s17, s16
	s_mov_b32 s15, -1
	s_cmp_lt_i32 s17, 5
	s_cbranch_scc1 .LBB110_1014
; %bb.994:
	s_cmp_lt_i32 s17, 8
	s_cbranch_scc1 .LBB110_1004
; %bb.995:
	;; [unrolled: 3-line block ×3, first 2 shown]
	s_cmp_gt_i32 s17, 9
	s_cbranch_scc0 .LBB110_998
; %bb.997:
	s_wait_loadcnt 0x0
	v_cndmask_b32_e64 v2, 0, 1, s2
	v_mov_b32_e32 v4, 0
	s_mov_b32 s15, 0
	s_delay_alu instid0(VALU_DEP_2) | instskip(NEXT) | instid1(VALU_DEP_2)
	v_cvt_f64_u32_e32 v[2:3], v2
	v_mov_b32_e32 v5, v4
	global_store_b128 v[0:1], v[2:5], off
.LBB110_998:
	s_and_not1_b32 vcc_lo, exec_lo, s15
	s_cbranch_vccnz .LBB110_1000
; %bb.999:
	s_wait_loadcnt 0x0
	v_cndmask_b32_e64 v2, 0, 1.0, s2
	v_mov_b32_e32 v3, 0
	global_store_b64 v[0:1], v[2:3], off
.LBB110_1000:
	s_mov_b32 s15, 0
.LBB110_1001:
	s_delay_alu instid0(SALU_CYCLE_1)
	s_and_not1_b32 vcc_lo, exec_lo, s15
	s_cbranch_vccnz .LBB110_1003
; %bb.1002:
	s_wait_loadcnt 0x0
	v_cndmask_b32_e64 v2, 0, 1.0, s2
	s_delay_alu instid0(VALU_DEP_1) | instskip(NEXT) | instid1(VALU_DEP_1)
	v_cvt_f16_f32_e32 v2, v2
	v_and_b32_e32 v2, 0xffff, v2
	global_store_b32 v[0:1], v2, off
.LBB110_1003:
	s_mov_b32 s15, 0
.LBB110_1004:
	s_delay_alu instid0(SALU_CYCLE_1)
	s_and_not1_b32 vcc_lo, exec_lo, s15
	s_cbranch_vccnz .LBB110_1013
; %bb.1005:
	s_sext_i32_i16 s17, s16
	s_mov_b32 s15, -1
	s_cmp_lt_i32 s17, 6
	s_cbranch_scc1 .LBB110_1011
; %bb.1006:
	s_cmp_gt_i32 s17, 6
	s_cbranch_scc0 .LBB110_1008
; %bb.1007:
	s_wait_loadcnt 0x0
	v_cndmask_b32_e64 v2, 0, 1, s2
	s_mov_b32 s15, 0
	s_delay_alu instid0(VALU_DEP_1)
	v_cvt_f64_u32_e32 v[2:3], v2
	global_store_b64 v[0:1], v[2:3], off
.LBB110_1008:
	s_and_not1_b32 vcc_lo, exec_lo, s15
	s_cbranch_vccnz .LBB110_1010
; %bb.1009:
	s_wait_loadcnt 0x0
	v_cndmask_b32_e64 v2, 0, 1.0, s2
	global_store_b32 v[0:1], v2, off
.LBB110_1010:
	s_mov_b32 s15, 0
.LBB110_1011:
	s_delay_alu instid0(SALU_CYCLE_1)
	s_and_not1_b32 vcc_lo, exec_lo, s15
	s_cbranch_vccnz .LBB110_1013
; %bb.1012:
	s_wait_loadcnt 0x0
	v_cndmask_b32_e64 v2, 0, 1.0, s2
	s_delay_alu instid0(VALU_DEP_1)
	v_cvt_f16_f32_e32 v2, v2
	global_store_b16 v[0:1], v2, off
.LBB110_1013:
	s_mov_b32 s15, 0
.LBB110_1014:
	s_delay_alu instid0(SALU_CYCLE_1)
	s_and_not1_b32 vcc_lo, exec_lo, s15
	s_cbranch_vccnz .LBB110_1030
; %bb.1015:
	s_sext_i32_i16 s17, s16
	s_mov_b32 s15, -1
	s_cmp_lt_i32 s17, 2
	s_cbranch_scc1 .LBB110_1025
; %bb.1016:
	s_cmp_lt_i32 s17, 3
	s_cbranch_scc1 .LBB110_1022
; %bb.1017:
	s_cmp_gt_i32 s17, 3
	s_cbranch_scc0 .LBB110_1019
; %bb.1018:
	s_mov_b32 s15, 0
	s_wait_loadcnt 0x0
	v_cndmask_b32_e64 v2, 0, 1, s2
	v_mov_b32_e32 v3, s15
	global_store_b64 v[0:1], v[2:3], off
.LBB110_1019:
	s_and_not1_b32 vcc_lo, exec_lo, s15
	s_cbranch_vccnz .LBB110_1021
; %bb.1020:
	s_wait_loadcnt 0x0
	v_cndmask_b32_e64 v2, 0, 1, s2
	global_store_b32 v[0:1], v2, off
.LBB110_1021:
	s_mov_b32 s15, 0
.LBB110_1022:
	s_delay_alu instid0(SALU_CYCLE_1)
	s_and_not1_b32 vcc_lo, exec_lo, s15
	s_cbranch_vccnz .LBB110_1024
; %bb.1023:
	s_wait_loadcnt 0x0
	v_cndmask_b32_e64 v2, 0, 1, s2
	global_store_b16 v[0:1], v2, off
.LBB110_1024:
	s_mov_b32 s15, 0
.LBB110_1025:
	s_delay_alu instid0(SALU_CYCLE_1)
	s_and_not1_b32 vcc_lo, exec_lo, s15
	s_cbranch_vccnz .LBB110_1030
; %bb.1026:
	s_wait_loadcnt 0x0
	v_cndmask_b32_e64 v2, 0, 1, s2
	s_sext_i32_i16 s15, s16
	s_mov_b32 s2, -1
	s_cmp_gt_i32 s15, 0
	s_cbranch_scc0 .LBB110_1028
; %bb.1027:
	s_mov_b32 s2, 0
	global_store_b8 v[0:1], v2, off
.LBB110_1028:
	s_and_not1_b32 vcc_lo, exec_lo, s2
	s_cbranch_vccnz .LBB110_1030
; %bb.1029:
	global_store_b8 v[0:1], v2, off
.LBB110_1030:
	s_wait_xcnt 0x0
	s_or_b32 exec_lo, exec_lo, s0
	s_delay_alu instid0(SALU_CYCLE_1)
	s_and_b32 s15, s1, exec_lo
                                        ; implicit-def: $vgpr4
.LBB110_1031:
	s_or_saveexec_b32 s14, s14
	s_mov_b32 s0, 0
                                        ; implicit-def: $sgpr1
                                        ; implicit-def: $sgpr16
                                        ; implicit-def: $vgpr0_vgpr1
	s_xor_b32 exec_lo, exec_lo, s14
	s_cbranch_execz .LBB110_1982
; %bb.1032:
	v_mul_lo_u32 v0, s9, v4
	s_and_b32 s0, 0xffff, s13
	s_delay_alu instid0(SALU_CYCLE_1) | instskip(NEXT) | instid1(VALU_DEP_1)
	s_cmp_lt_i32 s0, 11
	v_ashrrev_i32_e32 v1, 31, v0
	s_wait_loadcnt 0x0
	s_delay_alu instid0(VALU_DEP_1)
	v_add_nc_u64_e32 v[2:3], s[6:7], v[0:1]
	s_cbranch_scc1 .LBB110_1039
; %bb.1033:
	s_cmp_gt_i32 s0, 25
	s_mov_b32 s2, 0
	s_cbranch_scc0 .LBB110_1041
; %bb.1034:
	s_cmp_gt_i32 s0, 28
	s_cbranch_scc0 .LBB110_1042
; %bb.1035:
	s_cmp_gt_i32 s0, 43
	;; [unrolled: 3-line block ×3, first 2 shown]
	s_cbranch_scc0 .LBB110_1044
; %bb.1037:
	s_cmp_eq_u32 s0, 46
	s_cbranch_scc0 .LBB110_1047
; %bb.1038:
	global_load_b32 v1, v[2:3], off
	s_mov_b32 s1, 0
	s_mov_b32 s13, -1
	s_wait_loadcnt 0x0
	v_lshlrev_b32_e32 v5, 16, v1
	s_branch .LBB110_1049
.LBB110_1039:
	s_mov_b32 s13, 0
	s_mov_b32 s12, s15
                                        ; implicit-def: $vgpr5
	s_cbranch_execnz .LBB110_1112
.LBB110_1040:
	s_and_not1_b32 vcc_lo, exec_lo, s13
	s_cbranch_vccz .LBB110_1157
	s_branch .LBB110_1980
.LBB110_1041:
	s_mov_b32 s13, 0
	s_mov_b32 s1, 0
                                        ; implicit-def: $vgpr5
	s_cbranch_execnz .LBB110_1077
	s_branch .LBB110_1108
.LBB110_1042:
	s_mov_b32 s12, -1
	s_mov_b32 s13, 0
	s_mov_b32 s1, 0
                                        ; implicit-def: $vgpr5
	s_branch .LBB110_1058
.LBB110_1043:
	s_mov_b32 s13, 0
	s_mov_b32 s1, 0
                                        ; implicit-def: $vgpr5
	s_cbranch_execnz .LBB110_1054
	s_branch .LBB110_1057
.LBB110_1044:
	s_mov_b32 s12, -1
	s_mov_b32 s13, 0
	s_mov_b32 s1, 0
	s_branch .LBB110_1048
.LBB110_1045:
	s_and_not1_saveexec_b32 s21, s21
	s_cbranch_execz .LBB110_944
.LBB110_1046:
	v_add_f32_e32 v2, 0x46000000, v3
	s_and_not1_b32 s20, s20, exec_lo
	s_delay_alu instid0(VALU_DEP_1) | instskip(NEXT) | instid1(VALU_DEP_1)
	v_and_b32_e32 v2, 0xff, v2
	v_cmp_ne_u32_e32 vcc_lo, 0, v2
	s_and_b32 s22, vcc_lo, exec_lo
	s_delay_alu instid0(SALU_CYCLE_1)
	s_or_b32 s20, s20, s22
	s_or_b32 exec_lo, exec_lo, s21
	v_mov_b32_e32 v4, 0
	s_and_saveexec_b32 s21, s20
	s_cbranch_execnz .LBB110_945
	s_branch .LBB110_946
.LBB110_1047:
	s_mov_b32 s1, -1
	s_mov_b32 s13, 0
.LBB110_1048:
                                        ; implicit-def: $vgpr5
.LBB110_1049:
	s_and_b32 vcc_lo, exec_lo, s12
	s_cbranch_vccz .LBB110_1052
; %bb.1050:
	s_cmp_eq_u32 s0, 44
	s_cbranch_scc0 .LBB110_1053
; %bb.1051:
	global_load_u8 v1, v[2:3], off
	s_mov_b32 s1, 0
	s_mov_b32 s13, -1
	s_wait_loadcnt 0x0
	v_lshlrev_b32_e32 v5, 23, v1
	v_cmp_ne_u32_e32 vcc_lo, 0xff, v1
	s_delay_alu instid0(VALU_DEP_2) | instskip(SKIP_1) | instid1(VALU_DEP_2)
	v_cndmask_b32_e32 v5, 0x7f800001, v5, vcc_lo
	v_cmp_ne_u32_e32 vcc_lo, 0, v1
	v_cndmask_b32_e32 v5, 0x400000, v5, vcc_lo
.LBB110_1052:
	s_branch .LBB110_1057
.LBB110_1053:
	s_mov_b32 s1, -1
                                        ; implicit-def: $vgpr5
	s_branch .LBB110_1057
.LBB110_1054:
	s_cmp_eq_u32 s0, 29
	s_cbranch_scc0 .LBB110_1056
; %bb.1055:
	global_load_b64 v[6:7], v[2:3], off
	s_mov_b32 s1, 0
	s_mov_b32 s13, -1
	s_mov_b32 s12, 0
	s_wait_loadcnt 0x0
	v_clz_i32_u32_e32 v1, v7
	s_delay_alu instid0(VALU_DEP_1) | instskip(NEXT) | instid1(VALU_DEP_1)
	v_min_u32_e32 v1, 32, v1
	v_lshlrev_b64_e32 v[6:7], v1, v[6:7]
	v_sub_nc_u32_e32 v1, 32, v1
	s_delay_alu instid0(VALU_DEP_2) | instskip(NEXT) | instid1(VALU_DEP_1)
	v_min_u32_e32 v5, 1, v6
	v_or_b32_e32 v5, v7, v5
	s_delay_alu instid0(VALU_DEP_1) | instskip(NEXT) | instid1(VALU_DEP_1)
	v_cvt_f32_u32_e32 v5, v5
	v_ldexp_f32 v5, v5, v1
	s_branch .LBB110_1058
.LBB110_1056:
	s_mov_b32 s1, -1
                                        ; implicit-def: $vgpr5
.LBB110_1057:
	s_mov_b32 s12, 0
.LBB110_1058:
	s_delay_alu instid0(SALU_CYCLE_1)
	s_and_b32 vcc_lo, exec_lo, s12
	s_cbranch_vccz .LBB110_1076
; %bb.1059:
	s_cmp_lt_i32 s0, 27
	s_cbranch_scc1 .LBB110_1062
; %bb.1060:
	s_cmp_gt_i32 s0, 27
	s_cbranch_scc0 .LBB110_1063
; %bb.1061:
	global_load_b32 v1, v[2:3], off
	s_mov_b32 s12, 0
	s_wait_loadcnt 0x0
	v_cvt_f32_u32_e32 v5, v1
	s_branch .LBB110_1064
.LBB110_1062:
	s_mov_b32 s12, -1
                                        ; implicit-def: $vgpr5
	s_branch .LBB110_1067
.LBB110_1063:
	s_mov_b32 s12, -1
                                        ; implicit-def: $vgpr5
.LBB110_1064:
	s_delay_alu instid0(SALU_CYCLE_1)
	s_and_not1_b32 vcc_lo, exec_lo, s12
	s_cbranch_vccnz .LBB110_1066
; %bb.1065:
	global_load_u16 v1, v[2:3], off
	s_wait_loadcnt 0x0
	v_cvt_f32_u32_e32 v5, v1
.LBB110_1066:
	s_mov_b32 s12, 0
.LBB110_1067:
	s_delay_alu instid0(SALU_CYCLE_1)
	s_and_not1_b32 vcc_lo, exec_lo, s12
	s_cbranch_vccnz .LBB110_1075
; %bb.1068:
	global_load_u8 v1, v[2:3], off
	s_mov_b32 s12, 0
	s_mov_b32 s13, exec_lo
	s_wait_loadcnt 0x0
	v_cmpx_lt_i16_e32 0x7f, v1
	s_xor_b32 s13, exec_lo, s13
	s_cbranch_execz .LBB110_1088
; %bb.1069:
	s_mov_b32 s12, -1
	s_mov_b32 s16, exec_lo
	v_cmpx_eq_u16_e32 0x80, v1
; %bb.1070:
	s_xor_b32 s12, exec_lo, -1
; %bb.1071:
	s_or_b32 exec_lo, exec_lo, s16
	s_delay_alu instid0(SALU_CYCLE_1)
	s_and_b32 s12, s12, exec_lo
	s_or_saveexec_b32 s13, s13
	v_mov_b32_e32 v5, 0x7f800001
	s_xor_b32 exec_lo, exec_lo, s13
	s_cbranch_execnz .LBB110_1089
.LBB110_1072:
	s_or_b32 exec_lo, exec_lo, s13
	s_and_saveexec_b32 s13, s12
	s_cbranch_execz .LBB110_1074
.LBB110_1073:
	v_and_b32_e32 v5, 0xffff, v1
	s_delay_alu instid0(VALU_DEP_1) | instskip(SKIP_1) | instid1(VALU_DEP_2)
	v_and_b32_e32 v6, 7, v5
	v_bfe_u32 v9, v5, 3, 4
	v_clz_i32_u32_e32 v7, v6
	s_delay_alu instid0(VALU_DEP_2) | instskip(NEXT) | instid1(VALU_DEP_2)
	v_cmp_eq_u32_e32 vcc_lo, 0, v9
	v_min_u32_e32 v7, 32, v7
	s_delay_alu instid0(VALU_DEP_1) | instskip(NEXT) | instid1(VALU_DEP_1)
	v_subrev_nc_u32_e32 v8, 28, v7
	v_dual_lshlrev_b32 v5, v8, v5 :: v_dual_sub_nc_u32 v7, 29, v7
	s_delay_alu instid0(VALU_DEP_1) | instskip(NEXT) | instid1(VALU_DEP_2)
	v_and_b32_e32 v5, 7, v5
	v_dual_lshlrev_b32 v1, 24, v1 :: v_dual_cndmask_b32 v7, v9, v7, vcc_lo
	s_delay_alu instid0(VALU_DEP_2) | instskip(NEXT) | instid1(VALU_DEP_2)
	v_cndmask_b32_e32 v5, v6, v5, vcc_lo
	v_and_b32_e32 v1, 0x80000000, v1
	s_delay_alu instid0(VALU_DEP_3) | instskip(NEXT) | instid1(VALU_DEP_3)
	v_lshl_add_u32 v6, v7, 23, 0x3b800000
	v_lshlrev_b32_e32 v5, 20, v5
	s_delay_alu instid0(VALU_DEP_1)
	v_or3_b32 v5, v1, v6, v5
.LBB110_1074:
	s_or_b32 exec_lo, exec_lo, s13
.LBB110_1075:
	s_mov_b32 s13, -1
.LBB110_1076:
	s_branch .LBB110_1108
.LBB110_1077:
	s_cmp_gt_i32 s0, 22
	s_cbranch_scc0 .LBB110_1087
; %bb.1078:
	s_cmp_lt_i32 s0, 24
	s_cbranch_scc1 .LBB110_1090
; %bb.1079:
	s_cmp_gt_i32 s0, 24
	s_cbranch_scc0 .LBB110_1091
; %bb.1080:
	global_load_u8 v1, v[2:3], off
	s_mov_b32 s12, exec_lo
	s_wait_loadcnt 0x0
	v_cmpx_lt_i16_e32 0x7f, v1
	s_xor_b32 s12, exec_lo, s12
	s_cbranch_execz .LBB110_1102
; %bb.1081:
	s_mov_b32 s2, -1
	s_mov_b32 s13, exec_lo
	v_cmpx_eq_u16_e32 0x80, v1
; %bb.1082:
	s_xor_b32 s2, exec_lo, -1
; %bb.1083:
	s_or_b32 exec_lo, exec_lo, s13
	s_delay_alu instid0(SALU_CYCLE_1)
	s_and_b32 s2, s2, exec_lo
	s_or_saveexec_b32 s12, s12
	v_mov_b32_e32 v5, 0x7f800001
	s_xor_b32 exec_lo, exec_lo, s12
	s_cbranch_execnz .LBB110_1103
.LBB110_1084:
	s_or_b32 exec_lo, exec_lo, s12
	s_and_saveexec_b32 s12, s2
	s_cbranch_execz .LBB110_1086
.LBB110_1085:
	v_and_b32_e32 v5, 0xffff, v1
	s_delay_alu instid0(VALU_DEP_1) | instskip(SKIP_1) | instid1(VALU_DEP_2)
	v_and_b32_e32 v6, 3, v5
	v_bfe_u32 v9, v5, 2, 5
	v_clz_i32_u32_e32 v7, v6
	s_delay_alu instid0(VALU_DEP_2) | instskip(NEXT) | instid1(VALU_DEP_2)
	v_cmp_eq_u32_e32 vcc_lo, 0, v9
	v_min_u32_e32 v7, 32, v7
	s_delay_alu instid0(VALU_DEP_1) | instskip(NEXT) | instid1(VALU_DEP_1)
	v_subrev_nc_u32_e32 v8, 29, v7
	v_dual_lshlrev_b32 v5, v8, v5 :: v_dual_sub_nc_u32 v7, 30, v7
	s_delay_alu instid0(VALU_DEP_1) | instskip(NEXT) | instid1(VALU_DEP_2)
	v_and_b32_e32 v5, 3, v5
	v_dual_lshlrev_b32 v1, 24, v1 :: v_dual_cndmask_b32 v7, v9, v7, vcc_lo
	s_delay_alu instid0(VALU_DEP_2) | instskip(NEXT) | instid1(VALU_DEP_2)
	v_cndmask_b32_e32 v5, v6, v5, vcc_lo
	v_and_b32_e32 v1, 0x80000000, v1
	s_delay_alu instid0(VALU_DEP_3) | instskip(NEXT) | instid1(VALU_DEP_3)
	v_lshl_add_u32 v6, v7, 23, 0x37800000
	v_lshlrev_b32_e32 v5, 21, v5
	s_delay_alu instid0(VALU_DEP_1)
	v_or3_b32 v5, v1, v6, v5
.LBB110_1086:
	s_or_b32 exec_lo, exec_lo, s12
	s_mov_b32 s2, 0
	s_branch .LBB110_1092
.LBB110_1087:
                                        ; implicit-def: $vgpr5
	s_mov_b32 s2, 0
	s_branch .LBB110_1098
.LBB110_1088:
	s_or_saveexec_b32 s13, s13
	v_mov_b32_e32 v5, 0x7f800001
	s_xor_b32 exec_lo, exec_lo, s13
	s_cbranch_execz .LBB110_1072
.LBB110_1089:
	v_cmp_ne_u16_e32 vcc_lo, 0, v1
	v_mov_b32_e32 v5, 0
	s_and_not1_b32 s12, s12, exec_lo
	s_and_b32 s16, vcc_lo, exec_lo
	s_delay_alu instid0(SALU_CYCLE_1)
	s_or_b32 s12, s12, s16
	s_or_b32 exec_lo, exec_lo, s13
	s_and_saveexec_b32 s13, s12
	s_cbranch_execnz .LBB110_1073
	s_branch .LBB110_1074
.LBB110_1090:
	s_mov_b32 s2, -1
                                        ; implicit-def: $vgpr5
	s_branch .LBB110_1095
.LBB110_1091:
	s_mov_b32 s2, -1
                                        ; implicit-def: $vgpr5
.LBB110_1092:
	s_delay_alu instid0(SALU_CYCLE_1)
	s_and_b32 vcc_lo, exec_lo, s2
	s_cbranch_vccz .LBB110_1094
; %bb.1093:
	global_load_u8 v1, v[2:3], off
	s_wait_loadcnt 0x0
	v_lshlrev_b32_e32 v1, 24, v1
	s_delay_alu instid0(VALU_DEP_1) | instskip(NEXT) | instid1(VALU_DEP_1)
	v_and_b32_e32 v5, 0x7f000000, v1
	v_clz_i32_u32_e32 v6, v5
	v_cmp_ne_u32_e32 vcc_lo, 0, v5
	v_add_nc_u32_e32 v8, 0x1000000, v5
	s_delay_alu instid0(VALU_DEP_3) | instskip(NEXT) | instid1(VALU_DEP_1)
	v_min_u32_e32 v6, 32, v6
	v_sub_nc_u32_e64 v6, v6, 4 clamp
	s_delay_alu instid0(VALU_DEP_1) | instskip(NEXT) | instid1(VALU_DEP_1)
	v_dual_lshlrev_b32 v7, v6, v5 :: v_dual_lshlrev_b32 v6, 23, v6
	v_lshrrev_b32_e32 v7, 4, v7
	s_delay_alu instid0(VALU_DEP_1) | instskip(NEXT) | instid1(VALU_DEP_1)
	v_dual_sub_nc_u32 v6, v7, v6 :: v_dual_ashrrev_i32 v7, 8, v8
	v_add_nc_u32_e32 v6, 0x3c000000, v6
	s_delay_alu instid0(VALU_DEP_1) | instskip(NEXT) | instid1(VALU_DEP_1)
	v_and_or_b32 v6, 0x7f800000, v7, v6
	v_cndmask_b32_e32 v5, 0, v6, vcc_lo
	s_delay_alu instid0(VALU_DEP_1)
	v_and_or_b32 v5, 0x80000000, v1, v5
.LBB110_1094:
	s_mov_b32 s2, 0
.LBB110_1095:
	s_delay_alu instid0(SALU_CYCLE_1)
	s_and_not1_b32 vcc_lo, exec_lo, s2
	s_cbranch_vccnz .LBB110_1097
; %bb.1096:
	global_load_u8 v1, v[2:3], off
	s_wait_loadcnt 0x0
	v_lshlrev_b32_e32 v5, 25, v1
	v_lshlrev_b16 v1, 8, v1
	s_delay_alu instid0(VALU_DEP_1) | instskip(SKIP_1) | instid1(VALU_DEP_2)
	v_and_or_b32 v7, 0x7f00, v1, 0.5
	v_bfe_i32 v1, v1, 0, 16
	v_dual_add_f32 v7, -0.5, v7 :: v_dual_lshrrev_b32 v6, 4, v5
	v_cmp_gt_u32_e32 vcc_lo, 0x8000000, v5
	s_delay_alu instid0(VALU_DEP_2) | instskip(NEXT) | instid1(VALU_DEP_1)
	v_or_b32_e32 v6, 0x70000000, v6
	v_mul_f32_e32 v6, 0x7800000, v6
	s_delay_alu instid0(VALU_DEP_1) | instskip(NEXT) | instid1(VALU_DEP_1)
	v_cndmask_b32_e32 v5, v6, v7, vcc_lo
	v_and_or_b32 v5, 0x80000000, v1, v5
.LBB110_1097:
	s_mov_b32 s13, -1
	s_mov_b32 s2, 0
	s_cbranch_execnz .LBB110_1108
.LBB110_1098:
	s_cmp_gt_i32 s0, 14
	s_cbranch_scc0 .LBB110_1101
; %bb.1099:
	s_cmp_eq_u32 s0, 15
	s_cbranch_scc0 .LBB110_1104
; %bb.1100:
	global_load_u16 v1, v[2:3], off
	s_mov_b32 s1, 0
	s_mov_b32 s13, -1
	s_wait_loadcnt 0x0
	v_lshlrev_b32_e32 v5, 16, v1
	s_branch .LBB110_1106
.LBB110_1101:
	s_mov_b32 s2, -1
	s_branch .LBB110_1105
.LBB110_1102:
	s_or_saveexec_b32 s12, s12
	v_mov_b32_e32 v5, 0x7f800001
	s_xor_b32 exec_lo, exec_lo, s12
	s_cbranch_execz .LBB110_1084
.LBB110_1103:
	v_cmp_ne_u16_e32 vcc_lo, 0, v1
	v_mov_b32_e32 v5, 0
	s_and_not1_b32 s2, s2, exec_lo
	s_and_b32 s13, vcc_lo, exec_lo
	s_delay_alu instid0(SALU_CYCLE_1)
	s_or_b32 s2, s2, s13
	s_or_b32 exec_lo, exec_lo, s12
	s_and_saveexec_b32 s12, s2
	s_cbranch_execnz .LBB110_1085
	s_branch .LBB110_1086
.LBB110_1104:
	s_mov_b32 s1, -1
.LBB110_1105:
                                        ; implicit-def: $vgpr5
.LBB110_1106:
	s_and_b32 vcc_lo, exec_lo, s2
	s_mov_b32 s2, 0
	s_cbranch_vccz .LBB110_1108
; %bb.1107:
	s_cmp_lg_u32 s0, 11
	s_mov_b32 s2, -1
	s_cselect_b32 s1, -1, 0
.LBB110_1108:
	s_delay_alu instid0(SALU_CYCLE_1)
	s_and_b32 vcc_lo, exec_lo, s1
	s_mov_b32 s12, s15
	s_cbranch_vccnz .LBB110_1169
; %bb.1109:
	s_and_not1_b32 vcc_lo, exec_lo, s2
	s_cbranch_vccnz .LBB110_1111
.LBB110_1110:
	global_load_u8 v1, v[2:3], off
	s_mov_b32 s13, -1
	s_wait_loadcnt 0x0
	v_cmp_ne_u16_e32 vcc_lo, 0, v1
	v_cndmask_b32_e64 v5, 0, 1.0, vcc_lo
.LBB110_1111:
	s_branch .LBB110_1040
.LBB110_1112:
	s_cmp_lt_i32 s0, 5
	s_cbranch_scc1 .LBB110_1117
; %bb.1113:
	s_cmp_lt_i32 s0, 8
	s_cbranch_scc1 .LBB110_1118
; %bb.1114:
	;; [unrolled: 3-line block ×3, first 2 shown]
	s_cmp_gt_i32 s0, 9
	s_cbranch_scc0 .LBB110_1120
; %bb.1116:
	global_load_b64 v[6:7], v[2:3], off
	s_mov_b32 s1, 0
	s_wait_loadcnt 0x0
	v_cvt_f32_f64_e32 v5, v[6:7]
	s_branch .LBB110_1121
.LBB110_1117:
                                        ; implicit-def: $vgpr5
	s_branch .LBB110_1138
.LBB110_1118:
                                        ; implicit-def: $vgpr5
	s_branch .LBB110_1127
.LBB110_1119:
	s_mov_b32 s1, -1
                                        ; implicit-def: $vgpr5
	s_branch .LBB110_1124
.LBB110_1120:
	s_mov_b32 s1, -1
                                        ; implicit-def: $vgpr5
.LBB110_1121:
	s_delay_alu instid0(SALU_CYCLE_1)
	s_and_not1_b32 vcc_lo, exec_lo, s1
	s_cbranch_vccnz .LBB110_1123
; %bb.1122:
	global_load_b32 v5, v[2:3], off
.LBB110_1123:
	s_mov_b32 s1, 0
.LBB110_1124:
	s_delay_alu instid0(SALU_CYCLE_1)
	s_and_not1_b32 vcc_lo, exec_lo, s1
	s_cbranch_vccnz .LBB110_1126
; %bb.1125:
	global_load_b32 v1, v[2:3], off
	s_wait_loadcnt 0x0
	v_cvt_f32_f16_e32 v5, v1
.LBB110_1126:
	s_cbranch_execnz .LBB110_1137
.LBB110_1127:
	s_cmp_lt_i32 s0, 6
	s_cbranch_scc1 .LBB110_1130
; %bb.1128:
	s_cmp_gt_i32 s0, 6
	s_cbranch_scc0 .LBB110_1131
; %bb.1129:
	global_load_b64 v[6:7], v[2:3], off
	s_mov_b32 s1, 0
	s_wait_loadcnt 0x0
	v_cvt_f32_f64_e32 v5, v[6:7]
	s_branch .LBB110_1132
.LBB110_1130:
	s_mov_b32 s1, -1
                                        ; implicit-def: $vgpr5
	s_branch .LBB110_1135
.LBB110_1131:
	s_mov_b32 s1, -1
                                        ; implicit-def: $vgpr5
.LBB110_1132:
	s_delay_alu instid0(SALU_CYCLE_1)
	s_and_not1_b32 vcc_lo, exec_lo, s1
	s_cbranch_vccnz .LBB110_1134
; %bb.1133:
	s_wait_loadcnt 0x0
	global_load_b32 v5, v[2:3], off
.LBB110_1134:
	s_mov_b32 s1, 0
.LBB110_1135:
	s_delay_alu instid0(SALU_CYCLE_1)
	s_and_not1_b32 vcc_lo, exec_lo, s1
	s_cbranch_vccnz .LBB110_1137
; %bb.1136:
	global_load_u16 v1, v[2:3], off
	s_wait_loadcnt 0x0
	v_cvt_f32_f16_e32 v5, v1
.LBB110_1137:
	s_cbranch_execnz .LBB110_1156
.LBB110_1138:
	s_cmp_lt_i32 s0, 2
	s_cbranch_scc1 .LBB110_1142
; %bb.1139:
	s_cmp_lt_i32 s0, 3
	s_cbranch_scc1 .LBB110_1143
; %bb.1140:
	s_cmp_gt_i32 s0, 3
	s_cbranch_scc0 .LBB110_1144
; %bb.1141:
	global_load_b64 v[6:7], v[2:3], off
	s_mov_b32 s1, 0
	s_wait_loadcnt 0x0
	v_xor_b32_e32 v1, v6, v7
	v_cls_i32_e32 v5, v7
	s_delay_alu instid0(VALU_DEP_2) | instskip(NEXT) | instid1(VALU_DEP_1)
	v_ashrrev_i32_e32 v1, 31, v1
	v_add_nc_u32_e32 v1, 32, v1
	s_delay_alu instid0(VALU_DEP_1) | instskip(NEXT) | instid1(VALU_DEP_1)
	v_add_min_u32_e64 v1, v5, -1, v1
	v_lshlrev_b64_e32 v[6:7], v1, v[6:7]
	v_sub_nc_u32_e32 v1, 32, v1
	s_delay_alu instid0(VALU_DEP_2) | instskip(NEXT) | instid1(VALU_DEP_1)
	v_min_u32_e32 v5, 1, v6
	v_or_b32_e32 v5, v7, v5
	s_delay_alu instid0(VALU_DEP_1) | instskip(NEXT) | instid1(VALU_DEP_1)
	v_cvt_f32_i32_e32 v5, v5
	v_ldexp_f32 v5, v5, v1
	s_branch .LBB110_1145
.LBB110_1142:
                                        ; implicit-def: $vgpr5
	s_branch .LBB110_1151
.LBB110_1143:
	s_mov_b32 s1, -1
                                        ; implicit-def: $vgpr5
	s_branch .LBB110_1148
.LBB110_1144:
	s_mov_b32 s1, -1
                                        ; implicit-def: $vgpr5
.LBB110_1145:
	s_delay_alu instid0(SALU_CYCLE_1)
	s_and_not1_b32 vcc_lo, exec_lo, s1
	s_cbranch_vccnz .LBB110_1147
; %bb.1146:
	global_load_b32 v1, v[2:3], off
	s_wait_loadcnt 0x0
	v_cvt_f32_i32_e32 v5, v1
.LBB110_1147:
	s_mov_b32 s1, 0
.LBB110_1148:
	s_delay_alu instid0(SALU_CYCLE_1)
	s_and_not1_b32 vcc_lo, exec_lo, s1
	s_cbranch_vccnz .LBB110_1150
; %bb.1149:
	global_load_i16 v1, v[2:3], off
	s_wait_loadcnt 0x0
	v_cvt_f32_i32_e32 v5, v1
.LBB110_1150:
	s_cbranch_execnz .LBB110_1156
.LBB110_1151:
	s_cmp_gt_i32 s0, 0
	s_mov_b32 s1, 0
	s_cbranch_scc0 .LBB110_1153
; %bb.1152:
	global_load_i8 v1, v[2:3], off
	s_wait_loadcnt 0x0
	v_cvt_f32_i32_e32 v5, v1
	s_branch .LBB110_1154
.LBB110_1153:
	s_mov_b32 s1, -1
                                        ; implicit-def: $vgpr5
.LBB110_1154:
	s_delay_alu instid0(SALU_CYCLE_1)
	s_and_not1_b32 vcc_lo, exec_lo, s1
	s_cbranch_vccnz .LBB110_1156
; %bb.1155:
	global_load_u8 v1, v[2:3], off
	s_wait_loadcnt 0x0
	v_cvt_f32_ubyte0_e32 v5, v1
.LBB110_1156:
.LBB110_1157:
	s_lshl_b32 s1, s9, 7
	s_cmp_lt_i32 s0, 11
	v_add_nc_u32_e32 v0, s1, v0
	s_delay_alu instid0(VALU_DEP_1) | instskip(SKIP_1) | instid1(VALU_DEP_1)
	v_ashrrev_i32_e32 v1, 31, v0
	s_wait_xcnt 0x0
	v_add_nc_u64_e32 v[2:3], s[6:7], v[0:1]
	s_cbranch_scc1 .LBB110_1164
; %bb.1158:
	s_cmp_gt_i32 s0, 25
	s_mov_b32 s9, 0
	s_cbranch_scc0 .LBB110_1166
; %bb.1159:
	s_cmp_gt_i32 s0, 28
	s_cbranch_scc0 .LBB110_1167
; %bb.1160:
	s_cmp_gt_i32 s0, 43
	;; [unrolled: 3-line block ×3, first 2 shown]
	s_cbranch_scc0 .LBB110_1170
; %bb.1162:
	s_cmp_eq_u32 s0, 46
	s_mov_b32 s16, 0
	s_cbranch_scc0 .LBB110_1173
; %bb.1163:
	global_load_b32 v1, v[2:3], off
	s_mov_b32 s2, 0
	s_mov_b32 s13, -1
	s_wait_loadcnt 0x0
	v_lshlrev_b32_e32 v6, 16, v1
	s_branch .LBB110_1175
.LBB110_1164:
	s_mov_b32 s13, 0
                                        ; implicit-def: $vgpr6
	s_cbranch_execnz .LBB110_1240
.LBB110_1165:
	s_and_not1_b32 vcc_lo, exec_lo, s13
	s_cbranch_vccnz .LBB110_1980
	s_branch .LBB110_1287
.LBB110_1166:
	s_mov_b32 s13, 0
	s_mov_b32 s2, 0
                                        ; implicit-def: $vgpr6
	s_cbranch_execnz .LBB110_1204
	s_branch .LBB110_1236
.LBB110_1167:
	s_mov_b32 s16, -1
	s_mov_b32 s13, 0
	s_mov_b32 s2, 0
                                        ; implicit-def: $vgpr6
	s_branch .LBB110_1185
.LBB110_1168:
	s_mov_b32 s16, -1
	s_mov_b32 s13, 0
	s_mov_b32 s2, 0
                                        ; implicit-def: $vgpr6
	s_branch .LBB110_1180
.LBB110_1169:
	s_or_b32 s12, s15, exec_lo
	s_trap 2
	s_cbranch_execz .LBB110_1110
	s_branch .LBB110_1111
.LBB110_1170:
	s_mov_b32 s16, -1
	s_mov_b32 s13, 0
	s_mov_b32 s2, 0
	s_branch .LBB110_1174
.LBB110_1171:
	s_and_not1_saveexec_b32 s22, s22
	s_cbranch_execz .LBB110_956
.LBB110_1172:
	v_add_f32_e32 v2, 0x42800000, v3
	s_and_not1_b32 s21, s21, exec_lo
	s_delay_alu instid0(VALU_DEP_1) | instskip(NEXT) | instid1(VALU_DEP_1)
	v_and_b32_e32 v2, 0xff, v2
	v_cmp_ne_u32_e32 vcc_lo, 0, v2
	s_and_b32 s23, vcc_lo, exec_lo
	s_delay_alu instid0(SALU_CYCLE_1)
	s_or_b32 s21, s21, s23
	s_or_b32 exec_lo, exec_lo, s22
	v_mov_b32_e32 v4, 0
	s_and_saveexec_b32 s22, s21
	s_cbranch_execnz .LBB110_957
	s_branch .LBB110_958
.LBB110_1173:
	s_mov_b32 s2, -1
	s_mov_b32 s13, 0
.LBB110_1174:
                                        ; implicit-def: $vgpr6
.LBB110_1175:
	s_and_b32 vcc_lo, exec_lo, s16
	s_cbranch_vccz .LBB110_1179
; %bb.1176:
	s_cmp_eq_u32 s0, 44
	s_cbranch_scc0 .LBB110_1178
; %bb.1177:
	global_load_u8 v1, v[2:3], off
	s_mov_b32 s2, 0
	s_mov_b32 s13, -1
	s_wait_loadcnt 0x0
	v_lshlrev_b32_e32 v6, 23, v1
	v_cmp_ne_u32_e32 vcc_lo, 0xff, v1
	s_delay_alu instid0(VALU_DEP_2) | instskip(SKIP_1) | instid1(VALU_DEP_2)
	v_cndmask_b32_e32 v6, 0x7f800001, v6, vcc_lo
	v_cmp_ne_u32_e32 vcc_lo, 0, v1
	v_cndmask_b32_e32 v6, 0x400000, v6, vcc_lo
	s_branch .LBB110_1179
.LBB110_1178:
	s_mov_b32 s2, -1
                                        ; implicit-def: $vgpr6
.LBB110_1179:
	s_mov_b32 s16, 0
.LBB110_1180:
	s_delay_alu instid0(SALU_CYCLE_1)
	s_and_b32 vcc_lo, exec_lo, s16
	s_cbranch_vccz .LBB110_1184
; %bb.1181:
	s_cmp_eq_u32 s0, 29
	s_cbranch_scc0 .LBB110_1183
; %bb.1182:
	global_load_b64 v[6:7], v[2:3], off
	s_mov_b32 s2, 0
	s_mov_b32 s13, -1
	s_mov_b32 s16, 0
	s_wait_loadcnt 0x0
	v_clz_i32_u32_e32 v1, v7
	s_delay_alu instid0(VALU_DEP_1) | instskip(NEXT) | instid1(VALU_DEP_1)
	v_min_u32_e32 v1, 32, v1
	v_lshlrev_b64_e32 v[6:7], v1, v[6:7]
	v_sub_nc_u32_e32 v1, 32, v1
	s_delay_alu instid0(VALU_DEP_2) | instskip(NEXT) | instid1(VALU_DEP_1)
	v_min_u32_e32 v6, 1, v6
	v_or_b32_e32 v6, v7, v6
	s_delay_alu instid0(VALU_DEP_1) | instskip(NEXT) | instid1(VALU_DEP_1)
	v_cvt_f32_u32_e32 v6, v6
	v_ldexp_f32 v6, v6, v1
	s_branch .LBB110_1185
.LBB110_1183:
	s_mov_b32 s2, -1
                                        ; implicit-def: $vgpr6
.LBB110_1184:
	s_mov_b32 s16, 0
.LBB110_1185:
	s_delay_alu instid0(SALU_CYCLE_1)
	s_and_b32 vcc_lo, exec_lo, s16
	s_cbranch_vccz .LBB110_1203
; %bb.1186:
	s_cmp_lt_i32 s0, 27
	s_cbranch_scc1 .LBB110_1189
; %bb.1187:
	s_cmp_gt_i32 s0, 27
	s_cbranch_scc0 .LBB110_1190
; %bb.1188:
	global_load_b32 v1, v[2:3], off
	s_mov_b32 s13, 0
	s_wait_loadcnt 0x0
	v_cvt_f32_u32_e32 v6, v1
	s_branch .LBB110_1191
.LBB110_1189:
	s_mov_b32 s13, -1
                                        ; implicit-def: $vgpr6
	s_branch .LBB110_1194
.LBB110_1190:
	s_mov_b32 s13, -1
                                        ; implicit-def: $vgpr6
.LBB110_1191:
	s_delay_alu instid0(SALU_CYCLE_1)
	s_and_not1_b32 vcc_lo, exec_lo, s13
	s_cbranch_vccnz .LBB110_1193
; %bb.1192:
	global_load_u16 v1, v[2:3], off
	s_wait_loadcnt 0x0
	v_cvt_f32_u32_e32 v6, v1
.LBB110_1193:
	s_mov_b32 s13, 0
.LBB110_1194:
	s_delay_alu instid0(SALU_CYCLE_1)
	s_and_not1_b32 vcc_lo, exec_lo, s13
	s_cbranch_vccnz .LBB110_1202
; %bb.1195:
	global_load_u8 v1, v[2:3], off
	s_mov_b32 s13, 0
	s_mov_b32 s16, exec_lo
	s_wait_loadcnt 0x0
	v_cmpx_lt_i16_e32 0x7f, v1
	s_xor_b32 s16, exec_lo, s16
	s_cbranch_execz .LBB110_1215
; %bb.1196:
	s_mov_b32 s13, -1
	s_mov_b32 s17, exec_lo
	v_cmpx_eq_u16_e32 0x80, v1
; %bb.1197:
	s_xor_b32 s13, exec_lo, -1
; %bb.1198:
	s_or_b32 exec_lo, exec_lo, s17
	s_delay_alu instid0(SALU_CYCLE_1)
	s_and_b32 s13, s13, exec_lo
	s_or_saveexec_b32 s16, s16
	v_mov_b32_e32 v6, 0x7f800001
	s_xor_b32 exec_lo, exec_lo, s16
	s_cbranch_execnz .LBB110_1216
.LBB110_1199:
	s_or_b32 exec_lo, exec_lo, s16
	s_and_saveexec_b32 s16, s13
	s_cbranch_execz .LBB110_1201
.LBB110_1200:
	v_and_b32_e32 v6, 0xffff, v1
	s_delay_alu instid0(VALU_DEP_1) | instskip(SKIP_1) | instid1(VALU_DEP_2)
	v_and_b32_e32 v7, 7, v6
	v_bfe_u32 v10, v6, 3, 4
	v_clz_i32_u32_e32 v8, v7
	s_delay_alu instid0(VALU_DEP_2) | instskip(NEXT) | instid1(VALU_DEP_2)
	v_cmp_eq_u32_e32 vcc_lo, 0, v10
	v_min_u32_e32 v8, 32, v8
	s_delay_alu instid0(VALU_DEP_1) | instskip(NEXT) | instid1(VALU_DEP_1)
	v_subrev_nc_u32_e32 v9, 28, v8
	v_dual_lshlrev_b32 v6, v9, v6 :: v_dual_sub_nc_u32 v8, 29, v8
	s_delay_alu instid0(VALU_DEP_1) | instskip(NEXT) | instid1(VALU_DEP_1)
	v_dual_lshlrev_b32 v1, 24, v1 :: v_dual_bitop2_b32 v6, 7, v6 bitop3:0x40
	v_dual_cndmask_b32 v8, v10, v8, vcc_lo :: v_dual_cndmask_b32 v6, v7, v6, vcc_lo
	s_delay_alu instid0(VALU_DEP_2) | instskip(NEXT) | instid1(VALU_DEP_2)
	v_and_b32_e32 v1, 0x80000000, v1
	v_lshl_add_u32 v7, v8, 23, 0x3b800000
	s_delay_alu instid0(VALU_DEP_3) | instskip(NEXT) | instid1(VALU_DEP_1)
	v_lshlrev_b32_e32 v6, 20, v6
	v_or3_b32 v6, v1, v7, v6
.LBB110_1201:
	s_or_b32 exec_lo, exec_lo, s16
.LBB110_1202:
	s_mov_b32 s13, -1
.LBB110_1203:
	s_branch .LBB110_1236
.LBB110_1204:
	s_cmp_gt_i32 s0, 22
	s_cbranch_scc0 .LBB110_1214
; %bb.1205:
	s_cmp_lt_i32 s0, 24
	s_cbranch_scc1 .LBB110_1217
; %bb.1206:
	s_cmp_gt_i32 s0, 24
	s_cbranch_scc0 .LBB110_1218
; %bb.1207:
	global_load_u8 v1, v[2:3], off
	s_mov_b32 s13, exec_lo
	s_wait_loadcnt 0x0
	v_cmpx_lt_i16_e32 0x7f, v1
	s_xor_b32 s13, exec_lo, s13
	s_cbranch_execz .LBB110_1230
; %bb.1208:
	s_mov_b32 s9, -1
	s_mov_b32 s16, exec_lo
	v_cmpx_eq_u16_e32 0x80, v1
; %bb.1209:
	s_xor_b32 s9, exec_lo, -1
; %bb.1210:
	s_or_b32 exec_lo, exec_lo, s16
	s_delay_alu instid0(SALU_CYCLE_1)
	s_and_b32 s9, s9, exec_lo
	s_or_saveexec_b32 s13, s13
	v_mov_b32_e32 v6, 0x7f800001
	s_xor_b32 exec_lo, exec_lo, s13
	s_cbranch_execnz .LBB110_1231
.LBB110_1211:
	s_or_b32 exec_lo, exec_lo, s13
	s_and_saveexec_b32 s13, s9
	s_cbranch_execz .LBB110_1213
.LBB110_1212:
	v_and_b32_e32 v6, 0xffff, v1
	s_delay_alu instid0(VALU_DEP_1) | instskip(SKIP_1) | instid1(VALU_DEP_2)
	v_and_b32_e32 v7, 3, v6
	v_bfe_u32 v10, v6, 2, 5
	v_clz_i32_u32_e32 v8, v7
	s_delay_alu instid0(VALU_DEP_2) | instskip(NEXT) | instid1(VALU_DEP_2)
	v_cmp_eq_u32_e32 vcc_lo, 0, v10
	v_min_u32_e32 v8, 32, v8
	s_delay_alu instid0(VALU_DEP_1) | instskip(NEXT) | instid1(VALU_DEP_1)
	v_subrev_nc_u32_e32 v9, 29, v8
	v_dual_lshlrev_b32 v6, v9, v6 :: v_dual_sub_nc_u32 v8, 30, v8
	s_delay_alu instid0(VALU_DEP_1) | instskip(NEXT) | instid1(VALU_DEP_1)
	v_dual_lshlrev_b32 v1, 24, v1 :: v_dual_bitop2_b32 v6, 3, v6 bitop3:0x40
	v_dual_cndmask_b32 v8, v10, v8, vcc_lo :: v_dual_cndmask_b32 v6, v7, v6, vcc_lo
	s_delay_alu instid0(VALU_DEP_2) | instskip(NEXT) | instid1(VALU_DEP_2)
	v_and_b32_e32 v1, 0x80000000, v1
	v_lshl_add_u32 v7, v8, 23, 0x37800000
	s_delay_alu instid0(VALU_DEP_3) | instskip(NEXT) | instid1(VALU_DEP_1)
	v_lshlrev_b32_e32 v6, 21, v6
	v_or3_b32 v6, v1, v7, v6
.LBB110_1213:
	s_or_b32 exec_lo, exec_lo, s13
	s_mov_b32 s9, 0
	s_branch .LBB110_1219
.LBB110_1214:
	s_mov_b32 s9, -1
                                        ; implicit-def: $vgpr6
	s_branch .LBB110_1225
.LBB110_1215:
	s_or_saveexec_b32 s16, s16
	v_mov_b32_e32 v6, 0x7f800001
	s_xor_b32 exec_lo, exec_lo, s16
	s_cbranch_execz .LBB110_1199
.LBB110_1216:
	v_cmp_ne_u16_e32 vcc_lo, 0, v1
	v_mov_b32_e32 v6, 0
	s_and_not1_b32 s13, s13, exec_lo
	s_and_b32 s17, vcc_lo, exec_lo
	s_delay_alu instid0(SALU_CYCLE_1)
	s_or_b32 s13, s13, s17
	s_or_b32 exec_lo, exec_lo, s16
	s_and_saveexec_b32 s16, s13
	s_cbranch_execnz .LBB110_1200
	s_branch .LBB110_1201
.LBB110_1217:
	s_mov_b32 s9, -1
                                        ; implicit-def: $vgpr6
	s_branch .LBB110_1222
.LBB110_1218:
	s_mov_b32 s9, -1
                                        ; implicit-def: $vgpr6
.LBB110_1219:
	s_delay_alu instid0(SALU_CYCLE_1)
	s_and_b32 vcc_lo, exec_lo, s9
	s_cbranch_vccz .LBB110_1221
; %bb.1220:
	global_load_u8 v1, v[2:3], off
	s_wait_loadcnt 0x0
	v_lshlrev_b32_e32 v1, 24, v1
	s_delay_alu instid0(VALU_DEP_1) | instskip(NEXT) | instid1(VALU_DEP_1)
	v_and_b32_e32 v6, 0x7f000000, v1
	v_clz_i32_u32_e32 v7, v6
	v_cmp_ne_u32_e32 vcc_lo, 0, v6
	v_add_nc_u32_e32 v9, 0x1000000, v6
	s_delay_alu instid0(VALU_DEP_3) | instskip(NEXT) | instid1(VALU_DEP_1)
	v_min_u32_e32 v7, 32, v7
	v_sub_nc_u32_e64 v7, v7, 4 clamp
	s_delay_alu instid0(VALU_DEP_1) | instskip(NEXT) | instid1(VALU_DEP_1)
	v_dual_lshlrev_b32 v8, v7, v6 :: v_dual_lshlrev_b32 v7, 23, v7
	v_lshrrev_b32_e32 v8, 4, v8
	s_delay_alu instid0(VALU_DEP_1) | instskip(NEXT) | instid1(VALU_DEP_1)
	v_dual_sub_nc_u32 v7, v8, v7 :: v_dual_ashrrev_i32 v8, 8, v9
	v_add_nc_u32_e32 v7, 0x3c000000, v7
	s_delay_alu instid0(VALU_DEP_1) | instskip(NEXT) | instid1(VALU_DEP_1)
	v_and_or_b32 v7, 0x7f800000, v8, v7
	v_cndmask_b32_e32 v6, 0, v7, vcc_lo
	s_delay_alu instid0(VALU_DEP_1)
	v_and_or_b32 v6, 0x80000000, v1, v6
.LBB110_1221:
	s_mov_b32 s9, 0
.LBB110_1222:
	s_delay_alu instid0(SALU_CYCLE_1)
	s_and_not1_b32 vcc_lo, exec_lo, s9
	s_cbranch_vccnz .LBB110_1224
; %bb.1223:
	global_load_u8 v1, v[2:3], off
	s_wait_loadcnt 0x0
	v_lshlrev_b32_e32 v6, 25, v1
	v_lshlrev_b16 v1, 8, v1
	s_delay_alu instid0(VALU_DEP_1) | instskip(SKIP_1) | instid1(VALU_DEP_2)
	v_and_or_b32 v8, 0x7f00, v1, 0.5
	v_bfe_i32 v1, v1, 0, 16
	v_dual_add_f32 v8, -0.5, v8 :: v_dual_lshrrev_b32 v7, 4, v6
	v_cmp_gt_u32_e32 vcc_lo, 0x8000000, v6
	s_delay_alu instid0(VALU_DEP_2) | instskip(NEXT) | instid1(VALU_DEP_1)
	v_or_b32_e32 v7, 0x70000000, v7
	v_mul_f32_e32 v7, 0x7800000, v7
	s_delay_alu instid0(VALU_DEP_1) | instskip(NEXT) | instid1(VALU_DEP_1)
	v_cndmask_b32_e32 v6, v7, v8, vcc_lo
	v_and_or_b32 v6, 0x80000000, v1, v6
.LBB110_1224:
	s_mov_b32 s9, 0
	s_mov_b32 s13, -1
.LBB110_1225:
	s_and_not1_b32 vcc_lo, exec_lo, s9
	s_mov_b32 s9, 0
	s_cbranch_vccnz .LBB110_1236
; %bb.1226:
	s_cmp_gt_i32 s0, 14
	s_cbranch_scc0 .LBB110_1229
; %bb.1227:
	s_cmp_eq_u32 s0, 15
	s_cbranch_scc0 .LBB110_1232
; %bb.1228:
	global_load_u16 v1, v[2:3], off
	s_mov_b32 s2, 0
	s_mov_b32 s13, -1
	s_wait_loadcnt 0x0
	v_lshlrev_b32_e32 v6, 16, v1
	s_branch .LBB110_1234
.LBB110_1229:
	s_mov_b32 s9, -1
	s_branch .LBB110_1233
.LBB110_1230:
	s_or_saveexec_b32 s13, s13
	v_mov_b32_e32 v6, 0x7f800001
	s_xor_b32 exec_lo, exec_lo, s13
	s_cbranch_execz .LBB110_1211
.LBB110_1231:
	v_cmp_ne_u16_e32 vcc_lo, 0, v1
	v_mov_b32_e32 v6, 0
	s_and_not1_b32 s9, s9, exec_lo
	s_and_b32 s16, vcc_lo, exec_lo
	s_delay_alu instid0(SALU_CYCLE_1)
	s_or_b32 s9, s9, s16
	s_or_b32 exec_lo, exec_lo, s13
	s_and_saveexec_b32 s13, s9
	s_cbranch_execnz .LBB110_1212
	s_branch .LBB110_1213
.LBB110_1232:
	s_mov_b32 s2, -1
.LBB110_1233:
                                        ; implicit-def: $vgpr6
.LBB110_1234:
	s_and_b32 vcc_lo, exec_lo, s9
	s_mov_b32 s9, 0
	s_cbranch_vccz .LBB110_1236
; %bb.1235:
	s_cmp_lg_u32 s0, 11
	s_mov_b32 s9, -1
	s_cselect_b32 s2, -1, 0
.LBB110_1236:
	s_delay_alu instid0(SALU_CYCLE_1)
	s_and_b32 vcc_lo, exec_lo, s2
	s_cbranch_vccnz .LBB110_1299
; %bb.1237:
	s_and_not1_b32 vcc_lo, exec_lo, s9
	s_cbranch_vccnz .LBB110_1239
.LBB110_1238:
	global_load_u8 v1, v[2:3], off
	s_mov_b32 s13, -1
	s_wait_loadcnt 0x0
	v_cmp_ne_u16_e32 vcc_lo, 0, v1
	v_cndmask_b32_e64 v6, 0, 1.0, vcc_lo
.LBB110_1239:
	s_branch .LBB110_1165
.LBB110_1240:
	s_cmp_lt_i32 s0, 5
	s_cbranch_scc1 .LBB110_1245
; %bb.1241:
	s_cmp_lt_i32 s0, 8
	s_cbranch_scc1 .LBB110_1246
; %bb.1242:
	;; [unrolled: 3-line block ×3, first 2 shown]
	s_cmp_gt_i32 s0, 9
	s_cbranch_scc0 .LBB110_1248
; %bb.1244:
	global_load_b64 v[6:7], v[2:3], off
	s_mov_b32 s2, 0
	s_wait_loadcnt 0x0
	v_cvt_f32_f64_e32 v6, v[6:7]
	s_branch .LBB110_1249
.LBB110_1245:
                                        ; implicit-def: $vgpr6
	s_branch .LBB110_1267
.LBB110_1246:
	s_mov_b32 s2, -1
                                        ; implicit-def: $vgpr6
	s_branch .LBB110_1255
.LBB110_1247:
	s_mov_b32 s2, -1
                                        ; implicit-def: $vgpr6
	s_branch .LBB110_1252
.LBB110_1248:
	s_mov_b32 s2, -1
                                        ; implicit-def: $vgpr6
.LBB110_1249:
	s_delay_alu instid0(SALU_CYCLE_1)
	s_and_not1_b32 vcc_lo, exec_lo, s2
	s_cbranch_vccnz .LBB110_1251
; %bb.1250:
	global_load_b32 v6, v[2:3], off
.LBB110_1251:
	s_mov_b32 s2, 0
.LBB110_1252:
	s_delay_alu instid0(SALU_CYCLE_1)
	s_and_not1_b32 vcc_lo, exec_lo, s2
	s_cbranch_vccnz .LBB110_1254
; %bb.1253:
	global_load_b32 v1, v[2:3], off
	s_wait_loadcnt 0x0
	v_cvt_f32_f16_e32 v6, v1
.LBB110_1254:
	s_mov_b32 s2, 0
.LBB110_1255:
	s_delay_alu instid0(SALU_CYCLE_1)
	s_and_not1_b32 vcc_lo, exec_lo, s2
	s_cbranch_vccnz .LBB110_1266
; %bb.1256:
	s_cmp_lt_i32 s0, 6
	s_cbranch_scc1 .LBB110_1259
; %bb.1257:
	s_cmp_gt_i32 s0, 6
	s_cbranch_scc0 .LBB110_1260
; %bb.1258:
	s_wait_loadcnt 0x0
	global_load_b64 v[6:7], v[2:3], off
	s_mov_b32 s2, 0
	s_wait_loadcnt 0x0
	v_cvt_f32_f64_e32 v6, v[6:7]
	s_branch .LBB110_1261
.LBB110_1259:
	s_mov_b32 s2, -1
                                        ; implicit-def: $vgpr6
	s_branch .LBB110_1264
.LBB110_1260:
	s_mov_b32 s2, -1
                                        ; implicit-def: $vgpr6
.LBB110_1261:
	s_delay_alu instid0(SALU_CYCLE_1)
	s_and_not1_b32 vcc_lo, exec_lo, s2
	s_cbranch_vccnz .LBB110_1263
; %bb.1262:
	s_wait_loadcnt 0x0
	global_load_b32 v6, v[2:3], off
.LBB110_1263:
	s_mov_b32 s2, 0
.LBB110_1264:
	s_delay_alu instid0(SALU_CYCLE_1)
	s_and_not1_b32 vcc_lo, exec_lo, s2
	s_cbranch_vccnz .LBB110_1266
; %bb.1265:
	global_load_u16 v1, v[2:3], off
	s_wait_loadcnt 0x0
	v_cvt_f32_f16_e32 v6, v1
.LBB110_1266:
	s_cbranch_execnz .LBB110_1286
.LBB110_1267:
	s_cmp_lt_i32 s0, 2
	s_cbranch_scc1 .LBB110_1271
; %bb.1268:
	s_cmp_lt_i32 s0, 3
	s_cbranch_scc1 .LBB110_1272
; %bb.1269:
	s_cmp_gt_i32 s0, 3
	s_cbranch_scc0 .LBB110_1273
; %bb.1270:
	s_wait_loadcnt 0x0
	global_load_b64 v[6:7], v[2:3], off
	s_mov_b32 s2, 0
	s_wait_loadcnt 0x0
	v_xor_b32_e32 v1, v6, v7
	v_cls_i32_e32 v8, v7
	s_delay_alu instid0(VALU_DEP_2) | instskip(NEXT) | instid1(VALU_DEP_1)
	v_ashrrev_i32_e32 v1, 31, v1
	v_add_nc_u32_e32 v1, 32, v1
	s_delay_alu instid0(VALU_DEP_1) | instskip(NEXT) | instid1(VALU_DEP_1)
	v_add_min_u32_e64 v1, v8, -1, v1
	v_lshlrev_b64_e32 v[6:7], v1, v[6:7]
	v_sub_nc_u32_e32 v1, 32, v1
	s_delay_alu instid0(VALU_DEP_2) | instskip(NEXT) | instid1(VALU_DEP_1)
	v_min_u32_e32 v6, 1, v6
	v_or_b32_e32 v6, v7, v6
	s_delay_alu instid0(VALU_DEP_1) | instskip(NEXT) | instid1(VALU_DEP_1)
	v_cvt_f32_i32_e32 v6, v6
	v_ldexp_f32 v6, v6, v1
	s_branch .LBB110_1274
.LBB110_1271:
	s_mov_b32 s2, -1
                                        ; implicit-def: $vgpr6
	s_branch .LBB110_1280
.LBB110_1272:
	s_mov_b32 s2, -1
                                        ; implicit-def: $vgpr6
	s_branch .LBB110_1277
.LBB110_1273:
	s_mov_b32 s2, -1
                                        ; implicit-def: $vgpr6
.LBB110_1274:
	s_delay_alu instid0(SALU_CYCLE_1)
	s_and_not1_b32 vcc_lo, exec_lo, s2
	s_cbranch_vccnz .LBB110_1276
; %bb.1275:
	global_load_b32 v1, v[2:3], off
	s_wait_loadcnt 0x0
	v_cvt_f32_i32_e32 v6, v1
.LBB110_1276:
	s_mov_b32 s2, 0
.LBB110_1277:
	s_delay_alu instid0(SALU_CYCLE_1)
	s_and_not1_b32 vcc_lo, exec_lo, s2
	s_cbranch_vccnz .LBB110_1279
; %bb.1278:
	global_load_i16 v1, v[2:3], off
	s_wait_loadcnt 0x0
	v_cvt_f32_i32_e32 v6, v1
.LBB110_1279:
	s_mov_b32 s2, 0
.LBB110_1280:
	s_delay_alu instid0(SALU_CYCLE_1)
	s_and_not1_b32 vcc_lo, exec_lo, s2
	s_cbranch_vccnz .LBB110_1286
; %bb.1281:
	s_cmp_gt_i32 s0, 0
	s_mov_b32 s2, 0
	s_cbranch_scc0 .LBB110_1283
; %bb.1282:
	global_load_i8 v1, v[2:3], off
	s_wait_loadcnt 0x0
	v_cvt_f32_i32_e32 v6, v1
	s_branch .LBB110_1284
.LBB110_1283:
	s_mov_b32 s2, -1
                                        ; implicit-def: $vgpr6
.LBB110_1284:
	s_delay_alu instid0(SALU_CYCLE_1)
	s_and_not1_b32 vcc_lo, exec_lo, s2
	s_cbranch_vccnz .LBB110_1286
; %bb.1285:
	global_load_u8 v1, v[2:3], off
	s_wait_loadcnt 0x0
	v_cvt_f32_ubyte0_e32 v6, v1
.LBB110_1286:
.LBB110_1287:
	v_add_nc_u32_e32 v0, s1, v0
	s_cmp_lt_i32 s0, 11
	s_delay_alu instid0(VALU_DEP_1) | instskip(SKIP_1) | instid1(VALU_DEP_1)
	v_ashrrev_i32_e32 v1, 31, v0
	s_wait_xcnt 0x0
	v_add_nc_u64_e32 v[2:3], s[6:7], v[0:1]
	s_cbranch_scc1 .LBB110_1294
; %bb.1288:
	s_cmp_gt_i32 s0, 25
	s_mov_b32 s9, 0
	s_cbranch_scc0 .LBB110_1296
; %bb.1289:
	s_cmp_gt_i32 s0, 28
	s_cbranch_scc0 .LBB110_1297
; %bb.1290:
	s_cmp_gt_i32 s0, 43
	;; [unrolled: 3-line block ×3, first 2 shown]
	s_cbranch_scc0 .LBB110_1300
; %bb.1292:
	s_cmp_eq_u32 s0, 46
	s_mov_b32 s16, 0
	s_cbranch_scc0 .LBB110_1301
; %bb.1293:
	global_load_b32 v1, v[2:3], off
	s_mov_b32 s2, 0
	s_mov_b32 s13, -1
	s_wait_loadcnt 0x0
	v_lshlrev_b32_e32 v7, 16, v1
	s_branch .LBB110_1303
.LBB110_1294:
	s_mov_b32 s13, 0
                                        ; implicit-def: $vgpr7
	s_cbranch_execnz .LBB110_1369
.LBB110_1295:
	s_and_not1_b32 vcc_lo, exec_lo, s13
	s_cbranch_vccnz .LBB110_1980
	s_branch .LBB110_1417
.LBB110_1296:
	s_mov_b32 s16, -1
	s_mov_b32 s13, 0
	s_mov_b32 s2, 0
                                        ; implicit-def: $vgpr7
	s_branch .LBB110_1332
.LBB110_1297:
	s_mov_b32 s16, -1
	s_mov_b32 s13, 0
	s_mov_b32 s2, 0
                                        ; implicit-def: $vgpr7
	s_branch .LBB110_1313
.LBB110_1298:
	s_mov_b32 s16, -1
	s_mov_b32 s13, 0
	s_mov_b32 s2, 0
                                        ; implicit-def: $vgpr7
	s_branch .LBB110_1308
.LBB110_1299:
	s_or_b32 s12, s12, exec_lo
	s_trap 2
	s_cbranch_execz .LBB110_1238
	s_branch .LBB110_1239
.LBB110_1300:
	s_mov_b32 s16, -1
	s_mov_b32 s13, 0
	s_mov_b32 s2, 0
	s_branch .LBB110_1302
.LBB110_1301:
	s_mov_b32 s2, -1
	s_mov_b32 s13, 0
.LBB110_1302:
                                        ; implicit-def: $vgpr7
.LBB110_1303:
	s_and_b32 vcc_lo, exec_lo, s16
	s_cbranch_vccz .LBB110_1307
; %bb.1304:
	s_cmp_eq_u32 s0, 44
	s_cbranch_scc0 .LBB110_1306
; %bb.1305:
	global_load_u8 v1, v[2:3], off
	s_mov_b32 s2, 0
	s_mov_b32 s13, -1
	s_wait_loadcnt 0x0
	v_lshlrev_b32_e32 v7, 23, v1
	v_cmp_ne_u32_e32 vcc_lo, 0xff, v1
	s_delay_alu instid0(VALU_DEP_2) | instskip(SKIP_1) | instid1(VALU_DEP_2)
	v_cndmask_b32_e32 v7, 0x7f800001, v7, vcc_lo
	v_cmp_ne_u32_e32 vcc_lo, 0, v1
	v_cndmask_b32_e32 v7, 0x400000, v7, vcc_lo
	s_branch .LBB110_1307
.LBB110_1306:
	s_mov_b32 s2, -1
                                        ; implicit-def: $vgpr7
.LBB110_1307:
	s_mov_b32 s16, 0
.LBB110_1308:
	s_delay_alu instid0(SALU_CYCLE_1)
	s_and_b32 vcc_lo, exec_lo, s16
	s_cbranch_vccz .LBB110_1312
; %bb.1309:
	s_cmp_eq_u32 s0, 29
	s_cbranch_scc0 .LBB110_1311
; %bb.1310:
	global_load_b64 v[8:9], v[2:3], off
	s_mov_b32 s2, 0
	s_mov_b32 s13, -1
	s_mov_b32 s16, 0
	s_wait_loadcnt 0x0
	v_clz_i32_u32_e32 v1, v9
	s_delay_alu instid0(VALU_DEP_1) | instskip(NEXT) | instid1(VALU_DEP_1)
	v_min_u32_e32 v1, 32, v1
	v_lshlrev_b64_e32 v[8:9], v1, v[8:9]
	v_sub_nc_u32_e32 v1, 32, v1
	s_delay_alu instid0(VALU_DEP_2) | instskip(NEXT) | instid1(VALU_DEP_1)
	v_min_u32_e32 v7, 1, v8
	v_or_b32_e32 v7, v9, v7
	s_delay_alu instid0(VALU_DEP_1) | instskip(NEXT) | instid1(VALU_DEP_1)
	v_cvt_f32_u32_e32 v7, v7
	v_ldexp_f32 v7, v7, v1
	s_branch .LBB110_1313
.LBB110_1311:
	s_mov_b32 s2, -1
                                        ; implicit-def: $vgpr7
.LBB110_1312:
	s_mov_b32 s16, 0
.LBB110_1313:
	s_delay_alu instid0(SALU_CYCLE_1)
	s_and_b32 vcc_lo, exec_lo, s16
	s_cbranch_vccz .LBB110_1331
; %bb.1314:
	s_cmp_lt_i32 s0, 27
	s_cbranch_scc1 .LBB110_1317
; %bb.1315:
	s_cmp_gt_i32 s0, 27
	s_cbranch_scc0 .LBB110_1318
; %bb.1316:
	global_load_b32 v1, v[2:3], off
	s_mov_b32 s13, 0
	s_wait_loadcnt 0x0
	v_cvt_f32_u32_e32 v7, v1
	s_branch .LBB110_1319
.LBB110_1317:
	s_mov_b32 s13, -1
                                        ; implicit-def: $vgpr7
	s_branch .LBB110_1322
.LBB110_1318:
	s_mov_b32 s13, -1
                                        ; implicit-def: $vgpr7
.LBB110_1319:
	s_delay_alu instid0(SALU_CYCLE_1)
	s_and_not1_b32 vcc_lo, exec_lo, s13
	s_cbranch_vccnz .LBB110_1321
; %bb.1320:
	global_load_u16 v1, v[2:3], off
	s_wait_loadcnt 0x0
	v_cvt_f32_u32_e32 v7, v1
.LBB110_1321:
	s_mov_b32 s13, 0
.LBB110_1322:
	s_delay_alu instid0(SALU_CYCLE_1)
	s_and_not1_b32 vcc_lo, exec_lo, s13
	s_cbranch_vccnz .LBB110_1330
; %bb.1323:
	global_load_u8 v1, v[2:3], off
	s_mov_b32 s13, 0
	s_mov_b32 s16, exec_lo
	s_wait_loadcnt 0x0
	v_cmpx_lt_i16_e32 0x7f, v1
	s_xor_b32 s16, exec_lo, s16
	s_cbranch_execz .LBB110_1344
; %bb.1324:
	s_mov_b32 s13, -1
	s_mov_b32 s17, exec_lo
	v_cmpx_eq_u16_e32 0x80, v1
; %bb.1325:
	s_xor_b32 s13, exec_lo, -1
; %bb.1326:
	s_or_b32 exec_lo, exec_lo, s17
	s_delay_alu instid0(SALU_CYCLE_1)
	s_and_b32 s13, s13, exec_lo
	s_or_saveexec_b32 s16, s16
	v_mov_b32_e32 v7, 0x7f800001
	s_xor_b32 exec_lo, exec_lo, s16
	s_cbranch_execnz .LBB110_1345
.LBB110_1327:
	s_or_b32 exec_lo, exec_lo, s16
	s_and_saveexec_b32 s16, s13
	s_cbranch_execz .LBB110_1329
.LBB110_1328:
	v_and_b32_e32 v7, 0xffff, v1
	s_delay_alu instid0(VALU_DEP_1) | instskip(SKIP_1) | instid1(VALU_DEP_2)
	v_and_b32_e32 v8, 7, v7
	v_bfe_u32 v11, v7, 3, 4
	v_clz_i32_u32_e32 v9, v8
	s_delay_alu instid0(VALU_DEP_2) | instskip(NEXT) | instid1(VALU_DEP_2)
	v_cmp_eq_u32_e32 vcc_lo, 0, v11
	v_min_u32_e32 v9, 32, v9
	s_delay_alu instid0(VALU_DEP_1) | instskip(NEXT) | instid1(VALU_DEP_1)
	v_subrev_nc_u32_e32 v10, 28, v9
	v_dual_lshlrev_b32 v7, v10, v7 :: v_dual_sub_nc_u32 v9, 29, v9
	s_delay_alu instid0(VALU_DEP_1) | instskip(NEXT) | instid1(VALU_DEP_1)
	v_dual_lshlrev_b32 v1, 24, v1 :: v_dual_bitop2_b32 v7, 7, v7 bitop3:0x40
	v_dual_cndmask_b32 v7, v8, v7, vcc_lo :: v_dual_cndmask_b32 v9, v11, v9, vcc_lo
	s_delay_alu instid0(VALU_DEP_2) | instskip(NEXT) | instid1(VALU_DEP_2)
	v_and_b32_e32 v1, 0x80000000, v1
	v_lshlrev_b32_e32 v7, 20, v7
	s_delay_alu instid0(VALU_DEP_3) | instskip(NEXT) | instid1(VALU_DEP_1)
	v_lshl_add_u32 v8, v9, 23, 0x3b800000
	v_or3_b32 v7, v1, v8, v7
.LBB110_1329:
	s_or_b32 exec_lo, exec_lo, s16
.LBB110_1330:
	s_mov_b32 s13, -1
.LBB110_1331:
	s_mov_b32 s16, 0
.LBB110_1332:
	s_delay_alu instid0(SALU_CYCLE_1)
	s_and_b32 vcc_lo, exec_lo, s16
	s_cbranch_vccz .LBB110_1365
; %bb.1333:
	s_cmp_gt_i32 s0, 22
	s_cbranch_scc0 .LBB110_1343
; %bb.1334:
	s_cmp_lt_i32 s0, 24
	s_cbranch_scc1 .LBB110_1346
; %bb.1335:
	s_cmp_gt_i32 s0, 24
	s_cbranch_scc0 .LBB110_1347
; %bb.1336:
	global_load_u8 v1, v[2:3], off
	s_mov_b32 s13, exec_lo
	s_wait_loadcnt 0x0
	v_cmpx_lt_i16_e32 0x7f, v1
	s_xor_b32 s13, exec_lo, s13
	s_cbranch_execz .LBB110_1359
; %bb.1337:
	s_mov_b32 s9, -1
	s_mov_b32 s16, exec_lo
	v_cmpx_eq_u16_e32 0x80, v1
; %bb.1338:
	s_xor_b32 s9, exec_lo, -1
; %bb.1339:
	s_or_b32 exec_lo, exec_lo, s16
	s_delay_alu instid0(SALU_CYCLE_1)
	s_and_b32 s9, s9, exec_lo
	s_or_saveexec_b32 s13, s13
	v_mov_b32_e32 v7, 0x7f800001
	s_xor_b32 exec_lo, exec_lo, s13
	s_cbranch_execnz .LBB110_1360
.LBB110_1340:
	s_or_b32 exec_lo, exec_lo, s13
	s_and_saveexec_b32 s13, s9
	s_cbranch_execz .LBB110_1342
.LBB110_1341:
	v_and_b32_e32 v7, 0xffff, v1
	s_delay_alu instid0(VALU_DEP_1) | instskip(SKIP_1) | instid1(VALU_DEP_2)
	v_and_b32_e32 v8, 3, v7
	v_bfe_u32 v11, v7, 2, 5
	v_clz_i32_u32_e32 v9, v8
	s_delay_alu instid0(VALU_DEP_2) | instskip(NEXT) | instid1(VALU_DEP_2)
	v_cmp_eq_u32_e32 vcc_lo, 0, v11
	v_min_u32_e32 v9, 32, v9
	s_delay_alu instid0(VALU_DEP_1) | instskip(NEXT) | instid1(VALU_DEP_1)
	v_subrev_nc_u32_e32 v10, 29, v9
	v_dual_lshlrev_b32 v7, v10, v7 :: v_dual_sub_nc_u32 v9, 30, v9
	s_delay_alu instid0(VALU_DEP_1) | instskip(NEXT) | instid1(VALU_DEP_1)
	v_dual_lshlrev_b32 v1, 24, v1 :: v_dual_bitop2_b32 v7, 3, v7 bitop3:0x40
	v_dual_cndmask_b32 v7, v8, v7, vcc_lo :: v_dual_cndmask_b32 v9, v11, v9, vcc_lo
	s_delay_alu instid0(VALU_DEP_2) | instskip(NEXT) | instid1(VALU_DEP_2)
	v_and_b32_e32 v1, 0x80000000, v1
	v_lshlrev_b32_e32 v7, 21, v7
	s_delay_alu instid0(VALU_DEP_3) | instskip(NEXT) | instid1(VALU_DEP_1)
	v_lshl_add_u32 v8, v9, 23, 0x37800000
	v_or3_b32 v7, v1, v8, v7
.LBB110_1342:
	s_or_b32 exec_lo, exec_lo, s13
	s_mov_b32 s9, 0
	s_branch .LBB110_1348
.LBB110_1343:
	s_mov_b32 s9, -1
                                        ; implicit-def: $vgpr7
	s_branch .LBB110_1354
.LBB110_1344:
	s_or_saveexec_b32 s16, s16
	v_mov_b32_e32 v7, 0x7f800001
	s_xor_b32 exec_lo, exec_lo, s16
	s_cbranch_execz .LBB110_1327
.LBB110_1345:
	v_cmp_ne_u16_e32 vcc_lo, 0, v1
	v_mov_b32_e32 v7, 0
	s_and_not1_b32 s13, s13, exec_lo
	s_and_b32 s17, vcc_lo, exec_lo
	s_delay_alu instid0(SALU_CYCLE_1)
	s_or_b32 s13, s13, s17
	s_or_b32 exec_lo, exec_lo, s16
	s_and_saveexec_b32 s16, s13
	s_cbranch_execnz .LBB110_1328
	s_branch .LBB110_1329
.LBB110_1346:
	s_mov_b32 s9, -1
                                        ; implicit-def: $vgpr7
	s_branch .LBB110_1351
.LBB110_1347:
	s_mov_b32 s9, -1
                                        ; implicit-def: $vgpr7
.LBB110_1348:
	s_delay_alu instid0(SALU_CYCLE_1)
	s_and_b32 vcc_lo, exec_lo, s9
	s_cbranch_vccz .LBB110_1350
; %bb.1349:
	global_load_u8 v1, v[2:3], off
	s_wait_loadcnt 0x0
	v_lshlrev_b32_e32 v1, 24, v1
	s_delay_alu instid0(VALU_DEP_1) | instskip(NEXT) | instid1(VALU_DEP_1)
	v_and_b32_e32 v7, 0x7f000000, v1
	v_clz_i32_u32_e32 v8, v7
	v_cmp_ne_u32_e32 vcc_lo, 0, v7
	v_add_nc_u32_e32 v10, 0x1000000, v7
	s_delay_alu instid0(VALU_DEP_3) | instskip(NEXT) | instid1(VALU_DEP_1)
	v_min_u32_e32 v8, 32, v8
	v_sub_nc_u32_e64 v8, v8, 4 clamp
	s_delay_alu instid0(VALU_DEP_1) | instskip(NEXT) | instid1(VALU_DEP_1)
	v_dual_lshlrev_b32 v9, v8, v7 :: v_dual_lshlrev_b32 v8, 23, v8
	v_lshrrev_b32_e32 v9, 4, v9
	s_delay_alu instid0(VALU_DEP_1) | instskip(NEXT) | instid1(VALU_DEP_1)
	v_dual_sub_nc_u32 v8, v9, v8 :: v_dual_ashrrev_i32 v9, 8, v10
	v_add_nc_u32_e32 v8, 0x3c000000, v8
	s_delay_alu instid0(VALU_DEP_1) | instskip(NEXT) | instid1(VALU_DEP_1)
	v_and_or_b32 v8, 0x7f800000, v9, v8
	v_cndmask_b32_e32 v7, 0, v8, vcc_lo
	s_delay_alu instid0(VALU_DEP_1)
	v_and_or_b32 v7, 0x80000000, v1, v7
.LBB110_1350:
	s_mov_b32 s9, 0
.LBB110_1351:
	s_delay_alu instid0(SALU_CYCLE_1)
	s_and_not1_b32 vcc_lo, exec_lo, s9
	s_cbranch_vccnz .LBB110_1353
; %bb.1352:
	global_load_u8 v1, v[2:3], off
	s_wait_loadcnt 0x0
	v_lshlrev_b32_e32 v7, 25, v1
	v_lshlrev_b16 v1, 8, v1
	s_delay_alu instid0(VALU_DEP_1) | instskip(NEXT) | instid1(VALU_DEP_3)
	v_and_or_b32 v9, 0x7f00, v1, 0.5
	v_lshrrev_b32_e32 v8, 4, v7
	v_bfe_i32 v1, v1, 0, 16
	s_delay_alu instid0(VALU_DEP_3) | instskip(NEXT) | instid1(VALU_DEP_3)
	v_add_f32_e32 v9, -0.5, v9
	v_or_b32_e32 v8, 0x70000000, v8
	s_delay_alu instid0(VALU_DEP_1) | instskip(SKIP_1) | instid1(VALU_DEP_2)
	v_mul_f32_e32 v8, 0x7800000, v8
	v_cmp_gt_u32_e32 vcc_lo, 0x8000000, v7
	v_cndmask_b32_e32 v7, v8, v9, vcc_lo
	s_delay_alu instid0(VALU_DEP_1)
	v_and_or_b32 v7, 0x80000000, v1, v7
.LBB110_1353:
	s_mov_b32 s9, 0
	s_mov_b32 s13, -1
.LBB110_1354:
	s_and_not1_b32 vcc_lo, exec_lo, s9
	s_mov_b32 s9, 0
	s_cbranch_vccnz .LBB110_1365
; %bb.1355:
	s_cmp_gt_i32 s0, 14
	s_cbranch_scc0 .LBB110_1358
; %bb.1356:
	s_cmp_eq_u32 s0, 15
	s_cbranch_scc0 .LBB110_1361
; %bb.1357:
	global_load_u16 v1, v[2:3], off
	s_mov_b32 s2, 0
	s_mov_b32 s13, -1
	s_wait_loadcnt 0x0
	v_lshlrev_b32_e32 v7, 16, v1
	s_branch .LBB110_1363
.LBB110_1358:
	s_mov_b32 s9, -1
	s_branch .LBB110_1362
.LBB110_1359:
	s_or_saveexec_b32 s13, s13
	v_mov_b32_e32 v7, 0x7f800001
	s_xor_b32 exec_lo, exec_lo, s13
	s_cbranch_execz .LBB110_1340
.LBB110_1360:
	v_cmp_ne_u16_e32 vcc_lo, 0, v1
	v_mov_b32_e32 v7, 0
	s_and_not1_b32 s9, s9, exec_lo
	s_and_b32 s16, vcc_lo, exec_lo
	s_delay_alu instid0(SALU_CYCLE_1)
	s_or_b32 s9, s9, s16
	s_or_b32 exec_lo, exec_lo, s13
	s_and_saveexec_b32 s13, s9
	s_cbranch_execnz .LBB110_1341
	s_branch .LBB110_1342
.LBB110_1361:
	s_mov_b32 s2, -1
.LBB110_1362:
                                        ; implicit-def: $vgpr7
.LBB110_1363:
	s_and_b32 vcc_lo, exec_lo, s9
	s_mov_b32 s9, 0
	s_cbranch_vccz .LBB110_1365
; %bb.1364:
	s_cmp_lg_u32 s0, 11
	s_mov_b32 s9, -1
	s_cselect_b32 s2, -1, 0
.LBB110_1365:
	s_delay_alu instid0(SALU_CYCLE_1)
	s_and_b32 vcc_lo, exec_lo, s2
	s_cbranch_vccnz .LBB110_1428
; %bb.1366:
	s_and_not1_b32 vcc_lo, exec_lo, s9
	s_cbranch_vccnz .LBB110_1368
.LBB110_1367:
	global_load_u8 v1, v[2:3], off
	s_mov_b32 s13, -1
	s_wait_loadcnt 0x0
	v_cmp_ne_u16_e32 vcc_lo, 0, v1
	v_cndmask_b32_e64 v7, 0, 1.0, vcc_lo
.LBB110_1368:
	s_branch .LBB110_1295
.LBB110_1369:
	s_cmp_lt_i32 s0, 5
	s_cbranch_scc1 .LBB110_1374
; %bb.1370:
	s_cmp_lt_i32 s0, 8
	s_cbranch_scc1 .LBB110_1375
; %bb.1371:
	;; [unrolled: 3-line block ×3, first 2 shown]
	s_cmp_gt_i32 s0, 9
	s_cbranch_scc0 .LBB110_1377
; %bb.1373:
	global_load_b64 v[8:9], v[2:3], off
	s_mov_b32 s2, 0
	s_wait_loadcnt 0x0
	v_cvt_f32_f64_e32 v7, v[8:9]
	s_branch .LBB110_1378
.LBB110_1374:
	s_mov_b32 s2, -1
                                        ; implicit-def: $vgpr7
	s_branch .LBB110_1396
.LBB110_1375:
	s_mov_b32 s2, -1
                                        ; implicit-def: $vgpr7
	s_branch .LBB110_1384
.LBB110_1376:
	s_mov_b32 s2, -1
                                        ; implicit-def: $vgpr7
	s_branch .LBB110_1381
.LBB110_1377:
	s_mov_b32 s2, -1
                                        ; implicit-def: $vgpr7
.LBB110_1378:
	s_delay_alu instid0(SALU_CYCLE_1)
	s_and_not1_b32 vcc_lo, exec_lo, s2
	s_cbranch_vccnz .LBB110_1380
; %bb.1379:
	global_load_b32 v7, v[2:3], off
.LBB110_1380:
	s_mov_b32 s2, 0
.LBB110_1381:
	s_delay_alu instid0(SALU_CYCLE_1)
	s_and_not1_b32 vcc_lo, exec_lo, s2
	s_cbranch_vccnz .LBB110_1383
; %bb.1382:
	global_load_b32 v1, v[2:3], off
	s_wait_loadcnt 0x0
	v_cvt_f32_f16_e32 v7, v1
.LBB110_1383:
	s_mov_b32 s2, 0
.LBB110_1384:
	s_delay_alu instid0(SALU_CYCLE_1)
	s_and_not1_b32 vcc_lo, exec_lo, s2
	s_cbranch_vccnz .LBB110_1395
; %bb.1385:
	s_cmp_lt_i32 s0, 6
	s_cbranch_scc1 .LBB110_1388
; %bb.1386:
	s_cmp_gt_i32 s0, 6
	s_cbranch_scc0 .LBB110_1389
; %bb.1387:
	global_load_b64 v[8:9], v[2:3], off
	s_mov_b32 s2, 0
	s_wait_loadcnt 0x0
	v_cvt_f32_f64_e32 v7, v[8:9]
	s_branch .LBB110_1390
.LBB110_1388:
	s_mov_b32 s2, -1
                                        ; implicit-def: $vgpr7
	s_branch .LBB110_1393
.LBB110_1389:
	s_mov_b32 s2, -1
                                        ; implicit-def: $vgpr7
.LBB110_1390:
	s_delay_alu instid0(SALU_CYCLE_1)
	s_and_not1_b32 vcc_lo, exec_lo, s2
	s_cbranch_vccnz .LBB110_1392
; %bb.1391:
	s_wait_loadcnt 0x0
	global_load_b32 v7, v[2:3], off
.LBB110_1392:
	s_mov_b32 s2, 0
.LBB110_1393:
	s_delay_alu instid0(SALU_CYCLE_1)
	s_and_not1_b32 vcc_lo, exec_lo, s2
	s_cbranch_vccnz .LBB110_1395
; %bb.1394:
	global_load_u16 v1, v[2:3], off
	s_wait_loadcnt 0x0
	v_cvt_f32_f16_e32 v7, v1
.LBB110_1395:
	s_mov_b32 s2, 0
.LBB110_1396:
	s_delay_alu instid0(SALU_CYCLE_1)
	s_and_not1_b32 vcc_lo, exec_lo, s2
	s_cbranch_vccnz .LBB110_1416
; %bb.1397:
	s_cmp_lt_i32 s0, 2
	s_cbranch_scc1 .LBB110_1401
; %bb.1398:
	s_cmp_lt_i32 s0, 3
	s_cbranch_scc1 .LBB110_1402
; %bb.1399:
	s_cmp_gt_i32 s0, 3
	s_cbranch_scc0 .LBB110_1403
; %bb.1400:
	global_load_b64 v[8:9], v[2:3], off
	s_mov_b32 s2, 0
	s_wait_loadcnt 0x0
	v_xor_b32_e32 v1, v8, v9
	v_cls_i32_e32 v7, v9
	s_delay_alu instid0(VALU_DEP_2) | instskip(NEXT) | instid1(VALU_DEP_1)
	v_ashrrev_i32_e32 v1, 31, v1
	v_add_nc_u32_e32 v1, 32, v1
	s_delay_alu instid0(VALU_DEP_1) | instskip(NEXT) | instid1(VALU_DEP_1)
	v_add_min_u32_e64 v1, v7, -1, v1
	v_lshlrev_b64_e32 v[8:9], v1, v[8:9]
	v_sub_nc_u32_e32 v1, 32, v1
	s_delay_alu instid0(VALU_DEP_2) | instskip(NEXT) | instid1(VALU_DEP_1)
	v_min_u32_e32 v7, 1, v8
	v_or_b32_e32 v7, v9, v7
	s_delay_alu instid0(VALU_DEP_1) | instskip(NEXT) | instid1(VALU_DEP_1)
	v_cvt_f32_i32_e32 v7, v7
	v_ldexp_f32 v7, v7, v1
	s_branch .LBB110_1404
.LBB110_1401:
	s_mov_b32 s2, -1
                                        ; implicit-def: $vgpr7
	s_branch .LBB110_1410
.LBB110_1402:
	s_mov_b32 s2, -1
                                        ; implicit-def: $vgpr7
	s_branch .LBB110_1407
.LBB110_1403:
	s_mov_b32 s2, -1
                                        ; implicit-def: $vgpr7
.LBB110_1404:
	s_delay_alu instid0(SALU_CYCLE_1)
	s_and_not1_b32 vcc_lo, exec_lo, s2
	s_cbranch_vccnz .LBB110_1406
; %bb.1405:
	global_load_b32 v1, v[2:3], off
	s_wait_loadcnt 0x0
	v_cvt_f32_i32_e32 v7, v1
.LBB110_1406:
	s_mov_b32 s2, 0
.LBB110_1407:
	s_delay_alu instid0(SALU_CYCLE_1)
	s_and_not1_b32 vcc_lo, exec_lo, s2
	s_cbranch_vccnz .LBB110_1409
; %bb.1408:
	global_load_i16 v1, v[2:3], off
	s_wait_loadcnt 0x0
	v_cvt_f32_i32_e32 v7, v1
.LBB110_1409:
	s_mov_b32 s2, 0
.LBB110_1410:
	s_delay_alu instid0(SALU_CYCLE_1)
	s_and_not1_b32 vcc_lo, exec_lo, s2
	s_cbranch_vccnz .LBB110_1416
; %bb.1411:
	s_cmp_gt_i32 s0, 0
	s_mov_b32 s2, 0
	s_cbranch_scc0 .LBB110_1413
; %bb.1412:
	global_load_i8 v1, v[2:3], off
	s_wait_loadcnt 0x0
	v_cvt_f32_i32_e32 v7, v1
	s_branch .LBB110_1414
.LBB110_1413:
	s_mov_b32 s2, -1
                                        ; implicit-def: $vgpr7
.LBB110_1414:
	s_delay_alu instid0(SALU_CYCLE_1)
	s_and_not1_b32 vcc_lo, exec_lo, s2
	s_cbranch_vccnz .LBB110_1416
; %bb.1415:
	global_load_u8 v1, v[2:3], off
	s_wait_loadcnt 0x0
	v_cvt_f32_ubyte0_e32 v7, v1
.LBB110_1416:
.LBB110_1417:
	v_add_nc_u32_e32 v0, s1, v0
	s_cmp_lt_i32 s0, 11
	s_delay_alu instid0(VALU_DEP_1) | instskip(NEXT) | instid1(VALU_DEP_1)
	v_ashrrev_i32_e32 v1, 31, v0
	v_add_nc_u64_e32 v[0:1], s[6:7], v[0:1]
	s_cbranch_scc1 .LBB110_1424
; %bb.1418:
	s_cmp_gt_i32 s0, 25
	s_mov_b32 s2, 0
	s_cbranch_scc0 .LBB110_1425
; %bb.1419:
	s_cmp_gt_i32 s0, 28
	s_cbranch_scc0 .LBB110_1426
; %bb.1420:
	s_cmp_gt_i32 s0, 43
	;; [unrolled: 3-line block ×3, first 2 shown]
	s_cbranch_scc0 .LBB110_1429
; %bb.1422:
	s_cmp_eq_u32 s0, 46
	s_mov_b32 s7, 0
	s_cbranch_scc0 .LBB110_1430
; %bb.1423:
	global_load_b32 v2, v[0:1], off
	s_mov_b32 s1, 0
	s_mov_b32 s6, -1
	s_wait_loadcnt 0x0
	v_lshlrev_b32_e32 v8, 16, v2
	s_branch .LBB110_1432
.LBB110_1424:
	s_mov_b32 s1, -1
	s_mov_b32 s6, 0
                                        ; implicit-def: $vgpr8
	s_branch .LBB110_1498
.LBB110_1425:
	s_mov_b32 s7, -1
	s_mov_b32 s6, 0
	s_mov_b32 s1, 0
                                        ; implicit-def: $vgpr8
	s_branch .LBB110_1461
.LBB110_1426:
	s_mov_b32 s7, -1
	s_mov_b32 s6, 0
	s_mov_b32 s1, 0
                                        ; implicit-def: $vgpr8
	s_branch .LBB110_1442
.LBB110_1427:
	s_mov_b32 s7, -1
	s_mov_b32 s6, 0
	s_mov_b32 s1, 0
                                        ; implicit-def: $vgpr8
	s_branch .LBB110_1437
.LBB110_1428:
	s_or_b32 s12, s12, exec_lo
	s_trap 2
	s_cbranch_execz .LBB110_1367
	s_branch .LBB110_1368
.LBB110_1429:
	s_mov_b32 s7, -1
	s_mov_b32 s6, 0
	s_mov_b32 s1, 0
	s_branch .LBB110_1431
.LBB110_1430:
	s_mov_b32 s1, -1
	s_mov_b32 s6, 0
.LBB110_1431:
                                        ; implicit-def: $vgpr8
.LBB110_1432:
	s_and_b32 vcc_lo, exec_lo, s7
	s_cbranch_vccz .LBB110_1436
; %bb.1433:
	s_cmp_eq_u32 s0, 44
	s_cbranch_scc0 .LBB110_1435
; %bb.1434:
	global_load_u8 v2, v[0:1], off
	s_mov_b32 s1, 0
	s_mov_b32 s6, -1
	s_wait_loadcnt 0x0
	v_lshlrev_b32_e32 v3, 23, v2
	v_cmp_ne_u32_e32 vcc_lo, 0xff, v2
	s_delay_alu instid0(VALU_DEP_2) | instskip(SKIP_1) | instid1(VALU_DEP_2)
	v_cndmask_b32_e32 v3, 0x7f800001, v3, vcc_lo
	v_cmp_ne_u32_e32 vcc_lo, 0, v2
	v_cndmask_b32_e32 v8, 0x400000, v3, vcc_lo
	s_branch .LBB110_1436
.LBB110_1435:
	s_mov_b32 s1, -1
                                        ; implicit-def: $vgpr8
.LBB110_1436:
	s_mov_b32 s7, 0
.LBB110_1437:
	s_delay_alu instid0(SALU_CYCLE_1)
	s_and_b32 vcc_lo, exec_lo, s7
	s_cbranch_vccz .LBB110_1441
; %bb.1438:
	s_cmp_eq_u32 s0, 29
	s_cbranch_scc0 .LBB110_1440
; %bb.1439:
	global_load_b64 v[2:3], v[0:1], off
	s_mov_b32 s1, 0
	s_mov_b32 s6, -1
	s_mov_b32 s7, 0
	s_wait_loadcnt 0x0
	v_clz_i32_u32_e32 v8, v3
	s_delay_alu instid0(VALU_DEP_1) | instskip(NEXT) | instid1(VALU_DEP_1)
	v_min_u32_e32 v8, 32, v8
	v_lshlrev_b64_e32 v[2:3], v8, v[2:3]
	s_delay_alu instid0(VALU_DEP_1) | instskip(NEXT) | instid1(VALU_DEP_1)
	v_min_u32_e32 v2, 1, v2
	v_dual_sub_nc_u32 v3, 32, v8 :: v_dual_bitop2_b32 v2, v3, v2 bitop3:0x54
	s_delay_alu instid0(VALU_DEP_1) | instskip(NEXT) | instid1(VALU_DEP_1)
	v_cvt_f32_u32_e32 v2, v2
	v_ldexp_f32 v8, v2, v3
	s_branch .LBB110_1442
.LBB110_1440:
	s_mov_b32 s1, -1
                                        ; implicit-def: $vgpr8
.LBB110_1441:
	s_mov_b32 s7, 0
.LBB110_1442:
	s_delay_alu instid0(SALU_CYCLE_1)
	s_and_b32 vcc_lo, exec_lo, s7
	s_cbranch_vccz .LBB110_1460
; %bb.1443:
	s_cmp_lt_i32 s0, 27
	s_cbranch_scc1 .LBB110_1446
; %bb.1444:
	s_cmp_gt_i32 s0, 27
	s_cbranch_scc0 .LBB110_1447
; %bb.1445:
	global_load_b32 v2, v[0:1], off
	s_mov_b32 s6, 0
	s_wait_loadcnt 0x0
	v_cvt_f32_u32_e32 v8, v2
	s_branch .LBB110_1448
.LBB110_1446:
	s_mov_b32 s6, -1
                                        ; implicit-def: $vgpr8
	s_branch .LBB110_1451
.LBB110_1447:
	s_mov_b32 s6, -1
                                        ; implicit-def: $vgpr8
.LBB110_1448:
	s_delay_alu instid0(SALU_CYCLE_1)
	s_and_not1_b32 vcc_lo, exec_lo, s6
	s_cbranch_vccnz .LBB110_1450
; %bb.1449:
	global_load_u16 v2, v[0:1], off
	s_wait_loadcnt 0x0
	v_cvt_f32_u32_e32 v8, v2
.LBB110_1450:
	s_mov_b32 s6, 0
.LBB110_1451:
	s_delay_alu instid0(SALU_CYCLE_1)
	s_and_not1_b32 vcc_lo, exec_lo, s6
	s_cbranch_vccnz .LBB110_1459
; %bb.1452:
	global_load_u8 v2, v[0:1], off
	s_mov_b32 s6, 0
	s_mov_b32 s7, exec_lo
	s_wait_loadcnt 0x0
	v_cmpx_lt_i16_e32 0x7f, v2
	s_xor_b32 s7, exec_lo, s7
	s_cbranch_execz .LBB110_1473
; %bb.1453:
	s_mov_b32 s6, -1
	s_mov_b32 s9, exec_lo
	v_cmpx_eq_u16_e32 0x80, v2
; %bb.1454:
	s_xor_b32 s6, exec_lo, -1
; %bb.1455:
	s_or_b32 exec_lo, exec_lo, s9
	s_delay_alu instid0(SALU_CYCLE_1)
	s_and_b32 s6, s6, exec_lo
	s_or_saveexec_b32 s7, s7
	v_mov_b32_e32 v8, 0x7f800001
	s_xor_b32 exec_lo, exec_lo, s7
	s_cbranch_execnz .LBB110_1474
.LBB110_1456:
	s_or_b32 exec_lo, exec_lo, s7
	s_and_saveexec_b32 s7, s6
	s_cbranch_execz .LBB110_1458
.LBB110_1457:
	v_and_b32_e32 v3, 0xffff, v2
	s_delay_alu instid0(VALU_DEP_1) | instskip(SKIP_1) | instid1(VALU_DEP_2)
	v_and_b32_e32 v8, 7, v3
	v_bfe_u32 v11, v3, 3, 4
	v_clz_i32_u32_e32 v9, v8
	s_delay_alu instid0(VALU_DEP_2) | instskip(NEXT) | instid1(VALU_DEP_2)
	v_cmp_eq_u32_e32 vcc_lo, 0, v11
	v_min_u32_e32 v9, 32, v9
	s_delay_alu instid0(VALU_DEP_1) | instskip(NEXT) | instid1(VALU_DEP_1)
	v_subrev_nc_u32_e32 v10, 28, v9
	v_dual_lshlrev_b32 v3, v10, v3 :: v_dual_sub_nc_u32 v9, 29, v9
	s_delay_alu instid0(VALU_DEP_1) | instskip(NEXT) | instid1(VALU_DEP_1)
	v_dual_lshlrev_b32 v2, 24, v2 :: v_dual_bitop2_b32 v3, 7, v3 bitop3:0x40
	v_dual_cndmask_b32 v9, v11, v9, vcc_lo :: v_dual_cndmask_b32 v3, v8, v3, vcc_lo
	s_delay_alu instid0(VALU_DEP_2) | instskip(NEXT) | instid1(VALU_DEP_2)
	v_and_b32_e32 v2, 0x80000000, v2
	v_lshl_add_u32 v8, v9, 23, 0x3b800000
	s_delay_alu instid0(VALU_DEP_3) | instskip(NEXT) | instid1(VALU_DEP_1)
	v_lshlrev_b32_e32 v3, 20, v3
	v_or3_b32 v8, v2, v8, v3
.LBB110_1458:
	s_or_b32 exec_lo, exec_lo, s7
.LBB110_1459:
	s_mov_b32 s6, -1
.LBB110_1460:
	s_mov_b32 s7, 0
.LBB110_1461:
	s_delay_alu instid0(SALU_CYCLE_1)
	s_and_b32 vcc_lo, exec_lo, s7
	s_cbranch_vccz .LBB110_1494
; %bb.1462:
	s_cmp_gt_i32 s0, 22
	s_cbranch_scc0 .LBB110_1472
; %bb.1463:
	s_cmp_lt_i32 s0, 24
	s_cbranch_scc1 .LBB110_1475
; %bb.1464:
	s_cmp_gt_i32 s0, 24
	s_cbranch_scc0 .LBB110_1476
; %bb.1465:
	global_load_u8 v2, v[0:1], off
	s_mov_b32 s6, exec_lo
	s_wait_loadcnt 0x0
	v_cmpx_lt_i16_e32 0x7f, v2
	s_xor_b32 s6, exec_lo, s6
	s_cbranch_execz .LBB110_1488
; %bb.1466:
	s_mov_b32 s2, -1
	s_mov_b32 s7, exec_lo
	v_cmpx_eq_u16_e32 0x80, v2
; %bb.1467:
	s_xor_b32 s2, exec_lo, -1
; %bb.1468:
	s_or_b32 exec_lo, exec_lo, s7
	s_delay_alu instid0(SALU_CYCLE_1)
	s_and_b32 s2, s2, exec_lo
	s_or_saveexec_b32 s6, s6
	v_mov_b32_e32 v8, 0x7f800001
	s_xor_b32 exec_lo, exec_lo, s6
	s_cbranch_execnz .LBB110_1489
.LBB110_1469:
	s_or_b32 exec_lo, exec_lo, s6
	s_and_saveexec_b32 s6, s2
	s_cbranch_execz .LBB110_1471
.LBB110_1470:
	v_and_b32_e32 v3, 0xffff, v2
	s_delay_alu instid0(VALU_DEP_1) | instskip(SKIP_1) | instid1(VALU_DEP_2)
	v_and_b32_e32 v8, 3, v3
	v_bfe_u32 v11, v3, 2, 5
	v_clz_i32_u32_e32 v9, v8
	s_delay_alu instid0(VALU_DEP_2) | instskip(NEXT) | instid1(VALU_DEP_2)
	v_cmp_eq_u32_e32 vcc_lo, 0, v11
	v_min_u32_e32 v9, 32, v9
	s_delay_alu instid0(VALU_DEP_1) | instskip(NEXT) | instid1(VALU_DEP_1)
	v_subrev_nc_u32_e32 v10, 29, v9
	v_dual_lshlrev_b32 v3, v10, v3 :: v_dual_sub_nc_u32 v9, 30, v9
	s_delay_alu instid0(VALU_DEP_1) | instskip(NEXT) | instid1(VALU_DEP_1)
	v_dual_lshlrev_b32 v2, 24, v2 :: v_dual_bitop2_b32 v3, 3, v3 bitop3:0x40
	v_dual_cndmask_b32 v9, v11, v9, vcc_lo :: v_dual_cndmask_b32 v3, v8, v3, vcc_lo
	s_delay_alu instid0(VALU_DEP_2) | instskip(NEXT) | instid1(VALU_DEP_2)
	v_and_b32_e32 v2, 0x80000000, v2
	v_lshl_add_u32 v8, v9, 23, 0x37800000
	s_delay_alu instid0(VALU_DEP_3) | instskip(NEXT) | instid1(VALU_DEP_1)
	v_lshlrev_b32_e32 v3, 21, v3
	v_or3_b32 v8, v2, v8, v3
.LBB110_1471:
	s_or_b32 exec_lo, exec_lo, s6
	s_mov_b32 s2, 0
	s_branch .LBB110_1477
.LBB110_1472:
	s_mov_b32 s2, -1
                                        ; implicit-def: $vgpr8
	s_branch .LBB110_1483
.LBB110_1473:
	s_or_saveexec_b32 s7, s7
	v_mov_b32_e32 v8, 0x7f800001
	s_xor_b32 exec_lo, exec_lo, s7
	s_cbranch_execz .LBB110_1456
.LBB110_1474:
	v_cmp_ne_u16_e32 vcc_lo, 0, v2
	v_mov_b32_e32 v8, 0
	s_and_not1_b32 s6, s6, exec_lo
	s_and_b32 s9, vcc_lo, exec_lo
	s_delay_alu instid0(SALU_CYCLE_1)
	s_or_b32 s6, s6, s9
	s_or_b32 exec_lo, exec_lo, s7
	s_and_saveexec_b32 s7, s6
	s_cbranch_execnz .LBB110_1457
	s_branch .LBB110_1458
.LBB110_1475:
	s_mov_b32 s2, -1
                                        ; implicit-def: $vgpr8
	s_branch .LBB110_1480
.LBB110_1476:
	s_mov_b32 s2, -1
                                        ; implicit-def: $vgpr8
.LBB110_1477:
	s_delay_alu instid0(SALU_CYCLE_1)
	s_and_b32 vcc_lo, exec_lo, s2
	s_cbranch_vccz .LBB110_1479
; %bb.1478:
	global_load_u8 v2, v[0:1], off
	s_wait_loadcnt 0x0
	v_lshlrev_b32_e32 v2, 24, v2
	s_delay_alu instid0(VALU_DEP_1) | instskip(NEXT) | instid1(VALU_DEP_1)
	v_and_b32_e32 v3, 0x7f000000, v2
	v_clz_i32_u32_e32 v8, v3
	v_cmp_ne_u32_e32 vcc_lo, 0, v3
	v_add_nc_u32_e32 v10, 0x1000000, v3
	s_delay_alu instid0(VALU_DEP_3) | instskip(NEXT) | instid1(VALU_DEP_1)
	v_min_u32_e32 v8, 32, v8
	v_sub_nc_u32_e64 v8, v8, 4 clamp
	s_delay_alu instid0(VALU_DEP_1) | instskip(NEXT) | instid1(VALU_DEP_1)
	v_dual_lshlrev_b32 v9, v8, v3 :: v_dual_lshlrev_b32 v8, 23, v8
	v_lshrrev_b32_e32 v9, 4, v9
	s_delay_alu instid0(VALU_DEP_1) | instskip(NEXT) | instid1(VALU_DEP_1)
	v_dual_sub_nc_u32 v8, v9, v8 :: v_dual_ashrrev_i32 v9, 8, v10
	v_add_nc_u32_e32 v8, 0x3c000000, v8
	s_delay_alu instid0(VALU_DEP_1) | instskip(NEXT) | instid1(VALU_DEP_1)
	v_and_or_b32 v8, 0x7f800000, v9, v8
	v_cndmask_b32_e32 v3, 0, v8, vcc_lo
	s_delay_alu instid0(VALU_DEP_1)
	v_and_or_b32 v8, 0x80000000, v2, v3
.LBB110_1479:
	s_mov_b32 s2, 0
.LBB110_1480:
	s_delay_alu instid0(SALU_CYCLE_1)
	s_and_not1_b32 vcc_lo, exec_lo, s2
	s_cbranch_vccnz .LBB110_1482
; %bb.1481:
	global_load_u8 v2, v[0:1], off
	s_wait_loadcnt 0x0
	v_lshlrev_b32_e32 v3, 25, v2
	v_lshlrev_b16 v2, 8, v2
	s_delay_alu instid0(VALU_DEP_1) | instskip(SKIP_1) | instid1(VALU_DEP_2)
	v_and_or_b32 v9, 0x7f00, v2, 0.5
	v_bfe_i32 v2, v2, 0, 16
	v_dual_add_f32 v9, -0.5, v9 :: v_dual_lshrrev_b32 v8, 4, v3
	v_cmp_gt_u32_e32 vcc_lo, 0x8000000, v3
	s_delay_alu instid0(VALU_DEP_2) | instskip(NEXT) | instid1(VALU_DEP_1)
	v_or_b32_e32 v8, 0x70000000, v8
	v_mul_f32_e32 v8, 0x7800000, v8
	s_delay_alu instid0(VALU_DEP_1) | instskip(NEXT) | instid1(VALU_DEP_1)
	v_cndmask_b32_e32 v3, v8, v9, vcc_lo
	v_and_or_b32 v8, 0x80000000, v2, v3
.LBB110_1482:
	s_mov_b32 s2, 0
	s_mov_b32 s6, -1
.LBB110_1483:
	s_and_not1_b32 vcc_lo, exec_lo, s2
	s_mov_b32 s2, 0
	s_cbranch_vccnz .LBB110_1494
; %bb.1484:
	s_cmp_gt_i32 s0, 14
	s_cbranch_scc0 .LBB110_1487
; %bb.1485:
	s_cmp_eq_u32 s0, 15
	s_cbranch_scc0 .LBB110_1490
; %bb.1486:
	global_load_u16 v2, v[0:1], off
	s_mov_b32 s1, 0
	s_mov_b32 s6, -1
	s_wait_loadcnt 0x0
	v_lshlrev_b32_e32 v8, 16, v2
	s_branch .LBB110_1492
.LBB110_1487:
	s_mov_b32 s2, -1
	s_branch .LBB110_1491
.LBB110_1488:
	s_or_saveexec_b32 s6, s6
	v_mov_b32_e32 v8, 0x7f800001
	s_xor_b32 exec_lo, exec_lo, s6
	s_cbranch_execz .LBB110_1469
.LBB110_1489:
	v_cmp_ne_u16_e32 vcc_lo, 0, v2
	v_mov_b32_e32 v8, 0
	s_and_not1_b32 s2, s2, exec_lo
	s_and_b32 s7, vcc_lo, exec_lo
	s_delay_alu instid0(SALU_CYCLE_1)
	s_or_b32 s2, s2, s7
	s_or_b32 exec_lo, exec_lo, s6
	s_and_saveexec_b32 s6, s2
	s_cbranch_execnz .LBB110_1470
	s_branch .LBB110_1471
.LBB110_1490:
	s_mov_b32 s1, -1
.LBB110_1491:
                                        ; implicit-def: $vgpr8
.LBB110_1492:
	s_and_b32 vcc_lo, exec_lo, s2
	s_mov_b32 s2, 0
	s_cbranch_vccz .LBB110_1494
; %bb.1493:
	s_cmp_lg_u32 s0, 11
	s_mov_b32 s2, -1
	s_cselect_b32 s1, -1, 0
.LBB110_1494:
	s_delay_alu instid0(SALU_CYCLE_1)
	s_and_b32 vcc_lo, exec_lo, s1
	s_cbranch_vccnz .LBB110_2026
; %bb.1495:
	s_and_not1_b32 vcc_lo, exec_lo, s2
	s_cbranch_vccnz .LBB110_1497
.LBB110_1496:
	global_load_u8 v2, v[0:1], off
	s_mov_b32 s6, -1
	s_wait_loadcnt 0x0
	v_cmp_ne_u16_e32 vcc_lo, 0, v2
	v_cndmask_b32_e64 v8, 0, 1.0, vcc_lo
.LBB110_1497:
	s_mov_b32 s1, 0
.LBB110_1498:
	s_delay_alu instid0(SALU_CYCLE_1)
	s_and_b32 vcc_lo, exec_lo, s1
	s_cbranch_vccz .LBB110_1547
; %bb.1499:
	s_cmp_lt_i32 s0, 5
	s_cbranch_scc1 .LBB110_1504
; %bb.1500:
	s_cmp_lt_i32 s0, 8
	s_cbranch_scc1 .LBB110_1505
; %bb.1501:
	s_cmp_lt_i32 s0, 9
	s_cbranch_scc1 .LBB110_1506
; %bb.1502:
	s_cmp_gt_i32 s0, 9
	s_cbranch_scc0 .LBB110_1507
; %bb.1503:
	global_load_b64 v[2:3], v[0:1], off
	s_mov_b32 s1, 0
	s_wait_loadcnt 0x0
	v_cvt_f32_f64_e32 v8, v[2:3]
	s_branch .LBB110_1508
.LBB110_1504:
	s_mov_b32 s1, -1
                                        ; implicit-def: $vgpr8
	s_branch .LBB110_1526
.LBB110_1505:
	s_mov_b32 s1, -1
                                        ; implicit-def: $vgpr8
	s_branch .LBB110_1514
.LBB110_1506:
	s_mov_b32 s1, -1
                                        ; implicit-def: $vgpr8
	s_branch .LBB110_1511
.LBB110_1507:
	s_mov_b32 s1, -1
                                        ; implicit-def: $vgpr8
.LBB110_1508:
	s_delay_alu instid0(SALU_CYCLE_1)
	s_and_not1_b32 vcc_lo, exec_lo, s1
	s_cbranch_vccnz .LBB110_1510
; %bb.1509:
	global_load_b32 v8, v[0:1], off
.LBB110_1510:
	s_mov_b32 s1, 0
.LBB110_1511:
	s_delay_alu instid0(SALU_CYCLE_1)
	s_and_not1_b32 vcc_lo, exec_lo, s1
	s_cbranch_vccnz .LBB110_1513
; %bb.1512:
	global_load_b32 v2, v[0:1], off
	s_wait_loadcnt 0x0
	v_cvt_f32_f16_e32 v8, v2
.LBB110_1513:
	s_mov_b32 s1, 0
.LBB110_1514:
	s_delay_alu instid0(SALU_CYCLE_1)
	s_and_not1_b32 vcc_lo, exec_lo, s1
	s_cbranch_vccnz .LBB110_1525
; %bb.1515:
	s_cmp_lt_i32 s0, 6
	s_cbranch_scc1 .LBB110_1518
; %bb.1516:
	s_cmp_gt_i32 s0, 6
	s_cbranch_scc0 .LBB110_1519
; %bb.1517:
	global_load_b64 v[2:3], v[0:1], off
	s_mov_b32 s1, 0
	s_wait_loadcnt 0x0
	v_cvt_f32_f64_e32 v8, v[2:3]
	s_branch .LBB110_1520
.LBB110_1518:
	s_mov_b32 s1, -1
                                        ; implicit-def: $vgpr8
	s_branch .LBB110_1523
.LBB110_1519:
	s_mov_b32 s1, -1
                                        ; implicit-def: $vgpr8
.LBB110_1520:
	s_delay_alu instid0(SALU_CYCLE_1)
	s_and_not1_b32 vcc_lo, exec_lo, s1
	s_cbranch_vccnz .LBB110_1522
; %bb.1521:
	s_wait_loadcnt 0x0
	global_load_b32 v8, v[0:1], off
.LBB110_1522:
	s_mov_b32 s1, 0
.LBB110_1523:
	s_delay_alu instid0(SALU_CYCLE_1)
	s_and_not1_b32 vcc_lo, exec_lo, s1
	s_cbranch_vccnz .LBB110_1525
; %bb.1524:
	global_load_u16 v2, v[0:1], off
	s_wait_loadcnt 0x0
	v_cvt_f32_f16_e32 v8, v2
.LBB110_1525:
	s_mov_b32 s1, 0
.LBB110_1526:
	s_delay_alu instid0(SALU_CYCLE_1)
	s_and_not1_b32 vcc_lo, exec_lo, s1
	s_cbranch_vccnz .LBB110_1546
; %bb.1527:
	s_cmp_lt_i32 s0, 2
	s_cbranch_scc1 .LBB110_1531
; %bb.1528:
	s_cmp_lt_i32 s0, 3
	s_cbranch_scc1 .LBB110_1532
; %bb.1529:
	s_cmp_gt_i32 s0, 3
	s_cbranch_scc0 .LBB110_1533
; %bb.1530:
	global_load_b64 v[2:3], v[0:1], off
	s_mov_b32 s1, 0
	s_wait_loadcnt 0x0
	v_xor_b32_e32 v8, v2, v3
	v_cls_i32_e32 v9, v3
	s_delay_alu instid0(VALU_DEP_2) | instskip(NEXT) | instid1(VALU_DEP_1)
	v_ashrrev_i32_e32 v8, 31, v8
	v_add_nc_u32_e32 v8, 32, v8
	s_delay_alu instid0(VALU_DEP_1) | instskip(NEXT) | instid1(VALU_DEP_1)
	v_add_min_u32_e64 v8, v9, -1, v8
	v_lshlrev_b64_e32 v[2:3], v8, v[2:3]
	s_delay_alu instid0(VALU_DEP_1) | instskip(NEXT) | instid1(VALU_DEP_1)
	v_min_u32_e32 v2, 1, v2
	v_dual_sub_nc_u32 v3, 32, v8 :: v_dual_bitop2_b32 v2, v3, v2 bitop3:0x54
	s_delay_alu instid0(VALU_DEP_1) | instskip(NEXT) | instid1(VALU_DEP_1)
	v_cvt_f32_i32_e32 v2, v2
	v_ldexp_f32 v8, v2, v3
	s_branch .LBB110_1534
.LBB110_1531:
	s_mov_b32 s1, -1
                                        ; implicit-def: $vgpr8
	s_branch .LBB110_1540
.LBB110_1532:
	s_mov_b32 s1, -1
                                        ; implicit-def: $vgpr8
	s_branch .LBB110_1537
.LBB110_1533:
	s_mov_b32 s1, -1
                                        ; implicit-def: $vgpr8
.LBB110_1534:
	s_delay_alu instid0(SALU_CYCLE_1)
	s_and_not1_b32 vcc_lo, exec_lo, s1
	s_cbranch_vccnz .LBB110_1536
; %bb.1535:
	global_load_b32 v2, v[0:1], off
	s_wait_loadcnt 0x0
	v_cvt_f32_i32_e32 v8, v2
.LBB110_1536:
	s_mov_b32 s1, 0
.LBB110_1537:
	s_delay_alu instid0(SALU_CYCLE_1)
	s_and_not1_b32 vcc_lo, exec_lo, s1
	s_cbranch_vccnz .LBB110_1539
; %bb.1538:
	global_load_i16 v2, v[0:1], off
	s_wait_loadcnt 0x0
	v_cvt_f32_i32_e32 v8, v2
.LBB110_1539:
	s_mov_b32 s1, 0
.LBB110_1540:
	s_delay_alu instid0(SALU_CYCLE_1)
	s_and_not1_b32 vcc_lo, exec_lo, s1
	s_cbranch_vccnz .LBB110_1546
; %bb.1541:
	s_cmp_gt_i32 s0, 0
	s_mov_b32 s0, 0
	s_cbranch_scc0 .LBB110_1543
; %bb.1542:
	global_load_i8 v2, v[0:1], off
	s_wait_loadcnt 0x0
	v_cvt_f32_i32_e32 v8, v2
	s_branch .LBB110_1544
.LBB110_1543:
	s_mov_b32 s0, -1
                                        ; implicit-def: $vgpr8
.LBB110_1544:
	s_delay_alu instid0(SALU_CYCLE_1)
	s_and_not1_b32 vcc_lo, exec_lo, s0
	s_cbranch_vccnz .LBB110_1546
; %bb.1545:
	global_load_u8 v0, v[0:1], off
	s_wait_loadcnt 0x0
	v_cvt_f32_ubyte0_e32 v8, v0
.LBB110_1546:
	s_mov_b32 s6, -1
.LBB110_1547:
	s_delay_alu instid0(SALU_CYCLE_1)
	s_and_not1_b32 vcc_lo, exec_lo, s6
	s_cbranch_vccnz .LBB110_1980
; %bb.1548:
	s_wait_loadcnt 0x0
	v_cmp_eq_f32_e32 vcc_lo, s11, v5
	s_wait_xcnt 0x0
	v_mul_lo_u32 v0, s8, v4
	s_cmp_eq_u32 s10, 0
	s_mov_b32 s7, 0
	s_cselect_b32 s0, -1, 0
	v_cndmask_b32_e64 v1, 0, 1, vcc_lo
	v_cmp_neq_f32_e32 vcc_lo, s11, v5
	s_and_b32 s16, s3, 0xff
	s_mov_b32 s2, -1
	s_cmp_lt_i32 s16, 11
	v_cndmask_b32_e64 v2, 0, 1, vcc_lo
	s_delay_alu instid0(VALU_DEP_1) | instskip(NEXT) | instid1(VALU_DEP_1)
	v_dual_cndmask_b32 v2, v2, v1, s0 :: v_dual_ashrrev_i32 v1, 31, v0
	v_and_b32_e32 v4, 1, v2
	s_delay_alu instid0(VALU_DEP_2) | instskip(NEXT) | instid1(VALU_DEP_2)
	v_add_nc_u64_e32 v[2:3], s[4:5], v[0:1]
	v_cmp_eq_u32_e64 s1, 1, v4
	s_cbranch_scc1 .LBB110_1627
; %bb.1549:
	s_and_b32 s3, 0xffff, s16
	s_mov_b32 s9, -1
	s_mov_b32 s6, 0
	s_cmp_gt_i32 s3, 25
	s_mov_b32 s2, 0
	s_cbranch_scc0 .LBB110_1582
; %bb.1550:
	s_cmp_gt_i32 s3, 28
	s_cbranch_scc0 .LBB110_1565
; %bb.1551:
	s_cmp_gt_i32 s3, 43
	;; [unrolled: 3-line block ×3, first 2 shown]
	s_cbranch_scc0 .LBB110_1555
; %bb.1553:
	s_mov_b32 s2, -1
	s_mov_b32 s9, 0
	s_cmp_eq_u32 s3, 46
	s_cbranch_scc0 .LBB110_1555
; %bb.1554:
	v_cndmask_b32_e64 v1, 0, 1.0, s1
	s_mov_b32 s2, 0
	s_mov_b32 s7, -1
	s_delay_alu instid0(VALU_DEP_1) | instskip(NEXT) | instid1(VALU_DEP_1)
	v_bfe_u32 v4, v1, 16, 1
	v_add3_u32 v1, v1, v4, 0x7fff
	s_delay_alu instid0(VALU_DEP_1)
	v_lshrrev_b32_e32 v1, 16, v1
	global_store_b32 v[2:3], v1, off
.LBB110_1555:
	s_and_b32 vcc_lo, exec_lo, s9
	s_cbranch_vccz .LBB110_1560
; %bb.1556:
	s_cmp_eq_u32 s3, 44
	s_mov_b32 s2, -1
	s_cbranch_scc0 .LBB110_1560
; %bb.1557:
	v_cndmask_b32_e64 v5, 0, 1.0, s1
	s_mov_b32 s7, exec_lo
	s_wait_xcnt 0x0
	s_delay_alu instid0(VALU_DEP_1) | instskip(NEXT) | instid1(VALU_DEP_1)
	v_dual_mov_b32 v4, 0xff :: v_dual_lshrrev_b32 v1, 23, v5
	v_cmpx_ne_u32_e32 0xff, v1
; %bb.1558:
	v_and_b32_e32 v4, 0x400000, v5
	v_and_or_b32 v5, 0x3fffff, v5, v1
	s_delay_alu instid0(VALU_DEP_2) | instskip(NEXT) | instid1(VALU_DEP_2)
	v_cmp_ne_u32_e32 vcc_lo, 0, v4
	v_cmp_ne_u32_e64 s2, 0, v5
	s_and_b32 s2, vcc_lo, s2
	s_delay_alu instid0(SALU_CYCLE_1) | instskip(NEXT) | instid1(VALU_DEP_1)
	v_cndmask_b32_e64 v4, 0, 1, s2
	v_add_nc_u32_e32 v4, v1, v4
; %bb.1559:
	s_or_b32 exec_lo, exec_lo, s7
	s_mov_b32 s2, 0
	s_mov_b32 s7, -1
	global_store_b8 v[2:3], v4, off
.LBB110_1560:
	s_mov_b32 s9, 0
.LBB110_1561:
	s_delay_alu instid0(SALU_CYCLE_1)
	s_and_b32 vcc_lo, exec_lo, s9
	s_cbranch_vccz .LBB110_1564
; %bb.1562:
	s_cmp_eq_u32 s3, 29
	s_mov_b32 s2, -1
	s_cbranch_scc0 .LBB110_1564
; %bb.1563:
	s_mov_b32 s2, 0
	s_wait_xcnt 0x0
	v_cndmask_b32_e64 v4, 0, 1, s1
	v_mov_b32_e32 v5, s2
	s_mov_b32 s7, -1
	global_store_b64 v[2:3], v[4:5], off
.LBB110_1564:
	s_mov_b32 s9, 0
.LBB110_1565:
	s_delay_alu instid0(SALU_CYCLE_1)
	s_and_b32 vcc_lo, exec_lo, s9
	s_cbranch_vccz .LBB110_1581
; %bb.1566:
	s_cmp_lt_i32 s3, 27
	s_mov_b32 s7, -1
	s_cbranch_scc1 .LBB110_1572
; %bb.1567:
	s_cmp_gt_i32 s3, 27
	s_cbranch_scc0 .LBB110_1569
; %bb.1568:
	s_wait_xcnt 0x0
	v_cndmask_b32_e64 v1, 0, 1, s1
	s_mov_b32 s7, 0
	global_store_b32 v[2:3], v1, off
.LBB110_1569:
	s_and_not1_b32 vcc_lo, exec_lo, s7
	s_cbranch_vccnz .LBB110_1571
; %bb.1570:
	s_wait_xcnt 0x0
	v_cndmask_b32_e64 v1, 0, 1, s1
	global_store_b16 v[2:3], v1, off
.LBB110_1571:
	s_mov_b32 s7, 0
.LBB110_1572:
	s_delay_alu instid0(SALU_CYCLE_1)
	s_and_not1_b32 vcc_lo, exec_lo, s7
	s_cbranch_vccnz .LBB110_1580
; %bb.1573:
	s_wait_xcnt 0x0
	v_cndmask_b32_e64 v4, 0, 1.0, s1
	v_mov_b32_e32 v5, 0x80
	s_mov_b32 s7, exec_lo
	s_delay_alu instid0(VALU_DEP_2)
	v_cmpx_gt_u32_e32 0x43800000, v4
	s_cbranch_execz .LBB110_1579
; %bb.1574:
	s_mov_b32 s9, 0
	s_mov_b32 s10, exec_lo
                                        ; implicit-def: $vgpr1
	v_cmpx_lt_u32_e32 0x3bffffff, v4
	s_xor_b32 s10, exec_lo, s10
	s_cbranch_execz .LBB110_2027
; %bb.1575:
	v_bfe_u32 v1, v4, 20, 1
	s_mov_b32 s9, exec_lo
	s_delay_alu instid0(VALU_DEP_1) | instskip(NEXT) | instid1(VALU_DEP_1)
	v_add3_u32 v1, v4, v1, 0x487ffff
                                        ; implicit-def: $vgpr4
	v_lshrrev_b32_e32 v1, 20, v1
	s_and_not1_saveexec_b32 s10, s10
	s_cbranch_execnz .LBB110_2028
.LBB110_1576:
	s_or_b32 exec_lo, exec_lo, s10
	v_mov_b32_e32 v5, 0
	s_and_saveexec_b32 s10, s9
.LBB110_1577:
	v_mov_b32_e32 v5, v1
.LBB110_1578:
	s_or_b32 exec_lo, exec_lo, s10
.LBB110_1579:
	s_delay_alu instid0(SALU_CYCLE_1)
	s_or_b32 exec_lo, exec_lo, s7
	global_store_b8 v[2:3], v5, off
.LBB110_1580:
	s_mov_b32 s7, -1
.LBB110_1581:
	s_mov_b32 s9, 0
.LBB110_1582:
	s_delay_alu instid0(SALU_CYCLE_1)
	s_and_b32 vcc_lo, exec_lo, s9
	s_cbranch_vccz .LBB110_1622
; %bb.1583:
	s_cmp_gt_i32 s3, 22
	s_mov_b32 s6, -1
	s_cbranch_scc0 .LBB110_1615
; %bb.1584:
	s_cmp_lt_i32 s3, 24
	s_cbranch_scc1 .LBB110_1604
; %bb.1585:
	s_cmp_gt_i32 s3, 24
	s_cbranch_scc0 .LBB110_1593
; %bb.1586:
	s_wait_xcnt 0x0
	v_cndmask_b32_e64 v4, 0, 1.0, s1
	v_mov_b32_e32 v5, 0x80
	s_mov_b32 s6, exec_lo
	s_delay_alu instid0(VALU_DEP_2)
	v_cmpx_gt_u32_e32 0x47800000, v4
	s_cbranch_execz .LBB110_1592
; %bb.1587:
	s_mov_b32 s7, 0
	s_mov_b32 s9, exec_lo
                                        ; implicit-def: $vgpr1
	v_cmpx_lt_u32_e32 0x37ffffff, v4
	s_xor_b32 s9, exec_lo, s9
	s_cbranch_execz .LBB110_2030
; %bb.1588:
	v_bfe_u32 v1, v4, 21, 1
	s_mov_b32 s7, exec_lo
	s_delay_alu instid0(VALU_DEP_1) | instskip(NEXT) | instid1(VALU_DEP_1)
	v_add3_u32 v1, v4, v1, 0x88fffff
                                        ; implicit-def: $vgpr4
	v_lshrrev_b32_e32 v1, 21, v1
	s_and_not1_saveexec_b32 s9, s9
	s_cbranch_execnz .LBB110_2031
.LBB110_1589:
	s_or_b32 exec_lo, exec_lo, s9
	v_mov_b32_e32 v5, 0
	s_and_saveexec_b32 s9, s7
.LBB110_1590:
	v_mov_b32_e32 v5, v1
.LBB110_1591:
	s_or_b32 exec_lo, exec_lo, s9
.LBB110_1592:
	s_delay_alu instid0(SALU_CYCLE_1)
	s_or_b32 exec_lo, exec_lo, s6
	s_mov_b32 s6, 0
	global_store_b8 v[2:3], v5, off
.LBB110_1593:
	s_and_b32 vcc_lo, exec_lo, s6
	s_cbranch_vccz .LBB110_1603
; %bb.1594:
	s_wait_xcnt 0x0
	v_cndmask_b32_e64 v4, 0, 1.0, s1
	s_mov_b32 s6, exec_lo
                                        ; implicit-def: $vgpr1
	s_delay_alu instid0(VALU_DEP_1)
	v_cmpx_gt_u32_e32 0x43f00000, v4
	s_xor_b32 s6, exec_lo, s6
	s_cbranch_execz .LBB110_1600
; %bb.1595:
	s_mov_b32 s7, exec_lo
                                        ; implicit-def: $vgpr1
	v_cmpx_lt_u32_e32 0x3c7fffff, v4
	s_xor_b32 s7, exec_lo, s7
; %bb.1596:
	v_bfe_u32 v1, v4, 20, 1
	s_delay_alu instid0(VALU_DEP_1) | instskip(NEXT) | instid1(VALU_DEP_1)
	v_add3_u32 v1, v4, v1, 0x407ffff
	v_and_b32_e32 v4, 0xff00000, v1
	v_lshrrev_b32_e32 v1, 20, v1
	s_delay_alu instid0(VALU_DEP_2) | instskip(NEXT) | instid1(VALU_DEP_2)
	v_cmp_ne_u32_e32 vcc_lo, 0x7f00000, v4
                                        ; implicit-def: $vgpr4
	v_cndmask_b32_e32 v1, 0x7e, v1, vcc_lo
; %bb.1597:
	s_and_not1_saveexec_b32 s7, s7
; %bb.1598:
	v_add_f32_e32 v1, 0x46800000, v4
; %bb.1599:
	s_or_b32 exec_lo, exec_lo, s7
                                        ; implicit-def: $vgpr4
.LBB110_1600:
	s_and_not1_saveexec_b32 s6, s6
; %bb.1601:
	v_mov_b32_e32 v1, 0x7f
	v_cmp_lt_u32_e32 vcc_lo, 0x7f800000, v4
	s_delay_alu instid0(VALU_DEP_2)
	v_cndmask_b32_e32 v1, 0x7e, v1, vcc_lo
; %bb.1602:
	s_or_b32 exec_lo, exec_lo, s6
	global_store_b8 v[2:3], v1, off
.LBB110_1603:
	s_mov_b32 s6, 0
.LBB110_1604:
	s_delay_alu instid0(SALU_CYCLE_1)
	s_and_not1_b32 vcc_lo, exec_lo, s6
	s_cbranch_vccnz .LBB110_1614
; %bb.1605:
	s_wait_xcnt 0x0
	v_cndmask_b32_e64 v4, 0, 1.0, s1
	s_mov_b32 s6, exec_lo
                                        ; implicit-def: $vgpr1
	s_delay_alu instid0(VALU_DEP_1)
	v_cmpx_gt_u32_e32 0x47800000, v4
	s_xor_b32 s6, exec_lo, s6
	s_cbranch_execz .LBB110_1611
; %bb.1606:
	s_mov_b32 s7, exec_lo
                                        ; implicit-def: $vgpr1
	v_cmpx_lt_u32_e32 0x387fffff, v4
	s_xor_b32 s7, exec_lo, s7
; %bb.1607:
	v_bfe_u32 v1, v4, 21, 1
	s_delay_alu instid0(VALU_DEP_1) | instskip(NEXT) | instid1(VALU_DEP_1)
	v_add3_u32 v1, v4, v1, 0x80fffff
                                        ; implicit-def: $vgpr4
	v_lshrrev_b32_e32 v1, 21, v1
; %bb.1608:
	s_and_not1_saveexec_b32 s7, s7
; %bb.1609:
	v_add_f32_e32 v1, 0x43000000, v4
; %bb.1610:
	s_or_b32 exec_lo, exec_lo, s7
                                        ; implicit-def: $vgpr4
.LBB110_1611:
	s_and_not1_saveexec_b32 s6, s6
; %bb.1612:
	v_mov_b32_e32 v1, 0x7f
	v_cmp_lt_u32_e32 vcc_lo, 0x7f800000, v4
	s_delay_alu instid0(VALU_DEP_2)
	v_cndmask_b32_e32 v1, 0x7c, v1, vcc_lo
; %bb.1613:
	s_or_b32 exec_lo, exec_lo, s6
	global_store_b8 v[2:3], v1, off
.LBB110_1614:
	s_mov_b32 s6, 0
	s_mov_b32 s7, -1
.LBB110_1615:
	s_and_not1_b32 vcc_lo, exec_lo, s6
	s_mov_b32 s6, 0
	s_cbranch_vccnz .LBB110_1622
; %bb.1616:
	s_cmp_gt_i32 s3, 14
	s_mov_b32 s6, -1
	s_cbranch_scc0 .LBB110_1620
; %bb.1617:
	s_cmp_eq_u32 s3, 15
	s_mov_b32 s2, -1
	s_cbranch_scc0 .LBB110_1619
; %bb.1618:
	s_wait_xcnt 0x0
	v_cndmask_b32_e64 v1, 0, 1.0, s1
	s_mov_b32 s2, 0
	s_mov_b32 s7, -1
	s_delay_alu instid0(VALU_DEP_1) | instskip(NEXT) | instid1(VALU_DEP_1)
	v_bfe_u32 v4, v1, 16, 1
	v_add3_u32 v1, v1, v4, 0x7fff
	global_store_d16_hi_b16 v[2:3], v1, off
.LBB110_1619:
	s_mov_b32 s6, 0
.LBB110_1620:
	s_delay_alu instid0(SALU_CYCLE_1)
	s_and_b32 vcc_lo, exec_lo, s6
	s_mov_b32 s6, 0
	s_cbranch_vccz .LBB110_1622
; %bb.1621:
	s_cmp_lg_u32 s3, 11
	s_mov_b32 s6, -1
	s_cselect_b32 s2, -1, 0
.LBB110_1622:
	s_delay_alu instid0(SALU_CYCLE_1)
	s_and_b32 vcc_lo, exec_lo, s2
	s_cbranch_vccnz .LBB110_2029
; %bb.1623:
	s_and_not1_b32 vcc_lo, exec_lo, s6
	s_cbranch_vccnz .LBB110_1625
.LBB110_1624:
	s_wait_xcnt 0x0
	v_cndmask_b32_e64 v1, 0, 1, s1
	s_mov_b32 s7, -1
	global_store_b8 v[2:3], v1, off
.LBB110_1625:
.LBB110_1626:
	s_and_not1_b32 vcc_lo, exec_lo, s7
	s_cbranch_vccnz .LBB110_1980
	s_branch .LBB110_1666
.LBB110_1627:
	s_and_b32 vcc_lo, exec_lo, s2
	s_cbranch_vccz .LBB110_1626
; %bb.1628:
	s_and_b32 s2, 0xffff, s16
	s_mov_b32 s3, -1
	s_cmp_lt_i32 s2, 5
	s_cbranch_scc1 .LBB110_1649
; %bb.1629:
	s_cmp_lt_i32 s2, 8
	s_cbranch_scc1 .LBB110_1639
; %bb.1630:
	;; [unrolled: 3-line block ×3, first 2 shown]
	s_cmp_gt_i32 s2, 9
	s_cbranch_scc0 .LBB110_1633
; %bb.1632:
	s_wait_xcnt 0x0
	v_cndmask_b32_e64 v1, 0, 1, s1
	v_mov_b32_e32 v12, 0
	s_mov_b32 s3, 0
	s_delay_alu instid0(VALU_DEP_2) | instskip(NEXT) | instid1(VALU_DEP_2)
	v_cvt_f64_u32_e32 v[10:11], v1
	v_mov_b32_e32 v13, v12
	global_store_b128 v[2:3], v[10:13], off
.LBB110_1633:
	s_and_not1_b32 vcc_lo, exec_lo, s3
	s_cbranch_vccnz .LBB110_1635
; %bb.1634:
	s_wait_xcnt 0x0
	v_cndmask_b32_e64 v4, 0, 1.0, s1
	v_mov_b32_e32 v5, 0
	global_store_b64 v[2:3], v[4:5], off
.LBB110_1635:
	s_mov_b32 s3, 0
.LBB110_1636:
	s_delay_alu instid0(SALU_CYCLE_1)
	s_and_not1_b32 vcc_lo, exec_lo, s3
	s_cbranch_vccnz .LBB110_1638
; %bb.1637:
	s_wait_xcnt 0x0
	v_cndmask_b32_e64 v1, 0, 1.0, s1
	s_delay_alu instid0(VALU_DEP_1) | instskip(NEXT) | instid1(VALU_DEP_1)
	v_cvt_f16_f32_e32 v1, v1
	v_and_b32_e32 v1, 0xffff, v1
	global_store_b32 v[2:3], v1, off
.LBB110_1638:
	s_mov_b32 s3, 0
.LBB110_1639:
	s_delay_alu instid0(SALU_CYCLE_1)
	s_and_not1_b32 vcc_lo, exec_lo, s3
	s_cbranch_vccnz .LBB110_1648
; %bb.1640:
	s_cmp_lt_i32 s2, 6
	s_mov_b32 s3, -1
	s_cbranch_scc1 .LBB110_1646
; %bb.1641:
	s_cmp_gt_i32 s2, 6
	s_cbranch_scc0 .LBB110_1643
; %bb.1642:
	s_wait_xcnt 0x0
	v_cndmask_b32_e64 v1, 0, 1, s1
	s_mov_b32 s3, 0
	s_delay_alu instid0(VALU_DEP_1)
	v_cvt_f64_u32_e32 v[4:5], v1
	global_store_b64 v[2:3], v[4:5], off
.LBB110_1643:
	s_and_not1_b32 vcc_lo, exec_lo, s3
	s_cbranch_vccnz .LBB110_1645
; %bb.1644:
	s_wait_xcnt 0x0
	v_cndmask_b32_e64 v1, 0, 1.0, s1
	global_store_b32 v[2:3], v1, off
.LBB110_1645:
	s_mov_b32 s3, 0
.LBB110_1646:
	s_delay_alu instid0(SALU_CYCLE_1)
	s_and_not1_b32 vcc_lo, exec_lo, s3
	s_cbranch_vccnz .LBB110_1648
; %bb.1647:
	s_wait_xcnt 0x0
	v_cndmask_b32_e64 v1, 0, 1.0, s1
	s_delay_alu instid0(VALU_DEP_1)
	v_cvt_f16_f32_e32 v1, v1
	global_store_b16 v[2:3], v1, off
.LBB110_1648:
	s_mov_b32 s3, 0
.LBB110_1649:
	s_delay_alu instid0(SALU_CYCLE_1)
	s_and_not1_b32 vcc_lo, exec_lo, s3
	s_cbranch_vccnz .LBB110_1665
; %bb.1650:
	s_cmp_lt_i32 s2, 2
	s_mov_b32 s3, -1
	s_cbranch_scc1 .LBB110_1660
; %bb.1651:
	s_cmp_lt_i32 s2, 3
	s_cbranch_scc1 .LBB110_1657
; %bb.1652:
	s_cmp_gt_i32 s2, 3
	s_cbranch_scc0 .LBB110_1654
; %bb.1653:
	s_mov_b32 s3, 0
	s_wait_xcnt 0x0
	v_cndmask_b32_e64 v4, 0, 1, s1
	v_mov_b32_e32 v5, s3
	global_store_b64 v[2:3], v[4:5], off
.LBB110_1654:
	s_and_not1_b32 vcc_lo, exec_lo, s3
	s_cbranch_vccnz .LBB110_1656
; %bb.1655:
	s_wait_xcnt 0x0
	v_cndmask_b32_e64 v1, 0, 1, s1
	global_store_b32 v[2:3], v1, off
.LBB110_1656:
	s_mov_b32 s3, 0
.LBB110_1657:
	s_delay_alu instid0(SALU_CYCLE_1)
	s_and_not1_b32 vcc_lo, exec_lo, s3
	s_cbranch_vccnz .LBB110_1659
; %bb.1658:
	s_wait_xcnt 0x0
	v_cndmask_b32_e64 v1, 0, 1, s1
	global_store_b16 v[2:3], v1, off
.LBB110_1659:
	s_mov_b32 s3, 0
.LBB110_1660:
	s_delay_alu instid0(SALU_CYCLE_1)
	s_and_not1_b32 vcc_lo, exec_lo, s3
	s_cbranch_vccnz .LBB110_1665
; %bb.1661:
	s_wait_xcnt 0x0
	v_cndmask_b32_e64 v1, 0, 1, s1
	s_cmp_gt_i32 s2, 0
	s_mov_b32 s1, -1
	s_cbranch_scc0 .LBB110_1663
; %bb.1662:
	s_mov_b32 s1, 0
	global_store_b8 v[2:3], v1, off
.LBB110_1663:
	s_and_not1_b32 vcc_lo, exec_lo, s1
	s_cbranch_vccnz .LBB110_1665
; %bb.1664:
	global_store_b8 v[2:3], v1, off
.LBB110_1665:
.LBB110_1666:
	v_cmp_eq_f32_e32 vcc_lo, s11, v6
	s_lshl_b32 s3, s8, 7
	s_cmp_lt_i32 s16, 11
	s_wait_xcnt 0x0
	v_cndmask_b32_e64 v1, 0, 1, vcc_lo
	v_cmp_neq_f32_e32 vcc_lo, s11, v6
	v_cndmask_b32_e64 v2, 0, 1, vcc_lo
	s_delay_alu instid0(VALU_DEP_1) | instskip(NEXT) | instid1(VALU_DEP_1)
	v_dual_add_nc_u32 v0, s3, v0 :: v_dual_cndmask_b32 v2, v2, v1, s0
	v_dual_ashrrev_i32 v1, 31, v0 :: v_dual_bitop2_b32 v4, 1, v2 bitop3:0x40
	s_delay_alu instid0(VALU_DEP_1) | instskip(NEXT) | instid1(VALU_DEP_2)
	v_add_nc_u64_e32 v[2:3], s[4:5], v[0:1]
	v_cmp_eq_u32_e64 s1, 1, v4
	s_cbranch_scc1 .LBB110_1744
; %bb.1667:
	s_and_b32 s6, 0xffff, s16
	s_mov_b32 s9, -1
	s_mov_b32 s7, 0
	s_cmp_gt_i32 s6, 25
	s_mov_b32 s8, 0
	s_mov_b32 s2, 0
	s_cbranch_scc0 .LBB110_1700
; %bb.1668:
	s_cmp_gt_i32 s6, 28
	s_cbranch_scc0 .LBB110_1683
; %bb.1669:
	s_cmp_gt_i32 s6, 43
	;; [unrolled: 3-line block ×3, first 2 shown]
	s_cbranch_scc0 .LBB110_1673
; %bb.1671:
	s_mov_b32 s2, -1
	s_mov_b32 s9, 0
	s_cmp_eq_u32 s6, 46
	s_cbranch_scc0 .LBB110_1673
; %bb.1672:
	v_cndmask_b32_e64 v1, 0, 1.0, s1
	s_mov_b32 s2, 0
	s_mov_b32 s8, -1
	s_delay_alu instid0(VALU_DEP_1) | instskip(NEXT) | instid1(VALU_DEP_1)
	v_bfe_u32 v4, v1, 16, 1
	v_add3_u32 v1, v1, v4, 0x7fff
	s_delay_alu instid0(VALU_DEP_1)
	v_lshrrev_b32_e32 v1, 16, v1
	global_store_b32 v[2:3], v1, off
.LBB110_1673:
	s_and_b32 vcc_lo, exec_lo, s9
	s_cbranch_vccz .LBB110_1678
; %bb.1674:
	s_cmp_eq_u32 s6, 44
	s_mov_b32 s2, -1
	s_cbranch_scc0 .LBB110_1678
; %bb.1675:
	v_cndmask_b32_e64 v5, 0, 1.0, s1
	s_mov_b32 s8, exec_lo
	s_wait_xcnt 0x0
	s_delay_alu instid0(VALU_DEP_1) | instskip(NEXT) | instid1(VALU_DEP_1)
	v_dual_mov_b32 v4, 0xff :: v_dual_lshrrev_b32 v1, 23, v5
	v_cmpx_ne_u32_e32 0xff, v1
; %bb.1676:
	v_and_b32_e32 v4, 0x400000, v5
	v_and_or_b32 v5, 0x3fffff, v5, v1
	s_delay_alu instid0(VALU_DEP_2) | instskip(NEXT) | instid1(VALU_DEP_2)
	v_cmp_ne_u32_e32 vcc_lo, 0, v4
	v_cmp_ne_u32_e64 s2, 0, v5
	s_and_b32 s2, vcc_lo, s2
	s_delay_alu instid0(SALU_CYCLE_1) | instskip(NEXT) | instid1(VALU_DEP_1)
	v_cndmask_b32_e64 v4, 0, 1, s2
	v_add_nc_u32_e32 v4, v1, v4
; %bb.1677:
	s_or_b32 exec_lo, exec_lo, s8
	s_mov_b32 s2, 0
	s_mov_b32 s8, -1
	global_store_b8 v[2:3], v4, off
.LBB110_1678:
	s_mov_b32 s9, 0
.LBB110_1679:
	s_delay_alu instid0(SALU_CYCLE_1)
	s_and_b32 vcc_lo, exec_lo, s9
	s_cbranch_vccz .LBB110_1682
; %bb.1680:
	s_cmp_eq_u32 s6, 29
	s_mov_b32 s2, -1
	s_cbranch_scc0 .LBB110_1682
; %bb.1681:
	s_mov_b32 s2, 0
	s_wait_xcnt 0x0
	v_cndmask_b32_e64 v4, 0, 1, s1
	v_mov_b32_e32 v5, s2
	s_mov_b32 s8, -1
	global_store_b64 v[2:3], v[4:5], off
.LBB110_1682:
	s_mov_b32 s9, 0
.LBB110_1683:
	s_delay_alu instid0(SALU_CYCLE_1)
	s_and_b32 vcc_lo, exec_lo, s9
	s_cbranch_vccz .LBB110_1699
; %bb.1684:
	s_cmp_lt_i32 s6, 27
	s_mov_b32 s8, -1
	s_cbranch_scc1 .LBB110_1690
; %bb.1685:
	s_cmp_gt_i32 s6, 27
	s_cbranch_scc0 .LBB110_1687
; %bb.1686:
	s_wait_xcnt 0x0
	v_cndmask_b32_e64 v1, 0, 1, s1
	s_mov_b32 s8, 0
	global_store_b32 v[2:3], v1, off
.LBB110_1687:
	s_and_not1_b32 vcc_lo, exec_lo, s8
	s_cbranch_vccnz .LBB110_1689
; %bb.1688:
	s_wait_xcnt 0x0
	v_cndmask_b32_e64 v1, 0, 1, s1
	global_store_b16 v[2:3], v1, off
.LBB110_1689:
	s_mov_b32 s8, 0
.LBB110_1690:
	s_delay_alu instid0(SALU_CYCLE_1)
	s_and_not1_b32 vcc_lo, exec_lo, s8
	s_cbranch_vccnz .LBB110_1698
; %bb.1691:
	s_wait_xcnt 0x0
	v_cndmask_b32_e64 v4, 0, 1.0, s1
	v_mov_b32_e32 v5, 0x80
	s_mov_b32 s8, exec_lo
	s_delay_alu instid0(VALU_DEP_2)
	v_cmpx_gt_u32_e32 0x43800000, v4
	s_cbranch_execz .LBB110_1697
; %bb.1692:
	s_mov_b32 s9, 0
	s_mov_b32 s10, exec_lo
                                        ; implicit-def: $vgpr1
	v_cmpx_lt_u32_e32 0x3bffffff, v4
	s_xor_b32 s10, exec_lo, s10
	s_cbranch_execz .LBB110_2032
; %bb.1693:
	v_bfe_u32 v1, v4, 20, 1
	s_mov_b32 s9, exec_lo
	s_delay_alu instid0(VALU_DEP_1) | instskip(NEXT) | instid1(VALU_DEP_1)
	v_add3_u32 v1, v4, v1, 0x487ffff
                                        ; implicit-def: $vgpr4
	v_lshrrev_b32_e32 v1, 20, v1
	s_and_not1_saveexec_b32 s10, s10
	s_cbranch_execnz .LBB110_2033
.LBB110_1694:
	s_or_b32 exec_lo, exec_lo, s10
	v_mov_b32_e32 v5, 0
	s_and_saveexec_b32 s10, s9
.LBB110_1695:
	v_mov_b32_e32 v5, v1
.LBB110_1696:
	s_or_b32 exec_lo, exec_lo, s10
.LBB110_1697:
	s_delay_alu instid0(SALU_CYCLE_1)
	s_or_b32 exec_lo, exec_lo, s8
	global_store_b8 v[2:3], v5, off
.LBB110_1698:
	s_mov_b32 s8, -1
.LBB110_1699:
	s_mov_b32 s9, 0
.LBB110_1700:
	s_delay_alu instid0(SALU_CYCLE_1)
	s_and_b32 vcc_lo, exec_lo, s9
	s_cbranch_vccz .LBB110_1740
; %bb.1701:
	s_cmp_gt_i32 s6, 22
	s_mov_b32 s7, -1
	s_cbranch_scc0 .LBB110_1733
; %bb.1702:
	s_cmp_lt_i32 s6, 24
	s_cbranch_scc1 .LBB110_1722
; %bb.1703:
	s_cmp_gt_i32 s6, 24
	s_cbranch_scc0 .LBB110_1711
; %bb.1704:
	s_wait_xcnt 0x0
	v_cndmask_b32_e64 v4, 0, 1.0, s1
	v_mov_b32_e32 v5, 0x80
	s_mov_b32 s7, exec_lo
	s_delay_alu instid0(VALU_DEP_2)
	v_cmpx_gt_u32_e32 0x47800000, v4
	s_cbranch_execz .LBB110_1710
; %bb.1705:
	s_mov_b32 s8, 0
	s_mov_b32 s9, exec_lo
                                        ; implicit-def: $vgpr1
	v_cmpx_lt_u32_e32 0x37ffffff, v4
	s_xor_b32 s9, exec_lo, s9
	s_cbranch_execz .LBB110_2035
; %bb.1706:
	v_bfe_u32 v1, v4, 21, 1
	s_mov_b32 s8, exec_lo
	s_delay_alu instid0(VALU_DEP_1) | instskip(NEXT) | instid1(VALU_DEP_1)
	v_add3_u32 v1, v4, v1, 0x88fffff
                                        ; implicit-def: $vgpr4
	v_lshrrev_b32_e32 v1, 21, v1
	s_and_not1_saveexec_b32 s9, s9
	s_cbranch_execnz .LBB110_2036
.LBB110_1707:
	s_or_b32 exec_lo, exec_lo, s9
	v_mov_b32_e32 v5, 0
	s_and_saveexec_b32 s9, s8
.LBB110_1708:
	v_mov_b32_e32 v5, v1
.LBB110_1709:
	s_or_b32 exec_lo, exec_lo, s9
.LBB110_1710:
	s_delay_alu instid0(SALU_CYCLE_1)
	s_or_b32 exec_lo, exec_lo, s7
	s_mov_b32 s7, 0
	global_store_b8 v[2:3], v5, off
.LBB110_1711:
	s_and_b32 vcc_lo, exec_lo, s7
	s_cbranch_vccz .LBB110_1721
; %bb.1712:
	s_wait_xcnt 0x0
	v_cndmask_b32_e64 v4, 0, 1.0, s1
	s_mov_b32 s7, exec_lo
                                        ; implicit-def: $vgpr1
	s_delay_alu instid0(VALU_DEP_1)
	v_cmpx_gt_u32_e32 0x43f00000, v4
	s_xor_b32 s7, exec_lo, s7
	s_cbranch_execz .LBB110_1718
; %bb.1713:
	s_mov_b32 s8, exec_lo
                                        ; implicit-def: $vgpr1
	v_cmpx_lt_u32_e32 0x3c7fffff, v4
	s_xor_b32 s8, exec_lo, s8
; %bb.1714:
	v_bfe_u32 v1, v4, 20, 1
	s_delay_alu instid0(VALU_DEP_1) | instskip(NEXT) | instid1(VALU_DEP_1)
	v_add3_u32 v1, v4, v1, 0x407ffff
	v_and_b32_e32 v4, 0xff00000, v1
	v_lshrrev_b32_e32 v1, 20, v1
	s_delay_alu instid0(VALU_DEP_2) | instskip(NEXT) | instid1(VALU_DEP_2)
	v_cmp_ne_u32_e32 vcc_lo, 0x7f00000, v4
                                        ; implicit-def: $vgpr4
	v_cndmask_b32_e32 v1, 0x7e, v1, vcc_lo
; %bb.1715:
	s_and_not1_saveexec_b32 s8, s8
; %bb.1716:
	v_add_f32_e32 v1, 0x46800000, v4
; %bb.1717:
	s_or_b32 exec_lo, exec_lo, s8
                                        ; implicit-def: $vgpr4
.LBB110_1718:
	s_and_not1_saveexec_b32 s7, s7
; %bb.1719:
	v_mov_b32_e32 v1, 0x7f
	v_cmp_lt_u32_e32 vcc_lo, 0x7f800000, v4
	s_delay_alu instid0(VALU_DEP_2)
	v_cndmask_b32_e32 v1, 0x7e, v1, vcc_lo
; %bb.1720:
	s_or_b32 exec_lo, exec_lo, s7
	global_store_b8 v[2:3], v1, off
.LBB110_1721:
	s_mov_b32 s7, 0
.LBB110_1722:
	s_delay_alu instid0(SALU_CYCLE_1)
	s_and_not1_b32 vcc_lo, exec_lo, s7
	s_cbranch_vccnz .LBB110_1732
; %bb.1723:
	s_wait_xcnt 0x0
	v_cndmask_b32_e64 v4, 0, 1.0, s1
	s_mov_b32 s7, exec_lo
                                        ; implicit-def: $vgpr1
	s_delay_alu instid0(VALU_DEP_1)
	v_cmpx_gt_u32_e32 0x47800000, v4
	s_xor_b32 s7, exec_lo, s7
	s_cbranch_execz .LBB110_1729
; %bb.1724:
	s_mov_b32 s8, exec_lo
                                        ; implicit-def: $vgpr1
	v_cmpx_lt_u32_e32 0x387fffff, v4
	s_xor_b32 s8, exec_lo, s8
; %bb.1725:
	v_bfe_u32 v1, v4, 21, 1
	s_delay_alu instid0(VALU_DEP_1) | instskip(NEXT) | instid1(VALU_DEP_1)
	v_add3_u32 v1, v4, v1, 0x80fffff
                                        ; implicit-def: $vgpr4
	v_lshrrev_b32_e32 v1, 21, v1
; %bb.1726:
	s_and_not1_saveexec_b32 s8, s8
; %bb.1727:
	v_add_f32_e32 v1, 0x43000000, v4
; %bb.1728:
	s_or_b32 exec_lo, exec_lo, s8
                                        ; implicit-def: $vgpr4
.LBB110_1729:
	s_and_not1_saveexec_b32 s7, s7
; %bb.1730:
	v_mov_b32_e32 v1, 0x7f
	v_cmp_lt_u32_e32 vcc_lo, 0x7f800000, v4
	s_delay_alu instid0(VALU_DEP_2)
	v_cndmask_b32_e32 v1, 0x7c, v1, vcc_lo
; %bb.1731:
	s_or_b32 exec_lo, exec_lo, s7
	global_store_b8 v[2:3], v1, off
.LBB110_1732:
	s_mov_b32 s7, 0
	s_mov_b32 s8, -1
.LBB110_1733:
	s_and_not1_b32 vcc_lo, exec_lo, s7
	s_mov_b32 s7, 0
	s_cbranch_vccnz .LBB110_1740
; %bb.1734:
	s_cmp_gt_i32 s6, 14
	s_mov_b32 s7, -1
	s_cbranch_scc0 .LBB110_1738
; %bb.1735:
	s_cmp_eq_u32 s6, 15
	s_mov_b32 s2, -1
	s_cbranch_scc0 .LBB110_1737
; %bb.1736:
	s_wait_xcnt 0x0
	v_cndmask_b32_e64 v1, 0, 1.0, s1
	s_mov_b32 s2, 0
	s_mov_b32 s8, -1
	s_delay_alu instid0(VALU_DEP_1) | instskip(NEXT) | instid1(VALU_DEP_1)
	v_bfe_u32 v4, v1, 16, 1
	v_add3_u32 v1, v1, v4, 0x7fff
	global_store_d16_hi_b16 v[2:3], v1, off
.LBB110_1737:
	s_mov_b32 s7, 0
.LBB110_1738:
	s_delay_alu instid0(SALU_CYCLE_1)
	s_and_b32 vcc_lo, exec_lo, s7
	s_mov_b32 s7, 0
	s_cbranch_vccz .LBB110_1740
; %bb.1739:
	s_cmp_lg_u32 s6, 11
	s_mov_b32 s7, -1
	s_cselect_b32 s2, -1, 0
.LBB110_1740:
	s_delay_alu instid0(SALU_CYCLE_1)
	s_and_b32 vcc_lo, exec_lo, s2
	s_cbranch_vccnz .LBB110_2034
; %bb.1741:
	s_and_not1_b32 vcc_lo, exec_lo, s7
	s_cbranch_vccnz .LBB110_1743
.LBB110_1742:
	s_wait_xcnt 0x0
	v_cndmask_b32_e64 v1, 0, 1, s1
	s_mov_b32 s8, -1
	global_store_b8 v[2:3], v1, off
.LBB110_1743:
	s_mov_b32 s2, 0
	s_branch .LBB110_1745
.LBB110_1744:
	s_mov_b32 s2, -1
	s_mov_b32 s8, 0
.LBB110_1745:
	s_and_b32 vcc_lo, exec_lo, s2
	s_cbranch_vccz .LBB110_1784
; %bb.1746:
	s_and_b32 s2, 0xffff, s16
	s_mov_b32 s6, -1
	s_cmp_lt_i32 s2, 5
	s_cbranch_scc1 .LBB110_1767
; %bb.1747:
	s_cmp_lt_i32 s2, 8
	s_cbranch_scc1 .LBB110_1757
; %bb.1748:
	;; [unrolled: 3-line block ×3, first 2 shown]
	s_cmp_gt_i32 s2, 9
	s_cbranch_scc0 .LBB110_1751
; %bb.1750:
	s_wait_xcnt 0x0
	v_cndmask_b32_e64 v1, 0, 1, s1
	v_mov_b32_e32 v12, 0
	s_mov_b32 s6, 0
	s_delay_alu instid0(VALU_DEP_2) | instskip(NEXT) | instid1(VALU_DEP_2)
	v_cvt_f64_u32_e32 v[10:11], v1
	v_mov_b32_e32 v13, v12
	global_store_b128 v[2:3], v[10:13], off
.LBB110_1751:
	s_and_not1_b32 vcc_lo, exec_lo, s6
	s_cbranch_vccnz .LBB110_1753
; %bb.1752:
	s_wait_xcnt 0x0
	v_cndmask_b32_e64 v4, 0, 1.0, s1
	v_mov_b32_e32 v5, 0
	global_store_b64 v[2:3], v[4:5], off
.LBB110_1753:
	s_mov_b32 s6, 0
.LBB110_1754:
	s_delay_alu instid0(SALU_CYCLE_1)
	s_and_not1_b32 vcc_lo, exec_lo, s6
	s_cbranch_vccnz .LBB110_1756
; %bb.1755:
	s_wait_xcnt 0x0
	v_cndmask_b32_e64 v1, 0, 1.0, s1
	s_delay_alu instid0(VALU_DEP_1) | instskip(NEXT) | instid1(VALU_DEP_1)
	v_cvt_f16_f32_e32 v1, v1
	v_and_b32_e32 v1, 0xffff, v1
	global_store_b32 v[2:3], v1, off
.LBB110_1756:
	s_mov_b32 s6, 0
.LBB110_1757:
	s_delay_alu instid0(SALU_CYCLE_1)
	s_and_not1_b32 vcc_lo, exec_lo, s6
	s_cbranch_vccnz .LBB110_1766
; %bb.1758:
	s_cmp_lt_i32 s2, 6
	s_mov_b32 s6, -1
	s_cbranch_scc1 .LBB110_1764
; %bb.1759:
	s_cmp_gt_i32 s2, 6
	s_cbranch_scc0 .LBB110_1761
; %bb.1760:
	s_wait_xcnt 0x0
	v_cndmask_b32_e64 v1, 0, 1, s1
	s_mov_b32 s6, 0
	s_delay_alu instid0(VALU_DEP_1)
	v_cvt_f64_u32_e32 v[4:5], v1
	global_store_b64 v[2:3], v[4:5], off
.LBB110_1761:
	s_and_not1_b32 vcc_lo, exec_lo, s6
	s_cbranch_vccnz .LBB110_1763
; %bb.1762:
	s_wait_xcnt 0x0
	v_cndmask_b32_e64 v1, 0, 1.0, s1
	global_store_b32 v[2:3], v1, off
.LBB110_1763:
	s_mov_b32 s6, 0
.LBB110_1764:
	s_delay_alu instid0(SALU_CYCLE_1)
	s_and_not1_b32 vcc_lo, exec_lo, s6
	s_cbranch_vccnz .LBB110_1766
; %bb.1765:
	s_wait_xcnt 0x0
	v_cndmask_b32_e64 v1, 0, 1.0, s1
	s_delay_alu instid0(VALU_DEP_1)
	v_cvt_f16_f32_e32 v1, v1
	global_store_b16 v[2:3], v1, off
.LBB110_1766:
	s_mov_b32 s6, 0
.LBB110_1767:
	s_delay_alu instid0(SALU_CYCLE_1)
	s_and_not1_b32 vcc_lo, exec_lo, s6
	s_cbranch_vccnz .LBB110_1783
; %bb.1768:
	s_cmp_lt_i32 s2, 2
	s_mov_b32 s6, -1
	s_cbranch_scc1 .LBB110_1778
; %bb.1769:
	s_cmp_lt_i32 s2, 3
	s_cbranch_scc1 .LBB110_1775
; %bb.1770:
	s_cmp_gt_i32 s2, 3
	s_cbranch_scc0 .LBB110_1772
; %bb.1771:
	s_mov_b32 s6, 0
	s_wait_xcnt 0x0
	v_cndmask_b32_e64 v4, 0, 1, s1
	v_mov_b32_e32 v5, s6
	global_store_b64 v[2:3], v[4:5], off
.LBB110_1772:
	s_and_not1_b32 vcc_lo, exec_lo, s6
	s_cbranch_vccnz .LBB110_1774
; %bb.1773:
	s_wait_xcnt 0x0
	v_cndmask_b32_e64 v1, 0, 1, s1
	global_store_b32 v[2:3], v1, off
.LBB110_1774:
	s_mov_b32 s6, 0
.LBB110_1775:
	s_delay_alu instid0(SALU_CYCLE_1)
	s_and_not1_b32 vcc_lo, exec_lo, s6
	s_cbranch_vccnz .LBB110_1777
; %bb.1776:
	s_wait_xcnt 0x0
	v_cndmask_b32_e64 v1, 0, 1, s1
	global_store_b16 v[2:3], v1, off
.LBB110_1777:
	s_mov_b32 s6, 0
.LBB110_1778:
	s_delay_alu instid0(SALU_CYCLE_1)
	s_and_not1_b32 vcc_lo, exec_lo, s6
	s_cbranch_vccnz .LBB110_1783
; %bb.1779:
	s_wait_xcnt 0x0
	v_cndmask_b32_e64 v1, 0, 1, s1
	s_cmp_gt_i32 s2, 0
	s_mov_b32 s1, -1
	s_cbranch_scc0 .LBB110_1781
; %bb.1780:
	s_mov_b32 s1, 0
	global_store_b8 v[2:3], v1, off
.LBB110_1781:
	s_and_not1_b32 vcc_lo, exec_lo, s1
	s_cbranch_vccnz .LBB110_1783
; %bb.1782:
	global_store_b8 v[2:3], v1, off
.LBB110_1783:
	s_mov_b32 s8, -1
.LBB110_1784:
	s_delay_alu instid0(SALU_CYCLE_1)
	s_and_not1_b32 vcc_lo, exec_lo, s8
	s_cbranch_vccnz .LBB110_1980
; %bb.1785:
	v_cmp_eq_f32_e32 vcc_lo, s11, v7
	s_cmp_lt_i32 s16, 11
	s_wait_xcnt 0x0
	v_cndmask_b32_e64 v1, 0, 1, vcc_lo
	v_cmp_neq_f32_e32 vcc_lo, s11, v7
	v_cndmask_b32_e64 v2, 0, 1, vcc_lo
	s_delay_alu instid0(VALU_DEP_1) | instskip(NEXT) | instid1(VALU_DEP_1)
	v_dual_add_nc_u32 v0, s3, v0 :: v_dual_cndmask_b32 v2, v2, v1, s0
	v_dual_ashrrev_i32 v1, 31, v0 :: v_dual_bitop2_b32 v4, 1, v2 bitop3:0x40
	s_delay_alu instid0(VALU_DEP_1) | instskip(NEXT) | instid1(VALU_DEP_2)
	v_add_nc_u64_e32 v[2:3], s[4:5], v[0:1]
	v_cmp_eq_u32_e64 s1, 1, v4
	s_cbranch_scc1 .LBB110_1863
; %bb.1786:
	s_and_b32 s6, 0xffff, s16
	s_mov_b32 s9, -1
	s_mov_b32 s7, 0
	s_cmp_gt_i32 s6, 25
	s_mov_b32 s8, 0
	s_mov_b32 s2, 0
	s_cbranch_scc0 .LBB110_1819
; %bb.1787:
	s_cmp_gt_i32 s6, 28
	s_cbranch_scc0 .LBB110_1802
; %bb.1788:
	s_cmp_gt_i32 s6, 43
	;; [unrolled: 3-line block ×3, first 2 shown]
	s_cbranch_scc0 .LBB110_1792
; %bb.1790:
	s_mov_b32 s2, -1
	s_mov_b32 s9, 0
	s_cmp_eq_u32 s6, 46
	s_cbranch_scc0 .LBB110_1792
; %bb.1791:
	v_cndmask_b32_e64 v1, 0, 1.0, s1
	s_mov_b32 s2, 0
	s_mov_b32 s8, -1
	s_delay_alu instid0(VALU_DEP_1) | instskip(NEXT) | instid1(VALU_DEP_1)
	v_bfe_u32 v4, v1, 16, 1
	v_add3_u32 v1, v1, v4, 0x7fff
	s_delay_alu instid0(VALU_DEP_1)
	v_lshrrev_b32_e32 v1, 16, v1
	global_store_b32 v[2:3], v1, off
.LBB110_1792:
	s_and_b32 vcc_lo, exec_lo, s9
	s_cbranch_vccz .LBB110_1797
; %bb.1793:
	s_cmp_eq_u32 s6, 44
	s_mov_b32 s2, -1
	s_cbranch_scc0 .LBB110_1797
; %bb.1794:
	v_cndmask_b32_e64 v5, 0, 1.0, s1
	s_mov_b32 s8, exec_lo
	s_wait_xcnt 0x0
	s_delay_alu instid0(VALU_DEP_1) | instskip(NEXT) | instid1(VALU_DEP_1)
	v_dual_mov_b32 v4, 0xff :: v_dual_lshrrev_b32 v1, 23, v5
	v_cmpx_ne_u32_e32 0xff, v1
; %bb.1795:
	v_and_b32_e32 v4, 0x400000, v5
	v_and_or_b32 v5, 0x3fffff, v5, v1
	s_delay_alu instid0(VALU_DEP_2) | instskip(NEXT) | instid1(VALU_DEP_2)
	v_cmp_ne_u32_e32 vcc_lo, 0, v4
	v_cmp_ne_u32_e64 s2, 0, v5
	s_and_b32 s2, vcc_lo, s2
	s_delay_alu instid0(SALU_CYCLE_1) | instskip(NEXT) | instid1(VALU_DEP_1)
	v_cndmask_b32_e64 v4, 0, 1, s2
	v_add_nc_u32_e32 v4, v1, v4
; %bb.1796:
	s_or_b32 exec_lo, exec_lo, s8
	s_mov_b32 s2, 0
	s_mov_b32 s8, -1
	global_store_b8 v[2:3], v4, off
.LBB110_1797:
	s_mov_b32 s9, 0
.LBB110_1798:
	s_delay_alu instid0(SALU_CYCLE_1)
	s_and_b32 vcc_lo, exec_lo, s9
	s_cbranch_vccz .LBB110_1801
; %bb.1799:
	s_cmp_eq_u32 s6, 29
	s_mov_b32 s2, -1
	s_cbranch_scc0 .LBB110_1801
; %bb.1800:
	s_mov_b32 s2, 0
	s_wait_xcnt 0x0
	v_cndmask_b32_e64 v4, 0, 1, s1
	v_mov_b32_e32 v5, s2
	s_mov_b32 s8, -1
	global_store_b64 v[2:3], v[4:5], off
.LBB110_1801:
	s_mov_b32 s9, 0
.LBB110_1802:
	s_delay_alu instid0(SALU_CYCLE_1)
	s_and_b32 vcc_lo, exec_lo, s9
	s_cbranch_vccz .LBB110_1818
; %bb.1803:
	s_cmp_lt_i32 s6, 27
	s_mov_b32 s8, -1
	s_cbranch_scc1 .LBB110_1809
; %bb.1804:
	s_cmp_gt_i32 s6, 27
	s_cbranch_scc0 .LBB110_1806
; %bb.1805:
	s_wait_xcnt 0x0
	v_cndmask_b32_e64 v1, 0, 1, s1
	s_mov_b32 s8, 0
	global_store_b32 v[2:3], v1, off
.LBB110_1806:
	s_and_not1_b32 vcc_lo, exec_lo, s8
	s_cbranch_vccnz .LBB110_1808
; %bb.1807:
	s_wait_xcnt 0x0
	v_cndmask_b32_e64 v1, 0, 1, s1
	global_store_b16 v[2:3], v1, off
.LBB110_1808:
	s_mov_b32 s8, 0
.LBB110_1809:
	s_delay_alu instid0(SALU_CYCLE_1)
	s_and_not1_b32 vcc_lo, exec_lo, s8
	s_cbranch_vccnz .LBB110_1817
; %bb.1810:
	s_wait_xcnt 0x0
	v_cndmask_b32_e64 v4, 0, 1.0, s1
	v_mov_b32_e32 v5, 0x80
	s_mov_b32 s8, exec_lo
	s_delay_alu instid0(VALU_DEP_2)
	v_cmpx_gt_u32_e32 0x43800000, v4
	s_cbranch_execz .LBB110_1816
; %bb.1811:
	s_mov_b32 s9, 0
	s_mov_b32 s10, exec_lo
                                        ; implicit-def: $vgpr1
	v_cmpx_lt_u32_e32 0x3bffffff, v4
	s_xor_b32 s10, exec_lo, s10
	s_cbranch_execz .LBB110_2037
; %bb.1812:
	v_bfe_u32 v1, v4, 20, 1
	s_mov_b32 s9, exec_lo
	s_delay_alu instid0(VALU_DEP_1) | instskip(NEXT) | instid1(VALU_DEP_1)
	v_add3_u32 v1, v4, v1, 0x487ffff
                                        ; implicit-def: $vgpr4
	v_lshrrev_b32_e32 v1, 20, v1
	s_and_not1_saveexec_b32 s10, s10
	s_cbranch_execnz .LBB110_2038
.LBB110_1813:
	s_or_b32 exec_lo, exec_lo, s10
	v_mov_b32_e32 v5, 0
	s_and_saveexec_b32 s10, s9
.LBB110_1814:
	v_mov_b32_e32 v5, v1
.LBB110_1815:
	s_or_b32 exec_lo, exec_lo, s10
.LBB110_1816:
	s_delay_alu instid0(SALU_CYCLE_1)
	s_or_b32 exec_lo, exec_lo, s8
	global_store_b8 v[2:3], v5, off
.LBB110_1817:
	s_mov_b32 s8, -1
.LBB110_1818:
	s_mov_b32 s9, 0
.LBB110_1819:
	s_delay_alu instid0(SALU_CYCLE_1)
	s_and_b32 vcc_lo, exec_lo, s9
	s_cbranch_vccz .LBB110_1859
; %bb.1820:
	s_cmp_gt_i32 s6, 22
	s_mov_b32 s7, -1
	s_cbranch_scc0 .LBB110_1852
; %bb.1821:
	s_cmp_lt_i32 s6, 24
	s_cbranch_scc1 .LBB110_1841
; %bb.1822:
	s_cmp_gt_i32 s6, 24
	s_cbranch_scc0 .LBB110_1830
; %bb.1823:
	s_wait_xcnt 0x0
	v_cndmask_b32_e64 v4, 0, 1.0, s1
	v_mov_b32_e32 v5, 0x80
	s_mov_b32 s7, exec_lo
	s_delay_alu instid0(VALU_DEP_2)
	v_cmpx_gt_u32_e32 0x47800000, v4
	s_cbranch_execz .LBB110_1829
; %bb.1824:
	s_mov_b32 s8, 0
	s_mov_b32 s9, exec_lo
                                        ; implicit-def: $vgpr1
	v_cmpx_lt_u32_e32 0x37ffffff, v4
	s_xor_b32 s9, exec_lo, s9
	s_cbranch_execz .LBB110_2040
; %bb.1825:
	v_bfe_u32 v1, v4, 21, 1
	s_mov_b32 s8, exec_lo
	s_delay_alu instid0(VALU_DEP_1) | instskip(NEXT) | instid1(VALU_DEP_1)
	v_add3_u32 v1, v4, v1, 0x88fffff
                                        ; implicit-def: $vgpr4
	v_lshrrev_b32_e32 v1, 21, v1
	s_and_not1_saveexec_b32 s9, s9
	s_cbranch_execnz .LBB110_2041
.LBB110_1826:
	s_or_b32 exec_lo, exec_lo, s9
	v_mov_b32_e32 v5, 0
	s_and_saveexec_b32 s9, s8
.LBB110_1827:
	v_mov_b32_e32 v5, v1
.LBB110_1828:
	s_or_b32 exec_lo, exec_lo, s9
.LBB110_1829:
	s_delay_alu instid0(SALU_CYCLE_1)
	s_or_b32 exec_lo, exec_lo, s7
	s_mov_b32 s7, 0
	global_store_b8 v[2:3], v5, off
.LBB110_1830:
	s_and_b32 vcc_lo, exec_lo, s7
	s_cbranch_vccz .LBB110_1840
; %bb.1831:
	s_wait_xcnt 0x0
	v_cndmask_b32_e64 v4, 0, 1.0, s1
	s_mov_b32 s7, exec_lo
                                        ; implicit-def: $vgpr1
	s_delay_alu instid0(VALU_DEP_1)
	v_cmpx_gt_u32_e32 0x43f00000, v4
	s_xor_b32 s7, exec_lo, s7
	s_cbranch_execz .LBB110_1837
; %bb.1832:
	s_mov_b32 s8, exec_lo
                                        ; implicit-def: $vgpr1
	v_cmpx_lt_u32_e32 0x3c7fffff, v4
	s_xor_b32 s8, exec_lo, s8
; %bb.1833:
	v_bfe_u32 v1, v4, 20, 1
	s_delay_alu instid0(VALU_DEP_1) | instskip(NEXT) | instid1(VALU_DEP_1)
	v_add3_u32 v1, v4, v1, 0x407ffff
	v_and_b32_e32 v4, 0xff00000, v1
	v_lshrrev_b32_e32 v1, 20, v1
	s_delay_alu instid0(VALU_DEP_2) | instskip(NEXT) | instid1(VALU_DEP_2)
	v_cmp_ne_u32_e32 vcc_lo, 0x7f00000, v4
                                        ; implicit-def: $vgpr4
	v_cndmask_b32_e32 v1, 0x7e, v1, vcc_lo
; %bb.1834:
	s_and_not1_saveexec_b32 s8, s8
; %bb.1835:
	v_add_f32_e32 v1, 0x46800000, v4
; %bb.1836:
	s_or_b32 exec_lo, exec_lo, s8
                                        ; implicit-def: $vgpr4
.LBB110_1837:
	s_and_not1_saveexec_b32 s7, s7
; %bb.1838:
	v_mov_b32_e32 v1, 0x7f
	v_cmp_lt_u32_e32 vcc_lo, 0x7f800000, v4
	s_delay_alu instid0(VALU_DEP_2)
	v_cndmask_b32_e32 v1, 0x7e, v1, vcc_lo
; %bb.1839:
	s_or_b32 exec_lo, exec_lo, s7
	global_store_b8 v[2:3], v1, off
.LBB110_1840:
	s_mov_b32 s7, 0
.LBB110_1841:
	s_delay_alu instid0(SALU_CYCLE_1)
	s_and_not1_b32 vcc_lo, exec_lo, s7
	s_cbranch_vccnz .LBB110_1851
; %bb.1842:
	s_wait_xcnt 0x0
	v_cndmask_b32_e64 v4, 0, 1.0, s1
	s_mov_b32 s7, exec_lo
                                        ; implicit-def: $vgpr1
	s_delay_alu instid0(VALU_DEP_1)
	v_cmpx_gt_u32_e32 0x47800000, v4
	s_xor_b32 s7, exec_lo, s7
	s_cbranch_execz .LBB110_1848
; %bb.1843:
	s_mov_b32 s8, exec_lo
                                        ; implicit-def: $vgpr1
	v_cmpx_lt_u32_e32 0x387fffff, v4
	s_xor_b32 s8, exec_lo, s8
; %bb.1844:
	v_bfe_u32 v1, v4, 21, 1
	s_delay_alu instid0(VALU_DEP_1) | instskip(NEXT) | instid1(VALU_DEP_1)
	v_add3_u32 v1, v4, v1, 0x80fffff
                                        ; implicit-def: $vgpr4
	v_lshrrev_b32_e32 v1, 21, v1
; %bb.1845:
	s_and_not1_saveexec_b32 s8, s8
; %bb.1846:
	v_add_f32_e32 v1, 0x43000000, v4
; %bb.1847:
	s_or_b32 exec_lo, exec_lo, s8
                                        ; implicit-def: $vgpr4
.LBB110_1848:
	s_and_not1_saveexec_b32 s7, s7
; %bb.1849:
	v_mov_b32_e32 v1, 0x7f
	v_cmp_lt_u32_e32 vcc_lo, 0x7f800000, v4
	s_delay_alu instid0(VALU_DEP_2)
	v_cndmask_b32_e32 v1, 0x7c, v1, vcc_lo
; %bb.1850:
	s_or_b32 exec_lo, exec_lo, s7
	global_store_b8 v[2:3], v1, off
.LBB110_1851:
	s_mov_b32 s7, 0
	s_mov_b32 s8, -1
.LBB110_1852:
	s_and_not1_b32 vcc_lo, exec_lo, s7
	s_mov_b32 s7, 0
	s_cbranch_vccnz .LBB110_1859
; %bb.1853:
	s_cmp_gt_i32 s6, 14
	s_mov_b32 s7, -1
	s_cbranch_scc0 .LBB110_1857
; %bb.1854:
	s_cmp_eq_u32 s6, 15
	s_mov_b32 s2, -1
	s_cbranch_scc0 .LBB110_1856
; %bb.1855:
	s_wait_xcnt 0x0
	v_cndmask_b32_e64 v1, 0, 1.0, s1
	s_mov_b32 s2, 0
	s_mov_b32 s8, -1
	s_delay_alu instid0(VALU_DEP_1) | instskip(NEXT) | instid1(VALU_DEP_1)
	v_bfe_u32 v4, v1, 16, 1
	v_add3_u32 v1, v1, v4, 0x7fff
	global_store_d16_hi_b16 v[2:3], v1, off
.LBB110_1856:
	s_mov_b32 s7, 0
.LBB110_1857:
	s_delay_alu instid0(SALU_CYCLE_1)
	s_and_b32 vcc_lo, exec_lo, s7
	s_mov_b32 s7, 0
	s_cbranch_vccz .LBB110_1859
; %bb.1858:
	s_cmp_lg_u32 s6, 11
	s_mov_b32 s7, -1
	s_cselect_b32 s2, -1, 0
.LBB110_1859:
	s_delay_alu instid0(SALU_CYCLE_1)
	s_and_b32 vcc_lo, exec_lo, s2
	s_cbranch_vccnz .LBB110_2039
; %bb.1860:
	s_and_not1_b32 vcc_lo, exec_lo, s7
	s_cbranch_vccnz .LBB110_1862
.LBB110_1861:
	s_wait_xcnt 0x0
	v_cndmask_b32_e64 v1, 0, 1, s1
	s_mov_b32 s8, -1
	global_store_b8 v[2:3], v1, off
.LBB110_1862:
	s_mov_b32 s2, 0
	s_branch .LBB110_1864
.LBB110_1863:
	s_mov_b32 s2, -1
	s_mov_b32 s8, 0
.LBB110_1864:
	s_and_b32 vcc_lo, exec_lo, s2
	s_cbranch_vccz .LBB110_1903
; %bb.1865:
	s_and_b32 s2, 0xffff, s16
	s_mov_b32 s6, -1
	s_cmp_lt_i32 s2, 5
	s_cbranch_scc1 .LBB110_1886
; %bb.1866:
	s_cmp_lt_i32 s2, 8
	s_cbranch_scc1 .LBB110_1876
; %bb.1867:
	s_cmp_lt_i32 s2, 9
	s_cbranch_scc1 .LBB110_1873
; %bb.1868:
	s_cmp_gt_i32 s2, 9
	s_cbranch_scc0 .LBB110_1870
; %bb.1869:
	s_wait_xcnt 0x0
	v_cndmask_b32_e64 v1, 0, 1, s1
	v_mov_b32_e32 v6, 0
	s_mov_b32 s6, 0
	s_delay_alu instid0(VALU_DEP_2) | instskip(NEXT) | instid1(VALU_DEP_2)
	v_cvt_f64_u32_e32 v[4:5], v1
	v_mov_b32_e32 v7, v6
	global_store_b128 v[2:3], v[4:7], off
.LBB110_1870:
	s_and_not1_b32 vcc_lo, exec_lo, s6
	s_cbranch_vccnz .LBB110_1872
; %bb.1871:
	s_wait_xcnt 0x0
	v_cndmask_b32_e64 v4, 0, 1.0, s1
	v_mov_b32_e32 v5, 0
	global_store_b64 v[2:3], v[4:5], off
.LBB110_1872:
	s_mov_b32 s6, 0
.LBB110_1873:
	s_delay_alu instid0(SALU_CYCLE_1)
	s_and_not1_b32 vcc_lo, exec_lo, s6
	s_cbranch_vccnz .LBB110_1875
; %bb.1874:
	s_wait_xcnt 0x0
	v_cndmask_b32_e64 v1, 0, 1.0, s1
	s_delay_alu instid0(VALU_DEP_1) | instskip(NEXT) | instid1(VALU_DEP_1)
	v_cvt_f16_f32_e32 v1, v1
	v_and_b32_e32 v1, 0xffff, v1
	global_store_b32 v[2:3], v1, off
.LBB110_1875:
	s_mov_b32 s6, 0
.LBB110_1876:
	s_delay_alu instid0(SALU_CYCLE_1)
	s_and_not1_b32 vcc_lo, exec_lo, s6
	s_cbranch_vccnz .LBB110_1885
; %bb.1877:
	s_cmp_lt_i32 s2, 6
	s_mov_b32 s6, -1
	s_cbranch_scc1 .LBB110_1883
; %bb.1878:
	s_cmp_gt_i32 s2, 6
	s_cbranch_scc0 .LBB110_1880
; %bb.1879:
	s_wait_xcnt 0x0
	v_cndmask_b32_e64 v1, 0, 1, s1
	s_mov_b32 s6, 0
	s_delay_alu instid0(VALU_DEP_1)
	v_cvt_f64_u32_e32 v[4:5], v1
	global_store_b64 v[2:3], v[4:5], off
.LBB110_1880:
	s_and_not1_b32 vcc_lo, exec_lo, s6
	s_cbranch_vccnz .LBB110_1882
; %bb.1881:
	s_wait_xcnt 0x0
	v_cndmask_b32_e64 v1, 0, 1.0, s1
	global_store_b32 v[2:3], v1, off
.LBB110_1882:
	s_mov_b32 s6, 0
.LBB110_1883:
	s_delay_alu instid0(SALU_CYCLE_1)
	s_and_not1_b32 vcc_lo, exec_lo, s6
	s_cbranch_vccnz .LBB110_1885
; %bb.1884:
	s_wait_xcnt 0x0
	v_cndmask_b32_e64 v1, 0, 1.0, s1
	s_delay_alu instid0(VALU_DEP_1)
	v_cvt_f16_f32_e32 v1, v1
	global_store_b16 v[2:3], v1, off
.LBB110_1885:
	s_mov_b32 s6, 0
.LBB110_1886:
	s_delay_alu instid0(SALU_CYCLE_1)
	s_and_not1_b32 vcc_lo, exec_lo, s6
	s_cbranch_vccnz .LBB110_1902
; %bb.1887:
	s_cmp_lt_i32 s2, 2
	s_mov_b32 s6, -1
	s_cbranch_scc1 .LBB110_1897
; %bb.1888:
	s_cmp_lt_i32 s2, 3
	s_cbranch_scc1 .LBB110_1894
; %bb.1889:
	s_cmp_gt_i32 s2, 3
	s_cbranch_scc0 .LBB110_1891
; %bb.1890:
	s_mov_b32 s6, 0
	s_wait_xcnt 0x0
	v_cndmask_b32_e64 v4, 0, 1, s1
	v_mov_b32_e32 v5, s6
	global_store_b64 v[2:3], v[4:5], off
.LBB110_1891:
	s_and_not1_b32 vcc_lo, exec_lo, s6
	s_cbranch_vccnz .LBB110_1893
; %bb.1892:
	s_wait_xcnt 0x0
	v_cndmask_b32_e64 v1, 0, 1, s1
	global_store_b32 v[2:3], v1, off
.LBB110_1893:
	s_mov_b32 s6, 0
.LBB110_1894:
	s_delay_alu instid0(SALU_CYCLE_1)
	s_and_not1_b32 vcc_lo, exec_lo, s6
	s_cbranch_vccnz .LBB110_1896
; %bb.1895:
	s_wait_xcnt 0x0
	v_cndmask_b32_e64 v1, 0, 1, s1
	global_store_b16 v[2:3], v1, off
.LBB110_1896:
	s_mov_b32 s6, 0
.LBB110_1897:
	s_delay_alu instid0(SALU_CYCLE_1)
	s_and_not1_b32 vcc_lo, exec_lo, s6
	s_cbranch_vccnz .LBB110_1902
; %bb.1898:
	s_wait_xcnt 0x0
	v_cndmask_b32_e64 v1, 0, 1, s1
	s_cmp_gt_i32 s2, 0
	s_mov_b32 s1, -1
	s_cbranch_scc0 .LBB110_1900
; %bb.1899:
	s_mov_b32 s1, 0
	global_store_b8 v[2:3], v1, off
.LBB110_1900:
	s_and_not1_b32 vcc_lo, exec_lo, s1
	s_cbranch_vccnz .LBB110_1902
; %bb.1901:
	global_store_b8 v[2:3], v1, off
.LBB110_1902:
	s_mov_b32 s8, -1
.LBB110_1903:
	s_delay_alu instid0(SALU_CYCLE_1)
	s_and_not1_b32 vcc_lo, exec_lo, s8
	s_cbranch_vccnz .LBB110_1980
; %bb.1904:
	v_cmp_eq_f32_e32 vcc_lo, s11, v8
	s_cmp_lt_i32 s16, 11
	s_wait_xcnt 0x0
	v_cndmask_b32_e64 v1, 0, 1, vcc_lo
	v_cmp_neq_f32_e32 vcc_lo, s11, v8
	v_cndmask_b32_e64 v2, 0, 1, vcc_lo
	s_delay_alu instid0(VALU_DEP_1) | instskip(NEXT) | instid1(VALU_DEP_1)
	v_dual_add_nc_u32 v0, s3, v0 :: v_dual_cndmask_b32 v2, v2, v1, s0
	v_dual_ashrrev_i32 v1, 31, v0 :: v_dual_bitop2_b32 v2, 1, v2 bitop3:0x40
	s_delay_alu instid0(VALU_DEP_1) | instskip(NEXT) | instid1(VALU_DEP_2)
	v_add_nc_u64_e32 v[0:1], s[4:5], v[0:1]
	v_cmp_eq_u32_e64 s1, 1, v2
	s_cbranch_scc1 .LBB110_2025
; %bb.1905:
	s_and_b32 s2, 0xffff, s16
	s_mov_b32 s4, -1
	s_mov_b32 s3, 0
	s_cmp_gt_i32 s2, 25
	s_mov_b32 s0, 0
	s_cbranch_scc0 .LBB110_1938
; %bb.1906:
	s_cmp_gt_i32 s2, 28
	s_cbranch_scc0 .LBB110_1922
; %bb.1907:
	s_cmp_gt_i32 s2, 43
	;; [unrolled: 3-line block ×3, first 2 shown]
	s_cbranch_scc0 .LBB110_1912
; %bb.1909:
	s_cmp_eq_u32 s2, 46
	s_mov_b32 s0, -1
	s_cbranch_scc0 .LBB110_1911
; %bb.1910:
	v_cndmask_b32_e64 v2, 0, 1.0, s1
	s_mov_b32 s0, 0
	s_delay_alu instid0(VALU_DEP_1) | instskip(NEXT) | instid1(VALU_DEP_1)
	v_bfe_u32 v3, v2, 16, 1
	v_add3_u32 v2, v2, v3, 0x7fff
	s_delay_alu instid0(VALU_DEP_1)
	v_lshrrev_b32_e32 v2, 16, v2
	global_store_b32 v[0:1], v2, off
.LBB110_1911:
	s_mov_b32 s4, 0
.LBB110_1912:
	s_delay_alu instid0(SALU_CYCLE_1)
	s_and_b32 vcc_lo, exec_lo, s4
	s_cbranch_vccz .LBB110_1917
; %bb.1913:
	s_cmp_eq_u32 s2, 44
	s_mov_b32 s0, -1
	s_cbranch_scc0 .LBB110_1917
; %bb.1914:
	v_cndmask_b32_e64 v4, 0, 1.0, s1
	s_mov_b32 s4, exec_lo
	s_wait_xcnt 0x0
	s_delay_alu instid0(VALU_DEP_1) | instskip(NEXT) | instid1(VALU_DEP_1)
	v_dual_mov_b32 v3, 0xff :: v_dual_lshrrev_b32 v2, 23, v4
	v_cmpx_ne_u32_e32 0xff, v2
; %bb.1915:
	v_and_b32_e32 v3, 0x400000, v4
	v_and_or_b32 v4, 0x3fffff, v4, v2
	s_delay_alu instid0(VALU_DEP_2) | instskip(NEXT) | instid1(VALU_DEP_2)
	v_cmp_ne_u32_e32 vcc_lo, 0, v3
	v_cmp_ne_u32_e64 s0, 0, v4
	s_and_b32 s0, vcc_lo, s0
	s_delay_alu instid0(SALU_CYCLE_1) | instskip(NEXT) | instid1(VALU_DEP_1)
	v_cndmask_b32_e64 v3, 0, 1, s0
	v_add_nc_u32_e32 v3, v2, v3
; %bb.1916:
	s_or_b32 exec_lo, exec_lo, s4
	s_mov_b32 s0, 0
	global_store_b8 v[0:1], v3, off
.LBB110_1917:
	s_mov_b32 s4, 0
.LBB110_1918:
	s_delay_alu instid0(SALU_CYCLE_1)
	s_and_b32 vcc_lo, exec_lo, s4
	s_cbranch_vccz .LBB110_1921
; %bb.1919:
	s_cmp_eq_u32 s2, 29
	s_mov_b32 s0, -1
	s_cbranch_scc0 .LBB110_1921
; %bb.1920:
	s_mov_b32 s0, 0
	s_wait_xcnt 0x0
	v_cndmask_b32_e64 v2, 0, 1, s1
	v_mov_b32_e32 v3, s0
	global_store_b64 v[0:1], v[2:3], off
.LBB110_1921:
	s_mov_b32 s4, 0
.LBB110_1922:
	s_delay_alu instid0(SALU_CYCLE_1)
	s_and_b32 vcc_lo, exec_lo, s4
	s_cbranch_vccz .LBB110_1937
; %bb.1923:
	s_cmp_lt_i32 s2, 27
	s_mov_b32 s4, -1
	s_cbranch_scc1 .LBB110_1929
; %bb.1924:
	s_wait_xcnt 0x0
	v_cndmask_b32_e64 v2, 0, 1, s1
	s_cmp_gt_i32 s2, 27
	s_cbranch_scc0 .LBB110_1926
; %bb.1925:
	s_mov_b32 s4, 0
	global_store_b32 v[0:1], v2, off
.LBB110_1926:
	s_and_not1_b32 vcc_lo, exec_lo, s4
	s_cbranch_vccnz .LBB110_1928
; %bb.1927:
	global_store_b16 v[0:1], v2, off
.LBB110_1928:
	s_mov_b32 s4, 0
.LBB110_1929:
	s_delay_alu instid0(SALU_CYCLE_1)
	s_and_not1_b32 vcc_lo, exec_lo, s4
	s_cbranch_vccnz .LBB110_1937
; %bb.1930:
	s_wait_xcnt 0x0
	v_cndmask_b32_e64 v3, 0, 1.0, s1
	v_mov_b32_e32 v4, 0x80
	s_mov_b32 s4, exec_lo
	s_delay_alu instid0(VALU_DEP_2)
	v_cmpx_gt_u32_e32 0x43800000, v3
	s_cbranch_execz .LBB110_1936
; %bb.1931:
	s_mov_b32 s5, 0
	s_mov_b32 s6, exec_lo
                                        ; implicit-def: $vgpr2
	v_cmpx_lt_u32_e32 0x3bffffff, v3
	s_xor_b32 s6, exec_lo, s6
	s_cbranch_execz .LBB110_2042
; %bb.1932:
	v_bfe_u32 v2, v3, 20, 1
	s_mov_b32 s5, exec_lo
	s_delay_alu instid0(VALU_DEP_1) | instskip(NEXT) | instid1(VALU_DEP_1)
	v_add3_u32 v2, v3, v2, 0x487ffff
                                        ; implicit-def: $vgpr3
	v_lshrrev_b32_e32 v2, 20, v2
	s_and_not1_saveexec_b32 s6, s6
	s_cbranch_execnz .LBB110_2043
.LBB110_1933:
	s_or_b32 exec_lo, exec_lo, s6
	v_mov_b32_e32 v4, 0
	s_and_saveexec_b32 s6, s5
.LBB110_1934:
	v_mov_b32_e32 v4, v2
.LBB110_1935:
	s_or_b32 exec_lo, exec_lo, s6
.LBB110_1936:
	s_delay_alu instid0(SALU_CYCLE_1)
	s_or_b32 exec_lo, exec_lo, s4
	global_store_b8 v[0:1], v4, off
.LBB110_1937:
	s_mov_b32 s4, 0
.LBB110_1938:
	s_delay_alu instid0(SALU_CYCLE_1)
	s_and_b32 vcc_lo, exec_lo, s4
	s_cbranch_vccz .LBB110_1978
; %bb.1939:
	s_cmp_gt_i32 s2, 22
	s_mov_b32 s3, -1
	s_cbranch_scc0 .LBB110_1971
; %bb.1940:
	s_cmp_lt_i32 s2, 24
	s_cbranch_scc1 .LBB110_1960
; %bb.1941:
	s_cmp_gt_i32 s2, 24
	s_cbranch_scc0 .LBB110_1949
; %bb.1942:
	s_wait_xcnt 0x0
	v_cndmask_b32_e64 v3, 0, 1.0, s1
	v_mov_b32_e32 v4, 0x80
	s_mov_b32 s3, exec_lo
	s_delay_alu instid0(VALU_DEP_2)
	v_cmpx_gt_u32_e32 0x47800000, v3
	s_cbranch_execz .LBB110_1948
; %bb.1943:
	s_mov_b32 s4, 0
	s_mov_b32 s5, exec_lo
                                        ; implicit-def: $vgpr2
	v_cmpx_lt_u32_e32 0x37ffffff, v3
	s_xor_b32 s5, exec_lo, s5
	s_cbranch_execz .LBB110_2045
; %bb.1944:
	v_bfe_u32 v2, v3, 21, 1
	s_mov_b32 s4, exec_lo
	s_delay_alu instid0(VALU_DEP_1) | instskip(NEXT) | instid1(VALU_DEP_1)
	v_add3_u32 v2, v3, v2, 0x88fffff
                                        ; implicit-def: $vgpr3
	v_lshrrev_b32_e32 v2, 21, v2
	s_and_not1_saveexec_b32 s5, s5
	s_cbranch_execnz .LBB110_2046
.LBB110_1945:
	s_or_b32 exec_lo, exec_lo, s5
	v_mov_b32_e32 v4, 0
	s_and_saveexec_b32 s5, s4
.LBB110_1946:
	v_mov_b32_e32 v4, v2
.LBB110_1947:
	s_or_b32 exec_lo, exec_lo, s5
.LBB110_1948:
	s_delay_alu instid0(SALU_CYCLE_1)
	s_or_b32 exec_lo, exec_lo, s3
	s_mov_b32 s3, 0
	global_store_b8 v[0:1], v4, off
.LBB110_1949:
	s_and_b32 vcc_lo, exec_lo, s3
	s_cbranch_vccz .LBB110_1959
; %bb.1950:
	s_wait_xcnt 0x0
	v_cndmask_b32_e64 v3, 0, 1.0, s1
	s_mov_b32 s3, exec_lo
                                        ; implicit-def: $vgpr2
	s_delay_alu instid0(VALU_DEP_1)
	v_cmpx_gt_u32_e32 0x43f00000, v3
	s_xor_b32 s3, exec_lo, s3
	s_cbranch_execz .LBB110_1956
; %bb.1951:
	s_mov_b32 s4, exec_lo
                                        ; implicit-def: $vgpr2
	v_cmpx_lt_u32_e32 0x3c7fffff, v3
	s_xor_b32 s4, exec_lo, s4
; %bb.1952:
	v_bfe_u32 v2, v3, 20, 1
	s_delay_alu instid0(VALU_DEP_1) | instskip(NEXT) | instid1(VALU_DEP_1)
	v_add3_u32 v2, v3, v2, 0x407ffff
	v_and_b32_e32 v3, 0xff00000, v2
	v_lshrrev_b32_e32 v2, 20, v2
	s_delay_alu instid0(VALU_DEP_2) | instskip(NEXT) | instid1(VALU_DEP_2)
	v_cmp_ne_u32_e32 vcc_lo, 0x7f00000, v3
                                        ; implicit-def: $vgpr3
	v_cndmask_b32_e32 v2, 0x7e, v2, vcc_lo
; %bb.1953:
	s_and_not1_saveexec_b32 s4, s4
; %bb.1954:
	v_add_f32_e32 v2, 0x46800000, v3
; %bb.1955:
	s_or_b32 exec_lo, exec_lo, s4
                                        ; implicit-def: $vgpr3
.LBB110_1956:
	s_and_not1_saveexec_b32 s3, s3
; %bb.1957:
	v_mov_b32_e32 v2, 0x7f
	v_cmp_lt_u32_e32 vcc_lo, 0x7f800000, v3
	s_delay_alu instid0(VALU_DEP_2)
	v_cndmask_b32_e32 v2, 0x7e, v2, vcc_lo
; %bb.1958:
	s_or_b32 exec_lo, exec_lo, s3
	global_store_b8 v[0:1], v2, off
.LBB110_1959:
	s_mov_b32 s3, 0
.LBB110_1960:
	s_delay_alu instid0(SALU_CYCLE_1)
	s_and_not1_b32 vcc_lo, exec_lo, s3
	s_cbranch_vccnz .LBB110_1970
; %bb.1961:
	s_wait_xcnt 0x0
	v_cndmask_b32_e64 v3, 0, 1.0, s1
	s_mov_b32 s3, exec_lo
                                        ; implicit-def: $vgpr2
	s_delay_alu instid0(VALU_DEP_1)
	v_cmpx_gt_u32_e32 0x47800000, v3
	s_xor_b32 s3, exec_lo, s3
	s_cbranch_execz .LBB110_1967
; %bb.1962:
	s_mov_b32 s4, exec_lo
                                        ; implicit-def: $vgpr2
	v_cmpx_lt_u32_e32 0x387fffff, v3
	s_xor_b32 s4, exec_lo, s4
; %bb.1963:
	v_bfe_u32 v2, v3, 21, 1
	s_delay_alu instid0(VALU_DEP_1) | instskip(NEXT) | instid1(VALU_DEP_1)
	v_add3_u32 v2, v3, v2, 0x80fffff
                                        ; implicit-def: $vgpr3
	v_lshrrev_b32_e32 v2, 21, v2
; %bb.1964:
	s_and_not1_saveexec_b32 s4, s4
; %bb.1965:
	v_add_f32_e32 v2, 0x43000000, v3
; %bb.1966:
	s_or_b32 exec_lo, exec_lo, s4
                                        ; implicit-def: $vgpr3
.LBB110_1967:
	s_and_not1_saveexec_b32 s3, s3
; %bb.1968:
	v_mov_b32_e32 v2, 0x7f
	v_cmp_lt_u32_e32 vcc_lo, 0x7f800000, v3
	s_delay_alu instid0(VALU_DEP_2)
	v_cndmask_b32_e32 v2, 0x7c, v2, vcc_lo
; %bb.1969:
	s_or_b32 exec_lo, exec_lo, s3
	global_store_b8 v[0:1], v2, off
.LBB110_1970:
	s_mov_b32 s3, 0
.LBB110_1971:
	s_delay_alu instid0(SALU_CYCLE_1)
	s_and_not1_b32 vcc_lo, exec_lo, s3
	s_mov_b32 s3, 0
	s_cbranch_vccnz .LBB110_1978
; %bb.1972:
	s_cmp_gt_i32 s2, 14
	s_mov_b32 s3, -1
	s_cbranch_scc0 .LBB110_1976
; %bb.1973:
	s_cmp_eq_u32 s2, 15
	s_mov_b32 s0, -1
	s_cbranch_scc0 .LBB110_1975
; %bb.1974:
	s_wait_xcnt 0x0
	v_cndmask_b32_e64 v2, 0, 1.0, s1
	s_mov_b32 s0, 0
	s_delay_alu instid0(VALU_DEP_1) | instskip(NEXT) | instid1(VALU_DEP_1)
	v_bfe_u32 v3, v2, 16, 1
	v_add3_u32 v2, v2, v3, 0x7fff
	global_store_d16_hi_b16 v[0:1], v2, off
.LBB110_1975:
	s_mov_b32 s3, 0
.LBB110_1976:
	s_delay_alu instid0(SALU_CYCLE_1)
	s_and_b32 vcc_lo, exec_lo, s3
	s_mov_b32 s3, 0
	s_cbranch_vccz .LBB110_1978
; %bb.1977:
	s_cmp_lg_u32 s2, 11
	s_mov_b32 s3, -1
	s_cselect_b32 s0, -1, 0
.LBB110_1978:
	s_delay_alu instid0(SALU_CYCLE_1)
	s_and_b32 vcc_lo, exec_lo, s0
	s_cbranch_vccnz .LBB110_2044
.LBB110_1979:
	s_mov_b32 s0, 0
	s_branch .LBB110_1981
.LBB110_1980:
	s_mov_b32 s0, 0
	s_mov_b32 s3, 0
                                        ; implicit-def: $sgpr1
                                        ; implicit-def: $sgpr16
                                        ; implicit-def: $vgpr0_vgpr1
.LBB110_1981:
	s_and_not1_b32 s2, s15, exec_lo
	s_and_b32 s4, s12, exec_lo
	s_and_b32 s0, s0, exec_lo
	s_and_b32 s12, s3, exec_lo
	s_or_b32 s15, s2, s4
.LBB110_1982:
	s_wait_xcnt 0x0
	s_or_b32 exec_lo, exec_lo, s14
	s_and_saveexec_b32 s2, s15
	s_cbranch_execz .LBB110_1985
; %bb.1983:
	; divergent unreachable
	s_or_b32 exec_lo, exec_lo, s2
	s_and_saveexec_b32 s2, s12
	s_delay_alu instid0(SALU_CYCLE_1)
	s_xor_b32 s2, exec_lo, s2
	s_cbranch_execnz .LBB110_1986
.LBB110_1984:
	s_or_b32 exec_lo, exec_lo, s2
	s_and_saveexec_b32 s2, s0
	s_cbranch_execnz .LBB110_1987
	s_branch .LBB110_2024
.LBB110_1985:
	s_or_b32 exec_lo, exec_lo, s2
	s_and_saveexec_b32 s2, s12
	s_delay_alu instid0(SALU_CYCLE_1)
	s_xor_b32 s2, exec_lo, s2
	s_cbranch_execz .LBB110_1984
.LBB110_1986:
	s_wait_loadcnt 0x0
	v_cndmask_b32_e64 v2, 0, 1, s1
	global_store_b8 v[0:1], v2, off
	s_wait_xcnt 0x0
	s_or_b32 exec_lo, exec_lo, s2
	s_and_saveexec_b32 s2, s0
	s_cbranch_execz .LBB110_2024
.LBB110_1987:
	s_sext_i32_i16 s2, s16
	s_mov_b32 s0, -1
	s_cmp_lt_i32 s2, 5
	s_cbranch_scc1 .LBB110_2008
; %bb.1988:
	s_cmp_lt_i32 s2, 8
	s_cbranch_scc1 .LBB110_1998
; %bb.1989:
	;; [unrolled: 3-line block ×3, first 2 shown]
	s_cmp_gt_i32 s2, 9
	s_cbranch_scc0 .LBB110_1992
; %bb.1991:
	s_wait_loadcnt 0x0
	v_cndmask_b32_e64 v2, 0, 1, s1
	v_mov_b32_e32 v4, 0
	s_mov_b32 s0, 0
	s_delay_alu instid0(VALU_DEP_2) | instskip(NEXT) | instid1(VALU_DEP_2)
	v_cvt_f64_u32_e32 v[2:3], v2
	v_mov_b32_e32 v5, v4
	global_store_b128 v[0:1], v[2:5], off
.LBB110_1992:
	s_and_not1_b32 vcc_lo, exec_lo, s0
	s_cbranch_vccnz .LBB110_1994
; %bb.1993:
	s_wait_loadcnt 0x0
	v_cndmask_b32_e64 v2, 0, 1.0, s1
	v_mov_b32_e32 v3, 0
	global_store_b64 v[0:1], v[2:3], off
.LBB110_1994:
	s_mov_b32 s0, 0
.LBB110_1995:
	s_delay_alu instid0(SALU_CYCLE_1)
	s_and_not1_b32 vcc_lo, exec_lo, s0
	s_cbranch_vccnz .LBB110_1997
; %bb.1996:
	s_wait_loadcnt 0x0
	v_cndmask_b32_e64 v2, 0, 1.0, s1
	s_delay_alu instid0(VALU_DEP_1) | instskip(NEXT) | instid1(VALU_DEP_1)
	v_cvt_f16_f32_e32 v2, v2
	v_and_b32_e32 v2, 0xffff, v2
	global_store_b32 v[0:1], v2, off
.LBB110_1997:
	s_mov_b32 s0, 0
.LBB110_1998:
	s_delay_alu instid0(SALU_CYCLE_1)
	s_and_not1_b32 vcc_lo, exec_lo, s0
	s_cbranch_vccnz .LBB110_2007
; %bb.1999:
	s_sext_i32_i16 s2, s16
	s_mov_b32 s0, -1
	s_cmp_lt_i32 s2, 6
	s_cbranch_scc1 .LBB110_2005
; %bb.2000:
	s_cmp_gt_i32 s2, 6
	s_cbranch_scc0 .LBB110_2002
; %bb.2001:
	s_wait_loadcnt 0x0
	v_cndmask_b32_e64 v2, 0, 1, s1
	s_mov_b32 s0, 0
	s_delay_alu instid0(VALU_DEP_1)
	v_cvt_f64_u32_e32 v[2:3], v2
	global_store_b64 v[0:1], v[2:3], off
.LBB110_2002:
	s_and_not1_b32 vcc_lo, exec_lo, s0
	s_cbranch_vccnz .LBB110_2004
; %bb.2003:
	s_wait_loadcnt 0x0
	v_cndmask_b32_e64 v2, 0, 1.0, s1
	global_store_b32 v[0:1], v2, off
.LBB110_2004:
	s_mov_b32 s0, 0
.LBB110_2005:
	s_delay_alu instid0(SALU_CYCLE_1)
	s_and_not1_b32 vcc_lo, exec_lo, s0
	s_cbranch_vccnz .LBB110_2007
; %bb.2006:
	s_wait_loadcnt 0x0
	v_cndmask_b32_e64 v2, 0, 1.0, s1
	s_delay_alu instid0(VALU_DEP_1)
	v_cvt_f16_f32_e32 v2, v2
	global_store_b16 v[0:1], v2, off
.LBB110_2007:
	s_mov_b32 s0, 0
.LBB110_2008:
	s_delay_alu instid0(SALU_CYCLE_1)
	s_and_not1_b32 vcc_lo, exec_lo, s0
	s_cbranch_vccnz .LBB110_2024
; %bb.2009:
	s_sext_i32_i16 s2, s16
	s_mov_b32 s0, -1
	s_cmp_lt_i32 s2, 2
	s_cbranch_scc1 .LBB110_2019
; %bb.2010:
	s_cmp_lt_i32 s2, 3
	s_cbranch_scc1 .LBB110_2016
; %bb.2011:
	s_cmp_gt_i32 s2, 3
	s_cbranch_scc0 .LBB110_2013
; %bb.2012:
	s_mov_b32 s0, 0
	s_wait_loadcnt 0x0
	v_cndmask_b32_e64 v2, 0, 1, s1
	v_mov_b32_e32 v3, s0
	global_store_b64 v[0:1], v[2:3], off
.LBB110_2013:
	s_and_not1_b32 vcc_lo, exec_lo, s0
	s_cbranch_vccnz .LBB110_2015
; %bb.2014:
	s_wait_loadcnt 0x0
	v_cndmask_b32_e64 v2, 0, 1, s1
	global_store_b32 v[0:1], v2, off
.LBB110_2015:
	s_mov_b32 s0, 0
.LBB110_2016:
	s_delay_alu instid0(SALU_CYCLE_1)
	s_and_not1_b32 vcc_lo, exec_lo, s0
	s_cbranch_vccnz .LBB110_2018
; %bb.2017:
	s_wait_loadcnt 0x0
	v_cndmask_b32_e64 v2, 0, 1, s1
	global_store_b16 v[0:1], v2, off
.LBB110_2018:
	s_mov_b32 s0, 0
.LBB110_2019:
	s_delay_alu instid0(SALU_CYCLE_1)
	s_and_not1_b32 vcc_lo, exec_lo, s0
	s_cbranch_vccnz .LBB110_2024
; %bb.2020:
	s_wait_loadcnt 0x0
	v_cndmask_b32_e64 v2, 0, 1, s1
	s_sext_i32_i16 s0, s16
	s_delay_alu instid0(SALU_CYCLE_1)
	s_cmp_gt_i32 s0, 0
	s_mov_b32 s0, -1
	s_cbranch_scc0 .LBB110_2022
; %bb.2021:
	s_mov_b32 s0, 0
	global_store_b8 v[0:1], v2, off
.LBB110_2022:
	s_and_not1_b32 vcc_lo, exec_lo, s0
	s_cbranch_vccnz .LBB110_2024
; %bb.2023:
	global_store_b8 v[0:1], v2, off
	s_endpgm
.LBB110_2024:
	s_endpgm
.LBB110_2025:
	s_mov_b32 s3, 0
	s_mov_b32 s0, -1
	s_branch .LBB110_1981
.LBB110_2026:
	s_or_b32 s12, s12, exec_lo
	s_trap 2
	s_cbranch_execz .LBB110_1496
	s_branch .LBB110_1497
.LBB110_2027:
	s_and_not1_saveexec_b32 s10, s10
	s_cbranch_execz .LBB110_1576
.LBB110_2028:
	v_add_f32_e32 v1, 0x46000000, v4
	s_and_not1_b32 s9, s9, exec_lo
	s_delay_alu instid0(VALU_DEP_1) | instskip(NEXT) | instid1(VALU_DEP_1)
	v_and_b32_e32 v1, 0xff, v1
	v_cmp_ne_u32_e32 vcc_lo, 0, v1
	s_and_b32 s13, vcc_lo, exec_lo
	s_delay_alu instid0(SALU_CYCLE_1)
	s_or_b32 s9, s9, s13
	s_or_b32 exec_lo, exec_lo, s10
	v_mov_b32_e32 v5, 0
	s_and_saveexec_b32 s10, s9
	s_cbranch_execnz .LBB110_1577
	s_branch .LBB110_1578
.LBB110_2029:
	s_or_b32 s12, s12, exec_lo
	s_trap 2
	s_cbranch_execz .LBB110_1624
	s_branch .LBB110_1625
.LBB110_2030:
	s_and_not1_saveexec_b32 s9, s9
	s_cbranch_execz .LBB110_1589
.LBB110_2031:
	v_add_f32_e32 v1, 0x42800000, v4
	s_and_not1_b32 s7, s7, exec_lo
	s_delay_alu instid0(VALU_DEP_1) | instskip(NEXT) | instid1(VALU_DEP_1)
	v_and_b32_e32 v1, 0xff, v1
	v_cmp_ne_u32_e32 vcc_lo, 0, v1
	s_and_b32 s10, vcc_lo, exec_lo
	s_delay_alu instid0(SALU_CYCLE_1)
	s_or_b32 s7, s7, s10
	s_or_b32 exec_lo, exec_lo, s9
	v_mov_b32_e32 v5, 0
	s_and_saveexec_b32 s9, s7
	s_cbranch_execnz .LBB110_1590
	s_branch .LBB110_1591
.LBB110_2032:
	s_and_not1_saveexec_b32 s10, s10
	s_cbranch_execz .LBB110_1694
.LBB110_2033:
	v_add_f32_e32 v1, 0x46000000, v4
	s_and_not1_b32 s9, s9, exec_lo
	s_delay_alu instid0(VALU_DEP_1) | instskip(NEXT) | instid1(VALU_DEP_1)
	v_and_b32_e32 v1, 0xff, v1
	v_cmp_ne_u32_e32 vcc_lo, 0, v1
	s_and_b32 s13, vcc_lo, exec_lo
	s_delay_alu instid0(SALU_CYCLE_1)
	s_or_b32 s9, s9, s13
	s_or_b32 exec_lo, exec_lo, s10
	v_mov_b32_e32 v5, 0
	s_and_saveexec_b32 s10, s9
	s_cbranch_execnz .LBB110_1695
	s_branch .LBB110_1696
.LBB110_2034:
	s_or_b32 s12, s12, exec_lo
	s_trap 2
	s_cbranch_execz .LBB110_1742
	s_branch .LBB110_1743
.LBB110_2035:
	s_and_not1_saveexec_b32 s9, s9
	s_cbranch_execz .LBB110_1707
.LBB110_2036:
	v_add_f32_e32 v1, 0x42800000, v4
	s_and_not1_b32 s8, s8, exec_lo
	s_delay_alu instid0(VALU_DEP_1) | instskip(NEXT) | instid1(VALU_DEP_1)
	v_and_b32_e32 v1, 0xff, v1
	v_cmp_ne_u32_e32 vcc_lo, 0, v1
	s_and_b32 s10, vcc_lo, exec_lo
	s_delay_alu instid0(SALU_CYCLE_1)
	s_or_b32 s8, s8, s10
	s_or_b32 exec_lo, exec_lo, s9
	v_mov_b32_e32 v5, 0
	s_and_saveexec_b32 s9, s8
	s_cbranch_execnz .LBB110_1708
	s_branch .LBB110_1709
.LBB110_2037:
	s_and_not1_saveexec_b32 s10, s10
	s_cbranch_execz .LBB110_1813
.LBB110_2038:
	v_add_f32_e32 v1, 0x46000000, v4
	s_and_not1_b32 s9, s9, exec_lo
	s_delay_alu instid0(VALU_DEP_1) | instskip(NEXT) | instid1(VALU_DEP_1)
	v_and_b32_e32 v1, 0xff, v1
	v_cmp_ne_u32_e32 vcc_lo, 0, v1
	s_and_b32 s13, vcc_lo, exec_lo
	s_delay_alu instid0(SALU_CYCLE_1)
	s_or_b32 s9, s9, s13
	s_or_b32 exec_lo, exec_lo, s10
	v_mov_b32_e32 v5, 0
	s_and_saveexec_b32 s10, s9
	s_cbranch_execnz .LBB110_1814
	s_branch .LBB110_1815
.LBB110_2039:
	s_or_b32 s12, s12, exec_lo
	s_trap 2
	s_cbranch_execz .LBB110_1861
	s_branch .LBB110_1862
.LBB110_2040:
	s_and_not1_saveexec_b32 s9, s9
	s_cbranch_execz .LBB110_1826
.LBB110_2041:
	v_add_f32_e32 v1, 0x42800000, v4
	s_and_not1_b32 s8, s8, exec_lo
	s_delay_alu instid0(VALU_DEP_1) | instskip(NEXT) | instid1(VALU_DEP_1)
	v_and_b32_e32 v1, 0xff, v1
	v_cmp_ne_u32_e32 vcc_lo, 0, v1
	s_and_b32 s10, vcc_lo, exec_lo
	s_delay_alu instid0(SALU_CYCLE_1)
	s_or_b32 s8, s8, s10
	s_or_b32 exec_lo, exec_lo, s9
	v_mov_b32_e32 v5, 0
	s_and_saveexec_b32 s9, s8
	s_cbranch_execnz .LBB110_1827
	s_branch .LBB110_1828
.LBB110_2042:
	s_and_not1_saveexec_b32 s6, s6
	s_cbranch_execz .LBB110_1933
.LBB110_2043:
	v_add_f32_e32 v2, 0x46000000, v3
	s_and_not1_b32 s5, s5, exec_lo
	s_delay_alu instid0(VALU_DEP_1) | instskip(NEXT) | instid1(VALU_DEP_1)
	v_and_b32_e32 v2, 0xff, v2
	v_cmp_ne_u32_e32 vcc_lo, 0, v2
	s_and_b32 s7, vcc_lo, exec_lo
	s_delay_alu instid0(SALU_CYCLE_1)
	s_or_b32 s5, s5, s7
	s_or_b32 exec_lo, exec_lo, s6
	v_mov_b32_e32 v4, 0
	s_and_saveexec_b32 s6, s5
	s_cbranch_execnz .LBB110_1934
	s_branch .LBB110_1935
.LBB110_2044:
	s_mov_b32 s3, 0
	s_or_b32 s12, s12, exec_lo
	s_trap 2
	s_branch .LBB110_1979
.LBB110_2045:
	s_and_not1_saveexec_b32 s5, s5
	s_cbranch_execz .LBB110_1945
.LBB110_2046:
	v_add_f32_e32 v2, 0x42800000, v3
	s_and_not1_b32 s4, s4, exec_lo
	s_delay_alu instid0(VALU_DEP_1) | instskip(NEXT) | instid1(VALU_DEP_1)
	v_and_b32_e32 v2, 0xff, v2
	v_cmp_ne_u32_e32 vcc_lo, 0, v2
	s_and_b32 s6, vcc_lo, exec_lo
	s_delay_alu instid0(SALU_CYCLE_1)
	s_or_b32 s4, s4, s6
	s_or_b32 exec_lo, exec_lo, s5
	v_mov_b32_e32 v4, 0
	s_and_saveexec_b32 s5, s4
	s_cbranch_execnz .LBB110_1946
	s_branch .LBB110_1947
	.section	.rodata,"a",@progbits
	.p2align	6, 0x0
	.amdhsa_kernel _ZN2at6native32elementwise_kernel_manual_unrollILi128ELi4EZNS0_15gpu_kernel_implINS0_13AUnaryFunctorIffbNS0_12_GLOBAL__N_116CompareEqFunctorIfEEEEEEvRNS_18TensorIteratorBaseERKT_EUlibE_EEviT1_
		.amdhsa_group_segment_fixed_size 0
		.amdhsa_private_segment_fixed_size 0
		.amdhsa_kernarg_size 48
		.amdhsa_user_sgpr_count 2
		.amdhsa_user_sgpr_dispatch_ptr 0
		.amdhsa_user_sgpr_queue_ptr 0
		.amdhsa_user_sgpr_kernarg_segment_ptr 1
		.amdhsa_user_sgpr_dispatch_id 0
		.amdhsa_user_sgpr_kernarg_preload_length 0
		.amdhsa_user_sgpr_kernarg_preload_offset 0
		.amdhsa_user_sgpr_private_segment_size 0
		.amdhsa_wavefront_size32 1
		.amdhsa_uses_dynamic_stack 0
		.amdhsa_enable_private_segment 0
		.amdhsa_system_sgpr_workgroup_id_x 1
		.amdhsa_system_sgpr_workgroup_id_y 0
		.amdhsa_system_sgpr_workgroup_id_z 0
		.amdhsa_system_sgpr_workgroup_info 0
		.amdhsa_system_vgpr_workitem_id 0
		.amdhsa_next_free_vgpr 14
		.amdhsa_next_free_sgpr 30
		.amdhsa_named_barrier_count 0
		.amdhsa_reserve_vcc 1
		.amdhsa_float_round_mode_32 0
		.amdhsa_float_round_mode_16_64 0
		.amdhsa_float_denorm_mode_32 3
		.amdhsa_float_denorm_mode_16_64 3
		.amdhsa_fp16_overflow 0
		.amdhsa_memory_ordered 1
		.amdhsa_forward_progress 1
		.amdhsa_inst_pref_size 255
		.amdhsa_round_robin_scheduling 0
		.amdhsa_exception_fp_ieee_invalid_op 0
		.amdhsa_exception_fp_denorm_src 0
		.amdhsa_exception_fp_ieee_div_zero 0
		.amdhsa_exception_fp_ieee_overflow 0
		.amdhsa_exception_fp_ieee_underflow 0
		.amdhsa_exception_fp_ieee_inexact 0
		.amdhsa_exception_int_div_zero 0
	.end_amdhsa_kernel
	.section	.text._ZN2at6native32elementwise_kernel_manual_unrollILi128ELi4EZNS0_15gpu_kernel_implINS0_13AUnaryFunctorIffbNS0_12_GLOBAL__N_116CompareEqFunctorIfEEEEEEvRNS_18TensorIteratorBaseERKT_EUlibE_EEviT1_,"axG",@progbits,_ZN2at6native32elementwise_kernel_manual_unrollILi128ELi4EZNS0_15gpu_kernel_implINS0_13AUnaryFunctorIffbNS0_12_GLOBAL__N_116CompareEqFunctorIfEEEEEEvRNS_18TensorIteratorBaseERKT_EUlibE_EEviT1_,comdat
.Lfunc_end110:
	.size	_ZN2at6native32elementwise_kernel_manual_unrollILi128ELi4EZNS0_15gpu_kernel_implINS0_13AUnaryFunctorIffbNS0_12_GLOBAL__N_116CompareEqFunctorIfEEEEEEvRNS_18TensorIteratorBaseERKT_EUlibE_EEviT1_, .Lfunc_end110-_ZN2at6native32elementwise_kernel_manual_unrollILi128ELi4EZNS0_15gpu_kernel_implINS0_13AUnaryFunctorIffbNS0_12_GLOBAL__N_116CompareEqFunctorIfEEEEEEvRNS_18TensorIteratorBaseERKT_EUlibE_EEviT1_
                                        ; -- End function
	.set _ZN2at6native32elementwise_kernel_manual_unrollILi128ELi4EZNS0_15gpu_kernel_implINS0_13AUnaryFunctorIffbNS0_12_GLOBAL__N_116CompareEqFunctorIfEEEEEEvRNS_18TensorIteratorBaseERKT_EUlibE_EEviT1_.num_vgpr, 14
	.set _ZN2at6native32elementwise_kernel_manual_unrollILi128ELi4EZNS0_15gpu_kernel_implINS0_13AUnaryFunctorIffbNS0_12_GLOBAL__N_116CompareEqFunctorIfEEEEEEvRNS_18TensorIteratorBaseERKT_EUlibE_EEviT1_.num_agpr, 0
	.set _ZN2at6native32elementwise_kernel_manual_unrollILi128ELi4EZNS0_15gpu_kernel_implINS0_13AUnaryFunctorIffbNS0_12_GLOBAL__N_116CompareEqFunctorIfEEEEEEvRNS_18TensorIteratorBaseERKT_EUlibE_EEviT1_.numbered_sgpr, 30
	.set _ZN2at6native32elementwise_kernel_manual_unrollILi128ELi4EZNS0_15gpu_kernel_implINS0_13AUnaryFunctorIffbNS0_12_GLOBAL__N_116CompareEqFunctorIfEEEEEEvRNS_18TensorIteratorBaseERKT_EUlibE_EEviT1_.num_named_barrier, 0
	.set _ZN2at6native32elementwise_kernel_manual_unrollILi128ELi4EZNS0_15gpu_kernel_implINS0_13AUnaryFunctorIffbNS0_12_GLOBAL__N_116CompareEqFunctorIfEEEEEEvRNS_18TensorIteratorBaseERKT_EUlibE_EEviT1_.private_seg_size, 0
	.set _ZN2at6native32elementwise_kernel_manual_unrollILi128ELi4EZNS0_15gpu_kernel_implINS0_13AUnaryFunctorIffbNS0_12_GLOBAL__N_116CompareEqFunctorIfEEEEEEvRNS_18TensorIteratorBaseERKT_EUlibE_EEviT1_.uses_vcc, 1
	.set _ZN2at6native32elementwise_kernel_manual_unrollILi128ELi4EZNS0_15gpu_kernel_implINS0_13AUnaryFunctorIffbNS0_12_GLOBAL__N_116CompareEqFunctorIfEEEEEEvRNS_18TensorIteratorBaseERKT_EUlibE_EEviT1_.uses_flat_scratch, 0
	.set _ZN2at6native32elementwise_kernel_manual_unrollILi128ELi4EZNS0_15gpu_kernel_implINS0_13AUnaryFunctorIffbNS0_12_GLOBAL__N_116CompareEqFunctorIfEEEEEEvRNS_18TensorIteratorBaseERKT_EUlibE_EEviT1_.has_dyn_sized_stack, 0
	.set _ZN2at6native32elementwise_kernel_manual_unrollILi128ELi4EZNS0_15gpu_kernel_implINS0_13AUnaryFunctorIffbNS0_12_GLOBAL__N_116CompareEqFunctorIfEEEEEEvRNS_18TensorIteratorBaseERKT_EUlibE_EEviT1_.has_recursion, 0
	.set _ZN2at6native32elementwise_kernel_manual_unrollILi128ELi4EZNS0_15gpu_kernel_implINS0_13AUnaryFunctorIffbNS0_12_GLOBAL__N_116CompareEqFunctorIfEEEEEEvRNS_18TensorIteratorBaseERKT_EUlibE_EEviT1_.has_indirect_call, 0
	.section	.AMDGPU.csdata,"",@progbits
; Kernel info:
; codeLenInByte = 36064
; TotalNumSgprs: 32
; NumVgprs: 14
; ScratchSize: 0
; MemoryBound: 1
; FloatMode: 240
; IeeeMode: 1
; LDSByteSize: 0 bytes/workgroup (compile time only)
; SGPRBlocks: 0
; VGPRBlocks: 0
; NumSGPRsForWavesPerEU: 32
; NumVGPRsForWavesPerEU: 14
; NamedBarCnt: 0
; Occupancy: 16
; WaveLimiterHint : 0
; COMPUTE_PGM_RSRC2:SCRATCH_EN: 0
; COMPUTE_PGM_RSRC2:USER_SGPR: 2
; COMPUTE_PGM_RSRC2:TRAP_HANDLER: 0
; COMPUTE_PGM_RSRC2:TGID_X_EN: 1
; COMPUTE_PGM_RSRC2:TGID_Y_EN: 0
; COMPUTE_PGM_RSRC2:TGID_Z_EN: 0
; COMPUTE_PGM_RSRC2:TIDIG_COMP_CNT: 0
	.section	.text._ZN2at6native32elementwise_kernel_manual_unrollILi128ELi4EZNS0_15gpu_kernel_implINS0_13AUnaryFunctorIffbNS0_12_GLOBAL__N_116CompareEqFunctorIfEEEEEEvRNS_18TensorIteratorBaseERKT_EUlibE0_EEviT1_,"axG",@progbits,_ZN2at6native32elementwise_kernel_manual_unrollILi128ELi4EZNS0_15gpu_kernel_implINS0_13AUnaryFunctorIffbNS0_12_GLOBAL__N_116CompareEqFunctorIfEEEEEEvRNS_18TensorIteratorBaseERKT_EUlibE0_EEviT1_,comdat
	.globl	_ZN2at6native32elementwise_kernel_manual_unrollILi128ELi4EZNS0_15gpu_kernel_implINS0_13AUnaryFunctorIffbNS0_12_GLOBAL__N_116CompareEqFunctorIfEEEEEEvRNS_18TensorIteratorBaseERKT_EUlibE0_EEviT1_ ; -- Begin function _ZN2at6native32elementwise_kernel_manual_unrollILi128ELi4EZNS0_15gpu_kernel_implINS0_13AUnaryFunctorIffbNS0_12_GLOBAL__N_116CompareEqFunctorIfEEEEEEvRNS_18TensorIteratorBaseERKT_EUlibE0_EEviT1_
	.p2align	8
	.type	_ZN2at6native32elementwise_kernel_manual_unrollILi128ELi4EZNS0_15gpu_kernel_implINS0_13AUnaryFunctorIffbNS0_12_GLOBAL__N_116CompareEqFunctorIfEEEEEEvRNS_18TensorIteratorBaseERKT_EUlibE0_EEviT1_,@function
_ZN2at6native32elementwise_kernel_manual_unrollILi128ELi4EZNS0_15gpu_kernel_implINS0_13AUnaryFunctorIffbNS0_12_GLOBAL__N_116CompareEqFunctorIfEEEEEEvRNS_18TensorIteratorBaseERKT_EUlibE0_EEviT1_: ; @_ZN2at6native32elementwise_kernel_manual_unrollILi128ELi4EZNS0_15gpu_kernel_implINS0_13AUnaryFunctorIffbNS0_12_GLOBAL__N_116CompareEqFunctorIfEEEEEEvRNS_18TensorIteratorBaseERKT_EUlibE0_EEviT1_
; %bb.0:
	s_clause 0x1
	s_load_b32 s19, s[0:1], 0x8
	s_load_b32 s40, s[0:1], 0x0
	s_bfe_u32 s2, ttmp6, 0x4000c
	s_and_b32 s3, ttmp6, 15
	s_add_co_i32 s2, s2, 1
	s_getreg_b32 s4, hwreg(HW_REG_IB_STS2, 6, 4)
	s_mul_i32 s2, ttmp9, s2
	s_mov_b32 s36, 0
	s_add_co_i32 s3, s3, s2
	s_cmp_eq_u32 s4, 0
	s_mov_b32 s29, -1
	s_cselect_b32 s2, ttmp9, s3
	s_add_nc_u64 s[20:21], s[0:1], 8
	v_lshl_or_b32 v0, s2, 9, v0
	s_mov_b32 s11, 0
	s_wait_xcnt 0x0
	s_mov_b32 s0, exec_lo
	s_delay_alu instid0(VALU_DEP_1) | instskip(SKIP_2) | instid1(SALU_CYCLE_1)
	v_or_b32_e32 v9, 0x180, v0
	s_wait_kmcnt 0x0
	s_add_co_i32 s33, s19, -1
	s_cmp_gt_u32 s33, 1
	s_cselect_b32 s37, -1, 0
	v_cmpx_le_i32_e64 s40, v9
	s_xor_b32 s38, exec_lo, s0
	s_cbranch_execz .LBB111_1096
; %bb.1:
	s_clause 0x4
	s_load_b128 s[8:11], s[20:21], 0x4
	s_load_b96 s[16:18], s[20:21], 0x158
	s_load_b64 s[2:3], s[20:21], 0x14
	s_load_b128 s[12:15], s[20:21], 0xc4
	s_load_b128 s[4:7], s[20:21], 0x148
	s_cmp_lg_u32 s19, 0
	s_mov_b32 s23, 0
	s_cselect_b32 s42, -1, 0
	s_min_u32 s41, s33, 15
	s_cmp_gt_u32 s19, 1
	s_add_nc_u64 s[26:27], s[20:21], 0xc4
	s_cselect_b32 s39, -1, 0
	s_mov_b32 s25, s23
	s_mov_b32 s43, s23
	s_mov_b32 s44, exec_lo
	s_wait_kmcnt 0x0
	s_mov_b32 s22, s9
	s_bfe_u32 s9, s18, 0x80008
	s_cmp_eq_u32 s16, 0
	s_mov_b32 s24, s2
	s_cselect_b32 s0, -1, 0
	s_mov_b32 s16, s23
	v_cmpx_gt_i32_e64 s40, v0
	s_cbranch_execz .LBB111_267
; %bb.2:
	s_and_not1_b32 vcc_lo, exec_lo, s37
	s_cbranch_vccnz .LBB111_8
; %bb.3:
	s_and_not1_b32 vcc_lo, exec_lo, s42
	s_cbranch_vccnz .LBB111_9
; %bb.4:
	s_add_co_i32 s1, s41, 1
	s_cmp_eq_u32 s33, 2
	s_cbranch_scc1 .LBB111_10
; %bb.5:
	v_dual_mov_b32 v2, 0 :: v_dual_mov_b32 v4, 0
	v_mov_b32_e32 v1, v0
	s_and_b32 s28, s1, 28
	s_mov_b32 s2, 0
	s_mov_b64 s[30:31], s[20:21]
	s_mov_b64 s[34:35], s[26:27]
.LBB111_6:                              ; =>This Inner Loop Header: Depth=1
	s_clause 0x1
	s_load_b256 s[48:55], s[30:31], 0x4
	s_load_b128 s[64:67], s[30:31], 0x24
	s_load_b256 s[56:63], s[34:35], 0x0
	s_add_co_i32 s2, s2, 4
	s_wait_xcnt 0x0
	s_add_nc_u64 s[30:31], s[30:31], 48
	s_cmp_lg_u32 s28, s2
	s_add_nc_u64 s[34:35], s[34:35], 32
	s_wait_kmcnt 0x0
	v_mul_hi_u32 v3, s49, v1
	s_delay_alu instid0(VALU_DEP_1) | instskip(NEXT) | instid1(VALU_DEP_1)
	v_add_nc_u32_e32 v3, v1, v3
	v_lshrrev_b32_e32 v3, s50, v3
	s_delay_alu instid0(VALU_DEP_1) | instskip(NEXT) | instid1(VALU_DEP_1)
	v_mul_hi_u32 v5, s52, v3
	v_add_nc_u32_e32 v5, v3, v5
	s_delay_alu instid0(VALU_DEP_1) | instskip(NEXT) | instid1(VALU_DEP_1)
	v_lshrrev_b32_e32 v5, s53, v5
	v_mul_hi_u32 v6, s55, v5
	s_delay_alu instid0(VALU_DEP_1) | instskip(SKIP_1) | instid1(VALU_DEP_1)
	v_add_nc_u32_e32 v6, v5, v6
	v_mul_lo_u32 v7, v3, s48
	v_sub_nc_u32_e32 v1, v1, v7
	v_mul_lo_u32 v7, v5, s51
	s_delay_alu instid0(VALU_DEP_4) | instskip(NEXT) | instid1(VALU_DEP_3)
	v_lshrrev_b32_e32 v6, s64, v6
	v_mad_u32 v4, v1, s57, v4
	v_mad_u32 v1, v1, s56, v2
	s_delay_alu instid0(VALU_DEP_4) | instskip(NEXT) | instid1(VALU_DEP_4)
	v_sub_nc_u32_e32 v2, v3, v7
	v_mul_hi_u32 v8, s66, v6
	v_mul_lo_u32 v3, v6, s54
	s_delay_alu instid0(VALU_DEP_3) | instskip(SKIP_1) | instid1(VALU_DEP_3)
	v_mad_u32 v4, v2, s59, v4
	v_mad_u32 v2, v2, s58, v1
	v_dual_add_nc_u32 v7, v6, v8 :: v_dual_sub_nc_u32 v3, v5, v3
	s_delay_alu instid0(VALU_DEP_1) | instskip(NEXT) | instid1(VALU_DEP_2)
	v_lshrrev_b32_e32 v1, s67, v7
	v_mad_u32 v4, v3, s61, v4
	s_delay_alu instid0(VALU_DEP_4) | instskip(NEXT) | instid1(VALU_DEP_3)
	v_mad_u32 v2, v3, s60, v2
	v_mul_lo_u32 v5, v1, s65
	s_delay_alu instid0(VALU_DEP_1) | instskip(NEXT) | instid1(VALU_DEP_1)
	v_sub_nc_u32_e32 v3, v6, v5
	v_mad_u32 v4, v3, s63, v4
	s_delay_alu instid0(VALU_DEP_4)
	v_mad_u32 v2, v3, s62, v2
	s_cbranch_scc1 .LBB111_6
; %bb.7:
	s_delay_alu instid0(VALU_DEP_2)
	v_mov_b32_e32 v3, v4
	s_and_b32 s1, s1, 3
	s_mov_b32 s29, 0
	s_cmp_eq_u32 s1, 0
	s_cbranch_scc0 .LBB111_11
	s_branch .LBB111_14
.LBB111_8:
                                        ; implicit-def: $vgpr4
                                        ; implicit-def: $vgpr2
	s_branch .LBB111_15
.LBB111_9:
	v_dual_mov_b32 v4, 0 :: v_dual_mov_b32 v2, 0
	s_branch .LBB111_14
.LBB111_10:
	v_mov_b64_e32 v[2:3], 0
	v_mov_b32_e32 v1, v0
	s_mov_b32 s28, 0
                                        ; implicit-def: $vgpr4
	s_and_b32 s1, s1, 3
	s_mov_b32 s29, 0
	s_cmp_eq_u32 s1, 0
	s_cbranch_scc1 .LBB111_14
.LBB111_11:
	s_lshl_b32 s30, s28, 3
	s_mov_b32 s31, s29
	s_mul_u64 s[34:35], s[28:29], 12
	s_add_nc_u64 s[30:31], s[20:21], s[30:31]
	s_delay_alu instid0(SALU_CYCLE_1)
	s_add_nc_u64 s[28:29], s[30:31], 0xc4
	s_add_nc_u64 s[30:31], s[20:21], s[34:35]
.LBB111_12:                             ; =>This Inner Loop Header: Depth=1
	s_load_b96 s[48:50], s[30:31], 0x4
	s_load_b64 s[34:35], s[28:29], 0x0
	s_add_co_i32 s1, s1, -1
	s_wait_xcnt 0x0
	s_add_nc_u64 s[30:31], s[30:31], 12
	s_cmp_lg_u32 s1, 0
	s_add_nc_u64 s[28:29], s[28:29], 8
	s_wait_kmcnt 0x0
	v_mul_hi_u32 v4, s49, v1
	s_delay_alu instid0(VALU_DEP_1) | instskip(NEXT) | instid1(VALU_DEP_1)
	v_add_nc_u32_e32 v4, v1, v4
	v_lshrrev_b32_e32 v4, s50, v4
	s_delay_alu instid0(VALU_DEP_1) | instskip(NEXT) | instid1(VALU_DEP_1)
	v_mul_lo_u32 v5, v4, s48
	v_sub_nc_u32_e32 v1, v1, v5
	s_delay_alu instid0(VALU_DEP_1)
	v_mad_u32 v3, v1, s35, v3
	v_mad_u32 v2, v1, s34, v2
	v_mov_b32_e32 v1, v4
	s_cbranch_scc1 .LBB111_12
; %bb.13:
	s_delay_alu instid0(VALU_DEP_3)
	v_mov_b32_e32 v4, v3
.LBB111_14:
	s_cbranch_execnz .LBB111_17
.LBB111_15:
	v_mov_b32_e32 v1, 0
	s_and_not1_b32 vcc_lo, exec_lo, s39
	s_delay_alu instid0(VALU_DEP_1) | instskip(NEXT) | instid1(VALU_DEP_1)
	v_mul_u64_e32 v[2:3], s[22:23], v[0:1]
	v_add_nc_u32_e32 v2, v0, v3
	s_delay_alu instid0(VALU_DEP_1) | instskip(NEXT) | instid1(VALU_DEP_1)
	v_lshrrev_b32_e32 v6, s10, v2
	v_mul_lo_u32 v2, v6, s8
	s_delay_alu instid0(VALU_DEP_1) | instskip(NEXT) | instid1(VALU_DEP_1)
	v_sub_nc_u32_e32 v2, v0, v2
	v_mul_lo_u32 v4, v2, s13
	v_mul_lo_u32 v2, v2, s12
	s_cbranch_vccnz .LBB111_17
; %bb.16:
	v_mov_b32_e32 v7, v1
	s_delay_alu instid0(VALU_DEP_1) | instskip(NEXT) | instid1(VALU_DEP_1)
	v_mul_u64_e32 v[8:9], s[24:25], v[6:7]
	v_add_nc_u32_e32 v1, v6, v9
	s_delay_alu instid0(VALU_DEP_1) | instskip(NEXT) | instid1(VALU_DEP_1)
	v_lshrrev_b32_e32 v1, s3, v1
	v_mul_lo_u32 v1, v1, s11
	s_delay_alu instid0(VALU_DEP_1) | instskip(NEXT) | instid1(VALU_DEP_1)
	v_sub_nc_u32_e32 v1, v6, v1
	v_mad_u32 v2, v1, s14, v2
	v_mad_u32 v4, v1, s15, v4
.LBB111_17:
	v_mov_b32_e32 v5, 0
	s_and_b32 s1, 0xffff, s9
	s_delay_alu instid0(SALU_CYCLE_1) | instskip(NEXT) | instid1(VALU_DEP_1)
	s_cmp_lt_i32 s1, 11
	v_add_nc_u64_e32 v[4:5], s[6:7], v[4:5]
	s_cbranch_scc1 .LBB111_24
; %bb.18:
	s_cmp_gt_i32 s1, 25
	s_cbranch_scc0 .LBB111_33
; %bb.19:
	s_cmp_gt_i32 s1, 28
	s_cbranch_scc0 .LBB111_36
	;; [unrolled: 3-line block ×4, first 2 shown]
; %bb.22:
	s_cmp_eq_u32 s1, 46
	s_mov_b32 s16, 0
	s_cbranch_scc0 .LBB111_42
; %bb.23:
	global_load_b32 v1, v[4:5], off
	s_mov_b32 s2, -1
	s_mov_b32 s28, 0
	s_wait_loadcnt 0x0
	v_lshlrev_b32_e32 v1, 16, v1
	s_branch .LBB111_44
.LBB111_24:
	s_mov_b32 s28, 0
	s_mov_b32 s2, 0
                                        ; implicit-def: $vgpr1
	s_cbranch_execnz .LBB111_217
.LBB111_25:
	s_and_not1_b32 vcc_lo, exec_lo, s2
	s_cbranch_vccnz .LBB111_264
.LBB111_26:
	s_wait_loadcnt 0x0
	s_delay_alu instid0(VALU_DEP_1) | instskip(SKIP_1) | instid1(SALU_CYCLE_1)
	v_cmp_eq_f32_e32 vcc_lo, s17, v1
	s_and_b32 s16, s18, 0xff
	s_cmp_lt_i32 s16, 11
	v_cndmask_b32_e64 v3, 0, 1, vcc_lo
	v_cmp_neq_f32_e32 vcc_lo, s17, v1
	v_cndmask_b32_e64 v1, 0, 1, vcc_lo
	s_delay_alu instid0(VALU_DEP_1) | instskip(NEXT) | instid1(VALU_DEP_1)
	v_dual_cndmask_b32 v1, v1, v3, s0 :: v_dual_mov_b32 v3, 0
	v_and_b32_e32 v1, 1, v1
	s_delay_alu instid0(VALU_DEP_2) | instskip(NEXT) | instid1(VALU_DEP_2)
	v_add_nc_u64_e32 v[2:3], s[4:5], v[2:3]
	v_cmp_eq_u32_e64 s1, 1, v1
	s_cbranch_scc1 .LBB111_34
; %bb.27:
	s_and_b32 s29, 0xffff, s16
	s_delay_alu instid0(SALU_CYCLE_1)
	s_cmp_gt_i32 s29, 25
	s_cbranch_scc0 .LBB111_37
; %bb.28:
	s_cmp_gt_i32 s29, 28
	s_cbranch_scc0 .LBB111_39
; %bb.29:
	;; [unrolled: 3-line block ×4, first 2 shown]
	s_mov_b32 s31, 0
	s_mov_b32 s2, -1
	s_cmp_eq_u32 s29, 46
	s_mov_b32 s30, 0
	s_cbranch_scc0 .LBB111_48
; %bb.32:
	v_cndmask_b32_e64 v1, 0, 1.0, s1
	s_mov_b32 s30, -1
	s_mov_b32 s2, 0
	s_delay_alu instid0(VALU_DEP_1) | instskip(NEXT) | instid1(VALU_DEP_1)
	v_bfe_u32 v4, v1, 16, 1
	v_add3_u32 v1, v1, v4, 0x7fff
	s_delay_alu instid0(VALU_DEP_1)
	v_lshrrev_b32_e32 v1, 16, v1
	global_store_b32 v[2:3], v1, off
	s_branch .LBB111_48
.LBB111_33:
	s_mov_b32 s28, 0
	s_mov_b32 s2, 0
                                        ; implicit-def: $vgpr1
	s_cbranch_execnz .LBB111_182
	s_branch .LBB111_216
.LBB111_34:
	s_mov_b32 s2, 0
	s_mov_b32 s30, 0
	s_cbranch_execnz .LBB111_117
.LBB111_35:
	s_and_not1_b32 vcc_lo, exec_lo, s30
	s_cbranch_vccz .LBB111_155
	s_branch .LBB111_265
.LBB111_36:
	s_mov_b32 s16, -1
	s_mov_b32 s28, 0
	s_mov_b32 s2, 0
                                        ; implicit-def: $vgpr1
	s_branch .LBB111_163
.LBB111_37:
	s_mov_b32 s31, -1
	s_mov_b32 s2, 0
	s_mov_b32 s30, 0
	s_branch .LBB111_75
.LBB111_38:
	s_mov_b32 s16, -1
	s_mov_b32 s28, 0
	s_mov_b32 s2, 0
                                        ; implicit-def: $vgpr1
	s_branch .LBB111_158
.LBB111_39:
	s_mov_b32 s31, -1
	s_mov_b32 s2, 0
	s_mov_b32 s30, 0
	s_branch .LBB111_58
.LBB111_40:
	s_mov_b32 s16, -1
	s_mov_b32 s28, 0
	s_branch .LBB111_43
.LBB111_41:
	s_mov_b32 s31, -1
	s_mov_b32 s2, 0
	s_mov_b32 s30, 0
	s_branch .LBB111_54
.LBB111_42:
	s_mov_b32 s28, -1
.LBB111_43:
	s_mov_b32 s2, 0
                                        ; implicit-def: $vgpr1
.LBB111_44:
	s_and_b32 vcc_lo, exec_lo, s16
	s_cbranch_vccz .LBB111_157
; %bb.45:
	s_cmp_eq_u32 s1, 44
	s_cbranch_scc0 .LBB111_156
; %bb.46:
	global_load_u8 v1, v[4:5], off
	s_mov_b32 s28, 0
	s_mov_b32 s2, -1
	s_wait_loadcnt 0x0
	v_lshlrev_b32_e32 v3, 23, v1
	v_cmp_ne_u32_e32 vcc_lo, 0xff, v1
	s_delay_alu instid0(VALU_DEP_2) | instskip(SKIP_1) | instid1(VALU_DEP_2)
	v_cndmask_b32_e32 v3, 0x7f800001, v3, vcc_lo
	v_cmp_ne_u32_e32 vcc_lo, 0, v1
	v_cndmask_b32_e32 v1, 0x400000, v3, vcc_lo
	s_branch .LBB111_157
.LBB111_47:
	s_mov_b32 s31, -1
	s_mov_b32 s2, 0
	s_mov_b32 s30, 0
.LBB111_48:
	s_and_b32 vcc_lo, exec_lo, s31
	s_cbranch_vccz .LBB111_53
; %bb.49:
	s_cmp_eq_u32 s29, 44
	s_mov_b32 s2, -1
	s_cbranch_scc0 .LBB111_53
; %bb.50:
	v_cndmask_b32_e64 v5, 0, 1.0, s1
	s_mov_b32 s30, exec_lo
	s_wait_xcnt 0x0
	s_delay_alu instid0(VALU_DEP_1) | instskip(NEXT) | instid1(VALU_DEP_1)
	v_dual_mov_b32 v4, 0xff :: v_dual_lshrrev_b32 v1, 23, v5
	v_cmpx_ne_u32_e32 0xff, v1
; %bb.51:
	v_and_b32_e32 v4, 0x400000, v5
	v_and_or_b32 v5, 0x3fffff, v5, v1
	s_delay_alu instid0(VALU_DEP_2) | instskip(NEXT) | instid1(VALU_DEP_2)
	v_cmp_ne_u32_e32 vcc_lo, 0, v4
	v_cmp_ne_u32_e64 s2, 0, v5
	s_and_b32 s2, vcc_lo, s2
	s_delay_alu instid0(SALU_CYCLE_1) | instskip(NEXT) | instid1(VALU_DEP_1)
	v_cndmask_b32_e64 v4, 0, 1, s2
	v_add_nc_u32_e32 v4, v1, v4
; %bb.52:
	s_or_b32 exec_lo, exec_lo, s30
	s_mov_b32 s30, -1
	s_mov_b32 s2, 0
	global_store_b8 v[2:3], v4, off
.LBB111_53:
	s_mov_b32 s31, 0
.LBB111_54:
	s_delay_alu instid0(SALU_CYCLE_1)
	s_and_b32 vcc_lo, exec_lo, s31
	s_cbranch_vccz .LBB111_57
; %bb.55:
	s_cmp_eq_u32 s29, 29
	s_mov_b32 s2, -1
	s_cbranch_scc0 .LBB111_57
; %bb.56:
	s_mov_b32 s2, 0
	s_wait_xcnt 0x0
	v_cndmask_b32_e64 v4, 0, 1, s1
	v_mov_b32_e32 v5, s2
	s_mov_b32 s30, -1
	s_mov_b32 s31, 0
	global_store_b64 v[2:3], v[4:5], off
	s_branch .LBB111_58
.LBB111_57:
	s_mov_b32 s31, 0
.LBB111_58:
	s_delay_alu instid0(SALU_CYCLE_1)
	s_and_b32 vcc_lo, exec_lo, s31
	s_cbranch_vccz .LBB111_74
; %bb.59:
	s_cmp_lt_i32 s29, 27
	s_mov_b32 s30, -1
	s_cbranch_scc1 .LBB111_65
; %bb.60:
	s_cmp_gt_i32 s29, 27
	s_cbranch_scc0 .LBB111_62
; %bb.61:
	s_wait_xcnt 0x0
	v_cndmask_b32_e64 v1, 0, 1, s1
	s_mov_b32 s30, 0
	global_store_b32 v[2:3], v1, off
.LBB111_62:
	s_and_not1_b32 vcc_lo, exec_lo, s30
	s_cbranch_vccnz .LBB111_64
; %bb.63:
	s_wait_xcnt 0x0
	v_cndmask_b32_e64 v1, 0, 1, s1
	global_store_b16 v[2:3], v1, off
.LBB111_64:
	s_mov_b32 s30, 0
.LBB111_65:
	s_delay_alu instid0(SALU_CYCLE_1)
	s_and_not1_b32 vcc_lo, exec_lo, s30
	s_cbranch_vccnz .LBB111_73
; %bb.66:
	s_wait_xcnt 0x0
	v_cndmask_b32_e64 v4, 0, 1.0, s1
	v_mov_b32_e32 v5, 0x80
	s_mov_b32 s30, exec_lo
	s_delay_alu instid0(VALU_DEP_2)
	v_cmpx_gt_u32_e32 0x43800000, v4
	s_cbranch_execz .LBB111_72
; %bb.67:
	s_mov_b32 s31, 0
	s_mov_b32 s34, exec_lo
                                        ; implicit-def: $vgpr1
	v_cmpx_lt_u32_e32 0x3bffffff, v4
	s_xor_b32 s34, exec_lo, s34
	s_cbranch_execz .LBB111_310
; %bb.68:
	v_bfe_u32 v1, v4, 20, 1
	s_mov_b32 s31, exec_lo
	s_delay_alu instid0(VALU_DEP_1) | instskip(NEXT) | instid1(VALU_DEP_1)
	v_add3_u32 v1, v4, v1, 0x487ffff
                                        ; implicit-def: $vgpr4
	v_lshrrev_b32_e32 v1, 20, v1
	s_and_not1_saveexec_b32 s34, s34
	s_cbranch_execnz .LBB111_311
.LBB111_69:
	s_or_b32 exec_lo, exec_lo, s34
	v_mov_b32_e32 v5, 0
	s_and_saveexec_b32 s34, s31
.LBB111_70:
	v_mov_b32_e32 v5, v1
.LBB111_71:
	s_or_b32 exec_lo, exec_lo, s34
.LBB111_72:
	s_delay_alu instid0(SALU_CYCLE_1)
	s_or_b32 exec_lo, exec_lo, s30
	global_store_b8 v[2:3], v5, off
.LBB111_73:
	s_mov_b32 s30, -1
.LBB111_74:
	s_mov_b32 s31, 0
.LBB111_75:
	s_delay_alu instid0(SALU_CYCLE_1)
	s_and_b32 vcc_lo, exec_lo, s31
	s_cbranch_vccz .LBB111_116
; %bb.76:
	s_cmp_gt_i32 s29, 22
	s_mov_b32 s31, -1
	s_cbranch_scc0 .LBB111_108
; %bb.77:
	s_cmp_lt_i32 s29, 24
	s_mov_b32 s30, -1
	s_cbranch_scc1 .LBB111_97
; %bb.78:
	s_cmp_gt_i32 s29, 24
	s_cbranch_scc0 .LBB111_86
; %bb.79:
	s_wait_xcnt 0x0
	v_cndmask_b32_e64 v4, 0, 1.0, s1
	v_mov_b32_e32 v5, 0x80
	s_mov_b32 s30, exec_lo
	s_delay_alu instid0(VALU_DEP_2)
	v_cmpx_gt_u32_e32 0x47800000, v4
	s_cbranch_execz .LBB111_85
; %bb.80:
	s_mov_b32 s31, 0
	s_mov_b32 s34, exec_lo
                                        ; implicit-def: $vgpr1
	v_cmpx_lt_u32_e32 0x37ffffff, v4
	s_xor_b32 s34, exec_lo, s34
	s_cbranch_execz .LBB111_314
; %bb.81:
	v_bfe_u32 v1, v4, 21, 1
	s_mov_b32 s31, exec_lo
	s_delay_alu instid0(VALU_DEP_1) | instskip(NEXT) | instid1(VALU_DEP_1)
	v_add3_u32 v1, v4, v1, 0x88fffff
                                        ; implicit-def: $vgpr4
	v_lshrrev_b32_e32 v1, 21, v1
	s_and_not1_saveexec_b32 s34, s34
	s_cbranch_execnz .LBB111_315
.LBB111_82:
	s_or_b32 exec_lo, exec_lo, s34
	v_mov_b32_e32 v5, 0
	s_and_saveexec_b32 s34, s31
.LBB111_83:
	v_mov_b32_e32 v5, v1
.LBB111_84:
	s_or_b32 exec_lo, exec_lo, s34
.LBB111_85:
	s_delay_alu instid0(SALU_CYCLE_1)
	s_or_b32 exec_lo, exec_lo, s30
	s_mov_b32 s30, 0
	global_store_b8 v[2:3], v5, off
.LBB111_86:
	s_and_b32 vcc_lo, exec_lo, s30
	s_cbranch_vccz .LBB111_96
; %bb.87:
	s_wait_xcnt 0x0
	v_cndmask_b32_e64 v4, 0, 1.0, s1
	s_mov_b32 s30, exec_lo
                                        ; implicit-def: $vgpr1
	s_delay_alu instid0(VALU_DEP_1)
	v_cmpx_gt_u32_e32 0x43f00000, v4
	s_xor_b32 s30, exec_lo, s30
	s_cbranch_execz .LBB111_93
; %bb.88:
	s_mov_b32 s31, exec_lo
                                        ; implicit-def: $vgpr1
	v_cmpx_lt_u32_e32 0x3c7fffff, v4
	s_xor_b32 s31, exec_lo, s31
; %bb.89:
	v_bfe_u32 v1, v4, 20, 1
	s_delay_alu instid0(VALU_DEP_1) | instskip(NEXT) | instid1(VALU_DEP_1)
	v_add3_u32 v1, v4, v1, 0x407ffff
	v_and_b32_e32 v4, 0xff00000, v1
	v_lshrrev_b32_e32 v1, 20, v1
	s_delay_alu instid0(VALU_DEP_2) | instskip(NEXT) | instid1(VALU_DEP_2)
	v_cmp_ne_u32_e32 vcc_lo, 0x7f00000, v4
                                        ; implicit-def: $vgpr4
	v_cndmask_b32_e32 v1, 0x7e, v1, vcc_lo
; %bb.90:
	s_and_not1_saveexec_b32 s31, s31
; %bb.91:
	v_add_f32_e32 v1, 0x46800000, v4
; %bb.92:
	s_or_b32 exec_lo, exec_lo, s31
                                        ; implicit-def: $vgpr4
.LBB111_93:
	s_and_not1_saveexec_b32 s30, s30
; %bb.94:
	v_mov_b32_e32 v1, 0x7f
	v_cmp_lt_u32_e32 vcc_lo, 0x7f800000, v4
	s_delay_alu instid0(VALU_DEP_2)
	v_cndmask_b32_e32 v1, 0x7e, v1, vcc_lo
; %bb.95:
	s_or_b32 exec_lo, exec_lo, s30
	global_store_b8 v[2:3], v1, off
.LBB111_96:
	s_mov_b32 s30, 0
.LBB111_97:
	s_delay_alu instid0(SALU_CYCLE_1)
	s_and_not1_b32 vcc_lo, exec_lo, s30
	s_cbranch_vccnz .LBB111_107
; %bb.98:
	s_wait_xcnt 0x0
	v_cndmask_b32_e64 v4, 0, 1.0, s1
	s_mov_b32 s30, exec_lo
                                        ; implicit-def: $vgpr1
	s_delay_alu instid0(VALU_DEP_1)
	v_cmpx_gt_u32_e32 0x47800000, v4
	s_xor_b32 s30, exec_lo, s30
	s_cbranch_execz .LBB111_104
; %bb.99:
	s_mov_b32 s31, exec_lo
                                        ; implicit-def: $vgpr1
	v_cmpx_lt_u32_e32 0x387fffff, v4
	s_xor_b32 s31, exec_lo, s31
; %bb.100:
	v_bfe_u32 v1, v4, 21, 1
	s_delay_alu instid0(VALU_DEP_1) | instskip(NEXT) | instid1(VALU_DEP_1)
	v_add3_u32 v1, v4, v1, 0x80fffff
                                        ; implicit-def: $vgpr4
	v_lshrrev_b32_e32 v1, 21, v1
; %bb.101:
	s_and_not1_saveexec_b32 s31, s31
; %bb.102:
	v_add_f32_e32 v1, 0x43000000, v4
; %bb.103:
	s_or_b32 exec_lo, exec_lo, s31
                                        ; implicit-def: $vgpr4
.LBB111_104:
	s_and_not1_saveexec_b32 s30, s30
; %bb.105:
	v_mov_b32_e32 v1, 0x7f
	v_cmp_lt_u32_e32 vcc_lo, 0x7f800000, v4
	s_delay_alu instid0(VALU_DEP_2)
	v_cndmask_b32_e32 v1, 0x7c, v1, vcc_lo
; %bb.106:
	s_or_b32 exec_lo, exec_lo, s30
	global_store_b8 v[2:3], v1, off
.LBB111_107:
	s_mov_b32 s31, 0
	s_mov_b32 s30, -1
.LBB111_108:
	s_and_not1_b32 vcc_lo, exec_lo, s31
	s_cbranch_vccnz .LBB111_116
; %bb.109:
	s_cmp_gt_i32 s29, 14
	s_mov_b32 s31, -1
	s_cbranch_scc0 .LBB111_113
; %bb.110:
	s_cmp_eq_u32 s29, 15
	s_mov_b32 s2, -1
	s_cbranch_scc0 .LBB111_112
; %bb.111:
	s_wait_xcnt 0x0
	v_cndmask_b32_e64 v1, 0, 1.0, s1
	s_mov_b32 s30, -1
	s_mov_b32 s2, 0
	s_delay_alu instid0(VALU_DEP_1) | instskip(NEXT) | instid1(VALU_DEP_1)
	v_bfe_u32 v4, v1, 16, 1
	v_add3_u32 v1, v1, v4, 0x7fff
	global_store_d16_hi_b16 v[2:3], v1, off
.LBB111_112:
	s_mov_b32 s31, 0
.LBB111_113:
	s_delay_alu instid0(SALU_CYCLE_1)
	s_and_b32 vcc_lo, exec_lo, s31
	s_cbranch_vccz .LBB111_116
; %bb.114:
	s_cmp_eq_u32 s29, 11
	s_mov_b32 s2, -1
	s_cbranch_scc0 .LBB111_116
; %bb.115:
	s_wait_xcnt 0x0
	v_cndmask_b32_e64 v1, 0, 1, s1
	s_mov_b32 s30, -1
	s_mov_b32 s2, 0
	global_store_b8 v[2:3], v1, off
.LBB111_116:
	s_branch .LBB111_35
.LBB111_117:
	s_and_b32 s16, 0xffff, s16
	s_mov_b32 s29, -1
	s_cmp_lt_i32 s16, 5
	s_cbranch_scc1 .LBB111_138
; %bb.118:
	s_cmp_lt_i32 s16, 8
	s_cbranch_scc1 .LBB111_128
; %bb.119:
	;; [unrolled: 3-line block ×3, first 2 shown]
	s_cmp_gt_i32 s16, 9
	s_cbranch_scc0 .LBB111_122
; %bb.121:
	s_wait_xcnt 0x0
	v_cndmask_b32_e64 v1, 0, 1, s1
	v_mov_b32_e32 v6, 0
	s_mov_b32 s29, 0
	s_delay_alu instid0(VALU_DEP_2) | instskip(NEXT) | instid1(VALU_DEP_2)
	v_cvt_f64_u32_e32 v[4:5], v1
	v_mov_b32_e32 v7, v6
	global_store_b128 v[2:3], v[4:7], off
.LBB111_122:
	s_and_not1_b32 vcc_lo, exec_lo, s29
	s_cbranch_vccnz .LBB111_124
; %bb.123:
	s_wait_xcnt 0x0
	v_cndmask_b32_e64 v4, 0, 1.0, s1
	v_mov_b32_e32 v5, 0
	global_store_b64 v[2:3], v[4:5], off
.LBB111_124:
	s_mov_b32 s29, 0
.LBB111_125:
	s_delay_alu instid0(SALU_CYCLE_1)
	s_and_not1_b32 vcc_lo, exec_lo, s29
	s_cbranch_vccnz .LBB111_127
; %bb.126:
	s_wait_xcnt 0x0
	v_cndmask_b32_e64 v1, 0, 1.0, s1
	s_delay_alu instid0(VALU_DEP_1) | instskip(NEXT) | instid1(VALU_DEP_1)
	v_cvt_f16_f32_e32 v1, v1
	v_and_b32_e32 v1, 0xffff, v1
	global_store_b32 v[2:3], v1, off
.LBB111_127:
	s_mov_b32 s29, 0
.LBB111_128:
	s_delay_alu instid0(SALU_CYCLE_1)
	s_and_not1_b32 vcc_lo, exec_lo, s29
	s_cbranch_vccnz .LBB111_137
; %bb.129:
	s_cmp_lt_i32 s16, 6
	s_mov_b32 s29, -1
	s_cbranch_scc1 .LBB111_135
; %bb.130:
	s_cmp_gt_i32 s16, 6
	s_cbranch_scc0 .LBB111_132
; %bb.131:
	s_wait_xcnt 0x0
	v_cndmask_b32_e64 v1, 0, 1, s1
	s_mov_b32 s29, 0
	s_delay_alu instid0(VALU_DEP_1)
	v_cvt_f64_u32_e32 v[4:5], v1
	global_store_b64 v[2:3], v[4:5], off
.LBB111_132:
	s_and_not1_b32 vcc_lo, exec_lo, s29
	s_cbranch_vccnz .LBB111_134
; %bb.133:
	s_wait_xcnt 0x0
	v_cndmask_b32_e64 v1, 0, 1.0, s1
	global_store_b32 v[2:3], v1, off
.LBB111_134:
	s_mov_b32 s29, 0
.LBB111_135:
	s_delay_alu instid0(SALU_CYCLE_1)
	s_and_not1_b32 vcc_lo, exec_lo, s29
	s_cbranch_vccnz .LBB111_137
; %bb.136:
	s_wait_xcnt 0x0
	v_cndmask_b32_e64 v1, 0, 1.0, s1
	s_delay_alu instid0(VALU_DEP_1)
	v_cvt_f16_f32_e32 v1, v1
	global_store_b16 v[2:3], v1, off
.LBB111_137:
	s_mov_b32 s29, 0
.LBB111_138:
	s_delay_alu instid0(SALU_CYCLE_1)
	s_and_not1_b32 vcc_lo, exec_lo, s29
	s_cbranch_vccnz .LBB111_154
; %bb.139:
	s_cmp_lt_i32 s16, 2
	s_mov_b32 s29, -1
	s_cbranch_scc1 .LBB111_149
; %bb.140:
	s_cmp_lt_i32 s16, 3
	s_cbranch_scc1 .LBB111_146
; %bb.141:
	s_cmp_gt_i32 s16, 3
	s_cbranch_scc0 .LBB111_143
; %bb.142:
	s_mov_b32 s29, 0
	s_wait_xcnt 0x0
	v_cndmask_b32_e64 v4, 0, 1, s1
	v_mov_b32_e32 v5, s29
	global_store_b64 v[2:3], v[4:5], off
.LBB111_143:
	s_and_not1_b32 vcc_lo, exec_lo, s29
	s_cbranch_vccnz .LBB111_145
; %bb.144:
	s_wait_xcnt 0x0
	v_cndmask_b32_e64 v1, 0, 1, s1
	global_store_b32 v[2:3], v1, off
.LBB111_145:
	s_mov_b32 s29, 0
.LBB111_146:
	s_delay_alu instid0(SALU_CYCLE_1)
	s_and_not1_b32 vcc_lo, exec_lo, s29
	s_cbranch_vccnz .LBB111_148
; %bb.147:
	s_wait_xcnt 0x0
	v_cndmask_b32_e64 v1, 0, 1, s1
	global_store_b16 v[2:3], v1, off
.LBB111_148:
	s_mov_b32 s29, 0
.LBB111_149:
	s_delay_alu instid0(SALU_CYCLE_1)
	s_and_not1_b32 vcc_lo, exec_lo, s29
	s_cbranch_vccnz .LBB111_154
; %bb.150:
	s_cmp_gt_i32 s16, 0
	s_mov_b32 s16, -1
	s_cbranch_scc0 .LBB111_152
; %bb.151:
	s_wait_xcnt 0x0
	v_cndmask_b32_e64 v1, 0, 1, s1
	s_mov_b32 s16, 0
	global_store_b8 v[2:3], v1, off
.LBB111_152:
	s_and_not1_b32 vcc_lo, exec_lo, s16
	s_cbranch_vccnz .LBB111_154
; %bb.153:
	s_wait_xcnt 0x0
	v_cndmask_b32_e64 v1, 0, 1, s1
	global_store_b8 v[2:3], v1, off
.LBB111_154:
.LBB111_155:
	v_add_nc_u32_e32 v0, 0x80, v0
	s_mov_b32 s1, -1
	s_branch .LBB111_266
.LBB111_156:
	s_mov_b32 s28, -1
                                        ; implicit-def: $vgpr1
.LBB111_157:
	s_mov_b32 s16, 0
.LBB111_158:
	s_delay_alu instid0(SALU_CYCLE_1)
	s_and_b32 vcc_lo, exec_lo, s16
	s_cbranch_vccz .LBB111_162
; %bb.159:
	s_cmp_eq_u32 s1, 29
	s_cbranch_scc0 .LBB111_161
; %bb.160:
	global_load_b64 v[6:7], v[4:5], off
	s_mov_b32 s2, -1
	s_mov_b32 s28, 0
	s_mov_b32 s16, 0
	s_wait_loadcnt 0x0
	v_clz_i32_u32_e32 v1, v7
	s_delay_alu instid0(VALU_DEP_1) | instskip(NEXT) | instid1(VALU_DEP_1)
	v_min_u32_e32 v1, 32, v1
	v_lshlrev_b64_e32 v[6:7], v1, v[6:7]
	v_sub_nc_u32_e32 v1, 32, v1
	s_delay_alu instid0(VALU_DEP_2) | instskip(NEXT) | instid1(VALU_DEP_1)
	v_min_u32_e32 v3, 1, v6
	v_or_b32_e32 v3, v7, v3
	s_delay_alu instid0(VALU_DEP_1) | instskip(NEXT) | instid1(VALU_DEP_1)
	v_cvt_f32_u32_e32 v3, v3
	v_ldexp_f32 v1, v3, v1
	s_branch .LBB111_163
.LBB111_161:
	s_mov_b32 s28, -1
                                        ; implicit-def: $vgpr1
.LBB111_162:
	s_mov_b32 s16, 0
.LBB111_163:
	s_delay_alu instid0(SALU_CYCLE_1)
	s_and_b32 vcc_lo, exec_lo, s16
	s_cbranch_vccz .LBB111_181
; %bb.164:
	s_cmp_lt_i32 s1, 27
	s_cbranch_scc1 .LBB111_167
; %bb.165:
	s_cmp_gt_i32 s1, 27
	s_cbranch_scc0 .LBB111_168
; %bb.166:
	global_load_b32 v1, v[4:5], off
	s_mov_b32 s2, 0
	s_wait_loadcnt 0x0
	v_cvt_f32_u32_e32 v1, v1
	s_branch .LBB111_169
.LBB111_167:
	s_mov_b32 s2, -1
                                        ; implicit-def: $vgpr1
	s_branch .LBB111_172
.LBB111_168:
	s_mov_b32 s2, -1
                                        ; implicit-def: $vgpr1
.LBB111_169:
	s_delay_alu instid0(SALU_CYCLE_1)
	s_and_not1_b32 vcc_lo, exec_lo, s2
	s_cbranch_vccnz .LBB111_171
; %bb.170:
	global_load_u16 v1, v[4:5], off
	s_wait_loadcnt 0x0
	v_cvt_f32_u32_e32 v1, v1
.LBB111_171:
	s_mov_b32 s2, 0
.LBB111_172:
	s_delay_alu instid0(SALU_CYCLE_1)
	s_and_not1_b32 vcc_lo, exec_lo, s2
	s_cbranch_vccnz .LBB111_180
; %bb.173:
	global_load_u8 v3, v[4:5], off
	s_mov_b32 s2, 0
	s_mov_b32 s16, exec_lo
	s_wait_loadcnt 0x0
	v_cmpx_lt_i16_e32 0x7f, v3
	s_xor_b32 s16, exec_lo, s16
	s_cbranch_execz .LBB111_193
; %bb.174:
	s_mov_b32 s2, -1
	s_mov_b32 s29, exec_lo
	v_cmpx_eq_u16_e32 0x80, v3
; %bb.175:
	s_xor_b32 s2, exec_lo, -1
; %bb.176:
	s_or_b32 exec_lo, exec_lo, s29
	s_delay_alu instid0(SALU_CYCLE_1)
	s_and_b32 s2, s2, exec_lo
	s_or_saveexec_b32 s16, s16
	v_mov_b32_e32 v1, 0x7f800001
	s_xor_b32 exec_lo, exec_lo, s16
	s_cbranch_execnz .LBB111_194
.LBB111_177:
	s_or_b32 exec_lo, exec_lo, s16
	s_and_saveexec_b32 s16, s2
	s_cbranch_execz .LBB111_179
.LBB111_178:
	v_and_b32_e32 v1, 0xffff, v3
	s_delay_alu instid0(VALU_DEP_1) | instskip(SKIP_1) | instid1(VALU_DEP_2)
	v_and_b32_e32 v6, 7, v1
	v_bfe_u32 v9, v1, 3, 4
	v_clz_i32_u32_e32 v7, v6
	s_delay_alu instid0(VALU_DEP_2) | instskip(NEXT) | instid1(VALU_DEP_2)
	v_cmp_eq_u32_e32 vcc_lo, 0, v9
	v_min_u32_e32 v7, 32, v7
	s_delay_alu instid0(VALU_DEP_1) | instskip(NEXT) | instid1(VALU_DEP_1)
	v_subrev_nc_u32_e32 v8, 28, v7
	v_dual_lshlrev_b32 v1, v8, v1 :: v_dual_sub_nc_u32 v7, 29, v7
	s_delay_alu instid0(VALU_DEP_1) | instskip(NEXT) | instid1(VALU_DEP_1)
	v_dual_lshlrev_b32 v3, 24, v3 :: v_dual_bitop2_b32 v1, 7, v1 bitop3:0x40
	v_dual_cndmask_b32 v1, v6, v1, vcc_lo :: v_dual_cndmask_b32 v7, v9, v7, vcc_lo
	s_delay_alu instid0(VALU_DEP_2) | instskip(NEXT) | instid1(VALU_DEP_2)
	v_and_b32_e32 v3, 0x80000000, v3
	v_lshlrev_b32_e32 v1, 20, v1
	s_delay_alu instid0(VALU_DEP_3) | instskip(NEXT) | instid1(VALU_DEP_1)
	v_lshl_add_u32 v6, v7, 23, 0x3b800000
	v_or3_b32 v1, v3, v6, v1
.LBB111_179:
	s_or_b32 exec_lo, exec_lo, s16
.LBB111_180:
	s_mov_b32 s2, -1
.LBB111_181:
	s_branch .LBB111_216
.LBB111_182:
	s_cmp_gt_i32 s1, 22
	s_cbranch_scc0 .LBB111_192
; %bb.183:
	s_cmp_lt_i32 s1, 24
	s_cbranch_scc1 .LBB111_195
; %bb.184:
	s_cmp_gt_i32 s1, 24
	s_cbranch_scc0 .LBB111_196
; %bb.185:
	global_load_u8 v3, v[4:5], off
	s_mov_b32 s2, 0
	s_mov_b32 s16, exec_lo
	s_wait_loadcnt 0x0
	v_cmpx_lt_i16_e32 0x7f, v3
	s_xor_b32 s16, exec_lo, s16
	s_cbranch_execz .LBB111_208
; %bb.186:
	s_mov_b32 s2, -1
	s_mov_b32 s29, exec_lo
	v_cmpx_eq_u16_e32 0x80, v3
; %bb.187:
	s_xor_b32 s2, exec_lo, -1
; %bb.188:
	s_or_b32 exec_lo, exec_lo, s29
	s_delay_alu instid0(SALU_CYCLE_1)
	s_and_b32 s2, s2, exec_lo
	s_or_saveexec_b32 s16, s16
	v_mov_b32_e32 v1, 0x7f800001
	s_xor_b32 exec_lo, exec_lo, s16
	s_cbranch_execnz .LBB111_209
.LBB111_189:
	s_or_b32 exec_lo, exec_lo, s16
	s_and_saveexec_b32 s16, s2
	s_cbranch_execz .LBB111_191
.LBB111_190:
	v_and_b32_e32 v1, 0xffff, v3
	s_delay_alu instid0(VALU_DEP_1) | instskip(SKIP_1) | instid1(VALU_DEP_2)
	v_and_b32_e32 v6, 3, v1
	v_bfe_u32 v9, v1, 2, 5
	v_clz_i32_u32_e32 v7, v6
	s_delay_alu instid0(VALU_DEP_2) | instskip(NEXT) | instid1(VALU_DEP_2)
	v_cmp_eq_u32_e32 vcc_lo, 0, v9
	v_min_u32_e32 v7, 32, v7
	s_delay_alu instid0(VALU_DEP_1) | instskip(NEXT) | instid1(VALU_DEP_1)
	v_subrev_nc_u32_e32 v8, 29, v7
	v_dual_lshlrev_b32 v1, v8, v1 :: v_dual_sub_nc_u32 v7, 30, v7
	s_delay_alu instid0(VALU_DEP_1) | instskip(NEXT) | instid1(VALU_DEP_1)
	v_dual_lshlrev_b32 v3, 24, v3 :: v_dual_bitop2_b32 v1, 3, v1 bitop3:0x40
	v_dual_cndmask_b32 v1, v6, v1, vcc_lo :: v_dual_cndmask_b32 v7, v9, v7, vcc_lo
	s_delay_alu instid0(VALU_DEP_2) | instskip(NEXT) | instid1(VALU_DEP_2)
	v_and_b32_e32 v3, 0x80000000, v3
	v_lshlrev_b32_e32 v1, 21, v1
	s_delay_alu instid0(VALU_DEP_3) | instskip(NEXT) | instid1(VALU_DEP_1)
	v_lshl_add_u32 v6, v7, 23, 0x37800000
	v_or3_b32 v1, v3, v6, v1
.LBB111_191:
	s_or_b32 exec_lo, exec_lo, s16
	s_mov_b32 s2, 0
	s_branch .LBB111_197
.LBB111_192:
	s_mov_b32 s16, -1
                                        ; implicit-def: $vgpr1
	s_branch .LBB111_203
.LBB111_193:
	s_or_saveexec_b32 s16, s16
	v_mov_b32_e32 v1, 0x7f800001
	s_xor_b32 exec_lo, exec_lo, s16
	s_cbranch_execz .LBB111_177
.LBB111_194:
	v_cmp_ne_u16_e32 vcc_lo, 0, v3
	v_mov_b32_e32 v1, 0
	s_and_not1_b32 s2, s2, exec_lo
	s_and_b32 s29, vcc_lo, exec_lo
	s_delay_alu instid0(SALU_CYCLE_1)
	s_or_b32 s2, s2, s29
	s_or_b32 exec_lo, exec_lo, s16
	s_and_saveexec_b32 s16, s2
	s_cbranch_execnz .LBB111_178
	s_branch .LBB111_179
.LBB111_195:
	s_mov_b32 s2, -1
                                        ; implicit-def: $vgpr1
	s_branch .LBB111_200
.LBB111_196:
	s_mov_b32 s2, -1
                                        ; implicit-def: $vgpr1
.LBB111_197:
	s_delay_alu instid0(SALU_CYCLE_1)
	s_and_b32 vcc_lo, exec_lo, s2
	s_cbranch_vccz .LBB111_199
; %bb.198:
	global_load_u8 v1, v[4:5], off
	s_wait_loadcnt 0x0
	v_lshlrev_b32_e32 v1, 24, v1
	s_delay_alu instid0(VALU_DEP_1) | instskip(NEXT) | instid1(VALU_DEP_1)
	v_and_b32_e32 v3, 0x7f000000, v1
	v_clz_i32_u32_e32 v6, v3
	v_cmp_ne_u32_e32 vcc_lo, 0, v3
	v_add_nc_u32_e32 v8, 0x1000000, v3
	s_delay_alu instid0(VALU_DEP_3) | instskip(NEXT) | instid1(VALU_DEP_1)
	v_min_u32_e32 v6, 32, v6
	v_sub_nc_u32_e64 v6, v6, 4 clamp
	s_delay_alu instid0(VALU_DEP_1) | instskip(NEXT) | instid1(VALU_DEP_1)
	v_dual_lshlrev_b32 v7, v6, v3 :: v_dual_lshlrev_b32 v6, 23, v6
	v_lshrrev_b32_e32 v7, 4, v7
	s_delay_alu instid0(VALU_DEP_1) | instskip(NEXT) | instid1(VALU_DEP_1)
	v_dual_sub_nc_u32 v6, v7, v6 :: v_dual_ashrrev_i32 v7, 8, v8
	v_add_nc_u32_e32 v6, 0x3c000000, v6
	s_delay_alu instid0(VALU_DEP_1) | instskip(NEXT) | instid1(VALU_DEP_1)
	v_and_or_b32 v6, 0x7f800000, v7, v6
	v_cndmask_b32_e32 v3, 0, v6, vcc_lo
	s_delay_alu instid0(VALU_DEP_1)
	v_and_or_b32 v1, 0x80000000, v1, v3
.LBB111_199:
	s_mov_b32 s2, 0
.LBB111_200:
	s_delay_alu instid0(SALU_CYCLE_1)
	s_and_not1_b32 vcc_lo, exec_lo, s2
	s_cbranch_vccnz .LBB111_202
; %bb.201:
	global_load_u8 v1, v[4:5], off
	s_wait_loadcnt 0x0
	v_lshlrev_b32_e32 v3, 25, v1
	v_lshlrev_b16 v1, 8, v1
	s_delay_alu instid0(VALU_DEP_1) | instskip(SKIP_1) | instid1(VALU_DEP_2)
	v_and_or_b32 v7, 0x7f00, v1, 0.5
	v_bfe_i32 v1, v1, 0, 16
	v_add_f32_e32 v7, -0.5, v7
	v_lshrrev_b32_e32 v6, 4, v3
	v_cmp_gt_u32_e32 vcc_lo, 0x8000000, v3
	s_delay_alu instid0(VALU_DEP_2) | instskip(NEXT) | instid1(VALU_DEP_1)
	v_or_b32_e32 v6, 0x70000000, v6
	v_mul_f32_e32 v6, 0x7800000, v6
	s_delay_alu instid0(VALU_DEP_1) | instskip(NEXT) | instid1(VALU_DEP_1)
	v_cndmask_b32_e32 v3, v6, v7, vcc_lo
	v_and_or_b32 v1, 0x80000000, v1, v3
.LBB111_202:
	s_mov_b32 s16, 0
	s_mov_b32 s2, -1
.LBB111_203:
	s_and_not1_b32 vcc_lo, exec_lo, s16
	s_cbranch_vccnz .LBB111_216
; %bb.204:
	s_cmp_gt_i32 s1, 14
	s_cbranch_scc0 .LBB111_207
; %bb.205:
	s_cmp_eq_u32 s1, 15
	s_cbranch_scc0 .LBB111_210
; %bb.206:
	global_load_u16 v1, v[4:5], off
	s_mov_b32 s2, -1
	s_mov_b32 s28, 0
	s_wait_loadcnt 0x0
	v_lshlrev_b32_e32 v1, 16, v1
	s_branch .LBB111_211
.LBB111_207:
	s_mov_b32 s16, -1
                                        ; implicit-def: $vgpr1
	s_branch .LBB111_212
.LBB111_208:
	s_or_saveexec_b32 s16, s16
	v_mov_b32_e32 v1, 0x7f800001
	s_xor_b32 exec_lo, exec_lo, s16
	s_cbranch_execz .LBB111_189
.LBB111_209:
	v_cmp_ne_u16_e32 vcc_lo, 0, v3
	v_mov_b32_e32 v1, 0
	s_and_not1_b32 s2, s2, exec_lo
	s_and_b32 s29, vcc_lo, exec_lo
	s_delay_alu instid0(SALU_CYCLE_1)
	s_or_b32 s2, s2, s29
	s_or_b32 exec_lo, exec_lo, s16
	s_and_saveexec_b32 s16, s2
	s_cbranch_execnz .LBB111_190
	s_branch .LBB111_191
.LBB111_210:
	s_mov_b32 s28, -1
                                        ; implicit-def: $vgpr1
.LBB111_211:
	s_mov_b32 s16, 0
.LBB111_212:
	s_delay_alu instid0(SALU_CYCLE_1)
	s_and_b32 vcc_lo, exec_lo, s16
	s_cbranch_vccz .LBB111_216
; %bb.213:
	s_cmp_eq_u32 s1, 11
	s_cbranch_scc0 .LBB111_215
; %bb.214:
	global_load_u8 v1, v[4:5], off
	s_mov_b32 s28, 0
	s_mov_b32 s2, -1
	s_wait_loadcnt 0x0
	v_cmp_ne_u16_e32 vcc_lo, 0, v1
	v_cndmask_b32_e64 v1, 0, 1.0, vcc_lo
	s_branch .LBB111_216
.LBB111_215:
	s_mov_b32 s28, -1
                                        ; implicit-def: $vgpr1
.LBB111_216:
	s_branch .LBB111_25
.LBB111_217:
	s_cmp_lt_i32 s1, 5
	s_cbranch_scc1 .LBB111_222
; %bb.218:
	s_cmp_lt_i32 s1, 8
	s_cbranch_scc1 .LBB111_223
; %bb.219:
	;; [unrolled: 3-line block ×3, first 2 shown]
	s_cmp_gt_i32 s1, 9
	s_cbranch_scc0 .LBB111_225
; %bb.221:
	global_load_b64 v[6:7], v[4:5], off
	s_mov_b32 s2, 0
	s_wait_loadcnt 0x0
	v_cvt_f32_f64_e32 v1, v[6:7]
	s_branch .LBB111_226
.LBB111_222:
                                        ; implicit-def: $vgpr1
	s_branch .LBB111_244
.LBB111_223:
	s_mov_b32 s2, -1
                                        ; implicit-def: $vgpr1
	s_branch .LBB111_232
.LBB111_224:
	s_mov_b32 s2, -1
                                        ; implicit-def: $vgpr1
	s_branch .LBB111_229
.LBB111_225:
	s_mov_b32 s2, -1
                                        ; implicit-def: $vgpr1
.LBB111_226:
	s_delay_alu instid0(SALU_CYCLE_1)
	s_and_not1_b32 vcc_lo, exec_lo, s2
	s_cbranch_vccnz .LBB111_228
; %bb.227:
	global_load_b32 v1, v[4:5], off
.LBB111_228:
	s_mov_b32 s2, 0
.LBB111_229:
	s_delay_alu instid0(SALU_CYCLE_1)
	s_and_not1_b32 vcc_lo, exec_lo, s2
	s_cbranch_vccnz .LBB111_231
; %bb.230:
	s_wait_loadcnt 0x0
	global_load_b32 v1, v[4:5], off
	s_wait_loadcnt 0x0
	v_cvt_f32_f16_e32 v1, v1
.LBB111_231:
	s_mov_b32 s2, 0
.LBB111_232:
	s_delay_alu instid0(SALU_CYCLE_1)
	s_and_not1_b32 vcc_lo, exec_lo, s2
	s_cbranch_vccnz .LBB111_243
; %bb.233:
	s_cmp_lt_i32 s1, 6
	s_cbranch_scc1 .LBB111_236
; %bb.234:
	s_cmp_gt_i32 s1, 6
	s_cbranch_scc0 .LBB111_237
; %bb.235:
	global_load_b64 v[6:7], v[4:5], off
	s_mov_b32 s2, 0
	s_wait_loadcnt 0x0
	v_cvt_f32_f64_e32 v1, v[6:7]
	s_branch .LBB111_238
.LBB111_236:
	s_mov_b32 s2, -1
                                        ; implicit-def: $vgpr1
	s_branch .LBB111_241
.LBB111_237:
	s_mov_b32 s2, -1
                                        ; implicit-def: $vgpr1
.LBB111_238:
	s_delay_alu instid0(SALU_CYCLE_1)
	s_and_not1_b32 vcc_lo, exec_lo, s2
	s_cbranch_vccnz .LBB111_240
; %bb.239:
	s_wait_loadcnt 0x0
	global_load_b32 v1, v[4:5], off
.LBB111_240:
	s_mov_b32 s2, 0
.LBB111_241:
	s_delay_alu instid0(SALU_CYCLE_1)
	s_and_not1_b32 vcc_lo, exec_lo, s2
	s_cbranch_vccnz .LBB111_243
; %bb.242:
	s_wait_loadcnt 0x0
	global_load_u16 v1, v[4:5], off
	s_wait_loadcnt 0x0
	v_cvt_f32_f16_e32 v1, v1
.LBB111_243:
	s_cbranch_execnz .LBB111_263
.LBB111_244:
	s_cmp_lt_i32 s1, 2
	s_cbranch_scc1 .LBB111_248
; %bb.245:
	s_cmp_lt_i32 s1, 3
	s_cbranch_scc1 .LBB111_249
; %bb.246:
	s_cmp_gt_i32 s1, 3
	s_cbranch_scc0 .LBB111_250
; %bb.247:
	global_load_b64 v[6:7], v[4:5], off
	s_mov_b32 s2, 0
	s_wait_loadcnt 0x0
	v_xor_b32_e32 v1, v6, v7
	v_cls_i32_e32 v3, v7
	s_delay_alu instid0(VALU_DEP_2) | instskip(NEXT) | instid1(VALU_DEP_1)
	v_ashrrev_i32_e32 v1, 31, v1
	v_add_nc_u32_e32 v1, 32, v1
	s_delay_alu instid0(VALU_DEP_1) | instskip(NEXT) | instid1(VALU_DEP_1)
	v_add_min_u32_e64 v1, v3, -1, v1
	v_lshlrev_b64_e32 v[6:7], v1, v[6:7]
	v_sub_nc_u32_e32 v1, 32, v1
	s_delay_alu instid0(VALU_DEP_2) | instskip(NEXT) | instid1(VALU_DEP_1)
	v_min_u32_e32 v3, 1, v6
	v_or_b32_e32 v3, v7, v3
	s_delay_alu instid0(VALU_DEP_1) | instskip(NEXT) | instid1(VALU_DEP_1)
	v_cvt_f32_i32_e32 v3, v3
	v_ldexp_f32 v1, v3, v1
	s_branch .LBB111_251
.LBB111_248:
	s_mov_b32 s2, -1
                                        ; implicit-def: $vgpr1
	s_branch .LBB111_257
.LBB111_249:
	s_mov_b32 s2, -1
                                        ; implicit-def: $vgpr1
	s_branch .LBB111_254
.LBB111_250:
	s_mov_b32 s2, -1
                                        ; implicit-def: $vgpr1
.LBB111_251:
	s_delay_alu instid0(SALU_CYCLE_1)
	s_and_not1_b32 vcc_lo, exec_lo, s2
	s_cbranch_vccnz .LBB111_253
; %bb.252:
	s_wait_loadcnt 0x0
	global_load_b32 v1, v[4:5], off
	s_wait_loadcnt 0x0
	v_cvt_f32_i32_e32 v1, v1
.LBB111_253:
	s_mov_b32 s2, 0
.LBB111_254:
	s_delay_alu instid0(SALU_CYCLE_1)
	s_and_not1_b32 vcc_lo, exec_lo, s2
	s_cbranch_vccnz .LBB111_256
; %bb.255:
	s_wait_loadcnt 0x0
	global_load_i16 v1, v[4:5], off
	s_wait_loadcnt 0x0
	v_cvt_f32_i32_e32 v1, v1
.LBB111_256:
	s_mov_b32 s2, 0
.LBB111_257:
	s_delay_alu instid0(SALU_CYCLE_1)
	s_and_not1_b32 vcc_lo, exec_lo, s2
	s_cbranch_vccnz .LBB111_263
; %bb.258:
	s_cmp_gt_i32 s1, 0
	s_mov_b32 s1, 0
	s_cbranch_scc0 .LBB111_260
; %bb.259:
	s_wait_loadcnt 0x0
	global_load_i8 v1, v[4:5], off
	s_wait_loadcnt 0x0
	v_cvt_f32_i32_e32 v1, v1
	s_branch .LBB111_261
.LBB111_260:
	s_mov_b32 s1, -1
                                        ; implicit-def: $vgpr1
.LBB111_261:
	s_delay_alu instid0(SALU_CYCLE_1)
	s_and_not1_b32 vcc_lo, exec_lo, s1
	s_cbranch_vccnz .LBB111_263
; %bb.262:
	s_wait_loadcnt 0x0
	global_load_u8 v1, v[4:5], off
	s_wait_loadcnt 0x0
	v_cvt_f32_ubyte0_e32 v1, v1
.LBB111_263:
	s_branch .LBB111_26
.LBB111_264:
	s_mov_b32 s2, 0
.LBB111_265:
	s_mov_b32 s1, 0
                                        ; implicit-def: $vgpr0
.LBB111_266:
	s_and_b32 s16, s2, exec_lo
	s_and_b32 s43, s28, exec_lo
	s_or_not1_b32 s29, s1, exec_lo
.LBB111_267:
	s_wait_xcnt 0x0
	s_or_b32 exec_lo, exec_lo, s44
	s_mov_b32 s30, 0
	s_mov_b32 s28, 0
                                        ; implicit-def: $vgpr4_vgpr5
                                        ; implicit-def: $vgpr2
                                        ; implicit-def: $vgpr3
	s_and_saveexec_b32 s44, s29
	s_cbranch_execz .LBB111_275
; %bb.268:
	s_mov_b32 s28, -1
	s_mov_b32 s45, s43
	s_mov_b32 s46, s16
	s_mov_b32 s47, exec_lo
	v_cmpx_gt_i32_e64 s40, v0
	s_cbranch_execz .LBB111_546
; %bb.269:
	s_and_not1_b32 vcc_lo, exec_lo, s37
	s_cbranch_vccnz .LBB111_278
; %bb.270:
	s_and_not1_b32 vcc_lo, exec_lo, s42
	s_cbranch_vccnz .LBB111_279
; %bb.271:
	s_add_co_i32 s1, s41, 1
	s_cmp_eq_u32 s33, 2
	s_cbranch_scc1 .LBB111_280
; %bb.272:
	v_dual_mov_b32 v2, 0 :: v_dual_mov_b32 v4, 0
	s_wait_loadcnt 0x0
	v_mov_b32_e32 v1, v0
	s_and_b32 s28, s1, 28
	s_mov_b32 s2, 0
	s_mov_b64 s[30:31], s[20:21]
	s_mov_b64 s[34:35], s[26:27]
.LBB111_273:                            ; =>This Inner Loop Header: Depth=1
	s_clause 0x1
	s_load_b256 s[48:55], s[30:31], 0x4
	s_load_b128 s[64:67], s[30:31], 0x24
	s_load_b256 s[56:63], s[34:35], 0x0
	s_add_co_i32 s2, s2, 4
	s_wait_xcnt 0x0
	s_add_nc_u64 s[30:31], s[30:31], 48
	s_cmp_eq_u32 s28, s2
	s_add_nc_u64 s[34:35], s[34:35], 32
	s_wait_kmcnt 0x0
	v_mul_hi_u32 v3, s49, v1
	s_delay_alu instid0(VALU_DEP_1) | instskip(NEXT) | instid1(VALU_DEP_1)
	v_add_nc_u32_e32 v3, v1, v3
	v_lshrrev_b32_e32 v3, s50, v3
	s_delay_alu instid0(VALU_DEP_1) | instskip(NEXT) | instid1(VALU_DEP_1)
	v_mul_hi_u32 v5, s52, v3
	v_add_nc_u32_e32 v5, v3, v5
	s_delay_alu instid0(VALU_DEP_1) | instskip(NEXT) | instid1(VALU_DEP_1)
	v_lshrrev_b32_e32 v5, s53, v5
	v_mul_hi_u32 v6, s55, v5
	s_delay_alu instid0(VALU_DEP_1) | instskip(SKIP_1) | instid1(VALU_DEP_1)
	v_add_nc_u32_e32 v6, v5, v6
	v_mul_lo_u32 v7, v3, s48
	v_sub_nc_u32_e32 v1, v1, v7
	v_mul_lo_u32 v7, v5, s51
	s_delay_alu instid0(VALU_DEP_4) | instskip(NEXT) | instid1(VALU_DEP_3)
	v_lshrrev_b32_e32 v6, s64, v6
	v_mad_u32 v4, v1, s57, v4
	v_mad_u32 v1, v1, s56, v2
	s_delay_alu instid0(VALU_DEP_4) | instskip(NEXT) | instid1(VALU_DEP_4)
	v_sub_nc_u32_e32 v2, v3, v7
	v_mul_hi_u32 v8, s66, v6
	v_mul_lo_u32 v3, v6, s54
	s_delay_alu instid0(VALU_DEP_3) | instskip(SKIP_1) | instid1(VALU_DEP_3)
	v_mad_u32 v4, v2, s59, v4
	v_mad_u32 v2, v2, s58, v1
	v_dual_add_nc_u32 v7, v6, v8 :: v_dual_sub_nc_u32 v3, v5, v3
	s_delay_alu instid0(VALU_DEP_1) | instskip(NEXT) | instid1(VALU_DEP_2)
	v_lshrrev_b32_e32 v1, s67, v7
	v_mad_u32 v4, v3, s61, v4
	s_delay_alu instid0(VALU_DEP_4) | instskip(NEXT) | instid1(VALU_DEP_3)
	v_mad_u32 v2, v3, s60, v2
	v_mul_lo_u32 v5, v1, s65
	s_delay_alu instid0(VALU_DEP_1) | instskip(NEXT) | instid1(VALU_DEP_1)
	v_sub_nc_u32_e32 v3, v6, v5
	v_mad_u32 v4, v3, s63, v4
	s_delay_alu instid0(VALU_DEP_4)
	v_mad_u32 v2, v3, s62, v2
	s_cbranch_scc0 .LBB111_273
; %bb.274:
	s_delay_alu instid0(VALU_DEP_2)
	v_mov_b32_e32 v3, v4
	s_branch .LBB111_281
.LBB111_275:
	s_or_b32 exec_lo, exec_lo, s44
	s_mov_b32 s1, 0
	s_and_saveexec_b32 s2, s43
	s_cbranch_execnz .LBB111_928
.LBB111_276:
	s_or_b32 exec_lo, exec_lo, s2
	s_and_saveexec_b32 s2, s23
	s_delay_alu instid0(SALU_CYCLE_1)
	s_xor_b32 s2, exec_lo, s2
	s_cbranch_execz .LBB111_929
.LBB111_277:
	global_load_u8 v0, v[4:5], off
	s_or_b32 s28, s28, exec_lo
	s_wait_loadcnt 0x0
	v_cmp_ne_u16_e32 vcc_lo, 0, v0
	v_cndmask_b32_e64 v3, 0, 1.0, vcc_lo
	s_wait_xcnt 0x0
	s_or_b32 exec_lo, exec_lo, s2
	s_and_saveexec_b32 s2, s30
	s_cbranch_execz .LBB111_975
	s_branch .LBB111_930
.LBB111_278:
                                        ; implicit-def: $vgpr4
                                        ; implicit-def: $vgpr2
	s_branch .LBB111_286
.LBB111_279:
	v_dual_mov_b32 v4, 0 :: v_dual_mov_b32 v2, 0
	s_branch .LBB111_285
.LBB111_280:
	v_mov_b64_e32 v[2:3], 0
	s_wait_loadcnt 0x0
	v_mov_b32_e32 v1, v0
	s_mov_b32 s28, 0
                                        ; implicit-def: $vgpr4
.LBB111_281:
	s_and_b32 s1, s1, 3
	s_mov_b32 s29, 0
	s_cmp_eq_u32 s1, 0
	s_cbranch_scc1 .LBB111_285
; %bb.282:
	s_lshl_b32 s30, s28, 3
	s_mov_b32 s31, s29
	s_mul_u64 s[34:35], s[28:29], 12
	s_add_nc_u64 s[30:31], s[20:21], s[30:31]
	s_delay_alu instid0(SALU_CYCLE_1)
	s_add_nc_u64 s[28:29], s[30:31], 0xc4
	s_add_nc_u64 s[30:31], s[20:21], s[34:35]
.LBB111_283:                            ; =>This Inner Loop Header: Depth=1
	s_load_b96 s[48:50], s[30:31], 0x4
	s_load_b64 s[34:35], s[28:29], 0x0
	s_add_co_i32 s1, s1, -1
	s_wait_xcnt 0x0
	s_add_nc_u64 s[30:31], s[30:31], 12
	s_cmp_lg_u32 s1, 0
	s_add_nc_u64 s[28:29], s[28:29], 8
	s_wait_kmcnt 0x0
	v_mul_hi_u32 v4, s49, v1
	s_delay_alu instid0(VALU_DEP_1) | instskip(NEXT) | instid1(VALU_DEP_1)
	v_add_nc_u32_e32 v4, v1, v4
	v_lshrrev_b32_e32 v4, s50, v4
	s_delay_alu instid0(VALU_DEP_1) | instskip(NEXT) | instid1(VALU_DEP_1)
	v_mul_lo_u32 v5, v4, s48
	v_sub_nc_u32_e32 v1, v1, v5
	s_delay_alu instid0(VALU_DEP_1)
	v_mad_u32 v3, v1, s35, v3
	v_mad_u32 v2, v1, s34, v2
	v_mov_b32_e32 v1, v4
	s_cbranch_scc1 .LBB111_283
; %bb.284:
	s_delay_alu instid0(VALU_DEP_3)
	v_mov_b32_e32 v4, v3
.LBB111_285:
	s_cbranch_execnz .LBB111_288
.LBB111_286:
	s_wait_loadcnt 0x0
	v_mov_b32_e32 v1, 0
	s_and_not1_b32 vcc_lo, exec_lo, s39
	s_delay_alu instid0(VALU_DEP_1) | instskip(NEXT) | instid1(VALU_DEP_1)
	v_mul_u64_e32 v[2:3], s[22:23], v[0:1]
	v_add_nc_u32_e32 v2, v0, v3
	s_delay_alu instid0(VALU_DEP_1) | instskip(NEXT) | instid1(VALU_DEP_1)
	v_lshrrev_b32_e32 v6, s10, v2
	v_mul_lo_u32 v2, v6, s8
	s_delay_alu instid0(VALU_DEP_1) | instskip(NEXT) | instid1(VALU_DEP_1)
	v_sub_nc_u32_e32 v2, v0, v2
	v_mul_lo_u32 v4, v2, s13
	v_mul_lo_u32 v2, v2, s12
	s_cbranch_vccnz .LBB111_288
; %bb.287:
	v_mov_b32_e32 v7, v1
	s_delay_alu instid0(VALU_DEP_1) | instskip(NEXT) | instid1(VALU_DEP_1)
	v_mul_u64_e32 v[8:9], s[24:25], v[6:7]
	v_add_nc_u32_e32 v1, v6, v9
	s_delay_alu instid0(VALU_DEP_1) | instskip(NEXT) | instid1(VALU_DEP_1)
	v_lshrrev_b32_e32 v1, s3, v1
	v_mul_lo_u32 v1, v1, s11
	s_delay_alu instid0(VALU_DEP_1) | instskip(NEXT) | instid1(VALU_DEP_1)
	v_sub_nc_u32_e32 v1, v6, v1
	v_mad_u32 v2, v1, s14, v2
	v_mad_u32 v4, v1, s15, v4
.LBB111_288:
	v_mov_b32_e32 v5, 0
	s_and_b32 s1, 0xffff, s9
	s_delay_alu instid0(SALU_CYCLE_1) | instskip(NEXT) | instid1(VALU_DEP_1)
	s_cmp_lt_i32 s1, 11
	v_add_nc_u64_e32 v[4:5], s[6:7], v[4:5]
	s_cbranch_scc1 .LBB111_295
; %bb.289:
	s_cmp_gt_i32 s1, 25
	s_cbranch_scc0 .LBB111_304
; %bb.290:
	s_cmp_gt_i32 s1, 28
	s_cbranch_scc0 .LBB111_306
	;; [unrolled: 3-line block ×4, first 2 shown]
; %bb.293:
	s_cmp_eq_u32 s1, 46
	s_mov_b32 s29, 0
	s_cbranch_scc0 .LBB111_316
; %bb.294:
	s_wait_loadcnt 0x0
	global_load_b32 v1, v[4:5], off
	s_mov_b32 s2, -1
	s_mov_b32 s28, 0
	s_wait_loadcnt 0x0
	v_lshlrev_b32_e32 v1, 16, v1
	s_branch .LBB111_318
.LBB111_295:
	s_mov_b32 s2, 0
	s_mov_b32 s28, s43
                                        ; implicit-def: $vgpr1
	s_cbranch_execnz .LBB111_495
.LBB111_296:
	s_and_not1_b32 vcc_lo, exec_lo, s2
	s_cbranch_vccnz .LBB111_543
.LBB111_297:
	s_wait_loadcnt 0x0
	s_delay_alu instid0(VALU_DEP_1) | instskip(SKIP_1) | instid1(SALU_CYCLE_1)
	v_cmp_eq_f32_e32 vcc_lo, s17, v1
	s_and_b32 s29, s18, 0xff
	s_cmp_lt_i32 s29, 11
	v_cndmask_b32_e64 v3, 0, 1, vcc_lo
	v_cmp_neq_f32_e32 vcc_lo, s17, v1
	v_cndmask_b32_e64 v1, 0, 1, vcc_lo
	s_delay_alu instid0(VALU_DEP_1) | instskip(NEXT) | instid1(VALU_DEP_1)
	v_dual_cndmask_b32 v1, v1, v3, s0 :: v_dual_mov_b32 v3, 0
	v_and_b32_e32 v1, 1, v1
	s_delay_alu instid0(VALU_DEP_2) | instskip(NEXT) | instid1(VALU_DEP_2)
	v_add_nc_u64_e32 v[2:3], s[4:5], v[2:3]
	v_cmp_eq_u32_e64 s1, 1, v1
	s_cbranch_scc1 .LBB111_305
; %bb.298:
	s_and_b32 s30, 0xffff, s29
	s_delay_alu instid0(SALU_CYCLE_1)
	s_cmp_gt_i32 s30, 25
	s_cbranch_scc0 .LBB111_307
; %bb.299:
	s_cmp_gt_i32 s30, 28
	s_cbranch_scc0 .LBB111_309
; %bb.300:
	;; [unrolled: 3-line block ×4, first 2 shown]
	s_mov_b32 s34, 0
	s_mov_b32 s2, -1
	s_cmp_eq_u32 s30, 46
	s_mov_b32 s31, 0
	s_cbranch_scc0 .LBB111_322
; %bb.303:
	v_cndmask_b32_e64 v1, 0, 1.0, s1
	s_mov_b32 s31, -1
	s_mov_b32 s2, 0
	s_wait_xcnt 0x0
	s_delay_alu instid0(VALU_DEP_1) | instskip(NEXT) | instid1(VALU_DEP_1)
	v_bfe_u32 v4, v1, 16, 1
	v_add3_u32 v1, v1, v4, 0x7fff
	s_delay_alu instid0(VALU_DEP_1)
	v_lshrrev_b32_e32 v1, 16, v1
	global_store_b32 v[2:3], v1, off
	s_branch .LBB111_322
.LBB111_304:
	s_mov_b32 s29, -1
	s_mov_b32 s2, 0
	s_mov_b32 s28, s43
                                        ; implicit-def: $vgpr1
	s_branch .LBB111_459
.LBB111_305:
	s_mov_b32 s30, -1
	s_mov_b32 s31, 0
	s_mov_b32 s2, s16
	s_branch .LBB111_391
.LBB111_306:
	s_mov_b32 s29, -1
	s_mov_b32 s2, 0
	s_mov_b32 s28, s43
                                        ; implicit-def: $vgpr1
	s_branch .LBB111_440
.LBB111_307:
	s_mov_b32 s34, -1
	s_mov_b32 s31, 0
	s_mov_b32 s2, s16
	s_branch .LBB111_349
.LBB111_308:
	s_mov_b32 s29, -1
	s_mov_b32 s2, 0
	s_mov_b32 s28, s43
                                        ; implicit-def: $vgpr1
	s_branch .LBB111_435
.LBB111_309:
	s_mov_b32 s34, -1
	s_mov_b32 s31, 0
	s_mov_b32 s2, s16
	s_branch .LBB111_332
.LBB111_310:
	s_and_not1_saveexec_b32 s34, s34
	s_cbranch_execz .LBB111_69
.LBB111_311:
	v_add_f32_e32 v1, 0x46000000, v4
	s_and_not1_b32 s31, s31, exec_lo
	s_delay_alu instid0(VALU_DEP_1) | instskip(NEXT) | instid1(VALU_DEP_1)
	v_and_b32_e32 v1, 0xff, v1
	v_cmp_ne_u32_e32 vcc_lo, 0, v1
	s_and_b32 s35, vcc_lo, exec_lo
	s_delay_alu instid0(SALU_CYCLE_1)
	s_or_b32 s31, s31, s35
	s_or_b32 exec_lo, exec_lo, s34
	v_mov_b32_e32 v5, 0
	s_and_saveexec_b32 s34, s31
	s_cbranch_execnz .LBB111_70
	s_branch .LBB111_71
.LBB111_312:
	s_mov_b32 s29, -1
	s_mov_b32 s2, 0
	s_mov_b32 s28, s43
	s_branch .LBB111_317
.LBB111_313:
	s_mov_b32 s34, -1
	s_mov_b32 s31, 0
	s_mov_b32 s2, s16
	s_branch .LBB111_328
.LBB111_314:
	s_and_not1_saveexec_b32 s34, s34
	s_cbranch_execz .LBB111_82
.LBB111_315:
	v_add_f32_e32 v1, 0x42800000, v4
	s_and_not1_b32 s31, s31, exec_lo
	s_delay_alu instid0(VALU_DEP_1) | instskip(NEXT) | instid1(VALU_DEP_1)
	v_and_b32_e32 v1, 0xff, v1
	v_cmp_ne_u32_e32 vcc_lo, 0, v1
	s_and_b32 s35, vcc_lo, exec_lo
	s_delay_alu instid0(SALU_CYCLE_1)
	s_or_b32 s31, s31, s35
	s_or_b32 exec_lo, exec_lo, s34
	v_mov_b32_e32 v5, 0
	s_and_saveexec_b32 s34, s31
	s_cbranch_execnz .LBB111_83
	s_branch .LBB111_84
.LBB111_316:
	s_mov_b32 s28, -1
	s_mov_b32 s2, 0
.LBB111_317:
                                        ; implicit-def: $vgpr1
.LBB111_318:
	s_and_b32 vcc_lo, exec_lo, s29
	s_cbranch_vccz .LBB111_434
; %bb.319:
	s_cmp_eq_u32 s1, 44
	s_cbranch_scc0 .LBB111_433
; %bb.320:
	s_wait_loadcnt 0x0
	global_load_u8 v1, v[4:5], off
	s_mov_b32 s28, 0
	s_mov_b32 s2, -1
	s_wait_loadcnt 0x0
	v_lshlrev_b32_e32 v3, 23, v1
	v_cmp_ne_u32_e32 vcc_lo, 0xff, v1
	s_delay_alu instid0(VALU_DEP_2) | instskip(SKIP_1) | instid1(VALU_DEP_2)
	v_cndmask_b32_e32 v3, 0x7f800001, v3, vcc_lo
	v_cmp_ne_u32_e32 vcc_lo, 0, v1
	v_cndmask_b32_e32 v1, 0x400000, v3, vcc_lo
	s_branch .LBB111_434
.LBB111_321:
	s_mov_b32 s34, -1
	s_mov_b32 s31, 0
	s_mov_b32 s2, s16
.LBB111_322:
	s_and_b32 vcc_lo, exec_lo, s34
	s_cbranch_vccz .LBB111_327
; %bb.323:
	s_cmp_eq_u32 s30, 44
	s_mov_b32 s2, -1
	s_cbranch_scc0 .LBB111_327
; %bb.324:
	s_wait_xcnt 0x0
	v_cndmask_b32_e64 v5, 0, 1.0, s1
	s_mov_b32 s31, exec_lo
	s_delay_alu instid0(VALU_DEP_1) | instskip(NEXT) | instid1(VALU_DEP_1)
	v_dual_mov_b32 v4, 0xff :: v_dual_lshrrev_b32 v1, 23, v5
	v_cmpx_ne_u32_e32 0xff, v1
; %bb.325:
	v_and_b32_e32 v4, 0x400000, v5
	v_and_or_b32 v5, 0x3fffff, v5, v1
	s_delay_alu instid0(VALU_DEP_2) | instskip(NEXT) | instid1(VALU_DEP_2)
	v_cmp_ne_u32_e32 vcc_lo, 0, v4
	v_cmp_ne_u32_e64 s2, 0, v5
	s_and_b32 s2, vcc_lo, s2
	s_delay_alu instid0(SALU_CYCLE_1) | instskip(NEXT) | instid1(VALU_DEP_1)
	v_cndmask_b32_e64 v4, 0, 1, s2
	v_add_nc_u32_e32 v4, v1, v4
; %bb.326:
	s_or_b32 exec_lo, exec_lo, s31
	s_mov_b32 s31, -1
	s_mov_b32 s2, 0
	global_store_b8 v[2:3], v4, off
.LBB111_327:
	s_mov_b32 s34, 0
.LBB111_328:
	s_delay_alu instid0(SALU_CYCLE_1)
	s_and_b32 vcc_lo, exec_lo, s34
	s_cbranch_vccz .LBB111_331
; %bb.329:
	s_cmp_eq_u32 s30, 29
	s_mov_b32 s2, -1
	s_cbranch_scc0 .LBB111_331
; %bb.330:
	s_mov_b32 s2, 0
	s_wait_xcnt 0x0
	v_cndmask_b32_e64 v4, 0, 1, s1
	v_mov_b32_e32 v5, s2
	s_mov_b32 s31, -1
	s_mov_b32 s34, 0
	global_store_b64 v[2:3], v[4:5], off
	s_branch .LBB111_332
.LBB111_331:
	s_mov_b32 s34, 0
.LBB111_332:
	s_delay_alu instid0(SALU_CYCLE_1)
	s_and_b32 vcc_lo, exec_lo, s34
	s_cbranch_vccz .LBB111_348
; %bb.333:
	s_cmp_lt_i32 s30, 27
	s_mov_b32 s31, -1
	s_cbranch_scc1 .LBB111_339
; %bb.334:
	s_cmp_gt_i32 s30, 27
	s_cbranch_scc0 .LBB111_336
; %bb.335:
	s_wait_xcnt 0x0
	v_cndmask_b32_e64 v1, 0, 1, s1
	s_mov_b32 s31, 0
	global_store_b32 v[2:3], v1, off
.LBB111_336:
	s_and_not1_b32 vcc_lo, exec_lo, s31
	s_cbranch_vccnz .LBB111_338
; %bb.337:
	s_wait_xcnt 0x0
	v_cndmask_b32_e64 v1, 0, 1, s1
	global_store_b16 v[2:3], v1, off
.LBB111_338:
	s_mov_b32 s31, 0
.LBB111_339:
	s_delay_alu instid0(SALU_CYCLE_1)
	s_and_not1_b32 vcc_lo, exec_lo, s31
	s_cbranch_vccnz .LBB111_347
; %bb.340:
	s_wait_xcnt 0x0
	v_cndmask_b32_e64 v4, 0, 1.0, s1
	v_mov_b32_e32 v5, 0x80
	s_mov_b32 s31, exec_lo
	s_delay_alu instid0(VALU_DEP_2)
	v_cmpx_gt_u32_e32 0x43800000, v4
	s_cbranch_execz .LBB111_346
; %bb.341:
	s_mov_b32 s34, 0
	s_mov_b32 s35, exec_lo
                                        ; implicit-def: $vgpr1
	v_cmpx_lt_u32_e32 0x3bffffff, v4
	s_xor_b32 s35, exec_lo, s35
	s_cbranch_execz .LBB111_576
; %bb.342:
	v_bfe_u32 v1, v4, 20, 1
	s_mov_b32 s34, exec_lo
	s_delay_alu instid0(VALU_DEP_1) | instskip(NEXT) | instid1(VALU_DEP_1)
	v_add3_u32 v1, v4, v1, 0x487ffff
                                        ; implicit-def: $vgpr4
	v_lshrrev_b32_e32 v1, 20, v1
	s_and_not1_saveexec_b32 s35, s35
	s_cbranch_execnz .LBB111_577
.LBB111_343:
	s_or_b32 exec_lo, exec_lo, s35
	v_mov_b32_e32 v5, 0
	s_and_saveexec_b32 s35, s34
.LBB111_344:
	v_mov_b32_e32 v5, v1
.LBB111_345:
	s_or_b32 exec_lo, exec_lo, s35
.LBB111_346:
	s_delay_alu instid0(SALU_CYCLE_1)
	s_or_b32 exec_lo, exec_lo, s31
	global_store_b8 v[2:3], v5, off
.LBB111_347:
	s_mov_b32 s31, -1
.LBB111_348:
	s_mov_b32 s34, 0
.LBB111_349:
	s_delay_alu instid0(SALU_CYCLE_1)
	s_and_b32 vcc_lo, exec_lo, s34
	s_cbranch_vccz .LBB111_390
; %bb.350:
	s_cmp_gt_i32 s30, 22
	s_mov_b32 s34, -1
	s_cbranch_scc0 .LBB111_382
; %bb.351:
	s_cmp_lt_i32 s30, 24
	s_mov_b32 s31, -1
	s_cbranch_scc1 .LBB111_371
; %bb.352:
	s_cmp_gt_i32 s30, 24
	s_cbranch_scc0 .LBB111_360
; %bb.353:
	s_wait_xcnt 0x0
	v_cndmask_b32_e64 v4, 0, 1.0, s1
	v_mov_b32_e32 v5, 0x80
	s_mov_b32 s31, exec_lo
	s_delay_alu instid0(VALU_DEP_2)
	v_cmpx_gt_u32_e32 0x47800000, v4
	s_cbranch_execz .LBB111_359
; %bb.354:
	s_mov_b32 s34, 0
	s_mov_b32 s35, exec_lo
                                        ; implicit-def: $vgpr1
	v_cmpx_lt_u32_e32 0x37ffffff, v4
	s_xor_b32 s35, exec_lo, s35
	s_cbranch_execz .LBB111_579
; %bb.355:
	v_bfe_u32 v1, v4, 21, 1
	s_mov_b32 s34, exec_lo
	s_delay_alu instid0(VALU_DEP_1) | instskip(NEXT) | instid1(VALU_DEP_1)
	v_add3_u32 v1, v4, v1, 0x88fffff
                                        ; implicit-def: $vgpr4
	v_lshrrev_b32_e32 v1, 21, v1
	s_and_not1_saveexec_b32 s35, s35
	s_cbranch_execnz .LBB111_580
.LBB111_356:
	s_or_b32 exec_lo, exec_lo, s35
	v_mov_b32_e32 v5, 0
	s_and_saveexec_b32 s35, s34
.LBB111_357:
	v_mov_b32_e32 v5, v1
.LBB111_358:
	s_or_b32 exec_lo, exec_lo, s35
.LBB111_359:
	s_delay_alu instid0(SALU_CYCLE_1)
	s_or_b32 exec_lo, exec_lo, s31
	s_mov_b32 s31, 0
	global_store_b8 v[2:3], v5, off
.LBB111_360:
	s_and_b32 vcc_lo, exec_lo, s31
	s_cbranch_vccz .LBB111_370
; %bb.361:
	s_wait_xcnt 0x0
	v_cndmask_b32_e64 v4, 0, 1.0, s1
	s_mov_b32 s31, exec_lo
                                        ; implicit-def: $vgpr1
	s_delay_alu instid0(VALU_DEP_1)
	v_cmpx_gt_u32_e32 0x43f00000, v4
	s_xor_b32 s31, exec_lo, s31
	s_cbranch_execz .LBB111_367
; %bb.362:
	s_mov_b32 s34, exec_lo
                                        ; implicit-def: $vgpr1
	v_cmpx_lt_u32_e32 0x3c7fffff, v4
	s_xor_b32 s34, exec_lo, s34
; %bb.363:
	v_bfe_u32 v1, v4, 20, 1
	s_delay_alu instid0(VALU_DEP_1) | instskip(NEXT) | instid1(VALU_DEP_1)
	v_add3_u32 v1, v4, v1, 0x407ffff
	v_and_b32_e32 v4, 0xff00000, v1
	v_lshrrev_b32_e32 v1, 20, v1
	s_delay_alu instid0(VALU_DEP_2) | instskip(NEXT) | instid1(VALU_DEP_2)
	v_cmp_ne_u32_e32 vcc_lo, 0x7f00000, v4
                                        ; implicit-def: $vgpr4
	v_cndmask_b32_e32 v1, 0x7e, v1, vcc_lo
; %bb.364:
	s_and_not1_saveexec_b32 s34, s34
; %bb.365:
	v_add_f32_e32 v1, 0x46800000, v4
; %bb.366:
	s_or_b32 exec_lo, exec_lo, s34
                                        ; implicit-def: $vgpr4
.LBB111_367:
	s_and_not1_saveexec_b32 s31, s31
; %bb.368:
	v_mov_b32_e32 v1, 0x7f
	v_cmp_lt_u32_e32 vcc_lo, 0x7f800000, v4
	s_delay_alu instid0(VALU_DEP_2)
	v_cndmask_b32_e32 v1, 0x7e, v1, vcc_lo
; %bb.369:
	s_or_b32 exec_lo, exec_lo, s31
	global_store_b8 v[2:3], v1, off
.LBB111_370:
	s_mov_b32 s31, 0
.LBB111_371:
	s_delay_alu instid0(SALU_CYCLE_1)
	s_and_not1_b32 vcc_lo, exec_lo, s31
	s_cbranch_vccnz .LBB111_381
; %bb.372:
	s_wait_xcnt 0x0
	v_cndmask_b32_e64 v4, 0, 1.0, s1
	s_mov_b32 s31, exec_lo
                                        ; implicit-def: $vgpr1
	s_delay_alu instid0(VALU_DEP_1)
	v_cmpx_gt_u32_e32 0x47800000, v4
	s_xor_b32 s31, exec_lo, s31
	s_cbranch_execz .LBB111_378
; %bb.373:
	s_mov_b32 s34, exec_lo
                                        ; implicit-def: $vgpr1
	v_cmpx_lt_u32_e32 0x387fffff, v4
	s_xor_b32 s34, exec_lo, s34
; %bb.374:
	v_bfe_u32 v1, v4, 21, 1
	s_delay_alu instid0(VALU_DEP_1) | instskip(NEXT) | instid1(VALU_DEP_1)
	v_add3_u32 v1, v4, v1, 0x80fffff
                                        ; implicit-def: $vgpr4
	v_lshrrev_b32_e32 v1, 21, v1
; %bb.375:
	s_and_not1_saveexec_b32 s34, s34
; %bb.376:
	v_add_f32_e32 v1, 0x43000000, v4
; %bb.377:
	s_or_b32 exec_lo, exec_lo, s34
                                        ; implicit-def: $vgpr4
.LBB111_378:
	s_and_not1_saveexec_b32 s31, s31
; %bb.379:
	v_mov_b32_e32 v1, 0x7f
	v_cmp_lt_u32_e32 vcc_lo, 0x7f800000, v4
	s_delay_alu instid0(VALU_DEP_2)
	v_cndmask_b32_e32 v1, 0x7c, v1, vcc_lo
; %bb.380:
	s_or_b32 exec_lo, exec_lo, s31
	global_store_b8 v[2:3], v1, off
.LBB111_381:
	s_mov_b32 s34, 0
	s_mov_b32 s31, -1
.LBB111_382:
	s_and_not1_b32 vcc_lo, exec_lo, s34
	s_cbranch_vccnz .LBB111_390
; %bb.383:
	s_cmp_gt_i32 s30, 14
	s_mov_b32 s34, -1
	s_cbranch_scc0 .LBB111_387
; %bb.384:
	s_cmp_eq_u32 s30, 15
	s_mov_b32 s2, -1
	s_cbranch_scc0 .LBB111_386
; %bb.385:
	s_wait_xcnt 0x0
	v_cndmask_b32_e64 v1, 0, 1.0, s1
	s_mov_b32 s31, -1
	s_mov_b32 s2, 0
	s_delay_alu instid0(VALU_DEP_1) | instskip(NEXT) | instid1(VALU_DEP_1)
	v_bfe_u32 v4, v1, 16, 1
	v_add3_u32 v1, v1, v4, 0x7fff
	global_store_d16_hi_b16 v[2:3], v1, off
.LBB111_386:
	s_mov_b32 s34, 0
.LBB111_387:
	s_delay_alu instid0(SALU_CYCLE_1)
	s_and_b32 vcc_lo, exec_lo, s34
	s_cbranch_vccz .LBB111_390
; %bb.388:
	s_cmp_eq_u32 s30, 11
	s_mov_b32 s2, -1
	s_cbranch_scc0 .LBB111_390
; %bb.389:
	s_wait_xcnt 0x0
	v_cndmask_b32_e64 v1, 0, 1, s1
	s_mov_b32 s31, -1
	s_mov_b32 s2, 0
	global_store_b8 v[2:3], v1, off
.LBB111_390:
	s_mov_b32 s30, 0
.LBB111_391:
	s_delay_alu instid0(SALU_CYCLE_1)
	s_and_b32 vcc_lo, exec_lo, s30
	s_cbranch_vccz .LBB111_430
; %bb.392:
	s_and_b32 s29, 0xffff, s29
	s_mov_b32 s30, -1
	s_cmp_lt_i32 s29, 5
	s_cbranch_scc1 .LBB111_413
; %bb.393:
	s_cmp_lt_i32 s29, 8
	s_cbranch_scc1 .LBB111_403
; %bb.394:
	;; [unrolled: 3-line block ×3, first 2 shown]
	s_cmp_gt_i32 s29, 9
	s_cbranch_scc0 .LBB111_397
; %bb.396:
	s_wait_xcnt 0x0
	v_cndmask_b32_e64 v1, 0, 1, s1
	v_mov_b32_e32 v6, 0
	s_mov_b32 s30, 0
	s_delay_alu instid0(VALU_DEP_2) | instskip(NEXT) | instid1(VALU_DEP_2)
	v_cvt_f64_u32_e32 v[4:5], v1
	v_mov_b32_e32 v7, v6
	global_store_b128 v[2:3], v[4:7], off
.LBB111_397:
	s_and_not1_b32 vcc_lo, exec_lo, s30
	s_cbranch_vccnz .LBB111_399
; %bb.398:
	s_wait_xcnt 0x0
	v_cndmask_b32_e64 v4, 0, 1.0, s1
	v_mov_b32_e32 v5, 0
	global_store_b64 v[2:3], v[4:5], off
.LBB111_399:
	s_mov_b32 s30, 0
.LBB111_400:
	s_delay_alu instid0(SALU_CYCLE_1)
	s_and_not1_b32 vcc_lo, exec_lo, s30
	s_cbranch_vccnz .LBB111_402
; %bb.401:
	s_wait_xcnt 0x0
	v_cndmask_b32_e64 v1, 0, 1.0, s1
	s_delay_alu instid0(VALU_DEP_1) | instskip(NEXT) | instid1(VALU_DEP_1)
	v_cvt_f16_f32_e32 v1, v1
	v_and_b32_e32 v1, 0xffff, v1
	global_store_b32 v[2:3], v1, off
.LBB111_402:
	s_mov_b32 s30, 0
.LBB111_403:
	s_delay_alu instid0(SALU_CYCLE_1)
	s_and_not1_b32 vcc_lo, exec_lo, s30
	s_cbranch_vccnz .LBB111_412
; %bb.404:
	s_cmp_lt_i32 s29, 6
	s_mov_b32 s30, -1
	s_cbranch_scc1 .LBB111_410
; %bb.405:
	s_cmp_gt_i32 s29, 6
	s_cbranch_scc0 .LBB111_407
; %bb.406:
	s_wait_xcnt 0x0
	v_cndmask_b32_e64 v1, 0, 1, s1
	s_mov_b32 s30, 0
	s_delay_alu instid0(VALU_DEP_1)
	v_cvt_f64_u32_e32 v[4:5], v1
	global_store_b64 v[2:3], v[4:5], off
.LBB111_407:
	s_and_not1_b32 vcc_lo, exec_lo, s30
	s_cbranch_vccnz .LBB111_409
; %bb.408:
	s_wait_xcnt 0x0
	v_cndmask_b32_e64 v1, 0, 1.0, s1
	global_store_b32 v[2:3], v1, off
.LBB111_409:
	s_mov_b32 s30, 0
.LBB111_410:
	s_delay_alu instid0(SALU_CYCLE_1)
	s_and_not1_b32 vcc_lo, exec_lo, s30
	s_cbranch_vccnz .LBB111_412
; %bb.411:
	s_wait_xcnt 0x0
	v_cndmask_b32_e64 v1, 0, 1.0, s1
	s_delay_alu instid0(VALU_DEP_1)
	v_cvt_f16_f32_e32 v1, v1
	global_store_b16 v[2:3], v1, off
.LBB111_412:
	s_mov_b32 s30, 0
.LBB111_413:
	s_delay_alu instid0(SALU_CYCLE_1)
	s_and_not1_b32 vcc_lo, exec_lo, s30
	s_cbranch_vccnz .LBB111_429
; %bb.414:
	s_cmp_lt_i32 s29, 2
	s_mov_b32 s30, -1
	s_cbranch_scc1 .LBB111_424
; %bb.415:
	s_cmp_lt_i32 s29, 3
	s_cbranch_scc1 .LBB111_421
; %bb.416:
	s_cmp_gt_i32 s29, 3
	s_cbranch_scc0 .LBB111_418
; %bb.417:
	s_mov_b32 s30, 0
	s_wait_xcnt 0x0
	v_cndmask_b32_e64 v4, 0, 1, s1
	v_mov_b32_e32 v5, s30
	global_store_b64 v[2:3], v[4:5], off
.LBB111_418:
	s_and_not1_b32 vcc_lo, exec_lo, s30
	s_cbranch_vccnz .LBB111_420
; %bb.419:
	s_wait_xcnt 0x0
	v_cndmask_b32_e64 v1, 0, 1, s1
	global_store_b32 v[2:3], v1, off
.LBB111_420:
	s_mov_b32 s30, 0
.LBB111_421:
	s_delay_alu instid0(SALU_CYCLE_1)
	s_and_not1_b32 vcc_lo, exec_lo, s30
	s_cbranch_vccnz .LBB111_423
; %bb.422:
	s_wait_xcnt 0x0
	v_cndmask_b32_e64 v1, 0, 1, s1
	global_store_b16 v[2:3], v1, off
.LBB111_423:
	s_mov_b32 s30, 0
.LBB111_424:
	s_delay_alu instid0(SALU_CYCLE_1)
	s_and_not1_b32 vcc_lo, exec_lo, s30
	s_cbranch_vccnz .LBB111_429
; %bb.425:
	s_wait_xcnt 0x0
	v_cndmask_b32_e64 v1, 0, 1, s1
	s_cmp_gt_i32 s29, 0
	s_mov_b32 s1, -1
	s_cbranch_scc0 .LBB111_427
; %bb.426:
	s_mov_b32 s1, 0
	global_store_b8 v[2:3], v1, off
.LBB111_427:
	s_and_not1_b32 vcc_lo, exec_lo, s1
	s_cbranch_vccnz .LBB111_429
; %bb.428:
	global_store_b8 v[2:3], v1, off
.LBB111_429:
	s_mov_b32 s31, -1
.LBB111_430:
	s_delay_alu instid0(SALU_CYCLE_1)
	s_and_not1_b32 vcc_lo, exec_lo, s31
	s_cbranch_vccnz .LBB111_432
; %bb.431:
	v_add_nc_u32_e32 v0, 0x80, v0
	s_mov_b32 s1, -1
	s_branch .LBB111_545
.LBB111_432:
	s_mov_b32 s1, 0
	s_branch .LBB111_544
.LBB111_433:
	s_mov_b32 s28, -1
                                        ; implicit-def: $vgpr1
.LBB111_434:
	s_mov_b32 s29, 0
.LBB111_435:
	s_delay_alu instid0(SALU_CYCLE_1)
	s_and_b32 vcc_lo, exec_lo, s29
	s_cbranch_vccz .LBB111_439
; %bb.436:
	s_cmp_eq_u32 s1, 29
	s_cbranch_scc0 .LBB111_438
; %bb.437:
	global_load_b64 v[6:7], v[4:5], off
	s_mov_b32 s2, -1
	s_mov_b32 s28, 0
	s_mov_b32 s29, 0
	s_wait_loadcnt 0x0
	v_clz_i32_u32_e32 v1, v7
	s_delay_alu instid0(VALU_DEP_1) | instskip(NEXT) | instid1(VALU_DEP_1)
	v_min_u32_e32 v1, 32, v1
	v_lshlrev_b64_e32 v[6:7], v1, v[6:7]
	v_sub_nc_u32_e32 v1, 32, v1
	s_delay_alu instid0(VALU_DEP_2) | instskip(NEXT) | instid1(VALU_DEP_1)
	v_min_u32_e32 v3, 1, v6
	v_or_b32_e32 v3, v7, v3
	s_delay_alu instid0(VALU_DEP_1) | instskip(NEXT) | instid1(VALU_DEP_1)
	v_cvt_f32_u32_e32 v3, v3
	v_ldexp_f32 v1, v3, v1
	s_branch .LBB111_440
.LBB111_438:
	s_mov_b32 s28, -1
                                        ; implicit-def: $vgpr1
.LBB111_439:
	s_mov_b32 s29, 0
.LBB111_440:
	s_delay_alu instid0(SALU_CYCLE_1)
	s_and_b32 vcc_lo, exec_lo, s29
	s_cbranch_vccz .LBB111_458
; %bb.441:
	s_cmp_lt_i32 s1, 27
	s_cbranch_scc1 .LBB111_444
; %bb.442:
	s_cmp_gt_i32 s1, 27
	s_cbranch_scc0 .LBB111_445
; %bb.443:
	s_wait_loadcnt 0x0
	global_load_b32 v1, v[4:5], off
	s_mov_b32 s2, 0
	s_wait_loadcnt 0x0
	v_cvt_f32_u32_e32 v1, v1
	s_branch .LBB111_446
.LBB111_444:
	s_mov_b32 s2, -1
                                        ; implicit-def: $vgpr1
	s_branch .LBB111_449
.LBB111_445:
	s_mov_b32 s2, -1
                                        ; implicit-def: $vgpr1
.LBB111_446:
	s_delay_alu instid0(SALU_CYCLE_1)
	s_and_not1_b32 vcc_lo, exec_lo, s2
	s_cbranch_vccnz .LBB111_448
; %bb.447:
	s_wait_loadcnt 0x0
	global_load_u16 v1, v[4:5], off
	s_wait_loadcnt 0x0
	v_cvt_f32_u32_e32 v1, v1
.LBB111_448:
	s_mov_b32 s2, 0
.LBB111_449:
	s_delay_alu instid0(SALU_CYCLE_1)
	s_and_not1_b32 vcc_lo, exec_lo, s2
	s_cbranch_vccnz .LBB111_457
; %bb.450:
	global_load_u8 v3, v[4:5], off
	s_mov_b32 s2, 0
	s_mov_b32 s29, exec_lo
	s_wait_loadcnt 0x0
	v_cmpx_lt_i16_e32 0x7f, v3
	s_xor_b32 s29, exec_lo, s29
	s_cbranch_execz .LBB111_471
; %bb.451:
	s_mov_b32 s2, -1
	s_mov_b32 s30, exec_lo
	v_cmpx_eq_u16_e32 0x80, v3
; %bb.452:
	s_xor_b32 s2, exec_lo, -1
; %bb.453:
	s_or_b32 exec_lo, exec_lo, s30
	s_delay_alu instid0(SALU_CYCLE_1)
	s_and_b32 s2, s2, exec_lo
	s_or_saveexec_b32 s29, s29
	v_mov_b32_e32 v1, 0x7f800001
	s_xor_b32 exec_lo, exec_lo, s29
	s_cbranch_execnz .LBB111_472
.LBB111_454:
	s_or_b32 exec_lo, exec_lo, s29
	s_and_saveexec_b32 s29, s2
	s_cbranch_execz .LBB111_456
.LBB111_455:
	v_and_b32_e32 v1, 0xffff, v3
	s_delay_alu instid0(VALU_DEP_1) | instskip(SKIP_1) | instid1(VALU_DEP_2)
	v_and_b32_e32 v6, 7, v1
	v_bfe_u32 v9, v1, 3, 4
	v_clz_i32_u32_e32 v7, v6
	s_delay_alu instid0(VALU_DEP_2) | instskip(NEXT) | instid1(VALU_DEP_2)
	v_cmp_eq_u32_e32 vcc_lo, 0, v9
	v_min_u32_e32 v7, 32, v7
	s_delay_alu instid0(VALU_DEP_1) | instskip(NEXT) | instid1(VALU_DEP_1)
	v_subrev_nc_u32_e32 v8, 28, v7
	v_dual_lshlrev_b32 v1, v8, v1 :: v_dual_sub_nc_u32 v7, 29, v7
	s_delay_alu instid0(VALU_DEP_1) | instskip(NEXT) | instid1(VALU_DEP_1)
	v_dual_lshlrev_b32 v3, 24, v3 :: v_dual_bitop2_b32 v1, 7, v1 bitop3:0x40
	v_dual_cndmask_b32 v1, v6, v1, vcc_lo :: v_dual_cndmask_b32 v7, v9, v7, vcc_lo
	s_delay_alu instid0(VALU_DEP_2) | instskip(NEXT) | instid1(VALU_DEP_2)
	v_and_b32_e32 v3, 0x80000000, v3
	v_lshlrev_b32_e32 v1, 20, v1
	s_delay_alu instid0(VALU_DEP_3) | instskip(NEXT) | instid1(VALU_DEP_1)
	v_lshl_add_u32 v6, v7, 23, 0x3b800000
	v_or3_b32 v1, v3, v6, v1
.LBB111_456:
	s_or_b32 exec_lo, exec_lo, s29
.LBB111_457:
	s_mov_b32 s2, -1
.LBB111_458:
	s_mov_b32 s29, 0
.LBB111_459:
	s_delay_alu instid0(SALU_CYCLE_1)
	s_and_b32 vcc_lo, exec_lo, s29
	s_cbranch_vccz .LBB111_494
; %bb.460:
	s_cmp_gt_i32 s1, 22
	s_cbranch_scc0 .LBB111_470
; %bb.461:
	s_cmp_lt_i32 s1, 24
	s_cbranch_scc1 .LBB111_473
; %bb.462:
	s_cmp_gt_i32 s1, 24
	s_cbranch_scc0 .LBB111_474
; %bb.463:
	global_load_u8 v3, v[4:5], off
	s_mov_b32 s2, 0
	s_mov_b32 s29, exec_lo
	s_wait_loadcnt 0x0
	v_cmpx_lt_i16_e32 0x7f, v3
	s_xor_b32 s29, exec_lo, s29
	s_cbranch_execz .LBB111_486
; %bb.464:
	s_mov_b32 s2, -1
	s_mov_b32 s30, exec_lo
	v_cmpx_eq_u16_e32 0x80, v3
; %bb.465:
	s_xor_b32 s2, exec_lo, -1
; %bb.466:
	s_or_b32 exec_lo, exec_lo, s30
	s_delay_alu instid0(SALU_CYCLE_1)
	s_and_b32 s2, s2, exec_lo
	s_or_saveexec_b32 s29, s29
	v_mov_b32_e32 v1, 0x7f800001
	s_xor_b32 exec_lo, exec_lo, s29
	s_cbranch_execnz .LBB111_487
.LBB111_467:
	s_or_b32 exec_lo, exec_lo, s29
	s_and_saveexec_b32 s29, s2
	s_cbranch_execz .LBB111_469
.LBB111_468:
	v_and_b32_e32 v1, 0xffff, v3
	s_delay_alu instid0(VALU_DEP_1) | instskip(SKIP_1) | instid1(VALU_DEP_2)
	v_and_b32_e32 v6, 3, v1
	v_bfe_u32 v9, v1, 2, 5
	v_clz_i32_u32_e32 v7, v6
	s_delay_alu instid0(VALU_DEP_2) | instskip(NEXT) | instid1(VALU_DEP_2)
	v_cmp_eq_u32_e32 vcc_lo, 0, v9
	v_min_u32_e32 v7, 32, v7
	s_delay_alu instid0(VALU_DEP_1) | instskip(NEXT) | instid1(VALU_DEP_1)
	v_subrev_nc_u32_e32 v8, 29, v7
	v_dual_lshlrev_b32 v1, v8, v1 :: v_dual_sub_nc_u32 v7, 30, v7
	s_delay_alu instid0(VALU_DEP_1) | instskip(NEXT) | instid1(VALU_DEP_1)
	v_dual_lshlrev_b32 v3, 24, v3 :: v_dual_bitop2_b32 v1, 3, v1 bitop3:0x40
	v_dual_cndmask_b32 v1, v6, v1, vcc_lo :: v_dual_cndmask_b32 v7, v9, v7, vcc_lo
	s_delay_alu instid0(VALU_DEP_2) | instskip(NEXT) | instid1(VALU_DEP_2)
	v_and_b32_e32 v3, 0x80000000, v3
	v_lshlrev_b32_e32 v1, 21, v1
	s_delay_alu instid0(VALU_DEP_3) | instskip(NEXT) | instid1(VALU_DEP_1)
	v_lshl_add_u32 v6, v7, 23, 0x37800000
	v_or3_b32 v1, v3, v6, v1
.LBB111_469:
	s_or_b32 exec_lo, exec_lo, s29
	s_mov_b32 s2, 0
	s_branch .LBB111_475
.LBB111_470:
	s_mov_b32 s29, -1
                                        ; implicit-def: $vgpr1
	s_branch .LBB111_481
.LBB111_471:
	s_or_saveexec_b32 s29, s29
	v_mov_b32_e32 v1, 0x7f800001
	s_xor_b32 exec_lo, exec_lo, s29
	s_cbranch_execz .LBB111_454
.LBB111_472:
	v_cmp_ne_u16_e32 vcc_lo, 0, v3
	v_mov_b32_e32 v1, 0
	s_and_not1_b32 s2, s2, exec_lo
	s_and_b32 s30, vcc_lo, exec_lo
	s_delay_alu instid0(SALU_CYCLE_1)
	s_or_b32 s2, s2, s30
	s_or_b32 exec_lo, exec_lo, s29
	s_and_saveexec_b32 s29, s2
	s_cbranch_execnz .LBB111_455
	s_branch .LBB111_456
.LBB111_473:
	s_mov_b32 s2, -1
                                        ; implicit-def: $vgpr1
	s_branch .LBB111_478
.LBB111_474:
	s_mov_b32 s2, -1
                                        ; implicit-def: $vgpr1
.LBB111_475:
	s_delay_alu instid0(SALU_CYCLE_1)
	s_and_b32 vcc_lo, exec_lo, s2
	s_cbranch_vccz .LBB111_477
; %bb.476:
	s_wait_loadcnt 0x0
	global_load_u8 v1, v[4:5], off
	s_wait_loadcnt 0x0
	v_lshlrev_b32_e32 v1, 24, v1
	s_delay_alu instid0(VALU_DEP_1) | instskip(NEXT) | instid1(VALU_DEP_1)
	v_and_b32_e32 v3, 0x7f000000, v1
	v_clz_i32_u32_e32 v6, v3
	v_cmp_ne_u32_e32 vcc_lo, 0, v3
	v_add_nc_u32_e32 v8, 0x1000000, v3
	s_delay_alu instid0(VALU_DEP_3) | instskip(NEXT) | instid1(VALU_DEP_1)
	v_min_u32_e32 v6, 32, v6
	v_sub_nc_u32_e64 v6, v6, 4 clamp
	s_delay_alu instid0(VALU_DEP_1) | instskip(NEXT) | instid1(VALU_DEP_1)
	v_dual_lshlrev_b32 v7, v6, v3 :: v_dual_lshlrev_b32 v6, 23, v6
	v_lshrrev_b32_e32 v7, 4, v7
	s_delay_alu instid0(VALU_DEP_1) | instskip(NEXT) | instid1(VALU_DEP_1)
	v_dual_sub_nc_u32 v6, v7, v6 :: v_dual_ashrrev_i32 v7, 8, v8
	v_add_nc_u32_e32 v6, 0x3c000000, v6
	s_delay_alu instid0(VALU_DEP_1) | instskip(NEXT) | instid1(VALU_DEP_1)
	v_and_or_b32 v6, 0x7f800000, v7, v6
	v_cndmask_b32_e32 v3, 0, v6, vcc_lo
	s_delay_alu instid0(VALU_DEP_1)
	v_and_or_b32 v1, 0x80000000, v1, v3
.LBB111_477:
	s_mov_b32 s2, 0
.LBB111_478:
	s_delay_alu instid0(SALU_CYCLE_1)
	s_and_not1_b32 vcc_lo, exec_lo, s2
	s_cbranch_vccnz .LBB111_480
; %bb.479:
	s_wait_loadcnt 0x0
	global_load_u8 v1, v[4:5], off
	s_wait_loadcnt 0x0
	v_lshlrev_b32_e32 v3, 25, v1
	v_lshlrev_b16 v1, 8, v1
	s_delay_alu instid0(VALU_DEP_1) | instskip(SKIP_1) | instid1(VALU_DEP_2)
	v_and_or_b32 v7, 0x7f00, v1, 0.5
	v_bfe_i32 v1, v1, 0, 16
	v_add_f32_e32 v7, -0.5, v7
	v_lshrrev_b32_e32 v6, 4, v3
	v_cmp_gt_u32_e32 vcc_lo, 0x8000000, v3
	s_delay_alu instid0(VALU_DEP_2) | instskip(NEXT) | instid1(VALU_DEP_1)
	v_or_b32_e32 v6, 0x70000000, v6
	v_mul_f32_e32 v6, 0x7800000, v6
	s_delay_alu instid0(VALU_DEP_1) | instskip(NEXT) | instid1(VALU_DEP_1)
	v_cndmask_b32_e32 v3, v6, v7, vcc_lo
	v_and_or_b32 v1, 0x80000000, v1, v3
.LBB111_480:
	s_mov_b32 s29, 0
	s_mov_b32 s2, -1
.LBB111_481:
	s_and_not1_b32 vcc_lo, exec_lo, s29
	s_cbranch_vccnz .LBB111_494
; %bb.482:
	s_cmp_gt_i32 s1, 14
	s_cbranch_scc0 .LBB111_485
; %bb.483:
	s_cmp_eq_u32 s1, 15
	s_cbranch_scc0 .LBB111_488
; %bb.484:
	s_wait_loadcnt 0x0
	global_load_u16 v1, v[4:5], off
	s_mov_b32 s2, -1
	s_mov_b32 s28, 0
	s_wait_loadcnt 0x0
	v_lshlrev_b32_e32 v1, 16, v1
	s_branch .LBB111_489
.LBB111_485:
	s_mov_b32 s29, -1
                                        ; implicit-def: $vgpr1
	s_branch .LBB111_490
.LBB111_486:
	s_or_saveexec_b32 s29, s29
	v_mov_b32_e32 v1, 0x7f800001
	s_xor_b32 exec_lo, exec_lo, s29
	s_cbranch_execz .LBB111_467
.LBB111_487:
	v_cmp_ne_u16_e32 vcc_lo, 0, v3
	v_mov_b32_e32 v1, 0
	s_and_not1_b32 s2, s2, exec_lo
	s_and_b32 s30, vcc_lo, exec_lo
	s_delay_alu instid0(SALU_CYCLE_1)
	s_or_b32 s2, s2, s30
	s_or_b32 exec_lo, exec_lo, s29
	s_and_saveexec_b32 s29, s2
	s_cbranch_execnz .LBB111_468
	s_branch .LBB111_469
.LBB111_488:
	s_mov_b32 s28, -1
                                        ; implicit-def: $vgpr1
.LBB111_489:
	s_mov_b32 s29, 0
.LBB111_490:
	s_delay_alu instid0(SALU_CYCLE_1)
	s_and_b32 vcc_lo, exec_lo, s29
	s_cbranch_vccz .LBB111_494
; %bb.491:
	s_cmp_eq_u32 s1, 11
	s_cbranch_scc0 .LBB111_493
; %bb.492:
	s_wait_loadcnt 0x0
	global_load_u8 v1, v[4:5], off
	s_mov_b32 s28, 0
	s_mov_b32 s2, -1
	s_wait_loadcnt 0x0
	v_cmp_ne_u16_e32 vcc_lo, 0, v1
	v_cndmask_b32_e64 v1, 0, 1.0, vcc_lo
	s_branch .LBB111_494
.LBB111_493:
	s_mov_b32 s28, -1
                                        ; implicit-def: $vgpr1
.LBB111_494:
	s_branch .LBB111_296
.LBB111_495:
	s_cmp_lt_i32 s1, 5
	s_cbranch_scc1 .LBB111_500
; %bb.496:
	s_cmp_lt_i32 s1, 8
	s_cbranch_scc1 .LBB111_501
; %bb.497:
	;; [unrolled: 3-line block ×3, first 2 shown]
	s_cmp_gt_i32 s1, 9
	s_cbranch_scc0 .LBB111_503
; %bb.499:
	global_load_b64 v[6:7], v[4:5], off
	s_mov_b32 s2, 0
	s_wait_loadcnt 0x0
	v_cvt_f32_f64_e32 v1, v[6:7]
	s_branch .LBB111_504
.LBB111_500:
	s_mov_b32 s2, -1
                                        ; implicit-def: $vgpr1
	s_branch .LBB111_522
.LBB111_501:
	s_mov_b32 s2, -1
                                        ; implicit-def: $vgpr1
	s_branch .LBB111_510
.LBB111_502:
	s_mov_b32 s2, -1
                                        ; implicit-def: $vgpr1
	s_branch .LBB111_507
.LBB111_503:
	s_mov_b32 s2, -1
                                        ; implicit-def: $vgpr1
.LBB111_504:
	s_delay_alu instid0(SALU_CYCLE_1)
	s_and_not1_b32 vcc_lo, exec_lo, s2
	s_cbranch_vccnz .LBB111_506
; %bb.505:
	s_wait_loadcnt 0x0
	global_load_b32 v1, v[4:5], off
.LBB111_506:
	s_mov_b32 s2, 0
.LBB111_507:
	s_delay_alu instid0(SALU_CYCLE_1)
	s_and_not1_b32 vcc_lo, exec_lo, s2
	s_cbranch_vccnz .LBB111_509
; %bb.508:
	s_wait_loadcnt 0x0
	global_load_b32 v1, v[4:5], off
	s_wait_loadcnt 0x0
	v_cvt_f32_f16_e32 v1, v1
.LBB111_509:
	s_mov_b32 s2, 0
.LBB111_510:
	s_delay_alu instid0(SALU_CYCLE_1)
	s_and_not1_b32 vcc_lo, exec_lo, s2
	s_cbranch_vccnz .LBB111_521
; %bb.511:
	s_cmp_lt_i32 s1, 6
	s_cbranch_scc1 .LBB111_514
; %bb.512:
	s_cmp_gt_i32 s1, 6
	s_cbranch_scc0 .LBB111_515
; %bb.513:
	global_load_b64 v[6:7], v[4:5], off
	s_mov_b32 s2, 0
	s_wait_loadcnt 0x0
	v_cvt_f32_f64_e32 v1, v[6:7]
	s_branch .LBB111_516
.LBB111_514:
	s_mov_b32 s2, -1
                                        ; implicit-def: $vgpr1
	s_branch .LBB111_519
.LBB111_515:
	s_mov_b32 s2, -1
                                        ; implicit-def: $vgpr1
.LBB111_516:
	s_delay_alu instid0(SALU_CYCLE_1)
	s_and_not1_b32 vcc_lo, exec_lo, s2
	s_cbranch_vccnz .LBB111_518
; %bb.517:
	s_wait_loadcnt 0x0
	global_load_b32 v1, v[4:5], off
.LBB111_518:
	s_mov_b32 s2, 0
.LBB111_519:
	s_delay_alu instid0(SALU_CYCLE_1)
	s_and_not1_b32 vcc_lo, exec_lo, s2
	s_cbranch_vccnz .LBB111_521
; %bb.520:
	s_wait_loadcnt 0x0
	global_load_u16 v1, v[4:5], off
	s_wait_loadcnt 0x0
	v_cvt_f32_f16_e32 v1, v1
.LBB111_521:
	s_mov_b32 s2, 0
.LBB111_522:
	s_delay_alu instid0(SALU_CYCLE_1)
	s_and_not1_b32 vcc_lo, exec_lo, s2
	s_cbranch_vccnz .LBB111_542
; %bb.523:
	s_cmp_lt_i32 s1, 2
	s_cbranch_scc1 .LBB111_527
; %bb.524:
	s_cmp_lt_i32 s1, 3
	s_cbranch_scc1 .LBB111_528
; %bb.525:
	s_cmp_gt_i32 s1, 3
	s_cbranch_scc0 .LBB111_529
; %bb.526:
	global_load_b64 v[6:7], v[4:5], off
	s_mov_b32 s2, 0
	s_wait_loadcnt 0x0
	v_xor_b32_e32 v1, v6, v7
	v_cls_i32_e32 v3, v7
	s_delay_alu instid0(VALU_DEP_2) | instskip(NEXT) | instid1(VALU_DEP_1)
	v_ashrrev_i32_e32 v1, 31, v1
	v_add_nc_u32_e32 v1, 32, v1
	s_delay_alu instid0(VALU_DEP_1) | instskip(NEXT) | instid1(VALU_DEP_1)
	v_add_min_u32_e64 v1, v3, -1, v1
	v_lshlrev_b64_e32 v[6:7], v1, v[6:7]
	v_sub_nc_u32_e32 v1, 32, v1
	s_delay_alu instid0(VALU_DEP_2) | instskip(NEXT) | instid1(VALU_DEP_1)
	v_min_u32_e32 v3, 1, v6
	v_or_b32_e32 v3, v7, v3
	s_delay_alu instid0(VALU_DEP_1) | instskip(NEXT) | instid1(VALU_DEP_1)
	v_cvt_f32_i32_e32 v3, v3
	v_ldexp_f32 v1, v3, v1
	s_branch .LBB111_530
.LBB111_527:
	s_mov_b32 s2, -1
                                        ; implicit-def: $vgpr1
	s_branch .LBB111_536
.LBB111_528:
	s_mov_b32 s2, -1
                                        ; implicit-def: $vgpr1
	s_branch .LBB111_533
.LBB111_529:
	s_mov_b32 s2, -1
                                        ; implicit-def: $vgpr1
.LBB111_530:
	s_delay_alu instid0(SALU_CYCLE_1)
	s_and_not1_b32 vcc_lo, exec_lo, s2
	s_cbranch_vccnz .LBB111_532
; %bb.531:
	s_wait_loadcnt 0x0
	global_load_b32 v1, v[4:5], off
	s_wait_loadcnt 0x0
	v_cvt_f32_i32_e32 v1, v1
.LBB111_532:
	s_mov_b32 s2, 0
.LBB111_533:
	s_delay_alu instid0(SALU_CYCLE_1)
	s_and_not1_b32 vcc_lo, exec_lo, s2
	s_cbranch_vccnz .LBB111_535
; %bb.534:
	s_wait_loadcnt 0x0
	global_load_i16 v1, v[4:5], off
	s_wait_loadcnt 0x0
	v_cvt_f32_i32_e32 v1, v1
.LBB111_535:
	s_mov_b32 s2, 0
.LBB111_536:
	s_delay_alu instid0(SALU_CYCLE_1)
	s_and_not1_b32 vcc_lo, exec_lo, s2
	s_cbranch_vccnz .LBB111_542
; %bb.537:
	s_cmp_gt_i32 s1, 0
	s_mov_b32 s1, 0
	s_cbranch_scc0 .LBB111_539
; %bb.538:
	s_wait_loadcnt 0x0
	global_load_i8 v1, v[4:5], off
	s_wait_loadcnt 0x0
	v_cvt_f32_i32_e32 v1, v1
	s_branch .LBB111_540
.LBB111_539:
	s_mov_b32 s1, -1
                                        ; implicit-def: $vgpr1
.LBB111_540:
	s_delay_alu instid0(SALU_CYCLE_1)
	s_and_not1_b32 vcc_lo, exec_lo, s1
	s_cbranch_vccnz .LBB111_542
; %bb.541:
	s_wait_loadcnt 0x0
	global_load_u8 v1, v[4:5], off
	s_wait_loadcnt 0x0
	v_cvt_f32_ubyte0_e32 v1, v1
.LBB111_542:
	s_branch .LBB111_297
.LBB111_543:
	s_mov_b32 s1, 0
	s_mov_b32 s2, s16
.LBB111_544:
                                        ; implicit-def: $vgpr0
.LBB111_545:
	s_and_not1_b32 s29, s16, exec_lo
	s_and_b32 s2, s2, exec_lo
	s_and_not1_b32 s30, s43, exec_lo
	s_and_b32 s28, s28, exec_lo
	s_or_b32 s46, s29, s2
	s_or_b32 s45, s30, s28
	s_or_not1_b32 s28, s1, exec_lo
.LBB111_546:
	s_wait_xcnt 0x0
	s_or_b32 exec_lo, exec_lo, s47
	s_mov_b32 s1, 0
	s_mov_b32 s2, 0
	;; [unrolled: 1-line block ×3, first 2 shown]
                                        ; implicit-def: $vgpr4_vgpr5
                                        ; implicit-def: $vgpr2
                                        ; implicit-def: $vgpr3
	s_and_saveexec_b32 s47, s28
	s_cbranch_execz .LBB111_927
; %bb.547:
	s_mov_b32 s31, -1
	s_mov_b32 s1, s45
	s_mov_b32 s2, s46
	s_mov_b32 s48, exec_lo
	v_cmpx_gt_i32_e64 s40, v0
	s_cbranch_execz .LBB111_824
; %bb.548:
	s_and_not1_b32 vcc_lo, exec_lo, s37
	s_cbranch_vccnz .LBB111_554
; %bb.549:
	s_and_not1_b32 vcc_lo, exec_lo, s42
	s_cbranch_vccnz .LBB111_555
; %bb.550:
	s_add_co_i32 s1, s41, 1
	s_cmp_eq_u32 s33, 2
	s_cbranch_scc1 .LBB111_556
; %bb.551:
	v_dual_mov_b32 v2, 0 :: v_dual_mov_b32 v4, 0
	s_wait_loadcnt 0x0
	v_mov_b32_e32 v1, v0
	s_and_b32 s28, s1, 28
	s_mov_b32 s2, 0
	s_mov_b64 s[30:31], s[20:21]
	s_mov_b64 s[34:35], s[26:27]
.LBB111_552:                            ; =>This Inner Loop Header: Depth=1
	s_clause 0x1
	s_load_b256 s[52:59], s[30:31], 0x4
	s_load_b128 s[68:71], s[30:31], 0x24
	s_load_b256 s[60:67], s[34:35], 0x0
	s_add_co_i32 s2, s2, 4
	s_wait_xcnt 0x0
	s_add_nc_u64 s[30:31], s[30:31], 48
	s_cmp_eq_u32 s28, s2
	s_add_nc_u64 s[34:35], s[34:35], 32
	s_wait_kmcnt 0x0
	v_mul_hi_u32 v3, s53, v1
	s_delay_alu instid0(VALU_DEP_1) | instskip(NEXT) | instid1(VALU_DEP_1)
	v_add_nc_u32_e32 v3, v1, v3
	v_lshrrev_b32_e32 v3, s54, v3
	s_delay_alu instid0(VALU_DEP_1) | instskip(NEXT) | instid1(VALU_DEP_1)
	v_mul_hi_u32 v5, s56, v3
	v_add_nc_u32_e32 v5, v3, v5
	s_delay_alu instid0(VALU_DEP_1) | instskip(NEXT) | instid1(VALU_DEP_1)
	v_lshrrev_b32_e32 v5, s57, v5
	v_mul_hi_u32 v6, s59, v5
	s_delay_alu instid0(VALU_DEP_1) | instskip(SKIP_1) | instid1(VALU_DEP_1)
	v_add_nc_u32_e32 v6, v5, v6
	v_mul_lo_u32 v7, v3, s52
	v_sub_nc_u32_e32 v1, v1, v7
	v_mul_lo_u32 v7, v5, s55
	s_delay_alu instid0(VALU_DEP_4) | instskip(NEXT) | instid1(VALU_DEP_3)
	v_lshrrev_b32_e32 v6, s68, v6
	v_mad_u32 v4, v1, s61, v4
	v_mad_u32 v1, v1, s60, v2
	s_delay_alu instid0(VALU_DEP_4) | instskip(NEXT) | instid1(VALU_DEP_4)
	v_sub_nc_u32_e32 v2, v3, v7
	v_mul_hi_u32 v8, s70, v6
	v_mul_lo_u32 v3, v6, s58
	s_delay_alu instid0(VALU_DEP_3) | instskip(SKIP_1) | instid1(VALU_DEP_3)
	v_mad_u32 v4, v2, s63, v4
	v_mad_u32 v2, v2, s62, v1
	v_dual_add_nc_u32 v7, v6, v8 :: v_dual_sub_nc_u32 v3, v5, v3
	s_delay_alu instid0(VALU_DEP_1) | instskip(NEXT) | instid1(VALU_DEP_2)
	v_lshrrev_b32_e32 v1, s71, v7
	v_mad_u32 v4, v3, s65, v4
	s_delay_alu instid0(VALU_DEP_4) | instskip(NEXT) | instid1(VALU_DEP_3)
	v_mad_u32 v2, v3, s64, v2
	v_mul_lo_u32 v5, v1, s69
	s_delay_alu instid0(VALU_DEP_1) | instskip(NEXT) | instid1(VALU_DEP_1)
	v_sub_nc_u32_e32 v3, v6, v5
	v_mad_u32 v4, v3, s67, v4
	s_delay_alu instid0(VALU_DEP_4)
	v_mad_u32 v2, v3, s66, v2
	s_cbranch_scc0 .LBB111_552
; %bb.553:
	s_delay_alu instid0(VALU_DEP_2)
	v_mov_b32_e32 v3, v4
	s_branch .LBB111_557
.LBB111_554:
	s_mov_b32 s1, -1
                                        ; implicit-def: $vgpr4
                                        ; implicit-def: $vgpr2
	s_branch .LBB111_562
.LBB111_555:
	v_dual_mov_b32 v4, 0 :: v_dual_mov_b32 v2, 0
	s_branch .LBB111_561
.LBB111_556:
	v_mov_b64_e32 v[2:3], 0
	s_wait_loadcnt 0x0
	v_mov_b32_e32 v1, v0
	s_mov_b32 s28, 0
                                        ; implicit-def: $vgpr4
.LBB111_557:
	s_and_b32 s1, s1, 3
	s_mov_b32 s29, 0
	s_cmp_eq_u32 s1, 0
	s_cbranch_scc1 .LBB111_561
; %bb.558:
	s_lshl_b32 s30, s28, 3
	s_mov_b32 s31, s29
	s_mul_u64 s[34:35], s[28:29], 12
	s_add_nc_u64 s[30:31], s[20:21], s[30:31]
	s_delay_alu instid0(SALU_CYCLE_1)
	s_add_nc_u64 s[28:29], s[30:31], 0xc4
	s_add_nc_u64 s[30:31], s[20:21], s[34:35]
.LBB111_559:                            ; =>This Inner Loop Header: Depth=1
	s_load_b96 s[52:54], s[30:31], 0x4
	s_load_b64 s[34:35], s[28:29], 0x0
	s_add_co_i32 s1, s1, -1
	s_wait_xcnt 0x0
	s_add_nc_u64 s[30:31], s[30:31], 12
	s_cmp_lg_u32 s1, 0
	s_add_nc_u64 s[28:29], s[28:29], 8
	s_wait_kmcnt 0x0
	v_mul_hi_u32 v4, s53, v1
	s_delay_alu instid0(VALU_DEP_1) | instskip(NEXT) | instid1(VALU_DEP_1)
	v_add_nc_u32_e32 v4, v1, v4
	v_lshrrev_b32_e32 v4, s54, v4
	s_delay_alu instid0(VALU_DEP_1) | instskip(NEXT) | instid1(VALU_DEP_1)
	v_mul_lo_u32 v5, v4, s52
	v_sub_nc_u32_e32 v1, v1, v5
	s_delay_alu instid0(VALU_DEP_1)
	v_mad_u32 v3, v1, s35, v3
	v_mad_u32 v2, v1, s34, v2
	v_mov_b32_e32 v1, v4
	s_cbranch_scc1 .LBB111_559
; %bb.560:
	s_delay_alu instid0(VALU_DEP_3)
	v_mov_b32_e32 v4, v3
.LBB111_561:
	s_mov_b32 s1, 0
.LBB111_562:
	s_delay_alu instid0(SALU_CYCLE_1)
	s_and_not1_b32 vcc_lo, exec_lo, s1
	s_cbranch_vccnz .LBB111_565
; %bb.563:
	s_wait_loadcnt 0x0
	v_mov_b32_e32 v1, 0
	s_and_not1_b32 vcc_lo, exec_lo, s39
	s_delay_alu instid0(VALU_DEP_1) | instskip(NEXT) | instid1(VALU_DEP_1)
	v_mul_u64_e32 v[2:3], s[22:23], v[0:1]
	v_add_nc_u32_e32 v2, v0, v3
	s_delay_alu instid0(VALU_DEP_1) | instskip(NEXT) | instid1(VALU_DEP_1)
	v_lshrrev_b32_e32 v6, s10, v2
	v_mul_lo_u32 v2, v6, s8
	s_delay_alu instid0(VALU_DEP_1) | instskip(NEXT) | instid1(VALU_DEP_1)
	v_sub_nc_u32_e32 v2, v0, v2
	v_mul_lo_u32 v4, v2, s13
	v_mul_lo_u32 v2, v2, s12
	s_cbranch_vccnz .LBB111_565
; %bb.564:
	v_mov_b32_e32 v7, v1
	s_delay_alu instid0(VALU_DEP_1) | instskip(NEXT) | instid1(VALU_DEP_1)
	v_mul_u64_e32 v[8:9], s[24:25], v[6:7]
	v_add_nc_u32_e32 v1, v6, v9
	s_delay_alu instid0(VALU_DEP_1) | instskip(NEXT) | instid1(VALU_DEP_1)
	v_lshrrev_b32_e32 v1, s3, v1
	v_mul_lo_u32 v1, v1, s11
	s_delay_alu instid0(VALU_DEP_1) | instskip(NEXT) | instid1(VALU_DEP_1)
	v_sub_nc_u32_e32 v1, v6, v1
	v_mad_u32 v2, v1, s14, v2
	v_mad_u32 v4, v1, s15, v4
.LBB111_565:
	v_mov_b32_e32 v5, 0
	s_and_b32 s1, 0xffff, s9
	s_delay_alu instid0(SALU_CYCLE_1) | instskip(NEXT) | instid1(VALU_DEP_1)
	s_cmp_lt_i32 s1, 11
	v_add_nc_u64_e32 v[4:5], s[6:7], v[4:5]
	s_cbranch_scc1 .LBB111_572
; %bb.566:
	s_cmp_gt_i32 s1, 25
	s_cbranch_scc0 .LBB111_573
; %bb.567:
	s_cmp_gt_i32 s1, 28
	s_cbranch_scc0 .LBB111_574
	;; [unrolled: 3-line block ×4, first 2 shown]
; %bb.570:
	s_cmp_eq_u32 s1, 46
	s_mov_b32 s29, 0
	s_cbranch_scc0 .LBB111_581
; %bb.571:
	s_wait_loadcnt 0x0
	global_load_b32 v1, v[4:5], off
	s_mov_b32 s2, -1
	s_mov_b32 s28, 0
	s_wait_loadcnt 0x0
	v_lshlrev_b32_e32 v1, 16, v1
	s_branch .LBB111_583
.LBB111_572:
	s_mov_b32 s29, -1
	s_mov_b32 s2, 0
	s_mov_b32 s28, s45
                                        ; implicit-def: $vgpr1
	s_branch .LBB111_648
.LBB111_573:
	s_mov_b32 s29, -1
	s_mov_b32 s2, 0
	s_mov_b32 s28, s45
                                        ; implicit-def: $vgpr1
	s_branch .LBB111_612
.LBB111_574:
	s_mov_b32 s29, -1
	s_mov_b32 s2, 0
	s_mov_b32 s28, s45
                                        ; implicit-def: $vgpr1
	s_branch .LBB111_593
.LBB111_575:
	s_mov_b32 s29, -1
	s_mov_b32 s2, 0
	s_mov_b32 s28, s45
                                        ; implicit-def: $vgpr1
	s_branch .LBB111_588
.LBB111_576:
	s_and_not1_saveexec_b32 s35, s35
	s_cbranch_execz .LBB111_343
.LBB111_577:
	v_add_f32_e32 v1, 0x46000000, v4
	s_and_not1_b32 s34, s34, exec_lo
	s_delay_alu instid0(VALU_DEP_1) | instskip(NEXT) | instid1(VALU_DEP_1)
	v_and_b32_e32 v1, 0xff, v1
	v_cmp_ne_u32_e32 vcc_lo, 0, v1
	s_and_b32 s45, vcc_lo, exec_lo
	s_delay_alu instid0(SALU_CYCLE_1)
	s_or_b32 s34, s34, s45
	s_or_b32 exec_lo, exec_lo, s35
	v_mov_b32_e32 v5, 0
	s_and_saveexec_b32 s35, s34
	s_cbranch_execnz .LBB111_344
	s_branch .LBB111_345
.LBB111_578:
	s_mov_b32 s29, -1
	s_mov_b32 s2, 0
	s_mov_b32 s28, s45
	s_branch .LBB111_582
.LBB111_579:
	s_and_not1_saveexec_b32 s35, s35
	s_cbranch_execz .LBB111_356
.LBB111_580:
	v_add_f32_e32 v1, 0x42800000, v4
	s_and_not1_b32 s34, s34, exec_lo
	s_delay_alu instid0(VALU_DEP_1) | instskip(NEXT) | instid1(VALU_DEP_1)
	v_and_b32_e32 v1, 0xff, v1
	v_cmp_ne_u32_e32 vcc_lo, 0, v1
	s_and_b32 s45, vcc_lo, exec_lo
	s_delay_alu instid0(SALU_CYCLE_1)
	s_or_b32 s34, s34, s45
	s_or_b32 exec_lo, exec_lo, s35
	v_mov_b32_e32 v5, 0
	s_and_saveexec_b32 s35, s34
	s_cbranch_execnz .LBB111_357
	s_branch .LBB111_358
.LBB111_581:
	s_mov_b32 s28, -1
	s_mov_b32 s2, 0
.LBB111_582:
                                        ; implicit-def: $vgpr1
.LBB111_583:
	s_and_b32 vcc_lo, exec_lo, s29
	s_cbranch_vccz .LBB111_587
; %bb.584:
	s_cmp_eq_u32 s1, 44
	s_cbranch_scc0 .LBB111_586
; %bb.585:
	s_wait_loadcnt 0x0
	global_load_u8 v1, v[4:5], off
	s_mov_b32 s28, 0
	s_mov_b32 s2, -1
	s_wait_loadcnt 0x0
	v_lshlrev_b32_e32 v3, 23, v1
	v_cmp_ne_u32_e32 vcc_lo, 0xff, v1
	s_delay_alu instid0(VALU_DEP_2) | instskip(SKIP_1) | instid1(VALU_DEP_2)
	v_cndmask_b32_e32 v3, 0x7f800001, v3, vcc_lo
	v_cmp_ne_u32_e32 vcc_lo, 0, v1
	v_cndmask_b32_e32 v1, 0x400000, v3, vcc_lo
	s_branch .LBB111_587
.LBB111_586:
	s_mov_b32 s28, -1
                                        ; implicit-def: $vgpr1
.LBB111_587:
	s_mov_b32 s29, 0
.LBB111_588:
	s_delay_alu instid0(SALU_CYCLE_1)
	s_and_b32 vcc_lo, exec_lo, s29
	s_cbranch_vccz .LBB111_592
; %bb.589:
	s_cmp_eq_u32 s1, 29
	s_cbranch_scc0 .LBB111_591
; %bb.590:
	global_load_b64 v[6:7], v[4:5], off
	s_mov_b32 s2, -1
	s_mov_b32 s28, 0
	s_mov_b32 s29, 0
	s_wait_loadcnt 0x0
	v_clz_i32_u32_e32 v1, v7
	s_delay_alu instid0(VALU_DEP_1) | instskip(NEXT) | instid1(VALU_DEP_1)
	v_min_u32_e32 v1, 32, v1
	v_lshlrev_b64_e32 v[6:7], v1, v[6:7]
	v_sub_nc_u32_e32 v1, 32, v1
	s_delay_alu instid0(VALU_DEP_2) | instskip(NEXT) | instid1(VALU_DEP_1)
	v_min_u32_e32 v3, 1, v6
	v_or_b32_e32 v3, v7, v3
	s_delay_alu instid0(VALU_DEP_1) | instskip(NEXT) | instid1(VALU_DEP_1)
	v_cvt_f32_u32_e32 v3, v3
	v_ldexp_f32 v1, v3, v1
	s_branch .LBB111_593
.LBB111_591:
	s_mov_b32 s28, -1
                                        ; implicit-def: $vgpr1
.LBB111_592:
	s_mov_b32 s29, 0
.LBB111_593:
	s_delay_alu instid0(SALU_CYCLE_1)
	s_and_b32 vcc_lo, exec_lo, s29
	s_cbranch_vccz .LBB111_611
; %bb.594:
	s_cmp_lt_i32 s1, 27
	s_cbranch_scc1 .LBB111_597
; %bb.595:
	s_cmp_gt_i32 s1, 27
	s_cbranch_scc0 .LBB111_598
; %bb.596:
	s_wait_loadcnt 0x0
	global_load_b32 v1, v[4:5], off
	s_mov_b32 s2, 0
	s_wait_loadcnt 0x0
	v_cvt_f32_u32_e32 v1, v1
	s_branch .LBB111_599
.LBB111_597:
	s_mov_b32 s2, -1
                                        ; implicit-def: $vgpr1
	s_branch .LBB111_602
.LBB111_598:
	s_mov_b32 s2, -1
                                        ; implicit-def: $vgpr1
.LBB111_599:
	s_delay_alu instid0(SALU_CYCLE_1)
	s_and_not1_b32 vcc_lo, exec_lo, s2
	s_cbranch_vccnz .LBB111_601
; %bb.600:
	s_wait_loadcnt 0x0
	global_load_u16 v1, v[4:5], off
	s_wait_loadcnt 0x0
	v_cvt_f32_u32_e32 v1, v1
.LBB111_601:
	s_mov_b32 s2, 0
.LBB111_602:
	s_delay_alu instid0(SALU_CYCLE_1)
	s_and_not1_b32 vcc_lo, exec_lo, s2
	s_cbranch_vccnz .LBB111_610
; %bb.603:
	global_load_u8 v3, v[4:5], off
	s_mov_b32 s2, 0
	s_mov_b32 s29, exec_lo
	s_wait_loadcnt 0x0
	v_cmpx_lt_i16_e32 0x7f, v3
	s_xor_b32 s29, exec_lo, s29
	s_cbranch_execz .LBB111_624
; %bb.604:
	s_mov_b32 s2, -1
	s_mov_b32 s30, exec_lo
	v_cmpx_eq_u16_e32 0x80, v3
; %bb.605:
	s_xor_b32 s2, exec_lo, -1
; %bb.606:
	s_or_b32 exec_lo, exec_lo, s30
	s_delay_alu instid0(SALU_CYCLE_1)
	s_and_b32 s2, s2, exec_lo
	s_or_saveexec_b32 s29, s29
	v_mov_b32_e32 v1, 0x7f800001
	s_xor_b32 exec_lo, exec_lo, s29
	s_cbranch_execnz .LBB111_625
.LBB111_607:
	s_or_b32 exec_lo, exec_lo, s29
	s_and_saveexec_b32 s29, s2
	s_cbranch_execz .LBB111_609
.LBB111_608:
	v_and_b32_e32 v1, 0xffff, v3
	s_delay_alu instid0(VALU_DEP_1) | instskip(SKIP_1) | instid1(VALU_DEP_2)
	v_and_b32_e32 v6, 7, v1
	v_bfe_u32 v9, v1, 3, 4
	v_clz_i32_u32_e32 v7, v6
	s_delay_alu instid0(VALU_DEP_2) | instskip(NEXT) | instid1(VALU_DEP_2)
	v_cmp_eq_u32_e32 vcc_lo, 0, v9
	v_min_u32_e32 v7, 32, v7
	s_delay_alu instid0(VALU_DEP_1) | instskip(NEXT) | instid1(VALU_DEP_1)
	v_subrev_nc_u32_e32 v8, 28, v7
	v_dual_lshlrev_b32 v1, v8, v1 :: v_dual_sub_nc_u32 v7, 29, v7
	s_delay_alu instid0(VALU_DEP_1) | instskip(NEXT) | instid1(VALU_DEP_1)
	v_dual_lshlrev_b32 v3, 24, v3 :: v_dual_bitop2_b32 v1, 7, v1 bitop3:0x40
	v_dual_cndmask_b32 v1, v6, v1, vcc_lo :: v_dual_cndmask_b32 v7, v9, v7, vcc_lo
	s_delay_alu instid0(VALU_DEP_2) | instskip(NEXT) | instid1(VALU_DEP_2)
	v_and_b32_e32 v3, 0x80000000, v3
	v_lshlrev_b32_e32 v1, 20, v1
	s_delay_alu instid0(VALU_DEP_3) | instskip(NEXT) | instid1(VALU_DEP_1)
	v_lshl_add_u32 v6, v7, 23, 0x3b800000
	v_or3_b32 v1, v3, v6, v1
.LBB111_609:
	s_or_b32 exec_lo, exec_lo, s29
.LBB111_610:
	s_mov_b32 s2, -1
.LBB111_611:
	s_mov_b32 s29, 0
.LBB111_612:
	s_delay_alu instid0(SALU_CYCLE_1)
	s_and_b32 vcc_lo, exec_lo, s29
	s_cbranch_vccz .LBB111_647
; %bb.613:
	s_cmp_gt_i32 s1, 22
	s_cbranch_scc0 .LBB111_623
; %bb.614:
	s_cmp_lt_i32 s1, 24
	s_cbranch_scc1 .LBB111_626
; %bb.615:
	s_cmp_gt_i32 s1, 24
	s_cbranch_scc0 .LBB111_627
; %bb.616:
	global_load_u8 v3, v[4:5], off
	s_mov_b32 s2, 0
	s_mov_b32 s29, exec_lo
	s_wait_loadcnt 0x0
	v_cmpx_lt_i16_e32 0x7f, v3
	s_xor_b32 s29, exec_lo, s29
	s_cbranch_execz .LBB111_639
; %bb.617:
	s_mov_b32 s2, -1
	s_mov_b32 s30, exec_lo
	v_cmpx_eq_u16_e32 0x80, v3
; %bb.618:
	s_xor_b32 s2, exec_lo, -1
; %bb.619:
	s_or_b32 exec_lo, exec_lo, s30
	s_delay_alu instid0(SALU_CYCLE_1)
	s_and_b32 s2, s2, exec_lo
	s_or_saveexec_b32 s29, s29
	v_mov_b32_e32 v1, 0x7f800001
	s_xor_b32 exec_lo, exec_lo, s29
	s_cbranch_execnz .LBB111_640
.LBB111_620:
	s_or_b32 exec_lo, exec_lo, s29
	s_and_saveexec_b32 s29, s2
	s_cbranch_execz .LBB111_622
.LBB111_621:
	v_and_b32_e32 v1, 0xffff, v3
	s_delay_alu instid0(VALU_DEP_1) | instskip(SKIP_1) | instid1(VALU_DEP_2)
	v_and_b32_e32 v6, 3, v1
	v_bfe_u32 v9, v1, 2, 5
	v_clz_i32_u32_e32 v7, v6
	s_delay_alu instid0(VALU_DEP_2) | instskip(NEXT) | instid1(VALU_DEP_2)
	v_cmp_eq_u32_e32 vcc_lo, 0, v9
	v_min_u32_e32 v7, 32, v7
	s_delay_alu instid0(VALU_DEP_1) | instskip(NEXT) | instid1(VALU_DEP_1)
	v_subrev_nc_u32_e32 v8, 29, v7
	v_dual_lshlrev_b32 v1, v8, v1 :: v_dual_sub_nc_u32 v7, 30, v7
	s_delay_alu instid0(VALU_DEP_1) | instskip(NEXT) | instid1(VALU_DEP_1)
	v_dual_lshlrev_b32 v3, 24, v3 :: v_dual_bitop2_b32 v1, 3, v1 bitop3:0x40
	v_dual_cndmask_b32 v1, v6, v1, vcc_lo :: v_dual_cndmask_b32 v7, v9, v7, vcc_lo
	s_delay_alu instid0(VALU_DEP_2) | instskip(NEXT) | instid1(VALU_DEP_2)
	v_and_b32_e32 v3, 0x80000000, v3
	v_lshlrev_b32_e32 v1, 21, v1
	s_delay_alu instid0(VALU_DEP_3) | instskip(NEXT) | instid1(VALU_DEP_1)
	v_lshl_add_u32 v6, v7, 23, 0x37800000
	v_or3_b32 v1, v3, v6, v1
.LBB111_622:
	s_or_b32 exec_lo, exec_lo, s29
	s_mov_b32 s2, 0
	s_branch .LBB111_628
.LBB111_623:
	s_mov_b32 s29, -1
                                        ; implicit-def: $vgpr1
	s_branch .LBB111_634
.LBB111_624:
	s_or_saveexec_b32 s29, s29
	v_mov_b32_e32 v1, 0x7f800001
	s_xor_b32 exec_lo, exec_lo, s29
	s_cbranch_execz .LBB111_607
.LBB111_625:
	v_cmp_ne_u16_e32 vcc_lo, 0, v3
	v_mov_b32_e32 v1, 0
	s_and_not1_b32 s2, s2, exec_lo
	s_and_b32 s30, vcc_lo, exec_lo
	s_delay_alu instid0(SALU_CYCLE_1)
	s_or_b32 s2, s2, s30
	s_or_b32 exec_lo, exec_lo, s29
	s_and_saveexec_b32 s29, s2
	s_cbranch_execnz .LBB111_608
	s_branch .LBB111_609
.LBB111_626:
	s_mov_b32 s2, -1
                                        ; implicit-def: $vgpr1
	s_branch .LBB111_631
.LBB111_627:
	s_mov_b32 s2, -1
                                        ; implicit-def: $vgpr1
.LBB111_628:
	s_delay_alu instid0(SALU_CYCLE_1)
	s_and_b32 vcc_lo, exec_lo, s2
	s_cbranch_vccz .LBB111_630
; %bb.629:
	s_wait_loadcnt 0x0
	global_load_u8 v1, v[4:5], off
	s_wait_loadcnt 0x0
	v_lshlrev_b32_e32 v1, 24, v1
	s_delay_alu instid0(VALU_DEP_1) | instskip(NEXT) | instid1(VALU_DEP_1)
	v_and_b32_e32 v3, 0x7f000000, v1
	v_clz_i32_u32_e32 v6, v3
	v_cmp_ne_u32_e32 vcc_lo, 0, v3
	v_add_nc_u32_e32 v8, 0x1000000, v3
	s_delay_alu instid0(VALU_DEP_3) | instskip(NEXT) | instid1(VALU_DEP_1)
	v_min_u32_e32 v6, 32, v6
	v_sub_nc_u32_e64 v6, v6, 4 clamp
	s_delay_alu instid0(VALU_DEP_1) | instskip(NEXT) | instid1(VALU_DEP_1)
	v_dual_lshlrev_b32 v7, v6, v3 :: v_dual_lshlrev_b32 v6, 23, v6
	v_lshrrev_b32_e32 v7, 4, v7
	s_delay_alu instid0(VALU_DEP_1) | instskip(NEXT) | instid1(VALU_DEP_1)
	v_dual_sub_nc_u32 v6, v7, v6 :: v_dual_ashrrev_i32 v7, 8, v8
	v_add_nc_u32_e32 v6, 0x3c000000, v6
	s_delay_alu instid0(VALU_DEP_1) | instskip(NEXT) | instid1(VALU_DEP_1)
	v_and_or_b32 v6, 0x7f800000, v7, v6
	v_cndmask_b32_e32 v3, 0, v6, vcc_lo
	s_delay_alu instid0(VALU_DEP_1)
	v_and_or_b32 v1, 0x80000000, v1, v3
.LBB111_630:
	s_mov_b32 s2, 0
.LBB111_631:
	s_delay_alu instid0(SALU_CYCLE_1)
	s_and_not1_b32 vcc_lo, exec_lo, s2
	s_cbranch_vccnz .LBB111_633
; %bb.632:
	s_wait_loadcnt 0x0
	global_load_u8 v1, v[4:5], off
	s_wait_loadcnt 0x0
	v_lshlrev_b32_e32 v3, 25, v1
	v_lshlrev_b16 v1, 8, v1
	s_delay_alu instid0(VALU_DEP_1) | instskip(SKIP_1) | instid1(VALU_DEP_2)
	v_and_or_b32 v7, 0x7f00, v1, 0.5
	v_bfe_i32 v1, v1, 0, 16
	v_add_f32_e32 v7, -0.5, v7
	v_lshrrev_b32_e32 v6, 4, v3
	v_cmp_gt_u32_e32 vcc_lo, 0x8000000, v3
	s_delay_alu instid0(VALU_DEP_2) | instskip(NEXT) | instid1(VALU_DEP_1)
	v_or_b32_e32 v6, 0x70000000, v6
	v_mul_f32_e32 v6, 0x7800000, v6
	s_delay_alu instid0(VALU_DEP_1) | instskip(NEXT) | instid1(VALU_DEP_1)
	v_cndmask_b32_e32 v3, v6, v7, vcc_lo
	v_and_or_b32 v1, 0x80000000, v1, v3
.LBB111_633:
	s_mov_b32 s29, 0
	s_mov_b32 s2, -1
.LBB111_634:
	s_and_not1_b32 vcc_lo, exec_lo, s29
	s_cbranch_vccnz .LBB111_647
; %bb.635:
	s_cmp_gt_i32 s1, 14
	s_cbranch_scc0 .LBB111_638
; %bb.636:
	s_cmp_eq_u32 s1, 15
	s_cbranch_scc0 .LBB111_641
; %bb.637:
	s_wait_loadcnt 0x0
	global_load_u16 v1, v[4:5], off
	s_mov_b32 s2, -1
	s_mov_b32 s28, 0
	s_wait_loadcnt 0x0
	v_lshlrev_b32_e32 v1, 16, v1
	s_branch .LBB111_642
.LBB111_638:
	s_mov_b32 s29, -1
                                        ; implicit-def: $vgpr1
	s_branch .LBB111_643
.LBB111_639:
	s_or_saveexec_b32 s29, s29
	v_mov_b32_e32 v1, 0x7f800001
	s_xor_b32 exec_lo, exec_lo, s29
	s_cbranch_execz .LBB111_620
.LBB111_640:
	v_cmp_ne_u16_e32 vcc_lo, 0, v3
	v_mov_b32_e32 v1, 0
	s_and_not1_b32 s2, s2, exec_lo
	s_and_b32 s30, vcc_lo, exec_lo
	s_delay_alu instid0(SALU_CYCLE_1)
	s_or_b32 s2, s2, s30
	s_or_b32 exec_lo, exec_lo, s29
	s_and_saveexec_b32 s29, s2
	s_cbranch_execnz .LBB111_621
	s_branch .LBB111_622
.LBB111_641:
	s_mov_b32 s28, -1
                                        ; implicit-def: $vgpr1
.LBB111_642:
	s_mov_b32 s29, 0
.LBB111_643:
	s_delay_alu instid0(SALU_CYCLE_1)
	s_and_b32 vcc_lo, exec_lo, s29
	s_cbranch_vccz .LBB111_647
; %bb.644:
	s_cmp_eq_u32 s1, 11
	s_cbranch_scc0 .LBB111_646
; %bb.645:
	s_wait_loadcnt 0x0
	global_load_u8 v1, v[4:5], off
	s_mov_b32 s28, 0
	s_mov_b32 s2, -1
	s_wait_loadcnt 0x0
	v_cmp_ne_u16_e32 vcc_lo, 0, v1
	v_cndmask_b32_e64 v1, 0, 1.0, vcc_lo
	s_branch .LBB111_647
.LBB111_646:
	s_mov_b32 s28, -1
                                        ; implicit-def: $vgpr1
.LBB111_647:
	s_mov_b32 s29, 0
.LBB111_648:
	s_delay_alu instid0(SALU_CYCLE_1)
	s_and_b32 vcc_lo, exec_lo, s29
	s_cbranch_vccz .LBB111_697
; %bb.649:
	s_cmp_lt_i32 s1, 5
	s_cbranch_scc1 .LBB111_654
; %bb.650:
	s_cmp_lt_i32 s1, 8
	s_cbranch_scc1 .LBB111_655
	;; [unrolled: 3-line block ×3, first 2 shown]
; %bb.652:
	s_cmp_gt_i32 s1, 9
	s_cbranch_scc0 .LBB111_657
; %bb.653:
	global_load_b64 v[6:7], v[4:5], off
	s_mov_b32 s2, 0
	s_wait_loadcnt 0x0
	v_cvt_f32_f64_e32 v1, v[6:7]
	s_branch .LBB111_658
.LBB111_654:
	s_mov_b32 s2, -1
                                        ; implicit-def: $vgpr1
	s_branch .LBB111_676
.LBB111_655:
	s_mov_b32 s2, -1
                                        ; implicit-def: $vgpr1
	s_branch .LBB111_664
.LBB111_656:
	s_mov_b32 s2, -1
                                        ; implicit-def: $vgpr1
	s_branch .LBB111_661
.LBB111_657:
	s_mov_b32 s2, -1
                                        ; implicit-def: $vgpr1
.LBB111_658:
	s_delay_alu instid0(SALU_CYCLE_1)
	s_and_not1_b32 vcc_lo, exec_lo, s2
	s_cbranch_vccnz .LBB111_660
; %bb.659:
	s_wait_loadcnt 0x0
	global_load_b32 v1, v[4:5], off
.LBB111_660:
	s_mov_b32 s2, 0
.LBB111_661:
	s_delay_alu instid0(SALU_CYCLE_1)
	s_and_not1_b32 vcc_lo, exec_lo, s2
	s_cbranch_vccnz .LBB111_663
; %bb.662:
	s_wait_loadcnt 0x0
	global_load_b32 v1, v[4:5], off
	s_wait_loadcnt 0x0
	v_cvt_f32_f16_e32 v1, v1
.LBB111_663:
	s_mov_b32 s2, 0
.LBB111_664:
	s_delay_alu instid0(SALU_CYCLE_1)
	s_and_not1_b32 vcc_lo, exec_lo, s2
	s_cbranch_vccnz .LBB111_675
; %bb.665:
	s_cmp_lt_i32 s1, 6
	s_cbranch_scc1 .LBB111_668
; %bb.666:
	s_cmp_gt_i32 s1, 6
	s_cbranch_scc0 .LBB111_669
; %bb.667:
	global_load_b64 v[6:7], v[4:5], off
	s_mov_b32 s2, 0
	s_wait_loadcnt 0x0
	v_cvt_f32_f64_e32 v1, v[6:7]
	s_branch .LBB111_670
.LBB111_668:
	s_mov_b32 s2, -1
                                        ; implicit-def: $vgpr1
	s_branch .LBB111_673
.LBB111_669:
	s_mov_b32 s2, -1
                                        ; implicit-def: $vgpr1
.LBB111_670:
	s_delay_alu instid0(SALU_CYCLE_1)
	s_and_not1_b32 vcc_lo, exec_lo, s2
	s_cbranch_vccnz .LBB111_672
; %bb.671:
	s_wait_loadcnt 0x0
	global_load_b32 v1, v[4:5], off
.LBB111_672:
	s_mov_b32 s2, 0
.LBB111_673:
	s_delay_alu instid0(SALU_CYCLE_1)
	s_and_not1_b32 vcc_lo, exec_lo, s2
	s_cbranch_vccnz .LBB111_675
; %bb.674:
	s_wait_loadcnt 0x0
	global_load_u16 v1, v[4:5], off
	s_wait_loadcnt 0x0
	v_cvt_f32_f16_e32 v1, v1
.LBB111_675:
	s_mov_b32 s2, 0
.LBB111_676:
	s_delay_alu instid0(SALU_CYCLE_1)
	s_and_not1_b32 vcc_lo, exec_lo, s2
	s_cbranch_vccnz .LBB111_696
; %bb.677:
	s_cmp_lt_i32 s1, 2
	s_cbranch_scc1 .LBB111_681
; %bb.678:
	s_cmp_lt_i32 s1, 3
	s_cbranch_scc1 .LBB111_682
; %bb.679:
	s_cmp_gt_i32 s1, 3
	s_cbranch_scc0 .LBB111_683
; %bb.680:
	global_load_b64 v[6:7], v[4:5], off
	s_mov_b32 s2, 0
	s_wait_loadcnt 0x0
	v_xor_b32_e32 v1, v6, v7
	v_cls_i32_e32 v3, v7
	s_delay_alu instid0(VALU_DEP_2) | instskip(NEXT) | instid1(VALU_DEP_1)
	v_ashrrev_i32_e32 v1, 31, v1
	v_add_nc_u32_e32 v1, 32, v1
	s_delay_alu instid0(VALU_DEP_1) | instskip(NEXT) | instid1(VALU_DEP_1)
	v_add_min_u32_e64 v1, v3, -1, v1
	v_lshlrev_b64_e32 v[6:7], v1, v[6:7]
	v_sub_nc_u32_e32 v1, 32, v1
	s_delay_alu instid0(VALU_DEP_2) | instskip(NEXT) | instid1(VALU_DEP_1)
	v_min_u32_e32 v3, 1, v6
	v_or_b32_e32 v3, v7, v3
	s_delay_alu instid0(VALU_DEP_1) | instskip(NEXT) | instid1(VALU_DEP_1)
	v_cvt_f32_i32_e32 v3, v3
	v_ldexp_f32 v1, v3, v1
	s_branch .LBB111_684
.LBB111_681:
	s_mov_b32 s2, -1
                                        ; implicit-def: $vgpr1
	s_branch .LBB111_690
.LBB111_682:
	s_mov_b32 s2, -1
                                        ; implicit-def: $vgpr1
	s_branch .LBB111_687
.LBB111_683:
	s_mov_b32 s2, -1
                                        ; implicit-def: $vgpr1
.LBB111_684:
	s_delay_alu instid0(SALU_CYCLE_1)
	s_and_not1_b32 vcc_lo, exec_lo, s2
	s_cbranch_vccnz .LBB111_686
; %bb.685:
	s_wait_loadcnt 0x0
	global_load_b32 v1, v[4:5], off
	s_wait_loadcnt 0x0
	v_cvt_f32_i32_e32 v1, v1
.LBB111_686:
	s_mov_b32 s2, 0
.LBB111_687:
	s_delay_alu instid0(SALU_CYCLE_1)
	s_and_not1_b32 vcc_lo, exec_lo, s2
	s_cbranch_vccnz .LBB111_689
; %bb.688:
	s_wait_loadcnt 0x0
	global_load_i16 v1, v[4:5], off
	s_wait_loadcnt 0x0
	v_cvt_f32_i32_e32 v1, v1
.LBB111_689:
	s_mov_b32 s2, 0
.LBB111_690:
	s_delay_alu instid0(SALU_CYCLE_1)
	s_and_not1_b32 vcc_lo, exec_lo, s2
	s_cbranch_vccnz .LBB111_696
; %bb.691:
	s_cmp_gt_i32 s1, 0
	s_mov_b32 s1, 0
	s_cbranch_scc0 .LBB111_693
; %bb.692:
	s_wait_loadcnt 0x0
	global_load_i8 v1, v[4:5], off
	s_wait_loadcnt 0x0
	v_cvt_f32_i32_e32 v1, v1
	s_branch .LBB111_694
.LBB111_693:
	s_mov_b32 s1, -1
                                        ; implicit-def: $vgpr1
.LBB111_694:
	s_delay_alu instid0(SALU_CYCLE_1)
	s_and_not1_b32 vcc_lo, exec_lo, s1
	s_cbranch_vccnz .LBB111_696
; %bb.695:
	s_wait_loadcnt 0x0
	global_load_u8 v1, v[4:5], off
	s_wait_loadcnt 0x0
	v_cvt_f32_ubyte0_e32 v1, v1
.LBB111_696:
	s_mov_b32 s2, -1
.LBB111_697:
	s_delay_alu instid0(SALU_CYCLE_1)
	s_and_not1_b32 vcc_lo, exec_lo, s2
	s_cbranch_vccnz .LBB111_705
; %bb.698:
	s_wait_loadcnt 0x0
	s_delay_alu instid0(VALU_DEP_1) | instskip(SKIP_1) | instid1(SALU_CYCLE_1)
	v_cmp_eq_f32_e32 vcc_lo, s17, v1
	s_and_b32 s29, s18, 0xff
	s_cmp_lt_i32 s29, 11
	v_cndmask_b32_e64 v3, 0, 1, vcc_lo
	v_cmp_neq_f32_e32 vcc_lo, s17, v1
	v_cndmask_b32_e64 v1, 0, 1, vcc_lo
	s_delay_alu instid0(VALU_DEP_1) | instskip(NEXT) | instid1(VALU_DEP_1)
	v_dual_cndmask_b32 v1, v1, v3, s0 :: v_dual_mov_b32 v3, 0
	v_and_b32_e32 v1, 1, v1
	s_delay_alu instid0(VALU_DEP_2) | instskip(NEXT) | instid1(VALU_DEP_2)
	v_add_nc_u64_e32 v[2:3], s[4:5], v[2:3]
	v_cmp_eq_u32_e64 s1, 1, v1
	s_cbranch_scc1 .LBB111_706
; %bb.699:
	s_and_b32 s30, 0xffff, s29
	s_delay_alu instid0(SALU_CYCLE_1)
	s_cmp_gt_i32 s30, 25
	s_cbranch_scc0 .LBB111_707
; %bb.700:
	s_cmp_gt_i32 s30, 28
	s_cbranch_scc0 .LBB111_708
; %bb.701:
	;; [unrolled: 3-line block ×4, first 2 shown]
	s_mov_b32 s34, 0
	s_mov_b32 s2, -1
	s_cmp_eq_u32 s30, 46
	s_mov_b32 s31, 0
	s_cbranch_scc0 .LBB111_711
; %bb.704:
	v_cndmask_b32_e64 v1, 0, 1.0, s1
	s_mov_b32 s31, -1
	s_mov_b32 s2, 0
	s_wait_xcnt 0x0
	s_delay_alu instid0(VALU_DEP_1) | instskip(NEXT) | instid1(VALU_DEP_1)
	v_bfe_u32 v4, v1, 16, 1
	v_add3_u32 v1, v1, v4, 0x7fff
	s_delay_alu instid0(VALU_DEP_1)
	v_lshrrev_b32_e32 v1, 16, v1
	global_store_b32 v[2:3], v1, off
	s_branch .LBB111_711
.LBB111_705:
	s_mov_b32 s29, 0
	s_mov_b32 s2, s46
	s_branch .LBB111_822
.LBB111_706:
	s_mov_b32 s30, -1
	s_mov_b32 s31, 0
	s_mov_b32 s2, s46
	s_branch .LBB111_780
.LBB111_707:
	s_mov_b32 s34, -1
	s_mov_b32 s31, 0
	s_mov_b32 s2, s46
	s_branch .LBB111_738
.LBB111_708:
	s_mov_b32 s34, -1
	s_mov_b32 s31, 0
	s_mov_b32 s2, s46
	s_branch .LBB111_721
.LBB111_709:
	s_mov_b32 s34, -1
	s_mov_b32 s31, 0
	s_mov_b32 s2, s46
	s_branch .LBB111_717
.LBB111_710:
	s_mov_b32 s34, -1
	s_mov_b32 s31, 0
	s_mov_b32 s2, s46
.LBB111_711:
	s_and_b32 vcc_lo, exec_lo, s34
	s_cbranch_vccz .LBB111_716
; %bb.712:
	s_cmp_eq_u32 s30, 44
	s_mov_b32 s2, -1
	s_cbranch_scc0 .LBB111_716
; %bb.713:
	s_wait_xcnt 0x0
	v_cndmask_b32_e64 v5, 0, 1.0, s1
	s_mov_b32 s31, exec_lo
	s_delay_alu instid0(VALU_DEP_1) | instskip(NEXT) | instid1(VALU_DEP_1)
	v_dual_mov_b32 v4, 0xff :: v_dual_lshrrev_b32 v1, 23, v5
	v_cmpx_ne_u32_e32 0xff, v1
; %bb.714:
	v_and_b32_e32 v4, 0x400000, v5
	v_and_or_b32 v5, 0x3fffff, v5, v1
	s_delay_alu instid0(VALU_DEP_2) | instskip(NEXT) | instid1(VALU_DEP_2)
	v_cmp_ne_u32_e32 vcc_lo, 0, v4
	v_cmp_ne_u32_e64 s2, 0, v5
	s_and_b32 s2, vcc_lo, s2
	s_delay_alu instid0(SALU_CYCLE_1) | instskip(NEXT) | instid1(VALU_DEP_1)
	v_cndmask_b32_e64 v4, 0, 1, s2
	v_add_nc_u32_e32 v4, v1, v4
; %bb.715:
	s_or_b32 exec_lo, exec_lo, s31
	s_mov_b32 s31, -1
	s_mov_b32 s2, 0
	global_store_b8 v[2:3], v4, off
.LBB111_716:
	s_mov_b32 s34, 0
.LBB111_717:
	s_delay_alu instid0(SALU_CYCLE_1)
	s_and_b32 vcc_lo, exec_lo, s34
	s_cbranch_vccz .LBB111_720
; %bb.718:
	s_cmp_eq_u32 s30, 29
	s_mov_b32 s2, -1
	s_cbranch_scc0 .LBB111_720
; %bb.719:
	s_mov_b32 s2, 0
	s_wait_xcnt 0x0
	v_cndmask_b32_e64 v4, 0, 1, s1
	v_mov_b32_e32 v5, s2
	s_mov_b32 s31, -1
	s_mov_b32 s34, 0
	global_store_b64 v[2:3], v[4:5], off
	s_branch .LBB111_721
.LBB111_720:
	s_mov_b32 s34, 0
.LBB111_721:
	s_delay_alu instid0(SALU_CYCLE_1)
	s_and_b32 vcc_lo, exec_lo, s34
	s_cbranch_vccz .LBB111_737
; %bb.722:
	s_cmp_lt_i32 s30, 27
	s_mov_b32 s31, -1
	s_cbranch_scc1 .LBB111_728
; %bb.723:
	s_cmp_gt_i32 s30, 27
	s_cbranch_scc0 .LBB111_725
; %bb.724:
	s_wait_xcnt 0x0
	v_cndmask_b32_e64 v1, 0, 1, s1
	s_mov_b32 s31, 0
	global_store_b32 v[2:3], v1, off
.LBB111_725:
	s_and_not1_b32 vcc_lo, exec_lo, s31
	s_cbranch_vccnz .LBB111_727
; %bb.726:
	s_wait_xcnt 0x0
	v_cndmask_b32_e64 v1, 0, 1, s1
	global_store_b16 v[2:3], v1, off
.LBB111_727:
	s_mov_b32 s31, 0
.LBB111_728:
	s_delay_alu instid0(SALU_CYCLE_1)
	s_and_not1_b32 vcc_lo, exec_lo, s31
	s_cbranch_vccnz .LBB111_736
; %bb.729:
	s_wait_xcnt 0x0
	v_cndmask_b32_e64 v4, 0, 1.0, s1
	v_mov_b32_e32 v5, 0x80
	s_mov_b32 s31, exec_lo
	s_delay_alu instid0(VALU_DEP_2)
	v_cmpx_gt_u32_e32 0x43800000, v4
	s_cbranch_execz .LBB111_735
; %bb.730:
	s_mov_b32 s34, 0
	s_mov_b32 s35, exec_lo
                                        ; implicit-def: $vgpr1
	v_cmpx_lt_u32_e32 0x3bffffff, v4
	s_xor_b32 s35, exec_lo, s35
	s_cbranch_execz .LBB111_854
; %bb.731:
	v_bfe_u32 v1, v4, 20, 1
	s_mov_b32 s34, exec_lo
	s_delay_alu instid0(VALU_DEP_1) | instskip(NEXT) | instid1(VALU_DEP_1)
	v_add3_u32 v1, v4, v1, 0x487ffff
                                        ; implicit-def: $vgpr4
	v_lshrrev_b32_e32 v1, 20, v1
	s_and_not1_saveexec_b32 s35, s35
	s_cbranch_execnz .LBB111_855
.LBB111_732:
	s_or_b32 exec_lo, exec_lo, s35
	v_mov_b32_e32 v5, 0
	s_and_saveexec_b32 s35, s34
.LBB111_733:
	v_mov_b32_e32 v5, v1
.LBB111_734:
	s_or_b32 exec_lo, exec_lo, s35
.LBB111_735:
	s_delay_alu instid0(SALU_CYCLE_1)
	s_or_b32 exec_lo, exec_lo, s31
	global_store_b8 v[2:3], v5, off
.LBB111_736:
	s_mov_b32 s31, -1
.LBB111_737:
	s_mov_b32 s34, 0
.LBB111_738:
	s_delay_alu instid0(SALU_CYCLE_1)
	s_and_b32 vcc_lo, exec_lo, s34
	s_cbranch_vccz .LBB111_779
; %bb.739:
	s_cmp_gt_i32 s30, 22
	s_mov_b32 s34, -1
	s_cbranch_scc0 .LBB111_771
; %bb.740:
	s_cmp_lt_i32 s30, 24
	s_mov_b32 s31, -1
	s_cbranch_scc1 .LBB111_760
; %bb.741:
	s_cmp_gt_i32 s30, 24
	s_cbranch_scc0 .LBB111_749
; %bb.742:
	s_wait_xcnt 0x0
	v_cndmask_b32_e64 v4, 0, 1.0, s1
	v_mov_b32_e32 v5, 0x80
	s_mov_b32 s31, exec_lo
	s_delay_alu instid0(VALU_DEP_2)
	v_cmpx_gt_u32_e32 0x47800000, v4
	s_cbranch_execz .LBB111_748
; %bb.743:
	s_mov_b32 s34, 0
	s_mov_b32 s35, exec_lo
                                        ; implicit-def: $vgpr1
	v_cmpx_lt_u32_e32 0x37ffffff, v4
	s_xor_b32 s35, exec_lo, s35
	s_cbranch_execz .LBB111_857
; %bb.744:
	v_bfe_u32 v1, v4, 21, 1
	s_mov_b32 s34, exec_lo
	s_delay_alu instid0(VALU_DEP_1) | instskip(NEXT) | instid1(VALU_DEP_1)
	v_add3_u32 v1, v4, v1, 0x88fffff
                                        ; implicit-def: $vgpr4
	v_lshrrev_b32_e32 v1, 21, v1
	s_and_not1_saveexec_b32 s35, s35
	s_cbranch_execnz .LBB111_858
.LBB111_745:
	s_or_b32 exec_lo, exec_lo, s35
	v_mov_b32_e32 v5, 0
	s_and_saveexec_b32 s35, s34
.LBB111_746:
	v_mov_b32_e32 v5, v1
.LBB111_747:
	s_or_b32 exec_lo, exec_lo, s35
.LBB111_748:
	s_delay_alu instid0(SALU_CYCLE_1)
	s_or_b32 exec_lo, exec_lo, s31
	s_mov_b32 s31, 0
	global_store_b8 v[2:3], v5, off
.LBB111_749:
	s_and_b32 vcc_lo, exec_lo, s31
	s_cbranch_vccz .LBB111_759
; %bb.750:
	s_wait_xcnt 0x0
	v_cndmask_b32_e64 v4, 0, 1.0, s1
	s_mov_b32 s31, exec_lo
                                        ; implicit-def: $vgpr1
	s_delay_alu instid0(VALU_DEP_1)
	v_cmpx_gt_u32_e32 0x43f00000, v4
	s_xor_b32 s31, exec_lo, s31
	s_cbranch_execz .LBB111_756
; %bb.751:
	s_mov_b32 s34, exec_lo
                                        ; implicit-def: $vgpr1
	v_cmpx_lt_u32_e32 0x3c7fffff, v4
	s_xor_b32 s34, exec_lo, s34
; %bb.752:
	v_bfe_u32 v1, v4, 20, 1
	s_delay_alu instid0(VALU_DEP_1) | instskip(NEXT) | instid1(VALU_DEP_1)
	v_add3_u32 v1, v4, v1, 0x407ffff
	v_and_b32_e32 v4, 0xff00000, v1
	v_lshrrev_b32_e32 v1, 20, v1
	s_delay_alu instid0(VALU_DEP_2) | instskip(NEXT) | instid1(VALU_DEP_2)
	v_cmp_ne_u32_e32 vcc_lo, 0x7f00000, v4
                                        ; implicit-def: $vgpr4
	v_cndmask_b32_e32 v1, 0x7e, v1, vcc_lo
; %bb.753:
	s_and_not1_saveexec_b32 s34, s34
; %bb.754:
	v_add_f32_e32 v1, 0x46800000, v4
; %bb.755:
	s_or_b32 exec_lo, exec_lo, s34
                                        ; implicit-def: $vgpr4
.LBB111_756:
	s_and_not1_saveexec_b32 s31, s31
; %bb.757:
	v_mov_b32_e32 v1, 0x7f
	v_cmp_lt_u32_e32 vcc_lo, 0x7f800000, v4
	s_delay_alu instid0(VALU_DEP_2)
	v_cndmask_b32_e32 v1, 0x7e, v1, vcc_lo
; %bb.758:
	s_or_b32 exec_lo, exec_lo, s31
	global_store_b8 v[2:3], v1, off
.LBB111_759:
	s_mov_b32 s31, 0
.LBB111_760:
	s_delay_alu instid0(SALU_CYCLE_1)
	s_and_not1_b32 vcc_lo, exec_lo, s31
	s_cbranch_vccnz .LBB111_770
; %bb.761:
	s_wait_xcnt 0x0
	v_cndmask_b32_e64 v4, 0, 1.0, s1
	s_mov_b32 s31, exec_lo
                                        ; implicit-def: $vgpr1
	s_delay_alu instid0(VALU_DEP_1)
	v_cmpx_gt_u32_e32 0x47800000, v4
	s_xor_b32 s31, exec_lo, s31
	s_cbranch_execz .LBB111_767
; %bb.762:
	s_mov_b32 s34, exec_lo
                                        ; implicit-def: $vgpr1
	v_cmpx_lt_u32_e32 0x387fffff, v4
	s_xor_b32 s34, exec_lo, s34
; %bb.763:
	v_bfe_u32 v1, v4, 21, 1
	s_delay_alu instid0(VALU_DEP_1) | instskip(NEXT) | instid1(VALU_DEP_1)
	v_add3_u32 v1, v4, v1, 0x80fffff
                                        ; implicit-def: $vgpr4
	v_lshrrev_b32_e32 v1, 21, v1
; %bb.764:
	s_and_not1_saveexec_b32 s34, s34
; %bb.765:
	v_add_f32_e32 v1, 0x43000000, v4
; %bb.766:
	s_or_b32 exec_lo, exec_lo, s34
                                        ; implicit-def: $vgpr4
.LBB111_767:
	s_and_not1_saveexec_b32 s31, s31
; %bb.768:
	v_mov_b32_e32 v1, 0x7f
	v_cmp_lt_u32_e32 vcc_lo, 0x7f800000, v4
	s_delay_alu instid0(VALU_DEP_2)
	v_cndmask_b32_e32 v1, 0x7c, v1, vcc_lo
; %bb.769:
	s_or_b32 exec_lo, exec_lo, s31
	global_store_b8 v[2:3], v1, off
.LBB111_770:
	s_mov_b32 s34, 0
	s_mov_b32 s31, -1
.LBB111_771:
	s_and_not1_b32 vcc_lo, exec_lo, s34
	s_cbranch_vccnz .LBB111_779
; %bb.772:
	s_cmp_gt_i32 s30, 14
	s_mov_b32 s34, -1
	s_cbranch_scc0 .LBB111_776
; %bb.773:
	s_cmp_eq_u32 s30, 15
	s_mov_b32 s2, -1
	s_cbranch_scc0 .LBB111_775
; %bb.774:
	s_wait_xcnt 0x0
	v_cndmask_b32_e64 v1, 0, 1.0, s1
	s_mov_b32 s31, -1
	s_mov_b32 s2, 0
	s_delay_alu instid0(VALU_DEP_1) | instskip(NEXT) | instid1(VALU_DEP_1)
	v_bfe_u32 v4, v1, 16, 1
	v_add3_u32 v1, v1, v4, 0x7fff
	global_store_d16_hi_b16 v[2:3], v1, off
.LBB111_775:
	s_mov_b32 s34, 0
.LBB111_776:
	s_delay_alu instid0(SALU_CYCLE_1)
	s_and_b32 vcc_lo, exec_lo, s34
	s_cbranch_vccz .LBB111_779
; %bb.777:
	s_cmp_eq_u32 s30, 11
	s_mov_b32 s2, -1
	s_cbranch_scc0 .LBB111_779
; %bb.778:
	s_wait_xcnt 0x0
	v_cndmask_b32_e64 v1, 0, 1, s1
	s_mov_b32 s31, -1
	s_mov_b32 s2, 0
	global_store_b8 v[2:3], v1, off
.LBB111_779:
	s_mov_b32 s30, 0
.LBB111_780:
	s_delay_alu instid0(SALU_CYCLE_1)
	s_and_b32 vcc_lo, exec_lo, s30
	s_cbranch_vccz .LBB111_819
; %bb.781:
	s_and_b32 s29, 0xffff, s29
	s_mov_b32 s30, -1
	s_cmp_lt_i32 s29, 5
	s_cbranch_scc1 .LBB111_802
; %bb.782:
	s_cmp_lt_i32 s29, 8
	s_cbranch_scc1 .LBB111_792
; %bb.783:
	;; [unrolled: 3-line block ×3, first 2 shown]
	s_cmp_gt_i32 s29, 9
	s_cbranch_scc0 .LBB111_786
; %bb.785:
	s_wait_xcnt 0x0
	v_cndmask_b32_e64 v1, 0, 1, s1
	v_mov_b32_e32 v6, 0
	s_mov_b32 s30, 0
	s_delay_alu instid0(VALU_DEP_2) | instskip(NEXT) | instid1(VALU_DEP_2)
	v_cvt_f64_u32_e32 v[4:5], v1
	v_mov_b32_e32 v7, v6
	global_store_b128 v[2:3], v[4:7], off
.LBB111_786:
	s_and_not1_b32 vcc_lo, exec_lo, s30
	s_cbranch_vccnz .LBB111_788
; %bb.787:
	s_wait_xcnt 0x0
	v_cndmask_b32_e64 v4, 0, 1.0, s1
	v_mov_b32_e32 v5, 0
	global_store_b64 v[2:3], v[4:5], off
.LBB111_788:
	s_mov_b32 s30, 0
.LBB111_789:
	s_delay_alu instid0(SALU_CYCLE_1)
	s_and_not1_b32 vcc_lo, exec_lo, s30
	s_cbranch_vccnz .LBB111_791
; %bb.790:
	s_wait_xcnt 0x0
	v_cndmask_b32_e64 v1, 0, 1.0, s1
	s_delay_alu instid0(VALU_DEP_1) | instskip(NEXT) | instid1(VALU_DEP_1)
	v_cvt_f16_f32_e32 v1, v1
	v_and_b32_e32 v1, 0xffff, v1
	global_store_b32 v[2:3], v1, off
.LBB111_791:
	s_mov_b32 s30, 0
.LBB111_792:
	s_delay_alu instid0(SALU_CYCLE_1)
	s_and_not1_b32 vcc_lo, exec_lo, s30
	s_cbranch_vccnz .LBB111_801
; %bb.793:
	s_cmp_lt_i32 s29, 6
	s_mov_b32 s30, -1
	s_cbranch_scc1 .LBB111_799
; %bb.794:
	s_cmp_gt_i32 s29, 6
	s_cbranch_scc0 .LBB111_796
; %bb.795:
	s_wait_xcnt 0x0
	v_cndmask_b32_e64 v1, 0, 1, s1
	s_mov_b32 s30, 0
	s_delay_alu instid0(VALU_DEP_1)
	v_cvt_f64_u32_e32 v[4:5], v1
	global_store_b64 v[2:3], v[4:5], off
.LBB111_796:
	s_and_not1_b32 vcc_lo, exec_lo, s30
	s_cbranch_vccnz .LBB111_798
; %bb.797:
	s_wait_xcnt 0x0
	v_cndmask_b32_e64 v1, 0, 1.0, s1
	global_store_b32 v[2:3], v1, off
.LBB111_798:
	s_mov_b32 s30, 0
.LBB111_799:
	s_delay_alu instid0(SALU_CYCLE_1)
	s_and_not1_b32 vcc_lo, exec_lo, s30
	s_cbranch_vccnz .LBB111_801
; %bb.800:
	s_wait_xcnt 0x0
	v_cndmask_b32_e64 v1, 0, 1.0, s1
	s_delay_alu instid0(VALU_DEP_1)
	v_cvt_f16_f32_e32 v1, v1
	global_store_b16 v[2:3], v1, off
.LBB111_801:
	s_mov_b32 s30, 0
.LBB111_802:
	s_delay_alu instid0(SALU_CYCLE_1)
	s_and_not1_b32 vcc_lo, exec_lo, s30
	s_cbranch_vccnz .LBB111_818
; %bb.803:
	s_cmp_lt_i32 s29, 2
	s_mov_b32 s30, -1
	s_cbranch_scc1 .LBB111_813
; %bb.804:
	s_cmp_lt_i32 s29, 3
	s_cbranch_scc1 .LBB111_810
; %bb.805:
	s_cmp_gt_i32 s29, 3
	s_cbranch_scc0 .LBB111_807
; %bb.806:
	s_mov_b32 s30, 0
	s_wait_xcnt 0x0
	v_cndmask_b32_e64 v4, 0, 1, s1
	v_mov_b32_e32 v5, s30
	global_store_b64 v[2:3], v[4:5], off
.LBB111_807:
	s_and_not1_b32 vcc_lo, exec_lo, s30
	s_cbranch_vccnz .LBB111_809
; %bb.808:
	s_wait_xcnt 0x0
	v_cndmask_b32_e64 v1, 0, 1, s1
	global_store_b32 v[2:3], v1, off
.LBB111_809:
	s_mov_b32 s30, 0
.LBB111_810:
	s_delay_alu instid0(SALU_CYCLE_1)
	s_and_not1_b32 vcc_lo, exec_lo, s30
	s_cbranch_vccnz .LBB111_812
; %bb.811:
	s_wait_xcnt 0x0
	v_cndmask_b32_e64 v1, 0, 1, s1
	global_store_b16 v[2:3], v1, off
.LBB111_812:
	s_mov_b32 s30, 0
.LBB111_813:
	s_delay_alu instid0(SALU_CYCLE_1)
	s_and_not1_b32 vcc_lo, exec_lo, s30
	s_cbranch_vccnz .LBB111_818
; %bb.814:
	s_wait_xcnt 0x0
	v_cndmask_b32_e64 v1, 0, 1, s1
	s_cmp_gt_i32 s29, 0
	s_mov_b32 s1, -1
	s_cbranch_scc0 .LBB111_816
; %bb.815:
	s_mov_b32 s1, 0
	global_store_b8 v[2:3], v1, off
.LBB111_816:
	s_and_not1_b32 vcc_lo, exec_lo, s1
	s_cbranch_vccnz .LBB111_818
; %bb.817:
	global_store_b8 v[2:3], v1, off
.LBB111_818:
	s_mov_b32 s31, -1
.LBB111_819:
	s_delay_alu instid0(SALU_CYCLE_1)
	s_and_not1_b32 vcc_lo, exec_lo, s31
	s_cbranch_vccnz .LBB111_821
; %bb.820:
	v_add_nc_u32_e32 v0, 0x80, v0
	s_mov_b32 s29, -1
	s_branch .LBB111_823
.LBB111_821:
	s_mov_b32 s29, 0
.LBB111_822:
                                        ; implicit-def: $vgpr0
.LBB111_823:
	s_and_not1_b32 s1, s46, exec_lo
	s_and_b32 s2, s2, exec_lo
	s_and_not1_b32 s30, s45, exec_lo
	s_and_b32 s28, s28, exec_lo
	s_or_b32 s2, s1, s2
	s_or_b32 s1, s30, s28
	s_or_not1_b32 s31, s29, exec_lo
.LBB111_824:
	s_wait_xcnt 0x0
	s_or_b32 exec_lo, exec_lo, s48
	s_mov_b32 s28, 0
	s_mov_b32 s30, 0
	;; [unrolled: 1-line block ×3, first 2 shown]
                                        ; implicit-def: $vgpr4_vgpr5
                                        ; implicit-def: $vgpr2
                                        ; implicit-def: $vgpr3
	s_and_saveexec_b32 s34, s31
	s_cbranch_execz .LBB111_926
; %bb.825:
	s_mov_b32 s31, s1
	s_mov_b32 s35, exec_lo
                                        ; implicit-def: $vgpr4_vgpr5
                                        ; implicit-def: $vgpr2
                                        ; implicit-def: $vgpr3
	v_cmpx_gt_i32_e64 s40, v0
	s_cbranch_execz .LBB111_925
; %bb.826:
	s_and_not1_b32 vcc_lo, exec_lo, s37
	s_cbranch_vccnz .LBB111_832
; %bb.827:
	s_and_not1_b32 vcc_lo, exec_lo, s42
	s_cbranch_vccnz .LBB111_833
; %bb.828:
	s_add_co_i32 s41, s41, 1
	s_cmp_eq_u32 s33, 2
	s_cbranch_scc1 .LBB111_834
; %bb.829:
	v_dual_mov_b32 v2, 0 :: v_dual_mov_b32 v4, 0
	s_wait_loadcnt 0x0
	v_mov_b32_e32 v1, v0
	s_and_b32 s28, s41, 28
	s_mov_b64 s[30:31], s[20:21]
.LBB111_830:                            ; =>This Inner Loop Header: Depth=1
	s_clause 0x1
	s_load_b256 s[48:55], s[30:31], 0x4
	s_load_b128 s[64:67], s[30:31], 0x24
	s_load_b256 s[56:63], s[26:27], 0x0
	s_add_co_i32 s29, s29, 4
	s_wait_xcnt 0x0
	s_add_nc_u64 s[30:31], s[30:31], 48
	s_cmp_eq_u32 s28, s29
	s_add_nc_u64 s[26:27], s[26:27], 32
	s_wait_kmcnt 0x0
	v_mul_hi_u32 v3, s49, v1
	s_delay_alu instid0(VALU_DEP_1) | instskip(NEXT) | instid1(VALU_DEP_1)
	v_add_nc_u32_e32 v3, v1, v3
	v_lshrrev_b32_e32 v3, s50, v3
	s_delay_alu instid0(VALU_DEP_1) | instskip(NEXT) | instid1(VALU_DEP_1)
	v_mul_hi_u32 v5, s52, v3
	v_add_nc_u32_e32 v5, v3, v5
	s_delay_alu instid0(VALU_DEP_1) | instskip(NEXT) | instid1(VALU_DEP_1)
	v_lshrrev_b32_e32 v5, s53, v5
	v_mul_hi_u32 v6, s55, v5
	s_delay_alu instid0(VALU_DEP_1) | instskip(SKIP_1) | instid1(VALU_DEP_1)
	v_add_nc_u32_e32 v6, v5, v6
	v_mul_lo_u32 v7, v3, s48
	v_sub_nc_u32_e32 v1, v1, v7
	v_mul_lo_u32 v7, v5, s51
	s_delay_alu instid0(VALU_DEP_4) | instskip(NEXT) | instid1(VALU_DEP_3)
	v_lshrrev_b32_e32 v6, s64, v6
	v_mad_u32 v4, v1, s57, v4
	v_mad_u32 v1, v1, s56, v2
	s_delay_alu instid0(VALU_DEP_4) | instskip(NEXT) | instid1(VALU_DEP_4)
	v_sub_nc_u32_e32 v2, v3, v7
	v_mul_hi_u32 v8, s66, v6
	v_mul_lo_u32 v3, v6, s54
	s_delay_alu instid0(VALU_DEP_3) | instskip(SKIP_1) | instid1(VALU_DEP_3)
	v_mad_u32 v4, v2, s59, v4
	v_mad_u32 v2, v2, s58, v1
	v_dual_add_nc_u32 v7, v6, v8 :: v_dual_sub_nc_u32 v3, v5, v3
	s_delay_alu instid0(VALU_DEP_1) | instskip(NEXT) | instid1(VALU_DEP_2)
	v_lshrrev_b32_e32 v1, s67, v7
	v_mad_u32 v4, v3, s61, v4
	s_delay_alu instid0(VALU_DEP_4) | instskip(NEXT) | instid1(VALU_DEP_3)
	v_mad_u32 v2, v3, s60, v2
	v_mul_lo_u32 v5, v1, s65
	s_delay_alu instid0(VALU_DEP_1) | instskip(NEXT) | instid1(VALU_DEP_1)
	v_sub_nc_u32_e32 v3, v6, v5
	v_mad_u32 v4, v3, s63, v4
	s_delay_alu instid0(VALU_DEP_4)
	v_mad_u32 v2, v3, s62, v2
	s_cbranch_scc0 .LBB111_830
; %bb.831:
	s_delay_alu instid0(VALU_DEP_2)
	v_mov_b32_e32 v3, v4
	s_branch .LBB111_835
.LBB111_832:
	s_mov_b32 s26, -1
                                        ; implicit-def: $vgpr4
                                        ; implicit-def: $vgpr2
	s_branch .LBB111_840
.LBB111_833:
	v_dual_mov_b32 v4, 0 :: v_dual_mov_b32 v2, 0
	s_branch .LBB111_839
.LBB111_834:
	v_mov_b64_e32 v[2:3], 0
	s_wait_loadcnt 0x0
	v_mov_b32_e32 v1, v0
                                        ; implicit-def: $vgpr4
.LBB111_835:
	s_and_b32 s30, s41, 3
	s_mov_b32 s29, 0
	s_cmp_eq_u32 s30, 0
	s_cbranch_scc1 .LBB111_839
; %bb.836:
	s_lshl_b32 s26, s28, 3
	s_mov_b32 s27, s29
	s_mul_u64 s[28:29], s[28:29], 12
	s_add_nc_u64 s[26:27], s[20:21], s[26:27]
	s_add_nc_u64 s[28:29], s[20:21], s[28:29]
	;; [unrolled: 1-line block ×3, first 2 shown]
.LBB111_837:                            ; =>This Inner Loop Header: Depth=1
	s_load_b96 s[40:42], s[28:29], 0x4
	s_load_b64 s[48:49], s[26:27], 0x0
	s_add_co_i32 s30, s30, -1
	s_wait_xcnt 0x0
	s_add_nc_u64 s[28:29], s[28:29], 12
	s_cmp_lg_u32 s30, 0
	s_add_nc_u64 s[26:27], s[26:27], 8
	s_wait_kmcnt 0x0
	v_mul_hi_u32 v4, s41, v1
	s_delay_alu instid0(VALU_DEP_1) | instskip(NEXT) | instid1(VALU_DEP_1)
	v_add_nc_u32_e32 v4, v1, v4
	v_lshrrev_b32_e32 v4, s42, v4
	s_delay_alu instid0(VALU_DEP_1) | instskip(NEXT) | instid1(VALU_DEP_1)
	v_mul_lo_u32 v5, v4, s40
	v_sub_nc_u32_e32 v1, v1, v5
	s_delay_alu instid0(VALU_DEP_1)
	v_mad_u32 v3, v1, s49, v3
	v_mad_u32 v2, v1, s48, v2
	v_mov_b32_e32 v1, v4
	s_cbranch_scc1 .LBB111_837
; %bb.838:
	s_delay_alu instid0(VALU_DEP_3)
	v_mov_b32_e32 v4, v3
.LBB111_839:
	s_mov_b32 s26, 0
.LBB111_840:
	s_delay_alu instid0(SALU_CYCLE_1)
	s_and_not1_b32 vcc_lo, exec_lo, s26
	s_cbranch_vccnz .LBB111_843
; %bb.841:
	s_wait_loadcnt 0x0
	v_mov_b32_e32 v1, 0
	s_and_not1_b32 vcc_lo, exec_lo, s39
	s_delay_alu instid0(VALU_DEP_1) | instskip(NEXT) | instid1(VALU_DEP_1)
	v_mul_u64_e32 v[2:3], s[22:23], v[0:1]
	v_add_nc_u32_e32 v2, v0, v3
	s_delay_alu instid0(VALU_DEP_1) | instskip(NEXT) | instid1(VALU_DEP_1)
	v_lshrrev_b32_e32 v6, s10, v2
	v_mul_lo_u32 v2, v6, s8
	s_delay_alu instid0(VALU_DEP_1) | instskip(NEXT) | instid1(VALU_DEP_1)
	v_sub_nc_u32_e32 v0, v0, v2
	v_mul_lo_u32 v4, v0, s13
	v_mul_lo_u32 v2, v0, s12
	s_cbranch_vccnz .LBB111_843
; %bb.842:
	v_mov_b32_e32 v7, v1
	s_delay_alu instid0(VALU_DEP_1) | instskip(NEXT) | instid1(VALU_DEP_1)
	v_mul_u64_e32 v[0:1], s[24:25], v[6:7]
	v_add_nc_u32_e32 v0, v6, v1
	s_delay_alu instid0(VALU_DEP_1) | instskip(NEXT) | instid1(VALU_DEP_1)
	v_lshrrev_b32_e32 v0, s3, v0
	v_mul_lo_u32 v0, v0, s11
	s_delay_alu instid0(VALU_DEP_1) | instskip(NEXT) | instid1(VALU_DEP_1)
	v_sub_nc_u32_e32 v0, v6, v0
	v_mad_u32 v2, v0, s14, v2
	v_mad_u32 v4, v0, s15, v4
.LBB111_843:
	v_mov_b32_e32 v5, 0
	s_and_b32 s3, 0xffff, s9
	s_delay_alu instid0(SALU_CYCLE_1) | instskip(NEXT) | instid1(VALU_DEP_1)
	s_cmp_lt_i32 s3, 11
	v_add_nc_u64_e32 v[4:5], s[6:7], v[4:5]
	s_cbranch_scc1 .LBB111_850
; %bb.844:
	s_cmp_gt_i32 s3, 25
	s_mov_b32 s7, 0
	s_cbranch_scc0 .LBB111_851
; %bb.845:
	s_cmp_gt_i32 s3, 28
	s_cbranch_scc0 .LBB111_852
; %bb.846:
	s_cmp_gt_i32 s3, 43
	;; [unrolled: 3-line block ×3, first 2 shown]
	s_cbranch_scc0 .LBB111_856
; %bb.848:
	s_cmp_eq_u32 s3, 46
	s_mov_b32 s10, 0
	s_cbranch_scc0 .LBB111_859
; %bb.849:
	global_load_b32 v0, v[4:5], off
	s_mov_b32 s6, 0
	s_mov_b32 s8, -1
	s_wait_loadcnt 0x0
	v_lshlrev_b32_e32 v3, 16, v0
	s_branch .LBB111_861
.LBB111_850:
	s_mov_b32 s3, -1
	s_mov_b32 s8, 0
	s_mov_b32 s7, 0
	;; [unrolled: 1-line block ×3, first 2 shown]
                                        ; implicit-def: $vgpr3
	s_branch .LBB111_924
.LBB111_851:
	s_mov_b32 s10, -1
	s_mov_b32 s8, 0
	s_mov_b32 s6, s1
                                        ; implicit-def: $vgpr3
	s_branch .LBB111_890
.LBB111_852:
	s_mov_b32 s10, -1
	s_mov_b32 s8, 0
	s_mov_b32 s6, s1
                                        ; implicit-def: $vgpr3
	s_branch .LBB111_871
.LBB111_853:
	s_mov_b32 s10, -1
	s_mov_b32 s8, 0
	s_mov_b32 s6, s1
                                        ; implicit-def: $vgpr3
	s_branch .LBB111_866
.LBB111_854:
	s_and_not1_saveexec_b32 s35, s35
	s_cbranch_execz .LBB111_732
.LBB111_855:
	v_add_f32_e32 v1, 0x46000000, v4
	s_and_not1_b32 s34, s34, exec_lo
	s_delay_alu instid0(VALU_DEP_1) | instskip(NEXT) | instid1(VALU_DEP_1)
	v_and_b32_e32 v1, 0xff, v1
	v_cmp_ne_u32_e32 vcc_lo, 0, v1
	s_and_b32 s49, vcc_lo, exec_lo
	s_delay_alu instid0(SALU_CYCLE_1)
	s_or_b32 s34, s34, s49
	s_or_b32 exec_lo, exec_lo, s35
	v_mov_b32_e32 v5, 0
	s_and_saveexec_b32 s35, s34
	s_cbranch_execnz .LBB111_733
	s_branch .LBB111_734
.LBB111_856:
	s_mov_b32 s10, -1
	s_mov_b32 s8, 0
	s_mov_b32 s6, s1
	s_branch .LBB111_860
.LBB111_857:
	s_and_not1_saveexec_b32 s35, s35
	s_cbranch_execz .LBB111_745
.LBB111_858:
	v_add_f32_e32 v1, 0x42800000, v4
	s_and_not1_b32 s34, s34, exec_lo
	s_delay_alu instid0(VALU_DEP_1) | instskip(NEXT) | instid1(VALU_DEP_1)
	v_and_b32_e32 v1, 0xff, v1
	v_cmp_ne_u32_e32 vcc_lo, 0, v1
	s_and_b32 s49, vcc_lo, exec_lo
	s_delay_alu instid0(SALU_CYCLE_1)
	s_or_b32 s34, s34, s49
	s_or_b32 exec_lo, exec_lo, s35
	v_mov_b32_e32 v5, 0
	s_and_saveexec_b32 s35, s34
	s_cbranch_execnz .LBB111_746
	s_branch .LBB111_747
.LBB111_859:
	s_mov_b32 s6, -1
	s_mov_b32 s8, 0
.LBB111_860:
                                        ; implicit-def: $vgpr3
.LBB111_861:
	s_and_b32 vcc_lo, exec_lo, s10
	s_cbranch_vccz .LBB111_865
; %bb.862:
	s_cmp_eq_u32 s3, 44
	s_cbranch_scc0 .LBB111_864
; %bb.863:
	global_load_u8 v0, v[4:5], off
	s_mov_b32 s6, 0
	s_mov_b32 s8, -1
	s_wait_loadcnt 0x0
	v_lshlrev_b32_e32 v1, 23, v0
	v_cmp_ne_u32_e32 vcc_lo, 0xff, v0
	s_delay_alu instid0(VALU_DEP_2) | instskip(SKIP_1) | instid1(VALU_DEP_2)
	v_cndmask_b32_e32 v1, 0x7f800001, v1, vcc_lo
	v_cmp_ne_u32_e32 vcc_lo, 0, v0
	v_cndmask_b32_e32 v3, 0x400000, v1, vcc_lo
	s_branch .LBB111_865
.LBB111_864:
	s_mov_b32 s6, -1
                                        ; implicit-def: $vgpr3
.LBB111_865:
	s_mov_b32 s10, 0
.LBB111_866:
	s_delay_alu instid0(SALU_CYCLE_1)
	s_and_b32 vcc_lo, exec_lo, s10
	s_cbranch_vccz .LBB111_870
; %bb.867:
	s_cmp_eq_u32 s3, 29
	s_cbranch_scc0 .LBB111_869
; %bb.868:
	s_wait_loadcnt 0x0
	global_load_b64 v[0:1], v[4:5], off
	s_mov_b32 s6, 0
	s_mov_b32 s8, -1
	s_mov_b32 s10, 0
	s_wait_loadcnt 0x0
	v_clz_i32_u32_e32 v3, v1
	s_delay_alu instid0(VALU_DEP_1) | instskip(NEXT) | instid1(VALU_DEP_1)
	v_min_u32_e32 v3, 32, v3
	v_lshlrev_b64_e32 v[0:1], v3, v[0:1]
	s_delay_alu instid0(VALU_DEP_1) | instskip(NEXT) | instid1(VALU_DEP_1)
	v_min_u32_e32 v0, 1, v0
	v_dual_sub_nc_u32 v1, 32, v3 :: v_dual_bitop2_b32 v0, v1, v0 bitop3:0x54
	s_delay_alu instid0(VALU_DEP_1) | instskip(NEXT) | instid1(VALU_DEP_1)
	v_cvt_f32_u32_e32 v0, v0
	v_ldexp_f32 v3, v0, v1
	s_branch .LBB111_871
.LBB111_869:
	s_mov_b32 s6, -1
                                        ; implicit-def: $vgpr3
.LBB111_870:
	s_mov_b32 s10, 0
.LBB111_871:
	s_delay_alu instid0(SALU_CYCLE_1)
	s_and_b32 vcc_lo, exec_lo, s10
	s_cbranch_vccz .LBB111_889
; %bb.872:
	s_cmp_lt_i32 s3, 27
	s_cbranch_scc1 .LBB111_875
; %bb.873:
	s_cmp_gt_i32 s3, 27
	s_cbranch_scc0 .LBB111_876
; %bb.874:
	global_load_b32 v0, v[4:5], off
	s_mov_b32 s8, 0
	s_wait_loadcnt 0x0
	v_cvt_f32_u32_e32 v3, v0
	s_branch .LBB111_877
.LBB111_875:
	s_mov_b32 s8, -1
                                        ; implicit-def: $vgpr3
	s_branch .LBB111_880
.LBB111_876:
	s_mov_b32 s8, -1
                                        ; implicit-def: $vgpr3
.LBB111_877:
	s_delay_alu instid0(SALU_CYCLE_1)
	s_and_not1_b32 vcc_lo, exec_lo, s8
	s_cbranch_vccnz .LBB111_879
; %bb.878:
	global_load_u16 v0, v[4:5], off
	s_wait_loadcnt 0x0
	v_cvt_f32_u32_e32 v3, v0
.LBB111_879:
	s_mov_b32 s8, 0
.LBB111_880:
	s_delay_alu instid0(SALU_CYCLE_1)
	s_and_not1_b32 vcc_lo, exec_lo, s8
	s_cbranch_vccnz .LBB111_888
; %bb.881:
	global_load_u8 v0, v[4:5], off
	s_mov_b32 s8, 0
	s_mov_b32 s10, exec_lo
	s_wait_loadcnt 0x0
	v_cmpx_lt_i16_e32 0x7f, v0
	s_xor_b32 s10, exec_lo, s10
	s_cbranch_execz .LBB111_902
; %bb.882:
	s_mov_b32 s8, -1
	s_mov_b32 s11, exec_lo
	v_cmpx_eq_u16_e32 0x80, v0
; %bb.883:
	s_xor_b32 s8, exec_lo, -1
; %bb.884:
	s_or_b32 exec_lo, exec_lo, s11
	s_delay_alu instid0(SALU_CYCLE_1)
	s_and_b32 s8, s8, exec_lo
	s_or_saveexec_b32 s10, s10
	v_mov_b32_e32 v3, 0x7f800001
	s_xor_b32 exec_lo, exec_lo, s10
	s_cbranch_execnz .LBB111_903
.LBB111_885:
	s_or_b32 exec_lo, exec_lo, s10
	s_and_saveexec_b32 s10, s8
	s_cbranch_execz .LBB111_887
.LBB111_886:
	v_and_b32_e32 v1, 0xffff, v0
	s_delay_alu instid0(VALU_DEP_1) | instskip(SKIP_1) | instid1(VALU_DEP_2)
	v_and_b32_e32 v3, 7, v1
	v_bfe_u32 v8, v1, 3, 4
	v_clz_i32_u32_e32 v6, v3
	s_delay_alu instid0(VALU_DEP_2) | instskip(NEXT) | instid1(VALU_DEP_2)
	v_cmp_eq_u32_e32 vcc_lo, 0, v8
	v_min_u32_e32 v6, 32, v6
	s_delay_alu instid0(VALU_DEP_1) | instskip(NEXT) | instid1(VALU_DEP_1)
	v_subrev_nc_u32_e32 v7, 28, v6
	v_dual_lshlrev_b32 v1, v7, v1 :: v_dual_sub_nc_u32 v6, 29, v6
	s_delay_alu instid0(VALU_DEP_1) | instskip(NEXT) | instid1(VALU_DEP_1)
	v_dual_lshlrev_b32 v0, 24, v0 :: v_dual_bitop2_b32 v1, 7, v1 bitop3:0x40
	v_dual_cndmask_b32 v6, v8, v6 :: v_dual_cndmask_b32 v1, v3, v1
	s_delay_alu instid0(VALU_DEP_2) | instskip(NEXT) | instid1(VALU_DEP_2)
	v_and_b32_e32 v0, 0x80000000, v0
	v_lshl_add_u32 v3, v6, 23, 0x3b800000
	s_delay_alu instid0(VALU_DEP_3) | instskip(NEXT) | instid1(VALU_DEP_1)
	v_lshlrev_b32_e32 v1, 20, v1
	v_or3_b32 v3, v0, v3, v1
.LBB111_887:
	s_or_b32 exec_lo, exec_lo, s10
.LBB111_888:
	s_mov_b32 s8, -1
.LBB111_889:
	s_mov_b32 s10, 0
.LBB111_890:
	s_delay_alu instid0(SALU_CYCLE_1)
	s_and_b32 vcc_lo, exec_lo, s10
	s_cbranch_vccz .LBB111_923
; %bb.891:
	s_cmp_gt_i32 s3, 22
	s_cbranch_scc0 .LBB111_901
; %bb.892:
	s_cmp_lt_i32 s3, 24
	s_cbranch_scc1 .LBB111_904
; %bb.893:
	s_cmp_gt_i32 s3, 24
	s_cbranch_scc0 .LBB111_905
; %bb.894:
	global_load_u8 v0, v[4:5], off
	s_mov_b32 s8, exec_lo
	s_wait_loadcnt 0x0
	v_cmpx_lt_i16_e32 0x7f, v0
	s_xor_b32 s8, exec_lo, s8
	s_cbranch_execz .LBB111_917
; %bb.895:
	s_mov_b32 s7, -1
	s_mov_b32 s10, exec_lo
	v_cmpx_eq_u16_e32 0x80, v0
; %bb.896:
	s_xor_b32 s7, exec_lo, -1
; %bb.897:
	s_or_b32 exec_lo, exec_lo, s10
	s_delay_alu instid0(SALU_CYCLE_1)
	s_and_b32 s7, s7, exec_lo
	s_or_saveexec_b32 s8, s8
	v_mov_b32_e32 v3, 0x7f800001
	s_xor_b32 exec_lo, exec_lo, s8
	s_cbranch_execnz .LBB111_918
.LBB111_898:
	s_or_b32 exec_lo, exec_lo, s8
	s_and_saveexec_b32 s8, s7
	s_cbranch_execz .LBB111_900
.LBB111_899:
	v_and_b32_e32 v1, 0xffff, v0
	s_delay_alu instid0(VALU_DEP_1) | instskip(SKIP_1) | instid1(VALU_DEP_2)
	v_and_b32_e32 v3, 3, v1
	v_bfe_u32 v8, v1, 2, 5
	v_clz_i32_u32_e32 v6, v3
	s_delay_alu instid0(VALU_DEP_2) | instskip(NEXT) | instid1(VALU_DEP_2)
	v_cmp_eq_u32_e32 vcc_lo, 0, v8
	v_min_u32_e32 v6, 32, v6
	s_delay_alu instid0(VALU_DEP_1) | instskip(NEXT) | instid1(VALU_DEP_1)
	v_subrev_nc_u32_e32 v7, 29, v6
	v_dual_lshlrev_b32 v1, v7, v1 :: v_dual_sub_nc_u32 v6, 30, v6
	s_delay_alu instid0(VALU_DEP_1) | instskip(NEXT) | instid1(VALU_DEP_1)
	v_dual_lshlrev_b32 v0, 24, v0 :: v_dual_bitop2_b32 v1, 3, v1 bitop3:0x40
	v_dual_cndmask_b32 v6, v8, v6 :: v_dual_cndmask_b32 v1, v3, v1
	s_delay_alu instid0(VALU_DEP_2) | instskip(NEXT) | instid1(VALU_DEP_2)
	v_and_b32_e32 v0, 0x80000000, v0
	v_lshl_add_u32 v3, v6, 23, 0x37800000
	s_delay_alu instid0(VALU_DEP_3) | instskip(NEXT) | instid1(VALU_DEP_1)
	v_lshlrev_b32_e32 v1, 21, v1
	v_or3_b32 v3, v0, v3, v1
.LBB111_900:
	s_or_b32 exec_lo, exec_lo, s8
	s_mov_b32 s7, 0
	s_branch .LBB111_906
.LBB111_901:
	s_mov_b32 s7, -1
                                        ; implicit-def: $vgpr3
	s_branch .LBB111_912
.LBB111_902:
	s_or_saveexec_b32 s10, s10
	v_mov_b32_e32 v3, 0x7f800001
	s_xor_b32 exec_lo, exec_lo, s10
	s_cbranch_execz .LBB111_885
.LBB111_903:
	v_cmp_ne_u16_e32 vcc_lo, 0, v0
	v_mov_b32_e32 v3, 0
	s_and_not1_b32 s8, s8, exec_lo
	s_and_b32 s11, vcc_lo, exec_lo
	s_delay_alu instid0(SALU_CYCLE_1)
	s_or_b32 s8, s8, s11
	s_or_b32 exec_lo, exec_lo, s10
	s_and_saveexec_b32 s10, s8
	s_cbranch_execnz .LBB111_886
	s_branch .LBB111_887
.LBB111_904:
	s_mov_b32 s7, -1
                                        ; implicit-def: $vgpr3
	s_branch .LBB111_909
.LBB111_905:
	s_mov_b32 s7, -1
                                        ; implicit-def: $vgpr3
.LBB111_906:
	s_delay_alu instid0(SALU_CYCLE_1)
	s_and_b32 vcc_lo, exec_lo, s7
	s_cbranch_vccz .LBB111_908
; %bb.907:
	global_load_u8 v0, v[4:5], off
	s_wait_loadcnt 0x0
	v_lshlrev_b32_e32 v0, 24, v0
	s_delay_alu instid0(VALU_DEP_1) | instskip(NEXT) | instid1(VALU_DEP_1)
	v_and_b32_e32 v1, 0x7f000000, v0
	v_clz_i32_u32_e32 v3, v1
	v_add_nc_u32_e32 v7, 0x1000000, v1
	v_cmp_ne_u32_e32 vcc_lo, 0, v1
	s_delay_alu instid0(VALU_DEP_3) | instskip(NEXT) | instid1(VALU_DEP_1)
	v_min_u32_e32 v3, 32, v3
	v_sub_nc_u32_e64 v3, v3, 4 clamp
	s_delay_alu instid0(VALU_DEP_1) | instskip(NEXT) | instid1(VALU_DEP_1)
	v_dual_lshlrev_b32 v6, v3, v1 :: v_dual_lshlrev_b32 v3, 23, v3
	v_lshrrev_b32_e32 v6, 4, v6
	s_delay_alu instid0(VALU_DEP_1) | instskip(SKIP_1) | instid1(VALU_DEP_2)
	v_sub_nc_u32_e32 v3, v6, v3
	v_ashrrev_i32_e32 v6, 8, v7
	v_add_nc_u32_e32 v3, 0x3c000000, v3
	s_delay_alu instid0(VALU_DEP_1) | instskip(NEXT) | instid1(VALU_DEP_1)
	v_and_or_b32 v3, 0x7f800000, v6, v3
	v_cndmask_b32_e32 v1, 0, v3, vcc_lo
	s_delay_alu instid0(VALU_DEP_1)
	v_and_or_b32 v3, 0x80000000, v0, v1
.LBB111_908:
	s_mov_b32 s7, 0
.LBB111_909:
	s_delay_alu instid0(SALU_CYCLE_1)
	s_and_not1_b32 vcc_lo, exec_lo, s7
	s_cbranch_vccnz .LBB111_911
; %bb.910:
	global_load_u8 v0, v[4:5], off
	s_wait_loadcnt 0x0
	v_lshlrev_b32_e32 v1, 25, v0
	v_lshlrev_b16 v0, 8, v0
	s_delay_alu instid0(VALU_DEP_1) | instskip(SKIP_1) | instid1(VALU_DEP_2)
	v_and_or_b32 v6, 0x7f00, v0, 0.5
	v_bfe_i32 v0, v0, 0, 16
	v_dual_add_f32 v6, -0.5, v6 :: v_dual_lshrrev_b32 v3, 4, v1
	v_cmp_gt_u32_e32 vcc_lo, 0x8000000, v1
	s_delay_alu instid0(VALU_DEP_2) | instskip(NEXT) | instid1(VALU_DEP_1)
	v_or_b32_e32 v3, 0x70000000, v3
	v_mul_f32_e32 v3, 0x7800000, v3
	s_delay_alu instid0(VALU_DEP_1) | instskip(NEXT) | instid1(VALU_DEP_1)
	v_cndmask_b32_e32 v1, v3, v6, vcc_lo
	v_and_or_b32 v3, 0x80000000, v0, v1
.LBB111_911:
	s_mov_b32 s7, 0
	s_mov_b32 s8, -1
.LBB111_912:
	s_and_not1_b32 vcc_lo, exec_lo, s7
	s_mov_b32 s7, 0
	s_cbranch_vccnz .LBB111_923
; %bb.913:
	s_cmp_gt_i32 s3, 14
	s_cbranch_scc0 .LBB111_916
; %bb.914:
	s_cmp_eq_u32 s3, 15
	s_cbranch_scc0 .LBB111_919
; %bb.915:
	global_load_u16 v0, v[4:5], off
	s_mov_b32 s6, 0
	s_mov_b32 s8, -1
	s_wait_loadcnt 0x0
	v_lshlrev_b32_e32 v3, 16, v0
	s_branch .LBB111_921
.LBB111_916:
	s_mov_b32 s7, -1
	s_branch .LBB111_920
.LBB111_917:
	s_or_saveexec_b32 s8, s8
	v_mov_b32_e32 v3, 0x7f800001
	s_xor_b32 exec_lo, exec_lo, s8
	s_cbranch_execz .LBB111_898
.LBB111_918:
	v_cmp_ne_u16_e32 vcc_lo, 0, v0
	v_mov_b32_e32 v3, 0
	s_and_not1_b32 s7, s7, exec_lo
	s_and_b32 s10, vcc_lo, exec_lo
	s_delay_alu instid0(SALU_CYCLE_1)
	s_or_b32 s7, s7, s10
	s_or_b32 exec_lo, exec_lo, s8
	s_and_saveexec_b32 s8, s7
	s_cbranch_execnz .LBB111_899
	s_branch .LBB111_900
.LBB111_919:
	s_mov_b32 s6, -1
.LBB111_920:
                                        ; implicit-def: $vgpr3
.LBB111_921:
	s_and_b32 vcc_lo, exec_lo, s7
	s_mov_b32 s7, 0
	s_cbranch_vccz .LBB111_923
; %bb.922:
	s_cmp_lg_u32 s3, 11
	s_mov_b32 s7, -1
	s_cselect_b32 s3, -1, 0
	s_and_not1_b32 s6, s6, exec_lo
	s_and_b32 s3, s3, exec_lo
	s_delay_alu instid0(SALU_CYCLE_1)
	s_or_b32 s6, s6, s3
.LBB111_923:
	s_mov_b32 s3, 0
.LBB111_924:
	s_delay_alu instid0(SALU_CYCLE_1)
	s_and_b32 s30, s3, exec_lo
	s_and_not1_b32 s3, s1, exec_lo
	s_and_b32 s6, s6, exec_lo
	s_and_b32 s29, s8, exec_lo
	;; [unrolled: 1-line block ×3, first 2 shown]
	s_or_b32 s31, s3, s6
.LBB111_925:
	s_wait_xcnt 0x0
	s_or_b32 exec_lo, exec_lo, s35
	s_delay_alu instid0(SALU_CYCLE_1)
	s_and_not1_b32 s1, s1, exec_lo
	s_and_b32 s3, s31, exec_lo
	s_and_b32 s29, s29, exec_lo
	;; [unrolled: 1-line block ×4, first 2 shown]
	s_or_b32 s1, s1, s3
.LBB111_926:
	s_or_b32 exec_lo, exec_lo, s34
	s_delay_alu instid0(SALU_CYCLE_1)
	s_and_not1_b32 s3, s46, exec_lo
	s_and_b32 s2, s2, exec_lo
	s_and_b32 s6, s1, exec_lo
	s_or_b32 s46, s3, s2
	s_and_not1_b32 s3, s45, exec_lo
	s_and_b32 s29, s29, exec_lo
	s_and_b32 s2, s30, exec_lo
	;; [unrolled: 1-line block ×3, first 2 shown]
	s_or_b32 s45, s3, s6
.LBB111_927:
	s_or_b32 exec_lo, exec_lo, s47
	s_delay_alu instid0(SALU_CYCLE_1)
	s_and_not1_b32 s3, s16, exec_lo
	s_and_b32 s6, s46, exec_lo
	s_and_b32 s30, s2, exec_lo
	s_or_b32 s16, s3, s6
	s_and_not1_b32 s2, s43, exec_lo
	s_and_b32 s3, s45, exec_lo
	s_and_b32 s28, s29, exec_lo
	;; [unrolled: 1-line block ×3, first 2 shown]
	s_or_b32 s43, s2, s3
	s_or_b32 exec_lo, exec_lo, s44
	s_mov_b32 s1, 0
	s_and_saveexec_b32 s2, s43
	s_cbranch_execz .LBB111_276
.LBB111_928:
	s_mov_b32 s1, exec_lo
	s_and_not1_b32 s23, s23, exec_lo
	s_trap 2
	s_or_b32 exec_lo, exec_lo, s2
	s_and_saveexec_b32 s2, s23
	s_delay_alu instid0(SALU_CYCLE_1)
	s_xor_b32 s2, exec_lo, s2
	s_cbranch_execnz .LBB111_277
.LBB111_929:
	s_or_b32 exec_lo, exec_lo, s2
	s_and_saveexec_b32 s2, s30
	s_cbranch_execz .LBB111_975
.LBB111_930:
	s_sext_i32_i16 s3, s9
	s_delay_alu instid0(SALU_CYCLE_1)
	s_cmp_lt_i32 s3, 5
	s_cbranch_scc1 .LBB111_935
; %bb.931:
	s_cmp_lt_i32 s3, 8
	s_cbranch_scc1 .LBB111_936
; %bb.932:
	;; [unrolled: 3-line block ×3, first 2 shown]
	s_cmp_gt_i32 s3, 9
	s_cbranch_scc0 .LBB111_938
; %bb.934:
	s_wait_loadcnt 0x0
	global_load_b64 v[0:1], v[4:5], off
	s_mov_b32 s3, 0
	s_wait_loadcnt 0x0
	v_cvt_f32_f64_e32 v3, v[0:1]
	s_branch .LBB111_939
.LBB111_935:
                                        ; implicit-def: $vgpr3
	s_branch .LBB111_956
.LBB111_936:
                                        ; implicit-def: $vgpr3
	s_branch .LBB111_945
.LBB111_937:
	s_mov_b32 s3, -1
                                        ; implicit-def: $vgpr3
	s_branch .LBB111_942
.LBB111_938:
	s_mov_b32 s3, -1
                                        ; implicit-def: $vgpr3
.LBB111_939:
	s_delay_alu instid0(SALU_CYCLE_1)
	s_and_not1_b32 vcc_lo, exec_lo, s3
	s_cbranch_vccnz .LBB111_941
; %bb.940:
	global_load_b32 v3, v[4:5], off
.LBB111_941:
	s_mov_b32 s3, 0
.LBB111_942:
	s_delay_alu instid0(SALU_CYCLE_1)
	s_and_not1_b32 vcc_lo, exec_lo, s3
	s_cbranch_vccnz .LBB111_944
; %bb.943:
	global_load_b32 v0, v[4:5], off
	s_wait_loadcnt 0x0
	v_cvt_f32_f16_e32 v3, v0
.LBB111_944:
	s_cbranch_execnz .LBB111_955
.LBB111_945:
	s_sext_i32_i16 s3, s9
	s_delay_alu instid0(SALU_CYCLE_1)
	s_cmp_lt_i32 s3, 6
	s_cbranch_scc1 .LBB111_948
; %bb.946:
	s_cmp_gt_i32 s3, 6
	s_cbranch_scc0 .LBB111_949
; %bb.947:
	s_wait_loadcnt 0x0
	global_load_b64 v[0:1], v[4:5], off
	s_mov_b32 s3, 0
	s_wait_loadcnt 0x0
	v_cvt_f32_f64_e32 v3, v[0:1]
	s_branch .LBB111_950
.LBB111_948:
	s_mov_b32 s3, -1
                                        ; implicit-def: $vgpr3
	s_branch .LBB111_953
.LBB111_949:
	s_mov_b32 s3, -1
                                        ; implicit-def: $vgpr3
.LBB111_950:
	s_delay_alu instid0(SALU_CYCLE_1)
	s_and_not1_b32 vcc_lo, exec_lo, s3
	s_cbranch_vccnz .LBB111_952
; %bb.951:
	s_wait_loadcnt 0x0
	global_load_b32 v3, v[4:5], off
.LBB111_952:
	s_mov_b32 s3, 0
.LBB111_953:
	s_delay_alu instid0(SALU_CYCLE_1)
	s_and_not1_b32 vcc_lo, exec_lo, s3
	s_cbranch_vccnz .LBB111_955
; %bb.954:
	global_load_u16 v0, v[4:5], off
	s_wait_loadcnt 0x0
	v_cvt_f32_f16_e32 v3, v0
.LBB111_955:
	s_cbranch_execnz .LBB111_974
.LBB111_956:
	s_sext_i32_i16 s3, s9
	s_delay_alu instid0(SALU_CYCLE_1)
	s_cmp_lt_i32 s3, 2
	s_cbranch_scc1 .LBB111_960
; %bb.957:
	s_cmp_lt_i32 s3, 3
	s_cbranch_scc1 .LBB111_961
; %bb.958:
	s_cmp_gt_i32 s3, 3
	s_cbranch_scc0 .LBB111_962
; %bb.959:
	s_wait_loadcnt 0x0
	global_load_b64 v[0:1], v[4:5], off
	s_mov_b32 s3, 0
	s_wait_loadcnt 0x0
	v_xor_b32_e32 v3, v0, v1
	v_cls_i32_e32 v6, v1
	s_delay_alu instid0(VALU_DEP_2) | instskip(NEXT) | instid1(VALU_DEP_1)
	v_ashrrev_i32_e32 v3, 31, v3
	v_add_nc_u32_e32 v3, 32, v3
	s_delay_alu instid0(VALU_DEP_1) | instskip(NEXT) | instid1(VALU_DEP_1)
	v_add_min_u32_e64 v3, v6, -1, v3
	v_lshlrev_b64_e32 v[0:1], v3, v[0:1]
	s_delay_alu instid0(VALU_DEP_1) | instskip(NEXT) | instid1(VALU_DEP_1)
	v_min_u32_e32 v0, 1, v0
	v_dual_sub_nc_u32 v1, 32, v3 :: v_dual_bitop2_b32 v0, v1, v0 bitop3:0x54
	s_delay_alu instid0(VALU_DEP_1) | instskip(NEXT) | instid1(VALU_DEP_1)
	v_cvt_f32_i32_e32 v0, v0
	v_ldexp_f32 v3, v0, v1
	s_branch .LBB111_963
.LBB111_960:
                                        ; implicit-def: $vgpr3
	s_branch .LBB111_969
.LBB111_961:
	s_mov_b32 s3, -1
                                        ; implicit-def: $vgpr3
	s_branch .LBB111_966
.LBB111_962:
	s_mov_b32 s3, -1
                                        ; implicit-def: $vgpr3
.LBB111_963:
	s_delay_alu instid0(SALU_CYCLE_1)
	s_and_not1_b32 vcc_lo, exec_lo, s3
	s_cbranch_vccnz .LBB111_965
; %bb.964:
	global_load_b32 v0, v[4:5], off
	s_wait_loadcnt 0x0
	v_cvt_f32_i32_e32 v3, v0
.LBB111_965:
	s_mov_b32 s3, 0
.LBB111_966:
	s_delay_alu instid0(SALU_CYCLE_1)
	s_and_not1_b32 vcc_lo, exec_lo, s3
	s_cbranch_vccnz .LBB111_968
; %bb.967:
	global_load_i16 v0, v[4:5], off
	s_wait_loadcnt 0x0
	v_cvt_f32_i32_e32 v3, v0
.LBB111_968:
	s_cbranch_execnz .LBB111_974
.LBB111_969:
	s_sext_i32_i16 s3, s9
	s_delay_alu instid0(SALU_CYCLE_1)
	s_cmp_gt_i32 s3, 0
	s_mov_b32 s3, 0
	s_cbranch_scc0 .LBB111_971
; %bb.970:
	global_load_i8 v0, v[4:5], off
	s_wait_loadcnt 0x0
	v_cvt_f32_i32_e32 v3, v0
	s_branch .LBB111_972
.LBB111_971:
	s_mov_b32 s3, -1
                                        ; implicit-def: $vgpr3
.LBB111_972:
	s_delay_alu instid0(SALU_CYCLE_1)
	s_and_not1_b32 vcc_lo, exec_lo, s3
	s_cbranch_vccnz .LBB111_974
; %bb.973:
	global_load_u8 v0, v[4:5], off
	s_wait_loadcnt 0x0
	v_cvt_f32_ubyte0_e32 v3, v0
.LBB111_974:
	s_or_b32 s28, s28, exec_lo
.LBB111_975:
	s_wait_xcnt 0x0
	s_or_b32 exec_lo, exec_lo, s2
	s_mov_b32 s8, 0
	s_mov_b32 s7, 0
                                        ; implicit-def: $sgpr2
                                        ; implicit-def: $sgpr3
                                        ; implicit-def: $vgpr0_vgpr1
	s_and_saveexec_b32 s6, s28
	s_cbranch_execz .LBB111_983
; %bb.976:
	s_wait_loadcnt 0x0
	s_delay_alu instid0(VALU_DEP_1) | instskip(SKIP_1) | instid1(SALU_CYCLE_1)
	v_cmp_eq_f32_e32 vcc_lo, s17, v3
	s_and_b32 s3, s18, 0xff
	s_cmp_lt_i32 s3, 11
	v_cndmask_b32_e64 v0, 0, 1, vcc_lo
	v_cmp_neq_f32_e32 vcc_lo, s17, v3
	v_mov_b32_e32 v3, 0
	v_cndmask_b32_e64 v1, 0, 1, vcc_lo
	s_delay_alu instid0(VALU_DEP_1) | instskip(NEXT) | instid1(VALU_DEP_1)
	v_cndmask_b32_e64 v0, v1, v0, s0
	v_and_b32_e32 v4, 1, v0
	s_delay_alu instid0(VALU_DEP_4) | instskip(NEXT) | instid1(VALU_DEP_2)
	v_add_nc_u64_e32 v[0:1], s[4:5], v[2:3]
	v_cmp_eq_u32_e64 s2, 1, v4
	s_cbranch_scc1 .LBB111_986
; %bb.977:
	s_and_b32 s4, 0xffff, s3
	s_mov_b32 s5, -1
	s_cmp_gt_i32 s4, 25
	s_mov_b32 s0, s16
	s_cbranch_scc0 .LBB111_1014
; %bb.978:
	s_cmp_gt_i32 s4, 28
	s_mov_b32 s0, s16
	s_cbranch_scc0 .LBB111_998
; %bb.979:
	;; [unrolled: 4-line block ×4, first 2 shown]
	s_cmp_eq_u32 s4, 46
	s_mov_b32 s0, -1
	s_cbranch_scc0 .LBB111_987
; %bb.982:
	v_cndmask_b32_e64 v2, 0, 1.0, s2
	s_mov_b32 s0, 0
	s_mov_b32 s5, 0
	s_delay_alu instid0(VALU_DEP_1) | instskip(NEXT) | instid1(VALU_DEP_1)
	v_bfe_u32 v3, v2, 16, 1
	v_add3_u32 v2, v2, v3, 0x7fff
	s_delay_alu instid0(VALU_DEP_1)
	v_lshrrev_b32_e32 v2, 16, v2
	global_store_b32 v[0:1], v2, off
	s_branch .LBB111_988
.LBB111_983:
	s_or_b32 exec_lo, exec_lo, s6
	s_and_saveexec_b32 s0, s16
	s_cbranch_execnz .LBB111_1056
.LBB111_984:
	s_or_b32 exec_lo, exec_lo, s0
	s_and_saveexec_b32 s0, s8
	s_delay_alu instid0(SALU_CYCLE_1)
	s_xor_b32 s0, exec_lo, s0
	s_cbranch_execz .LBB111_1057
.LBB111_985:
	v_cndmask_b32_e64 v2, 0, 1, s2
	s_wait_loadcnt 0x0
	global_store_b8 v[0:1], v2, off
	s_wait_xcnt 0x0
	s_or_b32 exec_lo, exec_lo, s0
	s_and_saveexec_b32 s0, s7
	s_delay_alu instid0(SALU_CYCLE_1)
	s_xor_b32 s0, exec_lo, s0
	s_cbranch_execz .LBB111_1095
	s_branch .LBB111_1058
.LBB111_986:
	s_mov_b32 s5, -1
	s_mov_b32 s0, s16
	s_branch .LBB111_1055
.LBB111_987:
	s_mov_b32 s5, 0
.LBB111_988:
	s_delay_alu instid0(SALU_CYCLE_1)
	s_and_b32 vcc_lo, exec_lo, s5
	s_cbranch_vccz .LBB111_993
; %bb.989:
	s_cmp_eq_u32 s4, 44
	s_mov_b32 s0, -1
	s_cbranch_scc0 .LBB111_993
; %bb.990:
	v_cndmask_b32_e64 v4, 0, 1.0, s2
	s_mov_b32 s5, exec_lo
	s_wait_xcnt 0x0
	s_delay_alu instid0(VALU_DEP_1) | instskip(NEXT) | instid1(VALU_DEP_1)
	v_dual_mov_b32 v3, 0xff :: v_dual_lshrrev_b32 v2, 23, v4
	v_cmpx_ne_u32_e32 0xff, v2
; %bb.991:
	v_and_b32_e32 v3, 0x400000, v4
	v_and_or_b32 v4, 0x3fffff, v4, v2
	s_delay_alu instid0(VALU_DEP_2) | instskip(NEXT) | instid1(VALU_DEP_2)
	v_cmp_ne_u32_e32 vcc_lo, 0, v3
	v_cmp_ne_u32_e64 s0, 0, v4
	s_and_b32 s0, vcc_lo, s0
	s_delay_alu instid0(SALU_CYCLE_1) | instskip(NEXT) | instid1(VALU_DEP_1)
	v_cndmask_b32_e64 v3, 0, 1, s0
	v_add_nc_u32_e32 v3, v2, v3
; %bb.992:
	s_or_b32 exec_lo, exec_lo, s5
	s_mov_b32 s0, 0
	global_store_b8 v[0:1], v3, off
.LBB111_993:
	s_mov_b32 s5, 0
.LBB111_994:
	s_delay_alu instid0(SALU_CYCLE_1)
	s_and_b32 vcc_lo, exec_lo, s5
	s_cbranch_vccz .LBB111_997
; %bb.995:
	s_cmp_eq_u32 s4, 29
	s_mov_b32 s0, -1
	s_cbranch_scc0 .LBB111_997
; %bb.996:
	s_mov_b32 s0, 0
	s_wait_xcnt 0x0
	v_cndmask_b32_e64 v2, 0, 1, s2
	v_mov_b32_e32 v3, s0
	s_mov_b32 s5, 0
	global_store_b64 v[0:1], v[2:3], off
	s_branch .LBB111_998
.LBB111_997:
	s_mov_b32 s5, 0
.LBB111_998:
	s_delay_alu instid0(SALU_CYCLE_1)
	s_and_b32 vcc_lo, exec_lo, s5
	s_cbranch_vccz .LBB111_1013
; %bb.999:
	s_cmp_lt_i32 s4, 27
	s_mov_b32 s5, -1
	s_cbranch_scc1 .LBB111_1005
; %bb.1000:
	s_cmp_gt_i32 s4, 27
	s_cbranch_scc0 .LBB111_1002
; %bb.1001:
	s_wait_xcnt 0x0
	v_cndmask_b32_e64 v2, 0, 1, s2
	s_mov_b32 s5, 0
	global_store_b32 v[0:1], v2, off
.LBB111_1002:
	s_and_not1_b32 vcc_lo, exec_lo, s5
	s_cbranch_vccnz .LBB111_1004
; %bb.1003:
	s_wait_xcnt 0x0
	v_cndmask_b32_e64 v2, 0, 1, s2
	global_store_b16 v[0:1], v2, off
.LBB111_1004:
	s_mov_b32 s5, 0
.LBB111_1005:
	s_delay_alu instid0(SALU_CYCLE_1)
	s_and_not1_b32 vcc_lo, exec_lo, s5
	s_cbranch_vccnz .LBB111_1013
; %bb.1006:
	s_wait_xcnt 0x0
	v_cndmask_b32_e64 v3, 0, 1.0, s2
	v_mov_b32_e32 v4, 0x80
	s_mov_b32 s5, exec_lo
	s_delay_alu instid0(VALU_DEP_2)
	v_cmpx_gt_u32_e32 0x43800000, v3
	s_cbranch_execz .LBB111_1012
; %bb.1007:
	s_mov_b32 s8, exec_lo
                                        ; implicit-def: $vgpr2
	v_cmpx_lt_u32_e32 0x3bffffff, v3
	s_xor_b32 s8, exec_lo, s8
	s_cbranch_execz .LBB111_1170
; %bb.1008:
	v_bfe_u32 v2, v3, 20, 1
	s_mov_b32 s7, exec_lo
	s_delay_alu instid0(VALU_DEP_1) | instskip(NEXT) | instid1(VALU_DEP_1)
	v_add3_u32 v2, v3, v2, 0x487ffff
                                        ; implicit-def: $vgpr3
	v_lshrrev_b32_e32 v2, 20, v2
	s_and_not1_saveexec_b32 s8, s8
	s_cbranch_execnz .LBB111_1171
.LBB111_1009:
	s_or_b32 exec_lo, exec_lo, s8
	v_mov_b32_e32 v4, 0
	s_and_saveexec_b32 s8, s7
.LBB111_1010:
	v_mov_b32_e32 v4, v2
.LBB111_1011:
	s_or_b32 exec_lo, exec_lo, s8
.LBB111_1012:
	s_delay_alu instid0(SALU_CYCLE_1)
	s_or_b32 exec_lo, exec_lo, s5
	global_store_b8 v[0:1], v4, off
.LBB111_1013:
	s_mov_b32 s5, 0
.LBB111_1014:
	s_delay_alu instid0(SALU_CYCLE_1)
	s_and_b32 vcc_lo, exec_lo, s5
	s_mov_b32 s5, 0
	s_cbranch_vccz .LBB111_1054
; %bb.1015:
	s_cmp_gt_i32 s4, 22
	s_mov_b32 s7, -1
	s_cbranch_scc0 .LBB111_1047
; %bb.1016:
	s_cmp_lt_i32 s4, 24
	s_cbranch_scc1 .LBB111_1036
; %bb.1017:
	s_cmp_gt_i32 s4, 24
	s_cbranch_scc0 .LBB111_1025
; %bb.1018:
	s_wait_xcnt 0x0
	v_cndmask_b32_e64 v3, 0, 1.0, s2
	v_mov_b32_e32 v4, 0x80
	s_mov_b32 s7, exec_lo
	s_delay_alu instid0(VALU_DEP_2)
	v_cmpx_gt_u32_e32 0x47800000, v3
	s_cbranch_execz .LBB111_1024
; %bb.1019:
	s_mov_b32 s8, 0
	s_mov_b32 s9, exec_lo
                                        ; implicit-def: $vgpr2
	v_cmpx_lt_u32_e32 0x37ffffff, v3
	s_xor_b32 s9, exec_lo, s9
	s_cbranch_execz .LBB111_1296
; %bb.1020:
	v_bfe_u32 v2, v3, 21, 1
	s_mov_b32 s8, exec_lo
	s_delay_alu instid0(VALU_DEP_1) | instskip(NEXT) | instid1(VALU_DEP_1)
	v_add3_u32 v2, v3, v2, 0x88fffff
                                        ; implicit-def: $vgpr3
	v_lshrrev_b32_e32 v2, 21, v2
	s_and_not1_saveexec_b32 s9, s9
	s_cbranch_execnz .LBB111_1297
.LBB111_1021:
	s_or_b32 exec_lo, exec_lo, s9
	v_mov_b32_e32 v4, 0
	s_and_saveexec_b32 s9, s8
.LBB111_1022:
	v_mov_b32_e32 v4, v2
.LBB111_1023:
	s_or_b32 exec_lo, exec_lo, s9
.LBB111_1024:
	s_delay_alu instid0(SALU_CYCLE_1)
	s_or_b32 exec_lo, exec_lo, s7
	s_mov_b32 s7, 0
	global_store_b8 v[0:1], v4, off
.LBB111_1025:
	s_and_b32 vcc_lo, exec_lo, s7
	s_cbranch_vccz .LBB111_1035
; %bb.1026:
	s_wait_xcnt 0x0
	v_cndmask_b32_e64 v3, 0, 1.0, s2
	s_mov_b32 s7, exec_lo
                                        ; implicit-def: $vgpr2
	s_delay_alu instid0(VALU_DEP_1)
	v_cmpx_gt_u32_e32 0x43f00000, v3
	s_xor_b32 s7, exec_lo, s7
	s_cbranch_execz .LBB111_1032
; %bb.1027:
	s_mov_b32 s8, exec_lo
                                        ; implicit-def: $vgpr2
	v_cmpx_lt_u32_e32 0x3c7fffff, v3
	s_xor_b32 s8, exec_lo, s8
; %bb.1028:
	v_bfe_u32 v2, v3, 20, 1
	s_delay_alu instid0(VALU_DEP_1) | instskip(NEXT) | instid1(VALU_DEP_1)
	v_add3_u32 v2, v3, v2, 0x407ffff
	v_and_b32_e32 v3, 0xff00000, v2
	v_lshrrev_b32_e32 v2, 20, v2
	s_delay_alu instid0(VALU_DEP_2) | instskip(NEXT) | instid1(VALU_DEP_2)
	v_cmp_ne_u32_e32 vcc_lo, 0x7f00000, v3
                                        ; implicit-def: $vgpr3
	v_cndmask_b32_e32 v2, 0x7e, v2, vcc_lo
; %bb.1029:
	s_and_not1_saveexec_b32 s8, s8
; %bb.1030:
	v_add_f32_e32 v2, 0x46800000, v3
; %bb.1031:
	s_or_b32 exec_lo, exec_lo, s8
                                        ; implicit-def: $vgpr3
.LBB111_1032:
	s_and_not1_saveexec_b32 s7, s7
; %bb.1033:
	v_mov_b32_e32 v2, 0x7f
	v_cmp_lt_u32_e32 vcc_lo, 0x7f800000, v3
	s_delay_alu instid0(VALU_DEP_2)
	v_cndmask_b32_e32 v2, 0x7e, v2, vcc_lo
; %bb.1034:
	s_or_b32 exec_lo, exec_lo, s7
	global_store_b8 v[0:1], v2, off
.LBB111_1035:
	s_mov_b32 s7, 0
.LBB111_1036:
	s_delay_alu instid0(SALU_CYCLE_1)
	s_and_not1_b32 vcc_lo, exec_lo, s7
	s_cbranch_vccnz .LBB111_1046
; %bb.1037:
	s_wait_xcnt 0x0
	v_cndmask_b32_e64 v3, 0, 1.0, s2
	s_mov_b32 s7, exec_lo
                                        ; implicit-def: $vgpr2
	s_delay_alu instid0(VALU_DEP_1)
	v_cmpx_gt_u32_e32 0x47800000, v3
	s_xor_b32 s7, exec_lo, s7
	s_cbranch_execz .LBB111_1043
; %bb.1038:
	s_mov_b32 s8, exec_lo
                                        ; implicit-def: $vgpr2
	v_cmpx_lt_u32_e32 0x387fffff, v3
	s_xor_b32 s8, exec_lo, s8
; %bb.1039:
	v_bfe_u32 v2, v3, 21, 1
	s_delay_alu instid0(VALU_DEP_1) | instskip(NEXT) | instid1(VALU_DEP_1)
	v_add3_u32 v2, v3, v2, 0x80fffff
                                        ; implicit-def: $vgpr3
	v_lshrrev_b32_e32 v2, 21, v2
; %bb.1040:
	s_and_not1_saveexec_b32 s8, s8
; %bb.1041:
	v_add_f32_e32 v2, 0x43000000, v3
; %bb.1042:
	s_or_b32 exec_lo, exec_lo, s8
                                        ; implicit-def: $vgpr3
.LBB111_1043:
	s_and_not1_saveexec_b32 s7, s7
; %bb.1044:
	v_mov_b32_e32 v2, 0x7f
	v_cmp_lt_u32_e32 vcc_lo, 0x7f800000, v3
	s_delay_alu instid0(VALU_DEP_2)
	v_cndmask_b32_e32 v2, 0x7c, v2, vcc_lo
; %bb.1045:
	s_or_b32 exec_lo, exec_lo, s7
	global_store_b8 v[0:1], v2, off
.LBB111_1046:
	s_mov_b32 s7, 0
.LBB111_1047:
	s_delay_alu instid0(SALU_CYCLE_1)
	s_and_not1_b32 vcc_lo, exec_lo, s7
	s_mov_b32 s8, 0
	s_cbranch_vccnz .LBB111_1055
; %bb.1048:
	s_cmp_gt_i32 s4, 14
	s_mov_b32 s7, -1
	s_cbranch_scc0 .LBB111_1052
; %bb.1049:
	s_cmp_eq_u32 s4, 15
	s_mov_b32 s0, -1
	s_cbranch_scc0 .LBB111_1051
; %bb.1050:
	s_wait_xcnt 0x0
	v_cndmask_b32_e64 v2, 0, 1.0, s2
	s_mov_b32 s0, 0
	s_delay_alu instid0(VALU_DEP_1) | instskip(NEXT) | instid1(VALU_DEP_1)
	v_bfe_u32 v3, v2, 16, 1
	v_add3_u32 v2, v2, v3, 0x7fff
	global_store_d16_hi_b16 v[0:1], v2, off
.LBB111_1051:
	s_mov_b32 s7, 0
.LBB111_1052:
	s_delay_alu instid0(SALU_CYCLE_1)
	s_and_b32 vcc_lo, exec_lo, s7
	s_cbranch_vccz .LBB111_1055
; %bb.1053:
	s_cmp_lg_u32 s4, 11
	s_mov_b32 s8, -1
	s_cselect_b32 s4, -1, 0
	s_and_not1_b32 s0, s0, exec_lo
	s_and_b32 s4, s4, exec_lo
	s_delay_alu instid0(SALU_CYCLE_1)
	s_or_b32 s0, s0, s4
	s_branch .LBB111_1055
.LBB111_1054:
	s_mov_b32 s8, 0
.LBB111_1055:
	s_and_not1_b32 s4, s16, exec_lo
	s_and_b32 s0, s0, exec_lo
	s_and_b32 s7, s5, exec_lo
	s_and_b32 s8, s8, exec_lo
	s_or_b32 s16, s4, s0
	s_wait_xcnt 0x0
	s_or_b32 exec_lo, exec_lo, s6
	s_and_saveexec_b32 s0, s16
	s_cbranch_execz .LBB111_984
.LBB111_1056:
	s_or_b32 s1, s1, exec_lo
	s_and_not1_b32 s8, s8, exec_lo
	s_trap 2
	s_or_b32 exec_lo, exec_lo, s0
	s_and_saveexec_b32 s0, s8
	s_delay_alu instid0(SALU_CYCLE_1)
	s_xor_b32 s0, exec_lo, s0
	s_cbranch_execnz .LBB111_985
.LBB111_1057:
	s_or_b32 exec_lo, exec_lo, s0
	s_and_saveexec_b32 s0, s7
	s_delay_alu instid0(SALU_CYCLE_1)
	s_xor_b32 s0, exec_lo, s0
	s_cbranch_execz .LBB111_1095
.LBB111_1058:
	s_sext_i32_i16 s5, s3
	s_mov_b32 s4, -1
	s_cmp_lt_i32 s5, 5
	s_cbranch_scc1 .LBB111_1079
; %bb.1059:
	s_cmp_lt_i32 s5, 8
	s_cbranch_scc1 .LBB111_1069
; %bb.1060:
	;; [unrolled: 3-line block ×3, first 2 shown]
	s_cmp_gt_i32 s5, 9
	s_cbranch_scc0 .LBB111_1063
; %bb.1062:
	v_cndmask_b32_e64 v2, 0, 1, s2
	v_mov_b32_e32 v4, 0
	s_mov_b32 s4, 0
	s_wait_loadcnt 0x0
	s_delay_alu instid0(VALU_DEP_2) | instskip(NEXT) | instid1(VALU_DEP_2)
	v_cvt_f64_u32_e32 v[2:3], v2
	v_mov_b32_e32 v5, v4
	global_store_b128 v[0:1], v[2:5], off
.LBB111_1063:
	s_and_not1_b32 vcc_lo, exec_lo, s4
	s_cbranch_vccnz .LBB111_1065
; %bb.1064:
	s_wait_xcnt 0x0
	v_cndmask_b32_e64 v2, 0, 1.0, s2
	s_wait_loadcnt 0x0
	v_mov_b32_e32 v3, 0
	global_store_b64 v[0:1], v[2:3], off
.LBB111_1065:
	s_mov_b32 s4, 0
.LBB111_1066:
	s_delay_alu instid0(SALU_CYCLE_1)
	s_and_not1_b32 vcc_lo, exec_lo, s4
	s_cbranch_vccnz .LBB111_1068
; %bb.1067:
	s_wait_xcnt 0x0
	v_cndmask_b32_e64 v2, 0, 1.0, s2
	s_delay_alu instid0(VALU_DEP_1) | instskip(NEXT) | instid1(VALU_DEP_1)
	v_cvt_f16_f32_e32 v2, v2
	v_and_b32_e32 v2, 0xffff, v2
	s_wait_loadcnt 0x0
	global_store_b32 v[0:1], v2, off
.LBB111_1068:
	s_mov_b32 s4, 0
.LBB111_1069:
	s_delay_alu instid0(SALU_CYCLE_1)
	s_and_not1_b32 vcc_lo, exec_lo, s4
	s_cbranch_vccnz .LBB111_1078
; %bb.1070:
	s_sext_i32_i16 s5, s3
	s_mov_b32 s4, -1
	s_cmp_lt_i32 s5, 6
	s_cbranch_scc1 .LBB111_1076
; %bb.1071:
	s_cmp_gt_i32 s5, 6
	s_cbranch_scc0 .LBB111_1073
; %bb.1072:
	s_wait_xcnt 0x0
	v_cndmask_b32_e64 v2, 0, 1, s2
	s_mov_b32 s4, 0
	s_wait_loadcnt 0x0
	s_delay_alu instid0(VALU_DEP_1)
	v_cvt_f64_u32_e32 v[2:3], v2
	global_store_b64 v[0:1], v[2:3], off
.LBB111_1073:
	s_and_not1_b32 vcc_lo, exec_lo, s4
	s_cbranch_vccnz .LBB111_1075
; %bb.1074:
	s_wait_xcnt 0x0
	v_cndmask_b32_e64 v2, 0, 1.0, s2
	s_wait_loadcnt 0x0
	global_store_b32 v[0:1], v2, off
.LBB111_1075:
	s_mov_b32 s4, 0
.LBB111_1076:
	s_delay_alu instid0(SALU_CYCLE_1)
	s_and_not1_b32 vcc_lo, exec_lo, s4
	s_cbranch_vccnz .LBB111_1078
; %bb.1077:
	s_wait_xcnt 0x0
	v_cndmask_b32_e64 v2, 0, 1.0, s2
	s_delay_alu instid0(VALU_DEP_1)
	v_cvt_f16_f32_e32 v2, v2
	s_wait_loadcnt 0x0
	global_store_b16 v[0:1], v2, off
.LBB111_1078:
	s_mov_b32 s4, 0
.LBB111_1079:
	s_delay_alu instid0(SALU_CYCLE_1)
	s_and_not1_b32 vcc_lo, exec_lo, s4
	s_cbranch_vccnz .LBB111_1095
; %bb.1080:
	s_sext_i32_i16 s5, s3
	s_mov_b32 s4, -1
	s_cmp_lt_i32 s5, 2
	s_cbranch_scc1 .LBB111_1090
; %bb.1081:
	s_cmp_lt_i32 s5, 3
	s_cbranch_scc1 .LBB111_1087
; %bb.1082:
	s_cmp_gt_i32 s5, 3
	s_cbranch_scc0 .LBB111_1084
; %bb.1083:
	s_mov_b32 s4, 0
	s_wait_xcnt 0x0
	v_cndmask_b32_e64 v2, 0, 1, s2
	s_wait_loadcnt 0x0
	v_mov_b32_e32 v3, s4
	global_store_b64 v[0:1], v[2:3], off
.LBB111_1084:
	s_and_not1_b32 vcc_lo, exec_lo, s4
	s_cbranch_vccnz .LBB111_1086
; %bb.1085:
	s_wait_xcnt 0x0
	v_cndmask_b32_e64 v2, 0, 1, s2
	s_wait_loadcnt 0x0
	global_store_b32 v[0:1], v2, off
.LBB111_1086:
	s_mov_b32 s4, 0
.LBB111_1087:
	s_delay_alu instid0(SALU_CYCLE_1)
	s_and_not1_b32 vcc_lo, exec_lo, s4
	s_cbranch_vccnz .LBB111_1089
; %bb.1088:
	s_wait_xcnt 0x0
	v_cndmask_b32_e64 v2, 0, 1, s2
	s_wait_loadcnt 0x0
	global_store_b16 v[0:1], v2, off
.LBB111_1089:
	s_mov_b32 s4, 0
.LBB111_1090:
	s_delay_alu instid0(SALU_CYCLE_1)
	s_and_not1_b32 vcc_lo, exec_lo, s4
	s_cbranch_vccnz .LBB111_1095
; %bb.1091:
	s_sext_i32_i16 s3, s3
	s_delay_alu instid0(SALU_CYCLE_1)
	s_cmp_gt_i32 s3, 0
	s_mov_b32 s3, -1
	s_cbranch_scc0 .LBB111_1093
; %bb.1092:
	s_wait_xcnt 0x0
	v_cndmask_b32_e64 v2, 0, 1, s2
	s_mov_b32 s3, 0
	s_wait_loadcnt 0x0
	global_store_b8 v[0:1], v2, off
.LBB111_1093:
	s_and_not1_b32 vcc_lo, exec_lo, s3
	s_cbranch_vccnz .LBB111_1095
; %bb.1094:
	s_wait_xcnt 0x0
	v_cndmask_b32_e64 v2, 0, 1, s2
	s_wait_loadcnt 0x0
	global_store_b8 v[0:1], v2, off
.LBB111_1095:
	s_wait_xcnt 0x0
	s_or_b32 exec_lo, exec_lo, s0
	s_delay_alu instid0(SALU_CYCLE_1)
	s_and_b32 s11, s1, exec_lo
                                        ; implicit-def: $vgpr9
                                        ; implicit-def: $vgpr0
.LBB111_1096:
	s_or_saveexec_b32 s12, s38
	s_mov_b32 s0, 0
                                        ; implicit-def: $sgpr1
                                        ; implicit-def: $vgpr2_vgpr3
                                        ; implicit-def: $sgpr6
	s_xor_b32 exec_lo, exec_lo, s12
	s_cbranch_execz .LBB111_2107
; %bb.1097:
	s_wait_loadcnt 0x0
	v_cndmask_b32_e64 v1, 0, 1, s37
	s_and_not1_b32 vcc_lo, exec_lo, s37
	s_cbranch_vccnz .LBB111_1103
; %bb.1098:
	s_cmp_lg_u32 s19, 0
	s_mov_b32 s6, 0
	s_cbranch_scc0 .LBB111_1104
; %bb.1099:
	s_min_u32 s1, s33, 15
	s_delay_alu instid0(SALU_CYCLE_1)
	s_add_co_i32 s1, s1, 1
	s_cmp_eq_u32 s33, 2
	s_cbranch_scc1 .LBB111_1105
; %bb.1100:
	v_dual_mov_b32 v6, 0 :: v_dual_mov_b32 v14, 0
	v_mov_b32_e32 v2, v0
	s_and_b32 s0, s1, 28
	s_add_nc_u64 s[2:3], s[20:21], 0xc4
	s_mov_b32 s7, 0
	s_mov_b64 s[4:5], s[20:21]
.LBB111_1101:                           ; =>This Inner Loop Header: Depth=1
	s_clause 0x1
	s_load_b256 s[24:31], s[4:5], 0x4
	s_load_b128 s[44:47], s[4:5], 0x24
	s_load_b256 s[36:43], s[2:3], 0x0
	s_add_co_i32 s7, s7, 4
	s_wait_xcnt 0x0
	s_add_nc_u64 s[4:5], s[4:5], 48
	s_cmp_lg_u32 s0, s7
	s_add_nc_u64 s[2:3], s[2:3], 32
	s_wait_kmcnt 0x0
	v_mul_hi_u32 v3, s25, v2
	s_delay_alu instid0(VALU_DEP_1) | instskip(NEXT) | instid1(VALU_DEP_1)
	v_add_nc_u32_e32 v3, v2, v3
	v_lshrrev_b32_e32 v3, s26, v3
	s_delay_alu instid0(VALU_DEP_1) | instskip(NEXT) | instid1(VALU_DEP_1)
	v_mul_hi_u32 v4, s28, v3
	v_add_nc_u32_e32 v4, v3, v4
	s_delay_alu instid0(VALU_DEP_1) | instskip(NEXT) | instid1(VALU_DEP_1)
	v_lshrrev_b32_e32 v4, s29, v4
	v_mul_hi_u32 v5, s31, v4
	s_delay_alu instid0(VALU_DEP_1) | instskip(SKIP_1) | instid1(VALU_DEP_1)
	v_add_nc_u32_e32 v5, v4, v5
	v_mul_lo_u32 v7, v3, s24
	v_sub_nc_u32_e32 v2, v2, v7
	v_mul_lo_u32 v7, v4, s27
	s_delay_alu instid0(VALU_DEP_4) | instskip(NEXT) | instid1(VALU_DEP_3)
	v_lshrrev_b32_e32 v5, s44, v5
	v_mad_u32 v10, v2, s37, v14
	v_mad_u32 v2, v2, s36, v6
	s_delay_alu instid0(VALU_DEP_4) | instskip(NEXT) | instid1(VALU_DEP_4)
	v_sub_nc_u32_e32 v3, v3, v7
	v_mul_hi_u32 v8, s46, v5
	v_mul_lo_u32 v6, v5, s30
	s_delay_alu instid0(VALU_DEP_1) | instskip(NEXT) | instid1(VALU_DEP_4)
	v_dual_add_nc_u32 v7, v5, v8 :: v_dual_sub_nc_u32 v4, v4, v6
	v_mad_u32 v8, v3, s39, v10
	v_mad_u32 v3, v3, s38, v2
	s_delay_alu instid0(VALU_DEP_3) | instskip(NEXT) | instid1(VALU_DEP_1)
	v_lshrrev_b32_e32 v2, s47, v7
	v_mul_lo_u32 v6, v2, s45
	s_delay_alu instid0(VALU_DEP_4) | instskip(NEXT) | instid1(VALU_DEP_4)
	v_mad_u32 v7, v4, s41, v8
	v_mad_u32 v3, v4, s40, v3
	s_delay_alu instid0(VALU_DEP_3) | instskip(NEXT) | instid1(VALU_DEP_1)
	v_sub_nc_u32_e32 v4, v5, v6
	v_mad_u32 v14, v4, s43, v7
	s_delay_alu instid0(VALU_DEP_3)
	v_mad_u32 v6, v4, s42, v3
	s_cbranch_scc1 .LBB111_1101
; %bb.1102:
	s_delay_alu instid0(VALU_DEP_2)
	v_mov_b32_e32 v7, v14
	s_and_b32 s4, s1, 3
	s_mov_b32 s1, 0
	s_cmp_eq_u32 s4, 0
	s_cbranch_scc0 .LBB111_1106
	s_branch .LBB111_1109
.LBB111_1103:
	s_mov_b32 s6, -1
                                        ; implicit-def: $vgpr14
                                        ; implicit-def: $vgpr6
	s_branch .LBB111_1109
.LBB111_1104:
	v_dual_mov_b32 v14, 0 :: v_dual_mov_b32 v6, 0
	s_branch .LBB111_1109
.LBB111_1105:
	v_mov_b64_e32 v[6:7], 0
	v_mov_b32_e32 v2, v0
                                        ; implicit-def: $vgpr14
	s_and_b32 s4, s1, 3
	s_mov_b32 s1, 0
	s_cmp_eq_u32 s4, 0
	s_cbranch_scc1 .LBB111_1109
.LBB111_1106:
	s_lshl_b32 s2, s0, 3
	s_mov_b32 s3, s1
	s_mul_u64 s[8:9], s[0:1], 12
	s_add_nc_u64 s[2:3], s[20:21], s[2:3]
	s_delay_alu instid0(SALU_CYCLE_1)
	s_add_nc_u64 s[0:1], s[2:3], 0xc4
	s_add_nc_u64 s[2:3], s[20:21], s[8:9]
.LBB111_1107:                           ; =>This Inner Loop Header: Depth=1
	s_load_b96 s[8:10], s[2:3], 0x4
	s_load_b64 s[14:15], s[0:1], 0x0
	s_add_co_i32 s4, s4, -1
	s_wait_xcnt 0x0
	s_add_nc_u64 s[2:3], s[2:3], 12
	s_cmp_lg_u32 s4, 0
	s_add_nc_u64 s[0:1], s[0:1], 8
	s_wait_kmcnt 0x0
	v_mul_hi_u32 v3, s9, v2
	s_delay_alu instid0(VALU_DEP_1) | instskip(NEXT) | instid1(VALU_DEP_1)
	v_add_nc_u32_e32 v3, v2, v3
	v_lshrrev_b32_e32 v3, s10, v3
	s_delay_alu instid0(VALU_DEP_1) | instskip(NEXT) | instid1(VALU_DEP_1)
	v_mul_lo_u32 v4, v3, s8
	v_sub_nc_u32_e32 v2, v2, v4
	s_delay_alu instid0(VALU_DEP_1)
	v_mad_u32 v7, v2, s15, v7
	v_mad_u32 v6, v2, s14, v6
	v_mov_b32_e32 v2, v3
	s_cbranch_scc1 .LBB111_1107
; %bb.1108:
	s_delay_alu instid0(VALU_DEP_3)
	v_mov_b32_e32 v14, v7
.LBB111_1109:
	s_and_not1_b32 vcc_lo, exec_lo, s6
	s_cbranch_vccnz .LBB111_1112
; %bb.1110:
	s_clause 0x1
	s_load_b96 s[0:2], s[20:21], 0x4
	s_load_b64 s[4:5], s[20:21], 0xc4
	s_cmp_lt_u32 s19, 2
	s_wait_kmcnt 0x0
	v_mul_hi_u32 v2, s1, v0
	s_delay_alu instid0(VALU_DEP_1) | instskip(NEXT) | instid1(VALU_DEP_1)
	v_add_nc_u32_e32 v2, v0, v2
	v_lshrrev_b32_e32 v2, s2, v2
	s_delay_alu instid0(VALU_DEP_1) | instskip(NEXT) | instid1(VALU_DEP_1)
	v_mul_lo_u32 v3, v2, s0
	v_sub_nc_u32_e32 v3, v0, v3
	s_delay_alu instid0(VALU_DEP_1)
	v_mul_lo_u32 v14, v3, s5
	v_mul_lo_u32 v6, v3, s4
	s_cbranch_scc1 .LBB111_1112
; %bb.1111:
	s_clause 0x1
	s_load_b96 s[0:2], s[20:21], 0x10
	s_load_b64 s[4:5], s[20:21], 0xcc
	s_wait_kmcnt 0x0
	v_mul_hi_u32 v3, s1, v2
	s_delay_alu instid0(VALU_DEP_1) | instskip(NEXT) | instid1(VALU_DEP_1)
	v_add_nc_u32_e32 v3, v2, v3
	v_lshrrev_b32_e32 v3, s2, v3
	s_delay_alu instid0(VALU_DEP_1) | instskip(NEXT) | instid1(VALU_DEP_1)
	v_mul_lo_u32 v3, v3, s0
	v_sub_nc_u32_e32 v2, v2, v3
	s_delay_alu instid0(VALU_DEP_1)
	v_mad_u32 v6, v2, s4, v6
	v_mad_u32 v14, v2, s5, v14
.LBB111_1112:
	v_cmp_ne_u32_e32 vcc_lo, 1, v1
	v_add_nc_u32_e32 v2, 0x80, v0
	s_cbranch_vccnz .LBB111_1118
; %bb.1113:
	s_cmp_lg_u32 s19, 0
	s_mov_b32 s6, 0
	s_cbranch_scc0 .LBB111_1119
; %bb.1114:
	s_min_u32 s1, s33, 15
	s_delay_alu instid0(SALU_CYCLE_1)
	s_add_co_i32 s1, s1, 1
	s_cmp_eq_u32 s33, 2
	s_cbranch_scc1 .LBB111_1120
; %bb.1115:
	v_dual_mov_b32 v4, 0 :: v_dual_mov_b32 v12, 0
	v_mov_b32_e32 v3, v2
	s_and_b32 s0, s1, 28
	s_add_nc_u64 s[2:3], s[20:21], 0xc4
	s_mov_b32 s7, 0
	s_mov_b64 s[4:5], s[20:21]
.LBB111_1116:                           ; =>This Inner Loop Header: Depth=1
	s_clause 0x1
	s_load_b256 s[24:31], s[4:5], 0x4
	s_load_b128 s[44:47], s[4:5], 0x24
	s_load_b256 s[36:43], s[2:3], 0x0
	s_add_co_i32 s7, s7, 4
	s_wait_xcnt 0x0
	s_add_nc_u64 s[4:5], s[4:5], 48
	s_cmp_lg_u32 s0, s7
	s_add_nc_u64 s[2:3], s[2:3], 32
	s_wait_kmcnt 0x0
	v_mul_hi_u32 v5, s25, v3
	s_delay_alu instid0(VALU_DEP_1) | instskip(NEXT) | instid1(VALU_DEP_1)
	v_add_nc_u32_e32 v5, v3, v5
	v_lshrrev_b32_e32 v5, s26, v5
	s_delay_alu instid0(VALU_DEP_1) | instskip(NEXT) | instid1(VALU_DEP_1)
	v_mul_hi_u32 v7, s28, v5
	v_add_nc_u32_e32 v7, v5, v7
	s_delay_alu instid0(VALU_DEP_1) | instskip(NEXT) | instid1(VALU_DEP_1)
	v_lshrrev_b32_e32 v7, s29, v7
	v_mul_hi_u32 v8, s31, v7
	s_delay_alu instid0(VALU_DEP_1) | instskip(SKIP_1) | instid1(VALU_DEP_1)
	v_add_nc_u32_e32 v8, v7, v8
	v_mul_lo_u32 v10, v5, s24
	v_sub_nc_u32_e32 v3, v3, v10
	v_mul_lo_u32 v10, v7, s27
	s_delay_alu instid0(VALU_DEP_4) | instskip(NEXT) | instid1(VALU_DEP_3)
	v_lshrrev_b32_e32 v8, s44, v8
	v_mad_u32 v12, v3, s37, v12
	v_mad_u32 v3, v3, s36, v4
	s_delay_alu instid0(VALU_DEP_4) | instskip(NEXT) | instid1(VALU_DEP_4)
	v_sub_nc_u32_e32 v4, v5, v10
	v_mul_hi_u32 v11, s46, v8
	v_mul_lo_u32 v5, v8, s30
	s_delay_alu instid0(VALU_DEP_1) | instskip(NEXT) | instid1(VALU_DEP_4)
	v_dual_add_nc_u32 v10, v8, v11 :: v_dual_sub_nc_u32 v5, v7, v5
	v_mad_u32 v11, v4, s39, v12
	v_mad_u32 v4, v4, s38, v3
	s_delay_alu instid0(VALU_DEP_3) | instskip(NEXT) | instid1(VALU_DEP_1)
	v_lshrrev_b32_e32 v3, s47, v10
	v_mul_lo_u32 v7, v3, s45
	s_delay_alu instid0(VALU_DEP_4) | instskip(NEXT) | instid1(VALU_DEP_4)
	v_mad_u32 v10, v5, s41, v11
	v_mad_u32 v4, v5, s40, v4
	s_delay_alu instid0(VALU_DEP_3) | instskip(NEXT) | instid1(VALU_DEP_1)
	v_sub_nc_u32_e32 v5, v8, v7
	v_mad_u32 v12, v5, s43, v10
	s_delay_alu instid0(VALU_DEP_3)
	v_mad_u32 v4, v5, s42, v4
	s_cbranch_scc1 .LBB111_1116
; %bb.1117:
	s_delay_alu instid0(VALU_DEP_2)
	v_mov_b32_e32 v5, v12
	s_and_b32 s4, s1, 3
	s_mov_b32 s1, 0
	s_cmp_eq_u32 s4, 0
	s_cbranch_scc0 .LBB111_1121
	s_branch .LBB111_1124
.LBB111_1118:
	s_mov_b32 s6, -1
                                        ; implicit-def: $vgpr12
                                        ; implicit-def: $vgpr4
	s_branch .LBB111_1124
.LBB111_1119:
	v_dual_mov_b32 v12, 0 :: v_dual_mov_b32 v4, 0
	s_branch .LBB111_1124
.LBB111_1120:
	v_mov_b64_e32 v[4:5], 0
	v_mov_b32_e32 v3, v2
	s_mov_b32 s0, 0
                                        ; implicit-def: $vgpr12
	s_and_b32 s4, s1, 3
	s_mov_b32 s1, 0
	s_cmp_eq_u32 s4, 0
	s_cbranch_scc1 .LBB111_1124
.LBB111_1121:
	s_lshl_b32 s2, s0, 3
	s_mov_b32 s3, s1
	s_mul_u64 s[8:9], s[0:1], 12
	s_add_nc_u64 s[2:3], s[20:21], s[2:3]
	s_delay_alu instid0(SALU_CYCLE_1)
	s_add_nc_u64 s[0:1], s[2:3], 0xc4
	s_add_nc_u64 s[2:3], s[20:21], s[8:9]
.LBB111_1122:                           ; =>This Inner Loop Header: Depth=1
	s_load_b96 s[8:10], s[2:3], 0x4
	s_load_b64 s[14:15], s[0:1], 0x0
	s_add_co_i32 s4, s4, -1
	s_wait_xcnt 0x0
	s_add_nc_u64 s[2:3], s[2:3], 12
	s_cmp_lg_u32 s4, 0
	s_add_nc_u64 s[0:1], s[0:1], 8
	s_wait_kmcnt 0x0
	v_mul_hi_u32 v7, s9, v3
	s_delay_alu instid0(VALU_DEP_1) | instskip(NEXT) | instid1(VALU_DEP_1)
	v_add_nc_u32_e32 v7, v3, v7
	v_lshrrev_b32_e32 v7, s10, v7
	s_delay_alu instid0(VALU_DEP_1) | instskip(NEXT) | instid1(VALU_DEP_1)
	v_mul_lo_u32 v8, v7, s8
	v_sub_nc_u32_e32 v3, v3, v8
	s_delay_alu instid0(VALU_DEP_1)
	v_mad_u32 v5, v3, s15, v5
	v_mad_u32 v4, v3, s14, v4
	v_mov_b32_e32 v3, v7
	s_cbranch_scc1 .LBB111_1122
; %bb.1123:
	s_delay_alu instid0(VALU_DEP_3)
	v_mov_b32_e32 v12, v5
.LBB111_1124:
	s_and_not1_b32 vcc_lo, exec_lo, s6
	s_cbranch_vccnz .LBB111_1127
; %bb.1125:
	s_clause 0x1
	s_load_b96 s[0:2], s[20:21], 0x4
	s_load_b64 s[4:5], s[20:21], 0xc4
	s_cmp_lt_u32 s19, 2
	s_wait_kmcnt 0x0
	v_mul_hi_u32 v3, s1, v2
	s_delay_alu instid0(VALU_DEP_1) | instskip(NEXT) | instid1(VALU_DEP_1)
	v_add_nc_u32_e32 v3, v2, v3
	v_lshrrev_b32_e32 v3, s2, v3
	s_delay_alu instid0(VALU_DEP_1) | instskip(NEXT) | instid1(VALU_DEP_1)
	v_mul_lo_u32 v4, v3, s0
	v_sub_nc_u32_e32 v2, v2, v4
	s_delay_alu instid0(VALU_DEP_1)
	v_mul_lo_u32 v12, v2, s5
	v_mul_lo_u32 v4, v2, s4
	s_cbranch_scc1 .LBB111_1127
; %bb.1126:
	s_clause 0x1
	s_load_b96 s[0:2], s[20:21], 0x10
	s_load_b64 s[4:5], s[20:21], 0xcc
	s_wait_kmcnt 0x0
	v_mul_hi_u32 v2, s1, v3
	s_delay_alu instid0(VALU_DEP_1) | instskip(NEXT) | instid1(VALU_DEP_1)
	v_add_nc_u32_e32 v2, v3, v2
	v_lshrrev_b32_e32 v2, s2, v2
	s_delay_alu instid0(VALU_DEP_1) | instskip(NEXT) | instid1(VALU_DEP_1)
	v_mul_lo_u32 v2, v2, s0
	v_sub_nc_u32_e32 v2, v3, v2
	s_delay_alu instid0(VALU_DEP_1)
	v_mad_u32 v4, v2, s4, v4
	v_mad_u32 v12, v2, s5, v12
.LBB111_1127:
	v_cmp_ne_u32_e32 vcc_lo, 1, v1
	v_add_nc_u32_e32 v0, 0x100, v0
	s_cbranch_vccnz .LBB111_1133
; %bb.1128:
	s_cmp_lg_u32 s19, 0
	s_mov_b32 s6, 0
	s_cbranch_scc0 .LBB111_1134
; %bb.1129:
	s_min_u32 s1, s33, 15
	s_delay_alu instid0(SALU_CYCLE_1)
	s_add_co_i32 s1, s1, 1
	s_cmp_eq_u32 s33, 2
	s_cbranch_scc1 .LBB111_1135
; %bb.1130:
	v_dual_mov_b32 v2, 0 :: v_dual_mov_b32 v10, 0
	v_mov_b32_e32 v5, v0
	s_and_b32 s0, s1, 28
	s_add_nc_u64 s[2:3], s[20:21], 0xc4
	s_mov_b32 s7, 0
	s_mov_b64 s[4:5], s[20:21]
.LBB111_1131:                           ; =>This Inner Loop Header: Depth=1
	s_clause 0x1
	s_load_b256 s[24:31], s[4:5], 0x4
	s_load_b128 s[44:47], s[4:5], 0x24
	s_load_b256 s[36:43], s[2:3], 0x0
	s_add_co_i32 s7, s7, 4
	s_wait_xcnt 0x0
	s_add_nc_u64 s[4:5], s[4:5], 48
	s_cmp_lg_u32 s0, s7
	s_add_nc_u64 s[2:3], s[2:3], 32
	s_wait_kmcnt 0x0
	v_mul_hi_u32 v3, s25, v5
	s_delay_alu instid0(VALU_DEP_1) | instskip(NEXT) | instid1(VALU_DEP_1)
	v_add_nc_u32_e32 v3, v5, v3
	v_lshrrev_b32_e32 v3, s26, v3
	s_delay_alu instid0(VALU_DEP_1) | instskip(NEXT) | instid1(VALU_DEP_1)
	v_mul_hi_u32 v7, s28, v3
	v_add_nc_u32_e32 v7, v3, v7
	s_delay_alu instid0(VALU_DEP_1) | instskip(NEXT) | instid1(VALU_DEP_1)
	v_lshrrev_b32_e32 v7, s29, v7
	v_mul_hi_u32 v8, s31, v7
	s_delay_alu instid0(VALU_DEP_1) | instskip(NEXT) | instid1(VALU_DEP_1)
	v_add_nc_u32_e32 v8, v7, v8
	v_lshrrev_b32_e32 v8, s44, v8
	v_mul_lo_u32 v11, v3, s24
	s_delay_alu instid0(VALU_DEP_2) | instskip(NEXT) | instid1(VALU_DEP_2)
	v_mul_hi_u32 v13, s46, v8
	v_sub_nc_u32_e32 v5, v5, v11
	s_delay_alu instid0(VALU_DEP_1) | instskip(SKIP_1) | instid1(VALU_DEP_4)
	v_mad_u32 v10, v5, s37, v10
	v_mad_u32 v2, v5, s36, v2
	v_add_nc_u32_e32 v5, v8, v13
	s_delay_alu instid0(VALU_DEP_1) | instskip(SKIP_1) | instid1(VALU_DEP_1)
	v_lshrrev_b32_e32 v5, s47, v5
	v_mul_lo_u32 v11, v7, s27
	v_sub_nc_u32_e32 v3, v3, v11
	v_mul_lo_u32 v11, v8, s30
	s_delay_alu instid0(VALU_DEP_2) | instskip(SKIP_1) | instid1(VALU_DEP_3)
	v_mad_u32 v10, v3, s39, v10
	v_mad_u32 v2, v3, s38, v2
	v_sub_nc_u32_e32 v3, v7, v11
	v_mul_lo_u32 v7, v5, s45
	s_delay_alu instid0(VALU_DEP_2) | instskip(NEXT) | instid1(VALU_DEP_4)
	v_mad_u32 v10, v3, s41, v10
	v_mad_u32 v2, v3, s40, v2
	s_delay_alu instid0(VALU_DEP_3) | instskip(NEXT) | instid1(VALU_DEP_1)
	v_sub_nc_u32_e32 v3, v8, v7
	v_mad_u32 v10, v3, s43, v10
	s_delay_alu instid0(VALU_DEP_3)
	v_mad_u32 v2, v3, s42, v2
	s_cbranch_scc1 .LBB111_1131
; %bb.1132:
	s_delay_alu instid0(VALU_DEP_2)
	v_mov_b32_e32 v3, v10
	s_and_b32 s4, s1, 3
	s_mov_b32 s1, 0
	s_cmp_eq_u32 s4, 0
	s_cbranch_scc0 .LBB111_1136
	s_branch .LBB111_1139
.LBB111_1133:
	s_mov_b32 s6, -1
                                        ; implicit-def: $vgpr10
                                        ; implicit-def: $vgpr2
	s_branch .LBB111_1139
.LBB111_1134:
	v_dual_mov_b32 v10, 0 :: v_dual_mov_b32 v2, 0
	s_branch .LBB111_1139
.LBB111_1135:
	v_mov_b64_e32 v[2:3], 0
	v_mov_b32_e32 v5, v0
	s_mov_b32 s0, 0
                                        ; implicit-def: $vgpr10
	s_and_b32 s4, s1, 3
	s_mov_b32 s1, 0
	s_cmp_eq_u32 s4, 0
	s_cbranch_scc1 .LBB111_1139
.LBB111_1136:
	s_lshl_b32 s2, s0, 3
	s_mov_b32 s3, s1
	s_mul_u64 s[8:9], s[0:1], 12
	s_add_nc_u64 s[2:3], s[20:21], s[2:3]
	s_delay_alu instid0(SALU_CYCLE_1)
	s_add_nc_u64 s[0:1], s[2:3], 0xc4
	s_add_nc_u64 s[2:3], s[20:21], s[8:9]
.LBB111_1137:                           ; =>This Inner Loop Header: Depth=1
	s_load_b96 s[8:10], s[2:3], 0x4
	s_load_b64 s[14:15], s[0:1], 0x0
	s_add_co_i32 s4, s4, -1
	s_wait_xcnt 0x0
	s_add_nc_u64 s[2:3], s[2:3], 12
	s_cmp_lg_u32 s4, 0
	s_add_nc_u64 s[0:1], s[0:1], 8
	s_wait_kmcnt 0x0
	v_mul_hi_u32 v7, s9, v5
	s_delay_alu instid0(VALU_DEP_1) | instskip(NEXT) | instid1(VALU_DEP_1)
	v_add_nc_u32_e32 v7, v5, v7
	v_lshrrev_b32_e32 v7, s10, v7
	s_delay_alu instid0(VALU_DEP_1) | instskip(NEXT) | instid1(VALU_DEP_1)
	v_mul_lo_u32 v8, v7, s8
	v_sub_nc_u32_e32 v5, v5, v8
	s_delay_alu instid0(VALU_DEP_1)
	v_mad_u32 v3, v5, s15, v3
	v_mad_u32 v2, v5, s14, v2
	v_mov_b32_e32 v5, v7
	s_cbranch_scc1 .LBB111_1137
; %bb.1138:
	s_delay_alu instid0(VALU_DEP_3)
	v_mov_b32_e32 v10, v3
.LBB111_1139:
	s_and_not1_b32 vcc_lo, exec_lo, s6
	s_cbranch_vccnz .LBB111_1142
; %bb.1140:
	s_clause 0x1
	s_load_b96 s[0:2], s[20:21], 0x4
	s_load_b64 s[4:5], s[20:21], 0xc4
	s_cmp_lt_u32 s19, 2
	s_wait_kmcnt 0x0
	v_mul_hi_u32 v2, s1, v0
	s_delay_alu instid0(VALU_DEP_1) | instskip(NEXT) | instid1(VALU_DEP_1)
	v_add_nc_u32_e32 v2, v0, v2
	v_lshrrev_b32_e32 v3, s2, v2
	s_delay_alu instid0(VALU_DEP_1) | instskip(NEXT) | instid1(VALU_DEP_1)
	v_mul_lo_u32 v2, v3, s0
	v_sub_nc_u32_e32 v0, v0, v2
	s_delay_alu instid0(VALU_DEP_1)
	v_mul_lo_u32 v10, v0, s5
	v_mul_lo_u32 v2, v0, s4
	s_cbranch_scc1 .LBB111_1142
; %bb.1141:
	s_clause 0x1
	s_load_b96 s[0:2], s[20:21], 0x10
	s_load_b64 s[4:5], s[20:21], 0xcc
	s_wait_kmcnt 0x0
	v_mul_hi_u32 v0, s1, v3
	s_delay_alu instid0(VALU_DEP_1) | instskip(NEXT) | instid1(VALU_DEP_1)
	v_add_nc_u32_e32 v0, v3, v0
	v_lshrrev_b32_e32 v0, s2, v0
	s_delay_alu instid0(VALU_DEP_1) | instskip(NEXT) | instid1(VALU_DEP_1)
	v_mul_lo_u32 v0, v0, s0
	v_sub_nc_u32_e32 v0, v3, v0
	s_delay_alu instid0(VALU_DEP_1)
	v_mad_u32 v2, v0, s4, v2
	v_mad_u32 v10, v0, s5, v10
.LBB111_1142:
	v_cmp_ne_u32_e32 vcc_lo, 1, v1
	s_cbranch_vccnz .LBB111_1148
; %bb.1143:
	s_cmp_lg_u32 s19, 0
	s_mov_b32 s6, 0
	s_cbranch_scc0 .LBB111_1149
; %bb.1144:
	s_min_u32 s1, s33, 15
	s_delay_alu instid0(SALU_CYCLE_1)
	s_add_co_i32 s1, s1, 1
	s_cmp_eq_u32 s33, 2
	s_cbranch_scc1 .LBB111_1150
; %bb.1145:
	v_dual_mov_b32 v0, 0 :: v_dual_mov_b32 v8, 0
	v_mov_b32_e32 v3, v9
	s_and_b32 s0, s1, 28
	s_add_nc_u64 s[2:3], s[20:21], 0xc4
	s_mov_b32 s7, 0
	s_mov_b64 s[4:5], s[20:21]
.LBB111_1146:                           ; =>This Inner Loop Header: Depth=1
	s_clause 0x1
	s_load_b256 s[24:31], s[4:5], 0x4
	s_load_b128 s[44:47], s[4:5], 0x24
	s_load_b256 s[36:43], s[2:3], 0x0
	s_add_co_i32 s7, s7, 4
	s_wait_xcnt 0x0
	s_add_nc_u64 s[4:5], s[4:5], 48
	s_cmp_lg_u32 s0, s7
	s_add_nc_u64 s[2:3], s[2:3], 32
	s_wait_kmcnt 0x0
	v_mul_hi_u32 v1, s25, v3
	s_delay_alu instid0(VALU_DEP_1) | instskip(NEXT) | instid1(VALU_DEP_1)
	v_add_nc_u32_e32 v1, v3, v1
	v_lshrrev_b32_e32 v1, s26, v1
	s_delay_alu instid0(VALU_DEP_1) | instskip(NEXT) | instid1(VALU_DEP_1)
	v_mul_lo_u32 v11, v1, s24
	v_sub_nc_u32_e32 v3, v3, v11
	v_mul_hi_u32 v5, s28, v1
	s_delay_alu instid0(VALU_DEP_2) | instskip(SKIP_1) | instid1(VALU_DEP_3)
	v_mad_u32 v8, v3, s37, v8
	v_mad_u32 v0, v3, s36, v0
	v_add_nc_u32_e32 v5, v1, v5
	s_delay_alu instid0(VALU_DEP_1) | instskip(NEXT) | instid1(VALU_DEP_1)
	v_lshrrev_b32_e32 v5, s29, v5
	v_mul_lo_u32 v11, v5, s27
	s_delay_alu instid0(VALU_DEP_1) | instskip(SKIP_1) | instid1(VALU_DEP_2)
	v_sub_nc_u32_e32 v1, v1, v11
	v_mul_hi_u32 v7, s31, v5
	v_mad_u32 v8, v1, s39, v8
	v_mad_u32 v0, v1, s38, v0
	s_delay_alu instid0(VALU_DEP_3) | instskip(NEXT) | instid1(VALU_DEP_1)
	v_add_nc_u32_e32 v7, v5, v7
	v_lshrrev_b32_e32 v7, s44, v7
	s_delay_alu instid0(VALU_DEP_1) | instskip(SKIP_1) | instid1(VALU_DEP_1)
	v_mul_hi_u32 v13, s46, v7
	v_mul_lo_u32 v11, v7, s30
	v_dual_add_nc_u32 v3, v7, v13 :: v_dual_sub_nc_u32 v1, v5, v11
	s_delay_alu instid0(VALU_DEP_1) | instskip(NEXT) | instid1(VALU_DEP_2)
	v_lshrrev_b32_e32 v3, s47, v3
	v_mad_u32 v8, v1, s41, v8
	v_mad_u32 v0, v1, s40, v0
	s_delay_alu instid0(VALU_DEP_3) | instskip(NEXT) | instid1(VALU_DEP_1)
	v_mul_lo_u32 v5, v3, s45
	v_sub_nc_u32_e32 v1, v7, v5
	s_delay_alu instid0(VALU_DEP_1) | instskip(NEXT) | instid1(VALU_DEP_4)
	v_mad_u32 v8, v1, s43, v8
	v_mad_u32 v0, v1, s42, v0
	s_cbranch_scc1 .LBB111_1146
; %bb.1147:
	s_delay_alu instid0(VALU_DEP_2)
	v_mov_b32_e32 v1, v8
	s_and_b32 s4, s1, 3
	s_mov_b32 s1, 0
	s_cmp_eq_u32 s4, 0
	s_cbranch_scc0 .LBB111_1151
	s_branch .LBB111_1154
.LBB111_1148:
	s_mov_b32 s6, -1
                                        ; implicit-def: $vgpr8
                                        ; implicit-def: $vgpr0
	s_branch .LBB111_1154
.LBB111_1149:
	v_dual_mov_b32 v8, 0 :: v_dual_mov_b32 v0, 0
	s_branch .LBB111_1154
.LBB111_1150:
	v_mov_b64_e32 v[0:1], 0
	v_mov_b32_e32 v3, v9
	s_mov_b32 s0, 0
                                        ; implicit-def: $vgpr8
	s_and_b32 s4, s1, 3
	s_mov_b32 s1, 0
	s_cmp_eq_u32 s4, 0
	s_cbranch_scc1 .LBB111_1154
.LBB111_1151:
	s_lshl_b32 s2, s0, 3
	s_mov_b32 s3, s1
	s_mul_u64 s[8:9], s[0:1], 12
	s_add_nc_u64 s[2:3], s[20:21], s[2:3]
	s_delay_alu instid0(SALU_CYCLE_1)
	s_add_nc_u64 s[0:1], s[2:3], 0xc4
	s_add_nc_u64 s[2:3], s[20:21], s[8:9]
.LBB111_1152:                           ; =>This Inner Loop Header: Depth=1
	s_load_b96 s[8:10], s[2:3], 0x4
	s_load_b64 s[14:15], s[0:1], 0x0
	s_add_co_i32 s4, s4, -1
	s_wait_xcnt 0x0
	s_add_nc_u64 s[2:3], s[2:3], 12
	s_cmp_lg_u32 s4, 0
	s_add_nc_u64 s[0:1], s[0:1], 8
	s_wait_kmcnt 0x0
	v_mul_hi_u32 v5, s9, v3
	s_delay_alu instid0(VALU_DEP_1) | instskip(NEXT) | instid1(VALU_DEP_1)
	v_add_nc_u32_e32 v5, v3, v5
	v_lshrrev_b32_e32 v5, s10, v5
	s_delay_alu instid0(VALU_DEP_1) | instskip(NEXT) | instid1(VALU_DEP_1)
	v_mul_lo_u32 v7, v5, s8
	v_sub_nc_u32_e32 v3, v3, v7
	s_delay_alu instid0(VALU_DEP_1)
	v_mad_u32 v1, v3, s15, v1
	v_mad_u32 v0, v3, s14, v0
	v_mov_b32_e32 v3, v5
	s_cbranch_scc1 .LBB111_1152
; %bb.1153:
	s_delay_alu instid0(VALU_DEP_3)
	v_mov_b32_e32 v8, v1
.LBB111_1154:
	s_and_not1_b32 vcc_lo, exec_lo, s6
	s_cbranch_vccnz .LBB111_1157
; %bb.1155:
	s_clause 0x1
	s_load_b96 s[0:2], s[20:21], 0x4
	s_load_b64 s[4:5], s[20:21], 0xc4
	s_cmp_lt_u32 s19, 2
	s_wait_kmcnt 0x0
	v_mul_hi_u32 v0, s1, v9
	s_delay_alu instid0(VALU_DEP_1) | instskip(NEXT) | instid1(VALU_DEP_1)
	v_add_nc_u32_e32 v0, v9, v0
	v_lshrrev_b32_e32 v1, s2, v0
	s_delay_alu instid0(VALU_DEP_1) | instskip(NEXT) | instid1(VALU_DEP_1)
	v_mul_lo_u32 v0, v1, s0
	v_sub_nc_u32_e32 v0, v9, v0
	s_delay_alu instid0(VALU_DEP_1)
	v_mul_lo_u32 v8, v0, s5
	v_mul_lo_u32 v0, v0, s4
	s_cbranch_scc1 .LBB111_1157
; %bb.1156:
	s_clause 0x1
	s_load_b96 s[0:2], s[20:21], 0x10
	s_load_b64 s[4:5], s[20:21], 0xcc
	s_wait_kmcnt 0x0
	v_mul_hi_u32 v3, s1, v1
	s_delay_alu instid0(VALU_DEP_1) | instskip(NEXT) | instid1(VALU_DEP_1)
	v_add_nc_u32_e32 v3, v1, v3
	v_lshrrev_b32_e32 v3, s2, v3
	s_delay_alu instid0(VALU_DEP_1) | instskip(NEXT) | instid1(VALU_DEP_1)
	v_mul_lo_u32 v3, v3, s0
	v_sub_nc_u32_e32 v1, v1, v3
	s_delay_alu instid0(VALU_DEP_1)
	v_mad_u32 v0, v1, s4, v0
	v_mad_u32 v8, v1, s5, v8
.LBB111_1157:
	v_mov_b32_e32 v15, 0
	s_load_b128 s[4:7], s[20:21], 0x148
	global_load_u8 v1, v15, s[20:21] offset:353
	s_wait_kmcnt 0x0
	v_add_nc_u64_e32 v[14:15], s[6:7], v[14:15]
	s_wait_loadcnt 0x0
	v_and_b32_e32 v3, 0xffff, v1
	v_readfirstlane_b32 s0, v1
	s_delay_alu instid0(VALU_DEP_2)
	v_cmp_gt_i32_e32 vcc_lo, 11, v3
	s_cbranch_vccnz .LBB111_1164
; %bb.1158:
	s_and_b32 s1, 0xffff, s0
	s_mov_b32 s8, 0
	s_cmp_gt_i32 s1, 25
	s_cbranch_scc0 .LBB111_1166
; %bb.1159:
	s_cmp_gt_i32 s1, 28
	s_cbranch_scc0 .LBB111_1167
; %bb.1160:
	;; [unrolled: 3-line block ×4, first 2 shown]
	s_cmp_eq_u32 s1, 46
	s_mov_b32 s3, 0
	s_cbranch_scc0 .LBB111_1172
; %bb.1163:
	global_load_b32 v1, v[14:15], off
	s_mov_b32 s2, 0
	s_mov_b32 s9, -1
	s_wait_loadcnt 0x0
	v_lshlrev_b32_e32 v1, 16, v1
	s_branch .LBB111_1174
.LBB111_1164:
	s_mov_b32 s9, 0
	s_mov_b32 s3, s11
                                        ; implicit-def: $vgpr1
	s_cbranch_execnz .LBB111_1237
.LBB111_1165:
	s_and_not1_b32 vcc_lo, exec_lo, s9
	s_cbranch_vccz .LBB111_1282
	s_branch .LBB111_2105
.LBB111_1166:
	s_mov_b32 s9, 0
	s_mov_b32 s2, 0
                                        ; implicit-def: $vgpr1
	s_cbranch_execnz .LBB111_1202
	s_branch .LBB111_1233
.LBB111_1167:
	s_mov_b32 s3, -1
	s_mov_b32 s9, 0
	s_mov_b32 s2, 0
                                        ; implicit-def: $vgpr1
	s_branch .LBB111_1183
.LBB111_1168:
	s_mov_b32 s9, 0
	s_mov_b32 s2, 0
                                        ; implicit-def: $vgpr1
	s_cbranch_execnz .LBB111_1179
	s_branch .LBB111_1182
.LBB111_1169:
	s_mov_b32 s3, -1
	s_mov_b32 s9, 0
	s_mov_b32 s2, 0
	s_branch .LBB111_1173
.LBB111_1170:
	s_and_not1_saveexec_b32 s8, s8
	s_cbranch_execz .LBB111_1009
.LBB111_1171:
	v_add_f32_e32 v2, 0x46000000, v3
	s_and_not1_b32 s7, s7, exec_lo
	s_delay_alu instid0(VALU_DEP_1) | instskip(NEXT) | instid1(VALU_DEP_1)
	v_and_b32_e32 v2, 0xff, v2
	v_cmp_ne_u32_e32 vcc_lo, 0, v2
	s_and_b32 s9, vcc_lo, exec_lo
	s_delay_alu instid0(SALU_CYCLE_1)
	s_or_b32 s7, s7, s9
	s_or_b32 exec_lo, exec_lo, s8
	v_mov_b32_e32 v4, 0
	s_and_saveexec_b32 s8, s7
	s_cbranch_execnz .LBB111_1010
	s_branch .LBB111_1011
.LBB111_1172:
	s_mov_b32 s2, -1
	s_mov_b32 s9, 0
.LBB111_1173:
                                        ; implicit-def: $vgpr1
.LBB111_1174:
	s_and_b32 vcc_lo, exec_lo, s3
	s_cbranch_vccz .LBB111_1177
; %bb.1175:
	s_cmp_eq_u32 s1, 44
	s_cbranch_scc0 .LBB111_1178
; %bb.1176:
	global_load_u8 v1, v[14:15], off
	s_mov_b32 s2, 0
	s_mov_b32 s9, -1
	s_wait_loadcnt 0x0
	v_lshlrev_b32_e32 v3, 23, v1
	v_cmp_ne_u32_e32 vcc_lo, 0xff, v1
	s_delay_alu instid0(VALU_DEP_2) | instskip(SKIP_1) | instid1(VALU_DEP_2)
	v_cndmask_b32_e32 v3, 0x7f800001, v3, vcc_lo
	v_cmp_ne_u32_e32 vcc_lo, 0, v1
	v_cndmask_b32_e32 v1, 0x400000, v3, vcc_lo
.LBB111_1177:
	s_branch .LBB111_1182
.LBB111_1178:
	s_mov_b32 s2, -1
                                        ; implicit-def: $vgpr1
	s_branch .LBB111_1182
.LBB111_1179:
	s_cmp_eq_u32 s1, 29
	s_cbranch_scc0 .LBB111_1181
; %bb.1180:
	global_load_b64 v[16:17], v[14:15], off
	s_mov_b32 s2, 0
	s_mov_b32 s9, -1
	s_mov_b32 s3, 0
	s_wait_loadcnt 0x0
	v_clz_i32_u32_e32 v1, v17
	s_delay_alu instid0(VALU_DEP_1) | instskip(NEXT) | instid1(VALU_DEP_1)
	v_min_u32_e32 v1, 32, v1
	v_lshlrev_b64_e32 v[16:17], v1, v[16:17]
	v_sub_nc_u32_e32 v1, 32, v1
	s_delay_alu instid0(VALU_DEP_2) | instskip(NEXT) | instid1(VALU_DEP_1)
	v_min_u32_e32 v3, 1, v16
	v_or_b32_e32 v3, v17, v3
	s_delay_alu instid0(VALU_DEP_1) | instskip(NEXT) | instid1(VALU_DEP_1)
	v_cvt_f32_u32_e32 v3, v3
	v_ldexp_f32 v1, v3, v1
	s_branch .LBB111_1183
.LBB111_1181:
	s_mov_b32 s2, -1
                                        ; implicit-def: $vgpr1
.LBB111_1182:
	s_mov_b32 s3, 0
.LBB111_1183:
	s_delay_alu instid0(SALU_CYCLE_1)
	s_and_b32 vcc_lo, exec_lo, s3
	s_cbranch_vccz .LBB111_1201
; %bb.1184:
	s_cmp_lt_i32 s1, 27
	s_cbranch_scc1 .LBB111_1187
; %bb.1185:
	s_cmp_gt_i32 s1, 27
	s_cbranch_scc0 .LBB111_1188
; %bb.1186:
	global_load_b32 v1, v[14:15], off
	s_mov_b32 s3, 0
	s_wait_loadcnt 0x0
	v_cvt_f32_u32_e32 v1, v1
	s_branch .LBB111_1189
.LBB111_1187:
	s_mov_b32 s3, -1
                                        ; implicit-def: $vgpr1
	s_branch .LBB111_1192
.LBB111_1188:
	s_mov_b32 s3, -1
                                        ; implicit-def: $vgpr1
.LBB111_1189:
	s_delay_alu instid0(SALU_CYCLE_1)
	s_and_not1_b32 vcc_lo, exec_lo, s3
	s_cbranch_vccnz .LBB111_1191
; %bb.1190:
	global_load_u16 v1, v[14:15], off
	s_wait_loadcnt 0x0
	v_cvt_f32_u32_e32 v1, v1
.LBB111_1191:
	s_mov_b32 s3, 0
.LBB111_1192:
	s_delay_alu instid0(SALU_CYCLE_1)
	s_and_not1_b32 vcc_lo, exec_lo, s3
	s_cbranch_vccnz .LBB111_1200
; %bb.1193:
	global_load_u8 v3, v[14:15], off
	s_mov_b32 s3, 0
	s_mov_b32 s9, exec_lo
	s_wait_loadcnt 0x0
	v_cmpx_lt_i16_e32 0x7f, v3
	s_xor_b32 s9, exec_lo, s9
	s_cbranch_execz .LBB111_1213
; %bb.1194:
	s_mov_b32 s3, -1
	s_mov_b32 s10, exec_lo
	v_cmpx_eq_u16_e32 0x80, v3
; %bb.1195:
	s_xor_b32 s3, exec_lo, -1
; %bb.1196:
	s_or_b32 exec_lo, exec_lo, s10
	s_delay_alu instid0(SALU_CYCLE_1)
	s_and_b32 s3, s3, exec_lo
	s_or_saveexec_b32 s9, s9
	v_mov_b32_e32 v1, 0x7f800001
	s_xor_b32 exec_lo, exec_lo, s9
	s_cbranch_execnz .LBB111_1214
.LBB111_1197:
	s_or_b32 exec_lo, exec_lo, s9
	s_and_saveexec_b32 s9, s3
	s_cbranch_execz .LBB111_1199
.LBB111_1198:
	v_and_b32_e32 v1, 0xffff, v3
	s_delay_alu instid0(VALU_DEP_1) | instskip(SKIP_1) | instid1(VALU_DEP_2)
	v_and_b32_e32 v5, 7, v1
	v_bfe_u32 v11, v1, 3, 4
	v_clz_i32_u32_e32 v7, v5
	s_delay_alu instid0(VALU_DEP_2) | instskip(NEXT) | instid1(VALU_DEP_2)
	v_cmp_eq_u32_e32 vcc_lo, 0, v11
	v_min_u32_e32 v7, 32, v7
	s_delay_alu instid0(VALU_DEP_1) | instskip(NEXT) | instid1(VALU_DEP_1)
	v_subrev_nc_u32_e32 v9, 28, v7
	v_dual_lshlrev_b32 v1, v9, v1 :: v_dual_sub_nc_u32 v7, 29, v7
	s_delay_alu instid0(VALU_DEP_1) | instskip(NEXT) | instid1(VALU_DEP_1)
	v_dual_lshlrev_b32 v3, 24, v3 :: v_dual_bitop2_b32 v1, 7, v1 bitop3:0x40
	v_dual_cndmask_b32 v1, v5, v1, vcc_lo :: v_dual_cndmask_b32 v7, v11, v7, vcc_lo
	s_delay_alu instid0(VALU_DEP_2) | instskip(NEXT) | instid1(VALU_DEP_2)
	v_and_b32_e32 v3, 0x80000000, v3
	v_lshlrev_b32_e32 v1, 20, v1
	s_delay_alu instid0(VALU_DEP_3) | instskip(NEXT) | instid1(VALU_DEP_1)
	v_lshl_add_u32 v5, v7, 23, 0x3b800000
	v_or3_b32 v1, v3, v5, v1
.LBB111_1199:
	s_or_b32 exec_lo, exec_lo, s9
.LBB111_1200:
	s_mov_b32 s9, -1
.LBB111_1201:
	s_branch .LBB111_1233
.LBB111_1202:
	s_cmp_gt_i32 s1, 22
	s_cbranch_scc0 .LBB111_1212
; %bb.1203:
	s_cmp_lt_i32 s1, 24
	s_cbranch_scc1 .LBB111_1215
; %bb.1204:
	s_cmp_gt_i32 s1, 24
	s_cbranch_scc0 .LBB111_1216
; %bb.1205:
	global_load_u8 v3, v[14:15], off
	s_mov_b32 s3, 0
	s_mov_b32 s8, exec_lo
	s_wait_loadcnt 0x0
	v_cmpx_lt_i16_e32 0x7f, v3
	s_xor_b32 s8, exec_lo, s8
	s_cbranch_execz .LBB111_1227
; %bb.1206:
	s_mov_b32 s3, -1
	s_mov_b32 s9, exec_lo
	v_cmpx_eq_u16_e32 0x80, v3
; %bb.1207:
	s_xor_b32 s3, exec_lo, -1
; %bb.1208:
	s_or_b32 exec_lo, exec_lo, s9
	s_delay_alu instid0(SALU_CYCLE_1)
	s_and_b32 s3, s3, exec_lo
	s_or_saveexec_b32 s8, s8
	v_mov_b32_e32 v1, 0x7f800001
	s_xor_b32 exec_lo, exec_lo, s8
	s_cbranch_execnz .LBB111_1228
.LBB111_1209:
	s_or_b32 exec_lo, exec_lo, s8
	s_and_saveexec_b32 s8, s3
	s_cbranch_execz .LBB111_1211
.LBB111_1210:
	v_and_b32_e32 v1, 0xffff, v3
	s_delay_alu instid0(VALU_DEP_1) | instskip(SKIP_1) | instid1(VALU_DEP_2)
	v_and_b32_e32 v5, 3, v1
	v_bfe_u32 v11, v1, 2, 5
	v_clz_i32_u32_e32 v7, v5
	s_delay_alu instid0(VALU_DEP_2) | instskip(NEXT) | instid1(VALU_DEP_2)
	v_cmp_eq_u32_e32 vcc_lo, 0, v11
	v_min_u32_e32 v7, 32, v7
	s_delay_alu instid0(VALU_DEP_1) | instskip(NEXT) | instid1(VALU_DEP_1)
	v_subrev_nc_u32_e32 v9, 29, v7
	v_dual_lshlrev_b32 v1, v9, v1 :: v_dual_sub_nc_u32 v7, 30, v7
	s_delay_alu instid0(VALU_DEP_1) | instskip(NEXT) | instid1(VALU_DEP_1)
	v_dual_lshlrev_b32 v3, 24, v3 :: v_dual_bitop2_b32 v1, 3, v1 bitop3:0x40
	v_dual_cndmask_b32 v1, v5, v1, vcc_lo :: v_dual_cndmask_b32 v7, v11, v7, vcc_lo
	s_delay_alu instid0(VALU_DEP_2) | instskip(NEXT) | instid1(VALU_DEP_2)
	v_and_b32_e32 v3, 0x80000000, v3
	v_lshlrev_b32_e32 v1, 21, v1
	s_delay_alu instid0(VALU_DEP_3) | instskip(NEXT) | instid1(VALU_DEP_1)
	v_lshl_add_u32 v5, v7, 23, 0x37800000
	v_or3_b32 v1, v3, v5, v1
.LBB111_1211:
	s_or_b32 exec_lo, exec_lo, s8
	s_mov_b32 s3, 0
	s_branch .LBB111_1217
.LBB111_1212:
                                        ; implicit-def: $vgpr1
	s_mov_b32 s8, 0
	s_branch .LBB111_1223
.LBB111_1213:
	s_or_saveexec_b32 s9, s9
	v_mov_b32_e32 v1, 0x7f800001
	s_xor_b32 exec_lo, exec_lo, s9
	s_cbranch_execz .LBB111_1197
.LBB111_1214:
	v_cmp_ne_u16_e32 vcc_lo, 0, v3
	v_mov_b32_e32 v1, 0
	s_and_not1_b32 s3, s3, exec_lo
	s_and_b32 s10, vcc_lo, exec_lo
	s_delay_alu instid0(SALU_CYCLE_1)
	s_or_b32 s3, s3, s10
	s_or_b32 exec_lo, exec_lo, s9
	s_and_saveexec_b32 s9, s3
	s_cbranch_execnz .LBB111_1198
	s_branch .LBB111_1199
.LBB111_1215:
	s_mov_b32 s3, -1
                                        ; implicit-def: $vgpr1
	s_branch .LBB111_1220
.LBB111_1216:
	s_mov_b32 s3, -1
                                        ; implicit-def: $vgpr1
.LBB111_1217:
	s_delay_alu instid0(SALU_CYCLE_1)
	s_and_b32 vcc_lo, exec_lo, s3
	s_cbranch_vccz .LBB111_1219
; %bb.1218:
	global_load_u8 v1, v[14:15], off
	s_wait_loadcnt 0x0
	v_lshlrev_b32_e32 v1, 24, v1
	s_delay_alu instid0(VALU_DEP_1) | instskip(NEXT) | instid1(VALU_DEP_1)
	v_and_b32_e32 v3, 0x7f000000, v1
	v_clz_i32_u32_e32 v5, v3
	v_add_nc_u32_e32 v9, 0x1000000, v3
	v_cmp_ne_u32_e32 vcc_lo, 0, v3
	s_delay_alu instid0(VALU_DEP_3) | instskip(NEXT) | instid1(VALU_DEP_1)
	v_min_u32_e32 v5, 32, v5
	v_sub_nc_u32_e64 v5, v5, 4 clamp
	s_delay_alu instid0(VALU_DEP_1) | instskip(NEXT) | instid1(VALU_DEP_1)
	v_dual_lshlrev_b32 v7, v5, v3 :: v_dual_lshlrev_b32 v5, 23, v5
	v_lshrrev_b32_e32 v7, 4, v7
	s_delay_alu instid0(VALU_DEP_1) | instskip(SKIP_1) | instid1(VALU_DEP_2)
	v_sub_nc_u32_e32 v5, v7, v5
	v_ashrrev_i32_e32 v7, 8, v9
	v_add_nc_u32_e32 v5, 0x3c000000, v5
	s_delay_alu instid0(VALU_DEP_1) | instskip(NEXT) | instid1(VALU_DEP_1)
	v_and_or_b32 v5, 0x7f800000, v7, v5
	v_cndmask_b32_e32 v3, 0, v5, vcc_lo
	s_delay_alu instid0(VALU_DEP_1)
	v_and_or_b32 v1, 0x80000000, v1, v3
.LBB111_1219:
	s_mov_b32 s3, 0
.LBB111_1220:
	s_delay_alu instid0(SALU_CYCLE_1)
	s_and_not1_b32 vcc_lo, exec_lo, s3
	s_cbranch_vccnz .LBB111_1222
; %bb.1221:
	global_load_u8 v1, v[14:15], off
	s_wait_loadcnt 0x0
	v_lshlrev_b32_e32 v3, 25, v1
	v_lshlrev_b16 v1, 8, v1
	s_delay_alu instid0(VALU_DEP_1) | instskip(SKIP_1) | instid1(VALU_DEP_2)
	v_and_or_b32 v7, 0x7f00, v1, 0.5
	v_bfe_i32 v1, v1, 0, 16
	v_add_f32_e32 v7, -0.5, v7
	v_lshrrev_b32_e32 v5, 4, v3
	v_cmp_gt_u32_e32 vcc_lo, 0x8000000, v3
	s_delay_alu instid0(VALU_DEP_2) | instskip(NEXT) | instid1(VALU_DEP_1)
	v_or_b32_e32 v5, 0x70000000, v5
	v_mul_f32_e32 v5, 0x7800000, v5
	s_delay_alu instid0(VALU_DEP_1) | instskip(NEXT) | instid1(VALU_DEP_1)
	v_cndmask_b32_e32 v3, v5, v7, vcc_lo
	v_and_or_b32 v1, 0x80000000, v1, v3
.LBB111_1222:
	s_mov_b32 s9, -1
	s_mov_b32 s8, 0
	s_cbranch_execnz .LBB111_1233
.LBB111_1223:
	s_cmp_gt_i32 s1, 14
	s_cbranch_scc0 .LBB111_1226
; %bb.1224:
	s_cmp_eq_u32 s1, 15
	s_cbranch_scc0 .LBB111_1229
; %bb.1225:
	global_load_u16 v1, v[14:15], off
	s_mov_b32 s2, 0
	s_mov_b32 s9, -1
	s_wait_loadcnt 0x0
	v_lshlrev_b32_e32 v1, 16, v1
	s_branch .LBB111_1230
.LBB111_1226:
	s_mov_b32 s3, -1
                                        ; implicit-def: $vgpr1
	s_branch .LBB111_1231
.LBB111_1227:
	s_or_saveexec_b32 s8, s8
	v_mov_b32_e32 v1, 0x7f800001
	s_xor_b32 exec_lo, exec_lo, s8
	s_cbranch_execz .LBB111_1209
.LBB111_1228:
	v_cmp_ne_u16_e32 vcc_lo, 0, v3
	v_mov_b32_e32 v1, 0
	s_and_not1_b32 s3, s3, exec_lo
	s_and_b32 s9, vcc_lo, exec_lo
	s_delay_alu instid0(SALU_CYCLE_1)
	s_or_b32 s3, s3, s9
	s_or_b32 exec_lo, exec_lo, s8
	s_and_saveexec_b32 s8, s3
	s_cbranch_execnz .LBB111_1210
	s_branch .LBB111_1211
.LBB111_1229:
	s_mov_b32 s2, -1
                                        ; implicit-def: $vgpr1
.LBB111_1230:
	s_mov_b32 s3, 0
.LBB111_1231:
	s_delay_alu instid0(SALU_CYCLE_1)
	s_and_b32 vcc_lo, exec_lo, s3
	s_cbranch_vccz .LBB111_1233
; %bb.1232:
	s_cmp_lg_u32 s1, 11
	s_mov_b32 s8, -1
	s_cselect_b32 s2, -1, 0
.LBB111_1233:
	s_delay_alu instid0(SALU_CYCLE_1)
	s_and_b32 vcc_lo, exec_lo, s2
	s_mov_b32 s3, s11
	s_cbranch_vccnz .LBB111_1294
; %bb.1234:
	s_and_not1_b32 vcc_lo, exec_lo, s8
	s_cbranch_vccnz .LBB111_1236
.LBB111_1235:
	global_load_u8 v1, v[14:15], off
	s_mov_b32 s9, -1
	s_wait_loadcnt 0x0
	v_cmp_ne_u16_e32 vcc_lo, 0, v1
	v_cndmask_b32_e64 v1, 0, 1.0, vcc_lo
.LBB111_1236:
	s_branch .LBB111_1165
.LBB111_1237:
	s_and_b32 s1, 0xffff, s0
	s_delay_alu instid0(SALU_CYCLE_1)
	s_cmp_lt_i32 s1, 5
	s_cbranch_scc1 .LBB111_1242
; %bb.1238:
	s_cmp_lt_i32 s1, 8
	s_cbranch_scc1 .LBB111_1243
; %bb.1239:
	;; [unrolled: 3-line block ×3, first 2 shown]
	s_cmp_gt_i32 s1, 9
	s_cbranch_scc0 .LBB111_1245
; %bb.1241:
	global_load_b64 v[16:17], v[14:15], off
	s_mov_b32 s2, 0
	s_wait_loadcnt 0x0
	v_cvt_f32_f64_e32 v1, v[16:17]
	s_branch .LBB111_1246
.LBB111_1242:
                                        ; implicit-def: $vgpr1
	s_branch .LBB111_1263
.LBB111_1243:
                                        ; implicit-def: $vgpr1
	s_branch .LBB111_1252
.LBB111_1244:
	s_mov_b32 s2, -1
                                        ; implicit-def: $vgpr1
	s_branch .LBB111_1249
.LBB111_1245:
	s_mov_b32 s2, -1
                                        ; implicit-def: $vgpr1
.LBB111_1246:
	s_delay_alu instid0(SALU_CYCLE_1)
	s_and_not1_b32 vcc_lo, exec_lo, s2
	s_cbranch_vccnz .LBB111_1248
; %bb.1247:
	global_load_b32 v1, v[14:15], off
.LBB111_1248:
	s_mov_b32 s2, 0
.LBB111_1249:
	s_delay_alu instid0(SALU_CYCLE_1)
	s_and_not1_b32 vcc_lo, exec_lo, s2
	s_cbranch_vccnz .LBB111_1251
; %bb.1250:
	s_wait_loadcnt 0x0
	global_load_b32 v1, v[14:15], off
	s_wait_loadcnt 0x0
	v_cvt_f32_f16_e32 v1, v1
.LBB111_1251:
	s_cbranch_execnz .LBB111_1262
.LBB111_1252:
	s_cmp_lt_i32 s1, 6
	s_cbranch_scc1 .LBB111_1255
; %bb.1253:
	s_cmp_gt_i32 s1, 6
	s_cbranch_scc0 .LBB111_1256
; %bb.1254:
	global_load_b64 v[16:17], v[14:15], off
	s_mov_b32 s2, 0
	s_wait_loadcnt 0x0
	v_cvt_f32_f64_e32 v1, v[16:17]
	s_branch .LBB111_1257
.LBB111_1255:
	s_mov_b32 s2, -1
                                        ; implicit-def: $vgpr1
	s_branch .LBB111_1260
.LBB111_1256:
	s_mov_b32 s2, -1
                                        ; implicit-def: $vgpr1
.LBB111_1257:
	s_delay_alu instid0(SALU_CYCLE_1)
	s_and_not1_b32 vcc_lo, exec_lo, s2
	s_cbranch_vccnz .LBB111_1259
; %bb.1258:
	s_wait_loadcnt 0x0
	global_load_b32 v1, v[14:15], off
.LBB111_1259:
	s_mov_b32 s2, 0
.LBB111_1260:
	s_delay_alu instid0(SALU_CYCLE_1)
	s_and_not1_b32 vcc_lo, exec_lo, s2
	s_cbranch_vccnz .LBB111_1262
; %bb.1261:
	s_wait_loadcnt 0x0
	global_load_u16 v1, v[14:15], off
	s_wait_loadcnt 0x0
	v_cvt_f32_f16_e32 v1, v1
.LBB111_1262:
	s_cbranch_execnz .LBB111_1281
.LBB111_1263:
	s_cmp_lt_i32 s1, 2
	s_cbranch_scc1 .LBB111_1267
; %bb.1264:
	s_cmp_lt_i32 s1, 3
	s_cbranch_scc1 .LBB111_1268
; %bb.1265:
	s_cmp_gt_i32 s1, 3
	s_cbranch_scc0 .LBB111_1269
; %bb.1266:
	global_load_b64 v[16:17], v[14:15], off
	s_mov_b32 s2, 0
	s_wait_loadcnt 0x0
	v_xor_b32_e32 v1, v16, v17
	v_cls_i32_e32 v3, v17
	s_delay_alu instid0(VALU_DEP_2) | instskip(NEXT) | instid1(VALU_DEP_1)
	v_ashrrev_i32_e32 v1, 31, v1
	v_add_nc_u32_e32 v1, 32, v1
	s_delay_alu instid0(VALU_DEP_1) | instskip(NEXT) | instid1(VALU_DEP_1)
	v_add_min_u32_e64 v1, v3, -1, v1
	v_lshlrev_b64_e32 v[16:17], v1, v[16:17]
	v_sub_nc_u32_e32 v1, 32, v1
	s_delay_alu instid0(VALU_DEP_2) | instskip(NEXT) | instid1(VALU_DEP_1)
	v_min_u32_e32 v3, 1, v16
	v_or_b32_e32 v3, v17, v3
	s_delay_alu instid0(VALU_DEP_1) | instskip(NEXT) | instid1(VALU_DEP_1)
	v_cvt_f32_i32_e32 v3, v3
	v_ldexp_f32 v1, v3, v1
	s_branch .LBB111_1270
.LBB111_1267:
                                        ; implicit-def: $vgpr1
	s_branch .LBB111_1276
.LBB111_1268:
	s_mov_b32 s2, -1
                                        ; implicit-def: $vgpr1
	s_branch .LBB111_1273
.LBB111_1269:
	s_mov_b32 s2, -1
                                        ; implicit-def: $vgpr1
.LBB111_1270:
	s_delay_alu instid0(SALU_CYCLE_1)
	s_and_not1_b32 vcc_lo, exec_lo, s2
	s_cbranch_vccnz .LBB111_1272
; %bb.1271:
	s_wait_loadcnt 0x0
	global_load_b32 v1, v[14:15], off
	s_wait_loadcnt 0x0
	v_cvt_f32_i32_e32 v1, v1
.LBB111_1272:
	s_mov_b32 s2, 0
.LBB111_1273:
	s_delay_alu instid0(SALU_CYCLE_1)
	s_and_not1_b32 vcc_lo, exec_lo, s2
	s_cbranch_vccnz .LBB111_1275
; %bb.1274:
	s_wait_loadcnt 0x0
	global_load_i16 v1, v[14:15], off
	s_wait_loadcnt 0x0
	v_cvt_f32_i32_e32 v1, v1
.LBB111_1275:
	s_cbranch_execnz .LBB111_1281
.LBB111_1276:
	s_cmp_gt_i32 s1, 0
	s_mov_b32 s1, 0
	s_cbranch_scc0 .LBB111_1278
; %bb.1277:
	s_wait_loadcnt 0x0
	global_load_i8 v1, v[14:15], off
	s_wait_loadcnt 0x0
	v_cvt_f32_i32_e32 v1, v1
	s_branch .LBB111_1279
.LBB111_1278:
	s_mov_b32 s1, -1
                                        ; implicit-def: $vgpr1
.LBB111_1279:
	s_delay_alu instid0(SALU_CYCLE_1)
	s_and_not1_b32 vcc_lo, exec_lo, s1
	s_cbranch_vccnz .LBB111_1281
; %bb.1280:
	s_wait_loadcnt 0x0
	global_load_u8 v1, v[14:15], off
	s_wait_loadcnt 0x0
	v_cvt_f32_ubyte0_e32 v1, v1
.LBB111_1281:
.LBB111_1282:
	v_mov_b32_e32 v13, 0
	s_and_b32 s0, 0xffff, s0
	s_delay_alu instid0(SALU_CYCLE_1) | instskip(NEXT) | instid1(VALU_DEP_1)
	s_cmp_lt_i32 s0, 11
	v_add_nc_u64_e32 v[12:13], s[6:7], v[12:13]
	s_cbranch_scc1 .LBB111_1289
; %bb.1283:
	s_cmp_gt_i32 s0, 25
	s_mov_b32 s2, 0
	s_cbranch_scc0 .LBB111_1291
; %bb.1284:
	s_cmp_gt_i32 s0, 28
	s_cbranch_scc0 .LBB111_1292
; %bb.1285:
	s_cmp_gt_i32 s0, 43
	;; [unrolled: 3-line block ×3, first 2 shown]
	s_cbranch_scc0 .LBB111_1295
; %bb.1287:
	s_cmp_eq_u32 s0, 46
	s_mov_b32 s9, 0
	s_cbranch_scc0 .LBB111_1298
; %bb.1288:
	global_load_b32 v3, v[12:13], off
	s_mov_b32 s1, 0
	s_mov_b32 s8, -1
	s_wait_loadcnt 0x0
	v_lshlrev_b32_e32 v3, 16, v3
	s_branch .LBB111_1300
.LBB111_1289:
	s_mov_b32 s8, 0
                                        ; implicit-def: $vgpr3
	s_cbranch_execnz .LBB111_1365
.LBB111_1290:
	s_and_not1_b32 vcc_lo, exec_lo, s8
	s_cbranch_vccnz .LBB111_2105
	s_branch .LBB111_1412
.LBB111_1291:
	s_mov_b32 s8, 0
	s_mov_b32 s1, 0
                                        ; implicit-def: $vgpr3
	s_cbranch_execnz .LBB111_1329
	s_branch .LBB111_1361
.LBB111_1292:
	s_mov_b32 s9, -1
	s_mov_b32 s8, 0
	s_mov_b32 s1, 0
                                        ; implicit-def: $vgpr3
	s_branch .LBB111_1310
.LBB111_1293:
	s_mov_b32 s9, -1
	s_mov_b32 s8, 0
	s_mov_b32 s1, 0
                                        ; implicit-def: $vgpr3
	s_branch .LBB111_1305
.LBB111_1294:
	s_or_b32 s3, s11, exec_lo
	s_trap 2
	s_cbranch_execz .LBB111_1235
	s_branch .LBB111_1236
.LBB111_1295:
	s_mov_b32 s9, -1
	s_mov_b32 s8, 0
	s_mov_b32 s1, 0
	s_branch .LBB111_1299
.LBB111_1296:
	s_and_not1_saveexec_b32 s9, s9
	s_cbranch_execz .LBB111_1021
.LBB111_1297:
	v_add_f32_e32 v2, 0x42800000, v3
	s_and_not1_b32 s8, s8, exec_lo
	s_delay_alu instid0(VALU_DEP_1) | instskip(NEXT) | instid1(VALU_DEP_1)
	v_and_b32_e32 v2, 0xff, v2
	v_cmp_ne_u32_e32 vcc_lo, 0, v2
	s_and_b32 s10, vcc_lo, exec_lo
	s_delay_alu instid0(SALU_CYCLE_1)
	s_or_b32 s8, s8, s10
	s_or_b32 exec_lo, exec_lo, s9
	v_mov_b32_e32 v4, 0
	s_and_saveexec_b32 s9, s8
	s_cbranch_execnz .LBB111_1022
	s_branch .LBB111_1023
.LBB111_1298:
	s_mov_b32 s1, -1
	s_mov_b32 s8, 0
.LBB111_1299:
                                        ; implicit-def: $vgpr3
.LBB111_1300:
	s_and_b32 vcc_lo, exec_lo, s9
	s_cbranch_vccz .LBB111_1304
; %bb.1301:
	s_cmp_eq_u32 s0, 44
	s_cbranch_scc0 .LBB111_1303
; %bb.1302:
	global_load_u8 v3, v[12:13], off
	s_mov_b32 s1, 0
	s_mov_b32 s8, -1
	s_wait_loadcnt 0x0
	v_lshlrev_b32_e32 v5, 23, v3
	v_cmp_ne_u32_e32 vcc_lo, 0xff, v3
	s_delay_alu instid0(VALU_DEP_2) | instskip(SKIP_1) | instid1(VALU_DEP_2)
	v_cndmask_b32_e32 v5, 0x7f800001, v5, vcc_lo
	v_cmp_ne_u32_e32 vcc_lo, 0, v3
	v_cndmask_b32_e32 v3, 0x400000, v5, vcc_lo
	s_branch .LBB111_1304
.LBB111_1303:
	s_mov_b32 s1, -1
                                        ; implicit-def: $vgpr3
.LBB111_1304:
	s_mov_b32 s9, 0
.LBB111_1305:
	s_delay_alu instid0(SALU_CYCLE_1)
	s_and_b32 vcc_lo, exec_lo, s9
	s_cbranch_vccz .LBB111_1309
; %bb.1306:
	s_cmp_eq_u32 s0, 29
	s_cbranch_scc0 .LBB111_1308
; %bb.1307:
	global_load_b64 v[14:15], v[12:13], off
	s_mov_b32 s1, 0
	s_mov_b32 s8, -1
	s_mov_b32 s9, 0
	s_wait_loadcnt 0x0
	v_clz_i32_u32_e32 v3, v15
	s_delay_alu instid0(VALU_DEP_1) | instskip(NEXT) | instid1(VALU_DEP_1)
	v_min_u32_e32 v3, 32, v3
	v_lshlrev_b64_e32 v[14:15], v3, v[14:15]
	v_sub_nc_u32_e32 v3, 32, v3
	s_delay_alu instid0(VALU_DEP_2) | instskip(NEXT) | instid1(VALU_DEP_1)
	v_min_u32_e32 v5, 1, v14
	v_or_b32_e32 v5, v15, v5
	s_delay_alu instid0(VALU_DEP_1) | instskip(NEXT) | instid1(VALU_DEP_1)
	v_cvt_f32_u32_e32 v5, v5
	v_ldexp_f32 v3, v5, v3
	s_branch .LBB111_1310
.LBB111_1308:
	s_mov_b32 s1, -1
                                        ; implicit-def: $vgpr3
.LBB111_1309:
	s_mov_b32 s9, 0
.LBB111_1310:
	s_delay_alu instid0(SALU_CYCLE_1)
	s_and_b32 vcc_lo, exec_lo, s9
	s_cbranch_vccz .LBB111_1328
; %bb.1311:
	s_cmp_lt_i32 s0, 27
	s_cbranch_scc1 .LBB111_1314
; %bb.1312:
	s_cmp_gt_i32 s0, 27
	s_cbranch_scc0 .LBB111_1315
; %bb.1313:
	global_load_b32 v3, v[12:13], off
	s_mov_b32 s8, 0
	s_wait_loadcnt 0x0
	v_cvt_f32_u32_e32 v3, v3
	s_branch .LBB111_1316
.LBB111_1314:
	s_mov_b32 s8, -1
                                        ; implicit-def: $vgpr3
	s_branch .LBB111_1319
.LBB111_1315:
	s_mov_b32 s8, -1
                                        ; implicit-def: $vgpr3
.LBB111_1316:
	s_delay_alu instid0(SALU_CYCLE_1)
	s_and_not1_b32 vcc_lo, exec_lo, s8
	s_cbranch_vccnz .LBB111_1318
; %bb.1317:
	global_load_u16 v3, v[12:13], off
	s_wait_loadcnt 0x0
	v_cvt_f32_u32_e32 v3, v3
.LBB111_1318:
	s_mov_b32 s8, 0
.LBB111_1319:
	s_delay_alu instid0(SALU_CYCLE_1)
	s_and_not1_b32 vcc_lo, exec_lo, s8
	s_cbranch_vccnz .LBB111_1327
; %bb.1320:
	global_load_u8 v5, v[12:13], off
	s_mov_b32 s8, 0
	s_mov_b32 s9, exec_lo
	s_wait_loadcnt 0x0
	v_cmpx_lt_i16_e32 0x7f, v5
	s_xor_b32 s9, exec_lo, s9
	s_cbranch_execz .LBB111_1340
; %bb.1321:
	s_mov_b32 s8, -1
	s_mov_b32 s10, exec_lo
	v_cmpx_eq_u16_e32 0x80, v5
; %bb.1322:
	s_xor_b32 s8, exec_lo, -1
; %bb.1323:
	s_or_b32 exec_lo, exec_lo, s10
	s_delay_alu instid0(SALU_CYCLE_1)
	s_and_b32 s8, s8, exec_lo
	s_or_saveexec_b32 s9, s9
	v_mov_b32_e32 v3, 0x7f800001
	s_xor_b32 exec_lo, exec_lo, s9
	s_cbranch_execnz .LBB111_1341
.LBB111_1324:
	s_or_b32 exec_lo, exec_lo, s9
	s_and_saveexec_b32 s9, s8
	s_cbranch_execz .LBB111_1326
.LBB111_1325:
	v_and_b32_e32 v3, 0xffff, v5
	s_delay_alu instid0(VALU_DEP_1) | instskip(SKIP_1) | instid1(VALU_DEP_2)
	v_and_b32_e32 v7, 7, v3
	v_bfe_u32 v14, v3, 3, 4
	v_clz_i32_u32_e32 v9, v7
	s_delay_alu instid0(VALU_DEP_2) | instskip(NEXT) | instid1(VALU_DEP_2)
	v_cmp_eq_u32_e32 vcc_lo, 0, v14
	v_min_u32_e32 v9, 32, v9
	s_delay_alu instid0(VALU_DEP_1) | instskip(NEXT) | instid1(VALU_DEP_1)
	v_subrev_nc_u32_e32 v11, 28, v9
	v_dual_lshlrev_b32 v3, v11, v3 :: v_dual_sub_nc_u32 v9, 29, v9
	s_delay_alu instid0(VALU_DEP_1) | instskip(NEXT) | instid1(VALU_DEP_1)
	v_dual_lshlrev_b32 v5, 24, v5 :: v_dual_bitop2_b32 v3, 7, v3 bitop3:0x40
	v_dual_cndmask_b32 v3, v7, v3, vcc_lo :: v_dual_cndmask_b32 v9, v14, v9, vcc_lo
	s_delay_alu instid0(VALU_DEP_2) | instskip(NEXT) | instid1(VALU_DEP_2)
	v_and_b32_e32 v5, 0x80000000, v5
	v_lshlrev_b32_e32 v3, 20, v3
	s_delay_alu instid0(VALU_DEP_3) | instskip(NEXT) | instid1(VALU_DEP_1)
	v_lshl_add_u32 v7, v9, 23, 0x3b800000
	v_or3_b32 v3, v5, v7, v3
.LBB111_1326:
	s_or_b32 exec_lo, exec_lo, s9
.LBB111_1327:
	s_mov_b32 s8, -1
.LBB111_1328:
	s_branch .LBB111_1361
.LBB111_1329:
	s_cmp_gt_i32 s0, 22
	s_cbranch_scc0 .LBB111_1339
; %bb.1330:
	s_cmp_lt_i32 s0, 24
	s_cbranch_scc1 .LBB111_1342
; %bb.1331:
	s_cmp_gt_i32 s0, 24
	s_cbranch_scc0 .LBB111_1343
; %bb.1332:
	global_load_u8 v5, v[12:13], off
	s_mov_b32 s8, exec_lo
	s_wait_loadcnt 0x0
	v_cmpx_lt_i16_e32 0x7f, v5
	s_xor_b32 s8, exec_lo, s8
	s_cbranch_execz .LBB111_1355
; %bb.1333:
	s_mov_b32 s2, -1
	s_mov_b32 s9, exec_lo
	v_cmpx_eq_u16_e32 0x80, v5
; %bb.1334:
	s_xor_b32 s2, exec_lo, -1
; %bb.1335:
	s_or_b32 exec_lo, exec_lo, s9
	s_delay_alu instid0(SALU_CYCLE_1)
	s_and_b32 s2, s2, exec_lo
	s_or_saveexec_b32 s8, s8
	v_mov_b32_e32 v3, 0x7f800001
	s_xor_b32 exec_lo, exec_lo, s8
	s_cbranch_execnz .LBB111_1356
.LBB111_1336:
	s_or_b32 exec_lo, exec_lo, s8
	s_and_saveexec_b32 s8, s2
	s_cbranch_execz .LBB111_1338
.LBB111_1337:
	v_and_b32_e32 v3, 0xffff, v5
	s_delay_alu instid0(VALU_DEP_1) | instskip(SKIP_1) | instid1(VALU_DEP_2)
	v_and_b32_e32 v7, 3, v3
	v_bfe_u32 v14, v3, 2, 5
	v_clz_i32_u32_e32 v9, v7
	s_delay_alu instid0(VALU_DEP_2) | instskip(NEXT) | instid1(VALU_DEP_2)
	v_cmp_eq_u32_e32 vcc_lo, 0, v14
	v_min_u32_e32 v9, 32, v9
	s_delay_alu instid0(VALU_DEP_1) | instskip(NEXT) | instid1(VALU_DEP_1)
	v_subrev_nc_u32_e32 v11, 29, v9
	v_dual_lshlrev_b32 v3, v11, v3 :: v_dual_sub_nc_u32 v9, 30, v9
	s_delay_alu instid0(VALU_DEP_1) | instskip(NEXT) | instid1(VALU_DEP_1)
	v_dual_lshlrev_b32 v5, 24, v5 :: v_dual_bitop2_b32 v3, 3, v3 bitop3:0x40
	v_dual_cndmask_b32 v3, v7, v3, vcc_lo :: v_dual_cndmask_b32 v9, v14, v9, vcc_lo
	s_delay_alu instid0(VALU_DEP_2) | instskip(NEXT) | instid1(VALU_DEP_2)
	v_and_b32_e32 v5, 0x80000000, v5
	v_lshlrev_b32_e32 v3, 21, v3
	s_delay_alu instid0(VALU_DEP_3) | instskip(NEXT) | instid1(VALU_DEP_1)
	v_lshl_add_u32 v7, v9, 23, 0x37800000
	v_or3_b32 v3, v5, v7, v3
.LBB111_1338:
	s_or_b32 exec_lo, exec_lo, s8
	s_mov_b32 s2, 0
	s_branch .LBB111_1344
.LBB111_1339:
	s_mov_b32 s2, -1
                                        ; implicit-def: $vgpr3
	s_branch .LBB111_1350
.LBB111_1340:
	s_or_saveexec_b32 s9, s9
	v_mov_b32_e32 v3, 0x7f800001
	s_xor_b32 exec_lo, exec_lo, s9
	s_cbranch_execz .LBB111_1324
.LBB111_1341:
	v_cmp_ne_u16_e32 vcc_lo, 0, v5
	v_mov_b32_e32 v3, 0
	s_and_not1_b32 s8, s8, exec_lo
	s_and_b32 s10, vcc_lo, exec_lo
	s_delay_alu instid0(SALU_CYCLE_1)
	s_or_b32 s8, s8, s10
	s_or_b32 exec_lo, exec_lo, s9
	s_and_saveexec_b32 s9, s8
	s_cbranch_execnz .LBB111_1325
	s_branch .LBB111_1326
.LBB111_1342:
	s_mov_b32 s2, -1
                                        ; implicit-def: $vgpr3
	s_branch .LBB111_1347
.LBB111_1343:
	s_mov_b32 s2, -1
                                        ; implicit-def: $vgpr3
.LBB111_1344:
	s_delay_alu instid0(SALU_CYCLE_1)
	s_and_b32 vcc_lo, exec_lo, s2
	s_cbranch_vccz .LBB111_1346
; %bb.1345:
	global_load_u8 v3, v[12:13], off
	s_wait_loadcnt 0x0
	v_lshlrev_b32_e32 v3, 24, v3
	s_delay_alu instid0(VALU_DEP_1) | instskip(NEXT) | instid1(VALU_DEP_1)
	v_and_b32_e32 v5, 0x7f000000, v3
	v_clz_i32_u32_e32 v7, v5
	v_add_nc_u32_e32 v11, 0x1000000, v5
	v_cmp_ne_u32_e32 vcc_lo, 0, v5
	s_delay_alu instid0(VALU_DEP_3) | instskip(NEXT) | instid1(VALU_DEP_1)
	v_min_u32_e32 v7, 32, v7
	v_sub_nc_u32_e64 v7, v7, 4 clamp
	s_delay_alu instid0(VALU_DEP_1) | instskip(NEXT) | instid1(VALU_DEP_1)
	v_dual_lshlrev_b32 v9, v7, v5 :: v_dual_lshlrev_b32 v7, 23, v7
	v_lshrrev_b32_e32 v9, 4, v9
	s_delay_alu instid0(VALU_DEP_1) | instskip(SKIP_1) | instid1(VALU_DEP_2)
	v_sub_nc_u32_e32 v7, v9, v7
	v_ashrrev_i32_e32 v9, 8, v11
	v_add_nc_u32_e32 v7, 0x3c000000, v7
	s_delay_alu instid0(VALU_DEP_1) | instskip(NEXT) | instid1(VALU_DEP_1)
	v_and_or_b32 v7, 0x7f800000, v9, v7
	v_cndmask_b32_e32 v5, 0, v7, vcc_lo
	s_delay_alu instid0(VALU_DEP_1)
	v_and_or_b32 v3, 0x80000000, v3, v5
.LBB111_1346:
	s_mov_b32 s2, 0
.LBB111_1347:
	s_delay_alu instid0(SALU_CYCLE_1)
	s_and_not1_b32 vcc_lo, exec_lo, s2
	s_cbranch_vccnz .LBB111_1349
; %bb.1348:
	global_load_u8 v3, v[12:13], off
	s_wait_loadcnt 0x0
	v_lshlrev_b32_e32 v5, 25, v3
	v_lshlrev_b16 v3, 8, v3
	s_delay_alu instid0(VALU_DEP_1) | instskip(SKIP_1) | instid1(VALU_DEP_2)
	v_and_or_b32 v9, 0x7f00, v3, 0.5
	v_bfe_i32 v3, v3, 0, 16
	v_add_f32_e32 v9, -0.5, v9
	v_lshrrev_b32_e32 v7, 4, v5
	v_cmp_gt_u32_e32 vcc_lo, 0x8000000, v5
	s_delay_alu instid0(VALU_DEP_2) | instskip(NEXT) | instid1(VALU_DEP_1)
	v_or_b32_e32 v7, 0x70000000, v7
	v_mul_f32_e32 v7, 0x7800000, v7
	s_delay_alu instid0(VALU_DEP_1) | instskip(NEXT) | instid1(VALU_DEP_1)
	v_cndmask_b32_e32 v5, v7, v9, vcc_lo
	v_and_or_b32 v3, 0x80000000, v3, v5
.LBB111_1349:
	s_mov_b32 s2, 0
	s_mov_b32 s8, -1
.LBB111_1350:
	s_and_not1_b32 vcc_lo, exec_lo, s2
	s_mov_b32 s2, 0
	s_cbranch_vccnz .LBB111_1361
; %bb.1351:
	s_cmp_gt_i32 s0, 14
	s_cbranch_scc0 .LBB111_1354
; %bb.1352:
	s_cmp_eq_u32 s0, 15
	s_cbranch_scc0 .LBB111_1357
; %bb.1353:
	global_load_u16 v3, v[12:13], off
	s_mov_b32 s1, 0
	s_mov_b32 s8, -1
	s_wait_loadcnt 0x0
	v_lshlrev_b32_e32 v3, 16, v3
	s_branch .LBB111_1359
.LBB111_1354:
	s_mov_b32 s2, -1
	s_branch .LBB111_1358
.LBB111_1355:
	s_or_saveexec_b32 s8, s8
	v_mov_b32_e32 v3, 0x7f800001
	s_xor_b32 exec_lo, exec_lo, s8
	s_cbranch_execz .LBB111_1336
.LBB111_1356:
	v_cmp_ne_u16_e32 vcc_lo, 0, v5
	v_mov_b32_e32 v3, 0
	s_and_not1_b32 s2, s2, exec_lo
	s_and_b32 s9, vcc_lo, exec_lo
	s_delay_alu instid0(SALU_CYCLE_1)
	s_or_b32 s2, s2, s9
	s_or_b32 exec_lo, exec_lo, s8
	s_and_saveexec_b32 s8, s2
	s_cbranch_execnz .LBB111_1337
	s_branch .LBB111_1338
.LBB111_1357:
	s_mov_b32 s1, -1
.LBB111_1358:
                                        ; implicit-def: $vgpr3
.LBB111_1359:
	s_and_b32 vcc_lo, exec_lo, s2
	s_mov_b32 s2, 0
	s_cbranch_vccz .LBB111_1361
; %bb.1360:
	s_cmp_lg_u32 s0, 11
	s_mov_b32 s2, -1
	s_cselect_b32 s1, -1, 0
.LBB111_1361:
	s_delay_alu instid0(SALU_CYCLE_1)
	s_and_b32 vcc_lo, exec_lo, s1
	s_cbranch_vccnz .LBB111_1424
; %bb.1362:
	s_and_not1_b32 vcc_lo, exec_lo, s2
	s_cbranch_vccnz .LBB111_1364
.LBB111_1363:
	global_load_u8 v3, v[12:13], off
	s_mov_b32 s8, -1
	s_wait_loadcnt 0x0
	v_cmp_ne_u16_e32 vcc_lo, 0, v3
	v_cndmask_b32_e64 v3, 0, 1.0, vcc_lo
.LBB111_1364:
	s_branch .LBB111_1290
.LBB111_1365:
	s_cmp_lt_i32 s0, 5
	s_cbranch_scc1 .LBB111_1370
; %bb.1366:
	s_cmp_lt_i32 s0, 8
	s_cbranch_scc1 .LBB111_1371
; %bb.1367:
	;; [unrolled: 3-line block ×3, first 2 shown]
	s_cmp_gt_i32 s0, 9
	s_cbranch_scc0 .LBB111_1373
; %bb.1369:
	global_load_b64 v[14:15], v[12:13], off
	s_mov_b32 s1, 0
	s_wait_loadcnt 0x0
	v_cvt_f32_f64_e32 v3, v[14:15]
	s_branch .LBB111_1374
.LBB111_1370:
                                        ; implicit-def: $vgpr3
	s_branch .LBB111_1392
.LBB111_1371:
	s_mov_b32 s1, -1
                                        ; implicit-def: $vgpr3
	s_branch .LBB111_1380
.LBB111_1372:
	s_mov_b32 s1, -1
                                        ; implicit-def: $vgpr3
	s_branch .LBB111_1377
.LBB111_1373:
	s_mov_b32 s1, -1
                                        ; implicit-def: $vgpr3
.LBB111_1374:
	s_delay_alu instid0(SALU_CYCLE_1)
	s_and_not1_b32 vcc_lo, exec_lo, s1
	s_cbranch_vccnz .LBB111_1376
; %bb.1375:
	global_load_b32 v3, v[12:13], off
.LBB111_1376:
	s_mov_b32 s1, 0
.LBB111_1377:
	s_delay_alu instid0(SALU_CYCLE_1)
	s_and_not1_b32 vcc_lo, exec_lo, s1
	s_cbranch_vccnz .LBB111_1379
; %bb.1378:
	s_wait_loadcnt 0x0
	global_load_b32 v3, v[12:13], off
	s_wait_loadcnt 0x0
	v_cvt_f32_f16_e32 v3, v3
.LBB111_1379:
	s_mov_b32 s1, 0
.LBB111_1380:
	s_delay_alu instid0(SALU_CYCLE_1)
	s_and_not1_b32 vcc_lo, exec_lo, s1
	s_cbranch_vccnz .LBB111_1391
; %bb.1381:
	s_cmp_lt_i32 s0, 6
	s_cbranch_scc1 .LBB111_1384
; %bb.1382:
	s_cmp_gt_i32 s0, 6
	s_cbranch_scc0 .LBB111_1385
; %bb.1383:
	global_load_b64 v[14:15], v[12:13], off
	s_mov_b32 s1, 0
	s_wait_loadcnt 0x0
	v_cvt_f32_f64_e32 v3, v[14:15]
	s_branch .LBB111_1386
.LBB111_1384:
	s_mov_b32 s1, -1
                                        ; implicit-def: $vgpr3
	s_branch .LBB111_1389
.LBB111_1385:
	s_mov_b32 s1, -1
                                        ; implicit-def: $vgpr3
.LBB111_1386:
	s_delay_alu instid0(SALU_CYCLE_1)
	s_and_not1_b32 vcc_lo, exec_lo, s1
	s_cbranch_vccnz .LBB111_1388
; %bb.1387:
	s_wait_loadcnt 0x0
	global_load_b32 v3, v[12:13], off
.LBB111_1388:
	s_mov_b32 s1, 0
.LBB111_1389:
	s_delay_alu instid0(SALU_CYCLE_1)
	s_and_not1_b32 vcc_lo, exec_lo, s1
	s_cbranch_vccnz .LBB111_1391
; %bb.1390:
	s_wait_loadcnt 0x0
	global_load_u16 v3, v[12:13], off
	s_wait_loadcnt 0x0
	v_cvt_f32_f16_e32 v3, v3
.LBB111_1391:
	s_cbranch_execnz .LBB111_1411
.LBB111_1392:
	s_cmp_lt_i32 s0, 2
	s_cbranch_scc1 .LBB111_1396
; %bb.1393:
	s_cmp_lt_i32 s0, 3
	s_cbranch_scc1 .LBB111_1397
; %bb.1394:
	s_cmp_gt_i32 s0, 3
	s_cbranch_scc0 .LBB111_1398
; %bb.1395:
	global_load_b64 v[14:15], v[12:13], off
	s_mov_b32 s1, 0
	s_wait_loadcnt 0x0
	v_xor_b32_e32 v3, v14, v15
	v_cls_i32_e32 v5, v15
	s_delay_alu instid0(VALU_DEP_2) | instskip(NEXT) | instid1(VALU_DEP_1)
	v_ashrrev_i32_e32 v3, 31, v3
	v_add_nc_u32_e32 v3, 32, v3
	s_delay_alu instid0(VALU_DEP_1) | instskip(NEXT) | instid1(VALU_DEP_1)
	v_add_min_u32_e64 v3, v5, -1, v3
	v_lshlrev_b64_e32 v[14:15], v3, v[14:15]
	v_sub_nc_u32_e32 v3, 32, v3
	s_delay_alu instid0(VALU_DEP_2) | instskip(NEXT) | instid1(VALU_DEP_1)
	v_min_u32_e32 v5, 1, v14
	v_or_b32_e32 v5, v15, v5
	s_delay_alu instid0(VALU_DEP_1) | instskip(NEXT) | instid1(VALU_DEP_1)
	v_cvt_f32_i32_e32 v5, v5
	v_ldexp_f32 v3, v5, v3
	s_branch .LBB111_1399
.LBB111_1396:
	s_mov_b32 s1, -1
                                        ; implicit-def: $vgpr3
	s_branch .LBB111_1405
.LBB111_1397:
	s_mov_b32 s1, -1
                                        ; implicit-def: $vgpr3
	s_branch .LBB111_1402
.LBB111_1398:
	s_mov_b32 s1, -1
                                        ; implicit-def: $vgpr3
.LBB111_1399:
	s_delay_alu instid0(SALU_CYCLE_1)
	s_and_not1_b32 vcc_lo, exec_lo, s1
	s_cbranch_vccnz .LBB111_1401
; %bb.1400:
	s_wait_loadcnt 0x0
	global_load_b32 v3, v[12:13], off
	s_wait_loadcnt 0x0
	v_cvt_f32_i32_e32 v3, v3
.LBB111_1401:
	s_mov_b32 s1, 0
.LBB111_1402:
	s_delay_alu instid0(SALU_CYCLE_1)
	s_and_not1_b32 vcc_lo, exec_lo, s1
	s_cbranch_vccnz .LBB111_1404
; %bb.1403:
	s_wait_loadcnt 0x0
	global_load_i16 v3, v[12:13], off
	s_wait_loadcnt 0x0
	v_cvt_f32_i32_e32 v3, v3
.LBB111_1404:
	s_mov_b32 s1, 0
.LBB111_1405:
	s_delay_alu instid0(SALU_CYCLE_1)
	s_and_not1_b32 vcc_lo, exec_lo, s1
	s_cbranch_vccnz .LBB111_1411
; %bb.1406:
	s_cmp_gt_i32 s0, 0
	s_mov_b32 s1, 0
	s_cbranch_scc0 .LBB111_1408
; %bb.1407:
	s_wait_loadcnt 0x0
	global_load_i8 v3, v[12:13], off
	s_wait_loadcnt 0x0
	v_cvt_f32_i32_e32 v3, v3
	s_branch .LBB111_1409
.LBB111_1408:
	s_mov_b32 s1, -1
                                        ; implicit-def: $vgpr3
.LBB111_1409:
	s_delay_alu instid0(SALU_CYCLE_1)
	s_and_not1_b32 vcc_lo, exec_lo, s1
	s_cbranch_vccnz .LBB111_1411
; %bb.1410:
	s_wait_loadcnt 0x0
	global_load_u8 v3, v[12:13], off
	s_wait_loadcnt 0x0
	v_cvt_f32_ubyte0_e32 v3, v3
.LBB111_1411:
.LBB111_1412:
	v_mov_b32_e32 v11, 0
	s_cmp_lt_i32 s0, 11
	s_delay_alu instid0(VALU_DEP_1)
	v_add_nc_u64_e32 v[10:11], s[6:7], v[10:11]
	s_cbranch_scc1 .LBB111_1419
; %bb.1413:
	s_cmp_gt_i32 s0, 25
	s_mov_b32 s2, 0
	s_cbranch_scc0 .LBB111_1421
; %bb.1414:
	s_cmp_gt_i32 s0, 28
	s_cbranch_scc0 .LBB111_1422
; %bb.1415:
	s_cmp_gt_i32 s0, 43
	;; [unrolled: 3-line block ×3, first 2 shown]
	s_cbranch_scc0 .LBB111_1425
; %bb.1417:
	s_cmp_eq_u32 s0, 46
	s_mov_b32 s9, 0
	s_cbranch_scc0 .LBB111_1426
; %bb.1418:
	global_load_b32 v5, v[10:11], off
	s_mov_b32 s1, 0
	s_mov_b32 s8, -1
	s_wait_loadcnt 0x0
	s_wait_xcnt 0x1
	v_lshlrev_b32_e32 v12, 16, v5
	s_branch .LBB111_1428
.LBB111_1419:
	s_mov_b32 s8, 0
                                        ; implicit-def: $vgpr12
	s_cbranch_execnz .LBB111_1494
.LBB111_1420:
	s_and_not1_b32 vcc_lo, exec_lo, s8
	s_cbranch_vccnz .LBB111_2105
	s_branch .LBB111_1542
.LBB111_1421:
	s_mov_b32 s9, -1
	s_mov_b32 s8, 0
	s_mov_b32 s1, 0
                                        ; implicit-def: $vgpr12
	s_branch .LBB111_1457
.LBB111_1422:
	s_mov_b32 s9, -1
	s_mov_b32 s8, 0
	s_mov_b32 s1, 0
                                        ; implicit-def: $vgpr12
	s_branch .LBB111_1438
.LBB111_1423:
	s_mov_b32 s9, -1
	s_mov_b32 s8, 0
	s_mov_b32 s1, 0
                                        ; implicit-def: $vgpr12
	s_branch .LBB111_1433
.LBB111_1424:
	s_or_b32 s3, s3, exec_lo
	s_trap 2
	s_cbranch_execz .LBB111_1363
	s_branch .LBB111_1364
.LBB111_1425:
	s_mov_b32 s9, -1
	s_mov_b32 s8, 0
	s_mov_b32 s1, 0
	s_branch .LBB111_1427
.LBB111_1426:
	s_mov_b32 s1, -1
	s_mov_b32 s8, 0
.LBB111_1427:
                                        ; implicit-def: $vgpr12
.LBB111_1428:
	s_and_b32 vcc_lo, exec_lo, s9
	s_cbranch_vccz .LBB111_1432
; %bb.1429:
	s_cmp_eq_u32 s0, 44
	s_cbranch_scc0 .LBB111_1431
; %bb.1430:
	global_load_u8 v5, v[10:11], off
	s_mov_b32 s1, 0
	s_mov_b32 s8, -1
	s_wait_loadcnt 0x0
	v_lshlrev_b32_e32 v7, 23, v5
	v_cmp_ne_u32_e32 vcc_lo, 0xff, v5
	s_delay_alu instid0(VALU_DEP_2) | instskip(SKIP_2) | instid1(VALU_DEP_2)
	v_cndmask_b32_e32 v7, 0x7f800001, v7, vcc_lo
	v_cmp_ne_u32_e32 vcc_lo, 0, v5
	s_wait_xcnt 0x1
	v_cndmask_b32_e32 v12, 0x400000, v7, vcc_lo
	s_branch .LBB111_1432
.LBB111_1431:
	s_mov_b32 s1, -1
                                        ; implicit-def: $vgpr12
.LBB111_1432:
	s_mov_b32 s9, 0
.LBB111_1433:
	s_delay_alu instid0(SALU_CYCLE_1)
	s_and_b32 vcc_lo, exec_lo, s9
	s_cbranch_vccz .LBB111_1437
; %bb.1434:
	s_cmp_eq_u32 s0, 29
	s_cbranch_scc0 .LBB111_1436
; %bb.1435:
	global_load_b64 v[12:13], v[10:11], off
	s_mov_b32 s1, 0
	s_mov_b32 s8, -1
	s_mov_b32 s9, 0
	s_wait_loadcnt 0x0
	v_clz_i32_u32_e32 v5, v13
	s_delay_alu instid0(VALU_DEP_1) | instskip(NEXT) | instid1(VALU_DEP_1)
	v_min_u32_e32 v5, 32, v5
	v_lshlrev_b64_e32 v[12:13], v5, v[12:13]
	v_sub_nc_u32_e32 v5, 32, v5
	s_delay_alu instid0(VALU_DEP_2) | instskip(NEXT) | instid1(VALU_DEP_1)
	v_min_u32_e32 v7, 1, v12
	v_or_b32_e32 v7, v13, v7
	s_delay_alu instid0(VALU_DEP_1) | instskip(NEXT) | instid1(VALU_DEP_1)
	v_cvt_f32_u32_e32 v7, v7
	v_ldexp_f32 v12, v7, v5
	s_branch .LBB111_1438
.LBB111_1436:
	s_mov_b32 s1, -1
                                        ; implicit-def: $vgpr12
.LBB111_1437:
	s_mov_b32 s9, 0
.LBB111_1438:
	s_delay_alu instid0(SALU_CYCLE_1)
	s_and_b32 vcc_lo, exec_lo, s9
	s_cbranch_vccz .LBB111_1456
; %bb.1439:
	s_cmp_lt_i32 s0, 27
	s_cbranch_scc1 .LBB111_1442
; %bb.1440:
	s_cmp_gt_i32 s0, 27
	s_cbranch_scc0 .LBB111_1443
; %bb.1441:
	global_load_b32 v5, v[10:11], off
	s_mov_b32 s8, 0
	s_wait_loadcnt 0x0
	s_wait_xcnt 0x1
	v_cvt_f32_u32_e32 v12, v5
	s_branch .LBB111_1444
.LBB111_1442:
	s_mov_b32 s8, -1
                                        ; implicit-def: $vgpr12
	s_branch .LBB111_1447
.LBB111_1443:
	s_mov_b32 s8, -1
                                        ; implicit-def: $vgpr12
.LBB111_1444:
	s_delay_alu instid0(SALU_CYCLE_1)
	s_and_not1_b32 vcc_lo, exec_lo, s8
	s_cbranch_vccnz .LBB111_1446
; %bb.1445:
	global_load_u16 v5, v[10:11], off
	s_wait_loadcnt 0x0
	s_wait_xcnt 0x1
	v_cvt_f32_u32_e32 v12, v5
.LBB111_1446:
	s_mov_b32 s8, 0
.LBB111_1447:
	s_delay_alu instid0(SALU_CYCLE_1)
	s_and_not1_b32 vcc_lo, exec_lo, s8
	s_cbranch_vccnz .LBB111_1455
; %bb.1448:
	global_load_u8 v5, v[10:11], off
	s_mov_b32 s8, 0
	s_mov_b32 s9, exec_lo
	s_wait_loadcnt 0x0
	v_cmpx_lt_i16_e32 0x7f, v5
	s_xor_b32 s9, exec_lo, s9
	s_cbranch_execz .LBB111_1469
; %bb.1449:
	s_mov_b32 s8, -1
	s_mov_b32 s10, exec_lo
	v_cmpx_eq_u16_e32 0x80, v5
; %bb.1450:
	s_xor_b32 s8, exec_lo, -1
; %bb.1451:
	s_or_b32 exec_lo, exec_lo, s10
	s_delay_alu instid0(SALU_CYCLE_1)
	s_and_b32 s8, s8, exec_lo
	s_or_saveexec_b32 s9, s9
	v_mov_b32_e32 v12, 0x7f800001
	s_xor_b32 exec_lo, exec_lo, s9
	s_cbranch_execnz .LBB111_1470
.LBB111_1452:
	s_or_b32 exec_lo, exec_lo, s9
	s_and_saveexec_b32 s9, s8
	s_cbranch_execz .LBB111_1454
.LBB111_1453:
	v_and_b32_e32 v7, 0xffff, v5
	s_delay_alu instid0(VALU_DEP_1) | instskip(SKIP_1) | instid1(VALU_DEP_2)
	v_and_b32_e32 v9, 7, v7
	v_bfe_u32 v14, v7, 3, 4
	v_clz_i32_u32_e32 v12, v9
	s_delay_alu instid0(VALU_DEP_2) | instskip(NEXT) | instid1(VALU_DEP_2)
	v_cmp_eq_u32_e32 vcc_lo, 0, v14
	v_min_u32_e32 v12, 32, v12
	s_delay_alu instid0(VALU_DEP_1) | instskip(NEXT) | instid1(VALU_DEP_1)
	v_subrev_nc_u32_e32 v13, 28, v12
	v_dual_lshlrev_b32 v7, v13, v7 :: v_dual_sub_nc_u32 v12, 29, v12
	s_delay_alu instid0(VALU_DEP_1) | instskip(NEXT) | instid1(VALU_DEP_1)
	v_dual_lshlrev_b32 v5, 24, v5 :: v_dual_bitop2_b32 v7, 7, v7 bitop3:0x40
	v_dual_cndmask_b32 v12, v14, v12 :: v_dual_cndmask_b32 v7, v9, v7
	s_delay_alu instid0(VALU_DEP_2) | instskip(NEXT) | instid1(VALU_DEP_2)
	v_and_b32_e32 v5, 0x80000000, v5
	v_lshl_add_u32 v9, v12, 23, 0x3b800000
	s_delay_alu instid0(VALU_DEP_3) | instskip(NEXT) | instid1(VALU_DEP_1)
	v_lshlrev_b32_e32 v7, 20, v7
	v_or3_b32 v12, v5, v9, v7
.LBB111_1454:
	s_or_b32 exec_lo, exec_lo, s9
.LBB111_1455:
	s_mov_b32 s8, -1
.LBB111_1456:
	s_mov_b32 s9, 0
.LBB111_1457:
	s_delay_alu instid0(SALU_CYCLE_1)
	s_and_b32 vcc_lo, exec_lo, s9
	s_cbranch_vccz .LBB111_1490
; %bb.1458:
	s_cmp_gt_i32 s0, 22
	s_cbranch_scc0 .LBB111_1468
; %bb.1459:
	s_cmp_lt_i32 s0, 24
	s_cbranch_scc1 .LBB111_1471
; %bb.1460:
	s_cmp_gt_i32 s0, 24
	s_cbranch_scc0 .LBB111_1472
; %bb.1461:
	global_load_u8 v5, v[10:11], off
	s_mov_b32 s8, exec_lo
	s_wait_loadcnt 0x0
	v_cmpx_lt_i16_e32 0x7f, v5
	s_xor_b32 s8, exec_lo, s8
	s_cbranch_execz .LBB111_1484
; %bb.1462:
	s_mov_b32 s2, -1
	s_mov_b32 s9, exec_lo
	v_cmpx_eq_u16_e32 0x80, v5
; %bb.1463:
	s_xor_b32 s2, exec_lo, -1
; %bb.1464:
	s_or_b32 exec_lo, exec_lo, s9
	s_delay_alu instid0(SALU_CYCLE_1)
	s_and_b32 s2, s2, exec_lo
	s_or_saveexec_b32 s8, s8
	v_mov_b32_e32 v12, 0x7f800001
	s_xor_b32 exec_lo, exec_lo, s8
	s_cbranch_execnz .LBB111_1485
.LBB111_1465:
	s_or_b32 exec_lo, exec_lo, s8
	s_and_saveexec_b32 s8, s2
	s_cbranch_execz .LBB111_1467
.LBB111_1466:
	v_and_b32_e32 v7, 0xffff, v5
	s_delay_alu instid0(VALU_DEP_1) | instskip(SKIP_1) | instid1(VALU_DEP_2)
	v_and_b32_e32 v9, 3, v7
	v_bfe_u32 v14, v7, 2, 5
	v_clz_i32_u32_e32 v12, v9
	s_delay_alu instid0(VALU_DEP_2) | instskip(NEXT) | instid1(VALU_DEP_2)
	v_cmp_eq_u32_e32 vcc_lo, 0, v14
	v_min_u32_e32 v12, 32, v12
	s_delay_alu instid0(VALU_DEP_1) | instskip(NEXT) | instid1(VALU_DEP_1)
	v_subrev_nc_u32_e32 v13, 29, v12
	v_dual_lshlrev_b32 v7, v13, v7 :: v_dual_sub_nc_u32 v12, 30, v12
	s_delay_alu instid0(VALU_DEP_1) | instskip(NEXT) | instid1(VALU_DEP_1)
	v_dual_lshlrev_b32 v5, 24, v5 :: v_dual_bitop2_b32 v7, 3, v7 bitop3:0x40
	v_dual_cndmask_b32 v12, v14, v12 :: v_dual_cndmask_b32 v7, v9, v7
	s_delay_alu instid0(VALU_DEP_2) | instskip(NEXT) | instid1(VALU_DEP_2)
	v_and_b32_e32 v5, 0x80000000, v5
	v_lshl_add_u32 v9, v12, 23, 0x37800000
	s_delay_alu instid0(VALU_DEP_3) | instskip(NEXT) | instid1(VALU_DEP_1)
	v_lshlrev_b32_e32 v7, 21, v7
	v_or3_b32 v12, v5, v9, v7
.LBB111_1467:
	s_or_b32 exec_lo, exec_lo, s8
	s_mov_b32 s2, 0
	s_branch .LBB111_1473
.LBB111_1468:
	s_mov_b32 s2, -1
                                        ; implicit-def: $vgpr12
	s_branch .LBB111_1479
.LBB111_1469:
	s_or_saveexec_b32 s9, s9
	v_mov_b32_e32 v12, 0x7f800001
	s_xor_b32 exec_lo, exec_lo, s9
	s_cbranch_execz .LBB111_1452
.LBB111_1470:
	v_cmp_ne_u16_e32 vcc_lo, 0, v5
	v_mov_b32_e32 v12, 0
	s_and_not1_b32 s8, s8, exec_lo
	s_and_b32 s10, vcc_lo, exec_lo
	s_delay_alu instid0(SALU_CYCLE_1)
	s_or_b32 s8, s8, s10
	s_or_b32 exec_lo, exec_lo, s9
	s_and_saveexec_b32 s9, s8
	s_cbranch_execnz .LBB111_1453
	s_branch .LBB111_1454
.LBB111_1471:
	s_mov_b32 s2, -1
                                        ; implicit-def: $vgpr12
	s_branch .LBB111_1476
.LBB111_1472:
	s_mov_b32 s2, -1
                                        ; implicit-def: $vgpr12
.LBB111_1473:
	s_delay_alu instid0(SALU_CYCLE_1)
	s_and_b32 vcc_lo, exec_lo, s2
	s_cbranch_vccz .LBB111_1475
; %bb.1474:
	global_load_u8 v5, v[10:11], off
	s_wait_loadcnt 0x0
	v_lshlrev_b32_e32 v5, 24, v5
	s_delay_alu instid0(VALU_DEP_1) | instskip(NEXT) | instid1(VALU_DEP_1)
	v_and_b32_e32 v7, 0x7f000000, v5
	v_clz_i32_u32_e32 v9, v7
	s_wait_xcnt 0x1
	v_add_nc_u32_e32 v13, 0x1000000, v7
	v_cmp_ne_u32_e32 vcc_lo, 0, v7
	s_delay_alu instid0(VALU_DEP_3) | instskip(NEXT) | instid1(VALU_DEP_1)
	v_min_u32_e32 v9, 32, v9
	v_sub_nc_u32_e64 v9, v9, 4 clamp
	s_delay_alu instid0(VALU_DEP_1) | instskip(NEXT) | instid1(VALU_DEP_1)
	v_dual_lshlrev_b32 v12, v9, v7 :: v_dual_lshlrev_b32 v9, 23, v9
	v_lshrrev_b32_e32 v12, 4, v12
	s_delay_alu instid0(VALU_DEP_1) | instskip(SKIP_1) | instid1(VALU_DEP_2)
	v_sub_nc_u32_e32 v9, v12, v9
	v_ashrrev_i32_e32 v12, 8, v13
	v_add_nc_u32_e32 v9, 0x3c000000, v9
	s_delay_alu instid0(VALU_DEP_1) | instskip(NEXT) | instid1(VALU_DEP_1)
	v_and_or_b32 v9, 0x7f800000, v12, v9
	v_cndmask_b32_e32 v7, 0, v9, vcc_lo
	s_delay_alu instid0(VALU_DEP_1)
	v_and_or_b32 v12, 0x80000000, v5, v7
.LBB111_1475:
	s_mov_b32 s2, 0
.LBB111_1476:
	s_delay_alu instid0(SALU_CYCLE_1)
	s_and_not1_b32 vcc_lo, exec_lo, s2
	s_cbranch_vccnz .LBB111_1478
; %bb.1477:
	global_load_u8 v5, v[10:11], off
	s_wait_loadcnt 0x0
	v_lshlrev_b32_e32 v7, 25, v5
	v_lshlrev_b16 v5, 8, v5
	s_wait_xcnt 0x1
	s_delay_alu instid0(VALU_DEP_1) | instskip(SKIP_1) | instid1(VALU_DEP_2)
	v_and_or_b32 v12, 0x7f00, v5, 0.5
	v_bfe_i32 v5, v5, 0, 16
	v_dual_add_f32 v12, -0.5, v12 :: v_dual_lshrrev_b32 v9, 4, v7
	v_cmp_gt_u32_e32 vcc_lo, 0x8000000, v7
	s_delay_alu instid0(VALU_DEP_2) | instskip(NEXT) | instid1(VALU_DEP_1)
	v_or_b32_e32 v9, 0x70000000, v9
	v_mul_f32_e32 v9, 0x7800000, v9
	s_delay_alu instid0(VALU_DEP_1) | instskip(NEXT) | instid1(VALU_DEP_1)
	v_cndmask_b32_e32 v7, v9, v12, vcc_lo
	v_and_or_b32 v12, 0x80000000, v5, v7
.LBB111_1478:
	s_mov_b32 s2, 0
	s_mov_b32 s8, -1
.LBB111_1479:
	s_and_not1_b32 vcc_lo, exec_lo, s2
	s_mov_b32 s2, 0
	s_cbranch_vccnz .LBB111_1490
; %bb.1480:
	s_cmp_gt_i32 s0, 14
	s_cbranch_scc0 .LBB111_1483
; %bb.1481:
	s_cmp_eq_u32 s0, 15
	s_cbranch_scc0 .LBB111_1486
; %bb.1482:
	global_load_u16 v5, v[10:11], off
	s_mov_b32 s1, 0
	s_mov_b32 s8, -1
	s_wait_loadcnt 0x0
	s_wait_xcnt 0x1
	v_lshlrev_b32_e32 v12, 16, v5
	s_branch .LBB111_1488
.LBB111_1483:
	s_mov_b32 s2, -1
	s_branch .LBB111_1487
.LBB111_1484:
	s_or_saveexec_b32 s8, s8
	v_mov_b32_e32 v12, 0x7f800001
	s_xor_b32 exec_lo, exec_lo, s8
	s_cbranch_execz .LBB111_1465
.LBB111_1485:
	v_cmp_ne_u16_e32 vcc_lo, 0, v5
	v_mov_b32_e32 v12, 0
	s_and_not1_b32 s2, s2, exec_lo
	s_and_b32 s9, vcc_lo, exec_lo
	s_delay_alu instid0(SALU_CYCLE_1)
	s_or_b32 s2, s2, s9
	s_or_b32 exec_lo, exec_lo, s8
	s_and_saveexec_b32 s8, s2
	s_cbranch_execnz .LBB111_1466
	s_branch .LBB111_1467
.LBB111_1486:
	s_mov_b32 s1, -1
.LBB111_1487:
                                        ; implicit-def: $vgpr12
.LBB111_1488:
	s_and_b32 vcc_lo, exec_lo, s2
	s_mov_b32 s2, 0
	s_cbranch_vccz .LBB111_1490
; %bb.1489:
	s_cmp_lg_u32 s0, 11
	s_mov_b32 s2, -1
	s_cselect_b32 s1, -1, 0
.LBB111_1490:
	s_delay_alu instid0(SALU_CYCLE_1)
	s_and_b32 vcc_lo, exec_lo, s1
	s_cbranch_vccnz .LBB111_1553
; %bb.1491:
	s_and_not1_b32 vcc_lo, exec_lo, s2
	s_cbranch_vccnz .LBB111_1493
.LBB111_1492:
	global_load_u8 v5, v[10:11], off
	s_mov_b32 s8, -1
	s_wait_loadcnt 0x0
	v_cmp_ne_u16_e32 vcc_lo, 0, v5
	s_wait_xcnt 0x1
	v_cndmask_b32_e64 v12, 0, 1.0, vcc_lo
.LBB111_1493:
	s_branch .LBB111_1420
.LBB111_1494:
	s_cmp_lt_i32 s0, 5
	s_cbranch_scc1 .LBB111_1499
; %bb.1495:
	s_cmp_lt_i32 s0, 8
	s_cbranch_scc1 .LBB111_1500
; %bb.1496:
	;; [unrolled: 3-line block ×3, first 2 shown]
	s_cmp_gt_i32 s0, 9
	s_cbranch_scc0 .LBB111_1502
; %bb.1498:
	global_load_b64 v[12:13], v[10:11], off
	s_mov_b32 s1, 0
	s_wait_loadcnt 0x0
	v_cvt_f32_f64_e32 v12, v[12:13]
	s_branch .LBB111_1503
.LBB111_1499:
	s_mov_b32 s1, -1
                                        ; implicit-def: $vgpr12
	s_branch .LBB111_1521
.LBB111_1500:
	s_mov_b32 s1, -1
                                        ; implicit-def: $vgpr12
	s_branch .LBB111_1509
.LBB111_1501:
	s_mov_b32 s1, -1
                                        ; implicit-def: $vgpr12
	s_branch .LBB111_1506
.LBB111_1502:
	s_mov_b32 s1, -1
                                        ; implicit-def: $vgpr12
.LBB111_1503:
	s_delay_alu instid0(SALU_CYCLE_1)
	s_and_not1_b32 vcc_lo, exec_lo, s1
	s_cbranch_vccnz .LBB111_1505
; %bb.1504:
	global_load_b32 v12, v[10:11], off
.LBB111_1505:
	s_mov_b32 s1, 0
.LBB111_1506:
	s_delay_alu instid0(SALU_CYCLE_1)
	s_and_not1_b32 vcc_lo, exec_lo, s1
	s_cbranch_vccnz .LBB111_1508
; %bb.1507:
	global_load_b32 v5, v[10:11], off
	s_wait_loadcnt 0x0
	s_wait_xcnt 0x1
	v_cvt_f32_f16_e32 v12, v5
.LBB111_1508:
	s_mov_b32 s1, 0
.LBB111_1509:
	s_delay_alu instid0(SALU_CYCLE_1)
	s_and_not1_b32 vcc_lo, exec_lo, s1
	s_cbranch_vccnz .LBB111_1520
; %bb.1510:
	s_cmp_lt_i32 s0, 6
	s_cbranch_scc1 .LBB111_1513
; %bb.1511:
	s_cmp_gt_i32 s0, 6
	s_cbranch_scc0 .LBB111_1514
; %bb.1512:
	s_wait_loadcnt 0x0
	global_load_b64 v[12:13], v[10:11], off
	s_mov_b32 s1, 0
	s_wait_loadcnt 0x0
	v_cvt_f32_f64_e32 v12, v[12:13]
	s_branch .LBB111_1515
.LBB111_1513:
	s_mov_b32 s1, -1
                                        ; implicit-def: $vgpr12
	s_branch .LBB111_1518
.LBB111_1514:
	s_mov_b32 s1, -1
                                        ; implicit-def: $vgpr12
.LBB111_1515:
	s_delay_alu instid0(SALU_CYCLE_1)
	s_and_not1_b32 vcc_lo, exec_lo, s1
	s_cbranch_vccnz .LBB111_1517
; %bb.1516:
	s_wait_loadcnt 0x0
	global_load_b32 v12, v[10:11], off
.LBB111_1517:
	s_mov_b32 s1, 0
.LBB111_1518:
	s_delay_alu instid0(SALU_CYCLE_1)
	s_and_not1_b32 vcc_lo, exec_lo, s1
	s_cbranch_vccnz .LBB111_1520
; %bb.1519:
	global_load_u16 v5, v[10:11], off
	s_wait_loadcnt 0x0
	s_wait_xcnt 0x1
	v_cvt_f32_f16_e32 v12, v5
.LBB111_1520:
	s_mov_b32 s1, 0
.LBB111_1521:
	s_delay_alu instid0(SALU_CYCLE_1)
	s_and_not1_b32 vcc_lo, exec_lo, s1
	s_cbranch_vccnz .LBB111_1541
; %bb.1522:
	s_cmp_lt_i32 s0, 2
	s_cbranch_scc1 .LBB111_1526
; %bb.1523:
	s_cmp_lt_i32 s0, 3
	s_cbranch_scc1 .LBB111_1527
; %bb.1524:
	s_cmp_gt_i32 s0, 3
	s_cbranch_scc0 .LBB111_1528
; %bb.1525:
	s_wait_loadcnt 0x0
	global_load_b64 v[12:13], v[10:11], off
	s_mov_b32 s1, 0
	s_wait_loadcnt 0x0
	v_xor_b32_e32 v5, v12, v13
	v_cls_i32_e32 v7, v13
	s_delay_alu instid0(VALU_DEP_2) | instskip(NEXT) | instid1(VALU_DEP_1)
	v_ashrrev_i32_e32 v5, 31, v5
	v_add_nc_u32_e32 v5, 32, v5
	s_delay_alu instid0(VALU_DEP_1) | instskip(NEXT) | instid1(VALU_DEP_1)
	v_add_min_u32_e64 v5, v7, -1, v5
	v_lshlrev_b64_e32 v[12:13], v5, v[12:13]
	v_sub_nc_u32_e32 v5, 32, v5
	s_delay_alu instid0(VALU_DEP_2) | instskip(NEXT) | instid1(VALU_DEP_1)
	v_min_u32_e32 v7, 1, v12
	v_or_b32_e32 v7, v13, v7
	s_delay_alu instid0(VALU_DEP_1) | instskip(NEXT) | instid1(VALU_DEP_1)
	v_cvt_f32_i32_e32 v7, v7
	v_ldexp_f32 v12, v7, v5
	s_branch .LBB111_1529
.LBB111_1526:
	s_mov_b32 s1, -1
                                        ; implicit-def: $vgpr12
	s_branch .LBB111_1535
.LBB111_1527:
	s_mov_b32 s1, -1
                                        ; implicit-def: $vgpr12
	s_branch .LBB111_1532
.LBB111_1528:
	s_mov_b32 s1, -1
                                        ; implicit-def: $vgpr12
.LBB111_1529:
	s_delay_alu instid0(SALU_CYCLE_1)
	s_and_not1_b32 vcc_lo, exec_lo, s1
	s_cbranch_vccnz .LBB111_1531
; %bb.1530:
	global_load_b32 v5, v[10:11], off
	s_wait_loadcnt 0x0
	s_wait_xcnt 0x1
	v_cvt_f32_i32_e32 v12, v5
.LBB111_1531:
	s_mov_b32 s1, 0
.LBB111_1532:
	s_delay_alu instid0(SALU_CYCLE_1)
	s_and_not1_b32 vcc_lo, exec_lo, s1
	s_cbranch_vccnz .LBB111_1534
; %bb.1533:
	global_load_i16 v5, v[10:11], off
	s_wait_loadcnt 0x0
	s_wait_xcnt 0x1
	v_cvt_f32_i32_e32 v12, v5
.LBB111_1534:
	s_mov_b32 s1, 0
.LBB111_1535:
	s_delay_alu instid0(SALU_CYCLE_1)
	s_and_not1_b32 vcc_lo, exec_lo, s1
	s_cbranch_vccnz .LBB111_1541
; %bb.1536:
	s_cmp_gt_i32 s0, 0
	s_mov_b32 s1, 0
	s_cbranch_scc0 .LBB111_1538
; %bb.1537:
	global_load_i8 v5, v[10:11], off
	s_wait_loadcnt 0x0
	s_wait_xcnt 0x1
	v_cvt_f32_i32_e32 v12, v5
	s_branch .LBB111_1539
.LBB111_1538:
	s_mov_b32 s1, -1
                                        ; implicit-def: $vgpr12
.LBB111_1539:
	s_delay_alu instid0(SALU_CYCLE_1)
	s_and_not1_b32 vcc_lo, exec_lo, s1
	s_cbranch_vccnz .LBB111_1541
; %bb.1540:
	global_load_u8 v5, v[10:11], off
	s_wait_loadcnt 0x0
	s_wait_xcnt 0x1
	v_cvt_f32_ubyte0_e32 v12, v5
.LBB111_1541:
.LBB111_1542:
	v_mov_b32_e32 v9, 0
	s_cmp_lt_i32 s0, 11
	s_delay_alu instid0(VALU_DEP_1)
	v_add_nc_u64_e32 v[8:9], s[6:7], v[8:9]
	s_cbranch_scc1 .LBB111_1549
; %bb.1543:
	s_cmp_gt_i32 s0, 25
	s_mov_b32 s2, 0
	s_cbranch_scc0 .LBB111_1550
; %bb.1544:
	s_cmp_gt_i32 s0, 28
	s_cbranch_scc0 .LBB111_1551
; %bb.1545:
	s_cmp_gt_i32 s0, 43
	;; [unrolled: 3-line block ×3, first 2 shown]
	s_cbranch_scc0 .LBB111_1554
; %bb.1547:
	s_cmp_eq_u32 s0, 46
	s_mov_b32 s7, 0
	s_cbranch_scc0 .LBB111_1555
; %bb.1548:
	global_load_b32 v5, v[8:9], off
	s_mov_b32 s1, 0
	s_mov_b32 s6, -1
	s_wait_loadcnt 0x0
	s_wait_xcnt 0x1
	v_lshlrev_b32_e32 v10, 16, v5
	s_branch .LBB111_1557
.LBB111_1549:
	s_mov_b32 s1, -1
	s_mov_b32 s6, 0
                                        ; implicit-def: $vgpr10
	s_branch .LBB111_1623
.LBB111_1550:
	s_mov_b32 s7, -1
	s_mov_b32 s6, 0
	s_mov_b32 s1, 0
                                        ; implicit-def: $vgpr10
	s_branch .LBB111_1586
.LBB111_1551:
	s_mov_b32 s7, -1
	s_mov_b32 s6, 0
	s_mov_b32 s1, 0
                                        ; implicit-def: $vgpr10
	s_branch .LBB111_1567
.LBB111_1552:
	s_mov_b32 s7, -1
	s_mov_b32 s6, 0
	s_mov_b32 s1, 0
                                        ; implicit-def: $vgpr10
	s_branch .LBB111_1562
.LBB111_1553:
	s_or_b32 s3, s3, exec_lo
	s_trap 2
	s_cbranch_execz .LBB111_1492
	s_branch .LBB111_1493
.LBB111_1554:
	s_mov_b32 s7, -1
	s_mov_b32 s6, 0
	s_mov_b32 s1, 0
	s_branch .LBB111_1556
.LBB111_1555:
	s_mov_b32 s1, -1
	s_mov_b32 s6, 0
.LBB111_1556:
                                        ; implicit-def: $vgpr10
.LBB111_1557:
	s_and_b32 vcc_lo, exec_lo, s7
	s_cbranch_vccz .LBB111_1561
; %bb.1558:
	s_cmp_eq_u32 s0, 44
	s_cbranch_scc0 .LBB111_1560
; %bb.1559:
	global_load_u8 v5, v[8:9], off
	s_mov_b32 s1, 0
	s_mov_b32 s6, -1
	s_wait_loadcnt 0x0
	v_lshlrev_b32_e32 v7, 23, v5
	v_cmp_ne_u32_e32 vcc_lo, 0xff, v5
	s_delay_alu instid0(VALU_DEP_2) | instskip(SKIP_2) | instid1(VALU_DEP_2)
	v_cndmask_b32_e32 v7, 0x7f800001, v7, vcc_lo
	v_cmp_ne_u32_e32 vcc_lo, 0, v5
	s_wait_xcnt 0x1
	v_cndmask_b32_e32 v10, 0x400000, v7, vcc_lo
	s_branch .LBB111_1561
.LBB111_1560:
	s_mov_b32 s1, -1
                                        ; implicit-def: $vgpr10
.LBB111_1561:
	s_mov_b32 s7, 0
.LBB111_1562:
	s_delay_alu instid0(SALU_CYCLE_1)
	s_and_b32 vcc_lo, exec_lo, s7
	s_cbranch_vccz .LBB111_1566
; %bb.1563:
	s_cmp_eq_u32 s0, 29
	s_cbranch_scc0 .LBB111_1565
; %bb.1564:
	global_load_b64 v[10:11], v[8:9], off
	s_mov_b32 s1, 0
	s_mov_b32 s6, -1
	s_mov_b32 s7, 0
	s_wait_loadcnt 0x0
	v_clz_i32_u32_e32 v5, v11
	s_delay_alu instid0(VALU_DEP_1) | instskip(NEXT) | instid1(VALU_DEP_1)
	v_min_u32_e32 v5, 32, v5
	v_lshlrev_b64_e32 v[10:11], v5, v[10:11]
	v_sub_nc_u32_e32 v5, 32, v5
	s_delay_alu instid0(VALU_DEP_2) | instskip(NEXT) | instid1(VALU_DEP_1)
	v_min_u32_e32 v7, 1, v10
	v_or_b32_e32 v7, v11, v7
	s_delay_alu instid0(VALU_DEP_1) | instskip(NEXT) | instid1(VALU_DEP_1)
	v_cvt_f32_u32_e32 v7, v7
	v_ldexp_f32 v10, v7, v5
	s_branch .LBB111_1567
.LBB111_1565:
	s_mov_b32 s1, -1
                                        ; implicit-def: $vgpr10
.LBB111_1566:
	s_mov_b32 s7, 0
.LBB111_1567:
	s_delay_alu instid0(SALU_CYCLE_1)
	s_and_b32 vcc_lo, exec_lo, s7
	s_cbranch_vccz .LBB111_1585
; %bb.1568:
	s_cmp_lt_i32 s0, 27
	s_cbranch_scc1 .LBB111_1571
; %bb.1569:
	s_cmp_gt_i32 s0, 27
	s_cbranch_scc0 .LBB111_1572
; %bb.1570:
	global_load_b32 v5, v[8:9], off
	s_mov_b32 s6, 0
	s_wait_loadcnt 0x0
	s_wait_xcnt 0x1
	v_cvt_f32_u32_e32 v10, v5
	s_branch .LBB111_1573
.LBB111_1571:
	s_mov_b32 s6, -1
                                        ; implicit-def: $vgpr10
	s_branch .LBB111_1576
.LBB111_1572:
	s_mov_b32 s6, -1
                                        ; implicit-def: $vgpr10
.LBB111_1573:
	s_delay_alu instid0(SALU_CYCLE_1)
	s_and_not1_b32 vcc_lo, exec_lo, s6
	s_cbranch_vccnz .LBB111_1575
; %bb.1574:
	global_load_u16 v5, v[8:9], off
	s_wait_loadcnt 0x0
	s_wait_xcnt 0x1
	v_cvt_f32_u32_e32 v10, v5
.LBB111_1575:
	s_mov_b32 s6, 0
.LBB111_1576:
	s_delay_alu instid0(SALU_CYCLE_1)
	s_and_not1_b32 vcc_lo, exec_lo, s6
	s_cbranch_vccnz .LBB111_1584
; %bb.1577:
	global_load_u8 v5, v[8:9], off
	s_mov_b32 s6, 0
	s_mov_b32 s7, exec_lo
	s_wait_loadcnt 0x0
	v_cmpx_lt_i16_e32 0x7f, v5
	s_xor_b32 s7, exec_lo, s7
	s_cbranch_execz .LBB111_1598
; %bb.1578:
	s_mov_b32 s6, -1
	s_mov_b32 s8, exec_lo
	v_cmpx_eq_u16_e32 0x80, v5
; %bb.1579:
	s_xor_b32 s6, exec_lo, -1
; %bb.1580:
	s_or_b32 exec_lo, exec_lo, s8
	s_delay_alu instid0(SALU_CYCLE_1)
	s_and_b32 s6, s6, exec_lo
	s_or_saveexec_b32 s7, s7
	v_mov_b32_e32 v10, 0x7f800001
	s_xor_b32 exec_lo, exec_lo, s7
	s_cbranch_execnz .LBB111_1599
.LBB111_1581:
	s_or_b32 exec_lo, exec_lo, s7
	s_and_saveexec_b32 s7, s6
	s_cbranch_execz .LBB111_1583
.LBB111_1582:
	v_and_b32_e32 v7, 0xffff, v5
	s_delay_alu instid0(VALU_DEP_1) | instskip(SKIP_1) | instid1(VALU_DEP_2)
	v_dual_lshlrev_b32 v5, 24, v5 :: v_dual_bitop2_b32 v10, 7, v7 bitop3:0x40
	v_bfe_u32 v14, v7, 3, 4
	v_and_b32_e32 v5, 0x80000000, v5
	s_delay_alu instid0(VALU_DEP_3) | instskip(NEXT) | instid1(VALU_DEP_3)
	v_clz_i32_u32_e32 v11, v10
	v_cmp_eq_u32_e32 vcc_lo, 0, v14
	s_delay_alu instid0(VALU_DEP_2) | instskip(NEXT) | instid1(VALU_DEP_1)
	v_min_u32_e32 v11, 32, v11
	v_subrev_nc_u32_e32 v13, 28, v11
	v_sub_nc_u32_e32 v11, 29, v11
	s_delay_alu instid0(VALU_DEP_2) | instskip(NEXT) | instid1(VALU_DEP_2)
	v_lshlrev_b32_e32 v7, v13, v7
	v_cndmask_b32_e32 v11, v14, v11, vcc_lo
	s_delay_alu instid0(VALU_DEP_2) | instskip(NEXT) | instid1(VALU_DEP_1)
	v_and_b32_e32 v7, 7, v7
	v_cndmask_b32_e32 v7, v10, v7, vcc_lo
	s_delay_alu instid0(VALU_DEP_3) | instskip(NEXT) | instid1(VALU_DEP_2)
	v_lshl_add_u32 v10, v11, 23, 0x3b800000
	v_lshlrev_b32_e32 v7, 20, v7
	s_delay_alu instid0(VALU_DEP_1)
	v_or3_b32 v10, v5, v10, v7
.LBB111_1583:
	s_or_b32 exec_lo, exec_lo, s7
.LBB111_1584:
	s_mov_b32 s6, -1
.LBB111_1585:
	s_mov_b32 s7, 0
.LBB111_1586:
	s_delay_alu instid0(SALU_CYCLE_1)
	s_and_b32 vcc_lo, exec_lo, s7
	s_cbranch_vccz .LBB111_1619
; %bb.1587:
	s_cmp_gt_i32 s0, 22
	s_cbranch_scc0 .LBB111_1597
; %bb.1588:
	s_cmp_lt_i32 s0, 24
	s_cbranch_scc1 .LBB111_1600
; %bb.1589:
	s_cmp_gt_i32 s0, 24
	s_cbranch_scc0 .LBB111_1601
; %bb.1590:
	global_load_u8 v5, v[8:9], off
	s_mov_b32 s6, exec_lo
	s_wait_loadcnt 0x0
	v_cmpx_lt_i16_e32 0x7f, v5
	s_xor_b32 s6, exec_lo, s6
	s_cbranch_execz .LBB111_1613
; %bb.1591:
	s_mov_b32 s2, -1
	s_mov_b32 s7, exec_lo
	v_cmpx_eq_u16_e32 0x80, v5
; %bb.1592:
	s_xor_b32 s2, exec_lo, -1
; %bb.1593:
	s_or_b32 exec_lo, exec_lo, s7
	s_delay_alu instid0(SALU_CYCLE_1)
	s_and_b32 s2, s2, exec_lo
	s_or_saveexec_b32 s6, s6
	v_mov_b32_e32 v10, 0x7f800001
	s_xor_b32 exec_lo, exec_lo, s6
	s_cbranch_execnz .LBB111_1614
.LBB111_1594:
	s_or_b32 exec_lo, exec_lo, s6
	s_and_saveexec_b32 s6, s2
	s_cbranch_execz .LBB111_1596
.LBB111_1595:
	v_and_b32_e32 v7, 0xffff, v5
	s_delay_alu instid0(VALU_DEP_1) | instskip(SKIP_1) | instid1(VALU_DEP_2)
	v_dual_lshlrev_b32 v5, 24, v5 :: v_dual_bitop2_b32 v10, 3, v7 bitop3:0x40
	v_bfe_u32 v14, v7, 2, 5
	v_and_b32_e32 v5, 0x80000000, v5
	s_delay_alu instid0(VALU_DEP_3) | instskip(NEXT) | instid1(VALU_DEP_3)
	v_clz_i32_u32_e32 v11, v10
	v_cmp_eq_u32_e32 vcc_lo, 0, v14
	s_delay_alu instid0(VALU_DEP_2) | instskip(NEXT) | instid1(VALU_DEP_1)
	v_min_u32_e32 v11, 32, v11
	v_subrev_nc_u32_e32 v13, 29, v11
	v_sub_nc_u32_e32 v11, 30, v11
	s_delay_alu instid0(VALU_DEP_2) | instskip(NEXT) | instid1(VALU_DEP_2)
	v_lshlrev_b32_e32 v7, v13, v7
	v_cndmask_b32_e32 v11, v14, v11, vcc_lo
	s_delay_alu instid0(VALU_DEP_2) | instskip(NEXT) | instid1(VALU_DEP_1)
	v_and_b32_e32 v7, 3, v7
	v_cndmask_b32_e32 v7, v10, v7, vcc_lo
	s_delay_alu instid0(VALU_DEP_3) | instskip(NEXT) | instid1(VALU_DEP_2)
	v_lshl_add_u32 v10, v11, 23, 0x37800000
	v_lshlrev_b32_e32 v7, 21, v7
	s_delay_alu instid0(VALU_DEP_1)
	v_or3_b32 v10, v5, v10, v7
.LBB111_1596:
	s_or_b32 exec_lo, exec_lo, s6
	s_mov_b32 s2, 0
	s_branch .LBB111_1602
.LBB111_1597:
	s_mov_b32 s2, -1
                                        ; implicit-def: $vgpr10
	s_branch .LBB111_1608
.LBB111_1598:
	s_or_saveexec_b32 s7, s7
	v_mov_b32_e32 v10, 0x7f800001
	s_xor_b32 exec_lo, exec_lo, s7
	s_cbranch_execz .LBB111_1581
.LBB111_1599:
	v_cmp_ne_u16_e32 vcc_lo, 0, v5
	v_mov_b32_e32 v10, 0
	s_and_not1_b32 s6, s6, exec_lo
	s_and_b32 s8, vcc_lo, exec_lo
	s_delay_alu instid0(SALU_CYCLE_1)
	s_or_b32 s6, s6, s8
	s_or_b32 exec_lo, exec_lo, s7
	s_and_saveexec_b32 s7, s6
	s_cbranch_execnz .LBB111_1582
	s_branch .LBB111_1583
.LBB111_1600:
	s_mov_b32 s2, -1
                                        ; implicit-def: $vgpr10
	s_branch .LBB111_1605
.LBB111_1601:
	s_mov_b32 s2, -1
                                        ; implicit-def: $vgpr10
.LBB111_1602:
	s_delay_alu instid0(SALU_CYCLE_1)
	s_and_b32 vcc_lo, exec_lo, s2
	s_cbranch_vccz .LBB111_1604
; %bb.1603:
	global_load_u8 v5, v[8:9], off
	s_wait_loadcnt 0x0
	v_lshlrev_b32_e32 v5, 24, v5
	s_delay_alu instid0(VALU_DEP_1) | instskip(SKIP_1) | instid1(VALU_DEP_1)
	v_and_b32_e32 v7, 0x7f000000, v5
	s_wait_xcnt 0x1
	v_clz_i32_u32_e32 v10, v7
	v_add_nc_u32_e32 v13, 0x1000000, v7
	v_cmp_ne_u32_e32 vcc_lo, 0, v7
	s_delay_alu instid0(VALU_DEP_3) | instskip(NEXT) | instid1(VALU_DEP_1)
	v_min_u32_e32 v10, 32, v10
	v_sub_nc_u32_e64 v10, v10, 4 clamp
	s_delay_alu instid0(VALU_DEP_1) | instskip(NEXT) | instid1(VALU_DEP_1)
	v_dual_lshlrev_b32 v11, v10, v7 :: v_dual_lshlrev_b32 v10, 23, v10
	v_lshrrev_b32_e32 v11, 4, v11
	s_delay_alu instid0(VALU_DEP_1) | instskip(NEXT) | instid1(VALU_DEP_1)
	v_dual_sub_nc_u32 v10, v11, v10 :: v_dual_ashrrev_i32 v11, 8, v13
	v_add_nc_u32_e32 v10, 0x3c000000, v10
	s_delay_alu instid0(VALU_DEP_1) | instskip(NEXT) | instid1(VALU_DEP_1)
	v_and_or_b32 v10, 0x7f800000, v11, v10
	v_cndmask_b32_e32 v7, 0, v10, vcc_lo
	s_delay_alu instid0(VALU_DEP_1)
	v_and_or_b32 v10, 0x80000000, v5, v7
.LBB111_1604:
	s_mov_b32 s2, 0
.LBB111_1605:
	s_delay_alu instid0(SALU_CYCLE_1)
	s_and_not1_b32 vcc_lo, exec_lo, s2
	s_cbranch_vccnz .LBB111_1607
; %bb.1606:
	global_load_u8 v5, v[8:9], off
	s_wait_loadcnt 0x0
	v_lshlrev_b32_e32 v7, 25, v5
	v_lshlrev_b16 v5, 8, v5
	s_wait_xcnt 0x1
	s_delay_alu instid0(VALU_DEP_1) | instskip(SKIP_1) | instid1(VALU_DEP_2)
	v_and_or_b32 v11, 0x7f00, v5, 0.5
	v_bfe_i32 v5, v5, 0, 16
	v_add_f32_e32 v11, -0.5, v11
	v_lshrrev_b32_e32 v10, 4, v7
	v_cmp_gt_u32_e32 vcc_lo, 0x8000000, v7
	s_delay_alu instid0(VALU_DEP_2) | instskip(NEXT) | instid1(VALU_DEP_1)
	v_or_b32_e32 v10, 0x70000000, v10
	v_mul_f32_e32 v10, 0x7800000, v10
	s_delay_alu instid0(VALU_DEP_1) | instskip(NEXT) | instid1(VALU_DEP_1)
	v_cndmask_b32_e32 v7, v10, v11, vcc_lo
	v_and_or_b32 v10, 0x80000000, v5, v7
.LBB111_1607:
	s_mov_b32 s2, 0
	s_mov_b32 s6, -1
.LBB111_1608:
	s_and_not1_b32 vcc_lo, exec_lo, s2
	s_mov_b32 s2, 0
	s_cbranch_vccnz .LBB111_1619
; %bb.1609:
	s_cmp_gt_i32 s0, 14
	s_cbranch_scc0 .LBB111_1612
; %bb.1610:
	s_cmp_eq_u32 s0, 15
	s_cbranch_scc0 .LBB111_1615
; %bb.1611:
	global_load_u16 v5, v[8:9], off
	s_mov_b32 s1, 0
	s_mov_b32 s6, -1
	s_wait_loadcnt 0x0
	s_wait_xcnt 0x1
	v_lshlrev_b32_e32 v10, 16, v5
	s_branch .LBB111_1617
.LBB111_1612:
	s_mov_b32 s2, -1
	s_branch .LBB111_1616
.LBB111_1613:
	s_or_saveexec_b32 s6, s6
	v_mov_b32_e32 v10, 0x7f800001
	s_xor_b32 exec_lo, exec_lo, s6
	s_cbranch_execz .LBB111_1594
.LBB111_1614:
	v_cmp_ne_u16_e32 vcc_lo, 0, v5
	v_mov_b32_e32 v10, 0
	s_and_not1_b32 s2, s2, exec_lo
	s_and_b32 s7, vcc_lo, exec_lo
	s_delay_alu instid0(SALU_CYCLE_1)
	s_or_b32 s2, s2, s7
	s_or_b32 exec_lo, exec_lo, s6
	s_and_saveexec_b32 s6, s2
	s_cbranch_execnz .LBB111_1595
	s_branch .LBB111_1596
.LBB111_1615:
	s_mov_b32 s1, -1
.LBB111_1616:
                                        ; implicit-def: $vgpr10
.LBB111_1617:
	s_and_b32 vcc_lo, exec_lo, s2
	s_mov_b32 s2, 0
	s_cbranch_vccz .LBB111_1619
; %bb.1618:
	s_cmp_lg_u32 s0, 11
	s_mov_b32 s2, -1
	s_cselect_b32 s1, -1, 0
.LBB111_1619:
	s_delay_alu instid0(SALU_CYCLE_1)
	s_and_b32 vcc_lo, exec_lo, s1
	s_cbranch_vccnz .LBB111_2151
; %bb.1620:
	s_and_not1_b32 vcc_lo, exec_lo, s2
	s_cbranch_vccnz .LBB111_1622
.LBB111_1621:
	global_load_u8 v5, v[8:9], off
	s_mov_b32 s6, -1
	s_wait_loadcnt 0x0
	v_cmp_ne_u16_e32 vcc_lo, 0, v5
	s_wait_xcnt 0x1
	v_cndmask_b32_e64 v10, 0, 1.0, vcc_lo
.LBB111_1622:
	s_mov_b32 s1, 0
.LBB111_1623:
	s_delay_alu instid0(SALU_CYCLE_1)
	s_and_b32 vcc_lo, exec_lo, s1
	s_cbranch_vccz .LBB111_1672
; %bb.1624:
	s_cmp_lt_i32 s0, 5
	s_cbranch_scc1 .LBB111_1629
; %bb.1625:
	s_cmp_lt_i32 s0, 8
	s_cbranch_scc1 .LBB111_1630
	;; [unrolled: 3-line block ×3, first 2 shown]
; %bb.1627:
	s_cmp_gt_i32 s0, 9
	s_cbranch_scc0 .LBB111_1632
; %bb.1628:
	global_load_b64 v[10:11], v[8:9], off
	s_mov_b32 s1, 0
	s_wait_loadcnt 0x0
	v_cvt_f32_f64_e32 v10, v[10:11]
	s_branch .LBB111_1633
.LBB111_1629:
	s_mov_b32 s1, -1
                                        ; implicit-def: $vgpr10
	s_branch .LBB111_1651
.LBB111_1630:
	s_mov_b32 s1, -1
                                        ; implicit-def: $vgpr10
	s_branch .LBB111_1639
.LBB111_1631:
	s_mov_b32 s1, -1
                                        ; implicit-def: $vgpr10
	s_branch .LBB111_1636
.LBB111_1632:
	s_mov_b32 s1, -1
                                        ; implicit-def: $vgpr10
.LBB111_1633:
	s_delay_alu instid0(SALU_CYCLE_1)
	s_and_not1_b32 vcc_lo, exec_lo, s1
	s_cbranch_vccnz .LBB111_1635
; %bb.1634:
	global_load_b32 v10, v[8:9], off
.LBB111_1635:
	s_mov_b32 s1, 0
.LBB111_1636:
	s_delay_alu instid0(SALU_CYCLE_1)
	s_and_not1_b32 vcc_lo, exec_lo, s1
	s_cbranch_vccnz .LBB111_1638
; %bb.1637:
	global_load_b32 v5, v[8:9], off
	s_wait_loadcnt 0x0
	s_wait_xcnt 0x1
	v_cvt_f32_f16_e32 v10, v5
.LBB111_1638:
	s_mov_b32 s1, 0
.LBB111_1639:
	s_delay_alu instid0(SALU_CYCLE_1)
	s_and_not1_b32 vcc_lo, exec_lo, s1
	s_cbranch_vccnz .LBB111_1650
; %bb.1640:
	s_cmp_lt_i32 s0, 6
	s_cbranch_scc1 .LBB111_1643
; %bb.1641:
	s_cmp_gt_i32 s0, 6
	s_cbranch_scc0 .LBB111_1644
; %bb.1642:
	s_wait_loadcnt 0x0
	global_load_b64 v[10:11], v[8:9], off
	s_mov_b32 s1, 0
	s_wait_loadcnt 0x0
	v_cvt_f32_f64_e32 v10, v[10:11]
	s_branch .LBB111_1645
.LBB111_1643:
	s_mov_b32 s1, -1
                                        ; implicit-def: $vgpr10
	s_branch .LBB111_1648
.LBB111_1644:
	s_mov_b32 s1, -1
                                        ; implicit-def: $vgpr10
.LBB111_1645:
	s_delay_alu instid0(SALU_CYCLE_1)
	s_and_not1_b32 vcc_lo, exec_lo, s1
	s_cbranch_vccnz .LBB111_1647
; %bb.1646:
	s_wait_loadcnt 0x0
	global_load_b32 v10, v[8:9], off
.LBB111_1647:
	s_mov_b32 s1, 0
.LBB111_1648:
	s_delay_alu instid0(SALU_CYCLE_1)
	s_and_not1_b32 vcc_lo, exec_lo, s1
	s_cbranch_vccnz .LBB111_1650
; %bb.1649:
	global_load_u16 v5, v[8:9], off
	s_wait_loadcnt 0x0
	s_wait_xcnt 0x1
	v_cvt_f32_f16_e32 v10, v5
.LBB111_1650:
	s_mov_b32 s1, 0
.LBB111_1651:
	s_delay_alu instid0(SALU_CYCLE_1)
	s_and_not1_b32 vcc_lo, exec_lo, s1
	s_cbranch_vccnz .LBB111_1671
; %bb.1652:
	s_cmp_lt_i32 s0, 2
	s_cbranch_scc1 .LBB111_1656
; %bb.1653:
	s_cmp_lt_i32 s0, 3
	s_cbranch_scc1 .LBB111_1657
; %bb.1654:
	s_cmp_gt_i32 s0, 3
	s_cbranch_scc0 .LBB111_1658
; %bb.1655:
	s_wait_loadcnt 0x0
	global_load_b64 v[10:11], v[8:9], off
	s_mov_b32 s1, 0
	s_wait_loadcnt 0x0
	v_xor_b32_e32 v5, v10, v11
	v_cls_i32_e32 v7, v11
	s_delay_alu instid0(VALU_DEP_2) | instskip(NEXT) | instid1(VALU_DEP_1)
	v_ashrrev_i32_e32 v5, 31, v5
	v_add_nc_u32_e32 v5, 32, v5
	s_delay_alu instid0(VALU_DEP_1) | instskip(NEXT) | instid1(VALU_DEP_1)
	v_add_min_u32_e64 v5, v7, -1, v5
	v_lshlrev_b64_e32 v[10:11], v5, v[10:11]
	v_sub_nc_u32_e32 v5, 32, v5
	s_delay_alu instid0(VALU_DEP_2) | instskip(NEXT) | instid1(VALU_DEP_1)
	v_min_u32_e32 v7, 1, v10
	v_or_b32_e32 v7, v11, v7
	s_delay_alu instid0(VALU_DEP_1) | instskip(NEXT) | instid1(VALU_DEP_1)
	v_cvt_f32_i32_e32 v7, v7
	v_ldexp_f32 v10, v7, v5
	s_branch .LBB111_1659
.LBB111_1656:
	s_mov_b32 s1, -1
                                        ; implicit-def: $vgpr10
	s_branch .LBB111_1665
.LBB111_1657:
	s_mov_b32 s1, -1
                                        ; implicit-def: $vgpr10
	s_branch .LBB111_1662
.LBB111_1658:
	s_mov_b32 s1, -1
                                        ; implicit-def: $vgpr10
.LBB111_1659:
	s_delay_alu instid0(SALU_CYCLE_1)
	s_and_not1_b32 vcc_lo, exec_lo, s1
	s_cbranch_vccnz .LBB111_1661
; %bb.1660:
	global_load_b32 v5, v[8:9], off
	s_wait_loadcnt 0x0
	s_wait_xcnt 0x1
	v_cvt_f32_i32_e32 v10, v5
.LBB111_1661:
	s_mov_b32 s1, 0
.LBB111_1662:
	s_delay_alu instid0(SALU_CYCLE_1)
	s_and_not1_b32 vcc_lo, exec_lo, s1
	s_cbranch_vccnz .LBB111_1664
; %bb.1663:
	global_load_i16 v5, v[8:9], off
	s_wait_loadcnt 0x0
	s_wait_xcnt 0x1
	v_cvt_f32_i32_e32 v10, v5
.LBB111_1664:
	s_mov_b32 s1, 0
.LBB111_1665:
	s_delay_alu instid0(SALU_CYCLE_1)
	s_and_not1_b32 vcc_lo, exec_lo, s1
	s_cbranch_vccnz .LBB111_1671
; %bb.1666:
	s_cmp_gt_i32 s0, 0
	s_mov_b32 s0, 0
	s_cbranch_scc0 .LBB111_1668
; %bb.1667:
	global_load_i8 v5, v[8:9], off
	s_wait_loadcnt 0x0
	s_wait_xcnt 0x1
	v_cvt_f32_i32_e32 v10, v5
	s_branch .LBB111_1669
.LBB111_1668:
	s_mov_b32 s0, -1
                                        ; implicit-def: $vgpr10
.LBB111_1669:
	s_delay_alu instid0(SALU_CYCLE_1)
	s_and_not1_b32 vcc_lo, exec_lo, s0
	s_cbranch_vccnz .LBB111_1671
; %bb.1670:
	global_load_u8 v5, v[8:9], off
	s_wait_loadcnt 0x0
	s_wait_xcnt 0x1
	v_cvt_f32_ubyte0_e32 v10, v5
.LBB111_1671:
	s_mov_b32 s6, -1
.LBB111_1672:
	s_delay_alu instid0(SALU_CYCLE_1)
	s_and_not1_b32 vcc_lo, exec_lo, s6
	s_cbranch_vccnz .LBB111_2105
; %bb.1673:
	s_load_b96 s[8:10], s[20:21], 0x158
	s_mov_b32 s2, -1
	v_mov_b32_e32 v7, 0
	s_delay_alu instid0(VALU_DEP_1)
	v_add_nc_u64_e32 v[6:7], s[4:5], v[6:7]
	s_wait_loadcnt 0x0
	s_wait_kmcnt 0x0
	v_cmp_eq_f32_e32 vcc_lo, s9, v1
	s_cmp_eq_u32 s8, 0
	s_cselect_b32 s0, -1, 0
	s_and_b32 s6, s10, 0xff
	v_cndmask_b32_e64 v5, 0, 1, vcc_lo
	v_cmp_neq_f32_e32 vcc_lo, s9, v1
	s_mov_b32 s10, 0
	s_cmp_lt_i32 s6, 11
	v_cndmask_b32_e64 v1, 0, 1, vcc_lo
	s_delay_alu instid0(VALU_DEP_1) | instskip(NEXT) | instid1(VALU_DEP_1)
	v_cndmask_b32_e64 v1, v1, v5, s0
	v_and_b32_e32 v1, 1, v1
	s_delay_alu instid0(VALU_DEP_1)
	v_cmp_eq_u32_e64 s1, 1, v1
	s_cbranch_scc1 .LBB111_1752
; %bb.1674:
	s_and_b32 s7, 0xffff, s6
	s_mov_b32 s13, -1
	s_mov_b32 s8, 0
	s_cmp_gt_i32 s7, 25
	s_mov_b32 s2, 0
	s_cbranch_scc0 .LBB111_1707
; %bb.1675:
	s_cmp_gt_i32 s7, 28
	s_cbranch_scc0 .LBB111_1690
; %bb.1676:
	s_cmp_gt_i32 s7, 43
	;; [unrolled: 3-line block ×3, first 2 shown]
	s_cbranch_scc0 .LBB111_1680
; %bb.1678:
	s_mov_b32 s2, -1
	s_mov_b32 s13, 0
	s_cmp_eq_u32 s7, 46
	s_cbranch_scc0 .LBB111_1680
; %bb.1679:
	v_cndmask_b32_e64 v1, 0, 1.0, s1
	s_mov_b32 s2, 0
	s_mov_b32 s10, -1
	s_delay_alu instid0(VALU_DEP_1) | instskip(NEXT) | instid1(VALU_DEP_1)
	v_bfe_u32 v5, v1, 16, 1
	v_add3_u32 v1, v1, v5, 0x7fff
	s_delay_alu instid0(VALU_DEP_1)
	v_lshrrev_b32_e32 v1, 16, v1
	global_store_b32 v[6:7], v1, off
.LBB111_1680:
	s_and_b32 vcc_lo, exec_lo, s13
	s_cbranch_vccz .LBB111_1685
; %bb.1681:
	s_cmp_eq_u32 s7, 44
	s_mov_b32 s2, -1
	s_cbranch_scc0 .LBB111_1685
; %bb.1682:
	v_cndmask_b32_e64 v8, 0, 1.0, s1
	v_mov_b32_e32 v5, 0xff
	s_mov_b32 s10, exec_lo
	s_wait_xcnt 0x0
	s_delay_alu instid0(VALU_DEP_2) | instskip(NEXT) | instid1(VALU_DEP_1)
	v_lshrrev_b32_e32 v1, 23, v8
	v_cmpx_ne_u32_e32 0xff, v1
; %bb.1683:
	v_and_b32_e32 v5, 0x400000, v8
	v_and_or_b32 v8, 0x3fffff, v8, v1
	s_delay_alu instid0(VALU_DEP_2) | instskip(NEXT) | instid1(VALU_DEP_2)
	v_cmp_ne_u32_e32 vcc_lo, 0, v5
	v_cmp_ne_u32_e64 s2, 0, v8
	s_and_b32 s2, vcc_lo, s2
	s_delay_alu instid0(SALU_CYCLE_1) | instskip(NEXT) | instid1(VALU_DEP_1)
	v_cndmask_b32_e64 v5, 0, 1, s2
	v_add_nc_u32_e32 v5, v1, v5
; %bb.1684:
	s_or_b32 exec_lo, exec_lo, s10
	s_mov_b32 s2, 0
	s_mov_b32 s10, -1
	global_store_b8 v[6:7], v5, off
.LBB111_1685:
	s_mov_b32 s13, 0
.LBB111_1686:
	s_delay_alu instid0(SALU_CYCLE_1)
	s_and_b32 vcc_lo, exec_lo, s13
	s_cbranch_vccz .LBB111_1689
; %bb.1687:
	s_cmp_eq_u32 s7, 29
	s_mov_b32 s2, -1
	s_cbranch_scc0 .LBB111_1689
; %bb.1688:
	s_mov_b32 s2, 0
	v_cndmask_b32_e64 v8, 0, 1, s1
	v_mov_b32_e32 v9, s2
	s_mov_b32 s10, -1
	global_store_b64 v[6:7], v[8:9], off
.LBB111_1689:
	s_mov_b32 s13, 0
.LBB111_1690:
	s_delay_alu instid0(SALU_CYCLE_1)
	s_and_b32 vcc_lo, exec_lo, s13
	s_cbranch_vccz .LBB111_1706
; %bb.1691:
	s_cmp_lt_i32 s7, 27
	s_mov_b32 s10, -1
	s_cbranch_scc1 .LBB111_1697
; %bb.1692:
	s_cmp_gt_i32 s7, 27
	s_cbranch_scc0 .LBB111_1694
; %bb.1693:
	s_wait_xcnt 0x0
	v_cndmask_b32_e64 v1, 0, 1, s1
	s_mov_b32 s10, 0
	global_store_b32 v[6:7], v1, off
.LBB111_1694:
	s_and_not1_b32 vcc_lo, exec_lo, s10
	s_cbranch_vccnz .LBB111_1696
; %bb.1695:
	s_wait_xcnt 0x0
	v_cndmask_b32_e64 v1, 0, 1, s1
	global_store_b16 v[6:7], v1, off
.LBB111_1696:
	s_mov_b32 s10, 0
.LBB111_1697:
	s_delay_alu instid0(SALU_CYCLE_1)
	s_and_not1_b32 vcc_lo, exec_lo, s10
	s_cbranch_vccnz .LBB111_1705
; %bb.1698:
	s_wait_xcnt 0x0
	v_cndmask_b32_e64 v5, 0, 1.0, s1
	v_mov_b32_e32 v8, 0x80
	s_mov_b32 s10, exec_lo
	s_delay_alu instid0(VALU_DEP_2)
	v_cmpx_gt_u32_e32 0x43800000, v5
	s_cbranch_execz .LBB111_1704
; %bb.1699:
	s_mov_b32 s13, 0
	s_mov_b32 s14, exec_lo
                                        ; implicit-def: $vgpr1
	v_cmpx_lt_u32_e32 0x3bffffff, v5
	s_xor_b32 s14, exec_lo, s14
	s_cbranch_execz .LBB111_2152
; %bb.1700:
	v_bfe_u32 v1, v5, 20, 1
	s_mov_b32 s13, exec_lo
	s_delay_alu instid0(VALU_DEP_1) | instskip(NEXT) | instid1(VALU_DEP_1)
	v_add3_u32 v1, v5, v1, 0x487ffff
                                        ; implicit-def: $vgpr5
	v_lshrrev_b32_e32 v1, 20, v1
	s_and_not1_saveexec_b32 s14, s14
	s_cbranch_execnz .LBB111_2153
.LBB111_1701:
	s_or_b32 exec_lo, exec_lo, s14
	v_mov_b32_e32 v8, 0
	s_and_saveexec_b32 s14, s13
.LBB111_1702:
	v_mov_b32_e32 v8, v1
.LBB111_1703:
	s_or_b32 exec_lo, exec_lo, s14
.LBB111_1704:
	s_delay_alu instid0(SALU_CYCLE_1)
	s_or_b32 exec_lo, exec_lo, s10
	global_store_b8 v[6:7], v8, off
.LBB111_1705:
	s_mov_b32 s10, -1
.LBB111_1706:
	s_mov_b32 s13, 0
.LBB111_1707:
	s_delay_alu instid0(SALU_CYCLE_1)
	s_and_b32 vcc_lo, exec_lo, s13
	s_cbranch_vccz .LBB111_1747
; %bb.1708:
	s_cmp_gt_i32 s7, 22
	s_mov_b32 s8, -1
	s_cbranch_scc0 .LBB111_1740
; %bb.1709:
	s_cmp_lt_i32 s7, 24
	s_cbranch_scc1 .LBB111_1729
; %bb.1710:
	s_cmp_gt_i32 s7, 24
	s_cbranch_scc0 .LBB111_1718
; %bb.1711:
	s_wait_xcnt 0x0
	v_cndmask_b32_e64 v5, 0, 1.0, s1
	v_mov_b32_e32 v8, 0x80
	s_mov_b32 s8, exec_lo
	s_delay_alu instid0(VALU_DEP_2)
	v_cmpx_gt_u32_e32 0x47800000, v5
	s_cbranch_execz .LBB111_1717
; %bb.1712:
	s_mov_b32 s10, 0
	s_mov_b32 s13, exec_lo
                                        ; implicit-def: $vgpr1
	v_cmpx_lt_u32_e32 0x37ffffff, v5
	s_xor_b32 s13, exec_lo, s13
	s_cbranch_execz .LBB111_2155
; %bb.1713:
	v_bfe_u32 v1, v5, 21, 1
	s_mov_b32 s10, exec_lo
	s_delay_alu instid0(VALU_DEP_1) | instskip(NEXT) | instid1(VALU_DEP_1)
	v_add3_u32 v1, v5, v1, 0x88fffff
                                        ; implicit-def: $vgpr5
	v_lshrrev_b32_e32 v1, 21, v1
	s_and_not1_saveexec_b32 s13, s13
	s_cbranch_execnz .LBB111_2156
.LBB111_1714:
	s_or_b32 exec_lo, exec_lo, s13
	v_mov_b32_e32 v8, 0
	s_and_saveexec_b32 s13, s10
.LBB111_1715:
	v_mov_b32_e32 v8, v1
.LBB111_1716:
	s_or_b32 exec_lo, exec_lo, s13
.LBB111_1717:
	s_delay_alu instid0(SALU_CYCLE_1)
	s_or_b32 exec_lo, exec_lo, s8
	s_mov_b32 s8, 0
	global_store_b8 v[6:7], v8, off
.LBB111_1718:
	s_and_b32 vcc_lo, exec_lo, s8
	s_cbranch_vccz .LBB111_1728
; %bb.1719:
	s_wait_xcnt 0x0
	v_cndmask_b32_e64 v5, 0, 1.0, s1
	s_mov_b32 s8, exec_lo
                                        ; implicit-def: $vgpr1
	s_delay_alu instid0(VALU_DEP_1)
	v_cmpx_gt_u32_e32 0x43f00000, v5
	s_xor_b32 s8, exec_lo, s8
	s_cbranch_execz .LBB111_1725
; %bb.1720:
	s_mov_b32 s10, exec_lo
                                        ; implicit-def: $vgpr1
	v_cmpx_lt_u32_e32 0x3c7fffff, v5
	s_xor_b32 s10, exec_lo, s10
; %bb.1721:
	v_bfe_u32 v1, v5, 20, 1
	s_delay_alu instid0(VALU_DEP_1) | instskip(NEXT) | instid1(VALU_DEP_1)
	v_add3_u32 v1, v5, v1, 0x407ffff
	v_and_b32_e32 v5, 0xff00000, v1
	v_lshrrev_b32_e32 v1, 20, v1
	s_delay_alu instid0(VALU_DEP_2) | instskip(NEXT) | instid1(VALU_DEP_2)
	v_cmp_ne_u32_e32 vcc_lo, 0x7f00000, v5
                                        ; implicit-def: $vgpr5
	v_cndmask_b32_e32 v1, 0x7e, v1, vcc_lo
; %bb.1722:
	s_and_not1_saveexec_b32 s10, s10
; %bb.1723:
	v_add_f32_e32 v1, 0x46800000, v5
; %bb.1724:
	s_or_b32 exec_lo, exec_lo, s10
                                        ; implicit-def: $vgpr5
.LBB111_1725:
	s_and_not1_saveexec_b32 s8, s8
; %bb.1726:
	v_mov_b32_e32 v1, 0x7f
	v_cmp_lt_u32_e32 vcc_lo, 0x7f800000, v5
	s_delay_alu instid0(VALU_DEP_2)
	v_cndmask_b32_e32 v1, 0x7e, v1, vcc_lo
; %bb.1727:
	s_or_b32 exec_lo, exec_lo, s8
	global_store_b8 v[6:7], v1, off
.LBB111_1728:
	s_mov_b32 s8, 0
.LBB111_1729:
	s_delay_alu instid0(SALU_CYCLE_1)
	s_and_not1_b32 vcc_lo, exec_lo, s8
	s_cbranch_vccnz .LBB111_1739
; %bb.1730:
	s_wait_xcnt 0x0
	v_cndmask_b32_e64 v5, 0, 1.0, s1
	s_mov_b32 s8, exec_lo
                                        ; implicit-def: $vgpr1
	s_delay_alu instid0(VALU_DEP_1)
	v_cmpx_gt_u32_e32 0x47800000, v5
	s_xor_b32 s8, exec_lo, s8
	s_cbranch_execz .LBB111_1736
; %bb.1731:
	s_mov_b32 s10, exec_lo
                                        ; implicit-def: $vgpr1
	v_cmpx_lt_u32_e32 0x387fffff, v5
	s_xor_b32 s10, exec_lo, s10
; %bb.1732:
	v_bfe_u32 v1, v5, 21, 1
	s_delay_alu instid0(VALU_DEP_1) | instskip(NEXT) | instid1(VALU_DEP_1)
	v_add3_u32 v1, v5, v1, 0x80fffff
                                        ; implicit-def: $vgpr5
	v_lshrrev_b32_e32 v1, 21, v1
; %bb.1733:
	s_and_not1_saveexec_b32 s10, s10
; %bb.1734:
	v_add_f32_e32 v1, 0x43000000, v5
; %bb.1735:
	s_or_b32 exec_lo, exec_lo, s10
                                        ; implicit-def: $vgpr5
.LBB111_1736:
	s_and_not1_saveexec_b32 s8, s8
; %bb.1737:
	v_mov_b32_e32 v1, 0x7f
	v_cmp_lt_u32_e32 vcc_lo, 0x7f800000, v5
	s_delay_alu instid0(VALU_DEP_2)
	v_cndmask_b32_e32 v1, 0x7c, v1, vcc_lo
; %bb.1738:
	s_or_b32 exec_lo, exec_lo, s8
	global_store_b8 v[6:7], v1, off
.LBB111_1739:
	s_mov_b32 s8, 0
	s_mov_b32 s10, -1
.LBB111_1740:
	s_and_not1_b32 vcc_lo, exec_lo, s8
	s_mov_b32 s8, 0
	s_cbranch_vccnz .LBB111_1747
; %bb.1741:
	s_cmp_gt_i32 s7, 14
	s_mov_b32 s8, -1
	s_cbranch_scc0 .LBB111_1745
; %bb.1742:
	s_cmp_eq_u32 s7, 15
	s_mov_b32 s2, -1
	s_cbranch_scc0 .LBB111_1744
; %bb.1743:
	s_wait_xcnt 0x0
	v_cndmask_b32_e64 v1, 0, 1.0, s1
	s_mov_b32 s2, 0
	s_mov_b32 s10, -1
	s_delay_alu instid0(VALU_DEP_1) | instskip(NEXT) | instid1(VALU_DEP_1)
	v_bfe_u32 v5, v1, 16, 1
	v_add3_u32 v1, v1, v5, 0x7fff
	global_store_d16_hi_b16 v[6:7], v1, off
.LBB111_1744:
	s_mov_b32 s8, 0
.LBB111_1745:
	s_delay_alu instid0(SALU_CYCLE_1)
	s_and_b32 vcc_lo, exec_lo, s8
	s_mov_b32 s8, 0
	s_cbranch_vccz .LBB111_1747
; %bb.1746:
	s_cmp_lg_u32 s7, 11
	s_mov_b32 s8, -1
	s_cselect_b32 s2, -1, 0
.LBB111_1747:
	s_delay_alu instid0(SALU_CYCLE_1)
	s_and_b32 vcc_lo, exec_lo, s2
	s_cbranch_vccnz .LBB111_2154
; %bb.1748:
	s_and_not1_b32 vcc_lo, exec_lo, s8
	s_cbranch_vccnz .LBB111_1750
.LBB111_1749:
	s_wait_xcnt 0x0
	v_cndmask_b32_e64 v1, 0, 1, s1
	s_mov_b32 s10, -1
	global_store_b8 v[6:7], v1, off
.LBB111_1750:
.LBB111_1751:
	s_and_not1_b32 vcc_lo, exec_lo, s10
	s_cbranch_vccnz .LBB111_2105
	s_branch .LBB111_1791
.LBB111_1752:
	s_and_b32 vcc_lo, exec_lo, s2
	s_cbranch_vccz .LBB111_1751
; %bb.1753:
	s_and_b32 s2, 0xffff, s6
	s_mov_b32 s7, -1
	s_cmp_lt_i32 s2, 5
	s_cbranch_scc1 .LBB111_1774
; %bb.1754:
	s_cmp_lt_i32 s2, 8
	s_cbranch_scc1 .LBB111_1764
; %bb.1755:
	;; [unrolled: 3-line block ×3, first 2 shown]
	s_cmp_gt_i32 s2, 9
	s_cbranch_scc0 .LBB111_1758
; %bb.1757:
	s_wait_xcnt 0x0
	v_cndmask_b32_e64 v1, 0, 1, s1
	v_mov_b32_e32 v16, 0
	s_mov_b32 s7, 0
	s_delay_alu instid0(VALU_DEP_2) | instskip(NEXT) | instid1(VALU_DEP_2)
	v_cvt_f64_u32_e32 v[14:15], v1
	v_mov_b32_e32 v17, v16
	global_store_b128 v[6:7], v[14:17], off
.LBB111_1758:
	s_and_not1_b32 vcc_lo, exec_lo, s7
	s_cbranch_vccnz .LBB111_1760
; %bb.1759:
	s_wait_xcnt 0x0
	v_cndmask_b32_e64 v8, 0, 1.0, s1
	v_mov_b32_e32 v9, 0
	global_store_b64 v[6:7], v[8:9], off
.LBB111_1760:
	s_mov_b32 s7, 0
.LBB111_1761:
	s_delay_alu instid0(SALU_CYCLE_1)
	s_and_not1_b32 vcc_lo, exec_lo, s7
	s_cbranch_vccnz .LBB111_1763
; %bb.1762:
	s_wait_xcnt 0x0
	v_cndmask_b32_e64 v1, 0, 1.0, s1
	s_delay_alu instid0(VALU_DEP_1) | instskip(NEXT) | instid1(VALU_DEP_1)
	v_cvt_f16_f32_e32 v1, v1
	v_and_b32_e32 v1, 0xffff, v1
	global_store_b32 v[6:7], v1, off
.LBB111_1763:
	s_mov_b32 s7, 0
.LBB111_1764:
	s_delay_alu instid0(SALU_CYCLE_1)
	s_and_not1_b32 vcc_lo, exec_lo, s7
	s_cbranch_vccnz .LBB111_1773
; %bb.1765:
	s_cmp_lt_i32 s2, 6
	s_mov_b32 s7, -1
	s_cbranch_scc1 .LBB111_1771
; %bb.1766:
	s_cmp_gt_i32 s2, 6
	s_cbranch_scc0 .LBB111_1768
; %bb.1767:
	s_wait_xcnt 0x0
	v_cndmask_b32_e64 v1, 0, 1, s1
	s_mov_b32 s7, 0
	s_delay_alu instid0(VALU_DEP_1)
	v_cvt_f64_u32_e32 v[8:9], v1
	global_store_b64 v[6:7], v[8:9], off
.LBB111_1768:
	s_and_not1_b32 vcc_lo, exec_lo, s7
	s_cbranch_vccnz .LBB111_1770
; %bb.1769:
	s_wait_xcnt 0x0
	v_cndmask_b32_e64 v1, 0, 1.0, s1
	global_store_b32 v[6:7], v1, off
.LBB111_1770:
	s_mov_b32 s7, 0
.LBB111_1771:
	s_delay_alu instid0(SALU_CYCLE_1)
	s_and_not1_b32 vcc_lo, exec_lo, s7
	s_cbranch_vccnz .LBB111_1773
; %bb.1772:
	s_wait_xcnt 0x0
	v_cndmask_b32_e64 v1, 0, 1.0, s1
	s_delay_alu instid0(VALU_DEP_1)
	v_cvt_f16_f32_e32 v1, v1
	global_store_b16 v[6:7], v1, off
.LBB111_1773:
	s_mov_b32 s7, 0
.LBB111_1774:
	s_delay_alu instid0(SALU_CYCLE_1)
	s_and_not1_b32 vcc_lo, exec_lo, s7
	s_cbranch_vccnz .LBB111_1790
; %bb.1775:
	s_cmp_lt_i32 s2, 2
	s_mov_b32 s7, -1
	s_cbranch_scc1 .LBB111_1785
; %bb.1776:
	s_cmp_lt_i32 s2, 3
	s_cbranch_scc1 .LBB111_1782
; %bb.1777:
	s_cmp_gt_i32 s2, 3
	s_cbranch_scc0 .LBB111_1779
; %bb.1778:
	s_mov_b32 s7, 0
	s_wait_xcnt 0x0
	v_cndmask_b32_e64 v8, 0, 1, s1
	v_mov_b32_e32 v9, s7
	global_store_b64 v[6:7], v[8:9], off
.LBB111_1779:
	s_and_not1_b32 vcc_lo, exec_lo, s7
	s_cbranch_vccnz .LBB111_1781
; %bb.1780:
	s_wait_xcnt 0x0
	v_cndmask_b32_e64 v1, 0, 1, s1
	global_store_b32 v[6:7], v1, off
.LBB111_1781:
	s_mov_b32 s7, 0
.LBB111_1782:
	s_delay_alu instid0(SALU_CYCLE_1)
	s_and_not1_b32 vcc_lo, exec_lo, s7
	s_cbranch_vccnz .LBB111_1784
; %bb.1783:
	s_wait_xcnt 0x0
	v_cndmask_b32_e64 v1, 0, 1, s1
	global_store_b16 v[6:7], v1, off
.LBB111_1784:
	s_mov_b32 s7, 0
.LBB111_1785:
	s_delay_alu instid0(SALU_CYCLE_1)
	s_and_not1_b32 vcc_lo, exec_lo, s7
	s_cbranch_vccnz .LBB111_1790
; %bb.1786:
	s_wait_xcnt 0x0
	v_cndmask_b32_e64 v1, 0, 1, s1
	s_cmp_gt_i32 s2, 0
	s_mov_b32 s1, -1
	s_cbranch_scc0 .LBB111_1788
; %bb.1787:
	s_mov_b32 s1, 0
	global_store_b8 v[6:7], v1, off
.LBB111_1788:
	s_and_not1_b32 vcc_lo, exec_lo, s1
	s_cbranch_vccnz .LBB111_1790
; %bb.1789:
	global_store_b8 v[6:7], v1, off
.LBB111_1790:
.LBB111_1791:
	v_cmp_eq_f32_e32 vcc_lo, s9, v3
	s_and_b32 s7, 0xffff, s6
	s_wait_xcnt 0x0
	v_mov_b32_e32 v5, 0
	s_cmp_lt_i32 s7, 11
	v_cndmask_b32_e64 v1, 0, 1, vcc_lo
	v_cmp_neq_f32_e32 vcc_lo, s9, v3
	s_delay_alu instid0(VALU_DEP_3) | instskip(SKIP_1) | instid1(VALU_DEP_1)
	v_add_nc_u64_e32 v[4:5], s[4:5], v[4:5]
	v_cndmask_b32_e64 v3, 0, 1, vcc_lo
	v_cndmask_b32_e64 v1, v3, v1, s0
	s_delay_alu instid0(VALU_DEP_1) | instskip(NEXT) | instid1(VALU_DEP_1)
	v_and_b32_e32 v1, 1, v1
	v_cmp_eq_u32_e64 s1, 1, v1
	s_cbranch_scc1 .LBB111_1869
; %bb.1792:
	s_mov_b32 s13, -1
	s_mov_b32 s8, 0
	s_cmp_gt_i32 s7, 25
	s_mov_b32 s10, 0
	s_mov_b32 s2, 0
	s_cbranch_scc0 .LBB111_1825
; %bb.1793:
	s_cmp_gt_i32 s7, 28
	s_cbranch_scc0 .LBB111_1808
; %bb.1794:
	s_cmp_gt_i32 s7, 43
	;; [unrolled: 3-line block ×3, first 2 shown]
	s_cbranch_scc0 .LBB111_1798
; %bb.1796:
	s_mov_b32 s2, -1
	s_mov_b32 s13, 0
	s_cmp_eq_u32 s7, 46
	s_cbranch_scc0 .LBB111_1798
; %bb.1797:
	v_cndmask_b32_e64 v1, 0, 1.0, s1
	s_mov_b32 s2, 0
	s_mov_b32 s10, -1
	s_delay_alu instid0(VALU_DEP_1) | instskip(NEXT) | instid1(VALU_DEP_1)
	v_bfe_u32 v3, v1, 16, 1
	v_add3_u32 v1, v1, v3, 0x7fff
	s_delay_alu instid0(VALU_DEP_1)
	v_lshrrev_b32_e32 v1, 16, v1
	global_store_b32 v[4:5], v1, off
.LBB111_1798:
	s_and_b32 vcc_lo, exec_lo, s13
	s_cbranch_vccz .LBB111_1803
; %bb.1799:
	s_cmp_eq_u32 s7, 44
	s_mov_b32 s2, -1
	s_cbranch_scc0 .LBB111_1803
; %bb.1800:
	v_cndmask_b32_e64 v6, 0, 1.0, s1
	v_mov_b32_e32 v3, 0xff
	s_mov_b32 s10, exec_lo
	s_wait_xcnt 0x0
	s_delay_alu instid0(VALU_DEP_2) | instskip(NEXT) | instid1(VALU_DEP_1)
	v_lshrrev_b32_e32 v1, 23, v6
	v_cmpx_ne_u32_e32 0xff, v1
; %bb.1801:
	v_and_b32_e32 v3, 0x400000, v6
	v_and_or_b32 v6, 0x3fffff, v6, v1
	s_delay_alu instid0(VALU_DEP_2) | instskip(NEXT) | instid1(VALU_DEP_2)
	v_cmp_ne_u32_e32 vcc_lo, 0, v3
	v_cmp_ne_u32_e64 s2, 0, v6
	s_and_b32 s2, vcc_lo, s2
	s_delay_alu instid0(SALU_CYCLE_1) | instskip(NEXT) | instid1(VALU_DEP_1)
	v_cndmask_b32_e64 v3, 0, 1, s2
	v_add_nc_u32_e32 v3, v1, v3
; %bb.1802:
	s_or_b32 exec_lo, exec_lo, s10
	s_mov_b32 s2, 0
	s_mov_b32 s10, -1
	global_store_b8 v[4:5], v3, off
.LBB111_1803:
	s_mov_b32 s13, 0
.LBB111_1804:
	s_delay_alu instid0(SALU_CYCLE_1)
	s_and_b32 vcc_lo, exec_lo, s13
	s_cbranch_vccz .LBB111_1807
; %bb.1805:
	s_cmp_eq_u32 s7, 29
	s_mov_b32 s2, -1
	s_cbranch_scc0 .LBB111_1807
; %bb.1806:
	s_mov_b32 s2, 0
	v_cndmask_b32_e64 v6, 0, 1, s1
	v_mov_b32_e32 v7, s2
	s_mov_b32 s10, -1
	global_store_b64 v[4:5], v[6:7], off
.LBB111_1807:
	s_mov_b32 s13, 0
.LBB111_1808:
	s_delay_alu instid0(SALU_CYCLE_1)
	s_and_b32 vcc_lo, exec_lo, s13
	s_cbranch_vccz .LBB111_1824
; %bb.1809:
	s_cmp_lt_i32 s7, 27
	s_mov_b32 s10, -1
	s_cbranch_scc1 .LBB111_1815
; %bb.1810:
	s_cmp_gt_i32 s7, 27
	s_cbranch_scc0 .LBB111_1812
; %bb.1811:
	s_wait_xcnt 0x0
	v_cndmask_b32_e64 v1, 0, 1, s1
	s_mov_b32 s10, 0
	global_store_b32 v[4:5], v1, off
.LBB111_1812:
	s_and_not1_b32 vcc_lo, exec_lo, s10
	s_cbranch_vccnz .LBB111_1814
; %bb.1813:
	s_wait_xcnt 0x0
	v_cndmask_b32_e64 v1, 0, 1, s1
	global_store_b16 v[4:5], v1, off
.LBB111_1814:
	s_mov_b32 s10, 0
.LBB111_1815:
	s_delay_alu instid0(SALU_CYCLE_1)
	s_and_not1_b32 vcc_lo, exec_lo, s10
	s_cbranch_vccnz .LBB111_1823
; %bb.1816:
	s_wait_xcnt 0x0
	v_cndmask_b32_e64 v3, 0, 1.0, s1
	v_mov_b32_e32 v6, 0x80
	s_mov_b32 s10, exec_lo
	s_delay_alu instid0(VALU_DEP_2)
	v_cmpx_gt_u32_e32 0x43800000, v3
	s_cbranch_execz .LBB111_1822
; %bb.1817:
	s_mov_b32 s13, 0
	s_mov_b32 s14, exec_lo
                                        ; implicit-def: $vgpr1
	v_cmpx_lt_u32_e32 0x3bffffff, v3
	s_xor_b32 s14, exec_lo, s14
	s_cbranch_execz .LBB111_2157
; %bb.1818:
	v_bfe_u32 v1, v3, 20, 1
	s_mov_b32 s13, exec_lo
	s_delay_alu instid0(VALU_DEP_1) | instskip(NEXT) | instid1(VALU_DEP_1)
	v_add3_u32 v1, v3, v1, 0x487ffff
                                        ; implicit-def: $vgpr3
	v_lshrrev_b32_e32 v1, 20, v1
	s_and_not1_saveexec_b32 s14, s14
	s_cbranch_execnz .LBB111_2158
.LBB111_1819:
	s_or_b32 exec_lo, exec_lo, s14
	v_mov_b32_e32 v6, 0
	s_and_saveexec_b32 s14, s13
.LBB111_1820:
	v_mov_b32_e32 v6, v1
.LBB111_1821:
	s_or_b32 exec_lo, exec_lo, s14
.LBB111_1822:
	s_delay_alu instid0(SALU_CYCLE_1)
	s_or_b32 exec_lo, exec_lo, s10
	global_store_b8 v[4:5], v6, off
.LBB111_1823:
	s_mov_b32 s10, -1
.LBB111_1824:
	s_mov_b32 s13, 0
.LBB111_1825:
	s_delay_alu instid0(SALU_CYCLE_1)
	s_and_b32 vcc_lo, exec_lo, s13
	s_cbranch_vccz .LBB111_1865
; %bb.1826:
	s_cmp_gt_i32 s7, 22
	s_mov_b32 s8, -1
	s_cbranch_scc0 .LBB111_1858
; %bb.1827:
	s_cmp_lt_i32 s7, 24
	s_cbranch_scc1 .LBB111_1847
; %bb.1828:
	s_cmp_gt_i32 s7, 24
	s_cbranch_scc0 .LBB111_1836
; %bb.1829:
	s_wait_xcnt 0x0
	v_cndmask_b32_e64 v3, 0, 1.0, s1
	v_mov_b32_e32 v6, 0x80
	s_mov_b32 s8, exec_lo
	s_delay_alu instid0(VALU_DEP_2)
	v_cmpx_gt_u32_e32 0x47800000, v3
	s_cbranch_execz .LBB111_1835
; %bb.1830:
	s_mov_b32 s10, 0
	s_mov_b32 s13, exec_lo
                                        ; implicit-def: $vgpr1
	v_cmpx_lt_u32_e32 0x37ffffff, v3
	s_xor_b32 s13, exec_lo, s13
	s_cbranch_execz .LBB111_2160
; %bb.1831:
	v_bfe_u32 v1, v3, 21, 1
	s_mov_b32 s10, exec_lo
	s_delay_alu instid0(VALU_DEP_1) | instskip(NEXT) | instid1(VALU_DEP_1)
	v_add3_u32 v1, v3, v1, 0x88fffff
                                        ; implicit-def: $vgpr3
	v_lshrrev_b32_e32 v1, 21, v1
	s_and_not1_saveexec_b32 s13, s13
	s_cbranch_execnz .LBB111_2161
.LBB111_1832:
	s_or_b32 exec_lo, exec_lo, s13
	v_mov_b32_e32 v6, 0
	s_and_saveexec_b32 s13, s10
.LBB111_1833:
	v_mov_b32_e32 v6, v1
.LBB111_1834:
	s_or_b32 exec_lo, exec_lo, s13
.LBB111_1835:
	s_delay_alu instid0(SALU_CYCLE_1)
	s_or_b32 exec_lo, exec_lo, s8
	s_mov_b32 s8, 0
	global_store_b8 v[4:5], v6, off
.LBB111_1836:
	s_and_b32 vcc_lo, exec_lo, s8
	s_cbranch_vccz .LBB111_1846
; %bb.1837:
	s_wait_xcnt 0x0
	v_cndmask_b32_e64 v3, 0, 1.0, s1
	s_mov_b32 s8, exec_lo
                                        ; implicit-def: $vgpr1
	s_delay_alu instid0(VALU_DEP_1)
	v_cmpx_gt_u32_e32 0x43f00000, v3
	s_xor_b32 s8, exec_lo, s8
	s_cbranch_execz .LBB111_1843
; %bb.1838:
	s_mov_b32 s10, exec_lo
                                        ; implicit-def: $vgpr1
	v_cmpx_lt_u32_e32 0x3c7fffff, v3
	s_xor_b32 s10, exec_lo, s10
; %bb.1839:
	v_bfe_u32 v1, v3, 20, 1
	s_delay_alu instid0(VALU_DEP_1) | instskip(NEXT) | instid1(VALU_DEP_1)
	v_add3_u32 v1, v3, v1, 0x407ffff
	v_and_b32_e32 v3, 0xff00000, v1
	v_lshrrev_b32_e32 v1, 20, v1
	s_delay_alu instid0(VALU_DEP_2) | instskip(NEXT) | instid1(VALU_DEP_2)
	v_cmp_ne_u32_e32 vcc_lo, 0x7f00000, v3
                                        ; implicit-def: $vgpr3
	v_cndmask_b32_e32 v1, 0x7e, v1, vcc_lo
; %bb.1840:
	s_and_not1_saveexec_b32 s10, s10
; %bb.1841:
	v_add_f32_e32 v1, 0x46800000, v3
; %bb.1842:
	s_or_b32 exec_lo, exec_lo, s10
                                        ; implicit-def: $vgpr3
.LBB111_1843:
	s_and_not1_saveexec_b32 s8, s8
; %bb.1844:
	v_mov_b32_e32 v1, 0x7f
	v_cmp_lt_u32_e32 vcc_lo, 0x7f800000, v3
	s_delay_alu instid0(VALU_DEP_2)
	v_cndmask_b32_e32 v1, 0x7e, v1, vcc_lo
; %bb.1845:
	s_or_b32 exec_lo, exec_lo, s8
	global_store_b8 v[4:5], v1, off
.LBB111_1846:
	s_mov_b32 s8, 0
.LBB111_1847:
	s_delay_alu instid0(SALU_CYCLE_1)
	s_and_not1_b32 vcc_lo, exec_lo, s8
	s_cbranch_vccnz .LBB111_1857
; %bb.1848:
	s_wait_xcnt 0x0
	v_cndmask_b32_e64 v3, 0, 1.0, s1
	s_mov_b32 s8, exec_lo
                                        ; implicit-def: $vgpr1
	s_delay_alu instid0(VALU_DEP_1)
	v_cmpx_gt_u32_e32 0x47800000, v3
	s_xor_b32 s8, exec_lo, s8
	s_cbranch_execz .LBB111_1854
; %bb.1849:
	s_mov_b32 s10, exec_lo
                                        ; implicit-def: $vgpr1
	v_cmpx_lt_u32_e32 0x387fffff, v3
	s_xor_b32 s10, exec_lo, s10
; %bb.1850:
	v_bfe_u32 v1, v3, 21, 1
	s_delay_alu instid0(VALU_DEP_1) | instskip(NEXT) | instid1(VALU_DEP_1)
	v_add3_u32 v1, v3, v1, 0x80fffff
                                        ; implicit-def: $vgpr3
	v_lshrrev_b32_e32 v1, 21, v1
; %bb.1851:
	s_and_not1_saveexec_b32 s10, s10
; %bb.1852:
	v_add_f32_e32 v1, 0x43000000, v3
; %bb.1853:
	s_or_b32 exec_lo, exec_lo, s10
                                        ; implicit-def: $vgpr3
.LBB111_1854:
	s_and_not1_saveexec_b32 s8, s8
; %bb.1855:
	v_mov_b32_e32 v1, 0x7f
	v_cmp_lt_u32_e32 vcc_lo, 0x7f800000, v3
	s_delay_alu instid0(VALU_DEP_2)
	v_cndmask_b32_e32 v1, 0x7c, v1, vcc_lo
; %bb.1856:
	s_or_b32 exec_lo, exec_lo, s8
	global_store_b8 v[4:5], v1, off
.LBB111_1857:
	s_mov_b32 s8, 0
	s_mov_b32 s10, -1
.LBB111_1858:
	s_and_not1_b32 vcc_lo, exec_lo, s8
	s_mov_b32 s8, 0
	s_cbranch_vccnz .LBB111_1865
; %bb.1859:
	s_cmp_gt_i32 s7, 14
	s_mov_b32 s8, -1
	s_cbranch_scc0 .LBB111_1863
; %bb.1860:
	s_cmp_eq_u32 s7, 15
	s_mov_b32 s2, -1
	s_cbranch_scc0 .LBB111_1862
; %bb.1861:
	s_wait_xcnt 0x0
	v_cndmask_b32_e64 v1, 0, 1.0, s1
	s_mov_b32 s2, 0
	s_mov_b32 s10, -1
	s_delay_alu instid0(VALU_DEP_1) | instskip(NEXT) | instid1(VALU_DEP_1)
	v_bfe_u32 v3, v1, 16, 1
	v_add3_u32 v1, v1, v3, 0x7fff
	global_store_d16_hi_b16 v[4:5], v1, off
.LBB111_1862:
	s_mov_b32 s8, 0
.LBB111_1863:
	s_delay_alu instid0(SALU_CYCLE_1)
	s_and_b32 vcc_lo, exec_lo, s8
	s_mov_b32 s8, 0
	s_cbranch_vccz .LBB111_1865
; %bb.1864:
	s_cmp_lg_u32 s7, 11
	s_mov_b32 s8, -1
	s_cselect_b32 s2, -1, 0
.LBB111_1865:
	s_delay_alu instid0(SALU_CYCLE_1)
	s_and_b32 vcc_lo, exec_lo, s2
	s_cbranch_vccnz .LBB111_2159
; %bb.1866:
	s_and_not1_b32 vcc_lo, exec_lo, s8
	s_cbranch_vccnz .LBB111_1868
.LBB111_1867:
	s_wait_xcnt 0x0
	v_cndmask_b32_e64 v1, 0, 1, s1
	s_mov_b32 s10, -1
	global_store_b8 v[4:5], v1, off
.LBB111_1868:
	s_mov_b32 s2, 0
	s_branch .LBB111_1870
.LBB111_1869:
	s_mov_b32 s2, -1
	s_mov_b32 s10, 0
.LBB111_1870:
	s_and_b32 vcc_lo, exec_lo, s2
	s_cbranch_vccz .LBB111_1909
; %bb.1871:
	s_cmp_lt_i32 s7, 5
	s_mov_b32 s2, -1
	s_cbranch_scc1 .LBB111_1892
; %bb.1872:
	s_cmp_lt_i32 s7, 8
	s_cbranch_scc1 .LBB111_1882
; %bb.1873:
	s_cmp_lt_i32 s7, 9
	s_cbranch_scc1 .LBB111_1879
; %bb.1874:
	s_cmp_gt_i32 s7, 9
	s_cbranch_scc0 .LBB111_1876
; %bb.1875:
	s_wait_xcnt 0x0
	v_cndmask_b32_e64 v1, 0, 1, s1
	v_mov_b32_e32 v8, 0
	s_mov_b32 s2, 0
	s_delay_alu instid0(VALU_DEP_2) | instskip(NEXT) | instid1(VALU_DEP_2)
	v_cvt_f64_u32_e32 v[6:7], v1
	v_mov_b32_e32 v9, v8
	global_store_b128 v[4:5], v[6:9], off
.LBB111_1876:
	s_and_not1_b32 vcc_lo, exec_lo, s2
	s_cbranch_vccnz .LBB111_1878
; %bb.1877:
	s_wait_xcnt 0x0
	v_cndmask_b32_e64 v6, 0, 1.0, s1
	v_mov_b32_e32 v7, 0
	global_store_b64 v[4:5], v[6:7], off
.LBB111_1878:
	s_mov_b32 s2, 0
.LBB111_1879:
	s_delay_alu instid0(SALU_CYCLE_1)
	s_and_not1_b32 vcc_lo, exec_lo, s2
	s_cbranch_vccnz .LBB111_1881
; %bb.1880:
	s_wait_xcnt 0x0
	v_cndmask_b32_e64 v1, 0, 1.0, s1
	s_delay_alu instid0(VALU_DEP_1) | instskip(NEXT) | instid1(VALU_DEP_1)
	v_cvt_f16_f32_e32 v1, v1
	v_and_b32_e32 v1, 0xffff, v1
	global_store_b32 v[4:5], v1, off
.LBB111_1881:
	s_mov_b32 s2, 0
.LBB111_1882:
	s_delay_alu instid0(SALU_CYCLE_1)
	s_and_not1_b32 vcc_lo, exec_lo, s2
	s_cbranch_vccnz .LBB111_1891
; %bb.1883:
	s_cmp_lt_i32 s7, 6
	s_mov_b32 s2, -1
	s_cbranch_scc1 .LBB111_1889
; %bb.1884:
	s_cmp_gt_i32 s7, 6
	s_cbranch_scc0 .LBB111_1886
; %bb.1885:
	s_wait_xcnt 0x0
	v_cndmask_b32_e64 v1, 0, 1, s1
	s_mov_b32 s2, 0
	s_delay_alu instid0(VALU_DEP_1)
	v_cvt_f64_u32_e32 v[6:7], v1
	global_store_b64 v[4:5], v[6:7], off
.LBB111_1886:
	s_and_not1_b32 vcc_lo, exec_lo, s2
	s_cbranch_vccnz .LBB111_1888
; %bb.1887:
	s_wait_xcnt 0x0
	v_cndmask_b32_e64 v1, 0, 1.0, s1
	global_store_b32 v[4:5], v1, off
.LBB111_1888:
	s_mov_b32 s2, 0
.LBB111_1889:
	s_delay_alu instid0(SALU_CYCLE_1)
	s_and_not1_b32 vcc_lo, exec_lo, s2
	s_cbranch_vccnz .LBB111_1891
; %bb.1890:
	s_wait_xcnt 0x0
	v_cndmask_b32_e64 v1, 0, 1.0, s1
	s_delay_alu instid0(VALU_DEP_1)
	v_cvt_f16_f32_e32 v1, v1
	global_store_b16 v[4:5], v1, off
.LBB111_1891:
	s_mov_b32 s2, 0
.LBB111_1892:
	s_delay_alu instid0(SALU_CYCLE_1)
	s_and_not1_b32 vcc_lo, exec_lo, s2
	s_cbranch_vccnz .LBB111_1908
; %bb.1893:
	s_cmp_lt_i32 s7, 2
	s_mov_b32 s2, -1
	s_cbranch_scc1 .LBB111_1903
; %bb.1894:
	s_cmp_lt_i32 s7, 3
	s_cbranch_scc1 .LBB111_1900
; %bb.1895:
	s_cmp_gt_i32 s7, 3
	s_cbranch_scc0 .LBB111_1897
; %bb.1896:
	s_mov_b32 s2, 0
	s_wait_xcnt 0x0
	v_cndmask_b32_e64 v6, 0, 1, s1
	v_mov_b32_e32 v7, s2
	global_store_b64 v[4:5], v[6:7], off
.LBB111_1897:
	s_and_not1_b32 vcc_lo, exec_lo, s2
	s_cbranch_vccnz .LBB111_1899
; %bb.1898:
	s_wait_xcnt 0x0
	v_cndmask_b32_e64 v1, 0, 1, s1
	global_store_b32 v[4:5], v1, off
.LBB111_1899:
	s_mov_b32 s2, 0
.LBB111_1900:
	s_delay_alu instid0(SALU_CYCLE_1)
	s_and_not1_b32 vcc_lo, exec_lo, s2
	s_cbranch_vccnz .LBB111_1902
; %bb.1901:
	s_wait_xcnt 0x0
	v_cndmask_b32_e64 v1, 0, 1, s1
	global_store_b16 v[4:5], v1, off
.LBB111_1902:
	s_mov_b32 s2, 0
.LBB111_1903:
	s_delay_alu instid0(SALU_CYCLE_1)
	s_and_not1_b32 vcc_lo, exec_lo, s2
	s_cbranch_vccnz .LBB111_1908
; %bb.1904:
	s_wait_xcnt 0x0
	v_cndmask_b32_e64 v1, 0, 1, s1
	s_cmp_gt_i32 s7, 0
	s_mov_b32 s1, -1
	s_cbranch_scc0 .LBB111_1906
; %bb.1905:
	s_mov_b32 s1, 0
	global_store_b8 v[4:5], v1, off
.LBB111_1906:
	s_and_not1_b32 vcc_lo, exec_lo, s1
	s_cbranch_vccnz .LBB111_1908
; %bb.1907:
	global_store_b8 v[4:5], v1, off
.LBB111_1908:
	s_mov_b32 s10, -1
.LBB111_1909:
	s_delay_alu instid0(SALU_CYCLE_1)
	s_and_not1_b32 vcc_lo, exec_lo, s10
	s_cbranch_vccnz .LBB111_2105
; %bb.1910:
	v_cmp_eq_f32_e32 vcc_lo, s9, v12
	s_cmp_lt_i32 s7, 11
	s_wait_xcnt 0x0
	v_cndmask_b32_e64 v1, 0, 1, vcc_lo
	v_cmp_neq_f32_e32 vcc_lo, s9, v12
	v_cndmask_b32_e64 v3, 0, 1, vcc_lo
	s_delay_alu instid0(VALU_DEP_1) | instskip(NEXT) | instid1(VALU_DEP_1)
	v_dual_cndmask_b32 v1, v3, v1, s0 :: v_dual_mov_b32 v3, 0
	v_and_b32_e32 v1, 1, v1
	s_delay_alu instid0(VALU_DEP_2) | instskip(NEXT) | instid1(VALU_DEP_2)
	v_add_nc_u64_e32 v[2:3], s[4:5], v[2:3]
	v_cmp_eq_u32_e64 s1, 1, v1
	s_cbranch_scc1 .LBB111_1988
; %bb.1911:
	s_mov_b32 s13, -1
	s_mov_b32 s8, 0
	s_cmp_gt_i32 s7, 25
	s_mov_b32 s10, 0
	s_mov_b32 s2, 0
	s_cbranch_scc0 .LBB111_1944
; %bb.1912:
	s_cmp_gt_i32 s7, 28
	s_cbranch_scc0 .LBB111_1927
; %bb.1913:
	s_cmp_gt_i32 s7, 43
	;; [unrolled: 3-line block ×3, first 2 shown]
	s_cbranch_scc0 .LBB111_1917
; %bb.1915:
	s_mov_b32 s2, -1
	s_mov_b32 s13, 0
	s_cmp_eq_u32 s7, 46
	s_cbranch_scc0 .LBB111_1917
; %bb.1916:
	v_cndmask_b32_e64 v1, 0, 1.0, s1
	s_mov_b32 s2, 0
	s_mov_b32 s10, -1
	s_delay_alu instid0(VALU_DEP_1) | instskip(NEXT) | instid1(VALU_DEP_1)
	v_bfe_u32 v4, v1, 16, 1
	v_add3_u32 v1, v1, v4, 0x7fff
	s_delay_alu instid0(VALU_DEP_1)
	v_lshrrev_b32_e32 v1, 16, v1
	global_store_b32 v[2:3], v1, off
.LBB111_1917:
	s_and_b32 vcc_lo, exec_lo, s13
	s_cbranch_vccz .LBB111_1922
; %bb.1918:
	s_cmp_eq_u32 s7, 44
	s_mov_b32 s2, -1
	s_cbranch_scc0 .LBB111_1922
; %bb.1919:
	v_cndmask_b32_e64 v5, 0, 1.0, s1
	s_mov_b32 s10, exec_lo
	s_wait_xcnt 0x0
	s_delay_alu instid0(VALU_DEP_1) | instskip(NEXT) | instid1(VALU_DEP_1)
	v_dual_mov_b32 v4, 0xff :: v_dual_lshrrev_b32 v1, 23, v5
	v_cmpx_ne_u32_e32 0xff, v1
; %bb.1920:
	v_and_b32_e32 v4, 0x400000, v5
	v_and_or_b32 v5, 0x3fffff, v5, v1
	s_delay_alu instid0(VALU_DEP_2) | instskip(NEXT) | instid1(VALU_DEP_2)
	v_cmp_ne_u32_e32 vcc_lo, 0, v4
	v_cmp_ne_u32_e64 s2, 0, v5
	s_and_b32 s2, vcc_lo, s2
	s_delay_alu instid0(SALU_CYCLE_1) | instskip(NEXT) | instid1(VALU_DEP_1)
	v_cndmask_b32_e64 v4, 0, 1, s2
	v_add_nc_u32_e32 v4, v1, v4
; %bb.1921:
	s_or_b32 exec_lo, exec_lo, s10
	s_mov_b32 s2, 0
	s_mov_b32 s10, -1
	global_store_b8 v[2:3], v4, off
.LBB111_1922:
	s_mov_b32 s13, 0
.LBB111_1923:
	s_delay_alu instid0(SALU_CYCLE_1)
	s_and_b32 vcc_lo, exec_lo, s13
	s_cbranch_vccz .LBB111_1926
; %bb.1924:
	s_cmp_eq_u32 s7, 29
	s_mov_b32 s2, -1
	s_cbranch_scc0 .LBB111_1926
; %bb.1925:
	s_mov_b32 s2, 0
	s_wait_xcnt 0x0
	v_cndmask_b32_e64 v4, 0, 1, s1
	v_mov_b32_e32 v5, s2
	s_mov_b32 s10, -1
	global_store_b64 v[2:3], v[4:5], off
.LBB111_1926:
	s_mov_b32 s13, 0
.LBB111_1927:
	s_delay_alu instid0(SALU_CYCLE_1)
	s_and_b32 vcc_lo, exec_lo, s13
	s_cbranch_vccz .LBB111_1943
; %bb.1928:
	s_cmp_lt_i32 s7, 27
	s_mov_b32 s10, -1
	s_cbranch_scc1 .LBB111_1934
; %bb.1929:
	s_cmp_gt_i32 s7, 27
	s_cbranch_scc0 .LBB111_1931
; %bb.1930:
	s_wait_xcnt 0x0
	v_cndmask_b32_e64 v1, 0, 1, s1
	s_mov_b32 s10, 0
	global_store_b32 v[2:3], v1, off
.LBB111_1931:
	s_and_not1_b32 vcc_lo, exec_lo, s10
	s_cbranch_vccnz .LBB111_1933
; %bb.1932:
	s_wait_xcnt 0x0
	v_cndmask_b32_e64 v1, 0, 1, s1
	global_store_b16 v[2:3], v1, off
.LBB111_1933:
	s_mov_b32 s10, 0
.LBB111_1934:
	s_delay_alu instid0(SALU_CYCLE_1)
	s_and_not1_b32 vcc_lo, exec_lo, s10
	s_cbranch_vccnz .LBB111_1942
; %bb.1935:
	s_wait_xcnt 0x0
	v_cndmask_b32_e64 v4, 0, 1.0, s1
	v_mov_b32_e32 v5, 0x80
	s_mov_b32 s10, exec_lo
	s_delay_alu instid0(VALU_DEP_2)
	v_cmpx_gt_u32_e32 0x43800000, v4
	s_cbranch_execz .LBB111_1941
; %bb.1936:
	s_mov_b32 s13, 0
	s_mov_b32 s14, exec_lo
                                        ; implicit-def: $vgpr1
	v_cmpx_lt_u32_e32 0x3bffffff, v4
	s_xor_b32 s14, exec_lo, s14
	s_cbranch_execz .LBB111_2162
; %bb.1937:
	v_bfe_u32 v1, v4, 20, 1
	s_mov_b32 s13, exec_lo
	s_delay_alu instid0(VALU_DEP_1) | instskip(NEXT) | instid1(VALU_DEP_1)
	v_add3_u32 v1, v4, v1, 0x487ffff
                                        ; implicit-def: $vgpr4
	v_lshrrev_b32_e32 v1, 20, v1
	s_and_not1_saveexec_b32 s14, s14
	s_cbranch_execnz .LBB111_2163
.LBB111_1938:
	s_or_b32 exec_lo, exec_lo, s14
	v_mov_b32_e32 v5, 0
	s_and_saveexec_b32 s14, s13
.LBB111_1939:
	v_mov_b32_e32 v5, v1
.LBB111_1940:
	s_or_b32 exec_lo, exec_lo, s14
.LBB111_1941:
	s_delay_alu instid0(SALU_CYCLE_1)
	s_or_b32 exec_lo, exec_lo, s10
	global_store_b8 v[2:3], v5, off
.LBB111_1942:
	s_mov_b32 s10, -1
.LBB111_1943:
	s_mov_b32 s13, 0
.LBB111_1944:
	s_delay_alu instid0(SALU_CYCLE_1)
	s_and_b32 vcc_lo, exec_lo, s13
	s_cbranch_vccz .LBB111_1984
; %bb.1945:
	s_cmp_gt_i32 s7, 22
	s_mov_b32 s8, -1
	s_cbranch_scc0 .LBB111_1977
; %bb.1946:
	s_cmp_lt_i32 s7, 24
	s_cbranch_scc1 .LBB111_1966
; %bb.1947:
	s_cmp_gt_i32 s7, 24
	s_cbranch_scc0 .LBB111_1955
; %bb.1948:
	s_wait_xcnt 0x0
	v_cndmask_b32_e64 v4, 0, 1.0, s1
	v_mov_b32_e32 v5, 0x80
	s_mov_b32 s8, exec_lo
	s_delay_alu instid0(VALU_DEP_2)
	v_cmpx_gt_u32_e32 0x47800000, v4
	s_cbranch_execz .LBB111_1954
; %bb.1949:
	s_mov_b32 s10, 0
	s_mov_b32 s13, exec_lo
                                        ; implicit-def: $vgpr1
	v_cmpx_lt_u32_e32 0x37ffffff, v4
	s_xor_b32 s13, exec_lo, s13
	s_cbranch_execz .LBB111_2165
; %bb.1950:
	v_bfe_u32 v1, v4, 21, 1
	s_mov_b32 s10, exec_lo
	s_delay_alu instid0(VALU_DEP_1) | instskip(NEXT) | instid1(VALU_DEP_1)
	v_add3_u32 v1, v4, v1, 0x88fffff
                                        ; implicit-def: $vgpr4
	v_lshrrev_b32_e32 v1, 21, v1
	s_and_not1_saveexec_b32 s13, s13
	s_cbranch_execnz .LBB111_2166
.LBB111_1951:
	s_or_b32 exec_lo, exec_lo, s13
	v_mov_b32_e32 v5, 0
	s_and_saveexec_b32 s13, s10
.LBB111_1952:
	v_mov_b32_e32 v5, v1
.LBB111_1953:
	s_or_b32 exec_lo, exec_lo, s13
.LBB111_1954:
	s_delay_alu instid0(SALU_CYCLE_1)
	s_or_b32 exec_lo, exec_lo, s8
	s_mov_b32 s8, 0
	global_store_b8 v[2:3], v5, off
.LBB111_1955:
	s_and_b32 vcc_lo, exec_lo, s8
	s_cbranch_vccz .LBB111_1965
; %bb.1956:
	s_wait_xcnt 0x0
	v_cndmask_b32_e64 v4, 0, 1.0, s1
	s_mov_b32 s8, exec_lo
                                        ; implicit-def: $vgpr1
	s_delay_alu instid0(VALU_DEP_1)
	v_cmpx_gt_u32_e32 0x43f00000, v4
	s_xor_b32 s8, exec_lo, s8
	s_cbranch_execz .LBB111_1962
; %bb.1957:
	s_mov_b32 s10, exec_lo
                                        ; implicit-def: $vgpr1
	v_cmpx_lt_u32_e32 0x3c7fffff, v4
	s_xor_b32 s10, exec_lo, s10
; %bb.1958:
	v_bfe_u32 v1, v4, 20, 1
	s_delay_alu instid0(VALU_DEP_1) | instskip(NEXT) | instid1(VALU_DEP_1)
	v_add3_u32 v1, v4, v1, 0x407ffff
	v_and_b32_e32 v4, 0xff00000, v1
	v_lshrrev_b32_e32 v1, 20, v1
	s_delay_alu instid0(VALU_DEP_2) | instskip(NEXT) | instid1(VALU_DEP_2)
	v_cmp_ne_u32_e32 vcc_lo, 0x7f00000, v4
                                        ; implicit-def: $vgpr4
	v_cndmask_b32_e32 v1, 0x7e, v1, vcc_lo
; %bb.1959:
	s_and_not1_saveexec_b32 s10, s10
; %bb.1960:
	v_add_f32_e32 v1, 0x46800000, v4
; %bb.1961:
	s_or_b32 exec_lo, exec_lo, s10
                                        ; implicit-def: $vgpr4
.LBB111_1962:
	s_and_not1_saveexec_b32 s8, s8
; %bb.1963:
	v_mov_b32_e32 v1, 0x7f
	v_cmp_lt_u32_e32 vcc_lo, 0x7f800000, v4
	s_delay_alu instid0(VALU_DEP_2)
	v_cndmask_b32_e32 v1, 0x7e, v1, vcc_lo
; %bb.1964:
	s_or_b32 exec_lo, exec_lo, s8
	global_store_b8 v[2:3], v1, off
.LBB111_1965:
	s_mov_b32 s8, 0
.LBB111_1966:
	s_delay_alu instid0(SALU_CYCLE_1)
	s_and_not1_b32 vcc_lo, exec_lo, s8
	s_cbranch_vccnz .LBB111_1976
; %bb.1967:
	s_wait_xcnt 0x0
	v_cndmask_b32_e64 v4, 0, 1.0, s1
	s_mov_b32 s8, exec_lo
                                        ; implicit-def: $vgpr1
	s_delay_alu instid0(VALU_DEP_1)
	v_cmpx_gt_u32_e32 0x47800000, v4
	s_xor_b32 s8, exec_lo, s8
	s_cbranch_execz .LBB111_1973
; %bb.1968:
	s_mov_b32 s10, exec_lo
                                        ; implicit-def: $vgpr1
	v_cmpx_lt_u32_e32 0x387fffff, v4
	s_xor_b32 s10, exec_lo, s10
; %bb.1969:
	v_bfe_u32 v1, v4, 21, 1
	s_delay_alu instid0(VALU_DEP_1) | instskip(NEXT) | instid1(VALU_DEP_1)
	v_add3_u32 v1, v4, v1, 0x80fffff
                                        ; implicit-def: $vgpr4
	v_lshrrev_b32_e32 v1, 21, v1
; %bb.1970:
	s_and_not1_saveexec_b32 s10, s10
; %bb.1971:
	v_add_f32_e32 v1, 0x43000000, v4
; %bb.1972:
	s_or_b32 exec_lo, exec_lo, s10
                                        ; implicit-def: $vgpr4
.LBB111_1973:
	s_and_not1_saveexec_b32 s8, s8
; %bb.1974:
	v_mov_b32_e32 v1, 0x7f
	v_cmp_lt_u32_e32 vcc_lo, 0x7f800000, v4
	s_delay_alu instid0(VALU_DEP_2)
	v_cndmask_b32_e32 v1, 0x7c, v1, vcc_lo
; %bb.1975:
	s_or_b32 exec_lo, exec_lo, s8
	global_store_b8 v[2:3], v1, off
.LBB111_1976:
	s_mov_b32 s8, 0
	s_mov_b32 s10, -1
.LBB111_1977:
	s_and_not1_b32 vcc_lo, exec_lo, s8
	s_mov_b32 s8, 0
	s_cbranch_vccnz .LBB111_1984
; %bb.1978:
	s_cmp_gt_i32 s7, 14
	s_mov_b32 s8, -1
	s_cbranch_scc0 .LBB111_1982
; %bb.1979:
	s_cmp_eq_u32 s7, 15
	s_mov_b32 s2, -1
	s_cbranch_scc0 .LBB111_1981
; %bb.1980:
	s_wait_xcnt 0x0
	v_cndmask_b32_e64 v1, 0, 1.0, s1
	s_mov_b32 s2, 0
	s_mov_b32 s10, -1
	s_delay_alu instid0(VALU_DEP_1) | instskip(NEXT) | instid1(VALU_DEP_1)
	v_bfe_u32 v4, v1, 16, 1
	v_add3_u32 v1, v1, v4, 0x7fff
	global_store_d16_hi_b16 v[2:3], v1, off
.LBB111_1981:
	s_mov_b32 s8, 0
.LBB111_1982:
	s_delay_alu instid0(SALU_CYCLE_1)
	s_and_b32 vcc_lo, exec_lo, s8
	s_mov_b32 s8, 0
	s_cbranch_vccz .LBB111_1984
; %bb.1983:
	s_cmp_lg_u32 s7, 11
	s_mov_b32 s8, -1
	s_cselect_b32 s2, -1, 0
.LBB111_1984:
	s_delay_alu instid0(SALU_CYCLE_1)
	s_and_b32 vcc_lo, exec_lo, s2
	s_cbranch_vccnz .LBB111_2164
; %bb.1985:
	s_and_not1_b32 vcc_lo, exec_lo, s8
	s_cbranch_vccnz .LBB111_1987
.LBB111_1986:
	s_wait_xcnt 0x0
	v_cndmask_b32_e64 v1, 0, 1, s1
	s_mov_b32 s10, -1
	global_store_b8 v[2:3], v1, off
.LBB111_1987:
	s_mov_b32 s2, 0
	s_branch .LBB111_1989
.LBB111_1988:
	s_mov_b32 s2, -1
	s_mov_b32 s10, 0
.LBB111_1989:
	s_and_b32 vcc_lo, exec_lo, s2
	s_cbranch_vccz .LBB111_2028
; %bb.1990:
	s_cmp_lt_i32 s7, 5
	s_mov_b32 s2, -1
	s_cbranch_scc1 .LBB111_2011
; %bb.1991:
	s_cmp_lt_i32 s7, 8
	s_cbranch_scc1 .LBB111_2001
; %bb.1992:
	s_cmp_lt_i32 s7, 9
	s_cbranch_scc1 .LBB111_1998
; %bb.1993:
	s_cmp_gt_i32 s7, 9
	s_cbranch_scc0 .LBB111_1995
; %bb.1994:
	s_wait_xcnt 0x0
	v_cndmask_b32_e64 v1, 0, 1, s1
	v_mov_b32_e32 v6, 0
	s_mov_b32 s2, 0
	s_delay_alu instid0(VALU_DEP_2) | instskip(NEXT) | instid1(VALU_DEP_2)
	v_cvt_f64_u32_e32 v[4:5], v1
	v_mov_b32_e32 v7, v6
	global_store_b128 v[2:3], v[4:7], off
.LBB111_1995:
	s_and_not1_b32 vcc_lo, exec_lo, s2
	s_cbranch_vccnz .LBB111_1997
; %bb.1996:
	s_wait_xcnt 0x0
	v_cndmask_b32_e64 v4, 0, 1.0, s1
	v_mov_b32_e32 v5, 0
	global_store_b64 v[2:3], v[4:5], off
.LBB111_1997:
	s_mov_b32 s2, 0
.LBB111_1998:
	s_delay_alu instid0(SALU_CYCLE_1)
	s_and_not1_b32 vcc_lo, exec_lo, s2
	s_cbranch_vccnz .LBB111_2000
; %bb.1999:
	s_wait_xcnt 0x0
	v_cndmask_b32_e64 v1, 0, 1.0, s1
	s_delay_alu instid0(VALU_DEP_1) | instskip(NEXT) | instid1(VALU_DEP_1)
	v_cvt_f16_f32_e32 v1, v1
	v_and_b32_e32 v1, 0xffff, v1
	global_store_b32 v[2:3], v1, off
.LBB111_2000:
	s_mov_b32 s2, 0
.LBB111_2001:
	s_delay_alu instid0(SALU_CYCLE_1)
	s_and_not1_b32 vcc_lo, exec_lo, s2
	s_cbranch_vccnz .LBB111_2010
; %bb.2002:
	s_cmp_lt_i32 s7, 6
	s_mov_b32 s2, -1
	s_cbranch_scc1 .LBB111_2008
; %bb.2003:
	s_cmp_gt_i32 s7, 6
	s_cbranch_scc0 .LBB111_2005
; %bb.2004:
	s_wait_xcnt 0x0
	v_cndmask_b32_e64 v1, 0, 1, s1
	s_mov_b32 s2, 0
	s_delay_alu instid0(VALU_DEP_1)
	v_cvt_f64_u32_e32 v[4:5], v1
	global_store_b64 v[2:3], v[4:5], off
.LBB111_2005:
	s_and_not1_b32 vcc_lo, exec_lo, s2
	s_cbranch_vccnz .LBB111_2007
; %bb.2006:
	s_wait_xcnt 0x0
	v_cndmask_b32_e64 v1, 0, 1.0, s1
	global_store_b32 v[2:3], v1, off
.LBB111_2007:
	s_mov_b32 s2, 0
.LBB111_2008:
	s_delay_alu instid0(SALU_CYCLE_1)
	s_and_not1_b32 vcc_lo, exec_lo, s2
	s_cbranch_vccnz .LBB111_2010
; %bb.2009:
	s_wait_xcnt 0x0
	v_cndmask_b32_e64 v1, 0, 1.0, s1
	s_delay_alu instid0(VALU_DEP_1)
	v_cvt_f16_f32_e32 v1, v1
	global_store_b16 v[2:3], v1, off
.LBB111_2010:
	s_mov_b32 s2, 0
.LBB111_2011:
	s_delay_alu instid0(SALU_CYCLE_1)
	s_and_not1_b32 vcc_lo, exec_lo, s2
	s_cbranch_vccnz .LBB111_2027
; %bb.2012:
	s_cmp_lt_i32 s7, 2
	s_mov_b32 s2, -1
	s_cbranch_scc1 .LBB111_2022
; %bb.2013:
	s_cmp_lt_i32 s7, 3
	s_cbranch_scc1 .LBB111_2019
; %bb.2014:
	s_cmp_gt_i32 s7, 3
	s_cbranch_scc0 .LBB111_2016
; %bb.2015:
	s_mov_b32 s2, 0
	s_wait_xcnt 0x0
	v_cndmask_b32_e64 v4, 0, 1, s1
	v_mov_b32_e32 v5, s2
	global_store_b64 v[2:3], v[4:5], off
.LBB111_2016:
	s_and_not1_b32 vcc_lo, exec_lo, s2
	s_cbranch_vccnz .LBB111_2018
; %bb.2017:
	s_wait_xcnt 0x0
	v_cndmask_b32_e64 v1, 0, 1, s1
	global_store_b32 v[2:3], v1, off
.LBB111_2018:
	s_mov_b32 s2, 0
.LBB111_2019:
	s_delay_alu instid0(SALU_CYCLE_1)
	s_and_not1_b32 vcc_lo, exec_lo, s2
	s_cbranch_vccnz .LBB111_2021
; %bb.2020:
	s_wait_xcnt 0x0
	v_cndmask_b32_e64 v1, 0, 1, s1
	global_store_b16 v[2:3], v1, off
.LBB111_2021:
	s_mov_b32 s2, 0
.LBB111_2022:
	s_delay_alu instid0(SALU_CYCLE_1)
	s_and_not1_b32 vcc_lo, exec_lo, s2
	s_cbranch_vccnz .LBB111_2027
; %bb.2023:
	s_cmp_gt_i32 s7, 0
	s_mov_b32 s2, -1
	s_cbranch_scc0 .LBB111_2025
; %bb.2024:
	s_wait_xcnt 0x0
	v_cndmask_b32_e64 v1, 0, 1, s1
	s_mov_b32 s2, 0
	global_store_b8 v[2:3], v1, off
.LBB111_2025:
	s_and_not1_b32 vcc_lo, exec_lo, s2
	s_cbranch_vccnz .LBB111_2027
; %bb.2026:
	s_wait_xcnt 0x0
	v_cndmask_b32_e64 v1, 0, 1, s1
	global_store_b8 v[2:3], v1, off
.LBB111_2027:
	s_mov_b32 s10, -1
.LBB111_2028:
	s_delay_alu instid0(SALU_CYCLE_1)
	s_and_not1_b32 vcc_lo, exec_lo, s10
	s_cbranch_vccnz .LBB111_2105
; %bb.2029:
	v_cmp_eq_f32_e32 vcc_lo, s9, v10
	s_cmp_lt_i32 s7, 11
	s_wait_xcnt 0x0
	v_cndmask_b32_e64 v1, 0, 1, vcc_lo
	v_cmp_neq_f32_e32 vcc_lo, s9, v10
	v_cndmask_b32_e64 v2, 0, 1, vcc_lo
	s_delay_alu instid0(VALU_DEP_1) | instskip(NEXT) | instid1(VALU_DEP_1)
	v_dual_cndmask_b32 v2, v2, v1, s0 :: v_dual_mov_b32 v1, 0
	v_and_b32_e32 v4, 1, v2
	s_delay_alu instid0(VALU_DEP_2) | instskip(NEXT) | instid1(VALU_DEP_2)
	v_add_nc_u64_e32 v[2:3], s[4:5], v[0:1]
	v_cmp_eq_u32_e64 s1, 1, v4
	s_cbranch_scc1 .LBB111_2150
; %bb.2030:
	s_mov_b32 s4, -1
	s_mov_b32 s2, 0
	s_cmp_gt_i32 s7, 25
	s_mov_b32 s0, 0
	s_cbranch_scc0 .LBB111_2063
; %bb.2031:
	s_cmp_gt_i32 s7, 28
	s_cbranch_scc0 .LBB111_2047
; %bb.2032:
	s_cmp_gt_i32 s7, 43
	;; [unrolled: 3-line block ×3, first 2 shown]
	s_cbranch_scc0 .LBB111_2037
; %bb.2034:
	s_cmp_eq_u32 s7, 46
	s_mov_b32 s0, -1
	s_cbranch_scc0 .LBB111_2036
; %bb.2035:
	v_cndmask_b32_e64 v0, 0, 1.0, s1
	s_mov_b32 s0, 0
	s_delay_alu instid0(VALU_DEP_1) | instskip(NEXT) | instid1(VALU_DEP_1)
	v_bfe_u32 v1, v0, 16, 1
	v_add3_u32 v0, v0, v1, 0x7fff
	s_delay_alu instid0(VALU_DEP_1)
	v_lshrrev_b32_e32 v0, 16, v0
	global_store_b32 v[2:3], v0, off
.LBB111_2036:
	s_mov_b32 s4, 0
.LBB111_2037:
	s_delay_alu instid0(SALU_CYCLE_1)
	s_and_b32 vcc_lo, exec_lo, s4
	s_cbranch_vccz .LBB111_2042
; %bb.2038:
	s_cmp_eq_u32 s7, 44
	s_mov_b32 s0, -1
	s_cbranch_scc0 .LBB111_2042
; %bb.2039:
	v_cndmask_b32_e64 v4, 0, 1.0, s1
	s_mov_b32 s4, exec_lo
	s_wait_xcnt 0x0
	s_delay_alu instid0(VALU_DEP_1) | instskip(NEXT) | instid1(VALU_DEP_1)
	v_dual_mov_b32 v1, 0xff :: v_dual_lshrrev_b32 v0, 23, v4
	v_cmpx_ne_u32_e32 0xff, v0
; %bb.2040:
	v_and_b32_e32 v1, 0x400000, v4
	v_and_or_b32 v4, 0x3fffff, v4, v0
	s_delay_alu instid0(VALU_DEP_2) | instskip(NEXT) | instid1(VALU_DEP_2)
	v_cmp_ne_u32_e32 vcc_lo, 0, v1
	v_cmp_ne_u32_e64 s0, 0, v4
	s_and_b32 s0, vcc_lo, s0
	s_delay_alu instid0(SALU_CYCLE_1) | instskip(NEXT) | instid1(VALU_DEP_1)
	v_cndmask_b32_e64 v1, 0, 1, s0
	v_add_nc_u32_e32 v1, v0, v1
; %bb.2041:
	s_or_b32 exec_lo, exec_lo, s4
	s_mov_b32 s0, 0
	global_store_b8 v[2:3], v1, off
.LBB111_2042:
	s_mov_b32 s4, 0
.LBB111_2043:
	s_delay_alu instid0(SALU_CYCLE_1)
	s_and_b32 vcc_lo, exec_lo, s4
	s_cbranch_vccz .LBB111_2046
; %bb.2044:
	s_cmp_eq_u32 s7, 29
	s_mov_b32 s0, -1
	s_cbranch_scc0 .LBB111_2046
; %bb.2045:
	s_mov_b32 s0, 0
	s_wait_xcnt 0x0
	v_cndmask_b32_e64 v0, 0, 1, s1
	v_mov_b32_e32 v1, s0
	global_store_b64 v[2:3], v[0:1], off
.LBB111_2046:
	s_mov_b32 s4, 0
.LBB111_2047:
	s_delay_alu instid0(SALU_CYCLE_1)
	s_and_b32 vcc_lo, exec_lo, s4
	s_cbranch_vccz .LBB111_2062
; %bb.2048:
	s_cmp_lt_i32 s7, 27
	s_mov_b32 s4, -1
	s_cbranch_scc1 .LBB111_2054
; %bb.2049:
	s_cmp_gt_i32 s7, 27
	s_cbranch_scc0 .LBB111_2051
; %bb.2050:
	s_wait_xcnt 0x0
	v_cndmask_b32_e64 v0, 0, 1, s1
	s_mov_b32 s4, 0
	global_store_b32 v[2:3], v0, off
.LBB111_2051:
	s_and_not1_b32 vcc_lo, exec_lo, s4
	s_cbranch_vccnz .LBB111_2053
; %bb.2052:
	s_wait_xcnt 0x0
	v_cndmask_b32_e64 v0, 0, 1, s1
	global_store_b16 v[2:3], v0, off
.LBB111_2053:
	s_mov_b32 s4, 0
.LBB111_2054:
	s_delay_alu instid0(SALU_CYCLE_1)
	s_and_not1_b32 vcc_lo, exec_lo, s4
	s_cbranch_vccnz .LBB111_2062
; %bb.2055:
	s_wait_xcnt 0x0
	v_cndmask_b32_e64 v1, 0, 1.0, s1
	v_mov_b32_e32 v4, 0x80
	s_mov_b32 s4, exec_lo
	s_delay_alu instid0(VALU_DEP_2)
	v_cmpx_gt_u32_e32 0x43800000, v1
	s_cbranch_execz .LBB111_2061
; %bb.2056:
	s_mov_b32 s5, 0
	s_mov_b32 s8, exec_lo
                                        ; implicit-def: $vgpr0
	v_cmpx_lt_u32_e32 0x3bffffff, v1
	s_xor_b32 s8, exec_lo, s8
	s_cbranch_execz .LBB111_2167
; %bb.2057:
	v_bfe_u32 v0, v1, 20, 1
	s_mov_b32 s5, exec_lo
	s_delay_alu instid0(VALU_DEP_1) | instskip(NEXT) | instid1(VALU_DEP_1)
	v_add3_u32 v0, v1, v0, 0x487ffff
                                        ; implicit-def: $vgpr1
	v_lshrrev_b32_e32 v0, 20, v0
	s_and_not1_saveexec_b32 s8, s8
	s_cbranch_execnz .LBB111_2168
.LBB111_2058:
	s_or_b32 exec_lo, exec_lo, s8
	v_mov_b32_e32 v4, 0
	s_and_saveexec_b32 s8, s5
.LBB111_2059:
	v_mov_b32_e32 v4, v0
.LBB111_2060:
	s_or_b32 exec_lo, exec_lo, s8
.LBB111_2061:
	s_delay_alu instid0(SALU_CYCLE_1)
	s_or_b32 exec_lo, exec_lo, s4
	global_store_b8 v[2:3], v4, off
.LBB111_2062:
	s_mov_b32 s4, 0
.LBB111_2063:
	s_delay_alu instid0(SALU_CYCLE_1)
	s_and_b32 vcc_lo, exec_lo, s4
	s_cbranch_vccz .LBB111_2103
; %bb.2064:
	s_cmp_gt_i32 s7, 22
	s_mov_b32 s2, -1
	s_cbranch_scc0 .LBB111_2096
; %bb.2065:
	s_cmp_lt_i32 s7, 24
	s_cbranch_scc1 .LBB111_2085
; %bb.2066:
	s_cmp_gt_i32 s7, 24
	s_cbranch_scc0 .LBB111_2074
; %bb.2067:
	s_wait_xcnt 0x0
	v_cndmask_b32_e64 v1, 0, 1.0, s1
	v_mov_b32_e32 v4, 0x80
	s_mov_b32 s2, exec_lo
	s_delay_alu instid0(VALU_DEP_2)
	v_cmpx_gt_u32_e32 0x47800000, v1
	s_cbranch_execz .LBB111_2073
; %bb.2068:
	s_mov_b32 s4, 0
	s_mov_b32 s5, exec_lo
                                        ; implicit-def: $vgpr0
	v_cmpx_lt_u32_e32 0x37ffffff, v1
	s_xor_b32 s5, exec_lo, s5
	s_cbranch_execz .LBB111_2170
; %bb.2069:
	v_bfe_u32 v0, v1, 21, 1
	s_mov_b32 s4, exec_lo
	s_delay_alu instid0(VALU_DEP_1) | instskip(NEXT) | instid1(VALU_DEP_1)
	v_add3_u32 v0, v1, v0, 0x88fffff
                                        ; implicit-def: $vgpr1
	v_lshrrev_b32_e32 v0, 21, v0
	s_and_not1_saveexec_b32 s5, s5
	s_cbranch_execnz .LBB111_2171
.LBB111_2070:
	s_or_b32 exec_lo, exec_lo, s5
	v_mov_b32_e32 v4, 0
	s_and_saveexec_b32 s5, s4
.LBB111_2071:
	v_mov_b32_e32 v4, v0
.LBB111_2072:
	s_or_b32 exec_lo, exec_lo, s5
.LBB111_2073:
	s_delay_alu instid0(SALU_CYCLE_1)
	s_or_b32 exec_lo, exec_lo, s2
	s_mov_b32 s2, 0
	global_store_b8 v[2:3], v4, off
.LBB111_2074:
	s_and_b32 vcc_lo, exec_lo, s2
	s_cbranch_vccz .LBB111_2084
; %bb.2075:
	s_wait_xcnt 0x0
	v_cndmask_b32_e64 v1, 0, 1.0, s1
	s_mov_b32 s2, exec_lo
                                        ; implicit-def: $vgpr0
	s_delay_alu instid0(VALU_DEP_1)
	v_cmpx_gt_u32_e32 0x43f00000, v1
	s_xor_b32 s2, exec_lo, s2
	s_cbranch_execz .LBB111_2081
; %bb.2076:
	s_mov_b32 s4, exec_lo
                                        ; implicit-def: $vgpr0
	v_cmpx_lt_u32_e32 0x3c7fffff, v1
	s_xor_b32 s4, exec_lo, s4
; %bb.2077:
	v_bfe_u32 v0, v1, 20, 1
	s_delay_alu instid0(VALU_DEP_1) | instskip(NEXT) | instid1(VALU_DEP_1)
	v_add3_u32 v0, v1, v0, 0x407ffff
	v_and_b32_e32 v1, 0xff00000, v0
	v_lshrrev_b32_e32 v0, 20, v0
	s_delay_alu instid0(VALU_DEP_2) | instskip(NEXT) | instid1(VALU_DEP_2)
	v_cmp_ne_u32_e32 vcc_lo, 0x7f00000, v1
                                        ; implicit-def: $vgpr1
	v_cndmask_b32_e32 v0, 0x7e, v0, vcc_lo
; %bb.2078:
	s_and_not1_saveexec_b32 s4, s4
; %bb.2079:
	v_add_f32_e32 v0, 0x46800000, v1
; %bb.2080:
	s_or_b32 exec_lo, exec_lo, s4
                                        ; implicit-def: $vgpr1
.LBB111_2081:
	s_and_not1_saveexec_b32 s2, s2
; %bb.2082:
	v_mov_b32_e32 v0, 0x7f
	v_cmp_lt_u32_e32 vcc_lo, 0x7f800000, v1
	s_delay_alu instid0(VALU_DEP_2)
	v_cndmask_b32_e32 v0, 0x7e, v0, vcc_lo
; %bb.2083:
	s_or_b32 exec_lo, exec_lo, s2
	global_store_b8 v[2:3], v0, off
.LBB111_2084:
	s_mov_b32 s2, 0
.LBB111_2085:
	s_delay_alu instid0(SALU_CYCLE_1)
	s_and_not1_b32 vcc_lo, exec_lo, s2
	s_cbranch_vccnz .LBB111_2095
; %bb.2086:
	s_wait_xcnt 0x0
	v_cndmask_b32_e64 v1, 0, 1.0, s1
	s_mov_b32 s2, exec_lo
                                        ; implicit-def: $vgpr0
	s_delay_alu instid0(VALU_DEP_1)
	v_cmpx_gt_u32_e32 0x47800000, v1
	s_xor_b32 s2, exec_lo, s2
	s_cbranch_execz .LBB111_2092
; %bb.2087:
	s_mov_b32 s4, exec_lo
                                        ; implicit-def: $vgpr0
	v_cmpx_lt_u32_e32 0x387fffff, v1
	s_xor_b32 s4, exec_lo, s4
; %bb.2088:
	v_bfe_u32 v0, v1, 21, 1
	s_delay_alu instid0(VALU_DEP_1) | instskip(NEXT) | instid1(VALU_DEP_1)
	v_add3_u32 v0, v1, v0, 0x80fffff
                                        ; implicit-def: $vgpr1
	v_lshrrev_b32_e32 v0, 21, v0
; %bb.2089:
	s_and_not1_saveexec_b32 s4, s4
; %bb.2090:
	v_add_f32_e32 v0, 0x43000000, v1
; %bb.2091:
	s_or_b32 exec_lo, exec_lo, s4
                                        ; implicit-def: $vgpr1
.LBB111_2092:
	s_and_not1_saveexec_b32 s2, s2
; %bb.2093:
	v_mov_b32_e32 v0, 0x7f
	v_cmp_lt_u32_e32 vcc_lo, 0x7f800000, v1
	s_delay_alu instid0(VALU_DEP_2)
	v_cndmask_b32_e32 v0, 0x7c, v0, vcc_lo
; %bb.2094:
	s_or_b32 exec_lo, exec_lo, s2
	global_store_b8 v[2:3], v0, off
.LBB111_2095:
	s_mov_b32 s2, 0
.LBB111_2096:
	s_delay_alu instid0(SALU_CYCLE_1)
	s_and_not1_b32 vcc_lo, exec_lo, s2
	s_mov_b32 s2, 0
	s_cbranch_vccnz .LBB111_2103
; %bb.2097:
	s_cmp_gt_i32 s7, 14
	s_mov_b32 s2, -1
	s_cbranch_scc0 .LBB111_2101
; %bb.2098:
	s_cmp_eq_u32 s7, 15
	s_mov_b32 s0, -1
	s_cbranch_scc0 .LBB111_2100
; %bb.2099:
	s_wait_xcnt 0x0
	v_cndmask_b32_e64 v0, 0, 1.0, s1
	s_mov_b32 s0, 0
	s_delay_alu instid0(VALU_DEP_1) | instskip(NEXT) | instid1(VALU_DEP_1)
	v_bfe_u32 v1, v0, 16, 1
	v_add3_u32 v0, v0, v1, 0x7fff
	global_store_d16_hi_b16 v[2:3], v0, off
.LBB111_2100:
	s_mov_b32 s2, 0
.LBB111_2101:
	s_delay_alu instid0(SALU_CYCLE_1)
	s_and_b32 vcc_lo, exec_lo, s2
	s_mov_b32 s2, 0
	s_cbranch_vccz .LBB111_2103
; %bb.2102:
	s_cmp_lg_u32 s7, 11
	s_mov_b32 s2, -1
	s_cselect_b32 s0, -1, 0
.LBB111_2103:
	s_delay_alu instid0(SALU_CYCLE_1)
	s_and_b32 vcc_lo, exec_lo, s0
	s_cbranch_vccnz .LBB111_2169
.LBB111_2104:
	s_mov_b32 s0, 0
	s_branch .LBB111_2106
.LBB111_2105:
	s_mov_b32 s0, 0
	s_mov_b32 s2, 0
                                        ; implicit-def: $sgpr1
                                        ; implicit-def: $vgpr2_vgpr3
                                        ; implicit-def: $sgpr6
.LBB111_2106:
	s_and_not1_b32 s4, s11, exec_lo
	s_and_b32 s3, s3, exec_lo
	s_and_b32 s0, s0, exec_lo
	;; [unrolled: 1-line block ×3, first 2 shown]
	s_or_b32 s11, s4, s3
.LBB111_2107:
	s_wait_xcnt 0x0
	s_or_b32 exec_lo, exec_lo, s12
	s_and_saveexec_b32 s2, s11
	s_cbranch_execz .LBB111_2110
; %bb.2108:
	; divergent unreachable
	s_or_b32 exec_lo, exec_lo, s2
	s_and_saveexec_b32 s2, s36
	s_delay_alu instid0(SALU_CYCLE_1)
	s_xor_b32 s2, exec_lo, s2
	s_cbranch_execnz .LBB111_2111
.LBB111_2109:
	s_or_b32 exec_lo, exec_lo, s2
	s_and_saveexec_b32 s2, s0
	s_cbranch_execnz .LBB111_2112
	s_branch .LBB111_2149
.LBB111_2110:
	s_or_b32 exec_lo, exec_lo, s2
	s_and_saveexec_b32 s2, s36
	s_delay_alu instid0(SALU_CYCLE_1)
	s_xor_b32 s2, exec_lo, s2
	s_cbranch_execz .LBB111_2109
.LBB111_2111:
	v_cndmask_b32_e64 v0, 0, 1, s1
	s_wait_loadcnt 0x0
	global_store_b8 v[2:3], v0, off
	s_wait_xcnt 0x0
	s_or_b32 exec_lo, exec_lo, s2
	s_and_saveexec_b32 s2, s0
	s_cbranch_execz .LBB111_2149
.LBB111_2112:
	s_sext_i32_i16 s2, s6
	s_mov_b32 s0, -1
	s_cmp_lt_i32 s2, 5
	s_cbranch_scc1 .LBB111_2133
; %bb.2113:
	s_cmp_lt_i32 s2, 8
	s_cbranch_scc1 .LBB111_2123
; %bb.2114:
	;; [unrolled: 3-line block ×3, first 2 shown]
	s_cmp_gt_i32 s2, 9
	s_cbranch_scc0 .LBB111_2117
; %bb.2116:
	v_cndmask_b32_e64 v0, 0, 1, s1
	v_mov_b32_e32 v6, 0
	s_mov_b32 s0, 0
	s_delay_alu instid0(VALU_DEP_2) | instskip(NEXT) | instid1(VALU_DEP_2)
	v_cvt_f64_u32_e32 v[4:5], v0
	v_mov_b32_e32 v7, v6
	s_wait_loadcnt 0x0
	global_store_b128 v[2:3], v[4:7], off
.LBB111_2117:
	s_and_not1_b32 vcc_lo, exec_lo, s0
	s_cbranch_vccnz .LBB111_2119
; %bb.2118:
	v_cndmask_b32_e64 v0, 0, 1.0, s1
	s_wait_loadcnt 0x0
	v_mov_b32_e32 v1, 0
	global_store_b64 v[2:3], v[0:1], off
.LBB111_2119:
	s_mov_b32 s0, 0
.LBB111_2120:
	s_delay_alu instid0(SALU_CYCLE_1)
	s_and_not1_b32 vcc_lo, exec_lo, s0
	s_cbranch_vccnz .LBB111_2122
; %bb.2121:
	s_wait_xcnt 0x0
	v_cndmask_b32_e64 v0, 0, 1.0, s1
	s_delay_alu instid0(VALU_DEP_1) | instskip(NEXT) | instid1(VALU_DEP_1)
	v_cvt_f16_f32_e32 v0, v0
	v_and_b32_e32 v0, 0xffff, v0
	s_wait_loadcnt 0x0
	global_store_b32 v[2:3], v0, off
.LBB111_2122:
	s_mov_b32 s0, 0
.LBB111_2123:
	s_delay_alu instid0(SALU_CYCLE_1)
	s_and_not1_b32 vcc_lo, exec_lo, s0
	s_cbranch_vccnz .LBB111_2132
; %bb.2124:
	s_sext_i32_i16 s2, s6
	s_mov_b32 s0, -1
	s_cmp_lt_i32 s2, 6
	s_cbranch_scc1 .LBB111_2130
; %bb.2125:
	s_cmp_gt_i32 s2, 6
	s_cbranch_scc0 .LBB111_2127
; %bb.2126:
	s_wait_xcnt 0x0
	v_cndmask_b32_e64 v0, 0, 1, s1
	s_mov_b32 s0, 0
	s_wait_loadcnt 0x0
	s_delay_alu instid0(VALU_DEP_1)
	v_cvt_f64_u32_e32 v[0:1], v0
	global_store_b64 v[2:3], v[0:1], off
.LBB111_2127:
	s_and_not1_b32 vcc_lo, exec_lo, s0
	s_cbranch_vccnz .LBB111_2129
; %bb.2128:
	s_wait_xcnt 0x0
	v_cndmask_b32_e64 v0, 0, 1.0, s1
	s_wait_loadcnt 0x0
	global_store_b32 v[2:3], v0, off
.LBB111_2129:
	s_mov_b32 s0, 0
.LBB111_2130:
	s_delay_alu instid0(SALU_CYCLE_1)
	s_and_not1_b32 vcc_lo, exec_lo, s0
	s_cbranch_vccnz .LBB111_2132
; %bb.2131:
	s_wait_xcnt 0x0
	v_cndmask_b32_e64 v0, 0, 1.0, s1
	s_delay_alu instid0(VALU_DEP_1)
	v_cvt_f16_f32_e32 v0, v0
	s_wait_loadcnt 0x0
	global_store_b16 v[2:3], v0, off
.LBB111_2132:
	s_mov_b32 s0, 0
.LBB111_2133:
	s_delay_alu instid0(SALU_CYCLE_1)
	s_and_not1_b32 vcc_lo, exec_lo, s0
	s_cbranch_vccnz .LBB111_2149
; %bb.2134:
	s_sext_i32_i16 s2, s6
	s_mov_b32 s0, -1
	s_cmp_lt_i32 s2, 2
	s_cbranch_scc1 .LBB111_2144
; %bb.2135:
	s_cmp_lt_i32 s2, 3
	s_cbranch_scc1 .LBB111_2141
; %bb.2136:
	s_cmp_gt_i32 s2, 3
	s_cbranch_scc0 .LBB111_2138
; %bb.2137:
	s_mov_b32 s0, 0
	s_wait_xcnt 0x0
	v_cndmask_b32_e64 v0, 0, 1, s1
	s_wait_loadcnt 0x0
	v_mov_b32_e32 v1, s0
	global_store_b64 v[2:3], v[0:1], off
.LBB111_2138:
	s_and_not1_b32 vcc_lo, exec_lo, s0
	s_cbranch_vccnz .LBB111_2140
; %bb.2139:
	s_wait_xcnt 0x0
	v_cndmask_b32_e64 v0, 0, 1, s1
	s_wait_loadcnt 0x0
	global_store_b32 v[2:3], v0, off
.LBB111_2140:
	s_mov_b32 s0, 0
.LBB111_2141:
	s_delay_alu instid0(SALU_CYCLE_1)
	s_and_not1_b32 vcc_lo, exec_lo, s0
	s_cbranch_vccnz .LBB111_2143
; %bb.2142:
	s_wait_xcnt 0x0
	v_cndmask_b32_e64 v0, 0, 1, s1
	s_wait_loadcnt 0x0
	global_store_b16 v[2:3], v0, off
.LBB111_2143:
	s_mov_b32 s0, 0
.LBB111_2144:
	s_delay_alu instid0(SALU_CYCLE_1)
	s_and_not1_b32 vcc_lo, exec_lo, s0
	s_cbranch_vccnz .LBB111_2149
; %bb.2145:
	s_sext_i32_i16 s0, s6
	s_delay_alu instid0(SALU_CYCLE_1)
	s_cmp_gt_i32 s0, 0
	s_mov_b32 s0, -1
	s_cbranch_scc0 .LBB111_2147
; %bb.2146:
	s_wait_xcnt 0x0
	v_cndmask_b32_e64 v0, 0, 1, s1
	s_mov_b32 s0, 0
	s_wait_loadcnt 0x0
	global_store_b8 v[2:3], v0, off
.LBB111_2147:
	s_and_not1_b32 vcc_lo, exec_lo, s0
	s_cbranch_vccnz .LBB111_2149
; %bb.2148:
	s_wait_xcnt 0x0
	v_cndmask_b32_e64 v0, 0, 1, s1
	s_wait_loadcnt 0x0
	global_store_b8 v[2:3], v0, off
	s_endpgm
.LBB111_2149:
	s_endpgm
.LBB111_2150:
	s_mov_b32 s2, 0
	s_mov_b32 s0, -1
	s_branch .LBB111_2106
.LBB111_2151:
	s_or_b32 s3, s3, exec_lo
	s_trap 2
	s_cbranch_execz .LBB111_1621
	s_branch .LBB111_1622
.LBB111_2152:
	s_and_not1_saveexec_b32 s14, s14
	s_cbranch_execz .LBB111_1701
.LBB111_2153:
	v_add_f32_e32 v1, 0x46000000, v5
	s_and_not1_b32 s13, s13, exec_lo
	s_delay_alu instid0(VALU_DEP_1) | instskip(NEXT) | instid1(VALU_DEP_1)
	v_and_b32_e32 v1, 0xff, v1
	v_cmp_ne_u32_e32 vcc_lo, 0, v1
	s_and_b32 s15, vcc_lo, exec_lo
	s_delay_alu instid0(SALU_CYCLE_1)
	s_or_b32 s13, s13, s15
	s_or_b32 exec_lo, exec_lo, s14
	v_mov_b32_e32 v8, 0
	s_and_saveexec_b32 s14, s13
	s_cbranch_execnz .LBB111_1702
	s_branch .LBB111_1703
.LBB111_2154:
	s_or_b32 s3, s3, exec_lo
	s_trap 2
	s_cbranch_execz .LBB111_1749
	s_branch .LBB111_1750
.LBB111_2155:
	s_and_not1_saveexec_b32 s13, s13
	s_cbranch_execz .LBB111_1714
.LBB111_2156:
	v_add_f32_e32 v1, 0x42800000, v5
	s_and_not1_b32 s10, s10, exec_lo
	s_delay_alu instid0(VALU_DEP_1) | instskip(NEXT) | instid1(VALU_DEP_1)
	v_and_b32_e32 v1, 0xff, v1
	v_cmp_ne_u32_e32 vcc_lo, 0, v1
	s_and_b32 s14, vcc_lo, exec_lo
	s_delay_alu instid0(SALU_CYCLE_1)
	s_or_b32 s10, s10, s14
	s_or_b32 exec_lo, exec_lo, s13
	v_mov_b32_e32 v8, 0
	s_and_saveexec_b32 s13, s10
	s_cbranch_execnz .LBB111_1715
	s_branch .LBB111_1716
.LBB111_2157:
	s_and_not1_saveexec_b32 s14, s14
	s_cbranch_execz .LBB111_1819
.LBB111_2158:
	v_add_f32_e32 v1, 0x46000000, v3
	s_and_not1_b32 s13, s13, exec_lo
	s_delay_alu instid0(VALU_DEP_1) | instskip(NEXT) | instid1(VALU_DEP_1)
	v_and_b32_e32 v1, 0xff, v1
	v_cmp_ne_u32_e32 vcc_lo, 0, v1
	s_and_b32 s15, vcc_lo, exec_lo
	s_delay_alu instid0(SALU_CYCLE_1)
	s_or_b32 s13, s13, s15
	s_or_b32 exec_lo, exec_lo, s14
	v_mov_b32_e32 v6, 0
	s_and_saveexec_b32 s14, s13
	s_cbranch_execnz .LBB111_1820
	s_branch .LBB111_1821
.LBB111_2159:
	s_or_b32 s3, s3, exec_lo
	s_trap 2
	s_cbranch_execz .LBB111_1867
	s_branch .LBB111_1868
.LBB111_2160:
	s_and_not1_saveexec_b32 s13, s13
	s_cbranch_execz .LBB111_1832
.LBB111_2161:
	v_add_f32_e32 v1, 0x42800000, v3
	s_and_not1_b32 s10, s10, exec_lo
	s_delay_alu instid0(VALU_DEP_1) | instskip(NEXT) | instid1(VALU_DEP_1)
	v_and_b32_e32 v1, 0xff, v1
	v_cmp_ne_u32_e32 vcc_lo, 0, v1
	s_and_b32 s14, vcc_lo, exec_lo
	s_delay_alu instid0(SALU_CYCLE_1)
	s_or_b32 s10, s10, s14
	s_or_b32 exec_lo, exec_lo, s13
	v_mov_b32_e32 v6, 0
	s_and_saveexec_b32 s13, s10
	s_cbranch_execnz .LBB111_1833
	s_branch .LBB111_1834
.LBB111_2162:
	s_and_not1_saveexec_b32 s14, s14
	s_cbranch_execz .LBB111_1938
.LBB111_2163:
	v_add_f32_e32 v1, 0x46000000, v4
	s_and_not1_b32 s13, s13, exec_lo
	s_delay_alu instid0(VALU_DEP_1) | instskip(NEXT) | instid1(VALU_DEP_1)
	v_and_b32_e32 v1, 0xff, v1
	v_cmp_ne_u32_e32 vcc_lo, 0, v1
	s_and_b32 s15, vcc_lo, exec_lo
	s_delay_alu instid0(SALU_CYCLE_1)
	s_or_b32 s13, s13, s15
	s_or_b32 exec_lo, exec_lo, s14
	v_mov_b32_e32 v5, 0
	s_and_saveexec_b32 s14, s13
	s_cbranch_execnz .LBB111_1939
	s_branch .LBB111_1940
.LBB111_2164:
	s_or_b32 s3, s3, exec_lo
	s_trap 2
	s_cbranch_execz .LBB111_1986
	s_branch .LBB111_1987
.LBB111_2165:
	s_and_not1_saveexec_b32 s13, s13
	s_cbranch_execz .LBB111_1951
.LBB111_2166:
	v_add_f32_e32 v1, 0x42800000, v4
	s_and_not1_b32 s10, s10, exec_lo
	s_delay_alu instid0(VALU_DEP_1) | instskip(NEXT) | instid1(VALU_DEP_1)
	v_and_b32_e32 v1, 0xff, v1
	v_cmp_ne_u32_e32 vcc_lo, 0, v1
	s_and_b32 s14, vcc_lo, exec_lo
	s_delay_alu instid0(SALU_CYCLE_1)
	s_or_b32 s10, s10, s14
	s_or_b32 exec_lo, exec_lo, s13
	v_mov_b32_e32 v5, 0
	s_and_saveexec_b32 s13, s10
	s_cbranch_execnz .LBB111_1952
	s_branch .LBB111_1953
.LBB111_2167:
	s_and_not1_saveexec_b32 s8, s8
	s_cbranch_execz .LBB111_2058
.LBB111_2168:
	v_add_f32_e32 v0, 0x46000000, v1
	s_and_not1_b32 s5, s5, exec_lo
	s_delay_alu instid0(VALU_DEP_1) | instskip(NEXT) | instid1(VALU_DEP_1)
	v_and_b32_e32 v0, 0xff, v0
	v_cmp_ne_u32_e32 vcc_lo, 0, v0
	s_and_b32 s9, vcc_lo, exec_lo
	s_delay_alu instid0(SALU_CYCLE_1)
	s_or_b32 s5, s5, s9
	s_or_b32 exec_lo, exec_lo, s8
	v_mov_b32_e32 v4, 0
	s_and_saveexec_b32 s8, s5
	s_cbranch_execnz .LBB111_2059
	s_branch .LBB111_2060
.LBB111_2169:
	s_mov_b32 s2, 0
	s_or_b32 s3, s3, exec_lo
	s_trap 2
	s_branch .LBB111_2104
.LBB111_2170:
	s_and_not1_saveexec_b32 s5, s5
	s_cbranch_execz .LBB111_2070
.LBB111_2171:
	v_add_f32_e32 v0, 0x42800000, v1
	s_and_not1_b32 s4, s4, exec_lo
	s_delay_alu instid0(VALU_DEP_1) | instskip(NEXT) | instid1(VALU_DEP_1)
	v_and_b32_e32 v0, 0xff, v0
	v_cmp_ne_u32_e32 vcc_lo, 0, v0
	s_and_b32 s8, vcc_lo, exec_lo
	s_delay_alu instid0(SALU_CYCLE_1)
	s_or_b32 s4, s4, s8
	s_or_b32 exec_lo, exec_lo, s5
	v_mov_b32_e32 v4, 0
	s_and_saveexec_b32 s5, s4
	s_cbranch_execnz .LBB111_2071
	s_branch .LBB111_2072
	.section	.rodata,"a",@progbits
	.p2align	6, 0x0
	.amdhsa_kernel _ZN2at6native32elementwise_kernel_manual_unrollILi128ELi4EZNS0_15gpu_kernel_implINS0_13AUnaryFunctorIffbNS0_12_GLOBAL__N_116CompareEqFunctorIfEEEEEEvRNS_18TensorIteratorBaseERKT_EUlibE0_EEviT1_
		.amdhsa_group_segment_fixed_size 0
		.amdhsa_private_segment_fixed_size 0
		.amdhsa_kernarg_size 368
		.amdhsa_user_sgpr_count 2
		.amdhsa_user_sgpr_dispatch_ptr 0
		.amdhsa_user_sgpr_queue_ptr 0
		.amdhsa_user_sgpr_kernarg_segment_ptr 1
		.amdhsa_user_sgpr_dispatch_id 0
		.amdhsa_user_sgpr_kernarg_preload_length 0
		.amdhsa_user_sgpr_kernarg_preload_offset 0
		.amdhsa_user_sgpr_private_segment_size 0
		.amdhsa_wavefront_size32 1
		.amdhsa_uses_dynamic_stack 0
		.amdhsa_enable_private_segment 0
		.amdhsa_system_sgpr_workgroup_id_x 1
		.amdhsa_system_sgpr_workgroup_id_y 0
		.amdhsa_system_sgpr_workgroup_id_z 0
		.amdhsa_system_sgpr_workgroup_info 0
		.amdhsa_system_vgpr_workitem_id 0
		.amdhsa_next_free_vgpr 18
		.amdhsa_next_free_sgpr 72
		.amdhsa_named_barrier_count 0
		.amdhsa_reserve_vcc 1
		.amdhsa_float_round_mode_32 0
		.amdhsa_float_round_mode_16_64 0
		.amdhsa_float_denorm_mode_32 3
		.amdhsa_float_denorm_mode_16_64 3
		.amdhsa_fp16_overflow 0
		.amdhsa_memory_ordered 1
		.amdhsa_forward_progress 1
		.amdhsa_inst_pref_size 255
		.amdhsa_round_robin_scheduling 0
		.amdhsa_exception_fp_ieee_invalid_op 0
		.amdhsa_exception_fp_denorm_src 0
		.amdhsa_exception_fp_ieee_div_zero 0
		.amdhsa_exception_fp_ieee_overflow 0
		.amdhsa_exception_fp_ieee_underflow 0
		.amdhsa_exception_fp_ieee_inexact 0
		.amdhsa_exception_int_div_zero 0
	.end_amdhsa_kernel
	.section	.text._ZN2at6native32elementwise_kernel_manual_unrollILi128ELi4EZNS0_15gpu_kernel_implINS0_13AUnaryFunctorIffbNS0_12_GLOBAL__N_116CompareEqFunctorIfEEEEEEvRNS_18TensorIteratorBaseERKT_EUlibE0_EEviT1_,"axG",@progbits,_ZN2at6native32elementwise_kernel_manual_unrollILi128ELi4EZNS0_15gpu_kernel_implINS0_13AUnaryFunctorIffbNS0_12_GLOBAL__N_116CompareEqFunctorIfEEEEEEvRNS_18TensorIteratorBaseERKT_EUlibE0_EEviT1_,comdat
.Lfunc_end111:
	.size	_ZN2at6native32elementwise_kernel_manual_unrollILi128ELi4EZNS0_15gpu_kernel_implINS0_13AUnaryFunctorIffbNS0_12_GLOBAL__N_116CompareEqFunctorIfEEEEEEvRNS_18TensorIteratorBaseERKT_EUlibE0_EEviT1_, .Lfunc_end111-_ZN2at6native32elementwise_kernel_manual_unrollILi128ELi4EZNS0_15gpu_kernel_implINS0_13AUnaryFunctorIffbNS0_12_GLOBAL__N_116CompareEqFunctorIfEEEEEEvRNS_18TensorIteratorBaseERKT_EUlibE0_EEviT1_
                                        ; -- End function
	.set _ZN2at6native32elementwise_kernel_manual_unrollILi128ELi4EZNS0_15gpu_kernel_implINS0_13AUnaryFunctorIffbNS0_12_GLOBAL__N_116CompareEqFunctorIfEEEEEEvRNS_18TensorIteratorBaseERKT_EUlibE0_EEviT1_.num_vgpr, 18
	.set _ZN2at6native32elementwise_kernel_manual_unrollILi128ELi4EZNS0_15gpu_kernel_implINS0_13AUnaryFunctorIffbNS0_12_GLOBAL__N_116CompareEqFunctorIfEEEEEEvRNS_18TensorIteratorBaseERKT_EUlibE0_EEviT1_.num_agpr, 0
	.set _ZN2at6native32elementwise_kernel_manual_unrollILi128ELi4EZNS0_15gpu_kernel_implINS0_13AUnaryFunctorIffbNS0_12_GLOBAL__N_116CompareEqFunctorIfEEEEEEvRNS_18TensorIteratorBaseERKT_EUlibE0_EEviT1_.numbered_sgpr, 72
	.set _ZN2at6native32elementwise_kernel_manual_unrollILi128ELi4EZNS0_15gpu_kernel_implINS0_13AUnaryFunctorIffbNS0_12_GLOBAL__N_116CompareEqFunctorIfEEEEEEvRNS_18TensorIteratorBaseERKT_EUlibE0_EEviT1_.num_named_barrier, 0
	.set _ZN2at6native32elementwise_kernel_manual_unrollILi128ELi4EZNS0_15gpu_kernel_implINS0_13AUnaryFunctorIffbNS0_12_GLOBAL__N_116CompareEqFunctorIfEEEEEEvRNS_18TensorIteratorBaseERKT_EUlibE0_EEviT1_.private_seg_size, 0
	.set _ZN2at6native32elementwise_kernel_manual_unrollILi128ELi4EZNS0_15gpu_kernel_implINS0_13AUnaryFunctorIffbNS0_12_GLOBAL__N_116CompareEqFunctorIfEEEEEEvRNS_18TensorIteratorBaseERKT_EUlibE0_EEviT1_.uses_vcc, 1
	.set _ZN2at6native32elementwise_kernel_manual_unrollILi128ELi4EZNS0_15gpu_kernel_implINS0_13AUnaryFunctorIffbNS0_12_GLOBAL__N_116CompareEqFunctorIfEEEEEEvRNS_18TensorIteratorBaseERKT_EUlibE0_EEviT1_.uses_flat_scratch, 0
	.set _ZN2at6native32elementwise_kernel_manual_unrollILi128ELi4EZNS0_15gpu_kernel_implINS0_13AUnaryFunctorIffbNS0_12_GLOBAL__N_116CompareEqFunctorIfEEEEEEvRNS_18TensorIteratorBaseERKT_EUlibE0_EEviT1_.has_dyn_sized_stack, 0
	.set _ZN2at6native32elementwise_kernel_manual_unrollILi128ELi4EZNS0_15gpu_kernel_implINS0_13AUnaryFunctorIffbNS0_12_GLOBAL__N_116CompareEqFunctorIfEEEEEEvRNS_18TensorIteratorBaseERKT_EUlibE0_EEviT1_.has_recursion, 0
	.set _ZN2at6native32elementwise_kernel_manual_unrollILi128ELi4EZNS0_15gpu_kernel_implINS0_13AUnaryFunctorIffbNS0_12_GLOBAL__N_116CompareEqFunctorIfEEEEEEvRNS_18TensorIteratorBaseERKT_EUlibE0_EEviT1_.has_indirect_call, 0
	.section	.AMDGPU.csdata,"",@progbits
; Kernel info:
; codeLenInByte = 42060
; TotalNumSgprs: 74
; NumVgprs: 18
; ScratchSize: 0
; MemoryBound: 1
; FloatMode: 240
; IeeeMode: 1
; LDSByteSize: 0 bytes/workgroup (compile time only)
; SGPRBlocks: 0
; VGPRBlocks: 1
; NumSGPRsForWavesPerEU: 74
; NumVGPRsForWavesPerEU: 18
; NamedBarCnt: 0
; Occupancy: 16
; WaveLimiterHint : 1
; COMPUTE_PGM_RSRC2:SCRATCH_EN: 0
; COMPUTE_PGM_RSRC2:USER_SGPR: 2
; COMPUTE_PGM_RSRC2:TRAP_HANDLER: 0
; COMPUTE_PGM_RSRC2:TGID_X_EN: 1
; COMPUTE_PGM_RSRC2:TGID_Y_EN: 0
; COMPUTE_PGM_RSRC2:TGID_Z_EN: 0
; COMPUTE_PGM_RSRC2:TIDIG_COMP_CNT: 0
	.section	.text._ZN2at6native29vectorized_elementwise_kernelILi16ENS0_13BinaryFunctorIN3c107complexIdEES5_bNS0_12_GLOBAL__N_116CompareEqFunctorIS5_EEEESt5arrayIPcLm3EEEEviT0_T1_,"axG",@progbits,_ZN2at6native29vectorized_elementwise_kernelILi16ENS0_13BinaryFunctorIN3c107complexIdEES5_bNS0_12_GLOBAL__N_116CompareEqFunctorIS5_EEEESt5arrayIPcLm3EEEEviT0_T1_,comdat
	.globl	_ZN2at6native29vectorized_elementwise_kernelILi16ENS0_13BinaryFunctorIN3c107complexIdEES5_bNS0_12_GLOBAL__N_116CompareEqFunctorIS5_EEEESt5arrayIPcLm3EEEEviT0_T1_ ; -- Begin function _ZN2at6native29vectorized_elementwise_kernelILi16ENS0_13BinaryFunctorIN3c107complexIdEES5_bNS0_12_GLOBAL__N_116CompareEqFunctorIS5_EEEESt5arrayIPcLm3EEEEviT0_T1_
	.p2align	8
	.type	_ZN2at6native29vectorized_elementwise_kernelILi16ENS0_13BinaryFunctorIN3c107complexIdEES5_bNS0_12_GLOBAL__N_116CompareEqFunctorIS5_EEEESt5arrayIPcLm3EEEEviT0_T1_,@function
_ZN2at6native29vectorized_elementwise_kernelILi16ENS0_13BinaryFunctorIN3c107complexIdEES5_bNS0_12_GLOBAL__N_116CompareEqFunctorIS5_EEEESt5arrayIPcLm3EEEEviT0_T1_: ; @_ZN2at6native29vectorized_elementwise_kernelILi16ENS0_13BinaryFunctorIN3c107complexIdEES5_bNS0_12_GLOBAL__N_116CompareEqFunctorIS5_EEEESt5arrayIPcLm3EEEEviT0_T1_
; %bb.0:
	s_clause 0x2
	s_load_b64 s[8:9], s[0:1], 0x0
	s_load_b128 s[4:7], s[0:1], 0x8
	s_load_b64 s[10:11], s[0:1], 0x18
	s_wait_xcnt 0x0
	s_bfe_u32 s0, ttmp6, 0x4000c
	s_and_b32 s1, ttmp6, 15
	s_add_co_i32 s0, s0, 1
	s_getreg_b32 s2, hwreg(HW_REG_IB_STS2, 6, 4)
	s_mul_i32 s0, ttmp9, s0
	s_delay_alu instid0(SALU_CYCLE_1) | instskip(SKIP_2) | instid1(SALU_CYCLE_1)
	s_add_co_i32 s1, s1, s0
	s_cmp_eq_u32 s2, 0
	s_cselect_b32 s0, ttmp9, s1
	s_lshl_b32 s2, s0, 12
	s_mov_b32 s0, -1
	s_wait_kmcnt 0x0
	s_sub_co_i32 s8, s8, s2
	s_delay_alu instid0(SALU_CYCLE_1)
	s_cmp_gt_i32 s8, 0xfff
	s_cbranch_scc0 .LBB112_50
; %bb.1:
	s_ashr_i32 s3, s2, 31
	v_lshlrev_b32_e32 v1, 8, v0
	s_lshl_b64 s[0:1], s[2:3], 4
	s_cmp_lg_u32 s9, 0
	s_add_nc_u64 s[12:13], s[6:7], s[0:1]
	s_add_nc_u64 s[0:1], s[10:11], s[0:1]
	s_clause 0x1f
	global_load_b128 v[98:101], v1, s[12:13] offset:48
	global_load_b128 v[106:109], v1, s[12:13] offset:32
	;; [unrolled: 1-line block ×3, first 2 shown]
	global_load_b128 v[122:125], v1, s[12:13]
	global_load_b128 v[66:69], v1, s[12:13] offset:112
	global_load_b128 v[74:77], v1, s[12:13] offset:96
	;; [unrolled: 1-line block ×15, first 2 shown]
	global_load_b128 v[126:129], v1, s[0:1]
	global_load_b128 v[70:73], v1, s[0:1] offset:112
	global_load_b128 v[78:81], v1, s[0:1] offset:96
	;; [unrolled: 1-line block ×9, first 2 shown]
	; meta instruction
	global_load_b128 v[14:17], v1, s[0:1] offset:224
	global_load_b128 v[22:25], v1, s[0:1] offset:208
	;; [unrolled: 1-line block ×3, first 2 shown]
	s_wait_xcnt 0x10
	s_cselect_b32 s12, -1, 0
	s_delay_alu instid0(SALU_CYCLE_1)
	s_and_b32 vcc_lo, exec_lo, s12
	s_cbranch_vccz .LBB112_196
; %bb.2:
	s_wait_loadcnt 0xc
	v_cmp_neq_f64_e32 vcc_lo, v[122:123], v[126:127]
	s_wait_xcnt 0x0
	v_cmp_neq_f64_e64 s0, v[124:125], v[128:129]
	s_or_b32 s1, vcc_lo, s0
	s_cbranch_execnz .LBB112_4
.LBB112_3:
	s_wait_loadcnt 0xc
	v_cmp_eq_f64_e32 vcc_lo, v[122:123], v[126:127]
	v_cmp_eq_f64_e64 s0, v[124:125], v[128:129]
	s_and_not1_b32 s1, s1, exec_lo
	s_and_b32 s0, vcc_lo, s0
	s_delay_alu instid0(SALU_CYCLE_1) | instskip(NEXT) | instid1(SALU_CYCLE_1)
	s_and_b32 s0, s0, exec_lo
	s_or_b32 s1, s1, s0
.LBB112_4:
	v_cndmask_b32_e64 v1, 0, 1, s12
	s_and_not1_b32 vcc_lo, exec_lo, s12
	s_cbranch_vccnz .LBB112_197
; %bb.5:
	s_wait_loadcnt 0xd
	v_cmp_neq_f64_e32 vcc_lo, v[114:115], v[118:119]
	v_cmp_neq_f64_e64 s0, v[116:117], v[120:121]
	s_or_b32 s12, vcc_lo, s0
	s_cbranch_execnz .LBB112_7
.LBB112_6:
	s_wait_loadcnt 0xd
	v_cmp_eq_f64_e32 vcc_lo, v[114:115], v[118:119]
	v_cmp_eq_f64_e64 s0, v[116:117], v[120:121]
	s_and_not1_b32 s12, s12, exec_lo
	s_and_b32 s0, vcc_lo, s0
	s_delay_alu instid0(SALU_CYCLE_1) | instskip(NEXT) | instid1(SALU_CYCLE_1)
	s_and_b32 s0, s0, exec_lo
	s_or_b32 s12, s12, s0
.LBB112_7:
	v_cmp_ne_u32_e32 vcc_lo, 1, v1
	s_cbranch_vccnz .LBB112_198
; %bb.8:
	s_wait_loadcnt 0xe
	v_cmp_neq_f64_e32 vcc_lo, v[106:107], v[110:111]
	v_cmp_neq_f64_e64 s0, v[108:109], v[112:113]
	s_or_b32 s13, vcc_lo, s0
	s_cbranch_execnz .LBB112_10
.LBB112_9:
	s_wait_loadcnt 0xe
	v_cmp_eq_f64_e32 vcc_lo, v[106:107], v[110:111]
	v_cmp_eq_f64_e64 s0, v[108:109], v[112:113]
	s_and_not1_b32 s13, s13, exec_lo
	s_and_b32 s0, vcc_lo, s0
	s_delay_alu instid0(SALU_CYCLE_1) | instskip(NEXT) | instid1(SALU_CYCLE_1)
	s_and_b32 s0, s0, exec_lo
	s_or_b32 s13, s13, s0
.LBB112_10:
	v_cmp_ne_u32_e32 vcc_lo, 1, v1
	s_cbranch_vccnz .LBB112_199
; %bb.11:
	s_wait_loadcnt 0xf
	v_cmp_neq_f64_e32 vcc_lo, v[98:99], v[102:103]
	v_cmp_neq_f64_e64 s0, v[100:101], v[104:105]
	s_or_b32 s14, vcc_lo, s0
	s_cbranch_execnz .LBB112_13
.LBB112_12:
	s_wait_loadcnt 0xf
	v_cmp_eq_f64_e32 vcc_lo, v[98:99], v[102:103]
	v_cmp_eq_f64_e64 s0, v[100:101], v[104:105]
	s_and_not1_b32 s14, s14, exec_lo
	s_and_b32 s0, vcc_lo, s0
	s_delay_alu instid0(SALU_CYCLE_1) | instskip(NEXT) | instid1(SALU_CYCLE_1)
	s_and_b32 s0, s0, exec_lo
	s_or_b32 s14, s14, s0
.LBB112_13:
	v_cmp_ne_u32_e32 vcc_lo, 1, v1
	s_cbranch_vccnz .LBB112_200
; %bb.14:
	s_wait_loadcnt 0x8
	v_cmp_neq_f64_e32 vcc_lo, v[90:91], v[94:95]
	v_cmp_neq_f64_e64 s0, v[92:93], v[96:97]
	s_or_b32 s15, vcc_lo, s0
	s_cbranch_execnz .LBB112_16
.LBB112_15:
	s_wait_loadcnt 0x8
	v_cmp_eq_f64_e32 vcc_lo, v[90:91], v[94:95]
	v_cmp_eq_f64_e64 s0, v[92:93], v[96:97]
	s_and_not1_b32 s15, s15, exec_lo
	s_and_b32 s0, vcc_lo, s0
	s_delay_alu instid0(SALU_CYCLE_1) | instskip(NEXT) | instid1(SALU_CYCLE_1)
	s_and_b32 s0, s0, exec_lo
	s_or_b32 s15, s15, s0
.LBB112_16:
	v_cmp_ne_u32_e32 vcc_lo, 1, v1
	s_cbranch_vccnz .LBB112_201
; %bb.17:
	s_wait_loadcnt 0x9
	v_cmp_neq_f64_e32 vcc_lo, v[82:83], v[86:87]
	v_cmp_neq_f64_e64 s0, v[84:85], v[88:89]
	s_or_b32 s16, vcc_lo, s0
	s_cbranch_execnz .LBB112_19
.LBB112_18:
	s_wait_loadcnt 0x9
	v_cmp_eq_f64_e32 vcc_lo, v[82:83], v[86:87]
	v_cmp_eq_f64_e64 s0, v[84:85], v[88:89]
	s_and_not1_b32 s16, s16, exec_lo
	s_and_b32 s0, vcc_lo, s0
	s_delay_alu instid0(SALU_CYCLE_1) | instskip(NEXT) | instid1(SALU_CYCLE_1)
	s_and_b32 s0, s0, exec_lo
	s_or_b32 s16, s16, s0
.LBB112_19:
	v_cmp_ne_u32_e32 vcc_lo, 1, v1
	s_cbranch_vccnz .LBB112_202
; %bb.20:
	s_wait_loadcnt 0xa
	v_cmp_neq_f64_e32 vcc_lo, v[74:75], v[78:79]
	v_cmp_neq_f64_e64 s0, v[76:77], v[80:81]
	s_or_b32 s17, vcc_lo, s0
	s_cbranch_execnz .LBB112_22
.LBB112_21:
	s_wait_loadcnt 0xa
	v_cmp_eq_f64_e32 vcc_lo, v[74:75], v[78:79]
	v_cmp_eq_f64_e64 s0, v[76:77], v[80:81]
	s_and_not1_b32 s17, s17, exec_lo
	s_and_b32 s0, vcc_lo, s0
	s_delay_alu instid0(SALU_CYCLE_1) | instskip(NEXT) | instid1(SALU_CYCLE_1)
	s_and_b32 s0, s0, exec_lo
	s_or_b32 s17, s17, s0
.LBB112_22:
	v_cmp_ne_u32_e32 vcc_lo, 1, v1
	s_cbranch_vccnz .LBB112_203
; %bb.23:
	s_wait_loadcnt 0xb
	v_cmp_neq_f64_e32 vcc_lo, v[66:67], v[70:71]
	v_cmp_neq_f64_e64 s0, v[68:69], v[72:73]
	s_or_b32 s19, vcc_lo, s0
	s_cbranch_execnz .LBB112_25
.LBB112_24:
	s_wait_loadcnt 0xb
	v_cmp_eq_f64_e32 vcc_lo, v[66:67], v[70:71]
	v_cmp_eq_f64_e64 s0, v[68:69], v[72:73]
	s_and_not1_b32 s18, s19, exec_lo
	s_and_b32 s0, vcc_lo, s0
	s_delay_alu instid0(SALU_CYCLE_1) | instskip(NEXT) | instid1(SALU_CYCLE_1)
	s_and_b32 s0, s0, exec_lo
	s_or_b32 s19, s18, s0
.LBB112_25:
	v_cmp_ne_u32_e32 vcc_lo, 1, v1
	s_cbranch_vccnz .LBB112_204
; %bb.26:
	s_wait_loadcnt 0x4
	v_cmp_neq_f64_e32 vcc_lo, v[58:59], v[62:63]
	v_cmp_neq_f64_e64 s0, v[60:61], v[64:65]
	s_or_b32 s18, vcc_lo, s0
	s_cbranch_execnz .LBB112_28
.LBB112_27:
	s_wait_loadcnt 0x4
	v_cmp_eq_f64_e32 vcc_lo, v[58:59], v[62:63]
	v_cmp_eq_f64_e64 s0, v[60:61], v[64:65]
	s_and_not1_b32 s18, s18, exec_lo
	s_and_b32 s0, vcc_lo, s0
	s_delay_alu instid0(SALU_CYCLE_1) | instskip(NEXT) | instid1(SALU_CYCLE_1)
	s_and_b32 s0, s0, exec_lo
	s_or_b32 s18, s18, s0
.LBB112_28:
	v_cmp_ne_u32_e32 vcc_lo, 1, v1
	s_cbranch_vccnz .LBB112_205
; %bb.29:
	s_wait_loadcnt 0x5
	v_cmp_neq_f64_e32 vcc_lo, v[50:51], v[54:55]
	v_cmp_neq_f64_e64 s0, v[52:53], v[56:57]
	s_or_b32 s20, vcc_lo, s0
	s_cbranch_execnz .LBB112_31
.LBB112_30:
	s_wait_loadcnt 0x5
	v_cmp_eq_f64_e32 vcc_lo, v[50:51], v[54:55]
	v_cmp_eq_f64_e64 s0, v[52:53], v[56:57]
	s_and_not1_b32 s20, s20, exec_lo
	s_and_b32 s0, vcc_lo, s0
	s_delay_alu instid0(SALU_CYCLE_1) | instskip(NEXT) | instid1(SALU_CYCLE_1)
	s_and_b32 s0, s0, exec_lo
	s_or_b32 s20, s20, s0
.LBB112_31:
	v_cmp_ne_u32_e32 vcc_lo, 1, v1
	s_cbranch_vccnz .LBB112_206
; %bb.32:
	s_wait_loadcnt 0x6
	v_cmp_neq_f64_e32 vcc_lo, v[42:43], v[46:47]
	v_cmp_neq_f64_e64 s0, v[44:45], v[48:49]
	s_or_b32 s21, vcc_lo, s0
	s_cbranch_execnz .LBB112_34
.LBB112_33:
	s_wait_loadcnt 0x6
	v_cmp_eq_f64_e32 vcc_lo, v[42:43], v[46:47]
	v_cmp_eq_f64_e64 s0, v[44:45], v[48:49]
	s_and_not1_b32 s21, s21, exec_lo
	s_and_b32 s0, vcc_lo, s0
	s_delay_alu instid0(SALU_CYCLE_1) | instskip(NEXT) | instid1(SALU_CYCLE_1)
	s_and_b32 s0, s0, exec_lo
	s_or_b32 s21, s21, s0
.LBB112_34:
	v_cmp_ne_u32_e32 vcc_lo, 1, v1
	s_cbranch_vccnz .LBB112_207
; %bb.35:
	s_wait_loadcnt 0x7
	v_cmp_neq_f64_e32 vcc_lo, v[34:35], v[38:39]
	v_cmp_neq_f64_e64 s0, v[36:37], v[40:41]
	s_or_b32 s22, vcc_lo, s0
	s_cbranch_execnz .LBB112_37
.LBB112_36:
	s_wait_loadcnt 0x7
	v_cmp_eq_f64_e32 vcc_lo, v[34:35], v[38:39]
	v_cmp_eq_f64_e64 s0, v[36:37], v[40:41]
	s_and_not1_b32 s22, s22, exec_lo
	s_and_b32 s0, vcc_lo, s0
	s_delay_alu instid0(SALU_CYCLE_1) | instskip(NEXT) | instid1(SALU_CYCLE_1)
	s_and_b32 s0, s0, exec_lo
	s_or_b32 s22, s22, s0
.LBB112_37:
	v_cmp_ne_u32_e32 vcc_lo, 1, v1
	s_cbranch_vccnz .LBB112_208
; %bb.38:
	s_wait_loadcnt 0x0
	v_cmp_neq_f64_e32 vcc_lo, v[26:27], v[30:31]
	v_cmp_neq_f64_e64 s0, v[28:29], v[32:33]
	s_or_b32 s23, vcc_lo, s0
	s_cbranch_execnz .LBB112_40
.LBB112_39:
	s_wait_loadcnt 0x0
	v_cmp_eq_f64_e32 vcc_lo, v[26:27], v[30:31]
	v_cmp_eq_f64_e64 s0, v[28:29], v[32:33]
	s_and_not1_b32 s23, s23, exec_lo
	s_and_b32 s0, vcc_lo, s0
	s_delay_alu instid0(SALU_CYCLE_1) | instskip(NEXT) | instid1(SALU_CYCLE_1)
	s_and_b32 s0, s0, exec_lo
	s_or_b32 s23, s23, s0
.LBB112_40:
	v_cmp_ne_u32_e32 vcc_lo, 1, v1
	s_cbranch_vccnz .LBB112_209
; %bb.41:
	s_wait_loadcnt 0x1
	v_cmp_neq_f64_e32 vcc_lo, v[18:19], v[22:23]
	v_cmp_neq_f64_e64 s0, v[20:21], v[24:25]
	s_or_b32 s24, vcc_lo, s0
	s_cbranch_execnz .LBB112_43
.LBB112_42:
	s_wait_loadcnt 0x1
	v_cmp_eq_f64_e32 vcc_lo, v[18:19], v[22:23]
	v_cmp_eq_f64_e64 s0, v[20:21], v[24:25]
	s_and_not1_b32 s24, s24, exec_lo
	s_and_b32 s0, vcc_lo, s0
	s_delay_alu instid0(SALU_CYCLE_1) | instskip(NEXT) | instid1(SALU_CYCLE_1)
	s_and_b32 s0, s0, exec_lo
	s_or_b32 s24, s24, s0
.LBB112_43:
	v_cmp_ne_u32_e32 vcc_lo, 1, v1
	s_cbranch_vccnz .LBB112_210
; %bb.44:
	s_wait_loadcnt 0x2
	v_cmp_neq_f64_e32 vcc_lo, v[10:11], v[14:15]
	v_cmp_neq_f64_e64 s0, v[12:13], v[16:17]
	s_or_b32 s25, vcc_lo, s0
	s_cbranch_execnz .LBB112_46
.LBB112_45:
	s_wait_loadcnt 0x2
	v_cmp_eq_f64_e32 vcc_lo, v[10:11], v[14:15]
	v_cmp_eq_f64_e64 s0, v[12:13], v[16:17]
	s_and_not1_b32 s25, s25, exec_lo
	s_and_b32 s0, vcc_lo, s0
	s_delay_alu instid0(SALU_CYCLE_1) | instskip(NEXT) | instid1(SALU_CYCLE_1)
	s_and_b32 s0, s0, exec_lo
	s_or_b32 s25, s25, s0
.LBB112_46:
	v_cmp_ne_u32_e32 vcc_lo, 1, v1
	s_cbranch_vccnz .LBB112_211
; %bb.47:
	s_wait_loadcnt 0x3
	v_cmp_neq_f64_e32 vcc_lo, v[2:3], v[6:7]
	v_cmp_neq_f64_e64 s0, v[4:5], v[8:9]
	s_or_b32 s26, vcc_lo, s0
	s_cbranch_execnz .LBB112_49
.LBB112_48:
	s_wait_loadcnt 0x3
	v_cmp_eq_f64_e32 vcc_lo, v[2:3], v[6:7]
	v_cmp_eq_f64_e64 s0, v[4:5], v[8:9]
	s_and_not1_b32 s26, s26, exec_lo
	s_and_b32 s0, vcc_lo, s0
	s_delay_alu instid0(SALU_CYCLE_1) | instskip(NEXT) | instid1(SALU_CYCLE_1)
	s_and_b32 s0, s0, exec_lo
	s_or_b32 s26, s26, s0
.LBB112_49:
	v_cndmask_b32_e64 v1, 0, 1, s16
	s_wait_loadcnt 0x13
	v_cndmask_b32_e64 v2, 0, 1, s19
	v_cndmask_b32_e64 v4, 0, 1, s12
	;; [unrolled: 1-line block ×4, first 2 shown]
	v_lshlrev_b16 v1, 8, v1
	v_lshlrev_b16 v2, 8, v2
	s_wait_loadcnt 0x3
	v_cndmask_b32_e64 v6, 0, 1, s1
	v_lshlrev_b16 v4, 8, v4
	v_cndmask_b32_e64 v7, 0, 1, s26
	v_cndmask_b32_e64 v8, 0, 1, s20
	v_or_b32_e32 v2, v5, v2
	v_or_b32_e32 v1, v3, v1
	;; [unrolled: 1-line block ×3, first 2 shown]
	v_cndmask_b32_e64 v4, 0, 1, s14
	v_cndmask_b32_e64 v5, 0, 1, s24
	;; [unrolled: 1-line block ×4, first 2 shown]
	v_and_b32_e32 v6, 0xffff, v3
	v_lshlrev_b16 v3, 8, v4
	v_cndmask_b32_e64 v4, 0, 1, s13
	v_lshlrev_b16 v5, 8, v5
	v_lshlrev_b16 v7, 8, v7
	v_cndmask_b32_e64 v11, 0, 1, s25
	v_lshlrev_b16 v8, 8, v8
	v_cndmask_b32_e64 v12, 0, 1, s18
	;; [unrolled: 2-line block ×3, first 2 shown]
	v_or_b32_e32 v3, v4, v3
	v_or_b32_e32 v4, v9, v5
	v_or_b32_e32 v5, v11, v7
	v_or_b32_e32 v7, v12, v8
	v_or_b32_e32 v8, v13, v10
	s_add_nc_u64 s[12:13], s[4:5], s[2:3]
	v_and_b32_e32 v4, 0xffff, v4
	v_lshlrev_b32_e32 v5, 16, v5
	v_and_b32_e32 v7, 0xffff, v7
	v_dual_lshlrev_b32 v8, 16, v8 :: v_dual_lshlrev_b32 v9, 16, v3
	v_lshlrev_b32_e32 v2, 16, v2
	v_and_b32_e32 v1, 0xffff, v1
	v_or_b32_e32 v5, v4, v5
	s_delay_alu instid0(VALU_DEP_4) | instskip(SKIP_1) | instid1(VALU_DEP_3)
	v_or_b32_e32 v4, v7, v8
	s_mov_b32 s0, 0
	v_or_b32_e32 v3, v1, v2
	v_or_b32_e32 v2, v6, v9
	global_store_b128 v0, v[2:5], s[12:13] scale_offset
.LBB112_50:
	s_and_b32 vcc_lo, exec_lo, s0
	s_cbranch_vccz .LBB112_195
; %bb.51:
	v_mov_b64_e32 v[90:91], 0
	v_mov_b64_e32 v[126:127], 0
	v_mov_b64_e32 v[128:129], 0
	v_mov_b64_e32 v[122:123], 0
	v_mov_b64_e32 v[124:125], 0
	v_cmp_gt_i32_e64 s0, s8, v0
	v_dual_mov_b32 v131, v0 :: v_dual_bitop2_b32 v1, s2, v0 bitop3:0x54
	v_or_b32_e32 v130, 0x100, v0
	s_wait_xcnt 0x0
	s_and_saveexec_b32 s1, s0
	s_cbranch_execz .LBB112_53
; %bb.52:
	s_clause 0x1
	global_load_b128 v[122:125], v1, s[6:7] scale_offset
	global_load_b128 v[126:129], v1, s[10:11] scale_offset
	v_or_b32_e32 v131, 0x100, v0
.LBB112_53:
	s_wait_xcnt 0x0
	s_or_b32 exec_lo, exec_lo, s1
	v_mov_b64_e32 v[92:93], 0
	v_mov_b64_e32 v[118:119], 0
	v_mov_b64_e32 v[120:121], 0
	s_mov_b32 s1, exec_lo
	v_cmpx_gt_i32_e64 s8, v131
	s_cbranch_execz .LBB112_55
; %bb.54:
	v_add_nc_u32_e32 v2, s2, v131
	v_add_nc_u32_e32 v131, 0x100, v131
	s_clause 0x1
	global_load_b128 v[118:121], v2, s[6:7] scale_offset
	global_load_b128 v[90:93], v2, s[10:11] scale_offset
.LBB112_55:
	s_wait_xcnt 0x0
	s_or_b32 exec_lo, exec_lo, s1
	v_mov_b64_e32 v[74:75], 0
	v_mov_b64_e32 v[114:115], 0
	v_mov_b64_e32 v[116:117], 0
	v_mov_b64_e32 v[110:111], 0
	v_mov_b64_e32 v[112:113], 0
	s_mov_b32 s1, exec_lo
	v_cmpx_gt_i32_e64 s8, v131
	s_cbranch_execz .LBB112_57
; %bb.56:
	v_add_nc_u32_e32 v2, s2, v131
	v_add_nc_u32_e32 v131, 0x100, v131
	s_clause 0x1
	global_load_b128 v[110:113], v2, s[6:7] scale_offset
	global_load_b128 v[114:117], v2, s[10:11] scale_offset
.LBB112_57:
	s_wait_xcnt 0x0
	s_or_b32 exec_lo, exec_lo, s1
	v_mov_b64_e32 v[76:77], 0
	v_mov_b64_e32 v[106:107], 0
	v_mov_b64_e32 v[108:109], 0
	s_mov_b32 s1, exec_lo
	v_cmpx_gt_i32_e64 s8, v131
	s_cbranch_execz .LBB112_59
; %bb.58:
	v_add_nc_u32_e32 v2, s2, v131
	v_add_nc_u32_e32 v131, 0x100, v131
	s_clause 0x1
	global_load_b128 v[106:109], v2, s[6:7] scale_offset
	global_load_b128 v[74:77], v2, s[10:11] scale_offset
.LBB112_59:
	s_wait_xcnt 0x0
	s_or_b32 exec_lo, exec_lo, s1
	v_mov_b64_e32 v[58:59], 0
	v_mov_b64_e32 v[102:103], 0
	v_mov_b64_e32 v[104:105], 0
	v_mov_b64_e32 v[98:99], 0
	v_mov_b64_e32 v[100:101], 0
	s_mov_b32 s1, exec_lo
	v_cmpx_gt_i32_e64 s8, v131
	s_cbranch_execz .LBB112_61
; %bb.60:
	v_add_nc_u32_e32 v2, s2, v131
	v_add_nc_u32_e32 v131, 0x100, v131
	s_clause 0x1
	global_load_b128 v[98:101], v2, s[6:7] scale_offset
	global_load_b128 v[102:105], v2, s[10:11] scale_offset
.LBB112_61:
	;; [unrolled: 32-line block ×6, first 2 shown]
	s_wait_xcnt 0x0
	s_or_b32 exec_lo, exec_lo, s1
	v_mov_b64_e32 v[8:9], 0
	s_wait_loadcnt 0x0
	v_mov_b64_e32 v[30:31], 0
	v_mov_b64_e32 v[32:33], 0
	s_mov_b32 s1, exec_lo
	v_cmpx_gt_i32_e64 s8, v131
	s_cbranch_execz .LBB112_79
; %bb.78:
	v_add_nc_u32_e32 v2, s2, v131
	v_add_nc_u32_e32 v131, 0x100, v131
	s_clause 0x1
	global_load_b128 v[30:33], v2, s[6:7] scale_offset
	global_load_b128 v[6:9], v2, s[10:11] scale_offset
.LBB112_79:
	s_wait_xcnt 0x0
	s_or_b32 exec_lo, exec_lo, s1
	v_mov_b64_e32 v[2:3], 0
	v_mov_b64_e32 v[22:23], 0
	;; [unrolled: 1-line block ×5, first 2 shown]
	s_mov_b32 s1, exec_lo
	v_cmpx_gt_i32_e64 s8, v131
	s_cbranch_execz .LBB112_81
; %bb.80:
	v_add_nc_u32_e32 v4, s2, v131
	v_add_nc_u32_e32 v131, 0x100, v131
	s_clause 0x1
	global_load_b128 v[18:21], v4, s[6:7] scale_offset
	global_load_b128 v[22:25], v4, s[10:11] scale_offset
.LBB112_81:
	s_wait_xcnt 0x0
	s_or_b32 exec_lo, exec_lo, s1
	v_mov_b64_e32 v[4:5], 0
	v_mov_b64_e32 v[14:15], 0
	;; [unrolled: 1-line block ×3, first 2 shown]
	s_mov_b32 s1, exec_lo
	v_cmpx_gt_i32_e64 s8, v131
	s_cbranch_execz .LBB112_83
; %bb.82:
	v_add_nc_u32_e32 v131, s2, v131
	s_clause 0x1
	global_load_b128 v[14:17], v131, s[6:7] scale_offset
	global_load_b128 v[2:5], v131, s[10:11] scale_offset
.LBB112_83:
	s_wait_xcnt 0x0
	s_or_b32 exec_lo, exec_lo, s1
	s_cmp_lg_u32 s9, 0
                                        ; implicit-def: $vgpr131
	s_cselect_b32 s3, -1, 0
	s_and_saveexec_b32 s6, s0
	s_cbranch_execz .LBB112_88
; %bb.84:
	s_and_b32 vcc_lo, exec_lo, s3
	s_cbranch_vccz .LBB112_212
; %bb.85:
	v_cmp_neq_f64_e32 vcc_lo, v[122:123], v[126:127]
	v_cmp_neq_f64_e64 s1, v[124:125], v[128:129]
	s_or_b32 s7, vcc_lo, s1
	s_cbranch_execnz .LBB112_87
.LBB112_86:
	v_cmp_eq_f64_e32 vcc_lo, v[122:123], v[126:127]
	v_cmp_eq_f64_e64 s1, v[124:125], v[128:129]
	s_and_not1_b32 s7, s7, exec_lo
	s_and_b32 s1, vcc_lo, s1
	s_delay_alu instid0(SALU_CYCLE_1) | instskip(NEXT) | instid1(SALU_CYCLE_1)
	s_and_b32 s1, s1, exec_lo
	s_or_b32 s7, s7, s1
.LBB112_87:
	s_delay_alu instid0(SALU_CYCLE_1)
	v_cndmask_b32_e64 v131, 0, 1, s7
.LBB112_88:
	s_or_b32 exec_lo, exec_lo, s6
	v_cndmask_b32_e64 v123, 0, 1, s3
	s_mov_b32 s6, exec_lo
                                        ; implicit-def: $vgpr122
	v_cmpx_gt_i32_e64 s8, v130
	s_cbranch_execz .LBB112_93
; %bb.89:
	s_and_not1_b32 vcc_lo, exec_lo, s3
	s_cbranch_vccnz .LBB112_213
; %bb.90:
	v_cmp_neq_f64_e32 vcc_lo, v[118:119], v[90:91]
	v_cmp_neq_f64_e64 s1, v[120:121], v[92:93]
	s_or_b32 s3, vcc_lo, s1
	s_cbranch_execnz .LBB112_92
.LBB112_91:
	v_cmp_eq_f64_e32 vcc_lo, v[118:119], v[90:91]
	v_cmp_eq_f64_e64 s1, v[120:121], v[92:93]
	s_and_not1_b32 s3, s3, exec_lo
	s_and_b32 s1, vcc_lo, s1
	s_delay_alu instid0(SALU_CYCLE_1) | instskip(NEXT) | instid1(SALU_CYCLE_1)
	s_and_b32 s1, s1, exec_lo
	s_or_b32 s3, s3, s1
.LBB112_92:
	s_delay_alu instid0(SALU_CYCLE_1)
	v_cndmask_b32_e64 v122, 0, 1, s3
.LBB112_93:
	s_or_b32 exec_lo, exec_lo, s6
	v_or_b32_e32 v90, 0x200, v0
	s_delay_alu instid0(VALU_DEP_1)
	v_cmp_gt_i32_e32 vcc_lo, s8, v90
                                        ; implicit-def: $vgpr90
	s_and_saveexec_b32 s3, vcc_lo
	s_cbranch_execz .LBB112_98
; %bb.94:
	v_cmp_ne_u32_e32 vcc_lo, 1, v123
	s_cbranch_vccnz .LBB112_214
; %bb.95:
	v_cmp_neq_f64_e32 vcc_lo, v[110:111], v[114:115]
	v_cmp_neq_f64_e64 s1, v[112:113], v[116:117]
	s_or_b32 s6, vcc_lo, s1
	s_cbranch_execnz .LBB112_97
.LBB112_96:
	v_cmp_eq_f64_e32 vcc_lo, v[110:111], v[114:115]
	v_cmp_eq_f64_e64 s1, v[112:113], v[116:117]
	s_and_not1_b32 s6, s6, exec_lo
	s_and_b32 s1, vcc_lo, s1
	s_delay_alu instid0(SALU_CYCLE_1) | instskip(NEXT) | instid1(SALU_CYCLE_1)
	s_and_b32 s1, s1, exec_lo
	s_or_b32 s6, s6, s1
.LBB112_97:
	s_delay_alu instid0(SALU_CYCLE_1)
	v_cndmask_b32_e64 v90, 0, 1, s6
.LBB112_98:
	s_or_b32 exec_lo, exec_lo, s3
	v_or_b32_e32 v91, 0x300, v0
	s_delay_alu instid0(VALU_DEP_1)
	v_cmp_gt_i32_e32 vcc_lo, s8, v91
                                        ; implicit-def: $vgpr91
	s_and_saveexec_b32 s3, vcc_lo
	s_cbranch_execz .LBB112_103
; %bb.99:
	v_cmp_ne_u32_e32 vcc_lo, 1, v123
	s_cbranch_vccnz .LBB112_215
; %bb.100:
	v_cmp_neq_f64_e32 vcc_lo, v[106:107], v[74:75]
	v_cmp_neq_f64_e64 s1, v[108:109], v[76:77]
	s_or_b32 s6, vcc_lo, s1
	s_cbranch_execnz .LBB112_102
.LBB112_101:
	v_cmp_eq_f64_e32 vcc_lo, v[106:107], v[74:75]
	v_cmp_eq_f64_e64 s1, v[108:109], v[76:77]
	s_and_not1_b32 s6, s6, exec_lo
	s_and_b32 s1, vcc_lo, s1
	s_delay_alu instid0(SALU_CYCLE_1) | instskip(NEXT) | instid1(SALU_CYCLE_1)
	s_and_b32 s1, s1, exec_lo
	s_or_b32 s6, s6, s1
.LBB112_102:
	s_delay_alu instid0(SALU_CYCLE_1)
	v_cndmask_b32_e64 v91, 0, 1, s6
.LBB112_103:
	s_or_b32 exec_lo, exec_lo, s3
	v_or_b32_e32 v74, 0x400, v0
	s_delay_alu instid0(VALU_DEP_1)
	v_cmp_gt_i32_e32 vcc_lo, s8, v74
                                        ; implicit-def: $vgpr74
	s_and_saveexec_b32 s3, vcc_lo
	s_cbranch_execz .LBB112_108
; %bb.104:
	v_cmp_ne_u32_e32 vcc_lo, 1, v123
	s_cbranch_vccnz .LBB112_216
; %bb.105:
	v_cmp_neq_f64_e32 vcc_lo, v[98:99], v[102:103]
	v_cmp_neq_f64_e64 s1, v[100:101], v[104:105]
	s_or_b32 s6, vcc_lo, s1
	s_cbranch_execnz .LBB112_107
.LBB112_106:
	v_cmp_eq_f64_e32 vcc_lo, v[98:99], v[102:103]
	v_cmp_eq_f64_e64 s1, v[100:101], v[104:105]
	s_and_not1_b32 s6, s6, exec_lo
	s_and_b32 s1, vcc_lo, s1
	s_delay_alu instid0(SALU_CYCLE_1) | instskip(NEXT) | instid1(SALU_CYCLE_1)
	s_and_b32 s1, s1, exec_lo
	s_or_b32 s6, s6, s1
.LBB112_107:
	s_delay_alu instid0(SALU_CYCLE_1)
	v_cndmask_b32_e64 v74, 0, 1, s6
.LBB112_108:
	s_or_b32 exec_lo, exec_lo, s3
	v_or_b32_e32 v75, 0x500, v0
	s_delay_alu instid0(VALU_DEP_1)
	v_cmp_gt_i32_e32 vcc_lo, s8, v75
                                        ; implicit-def: $vgpr75
	s_and_saveexec_b32 s3, vcc_lo
	s_cbranch_execz .LBB112_113
; %bb.109:
	v_cmp_ne_u32_e32 vcc_lo, 1, v123
	s_cbranch_vccnz .LBB112_217
; %bb.110:
	v_cmp_neq_f64_e32 vcc_lo, v[94:95], v[58:59]
	v_cmp_neq_f64_e64 s1, v[96:97], v[60:61]
	s_or_b32 s6, vcc_lo, s1
	s_cbranch_execnz .LBB112_112
.LBB112_111:
	v_cmp_eq_f64_e32 vcc_lo, v[94:95], v[58:59]
	v_cmp_eq_f64_e64 s1, v[96:97], v[60:61]
	s_and_not1_b32 s6, s6, exec_lo
	s_and_b32 s1, vcc_lo, s1
	s_delay_alu instid0(SALU_CYCLE_1) | instskip(NEXT) | instid1(SALU_CYCLE_1)
	s_and_b32 s1, s1, exec_lo
	s_or_b32 s6, s6, s1
.LBB112_112:
	s_delay_alu instid0(SALU_CYCLE_1)
	v_cndmask_b32_e64 v75, 0, 1, s6
.LBB112_113:
	s_or_b32 exec_lo, exec_lo, s3
	v_or_b32_e32 v58, 0x600, v0
	s_delay_alu instid0(VALU_DEP_1)
	v_cmp_gt_i32_e32 vcc_lo, s8, v58
                                        ; implicit-def: $vgpr58
	s_and_saveexec_b32 s3, vcc_lo
	s_cbranch_execz .LBB112_118
; %bb.114:
	v_cmp_ne_u32_e32 vcc_lo, 1, v123
	s_cbranch_vccnz .LBB112_218
; %bb.115:
	v_cmp_neq_f64_e32 vcc_lo, v[82:83], v[86:87]
	v_cmp_neq_f64_e64 s1, v[84:85], v[88:89]
	s_or_b32 s6, vcc_lo, s1
	s_cbranch_execnz .LBB112_117
.LBB112_116:
	v_cmp_eq_f64_e32 vcc_lo, v[82:83], v[86:87]
	v_cmp_eq_f64_e64 s1, v[84:85], v[88:89]
	s_and_not1_b32 s6, s6, exec_lo
	s_and_b32 s1, vcc_lo, s1
	s_delay_alu instid0(SALU_CYCLE_1) | instskip(NEXT) | instid1(SALU_CYCLE_1)
	s_and_b32 s1, s1, exec_lo
	s_or_b32 s6, s6, s1
.LBB112_117:
	s_delay_alu instid0(SALU_CYCLE_1)
	v_cndmask_b32_e64 v58, 0, 1, s6
.LBB112_118:
	s_or_b32 exec_lo, exec_lo, s3
	v_or_b32_e32 v59, 0x700, v0
	s_delay_alu instid0(VALU_DEP_1)
	v_cmp_gt_i32_e32 vcc_lo, s8, v59
                                        ; implicit-def: $vgpr59
	s_and_saveexec_b32 s3, vcc_lo
	s_cbranch_execz .LBB112_123
; %bb.119:
	v_cmp_ne_u32_e32 vcc_lo, 1, v123
	s_cbranch_vccnz .LBB112_219
; %bb.120:
	v_cmp_neq_f64_e32 vcc_lo, v[78:79], v[42:43]
	v_cmp_neq_f64_e64 s1, v[80:81], v[44:45]
	s_or_b32 s6, vcc_lo, s1
	s_cbranch_execnz .LBB112_122
.LBB112_121:
	v_cmp_eq_f64_e32 vcc_lo, v[78:79], v[42:43]
	v_cmp_eq_f64_e64 s1, v[80:81], v[44:45]
	s_and_not1_b32 s6, s6, exec_lo
	s_and_b32 s1, vcc_lo, s1
	s_delay_alu instid0(SALU_CYCLE_1) | instskip(NEXT) | instid1(SALU_CYCLE_1)
	s_and_b32 s1, s1, exec_lo
	s_or_b32 s6, s6, s1
.LBB112_122:
	s_delay_alu instid0(SALU_CYCLE_1)
	v_cndmask_b32_e64 v59, 0, 1, s6
.LBB112_123:
	s_or_b32 exec_lo, exec_lo, s3
	v_or_b32_e32 v42, 0x800, v0
	s_delay_alu instid0(VALU_DEP_1)
	v_cmp_gt_i32_e32 vcc_lo, s8, v42
                                        ; implicit-def: $vgpr42
	s_and_saveexec_b32 s3, vcc_lo
	s_cbranch_execz .LBB112_128
; %bb.124:
	v_cmp_ne_u32_e32 vcc_lo, 1, v123
	s_cbranch_vccnz .LBB112_220
; %bb.125:
	v_cmp_neq_f64_e32 vcc_lo, v[66:67], v[70:71]
	v_cmp_neq_f64_e64 s1, v[68:69], v[72:73]
	s_or_b32 s6, vcc_lo, s1
	s_cbranch_execnz .LBB112_127
.LBB112_126:
	v_cmp_eq_f64_e32 vcc_lo, v[66:67], v[70:71]
	v_cmp_eq_f64_e64 s1, v[68:69], v[72:73]
	s_and_not1_b32 s6, s6, exec_lo
	s_and_b32 s1, vcc_lo, s1
	s_delay_alu instid0(SALU_CYCLE_1) | instskip(NEXT) | instid1(SALU_CYCLE_1)
	s_and_b32 s1, s1, exec_lo
	s_or_b32 s6, s6, s1
.LBB112_127:
	s_delay_alu instid0(SALU_CYCLE_1)
	v_cndmask_b32_e64 v42, 0, 1, s6
.LBB112_128:
	s_or_b32 exec_lo, exec_lo, s3
	v_or_b32_e32 v43, 0x900, v0
	s_delay_alu instid0(VALU_DEP_1)
	v_cmp_gt_i32_e32 vcc_lo, s8, v43
                                        ; implicit-def: $vgpr43
	s_and_saveexec_b32 s3, vcc_lo
	s_cbranch_execz .LBB112_133
; %bb.129:
	v_cmp_ne_u32_e32 vcc_lo, 1, v123
	s_cbranch_vccnz .LBB112_221
; %bb.130:
	v_cmp_neq_f64_e32 vcc_lo, v[62:63], v[26:27]
	v_cmp_neq_f64_e64 s1, v[64:65], v[28:29]
	s_or_b32 s6, vcc_lo, s1
	s_cbranch_execnz .LBB112_132
.LBB112_131:
	v_cmp_eq_f64_e32 vcc_lo, v[62:63], v[26:27]
	v_cmp_eq_f64_e64 s1, v[64:65], v[28:29]
	s_and_not1_b32 s6, s6, exec_lo
	s_and_b32 s1, vcc_lo, s1
	s_delay_alu instid0(SALU_CYCLE_1) | instskip(NEXT) | instid1(SALU_CYCLE_1)
	s_and_b32 s1, s1, exec_lo
	s_or_b32 s6, s6, s1
.LBB112_132:
	s_delay_alu instid0(SALU_CYCLE_1)
	v_cndmask_b32_e64 v43, 0, 1, s6
.LBB112_133:
	s_or_b32 exec_lo, exec_lo, s3
	v_or_b32_e32 v26, 0xa00, v0
	s_delay_alu instid0(VALU_DEP_1)
	v_cmp_gt_i32_e32 vcc_lo, s8, v26
                                        ; implicit-def: $vgpr26
	s_and_saveexec_b32 s3, vcc_lo
	s_cbranch_execz .LBB112_138
; %bb.134:
	v_cmp_ne_u32_e32 vcc_lo, 1, v123
	s_cbranch_vccnz .LBB112_222
; %bb.135:
	v_cmp_neq_f64_e32 vcc_lo, v[50:51], v[54:55]
	v_cmp_neq_f64_e64 s1, v[52:53], v[56:57]
	s_or_b32 s6, vcc_lo, s1
	s_cbranch_execnz .LBB112_137
.LBB112_136:
	v_cmp_eq_f64_e32 vcc_lo, v[50:51], v[54:55]
	v_cmp_eq_f64_e64 s1, v[52:53], v[56:57]
	s_and_not1_b32 s6, s6, exec_lo
	s_and_b32 s1, vcc_lo, s1
	s_delay_alu instid0(SALU_CYCLE_1) | instskip(NEXT) | instid1(SALU_CYCLE_1)
	s_and_b32 s1, s1, exec_lo
	s_or_b32 s6, s6, s1
.LBB112_137:
	s_delay_alu instid0(SALU_CYCLE_1)
	v_cndmask_b32_e64 v26, 0, 1, s6
.LBB112_138:
	s_or_b32 exec_lo, exec_lo, s3
	v_or_b32_e32 v27, 0xb00, v0
	s_delay_alu instid0(VALU_DEP_1)
	v_cmp_gt_i32_e32 vcc_lo, s8, v27
                                        ; implicit-def: $vgpr27
	s_and_saveexec_b32 s3, vcc_lo
	s_cbranch_execz .LBB112_143
; %bb.139:
	v_cmp_ne_u32_e32 vcc_lo, 1, v123
	s_cbranch_vccnz .LBB112_223
; %bb.140:
	v_cmp_neq_f64_e32 vcc_lo, v[46:47], v[10:11]
	v_cmp_neq_f64_e64 s1, v[48:49], v[12:13]
	s_or_b32 s6, vcc_lo, s1
	s_cbranch_execnz .LBB112_142
.LBB112_141:
	v_cmp_eq_f64_e32 vcc_lo, v[46:47], v[10:11]
	v_cmp_eq_f64_e64 s1, v[48:49], v[12:13]
	s_and_not1_b32 s6, s6, exec_lo
	s_and_b32 s1, vcc_lo, s1
	s_delay_alu instid0(SALU_CYCLE_1) | instskip(NEXT) | instid1(SALU_CYCLE_1)
	s_and_b32 s1, s1, exec_lo
	s_or_b32 s6, s6, s1
.LBB112_142:
	s_delay_alu instid0(SALU_CYCLE_1)
	v_cndmask_b32_e64 v27, 0, 1, s6
.LBB112_143:
	s_or_b32 exec_lo, exec_lo, s3
	v_or_b32_e32 v10, 0xc00, v0
	s_delay_alu instid0(VALU_DEP_1)
	v_cmp_gt_i32_e32 vcc_lo, s8, v10
                                        ; implicit-def: $vgpr10
	s_and_saveexec_b32 s3, vcc_lo
	s_cbranch_execz .LBB112_148
; %bb.144:
	v_cmp_ne_u32_e32 vcc_lo, 1, v123
	s_cbranch_vccnz .LBB112_224
; %bb.145:
	v_cmp_neq_f64_e32 vcc_lo, v[34:35], v[38:39]
	v_cmp_neq_f64_e64 s1, v[36:37], v[40:41]
	s_or_b32 s6, vcc_lo, s1
	s_cbranch_execnz .LBB112_147
.LBB112_146:
	v_cmp_eq_f64_e32 vcc_lo, v[34:35], v[38:39]
	v_cmp_eq_f64_e64 s1, v[36:37], v[40:41]
	s_and_not1_b32 s6, s6, exec_lo
	s_and_b32 s1, vcc_lo, s1
	s_delay_alu instid0(SALU_CYCLE_1) | instskip(NEXT) | instid1(SALU_CYCLE_1)
	s_and_b32 s1, s1, exec_lo
	s_or_b32 s6, s6, s1
.LBB112_147:
	s_delay_alu instid0(SALU_CYCLE_1)
	v_cndmask_b32_e64 v10, 0, 1, s6
.LBB112_148:
	s_or_b32 exec_lo, exec_lo, s3
	v_or_b32_e32 v11, 0xd00, v0
	s_delay_alu instid0(VALU_DEP_1)
	v_cmp_gt_i32_e32 vcc_lo, s8, v11
                                        ; implicit-def: $vgpr11
	s_and_saveexec_b32 s3, vcc_lo
	s_cbranch_execz .LBB112_153
; %bb.149:
	v_cmp_ne_u32_e32 vcc_lo, 1, v123
	s_cbranch_vccnz .LBB112_225
; %bb.150:
	s_wait_loadcnt 0x0
	v_cmp_neq_f64_e32 vcc_lo, v[30:31], v[6:7]
	v_cmp_neq_f64_e64 s1, v[32:33], v[8:9]
	s_or_b32 s6, vcc_lo, s1
	s_cbranch_execnz .LBB112_152
.LBB112_151:
	s_wait_loadcnt 0x0
	v_cmp_eq_f64_e32 vcc_lo, v[30:31], v[6:7]
	v_cmp_eq_f64_e64 s1, v[32:33], v[8:9]
	s_and_not1_b32 s6, s6, exec_lo
	s_and_b32 s1, vcc_lo, s1
	s_delay_alu instid0(SALU_CYCLE_1) | instskip(NEXT) | instid1(SALU_CYCLE_1)
	s_and_b32 s1, s1, exec_lo
	s_or_b32 s6, s6, s1
.LBB112_152:
	s_delay_alu instid0(SALU_CYCLE_1)
	v_cndmask_b32_e64 v11, 0, 1, s6
.LBB112_153:
	s_or_b32 exec_lo, exec_lo, s3
	s_wait_loadcnt 0x0
	v_or_b32_e32 v6, 0xe00, v0
	s_delay_alu instid0(VALU_DEP_1)
	v_cmp_gt_i32_e32 vcc_lo, s8, v6
                                        ; implicit-def: $vgpr6
	s_and_saveexec_b32 s3, vcc_lo
	s_cbranch_execz .LBB112_158
; %bb.154:
	v_cmp_ne_u32_e32 vcc_lo, 1, v123
	s_cbranch_vccnz .LBB112_226
; %bb.155:
	v_cmp_neq_f64_e32 vcc_lo, v[18:19], v[22:23]
	v_cmp_neq_f64_e64 s1, v[20:21], v[24:25]
	s_or_b32 s6, vcc_lo, s1
	s_cbranch_execnz .LBB112_157
.LBB112_156:
	v_cmp_eq_f64_e32 vcc_lo, v[18:19], v[22:23]
	v_cmp_eq_f64_e64 s1, v[20:21], v[24:25]
	s_and_not1_b32 s6, s6, exec_lo
	s_and_b32 s1, vcc_lo, s1
	s_delay_alu instid0(SALU_CYCLE_1) | instskip(NEXT) | instid1(SALU_CYCLE_1)
	s_and_b32 s1, s1, exec_lo
	s_or_b32 s6, s6, s1
.LBB112_157:
	s_delay_alu instid0(SALU_CYCLE_1)
	v_cndmask_b32_e64 v6, 0, 1, s6
.LBB112_158:
	s_or_b32 exec_lo, exec_lo, s3
	v_or_b32_e32 v7, 0xf00, v0
	s_delay_alu instid0(VALU_DEP_1)
	v_cmp_gt_i32_e32 vcc_lo, s8, v7
                                        ; implicit-def: $vgpr7
	s_and_saveexec_b32 s3, vcc_lo
	s_cbranch_execz .LBB112_163
; %bb.159:
	v_cmp_ne_u32_e32 vcc_lo, 1, v123
	s_cbranch_vccnz .LBB112_227
; %bb.160:
	v_cmp_neq_f64_e32 vcc_lo, v[14:15], v[2:3]
	v_cmp_neq_f64_e64 s1, v[16:17], v[4:5]
	s_or_b32 s6, vcc_lo, s1
	s_cbranch_execnz .LBB112_162
.LBB112_161:
	v_cmp_eq_f64_e32 vcc_lo, v[14:15], v[2:3]
	v_cmp_eq_f64_e64 s1, v[16:17], v[4:5]
	s_and_not1_b32 s6, s6, exec_lo
	s_and_b32 s1, vcc_lo, s1
	s_delay_alu instid0(SALU_CYCLE_1) | instskip(NEXT) | instid1(SALU_CYCLE_1)
	s_and_b32 s1, s1, exec_lo
	s_or_b32 s6, s6, s1
.LBB112_162:
	s_delay_alu instid0(SALU_CYCLE_1)
	v_cndmask_b32_e64 v7, 0, 1, s6
.LBB112_163:
	s_or_b32 exec_lo, exec_lo, s3
	s_and_saveexec_b32 s1, s0
	s_delay_alu instid0(SALU_CYCLE_1)
	s_xor_b32 s0, exec_lo, s1
	s_cbranch_execz .LBB112_165
; %bb.164:
	v_mov_b32_e32 v0, v130
	global_store_b8 v1, v131, s[4:5]
.LBB112_165:
	s_wait_xcnt 0x0
	s_or_b32 exec_lo, exec_lo, s0
	s_delay_alu instid0(SALU_CYCLE_1)
	s_mov_b32 s0, exec_lo
	v_cmpx_gt_i32_e64 s8, v0
	s_cbranch_execnz .LBB112_181
; %bb.166:
	s_or_b32 exec_lo, exec_lo, s0
	s_delay_alu instid0(SALU_CYCLE_1)
	s_mov_b32 s0, exec_lo
	v_cmpx_gt_i32_e64 s8, v0
	s_cbranch_execnz .LBB112_182
.LBB112_167:
	s_or_b32 exec_lo, exec_lo, s0
	s_delay_alu instid0(SALU_CYCLE_1)
	s_mov_b32 s0, exec_lo
	v_cmpx_gt_i32_e64 s8, v0
	s_cbranch_execnz .LBB112_183
.LBB112_168:
	s_or_b32 exec_lo, exec_lo, s0
	s_delay_alu instid0(SALU_CYCLE_1)
	s_mov_b32 s0, exec_lo
	v_cmpx_gt_i32_e64 s8, v0
	s_cbranch_execnz .LBB112_184
.LBB112_169:
	s_or_b32 exec_lo, exec_lo, s0
	s_delay_alu instid0(SALU_CYCLE_1)
	s_mov_b32 s0, exec_lo
	v_cmpx_gt_i32_e64 s8, v0
	s_cbranch_execnz .LBB112_185
.LBB112_170:
	s_or_b32 exec_lo, exec_lo, s0
	s_delay_alu instid0(SALU_CYCLE_1)
	s_mov_b32 s0, exec_lo
	v_cmpx_gt_i32_e64 s8, v0
	s_cbranch_execnz .LBB112_186
.LBB112_171:
	s_or_b32 exec_lo, exec_lo, s0
	s_delay_alu instid0(SALU_CYCLE_1)
	s_mov_b32 s0, exec_lo
	v_cmpx_gt_i32_e64 s8, v0
	s_cbranch_execnz .LBB112_187
.LBB112_172:
	s_or_b32 exec_lo, exec_lo, s0
	s_delay_alu instid0(SALU_CYCLE_1)
	s_mov_b32 s0, exec_lo
	v_cmpx_gt_i32_e64 s8, v0
	s_cbranch_execnz .LBB112_188
.LBB112_173:
	s_or_b32 exec_lo, exec_lo, s0
	s_delay_alu instid0(SALU_CYCLE_1)
	s_mov_b32 s0, exec_lo
	v_cmpx_gt_i32_e64 s8, v0
	s_cbranch_execnz .LBB112_189
.LBB112_174:
	s_or_b32 exec_lo, exec_lo, s0
	s_delay_alu instid0(SALU_CYCLE_1)
	s_mov_b32 s0, exec_lo
	v_cmpx_gt_i32_e64 s8, v0
	s_cbranch_execnz .LBB112_190
.LBB112_175:
	s_or_b32 exec_lo, exec_lo, s0
	s_delay_alu instid0(SALU_CYCLE_1)
	s_mov_b32 s0, exec_lo
	v_cmpx_gt_i32_e64 s8, v0
	s_cbranch_execnz .LBB112_191
.LBB112_176:
	s_or_b32 exec_lo, exec_lo, s0
	s_delay_alu instid0(SALU_CYCLE_1)
	s_mov_b32 s0, exec_lo
	v_cmpx_gt_i32_e64 s8, v0
	s_cbranch_execnz .LBB112_192
.LBB112_177:
	s_or_b32 exec_lo, exec_lo, s0
	s_delay_alu instid0(SALU_CYCLE_1)
	s_mov_b32 s0, exec_lo
	v_cmpx_gt_i32_e64 s8, v0
	s_cbranch_execnz .LBB112_193
.LBB112_178:
	s_or_b32 exec_lo, exec_lo, s0
	s_delay_alu instid0(SALU_CYCLE_1)
	s_mov_b32 s0, exec_lo
	v_cmpx_gt_i32_e64 s8, v0
	s_cbranch_execnz .LBB112_194
.LBB112_179:
	s_or_b32 exec_lo, exec_lo, s0
	s_delay_alu instid0(SALU_CYCLE_1)
	s_mov_b32 s0, exec_lo
	v_cmpx_gt_i32_e64 s8, v0
	s_cbranch_execz .LBB112_195
.LBB112_180:
	v_add_nc_u32_e32 v0, s2, v0
	global_store_b8 v0, v7, s[4:5]
	s_sendmsg sendmsg(MSG_DEALLOC_VGPRS)
	s_endpgm
.LBB112_181:
	v_add_nc_u32_e32 v1, s2, v0
	v_add_nc_u32_e32 v0, 0x100, v0
	global_store_b8 v1, v122, s[4:5]
	s_wait_xcnt 0x0
	s_or_b32 exec_lo, exec_lo, s0
	s_delay_alu instid0(SALU_CYCLE_1)
	s_mov_b32 s0, exec_lo
	v_cmpx_gt_i32_e64 s8, v0
	s_cbranch_execz .LBB112_167
.LBB112_182:
	v_add_nc_u32_e32 v1, s2, v0
	v_add_nc_u32_e32 v0, 0x100, v0
	global_store_b8 v1, v90, s[4:5]
	s_wait_xcnt 0x0
	s_or_b32 exec_lo, exec_lo, s0
	s_delay_alu instid0(SALU_CYCLE_1)
	s_mov_b32 s0, exec_lo
	v_cmpx_gt_i32_e64 s8, v0
	s_cbranch_execz .LBB112_168
.LBB112_183:
	v_add_nc_u32_e32 v1, s2, v0
	v_add_nc_u32_e32 v0, 0x100, v0
	global_store_b8 v1, v91, s[4:5]
	s_wait_xcnt 0x0
	s_or_b32 exec_lo, exec_lo, s0
	s_delay_alu instid0(SALU_CYCLE_1)
	s_mov_b32 s0, exec_lo
	v_cmpx_gt_i32_e64 s8, v0
	s_cbranch_execz .LBB112_169
.LBB112_184:
	v_add_nc_u32_e32 v1, s2, v0
	v_add_nc_u32_e32 v0, 0x100, v0
	global_store_b8 v1, v74, s[4:5]
	s_wait_xcnt 0x0
	s_or_b32 exec_lo, exec_lo, s0
	s_delay_alu instid0(SALU_CYCLE_1)
	s_mov_b32 s0, exec_lo
	v_cmpx_gt_i32_e64 s8, v0
	s_cbranch_execz .LBB112_170
.LBB112_185:
	v_add_nc_u32_e32 v1, s2, v0
	v_add_nc_u32_e32 v0, 0x100, v0
	global_store_b8 v1, v75, s[4:5]
	s_wait_xcnt 0x0
	s_or_b32 exec_lo, exec_lo, s0
	s_delay_alu instid0(SALU_CYCLE_1)
	s_mov_b32 s0, exec_lo
	v_cmpx_gt_i32_e64 s8, v0
	s_cbranch_execz .LBB112_171
.LBB112_186:
	v_add_nc_u32_e32 v1, s2, v0
	v_add_nc_u32_e32 v0, 0x100, v0
	global_store_b8 v1, v58, s[4:5]
	s_wait_xcnt 0x0
	s_or_b32 exec_lo, exec_lo, s0
	s_delay_alu instid0(SALU_CYCLE_1)
	s_mov_b32 s0, exec_lo
	v_cmpx_gt_i32_e64 s8, v0
	s_cbranch_execz .LBB112_172
.LBB112_187:
	v_add_nc_u32_e32 v1, s2, v0
	v_add_nc_u32_e32 v0, 0x100, v0
	global_store_b8 v1, v59, s[4:5]
	s_wait_xcnt 0x0
	s_or_b32 exec_lo, exec_lo, s0
	s_delay_alu instid0(SALU_CYCLE_1)
	s_mov_b32 s0, exec_lo
	v_cmpx_gt_i32_e64 s8, v0
	s_cbranch_execz .LBB112_173
.LBB112_188:
	v_add_nc_u32_e32 v1, s2, v0
	v_add_nc_u32_e32 v0, 0x100, v0
	global_store_b8 v1, v42, s[4:5]
	s_wait_xcnt 0x0
	s_or_b32 exec_lo, exec_lo, s0
	s_delay_alu instid0(SALU_CYCLE_1)
	s_mov_b32 s0, exec_lo
	v_cmpx_gt_i32_e64 s8, v0
	s_cbranch_execz .LBB112_174
.LBB112_189:
	v_add_nc_u32_e32 v1, s2, v0
	v_add_nc_u32_e32 v0, 0x100, v0
	global_store_b8 v1, v43, s[4:5]
	s_wait_xcnt 0x0
	s_or_b32 exec_lo, exec_lo, s0
	s_delay_alu instid0(SALU_CYCLE_1)
	s_mov_b32 s0, exec_lo
	v_cmpx_gt_i32_e64 s8, v0
	s_cbranch_execz .LBB112_175
.LBB112_190:
	v_add_nc_u32_e32 v1, s2, v0
	v_add_nc_u32_e32 v0, 0x100, v0
	global_store_b8 v1, v26, s[4:5]
	s_wait_xcnt 0x0
	s_or_b32 exec_lo, exec_lo, s0
	s_delay_alu instid0(SALU_CYCLE_1)
	s_mov_b32 s0, exec_lo
	v_cmpx_gt_i32_e64 s8, v0
	s_cbranch_execz .LBB112_176
.LBB112_191:
	v_add_nc_u32_e32 v1, s2, v0
	v_add_nc_u32_e32 v0, 0x100, v0
	global_store_b8 v1, v27, s[4:5]
	s_wait_xcnt 0x0
	s_or_b32 exec_lo, exec_lo, s0
	s_delay_alu instid0(SALU_CYCLE_1)
	s_mov_b32 s0, exec_lo
	v_cmpx_gt_i32_e64 s8, v0
	s_cbranch_execz .LBB112_177
.LBB112_192:
	v_add_nc_u32_e32 v1, s2, v0
	v_add_nc_u32_e32 v0, 0x100, v0
	global_store_b8 v1, v10, s[4:5]
	s_wait_xcnt 0x0
	s_or_b32 exec_lo, exec_lo, s0
	s_delay_alu instid0(SALU_CYCLE_1)
	s_mov_b32 s0, exec_lo
	v_cmpx_gt_i32_e64 s8, v0
	s_cbranch_execz .LBB112_178
.LBB112_193:
	v_add_nc_u32_e32 v1, s2, v0
	v_add_nc_u32_e32 v0, 0x100, v0
	global_store_b8 v1, v11, s[4:5]
	s_wait_xcnt 0x0
	s_or_b32 exec_lo, exec_lo, s0
	s_delay_alu instid0(SALU_CYCLE_1)
	s_mov_b32 s0, exec_lo
	v_cmpx_gt_i32_e64 s8, v0
	s_cbranch_execz .LBB112_179
.LBB112_194:
	v_add_nc_u32_e32 v1, s2, v0
	v_add_nc_u32_e32 v0, 0x100, v0
	global_store_b8 v1, v6, s[4:5]
	s_wait_xcnt 0x0
	s_or_b32 exec_lo, exec_lo, s0
	s_delay_alu instid0(SALU_CYCLE_1)
	s_mov_b32 s0, exec_lo
	v_cmpx_gt_i32_e64 s8, v0
	s_cbranch_execnz .LBB112_180
.LBB112_195:
	s_sendmsg sendmsg(MSG_DEALLOC_VGPRS)
	s_endpgm
.LBB112_196:
	s_wait_xcnt 0x0
                                        ; implicit-def: $sgpr1
	s_branch .LBB112_3
.LBB112_197:
                                        ; implicit-def: $sgpr12
	s_branch .LBB112_6
.LBB112_198:
                                        ; implicit-def: $sgpr13
	s_branch .LBB112_9
.LBB112_199:
                                        ; implicit-def: $sgpr14
	s_branch .LBB112_12
.LBB112_200:
                                        ; implicit-def: $sgpr15
	s_branch .LBB112_15
.LBB112_201:
                                        ; implicit-def: $sgpr16
	s_branch .LBB112_18
.LBB112_202:
                                        ; implicit-def: $sgpr17
	s_branch .LBB112_21
.LBB112_203:
                                        ; implicit-def: $sgpr19
	s_branch .LBB112_24
.LBB112_204:
                                        ; implicit-def: $sgpr18
	s_branch .LBB112_27
.LBB112_205:
                                        ; implicit-def: $sgpr20
	s_branch .LBB112_30
.LBB112_206:
                                        ; implicit-def: $sgpr21
	s_branch .LBB112_33
.LBB112_207:
                                        ; implicit-def: $sgpr22
	s_branch .LBB112_36
.LBB112_208:
                                        ; implicit-def: $sgpr23
	s_branch .LBB112_39
.LBB112_209:
                                        ; implicit-def: $sgpr24
	s_branch .LBB112_42
.LBB112_210:
                                        ; implicit-def: $sgpr25
	s_branch .LBB112_45
.LBB112_211:
                                        ; implicit-def: $sgpr26
	s_branch .LBB112_48
.LBB112_212:
                                        ; implicit-def: $sgpr7
	s_branch .LBB112_86
.LBB112_213:
                                        ; implicit-def: $sgpr3
	s_branch .LBB112_91
.LBB112_214:
                                        ; implicit-def: $sgpr6
	s_branch .LBB112_96
.LBB112_215:
                                        ; implicit-def: $sgpr6
	s_branch .LBB112_101
.LBB112_216:
                                        ; implicit-def: $sgpr6
	s_branch .LBB112_106
.LBB112_217:
                                        ; implicit-def: $sgpr6
	s_branch .LBB112_111
.LBB112_218:
                                        ; implicit-def: $sgpr6
	s_branch .LBB112_116
.LBB112_219:
                                        ; implicit-def: $sgpr6
	s_branch .LBB112_121
.LBB112_220:
                                        ; implicit-def: $sgpr6
	s_branch .LBB112_126
.LBB112_221:
                                        ; implicit-def: $sgpr6
	s_branch .LBB112_131
.LBB112_222:
                                        ; implicit-def: $sgpr6
	s_branch .LBB112_136
.LBB112_223:
                                        ; implicit-def: $sgpr6
	s_branch .LBB112_141
.LBB112_224:
                                        ; implicit-def: $sgpr6
	s_branch .LBB112_146
.LBB112_225:
                                        ; implicit-def: $sgpr6
	s_branch .LBB112_151
.LBB112_226:
                                        ; implicit-def: $sgpr6
	s_branch .LBB112_156
.LBB112_227:
                                        ; implicit-def: $sgpr6
	s_branch .LBB112_161
	.section	.rodata,"a",@progbits
	.p2align	6, 0x0
	.amdhsa_kernel _ZN2at6native29vectorized_elementwise_kernelILi16ENS0_13BinaryFunctorIN3c107complexIdEES5_bNS0_12_GLOBAL__N_116CompareEqFunctorIS5_EEEESt5arrayIPcLm3EEEEviT0_T1_
		.amdhsa_group_segment_fixed_size 0
		.amdhsa_private_segment_fixed_size 0
		.amdhsa_kernarg_size 32
		.amdhsa_user_sgpr_count 2
		.amdhsa_user_sgpr_dispatch_ptr 0
		.amdhsa_user_sgpr_queue_ptr 0
		.amdhsa_user_sgpr_kernarg_segment_ptr 1
		.amdhsa_user_sgpr_dispatch_id 0
		.amdhsa_user_sgpr_kernarg_preload_length 0
		.amdhsa_user_sgpr_kernarg_preload_offset 0
		.amdhsa_user_sgpr_private_segment_size 0
		.amdhsa_wavefront_size32 1
		.amdhsa_uses_dynamic_stack 0
		.amdhsa_enable_private_segment 0
		.amdhsa_system_sgpr_workgroup_id_x 1
		.amdhsa_system_sgpr_workgroup_id_y 0
		.amdhsa_system_sgpr_workgroup_id_z 0
		.amdhsa_system_sgpr_workgroup_info 0
		.amdhsa_system_vgpr_workitem_id 0
		.amdhsa_next_free_vgpr 132
		.amdhsa_next_free_sgpr 27
		.amdhsa_named_barrier_count 0
		.amdhsa_reserve_vcc 1
		.amdhsa_float_round_mode_32 0
		.amdhsa_float_round_mode_16_64 0
		.amdhsa_float_denorm_mode_32 3
		.amdhsa_float_denorm_mode_16_64 3
		.amdhsa_fp16_overflow 0
		.amdhsa_memory_ordered 1
		.amdhsa_forward_progress 1
		.amdhsa_inst_pref_size 49
		.amdhsa_round_robin_scheduling 0
		.amdhsa_exception_fp_ieee_invalid_op 0
		.amdhsa_exception_fp_denorm_src 0
		.amdhsa_exception_fp_ieee_div_zero 0
		.amdhsa_exception_fp_ieee_overflow 0
		.amdhsa_exception_fp_ieee_underflow 0
		.amdhsa_exception_fp_ieee_inexact 0
		.amdhsa_exception_int_div_zero 0
	.end_amdhsa_kernel
	.section	.text._ZN2at6native29vectorized_elementwise_kernelILi16ENS0_13BinaryFunctorIN3c107complexIdEES5_bNS0_12_GLOBAL__N_116CompareEqFunctorIS5_EEEESt5arrayIPcLm3EEEEviT0_T1_,"axG",@progbits,_ZN2at6native29vectorized_elementwise_kernelILi16ENS0_13BinaryFunctorIN3c107complexIdEES5_bNS0_12_GLOBAL__N_116CompareEqFunctorIS5_EEEESt5arrayIPcLm3EEEEviT0_T1_,comdat
.Lfunc_end112:
	.size	_ZN2at6native29vectorized_elementwise_kernelILi16ENS0_13BinaryFunctorIN3c107complexIdEES5_bNS0_12_GLOBAL__N_116CompareEqFunctorIS5_EEEESt5arrayIPcLm3EEEEviT0_T1_, .Lfunc_end112-_ZN2at6native29vectorized_elementwise_kernelILi16ENS0_13BinaryFunctorIN3c107complexIdEES5_bNS0_12_GLOBAL__N_116CompareEqFunctorIS5_EEEESt5arrayIPcLm3EEEEviT0_T1_
                                        ; -- End function
	.set _ZN2at6native29vectorized_elementwise_kernelILi16ENS0_13BinaryFunctorIN3c107complexIdEES5_bNS0_12_GLOBAL__N_116CompareEqFunctorIS5_EEEESt5arrayIPcLm3EEEEviT0_T1_.num_vgpr, 132
	.set _ZN2at6native29vectorized_elementwise_kernelILi16ENS0_13BinaryFunctorIN3c107complexIdEES5_bNS0_12_GLOBAL__N_116CompareEqFunctorIS5_EEEESt5arrayIPcLm3EEEEviT0_T1_.num_agpr, 0
	.set _ZN2at6native29vectorized_elementwise_kernelILi16ENS0_13BinaryFunctorIN3c107complexIdEES5_bNS0_12_GLOBAL__N_116CompareEqFunctorIS5_EEEESt5arrayIPcLm3EEEEviT0_T1_.numbered_sgpr, 27
	.set _ZN2at6native29vectorized_elementwise_kernelILi16ENS0_13BinaryFunctorIN3c107complexIdEES5_bNS0_12_GLOBAL__N_116CompareEqFunctorIS5_EEEESt5arrayIPcLm3EEEEviT0_T1_.num_named_barrier, 0
	.set _ZN2at6native29vectorized_elementwise_kernelILi16ENS0_13BinaryFunctorIN3c107complexIdEES5_bNS0_12_GLOBAL__N_116CompareEqFunctorIS5_EEEESt5arrayIPcLm3EEEEviT0_T1_.private_seg_size, 0
	.set _ZN2at6native29vectorized_elementwise_kernelILi16ENS0_13BinaryFunctorIN3c107complexIdEES5_bNS0_12_GLOBAL__N_116CompareEqFunctorIS5_EEEESt5arrayIPcLm3EEEEviT0_T1_.uses_vcc, 1
	.set _ZN2at6native29vectorized_elementwise_kernelILi16ENS0_13BinaryFunctorIN3c107complexIdEES5_bNS0_12_GLOBAL__N_116CompareEqFunctorIS5_EEEESt5arrayIPcLm3EEEEviT0_T1_.uses_flat_scratch, 0
	.set _ZN2at6native29vectorized_elementwise_kernelILi16ENS0_13BinaryFunctorIN3c107complexIdEES5_bNS0_12_GLOBAL__N_116CompareEqFunctorIS5_EEEESt5arrayIPcLm3EEEEviT0_T1_.has_dyn_sized_stack, 0
	.set _ZN2at6native29vectorized_elementwise_kernelILi16ENS0_13BinaryFunctorIN3c107complexIdEES5_bNS0_12_GLOBAL__N_116CompareEqFunctorIS5_EEEESt5arrayIPcLm3EEEEviT0_T1_.has_recursion, 0
	.set _ZN2at6native29vectorized_elementwise_kernelILi16ENS0_13BinaryFunctorIN3c107complexIdEES5_bNS0_12_GLOBAL__N_116CompareEqFunctorIS5_EEEESt5arrayIPcLm3EEEEviT0_T1_.has_indirect_call, 0
	.section	.AMDGPU.csdata,"",@progbits
; Kernel info:
; codeLenInByte = 6148
; TotalNumSgprs: 29
; NumVgprs: 132
; ScratchSize: 0
; MemoryBound: 1
; FloatMode: 240
; IeeeMode: 1
; LDSByteSize: 0 bytes/workgroup (compile time only)
; SGPRBlocks: 0
; VGPRBlocks: 8
; NumSGPRsForWavesPerEU: 29
; NumVGPRsForWavesPerEU: 132
; NamedBarCnt: 0
; Occupancy: 7
; WaveLimiterHint : 0
; COMPUTE_PGM_RSRC2:SCRATCH_EN: 0
; COMPUTE_PGM_RSRC2:USER_SGPR: 2
; COMPUTE_PGM_RSRC2:TRAP_HANDLER: 0
; COMPUTE_PGM_RSRC2:TGID_X_EN: 1
; COMPUTE_PGM_RSRC2:TGID_Y_EN: 0
; COMPUTE_PGM_RSRC2:TGID_Z_EN: 0
; COMPUTE_PGM_RSRC2:TIDIG_COMP_CNT: 0
	.section	.text._ZN2at6native29vectorized_elementwise_kernelILi8ENS0_13BinaryFunctorIN3c107complexIdEES5_bNS0_12_GLOBAL__N_116CompareEqFunctorIS5_EEEESt5arrayIPcLm3EEEEviT0_T1_,"axG",@progbits,_ZN2at6native29vectorized_elementwise_kernelILi8ENS0_13BinaryFunctorIN3c107complexIdEES5_bNS0_12_GLOBAL__N_116CompareEqFunctorIS5_EEEESt5arrayIPcLm3EEEEviT0_T1_,comdat
	.globl	_ZN2at6native29vectorized_elementwise_kernelILi8ENS0_13BinaryFunctorIN3c107complexIdEES5_bNS0_12_GLOBAL__N_116CompareEqFunctorIS5_EEEESt5arrayIPcLm3EEEEviT0_T1_ ; -- Begin function _ZN2at6native29vectorized_elementwise_kernelILi8ENS0_13BinaryFunctorIN3c107complexIdEES5_bNS0_12_GLOBAL__N_116CompareEqFunctorIS5_EEEESt5arrayIPcLm3EEEEviT0_T1_
	.p2align	8
	.type	_ZN2at6native29vectorized_elementwise_kernelILi8ENS0_13BinaryFunctorIN3c107complexIdEES5_bNS0_12_GLOBAL__N_116CompareEqFunctorIS5_EEEESt5arrayIPcLm3EEEEviT0_T1_,@function
_ZN2at6native29vectorized_elementwise_kernelILi8ENS0_13BinaryFunctorIN3c107complexIdEES5_bNS0_12_GLOBAL__N_116CompareEqFunctorIS5_EEEESt5arrayIPcLm3EEEEviT0_T1_: ; @_ZN2at6native29vectorized_elementwise_kernelILi8ENS0_13BinaryFunctorIN3c107complexIdEES5_bNS0_12_GLOBAL__N_116CompareEqFunctorIS5_EEEESt5arrayIPcLm3EEEEviT0_T1_
; %bb.0:
	s_clause 0x2
	s_load_b64 s[8:9], s[0:1], 0x0
	s_load_b128 s[4:7], s[0:1], 0x8
	s_load_b64 s[10:11], s[0:1], 0x18
	s_wait_xcnt 0x0
	s_bfe_u32 s0, ttmp6, 0x4000c
	s_and_b32 s1, ttmp6, 15
	s_add_co_i32 s0, s0, 1
	s_getreg_b32 s2, hwreg(HW_REG_IB_STS2, 6, 4)
	s_mul_i32 s0, ttmp9, s0
	s_delay_alu instid0(SALU_CYCLE_1) | instskip(SKIP_2) | instid1(SALU_CYCLE_1)
	s_add_co_i32 s1, s1, s0
	s_cmp_eq_u32 s2, 0
	s_cselect_b32 s0, ttmp9, s1
	s_lshl_b32 s2, s0, 12
	s_mov_b32 s0, -1
	s_wait_kmcnt 0x0
	s_sub_co_i32 s8, s8, s2
	s_delay_alu instid0(SALU_CYCLE_1)
	s_cmp_gt_i32 s8, 0xfff
	s_cbranch_scc0 .LBB113_50
; %bb.1:
	s_ashr_i32 s3, s2, 31
	v_lshlrev_b32_e32 v1, 7, v0
	s_lshl_b64 s[0:1], s[2:3], 4
	s_cmp_lg_u32 s9, 0
	s_add_nc_u64 s[12:13], s[6:7], s[0:1]
	s_add_nc_u64 s[0:1], s[10:11], s[0:1]
	s_clause 0x1f
	global_load_b128 v[98:101], v1, s[12:13] offset:48
	global_load_b128 v[106:109], v1, s[12:13] offset:32
	;; [unrolled: 1-line block ×3, first 2 shown]
	global_load_b128 v[122:125], v1, s[12:13]
	global_load_b128 v[66:69], v1, s[12:13] offset:112
	global_load_b128 v[74:77], v1, s[12:13] offset:96
	global_load_b128 v[82:85], v1, s[12:13] offset:80
	global_load_b128 v[90:93], v1, s[12:13] offset:64
	global_load_b128 v[34:37], v1, s[12:13] offset:32816
	global_load_b128 v[42:45], v1, s[12:13] offset:32800
	global_load_b128 v[50:53], v1, s[12:13] offset:32784
	global_load_b128 v[58:61], v1, s[12:13] offset:32768
	global_load_b128 v[2:5], v1, s[12:13] offset:32880
	global_load_b128 v[10:13], v1, s[12:13] offset:32864
	global_load_b128 v[18:21], v1, s[12:13] offset:32848
	global_load_b128 v[26:29], v1, s[12:13] offset:32832
	global_load_b128 v[102:105], v1, s[0:1] offset:48
	global_load_b128 v[110:113], v1, s[0:1] offset:32
	global_load_b128 v[118:121], v1, s[0:1] offset:16
	global_load_b128 v[126:129], v1, s[0:1]
	global_load_b128 v[70:73], v1, s[0:1] offset:112
	global_load_b128 v[78:81], v1, s[0:1] offset:96
	;; [unrolled: 1-line block ×9, first 2 shown]
	; meta instruction
	global_load_b128 v[14:17], v1, s[0:1] offset:32864
	global_load_b128 v[22:25], v1, s[0:1] offset:32848
	;; [unrolled: 1-line block ×3, first 2 shown]
	s_wait_xcnt 0x10
	s_cselect_b32 s12, -1, 0
	s_delay_alu instid0(SALU_CYCLE_1)
	s_and_b32 vcc_lo, exec_lo, s12
	s_cbranch_vccz .LBB113_196
; %bb.2:
	s_wait_loadcnt 0xc
	v_cmp_neq_f64_e32 vcc_lo, v[122:123], v[126:127]
	s_wait_xcnt 0x0
	v_cmp_neq_f64_e64 s0, v[124:125], v[128:129]
	s_or_b32 s1, vcc_lo, s0
	s_cbranch_execnz .LBB113_4
.LBB113_3:
	s_wait_loadcnt 0xc
	v_cmp_eq_f64_e32 vcc_lo, v[122:123], v[126:127]
	v_cmp_eq_f64_e64 s0, v[124:125], v[128:129]
	s_and_not1_b32 s1, s1, exec_lo
	s_and_b32 s0, vcc_lo, s0
	s_delay_alu instid0(SALU_CYCLE_1) | instskip(NEXT) | instid1(SALU_CYCLE_1)
	s_and_b32 s0, s0, exec_lo
	s_or_b32 s1, s1, s0
.LBB113_4:
	v_cndmask_b32_e64 v1, 0, 1, s12
	s_and_not1_b32 vcc_lo, exec_lo, s12
	s_cbranch_vccnz .LBB113_197
; %bb.5:
	s_wait_loadcnt 0xd
	v_cmp_neq_f64_e32 vcc_lo, v[114:115], v[118:119]
	v_cmp_neq_f64_e64 s0, v[116:117], v[120:121]
	s_or_b32 s12, vcc_lo, s0
	s_cbranch_execnz .LBB113_7
.LBB113_6:
	s_wait_loadcnt 0xd
	v_cmp_eq_f64_e32 vcc_lo, v[114:115], v[118:119]
	v_cmp_eq_f64_e64 s0, v[116:117], v[120:121]
	s_and_not1_b32 s12, s12, exec_lo
	s_and_b32 s0, vcc_lo, s0
	s_delay_alu instid0(SALU_CYCLE_1) | instskip(NEXT) | instid1(SALU_CYCLE_1)
	s_and_b32 s0, s0, exec_lo
	s_or_b32 s12, s12, s0
.LBB113_7:
	v_cmp_ne_u32_e32 vcc_lo, 1, v1
	s_cbranch_vccnz .LBB113_198
; %bb.8:
	s_wait_loadcnt 0xe
	v_cmp_neq_f64_e32 vcc_lo, v[106:107], v[110:111]
	v_cmp_neq_f64_e64 s0, v[108:109], v[112:113]
	s_or_b32 s13, vcc_lo, s0
	s_cbranch_execnz .LBB113_10
.LBB113_9:
	s_wait_loadcnt 0xe
	v_cmp_eq_f64_e32 vcc_lo, v[106:107], v[110:111]
	v_cmp_eq_f64_e64 s0, v[108:109], v[112:113]
	s_and_not1_b32 s13, s13, exec_lo
	s_and_b32 s0, vcc_lo, s0
	s_delay_alu instid0(SALU_CYCLE_1) | instskip(NEXT) | instid1(SALU_CYCLE_1)
	s_and_b32 s0, s0, exec_lo
	s_or_b32 s13, s13, s0
.LBB113_10:
	v_cmp_ne_u32_e32 vcc_lo, 1, v1
	s_cbranch_vccnz .LBB113_199
; %bb.11:
	s_wait_loadcnt 0xf
	v_cmp_neq_f64_e32 vcc_lo, v[98:99], v[102:103]
	v_cmp_neq_f64_e64 s0, v[100:101], v[104:105]
	s_or_b32 s14, vcc_lo, s0
	s_cbranch_execnz .LBB113_13
.LBB113_12:
	s_wait_loadcnt 0xf
	v_cmp_eq_f64_e32 vcc_lo, v[98:99], v[102:103]
	v_cmp_eq_f64_e64 s0, v[100:101], v[104:105]
	s_and_not1_b32 s14, s14, exec_lo
	s_and_b32 s0, vcc_lo, s0
	s_delay_alu instid0(SALU_CYCLE_1) | instskip(NEXT) | instid1(SALU_CYCLE_1)
	s_and_b32 s0, s0, exec_lo
	s_or_b32 s14, s14, s0
.LBB113_13:
	v_cmp_ne_u32_e32 vcc_lo, 1, v1
	s_cbranch_vccnz .LBB113_200
; %bb.14:
	s_wait_loadcnt 0x8
	v_cmp_neq_f64_e32 vcc_lo, v[90:91], v[94:95]
	v_cmp_neq_f64_e64 s0, v[92:93], v[96:97]
	s_or_b32 s15, vcc_lo, s0
	s_cbranch_execnz .LBB113_16
.LBB113_15:
	s_wait_loadcnt 0x8
	v_cmp_eq_f64_e32 vcc_lo, v[90:91], v[94:95]
	v_cmp_eq_f64_e64 s0, v[92:93], v[96:97]
	s_and_not1_b32 s15, s15, exec_lo
	s_and_b32 s0, vcc_lo, s0
	s_delay_alu instid0(SALU_CYCLE_1) | instskip(NEXT) | instid1(SALU_CYCLE_1)
	s_and_b32 s0, s0, exec_lo
	s_or_b32 s15, s15, s0
.LBB113_16:
	v_cmp_ne_u32_e32 vcc_lo, 1, v1
	s_cbranch_vccnz .LBB113_201
; %bb.17:
	s_wait_loadcnt 0x9
	v_cmp_neq_f64_e32 vcc_lo, v[82:83], v[86:87]
	v_cmp_neq_f64_e64 s0, v[84:85], v[88:89]
	s_or_b32 s16, vcc_lo, s0
	s_cbranch_execnz .LBB113_19
.LBB113_18:
	s_wait_loadcnt 0x9
	v_cmp_eq_f64_e32 vcc_lo, v[82:83], v[86:87]
	v_cmp_eq_f64_e64 s0, v[84:85], v[88:89]
	s_and_not1_b32 s16, s16, exec_lo
	s_and_b32 s0, vcc_lo, s0
	s_delay_alu instid0(SALU_CYCLE_1) | instskip(NEXT) | instid1(SALU_CYCLE_1)
	s_and_b32 s0, s0, exec_lo
	s_or_b32 s16, s16, s0
.LBB113_19:
	v_cmp_ne_u32_e32 vcc_lo, 1, v1
	s_cbranch_vccnz .LBB113_202
; %bb.20:
	s_wait_loadcnt 0xa
	v_cmp_neq_f64_e32 vcc_lo, v[74:75], v[78:79]
	v_cmp_neq_f64_e64 s0, v[76:77], v[80:81]
	s_or_b32 s17, vcc_lo, s0
	s_cbranch_execnz .LBB113_22
.LBB113_21:
	s_wait_loadcnt 0xa
	v_cmp_eq_f64_e32 vcc_lo, v[74:75], v[78:79]
	v_cmp_eq_f64_e64 s0, v[76:77], v[80:81]
	s_and_not1_b32 s17, s17, exec_lo
	s_and_b32 s0, vcc_lo, s0
	s_delay_alu instid0(SALU_CYCLE_1) | instskip(NEXT) | instid1(SALU_CYCLE_1)
	s_and_b32 s0, s0, exec_lo
	s_or_b32 s17, s17, s0
.LBB113_22:
	v_cmp_ne_u32_e32 vcc_lo, 1, v1
	s_cbranch_vccnz .LBB113_203
; %bb.23:
	s_wait_loadcnt 0xb
	v_cmp_neq_f64_e32 vcc_lo, v[66:67], v[70:71]
	v_cmp_neq_f64_e64 s0, v[68:69], v[72:73]
	s_or_b32 s18, vcc_lo, s0
	s_cbranch_execnz .LBB113_25
.LBB113_24:
	s_wait_loadcnt 0xb
	v_cmp_eq_f64_e32 vcc_lo, v[66:67], v[70:71]
	v_cmp_eq_f64_e64 s0, v[68:69], v[72:73]
	s_and_not1_b32 s18, s18, exec_lo
	s_and_b32 s0, vcc_lo, s0
	s_delay_alu instid0(SALU_CYCLE_1) | instskip(NEXT) | instid1(SALU_CYCLE_1)
	s_and_b32 s0, s0, exec_lo
	s_or_b32 s18, s18, s0
.LBB113_25:
	v_cmp_ne_u32_e32 vcc_lo, 1, v1
	s_cbranch_vccnz .LBB113_204
; %bb.26:
	s_wait_loadcnt 0x4
	v_cmp_neq_f64_e32 vcc_lo, v[58:59], v[62:63]
	v_cmp_neq_f64_e64 s0, v[60:61], v[64:65]
	s_or_b32 s19, vcc_lo, s0
	s_cbranch_execnz .LBB113_28
.LBB113_27:
	s_wait_loadcnt 0x4
	v_cmp_eq_f64_e32 vcc_lo, v[58:59], v[62:63]
	v_cmp_eq_f64_e64 s0, v[60:61], v[64:65]
	s_and_not1_b32 s19, s19, exec_lo
	s_and_b32 s0, vcc_lo, s0
	s_delay_alu instid0(SALU_CYCLE_1) | instskip(NEXT) | instid1(SALU_CYCLE_1)
	s_and_b32 s0, s0, exec_lo
	s_or_b32 s19, s19, s0
.LBB113_28:
	v_cmp_ne_u32_e32 vcc_lo, 1, v1
	s_cbranch_vccnz .LBB113_205
; %bb.29:
	s_wait_loadcnt 0x5
	v_cmp_neq_f64_e32 vcc_lo, v[50:51], v[54:55]
	v_cmp_neq_f64_e64 s0, v[52:53], v[56:57]
	s_or_b32 s20, vcc_lo, s0
	s_cbranch_execnz .LBB113_31
.LBB113_30:
	s_wait_loadcnt 0x5
	v_cmp_eq_f64_e32 vcc_lo, v[50:51], v[54:55]
	v_cmp_eq_f64_e64 s0, v[52:53], v[56:57]
	s_and_not1_b32 s20, s20, exec_lo
	s_and_b32 s0, vcc_lo, s0
	s_delay_alu instid0(SALU_CYCLE_1) | instskip(NEXT) | instid1(SALU_CYCLE_1)
	s_and_b32 s0, s0, exec_lo
	s_or_b32 s20, s20, s0
.LBB113_31:
	v_cmp_ne_u32_e32 vcc_lo, 1, v1
	s_cbranch_vccnz .LBB113_206
; %bb.32:
	s_wait_loadcnt 0x6
	v_cmp_neq_f64_e32 vcc_lo, v[42:43], v[46:47]
	v_cmp_neq_f64_e64 s0, v[44:45], v[48:49]
	s_or_b32 s21, vcc_lo, s0
	s_cbranch_execnz .LBB113_34
.LBB113_33:
	s_wait_loadcnt 0x6
	v_cmp_eq_f64_e32 vcc_lo, v[42:43], v[46:47]
	v_cmp_eq_f64_e64 s0, v[44:45], v[48:49]
	s_and_not1_b32 s21, s21, exec_lo
	s_and_b32 s0, vcc_lo, s0
	s_delay_alu instid0(SALU_CYCLE_1) | instskip(NEXT) | instid1(SALU_CYCLE_1)
	s_and_b32 s0, s0, exec_lo
	s_or_b32 s21, s21, s0
.LBB113_34:
	v_cmp_ne_u32_e32 vcc_lo, 1, v1
	s_cbranch_vccnz .LBB113_207
; %bb.35:
	s_wait_loadcnt 0x7
	v_cmp_neq_f64_e32 vcc_lo, v[34:35], v[38:39]
	v_cmp_neq_f64_e64 s0, v[36:37], v[40:41]
	s_or_b32 s22, vcc_lo, s0
	s_cbranch_execnz .LBB113_37
.LBB113_36:
	s_wait_loadcnt 0x7
	v_cmp_eq_f64_e32 vcc_lo, v[34:35], v[38:39]
	v_cmp_eq_f64_e64 s0, v[36:37], v[40:41]
	s_and_not1_b32 s22, s22, exec_lo
	s_and_b32 s0, vcc_lo, s0
	s_delay_alu instid0(SALU_CYCLE_1) | instskip(NEXT) | instid1(SALU_CYCLE_1)
	s_and_b32 s0, s0, exec_lo
	s_or_b32 s22, s22, s0
.LBB113_37:
	v_cmp_ne_u32_e32 vcc_lo, 1, v1
	s_cbranch_vccnz .LBB113_208
; %bb.38:
	s_wait_loadcnt 0x0
	v_cmp_neq_f64_e32 vcc_lo, v[26:27], v[30:31]
	v_cmp_neq_f64_e64 s0, v[28:29], v[32:33]
	s_or_b32 s23, vcc_lo, s0
	s_cbranch_execnz .LBB113_40
.LBB113_39:
	s_wait_loadcnt 0x0
	v_cmp_eq_f64_e32 vcc_lo, v[26:27], v[30:31]
	v_cmp_eq_f64_e64 s0, v[28:29], v[32:33]
	s_and_not1_b32 s23, s23, exec_lo
	s_and_b32 s0, vcc_lo, s0
	s_delay_alu instid0(SALU_CYCLE_1) | instskip(NEXT) | instid1(SALU_CYCLE_1)
	s_and_b32 s0, s0, exec_lo
	s_or_b32 s23, s23, s0
.LBB113_40:
	v_cmp_ne_u32_e32 vcc_lo, 1, v1
	s_cbranch_vccnz .LBB113_209
; %bb.41:
	s_wait_loadcnt 0x1
	v_cmp_neq_f64_e32 vcc_lo, v[18:19], v[22:23]
	v_cmp_neq_f64_e64 s0, v[20:21], v[24:25]
	s_or_b32 s24, vcc_lo, s0
	s_cbranch_execnz .LBB113_43
.LBB113_42:
	s_wait_loadcnt 0x1
	v_cmp_eq_f64_e32 vcc_lo, v[18:19], v[22:23]
	v_cmp_eq_f64_e64 s0, v[20:21], v[24:25]
	s_and_not1_b32 s24, s24, exec_lo
	s_and_b32 s0, vcc_lo, s0
	s_delay_alu instid0(SALU_CYCLE_1) | instskip(NEXT) | instid1(SALU_CYCLE_1)
	s_and_b32 s0, s0, exec_lo
	s_or_b32 s24, s24, s0
.LBB113_43:
	v_cmp_ne_u32_e32 vcc_lo, 1, v1
	s_cbranch_vccnz .LBB113_210
; %bb.44:
	s_wait_loadcnt 0x2
	v_cmp_neq_f64_e32 vcc_lo, v[10:11], v[14:15]
	v_cmp_neq_f64_e64 s0, v[12:13], v[16:17]
	s_or_b32 s25, vcc_lo, s0
	s_cbranch_execnz .LBB113_46
.LBB113_45:
	s_wait_loadcnt 0x2
	v_cmp_eq_f64_e32 vcc_lo, v[10:11], v[14:15]
	v_cmp_eq_f64_e64 s0, v[12:13], v[16:17]
	s_and_not1_b32 s25, s25, exec_lo
	s_and_b32 s0, vcc_lo, s0
	s_delay_alu instid0(SALU_CYCLE_1) | instskip(NEXT) | instid1(SALU_CYCLE_1)
	s_and_b32 s0, s0, exec_lo
	s_or_b32 s25, s25, s0
.LBB113_46:
	v_cmp_ne_u32_e32 vcc_lo, 1, v1
	s_cbranch_vccnz .LBB113_211
; %bb.47:
	s_wait_loadcnt 0x3
	v_cmp_neq_f64_e32 vcc_lo, v[2:3], v[6:7]
	v_cmp_neq_f64_e64 s0, v[4:5], v[8:9]
	s_or_b32 s26, vcc_lo, s0
	s_cbranch_execnz .LBB113_49
.LBB113_48:
	s_wait_loadcnt 0x3
	v_cmp_eq_f64_e32 vcc_lo, v[2:3], v[6:7]
	v_cmp_eq_f64_e64 s0, v[4:5], v[8:9]
	s_and_not1_b32 s26, s26, exec_lo
	s_and_b32 s0, vcc_lo, s0
	s_delay_alu instid0(SALU_CYCLE_1) | instskip(NEXT) | instid1(SALU_CYCLE_1)
	s_and_b32 s0, s0, exec_lo
	s_or_b32 s26, s26, s0
.LBB113_49:
	v_cndmask_b32_e64 v1, 0, 0x100, s20
	s_wait_loadcnt 0x13
	v_cndmask_b32_e64 v2, 0, 1, s19
	v_cndmask_b32_e64 v4, 0, 0x100, s12
	v_cndmask_b32_e64 v5, 0, 1, s1
	v_cndmask_b32_e64 v3, 0, 0x10000, s21
	s_wait_loadcnt 0x3
	v_cndmask_b32_e64 v9, 0, 0x1000000, s14
	v_or_b32_e32 v1, v1, v2
	v_cndmask_b32_e64 v2, 0, 0x1000000, s22
	v_or_b32_e32 v4, v4, v5
	v_cndmask_b32_e64 v5, 0, 0x10000, s13
	v_or3_b32 v6, 0, 0, 0
	v_cndmask_b32_e64 v7, 0, 1, s23
	v_cndmask_b32_e64 v8, 0, 0x100, s24
	;; [unrolled: 1-line block ×4, first 2 shown]
	v_or3_b32 v1, v1, v3, v2
	v_or3_b32 v2, v4, v5, v9
	;; [unrolled: 1-line block ×3, first 2 shown]
	v_cndmask_b32_e64 v5, 0, 0x10000, s17
	v_or3_b32 v3, v6, v10, v11
	v_cndmask_b32_e64 v6, 0, 0x1000000, s18
	v_or3_b32 v2, v2, 0, 0
	v_cndmask_b32_e64 v4, 0, 0x10000, s25
	v_cndmask_b32_e64 v8, 0, 0x1000000, s26
	v_or3_b32 v1, v1, 0, 0
	v_or3_b32 v3, v3, v5, v6
	;; [unrolled: 1-line block ×3, first 2 shown]
	s_add_nc_u64 s[12:13], s[4:5], s[2:3]
	v_or3_b32 v5, v7, v4, v8
	v_or3_b32 v4, v1, 0, 0
	s_mov_b32 s0, 0
	s_clause 0x1
	global_store_b64 v0, v[2:3], s[12:13] scale_offset
	global_store_b64 v0, v[4:5], s[12:13] offset:2048 scale_offset
.LBB113_50:
	s_and_b32 vcc_lo, exec_lo, s0
	s_cbranch_vccz .LBB113_195
; %bb.51:
	v_mov_b64_e32 v[90:91], 0
	v_mov_b64_e32 v[126:127], 0
	;; [unrolled: 1-line block ×5, first 2 shown]
	v_cmp_gt_i32_e64 s0, s8, v0
	v_dual_mov_b32 v131, v0 :: v_dual_bitop2_b32 v1, s2, v0 bitop3:0x54
	v_or_b32_e32 v130, 0x100, v0
	s_wait_xcnt 0x0
	s_and_saveexec_b32 s1, s0
	s_cbranch_execz .LBB113_53
; %bb.52:
	s_clause 0x1
	global_load_b128 v[122:125], v1, s[6:7] scale_offset
	global_load_b128 v[126:129], v1, s[10:11] scale_offset
	v_or_b32_e32 v131, 0x100, v0
.LBB113_53:
	s_wait_xcnt 0x0
	s_or_b32 exec_lo, exec_lo, s1
	v_mov_b64_e32 v[92:93], 0
	v_mov_b64_e32 v[118:119], 0
	v_mov_b64_e32 v[120:121], 0
	s_mov_b32 s1, exec_lo
	v_cmpx_gt_i32_e64 s8, v131
	s_cbranch_execz .LBB113_55
; %bb.54:
	v_add_nc_u32_e32 v2, s2, v131
	v_add_nc_u32_e32 v131, 0x100, v131
	s_clause 0x1
	global_load_b128 v[118:121], v2, s[6:7] scale_offset
	global_load_b128 v[90:93], v2, s[10:11] scale_offset
.LBB113_55:
	s_wait_xcnt 0x0
	s_or_b32 exec_lo, exec_lo, s1
	v_mov_b64_e32 v[74:75], 0
	v_mov_b64_e32 v[114:115], 0
	v_mov_b64_e32 v[116:117], 0
	v_mov_b64_e32 v[110:111], 0
	v_mov_b64_e32 v[112:113], 0
	s_mov_b32 s1, exec_lo
	v_cmpx_gt_i32_e64 s8, v131
	s_cbranch_execz .LBB113_57
; %bb.56:
	v_add_nc_u32_e32 v2, s2, v131
	v_add_nc_u32_e32 v131, 0x100, v131
	s_clause 0x1
	global_load_b128 v[110:113], v2, s[6:7] scale_offset
	global_load_b128 v[114:117], v2, s[10:11] scale_offset
.LBB113_57:
	s_wait_xcnt 0x0
	s_or_b32 exec_lo, exec_lo, s1
	v_mov_b64_e32 v[76:77], 0
	v_mov_b64_e32 v[106:107], 0
	v_mov_b64_e32 v[108:109], 0
	s_mov_b32 s1, exec_lo
	v_cmpx_gt_i32_e64 s8, v131
	s_cbranch_execz .LBB113_59
; %bb.58:
	v_add_nc_u32_e32 v2, s2, v131
	v_add_nc_u32_e32 v131, 0x100, v131
	s_clause 0x1
	global_load_b128 v[106:109], v2, s[6:7] scale_offset
	global_load_b128 v[74:77], v2, s[10:11] scale_offset
.LBB113_59:
	s_wait_xcnt 0x0
	s_or_b32 exec_lo, exec_lo, s1
	v_mov_b64_e32 v[58:59], 0
	v_mov_b64_e32 v[102:103], 0
	v_mov_b64_e32 v[104:105], 0
	v_mov_b64_e32 v[98:99], 0
	v_mov_b64_e32 v[100:101], 0
	s_mov_b32 s1, exec_lo
	v_cmpx_gt_i32_e64 s8, v131
	s_cbranch_execz .LBB113_61
; %bb.60:
	v_add_nc_u32_e32 v2, s2, v131
	v_add_nc_u32_e32 v131, 0x100, v131
	s_clause 0x1
	global_load_b128 v[98:101], v2, s[6:7] scale_offset
	global_load_b128 v[102:105], v2, s[10:11] scale_offset
.LBB113_61:
	;; [unrolled: 32-line block ×6, first 2 shown]
	s_wait_xcnt 0x0
	s_or_b32 exec_lo, exec_lo, s1
	v_mov_b64_e32 v[8:9], 0
	s_wait_loadcnt 0x0
	v_mov_b64_e32 v[30:31], 0
	v_mov_b64_e32 v[32:33], 0
	s_mov_b32 s1, exec_lo
	v_cmpx_gt_i32_e64 s8, v131
	s_cbranch_execz .LBB113_79
; %bb.78:
	v_add_nc_u32_e32 v2, s2, v131
	v_add_nc_u32_e32 v131, 0x100, v131
	s_clause 0x1
	global_load_b128 v[30:33], v2, s[6:7] scale_offset
	global_load_b128 v[6:9], v2, s[10:11] scale_offset
.LBB113_79:
	s_wait_xcnt 0x0
	s_or_b32 exec_lo, exec_lo, s1
	v_mov_b64_e32 v[2:3], 0
	v_mov_b64_e32 v[22:23], 0
	;; [unrolled: 1-line block ×5, first 2 shown]
	s_mov_b32 s1, exec_lo
	v_cmpx_gt_i32_e64 s8, v131
	s_cbranch_execz .LBB113_81
; %bb.80:
	v_add_nc_u32_e32 v4, s2, v131
	v_add_nc_u32_e32 v131, 0x100, v131
	s_clause 0x1
	global_load_b128 v[18:21], v4, s[6:7] scale_offset
	global_load_b128 v[22:25], v4, s[10:11] scale_offset
.LBB113_81:
	s_wait_xcnt 0x0
	s_or_b32 exec_lo, exec_lo, s1
	v_mov_b64_e32 v[4:5], 0
	v_mov_b64_e32 v[14:15], 0
	v_mov_b64_e32 v[16:17], 0
	s_mov_b32 s1, exec_lo
	v_cmpx_gt_i32_e64 s8, v131
	s_cbranch_execz .LBB113_83
; %bb.82:
	v_add_nc_u32_e32 v131, s2, v131
	s_clause 0x1
	global_load_b128 v[14:17], v131, s[6:7] scale_offset
	global_load_b128 v[2:5], v131, s[10:11] scale_offset
.LBB113_83:
	s_wait_xcnt 0x0
	s_or_b32 exec_lo, exec_lo, s1
	s_cmp_lg_u32 s9, 0
                                        ; implicit-def: $vgpr131
	s_cselect_b32 s3, -1, 0
	s_and_saveexec_b32 s6, s0
	s_cbranch_execz .LBB113_88
; %bb.84:
	s_and_b32 vcc_lo, exec_lo, s3
	s_cbranch_vccz .LBB113_212
; %bb.85:
	v_cmp_neq_f64_e32 vcc_lo, v[122:123], v[126:127]
	v_cmp_neq_f64_e64 s1, v[124:125], v[128:129]
	s_or_b32 s7, vcc_lo, s1
	s_cbranch_execnz .LBB113_87
.LBB113_86:
	v_cmp_eq_f64_e32 vcc_lo, v[122:123], v[126:127]
	v_cmp_eq_f64_e64 s1, v[124:125], v[128:129]
	s_and_not1_b32 s7, s7, exec_lo
	s_and_b32 s1, vcc_lo, s1
	s_delay_alu instid0(SALU_CYCLE_1) | instskip(NEXT) | instid1(SALU_CYCLE_1)
	s_and_b32 s1, s1, exec_lo
	s_or_b32 s7, s7, s1
.LBB113_87:
	s_delay_alu instid0(SALU_CYCLE_1)
	v_cndmask_b32_e64 v131, 0, 1, s7
.LBB113_88:
	s_or_b32 exec_lo, exec_lo, s6
	v_cndmask_b32_e64 v123, 0, 1, s3
	s_mov_b32 s6, exec_lo
                                        ; implicit-def: $vgpr122
	v_cmpx_gt_i32_e64 s8, v130
	s_cbranch_execz .LBB113_93
; %bb.89:
	s_and_not1_b32 vcc_lo, exec_lo, s3
	s_cbranch_vccnz .LBB113_213
; %bb.90:
	v_cmp_neq_f64_e32 vcc_lo, v[118:119], v[90:91]
	v_cmp_neq_f64_e64 s1, v[120:121], v[92:93]
	s_or_b32 s3, vcc_lo, s1
	s_cbranch_execnz .LBB113_92
.LBB113_91:
	v_cmp_eq_f64_e32 vcc_lo, v[118:119], v[90:91]
	v_cmp_eq_f64_e64 s1, v[120:121], v[92:93]
	s_and_not1_b32 s3, s3, exec_lo
	s_and_b32 s1, vcc_lo, s1
	s_delay_alu instid0(SALU_CYCLE_1) | instskip(NEXT) | instid1(SALU_CYCLE_1)
	s_and_b32 s1, s1, exec_lo
	s_or_b32 s3, s3, s1
.LBB113_92:
	s_delay_alu instid0(SALU_CYCLE_1)
	v_cndmask_b32_e64 v122, 0, 1, s3
.LBB113_93:
	s_or_b32 exec_lo, exec_lo, s6
	v_or_b32_e32 v90, 0x200, v0
	s_delay_alu instid0(VALU_DEP_1)
	v_cmp_gt_i32_e32 vcc_lo, s8, v90
                                        ; implicit-def: $vgpr90
	s_and_saveexec_b32 s3, vcc_lo
	s_cbranch_execz .LBB113_98
; %bb.94:
	v_cmp_ne_u32_e32 vcc_lo, 1, v123
	s_cbranch_vccnz .LBB113_214
; %bb.95:
	v_cmp_neq_f64_e32 vcc_lo, v[110:111], v[114:115]
	v_cmp_neq_f64_e64 s1, v[112:113], v[116:117]
	s_or_b32 s6, vcc_lo, s1
	s_cbranch_execnz .LBB113_97
.LBB113_96:
	v_cmp_eq_f64_e32 vcc_lo, v[110:111], v[114:115]
	v_cmp_eq_f64_e64 s1, v[112:113], v[116:117]
	s_and_not1_b32 s6, s6, exec_lo
	s_and_b32 s1, vcc_lo, s1
	s_delay_alu instid0(SALU_CYCLE_1) | instskip(NEXT) | instid1(SALU_CYCLE_1)
	s_and_b32 s1, s1, exec_lo
	s_or_b32 s6, s6, s1
.LBB113_97:
	s_delay_alu instid0(SALU_CYCLE_1)
	v_cndmask_b32_e64 v90, 0, 1, s6
.LBB113_98:
	s_or_b32 exec_lo, exec_lo, s3
	v_or_b32_e32 v91, 0x300, v0
	s_delay_alu instid0(VALU_DEP_1)
	v_cmp_gt_i32_e32 vcc_lo, s8, v91
                                        ; implicit-def: $vgpr91
	s_and_saveexec_b32 s3, vcc_lo
	s_cbranch_execz .LBB113_103
; %bb.99:
	v_cmp_ne_u32_e32 vcc_lo, 1, v123
	s_cbranch_vccnz .LBB113_215
; %bb.100:
	v_cmp_neq_f64_e32 vcc_lo, v[106:107], v[74:75]
	v_cmp_neq_f64_e64 s1, v[108:109], v[76:77]
	s_or_b32 s6, vcc_lo, s1
	s_cbranch_execnz .LBB113_102
.LBB113_101:
	v_cmp_eq_f64_e32 vcc_lo, v[106:107], v[74:75]
	v_cmp_eq_f64_e64 s1, v[108:109], v[76:77]
	s_and_not1_b32 s6, s6, exec_lo
	s_and_b32 s1, vcc_lo, s1
	s_delay_alu instid0(SALU_CYCLE_1) | instskip(NEXT) | instid1(SALU_CYCLE_1)
	s_and_b32 s1, s1, exec_lo
	s_or_b32 s6, s6, s1
.LBB113_102:
	s_delay_alu instid0(SALU_CYCLE_1)
	v_cndmask_b32_e64 v91, 0, 1, s6
.LBB113_103:
	s_or_b32 exec_lo, exec_lo, s3
	v_or_b32_e32 v74, 0x400, v0
	s_delay_alu instid0(VALU_DEP_1)
	v_cmp_gt_i32_e32 vcc_lo, s8, v74
                                        ; implicit-def: $vgpr74
	s_and_saveexec_b32 s3, vcc_lo
	s_cbranch_execz .LBB113_108
; %bb.104:
	v_cmp_ne_u32_e32 vcc_lo, 1, v123
	s_cbranch_vccnz .LBB113_216
; %bb.105:
	v_cmp_neq_f64_e32 vcc_lo, v[98:99], v[102:103]
	v_cmp_neq_f64_e64 s1, v[100:101], v[104:105]
	s_or_b32 s6, vcc_lo, s1
	s_cbranch_execnz .LBB113_107
.LBB113_106:
	v_cmp_eq_f64_e32 vcc_lo, v[98:99], v[102:103]
	v_cmp_eq_f64_e64 s1, v[100:101], v[104:105]
	s_and_not1_b32 s6, s6, exec_lo
	s_and_b32 s1, vcc_lo, s1
	s_delay_alu instid0(SALU_CYCLE_1) | instskip(NEXT) | instid1(SALU_CYCLE_1)
	s_and_b32 s1, s1, exec_lo
	s_or_b32 s6, s6, s1
.LBB113_107:
	s_delay_alu instid0(SALU_CYCLE_1)
	v_cndmask_b32_e64 v74, 0, 1, s6
.LBB113_108:
	s_or_b32 exec_lo, exec_lo, s3
	v_or_b32_e32 v75, 0x500, v0
	s_delay_alu instid0(VALU_DEP_1)
	v_cmp_gt_i32_e32 vcc_lo, s8, v75
                                        ; implicit-def: $vgpr75
	s_and_saveexec_b32 s3, vcc_lo
	s_cbranch_execz .LBB113_113
; %bb.109:
	v_cmp_ne_u32_e32 vcc_lo, 1, v123
	s_cbranch_vccnz .LBB113_217
; %bb.110:
	v_cmp_neq_f64_e32 vcc_lo, v[94:95], v[58:59]
	v_cmp_neq_f64_e64 s1, v[96:97], v[60:61]
	s_or_b32 s6, vcc_lo, s1
	s_cbranch_execnz .LBB113_112
.LBB113_111:
	v_cmp_eq_f64_e32 vcc_lo, v[94:95], v[58:59]
	v_cmp_eq_f64_e64 s1, v[96:97], v[60:61]
	s_and_not1_b32 s6, s6, exec_lo
	s_and_b32 s1, vcc_lo, s1
	s_delay_alu instid0(SALU_CYCLE_1) | instskip(NEXT) | instid1(SALU_CYCLE_1)
	s_and_b32 s1, s1, exec_lo
	s_or_b32 s6, s6, s1
.LBB113_112:
	s_delay_alu instid0(SALU_CYCLE_1)
	v_cndmask_b32_e64 v75, 0, 1, s6
.LBB113_113:
	s_or_b32 exec_lo, exec_lo, s3
	v_or_b32_e32 v58, 0x600, v0
	s_delay_alu instid0(VALU_DEP_1)
	v_cmp_gt_i32_e32 vcc_lo, s8, v58
                                        ; implicit-def: $vgpr58
	s_and_saveexec_b32 s3, vcc_lo
	s_cbranch_execz .LBB113_118
; %bb.114:
	v_cmp_ne_u32_e32 vcc_lo, 1, v123
	s_cbranch_vccnz .LBB113_218
; %bb.115:
	v_cmp_neq_f64_e32 vcc_lo, v[82:83], v[86:87]
	v_cmp_neq_f64_e64 s1, v[84:85], v[88:89]
	s_or_b32 s6, vcc_lo, s1
	s_cbranch_execnz .LBB113_117
.LBB113_116:
	v_cmp_eq_f64_e32 vcc_lo, v[82:83], v[86:87]
	v_cmp_eq_f64_e64 s1, v[84:85], v[88:89]
	s_and_not1_b32 s6, s6, exec_lo
	s_and_b32 s1, vcc_lo, s1
	s_delay_alu instid0(SALU_CYCLE_1) | instskip(NEXT) | instid1(SALU_CYCLE_1)
	s_and_b32 s1, s1, exec_lo
	s_or_b32 s6, s6, s1
.LBB113_117:
	s_delay_alu instid0(SALU_CYCLE_1)
	v_cndmask_b32_e64 v58, 0, 1, s6
.LBB113_118:
	s_or_b32 exec_lo, exec_lo, s3
	v_or_b32_e32 v59, 0x700, v0
	s_delay_alu instid0(VALU_DEP_1)
	v_cmp_gt_i32_e32 vcc_lo, s8, v59
                                        ; implicit-def: $vgpr59
	s_and_saveexec_b32 s3, vcc_lo
	s_cbranch_execz .LBB113_123
; %bb.119:
	v_cmp_ne_u32_e32 vcc_lo, 1, v123
	s_cbranch_vccnz .LBB113_219
; %bb.120:
	v_cmp_neq_f64_e32 vcc_lo, v[78:79], v[42:43]
	v_cmp_neq_f64_e64 s1, v[80:81], v[44:45]
	s_or_b32 s6, vcc_lo, s1
	s_cbranch_execnz .LBB113_122
.LBB113_121:
	v_cmp_eq_f64_e32 vcc_lo, v[78:79], v[42:43]
	v_cmp_eq_f64_e64 s1, v[80:81], v[44:45]
	s_and_not1_b32 s6, s6, exec_lo
	s_and_b32 s1, vcc_lo, s1
	s_delay_alu instid0(SALU_CYCLE_1) | instskip(NEXT) | instid1(SALU_CYCLE_1)
	s_and_b32 s1, s1, exec_lo
	s_or_b32 s6, s6, s1
.LBB113_122:
	s_delay_alu instid0(SALU_CYCLE_1)
	v_cndmask_b32_e64 v59, 0, 1, s6
.LBB113_123:
	s_or_b32 exec_lo, exec_lo, s3
	v_or_b32_e32 v42, 0x800, v0
	s_delay_alu instid0(VALU_DEP_1)
	v_cmp_gt_i32_e32 vcc_lo, s8, v42
                                        ; implicit-def: $vgpr42
	s_and_saveexec_b32 s3, vcc_lo
	s_cbranch_execz .LBB113_128
; %bb.124:
	v_cmp_ne_u32_e32 vcc_lo, 1, v123
	s_cbranch_vccnz .LBB113_220
; %bb.125:
	v_cmp_neq_f64_e32 vcc_lo, v[66:67], v[70:71]
	v_cmp_neq_f64_e64 s1, v[68:69], v[72:73]
	s_or_b32 s6, vcc_lo, s1
	s_cbranch_execnz .LBB113_127
.LBB113_126:
	v_cmp_eq_f64_e32 vcc_lo, v[66:67], v[70:71]
	v_cmp_eq_f64_e64 s1, v[68:69], v[72:73]
	s_and_not1_b32 s6, s6, exec_lo
	s_and_b32 s1, vcc_lo, s1
	s_delay_alu instid0(SALU_CYCLE_1) | instskip(NEXT) | instid1(SALU_CYCLE_1)
	s_and_b32 s1, s1, exec_lo
	s_or_b32 s6, s6, s1
.LBB113_127:
	s_delay_alu instid0(SALU_CYCLE_1)
	v_cndmask_b32_e64 v42, 0, 1, s6
.LBB113_128:
	s_or_b32 exec_lo, exec_lo, s3
	v_or_b32_e32 v43, 0x900, v0
	s_delay_alu instid0(VALU_DEP_1)
	v_cmp_gt_i32_e32 vcc_lo, s8, v43
                                        ; implicit-def: $vgpr43
	s_and_saveexec_b32 s3, vcc_lo
	s_cbranch_execz .LBB113_133
; %bb.129:
	v_cmp_ne_u32_e32 vcc_lo, 1, v123
	s_cbranch_vccnz .LBB113_221
; %bb.130:
	v_cmp_neq_f64_e32 vcc_lo, v[62:63], v[26:27]
	v_cmp_neq_f64_e64 s1, v[64:65], v[28:29]
	s_or_b32 s6, vcc_lo, s1
	s_cbranch_execnz .LBB113_132
.LBB113_131:
	v_cmp_eq_f64_e32 vcc_lo, v[62:63], v[26:27]
	v_cmp_eq_f64_e64 s1, v[64:65], v[28:29]
	s_and_not1_b32 s6, s6, exec_lo
	s_and_b32 s1, vcc_lo, s1
	s_delay_alu instid0(SALU_CYCLE_1) | instskip(NEXT) | instid1(SALU_CYCLE_1)
	s_and_b32 s1, s1, exec_lo
	s_or_b32 s6, s6, s1
.LBB113_132:
	s_delay_alu instid0(SALU_CYCLE_1)
	v_cndmask_b32_e64 v43, 0, 1, s6
.LBB113_133:
	s_or_b32 exec_lo, exec_lo, s3
	v_or_b32_e32 v26, 0xa00, v0
	s_delay_alu instid0(VALU_DEP_1)
	v_cmp_gt_i32_e32 vcc_lo, s8, v26
                                        ; implicit-def: $vgpr26
	s_and_saveexec_b32 s3, vcc_lo
	s_cbranch_execz .LBB113_138
; %bb.134:
	v_cmp_ne_u32_e32 vcc_lo, 1, v123
	s_cbranch_vccnz .LBB113_222
; %bb.135:
	v_cmp_neq_f64_e32 vcc_lo, v[50:51], v[54:55]
	v_cmp_neq_f64_e64 s1, v[52:53], v[56:57]
	s_or_b32 s6, vcc_lo, s1
	s_cbranch_execnz .LBB113_137
.LBB113_136:
	v_cmp_eq_f64_e32 vcc_lo, v[50:51], v[54:55]
	v_cmp_eq_f64_e64 s1, v[52:53], v[56:57]
	s_and_not1_b32 s6, s6, exec_lo
	s_and_b32 s1, vcc_lo, s1
	s_delay_alu instid0(SALU_CYCLE_1) | instskip(NEXT) | instid1(SALU_CYCLE_1)
	s_and_b32 s1, s1, exec_lo
	s_or_b32 s6, s6, s1
.LBB113_137:
	s_delay_alu instid0(SALU_CYCLE_1)
	v_cndmask_b32_e64 v26, 0, 1, s6
.LBB113_138:
	s_or_b32 exec_lo, exec_lo, s3
	v_or_b32_e32 v27, 0xb00, v0
	s_delay_alu instid0(VALU_DEP_1)
	v_cmp_gt_i32_e32 vcc_lo, s8, v27
                                        ; implicit-def: $vgpr27
	s_and_saveexec_b32 s3, vcc_lo
	s_cbranch_execz .LBB113_143
; %bb.139:
	v_cmp_ne_u32_e32 vcc_lo, 1, v123
	s_cbranch_vccnz .LBB113_223
; %bb.140:
	v_cmp_neq_f64_e32 vcc_lo, v[46:47], v[10:11]
	v_cmp_neq_f64_e64 s1, v[48:49], v[12:13]
	s_or_b32 s6, vcc_lo, s1
	s_cbranch_execnz .LBB113_142
.LBB113_141:
	v_cmp_eq_f64_e32 vcc_lo, v[46:47], v[10:11]
	v_cmp_eq_f64_e64 s1, v[48:49], v[12:13]
	s_and_not1_b32 s6, s6, exec_lo
	s_and_b32 s1, vcc_lo, s1
	s_delay_alu instid0(SALU_CYCLE_1) | instskip(NEXT) | instid1(SALU_CYCLE_1)
	s_and_b32 s1, s1, exec_lo
	s_or_b32 s6, s6, s1
.LBB113_142:
	s_delay_alu instid0(SALU_CYCLE_1)
	v_cndmask_b32_e64 v27, 0, 1, s6
.LBB113_143:
	s_or_b32 exec_lo, exec_lo, s3
	v_or_b32_e32 v10, 0xc00, v0
	s_delay_alu instid0(VALU_DEP_1)
	v_cmp_gt_i32_e32 vcc_lo, s8, v10
                                        ; implicit-def: $vgpr10
	s_and_saveexec_b32 s3, vcc_lo
	s_cbranch_execz .LBB113_148
; %bb.144:
	v_cmp_ne_u32_e32 vcc_lo, 1, v123
	s_cbranch_vccnz .LBB113_224
; %bb.145:
	v_cmp_neq_f64_e32 vcc_lo, v[34:35], v[38:39]
	v_cmp_neq_f64_e64 s1, v[36:37], v[40:41]
	s_or_b32 s6, vcc_lo, s1
	s_cbranch_execnz .LBB113_147
.LBB113_146:
	v_cmp_eq_f64_e32 vcc_lo, v[34:35], v[38:39]
	v_cmp_eq_f64_e64 s1, v[36:37], v[40:41]
	s_and_not1_b32 s6, s6, exec_lo
	s_and_b32 s1, vcc_lo, s1
	s_delay_alu instid0(SALU_CYCLE_1) | instskip(NEXT) | instid1(SALU_CYCLE_1)
	s_and_b32 s1, s1, exec_lo
	s_or_b32 s6, s6, s1
.LBB113_147:
	s_delay_alu instid0(SALU_CYCLE_1)
	v_cndmask_b32_e64 v10, 0, 1, s6
.LBB113_148:
	s_or_b32 exec_lo, exec_lo, s3
	v_or_b32_e32 v11, 0xd00, v0
	s_delay_alu instid0(VALU_DEP_1)
	v_cmp_gt_i32_e32 vcc_lo, s8, v11
                                        ; implicit-def: $vgpr11
	s_and_saveexec_b32 s3, vcc_lo
	s_cbranch_execz .LBB113_153
; %bb.149:
	v_cmp_ne_u32_e32 vcc_lo, 1, v123
	s_cbranch_vccnz .LBB113_225
; %bb.150:
	s_wait_loadcnt 0x0
	v_cmp_neq_f64_e32 vcc_lo, v[30:31], v[6:7]
	v_cmp_neq_f64_e64 s1, v[32:33], v[8:9]
	s_or_b32 s6, vcc_lo, s1
	s_cbranch_execnz .LBB113_152
.LBB113_151:
	s_wait_loadcnt 0x0
	v_cmp_eq_f64_e32 vcc_lo, v[30:31], v[6:7]
	v_cmp_eq_f64_e64 s1, v[32:33], v[8:9]
	s_and_not1_b32 s6, s6, exec_lo
	s_and_b32 s1, vcc_lo, s1
	s_delay_alu instid0(SALU_CYCLE_1) | instskip(NEXT) | instid1(SALU_CYCLE_1)
	s_and_b32 s1, s1, exec_lo
	s_or_b32 s6, s6, s1
.LBB113_152:
	s_delay_alu instid0(SALU_CYCLE_1)
	v_cndmask_b32_e64 v11, 0, 1, s6
.LBB113_153:
	s_or_b32 exec_lo, exec_lo, s3
	s_wait_loadcnt 0x0
	v_or_b32_e32 v6, 0xe00, v0
	s_delay_alu instid0(VALU_DEP_1)
	v_cmp_gt_i32_e32 vcc_lo, s8, v6
                                        ; implicit-def: $vgpr6
	s_and_saveexec_b32 s3, vcc_lo
	s_cbranch_execz .LBB113_158
; %bb.154:
	v_cmp_ne_u32_e32 vcc_lo, 1, v123
	s_cbranch_vccnz .LBB113_226
; %bb.155:
	v_cmp_neq_f64_e32 vcc_lo, v[18:19], v[22:23]
	v_cmp_neq_f64_e64 s1, v[20:21], v[24:25]
	s_or_b32 s6, vcc_lo, s1
	s_cbranch_execnz .LBB113_157
.LBB113_156:
	v_cmp_eq_f64_e32 vcc_lo, v[18:19], v[22:23]
	v_cmp_eq_f64_e64 s1, v[20:21], v[24:25]
	s_and_not1_b32 s6, s6, exec_lo
	s_and_b32 s1, vcc_lo, s1
	s_delay_alu instid0(SALU_CYCLE_1) | instskip(NEXT) | instid1(SALU_CYCLE_1)
	s_and_b32 s1, s1, exec_lo
	s_or_b32 s6, s6, s1
.LBB113_157:
	s_delay_alu instid0(SALU_CYCLE_1)
	v_cndmask_b32_e64 v6, 0, 1, s6
.LBB113_158:
	s_or_b32 exec_lo, exec_lo, s3
	v_or_b32_e32 v7, 0xf00, v0
	s_delay_alu instid0(VALU_DEP_1)
	v_cmp_gt_i32_e32 vcc_lo, s8, v7
                                        ; implicit-def: $vgpr7
	s_and_saveexec_b32 s3, vcc_lo
	s_cbranch_execz .LBB113_163
; %bb.159:
	v_cmp_ne_u32_e32 vcc_lo, 1, v123
	s_cbranch_vccnz .LBB113_227
; %bb.160:
	v_cmp_neq_f64_e32 vcc_lo, v[14:15], v[2:3]
	v_cmp_neq_f64_e64 s1, v[16:17], v[4:5]
	s_or_b32 s6, vcc_lo, s1
	s_cbranch_execnz .LBB113_162
.LBB113_161:
	v_cmp_eq_f64_e32 vcc_lo, v[14:15], v[2:3]
	v_cmp_eq_f64_e64 s1, v[16:17], v[4:5]
	s_and_not1_b32 s6, s6, exec_lo
	s_and_b32 s1, vcc_lo, s1
	s_delay_alu instid0(SALU_CYCLE_1) | instskip(NEXT) | instid1(SALU_CYCLE_1)
	s_and_b32 s1, s1, exec_lo
	s_or_b32 s6, s6, s1
.LBB113_162:
	s_delay_alu instid0(SALU_CYCLE_1)
	v_cndmask_b32_e64 v7, 0, 1, s6
.LBB113_163:
	s_or_b32 exec_lo, exec_lo, s3
	s_and_saveexec_b32 s1, s0
	s_delay_alu instid0(SALU_CYCLE_1)
	s_xor_b32 s0, exec_lo, s1
	s_cbranch_execz .LBB113_165
; %bb.164:
	v_mov_b32_e32 v0, v130
	global_store_b8 v1, v131, s[4:5]
.LBB113_165:
	s_wait_xcnt 0x0
	s_or_b32 exec_lo, exec_lo, s0
	s_delay_alu instid0(SALU_CYCLE_1)
	s_mov_b32 s0, exec_lo
	v_cmpx_gt_i32_e64 s8, v0
	s_cbranch_execnz .LBB113_181
; %bb.166:
	s_or_b32 exec_lo, exec_lo, s0
	s_delay_alu instid0(SALU_CYCLE_1)
	s_mov_b32 s0, exec_lo
	v_cmpx_gt_i32_e64 s8, v0
	s_cbranch_execnz .LBB113_182
.LBB113_167:
	s_or_b32 exec_lo, exec_lo, s0
	s_delay_alu instid0(SALU_CYCLE_1)
	s_mov_b32 s0, exec_lo
	v_cmpx_gt_i32_e64 s8, v0
	s_cbranch_execnz .LBB113_183
.LBB113_168:
	s_or_b32 exec_lo, exec_lo, s0
	s_delay_alu instid0(SALU_CYCLE_1)
	s_mov_b32 s0, exec_lo
	v_cmpx_gt_i32_e64 s8, v0
	s_cbranch_execnz .LBB113_184
.LBB113_169:
	s_or_b32 exec_lo, exec_lo, s0
	s_delay_alu instid0(SALU_CYCLE_1)
	s_mov_b32 s0, exec_lo
	v_cmpx_gt_i32_e64 s8, v0
	s_cbranch_execnz .LBB113_185
.LBB113_170:
	s_or_b32 exec_lo, exec_lo, s0
	s_delay_alu instid0(SALU_CYCLE_1)
	s_mov_b32 s0, exec_lo
	v_cmpx_gt_i32_e64 s8, v0
	s_cbranch_execnz .LBB113_186
.LBB113_171:
	s_or_b32 exec_lo, exec_lo, s0
	s_delay_alu instid0(SALU_CYCLE_1)
	s_mov_b32 s0, exec_lo
	v_cmpx_gt_i32_e64 s8, v0
	s_cbranch_execnz .LBB113_187
.LBB113_172:
	s_or_b32 exec_lo, exec_lo, s0
	s_delay_alu instid0(SALU_CYCLE_1)
	s_mov_b32 s0, exec_lo
	v_cmpx_gt_i32_e64 s8, v0
	s_cbranch_execnz .LBB113_188
.LBB113_173:
	s_or_b32 exec_lo, exec_lo, s0
	s_delay_alu instid0(SALU_CYCLE_1)
	s_mov_b32 s0, exec_lo
	v_cmpx_gt_i32_e64 s8, v0
	s_cbranch_execnz .LBB113_189
.LBB113_174:
	s_or_b32 exec_lo, exec_lo, s0
	s_delay_alu instid0(SALU_CYCLE_1)
	s_mov_b32 s0, exec_lo
	v_cmpx_gt_i32_e64 s8, v0
	s_cbranch_execnz .LBB113_190
.LBB113_175:
	s_or_b32 exec_lo, exec_lo, s0
	s_delay_alu instid0(SALU_CYCLE_1)
	s_mov_b32 s0, exec_lo
	v_cmpx_gt_i32_e64 s8, v0
	s_cbranch_execnz .LBB113_191
.LBB113_176:
	s_or_b32 exec_lo, exec_lo, s0
	s_delay_alu instid0(SALU_CYCLE_1)
	s_mov_b32 s0, exec_lo
	v_cmpx_gt_i32_e64 s8, v0
	s_cbranch_execnz .LBB113_192
.LBB113_177:
	s_or_b32 exec_lo, exec_lo, s0
	s_delay_alu instid0(SALU_CYCLE_1)
	s_mov_b32 s0, exec_lo
	v_cmpx_gt_i32_e64 s8, v0
	s_cbranch_execnz .LBB113_193
.LBB113_178:
	s_or_b32 exec_lo, exec_lo, s0
	s_delay_alu instid0(SALU_CYCLE_1)
	s_mov_b32 s0, exec_lo
	v_cmpx_gt_i32_e64 s8, v0
	s_cbranch_execnz .LBB113_194
.LBB113_179:
	s_or_b32 exec_lo, exec_lo, s0
	s_delay_alu instid0(SALU_CYCLE_1)
	s_mov_b32 s0, exec_lo
	v_cmpx_gt_i32_e64 s8, v0
	s_cbranch_execz .LBB113_195
.LBB113_180:
	v_add_nc_u32_e32 v0, s2, v0
	global_store_b8 v0, v7, s[4:5]
	s_sendmsg sendmsg(MSG_DEALLOC_VGPRS)
	s_endpgm
.LBB113_181:
	v_add_nc_u32_e32 v1, s2, v0
	v_add_nc_u32_e32 v0, 0x100, v0
	global_store_b8 v1, v122, s[4:5]
	s_wait_xcnt 0x0
	s_or_b32 exec_lo, exec_lo, s0
	s_delay_alu instid0(SALU_CYCLE_1)
	s_mov_b32 s0, exec_lo
	v_cmpx_gt_i32_e64 s8, v0
	s_cbranch_execz .LBB113_167
.LBB113_182:
	v_add_nc_u32_e32 v1, s2, v0
	v_add_nc_u32_e32 v0, 0x100, v0
	global_store_b8 v1, v90, s[4:5]
	s_wait_xcnt 0x0
	s_or_b32 exec_lo, exec_lo, s0
	s_delay_alu instid0(SALU_CYCLE_1)
	s_mov_b32 s0, exec_lo
	v_cmpx_gt_i32_e64 s8, v0
	s_cbranch_execz .LBB113_168
.LBB113_183:
	v_add_nc_u32_e32 v1, s2, v0
	v_add_nc_u32_e32 v0, 0x100, v0
	global_store_b8 v1, v91, s[4:5]
	s_wait_xcnt 0x0
	s_or_b32 exec_lo, exec_lo, s0
	s_delay_alu instid0(SALU_CYCLE_1)
	s_mov_b32 s0, exec_lo
	v_cmpx_gt_i32_e64 s8, v0
	s_cbranch_execz .LBB113_169
.LBB113_184:
	v_add_nc_u32_e32 v1, s2, v0
	v_add_nc_u32_e32 v0, 0x100, v0
	global_store_b8 v1, v74, s[4:5]
	s_wait_xcnt 0x0
	s_or_b32 exec_lo, exec_lo, s0
	s_delay_alu instid0(SALU_CYCLE_1)
	s_mov_b32 s0, exec_lo
	v_cmpx_gt_i32_e64 s8, v0
	s_cbranch_execz .LBB113_170
.LBB113_185:
	v_add_nc_u32_e32 v1, s2, v0
	v_add_nc_u32_e32 v0, 0x100, v0
	global_store_b8 v1, v75, s[4:5]
	s_wait_xcnt 0x0
	s_or_b32 exec_lo, exec_lo, s0
	s_delay_alu instid0(SALU_CYCLE_1)
	s_mov_b32 s0, exec_lo
	v_cmpx_gt_i32_e64 s8, v0
	s_cbranch_execz .LBB113_171
.LBB113_186:
	v_add_nc_u32_e32 v1, s2, v0
	v_add_nc_u32_e32 v0, 0x100, v0
	global_store_b8 v1, v58, s[4:5]
	s_wait_xcnt 0x0
	s_or_b32 exec_lo, exec_lo, s0
	s_delay_alu instid0(SALU_CYCLE_1)
	s_mov_b32 s0, exec_lo
	v_cmpx_gt_i32_e64 s8, v0
	s_cbranch_execz .LBB113_172
.LBB113_187:
	v_add_nc_u32_e32 v1, s2, v0
	v_add_nc_u32_e32 v0, 0x100, v0
	global_store_b8 v1, v59, s[4:5]
	s_wait_xcnt 0x0
	s_or_b32 exec_lo, exec_lo, s0
	s_delay_alu instid0(SALU_CYCLE_1)
	s_mov_b32 s0, exec_lo
	v_cmpx_gt_i32_e64 s8, v0
	s_cbranch_execz .LBB113_173
.LBB113_188:
	v_add_nc_u32_e32 v1, s2, v0
	v_add_nc_u32_e32 v0, 0x100, v0
	global_store_b8 v1, v42, s[4:5]
	s_wait_xcnt 0x0
	s_or_b32 exec_lo, exec_lo, s0
	s_delay_alu instid0(SALU_CYCLE_1)
	s_mov_b32 s0, exec_lo
	v_cmpx_gt_i32_e64 s8, v0
	s_cbranch_execz .LBB113_174
.LBB113_189:
	v_add_nc_u32_e32 v1, s2, v0
	v_add_nc_u32_e32 v0, 0x100, v0
	global_store_b8 v1, v43, s[4:5]
	s_wait_xcnt 0x0
	s_or_b32 exec_lo, exec_lo, s0
	s_delay_alu instid0(SALU_CYCLE_1)
	s_mov_b32 s0, exec_lo
	v_cmpx_gt_i32_e64 s8, v0
	s_cbranch_execz .LBB113_175
.LBB113_190:
	v_add_nc_u32_e32 v1, s2, v0
	v_add_nc_u32_e32 v0, 0x100, v0
	global_store_b8 v1, v26, s[4:5]
	s_wait_xcnt 0x0
	s_or_b32 exec_lo, exec_lo, s0
	s_delay_alu instid0(SALU_CYCLE_1)
	s_mov_b32 s0, exec_lo
	v_cmpx_gt_i32_e64 s8, v0
	s_cbranch_execz .LBB113_176
.LBB113_191:
	v_add_nc_u32_e32 v1, s2, v0
	v_add_nc_u32_e32 v0, 0x100, v0
	global_store_b8 v1, v27, s[4:5]
	s_wait_xcnt 0x0
	s_or_b32 exec_lo, exec_lo, s0
	s_delay_alu instid0(SALU_CYCLE_1)
	s_mov_b32 s0, exec_lo
	v_cmpx_gt_i32_e64 s8, v0
	s_cbranch_execz .LBB113_177
.LBB113_192:
	v_add_nc_u32_e32 v1, s2, v0
	v_add_nc_u32_e32 v0, 0x100, v0
	global_store_b8 v1, v10, s[4:5]
	s_wait_xcnt 0x0
	s_or_b32 exec_lo, exec_lo, s0
	s_delay_alu instid0(SALU_CYCLE_1)
	s_mov_b32 s0, exec_lo
	v_cmpx_gt_i32_e64 s8, v0
	s_cbranch_execz .LBB113_178
.LBB113_193:
	v_add_nc_u32_e32 v1, s2, v0
	v_add_nc_u32_e32 v0, 0x100, v0
	global_store_b8 v1, v11, s[4:5]
	s_wait_xcnt 0x0
	s_or_b32 exec_lo, exec_lo, s0
	s_delay_alu instid0(SALU_CYCLE_1)
	s_mov_b32 s0, exec_lo
	v_cmpx_gt_i32_e64 s8, v0
	s_cbranch_execz .LBB113_179
.LBB113_194:
	v_add_nc_u32_e32 v1, s2, v0
	v_add_nc_u32_e32 v0, 0x100, v0
	global_store_b8 v1, v6, s[4:5]
	s_wait_xcnt 0x0
	s_or_b32 exec_lo, exec_lo, s0
	s_delay_alu instid0(SALU_CYCLE_1)
	s_mov_b32 s0, exec_lo
	v_cmpx_gt_i32_e64 s8, v0
	s_cbranch_execnz .LBB113_180
.LBB113_195:
	s_sendmsg sendmsg(MSG_DEALLOC_VGPRS)
	s_endpgm
.LBB113_196:
	s_wait_xcnt 0x0
                                        ; implicit-def: $sgpr1
	s_branch .LBB113_3
.LBB113_197:
                                        ; implicit-def: $sgpr12
	s_branch .LBB113_6
.LBB113_198:
                                        ; implicit-def: $sgpr13
	s_branch .LBB113_9
.LBB113_199:
                                        ; implicit-def: $sgpr14
	s_branch .LBB113_12
.LBB113_200:
                                        ; implicit-def: $sgpr15
	s_branch .LBB113_15
.LBB113_201:
                                        ; implicit-def: $sgpr16
	s_branch .LBB113_18
.LBB113_202:
                                        ; implicit-def: $sgpr17
	s_branch .LBB113_21
.LBB113_203:
                                        ; implicit-def: $sgpr18
	s_branch .LBB113_24
.LBB113_204:
                                        ; implicit-def: $sgpr19
	s_branch .LBB113_27
.LBB113_205:
                                        ; implicit-def: $sgpr20
	s_branch .LBB113_30
.LBB113_206:
                                        ; implicit-def: $sgpr21
	s_branch .LBB113_33
.LBB113_207:
                                        ; implicit-def: $sgpr22
	s_branch .LBB113_36
.LBB113_208:
                                        ; implicit-def: $sgpr23
	s_branch .LBB113_39
.LBB113_209:
                                        ; implicit-def: $sgpr24
	s_branch .LBB113_42
.LBB113_210:
                                        ; implicit-def: $sgpr25
	s_branch .LBB113_45
.LBB113_211:
                                        ; implicit-def: $sgpr26
	s_branch .LBB113_48
.LBB113_212:
                                        ; implicit-def: $sgpr7
	s_branch .LBB113_86
.LBB113_213:
                                        ; implicit-def: $sgpr3
	s_branch .LBB113_91
.LBB113_214:
                                        ; implicit-def: $sgpr6
	s_branch .LBB113_96
.LBB113_215:
                                        ; implicit-def: $sgpr6
	s_branch .LBB113_101
.LBB113_216:
                                        ; implicit-def: $sgpr6
	s_branch .LBB113_106
.LBB113_217:
                                        ; implicit-def: $sgpr6
	s_branch .LBB113_111
.LBB113_218:
                                        ; implicit-def: $sgpr6
	s_branch .LBB113_116
.LBB113_219:
                                        ; implicit-def: $sgpr6
	s_branch .LBB113_121
.LBB113_220:
                                        ; implicit-def: $sgpr6
	s_branch .LBB113_126
.LBB113_221:
                                        ; implicit-def: $sgpr6
	s_branch .LBB113_131
.LBB113_222:
                                        ; implicit-def: $sgpr6
	s_branch .LBB113_136
.LBB113_223:
                                        ; implicit-def: $sgpr6
	s_branch .LBB113_141
.LBB113_224:
                                        ; implicit-def: $sgpr6
	s_branch .LBB113_146
.LBB113_225:
                                        ; implicit-def: $sgpr6
	s_branch .LBB113_151
.LBB113_226:
                                        ; implicit-def: $sgpr6
	s_branch .LBB113_156
.LBB113_227:
                                        ; implicit-def: $sgpr6
	s_branch .LBB113_161
	.section	.rodata,"a",@progbits
	.p2align	6, 0x0
	.amdhsa_kernel _ZN2at6native29vectorized_elementwise_kernelILi8ENS0_13BinaryFunctorIN3c107complexIdEES5_bNS0_12_GLOBAL__N_116CompareEqFunctorIS5_EEEESt5arrayIPcLm3EEEEviT0_T1_
		.amdhsa_group_segment_fixed_size 0
		.amdhsa_private_segment_fixed_size 0
		.amdhsa_kernarg_size 32
		.amdhsa_user_sgpr_count 2
		.amdhsa_user_sgpr_dispatch_ptr 0
		.amdhsa_user_sgpr_queue_ptr 0
		.amdhsa_user_sgpr_kernarg_segment_ptr 1
		.amdhsa_user_sgpr_dispatch_id 0
		.amdhsa_user_sgpr_kernarg_preload_length 0
		.amdhsa_user_sgpr_kernarg_preload_offset 0
		.amdhsa_user_sgpr_private_segment_size 0
		.amdhsa_wavefront_size32 1
		.amdhsa_uses_dynamic_stack 0
		.amdhsa_enable_private_segment 0
		.amdhsa_system_sgpr_workgroup_id_x 1
		.amdhsa_system_sgpr_workgroup_id_y 0
		.amdhsa_system_sgpr_workgroup_id_z 0
		.amdhsa_system_sgpr_workgroup_info 0
		.amdhsa_system_vgpr_workitem_id 0
		.amdhsa_next_free_vgpr 132
		.amdhsa_next_free_sgpr 27
		.amdhsa_named_barrier_count 0
		.amdhsa_reserve_vcc 1
		.amdhsa_float_round_mode_32 0
		.amdhsa_float_round_mode_16_64 0
		.amdhsa_float_denorm_mode_32 3
		.amdhsa_float_denorm_mode_16_64 3
		.amdhsa_fp16_overflow 0
		.amdhsa_memory_ordered 1
		.amdhsa_forward_progress 1
		.amdhsa_inst_pref_size 48
		.amdhsa_round_robin_scheduling 0
		.amdhsa_exception_fp_ieee_invalid_op 0
		.amdhsa_exception_fp_denorm_src 0
		.amdhsa_exception_fp_ieee_div_zero 0
		.amdhsa_exception_fp_ieee_overflow 0
		.amdhsa_exception_fp_ieee_underflow 0
		.amdhsa_exception_fp_ieee_inexact 0
		.amdhsa_exception_int_div_zero 0
	.end_amdhsa_kernel
	.section	.text._ZN2at6native29vectorized_elementwise_kernelILi8ENS0_13BinaryFunctorIN3c107complexIdEES5_bNS0_12_GLOBAL__N_116CompareEqFunctorIS5_EEEESt5arrayIPcLm3EEEEviT0_T1_,"axG",@progbits,_ZN2at6native29vectorized_elementwise_kernelILi8ENS0_13BinaryFunctorIN3c107complexIdEES5_bNS0_12_GLOBAL__N_116CompareEqFunctorIS5_EEEESt5arrayIPcLm3EEEEviT0_T1_,comdat
.Lfunc_end113:
	.size	_ZN2at6native29vectorized_elementwise_kernelILi8ENS0_13BinaryFunctorIN3c107complexIdEES5_bNS0_12_GLOBAL__N_116CompareEqFunctorIS5_EEEESt5arrayIPcLm3EEEEviT0_T1_, .Lfunc_end113-_ZN2at6native29vectorized_elementwise_kernelILi8ENS0_13BinaryFunctorIN3c107complexIdEES5_bNS0_12_GLOBAL__N_116CompareEqFunctorIS5_EEEESt5arrayIPcLm3EEEEviT0_T1_
                                        ; -- End function
	.set _ZN2at6native29vectorized_elementwise_kernelILi8ENS0_13BinaryFunctorIN3c107complexIdEES5_bNS0_12_GLOBAL__N_116CompareEqFunctorIS5_EEEESt5arrayIPcLm3EEEEviT0_T1_.num_vgpr, 132
	.set _ZN2at6native29vectorized_elementwise_kernelILi8ENS0_13BinaryFunctorIN3c107complexIdEES5_bNS0_12_GLOBAL__N_116CompareEqFunctorIS5_EEEESt5arrayIPcLm3EEEEviT0_T1_.num_agpr, 0
	.set _ZN2at6native29vectorized_elementwise_kernelILi8ENS0_13BinaryFunctorIN3c107complexIdEES5_bNS0_12_GLOBAL__N_116CompareEqFunctorIS5_EEEESt5arrayIPcLm3EEEEviT0_T1_.numbered_sgpr, 27
	.set _ZN2at6native29vectorized_elementwise_kernelILi8ENS0_13BinaryFunctorIN3c107complexIdEES5_bNS0_12_GLOBAL__N_116CompareEqFunctorIS5_EEEESt5arrayIPcLm3EEEEviT0_T1_.num_named_barrier, 0
	.set _ZN2at6native29vectorized_elementwise_kernelILi8ENS0_13BinaryFunctorIN3c107complexIdEES5_bNS0_12_GLOBAL__N_116CompareEqFunctorIS5_EEEESt5arrayIPcLm3EEEEviT0_T1_.private_seg_size, 0
	.set _ZN2at6native29vectorized_elementwise_kernelILi8ENS0_13BinaryFunctorIN3c107complexIdEES5_bNS0_12_GLOBAL__N_116CompareEqFunctorIS5_EEEESt5arrayIPcLm3EEEEviT0_T1_.uses_vcc, 1
	.set _ZN2at6native29vectorized_elementwise_kernelILi8ENS0_13BinaryFunctorIN3c107complexIdEES5_bNS0_12_GLOBAL__N_116CompareEqFunctorIS5_EEEESt5arrayIPcLm3EEEEviT0_T1_.uses_flat_scratch, 0
	.set _ZN2at6native29vectorized_elementwise_kernelILi8ENS0_13BinaryFunctorIN3c107complexIdEES5_bNS0_12_GLOBAL__N_116CompareEqFunctorIS5_EEEESt5arrayIPcLm3EEEEviT0_T1_.has_dyn_sized_stack, 0
	.set _ZN2at6native29vectorized_elementwise_kernelILi8ENS0_13BinaryFunctorIN3c107complexIdEES5_bNS0_12_GLOBAL__N_116CompareEqFunctorIS5_EEEESt5arrayIPcLm3EEEEviT0_T1_.has_recursion, 0
	.set _ZN2at6native29vectorized_elementwise_kernelILi8ENS0_13BinaryFunctorIN3c107complexIdEES5_bNS0_12_GLOBAL__N_116CompareEqFunctorIS5_EEEESt5arrayIPcLm3EEEEviT0_T1_.has_indirect_call, 0
	.section	.AMDGPU.csdata,"",@progbits
; Kernel info:
; codeLenInByte = 6140
; TotalNumSgprs: 29
; NumVgprs: 132
; ScratchSize: 0
; MemoryBound: 1
; FloatMode: 240
; IeeeMode: 1
; LDSByteSize: 0 bytes/workgroup (compile time only)
; SGPRBlocks: 0
; VGPRBlocks: 8
; NumSGPRsForWavesPerEU: 29
; NumVGPRsForWavesPerEU: 132
; NamedBarCnt: 0
; Occupancy: 7
; WaveLimiterHint : 1
; COMPUTE_PGM_RSRC2:SCRATCH_EN: 0
; COMPUTE_PGM_RSRC2:USER_SGPR: 2
; COMPUTE_PGM_RSRC2:TRAP_HANDLER: 0
; COMPUTE_PGM_RSRC2:TGID_X_EN: 1
; COMPUTE_PGM_RSRC2:TGID_Y_EN: 0
; COMPUTE_PGM_RSRC2:TGID_Z_EN: 0
; COMPUTE_PGM_RSRC2:TIDIG_COMP_CNT: 0
	.section	.text._ZN2at6native29vectorized_elementwise_kernelILi4ENS0_13BinaryFunctorIN3c107complexIdEES5_bNS0_12_GLOBAL__N_116CompareEqFunctorIS5_EEEESt5arrayIPcLm3EEEEviT0_T1_,"axG",@progbits,_ZN2at6native29vectorized_elementwise_kernelILi4ENS0_13BinaryFunctorIN3c107complexIdEES5_bNS0_12_GLOBAL__N_116CompareEqFunctorIS5_EEEESt5arrayIPcLm3EEEEviT0_T1_,comdat
	.globl	_ZN2at6native29vectorized_elementwise_kernelILi4ENS0_13BinaryFunctorIN3c107complexIdEES5_bNS0_12_GLOBAL__N_116CompareEqFunctorIS5_EEEESt5arrayIPcLm3EEEEviT0_T1_ ; -- Begin function _ZN2at6native29vectorized_elementwise_kernelILi4ENS0_13BinaryFunctorIN3c107complexIdEES5_bNS0_12_GLOBAL__N_116CompareEqFunctorIS5_EEEESt5arrayIPcLm3EEEEviT0_T1_
	.p2align	8
	.type	_ZN2at6native29vectorized_elementwise_kernelILi4ENS0_13BinaryFunctorIN3c107complexIdEES5_bNS0_12_GLOBAL__N_116CompareEqFunctorIS5_EEEESt5arrayIPcLm3EEEEviT0_T1_,@function
_ZN2at6native29vectorized_elementwise_kernelILi4ENS0_13BinaryFunctorIN3c107complexIdEES5_bNS0_12_GLOBAL__N_116CompareEqFunctorIS5_EEEESt5arrayIPcLm3EEEEviT0_T1_: ; @_ZN2at6native29vectorized_elementwise_kernelILi4ENS0_13BinaryFunctorIN3c107complexIdEES5_bNS0_12_GLOBAL__N_116CompareEqFunctorIS5_EEEESt5arrayIPcLm3EEEEviT0_T1_
; %bb.0:
	s_clause 0x2
	s_load_b64 s[8:9], s[0:1], 0x0
	s_load_b128 s[4:7], s[0:1], 0x8
	s_load_b64 s[10:11], s[0:1], 0x18
	s_wait_xcnt 0x0
	s_bfe_u32 s0, ttmp6, 0x4000c
	s_and_b32 s1, ttmp6, 15
	s_add_co_i32 s0, s0, 1
	s_getreg_b32 s2, hwreg(HW_REG_IB_STS2, 6, 4)
	s_mul_i32 s0, ttmp9, s0
	s_delay_alu instid0(SALU_CYCLE_1) | instskip(SKIP_2) | instid1(SALU_CYCLE_1)
	s_add_co_i32 s1, s1, s0
	s_cmp_eq_u32 s2, 0
	s_cselect_b32 s0, ttmp9, s1
	s_lshl_b32 s2, s0, 12
	s_mov_b32 s0, -1
	s_wait_kmcnt 0x0
	s_sub_co_i32 s8, s8, s2
	s_delay_alu instid0(SALU_CYCLE_1)
	s_cmp_gt_i32 s8, 0xfff
	s_cbranch_scc0 .LBB114_50
; %bb.1:
	s_ashr_i32 s3, s2, 31
	v_lshlrev_b32_e32 v1, 6, v0
	s_lshl_b64 s[0:1], s[2:3], 4
	s_cmp_lg_u32 s9, 0
	s_add_nc_u64 s[12:13], s[6:7], s[0:1]
	s_add_nc_u64 s[0:1], s[10:11], s[0:1]
	s_clause 0x1f
	global_load_b128 v[98:101], v1, s[12:13] offset:48
	global_load_b128 v[106:109], v1, s[12:13] offset:32
	;; [unrolled: 1-line block ×3, first 2 shown]
	global_load_b128 v[122:125], v1, s[12:13]
	global_load_b128 v[66:69], v1, s[12:13] offset:16432
	global_load_b128 v[74:77], v1, s[12:13] offset:16416
	;; [unrolled: 1-line block ×15, first 2 shown]
	global_load_b128 v[126:129], v1, s[0:1]
	global_load_b128 v[70:73], v1, s[0:1] offset:16432
	global_load_b128 v[78:81], v1, s[0:1] offset:16416
	;; [unrolled: 1-line block ×9, first 2 shown]
	; meta instruction
	global_load_b128 v[14:17], v1, s[0:1] offset:49184
	global_load_b128 v[22:25], v1, s[0:1] offset:49168
	;; [unrolled: 1-line block ×3, first 2 shown]
	s_wait_xcnt 0x10
	s_cselect_b32 s12, -1, 0
	s_delay_alu instid0(SALU_CYCLE_1)
	s_and_b32 vcc_lo, exec_lo, s12
	s_cbranch_vccz .LBB114_196
; %bb.2:
	s_wait_loadcnt 0xc
	v_cmp_neq_f64_e32 vcc_lo, v[122:123], v[126:127]
	s_wait_xcnt 0x0
	v_cmp_neq_f64_e64 s0, v[124:125], v[128:129]
	s_or_b32 s1, vcc_lo, s0
	s_cbranch_execnz .LBB114_4
.LBB114_3:
	s_wait_loadcnt 0xc
	v_cmp_eq_f64_e32 vcc_lo, v[122:123], v[126:127]
	v_cmp_eq_f64_e64 s0, v[124:125], v[128:129]
	s_and_not1_b32 s1, s1, exec_lo
	s_and_b32 s0, vcc_lo, s0
	s_delay_alu instid0(SALU_CYCLE_1) | instskip(NEXT) | instid1(SALU_CYCLE_1)
	s_and_b32 s0, s0, exec_lo
	s_or_b32 s1, s1, s0
.LBB114_4:
	v_cndmask_b32_e64 v1, 0, 1, s12
	s_and_not1_b32 vcc_lo, exec_lo, s12
	s_cbranch_vccnz .LBB114_197
; %bb.5:
	s_wait_loadcnt 0xd
	v_cmp_neq_f64_e32 vcc_lo, v[114:115], v[118:119]
	v_cmp_neq_f64_e64 s0, v[116:117], v[120:121]
	s_or_b32 s12, vcc_lo, s0
	s_cbranch_execnz .LBB114_7
.LBB114_6:
	s_wait_loadcnt 0xd
	v_cmp_eq_f64_e32 vcc_lo, v[114:115], v[118:119]
	v_cmp_eq_f64_e64 s0, v[116:117], v[120:121]
	s_and_not1_b32 s12, s12, exec_lo
	s_and_b32 s0, vcc_lo, s0
	s_delay_alu instid0(SALU_CYCLE_1) | instskip(NEXT) | instid1(SALU_CYCLE_1)
	s_and_b32 s0, s0, exec_lo
	s_or_b32 s12, s12, s0
.LBB114_7:
	v_cmp_ne_u32_e32 vcc_lo, 1, v1
	s_cbranch_vccnz .LBB114_198
; %bb.8:
	s_wait_loadcnt 0xe
	v_cmp_neq_f64_e32 vcc_lo, v[106:107], v[110:111]
	v_cmp_neq_f64_e64 s0, v[108:109], v[112:113]
	s_or_b32 s13, vcc_lo, s0
	s_cbranch_execnz .LBB114_10
.LBB114_9:
	s_wait_loadcnt 0xe
	v_cmp_eq_f64_e32 vcc_lo, v[106:107], v[110:111]
	v_cmp_eq_f64_e64 s0, v[108:109], v[112:113]
	s_and_not1_b32 s13, s13, exec_lo
	s_and_b32 s0, vcc_lo, s0
	s_delay_alu instid0(SALU_CYCLE_1) | instskip(NEXT) | instid1(SALU_CYCLE_1)
	s_and_b32 s0, s0, exec_lo
	s_or_b32 s13, s13, s0
.LBB114_10:
	v_cmp_ne_u32_e32 vcc_lo, 1, v1
	s_cbranch_vccnz .LBB114_199
; %bb.11:
	s_wait_loadcnt 0xf
	v_cmp_neq_f64_e32 vcc_lo, v[98:99], v[102:103]
	v_cmp_neq_f64_e64 s0, v[100:101], v[104:105]
	s_or_b32 s14, vcc_lo, s0
	s_cbranch_execnz .LBB114_13
.LBB114_12:
	s_wait_loadcnt 0xf
	v_cmp_eq_f64_e32 vcc_lo, v[98:99], v[102:103]
	v_cmp_eq_f64_e64 s0, v[100:101], v[104:105]
	s_and_not1_b32 s14, s14, exec_lo
	s_and_b32 s0, vcc_lo, s0
	s_delay_alu instid0(SALU_CYCLE_1) | instskip(NEXT) | instid1(SALU_CYCLE_1)
	s_and_b32 s0, s0, exec_lo
	s_or_b32 s14, s14, s0
.LBB114_13:
	v_cmp_ne_u32_e32 vcc_lo, 1, v1
	s_cbranch_vccnz .LBB114_200
; %bb.14:
	s_wait_loadcnt 0x8
	v_cmp_neq_f64_e32 vcc_lo, v[90:91], v[94:95]
	v_cmp_neq_f64_e64 s0, v[92:93], v[96:97]
	s_or_b32 s15, vcc_lo, s0
	s_cbranch_execnz .LBB114_16
.LBB114_15:
	s_wait_loadcnt 0x8
	v_cmp_eq_f64_e32 vcc_lo, v[90:91], v[94:95]
	v_cmp_eq_f64_e64 s0, v[92:93], v[96:97]
	s_and_not1_b32 s15, s15, exec_lo
	s_and_b32 s0, vcc_lo, s0
	s_delay_alu instid0(SALU_CYCLE_1) | instskip(NEXT) | instid1(SALU_CYCLE_1)
	s_and_b32 s0, s0, exec_lo
	s_or_b32 s15, s15, s0
.LBB114_16:
	v_cmp_ne_u32_e32 vcc_lo, 1, v1
	s_cbranch_vccnz .LBB114_201
; %bb.17:
	s_wait_loadcnt 0x9
	v_cmp_neq_f64_e32 vcc_lo, v[82:83], v[86:87]
	v_cmp_neq_f64_e64 s0, v[84:85], v[88:89]
	s_or_b32 s16, vcc_lo, s0
	s_cbranch_execnz .LBB114_19
.LBB114_18:
	s_wait_loadcnt 0x9
	v_cmp_eq_f64_e32 vcc_lo, v[82:83], v[86:87]
	v_cmp_eq_f64_e64 s0, v[84:85], v[88:89]
	s_and_not1_b32 s16, s16, exec_lo
	s_and_b32 s0, vcc_lo, s0
	s_delay_alu instid0(SALU_CYCLE_1) | instskip(NEXT) | instid1(SALU_CYCLE_1)
	s_and_b32 s0, s0, exec_lo
	s_or_b32 s16, s16, s0
.LBB114_19:
	v_cmp_ne_u32_e32 vcc_lo, 1, v1
	s_cbranch_vccnz .LBB114_202
; %bb.20:
	s_wait_loadcnt 0xa
	v_cmp_neq_f64_e32 vcc_lo, v[74:75], v[78:79]
	v_cmp_neq_f64_e64 s0, v[76:77], v[80:81]
	s_or_b32 s17, vcc_lo, s0
	s_cbranch_execnz .LBB114_22
.LBB114_21:
	s_wait_loadcnt 0xa
	v_cmp_eq_f64_e32 vcc_lo, v[74:75], v[78:79]
	v_cmp_eq_f64_e64 s0, v[76:77], v[80:81]
	s_and_not1_b32 s17, s17, exec_lo
	s_and_b32 s0, vcc_lo, s0
	s_delay_alu instid0(SALU_CYCLE_1) | instskip(NEXT) | instid1(SALU_CYCLE_1)
	s_and_b32 s0, s0, exec_lo
	s_or_b32 s17, s17, s0
.LBB114_22:
	v_cmp_ne_u32_e32 vcc_lo, 1, v1
	s_cbranch_vccnz .LBB114_203
; %bb.23:
	s_wait_loadcnt 0xb
	v_cmp_neq_f64_e32 vcc_lo, v[66:67], v[70:71]
	v_cmp_neq_f64_e64 s0, v[68:69], v[72:73]
	s_or_b32 s18, vcc_lo, s0
	s_cbranch_execnz .LBB114_25
.LBB114_24:
	s_wait_loadcnt 0xb
	v_cmp_eq_f64_e32 vcc_lo, v[66:67], v[70:71]
	v_cmp_eq_f64_e64 s0, v[68:69], v[72:73]
	s_and_not1_b32 s18, s18, exec_lo
	s_and_b32 s0, vcc_lo, s0
	s_delay_alu instid0(SALU_CYCLE_1) | instskip(NEXT) | instid1(SALU_CYCLE_1)
	s_and_b32 s0, s0, exec_lo
	s_or_b32 s18, s18, s0
.LBB114_25:
	v_cmp_ne_u32_e32 vcc_lo, 1, v1
	s_cbranch_vccnz .LBB114_204
; %bb.26:
	s_wait_loadcnt 0x4
	v_cmp_neq_f64_e32 vcc_lo, v[58:59], v[62:63]
	v_cmp_neq_f64_e64 s0, v[60:61], v[64:65]
	s_or_b32 s19, vcc_lo, s0
	s_cbranch_execnz .LBB114_28
.LBB114_27:
	s_wait_loadcnt 0x4
	v_cmp_eq_f64_e32 vcc_lo, v[58:59], v[62:63]
	v_cmp_eq_f64_e64 s0, v[60:61], v[64:65]
	s_and_not1_b32 s19, s19, exec_lo
	s_and_b32 s0, vcc_lo, s0
	s_delay_alu instid0(SALU_CYCLE_1) | instskip(NEXT) | instid1(SALU_CYCLE_1)
	s_and_b32 s0, s0, exec_lo
	s_or_b32 s19, s19, s0
.LBB114_28:
	v_cmp_ne_u32_e32 vcc_lo, 1, v1
	s_cbranch_vccnz .LBB114_205
; %bb.29:
	s_wait_loadcnt 0x5
	v_cmp_neq_f64_e32 vcc_lo, v[50:51], v[54:55]
	v_cmp_neq_f64_e64 s0, v[52:53], v[56:57]
	s_or_b32 s20, vcc_lo, s0
	s_cbranch_execnz .LBB114_31
.LBB114_30:
	s_wait_loadcnt 0x5
	v_cmp_eq_f64_e32 vcc_lo, v[50:51], v[54:55]
	v_cmp_eq_f64_e64 s0, v[52:53], v[56:57]
	s_and_not1_b32 s20, s20, exec_lo
	s_and_b32 s0, vcc_lo, s0
	s_delay_alu instid0(SALU_CYCLE_1) | instskip(NEXT) | instid1(SALU_CYCLE_1)
	s_and_b32 s0, s0, exec_lo
	s_or_b32 s20, s20, s0
.LBB114_31:
	v_cmp_ne_u32_e32 vcc_lo, 1, v1
	s_cbranch_vccnz .LBB114_206
; %bb.32:
	s_wait_loadcnt 0x6
	v_cmp_neq_f64_e32 vcc_lo, v[42:43], v[46:47]
	v_cmp_neq_f64_e64 s0, v[44:45], v[48:49]
	s_or_b32 s21, vcc_lo, s0
	s_cbranch_execnz .LBB114_34
.LBB114_33:
	s_wait_loadcnt 0x6
	v_cmp_eq_f64_e32 vcc_lo, v[42:43], v[46:47]
	v_cmp_eq_f64_e64 s0, v[44:45], v[48:49]
	s_and_not1_b32 s21, s21, exec_lo
	s_and_b32 s0, vcc_lo, s0
	s_delay_alu instid0(SALU_CYCLE_1) | instskip(NEXT) | instid1(SALU_CYCLE_1)
	s_and_b32 s0, s0, exec_lo
	s_or_b32 s21, s21, s0
.LBB114_34:
	v_cmp_ne_u32_e32 vcc_lo, 1, v1
	s_cbranch_vccnz .LBB114_207
; %bb.35:
	s_wait_loadcnt 0x7
	v_cmp_neq_f64_e32 vcc_lo, v[34:35], v[38:39]
	v_cmp_neq_f64_e64 s0, v[36:37], v[40:41]
	s_or_b32 s22, vcc_lo, s0
	s_cbranch_execnz .LBB114_37
.LBB114_36:
	s_wait_loadcnt 0x7
	v_cmp_eq_f64_e32 vcc_lo, v[34:35], v[38:39]
	v_cmp_eq_f64_e64 s0, v[36:37], v[40:41]
	s_and_not1_b32 s22, s22, exec_lo
	s_and_b32 s0, vcc_lo, s0
	s_delay_alu instid0(SALU_CYCLE_1) | instskip(NEXT) | instid1(SALU_CYCLE_1)
	s_and_b32 s0, s0, exec_lo
	s_or_b32 s22, s22, s0
.LBB114_37:
	v_cmp_ne_u32_e32 vcc_lo, 1, v1
	s_cbranch_vccnz .LBB114_208
; %bb.38:
	s_wait_loadcnt 0x0
	v_cmp_neq_f64_e32 vcc_lo, v[26:27], v[30:31]
	v_cmp_neq_f64_e64 s0, v[28:29], v[32:33]
	s_or_b32 s23, vcc_lo, s0
	s_cbranch_execnz .LBB114_40
.LBB114_39:
	s_wait_loadcnt 0x0
	v_cmp_eq_f64_e32 vcc_lo, v[26:27], v[30:31]
	v_cmp_eq_f64_e64 s0, v[28:29], v[32:33]
	s_and_not1_b32 s23, s23, exec_lo
	s_and_b32 s0, vcc_lo, s0
	s_delay_alu instid0(SALU_CYCLE_1) | instskip(NEXT) | instid1(SALU_CYCLE_1)
	s_and_b32 s0, s0, exec_lo
	s_or_b32 s23, s23, s0
.LBB114_40:
	v_cmp_ne_u32_e32 vcc_lo, 1, v1
	s_cbranch_vccnz .LBB114_209
; %bb.41:
	s_wait_loadcnt 0x1
	v_cmp_neq_f64_e32 vcc_lo, v[18:19], v[22:23]
	v_cmp_neq_f64_e64 s0, v[20:21], v[24:25]
	s_or_b32 s24, vcc_lo, s0
	s_cbranch_execnz .LBB114_43
.LBB114_42:
	s_wait_loadcnt 0x1
	v_cmp_eq_f64_e32 vcc_lo, v[18:19], v[22:23]
	v_cmp_eq_f64_e64 s0, v[20:21], v[24:25]
	s_and_not1_b32 s24, s24, exec_lo
	s_and_b32 s0, vcc_lo, s0
	s_delay_alu instid0(SALU_CYCLE_1) | instskip(NEXT) | instid1(SALU_CYCLE_1)
	s_and_b32 s0, s0, exec_lo
	s_or_b32 s24, s24, s0
.LBB114_43:
	v_cmp_ne_u32_e32 vcc_lo, 1, v1
	s_cbranch_vccnz .LBB114_210
; %bb.44:
	s_wait_loadcnt 0x2
	v_cmp_neq_f64_e32 vcc_lo, v[10:11], v[14:15]
	v_cmp_neq_f64_e64 s0, v[12:13], v[16:17]
	s_or_b32 s25, vcc_lo, s0
	s_cbranch_execnz .LBB114_46
.LBB114_45:
	s_wait_loadcnt 0x2
	v_cmp_eq_f64_e32 vcc_lo, v[10:11], v[14:15]
	v_cmp_eq_f64_e64 s0, v[12:13], v[16:17]
	s_and_not1_b32 s25, s25, exec_lo
	s_and_b32 s0, vcc_lo, s0
	s_delay_alu instid0(SALU_CYCLE_1) | instskip(NEXT) | instid1(SALU_CYCLE_1)
	s_and_b32 s0, s0, exec_lo
	s_or_b32 s25, s25, s0
.LBB114_46:
	v_cmp_ne_u32_e32 vcc_lo, 1, v1
	s_cbranch_vccnz .LBB114_211
; %bb.47:
	s_wait_loadcnt 0x3
	v_cmp_neq_f64_e32 vcc_lo, v[2:3], v[6:7]
	v_cmp_neq_f64_e64 s0, v[4:5], v[8:9]
	s_or_b32 s26, vcc_lo, s0
	s_cbranch_execnz .LBB114_49
.LBB114_48:
	s_wait_loadcnt 0x3
	v_cmp_eq_f64_e32 vcc_lo, v[2:3], v[6:7]
	v_cmp_eq_f64_e64 s0, v[4:5], v[8:9]
	s_and_not1_b32 s26, s26, exec_lo
	s_and_b32 s0, vcc_lo, s0
	s_delay_alu instid0(SALU_CYCLE_1) | instskip(NEXT) | instid1(SALU_CYCLE_1)
	s_and_b32 s0, s0, exec_lo
	s_or_b32 s26, s26, s0
.LBB114_49:
	v_cndmask_b32_e64 v1, 0, 0x100, s24
	s_wait_loadcnt 0x13
	v_cndmask_b32_e64 v2, 0, 1, s23
	v_cndmask_b32_e64 v3, 0, 0x100, s20
	;; [unrolled: 1-line block ×3, first 2 shown]
	s_wait_loadcnt 0x3
	v_cndmask_b32_e64 v6, 0, 0x100, s12
	v_cndmask_b32_e64 v7, 0, 1, s1
	v_or_b32_e32 v1, v1, v2
	v_cndmask_b32_e64 v10, 0, 0x1000000, s14
	v_or_b32_e32 v2, v3, v4
	v_cndmask_b32_e64 v3, 0, 0x100, s16
	v_cndmask_b32_e64 v4, 0, 1, s15
	v_or_b32_e32 v6, v6, v7
	v_cndmask_b32_e64 v7, 0, 0x10000, s13
	v_cndmask_b32_e64 v11, 0, 0x1000000, s18
	;; [unrolled: 1-line block ×3, first 2 shown]
	v_or_b32_e32 v3, v3, v4
	v_cndmask_b32_e64 v4, 0, 0x10000, s17
	v_cndmask_b32_e64 v9, 0, 0x1000000, s22
	;; [unrolled: 1-line block ×4, first 2 shown]
	v_or3_b32 v6, v6, v7, v10
	v_or3_b32 v3, v3, v4, v11
	v_or3_b32 v2, v2, v8, v9
	s_add_nc_u64 s[12:13], s[4:5], s[2:3]
	v_or3_b32 v1, v1, v5, v12
	s_mov_b32 s0, 0
	s_clause 0x3
	global_store_b32 v0, v6, s[12:13] scale_offset
	global_store_b32 v0, v3, s[12:13] offset:1024 scale_offset
	global_store_b32 v0, v2, s[12:13] offset:2048 scale_offset
	;; [unrolled: 1-line block ×3, first 2 shown]
.LBB114_50:
	s_and_b32 vcc_lo, exec_lo, s0
	s_cbranch_vccz .LBB114_195
; %bb.51:
	v_mov_b64_e32 v[90:91], 0
	v_mov_b64_e32 v[126:127], 0
	;; [unrolled: 1-line block ×5, first 2 shown]
	v_cmp_gt_i32_e64 s0, s8, v0
	s_wait_xcnt 0x0
	v_dual_mov_b32 v131, v0 :: v_dual_bitop2_b32 v1, s2, v0 bitop3:0x54
	v_or_b32_e32 v130, 0x100, v0
	s_and_saveexec_b32 s1, s0
	s_cbranch_execz .LBB114_53
; %bb.52:
	s_clause 0x1
	global_load_b128 v[122:125], v1, s[6:7] scale_offset
	global_load_b128 v[126:129], v1, s[10:11] scale_offset
	v_or_b32_e32 v131, 0x100, v0
.LBB114_53:
	s_wait_xcnt 0x0
	s_or_b32 exec_lo, exec_lo, s1
	v_mov_b64_e32 v[92:93], 0
	v_mov_b64_e32 v[118:119], 0
	v_mov_b64_e32 v[120:121], 0
	s_mov_b32 s1, exec_lo
	v_cmpx_gt_i32_e64 s8, v131
	s_cbranch_execz .LBB114_55
; %bb.54:
	v_add_nc_u32_e32 v2, s2, v131
	v_add_nc_u32_e32 v131, 0x100, v131
	s_clause 0x1
	global_load_b128 v[118:121], v2, s[6:7] scale_offset
	global_load_b128 v[90:93], v2, s[10:11] scale_offset
.LBB114_55:
	s_wait_xcnt 0x0
	s_or_b32 exec_lo, exec_lo, s1
	v_mov_b64_e32 v[74:75], 0
	v_mov_b64_e32 v[114:115], 0
	v_mov_b64_e32 v[116:117], 0
	v_mov_b64_e32 v[110:111], 0
	v_mov_b64_e32 v[112:113], 0
	s_mov_b32 s1, exec_lo
	v_cmpx_gt_i32_e64 s8, v131
	s_cbranch_execz .LBB114_57
; %bb.56:
	v_add_nc_u32_e32 v2, s2, v131
	v_add_nc_u32_e32 v131, 0x100, v131
	s_clause 0x1
	global_load_b128 v[110:113], v2, s[6:7] scale_offset
	global_load_b128 v[114:117], v2, s[10:11] scale_offset
.LBB114_57:
	s_wait_xcnt 0x0
	s_or_b32 exec_lo, exec_lo, s1
	v_mov_b64_e32 v[76:77], 0
	v_mov_b64_e32 v[106:107], 0
	v_mov_b64_e32 v[108:109], 0
	s_mov_b32 s1, exec_lo
	v_cmpx_gt_i32_e64 s8, v131
	s_cbranch_execz .LBB114_59
; %bb.58:
	v_add_nc_u32_e32 v2, s2, v131
	v_add_nc_u32_e32 v131, 0x100, v131
	s_clause 0x1
	global_load_b128 v[106:109], v2, s[6:7] scale_offset
	global_load_b128 v[74:77], v2, s[10:11] scale_offset
.LBB114_59:
	s_wait_xcnt 0x0
	s_or_b32 exec_lo, exec_lo, s1
	v_mov_b64_e32 v[58:59], 0
	v_mov_b64_e32 v[102:103], 0
	v_mov_b64_e32 v[104:105], 0
	v_mov_b64_e32 v[98:99], 0
	v_mov_b64_e32 v[100:101], 0
	s_mov_b32 s1, exec_lo
	v_cmpx_gt_i32_e64 s8, v131
	s_cbranch_execz .LBB114_61
; %bb.60:
	v_add_nc_u32_e32 v2, s2, v131
	v_add_nc_u32_e32 v131, 0x100, v131
	s_clause 0x1
	global_load_b128 v[98:101], v2, s[6:7] scale_offset
	global_load_b128 v[102:105], v2, s[10:11] scale_offset
.LBB114_61:
	;; [unrolled: 32-line block ×6, first 2 shown]
	s_wait_xcnt 0x0
	s_or_b32 exec_lo, exec_lo, s1
	v_mov_b64_e32 v[8:9], 0
	s_wait_loadcnt 0x0
	v_mov_b64_e32 v[30:31], 0
	v_mov_b64_e32 v[32:33], 0
	s_mov_b32 s1, exec_lo
	v_cmpx_gt_i32_e64 s8, v131
	s_cbranch_execz .LBB114_79
; %bb.78:
	v_add_nc_u32_e32 v2, s2, v131
	v_add_nc_u32_e32 v131, 0x100, v131
	s_clause 0x1
	global_load_b128 v[30:33], v2, s[6:7] scale_offset
	global_load_b128 v[6:9], v2, s[10:11] scale_offset
.LBB114_79:
	s_wait_xcnt 0x0
	s_or_b32 exec_lo, exec_lo, s1
	v_mov_b64_e32 v[2:3], 0
	v_mov_b64_e32 v[22:23], 0
	v_mov_b64_e32 v[24:25], 0
	v_mov_b64_e32 v[18:19], 0
	v_mov_b64_e32 v[20:21], 0
	s_mov_b32 s1, exec_lo
	v_cmpx_gt_i32_e64 s8, v131
	s_cbranch_execz .LBB114_81
; %bb.80:
	v_add_nc_u32_e32 v4, s2, v131
	v_add_nc_u32_e32 v131, 0x100, v131
	s_clause 0x1
	global_load_b128 v[18:21], v4, s[6:7] scale_offset
	global_load_b128 v[22:25], v4, s[10:11] scale_offset
.LBB114_81:
	s_wait_xcnt 0x0
	s_or_b32 exec_lo, exec_lo, s1
	v_mov_b64_e32 v[4:5], 0
	v_mov_b64_e32 v[14:15], 0
	;; [unrolled: 1-line block ×3, first 2 shown]
	s_mov_b32 s1, exec_lo
	v_cmpx_gt_i32_e64 s8, v131
	s_cbranch_execz .LBB114_83
; %bb.82:
	v_add_nc_u32_e32 v131, s2, v131
	s_clause 0x1
	global_load_b128 v[14:17], v131, s[6:7] scale_offset
	global_load_b128 v[2:5], v131, s[10:11] scale_offset
.LBB114_83:
	s_wait_xcnt 0x0
	s_or_b32 exec_lo, exec_lo, s1
	s_cmp_lg_u32 s9, 0
                                        ; implicit-def: $vgpr131
	s_cselect_b32 s3, -1, 0
	s_and_saveexec_b32 s6, s0
	s_cbranch_execz .LBB114_88
; %bb.84:
	s_and_b32 vcc_lo, exec_lo, s3
	s_cbranch_vccz .LBB114_212
; %bb.85:
	v_cmp_neq_f64_e32 vcc_lo, v[122:123], v[126:127]
	v_cmp_neq_f64_e64 s1, v[124:125], v[128:129]
	s_or_b32 s7, vcc_lo, s1
	s_cbranch_execnz .LBB114_87
.LBB114_86:
	v_cmp_eq_f64_e32 vcc_lo, v[122:123], v[126:127]
	v_cmp_eq_f64_e64 s1, v[124:125], v[128:129]
	s_and_not1_b32 s7, s7, exec_lo
	s_and_b32 s1, vcc_lo, s1
	s_delay_alu instid0(SALU_CYCLE_1) | instskip(NEXT) | instid1(SALU_CYCLE_1)
	s_and_b32 s1, s1, exec_lo
	s_or_b32 s7, s7, s1
.LBB114_87:
	s_delay_alu instid0(SALU_CYCLE_1)
	v_cndmask_b32_e64 v131, 0, 1, s7
.LBB114_88:
	s_or_b32 exec_lo, exec_lo, s6
	v_cndmask_b32_e64 v123, 0, 1, s3
	s_mov_b32 s6, exec_lo
                                        ; implicit-def: $vgpr122
	v_cmpx_gt_i32_e64 s8, v130
	s_cbranch_execz .LBB114_93
; %bb.89:
	s_and_not1_b32 vcc_lo, exec_lo, s3
	s_cbranch_vccnz .LBB114_213
; %bb.90:
	v_cmp_neq_f64_e32 vcc_lo, v[118:119], v[90:91]
	v_cmp_neq_f64_e64 s1, v[120:121], v[92:93]
	s_or_b32 s3, vcc_lo, s1
	s_cbranch_execnz .LBB114_92
.LBB114_91:
	v_cmp_eq_f64_e32 vcc_lo, v[118:119], v[90:91]
	v_cmp_eq_f64_e64 s1, v[120:121], v[92:93]
	s_and_not1_b32 s3, s3, exec_lo
	s_and_b32 s1, vcc_lo, s1
	s_delay_alu instid0(SALU_CYCLE_1) | instskip(NEXT) | instid1(SALU_CYCLE_1)
	s_and_b32 s1, s1, exec_lo
	s_or_b32 s3, s3, s1
.LBB114_92:
	s_delay_alu instid0(SALU_CYCLE_1)
	v_cndmask_b32_e64 v122, 0, 1, s3
.LBB114_93:
	s_or_b32 exec_lo, exec_lo, s6
	v_or_b32_e32 v90, 0x200, v0
	s_delay_alu instid0(VALU_DEP_1)
	v_cmp_gt_i32_e32 vcc_lo, s8, v90
                                        ; implicit-def: $vgpr90
	s_and_saveexec_b32 s3, vcc_lo
	s_cbranch_execz .LBB114_98
; %bb.94:
	v_cmp_ne_u32_e32 vcc_lo, 1, v123
	s_cbranch_vccnz .LBB114_214
; %bb.95:
	v_cmp_neq_f64_e32 vcc_lo, v[110:111], v[114:115]
	v_cmp_neq_f64_e64 s1, v[112:113], v[116:117]
	s_or_b32 s6, vcc_lo, s1
	s_cbranch_execnz .LBB114_97
.LBB114_96:
	v_cmp_eq_f64_e32 vcc_lo, v[110:111], v[114:115]
	v_cmp_eq_f64_e64 s1, v[112:113], v[116:117]
	s_and_not1_b32 s6, s6, exec_lo
	s_and_b32 s1, vcc_lo, s1
	s_delay_alu instid0(SALU_CYCLE_1) | instskip(NEXT) | instid1(SALU_CYCLE_1)
	s_and_b32 s1, s1, exec_lo
	s_or_b32 s6, s6, s1
.LBB114_97:
	s_delay_alu instid0(SALU_CYCLE_1)
	v_cndmask_b32_e64 v90, 0, 1, s6
.LBB114_98:
	s_or_b32 exec_lo, exec_lo, s3
	v_or_b32_e32 v91, 0x300, v0
	s_delay_alu instid0(VALU_DEP_1)
	v_cmp_gt_i32_e32 vcc_lo, s8, v91
                                        ; implicit-def: $vgpr91
	s_and_saveexec_b32 s3, vcc_lo
	s_cbranch_execz .LBB114_103
; %bb.99:
	v_cmp_ne_u32_e32 vcc_lo, 1, v123
	s_cbranch_vccnz .LBB114_215
; %bb.100:
	v_cmp_neq_f64_e32 vcc_lo, v[106:107], v[74:75]
	v_cmp_neq_f64_e64 s1, v[108:109], v[76:77]
	s_or_b32 s6, vcc_lo, s1
	s_cbranch_execnz .LBB114_102
.LBB114_101:
	v_cmp_eq_f64_e32 vcc_lo, v[106:107], v[74:75]
	v_cmp_eq_f64_e64 s1, v[108:109], v[76:77]
	s_and_not1_b32 s6, s6, exec_lo
	s_and_b32 s1, vcc_lo, s1
	s_delay_alu instid0(SALU_CYCLE_1) | instskip(NEXT) | instid1(SALU_CYCLE_1)
	s_and_b32 s1, s1, exec_lo
	s_or_b32 s6, s6, s1
.LBB114_102:
	s_delay_alu instid0(SALU_CYCLE_1)
	v_cndmask_b32_e64 v91, 0, 1, s6
.LBB114_103:
	s_or_b32 exec_lo, exec_lo, s3
	v_or_b32_e32 v74, 0x400, v0
	s_delay_alu instid0(VALU_DEP_1)
	v_cmp_gt_i32_e32 vcc_lo, s8, v74
                                        ; implicit-def: $vgpr74
	s_and_saveexec_b32 s3, vcc_lo
	s_cbranch_execz .LBB114_108
; %bb.104:
	v_cmp_ne_u32_e32 vcc_lo, 1, v123
	s_cbranch_vccnz .LBB114_216
; %bb.105:
	v_cmp_neq_f64_e32 vcc_lo, v[98:99], v[102:103]
	v_cmp_neq_f64_e64 s1, v[100:101], v[104:105]
	s_or_b32 s6, vcc_lo, s1
	s_cbranch_execnz .LBB114_107
.LBB114_106:
	v_cmp_eq_f64_e32 vcc_lo, v[98:99], v[102:103]
	v_cmp_eq_f64_e64 s1, v[100:101], v[104:105]
	s_and_not1_b32 s6, s6, exec_lo
	s_and_b32 s1, vcc_lo, s1
	s_delay_alu instid0(SALU_CYCLE_1) | instskip(NEXT) | instid1(SALU_CYCLE_1)
	s_and_b32 s1, s1, exec_lo
	s_or_b32 s6, s6, s1
.LBB114_107:
	s_delay_alu instid0(SALU_CYCLE_1)
	v_cndmask_b32_e64 v74, 0, 1, s6
.LBB114_108:
	s_or_b32 exec_lo, exec_lo, s3
	v_or_b32_e32 v75, 0x500, v0
	s_delay_alu instid0(VALU_DEP_1)
	v_cmp_gt_i32_e32 vcc_lo, s8, v75
                                        ; implicit-def: $vgpr75
	s_and_saveexec_b32 s3, vcc_lo
	s_cbranch_execz .LBB114_113
; %bb.109:
	v_cmp_ne_u32_e32 vcc_lo, 1, v123
	s_cbranch_vccnz .LBB114_217
; %bb.110:
	v_cmp_neq_f64_e32 vcc_lo, v[94:95], v[58:59]
	v_cmp_neq_f64_e64 s1, v[96:97], v[60:61]
	s_or_b32 s6, vcc_lo, s1
	s_cbranch_execnz .LBB114_112
.LBB114_111:
	v_cmp_eq_f64_e32 vcc_lo, v[94:95], v[58:59]
	v_cmp_eq_f64_e64 s1, v[96:97], v[60:61]
	s_and_not1_b32 s6, s6, exec_lo
	s_and_b32 s1, vcc_lo, s1
	s_delay_alu instid0(SALU_CYCLE_1) | instskip(NEXT) | instid1(SALU_CYCLE_1)
	s_and_b32 s1, s1, exec_lo
	s_or_b32 s6, s6, s1
.LBB114_112:
	s_delay_alu instid0(SALU_CYCLE_1)
	v_cndmask_b32_e64 v75, 0, 1, s6
.LBB114_113:
	s_or_b32 exec_lo, exec_lo, s3
	v_or_b32_e32 v58, 0x600, v0
	s_delay_alu instid0(VALU_DEP_1)
	v_cmp_gt_i32_e32 vcc_lo, s8, v58
                                        ; implicit-def: $vgpr58
	s_and_saveexec_b32 s3, vcc_lo
	s_cbranch_execz .LBB114_118
; %bb.114:
	v_cmp_ne_u32_e32 vcc_lo, 1, v123
	s_cbranch_vccnz .LBB114_218
; %bb.115:
	v_cmp_neq_f64_e32 vcc_lo, v[82:83], v[86:87]
	v_cmp_neq_f64_e64 s1, v[84:85], v[88:89]
	s_or_b32 s6, vcc_lo, s1
	s_cbranch_execnz .LBB114_117
.LBB114_116:
	v_cmp_eq_f64_e32 vcc_lo, v[82:83], v[86:87]
	v_cmp_eq_f64_e64 s1, v[84:85], v[88:89]
	s_and_not1_b32 s6, s6, exec_lo
	s_and_b32 s1, vcc_lo, s1
	s_delay_alu instid0(SALU_CYCLE_1) | instskip(NEXT) | instid1(SALU_CYCLE_1)
	s_and_b32 s1, s1, exec_lo
	s_or_b32 s6, s6, s1
.LBB114_117:
	s_delay_alu instid0(SALU_CYCLE_1)
	v_cndmask_b32_e64 v58, 0, 1, s6
.LBB114_118:
	s_or_b32 exec_lo, exec_lo, s3
	v_or_b32_e32 v59, 0x700, v0
	s_delay_alu instid0(VALU_DEP_1)
	v_cmp_gt_i32_e32 vcc_lo, s8, v59
                                        ; implicit-def: $vgpr59
	s_and_saveexec_b32 s3, vcc_lo
	s_cbranch_execz .LBB114_123
; %bb.119:
	v_cmp_ne_u32_e32 vcc_lo, 1, v123
	s_cbranch_vccnz .LBB114_219
; %bb.120:
	v_cmp_neq_f64_e32 vcc_lo, v[78:79], v[42:43]
	v_cmp_neq_f64_e64 s1, v[80:81], v[44:45]
	s_or_b32 s6, vcc_lo, s1
	s_cbranch_execnz .LBB114_122
.LBB114_121:
	v_cmp_eq_f64_e32 vcc_lo, v[78:79], v[42:43]
	v_cmp_eq_f64_e64 s1, v[80:81], v[44:45]
	s_and_not1_b32 s6, s6, exec_lo
	s_and_b32 s1, vcc_lo, s1
	s_delay_alu instid0(SALU_CYCLE_1) | instskip(NEXT) | instid1(SALU_CYCLE_1)
	s_and_b32 s1, s1, exec_lo
	s_or_b32 s6, s6, s1
.LBB114_122:
	s_delay_alu instid0(SALU_CYCLE_1)
	v_cndmask_b32_e64 v59, 0, 1, s6
.LBB114_123:
	s_or_b32 exec_lo, exec_lo, s3
	v_or_b32_e32 v42, 0x800, v0
	s_delay_alu instid0(VALU_DEP_1)
	v_cmp_gt_i32_e32 vcc_lo, s8, v42
                                        ; implicit-def: $vgpr42
	s_and_saveexec_b32 s3, vcc_lo
	s_cbranch_execz .LBB114_128
; %bb.124:
	v_cmp_ne_u32_e32 vcc_lo, 1, v123
	s_cbranch_vccnz .LBB114_220
; %bb.125:
	v_cmp_neq_f64_e32 vcc_lo, v[66:67], v[70:71]
	v_cmp_neq_f64_e64 s1, v[68:69], v[72:73]
	s_or_b32 s6, vcc_lo, s1
	s_cbranch_execnz .LBB114_127
.LBB114_126:
	v_cmp_eq_f64_e32 vcc_lo, v[66:67], v[70:71]
	v_cmp_eq_f64_e64 s1, v[68:69], v[72:73]
	s_and_not1_b32 s6, s6, exec_lo
	s_and_b32 s1, vcc_lo, s1
	s_delay_alu instid0(SALU_CYCLE_1) | instskip(NEXT) | instid1(SALU_CYCLE_1)
	s_and_b32 s1, s1, exec_lo
	s_or_b32 s6, s6, s1
.LBB114_127:
	s_delay_alu instid0(SALU_CYCLE_1)
	v_cndmask_b32_e64 v42, 0, 1, s6
.LBB114_128:
	s_or_b32 exec_lo, exec_lo, s3
	v_or_b32_e32 v43, 0x900, v0
	s_delay_alu instid0(VALU_DEP_1)
	v_cmp_gt_i32_e32 vcc_lo, s8, v43
                                        ; implicit-def: $vgpr43
	s_and_saveexec_b32 s3, vcc_lo
	s_cbranch_execz .LBB114_133
; %bb.129:
	v_cmp_ne_u32_e32 vcc_lo, 1, v123
	s_cbranch_vccnz .LBB114_221
; %bb.130:
	v_cmp_neq_f64_e32 vcc_lo, v[62:63], v[26:27]
	v_cmp_neq_f64_e64 s1, v[64:65], v[28:29]
	s_or_b32 s6, vcc_lo, s1
	s_cbranch_execnz .LBB114_132
.LBB114_131:
	v_cmp_eq_f64_e32 vcc_lo, v[62:63], v[26:27]
	v_cmp_eq_f64_e64 s1, v[64:65], v[28:29]
	s_and_not1_b32 s6, s6, exec_lo
	s_and_b32 s1, vcc_lo, s1
	s_delay_alu instid0(SALU_CYCLE_1) | instskip(NEXT) | instid1(SALU_CYCLE_1)
	s_and_b32 s1, s1, exec_lo
	s_or_b32 s6, s6, s1
.LBB114_132:
	s_delay_alu instid0(SALU_CYCLE_1)
	v_cndmask_b32_e64 v43, 0, 1, s6
.LBB114_133:
	s_or_b32 exec_lo, exec_lo, s3
	v_or_b32_e32 v26, 0xa00, v0
	s_delay_alu instid0(VALU_DEP_1)
	v_cmp_gt_i32_e32 vcc_lo, s8, v26
                                        ; implicit-def: $vgpr26
	s_and_saveexec_b32 s3, vcc_lo
	s_cbranch_execz .LBB114_138
; %bb.134:
	v_cmp_ne_u32_e32 vcc_lo, 1, v123
	s_cbranch_vccnz .LBB114_222
; %bb.135:
	v_cmp_neq_f64_e32 vcc_lo, v[50:51], v[54:55]
	v_cmp_neq_f64_e64 s1, v[52:53], v[56:57]
	s_or_b32 s6, vcc_lo, s1
	s_cbranch_execnz .LBB114_137
.LBB114_136:
	v_cmp_eq_f64_e32 vcc_lo, v[50:51], v[54:55]
	v_cmp_eq_f64_e64 s1, v[52:53], v[56:57]
	s_and_not1_b32 s6, s6, exec_lo
	s_and_b32 s1, vcc_lo, s1
	s_delay_alu instid0(SALU_CYCLE_1) | instskip(NEXT) | instid1(SALU_CYCLE_1)
	s_and_b32 s1, s1, exec_lo
	s_or_b32 s6, s6, s1
.LBB114_137:
	s_delay_alu instid0(SALU_CYCLE_1)
	v_cndmask_b32_e64 v26, 0, 1, s6
.LBB114_138:
	s_or_b32 exec_lo, exec_lo, s3
	v_or_b32_e32 v27, 0xb00, v0
	s_delay_alu instid0(VALU_DEP_1)
	v_cmp_gt_i32_e32 vcc_lo, s8, v27
                                        ; implicit-def: $vgpr27
	s_and_saveexec_b32 s3, vcc_lo
	s_cbranch_execz .LBB114_143
; %bb.139:
	v_cmp_ne_u32_e32 vcc_lo, 1, v123
	s_cbranch_vccnz .LBB114_223
; %bb.140:
	v_cmp_neq_f64_e32 vcc_lo, v[46:47], v[10:11]
	v_cmp_neq_f64_e64 s1, v[48:49], v[12:13]
	s_or_b32 s6, vcc_lo, s1
	s_cbranch_execnz .LBB114_142
.LBB114_141:
	v_cmp_eq_f64_e32 vcc_lo, v[46:47], v[10:11]
	v_cmp_eq_f64_e64 s1, v[48:49], v[12:13]
	s_and_not1_b32 s6, s6, exec_lo
	s_and_b32 s1, vcc_lo, s1
	s_delay_alu instid0(SALU_CYCLE_1) | instskip(NEXT) | instid1(SALU_CYCLE_1)
	s_and_b32 s1, s1, exec_lo
	s_or_b32 s6, s6, s1
.LBB114_142:
	s_delay_alu instid0(SALU_CYCLE_1)
	v_cndmask_b32_e64 v27, 0, 1, s6
.LBB114_143:
	s_or_b32 exec_lo, exec_lo, s3
	v_or_b32_e32 v10, 0xc00, v0
	s_delay_alu instid0(VALU_DEP_1)
	v_cmp_gt_i32_e32 vcc_lo, s8, v10
                                        ; implicit-def: $vgpr10
	s_and_saveexec_b32 s3, vcc_lo
	s_cbranch_execz .LBB114_148
; %bb.144:
	v_cmp_ne_u32_e32 vcc_lo, 1, v123
	s_cbranch_vccnz .LBB114_224
; %bb.145:
	v_cmp_neq_f64_e32 vcc_lo, v[34:35], v[38:39]
	v_cmp_neq_f64_e64 s1, v[36:37], v[40:41]
	s_or_b32 s6, vcc_lo, s1
	s_cbranch_execnz .LBB114_147
.LBB114_146:
	v_cmp_eq_f64_e32 vcc_lo, v[34:35], v[38:39]
	v_cmp_eq_f64_e64 s1, v[36:37], v[40:41]
	s_and_not1_b32 s6, s6, exec_lo
	s_and_b32 s1, vcc_lo, s1
	s_delay_alu instid0(SALU_CYCLE_1) | instskip(NEXT) | instid1(SALU_CYCLE_1)
	s_and_b32 s1, s1, exec_lo
	s_or_b32 s6, s6, s1
.LBB114_147:
	s_delay_alu instid0(SALU_CYCLE_1)
	v_cndmask_b32_e64 v10, 0, 1, s6
.LBB114_148:
	s_or_b32 exec_lo, exec_lo, s3
	v_or_b32_e32 v11, 0xd00, v0
	s_delay_alu instid0(VALU_DEP_1)
	v_cmp_gt_i32_e32 vcc_lo, s8, v11
                                        ; implicit-def: $vgpr11
	s_and_saveexec_b32 s3, vcc_lo
	s_cbranch_execz .LBB114_153
; %bb.149:
	v_cmp_ne_u32_e32 vcc_lo, 1, v123
	s_cbranch_vccnz .LBB114_225
; %bb.150:
	s_wait_loadcnt 0x0
	v_cmp_neq_f64_e32 vcc_lo, v[30:31], v[6:7]
	v_cmp_neq_f64_e64 s1, v[32:33], v[8:9]
	s_or_b32 s6, vcc_lo, s1
	s_cbranch_execnz .LBB114_152
.LBB114_151:
	s_wait_loadcnt 0x0
	v_cmp_eq_f64_e32 vcc_lo, v[30:31], v[6:7]
	v_cmp_eq_f64_e64 s1, v[32:33], v[8:9]
	s_and_not1_b32 s6, s6, exec_lo
	s_and_b32 s1, vcc_lo, s1
	s_delay_alu instid0(SALU_CYCLE_1) | instskip(NEXT) | instid1(SALU_CYCLE_1)
	s_and_b32 s1, s1, exec_lo
	s_or_b32 s6, s6, s1
.LBB114_152:
	s_delay_alu instid0(SALU_CYCLE_1)
	v_cndmask_b32_e64 v11, 0, 1, s6
.LBB114_153:
	s_or_b32 exec_lo, exec_lo, s3
	s_wait_loadcnt 0x0
	v_or_b32_e32 v6, 0xe00, v0
	s_delay_alu instid0(VALU_DEP_1)
	v_cmp_gt_i32_e32 vcc_lo, s8, v6
                                        ; implicit-def: $vgpr6
	s_and_saveexec_b32 s3, vcc_lo
	s_cbranch_execz .LBB114_158
; %bb.154:
	v_cmp_ne_u32_e32 vcc_lo, 1, v123
	s_cbranch_vccnz .LBB114_226
; %bb.155:
	v_cmp_neq_f64_e32 vcc_lo, v[18:19], v[22:23]
	v_cmp_neq_f64_e64 s1, v[20:21], v[24:25]
	s_or_b32 s6, vcc_lo, s1
	s_cbranch_execnz .LBB114_157
.LBB114_156:
	v_cmp_eq_f64_e32 vcc_lo, v[18:19], v[22:23]
	v_cmp_eq_f64_e64 s1, v[20:21], v[24:25]
	s_and_not1_b32 s6, s6, exec_lo
	s_and_b32 s1, vcc_lo, s1
	s_delay_alu instid0(SALU_CYCLE_1) | instskip(NEXT) | instid1(SALU_CYCLE_1)
	s_and_b32 s1, s1, exec_lo
	s_or_b32 s6, s6, s1
.LBB114_157:
	s_delay_alu instid0(SALU_CYCLE_1)
	v_cndmask_b32_e64 v6, 0, 1, s6
.LBB114_158:
	s_or_b32 exec_lo, exec_lo, s3
	v_or_b32_e32 v7, 0xf00, v0
	s_delay_alu instid0(VALU_DEP_1)
	v_cmp_gt_i32_e32 vcc_lo, s8, v7
                                        ; implicit-def: $vgpr7
	s_and_saveexec_b32 s3, vcc_lo
	s_cbranch_execz .LBB114_163
; %bb.159:
	v_cmp_ne_u32_e32 vcc_lo, 1, v123
	s_cbranch_vccnz .LBB114_227
; %bb.160:
	v_cmp_neq_f64_e32 vcc_lo, v[14:15], v[2:3]
	v_cmp_neq_f64_e64 s1, v[16:17], v[4:5]
	s_or_b32 s6, vcc_lo, s1
	s_cbranch_execnz .LBB114_162
.LBB114_161:
	v_cmp_eq_f64_e32 vcc_lo, v[14:15], v[2:3]
	v_cmp_eq_f64_e64 s1, v[16:17], v[4:5]
	s_and_not1_b32 s6, s6, exec_lo
	s_and_b32 s1, vcc_lo, s1
	s_delay_alu instid0(SALU_CYCLE_1) | instskip(NEXT) | instid1(SALU_CYCLE_1)
	s_and_b32 s1, s1, exec_lo
	s_or_b32 s6, s6, s1
.LBB114_162:
	s_delay_alu instid0(SALU_CYCLE_1)
	v_cndmask_b32_e64 v7, 0, 1, s6
.LBB114_163:
	s_or_b32 exec_lo, exec_lo, s3
	s_and_saveexec_b32 s1, s0
	s_delay_alu instid0(SALU_CYCLE_1)
	s_xor_b32 s0, exec_lo, s1
	s_cbranch_execz .LBB114_165
; %bb.164:
	v_mov_b32_e32 v0, v130
	global_store_b8 v1, v131, s[4:5]
.LBB114_165:
	s_wait_xcnt 0x0
	s_or_b32 exec_lo, exec_lo, s0
	s_delay_alu instid0(SALU_CYCLE_1)
	s_mov_b32 s0, exec_lo
	v_cmpx_gt_i32_e64 s8, v0
	s_cbranch_execnz .LBB114_181
; %bb.166:
	s_or_b32 exec_lo, exec_lo, s0
	s_delay_alu instid0(SALU_CYCLE_1)
	s_mov_b32 s0, exec_lo
	v_cmpx_gt_i32_e64 s8, v0
	s_cbranch_execnz .LBB114_182
.LBB114_167:
	s_or_b32 exec_lo, exec_lo, s0
	s_delay_alu instid0(SALU_CYCLE_1)
	s_mov_b32 s0, exec_lo
	v_cmpx_gt_i32_e64 s8, v0
	s_cbranch_execnz .LBB114_183
.LBB114_168:
	s_or_b32 exec_lo, exec_lo, s0
	s_delay_alu instid0(SALU_CYCLE_1)
	s_mov_b32 s0, exec_lo
	v_cmpx_gt_i32_e64 s8, v0
	s_cbranch_execnz .LBB114_184
.LBB114_169:
	s_or_b32 exec_lo, exec_lo, s0
	s_delay_alu instid0(SALU_CYCLE_1)
	s_mov_b32 s0, exec_lo
	v_cmpx_gt_i32_e64 s8, v0
	s_cbranch_execnz .LBB114_185
.LBB114_170:
	s_or_b32 exec_lo, exec_lo, s0
	s_delay_alu instid0(SALU_CYCLE_1)
	s_mov_b32 s0, exec_lo
	v_cmpx_gt_i32_e64 s8, v0
	s_cbranch_execnz .LBB114_186
.LBB114_171:
	s_or_b32 exec_lo, exec_lo, s0
	s_delay_alu instid0(SALU_CYCLE_1)
	s_mov_b32 s0, exec_lo
	v_cmpx_gt_i32_e64 s8, v0
	s_cbranch_execnz .LBB114_187
.LBB114_172:
	s_or_b32 exec_lo, exec_lo, s0
	s_delay_alu instid0(SALU_CYCLE_1)
	s_mov_b32 s0, exec_lo
	v_cmpx_gt_i32_e64 s8, v0
	s_cbranch_execnz .LBB114_188
.LBB114_173:
	s_or_b32 exec_lo, exec_lo, s0
	s_delay_alu instid0(SALU_CYCLE_1)
	s_mov_b32 s0, exec_lo
	v_cmpx_gt_i32_e64 s8, v0
	s_cbranch_execnz .LBB114_189
.LBB114_174:
	s_or_b32 exec_lo, exec_lo, s0
	s_delay_alu instid0(SALU_CYCLE_1)
	s_mov_b32 s0, exec_lo
	v_cmpx_gt_i32_e64 s8, v0
	s_cbranch_execnz .LBB114_190
.LBB114_175:
	s_or_b32 exec_lo, exec_lo, s0
	s_delay_alu instid0(SALU_CYCLE_1)
	s_mov_b32 s0, exec_lo
	v_cmpx_gt_i32_e64 s8, v0
	s_cbranch_execnz .LBB114_191
.LBB114_176:
	s_or_b32 exec_lo, exec_lo, s0
	s_delay_alu instid0(SALU_CYCLE_1)
	s_mov_b32 s0, exec_lo
	v_cmpx_gt_i32_e64 s8, v0
	s_cbranch_execnz .LBB114_192
.LBB114_177:
	s_or_b32 exec_lo, exec_lo, s0
	s_delay_alu instid0(SALU_CYCLE_1)
	s_mov_b32 s0, exec_lo
	v_cmpx_gt_i32_e64 s8, v0
	s_cbranch_execnz .LBB114_193
.LBB114_178:
	s_or_b32 exec_lo, exec_lo, s0
	s_delay_alu instid0(SALU_CYCLE_1)
	s_mov_b32 s0, exec_lo
	v_cmpx_gt_i32_e64 s8, v0
	s_cbranch_execnz .LBB114_194
.LBB114_179:
	s_or_b32 exec_lo, exec_lo, s0
	s_delay_alu instid0(SALU_CYCLE_1)
	s_mov_b32 s0, exec_lo
	v_cmpx_gt_i32_e64 s8, v0
	s_cbranch_execz .LBB114_195
.LBB114_180:
	v_add_nc_u32_e32 v0, s2, v0
	global_store_b8 v0, v7, s[4:5]
	s_sendmsg sendmsg(MSG_DEALLOC_VGPRS)
	s_endpgm
.LBB114_181:
	v_add_nc_u32_e32 v1, s2, v0
	v_add_nc_u32_e32 v0, 0x100, v0
	global_store_b8 v1, v122, s[4:5]
	s_wait_xcnt 0x0
	s_or_b32 exec_lo, exec_lo, s0
	s_delay_alu instid0(SALU_CYCLE_1)
	s_mov_b32 s0, exec_lo
	v_cmpx_gt_i32_e64 s8, v0
	s_cbranch_execz .LBB114_167
.LBB114_182:
	v_add_nc_u32_e32 v1, s2, v0
	v_add_nc_u32_e32 v0, 0x100, v0
	global_store_b8 v1, v90, s[4:5]
	s_wait_xcnt 0x0
	s_or_b32 exec_lo, exec_lo, s0
	s_delay_alu instid0(SALU_CYCLE_1)
	s_mov_b32 s0, exec_lo
	v_cmpx_gt_i32_e64 s8, v0
	s_cbranch_execz .LBB114_168
.LBB114_183:
	v_add_nc_u32_e32 v1, s2, v0
	v_add_nc_u32_e32 v0, 0x100, v0
	global_store_b8 v1, v91, s[4:5]
	s_wait_xcnt 0x0
	s_or_b32 exec_lo, exec_lo, s0
	s_delay_alu instid0(SALU_CYCLE_1)
	s_mov_b32 s0, exec_lo
	v_cmpx_gt_i32_e64 s8, v0
	s_cbranch_execz .LBB114_169
.LBB114_184:
	v_add_nc_u32_e32 v1, s2, v0
	v_add_nc_u32_e32 v0, 0x100, v0
	global_store_b8 v1, v74, s[4:5]
	s_wait_xcnt 0x0
	s_or_b32 exec_lo, exec_lo, s0
	s_delay_alu instid0(SALU_CYCLE_1)
	s_mov_b32 s0, exec_lo
	v_cmpx_gt_i32_e64 s8, v0
	s_cbranch_execz .LBB114_170
.LBB114_185:
	v_add_nc_u32_e32 v1, s2, v0
	v_add_nc_u32_e32 v0, 0x100, v0
	global_store_b8 v1, v75, s[4:5]
	s_wait_xcnt 0x0
	s_or_b32 exec_lo, exec_lo, s0
	s_delay_alu instid0(SALU_CYCLE_1)
	s_mov_b32 s0, exec_lo
	v_cmpx_gt_i32_e64 s8, v0
	s_cbranch_execz .LBB114_171
.LBB114_186:
	v_add_nc_u32_e32 v1, s2, v0
	v_add_nc_u32_e32 v0, 0x100, v0
	global_store_b8 v1, v58, s[4:5]
	s_wait_xcnt 0x0
	s_or_b32 exec_lo, exec_lo, s0
	s_delay_alu instid0(SALU_CYCLE_1)
	s_mov_b32 s0, exec_lo
	v_cmpx_gt_i32_e64 s8, v0
	s_cbranch_execz .LBB114_172
.LBB114_187:
	v_add_nc_u32_e32 v1, s2, v0
	v_add_nc_u32_e32 v0, 0x100, v0
	global_store_b8 v1, v59, s[4:5]
	s_wait_xcnt 0x0
	s_or_b32 exec_lo, exec_lo, s0
	s_delay_alu instid0(SALU_CYCLE_1)
	s_mov_b32 s0, exec_lo
	v_cmpx_gt_i32_e64 s8, v0
	s_cbranch_execz .LBB114_173
.LBB114_188:
	v_add_nc_u32_e32 v1, s2, v0
	v_add_nc_u32_e32 v0, 0x100, v0
	global_store_b8 v1, v42, s[4:5]
	s_wait_xcnt 0x0
	s_or_b32 exec_lo, exec_lo, s0
	s_delay_alu instid0(SALU_CYCLE_1)
	s_mov_b32 s0, exec_lo
	v_cmpx_gt_i32_e64 s8, v0
	s_cbranch_execz .LBB114_174
.LBB114_189:
	v_add_nc_u32_e32 v1, s2, v0
	v_add_nc_u32_e32 v0, 0x100, v0
	global_store_b8 v1, v43, s[4:5]
	s_wait_xcnt 0x0
	s_or_b32 exec_lo, exec_lo, s0
	s_delay_alu instid0(SALU_CYCLE_1)
	s_mov_b32 s0, exec_lo
	v_cmpx_gt_i32_e64 s8, v0
	s_cbranch_execz .LBB114_175
.LBB114_190:
	v_add_nc_u32_e32 v1, s2, v0
	v_add_nc_u32_e32 v0, 0x100, v0
	global_store_b8 v1, v26, s[4:5]
	s_wait_xcnt 0x0
	s_or_b32 exec_lo, exec_lo, s0
	s_delay_alu instid0(SALU_CYCLE_1)
	s_mov_b32 s0, exec_lo
	v_cmpx_gt_i32_e64 s8, v0
	s_cbranch_execz .LBB114_176
.LBB114_191:
	v_add_nc_u32_e32 v1, s2, v0
	v_add_nc_u32_e32 v0, 0x100, v0
	global_store_b8 v1, v27, s[4:5]
	s_wait_xcnt 0x0
	s_or_b32 exec_lo, exec_lo, s0
	s_delay_alu instid0(SALU_CYCLE_1)
	s_mov_b32 s0, exec_lo
	v_cmpx_gt_i32_e64 s8, v0
	s_cbranch_execz .LBB114_177
.LBB114_192:
	v_add_nc_u32_e32 v1, s2, v0
	v_add_nc_u32_e32 v0, 0x100, v0
	global_store_b8 v1, v10, s[4:5]
	s_wait_xcnt 0x0
	s_or_b32 exec_lo, exec_lo, s0
	s_delay_alu instid0(SALU_CYCLE_1)
	s_mov_b32 s0, exec_lo
	v_cmpx_gt_i32_e64 s8, v0
	s_cbranch_execz .LBB114_178
.LBB114_193:
	v_add_nc_u32_e32 v1, s2, v0
	v_add_nc_u32_e32 v0, 0x100, v0
	global_store_b8 v1, v11, s[4:5]
	s_wait_xcnt 0x0
	s_or_b32 exec_lo, exec_lo, s0
	s_delay_alu instid0(SALU_CYCLE_1)
	s_mov_b32 s0, exec_lo
	v_cmpx_gt_i32_e64 s8, v0
	s_cbranch_execz .LBB114_179
.LBB114_194:
	v_add_nc_u32_e32 v1, s2, v0
	v_add_nc_u32_e32 v0, 0x100, v0
	global_store_b8 v1, v6, s[4:5]
	s_wait_xcnt 0x0
	s_or_b32 exec_lo, exec_lo, s0
	s_delay_alu instid0(SALU_CYCLE_1)
	s_mov_b32 s0, exec_lo
	v_cmpx_gt_i32_e64 s8, v0
	s_cbranch_execnz .LBB114_180
.LBB114_195:
	s_sendmsg sendmsg(MSG_DEALLOC_VGPRS)
	s_endpgm
.LBB114_196:
	s_wait_xcnt 0x0
                                        ; implicit-def: $sgpr1
	s_branch .LBB114_3
.LBB114_197:
                                        ; implicit-def: $sgpr12
	s_branch .LBB114_6
.LBB114_198:
                                        ; implicit-def: $sgpr13
	s_branch .LBB114_9
.LBB114_199:
                                        ; implicit-def: $sgpr14
	s_branch .LBB114_12
.LBB114_200:
                                        ; implicit-def: $sgpr15
	s_branch .LBB114_15
.LBB114_201:
                                        ; implicit-def: $sgpr16
	s_branch .LBB114_18
.LBB114_202:
                                        ; implicit-def: $sgpr17
	s_branch .LBB114_21
.LBB114_203:
                                        ; implicit-def: $sgpr18
	s_branch .LBB114_24
.LBB114_204:
                                        ; implicit-def: $sgpr19
	s_branch .LBB114_27
.LBB114_205:
                                        ; implicit-def: $sgpr20
	s_branch .LBB114_30
.LBB114_206:
                                        ; implicit-def: $sgpr21
	s_branch .LBB114_33
.LBB114_207:
                                        ; implicit-def: $sgpr22
	s_branch .LBB114_36
.LBB114_208:
                                        ; implicit-def: $sgpr23
	s_branch .LBB114_39
.LBB114_209:
                                        ; implicit-def: $sgpr24
	s_branch .LBB114_42
.LBB114_210:
                                        ; implicit-def: $sgpr25
	s_branch .LBB114_45
.LBB114_211:
                                        ; implicit-def: $sgpr26
	s_branch .LBB114_48
.LBB114_212:
                                        ; implicit-def: $sgpr7
	s_branch .LBB114_86
.LBB114_213:
                                        ; implicit-def: $sgpr3
	s_branch .LBB114_91
.LBB114_214:
                                        ; implicit-def: $sgpr6
	s_branch .LBB114_96
.LBB114_215:
                                        ; implicit-def: $sgpr6
	s_branch .LBB114_101
.LBB114_216:
                                        ; implicit-def: $sgpr6
	s_branch .LBB114_106
.LBB114_217:
                                        ; implicit-def: $sgpr6
	s_branch .LBB114_111
.LBB114_218:
                                        ; implicit-def: $sgpr6
	s_branch .LBB114_116
.LBB114_219:
                                        ; implicit-def: $sgpr6
	s_branch .LBB114_121
.LBB114_220:
                                        ; implicit-def: $sgpr6
	s_branch .LBB114_126
.LBB114_221:
                                        ; implicit-def: $sgpr6
	s_branch .LBB114_131
.LBB114_222:
                                        ; implicit-def: $sgpr6
	s_branch .LBB114_136
.LBB114_223:
                                        ; implicit-def: $sgpr6
	s_branch .LBB114_141
.LBB114_224:
                                        ; implicit-def: $sgpr6
	s_branch .LBB114_146
.LBB114_225:
                                        ; implicit-def: $sgpr6
	s_branch .LBB114_151
.LBB114_226:
                                        ; implicit-def: $sgpr6
	s_branch .LBB114_156
.LBB114_227:
                                        ; implicit-def: $sgpr6
	s_branch .LBB114_161
	.section	.rodata,"a",@progbits
	.p2align	6, 0x0
	.amdhsa_kernel _ZN2at6native29vectorized_elementwise_kernelILi4ENS0_13BinaryFunctorIN3c107complexIdEES5_bNS0_12_GLOBAL__N_116CompareEqFunctorIS5_EEEESt5arrayIPcLm3EEEEviT0_T1_
		.amdhsa_group_segment_fixed_size 0
		.amdhsa_private_segment_fixed_size 0
		.amdhsa_kernarg_size 32
		.amdhsa_user_sgpr_count 2
		.amdhsa_user_sgpr_dispatch_ptr 0
		.amdhsa_user_sgpr_queue_ptr 0
		.amdhsa_user_sgpr_kernarg_segment_ptr 1
		.amdhsa_user_sgpr_dispatch_id 0
		.amdhsa_user_sgpr_kernarg_preload_length 0
		.amdhsa_user_sgpr_kernarg_preload_offset 0
		.amdhsa_user_sgpr_private_segment_size 0
		.amdhsa_wavefront_size32 1
		.amdhsa_uses_dynamic_stack 0
		.amdhsa_enable_private_segment 0
		.amdhsa_system_sgpr_workgroup_id_x 1
		.amdhsa_system_sgpr_workgroup_id_y 0
		.amdhsa_system_sgpr_workgroup_id_z 0
		.amdhsa_system_sgpr_workgroup_info 0
		.amdhsa_system_vgpr_workitem_id 0
		.amdhsa_next_free_vgpr 132
		.amdhsa_next_free_sgpr 27
		.amdhsa_named_barrier_count 0
		.amdhsa_reserve_vcc 1
		.amdhsa_float_round_mode_32 0
		.amdhsa_float_round_mode_16_64 0
		.amdhsa_float_denorm_mode_32 3
		.amdhsa_float_denorm_mode_16_64 3
		.amdhsa_fp16_overflow 0
		.amdhsa_memory_ordered 1
		.amdhsa_forward_progress 1
		.amdhsa_inst_pref_size 48
		.amdhsa_round_robin_scheduling 0
		.amdhsa_exception_fp_ieee_invalid_op 0
		.amdhsa_exception_fp_denorm_src 0
		.amdhsa_exception_fp_ieee_div_zero 0
		.amdhsa_exception_fp_ieee_overflow 0
		.amdhsa_exception_fp_ieee_underflow 0
		.amdhsa_exception_fp_ieee_inexact 0
		.amdhsa_exception_int_div_zero 0
	.end_amdhsa_kernel
	.section	.text._ZN2at6native29vectorized_elementwise_kernelILi4ENS0_13BinaryFunctorIN3c107complexIdEES5_bNS0_12_GLOBAL__N_116CompareEqFunctorIS5_EEEESt5arrayIPcLm3EEEEviT0_T1_,"axG",@progbits,_ZN2at6native29vectorized_elementwise_kernelILi4ENS0_13BinaryFunctorIN3c107complexIdEES5_bNS0_12_GLOBAL__N_116CompareEqFunctorIS5_EEEESt5arrayIPcLm3EEEEviT0_T1_,comdat
.Lfunc_end114:
	.size	_ZN2at6native29vectorized_elementwise_kernelILi4ENS0_13BinaryFunctorIN3c107complexIdEES5_bNS0_12_GLOBAL__N_116CompareEqFunctorIS5_EEEESt5arrayIPcLm3EEEEviT0_T1_, .Lfunc_end114-_ZN2at6native29vectorized_elementwise_kernelILi4ENS0_13BinaryFunctorIN3c107complexIdEES5_bNS0_12_GLOBAL__N_116CompareEqFunctorIS5_EEEESt5arrayIPcLm3EEEEviT0_T1_
                                        ; -- End function
	.set _ZN2at6native29vectorized_elementwise_kernelILi4ENS0_13BinaryFunctorIN3c107complexIdEES5_bNS0_12_GLOBAL__N_116CompareEqFunctorIS5_EEEESt5arrayIPcLm3EEEEviT0_T1_.num_vgpr, 132
	.set _ZN2at6native29vectorized_elementwise_kernelILi4ENS0_13BinaryFunctorIN3c107complexIdEES5_bNS0_12_GLOBAL__N_116CompareEqFunctorIS5_EEEESt5arrayIPcLm3EEEEviT0_T1_.num_agpr, 0
	.set _ZN2at6native29vectorized_elementwise_kernelILi4ENS0_13BinaryFunctorIN3c107complexIdEES5_bNS0_12_GLOBAL__N_116CompareEqFunctorIS5_EEEESt5arrayIPcLm3EEEEviT0_T1_.numbered_sgpr, 27
	.set _ZN2at6native29vectorized_elementwise_kernelILi4ENS0_13BinaryFunctorIN3c107complexIdEES5_bNS0_12_GLOBAL__N_116CompareEqFunctorIS5_EEEESt5arrayIPcLm3EEEEviT0_T1_.num_named_barrier, 0
	.set _ZN2at6native29vectorized_elementwise_kernelILi4ENS0_13BinaryFunctorIN3c107complexIdEES5_bNS0_12_GLOBAL__N_116CompareEqFunctorIS5_EEEESt5arrayIPcLm3EEEEviT0_T1_.private_seg_size, 0
	.set _ZN2at6native29vectorized_elementwise_kernelILi4ENS0_13BinaryFunctorIN3c107complexIdEES5_bNS0_12_GLOBAL__N_116CompareEqFunctorIS5_EEEESt5arrayIPcLm3EEEEviT0_T1_.uses_vcc, 1
	.set _ZN2at6native29vectorized_elementwise_kernelILi4ENS0_13BinaryFunctorIN3c107complexIdEES5_bNS0_12_GLOBAL__N_116CompareEqFunctorIS5_EEEESt5arrayIPcLm3EEEEviT0_T1_.uses_flat_scratch, 0
	.set _ZN2at6native29vectorized_elementwise_kernelILi4ENS0_13BinaryFunctorIN3c107complexIdEES5_bNS0_12_GLOBAL__N_116CompareEqFunctorIS5_EEEESt5arrayIPcLm3EEEEviT0_T1_.has_dyn_sized_stack, 0
	.set _ZN2at6native29vectorized_elementwise_kernelILi4ENS0_13BinaryFunctorIN3c107complexIdEES5_bNS0_12_GLOBAL__N_116CompareEqFunctorIS5_EEEESt5arrayIPcLm3EEEEviT0_T1_.has_recursion, 0
	.set _ZN2at6native29vectorized_elementwise_kernelILi4ENS0_13BinaryFunctorIN3c107complexIdEES5_bNS0_12_GLOBAL__N_116CompareEqFunctorIS5_EEEESt5arrayIPcLm3EEEEviT0_T1_.has_indirect_call, 0
	.section	.AMDGPU.csdata,"",@progbits
; Kernel info:
; codeLenInByte = 6116
; TotalNumSgprs: 29
; NumVgprs: 132
; ScratchSize: 0
; MemoryBound: 1
; FloatMode: 240
; IeeeMode: 1
; LDSByteSize: 0 bytes/workgroup (compile time only)
; SGPRBlocks: 0
; VGPRBlocks: 8
; NumSGPRsForWavesPerEU: 29
; NumVGPRsForWavesPerEU: 132
; NamedBarCnt: 0
; Occupancy: 7
; WaveLimiterHint : 1
; COMPUTE_PGM_RSRC2:SCRATCH_EN: 0
; COMPUTE_PGM_RSRC2:USER_SGPR: 2
; COMPUTE_PGM_RSRC2:TRAP_HANDLER: 0
; COMPUTE_PGM_RSRC2:TGID_X_EN: 1
; COMPUTE_PGM_RSRC2:TGID_Y_EN: 0
; COMPUTE_PGM_RSRC2:TGID_Z_EN: 0
; COMPUTE_PGM_RSRC2:TIDIG_COMP_CNT: 0
	.section	.text._ZN2at6native29vectorized_elementwise_kernelILi2ENS0_13BinaryFunctorIN3c107complexIdEES5_bNS0_12_GLOBAL__N_116CompareEqFunctorIS5_EEEESt5arrayIPcLm3EEEEviT0_T1_,"axG",@progbits,_ZN2at6native29vectorized_elementwise_kernelILi2ENS0_13BinaryFunctorIN3c107complexIdEES5_bNS0_12_GLOBAL__N_116CompareEqFunctorIS5_EEEESt5arrayIPcLm3EEEEviT0_T1_,comdat
	.globl	_ZN2at6native29vectorized_elementwise_kernelILi2ENS0_13BinaryFunctorIN3c107complexIdEES5_bNS0_12_GLOBAL__N_116CompareEqFunctorIS5_EEEESt5arrayIPcLm3EEEEviT0_T1_ ; -- Begin function _ZN2at6native29vectorized_elementwise_kernelILi2ENS0_13BinaryFunctorIN3c107complexIdEES5_bNS0_12_GLOBAL__N_116CompareEqFunctorIS5_EEEESt5arrayIPcLm3EEEEviT0_T1_
	.p2align	8
	.type	_ZN2at6native29vectorized_elementwise_kernelILi2ENS0_13BinaryFunctorIN3c107complexIdEES5_bNS0_12_GLOBAL__N_116CompareEqFunctorIS5_EEEESt5arrayIPcLm3EEEEviT0_T1_,@function
_ZN2at6native29vectorized_elementwise_kernelILi2ENS0_13BinaryFunctorIN3c107complexIdEES5_bNS0_12_GLOBAL__N_116CompareEqFunctorIS5_EEEESt5arrayIPcLm3EEEEviT0_T1_: ; @_ZN2at6native29vectorized_elementwise_kernelILi2ENS0_13BinaryFunctorIN3c107complexIdEES5_bNS0_12_GLOBAL__N_116CompareEqFunctorIS5_EEEESt5arrayIPcLm3EEEEviT0_T1_
; %bb.0:
	s_clause 0x2
	s_load_b64 s[8:9], s[0:1], 0x0
	s_load_b128 s[4:7], s[0:1], 0x8
	s_load_b64 s[10:11], s[0:1], 0x18
	s_wait_xcnt 0x0
	s_bfe_u32 s0, ttmp6, 0x4000c
	s_and_b32 s1, ttmp6, 15
	s_add_co_i32 s0, s0, 1
	s_getreg_b32 s2, hwreg(HW_REG_IB_STS2, 6, 4)
	s_mul_i32 s0, ttmp9, s0
	s_delay_alu instid0(SALU_CYCLE_1) | instskip(SKIP_2) | instid1(SALU_CYCLE_1)
	s_add_co_i32 s1, s1, s0
	s_cmp_eq_u32 s2, 0
	s_cselect_b32 s0, ttmp9, s1
	s_lshl_b32 s2, s0, 12
	s_mov_b32 s0, -1
	s_wait_kmcnt 0x0
	s_sub_co_i32 s8, s8, s2
	s_delay_alu instid0(SALU_CYCLE_1)
	s_cmp_gt_i32 s8, 0xfff
	s_cbranch_scc0 .LBB115_50
; %bb.1:
	s_ashr_i32 s3, s2, 31
	v_lshlrev_b32_e32 v1, 5, v0
	s_lshl_b64 s[0:1], s[2:3], 4
	s_cmp_lg_u32 s9, 0
	s_add_nc_u64 s[12:13], s[6:7], s[0:1]
	s_add_nc_u64 s[0:1], s[10:11], s[0:1]
	s_clause 0x1f
	global_load_b128 v[114:117], v1, s[12:13] offset:16
	global_load_b128 v[122:125], v1, s[12:13]
	global_load_b128 v[98:101], v1, s[12:13] offset:8208
	global_load_b128 v[106:109], v1, s[12:13] offset:8192
	;; [unrolled: 1-line block ×15, first 2 shown]
	global_load_b128 v[126:129], v1, s[0:1]
	global_load_b128 v[102:105], v1, s[0:1] offset:8208
	global_load_b128 v[110:113], v1, s[0:1] offset:8192
	;; [unrolled: 1-line block ×11, first 2 shown]
	; meta instruction
	global_load_b128 v[30:33], v1, s[0:1] offset:49152
	global_load_b128 v[6:9], v1, s[0:1] offset:57360
	;; [unrolled: 1-line block ×3, first 2 shown]
	s_wait_xcnt 0x10
	s_cselect_b32 s12, -1, 0
	s_delay_alu instid0(SALU_CYCLE_1)
	s_and_b32 vcc_lo, exec_lo, s12
	s_cbranch_vccz .LBB115_196
; %bb.2:
	s_wait_loadcnt 0xe
	v_cmp_neq_f64_e32 vcc_lo, v[122:123], v[126:127]
	s_wait_xcnt 0x0
	v_cmp_neq_f64_e64 s0, v[124:125], v[128:129]
	s_or_b32 s1, vcc_lo, s0
	s_cbranch_execnz .LBB115_4
.LBB115_3:
	s_wait_loadcnt 0xe
	v_cmp_eq_f64_e32 vcc_lo, v[122:123], v[126:127]
	v_cmp_eq_f64_e64 s0, v[124:125], v[128:129]
	s_and_not1_b32 s1, s1, exec_lo
	s_and_b32 s0, vcc_lo, s0
	s_delay_alu instid0(SALU_CYCLE_1) | instskip(NEXT) | instid1(SALU_CYCLE_1)
	s_and_b32 s0, s0, exec_lo
	s_or_b32 s1, s1, s0
.LBB115_4:
	v_cndmask_b32_e64 v1, 0, 1, s12
	s_and_not1_b32 vcc_lo, exec_lo, s12
	s_cbranch_vccnz .LBB115_197
; %bb.5:
	s_wait_loadcnt 0xf
	v_cmp_neq_f64_e32 vcc_lo, v[114:115], v[118:119]
	v_cmp_neq_f64_e64 s0, v[116:117], v[120:121]
	s_or_b32 s12, vcc_lo, s0
	s_cbranch_execnz .LBB115_7
.LBB115_6:
	s_wait_loadcnt 0xf
	v_cmp_eq_f64_e32 vcc_lo, v[114:115], v[118:119]
	v_cmp_eq_f64_e64 s0, v[116:117], v[120:121]
	s_and_not1_b32 s12, s12, exec_lo
	s_and_b32 s0, vcc_lo, s0
	s_delay_alu instid0(SALU_CYCLE_1) | instskip(NEXT) | instid1(SALU_CYCLE_1)
	s_and_b32 s0, s0, exec_lo
	s_or_b32 s12, s12, s0
.LBB115_7:
	v_cmp_ne_u32_e32 vcc_lo, 1, v1
	s_cbranch_vccnz .LBB115_198
; %bb.8:
	s_wait_loadcnt 0xc
	v_cmp_neq_f64_e32 vcc_lo, v[106:107], v[110:111]
	v_cmp_neq_f64_e64 s0, v[108:109], v[112:113]
	s_or_b32 s13, vcc_lo, s0
	s_cbranch_execnz .LBB115_10
.LBB115_9:
	s_wait_loadcnt 0xc
	v_cmp_eq_f64_e32 vcc_lo, v[106:107], v[110:111]
	v_cmp_eq_f64_e64 s0, v[108:109], v[112:113]
	s_and_not1_b32 s13, s13, exec_lo
	s_and_b32 s0, vcc_lo, s0
	s_delay_alu instid0(SALU_CYCLE_1) | instskip(NEXT) | instid1(SALU_CYCLE_1)
	s_and_b32 s0, s0, exec_lo
	s_or_b32 s13, s13, s0
.LBB115_10:
	v_cmp_ne_u32_e32 vcc_lo, 1, v1
	s_cbranch_vccnz .LBB115_199
; %bb.11:
	s_wait_loadcnt 0xd
	v_cmp_neq_f64_e32 vcc_lo, v[98:99], v[102:103]
	v_cmp_neq_f64_e64 s0, v[100:101], v[104:105]
	s_or_b32 s14, vcc_lo, s0
	s_cbranch_execnz .LBB115_13
.LBB115_12:
	s_wait_loadcnt 0xd
	v_cmp_eq_f64_e32 vcc_lo, v[98:99], v[102:103]
	v_cmp_eq_f64_e64 s0, v[100:101], v[104:105]
	s_and_not1_b32 s14, s14, exec_lo
	s_and_b32 s0, vcc_lo, s0
	s_delay_alu instid0(SALU_CYCLE_1) | instskip(NEXT) | instid1(SALU_CYCLE_1)
	s_and_b32 s0, s0, exec_lo
	s_or_b32 s14, s14, s0
.LBB115_13:
	v_cmp_ne_u32_e32 vcc_lo, 1, v1
	s_cbranch_vccnz .LBB115_200
; %bb.14:
	s_wait_loadcnt 0xa
	v_cmp_neq_f64_e32 vcc_lo, v[90:91], v[94:95]
	v_cmp_neq_f64_e64 s0, v[92:93], v[96:97]
	s_or_b32 s15, vcc_lo, s0
	s_cbranch_execnz .LBB115_16
.LBB115_15:
	s_wait_loadcnt 0xa
	v_cmp_eq_f64_e32 vcc_lo, v[90:91], v[94:95]
	v_cmp_eq_f64_e64 s0, v[92:93], v[96:97]
	s_and_not1_b32 s15, s15, exec_lo
	s_and_b32 s0, vcc_lo, s0
	s_delay_alu instid0(SALU_CYCLE_1) | instskip(NEXT) | instid1(SALU_CYCLE_1)
	s_and_b32 s0, s0, exec_lo
	s_or_b32 s15, s15, s0
.LBB115_16:
	v_cmp_ne_u32_e32 vcc_lo, 1, v1
	s_cbranch_vccnz .LBB115_201
; %bb.17:
	s_wait_loadcnt 0xb
	v_cmp_neq_f64_e32 vcc_lo, v[82:83], v[86:87]
	v_cmp_neq_f64_e64 s0, v[84:85], v[88:89]
	s_or_b32 s16, vcc_lo, s0
	s_cbranch_execnz .LBB115_19
.LBB115_18:
	s_wait_loadcnt 0xb
	v_cmp_eq_f64_e32 vcc_lo, v[82:83], v[86:87]
	v_cmp_eq_f64_e64 s0, v[84:85], v[88:89]
	s_and_not1_b32 s16, s16, exec_lo
	s_and_b32 s0, vcc_lo, s0
	s_delay_alu instid0(SALU_CYCLE_1) | instskip(NEXT) | instid1(SALU_CYCLE_1)
	s_and_b32 s0, s0, exec_lo
	s_or_b32 s16, s16, s0
.LBB115_19:
	v_cmp_ne_u32_e32 vcc_lo, 1, v1
	s_cbranch_vccnz .LBB115_202
; %bb.20:
	s_wait_loadcnt 0x8
	v_cmp_neq_f64_e32 vcc_lo, v[74:75], v[78:79]
	v_cmp_neq_f64_e64 s0, v[76:77], v[80:81]
	s_or_b32 s17, vcc_lo, s0
	s_cbranch_execnz .LBB115_22
.LBB115_21:
	s_wait_loadcnt 0x8
	v_cmp_eq_f64_e32 vcc_lo, v[74:75], v[78:79]
	v_cmp_eq_f64_e64 s0, v[76:77], v[80:81]
	s_and_not1_b32 s17, s17, exec_lo
	s_and_b32 s0, vcc_lo, s0
	s_delay_alu instid0(SALU_CYCLE_1) | instskip(NEXT) | instid1(SALU_CYCLE_1)
	s_and_b32 s0, s0, exec_lo
	s_or_b32 s17, s17, s0
.LBB115_22:
	v_cmp_ne_u32_e32 vcc_lo, 1, v1
	s_cbranch_vccnz .LBB115_203
; %bb.23:
	s_wait_loadcnt 0x9
	v_cmp_neq_f64_e32 vcc_lo, v[66:67], v[70:71]
	v_cmp_neq_f64_e64 s0, v[68:69], v[72:73]
	s_or_b32 s18, vcc_lo, s0
	s_cbranch_execnz .LBB115_25
.LBB115_24:
	s_wait_loadcnt 0x9
	v_cmp_eq_f64_e32 vcc_lo, v[66:67], v[70:71]
	v_cmp_eq_f64_e64 s0, v[68:69], v[72:73]
	s_and_not1_b32 s18, s18, exec_lo
	s_and_b32 s0, vcc_lo, s0
	s_delay_alu instid0(SALU_CYCLE_1) | instskip(NEXT) | instid1(SALU_CYCLE_1)
	s_and_b32 s0, s0, exec_lo
	s_or_b32 s18, s18, s0
.LBB115_25:
	v_cmp_ne_u32_e32 vcc_lo, 1, v1
	s_cbranch_vccnz .LBB115_204
; %bb.26:
	s_wait_loadcnt 0x6
	v_cmp_neq_f64_e32 vcc_lo, v[58:59], v[62:63]
	v_cmp_neq_f64_e64 s0, v[60:61], v[64:65]
	s_or_b32 s19, vcc_lo, s0
	s_cbranch_execnz .LBB115_28
.LBB115_27:
	s_wait_loadcnt 0x6
	v_cmp_eq_f64_e32 vcc_lo, v[58:59], v[62:63]
	v_cmp_eq_f64_e64 s0, v[60:61], v[64:65]
	s_and_not1_b32 s19, s19, exec_lo
	s_and_b32 s0, vcc_lo, s0
	s_delay_alu instid0(SALU_CYCLE_1) | instskip(NEXT) | instid1(SALU_CYCLE_1)
	s_and_b32 s0, s0, exec_lo
	s_or_b32 s19, s19, s0
.LBB115_28:
	v_cmp_ne_u32_e32 vcc_lo, 1, v1
	s_cbranch_vccnz .LBB115_205
; %bb.29:
	s_wait_loadcnt 0x7
	v_cmp_neq_f64_e32 vcc_lo, v[50:51], v[54:55]
	v_cmp_neq_f64_e64 s0, v[52:53], v[56:57]
	s_or_b32 s20, vcc_lo, s0
	s_cbranch_execnz .LBB115_31
.LBB115_30:
	s_wait_loadcnt 0x7
	v_cmp_eq_f64_e32 vcc_lo, v[50:51], v[54:55]
	v_cmp_eq_f64_e64 s0, v[52:53], v[56:57]
	s_and_not1_b32 s20, s20, exec_lo
	s_and_b32 s0, vcc_lo, s0
	s_delay_alu instid0(SALU_CYCLE_1) | instskip(NEXT) | instid1(SALU_CYCLE_1)
	s_and_b32 s0, s0, exec_lo
	s_or_b32 s20, s20, s0
.LBB115_31:
	v_cmp_ne_u32_e32 vcc_lo, 1, v1
	s_cbranch_vccnz .LBB115_206
; %bb.32:
	s_wait_loadcnt 0x4
	v_cmp_neq_f64_e32 vcc_lo, v[42:43], v[46:47]
	v_cmp_neq_f64_e64 s0, v[44:45], v[48:49]
	s_or_b32 s21, vcc_lo, s0
	s_cbranch_execnz .LBB115_34
.LBB115_33:
	s_wait_loadcnt 0x4
	v_cmp_eq_f64_e32 vcc_lo, v[42:43], v[46:47]
	v_cmp_eq_f64_e64 s0, v[44:45], v[48:49]
	s_and_not1_b32 s21, s21, exec_lo
	s_and_b32 s0, vcc_lo, s0
	s_delay_alu instid0(SALU_CYCLE_1) | instskip(NEXT) | instid1(SALU_CYCLE_1)
	s_and_b32 s0, s0, exec_lo
	s_or_b32 s21, s21, s0
.LBB115_34:
	v_cmp_ne_u32_e32 vcc_lo, 1, v1
	s_cbranch_vccnz .LBB115_207
; %bb.35:
	s_wait_loadcnt 0x5
	v_cmp_neq_f64_e32 vcc_lo, v[34:35], v[38:39]
	v_cmp_neq_f64_e64 s0, v[36:37], v[40:41]
	s_or_b32 s22, vcc_lo, s0
	s_cbranch_execnz .LBB115_37
.LBB115_36:
	s_wait_loadcnt 0x5
	v_cmp_eq_f64_e32 vcc_lo, v[34:35], v[38:39]
	v_cmp_eq_f64_e64 s0, v[36:37], v[40:41]
	s_and_not1_b32 s22, s22, exec_lo
	s_and_b32 s0, vcc_lo, s0
	s_delay_alu instid0(SALU_CYCLE_1) | instskip(NEXT) | instid1(SALU_CYCLE_1)
	s_and_b32 s0, s0, exec_lo
	s_or_b32 s22, s22, s0
.LBB115_37:
	v_cmp_ne_u32_e32 vcc_lo, 1, v1
	s_cbranch_vccnz .LBB115_208
; %bb.38:
	s_wait_loadcnt 0x2
	v_cmp_neq_f64_e32 vcc_lo, v[26:27], v[30:31]
	v_cmp_neq_f64_e64 s0, v[28:29], v[32:33]
	s_or_b32 s23, vcc_lo, s0
	s_cbranch_execnz .LBB115_40
.LBB115_39:
	s_wait_loadcnt 0x2
	v_cmp_eq_f64_e32 vcc_lo, v[26:27], v[30:31]
	v_cmp_eq_f64_e64 s0, v[28:29], v[32:33]
	s_and_not1_b32 s23, s23, exec_lo
	s_and_b32 s0, vcc_lo, s0
	s_delay_alu instid0(SALU_CYCLE_1) | instskip(NEXT) | instid1(SALU_CYCLE_1)
	s_and_b32 s0, s0, exec_lo
	s_or_b32 s23, s23, s0
.LBB115_40:
	v_cmp_ne_u32_e32 vcc_lo, 1, v1
	s_cbranch_vccnz .LBB115_209
; %bb.41:
	s_wait_loadcnt 0x3
	v_cmp_neq_f64_e32 vcc_lo, v[18:19], v[22:23]
	v_cmp_neq_f64_e64 s0, v[20:21], v[24:25]
	s_or_b32 s24, vcc_lo, s0
	s_cbranch_execnz .LBB115_43
.LBB115_42:
	s_wait_loadcnt 0x3
	v_cmp_eq_f64_e32 vcc_lo, v[18:19], v[22:23]
	v_cmp_eq_f64_e64 s0, v[20:21], v[24:25]
	s_and_not1_b32 s24, s24, exec_lo
	s_and_b32 s0, vcc_lo, s0
	s_delay_alu instid0(SALU_CYCLE_1) | instskip(NEXT) | instid1(SALU_CYCLE_1)
	s_and_b32 s0, s0, exec_lo
	s_or_b32 s24, s24, s0
.LBB115_43:
	v_cmp_ne_u32_e32 vcc_lo, 1, v1
	s_cbranch_vccnz .LBB115_210
; %bb.44:
	s_wait_loadcnt 0x0
	v_cmp_neq_f64_e32 vcc_lo, v[10:11], v[14:15]
	v_cmp_neq_f64_e64 s0, v[12:13], v[16:17]
	s_or_b32 s25, vcc_lo, s0
	s_cbranch_execnz .LBB115_46
.LBB115_45:
	s_wait_loadcnt 0x0
	v_cmp_eq_f64_e32 vcc_lo, v[10:11], v[14:15]
	v_cmp_eq_f64_e64 s0, v[12:13], v[16:17]
	s_and_not1_b32 s25, s25, exec_lo
	s_and_b32 s0, vcc_lo, s0
	s_delay_alu instid0(SALU_CYCLE_1) | instskip(NEXT) | instid1(SALU_CYCLE_1)
	s_and_b32 s0, s0, exec_lo
	s_or_b32 s25, s25, s0
.LBB115_46:
	v_cmp_ne_u32_e32 vcc_lo, 1, v1
	s_cbranch_vccnz .LBB115_211
; %bb.47:
	s_wait_loadcnt 0x1
	v_cmp_neq_f64_e32 vcc_lo, v[2:3], v[6:7]
	v_cmp_neq_f64_e64 s0, v[4:5], v[8:9]
	s_or_b32 s26, vcc_lo, s0
	s_cbranch_execnz .LBB115_49
.LBB115_48:
	s_wait_loadcnt 0x1
	v_cmp_eq_f64_e32 vcc_lo, v[2:3], v[6:7]
	v_cmp_eq_f64_e64 s0, v[4:5], v[8:9]
	s_and_not1_b32 s26, s26, exec_lo
	s_and_b32 s0, vcc_lo, s0
	s_delay_alu instid0(SALU_CYCLE_1) | instskip(NEXT) | instid1(SALU_CYCLE_1)
	s_and_b32 s0, s0, exec_lo
	s_or_b32 s26, s26, s0
.LBB115_49:
	v_cndmask_b32_e64 v1, 0, 1, s23
	s_wait_loadcnt 0x11
	v_cndmask_b32_e64 v2, 0, 0x100, s24
	v_cndmask_b32_e64 v3, 0, 1, s21
	;; [unrolled: 1-line block ×4, first 2 shown]
	s_wait_loadcnt 0x1
	v_cndmask_b32_e64 v6, 0, 0x100, s20
	v_or_b32_e32 v1, v2, v1
	v_cndmask_b32_e64 v9, 0, 1, s1
	v_or_b32_e32 v2, v4, v3
	;; [unrolled: 2-line block ×3, first 2 shown]
	v_cndmask_b32_e64 v5, 0, 0x100, s18
	v_cndmask_b32_e64 v10, 0, 0x100, s12
	v_cndmask_b32_e64 v8, 0, 1, s13
	v_cndmask_b32_e64 v11, 0, 0x100, s14
	v_cndmask_b32_e64 v6, 0, 1, s15
	v_cndmask_b32_e64 v12, 0, 0x100, s16
	v_cndmask_b32_e64 v7, 0, 1, s25
	v_or_b32_e32 v4, v5, v4
	v_cndmask_b32_e64 v5, 0, 0x100, s26
	v_or_b32_e32 v9, v10, v9
	v_or_b32_e32 v8, v11, v8
	;; [unrolled: 1-line block ×3, first 2 shown]
	s_mov_b32 s0, 0
	s_add_nc_u64 s[12:13], s[4:5], s[2:3]
	v_or_b32_e32 v5, v5, v7
	s_clause 0x7
	global_store_b16 v0, v9, s[12:13] scale_offset
	global_store_b16 v0, v8, s[12:13] offset:512 scale_offset
	global_store_b16 v0, v6, s[12:13] offset:1024 scale_offset
	;; [unrolled: 1-line block ×7, first 2 shown]
.LBB115_50:
	s_and_b32 vcc_lo, exec_lo, s0
	s_cbranch_vccz .LBB115_195
; %bb.51:
	v_mov_b64_e32 v[90:91], 0
	v_mov_b64_e32 v[126:127], 0
	;; [unrolled: 1-line block ×5, first 2 shown]
	v_cmp_gt_i32_e64 s0, s8, v0
	s_wait_xcnt 0x1
	v_dual_mov_b32 v131, v0 :: v_dual_bitop2_b32 v1, s2, v0 bitop3:0x54
	v_or_b32_e32 v130, 0x100, v0
	s_wait_xcnt 0x0
	s_and_saveexec_b32 s1, s0
	s_cbranch_execz .LBB115_53
; %bb.52:
	s_clause 0x1
	global_load_b128 v[122:125], v1, s[6:7] scale_offset
	global_load_b128 v[126:129], v1, s[10:11] scale_offset
	v_or_b32_e32 v131, 0x100, v0
.LBB115_53:
	s_wait_xcnt 0x0
	s_or_b32 exec_lo, exec_lo, s1
	v_mov_b64_e32 v[92:93], 0
	v_mov_b64_e32 v[118:119], 0
	v_mov_b64_e32 v[120:121], 0
	s_mov_b32 s1, exec_lo
	v_cmpx_gt_i32_e64 s8, v131
	s_cbranch_execz .LBB115_55
; %bb.54:
	v_add_nc_u32_e32 v2, s2, v131
	v_add_nc_u32_e32 v131, 0x100, v131
	s_clause 0x1
	global_load_b128 v[118:121], v2, s[6:7] scale_offset
	global_load_b128 v[90:93], v2, s[10:11] scale_offset
.LBB115_55:
	s_wait_xcnt 0x0
	s_or_b32 exec_lo, exec_lo, s1
	v_mov_b64_e32 v[74:75], 0
	v_mov_b64_e32 v[114:115], 0
	v_mov_b64_e32 v[116:117], 0
	v_mov_b64_e32 v[110:111], 0
	v_mov_b64_e32 v[112:113], 0
	s_mov_b32 s1, exec_lo
	v_cmpx_gt_i32_e64 s8, v131
	s_cbranch_execz .LBB115_57
; %bb.56:
	v_add_nc_u32_e32 v2, s2, v131
	v_add_nc_u32_e32 v131, 0x100, v131
	s_clause 0x1
	global_load_b128 v[110:113], v2, s[6:7] scale_offset
	global_load_b128 v[114:117], v2, s[10:11] scale_offset
.LBB115_57:
	s_wait_xcnt 0x0
	s_or_b32 exec_lo, exec_lo, s1
	v_mov_b64_e32 v[76:77], 0
	v_mov_b64_e32 v[106:107], 0
	v_mov_b64_e32 v[108:109], 0
	s_mov_b32 s1, exec_lo
	v_cmpx_gt_i32_e64 s8, v131
	s_cbranch_execz .LBB115_59
; %bb.58:
	v_add_nc_u32_e32 v2, s2, v131
	v_add_nc_u32_e32 v131, 0x100, v131
	s_clause 0x1
	global_load_b128 v[106:109], v2, s[6:7] scale_offset
	global_load_b128 v[74:77], v2, s[10:11] scale_offset
.LBB115_59:
	s_wait_xcnt 0x0
	s_or_b32 exec_lo, exec_lo, s1
	v_mov_b64_e32 v[58:59], 0
	v_mov_b64_e32 v[102:103], 0
	v_mov_b64_e32 v[104:105], 0
	v_mov_b64_e32 v[98:99], 0
	v_mov_b64_e32 v[100:101], 0
	s_mov_b32 s1, exec_lo
	v_cmpx_gt_i32_e64 s8, v131
	s_cbranch_execz .LBB115_61
; %bb.60:
	v_add_nc_u32_e32 v2, s2, v131
	v_add_nc_u32_e32 v131, 0x100, v131
	s_clause 0x1
	global_load_b128 v[98:101], v2, s[6:7] scale_offset
	global_load_b128 v[102:105], v2, s[10:11] scale_offset
.LBB115_61:
	;; [unrolled: 32-line block ×7, first 2 shown]
	s_wait_xcnt 0x0
	s_or_b32 exec_lo, exec_lo, s1
	v_mov_b64_e32 v[4:5], 0
	s_wait_loadcnt 0x0
	v_mov_b64_e32 v[14:15], 0
	v_mov_b64_e32 v[16:17], 0
	s_mov_b32 s1, exec_lo
	v_cmpx_gt_i32_e64 s8, v131
	s_cbranch_execz .LBB115_83
; %bb.82:
	v_add_nc_u32_e32 v131, s2, v131
	s_clause 0x1
	global_load_b128 v[14:17], v131, s[6:7] scale_offset
	global_load_b128 v[2:5], v131, s[10:11] scale_offset
.LBB115_83:
	s_wait_xcnt 0x0
	s_or_b32 exec_lo, exec_lo, s1
	s_cmp_lg_u32 s9, 0
                                        ; implicit-def: $vgpr131
	s_cselect_b32 s3, -1, 0
	s_and_saveexec_b32 s6, s0
	s_cbranch_execz .LBB115_88
; %bb.84:
	s_and_b32 vcc_lo, exec_lo, s3
	s_cbranch_vccz .LBB115_212
; %bb.85:
	v_cmp_neq_f64_e32 vcc_lo, v[122:123], v[126:127]
	v_cmp_neq_f64_e64 s1, v[124:125], v[128:129]
	s_or_b32 s7, vcc_lo, s1
	s_cbranch_execnz .LBB115_87
.LBB115_86:
	v_cmp_eq_f64_e32 vcc_lo, v[122:123], v[126:127]
	v_cmp_eq_f64_e64 s1, v[124:125], v[128:129]
	s_and_not1_b32 s7, s7, exec_lo
	s_and_b32 s1, vcc_lo, s1
	s_delay_alu instid0(SALU_CYCLE_1) | instskip(NEXT) | instid1(SALU_CYCLE_1)
	s_and_b32 s1, s1, exec_lo
	s_or_b32 s7, s7, s1
.LBB115_87:
	s_delay_alu instid0(SALU_CYCLE_1)
	v_cndmask_b32_e64 v131, 0, 1, s7
.LBB115_88:
	s_or_b32 exec_lo, exec_lo, s6
	v_cndmask_b32_e64 v123, 0, 1, s3
	s_mov_b32 s6, exec_lo
                                        ; implicit-def: $vgpr122
	v_cmpx_gt_i32_e64 s8, v130
	s_cbranch_execz .LBB115_93
; %bb.89:
	s_and_not1_b32 vcc_lo, exec_lo, s3
	s_cbranch_vccnz .LBB115_213
; %bb.90:
	v_cmp_neq_f64_e32 vcc_lo, v[118:119], v[90:91]
	v_cmp_neq_f64_e64 s1, v[120:121], v[92:93]
	s_or_b32 s3, vcc_lo, s1
	s_cbranch_execnz .LBB115_92
.LBB115_91:
	v_cmp_eq_f64_e32 vcc_lo, v[118:119], v[90:91]
	v_cmp_eq_f64_e64 s1, v[120:121], v[92:93]
	s_and_not1_b32 s3, s3, exec_lo
	s_and_b32 s1, vcc_lo, s1
	s_delay_alu instid0(SALU_CYCLE_1) | instskip(NEXT) | instid1(SALU_CYCLE_1)
	s_and_b32 s1, s1, exec_lo
	s_or_b32 s3, s3, s1
.LBB115_92:
	s_delay_alu instid0(SALU_CYCLE_1)
	v_cndmask_b32_e64 v122, 0, 1, s3
.LBB115_93:
	s_or_b32 exec_lo, exec_lo, s6
	v_or_b32_e32 v90, 0x200, v0
	s_delay_alu instid0(VALU_DEP_1)
	v_cmp_gt_i32_e32 vcc_lo, s8, v90
                                        ; implicit-def: $vgpr90
	s_and_saveexec_b32 s3, vcc_lo
	s_cbranch_execz .LBB115_98
; %bb.94:
	v_cmp_ne_u32_e32 vcc_lo, 1, v123
	s_cbranch_vccnz .LBB115_214
; %bb.95:
	v_cmp_neq_f64_e32 vcc_lo, v[110:111], v[114:115]
	v_cmp_neq_f64_e64 s1, v[112:113], v[116:117]
	s_or_b32 s6, vcc_lo, s1
	s_cbranch_execnz .LBB115_97
.LBB115_96:
	v_cmp_eq_f64_e32 vcc_lo, v[110:111], v[114:115]
	v_cmp_eq_f64_e64 s1, v[112:113], v[116:117]
	s_and_not1_b32 s6, s6, exec_lo
	s_and_b32 s1, vcc_lo, s1
	s_delay_alu instid0(SALU_CYCLE_1) | instskip(NEXT) | instid1(SALU_CYCLE_1)
	s_and_b32 s1, s1, exec_lo
	s_or_b32 s6, s6, s1
.LBB115_97:
	s_delay_alu instid0(SALU_CYCLE_1)
	v_cndmask_b32_e64 v90, 0, 1, s6
.LBB115_98:
	s_or_b32 exec_lo, exec_lo, s3
	v_or_b32_e32 v91, 0x300, v0
	s_delay_alu instid0(VALU_DEP_1)
	v_cmp_gt_i32_e32 vcc_lo, s8, v91
                                        ; implicit-def: $vgpr91
	s_and_saveexec_b32 s3, vcc_lo
	s_cbranch_execz .LBB115_103
; %bb.99:
	v_cmp_ne_u32_e32 vcc_lo, 1, v123
	s_cbranch_vccnz .LBB115_215
; %bb.100:
	v_cmp_neq_f64_e32 vcc_lo, v[106:107], v[74:75]
	v_cmp_neq_f64_e64 s1, v[108:109], v[76:77]
	s_or_b32 s6, vcc_lo, s1
	s_cbranch_execnz .LBB115_102
.LBB115_101:
	v_cmp_eq_f64_e32 vcc_lo, v[106:107], v[74:75]
	v_cmp_eq_f64_e64 s1, v[108:109], v[76:77]
	s_and_not1_b32 s6, s6, exec_lo
	s_and_b32 s1, vcc_lo, s1
	s_delay_alu instid0(SALU_CYCLE_1) | instskip(NEXT) | instid1(SALU_CYCLE_1)
	s_and_b32 s1, s1, exec_lo
	s_or_b32 s6, s6, s1
.LBB115_102:
	s_delay_alu instid0(SALU_CYCLE_1)
	v_cndmask_b32_e64 v91, 0, 1, s6
.LBB115_103:
	s_or_b32 exec_lo, exec_lo, s3
	v_or_b32_e32 v74, 0x400, v0
	s_delay_alu instid0(VALU_DEP_1)
	v_cmp_gt_i32_e32 vcc_lo, s8, v74
                                        ; implicit-def: $vgpr74
	s_and_saveexec_b32 s3, vcc_lo
	s_cbranch_execz .LBB115_108
; %bb.104:
	v_cmp_ne_u32_e32 vcc_lo, 1, v123
	s_cbranch_vccnz .LBB115_216
; %bb.105:
	v_cmp_neq_f64_e32 vcc_lo, v[98:99], v[102:103]
	v_cmp_neq_f64_e64 s1, v[100:101], v[104:105]
	s_or_b32 s6, vcc_lo, s1
	s_cbranch_execnz .LBB115_107
.LBB115_106:
	v_cmp_eq_f64_e32 vcc_lo, v[98:99], v[102:103]
	v_cmp_eq_f64_e64 s1, v[100:101], v[104:105]
	s_and_not1_b32 s6, s6, exec_lo
	s_and_b32 s1, vcc_lo, s1
	s_delay_alu instid0(SALU_CYCLE_1) | instskip(NEXT) | instid1(SALU_CYCLE_1)
	s_and_b32 s1, s1, exec_lo
	s_or_b32 s6, s6, s1
.LBB115_107:
	s_delay_alu instid0(SALU_CYCLE_1)
	v_cndmask_b32_e64 v74, 0, 1, s6
.LBB115_108:
	s_or_b32 exec_lo, exec_lo, s3
	v_or_b32_e32 v75, 0x500, v0
	s_delay_alu instid0(VALU_DEP_1)
	v_cmp_gt_i32_e32 vcc_lo, s8, v75
                                        ; implicit-def: $vgpr75
	s_and_saveexec_b32 s3, vcc_lo
	s_cbranch_execz .LBB115_113
; %bb.109:
	v_cmp_ne_u32_e32 vcc_lo, 1, v123
	s_cbranch_vccnz .LBB115_217
; %bb.110:
	v_cmp_neq_f64_e32 vcc_lo, v[94:95], v[58:59]
	v_cmp_neq_f64_e64 s1, v[96:97], v[60:61]
	s_or_b32 s6, vcc_lo, s1
	s_cbranch_execnz .LBB115_112
.LBB115_111:
	v_cmp_eq_f64_e32 vcc_lo, v[94:95], v[58:59]
	v_cmp_eq_f64_e64 s1, v[96:97], v[60:61]
	s_and_not1_b32 s6, s6, exec_lo
	s_and_b32 s1, vcc_lo, s1
	s_delay_alu instid0(SALU_CYCLE_1) | instskip(NEXT) | instid1(SALU_CYCLE_1)
	s_and_b32 s1, s1, exec_lo
	s_or_b32 s6, s6, s1
.LBB115_112:
	s_delay_alu instid0(SALU_CYCLE_1)
	v_cndmask_b32_e64 v75, 0, 1, s6
.LBB115_113:
	s_or_b32 exec_lo, exec_lo, s3
	v_or_b32_e32 v58, 0x600, v0
	s_delay_alu instid0(VALU_DEP_1)
	v_cmp_gt_i32_e32 vcc_lo, s8, v58
                                        ; implicit-def: $vgpr58
	s_and_saveexec_b32 s3, vcc_lo
	s_cbranch_execz .LBB115_118
; %bb.114:
	v_cmp_ne_u32_e32 vcc_lo, 1, v123
	s_cbranch_vccnz .LBB115_218
; %bb.115:
	v_cmp_neq_f64_e32 vcc_lo, v[82:83], v[86:87]
	v_cmp_neq_f64_e64 s1, v[84:85], v[88:89]
	s_or_b32 s6, vcc_lo, s1
	s_cbranch_execnz .LBB115_117
.LBB115_116:
	v_cmp_eq_f64_e32 vcc_lo, v[82:83], v[86:87]
	v_cmp_eq_f64_e64 s1, v[84:85], v[88:89]
	s_and_not1_b32 s6, s6, exec_lo
	s_and_b32 s1, vcc_lo, s1
	s_delay_alu instid0(SALU_CYCLE_1) | instskip(NEXT) | instid1(SALU_CYCLE_1)
	s_and_b32 s1, s1, exec_lo
	s_or_b32 s6, s6, s1
.LBB115_117:
	s_delay_alu instid0(SALU_CYCLE_1)
	v_cndmask_b32_e64 v58, 0, 1, s6
.LBB115_118:
	s_or_b32 exec_lo, exec_lo, s3
	v_or_b32_e32 v59, 0x700, v0
	s_delay_alu instid0(VALU_DEP_1)
	v_cmp_gt_i32_e32 vcc_lo, s8, v59
                                        ; implicit-def: $vgpr59
	s_and_saveexec_b32 s3, vcc_lo
	s_cbranch_execz .LBB115_123
; %bb.119:
	v_cmp_ne_u32_e32 vcc_lo, 1, v123
	s_cbranch_vccnz .LBB115_219
; %bb.120:
	v_cmp_neq_f64_e32 vcc_lo, v[78:79], v[42:43]
	v_cmp_neq_f64_e64 s1, v[80:81], v[44:45]
	s_or_b32 s6, vcc_lo, s1
	s_cbranch_execnz .LBB115_122
.LBB115_121:
	v_cmp_eq_f64_e32 vcc_lo, v[78:79], v[42:43]
	v_cmp_eq_f64_e64 s1, v[80:81], v[44:45]
	s_and_not1_b32 s6, s6, exec_lo
	s_and_b32 s1, vcc_lo, s1
	s_delay_alu instid0(SALU_CYCLE_1) | instskip(NEXT) | instid1(SALU_CYCLE_1)
	s_and_b32 s1, s1, exec_lo
	s_or_b32 s6, s6, s1
.LBB115_122:
	s_delay_alu instid0(SALU_CYCLE_1)
	v_cndmask_b32_e64 v59, 0, 1, s6
.LBB115_123:
	s_or_b32 exec_lo, exec_lo, s3
	v_or_b32_e32 v42, 0x800, v0
	s_delay_alu instid0(VALU_DEP_1)
	v_cmp_gt_i32_e32 vcc_lo, s8, v42
                                        ; implicit-def: $vgpr42
	s_and_saveexec_b32 s3, vcc_lo
	s_cbranch_execz .LBB115_128
; %bb.124:
	v_cmp_ne_u32_e32 vcc_lo, 1, v123
	s_cbranch_vccnz .LBB115_220
; %bb.125:
	v_cmp_neq_f64_e32 vcc_lo, v[66:67], v[70:71]
	v_cmp_neq_f64_e64 s1, v[68:69], v[72:73]
	s_or_b32 s6, vcc_lo, s1
	s_cbranch_execnz .LBB115_127
.LBB115_126:
	v_cmp_eq_f64_e32 vcc_lo, v[66:67], v[70:71]
	v_cmp_eq_f64_e64 s1, v[68:69], v[72:73]
	s_and_not1_b32 s6, s6, exec_lo
	s_and_b32 s1, vcc_lo, s1
	s_delay_alu instid0(SALU_CYCLE_1) | instskip(NEXT) | instid1(SALU_CYCLE_1)
	s_and_b32 s1, s1, exec_lo
	s_or_b32 s6, s6, s1
.LBB115_127:
	s_delay_alu instid0(SALU_CYCLE_1)
	v_cndmask_b32_e64 v42, 0, 1, s6
.LBB115_128:
	s_or_b32 exec_lo, exec_lo, s3
	v_or_b32_e32 v43, 0x900, v0
	s_delay_alu instid0(VALU_DEP_1)
	v_cmp_gt_i32_e32 vcc_lo, s8, v43
                                        ; implicit-def: $vgpr43
	s_and_saveexec_b32 s3, vcc_lo
	s_cbranch_execz .LBB115_133
; %bb.129:
	v_cmp_ne_u32_e32 vcc_lo, 1, v123
	s_cbranch_vccnz .LBB115_221
; %bb.130:
	v_cmp_neq_f64_e32 vcc_lo, v[62:63], v[26:27]
	v_cmp_neq_f64_e64 s1, v[64:65], v[28:29]
	s_or_b32 s6, vcc_lo, s1
	s_cbranch_execnz .LBB115_132
.LBB115_131:
	v_cmp_eq_f64_e32 vcc_lo, v[62:63], v[26:27]
	v_cmp_eq_f64_e64 s1, v[64:65], v[28:29]
	s_and_not1_b32 s6, s6, exec_lo
	s_and_b32 s1, vcc_lo, s1
	s_delay_alu instid0(SALU_CYCLE_1) | instskip(NEXT) | instid1(SALU_CYCLE_1)
	s_and_b32 s1, s1, exec_lo
	s_or_b32 s6, s6, s1
.LBB115_132:
	s_delay_alu instid0(SALU_CYCLE_1)
	v_cndmask_b32_e64 v43, 0, 1, s6
.LBB115_133:
	s_or_b32 exec_lo, exec_lo, s3
	v_or_b32_e32 v26, 0xa00, v0
	s_delay_alu instid0(VALU_DEP_1)
	v_cmp_gt_i32_e32 vcc_lo, s8, v26
                                        ; implicit-def: $vgpr26
	s_and_saveexec_b32 s3, vcc_lo
	s_cbranch_execz .LBB115_138
; %bb.134:
	v_cmp_ne_u32_e32 vcc_lo, 1, v123
	s_cbranch_vccnz .LBB115_222
; %bb.135:
	v_cmp_neq_f64_e32 vcc_lo, v[50:51], v[54:55]
	v_cmp_neq_f64_e64 s1, v[52:53], v[56:57]
	s_or_b32 s6, vcc_lo, s1
	s_cbranch_execnz .LBB115_137
.LBB115_136:
	v_cmp_eq_f64_e32 vcc_lo, v[50:51], v[54:55]
	v_cmp_eq_f64_e64 s1, v[52:53], v[56:57]
	s_and_not1_b32 s6, s6, exec_lo
	s_and_b32 s1, vcc_lo, s1
	s_delay_alu instid0(SALU_CYCLE_1) | instskip(NEXT) | instid1(SALU_CYCLE_1)
	s_and_b32 s1, s1, exec_lo
	s_or_b32 s6, s6, s1
.LBB115_137:
	s_delay_alu instid0(SALU_CYCLE_1)
	v_cndmask_b32_e64 v26, 0, 1, s6
.LBB115_138:
	s_or_b32 exec_lo, exec_lo, s3
	v_or_b32_e32 v27, 0xb00, v0
	s_delay_alu instid0(VALU_DEP_1)
	v_cmp_gt_i32_e32 vcc_lo, s8, v27
                                        ; implicit-def: $vgpr27
	s_and_saveexec_b32 s3, vcc_lo
	s_cbranch_execz .LBB115_143
; %bb.139:
	v_cmp_ne_u32_e32 vcc_lo, 1, v123
	s_cbranch_vccnz .LBB115_223
; %bb.140:
	v_cmp_neq_f64_e32 vcc_lo, v[46:47], v[10:11]
	v_cmp_neq_f64_e64 s1, v[48:49], v[12:13]
	s_or_b32 s6, vcc_lo, s1
	s_cbranch_execnz .LBB115_142
.LBB115_141:
	v_cmp_eq_f64_e32 vcc_lo, v[46:47], v[10:11]
	v_cmp_eq_f64_e64 s1, v[48:49], v[12:13]
	s_and_not1_b32 s6, s6, exec_lo
	s_and_b32 s1, vcc_lo, s1
	s_delay_alu instid0(SALU_CYCLE_1) | instskip(NEXT) | instid1(SALU_CYCLE_1)
	s_and_b32 s1, s1, exec_lo
	s_or_b32 s6, s6, s1
.LBB115_142:
	s_delay_alu instid0(SALU_CYCLE_1)
	v_cndmask_b32_e64 v27, 0, 1, s6
.LBB115_143:
	s_or_b32 exec_lo, exec_lo, s3
	v_or_b32_e32 v10, 0xc00, v0
	s_delay_alu instid0(VALU_DEP_1)
	v_cmp_gt_i32_e32 vcc_lo, s8, v10
                                        ; implicit-def: $vgpr10
	s_and_saveexec_b32 s3, vcc_lo
	s_cbranch_execz .LBB115_148
; %bb.144:
	v_cmp_ne_u32_e32 vcc_lo, 1, v123
	s_cbranch_vccnz .LBB115_224
; %bb.145:
	v_cmp_neq_f64_e32 vcc_lo, v[34:35], v[38:39]
	v_cmp_neq_f64_e64 s1, v[36:37], v[40:41]
	s_or_b32 s6, vcc_lo, s1
	s_cbranch_execnz .LBB115_147
.LBB115_146:
	v_cmp_eq_f64_e32 vcc_lo, v[34:35], v[38:39]
	v_cmp_eq_f64_e64 s1, v[36:37], v[40:41]
	s_and_not1_b32 s6, s6, exec_lo
	s_and_b32 s1, vcc_lo, s1
	s_delay_alu instid0(SALU_CYCLE_1) | instskip(NEXT) | instid1(SALU_CYCLE_1)
	s_and_b32 s1, s1, exec_lo
	s_or_b32 s6, s6, s1
.LBB115_147:
	s_delay_alu instid0(SALU_CYCLE_1)
	v_cndmask_b32_e64 v10, 0, 1, s6
.LBB115_148:
	s_or_b32 exec_lo, exec_lo, s3
	v_or_b32_e32 v11, 0xd00, v0
	s_delay_alu instid0(VALU_DEP_1)
	v_cmp_gt_i32_e32 vcc_lo, s8, v11
                                        ; implicit-def: $vgpr11
	s_and_saveexec_b32 s3, vcc_lo
	s_cbranch_execz .LBB115_153
; %bb.149:
	v_cmp_ne_u32_e32 vcc_lo, 1, v123
	s_cbranch_vccnz .LBB115_225
; %bb.150:
	v_cmp_neq_f64_e32 vcc_lo, v[30:31], v[6:7]
	v_cmp_neq_f64_e64 s1, v[32:33], v[8:9]
	s_or_b32 s6, vcc_lo, s1
	s_cbranch_execnz .LBB115_152
.LBB115_151:
	v_cmp_eq_f64_e32 vcc_lo, v[30:31], v[6:7]
	v_cmp_eq_f64_e64 s1, v[32:33], v[8:9]
	s_and_not1_b32 s6, s6, exec_lo
	s_and_b32 s1, vcc_lo, s1
	s_delay_alu instid0(SALU_CYCLE_1) | instskip(NEXT) | instid1(SALU_CYCLE_1)
	s_and_b32 s1, s1, exec_lo
	s_or_b32 s6, s6, s1
.LBB115_152:
	s_delay_alu instid0(SALU_CYCLE_1)
	v_cndmask_b32_e64 v11, 0, 1, s6
.LBB115_153:
	s_or_b32 exec_lo, exec_lo, s3
	v_or_b32_e32 v6, 0xe00, v0
	s_delay_alu instid0(VALU_DEP_1)
	v_cmp_gt_i32_e32 vcc_lo, s8, v6
                                        ; implicit-def: $vgpr6
	s_and_saveexec_b32 s3, vcc_lo
	s_cbranch_execz .LBB115_158
; %bb.154:
	v_cmp_ne_u32_e32 vcc_lo, 1, v123
	s_cbranch_vccnz .LBB115_226
; %bb.155:
	v_cmp_neq_f64_e32 vcc_lo, v[18:19], v[22:23]
	v_cmp_neq_f64_e64 s1, v[20:21], v[24:25]
	s_or_b32 s6, vcc_lo, s1
	s_cbranch_execnz .LBB115_157
.LBB115_156:
	v_cmp_eq_f64_e32 vcc_lo, v[18:19], v[22:23]
	v_cmp_eq_f64_e64 s1, v[20:21], v[24:25]
	s_and_not1_b32 s6, s6, exec_lo
	s_and_b32 s1, vcc_lo, s1
	s_delay_alu instid0(SALU_CYCLE_1) | instskip(NEXT) | instid1(SALU_CYCLE_1)
	s_and_b32 s1, s1, exec_lo
	s_or_b32 s6, s6, s1
.LBB115_157:
	s_delay_alu instid0(SALU_CYCLE_1)
	v_cndmask_b32_e64 v6, 0, 1, s6
.LBB115_158:
	s_or_b32 exec_lo, exec_lo, s3
	v_or_b32_e32 v7, 0xf00, v0
	s_delay_alu instid0(VALU_DEP_1)
	v_cmp_gt_i32_e32 vcc_lo, s8, v7
                                        ; implicit-def: $vgpr7
	s_and_saveexec_b32 s3, vcc_lo
	s_cbranch_execz .LBB115_163
; %bb.159:
	v_cmp_ne_u32_e32 vcc_lo, 1, v123
	s_cbranch_vccnz .LBB115_227
; %bb.160:
	s_wait_loadcnt 0x0
	v_cmp_neq_f64_e32 vcc_lo, v[14:15], v[2:3]
	v_cmp_neq_f64_e64 s1, v[16:17], v[4:5]
	s_or_b32 s6, vcc_lo, s1
	s_cbranch_execnz .LBB115_162
.LBB115_161:
	s_wait_loadcnt 0x0
	v_cmp_eq_f64_e32 vcc_lo, v[14:15], v[2:3]
	v_cmp_eq_f64_e64 s1, v[16:17], v[4:5]
	s_and_not1_b32 s6, s6, exec_lo
	s_and_b32 s1, vcc_lo, s1
	s_delay_alu instid0(SALU_CYCLE_1) | instskip(NEXT) | instid1(SALU_CYCLE_1)
	s_and_b32 s1, s1, exec_lo
	s_or_b32 s6, s6, s1
.LBB115_162:
	s_delay_alu instid0(SALU_CYCLE_1)
	v_cndmask_b32_e64 v7, 0, 1, s6
.LBB115_163:
	s_or_b32 exec_lo, exec_lo, s3
	s_and_saveexec_b32 s1, s0
	s_delay_alu instid0(SALU_CYCLE_1)
	s_xor_b32 s0, exec_lo, s1
	s_cbranch_execz .LBB115_165
; %bb.164:
	v_mov_b32_e32 v0, v130
	global_store_b8 v1, v131, s[4:5]
.LBB115_165:
	s_wait_xcnt 0x0
	s_or_b32 exec_lo, exec_lo, s0
	s_delay_alu instid0(SALU_CYCLE_1)
	s_mov_b32 s0, exec_lo
	v_cmpx_gt_i32_e64 s8, v0
	s_cbranch_execnz .LBB115_181
; %bb.166:
	s_or_b32 exec_lo, exec_lo, s0
	s_delay_alu instid0(SALU_CYCLE_1)
	s_mov_b32 s0, exec_lo
	v_cmpx_gt_i32_e64 s8, v0
	s_cbranch_execnz .LBB115_182
.LBB115_167:
	s_or_b32 exec_lo, exec_lo, s0
	s_delay_alu instid0(SALU_CYCLE_1)
	s_mov_b32 s0, exec_lo
	v_cmpx_gt_i32_e64 s8, v0
	s_cbranch_execnz .LBB115_183
.LBB115_168:
	s_or_b32 exec_lo, exec_lo, s0
	s_delay_alu instid0(SALU_CYCLE_1)
	s_mov_b32 s0, exec_lo
	v_cmpx_gt_i32_e64 s8, v0
	s_cbranch_execnz .LBB115_184
.LBB115_169:
	s_or_b32 exec_lo, exec_lo, s0
	s_delay_alu instid0(SALU_CYCLE_1)
	s_mov_b32 s0, exec_lo
	v_cmpx_gt_i32_e64 s8, v0
	s_cbranch_execnz .LBB115_185
.LBB115_170:
	s_or_b32 exec_lo, exec_lo, s0
	s_delay_alu instid0(SALU_CYCLE_1)
	s_mov_b32 s0, exec_lo
	v_cmpx_gt_i32_e64 s8, v0
	s_cbranch_execnz .LBB115_186
.LBB115_171:
	s_or_b32 exec_lo, exec_lo, s0
	s_delay_alu instid0(SALU_CYCLE_1)
	s_mov_b32 s0, exec_lo
	v_cmpx_gt_i32_e64 s8, v0
	s_cbranch_execnz .LBB115_187
.LBB115_172:
	s_or_b32 exec_lo, exec_lo, s0
	s_delay_alu instid0(SALU_CYCLE_1)
	s_mov_b32 s0, exec_lo
	v_cmpx_gt_i32_e64 s8, v0
	s_cbranch_execnz .LBB115_188
.LBB115_173:
	s_or_b32 exec_lo, exec_lo, s0
	s_delay_alu instid0(SALU_CYCLE_1)
	s_mov_b32 s0, exec_lo
	v_cmpx_gt_i32_e64 s8, v0
	s_cbranch_execnz .LBB115_189
.LBB115_174:
	s_or_b32 exec_lo, exec_lo, s0
	s_delay_alu instid0(SALU_CYCLE_1)
	s_mov_b32 s0, exec_lo
	v_cmpx_gt_i32_e64 s8, v0
	s_cbranch_execnz .LBB115_190
.LBB115_175:
	s_or_b32 exec_lo, exec_lo, s0
	s_delay_alu instid0(SALU_CYCLE_1)
	s_mov_b32 s0, exec_lo
	v_cmpx_gt_i32_e64 s8, v0
	s_cbranch_execnz .LBB115_191
.LBB115_176:
	s_or_b32 exec_lo, exec_lo, s0
	s_delay_alu instid0(SALU_CYCLE_1)
	s_mov_b32 s0, exec_lo
	v_cmpx_gt_i32_e64 s8, v0
	s_cbranch_execnz .LBB115_192
.LBB115_177:
	s_or_b32 exec_lo, exec_lo, s0
	s_delay_alu instid0(SALU_CYCLE_1)
	s_mov_b32 s0, exec_lo
	v_cmpx_gt_i32_e64 s8, v0
	s_cbranch_execnz .LBB115_193
.LBB115_178:
	s_or_b32 exec_lo, exec_lo, s0
	s_delay_alu instid0(SALU_CYCLE_1)
	s_mov_b32 s0, exec_lo
	v_cmpx_gt_i32_e64 s8, v0
	s_cbranch_execnz .LBB115_194
.LBB115_179:
	s_or_b32 exec_lo, exec_lo, s0
	s_delay_alu instid0(SALU_CYCLE_1)
	s_mov_b32 s0, exec_lo
	v_cmpx_gt_i32_e64 s8, v0
	s_cbranch_execz .LBB115_195
.LBB115_180:
	v_add_nc_u32_e32 v0, s2, v0
	global_store_b8 v0, v7, s[4:5]
	s_sendmsg sendmsg(MSG_DEALLOC_VGPRS)
	s_endpgm
.LBB115_181:
	v_add_nc_u32_e32 v1, s2, v0
	v_add_nc_u32_e32 v0, 0x100, v0
	global_store_b8 v1, v122, s[4:5]
	s_wait_xcnt 0x0
	s_or_b32 exec_lo, exec_lo, s0
	s_delay_alu instid0(SALU_CYCLE_1)
	s_mov_b32 s0, exec_lo
	v_cmpx_gt_i32_e64 s8, v0
	s_cbranch_execz .LBB115_167
.LBB115_182:
	v_add_nc_u32_e32 v1, s2, v0
	v_add_nc_u32_e32 v0, 0x100, v0
	global_store_b8 v1, v90, s[4:5]
	s_wait_xcnt 0x0
	s_or_b32 exec_lo, exec_lo, s0
	s_delay_alu instid0(SALU_CYCLE_1)
	s_mov_b32 s0, exec_lo
	v_cmpx_gt_i32_e64 s8, v0
	s_cbranch_execz .LBB115_168
.LBB115_183:
	v_add_nc_u32_e32 v1, s2, v0
	v_add_nc_u32_e32 v0, 0x100, v0
	global_store_b8 v1, v91, s[4:5]
	s_wait_xcnt 0x0
	s_or_b32 exec_lo, exec_lo, s0
	s_delay_alu instid0(SALU_CYCLE_1)
	s_mov_b32 s0, exec_lo
	v_cmpx_gt_i32_e64 s8, v0
	s_cbranch_execz .LBB115_169
.LBB115_184:
	v_add_nc_u32_e32 v1, s2, v0
	v_add_nc_u32_e32 v0, 0x100, v0
	global_store_b8 v1, v74, s[4:5]
	s_wait_xcnt 0x0
	s_or_b32 exec_lo, exec_lo, s0
	s_delay_alu instid0(SALU_CYCLE_1)
	s_mov_b32 s0, exec_lo
	v_cmpx_gt_i32_e64 s8, v0
	s_cbranch_execz .LBB115_170
.LBB115_185:
	v_add_nc_u32_e32 v1, s2, v0
	v_add_nc_u32_e32 v0, 0x100, v0
	global_store_b8 v1, v75, s[4:5]
	s_wait_xcnt 0x0
	s_or_b32 exec_lo, exec_lo, s0
	s_delay_alu instid0(SALU_CYCLE_1)
	s_mov_b32 s0, exec_lo
	v_cmpx_gt_i32_e64 s8, v0
	s_cbranch_execz .LBB115_171
.LBB115_186:
	v_add_nc_u32_e32 v1, s2, v0
	v_add_nc_u32_e32 v0, 0x100, v0
	global_store_b8 v1, v58, s[4:5]
	s_wait_xcnt 0x0
	s_or_b32 exec_lo, exec_lo, s0
	s_delay_alu instid0(SALU_CYCLE_1)
	s_mov_b32 s0, exec_lo
	v_cmpx_gt_i32_e64 s8, v0
	s_cbranch_execz .LBB115_172
.LBB115_187:
	v_add_nc_u32_e32 v1, s2, v0
	v_add_nc_u32_e32 v0, 0x100, v0
	global_store_b8 v1, v59, s[4:5]
	s_wait_xcnt 0x0
	s_or_b32 exec_lo, exec_lo, s0
	s_delay_alu instid0(SALU_CYCLE_1)
	s_mov_b32 s0, exec_lo
	v_cmpx_gt_i32_e64 s8, v0
	s_cbranch_execz .LBB115_173
.LBB115_188:
	v_add_nc_u32_e32 v1, s2, v0
	v_add_nc_u32_e32 v0, 0x100, v0
	global_store_b8 v1, v42, s[4:5]
	s_wait_xcnt 0x0
	s_or_b32 exec_lo, exec_lo, s0
	s_delay_alu instid0(SALU_CYCLE_1)
	s_mov_b32 s0, exec_lo
	v_cmpx_gt_i32_e64 s8, v0
	s_cbranch_execz .LBB115_174
.LBB115_189:
	v_add_nc_u32_e32 v1, s2, v0
	v_add_nc_u32_e32 v0, 0x100, v0
	global_store_b8 v1, v43, s[4:5]
	s_wait_xcnt 0x0
	s_or_b32 exec_lo, exec_lo, s0
	s_delay_alu instid0(SALU_CYCLE_1)
	s_mov_b32 s0, exec_lo
	v_cmpx_gt_i32_e64 s8, v0
	s_cbranch_execz .LBB115_175
.LBB115_190:
	v_add_nc_u32_e32 v1, s2, v0
	v_add_nc_u32_e32 v0, 0x100, v0
	global_store_b8 v1, v26, s[4:5]
	s_wait_xcnt 0x0
	s_or_b32 exec_lo, exec_lo, s0
	s_delay_alu instid0(SALU_CYCLE_1)
	s_mov_b32 s0, exec_lo
	v_cmpx_gt_i32_e64 s8, v0
	s_cbranch_execz .LBB115_176
.LBB115_191:
	v_add_nc_u32_e32 v1, s2, v0
	v_add_nc_u32_e32 v0, 0x100, v0
	global_store_b8 v1, v27, s[4:5]
	s_wait_xcnt 0x0
	s_or_b32 exec_lo, exec_lo, s0
	s_delay_alu instid0(SALU_CYCLE_1)
	s_mov_b32 s0, exec_lo
	v_cmpx_gt_i32_e64 s8, v0
	s_cbranch_execz .LBB115_177
.LBB115_192:
	v_add_nc_u32_e32 v1, s2, v0
	v_add_nc_u32_e32 v0, 0x100, v0
	global_store_b8 v1, v10, s[4:5]
	s_wait_xcnt 0x0
	s_or_b32 exec_lo, exec_lo, s0
	s_delay_alu instid0(SALU_CYCLE_1)
	s_mov_b32 s0, exec_lo
	v_cmpx_gt_i32_e64 s8, v0
	s_cbranch_execz .LBB115_178
.LBB115_193:
	v_add_nc_u32_e32 v1, s2, v0
	v_add_nc_u32_e32 v0, 0x100, v0
	global_store_b8 v1, v11, s[4:5]
	s_wait_xcnt 0x0
	s_or_b32 exec_lo, exec_lo, s0
	s_delay_alu instid0(SALU_CYCLE_1)
	s_mov_b32 s0, exec_lo
	v_cmpx_gt_i32_e64 s8, v0
	s_cbranch_execz .LBB115_179
.LBB115_194:
	v_add_nc_u32_e32 v1, s2, v0
	v_add_nc_u32_e32 v0, 0x100, v0
	global_store_b8 v1, v6, s[4:5]
	s_wait_xcnt 0x0
	s_or_b32 exec_lo, exec_lo, s0
	s_delay_alu instid0(SALU_CYCLE_1)
	s_mov_b32 s0, exec_lo
	v_cmpx_gt_i32_e64 s8, v0
	s_cbranch_execnz .LBB115_180
.LBB115_195:
	s_sendmsg sendmsg(MSG_DEALLOC_VGPRS)
	s_endpgm
.LBB115_196:
	s_wait_xcnt 0x0
                                        ; implicit-def: $sgpr1
	s_branch .LBB115_3
.LBB115_197:
                                        ; implicit-def: $sgpr12
	s_branch .LBB115_6
.LBB115_198:
                                        ; implicit-def: $sgpr13
	s_branch .LBB115_9
.LBB115_199:
                                        ; implicit-def: $sgpr14
	s_branch .LBB115_12
.LBB115_200:
                                        ; implicit-def: $sgpr15
	s_branch .LBB115_15
.LBB115_201:
                                        ; implicit-def: $sgpr16
	s_branch .LBB115_18
.LBB115_202:
                                        ; implicit-def: $sgpr17
	s_branch .LBB115_21
.LBB115_203:
                                        ; implicit-def: $sgpr18
	s_branch .LBB115_24
.LBB115_204:
                                        ; implicit-def: $sgpr19
	s_branch .LBB115_27
.LBB115_205:
                                        ; implicit-def: $sgpr20
	s_branch .LBB115_30
.LBB115_206:
                                        ; implicit-def: $sgpr21
	s_branch .LBB115_33
.LBB115_207:
                                        ; implicit-def: $sgpr22
	s_branch .LBB115_36
.LBB115_208:
                                        ; implicit-def: $sgpr23
	s_branch .LBB115_39
.LBB115_209:
                                        ; implicit-def: $sgpr24
	s_branch .LBB115_42
.LBB115_210:
                                        ; implicit-def: $sgpr25
	s_branch .LBB115_45
.LBB115_211:
                                        ; implicit-def: $sgpr26
	s_branch .LBB115_48
.LBB115_212:
                                        ; implicit-def: $sgpr7
	s_branch .LBB115_86
.LBB115_213:
                                        ; implicit-def: $sgpr3
	s_branch .LBB115_91
.LBB115_214:
                                        ; implicit-def: $sgpr6
	s_branch .LBB115_96
.LBB115_215:
                                        ; implicit-def: $sgpr6
	s_branch .LBB115_101
.LBB115_216:
                                        ; implicit-def: $sgpr6
	s_branch .LBB115_106
.LBB115_217:
                                        ; implicit-def: $sgpr6
	s_branch .LBB115_111
.LBB115_218:
                                        ; implicit-def: $sgpr6
	s_branch .LBB115_116
.LBB115_219:
                                        ; implicit-def: $sgpr6
	s_branch .LBB115_121
.LBB115_220:
                                        ; implicit-def: $sgpr6
	s_branch .LBB115_126
.LBB115_221:
                                        ; implicit-def: $sgpr6
	s_branch .LBB115_131
.LBB115_222:
                                        ; implicit-def: $sgpr6
	s_branch .LBB115_136
.LBB115_223:
                                        ; implicit-def: $sgpr6
	s_branch .LBB115_141
.LBB115_224:
                                        ; implicit-def: $sgpr6
	s_branch .LBB115_146
.LBB115_225:
                                        ; implicit-def: $sgpr6
	s_branch .LBB115_151
.LBB115_226:
                                        ; implicit-def: $sgpr6
	s_branch .LBB115_156
.LBB115_227:
                                        ; implicit-def: $sgpr6
	s_branch .LBB115_161
	.section	.rodata,"a",@progbits
	.p2align	6, 0x0
	.amdhsa_kernel _ZN2at6native29vectorized_elementwise_kernelILi2ENS0_13BinaryFunctorIN3c107complexIdEES5_bNS0_12_GLOBAL__N_116CompareEqFunctorIS5_EEEESt5arrayIPcLm3EEEEviT0_T1_
		.amdhsa_group_segment_fixed_size 0
		.amdhsa_private_segment_fixed_size 0
		.amdhsa_kernarg_size 32
		.amdhsa_user_sgpr_count 2
		.amdhsa_user_sgpr_dispatch_ptr 0
		.amdhsa_user_sgpr_queue_ptr 0
		.amdhsa_user_sgpr_kernarg_segment_ptr 1
		.amdhsa_user_sgpr_dispatch_id 0
		.amdhsa_user_sgpr_kernarg_preload_length 0
		.amdhsa_user_sgpr_kernarg_preload_offset 0
		.amdhsa_user_sgpr_private_segment_size 0
		.amdhsa_wavefront_size32 1
		.amdhsa_uses_dynamic_stack 0
		.amdhsa_enable_private_segment 0
		.amdhsa_system_sgpr_workgroup_id_x 1
		.amdhsa_system_sgpr_workgroup_id_y 0
		.amdhsa_system_sgpr_workgroup_id_z 0
		.amdhsa_system_sgpr_workgroup_info 0
		.amdhsa_system_vgpr_workitem_id 0
		.amdhsa_next_free_vgpr 132
		.amdhsa_next_free_sgpr 27
		.amdhsa_named_barrier_count 0
		.amdhsa_reserve_vcc 1
		.amdhsa_float_round_mode_32 0
		.amdhsa_float_round_mode_16_64 0
		.amdhsa_float_denorm_mode_32 3
		.amdhsa_float_denorm_mode_16_64 3
		.amdhsa_fp16_overflow 0
		.amdhsa_memory_ordered 1
		.amdhsa_forward_progress 1
		.amdhsa_inst_pref_size 48
		.amdhsa_round_robin_scheduling 0
		.amdhsa_exception_fp_ieee_invalid_op 0
		.amdhsa_exception_fp_denorm_src 0
		.amdhsa_exception_fp_ieee_div_zero 0
		.amdhsa_exception_fp_ieee_overflow 0
		.amdhsa_exception_fp_ieee_underflow 0
		.amdhsa_exception_fp_ieee_inexact 0
		.amdhsa_exception_int_div_zero 0
	.end_amdhsa_kernel
	.section	.text._ZN2at6native29vectorized_elementwise_kernelILi2ENS0_13BinaryFunctorIN3c107complexIdEES5_bNS0_12_GLOBAL__N_116CompareEqFunctorIS5_EEEESt5arrayIPcLm3EEEEviT0_T1_,"axG",@progbits,_ZN2at6native29vectorized_elementwise_kernelILi2ENS0_13BinaryFunctorIN3c107complexIdEES5_bNS0_12_GLOBAL__N_116CompareEqFunctorIS5_EEEESt5arrayIPcLm3EEEEviT0_T1_,comdat
.Lfunc_end115:
	.size	_ZN2at6native29vectorized_elementwise_kernelILi2ENS0_13BinaryFunctorIN3c107complexIdEES5_bNS0_12_GLOBAL__N_116CompareEqFunctorIS5_EEEESt5arrayIPcLm3EEEEviT0_T1_, .Lfunc_end115-_ZN2at6native29vectorized_elementwise_kernelILi2ENS0_13BinaryFunctorIN3c107complexIdEES5_bNS0_12_GLOBAL__N_116CompareEqFunctorIS5_EEEESt5arrayIPcLm3EEEEviT0_T1_
                                        ; -- End function
	.set _ZN2at6native29vectorized_elementwise_kernelILi2ENS0_13BinaryFunctorIN3c107complexIdEES5_bNS0_12_GLOBAL__N_116CompareEqFunctorIS5_EEEESt5arrayIPcLm3EEEEviT0_T1_.num_vgpr, 132
	.set _ZN2at6native29vectorized_elementwise_kernelILi2ENS0_13BinaryFunctorIN3c107complexIdEES5_bNS0_12_GLOBAL__N_116CompareEqFunctorIS5_EEEESt5arrayIPcLm3EEEEviT0_T1_.num_agpr, 0
	.set _ZN2at6native29vectorized_elementwise_kernelILi2ENS0_13BinaryFunctorIN3c107complexIdEES5_bNS0_12_GLOBAL__N_116CompareEqFunctorIS5_EEEESt5arrayIPcLm3EEEEviT0_T1_.numbered_sgpr, 27
	.set _ZN2at6native29vectorized_elementwise_kernelILi2ENS0_13BinaryFunctorIN3c107complexIdEES5_bNS0_12_GLOBAL__N_116CompareEqFunctorIS5_EEEESt5arrayIPcLm3EEEEviT0_T1_.num_named_barrier, 0
	.set _ZN2at6native29vectorized_elementwise_kernelILi2ENS0_13BinaryFunctorIN3c107complexIdEES5_bNS0_12_GLOBAL__N_116CompareEqFunctorIS5_EEEESt5arrayIPcLm3EEEEviT0_T1_.private_seg_size, 0
	.set _ZN2at6native29vectorized_elementwise_kernelILi2ENS0_13BinaryFunctorIN3c107complexIdEES5_bNS0_12_GLOBAL__N_116CompareEqFunctorIS5_EEEESt5arrayIPcLm3EEEEviT0_T1_.uses_vcc, 1
	.set _ZN2at6native29vectorized_elementwise_kernelILi2ENS0_13BinaryFunctorIN3c107complexIdEES5_bNS0_12_GLOBAL__N_116CompareEqFunctorIS5_EEEESt5arrayIPcLm3EEEEviT0_T1_.uses_flat_scratch, 0
	.set _ZN2at6native29vectorized_elementwise_kernelILi2ENS0_13BinaryFunctorIN3c107complexIdEES5_bNS0_12_GLOBAL__N_116CompareEqFunctorIS5_EEEESt5arrayIPcLm3EEEEviT0_T1_.has_dyn_sized_stack, 0
	.set _ZN2at6native29vectorized_elementwise_kernelILi2ENS0_13BinaryFunctorIN3c107complexIdEES5_bNS0_12_GLOBAL__N_116CompareEqFunctorIS5_EEEESt5arrayIPcLm3EEEEviT0_T1_.has_recursion, 0
	.set _ZN2at6native29vectorized_elementwise_kernelILi2ENS0_13BinaryFunctorIN3c107complexIdEES5_bNS0_12_GLOBAL__N_116CompareEqFunctorIS5_EEEESt5arrayIPcLm3EEEEviT0_T1_.has_indirect_call, 0
	.section	.AMDGPU.csdata,"",@progbits
; Kernel info:
; codeLenInByte = 6132
; TotalNumSgprs: 29
; NumVgprs: 132
; ScratchSize: 0
; MemoryBound: 1
; FloatMode: 240
; IeeeMode: 1
; LDSByteSize: 0 bytes/workgroup (compile time only)
; SGPRBlocks: 0
; VGPRBlocks: 8
; NumSGPRsForWavesPerEU: 29
; NumVGPRsForWavesPerEU: 132
; NamedBarCnt: 0
; Occupancy: 7
; WaveLimiterHint : 1
; COMPUTE_PGM_RSRC2:SCRATCH_EN: 0
; COMPUTE_PGM_RSRC2:USER_SGPR: 2
; COMPUTE_PGM_RSRC2:TRAP_HANDLER: 0
; COMPUTE_PGM_RSRC2:TGID_X_EN: 1
; COMPUTE_PGM_RSRC2:TGID_Y_EN: 0
; COMPUTE_PGM_RSRC2:TGID_Z_EN: 0
; COMPUTE_PGM_RSRC2:TIDIG_COMP_CNT: 0
	.section	.text._ZN2at6native27unrolled_elementwise_kernelINS0_13BinaryFunctorIN3c107complexIdEES5_bNS0_12_GLOBAL__N_116CompareEqFunctorIS5_EEEESt5arrayIPcLm3EELi4E23TrivialOffsetCalculatorILi2EjESD_ILi1EjENS0_6memory15LoadWithoutCastENSG_16StoreWithoutCastEEEviT_T0_T2_T3_T4_T5_,"axG",@progbits,_ZN2at6native27unrolled_elementwise_kernelINS0_13BinaryFunctorIN3c107complexIdEES5_bNS0_12_GLOBAL__N_116CompareEqFunctorIS5_EEEESt5arrayIPcLm3EELi4E23TrivialOffsetCalculatorILi2EjESD_ILi1EjENS0_6memory15LoadWithoutCastENSG_16StoreWithoutCastEEEviT_T0_T2_T3_T4_T5_,comdat
	.globl	_ZN2at6native27unrolled_elementwise_kernelINS0_13BinaryFunctorIN3c107complexIdEES5_bNS0_12_GLOBAL__N_116CompareEqFunctorIS5_EEEESt5arrayIPcLm3EELi4E23TrivialOffsetCalculatorILi2EjESD_ILi1EjENS0_6memory15LoadWithoutCastENSG_16StoreWithoutCastEEEviT_T0_T2_T3_T4_T5_ ; -- Begin function _ZN2at6native27unrolled_elementwise_kernelINS0_13BinaryFunctorIN3c107complexIdEES5_bNS0_12_GLOBAL__N_116CompareEqFunctorIS5_EEEESt5arrayIPcLm3EELi4E23TrivialOffsetCalculatorILi2EjESD_ILi1EjENS0_6memory15LoadWithoutCastENSG_16StoreWithoutCastEEEviT_T0_T2_T3_T4_T5_
	.p2align	8
	.type	_ZN2at6native27unrolled_elementwise_kernelINS0_13BinaryFunctorIN3c107complexIdEES5_bNS0_12_GLOBAL__N_116CompareEqFunctorIS5_EEEESt5arrayIPcLm3EELi4E23TrivialOffsetCalculatorILi2EjESD_ILi1EjENS0_6memory15LoadWithoutCastENSG_16StoreWithoutCastEEEviT_T0_T2_T3_T4_T5_,@function
_ZN2at6native27unrolled_elementwise_kernelINS0_13BinaryFunctorIN3c107complexIdEES5_bNS0_12_GLOBAL__N_116CompareEqFunctorIS5_EEEESt5arrayIPcLm3EELi4E23TrivialOffsetCalculatorILi2EjESD_ILi1EjENS0_6memory15LoadWithoutCastENSG_16StoreWithoutCastEEEviT_T0_T2_T3_T4_T5_: ; @_ZN2at6native27unrolled_elementwise_kernelINS0_13BinaryFunctorIN3c107complexIdEES5_bNS0_12_GLOBAL__N_116CompareEqFunctorIS5_EEEESt5arrayIPcLm3EELi4E23TrivialOffsetCalculatorILi2EjESD_ILi1EjENS0_6memory15LoadWithoutCastENSG_16StoreWithoutCastEEEviT_T0_T2_T3_T4_T5_
; %bb.0:
	s_load_b64 s[2:3], s[0:1], 0x0
	s_bfe_u32 s11, ttmp6, 0x4000c
	s_clause 0x1
	s_load_b128 s[4:7], s[0:1], 0x8
	s_load_b64 s[8:9], s[0:1], 0x18
	s_add_co_i32 s11, s11, 1
	s_and_b32 s10, ttmp6, 15
	s_wait_xcnt 0x0
	s_mul_i32 s0, ttmp9, s11
	s_getreg_b32 s12, hwreg(HW_REG_IB_STS2, 6, 4)
	s_add_co_i32 s10, s10, s0
	s_cmp_eq_u32 s12, 0
	v_mov_b64_e32 v[6:7], 0
	s_cselect_b32 s0, ttmp9, s10
	v_mov_b64_e32 v[30:31], 0
	s_lshl_b32 s10, s0, 10
	v_mov_b64_e32 v[32:33], 0
	v_mov_b64_e32 v[26:27], 0
	;; [unrolled: 1-line block ×3, first 2 shown]
	v_or_b32_e32 v1, 0x100, v0
	v_dual_mov_b32 v35, v0 :: v_dual_bitop2_b32 v34, s10, v0 bitop3:0x54
	s_wait_kmcnt 0x0
	s_sub_co_i32 s2, s2, s10
	s_delay_alu instid0(SALU_CYCLE_1)
	v_cmp_gt_i32_e64 s0, s2, v0
	s_and_saveexec_b32 s1, s0
	s_cbranch_execz .LBB116_2
; %bb.1:
	s_clause 0x1
	global_load_b128 v[26:29], v34, s[6:7] scale_offset
	global_load_b128 v[30:33], v34, s[8:9] scale_offset
	v_or_b32_e32 v35, 0x100, v0
.LBB116_2:
	s_wait_xcnt 0x0
	s_or_b32 exec_lo, exec_lo, s1
	v_mov_b64_e32 v[8:9], 0
	v_mov_b64_e32 v[22:23], 0
	;; [unrolled: 1-line block ×3, first 2 shown]
	s_mov_b32 s1, exec_lo
	v_cmpx_gt_i32_e64 s2, v35
	s_cbranch_execz .LBB116_4
; %bb.3:
	v_add_nc_u32_e32 v2, s10, v35
	v_add_nc_u32_e32 v35, 0x100, v35
	s_clause 0x1
	global_load_b128 v[22:25], v2, s[6:7] scale_offset
	global_load_b128 v[6:9], v2, s[8:9] scale_offset
.LBB116_4:
	s_wait_xcnt 0x0
	s_or_b32 exec_lo, exec_lo, s1
	v_mov_b64_e32 v[2:3], 0
	v_mov_b64_e32 v[18:19], 0
	;; [unrolled: 1-line block ×5, first 2 shown]
	s_mov_b32 s1, exec_lo
	v_cmpx_gt_i32_e64 s2, v35
	s_cbranch_execz .LBB116_6
; %bb.5:
	v_add_nc_u32_e32 v4, s10, v35
	v_add_nc_u32_e32 v35, 0x100, v35
	s_clause 0x1
	global_load_b128 v[14:17], v4, s[6:7] scale_offset
	global_load_b128 v[18:21], v4, s[8:9] scale_offset
.LBB116_6:
	s_wait_xcnt 0x0
	s_or_b32 exec_lo, exec_lo, s1
	v_mov_b64_e32 v[4:5], 0
	v_mov_b64_e32 v[10:11], 0
	v_mov_b64_e32 v[12:13], 0
	s_mov_b32 s1, exec_lo
	v_cmpx_gt_i32_e64 s2, v35
	s_cbranch_execz .LBB116_8
; %bb.7:
	v_add_nc_u32_e32 v35, s10, v35
	s_clause 0x1
	global_load_b128 v[10:13], v35, s[6:7] scale_offset
	global_load_b128 v[2:5], v35, s[8:9] scale_offset
.LBB116_8:
	s_wait_xcnt 0x0
	s_or_b32 exec_lo, exec_lo, s1
	s_cmp_lg_u32 s3, 0
                                        ; implicit-def: $vgpr35
	s_cselect_b32 s3, -1, 0
	s_and_saveexec_b32 s6, s0
	s_cbranch_execz .LBB116_13
; %bb.9:
	s_and_b32 vcc_lo, exec_lo, s3
	s_cbranch_vccz .LBB116_37
; %bb.10:
	s_wait_loadcnt 0x0
	v_cmp_neq_f64_e32 vcc_lo, v[26:27], v[30:31]
	v_cmp_neq_f64_e64 s1, v[28:29], v[32:33]
	s_or_b32 s7, vcc_lo, s1
	s_cbranch_execnz .LBB116_12
.LBB116_11:
	s_wait_loadcnt 0x0
	v_cmp_eq_f64_e32 vcc_lo, v[26:27], v[30:31]
	v_cmp_eq_f64_e64 s1, v[28:29], v[32:33]
	s_and_not1_b32 s7, s7, exec_lo
	s_and_b32 s1, vcc_lo, s1
	s_delay_alu instid0(SALU_CYCLE_1) | instskip(NEXT) | instid1(SALU_CYCLE_1)
	s_and_b32 s1, s1, exec_lo
	s_or_b32 s7, s7, s1
.LBB116_12:
	s_delay_alu instid0(SALU_CYCLE_1)
	v_cndmask_b32_e64 v35, 0, 1, s7
.LBB116_13:
	s_or_b32 exec_lo, exec_lo, s6
	s_wait_loadcnt 0x1
	v_cndmask_b32_e64 v27, 0, 1, s3
	s_mov_b32 s6, exec_lo
                                        ; implicit-def: $vgpr26
	v_cmpx_gt_i32_e64 s2, v1
	s_cbranch_execz .LBB116_18
; %bb.14:
	s_and_not1_b32 vcc_lo, exec_lo, s3
	s_cbranch_vccnz .LBB116_38
; %bb.15:
	s_wait_loadcnt 0x0
	v_cmp_neq_f64_e32 vcc_lo, v[22:23], v[6:7]
	v_cmp_neq_f64_e64 s1, v[24:25], v[8:9]
	s_or_b32 s3, vcc_lo, s1
	s_cbranch_execnz .LBB116_17
.LBB116_16:
	s_wait_loadcnt 0x0
	v_cmp_eq_f64_e32 vcc_lo, v[22:23], v[6:7]
	v_cmp_eq_f64_e64 s1, v[24:25], v[8:9]
	s_and_not1_b32 s3, s3, exec_lo
	s_and_b32 s1, vcc_lo, s1
	s_delay_alu instid0(SALU_CYCLE_1) | instskip(NEXT) | instid1(SALU_CYCLE_1)
	s_and_b32 s1, s1, exec_lo
	s_or_b32 s3, s3, s1
.LBB116_17:
	s_delay_alu instid0(SALU_CYCLE_1)
	v_cndmask_b32_e64 v26, 0, 1, s3
.LBB116_18:
	s_or_b32 exec_lo, exec_lo, s6
	s_wait_loadcnt 0x0
	v_or_b32_e32 v6, 0x200, v0
	s_delay_alu instid0(VALU_DEP_1)
	v_cmp_gt_i32_e32 vcc_lo, s2, v6
                                        ; implicit-def: $vgpr6
	s_and_saveexec_b32 s3, vcc_lo
	s_cbranch_execz .LBB116_23
; %bb.19:
	v_cmp_ne_u32_e32 vcc_lo, 1, v27
	s_cbranch_vccnz .LBB116_39
; %bb.20:
	v_cmp_neq_f64_e32 vcc_lo, v[14:15], v[18:19]
	v_cmp_neq_f64_e64 s1, v[16:17], v[20:21]
	s_or_b32 s6, vcc_lo, s1
	s_cbranch_execnz .LBB116_22
.LBB116_21:
	v_cmp_eq_f64_e32 vcc_lo, v[14:15], v[18:19]
	v_cmp_eq_f64_e64 s1, v[16:17], v[20:21]
	s_and_not1_b32 s6, s6, exec_lo
	s_and_b32 s1, vcc_lo, s1
	s_delay_alu instid0(SALU_CYCLE_1) | instskip(NEXT) | instid1(SALU_CYCLE_1)
	s_and_b32 s1, s1, exec_lo
	s_or_b32 s6, s6, s1
.LBB116_22:
	s_delay_alu instid0(SALU_CYCLE_1)
	v_cndmask_b32_e64 v6, 0, 1, s6
.LBB116_23:
	s_or_b32 exec_lo, exec_lo, s3
	v_or_b32_e32 v7, 0x300, v0
	s_delay_alu instid0(VALU_DEP_1)
	v_cmp_gt_i32_e32 vcc_lo, s2, v7
                                        ; implicit-def: $vgpr7
	s_and_saveexec_b32 s3, vcc_lo
	s_cbranch_execz .LBB116_28
; %bb.24:
	v_cmp_ne_u32_e32 vcc_lo, 1, v27
	s_cbranch_vccnz .LBB116_40
; %bb.25:
	v_cmp_neq_f64_e32 vcc_lo, v[10:11], v[2:3]
	v_cmp_neq_f64_e64 s1, v[12:13], v[4:5]
	s_or_b32 s6, vcc_lo, s1
	s_cbranch_execnz .LBB116_27
.LBB116_26:
	v_cmp_eq_f64_e32 vcc_lo, v[10:11], v[2:3]
	v_cmp_eq_f64_e64 s1, v[12:13], v[4:5]
	s_and_not1_b32 s6, s6, exec_lo
	s_and_b32 s1, vcc_lo, s1
	s_delay_alu instid0(SALU_CYCLE_1) | instskip(NEXT) | instid1(SALU_CYCLE_1)
	s_and_b32 s1, s1, exec_lo
	s_or_b32 s6, s6, s1
.LBB116_27:
	s_delay_alu instid0(SALU_CYCLE_1)
	v_cndmask_b32_e64 v7, 0, 1, s6
.LBB116_28:
	s_or_b32 exec_lo, exec_lo, s3
	s_and_saveexec_b32 s1, s0
	s_delay_alu instid0(SALU_CYCLE_1)
	s_xor_b32 s0, exec_lo, s1
	s_cbranch_execz .LBB116_30
; %bb.29:
	v_mov_b32_e32 v0, v1
	global_store_b8 v34, v35, s[4:5]
.LBB116_30:
	s_wait_xcnt 0x0
	s_or_b32 exec_lo, exec_lo, s0
	s_delay_alu instid0(SALU_CYCLE_1)
	s_mov_b32 s0, exec_lo
	v_cmpx_gt_i32_e64 s2, v0
	s_cbranch_execnz .LBB116_34
; %bb.31:
	s_or_b32 exec_lo, exec_lo, s0
	s_delay_alu instid0(SALU_CYCLE_1)
	s_mov_b32 s0, exec_lo
	v_cmpx_gt_i32_e64 s2, v0
	s_cbranch_execnz .LBB116_35
.LBB116_32:
	s_or_b32 exec_lo, exec_lo, s0
	s_delay_alu instid0(SALU_CYCLE_1)
	s_mov_b32 s0, exec_lo
	v_cmpx_gt_i32_e64 s2, v0
	s_cbranch_execnz .LBB116_36
.LBB116_33:
	s_endpgm
.LBB116_34:
	v_add_nc_u32_e32 v1, 0x100, v0
	s_delay_alu instid0(VALU_DEP_1) | instskip(SKIP_3) | instid1(SALU_CYCLE_1)
	v_dual_add_nc_u32 v2, s10, v0 :: v_dual_mov_b32 v0, v1
	global_store_b8 v2, v26, s[4:5]
	s_wait_xcnt 0x0
	s_or_b32 exec_lo, exec_lo, s0
	s_mov_b32 s0, exec_lo
	v_cmpx_gt_i32_e64 s2, v0
	s_cbranch_execz .LBB116_32
.LBB116_35:
	v_add_nc_u32_e32 v1, 0x100, v0
	s_delay_alu instid0(VALU_DEP_1) | instskip(SKIP_3) | instid1(SALU_CYCLE_1)
	v_dual_add_nc_u32 v2, s10, v0 :: v_dual_mov_b32 v0, v1
	global_store_b8 v2, v6, s[4:5]
	s_wait_xcnt 0x0
	s_or_b32 exec_lo, exec_lo, s0
	s_mov_b32 s0, exec_lo
	v_cmpx_gt_i32_e64 s2, v0
	s_cbranch_execz .LBB116_33
.LBB116_36:
	v_add_nc_u32_e32 v0, s10, v0
	global_store_b8 v0, v7, s[4:5]
	s_endpgm
.LBB116_37:
                                        ; implicit-def: $sgpr7
	s_branch .LBB116_11
.LBB116_38:
                                        ; implicit-def: $sgpr3
	s_branch .LBB116_16
.LBB116_39:
                                        ; implicit-def: $sgpr6
	s_branch .LBB116_21
.LBB116_40:
                                        ; implicit-def: $sgpr6
	s_branch .LBB116_26
	.section	.rodata,"a",@progbits
	.p2align	6, 0x0
	.amdhsa_kernel _ZN2at6native27unrolled_elementwise_kernelINS0_13BinaryFunctorIN3c107complexIdEES5_bNS0_12_GLOBAL__N_116CompareEqFunctorIS5_EEEESt5arrayIPcLm3EELi4E23TrivialOffsetCalculatorILi2EjESD_ILi1EjENS0_6memory15LoadWithoutCastENSG_16StoreWithoutCastEEEviT_T0_T2_T3_T4_T5_
		.amdhsa_group_segment_fixed_size 0
		.amdhsa_private_segment_fixed_size 0
		.amdhsa_kernarg_size 36
		.amdhsa_user_sgpr_count 2
		.amdhsa_user_sgpr_dispatch_ptr 0
		.amdhsa_user_sgpr_queue_ptr 0
		.amdhsa_user_sgpr_kernarg_segment_ptr 1
		.amdhsa_user_sgpr_dispatch_id 0
		.amdhsa_user_sgpr_kernarg_preload_length 0
		.amdhsa_user_sgpr_kernarg_preload_offset 0
		.amdhsa_user_sgpr_private_segment_size 0
		.amdhsa_wavefront_size32 1
		.amdhsa_uses_dynamic_stack 0
		.amdhsa_enable_private_segment 0
		.amdhsa_system_sgpr_workgroup_id_x 1
		.amdhsa_system_sgpr_workgroup_id_y 0
		.amdhsa_system_sgpr_workgroup_id_z 0
		.amdhsa_system_sgpr_workgroup_info 0
		.amdhsa_system_vgpr_workitem_id 0
		.amdhsa_next_free_vgpr 36
		.amdhsa_next_free_sgpr 13
		.amdhsa_named_barrier_count 0
		.amdhsa_reserve_vcc 1
		.amdhsa_float_round_mode_32 0
		.amdhsa_float_round_mode_16_64 0
		.amdhsa_float_denorm_mode_32 3
		.amdhsa_float_denorm_mode_16_64 3
		.amdhsa_fp16_overflow 0
		.amdhsa_memory_ordered 1
		.amdhsa_forward_progress 1
		.amdhsa_inst_pref_size 9
		.amdhsa_round_robin_scheduling 0
		.amdhsa_exception_fp_ieee_invalid_op 0
		.amdhsa_exception_fp_denorm_src 0
		.amdhsa_exception_fp_ieee_div_zero 0
		.amdhsa_exception_fp_ieee_overflow 0
		.amdhsa_exception_fp_ieee_underflow 0
		.amdhsa_exception_fp_ieee_inexact 0
		.amdhsa_exception_int_div_zero 0
	.end_amdhsa_kernel
	.section	.text._ZN2at6native27unrolled_elementwise_kernelINS0_13BinaryFunctorIN3c107complexIdEES5_bNS0_12_GLOBAL__N_116CompareEqFunctorIS5_EEEESt5arrayIPcLm3EELi4E23TrivialOffsetCalculatorILi2EjESD_ILi1EjENS0_6memory15LoadWithoutCastENSG_16StoreWithoutCastEEEviT_T0_T2_T3_T4_T5_,"axG",@progbits,_ZN2at6native27unrolled_elementwise_kernelINS0_13BinaryFunctorIN3c107complexIdEES5_bNS0_12_GLOBAL__N_116CompareEqFunctorIS5_EEEESt5arrayIPcLm3EELi4E23TrivialOffsetCalculatorILi2EjESD_ILi1EjENS0_6memory15LoadWithoutCastENSG_16StoreWithoutCastEEEviT_T0_T2_T3_T4_T5_,comdat
.Lfunc_end116:
	.size	_ZN2at6native27unrolled_elementwise_kernelINS0_13BinaryFunctorIN3c107complexIdEES5_bNS0_12_GLOBAL__N_116CompareEqFunctorIS5_EEEESt5arrayIPcLm3EELi4E23TrivialOffsetCalculatorILi2EjESD_ILi1EjENS0_6memory15LoadWithoutCastENSG_16StoreWithoutCastEEEviT_T0_T2_T3_T4_T5_, .Lfunc_end116-_ZN2at6native27unrolled_elementwise_kernelINS0_13BinaryFunctorIN3c107complexIdEES5_bNS0_12_GLOBAL__N_116CompareEqFunctorIS5_EEEESt5arrayIPcLm3EELi4E23TrivialOffsetCalculatorILi2EjESD_ILi1EjENS0_6memory15LoadWithoutCastENSG_16StoreWithoutCastEEEviT_T0_T2_T3_T4_T5_
                                        ; -- End function
	.set _ZN2at6native27unrolled_elementwise_kernelINS0_13BinaryFunctorIN3c107complexIdEES5_bNS0_12_GLOBAL__N_116CompareEqFunctorIS5_EEEESt5arrayIPcLm3EELi4E23TrivialOffsetCalculatorILi2EjESD_ILi1EjENS0_6memory15LoadWithoutCastENSG_16StoreWithoutCastEEEviT_T0_T2_T3_T4_T5_.num_vgpr, 36
	.set _ZN2at6native27unrolled_elementwise_kernelINS0_13BinaryFunctorIN3c107complexIdEES5_bNS0_12_GLOBAL__N_116CompareEqFunctorIS5_EEEESt5arrayIPcLm3EELi4E23TrivialOffsetCalculatorILi2EjESD_ILi1EjENS0_6memory15LoadWithoutCastENSG_16StoreWithoutCastEEEviT_T0_T2_T3_T4_T5_.num_agpr, 0
	.set _ZN2at6native27unrolled_elementwise_kernelINS0_13BinaryFunctorIN3c107complexIdEES5_bNS0_12_GLOBAL__N_116CompareEqFunctorIS5_EEEESt5arrayIPcLm3EELi4E23TrivialOffsetCalculatorILi2EjESD_ILi1EjENS0_6memory15LoadWithoutCastENSG_16StoreWithoutCastEEEviT_T0_T2_T3_T4_T5_.numbered_sgpr, 13
	.set _ZN2at6native27unrolled_elementwise_kernelINS0_13BinaryFunctorIN3c107complexIdEES5_bNS0_12_GLOBAL__N_116CompareEqFunctorIS5_EEEESt5arrayIPcLm3EELi4E23TrivialOffsetCalculatorILi2EjESD_ILi1EjENS0_6memory15LoadWithoutCastENSG_16StoreWithoutCastEEEviT_T0_T2_T3_T4_T5_.num_named_barrier, 0
	.set _ZN2at6native27unrolled_elementwise_kernelINS0_13BinaryFunctorIN3c107complexIdEES5_bNS0_12_GLOBAL__N_116CompareEqFunctorIS5_EEEESt5arrayIPcLm3EELi4E23TrivialOffsetCalculatorILi2EjESD_ILi1EjENS0_6memory15LoadWithoutCastENSG_16StoreWithoutCastEEEviT_T0_T2_T3_T4_T5_.private_seg_size, 0
	.set _ZN2at6native27unrolled_elementwise_kernelINS0_13BinaryFunctorIN3c107complexIdEES5_bNS0_12_GLOBAL__N_116CompareEqFunctorIS5_EEEESt5arrayIPcLm3EELi4E23TrivialOffsetCalculatorILi2EjESD_ILi1EjENS0_6memory15LoadWithoutCastENSG_16StoreWithoutCastEEEviT_T0_T2_T3_T4_T5_.uses_vcc, 1
	.set _ZN2at6native27unrolled_elementwise_kernelINS0_13BinaryFunctorIN3c107complexIdEES5_bNS0_12_GLOBAL__N_116CompareEqFunctorIS5_EEEESt5arrayIPcLm3EELi4E23TrivialOffsetCalculatorILi2EjESD_ILi1EjENS0_6memory15LoadWithoutCastENSG_16StoreWithoutCastEEEviT_T0_T2_T3_T4_T5_.uses_flat_scratch, 0
	.set _ZN2at6native27unrolled_elementwise_kernelINS0_13BinaryFunctorIN3c107complexIdEES5_bNS0_12_GLOBAL__N_116CompareEqFunctorIS5_EEEESt5arrayIPcLm3EELi4E23TrivialOffsetCalculatorILi2EjESD_ILi1EjENS0_6memory15LoadWithoutCastENSG_16StoreWithoutCastEEEviT_T0_T2_T3_T4_T5_.has_dyn_sized_stack, 0
	.set _ZN2at6native27unrolled_elementwise_kernelINS0_13BinaryFunctorIN3c107complexIdEES5_bNS0_12_GLOBAL__N_116CompareEqFunctorIS5_EEEESt5arrayIPcLm3EELi4E23TrivialOffsetCalculatorILi2EjESD_ILi1EjENS0_6memory15LoadWithoutCastENSG_16StoreWithoutCastEEEviT_T0_T2_T3_T4_T5_.has_recursion, 0
	.set _ZN2at6native27unrolled_elementwise_kernelINS0_13BinaryFunctorIN3c107complexIdEES5_bNS0_12_GLOBAL__N_116CompareEqFunctorIS5_EEEESt5arrayIPcLm3EELi4E23TrivialOffsetCalculatorILi2EjESD_ILi1EjENS0_6memory15LoadWithoutCastENSG_16StoreWithoutCastEEEviT_T0_T2_T3_T4_T5_.has_indirect_call, 0
	.section	.AMDGPU.csdata,"",@progbits
; Kernel info:
; codeLenInByte = 1096
; TotalNumSgprs: 15
; NumVgprs: 36
; ScratchSize: 0
; MemoryBound: 1
; FloatMode: 240
; IeeeMode: 1
; LDSByteSize: 0 bytes/workgroup (compile time only)
; SGPRBlocks: 0
; VGPRBlocks: 2
; NumSGPRsForWavesPerEU: 15
; NumVGPRsForWavesPerEU: 36
; NamedBarCnt: 0
; Occupancy: 16
; WaveLimiterHint : 0
; COMPUTE_PGM_RSRC2:SCRATCH_EN: 0
; COMPUTE_PGM_RSRC2:USER_SGPR: 2
; COMPUTE_PGM_RSRC2:TRAP_HANDLER: 0
; COMPUTE_PGM_RSRC2:TGID_X_EN: 1
; COMPUTE_PGM_RSRC2:TGID_Y_EN: 0
; COMPUTE_PGM_RSRC2:TGID_Z_EN: 0
; COMPUTE_PGM_RSRC2:TIDIG_COMP_CNT: 0
	.section	.text._ZN2at6native32elementwise_kernel_manual_unrollILi128ELi8EZNS0_22gpu_kernel_impl_nocastINS0_13BinaryFunctorIN3c107complexIdEES6_bNS0_12_GLOBAL__N_116CompareEqFunctorIS6_EEEEEEvRNS_18TensorIteratorBaseERKT_EUlibE_EEviT1_,"axG",@progbits,_ZN2at6native32elementwise_kernel_manual_unrollILi128ELi8EZNS0_22gpu_kernel_impl_nocastINS0_13BinaryFunctorIN3c107complexIdEES6_bNS0_12_GLOBAL__N_116CompareEqFunctorIS6_EEEEEEvRNS_18TensorIteratorBaseERKT_EUlibE_EEviT1_,comdat
	.globl	_ZN2at6native32elementwise_kernel_manual_unrollILi128ELi8EZNS0_22gpu_kernel_impl_nocastINS0_13BinaryFunctorIN3c107complexIdEES6_bNS0_12_GLOBAL__N_116CompareEqFunctorIS6_EEEEEEvRNS_18TensorIteratorBaseERKT_EUlibE_EEviT1_ ; -- Begin function _ZN2at6native32elementwise_kernel_manual_unrollILi128ELi8EZNS0_22gpu_kernel_impl_nocastINS0_13BinaryFunctorIN3c107complexIdEES6_bNS0_12_GLOBAL__N_116CompareEqFunctorIS6_EEEEEEvRNS_18TensorIteratorBaseERKT_EUlibE_EEviT1_
	.p2align	8
	.type	_ZN2at6native32elementwise_kernel_manual_unrollILi128ELi8EZNS0_22gpu_kernel_impl_nocastINS0_13BinaryFunctorIN3c107complexIdEES6_bNS0_12_GLOBAL__N_116CompareEqFunctorIS6_EEEEEEvRNS_18TensorIteratorBaseERKT_EUlibE_EEviT1_,@function
_ZN2at6native32elementwise_kernel_manual_unrollILi128ELi8EZNS0_22gpu_kernel_impl_nocastINS0_13BinaryFunctorIN3c107complexIdEES6_bNS0_12_GLOBAL__N_116CompareEqFunctorIS6_EEEEEEvRNS_18TensorIteratorBaseERKT_EUlibE_EEviT1_: ; @_ZN2at6native32elementwise_kernel_manual_unrollILi128ELi8EZNS0_22gpu_kernel_impl_nocastINS0_13BinaryFunctorIN3c107complexIdEES6_bNS0_12_GLOBAL__N_116CompareEqFunctorIS6_EEEEEEvRNS_18TensorIteratorBaseERKT_EUlibE_EEviT1_
; %bb.0:
	s_clause 0x1
	s_load_b32 s26, s[0:1], 0x8
	s_load_b32 s33, s[0:1], 0x0
	s_bfe_u32 s2, ttmp6, 0x4000c
	s_and_b32 s3, ttmp6, 15
	s_add_co_i32 s2, s2, 1
	s_getreg_b32 s4, hwreg(HW_REG_IB_STS2, 6, 4)
	s_mul_i32 s2, ttmp9, s2
	s_mov_b32 s21, 0
	s_add_co_i32 s3, s3, s2
	s_cmp_eq_u32 s4, 0
	s_cselect_b32 s2, ttmp9, s3
	s_delay_alu instid0(SALU_CYCLE_1) | instskip(SKIP_3) | instid1(VALU_DEP_1)
	v_lshl_or_b32 v8, s2, 10, v0
	s_add_nc_u64 s[2:3], s[0:1], 8
	s_wait_xcnt 0x0
	s_mov_b32 s0, exec_lo
	v_or_b32_e32 v0, 0x380, v8
	s_wait_kmcnt 0x0
	s_add_co_i32 s27, s26, -1
	s_delay_alu instid0(SALU_CYCLE_1)
	s_cmp_gt_u32 s27, 1
	s_cselect_b32 s28, -1, 0
	v_cmpx_le_i32_e64 s33, v0
	s_xor_b32 s29, exec_lo, s0
	s_cbranch_execz .LBB117_137
; %bb.1:
	s_clause 0x5
	s_load_b128 s[8:11], s[2:3], 0x4
	s_load_b64 s[0:1], s[2:3], 0x14
	s_load_b96 s[16:18], s[2:3], 0x198
	s_load_b128 s[12:15], s[2:3], 0xc4
	s_load_b64 s[22:23], s[2:3], 0xd4
	s_load_b128 s[4:7], s[2:3], 0x188
	s_cmp_lg_u32 s26, 0
	s_mov_b32 s25, s21
	s_cselect_b32 s34, -1, 0
	s_min_u32 s31, s27, 15
	s_cmp_gt_u32 s26, 1
	s_mov_b32 s35, exec_lo
	s_cselect_b32 s30, -1, 0
	s_wait_kmcnt 0x0
	s_mov_b32 s20, s9
	s_mov_b32 s24, s0
	s_cmp_lg_u32 s18, 0
	s_cselect_b32 s9, -1, 0
	v_cmpx_gt_i32_e64 s33, v8
	s_cbranch_execnz .LBB117_9
; %bb.2:
	s_or_b32 exec_lo, exec_lo, s35
	s_delay_alu instid0(SALU_CYCLE_1)
	s_mov_b32 s35, exec_lo
	v_cmpx_gt_i32_e64 s33, v8
	s_cbranch_execnz .LBB117_24
.LBB117_3:
	s_or_b32 exec_lo, exec_lo, s35
	s_delay_alu instid0(SALU_CYCLE_1)
	s_mov_b32 s35, exec_lo
	v_cmpx_gt_i32_e64 s33, v8
	s_cbranch_execnz .LBB117_40
.LBB117_4:
	s_or_b32 exec_lo, exec_lo, s35
	s_delay_alu instid0(SALU_CYCLE_1)
	s_mov_b32 s35, exec_lo
	v_cmpx_gt_i32_e64 s33, v8
	s_cbranch_execnz .LBB117_56
.LBB117_5:
	s_or_b32 exec_lo, exec_lo, s35
	s_delay_alu instid0(SALU_CYCLE_1)
	s_mov_b32 s35, exec_lo
	v_cmpx_gt_i32_e64 s33, v8
	s_cbranch_execnz .LBB117_72
.LBB117_6:
	s_or_b32 exec_lo, exec_lo, s35
	s_delay_alu instid0(SALU_CYCLE_1)
	s_mov_b32 s35, exec_lo
	v_cmpx_gt_i32_e64 s33, v8
	s_cbranch_execnz .LBB117_88
.LBB117_7:
	s_or_b32 exec_lo, exec_lo, s35
	s_delay_alu instid0(SALU_CYCLE_1)
	s_mov_b32 s35, exec_lo
	v_cmpx_gt_i32_e64 s33, v8
	s_cbranch_execnz .LBB117_104
.LBB117_8:
	s_or_b32 exec_lo, exec_lo, s35
	v_cmp_gt_i32_e32 vcc_lo, s33, v8
	s_and_saveexec_b32 s33, vcc_lo
	s_cbranch_execnz .LBB117_120
	s_branch .LBB117_136
.LBB117_9:
	s_and_not1_b32 vcc_lo, exec_lo, s28
	s_cbranch_vccnz .LBB117_15
; %bb.10:
	s_and_not1_b32 vcc_lo, exec_lo, s34
	s_cbranch_vccnz .LBB117_16
; %bb.11:
	v_dual_mov_b32 v10, 0 :: v_dual_mov_b32 v0, v8
	v_dual_mov_b32 v12, 0 :: v_dual_mov_b32 v11, 0
	s_add_co_i32 s0, s31, 1
	s_mov_b64 s[18:19], 0xffffffffffffffe8
	s_and_b32 s0, s0, 30
	s_add_nc_u64 s[18:19], s[2:3], s[18:19]
.LBB117_12:                             ; =>This Inner Loop Header: Depth=1
	s_clause 0x1
	s_load_b128 s[36:39], s[18:19], 0x1c
	s_load_b64 s[44:45], s[18:19], 0x2c
	s_add_co_i32 s0, s0, -2
	s_delay_alu instid0(SALU_CYCLE_1) | instskip(SKIP_2) | instid1(VALU_DEP_1)
	s_cmp_lg_u32 s0, 0
	s_wait_kmcnt 0x0
	v_mul_hi_u32 v1, s37, v0
	v_add_nc_u32_e32 v1, v0, v1
	s_delay_alu instid0(VALU_DEP_1) | instskip(NEXT) | instid1(VALU_DEP_1)
	v_lshrrev_b32_e32 v1, s38, v1
	v_mul_hi_u32 v2, s44, v1
	v_mul_lo_u32 v3, v1, s36
	s_clause 0x1
	s_load_b128 s[40:43], s[18:19], 0xdc
	s_load_b64 s[36:37], s[18:19], 0xec
	s_wait_xcnt 0x0
	s_add_nc_u64 s[18:19], s[18:19], 24
	s_delay_alu instid0(VALU_DEP_1) | instskip(NEXT) | instid1(VALU_DEP_1)
	v_dual_add_nc_u32 v2, v1, v2 :: v_dual_sub_nc_u32 v3, v0, v3
	v_lshrrev_b32_e32 v0, s45, v2
	s_wait_kmcnt 0x0
	s_delay_alu instid0(VALU_DEP_2) | instskip(NEXT) | instid1(VALU_DEP_2)
	v_mad_u32 v4, v3, s40, v10
	v_mul_lo_u32 v2, v0, s39
	v_mad_u32 v5, v3, s42, v11
	v_mad_u32 v3, v3, s41, v12
	s_delay_alu instid0(VALU_DEP_3) | instskip(NEXT) | instid1(VALU_DEP_1)
	v_sub_nc_u32_e32 v1, v1, v2
	v_mad_u32 v10, v1, s43, v4
	s_delay_alu instid0(VALU_DEP_4) | instskip(NEXT) | instid1(VALU_DEP_4)
	v_mad_u32 v11, v1, s37, v5
	v_mad_u32 v12, v1, s36, v3
	s_cbranch_scc1 .LBB117_12
; %bb.13:
	s_bitcmp1_b32 s31, 0
	s_cselect_b32 s0, -1, 0
	s_delay_alu instid0(SALU_CYCLE_1)
	s_and_b32 vcc_lo, exec_lo, s0
	s_cbranch_vccnz .LBB117_17
; %bb.14:
	s_clause 0x1
	s_load_b96 s[36:38], s[18:19], 0x1c
	s_load_b96 s[40:42], s[18:19], 0xdc
	s_wait_kmcnt 0x0
	v_mul_hi_u32 v1, s37, v0
	s_delay_alu instid0(VALU_DEP_1) | instskip(NEXT) | instid1(VALU_DEP_1)
	v_add_nc_u32_e32 v1, v0, v1
	v_lshrrev_b32_e32 v1, s38, v1
	s_delay_alu instid0(VALU_DEP_1) | instskip(NEXT) | instid1(VALU_DEP_1)
	v_mul_lo_u32 v1, v1, s36
	v_sub_nc_u32_e32 v0, v0, v1
	s_delay_alu instid0(VALU_DEP_1)
	v_mad_u32 v10, v0, s40, v10
	v_mad_u32 v12, v0, s41, v12
	;; [unrolled: 1-line block ×3, first 2 shown]
	s_cbranch_execz .LBB117_18
	s_branch .LBB117_20
.LBB117_15:
                                        ; implicit-def: $vgpr11
                                        ; implicit-def: $vgpr12
                                        ; implicit-def: $vgpr10
	s_branch .LBB117_18
.LBB117_16:
	v_dual_mov_b32 v11, 0 :: v_dual_mov_b32 v12, 0
	v_mov_b32_e32 v10, 0
.LBB117_17:
	s_cbranch_execnz .LBB117_20
.LBB117_18:
	v_mov_b32_e32 v9, 0
	s_and_not1_b32 vcc_lo, exec_lo, s30
	s_delay_alu instid0(VALU_DEP_1) | instskip(NEXT) | instid1(VALU_DEP_1)
	v_mul_u64_e32 v[0:1], s[20:21], v[8:9]
	v_add_nc_u32_e32 v0, v8, v1
	s_delay_alu instid0(VALU_DEP_1) | instskip(NEXT) | instid1(VALU_DEP_1)
	v_lshrrev_b32_e32 v0, s10, v0
	v_mul_lo_u32 v1, v0, s8
	s_delay_alu instid0(VALU_DEP_1) | instskip(NEXT) | instid1(VALU_DEP_1)
	v_sub_nc_u32_e32 v1, v8, v1
	v_mul_lo_u32 v10, v1, s12
	v_mul_lo_u32 v11, v1, s14
	;; [unrolled: 1-line block ×3, first 2 shown]
	s_cbranch_vccnz .LBB117_20
; %bb.19:
	v_mov_b32_e32 v1, v9
	s_delay_alu instid0(VALU_DEP_1) | instskip(NEXT) | instid1(VALU_DEP_1)
	v_mul_u64_e32 v[2:3], s[24:25], v[0:1]
	v_add_nc_u32_e32 v1, v0, v3
	s_delay_alu instid0(VALU_DEP_1) | instskip(NEXT) | instid1(VALU_DEP_1)
	v_lshrrev_b32_e32 v1, s1, v1
	v_mul_lo_u32 v1, v1, s11
	s_delay_alu instid0(VALU_DEP_1) | instskip(NEXT) | instid1(VALU_DEP_1)
	v_sub_nc_u32_e32 v0, v0, v1
	v_mad_u32 v10, v0, s15, v10
	v_mad_u32 v12, v0, s22, v12
	;; [unrolled: 1-line block ×3, first 2 shown]
.LBB117_20:
	global_load_b128 v[0:3], v12, s[6:7]
	global_load_b128 v[4:7], v11, s[16:17]
	s_and_b32 vcc_lo, exec_lo, s9
	s_cbranch_vccz .LBB117_31
; %bb.21:
	s_wait_loadcnt 0x0
	v_cmp_neq_f64_e32 vcc_lo, v[0:1], v[4:5]
	v_cmp_neq_f64_e64 s0, v[2:3], v[6:7]
	s_or_b32 s18, vcc_lo, s0
	s_cbranch_execnz .LBB117_23
.LBB117_22:
	s_wait_loadcnt 0x0
	v_cmp_eq_f64_e32 vcc_lo, v[0:1], v[4:5]
	v_cmp_eq_f64_e64 s0, v[2:3], v[6:7]
	s_and_not1_b32 s18, s18, exec_lo
	s_and_b32 s0, vcc_lo, s0
	s_delay_alu instid0(SALU_CYCLE_1) | instskip(NEXT) | instid1(SALU_CYCLE_1)
	s_and_b32 s0, s0, exec_lo
	s_or_b32 s18, s18, s0
.LBB117_23:
	s_wait_loadcnt 0x1
	v_cndmask_b32_e64 v0, 0, 1, s18
	v_add_nc_u32_e32 v8, 0x80, v8
	global_store_b8 v10, v0, s[4:5]
	s_wait_xcnt 0x0
	s_or_b32 exec_lo, exec_lo, s35
	s_delay_alu instid0(SALU_CYCLE_1)
	s_mov_b32 s35, exec_lo
	v_cmpx_gt_i32_e64 s33, v8
	s_cbranch_execz .LBB117_3
.LBB117_24:
	s_and_not1_b32 vcc_lo, exec_lo, s28
	s_cbranch_vccnz .LBB117_30
; %bb.25:
	s_and_not1_b32 vcc_lo, exec_lo, s34
	s_cbranch_vccnz .LBB117_32
; %bb.26:
	v_dual_mov_b32 v10, 0 :: v_dual_mov_b32 v0, v8
	v_dual_mov_b32 v12, 0 :: v_dual_mov_b32 v11, 0
	s_add_co_i32 s0, s31, 1
	s_mov_b64 s[18:19], 0xffffffffffffffe8
	s_and_b32 s0, s0, 30
	s_add_nc_u64 s[18:19], s[2:3], s[18:19]
.LBB117_27:                             ; =>This Inner Loop Header: Depth=1
	s_clause 0x1
	s_load_b128 s[36:39], s[18:19], 0x1c
	s_load_b64 s[44:45], s[18:19], 0x2c
	s_add_co_i32 s0, s0, -2
	s_delay_alu instid0(SALU_CYCLE_1) | instskip(SKIP_2) | instid1(VALU_DEP_1)
	s_cmp_eq_u32 s0, 0
	s_wait_kmcnt 0x0
	v_mul_hi_u32 v1, s37, v0
	v_add_nc_u32_e32 v1, v0, v1
	s_delay_alu instid0(VALU_DEP_1) | instskip(NEXT) | instid1(VALU_DEP_1)
	v_lshrrev_b32_e32 v1, s38, v1
	v_mul_hi_u32 v2, s44, v1
	v_mul_lo_u32 v3, v1, s36
	s_clause 0x1
	s_load_b128 s[40:43], s[18:19], 0xdc
	s_load_b64 s[36:37], s[18:19], 0xec
	s_wait_xcnt 0x0
	s_add_nc_u64 s[18:19], s[18:19], 24
	s_delay_alu instid0(VALU_DEP_1) | instskip(NEXT) | instid1(VALU_DEP_1)
	v_dual_add_nc_u32 v2, v1, v2 :: v_dual_sub_nc_u32 v3, v0, v3
	v_lshrrev_b32_e32 v0, s45, v2
	s_wait_loadcnt 0x0
	s_wait_kmcnt 0x0
	s_delay_alu instid0(VALU_DEP_2) | instskip(NEXT) | instid1(VALU_DEP_2)
	v_mad_u32 v4, v3, s40, v10
	v_mul_lo_u32 v2, v0, s39
	v_mad_u32 v5, v3, s42, v11
	v_mad_u32 v3, v3, s41, v12
	s_delay_alu instid0(VALU_DEP_3) | instskip(NEXT) | instid1(VALU_DEP_1)
	v_sub_nc_u32_e32 v1, v1, v2
	v_mad_u32 v10, v1, s43, v4
	s_delay_alu instid0(VALU_DEP_4) | instskip(NEXT) | instid1(VALU_DEP_4)
	v_mad_u32 v11, v1, s37, v5
	v_mad_u32 v12, v1, s36, v3
	s_cbranch_scc0 .LBB117_27
; %bb.28:
	s_bitcmp1_b32 s31, 0
	s_cselect_b32 s0, -1, 0
	s_delay_alu instid0(SALU_CYCLE_1)
	s_and_b32 vcc_lo, exec_lo, s0
	s_cbranch_vccnz .LBB117_33
; %bb.29:
	s_clause 0x1
	s_load_b96 s[36:38], s[18:19], 0x1c
	s_load_b96 s[40:42], s[18:19], 0xdc
	s_wait_kmcnt 0x0
	v_mul_hi_u32 v1, s37, v0
	s_delay_alu instid0(VALU_DEP_1) | instskip(NEXT) | instid1(VALU_DEP_1)
	v_add_nc_u32_e32 v1, v0, v1
	v_lshrrev_b32_e32 v1, s38, v1
	s_delay_alu instid0(VALU_DEP_1) | instskip(NEXT) | instid1(VALU_DEP_1)
	v_mul_lo_u32 v1, v1, s36
	v_sub_nc_u32_e32 v0, v0, v1
	s_delay_alu instid0(VALU_DEP_1)
	v_mad_u32 v10, v0, s40, v10
	v_mad_u32 v12, v0, s41, v12
	;; [unrolled: 1-line block ×3, first 2 shown]
	s_branch .LBB117_33
.LBB117_30:
                                        ; implicit-def: $vgpr11
                                        ; implicit-def: $vgpr12
                                        ; implicit-def: $vgpr10
	s_branch .LBB117_34
.LBB117_31:
                                        ; implicit-def: $sgpr18
	s_branch .LBB117_22
.LBB117_32:
	v_dual_mov_b32 v11, 0 :: v_dual_mov_b32 v12, 0
	v_mov_b32_e32 v10, 0
.LBB117_33:
	s_cbranch_execnz .LBB117_36
.LBB117_34:
	v_mov_b32_e32 v9, 0
	s_and_not1_b32 vcc_lo, exec_lo, s30
	s_delay_alu instid0(VALU_DEP_1) | instskip(NEXT) | instid1(VALU_DEP_1)
	v_mul_u64_e32 v[0:1], s[20:21], v[8:9]
	v_add_nc_u32_e32 v0, v8, v1
	s_delay_alu instid0(VALU_DEP_1) | instskip(NEXT) | instid1(VALU_DEP_1)
	v_lshrrev_b32_e32 v0, s10, v0
	v_mul_lo_u32 v1, v0, s8
	s_delay_alu instid0(VALU_DEP_1) | instskip(NEXT) | instid1(VALU_DEP_1)
	v_sub_nc_u32_e32 v1, v8, v1
	v_mul_lo_u32 v10, v1, s12
	v_mul_lo_u32 v11, v1, s14
	;; [unrolled: 1-line block ×3, first 2 shown]
	s_cbranch_vccnz .LBB117_36
; %bb.35:
	v_mov_b32_e32 v1, v9
	s_delay_alu instid0(VALU_DEP_1) | instskip(NEXT) | instid1(VALU_DEP_1)
	v_mul_u64_e32 v[2:3], s[24:25], v[0:1]
	v_add_nc_u32_e32 v1, v0, v3
	s_delay_alu instid0(VALU_DEP_1) | instskip(NEXT) | instid1(VALU_DEP_1)
	v_lshrrev_b32_e32 v1, s1, v1
	v_mul_lo_u32 v1, v1, s11
	s_delay_alu instid0(VALU_DEP_1) | instskip(NEXT) | instid1(VALU_DEP_1)
	v_sub_nc_u32_e32 v0, v0, v1
	v_mad_u32 v10, v0, s15, v10
	v_mad_u32 v12, v0, s22, v12
	;; [unrolled: 1-line block ×3, first 2 shown]
.LBB117_36:
	global_load_b128 v[0:3], v12, s[6:7]
	s_wait_loadcnt 0x1
	global_load_b128 v[4:7], v11, s[16:17]
	s_and_not1_b32 vcc_lo, exec_lo, s9
	s_cbranch_vccnz .LBB117_47
; %bb.37:
	s_wait_loadcnt 0x0
	v_cmp_neq_f64_e32 vcc_lo, v[0:1], v[4:5]
	v_cmp_neq_f64_e64 s0, v[2:3], v[6:7]
	s_or_b32 s18, vcc_lo, s0
	s_cbranch_execnz .LBB117_39
.LBB117_38:
	s_wait_loadcnt 0x0
	v_cmp_eq_f64_e32 vcc_lo, v[0:1], v[4:5]
	v_cmp_eq_f64_e64 s0, v[2:3], v[6:7]
	s_and_not1_b32 s18, s18, exec_lo
	s_and_b32 s0, vcc_lo, s0
	s_delay_alu instid0(SALU_CYCLE_1) | instskip(NEXT) | instid1(SALU_CYCLE_1)
	s_and_b32 s0, s0, exec_lo
	s_or_b32 s18, s18, s0
.LBB117_39:
	s_wait_loadcnt 0x1
	v_cndmask_b32_e64 v0, 0, 1, s18
	v_add_nc_u32_e32 v8, 0x80, v8
	global_store_b8 v10, v0, s[4:5]
	s_wait_xcnt 0x0
	s_or_b32 exec_lo, exec_lo, s35
	s_delay_alu instid0(SALU_CYCLE_1)
	s_mov_b32 s35, exec_lo
	v_cmpx_gt_i32_e64 s33, v8
	s_cbranch_execz .LBB117_4
.LBB117_40:
	s_and_not1_b32 vcc_lo, exec_lo, s28
	s_cbranch_vccnz .LBB117_46
; %bb.41:
	s_and_not1_b32 vcc_lo, exec_lo, s34
	s_cbranch_vccnz .LBB117_48
; %bb.42:
	v_dual_mov_b32 v10, 0 :: v_dual_mov_b32 v0, v8
	v_dual_mov_b32 v12, 0 :: v_dual_mov_b32 v11, 0
	s_add_co_i32 s0, s31, 1
	s_mov_b64 s[18:19], 0xffffffffffffffe8
	s_and_b32 s0, s0, 30
	s_add_nc_u64 s[18:19], s[2:3], s[18:19]
.LBB117_43:                             ; =>This Inner Loop Header: Depth=1
	s_clause 0x1
	s_load_b128 s[36:39], s[18:19], 0x1c
	s_load_b64 s[44:45], s[18:19], 0x2c
	s_add_co_i32 s0, s0, -2
	s_delay_alu instid0(SALU_CYCLE_1) | instskip(SKIP_2) | instid1(VALU_DEP_1)
	s_cmp_eq_u32 s0, 0
	s_wait_kmcnt 0x0
	v_mul_hi_u32 v1, s37, v0
	v_add_nc_u32_e32 v1, v0, v1
	s_delay_alu instid0(VALU_DEP_1) | instskip(NEXT) | instid1(VALU_DEP_1)
	v_lshrrev_b32_e32 v1, s38, v1
	v_mul_hi_u32 v2, s44, v1
	v_mul_lo_u32 v3, v1, s36
	s_clause 0x1
	s_load_b128 s[40:43], s[18:19], 0xdc
	s_load_b64 s[36:37], s[18:19], 0xec
	s_wait_xcnt 0x0
	s_add_nc_u64 s[18:19], s[18:19], 24
	s_delay_alu instid0(VALU_DEP_1) | instskip(NEXT) | instid1(VALU_DEP_1)
	v_dual_add_nc_u32 v2, v1, v2 :: v_dual_sub_nc_u32 v3, v0, v3
	v_lshrrev_b32_e32 v0, s45, v2
	s_wait_loadcnt 0x0
	s_wait_kmcnt 0x0
	s_delay_alu instid0(VALU_DEP_2) | instskip(NEXT) | instid1(VALU_DEP_2)
	v_mad_u32 v4, v3, s40, v10
	v_mul_lo_u32 v2, v0, s39
	v_mad_u32 v5, v3, s42, v11
	v_mad_u32 v3, v3, s41, v12
	s_delay_alu instid0(VALU_DEP_3) | instskip(NEXT) | instid1(VALU_DEP_1)
	v_sub_nc_u32_e32 v1, v1, v2
	v_mad_u32 v10, v1, s43, v4
	s_delay_alu instid0(VALU_DEP_4) | instskip(NEXT) | instid1(VALU_DEP_4)
	v_mad_u32 v11, v1, s37, v5
	v_mad_u32 v12, v1, s36, v3
	s_cbranch_scc0 .LBB117_43
; %bb.44:
	s_bitcmp1_b32 s31, 0
	s_cselect_b32 s0, -1, 0
	s_delay_alu instid0(SALU_CYCLE_1)
	s_and_b32 vcc_lo, exec_lo, s0
	s_cbranch_vccnz .LBB117_49
; %bb.45:
	s_clause 0x1
	s_load_b96 s[36:38], s[18:19], 0x1c
	s_load_b96 s[40:42], s[18:19], 0xdc
	s_wait_kmcnt 0x0
	v_mul_hi_u32 v1, s37, v0
	s_delay_alu instid0(VALU_DEP_1) | instskip(NEXT) | instid1(VALU_DEP_1)
	v_add_nc_u32_e32 v1, v0, v1
	v_lshrrev_b32_e32 v1, s38, v1
	s_delay_alu instid0(VALU_DEP_1) | instskip(NEXT) | instid1(VALU_DEP_1)
	v_mul_lo_u32 v1, v1, s36
	v_sub_nc_u32_e32 v0, v0, v1
	s_delay_alu instid0(VALU_DEP_1)
	v_mad_u32 v10, v0, s40, v10
	v_mad_u32 v12, v0, s41, v12
	;; [unrolled: 1-line block ×3, first 2 shown]
	s_branch .LBB117_49
.LBB117_46:
                                        ; implicit-def: $vgpr11
                                        ; implicit-def: $vgpr12
                                        ; implicit-def: $vgpr10
	s_branch .LBB117_50
.LBB117_47:
                                        ; implicit-def: $sgpr18
	s_branch .LBB117_38
.LBB117_48:
	v_dual_mov_b32 v11, 0 :: v_dual_mov_b32 v12, 0
	v_mov_b32_e32 v10, 0
.LBB117_49:
	s_cbranch_execnz .LBB117_52
.LBB117_50:
	v_mov_b32_e32 v9, 0
	s_and_not1_b32 vcc_lo, exec_lo, s30
	s_delay_alu instid0(VALU_DEP_1) | instskip(NEXT) | instid1(VALU_DEP_1)
	v_mul_u64_e32 v[0:1], s[20:21], v[8:9]
	v_add_nc_u32_e32 v0, v8, v1
	s_delay_alu instid0(VALU_DEP_1) | instskip(NEXT) | instid1(VALU_DEP_1)
	v_lshrrev_b32_e32 v0, s10, v0
	v_mul_lo_u32 v1, v0, s8
	s_delay_alu instid0(VALU_DEP_1) | instskip(NEXT) | instid1(VALU_DEP_1)
	v_sub_nc_u32_e32 v1, v8, v1
	v_mul_lo_u32 v10, v1, s12
	v_mul_lo_u32 v11, v1, s14
	;; [unrolled: 1-line block ×3, first 2 shown]
	s_cbranch_vccnz .LBB117_52
; %bb.51:
	v_mov_b32_e32 v1, v9
	s_delay_alu instid0(VALU_DEP_1) | instskip(NEXT) | instid1(VALU_DEP_1)
	v_mul_u64_e32 v[2:3], s[24:25], v[0:1]
	v_add_nc_u32_e32 v1, v0, v3
	s_delay_alu instid0(VALU_DEP_1) | instskip(NEXT) | instid1(VALU_DEP_1)
	v_lshrrev_b32_e32 v1, s1, v1
	v_mul_lo_u32 v1, v1, s11
	s_delay_alu instid0(VALU_DEP_1) | instskip(NEXT) | instid1(VALU_DEP_1)
	v_sub_nc_u32_e32 v0, v0, v1
	v_mad_u32 v10, v0, s15, v10
	v_mad_u32 v12, v0, s22, v12
	;; [unrolled: 1-line block ×3, first 2 shown]
.LBB117_52:
	global_load_b128 v[0:3], v12, s[6:7]
	s_wait_loadcnt 0x1
	global_load_b128 v[4:7], v11, s[16:17]
	s_and_not1_b32 vcc_lo, exec_lo, s9
	s_cbranch_vccnz .LBB117_63
; %bb.53:
	s_wait_loadcnt 0x0
	v_cmp_neq_f64_e32 vcc_lo, v[0:1], v[4:5]
	v_cmp_neq_f64_e64 s0, v[2:3], v[6:7]
	s_or_b32 s18, vcc_lo, s0
	s_cbranch_execnz .LBB117_55
.LBB117_54:
	s_wait_loadcnt 0x0
	v_cmp_eq_f64_e32 vcc_lo, v[0:1], v[4:5]
	v_cmp_eq_f64_e64 s0, v[2:3], v[6:7]
	s_and_not1_b32 s18, s18, exec_lo
	s_and_b32 s0, vcc_lo, s0
	s_delay_alu instid0(SALU_CYCLE_1) | instskip(NEXT) | instid1(SALU_CYCLE_1)
	s_and_b32 s0, s0, exec_lo
	s_or_b32 s18, s18, s0
.LBB117_55:
	s_wait_loadcnt 0x1
	v_cndmask_b32_e64 v0, 0, 1, s18
	v_add_nc_u32_e32 v8, 0x80, v8
	global_store_b8 v10, v0, s[4:5]
	s_wait_xcnt 0x0
	s_or_b32 exec_lo, exec_lo, s35
	s_delay_alu instid0(SALU_CYCLE_1)
	s_mov_b32 s35, exec_lo
	v_cmpx_gt_i32_e64 s33, v8
	s_cbranch_execz .LBB117_5
.LBB117_56:
	s_and_not1_b32 vcc_lo, exec_lo, s28
	s_cbranch_vccnz .LBB117_62
; %bb.57:
	s_and_not1_b32 vcc_lo, exec_lo, s34
	s_cbranch_vccnz .LBB117_64
; %bb.58:
	v_dual_mov_b32 v10, 0 :: v_dual_mov_b32 v0, v8
	v_dual_mov_b32 v12, 0 :: v_dual_mov_b32 v11, 0
	s_add_co_i32 s0, s31, 1
	s_mov_b64 s[18:19], 0xffffffffffffffe8
	s_and_b32 s0, s0, 30
	s_add_nc_u64 s[18:19], s[2:3], s[18:19]
.LBB117_59:                             ; =>This Inner Loop Header: Depth=1
	s_clause 0x1
	s_load_b128 s[36:39], s[18:19], 0x1c
	s_load_b64 s[44:45], s[18:19], 0x2c
	s_add_co_i32 s0, s0, -2
	s_delay_alu instid0(SALU_CYCLE_1) | instskip(SKIP_2) | instid1(VALU_DEP_1)
	s_cmp_eq_u32 s0, 0
	s_wait_kmcnt 0x0
	v_mul_hi_u32 v1, s37, v0
	v_add_nc_u32_e32 v1, v0, v1
	s_delay_alu instid0(VALU_DEP_1) | instskip(NEXT) | instid1(VALU_DEP_1)
	v_lshrrev_b32_e32 v1, s38, v1
	v_mul_hi_u32 v2, s44, v1
	v_mul_lo_u32 v3, v1, s36
	s_clause 0x1
	s_load_b128 s[40:43], s[18:19], 0xdc
	s_load_b64 s[36:37], s[18:19], 0xec
	s_wait_xcnt 0x0
	s_add_nc_u64 s[18:19], s[18:19], 24
	s_delay_alu instid0(VALU_DEP_1) | instskip(NEXT) | instid1(VALU_DEP_1)
	v_dual_add_nc_u32 v2, v1, v2 :: v_dual_sub_nc_u32 v3, v0, v3
	v_lshrrev_b32_e32 v0, s45, v2
	s_wait_loadcnt 0x0
	s_wait_kmcnt 0x0
	s_delay_alu instid0(VALU_DEP_2) | instskip(NEXT) | instid1(VALU_DEP_2)
	v_mad_u32 v4, v3, s40, v10
	v_mul_lo_u32 v2, v0, s39
	v_mad_u32 v5, v3, s42, v11
	v_mad_u32 v3, v3, s41, v12
	s_delay_alu instid0(VALU_DEP_3) | instskip(NEXT) | instid1(VALU_DEP_1)
	v_sub_nc_u32_e32 v1, v1, v2
	v_mad_u32 v10, v1, s43, v4
	s_delay_alu instid0(VALU_DEP_4) | instskip(NEXT) | instid1(VALU_DEP_4)
	v_mad_u32 v11, v1, s37, v5
	v_mad_u32 v12, v1, s36, v3
	s_cbranch_scc0 .LBB117_59
; %bb.60:
	s_bitcmp1_b32 s31, 0
	s_cselect_b32 s0, -1, 0
	s_delay_alu instid0(SALU_CYCLE_1)
	s_and_b32 vcc_lo, exec_lo, s0
	s_cbranch_vccnz .LBB117_65
; %bb.61:
	s_clause 0x1
	s_load_b96 s[36:38], s[18:19], 0x1c
	s_load_b96 s[40:42], s[18:19], 0xdc
	s_wait_kmcnt 0x0
	v_mul_hi_u32 v1, s37, v0
	s_delay_alu instid0(VALU_DEP_1) | instskip(NEXT) | instid1(VALU_DEP_1)
	v_add_nc_u32_e32 v1, v0, v1
	v_lshrrev_b32_e32 v1, s38, v1
	s_delay_alu instid0(VALU_DEP_1) | instskip(NEXT) | instid1(VALU_DEP_1)
	v_mul_lo_u32 v1, v1, s36
	v_sub_nc_u32_e32 v0, v0, v1
	s_delay_alu instid0(VALU_DEP_1)
	v_mad_u32 v10, v0, s40, v10
	v_mad_u32 v12, v0, s41, v12
	;; [unrolled: 1-line block ×3, first 2 shown]
	s_branch .LBB117_65
.LBB117_62:
                                        ; implicit-def: $vgpr11
                                        ; implicit-def: $vgpr12
                                        ; implicit-def: $vgpr10
	s_branch .LBB117_66
.LBB117_63:
                                        ; implicit-def: $sgpr18
	s_branch .LBB117_54
.LBB117_64:
	v_dual_mov_b32 v11, 0 :: v_dual_mov_b32 v12, 0
	v_mov_b32_e32 v10, 0
.LBB117_65:
	s_cbranch_execnz .LBB117_68
.LBB117_66:
	v_mov_b32_e32 v9, 0
	s_and_not1_b32 vcc_lo, exec_lo, s30
	s_delay_alu instid0(VALU_DEP_1) | instskip(NEXT) | instid1(VALU_DEP_1)
	v_mul_u64_e32 v[0:1], s[20:21], v[8:9]
	v_add_nc_u32_e32 v0, v8, v1
	s_delay_alu instid0(VALU_DEP_1) | instskip(NEXT) | instid1(VALU_DEP_1)
	v_lshrrev_b32_e32 v0, s10, v0
	v_mul_lo_u32 v1, v0, s8
	s_delay_alu instid0(VALU_DEP_1) | instskip(NEXT) | instid1(VALU_DEP_1)
	v_sub_nc_u32_e32 v1, v8, v1
	v_mul_lo_u32 v10, v1, s12
	v_mul_lo_u32 v11, v1, s14
	;; [unrolled: 1-line block ×3, first 2 shown]
	s_cbranch_vccnz .LBB117_68
; %bb.67:
	v_mov_b32_e32 v1, v9
	s_delay_alu instid0(VALU_DEP_1) | instskip(NEXT) | instid1(VALU_DEP_1)
	v_mul_u64_e32 v[2:3], s[24:25], v[0:1]
	v_add_nc_u32_e32 v1, v0, v3
	s_delay_alu instid0(VALU_DEP_1) | instskip(NEXT) | instid1(VALU_DEP_1)
	v_lshrrev_b32_e32 v1, s1, v1
	v_mul_lo_u32 v1, v1, s11
	s_delay_alu instid0(VALU_DEP_1) | instskip(NEXT) | instid1(VALU_DEP_1)
	v_sub_nc_u32_e32 v0, v0, v1
	v_mad_u32 v10, v0, s15, v10
	v_mad_u32 v12, v0, s22, v12
	;; [unrolled: 1-line block ×3, first 2 shown]
.LBB117_68:
	global_load_b128 v[0:3], v12, s[6:7]
	s_wait_loadcnt 0x1
	global_load_b128 v[4:7], v11, s[16:17]
	s_and_not1_b32 vcc_lo, exec_lo, s9
	s_cbranch_vccnz .LBB117_79
; %bb.69:
	s_wait_loadcnt 0x0
	v_cmp_neq_f64_e32 vcc_lo, v[0:1], v[4:5]
	v_cmp_neq_f64_e64 s0, v[2:3], v[6:7]
	s_or_b32 s18, vcc_lo, s0
	s_cbranch_execnz .LBB117_71
.LBB117_70:
	s_wait_loadcnt 0x0
	v_cmp_eq_f64_e32 vcc_lo, v[0:1], v[4:5]
	v_cmp_eq_f64_e64 s0, v[2:3], v[6:7]
	s_and_not1_b32 s18, s18, exec_lo
	s_and_b32 s0, vcc_lo, s0
	s_delay_alu instid0(SALU_CYCLE_1) | instskip(NEXT) | instid1(SALU_CYCLE_1)
	s_and_b32 s0, s0, exec_lo
	s_or_b32 s18, s18, s0
.LBB117_71:
	s_wait_loadcnt 0x1
	v_cndmask_b32_e64 v0, 0, 1, s18
	v_add_nc_u32_e32 v8, 0x80, v8
	global_store_b8 v10, v0, s[4:5]
	s_wait_xcnt 0x0
	s_or_b32 exec_lo, exec_lo, s35
	s_delay_alu instid0(SALU_CYCLE_1)
	s_mov_b32 s35, exec_lo
	v_cmpx_gt_i32_e64 s33, v8
	s_cbranch_execz .LBB117_6
.LBB117_72:
	s_and_not1_b32 vcc_lo, exec_lo, s28
	s_cbranch_vccnz .LBB117_78
; %bb.73:
	s_and_not1_b32 vcc_lo, exec_lo, s34
	s_cbranch_vccnz .LBB117_80
; %bb.74:
	v_dual_mov_b32 v10, 0 :: v_dual_mov_b32 v0, v8
	v_dual_mov_b32 v12, 0 :: v_dual_mov_b32 v11, 0
	s_add_co_i32 s0, s31, 1
	s_mov_b64 s[18:19], 0xffffffffffffffe8
	s_and_b32 s0, s0, 30
	s_add_nc_u64 s[18:19], s[2:3], s[18:19]
.LBB117_75:                             ; =>This Inner Loop Header: Depth=1
	s_clause 0x1
	s_load_b128 s[36:39], s[18:19], 0x1c
	s_load_b64 s[44:45], s[18:19], 0x2c
	s_add_co_i32 s0, s0, -2
	s_delay_alu instid0(SALU_CYCLE_1) | instskip(SKIP_2) | instid1(VALU_DEP_1)
	s_cmp_eq_u32 s0, 0
	s_wait_kmcnt 0x0
	v_mul_hi_u32 v1, s37, v0
	v_add_nc_u32_e32 v1, v0, v1
	s_delay_alu instid0(VALU_DEP_1) | instskip(NEXT) | instid1(VALU_DEP_1)
	v_lshrrev_b32_e32 v1, s38, v1
	v_mul_hi_u32 v2, s44, v1
	v_mul_lo_u32 v3, v1, s36
	s_clause 0x1
	s_load_b128 s[40:43], s[18:19], 0xdc
	s_load_b64 s[36:37], s[18:19], 0xec
	s_wait_xcnt 0x0
	s_add_nc_u64 s[18:19], s[18:19], 24
	s_delay_alu instid0(VALU_DEP_1) | instskip(NEXT) | instid1(VALU_DEP_1)
	v_dual_add_nc_u32 v2, v1, v2 :: v_dual_sub_nc_u32 v3, v0, v3
	v_lshrrev_b32_e32 v0, s45, v2
	s_wait_loadcnt 0x0
	s_wait_kmcnt 0x0
	s_delay_alu instid0(VALU_DEP_2) | instskip(NEXT) | instid1(VALU_DEP_2)
	v_mad_u32 v4, v3, s40, v10
	v_mul_lo_u32 v2, v0, s39
	v_mad_u32 v5, v3, s42, v11
	v_mad_u32 v3, v3, s41, v12
	s_delay_alu instid0(VALU_DEP_3) | instskip(NEXT) | instid1(VALU_DEP_1)
	v_sub_nc_u32_e32 v1, v1, v2
	v_mad_u32 v10, v1, s43, v4
	s_delay_alu instid0(VALU_DEP_4) | instskip(NEXT) | instid1(VALU_DEP_4)
	v_mad_u32 v11, v1, s37, v5
	v_mad_u32 v12, v1, s36, v3
	s_cbranch_scc0 .LBB117_75
; %bb.76:
	s_bitcmp1_b32 s31, 0
	s_cselect_b32 s0, -1, 0
	s_delay_alu instid0(SALU_CYCLE_1)
	s_and_b32 vcc_lo, exec_lo, s0
	s_cbranch_vccnz .LBB117_81
; %bb.77:
	s_clause 0x1
	s_load_b96 s[36:38], s[18:19], 0x1c
	s_load_b96 s[40:42], s[18:19], 0xdc
	s_wait_kmcnt 0x0
	v_mul_hi_u32 v1, s37, v0
	s_delay_alu instid0(VALU_DEP_1) | instskip(NEXT) | instid1(VALU_DEP_1)
	v_add_nc_u32_e32 v1, v0, v1
	v_lshrrev_b32_e32 v1, s38, v1
	s_delay_alu instid0(VALU_DEP_1) | instskip(NEXT) | instid1(VALU_DEP_1)
	v_mul_lo_u32 v1, v1, s36
	v_sub_nc_u32_e32 v0, v0, v1
	s_delay_alu instid0(VALU_DEP_1)
	v_mad_u32 v10, v0, s40, v10
	v_mad_u32 v12, v0, s41, v12
	v_mad_u32 v11, v0, s42, v11
	s_branch .LBB117_81
.LBB117_78:
                                        ; implicit-def: $vgpr11
                                        ; implicit-def: $vgpr12
                                        ; implicit-def: $vgpr10
	s_branch .LBB117_82
.LBB117_79:
                                        ; implicit-def: $sgpr18
	s_branch .LBB117_70
.LBB117_80:
	v_dual_mov_b32 v11, 0 :: v_dual_mov_b32 v12, 0
	v_mov_b32_e32 v10, 0
.LBB117_81:
	s_cbranch_execnz .LBB117_84
.LBB117_82:
	v_mov_b32_e32 v9, 0
	s_and_not1_b32 vcc_lo, exec_lo, s30
	s_delay_alu instid0(VALU_DEP_1) | instskip(NEXT) | instid1(VALU_DEP_1)
	v_mul_u64_e32 v[0:1], s[20:21], v[8:9]
	v_add_nc_u32_e32 v0, v8, v1
	s_delay_alu instid0(VALU_DEP_1) | instskip(NEXT) | instid1(VALU_DEP_1)
	v_lshrrev_b32_e32 v0, s10, v0
	v_mul_lo_u32 v1, v0, s8
	s_delay_alu instid0(VALU_DEP_1) | instskip(NEXT) | instid1(VALU_DEP_1)
	v_sub_nc_u32_e32 v1, v8, v1
	v_mul_lo_u32 v10, v1, s12
	v_mul_lo_u32 v11, v1, s14
	;; [unrolled: 1-line block ×3, first 2 shown]
	s_cbranch_vccnz .LBB117_84
; %bb.83:
	v_mov_b32_e32 v1, v9
	s_delay_alu instid0(VALU_DEP_1) | instskip(NEXT) | instid1(VALU_DEP_1)
	v_mul_u64_e32 v[2:3], s[24:25], v[0:1]
	v_add_nc_u32_e32 v1, v0, v3
	s_delay_alu instid0(VALU_DEP_1) | instskip(NEXT) | instid1(VALU_DEP_1)
	v_lshrrev_b32_e32 v1, s1, v1
	v_mul_lo_u32 v1, v1, s11
	s_delay_alu instid0(VALU_DEP_1) | instskip(NEXT) | instid1(VALU_DEP_1)
	v_sub_nc_u32_e32 v0, v0, v1
	v_mad_u32 v10, v0, s15, v10
	v_mad_u32 v12, v0, s22, v12
	v_mad_u32 v11, v0, s23, v11
.LBB117_84:
	global_load_b128 v[0:3], v12, s[6:7]
	s_wait_loadcnt 0x1
	global_load_b128 v[4:7], v11, s[16:17]
	s_and_not1_b32 vcc_lo, exec_lo, s9
	s_cbranch_vccnz .LBB117_95
; %bb.85:
	s_wait_loadcnt 0x0
	v_cmp_neq_f64_e32 vcc_lo, v[0:1], v[4:5]
	v_cmp_neq_f64_e64 s0, v[2:3], v[6:7]
	s_or_b32 s18, vcc_lo, s0
	s_cbranch_execnz .LBB117_87
.LBB117_86:
	s_wait_loadcnt 0x0
	v_cmp_eq_f64_e32 vcc_lo, v[0:1], v[4:5]
	v_cmp_eq_f64_e64 s0, v[2:3], v[6:7]
	s_and_not1_b32 s18, s18, exec_lo
	s_and_b32 s0, vcc_lo, s0
	s_delay_alu instid0(SALU_CYCLE_1) | instskip(NEXT) | instid1(SALU_CYCLE_1)
	s_and_b32 s0, s0, exec_lo
	s_or_b32 s18, s18, s0
.LBB117_87:
	s_wait_loadcnt 0x1
	v_cndmask_b32_e64 v0, 0, 1, s18
	v_add_nc_u32_e32 v8, 0x80, v8
	global_store_b8 v10, v0, s[4:5]
	s_wait_xcnt 0x0
	s_or_b32 exec_lo, exec_lo, s35
	s_delay_alu instid0(SALU_CYCLE_1)
	s_mov_b32 s35, exec_lo
	v_cmpx_gt_i32_e64 s33, v8
	s_cbranch_execz .LBB117_7
.LBB117_88:
	s_and_not1_b32 vcc_lo, exec_lo, s28
	s_cbranch_vccnz .LBB117_94
; %bb.89:
	s_and_not1_b32 vcc_lo, exec_lo, s34
	s_cbranch_vccnz .LBB117_96
; %bb.90:
	v_dual_mov_b32 v10, 0 :: v_dual_mov_b32 v0, v8
	v_dual_mov_b32 v12, 0 :: v_dual_mov_b32 v11, 0
	s_add_co_i32 s0, s31, 1
	s_mov_b64 s[18:19], 0xffffffffffffffe8
	s_and_b32 s0, s0, 30
	s_add_nc_u64 s[18:19], s[2:3], s[18:19]
.LBB117_91:                             ; =>This Inner Loop Header: Depth=1
	s_clause 0x1
	s_load_b128 s[36:39], s[18:19], 0x1c
	s_load_b64 s[44:45], s[18:19], 0x2c
	s_add_co_i32 s0, s0, -2
	s_delay_alu instid0(SALU_CYCLE_1) | instskip(SKIP_2) | instid1(VALU_DEP_1)
	s_cmp_eq_u32 s0, 0
	s_wait_kmcnt 0x0
	v_mul_hi_u32 v1, s37, v0
	v_add_nc_u32_e32 v1, v0, v1
	s_delay_alu instid0(VALU_DEP_1) | instskip(NEXT) | instid1(VALU_DEP_1)
	v_lshrrev_b32_e32 v1, s38, v1
	v_mul_hi_u32 v2, s44, v1
	v_mul_lo_u32 v3, v1, s36
	s_clause 0x1
	s_load_b128 s[40:43], s[18:19], 0xdc
	s_load_b64 s[36:37], s[18:19], 0xec
	s_wait_xcnt 0x0
	s_add_nc_u64 s[18:19], s[18:19], 24
	s_delay_alu instid0(VALU_DEP_1) | instskip(NEXT) | instid1(VALU_DEP_1)
	v_dual_add_nc_u32 v2, v1, v2 :: v_dual_sub_nc_u32 v3, v0, v3
	v_lshrrev_b32_e32 v0, s45, v2
	s_wait_loadcnt 0x0
	s_wait_kmcnt 0x0
	s_delay_alu instid0(VALU_DEP_2) | instskip(NEXT) | instid1(VALU_DEP_2)
	v_mad_u32 v4, v3, s40, v10
	v_mul_lo_u32 v2, v0, s39
	v_mad_u32 v5, v3, s42, v11
	v_mad_u32 v3, v3, s41, v12
	s_delay_alu instid0(VALU_DEP_3) | instskip(NEXT) | instid1(VALU_DEP_1)
	v_sub_nc_u32_e32 v1, v1, v2
	v_mad_u32 v10, v1, s43, v4
	s_delay_alu instid0(VALU_DEP_4) | instskip(NEXT) | instid1(VALU_DEP_4)
	v_mad_u32 v11, v1, s37, v5
	v_mad_u32 v12, v1, s36, v3
	s_cbranch_scc0 .LBB117_91
; %bb.92:
	s_bitcmp1_b32 s31, 0
	s_cselect_b32 s0, -1, 0
	s_delay_alu instid0(SALU_CYCLE_1)
	s_and_b32 vcc_lo, exec_lo, s0
	s_cbranch_vccnz .LBB117_97
; %bb.93:
	s_clause 0x1
	s_load_b96 s[36:38], s[18:19], 0x1c
	s_load_b96 s[40:42], s[18:19], 0xdc
	s_wait_kmcnt 0x0
	v_mul_hi_u32 v1, s37, v0
	s_delay_alu instid0(VALU_DEP_1) | instskip(NEXT) | instid1(VALU_DEP_1)
	v_add_nc_u32_e32 v1, v0, v1
	v_lshrrev_b32_e32 v1, s38, v1
	s_delay_alu instid0(VALU_DEP_1) | instskip(NEXT) | instid1(VALU_DEP_1)
	v_mul_lo_u32 v1, v1, s36
	v_sub_nc_u32_e32 v0, v0, v1
	s_delay_alu instid0(VALU_DEP_1)
	v_mad_u32 v10, v0, s40, v10
	v_mad_u32 v12, v0, s41, v12
	;; [unrolled: 1-line block ×3, first 2 shown]
	s_branch .LBB117_97
.LBB117_94:
                                        ; implicit-def: $vgpr11
                                        ; implicit-def: $vgpr12
                                        ; implicit-def: $vgpr10
	s_branch .LBB117_98
.LBB117_95:
                                        ; implicit-def: $sgpr18
	s_branch .LBB117_86
.LBB117_96:
	v_dual_mov_b32 v11, 0 :: v_dual_mov_b32 v12, 0
	v_mov_b32_e32 v10, 0
.LBB117_97:
	s_cbranch_execnz .LBB117_100
.LBB117_98:
	v_mov_b32_e32 v9, 0
	s_and_not1_b32 vcc_lo, exec_lo, s30
	s_delay_alu instid0(VALU_DEP_1) | instskip(NEXT) | instid1(VALU_DEP_1)
	v_mul_u64_e32 v[0:1], s[20:21], v[8:9]
	v_add_nc_u32_e32 v0, v8, v1
	s_delay_alu instid0(VALU_DEP_1) | instskip(NEXT) | instid1(VALU_DEP_1)
	v_lshrrev_b32_e32 v0, s10, v0
	v_mul_lo_u32 v1, v0, s8
	s_delay_alu instid0(VALU_DEP_1) | instskip(NEXT) | instid1(VALU_DEP_1)
	v_sub_nc_u32_e32 v1, v8, v1
	v_mul_lo_u32 v10, v1, s12
	v_mul_lo_u32 v11, v1, s14
	;; [unrolled: 1-line block ×3, first 2 shown]
	s_cbranch_vccnz .LBB117_100
; %bb.99:
	v_mov_b32_e32 v1, v9
	s_delay_alu instid0(VALU_DEP_1) | instskip(NEXT) | instid1(VALU_DEP_1)
	v_mul_u64_e32 v[2:3], s[24:25], v[0:1]
	v_add_nc_u32_e32 v1, v0, v3
	s_delay_alu instid0(VALU_DEP_1) | instskip(NEXT) | instid1(VALU_DEP_1)
	v_lshrrev_b32_e32 v1, s1, v1
	v_mul_lo_u32 v1, v1, s11
	s_delay_alu instid0(VALU_DEP_1) | instskip(NEXT) | instid1(VALU_DEP_1)
	v_sub_nc_u32_e32 v0, v0, v1
	v_mad_u32 v10, v0, s15, v10
	v_mad_u32 v12, v0, s22, v12
	;; [unrolled: 1-line block ×3, first 2 shown]
.LBB117_100:
	global_load_b128 v[0:3], v12, s[6:7]
	s_wait_loadcnt 0x1
	global_load_b128 v[4:7], v11, s[16:17]
	s_and_not1_b32 vcc_lo, exec_lo, s9
	s_cbranch_vccnz .LBB117_111
; %bb.101:
	s_wait_loadcnt 0x0
	v_cmp_neq_f64_e32 vcc_lo, v[0:1], v[4:5]
	v_cmp_neq_f64_e64 s0, v[2:3], v[6:7]
	s_or_b32 s18, vcc_lo, s0
	s_cbranch_execnz .LBB117_103
.LBB117_102:
	s_wait_loadcnt 0x0
	v_cmp_eq_f64_e32 vcc_lo, v[0:1], v[4:5]
	v_cmp_eq_f64_e64 s0, v[2:3], v[6:7]
	s_and_not1_b32 s18, s18, exec_lo
	s_and_b32 s0, vcc_lo, s0
	s_delay_alu instid0(SALU_CYCLE_1) | instskip(NEXT) | instid1(SALU_CYCLE_1)
	s_and_b32 s0, s0, exec_lo
	s_or_b32 s18, s18, s0
.LBB117_103:
	s_wait_loadcnt 0x1
	v_cndmask_b32_e64 v0, 0, 1, s18
	v_add_nc_u32_e32 v8, 0x80, v8
	global_store_b8 v10, v0, s[4:5]
	s_wait_xcnt 0x0
	s_or_b32 exec_lo, exec_lo, s35
	s_delay_alu instid0(SALU_CYCLE_1)
	s_mov_b32 s35, exec_lo
	v_cmpx_gt_i32_e64 s33, v8
	s_cbranch_execz .LBB117_8
.LBB117_104:
	s_and_not1_b32 vcc_lo, exec_lo, s28
	s_cbranch_vccnz .LBB117_110
; %bb.105:
	s_and_not1_b32 vcc_lo, exec_lo, s34
	s_cbranch_vccnz .LBB117_112
; %bb.106:
	v_dual_mov_b32 v10, 0 :: v_dual_mov_b32 v0, v8
	v_dual_mov_b32 v12, 0 :: v_dual_mov_b32 v11, 0
	s_add_co_i32 s0, s31, 1
	s_mov_b64 s[18:19], 0xffffffffffffffe8
	s_and_b32 s0, s0, 30
	s_add_nc_u64 s[18:19], s[2:3], s[18:19]
.LBB117_107:                            ; =>This Inner Loop Header: Depth=1
	s_clause 0x1
	s_load_b128 s[36:39], s[18:19], 0x1c
	s_load_b64 s[44:45], s[18:19], 0x2c
	s_add_co_i32 s0, s0, -2
	s_delay_alu instid0(SALU_CYCLE_1) | instskip(SKIP_2) | instid1(VALU_DEP_1)
	s_cmp_eq_u32 s0, 0
	s_wait_kmcnt 0x0
	v_mul_hi_u32 v1, s37, v0
	v_add_nc_u32_e32 v1, v0, v1
	s_delay_alu instid0(VALU_DEP_1) | instskip(NEXT) | instid1(VALU_DEP_1)
	v_lshrrev_b32_e32 v1, s38, v1
	v_mul_hi_u32 v2, s44, v1
	v_mul_lo_u32 v3, v1, s36
	s_clause 0x1
	s_load_b128 s[40:43], s[18:19], 0xdc
	s_load_b64 s[36:37], s[18:19], 0xec
	s_wait_xcnt 0x0
	s_add_nc_u64 s[18:19], s[18:19], 24
	s_delay_alu instid0(VALU_DEP_1) | instskip(NEXT) | instid1(VALU_DEP_1)
	v_dual_add_nc_u32 v2, v1, v2 :: v_dual_sub_nc_u32 v3, v0, v3
	v_lshrrev_b32_e32 v0, s45, v2
	s_wait_loadcnt 0x0
	s_wait_kmcnt 0x0
	s_delay_alu instid0(VALU_DEP_2) | instskip(NEXT) | instid1(VALU_DEP_2)
	v_mad_u32 v4, v3, s40, v10
	v_mul_lo_u32 v2, v0, s39
	v_mad_u32 v5, v3, s42, v11
	v_mad_u32 v3, v3, s41, v12
	s_delay_alu instid0(VALU_DEP_3) | instskip(NEXT) | instid1(VALU_DEP_1)
	v_sub_nc_u32_e32 v1, v1, v2
	v_mad_u32 v10, v1, s43, v4
	s_delay_alu instid0(VALU_DEP_4) | instskip(NEXT) | instid1(VALU_DEP_4)
	v_mad_u32 v11, v1, s37, v5
	v_mad_u32 v12, v1, s36, v3
	s_cbranch_scc0 .LBB117_107
; %bb.108:
	s_bitcmp1_b32 s31, 0
	s_cselect_b32 s0, -1, 0
	s_delay_alu instid0(SALU_CYCLE_1)
	s_and_b32 vcc_lo, exec_lo, s0
	s_cbranch_vccnz .LBB117_113
; %bb.109:
	s_clause 0x1
	s_load_b96 s[36:38], s[18:19], 0x1c
	s_load_b96 s[40:42], s[18:19], 0xdc
	s_wait_kmcnt 0x0
	v_mul_hi_u32 v1, s37, v0
	s_delay_alu instid0(VALU_DEP_1) | instskip(NEXT) | instid1(VALU_DEP_1)
	v_add_nc_u32_e32 v1, v0, v1
	v_lshrrev_b32_e32 v1, s38, v1
	s_delay_alu instid0(VALU_DEP_1) | instskip(NEXT) | instid1(VALU_DEP_1)
	v_mul_lo_u32 v1, v1, s36
	v_sub_nc_u32_e32 v0, v0, v1
	s_delay_alu instid0(VALU_DEP_1)
	v_mad_u32 v10, v0, s40, v10
	v_mad_u32 v12, v0, s41, v12
	;; [unrolled: 1-line block ×3, first 2 shown]
	s_branch .LBB117_113
.LBB117_110:
                                        ; implicit-def: $vgpr11
                                        ; implicit-def: $vgpr12
                                        ; implicit-def: $vgpr10
	s_branch .LBB117_114
.LBB117_111:
                                        ; implicit-def: $sgpr18
	s_branch .LBB117_102
.LBB117_112:
	v_dual_mov_b32 v11, 0 :: v_dual_mov_b32 v12, 0
	v_mov_b32_e32 v10, 0
.LBB117_113:
	s_cbranch_execnz .LBB117_116
.LBB117_114:
	v_mov_b32_e32 v9, 0
	s_and_not1_b32 vcc_lo, exec_lo, s30
	s_delay_alu instid0(VALU_DEP_1) | instskip(NEXT) | instid1(VALU_DEP_1)
	v_mul_u64_e32 v[0:1], s[20:21], v[8:9]
	v_add_nc_u32_e32 v0, v8, v1
	s_delay_alu instid0(VALU_DEP_1) | instskip(NEXT) | instid1(VALU_DEP_1)
	v_lshrrev_b32_e32 v0, s10, v0
	v_mul_lo_u32 v1, v0, s8
	s_delay_alu instid0(VALU_DEP_1) | instskip(NEXT) | instid1(VALU_DEP_1)
	v_sub_nc_u32_e32 v1, v8, v1
	v_mul_lo_u32 v10, v1, s12
	v_mul_lo_u32 v11, v1, s14
	;; [unrolled: 1-line block ×3, first 2 shown]
	s_cbranch_vccnz .LBB117_116
; %bb.115:
	v_mov_b32_e32 v1, v9
	s_delay_alu instid0(VALU_DEP_1) | instskip(NEXT) | instid1(VALU_DEP_1)
	v_mul_u64_e32 v[2:3], s[24:25], v[0:1]
	v_add_nc_u32_e32 v1, v0, v3
	s_delay_alu instid0(VALU_DEP_1) | instskip(NEXT) | instid1(VALU_DEP_1)
	v_lshrrev_b32_e32 v1, s1, v1
	v_mul_lo_u32 v1, v1, s11
	s_delay_alu instid0(VALU_DEP_1) | instskip(NEXT) | instid1(VALU_DEP_1)
	v_sub_nc_u32_e32 v0, v0, v1
	v_mad_u32 v10, v0, s15, v10
	v_mad_u32 v12, v0, s22, v12
	;; [unrolled: 1-line block ×3, first 2 shown]
.LBB117_116:
	global_load_b128 v[0:3], v12, s[6:7]
	s_wait_loadcnt 0x1
	global_load_b128 v[4:7], v11, s[16:17]
	s_and_not1_b32 vcc_lo, exec_lo, s9
	s_cbranch_vccnz .LBB117_127
; %bb.117:
	s_wait_loadcnt 0x0
	v_cmp_neq_f64_e32 vcc_lo, v[0:1], v[4:5]
	v_cmp_neq_f64_e64 s0, v[2:3], v[6:7]
	s_or_b32 s18, vcc_lo, s0
	s_cbranch_execnz .LBB117_119
.LBB117_118:
	s_wait_loadcnt 0x0
	v_cmp_eq_f64_e32 vcc_lo, v[0:1], v[4:5]
	v_cmp_eq_f64_e64 s0, v[2:3], v[6:7]
	s_and_not1_b32 s18, s18, exec_lo
	s_and_b32 s0, vcc_lo, s0
	s_delay_alu instid0(SALU_CYCLE_1) | instskip(NEXT) | instid1(SALU_CYCLE_1)
	s_and_b32 s0, s0, exec_lo
	s_or_b32 s18, s18, s0
.LBB117_119:
	s_wait_loadcnt 0x1
	v_cndmask_b32_e64 v0, 0, 1, s18
	v_add_nc_u32_e32 v8, 0x80, v8
	global_store_b8 v10, v0, s[4:5]
	s_wait_xcnt 0x0
	s_or_b32 exec_lo, exec_lo, s35
	v_cmp_gt_i32_e32 vcc_lo, s33, v8
	s_and_saveexec_b32 s33, vcc_lo
	s_cbranch_execz .LBB117_136
.LBB117_120:
	s_and_not1_b32 vcc_lo, exec_lo, s28
	s_cbranch_vccnz .LBB117_126
; %bb.121:
	s_and_not1_b32 vcc_lo, exec_lo, s34
	s_cbranch_vccnz .LBB117_128
; %bb.122:
	v_dual_mov_b32 v10, 0 :: v_dual_mov_b32 v0, v8
	v_dual_mov_b32 v12, 0 :: v_dual_mov_b32 v11, 0
	s_add_co_i32 s0, s31, 1
	s_mov_b64 s[18:19], 0xffffffffffffffe8
	s_and_b32 s0, s0, 30
	s_add_nc_u64 s[18:19], s[2:3], s[18:19]
.LBB117_123:                            ; =>This Inner Loop Header: Depth=1
	s_clause 0x1
	s_load_b128 s[36:39], s[18:19], 0x1c
	s_load_b64 s[34:35], s[18:19], 0x2c
	s_add_co_i32 s0, s0, -2
	s_delay_alu instid0(SALU_CYCLE_1) | instskip(SKIP_2) | instid1(VALU_DEP_1)
	s_cmp_eq_u32 s0, 0
	s_wait_kmcnt 0x0
	v_mul_hi_u32 v1, s37, v0
	v_add_nc_u32_e32 v1, v0, v1
	s_delay_alu instid0(VALU_DEP_1) | instskip(NEXT) | instid1(VALU_DEP_1)
	v_lshrrev_b32_e32 v1, s38, v1
	v_mul_hi_u32 v2, s34, v1
	v_mul_lo_u32 v3, v1, s36
	s_clause 0x1
	s_load_b128 s[40:43], s[18:19], 0xdc
	s_load_b64 s[36:37], s[18:19], 0xec
	s_wait_xcnt 0x0
	s_add_nc_u64 s[18:19], s[18:19], 24
	s_delay_alu instid0(VALU_DEP_1) | instskip(NEXT) | instid1(VALU_DEP_1)
	v_dual_add_nc_u32 v2, v1, v2 :: v_dual_sub_nc_u32 v3, v0, v3
	v_lshrrev_b32_e32 v0, s35, v2
	s_wait_loadcnt 0x0
	s_wait_kmcnt 0x0
	s_delay_alu instid0(VALU_DEP_2) | instskip(NEXT) | instid1(VALU_DEP_2)
	v_mad_u32 v4, v3, s40, v10
	v_mul_lo_u32 v2, v0, s39
	v_mad_u32 v5, v3, s42, v11
	v_mad_u32 v3, v3, s41, v12
	s_delay_alu instid0(VALU_DEP_3) | instskip(NEXT) | instid1(VALU_DEP_1)
	v_sub_nc_u32_e32 v1, v1, v2
	v_mad_u32 v10, v1, s43, v4
	s_delay_alu instid0(VALU_DEP_4) | instskip(NEXT) | instid1(VALU_DEP_4)
	v_mad_u32 v11, v1, s37, v5
	v_mad_u32 v12, v1, s36, v3
	s_cbranch_scc0 .LBB117_123
; %bb.124:
	s_bitcmp1_b32 s31, 0
	s_cselect_b32 s0, -1, 0
	s_delay_alu instid0(SALU_CYCLE_1)
	s_and_b32 vcc_lo, exec_lo, s0
	s_cbranch_vccnz .LBB117_129
; %bb.125:
	s_clause 0x1
	s_load_b96 s[36:38], s[18:19], 0x1c
	s_load_b96 s[40:42], s[18:19], 0xdc
	s_wait_kmcnt 0x0
	v_mul_hi_u32 v1, s37, v0
	s_delay_alu instid0(VALU_DEP_1) | instskip(NEXT) | instid1(VALU_DEP_1)
	v_add_nc_u32_e32 v1, v0, v1
	v_lshrrev_b32_e32 v1, s38, v1
	s_delay_alu instid0(VALU_DEP_1) | instskip(NEXT) | instid1(VALU_DEP_1)
	v_mul_lo_u32 v1, v1, s36
	v_sub_nc_u32_e32 v0, v0, v1
	s_delay_alu instid0(VALU_DEP_1)
	v_mad_u32 v10, v0, s40, v10
	v_mad_u32 v12, v0, s41, v12
	;; [unrolled: 1-line block ×3, first 2 shown]
	s_branch .LBB117_129
.LBB117_126:
                                        ; implicit-def: $vgpr11
                                        ; implicit-def: $vgpr12
                                        ; implicit-def: $vgpr10
	s_branch .LBB117_130
.LBB117_127:
                                        ; implicit-def: $sgpr18
	s_branch .LBB117_118
.LBB117_128:
	v_dual_mov_b32 v11, 0 :: v_dual_mov_b32 v12, 0
	v_mov_b32_e32 v10, 0
.LBB117_129:
	s_cbranch_execnz .LBB117_132
.LBB117_130:
	v_mov_b32_e32 v9, 0
	s_and_not1_b32 vcc_lo, exec_lo, s30
	s_delay_alu instid0(VALU_DEP_1) | instskip(NEXT) | instid1(VALU_DEP_1)
	v_mul_u64_e32 v[0:1], s[20:21], v[8:9]
	v_add_nc_u32_e32 v0, v8, v1
	s_delay_alu instid0(VALU_DEP_1) | instskip(NEXT) | instid1(VALU_DEP_1)
	v_lshrrev_b32_e32 v0, s10, v0
	v_mul_lo_u32 v1, v0, s8
	s_delay_alu instid0(VALU_DEP_1) | instskip(NEXT) | instid1(VALU_DEP_1)
	v_sub_nc_u32_e32 v1, v8, v1
	v_mul_lo_u32 v10, v1, s12
	v_mul_lo_u32 v11, v1, s14
	;; [unrolled: 1-line block ×3, first 2 shown]
	s_cbranch_vccnz .LBB117_132
; %bb.131:
	v_mov_b32_e32 v1, v9
	s_delay_alu instid0(VALU_DEP_1) | instskip(NEXT) | instid1(VALU_DEP_1)
	v_mul_u64_e32 v[2:3], s[24:25], v[0:1]
	v_add_nc_u32_e32 v1, v0, v3
	s_delay_alu instid0(VALU_DEP_1) | instskip(NEXT) | instid1(VALU_DEP_1)
	v_lshrrev_b32_e32 v1, s1, v1
	v_mul_lo_u32 v1, v1, s11
	s_delay_alu instid0(VALU_DEP_1) | instskip(NEXT) | instid1(VALU_DEP_1)
	v_sub_nc_u32_e32 v0, v0, v1
	v_mad_u32 v10, v0, s15, v10
	v_mad_u32 v12, v0, s22, v12
	;; [unrolled: 1-line block ×3, first 2 shown]
.LBB117_132:
	global_load_b128 v[0:3], v12, s[6:7]
	s_wait_loadcnt 0x1
	global_load_b128 v[4:7], v11, s[16:17]
	s_and_not1_b32 vcc_lo, exec_lo, s9
	s_cbranch_vccnz .LBB117_149
; %bb.133:
	s_wait_loadcnt 0x0
	v_cmp_neq_f64_e32 vcc_lo, v[0:1], v[4:5]
	v_cmp_neq_f64_e64 s0, v[2:3], v[6:7]
	s_or_b32 s1, vcc_lo, s0
	s_cbranch_execnz .LBB117_135
.LBB117_134:
	s_wait_loadcnt 0x0
	v_cmp_eq_f64_e32 vcc_lo, v[0:1], v[4:5]
	v_cmp_eq_f64_e64 s0, v[2:3], v[6:7]
	s_and_not1_b32 s1, s1, exec_lo
	s_and_b32 s0, vcc_lo, s0
	s_delay_alu instid0(SALU_CYCLE_1) | instskip(NEXT) | instid1(SALU_CYCLE_1)
	s_and_b32 s0, s0, exec_lo
	s_or_b32 s1, s1, s0
.LBB117_135:
	s_wait_loadcnt 0x1
	v_cndmask_b32_e64 v0, 0, 1, s1
	global_store_b8 v10, v0, s[4:5]
.LBB117_136:
	s_wait_xcnt 0x0
	s_or_b32 exec_lo, exec_lo, s33
                                        ; implicit-def: $vgpr0
                                        ; implicit-def: $vgpr8
.LBB117_137:
	s_and_not1_saveexec_b32 s0, s29
	s_cbranch_execz .LBB117_144
; %bb.138:
	v_cndmask_b32_e64 v1, 0, 1, s28
	s_and_not1_b32 vcc_lo, exec_lo, s28
	s_cbranch_vccnz .LBB117_145
; %bb.139:
	s_cmp_lg_u32 s26, 0
	s_mov_b32 s4, 0
	s_cbranch_scc0 .LBB117_150
; %bb.140:
	s_min_u32 s5, s27, 15
	v_dual_mov_b32 v9, 0 :: v_dual_mov_b32 v2, v8
	v_dual_mov_b32 v12, 0 :: v_dual_mov_b32 v11, 0
	s_add_co_i32 s6, s5, 1
	s_mov_b64 s[0:1], 0xffffffffffffffe8
	s_and_b32 s6, s6, 30
	s_add_nc_u64 s[0:1], s[2:3], s[0:1]
.LBB117_141:                            ; =>This Inner Loop Header: Depth=1
	s_clause 0x1
	s_load_b128 s[8:11], s[0:1], 0x1c
	s_load_b64 s[16:17], s[0:1], 0x2c
	s_add_co_i32 s6, s6, -2
	s_delay_alu instid0(SALU_CYCLE_1) | instskip(SKIP_2) | instid1(VALU_DEP_1)
	s_cmp_lg_u32 s6, 0
	s_wait_kmcnt 0x0
	v_mul_hi_u32 v3, s9, v2
	v_add_nc_u32_e32 v3, v2, v3
	s_delay_alu instid0(VALU_DEP_1) | instskip(SKIP_1) | instid1(VALU_DEP_1)
	v_lshrrev_b32_e32 v3, s10, v3
	s_wait_loadcnt 0x0
	v_mul_hi_u32 v4, s16, v3
	v_mul_lo_u32 v5, v3, s8
	s_clause 0x1
	s_load_b128 s[12:15], s[0:1], 0xdc
	s_load_b64 s[8:9], s[0:1], 0xec
	s_wait_xcnt 0x0
	s_add_nc_u64 s[0:1], s[0:1], 24
	s_delay_alu instid0(VALU_DEP_1) | instskip(NEXT) | instid1(VALU_DEP_1)
	v_dual_add_nc_u32 v4, v3, v4 :: v_dual_sub_nc_u32 v5, v2, v5
	v_lshrrev_b32_e32 v2, s17, v4
	s_wait_kmcnt 0x0
	s_delay_alu instid0(VALU_DEP_2) | instskip(NEXT) | instid1(VALU_DEP_2)
	v_mad_u32 v6, v5, s12, v9
	v_mul_lo_u32 v4, v2, s11
	v_mad_u32 v7, v5, s14, v11
	v_mad_u32 v5, v5, s13, v12
	s_delay_alu instid0(VALU_DEP_3) | instskip(NEXT) | instid1(VALU_DEP_1)
	v_sub_nc_u32_e32 v3, v3, v4
	v_mad_u32 v9, v3, s15, v6
	s_delay_alu instid0(VALU_DEP_4) | instskip(NEXT) | instid1(VALU_DEP_4)
	v_mad_u32 v11, v3, s9, v7
	v_mad_u32 v12, v3, s8, v5
	s_cbranch_scc1 .LBB117_141
; %bb.142:
	s_bitcmp1_b32 s5, 0
	s_cselect_b32 s5, -1, 0
	s_delay_alu instid0(SALU_CYCLE_1)
	s_and_b32 vcc_lo, exec_lo, s5
	s_cbranch_vccnz .LBB117_146
; %bb.143:
	s_clause 0x1
	s_load_b96 s[8:10], s[0:1], 0x1c
	s_load_b96 s[12:14], s[0:1], 0xdc
	s_wait_kmcnt 0x0
	v_mul_hi_u32 v3, s9, v2
	s_delay_alu instid0(VALU_DEP_1) | instskip(NEXT) | instid1(VALU_DEP_1)
	v_add_nc_u32_e32 v3, v2, v3
	v_lshrrev_b32_e32 v3, s10, v3
	s_delay_alu instid0(VALU_DEP_1) | instskip(NEXT) | instid1(VALU_DEP_1)
	v_mul_lo_u32 v3, v3, s8
	v_sub_nc_u32_e32 v2, v2, v3
	s_delay_alu instid0(VALU_DEP_1)
	v_mad_u32 v9, v2, s12, v9
	v_mad_u32 v12, v2, s13, v12
	;; [unrolled: 1-line block ×3, first 2 shown]
	s_and_not1_b32 vcc_lo, exec_lo, s4
	s_cbranch_vccz .LBB117_147
	s_branch .LBB117_151
.LBB117_144:
	s_endpgm
.LBB117_145:
	s_mov_b32 s4, -1
                                        ; implicit-def: $vgpr11
                                        ; implicit-def: $vgpr12
                                        ; implicit-def: $vgpr9
.LBB117_146:
	s_delay_alu instid0(SALU_CYCLE_1)
	s_and_not1_b32 vcc_lo, exec_lo, s4
	s_cbranch_vccnz .LBB117_151
.LBB117_147:
	s_clause 0x1
	s_load_b96 s[4:6], s[2:3], 0x4
	s_load_b96 s[8:10], s[2:3], 0xc4
	s_cmp_lt_u32 s26, 2
	s_wait_kmcnt 0x0
	v_mul_hi_u32 v2, s5, v8
	s_delay_alu instid0(VALU_DEP_1) | instskip(NEXT) | instid1(VALU_DEP_1)
	v_add_nc_u32_e32 v2, v8, v2
	v_lshrrev_b32_e32 v2, s6, v2
	s_delay_alu instid0(VALU_DEP_1) | instskip(NEXT) | instid1(VALU_DEP_1)
	v_mul_lo_u32 v3, v2, s4
	v_sub_nc_u32_e32 v3, v8, v3
	s_delay_alu instid0(VALU_DEP_1)
	v_mul_lo_u32 v9, v3, s8
	v_mul_lo_u32 v11, v3, s10
	;; [unrolled: 1-line block ×3, first 2 shown]
	s_cbranch_scc1 .LBB117_151
; %bb.148:
	s_clause 0x1
	s_load_b96 s[4:6], s[2:3], 0x10
	s_load_b96 s[8:10], s[2:3], 0xd0
	s_wait_kmcnt 0x0
	v_mul_hi_u32 v3, s5, v2
	s_delay_alu instid0(VALU_DEP_1) | instskip(NEXT) | instid1(VALU_DEP_1)
	v_add_nc_u32_e32 v3, v2, v3
	v_lshrrev_b32_e32 v3, s6, v3
	s_delay_alu instid0(VALU_DEP_1) | instskip(NEXT) | instid1(VALU_DEP_1)
	v_mul_lo_u32 v3, v3, s4
	v_sub_nc_u32_e32 v2, v2, v3
	s_delay_alu instid0(VALU_DEP_1)
	v_mad_u32 v9, v2, s8, v9
	v_mad_u32 v12, v2, s9, v12
	;; [unrolled: 1-line block ×3, first 2 shown]
	s_branch .LBB117_151
.LBB117_149:
                                        ; implicit-def: $sgpr1
	s_branch .LBB117_134
.LBB117_150:
	v_dual_mov_b32 v11, 0 :: v_dual_mov_b32 v12, 0
	v_mov_b32_e32 v9, 0
	s_and_not1_b32 vcc_lo, exec_lo, s4
	s_cbranch_vccz .LBB117_147
.LBB117_151:
	v_cmp_ne_u32_e32 vcc_lo, 1, v1
	v_add_nc_u32_e32 v2, 0x80, v8
	s_cbranch_vccnz .LBB117_157
; %bb.152:
	s_cmp_lg_u32 s26, 0
	s_mov_b32 s4, 0
	s_cbranch_scc0 .LBB117_161
; %bb.153:
	s_min_u32 s5, s27, 15
	v_dual_mov_b32 v10, 0 :: v_dual_mov_b32 v3, v2
	v_dual_mov_b32 v15, 0 :: v_dual_mov_b32 v14, 0
	s_add_co_i32 s6, s5, 1
	s_mov_b64 s[0:1], 0xffffffffffffffe8
	s_and_b32 s6, s6, 30
	s_add_nc_u64 s[0:1], s[2:3], s[0:1]
.LBB117_154:                            ; =>This Inner Loop Header: Depth=1
	s_clause 0x1
	s_load_b128 s[8:11], s[0:1], 0x1c
	s_load_b64 s[16:17], s[0:1], 0x2c
	s_add_co_i32 s6, s6, -2
	s_delay_alu instid0(SALU_CYCLE_1) | instskip(SKIP_3) | instid1(VALU_DEP_1)
	s_cmp_lg_u32 s6, 0
	s_wait_loadcnt 0x0
	s_wait_kmcnt 0x0
	v_mul_hi_u32 v4, s9, v3
	v_add_nc_u32_e32 v4, v3, v4
	s_delay_alu instid0(VALU_DEP_1) | instskip(NEXT) | instid1(VALU_DEP_1)
	v_lshrrev_b32_e32 v4, s10, v4
	v_mul_hi_u32 v5, s16, v4
	v_mul_lo_u32 v6, v4, s8
	s_clause 0x1
	s_load_b128 s[12:15], s[0:1], 0xdc
	s_load_b64 s[8:9], s[0:1], 0xec
	s_wait_xcnt 0x0
	s_add_nc_u64 s[0:1], s[0:1], 24
	s_delay_alu instid0(VALU_DEP_1) | instskip(NEXT) | instid1(VALU_DEP_1)
	v_dual_add_nc_u32 v5, v4, v5 :: v_dual_sub_nc_u32 v6, v3, v6
	v_lshrrev_b32_e32 v3, s17, v5
	s_wait_kmcnt 0x0
	s_delay_alu instid0(VALU_DEP_2) | instskip(NEXT) | instid1(VALU_DEP_2)
	v_mad_u32 v7, v6, s12, v10
	v_mul_lo_u32 v5, v3, s11
	v_mad_u32 v13, v6, s14, v14
	v_mad_u32 v6, v6, s13, v15
	s_delay_alu instid0(VALU_DEP_3) | instskip(NEXT) | instid1(VALU_DEP_1)
	v_sub_nc_u32_e32 v4, v4, v5
	v_mad_u32 v10, v4, s15, v7
	s_delay_alu instid0(VALU_DEP_4) | instskip(NEXT) | instid1(VALU_DEP_4)
	v_mad_u32 v14, v4, s9, v13
	v_mad_u32 v15, v4, s8, v6
	s_cbranch_scc1 .LBB117_154
; %bb.155:
	s_bitcmp1_b32 s5, 0
	s_cselect_b32 s5, -1, 0
	s_delay_alu instid0(SALU_CYCLE_1)
	s_and_b32 vcc_lo, exec_lo, s5
	s_cbranch_vccnz .LBB117_158
; %bb.156:
	s_clause 0x1
	s_load_b96 s[8:10], s[0:1], 0x1c
	s_load_b96 s[12:14], s[0:1], 0xdc
	s_wait_kmcnt 0x0
	v_mul_hi_u32 v4, s9, v3
	s_delay_alu instid0(VALU_DEP_1) | instskip(NEXT) | instid1(VALU_DEP_1)
	v_add_nc_u32_e32 v4, v3, v4
	v_lshrrev_b32_e32 v4, s10, v4
	s_delay_alu instid0(VALU_DEP_1) | instskip(NEXT) | instid1(VALU_DEP_1)
	v_mul_lo_u32 v4, v4, s8
	v_sub_nc_u32_e32 v3, v3, v4
	s_delay_alu instid0(VALU_DEP_1)
	v_mad_u32 v10, v3, s12, v10
	v_mad_u32 v15, v3, s13, v15
	;; [unrolled: 1-line block ×3, first 2 shown]
	s_and_not1_b32 vcc_lo, exec_lo, s4
	s_cbranch_vccz .LBB117_159
	s_branch .LBB117_162
.LBB117_157:
	s_mov_b32 s4, -1
                                        ; implicit-def: $vgpr14
                                        ; implicit-def: $vgpr15
                                        ; implicit-def: $vgpr10
.LBB117_158:
	s_delay_alu instid0(SALU_CYCLE_1)
	s_and_not1_b32 vcc_lo, exec_lo, s4
	s_cbranch_vccnz .LBB117_162
.LBB117_159:
	s_clause 0x1
	s_load_b96 s[4:6], s[2:3], 0x4
	s_load_b96 s[8:10], s[2:3], 0xc4
	s_cmp_lt_u32 s26, 2
	s_wait_kmcnt 0x0
	v_mul_hi_u32 v3, s5, v2
	s_delay_alu instid0(VALU_DEP_1) | instskip(NEXT) | instid1(VALU_DEP_1)
	v_add_nc_u32_e32 v3, v2, v3
	v_lshrrev_b32_e32 v3, s6, v3
	s_wait_loadcnt 0x0
	s_delay_alu instid0(VALU_DEP_1) | instskip(NEXT) | instid1(VALU_DEP_1)
	v_mul_lo_u32 v4, v3, s4
	v_sub_nc_u32_e32 v2, v2, v4
	s_delay_alu instid0(VALU_DEP_1)
	v_mul_lo_u32 v10, v2, s8
	v_mul_lo_u32 v14, v2, s10
	;; [unrolled: 1-line block ×3, first 2 shown]
	s_cbranch_scc1 .LBB117_162
; %bb.160:
	s_clause 0x1
	s_load_b96 s[4:6], s[2:3], 0x10
	s_load_b96 s[8:10], s[2:3], 0xd0
	s_wait_kmcnt 0x0
	v_mul_hi_u32 v2, s5, v3
	s_delay_alu instid0(VALU_DEP_1) | instskip(NEXT) | instid1(VALU_DEP_1)
	v_add_nc_u32_e32 v2, v3, v2
	v_lshrrev_b32_e32 v2, s6, v2
	s_delay_alu instid0(VALU_DEP_1) | instskip(NEXT) | instid1(VALU_DEP_1)
	v_mul_lo_u32 v2, v2, s4
	v_sub_nc_u32_e32 v2, v3, v2
	s_delay_alu instid0(VALU_DEP_1)
	v_mad_u32 v10, v2, s8, v10
	v_mad_u32 v15, v2, s9, v15
	;; [unrolled: 1-line block ×3, first 2 shown]
	s_branch .LBB117_162
.LBB117_161:
	v_dual_mov_b32 v14, 0 :: v_dual_mov_b32 v15, 0
	v_mov_b32_e32 v10, 0
	s_and_not1_b32 vcc_lo, exec_lo, s4
	s_cbranch_vccz .LBB117_159
.LBB117_162:
	v_cmp_ne_u32_e32 vcc_lo, 1, v1
	v_add_nc_u32_e32 v2, 0x100, v8
	s_cbranch_vccnz .LBB117_168
; %bb.163:
	s_cmp_lg_u32 s26, 0
	s_mov_b32 s4, 0
	s_cbranch_scc0 .LBB117_172
; %bb.164:
	s_min_u32 s5, s27, 15
	v_dual_mov_b32 v13, 0 :: v_dual_mov_b32 v3, v2
	v_dual_mov_b32 v18, 0 :: v_dual_mov_b32 v17, 0
	s_add_co_i32 s6, s5, 1
	s_mov_b64 s[0:1], 0xffffffffffffffe8
	s_and_b32 s6, s6, 30
	s_add_nc_u64 s[0:1], s[2:3], s[0:1]
.LBB117_165:                            ; =>This Inner Loop Header: Depth=1
	s_clause 0x1
	s_load_b128 s[8:11], s[0:1], 0x1c
	s_load_b64 s[16:17], s[0:1], 0x2c
	s_add_co_i32 s6, s6, -2
	s_delay_alu instid0(SALU_CYCLE_1) | instskip(SKIP_3) | instid1(VALU_DEP_1)
	s_cmp_lg_u32 s6, 0
	s_wait_loadcnt 0x0
	s_wait_kmcnt 0x0
	v_mul_hi_u32 v4, s9, v3
	v_add_nc_u32_e32 v4, v3, v4
	s_delay_alu instid0(VALU_DEP_1) | instskip(NEXT) | instid1(VALU_DEP_1)
	v_lshrrev_b32_e32 v4, s10, v4
	v_mul_hi_u32 v5, s16, v4
	v_mul_lo_u32 v6, v4, s8
	s_clause 0x1
	s_load_b128 s[12:15], s[0:1], 0xdc
	s_load_b64 s[8:9], s[0:1], 0xec
	s_wait_xcnt 0x0
	s_add_nc_u64 s[0:1], s[0:1], 24
	s_delay_alu instid0(VALU_DEP_1) | instskip(NEXT) | instid1(VALU_DEP_1)
	v_dual_add_nc_u32 v5, v4, v5 :: v_dual_sub_nc_u32 v6, v3, v6
	v_lshrrev_b32_e32 v3, s17, v5
	s_wait_kmcnt 0x0
	s_delay_alu instid0(VALU_DEP_2) | instskip(NEXT) | instid1(VALU_DEP_2)
	v_mad_u32 v7, v6, s12, v13
	v_mul_lo_u32 v5, v3, s11
	v_mad_u32 v16, v6, s14, v17
	v_mad_u32 v6, v6, s13, v18
	s_delay_alu instid0(VALU_DEP_3) | instskip(NEXT) | instid1(VALU_DEP_1)
	v_sub_nc_u32_e32 v4, v4, v5
	v_mad_u32 v13, v4, s15, v7
	s_delay_alu instid0(VALU_DEP_4) | instskip(NEXT) | instid1(VALU_DEP_4)
	v_mad_u32 v17, v4, s9, v16
	v_mad_u32 v18, v4, s8, v6
	s_cbranch_scc1 .LBB117_165
; %bb.166:
	s_bitcmp1_b32 s5, 0
	s_cselect_b32 s5, -1, 0
	s_delay_alu instid0(SALU_CYCLE_1)
	s_and_b32 vcc_lo, exec_lo, s5
	s_cbranch_vccnz .LBB117_169
; %bb.167:
	s_clause 0x1
	s_load_b96 s[8:10], s[0:1], 0x1c
	s_load_b96 s[12:14], s[0:1], 0xdc
	s_wait_kmcnt 0x0
	v_mul_hi_u32 v4, s9, v3
	s_delay_alu instid0(VALU_DEP_1) | instskip(NEXT) | instid1(VALU_DEP_1)
	v_add_nc_u32_e32 v4, v3, v4
	v_lshrrev_b32_e32 v4, s10, v4
	s_delay_alu instid0(VALU_DEP_1) | instskip(NEXT) | instid1(VALU_DEP_1)
	v_mul_lo_u32 v4, v4, s8
	v_sub_nc_u32_e32 v3, v3, v4
	s_delay_alu instid0(VALU_DEP_1)
	v_mad_u32 v13, v3, s12, v13
	v_mad_u32 v18, v3, s13, v18
	;; [unrolled: 1-line block ×3, first 2 shown]
	s_and_not1_b32 vcc_lo, exec_lo, s4
	s_cbranch_vccz .LBB117_170
	s_branch .LBB117_173
.LBB117_168:
	s_mov_b32 s4, -1
                                        ; implicit-def: $vgpr17
                                        ; implicit-def: $vgpr18
                                        ; implicit-def: $vgpr13
.LBB117_169:
	s_delay_alu instid0(SALU_CYCLE_1)
	s_and_not1_b32 vcc_lo, exec_lo, s4
	s_cbranch_vccnz .LBB117_173
.LBB117_170:
	s_clause 0x1
	s_load_b96 s[4:6], s[2:3], 0x4
	s_load_b96 s[8:10], s[2:3], 0xc4
	s_cmp_lt_u32 s26, 2
	s_wait_kmcnt 0x0
	v_mul_hi_u32 v3, s5, v2
	s_delay_alu instid0(VALU_DEP_1) | instskip(NEXT) | instid1(VALU_DEP_1)
	v_add_nc_u32_e32 v3, v2, v3
	v_lshrrev_b32_e32 v3, s6, v3
	s_wait_loadcnt 0x0
	s_delay_alu instid0(VALU_DEP_1) | instskip(NEXT) | instid1(VALU_DEP_1)
	v_mul_lo_u32 v4, v3, s4
	v_sub_nc_u32_e32 v2, v2, v4
	s_delay_alu instid0(VALU_DEP_1)
	v_mul_lo_u32 v13, v2, s8
	v_mul_lo_u32 v17, v2, s10
	v_mul_lo_u32 v18, v2, s9
	s_cbranch_scc1 .LBB117_173
; %bb.171:
	s_clause 0x1
	s_load_b96 s[4:6], s[2:3], 0x10
	s_load_b96 s[8:10], s[2:3], 0xd0
	s_wait_kmcnt 0x0
	v_mul_hi_u32 v2, s5, v3
	s_delay_alu instid0(VALU_DEP_1) | instskip(NEXT) | instid1(VALU_DEP_1)
	v_add_nc_u32_e32 v2, v3, v2
	v_lshrrev_b32_e32 v2, s6, v2
	s_delay_alu instid0(VALU_DEP_1) | instskip(NEXT) | instid1(VALU_DEP_1)
	v_mul_lo_u32 v2, v2, s4
	v_sub_nc_u32_e32 v2, v3, v2
	s_delay_alu instid0(VALU_DEP_1)
	v_mad_u32 v13, v2, s8, v13
	v_mad_u32 v18, v2, s9, v18
	;; [unrolled: 1-line block ×3, first 2 shown]
	s_branch .LBB117_173
.LBB117_172:
	v_dual_mov_b32 v17, 0 :: v_dual_mov_b32 v18, 0
	v_mov_b32_e32 v13, 0
	s_and_not1_b32 vcc_lo, exec_lo, s4
	s_cbranch_vccz .LBB117_170
.LBB117_173:
	v_cmp_ne_u32_e32 vcc_lo, 1, v1
	v_add_nc_u32_e32 v2, 0x180, v8
	s_cbranch_vccnz .LBB117_179
; %bb.174:
	s_cmp_lg_u32 s26, 0
	s_mov_b32 s4, 0
	s_cbranch_scc0 .LBB117_183
; %bb.175:
	s_min_u32 s5, s27, 15
	v_dual_mov_b32 v16, 0 :: v_dual_mov_b32 v3, v2
	v_dual_mov_b32 v21, 0 :: v_dual_mov_b32 v20, 0
	s_add_co_i32 s6, s5, 1
	s_mov_b64 s[0:1], 0xffffffffffffffe8
	s_and_b32 s6, s6, 30
	s_add_nc_u64 s[0:1], s[2:3], s[0:1]
.LBB117_176:                            ; =>This Inner Loop Header: Depth=1
	s_clause 0x1
	s_load_b128 s[8:11], s[0:1], 0x1c
	s_load_b64 s[16:17], s[0:1], 0x2c
	s_add_co_i32 s6, s6, -2
	s_delay_alu instid0(SALU_CYCLE_1) | instskip(SKIP_3) | instid1(VALU_DEP_1)
	s_cmp_lg_u32 s6, 0
	s_wait_loadcnt 0x0
	s_wait_kmcnt 0x0
	v_mul_hi_u32 v4, s9, v3
	v_add_nc_u32_e32 v4, v3, v4
	s_delay_alu instid0(VALU_DEP_1) | instskip(NEXT) | instid1(VALU_DEP_1)
	v_lshrrev_b32_e32 v4, s10, v4
	v_mul_hi_u32 v5, s16, v4
	v_mul_lo_u32 v6, v4, s8
	s_clause 0x1
	s_load_b128 s[12:15], s[0:1], 0xdc
	s_load_b64 s[8:9], s[0:1], 0xec
	s_wait_xcnt 0x0
	s_add_nc_u64 s[0:1], s[0:1], 24
	s_delay_alu instid0(VALU_DEP_1) | instskip(NEXT) | instid1(VALU_DEP_1)
	v_dual_add_nc_u32 v5, v4, v5 :: v_dual_sub_nc_u32 v6, v3, v6
	v_lshrrev_b32_e32 v3, s17, v5
	s_wait_kmcnt 0x0
	s_delay_alu instid0(VALU_DEP_2) | instskip(NEXT) | instid1(VALU_DEP_2)
	v_mad_u32 v7, v6, s12, v16
	v_mul_lo_u32 v5, v3, s11
	v_mad_u32 v19, v6, s14, v20
	v_mad_u32 v6, v6, s13, v21
	s_delay_alu instid0(VALU_DEP_3) | instskip(NEXT) | instid1(VALU_DEP_1)
	v_sub_nc_u32_e32 v4, v4, v5
	v_mad_u32 v16, v4, s15, v7
	s_delay_alu instid0(VALU_DEP_4) | instskip(NEXT) | instid1(VALU_DEP_4)
	v_mad_u32 v20, v4, s9, v19
	v_mad_u32 v21, v4, s8, v6
	s_cbranch_scc1 .LBB117_176
; %bb.177:
	s_bitcmp1_b32 s5, 0
	s_cselect_b32 s5, -1, 0
	s_delay_alu instid0(SALU_CYCLE_1)
	s_and_b32 vcc_lo, exec_lo, s5
	s_cbranch_vccnz .LBB117_180
; %bb.178:
	s_clause 0x1
	s_load_b96 s[8:10], s[0:1], 0x1c
	s_load_b96 s[12:14], s[0:1], 0xdc
	s_wait_kmcnt 0x0
	v_mul_hi_u32 v4, s9, v3
	s_delay_alu instid0(VALU_DEP_1) | instskip(NEXT) | instid1(VALU_DEP_1)
	v_add_nc_u32_e32 v4, v3, v4
	v_lshrrev_b32_e32 v4, s10, v4
	s_delay_alu instid0(VALU_DEP_1) | instskip(NEXT) | instid1(VALU_DEP_1)
	v_mul_lo_u32 v4, v4, s8
	v_sub_nc_u32_e32 v3, v3, v4
	s_delay_alu instid0(VALU_DEP_1)
	v_mad_u32 v16, v3, s12, v16
	v_mad_u32 v21, v3, s13, v21
	;; [unrolled: 1-line block ×3, first 2 shown]
	s_and_not1_b32 vcc_lo, exec_lo, s4
	s_cbranch_vccz .LBB117_181
	s_branch .LBB117_184
.LBB117_179:
	s_mov_b32 s4, -1
                                        ; implicit-def: $vgpr20
                                        ; implicit-def: $vgpr21
                                        ; implicit-def: $vgpr16
.LBB117_180:
	s_delay_alu instid0(SALU_CYCLE_1)
	s_and_not1_b32 vcc_lo, exec_lo, s4
	s_cbranch_vccnz .LBB117_184
.LBB117_181:
	s_clause 0x1
	s_load_b96 s[4:6], s[2:3], 0x4
	s_load_b96 s[8:10], s[2:3], 0xc4
	s_cmp_lt_u32 s26, 2
	s_wait_kmcnt 0x0
	v_mul_hi_u32 v3, s5, v2
	s_delay_alu instid0(VALU_DEP_1) | instskip(NEXT) | instid1(VALU_DEP_1)
	v_add_nc_u32_e32 v3, v2, v3
	v_lshrrev_b32_e32 v3, s6, v3
	s_wait_loadcnt 0x0
	s_delay_alu instid0(VALU_DEP_1) | instskip(NEXT) | instid1(VALU_DEP_1)
	v_mul_lo_u32 v4, v3, s4
	v_sub_nc_u32_e32 v2, v2, v4
	s_delay_alu instid0(VALU_DEP_1)
	v_mul_lo_u32 v16, v2, s8
	v_mul_lo_u32 v20, v2, s10
	v_mul_lo_u32 v21, v2, s9
	s_cbranch_scc1 .LBB117_184
; %bb.182:
	s_clause 0x1
	s_load_b96 s[4:6], s[2:3], 0x10
	s_load_b96 s[8:10], s[2:3], 0xd0
	s_wait_kmcnt 0x0
	v_mul_hi_u32 v2, s5, v3
	s_delay_alu instid0(VALU_DEP_1) | instskip(NEXT) | instid1(VALU_DEP_1)
	v_add_nc_u32_e32 v2, v3, v2
	v_lshrrev_b32_e32 v2, s6, v2
	s_delay_alu instid0(VALU_DEP_1) | instskip(NEXT) | instid1(VALU_DEP_1)
	v_mul_lo_u32 v2, v2, s4
	v_sub_nc_u32_e32 v2, v3, v2
	s_delay_alu instid0(VALU_DEP_1)
	v_mad_u32 v16, v2, s8, v16
	v_mad_u32 v21, v2, s9, v21
	;; [unrolled: 1-line block ×3, first 2 shown]
	s_branch .LBB117_184
.LBB117_183:
	v_dual_mov_b32 v20, 0 :: v_dual_mov_b32 v21, 0
	v_mov_b32_e32 v16, 0
	s_and_not1_b32 vcc_lo, exec_lo, s4
	s_cbranch_vccz .LBB117_181
.LBB117_184:
	v_cmp_ne_u32_e32 vcc_lo, 1, v1
	v_add_nc_u32_e32 v2, 0x200, v8
	s_cbranch_vccnz .LBB117_190
; %bb.185:
	s_cmp_lg_u32 s26, 0
	s_mov_b32 s4, 0
	s_cbranch_scc0 .LBB117_194
; %bb.186:
	s_min_u32 s5, s27, 15
	v_dual_mov_b32 v19, 0 :: v_dual_mov_b32 v3, v2
	v_dual_mov_b32 v24, 0 :: v_dual_mov_b32 v23, 0
	s_add_co_i32 s6, s5, 1
	s_mov_b64 s[0:1], 0xffffffffffffffe8
	s_and_b32 s6, s6, 30
	s_add_nc_u64 s[0:1], s[2:3], s[0:1]
.LBB117_187:                            ; =>This Inner Loop Header: Depth=1
	s_clause 0x1
	s_load_b128 s[8:11], s[0:1], 0x1c
	s_load_b64 s[16:17], s[0:1], 0x2c
	s_add_co_i32 s6, s6, -2
	s_delay_alu instid0(SALU_CYCLE_1) | instskip(SKIP_3) | instid1(VALU_DEP_1)
	s_cmp_lg_u32 s6, 0
	s_wait_loadcnt 0x0
	s_wait_kmcnt 0x0
	v_mul_hi_u32 v4, s9, v3
	v_add_nc_u32_e32 v4, v3, v4
	s_delay_alu instid0(VALU_DEP_1) | instskip(NEXT) | instid1(VALU_DEP_1)
	v_lshrrev_b32_e32 v4, s10, v4
	v_mul_hi_u32 v5, s16, v4
	v_mul_lo_u32 v6, v4, s8
	s_clause 0x1
	s_load_b128 s[12:15], s[0:1], 0xdc
	s_load_b64 s[8:9], s[0:1], 0xec
	s_wait_xcnt 0x0
	s_add_nc_u64 s[0:1], s[0:1], 24
	s_delay_alu instid0(VALU_DEP_1) | instskip(NEXT) | instid1(VALU_DEP_1)
	v_dual_add_nc_u32 v5, v4, v5 :: v_dual_sub_nc_u32 v6, v3, v6
	v_lshrrev_b32_e32 v3, s17, v5
	s_wait_kmcnt 0x0
	s_delay_alu instid0(VALU_DEP_2) | instskip(NEXT) | instid1(VALU_DEP_2)
	v_mad_u32 v7, v6, s12, v19
	v_mul_lo_u32 v5, v3, s11
	v_mad_u32 v22, v6, s14, v23
	v_mad_u32 v6, v6, s13, v24
	s_delay_alu instid0(VALU_DEP_3) | instskip(NEXT) | instid1(VALU_DEP_1)
	v_sub_nc_u32_e32 v4, v4, v5
	v_mad_u32 v19, v4, s15, v7
	s_delay_alu instid0(VALU_DEP_4) | instskip(NEXT) | instid1(VALU_DEP_4)
	v_mad_u32 v23, v4, s9, v22
	v_mad_u32 v24, v4, s8, v6
	s_cbranch_scc1 .LBB117_187
; %bb.188:
	s_bitcmp1_b32 s5, 0
	s_cselect_b32 s5, -1, 0
	s_delay_alu instid0(SALU_CYCLE_1)
	s_and_b32 vcc_lo, exec_lo, s5
	s_cbranch_vccnz .LBB117_191
; %bb.189:
	s_clause 0x1
	s_load_b96 s[8:10], s[0:1], 0x1c
	s_load_b96 s[12:14], s[0:1], 0xdc
	s_wait_kmcnt 0x0
	v_mul_hi_u32 v4, s9, v3
	s_delay_alu instid0(VALU_DEP_1) | instskip(NEXT) | instid1(VALU_DEP_1)
	v_add_nc_u32_e32 v4, v3, v4
	v_lshrrev_b32_e32 v4, s10, v4
	s_delay_alu instid0(VALU_DEP_1) | instskip(NEXT) | instid1(VALU_DEP_1)
	v_mul_lo_u32 v4, v4, s8
	v_sub_nc_u32_e32 v3, v3, v4
	s_delay_alu instid0(VALU_DEP_1)
	v_mad_u32 v19, v3, s12, v19
	v_mad_u32 v24, v3, s13, v24
	;; [unrolled: 1-line block ×3, first 2 shown]
	s_and_not1_b32 vcc_lo, exec_lo, s4
	s_cbranch_vccz .LBB117_192
	s_branch .LBB117_195
.LBB117_190:
	s_mov_b32 s4, -1
                                        ; implicit-def: $vgpr23
                                        ; implicit-def: $vgpr24
                                        ; implicit-def: $vgpr19
.LBB117_191:
	s_delay_alu instid0(SALU_CYCLE_1)
	s_and_not1_b32 vcc_lo, exec_lo, s4
	s_cbranch_vccnz .LBB117_195
.LBB117_192:
	s_clause 0x1
	s_load_b96 s[4:6], s[2:3], 0x4
	s_load_b96 s[8:10], s[2:3], 0xc4
	s_cmp_lt_u32 s26, 2
	s_wait_kmcnt 0x0
	v_mul_hi_u32 v3, s5, v2
	s_delay_alu instid0(VALU_DEP_1) | instskip(NEXT) | instid1(VALU_DEP_1)
	v_add_nc_u32_e32 v3, v2, v3
	v_lshrrev_b32_e32 v3, s6, v3
	s_wait_loadcnt 0x0
	s_delay_alu instid0(VALU_DEP_1) | instskip(NEXT) | instid1(VALU_DEP_1)
	v_mul_lo_u32 v4, v3, s4
	v_sub_nc_u32_e32 v2, v2, v4
	s_delay_alu instid0(VALU_DEP_1)
	v_mul_lo_u32 v19, v2, s8
	v_mul_lo_u32 v23, v2, s10
	;; [unrolled: 1-line block ×3, first 2 shown]
	s_cbranch_scc1 .LBB117_195
; %bb.193:
	s_clause 0x1
	s_load_b96 s[4:6], s[2:3], 0x10
	s_load_b96 s[8:10], s[2:3], 0xd0
	s_wait_kmcnt 0x0
	v_mul_hi_u32 v2, s5, v3
	s_delay_alu instid0(VALU_DEP_1) | instskip(NEXT) | instid1(VALU_DEP_1)
	v_add_nc_u32_e32 v2, v3, v2
	v_lshrrev_b32_e32 v2, s6, v2
	s_delay_alu instid0(VALU_DEP_1) | instskip(NEXT) | instid1(VALU_DEP_1)
	v_mul_lo_u32 v2, v2, s4
	v_sub_nc_u32_e32 v2, v3, v2
	s_delay_alu instid0(VALU_DEP_1)
	v_mad_u32 v19, v2, s8, v19
	v_mad_u32 v24, v2, s9, v24
	;; [unrolled: 1-line block ×3, first 2 shown]
	s_branch .LBB117_195
.LBB117_194:
	v_dual_mov_b32 v23, 0 :: v_dual_mov_b32 v24, 0
	v_mov_b32_e32 v19, 0
	s_and_not1_b32 vcc_lo, exec_lo, s4
	s_cbranch_vccz .LBB117_192
.LBB117_195:
	v_cmp_ne_u32_e32 vcc_lo, 1, v1
	v_add_nc_u32_e32 v2, 0x280, v8
	s_cbranch_vccnz .LBB117_201
; %bb.196:
	s_cmp_lg_u32 s26, 0
	s_mov_b32 s4, 0
	s_cbranch_scc0 .LBB117_205
; %bb.197:
	s_min_u32 s5, s27, 15
	v_dual_mov_b32 v22, 0 :: v_dual_mov_b32 v3, v2
	v_dual_mov_b32 v26, 0 :: v_dual_mov_b32 v25, 0
	s_add_co_i32 s6, s5, 1
	s_mov_b64 s[0:1], 0xffffffffffffffe8
	s_and_b32 s6, s6, 30
	s_add_nc_u64 s[0:1], s[2:3], s[0:1]
.LBB117_198:                            ; =>This Inner Loop Header: Depth=1
	s_clause 0x1
	s_load_b128 s[8:11], s[0:1], 0x1c
	s_load_b64 s[16:17], s[0:1], 0x2c
	s_add_co_i32 s6, s6, -2
	s_delay_alu instid0(SALU_CYCLE_1) | instskip(SKIP_3) | instid1(VALU_DEP_1)
	s_cmp_lg_u32 s6, 0
	s_wait_loadcnt 0x0
	s_wait_kmcnt 0x0
	v_mul_hi_u32 v4, s9, v3
	v_add_nc_u32_e32 v4, v3, v4
	s_delay_alu instid0(VALU_DEP_1) | instskip(NEXT) | instid1(VALU_DEP_1)
	v_lshrrev_b32_e32 v4, s10, v4
	v_mul_hi_u32 v5, s16, v4
	v_mul_lo_u32 v6, v4, s8
	s_clause 0x1
	s_load_b128 s[12:15], s[0:1], 0xdc
	s_load_b64 s[8:9], s[0:1], 0xec
	s_wait_xcnt 0x0
	s_add_nc_u64 s[0:1], s[0:1], 24
	s_delay_alu instid0(VALU_DEP_1) | instskip(NEXT) | instid1(VALU_DEP_1)
	v_dual_add_nc_u32 v5, v4, v5 :: v_dual_sub_nc_u32 v6, v3, v6
	v_lshrrev_b32_e32 v3, s17, v5
	s_wait_kmcnt 0x0
	s_delay_alu instid0(VALU_DEP_2) | instskip(NEXT) | instid1(VALU_DEP_2)
	v_mad_u32 v7, v6, s12, v22
	v_mul_lo_u32 v5, v3, s11
	v_mad_u32 v25, v6, s14, v25
	v_mad_u32 v6, v6, s13, v26
	s_delay_alu instid0(VALU_DEP_3) | instskip(NEXT) | instid1(VALU_DEP_1)
	v_sub_nc_u32_e32 v4, v4, v5
	v_mad_u32 v22, v4, s15, v7
	s_delay_alu instid0(VALU_DEP_4) | instskip(NEXT) | instid1(VALU_DEP_4)
	v_mad_u32 v25, v4, s9, v25
	v_mad_u32 v26, v4, s8, v6
	s_cbranch_scc1 .LBB117_198
; %bb.199:
	s_bitcmp1_b32 s5, 0
	s_cselect_b32 s5, -1, 0
	s_delay_alu instid0(SALU_CYCLE_1)
	s_and_b32 vcc_lo, exec_lo, s5
	s_cbranch_vccnz .LBB117_202
; %bb.200:
	s_clause 0x1
	s_load_b96 s[8:10], s[0:1], 0x1c
	s_load_b96 s[12:14], s[0:1], 0xdc
	s_wait_kmcnt 0x0
	v_mul_hi_u32 v4, s9, v3
	s_delay_alu instid0(VALU_DEP_1) | instskip(NEXT) | instid1(VALU_DEP_1)
	v_add_nc_u32_e32 v4, v3, v4
	v_lshrrev_b32_e32 v4, s10, v4
	s_delay_alu instid0(VALU_DEP_1) | instskip(NEXT) | instid1(VALU_DEP_1)
	v_mul_lo_u32 v4, v4, s8
	v_sub_nc_u32_e32 v3, v3, v4
	s_delay_alu instid0(VALU_DEP_1)
	v_mad_u32 v22, v3, s12, v22
	v_mad_u32 v26, v3, s13, v26
	;; [unrolled: 1-line block ×3, first 2 shown]
	s_and_not1_b32 vcc_lo, exec_lo, s4
	s_cbranch_vccz .LBB117_203
	s_branch .LBB117_206
.LBB117_201:
	s_mov_b32 s4, -1
                                        ; implicit-def: $vgpr25
                                        ; implicit-def: $vgpr26
                                        ; implicit-def: $vgpr22
.LBB117_202:
	s_delay_alu instid0(SALU_CYCLE_1)
	s_and_not1_b32 vcc_lo, exec_lo, s4
	s_cbranch_vccnz .LBB117_206
.LBB117_203:
	s_clause 0x1
	s_load_b96 s[4:6], s[2:3], 0x4
	s_load_b96 s[8:10], s[2:3], 0xc4
	s_cmp_lt_u32 s26, 2
	s_wait_kmcnt 0x0
	v_mul_hi_u32 v3, s5, v2
	s_delay_alu instid0(VALU_DEP_1) | instskip(NEXT) | instid1(VALU_DEP_1)
	v_add_nc_u32_e32 v3, v2, v3
	v_lshrrev_b32_e32 v3, s6, v3
	s_wait_loadcnt 0x0
	s_delay_alu instid0(VALU_DEP_1) | instskip(NEXT) | instid1(VALU_DEP_1)
	v_mul_lo_u32 v4, v3, s4
	v_sub_nc_u32_e32 v2, v2, v4
	s_delay_alu instid0(VALU_DEP_1)
	v_mul_lo_u32 v22, v2, s8
	v_mul_lo_u32 v25, v2, s10
	;; [unrolled: 1-line block ×3, first 2 shown]
	s_cbranch_scc1 .LBB117_206
; %bb.204:
	s_clause 0x1
	s_load_b96 s[4:6], s[2:3], 0x10
	s_load_b96 s[8:10], s[2:3], 0xd0
	s_wait_kmcnt 0x0
	v_mul_hi_u32 v2, s5, v3
	s_delay_alu instid0(VALU_DEP_1) | instskip(NEXT) | instid1(VALU_DEP_1)
	v_add_nc_u32_e32 v2, v3, v2
	v_lshrrev_b32_e32 v2, s6, v2
	s_delay_alu instid0(VALU_DEP_1) | instskip(NEXT) | instid1(VALU_DEP_1)
	v_mul_lo_u32 v2, v2, s4
	v_sub_nc_u32_e32 v2, v3, v2
	s_delay_alu instid0(VALU_DEP_1)
	v_mad_u32 v22, v2, s8, v22
	v_mad_u32 v26, v2, s9, v26
	;; [unrolled: 1-line block ×3, first 2 shown]
	s_branch .LBB117_206
.LBB117_205:
	v_dual_mov_b32 v25, 0 :: v_dual_mov_b32 v26, 0
	v_mov_b32_e32 v22, 0
	s_and_not1_b32 vcc_lo, exec_lo, s4
	s_cbranch_vccz .LBB117_203
.LBB117_206:
	v_cmp_ne_u32_e32 vcc_lo, 1, v1
	v_add_nc_u32_e32 v2, 0x300, v8
	s_cbranch_vccnz .LBB117_212
; %bb.207:
	s_cmp_lg_u32 s26, 0
	s_mov_b32 s4, 0
	s_cbranch_scc0 .LBB117_216
; %bb.208:
	s_min_u32 s5, s27, 15
	v_dual_mov_b32 v8, 0 :: v_dual_mov_b32 v3, v2
	v_dual_mov_b32 v28, 0 :: v_dual_mov_b32 v27, 0
	s_add_co_i32 s6, s5, 1
	s_mov_b64 s[0:1], 0xffffffffffffffe8
	s_and_b32 s6, s6, 30
	s_add_nc_u64 s[0:1], s[2:3], s[0:1]
.LBB117_209:                            ; =>This Inner Loop Header: Depth=1
	s_clause 0x1
	s_load_b128 s[8:11], s[0:1], 0x1c
	s_load_b64 s[16:17], s[0:1], 0x2c
	s_add_co_i32 s6, s6, -2
	s_delay_alu instid0(SALU_CYCLE_1) | instskip(SKIP_3) | instid1(VALU_DEP_1)
	s_cmp_lg_u32 s6, 0
	s_wait_loadcnt 0x0
	s_wait_kmcnt 0x0
	v_mul_hi_u32 v4, s9, v3
	v_add_nc_u32_e32 v4, v3, v4
	s_delay_alu instid0(VALU_DEP_1) | instskip(NEXT) | instid1(VALU_DEP_1)
	v_lshrrev_b32_e32 v4, s10, v4
	v_mul_hi_u32 v5, s16, v4
	v_mul_lo_u32 v6, v4, s8
	s_clause 0x1
	s_load_b128 s[12:15], s[0:1], 0xdc
	s_load_b64 s[8:9], s[0:1], 0xec
	s_wait_xcnt 0x0
	s_add_nc_u64 s[0:1], s[0:1], 24
	s_delay_alu instid0(VALU_DEP_1) | instskip(NEXT) | instid1(VALU_DEP_1)
	v_dual_add_nc_u32 v5, v4, v5 :: v_dual_sub_nc_u32 v6, v3, v6
	v_lshrrev_b32_e32 v3, s17, v5
	s_wait_kmcnt 0x0
	s_delay_alu instid0(VALU_DEP_2) | instskip(NEXT) | instid1(VALU_DEP_2)
	v_mad_u32 v7, v6, s12, v8
	v_mul_lo_u32 v5, v3, s11
	v_mad_u32 v27, v6, s14, v27
	v_mad_u32 v6, v6, s13, v28
	s_delay_alu instid0(VALU_DEP_3) | instskip(NEXT) | instid1(VALU_DEP_1)
	v_sub_nc_u32_e32 v4, v4, v5
	v_mad_u32 v8, v4, s15, v7
	s_delay_alu instid0(VALU_DEP_4) | instskip(NEXT) | instid1(VALU_DEP_4)
	v_mad_u32 v27, v4, s9, v27
	v_mad_u32 v28, v4, s8, v6
	s_cbranch_scc1 .LBB117_209
; %bb.210:
	s_bitcmp1_b32 s5, 0
	s_cselect_b32 s5, -1, 0
	s_delay_alu instid0(SALU_CYCLE_1)
	s_and_b32 vcc_lo, exec_lo, s5
	s_cbranch_vccnz .LBB117_213
; %bb.211:
	s_clause 0x1
	s_load_b96 s[8:10], s[0:1], 0x1c
	s_load_b96 s[12:14], s[0:1], 0xdc
	s_wait_kmcnt 0x0
	v_mul_hi_u32 v4, s9, v3
	s_delay_alu instid0(VALU_DEP_1) | instskip(NEXT) | instid1(VALU_DEP_1)
	v_add_nc_u32_e32 v4, v3, v4
	v_lshrrev_b32_e32 v4, s10, v4
	s_delay_alu instid0(VALU_DEP_1) | instskip(NEXT) | instid1(VALU_DEP_1)
	v_mul_lo_u32 v4, v4, s8
	v_sub_nc_u32_e32 v3, v3, v4
	s_delay_alu instid0(VALU_DEP_1)
	v_mad_u32 v8, v3, s12, v8
	v_mad_u32 v28, v3, s13, v28
	v_mad_u32 v27, v3, s14, v27
	s_and_not1_b32 vcc_lo, exec_lo, s4
	s_cbranch_vccz .LBB117_214
	s_branch .LBB117_217
.LBB117_212:
	s_mov_b32 s4, -1
                                        ; implicit-def: $vgpr27
                                        ; implicit-def: $vgpr28
                                        ; implicit-def: $vgpr8
.LBB117_213:
	s_delay_alu instid0(SALU_CYCLE_1)
	s_and_not1_b32 vcc_lo, exec_lo, s4
	s_cbranch_vccnz .LBB117_217
.LBB117_214:
	s_clause 0x1
	s_load_b96 s[4:6], s[2:3], 0x4
	s_load_b96 s[8:10], s[2:3], 0xc4
	s_cmp_lt_u32 s26, 2
	s_wait_kmcnt 0x0
	v_mul_hi_u32 v3, s5, v2
	s_delay_alu instid0(VALU_DEP_1) | instskip(NEXT) | instid1(VALU_DEP_1)
	v_add_nc_u32_e32 v3, v2, v3
	v_lshrrev_b32_e32 v3, s6, v3
	s_wait_loadcnt 0x0
	s_delay_alu instid0(VALU_DEP_1) | instskip(NEXT) | instid1(VALU_DEP_1)
	v_mul_lo_u32 v4, v3, s4
	v_sub_nc_u32_e32 v2, v2, v4
	s_delay_alu instid0(VALU_DEP_1)
	v_mul_lo_u32 v8, v2, s8
	v_mul_lo_u32 v27, v2, s10
	;; [unrolled: 1-line block ×3, first 2 shown]
	s_cbranch_scc1 .LBB117_217
; %bb.215:
	s_clause 0x1
	s_load_b96 s[4:6], s[2:3], 0x10
	s_load_b96 s[8:10], s[2:3], 0xd0
	s_wait_kmcnt 0x0
	v_mul_hi_u32 v2, s5, v3
	s_delay_alu instid0(VALU_DEP_1) | instskip(NEXT) | instid1(VALU_DEP_1)
	v_add_nc_u32_e32 v2, v3, v2
	v_lshrrev_b32_e32 v2, s6, v2
	s_delay_alu instid0(VALU_DEP_1) | instskip(NEXT) | instid1(VALU_DEP_1)
	v_mul_lo_u32 v2, v2, s4
	v_sub_nc_u32_e32 v2, v3, v2
	s_delay_alu instid0(VALU_DEP_1)
	v_mad_u32 v8, v2, s8, v8
	v_mad_u32 v28, v2, s9, v28
	;; [unrolled: 1-line block ×3, first 2 shown]
	s_branch .LBB117_217
.LBB117_216:
	v_dual_mov_b32 v27, 0 :: v_dual_mov_b32 v28, 0
	v_mov_b32_e32 v8, 0
	s_and_not1_b32 vcc_lo, exec_lo, s4
	s_cbranch_vccz .LBB117_214
.LBB117_217:
	v_cmp_ne_u32_e32 vcc_lo, 1, v1
	s_cbranch_vccnz .LBB117_223
; %bb.218:
	s_cmp_lg_u32 s26, 0
	s_mov_b32 s4, 0
	s_cbranch_scc0 .LBB117_227
; %bb.219:
	s_min_u32 s5, s27, 15
	v_dual_mov_b32 v29, 0 :: v_dual_mov_b32 v1, v0
	v_dual_mov_b32 v31, 0 :: v_dual_mov_b32 v30, 0
	s_add_co_i32 s6, s5, 1
	s_mov_b64 s[0:1], 0xffffffffffffffe8
	s_and_b32 s6, s6, 30
	s_add_nc_u64 s[0:1], s[2:3], s[0:1]
.LBB117_220:                            ; =>This Inner Loop Header: Depth=1
	s_clause 0x1
	s_load_b128 s[8:11], s[0:1], 0x1c
	s_load_b64 s[16:17], s[0:1], 0x2c
	s_add_co_i32 s6, s6, -2
	s_delay_alu instid0(SALU_CYCLE_1) | instskip(SKIP_2) | instid1(VALU_DEP_1)
	s_cmp_lg_u32 s6, 0
	s_wait_kmcnt 0x0
	v_mul_hi_u32 v2, s9, v1
	v_add_nc_u32_e32 v2, v1, v2
	s_delay_alu instid0(VALU_DEP_1) | instskip(NEXT) | instid1(VALU_DEP_1)
	v_lshrrev_b32_e32 v2, s10, v2
	v_mul_hi_u32 v3, s16, v2
	s_wait_loadcnt 0x0
	v_mul_lo_u32 v4, v2, s8
	s_clause 0x1
	s_load_b128 s[12:15], s[0:1], 0xdc
	s_load_b64 s[8:9], s[0:1], 0xec
	s_wait_xcnt 0x0
	s_add_nc_u64 s[0:1], s[0:1], 24
	s_delay_alu instid0(VALU_DEP_1) | instskip(NEXT) | instid1(VALU_DEP_1)
	v_dual_add_nc_u32 v3, v2, v3 :: v_dual_sub_nc_u32 v4, v1, v4
	v_lshrrev_b32_e32 v1, s17, v3
	s_wait_kmcnt 0x0
	s_delay_alu instid0(VALU_DEP_2) | instskip(NEXT) | instid1(VALU_DEP_2)
	v_mad_u32 v5, v4, s12, v29
	v_mul_lo_u32 v3, v1, s11
	v_mad_u32 v6, v4, s14, v30
	v_mad_u32 v4, v4, s13, v31
	s_delay_alu instid0(VALU_DEP_3) | instskip(NEXT) | instid1(VALU_DEP_1)
	v_sub_nc_u32_e32 v2, v2, v3
	v_mad_u32 v29, v2, s15, v5
	s_delay_alu instid0(VALU_DEP_4) | instskip(NEXT) | instid1(VALU_DEP_4)
	v_mad_u32 v30, v2, s9, v6
	v_mad_u32 v31, v2, s8, v4
	s_cbranch_scc1 .LBB117_220
; %bb.221:
	s_bitcmp1_b32 s5, 0
	s_cselect_b32 s5, -1, 0
	s_delay_alu instid0(SALU_CYCLE_1)
	s_and_b32 vcc_lo, exec_lo, s5
	s_cbranch_vccnz .LBB117_224
; %bb.222:
	s_clause 0x1
	s_load_b96 s[8:10], s[0:1], 0x1c
	s_load_b96 s[12:14], s[0:1], 0xdc
	s_wait_kmcnt 0x0
	v_mul_hi_u32 v2, s9, v1
	s_delay_alu instid0(VALU_DEP_1) | instskip(NEXT) | instid1(VALU_DEP_1)
	v_add_nc_u32_e32 v2, v1, v2
	v_lshrrev_b32_e32 v2, s10, v2
	s_delay_alu instid0(VALU_DEP_1) | instskip(NEXT) | instid1(VALU_DEP_1)
	v_mul_lo_u32 v2, v2, s8
	v_sub_nc_u32_e32 v1, v1, v2
	s_delay_alu instid0(VALU_DEP_1)
	v_mad_u32 v29, v1, s12, v29
	v_mad_u32 v31, v1, s13, v31
	;; [unrolled: 1-line block ×3, first 2 shown]
	s_and_not1_b32 vcc_lo, exec_lo, s4
	s_cbranch_vccz .LBB117_225
	s_branch .LBB117_228
.LBB117_223:
	s_mov_b32 s4, -1
                                        ; implicit-def: $vgpr30
                                        ; implicit-def: $vgpr31
                                        ; implicit-def: $vgpr29
.LBB117_224:
	s_delay_alu instid0(SALU_CYCLE_1)
	s_and_not1_b32 vcc_lo, exec_lo, s4
	s_cbranch_vccnz .LBB117_228
.LBB117_225:
	s_clause 0x1
	s_load_b96 s[4:6], s[2:3], 0x4
	s_load_b96 s[8:10], s[2:3], 0xc4
	s_cmp_lt_u32 s26, 2
	s_wait_kmcnt 0x0
	v_mul_hi_u32 v1, s5, v0
	s_delay_alu instid0(VALU_DEP_1) | instskip(NEXT) | instid1(VALU_DEP_1)
	v_add_nc_u32_e32 v1, v0, v1
	v_lshrrev_b32_e32 v1, s6, v1
	s_delay_alu instid0(VALU_DEP_1) | instskip(NEXT) | instid1(VALU_DEP_1)
	v_mul_lo_u32 v2, v1, s4
	v_sub_nc_u32_e32 v0, v0, v2
	s_delay_alu instid0(VALU_DEP_1)
	v_mul_lo_u32 v29, v0, s8
	v_mul_lo_u32 v30, v0, s10
	;; [unrolled: 1-line block ×3, first 2 shown]
	s_cbranch_scc1 .LBB117_228
; %bb.226:
	s_clause 0x1
	s_load_b96 s[4:6], s[2:3], 0x10
	s_load_b96 s[8:10], s[2:3], 0xd0
	s_wait_kmcnt 0x0
	v_mul_hi_u32 v0, s5, v1
	s_delay_alu instid0(VALU_DEP_1) | instskip(NEXT) | instid1(VALU_DEP_1)
	v_add_nc_u32_e32 v0, v1, v0
	v_lshrrev_b32_e32 v0, s6, v0
	s_delay_alu instid0(VALU_DEP_1) | instskip(NEXT) | instid1(VALU_DEP_1)
	v_mul_lo_u32 v0, v0, s4
	v_sub_nc_u32_e32 v0, v1, v0
	s_delay_alu instid0(VALU_DEP_1)
	v_mad_u32 v29, v0, s8, v29
	v_mad_u32 v31, v0, s9, v31
	v_mad_u32 v30, v0, s10, v30
	s_branch .LBB117_228
.LBB117_227:
	v_dual_mov_b32 v30, 0 :: v_dual_mov_b32 v31, 0
	v_mov_b32_e32 v29, 0
	s_and_not1_b32 vcc_lo, exec_lo, s4
	s_cbranch_vccz .LBB117_225
.LBB117_228:
	s_clause 0x1
	s_load_b128 s[4:7], s[2:3], 0x188
	s_load_b96 s[8:10], s[2:3], 0x198
	s_wait_xcnt 0x0
	s_mov_b32 s3, 0
	s_wait_kmcnt 0x0
	global_load_b128 v[0:3], v12, s[6:7]
	s_wait_loadcnt 0x1
	global_load_b128 v[4:7], v11, s[8:9]
	s_cmp_lg_u32 s10, 0
	s_cselect_b32 s2, -1, 0
	s_delay_alu instid0(SALU_CYCLE_1)
	s_and_b32 vcc_lo, exec_lo, s2
	s_cbranch_vccz .LBB117_253
; %bb.229:
	s_wait_loadcnt 0x0
	v_cmp_neq_f64_e32 vcc_lo, v[0:1], v[4:5]
	v_cmp_neq_f64_e64 s0, v[2:3], v[6:7]
	s_or_b32 s1, vcc_lo, s0
	s_and_not1_b32 vcc_lo, exec_lo, s3
	s_cbranch_vccnz .LBB117_231
.LBB117_230:
	s_wait_loadcnt 0x0
	v_cmp_eq_f64_e32 vcc_lo, v[0:1], v[4:5]
	v_cmp_eq_f64_e64 s0, v[2:3], v[6:7]
	s_and_not1_b32 s1, s1, exec_lo
	s_and_b32 s0, vcc_lo, s0
	s_delay_alu instid0(SALU_CYCLE_1) | instskip(NEXT) | instid1(SALU_CYCLE_1)
	s_and_b32 s0, s0, exec_lo
	s_or_b32 s1, s1, s0
.LBB117_231:
	s_wait_loadcnt 0x1
	global_load_b128 v[0:3], v15, s[6:7]
	s_wait_loadcnt 0x1
	global_load_b128 v[4:7], v14, s[8:9]
	s_and_b32 vcc_lo, exec_lo, s2
	s_cbranch_vccz .LBB117_254
; %bb.232:
	s_wait_loadcnt 0x0
	v_cmp_neq_f64_e32 vcc_lo, v[0:1], v[4:5]
	v_cmp_neq_f64_e64 s0, v[2:3], v[6:7]
	s_or_b32 s3, vcc_lo, s0
	s_cbranch_execnz .LBB117_234
.LBB117_233:
	s_wait_loadcnt 0x0
	v_cmp_eq_f64_e32 vcc_lo, v[0:1], v[4:5]
	v_cmp_eq_f64_e64 s0, v[2:3], v[6:7]
	s_and_not1_b32 s3, s3, exec_lo
	s_and_b32 s0, vcc_lo, s0
	s_delay_alu instid0(SALU_CYCLE_1) | instskip(NEXT) | instid1(SALU_CYCLE_1)
	s_and_b32 s0, s0, exec_lo
	s_or_b32 s3, s3, s0
.LBB117_234:
	s_wait_loadcnt 0x1
	global_load_b128 v[0:3], v18, s[6:7]
	s_wait_loadcnt 0x1
	global_load_b128 v[4:7], v17, s[8:9]
	s_and_b32 vcc_lo, exec_lo, s2
	s_cbranch_vccz .LBB117_255
; %bb.235:
	s_wait_loadcnt 0x0
	v_cmp_neq_f64_e32 vcc_lo, v[0:1], v[4:5]
	v_cmp_neq_f64_e64 s0, v[2:3], v[6:7]
	s_or_b32 s10, vcc_lo, s0
	s_cbranch_execnz .LBB117_237
.LBB117_236:
	s_wait_loadcnt 0x0
	v_cmp_eq_f64_e32 vcc_lo, v[0:1], v[4:5]
	v_cmp_eq_f64_e64 s0, v[2:3], v[6:7]
	s_and_not1_b32 s10, s10, exec_lo
	s_and_b32 s0, vcc_lo, s0
	s_delay_alu instid0(SALU_CYCLE_1) | instskip(NEXT) | instid1(SALU_CYCLE_1)
	s_and_b32 s0, s0, exec_lo
	s_or_b32 s10, s10, s0
.LBB117_237:
	s_wait_loadcnt 0x1
	global_load_b128 v[0:3], v21, s[6:7]
	s_wait_loadcnt 0x1
	global_load_b128 v[4:7], v20, s[8:9]
	s_and_b32 vcc_lo, exec_lo, s2
	s_cbranch_vccz .LBB117_256
; %bb.238:
	s_wait_loadcnt 0x0
	v_cmp_neq_f64_e32 vcc_lo, v[0:1], v[4:5]
	v_cmp_neq_f64_e64 s0, v[2:3], v[6:7]
	s_or_b32 s11, vcc_lo, s0
	s_cbranch_execnz .LBB117_240
.LBB117_239:
	s_wait_loadcnt 0x0
	v_cmp_eq_f64_e32 vcc_lo, v[0:1], v[4:5]
	v_cmp_eq_f64_e64 s0, v[2:3], v[6:7]
	s_and_not1_b32 s11, s11, exec_lo
	s_and_b32 s0, vcc_lo, s0
	s_delay_alu instid0(SALU_CYCLE_1) | instskip(NEXT) | instid1(SALU_CYCLE_1)
	s_and_b32 s0, s0, exec_lo
	s_or_b32 s11, s11, s0
.LBB117_240:
	s_wait_loadcnt 0x1
	global_load_b128 v[0:3], v24, s[6:7]
	s_wait_loadcnt 0x1
	global_load_b128 v[4:7], v23, s[8:9]
	s_and_b32 vcc_lo, exec_lo, s2
	s_cbranch_vccz .LBB117_257
; %bb.241:
	s_wait_loadcnt 0x0
	v_cmp_neq_f64_e32 vcc_lo, v[0:1], v[4:5]
	v_cmp_neq_f64_e64 s0, v[2:3], v[6:7]
	s_or_b32 s12, vcc_lo, s0
	s_cbranch_execnz .LBB117_243
.LBB117_242:
	s_wait_loadcnt 0x0
	v_cmp_eq_f64_e32 vcc_lo, v[0:1], v[4:5]
	v_cmp_eq_f64_e64 s0, v[2:3], v[6:7]
	s_and_not1_b32 s12, s12, exec_lo
	s_and_b32 s0, vcc_lo, s0
	s_delay_alu instid0(SALU_CYCLE_1) | instskip(NEXT) | instid1(SALU_CYCLE_1)
	s_and_b32 s0, s0, exec_lo
	s_or_b32 s12, s12, s0
.LBB117_243:
	s_wait_loadcnt 0x1
	global_load_b128 v[0:3], v26, s[6:7]
	s_wait_loadcnt 0x1
	global_load_b128 v[4:7], v25, s[8:9]
	s_and_b32 vcc_lo, exec_lo, s2
	s_cbranch_vccz .LBB117_258
; %bb.244:
	s_wait_loadcnt 0x0
	v_cmp_neq_f64_e32 vcc_lo, v[0:1], v[4:5]
	v_cmp_neq_f64_e64 s0, v[2:3], v[6:7]
	s_or_b32 s13, vcc_lo, s0
	s_cbranch_execnz .LBB117_246
.LBB117_245:
	s_wait_loadcnt 0x0
	v_cmp_eq_f64_e32 vcc_lo, v[0:1], v[4:5]
	v_cmp_eq_f64_e64 s0, v[2:3], v[6:7]
	s_and_not1_b32 s13, s13, exec_lo
	s_and_b32 s0, vcc_lo, s0
	s_delay_alu instid0(SALU_CYCLE_1) | instskip(NEXT) | instid1(SALU_CYCLE_1)
	s_and_b32 s0, s0, exec_lo
	s_or_b32 s13, s13, s0
.LBB117_246:
	s_wait_loadcnt 0x1
	global_load_b128 v[0:3], v28, s[6:7]
	s_wait_loadcnt 0x1
	global_load_b128 v[4:7], v27, s[8:9]
	s_and_b32 vcc_lo, exec_lo, s2
	s_cbranch_vccz .LBB117_259
; %bb.247:
	s_wait_loadcnt 0x0
	v_cmp_neq_f64_e32 vcc_lo, v[0:1], v[4:5]
	v_cmp_neq_f64_e64 s0, v[2:3], v[6:7]
	s_or_b32 s14, vcc_lo, s0
	s_cbranch_execnz .LBB117_249
.LBB117_248:
	s_wait_loadcnt 0x0
	v_cmp_eq_f64_e32 vcc_lo, v[0:1], v[4:5]
	v_cmp_eq_f64_e64 s0, v[2:3], v[6:7]
	s_and_not1_b32 s14, s14, exec_lo
	s_and_b32 s0, vcc_lo, s0
	s_delay_alu instid0(SALU_CYCLE_1) | instskip(NEXT) | instid1(SALU_CYCLE_1)
	s_and_b32 s0, s0, exec_lo
	s_or_b32 s14, s14, s0
.LBB117_249:
	s_wait_loadcnt 0x1
	global_load_b128 v[0:3], v31, s[6:7]
	s_wait_loadcnt 0x1
	global_load_b128 v[4:7], v30, s[8:9]
	s_and_b32 vcc_lo, exec_lo, s2
	s_cbranch_vccz .LBB117_260
; %bb.250:
	s_wait_loadcnt 0x0
	v_cmp_neq_f64_e32 vcc_lo, v[0:1], v[4:5]
	v_cmp_neq_f64_e64 s0, v[2:3], v[6:7]
	s_or_b32 s2, vcc_lo, s0
	s_cbranch_execnz .LBB117_252
.LBB117_251:
	s_wait_loadcnt 0x0
	v_cmp_eq_f64_e32 vcc_lo, v[0:1], v[4:5]
	v_cmp_eq_f64_e64 s0, v[2:3], v[6:7]
	s_and_not1_b32 s2, s2, exec_lo
	s_and_b32 s0, vcc_lo, s0
	s_delay_alu instid0(SALU_CYCLE_1) | instskip(NEXT) | instid1(SALU_CYCLE_1)
	s_and_b32 s0, s0, exec_lo
	s_or_b32 s2, s2, s0
.LBB117_252:
	s_wait_loadcnt 0x1
	v_cndmask_b32_e64 v3, 0, 1, s1
	s_wait_loadcnt 0x0
	v_cndmask_b32_e64 v4, 0, 1, s3
	v_cndmask_b32_e64 v5, 0, 1, s10
	;; [unrolled: 1-line block ×7, first 2 shown]
	s_clause 0x7
	global_store_b8 v9, v3, s[4:5]
	global_store_b8 v10, v4, s[4:5]
	;; [unrolled: 1-line block ×8, first 2 shown]
	s_endpgm
.LBB117_253:
                                        ; implicit-def: $sgpr1
	s_branch .LBB117_230
.LBB117_254:
                                        ; implicit-def: $sgpr3
	s_branch .LBB117_233
.LBB117_255:
                                        ; implicit-def: $sgpr10
	s_branch .LBB117_236
.LBB117_256:
                                        ; implicit-def: $sgpr11
	s_branch .LBB117_239
.LBB117_257:
                                        ; implicit-def: $sgpr12
	s_branch .LBB117_242
.LBB117_258:
                                        ; implicit-def: $sgpr13
	s_branch .LBB117_245
.LBB117_259:
                                        ; implicit-def: $sgpr14
	s_branch .LBB117_248
.LBB117_260:
                                        ; implicit-def: $sgpr2
	s_branch .LBB117_251
	.section	.rodata,"a",@progbits
	.p2align	6, 0x0
	.amdhsa_kernel _ZN2at6native32elementwise_kernel_manual_unrollILi128ELi8EZNS0_22gpu_kernel_impl_nocastINS0_13BinaryFunctorIN3c107complexIdEES6_bNS0_12_GLOBAL__N_116CompareEqFunctorIS6_EEEEEEvRNS_18TensorIteratorBaseERKT_EUlibE_EEviT1_
		.amdhsa_group_segment_fixed_size 0
		.amdhsa_private_segment_fixed_size 0
		.amdhsa_kernarg_size 432
		.amdhsa_user_sgpr_count 2
		.amdhsa_user_sgpr_dispatch_ptr 0
		.amdhsa_user_sgpr_queue_ptr 0
		.amdhsa_user_sgpr_kernarg_segment_ptr 1
		.amdhsa_user_sgpr_dispatch_id 0
		.amdhsa_user_sgpr_kernarg_preload_length 0
		.amdhsa_user_sgpr_kernarg_preload_offset 0
		.amdhsa_user_sgpr_private_segment_size 0
		.amdhsa_wavefront_size32 1
		.amdhsa_uses_dynamic_stack 0
		.amdhsa_enable_private_segment 0
		.amdhsa_system_sgpr_workgroup_id_x 1
		.amdhsa_system_sgpr_workgroup_id_y 0
		.amdhsa_system_sgpr_workgroup_id_z 0
		.amdhsa_system_sgpr_workgroup_info 0
		.amdhsa_system_vgpr_workitem_id 0
		.amdhsa_next_free_vgpr 32
		.amdhsa_next_free_sgpr 46
		.amdhsa_named_barrier_count 0
		.amdhsa_reserve_vcc 1
		.amdhsa_float_round_mode_32 0
		.amdhsa_float_round_mode_16_64 0
		.amdhsa_float_denorm_mode_32 3
		.amdhsa_float_denorm_mode_16_64 3
		.amdhsa_fp16_overflow 0
		.amdhsa_memory_ordered 1
		.amdhsa_forward_progress 1
		.amdhsa_inst_pref_size 93
		.amdhsa_round_robin_scheduling 0
		.amdhsa_exception_fp_ieee_invalid_op 0
		.amdhsa_exception_fp_denorm_src 0
		.amdhsa_exception_fp_ieee_div_zero 0
		.amdhsa_exception_fp_ieee_overflow 0
		.amdhsa_exception_fp_ieee_underflow 0
		.amdhsa_exception_fp_ieee_inexact 0
		.amdhsa_exception_int_div_zero 0
	.end_amdhsa_kernel
	.section	.text._ZN2at6native32elementwise_kernel_manual_unrollILi128ELi8EZNS0_22gpu_kernel_impl_nocastINS0_13BinaryFunctorIN3c107complexIdEES6_bNS0_12_GLOBAL__N_116CompareEqFunctorIS6_EEEEEEvRNS_18TensorIteratorBaseERKT_EUlibE_EEviT1_,"axG",@progbits,_ZN2at6native32elementwise_kernel_manual_unrollILi128ELi8EZNS0_22gpu_kernel_impl_nocastINS0_13BinaryFunctorIN3c107complexIdEES6_bNS0_12_GLOBAL__N_116CompareEqFunctorIS6_EEEEEEvRNS_18TensorIteratorBaseERKT_EUlibE_EEviT1_,comdat
.Lfunc_end117:
	.size	_ZN2at6native32elementwise_kernel_manual_unrollILi128ELi8EZNS0_22gpu_kernel_impl_nocastINS0_13BinaryFunctorIN3c107complexIdEES6_bNS0_12_GLOBAL__N_116CompareEqFunctorIS6_EEEEEEvRNS_18TensorIteratorBaseERKT_EUlibE_EEviT1_, .Lfunc_end117-_ZN2at6native32elementwise_kernel_manual_unrollILi128ELi8EZNS0_22gpu_kernel_impl_nocastINS0_13BinaryFunctorIN3c107complexIdEES6_bNS0_12_GLOBAL__N_116CompareEqFunctorIS6_EEEEEEvRNS_18TensorIteratorBaseERKT_EUlibE_EEviT1_
                                        ; -- End function
	.set _ZN2at6native32elementwise_kernel_manual_unrollILi128ELi8EZNS0_22gpu_kernel_impl_nocastINS0_13BinaryFunctorIN3c107complexIdEES6_bNS0_12_GLOBAL__N_116CompareEqFunctorIS6_EEEEEEvRNS_18TensorIteratorBaseERKT_EUlibE_EEviT1_.num_vgpr, 32
	.set _ZN2at6native32elementwise_kernel_manual_unrollILi128ELi8EZNS0_22gpu_kernel_impl_nocastINS0_13BinaryFunctorIN3c107complexIdEES6_bNS0_12_GLOBAL__N_116CompareEqFunctorIS6_EEEEEEvRNS_18TensorIteratorBaseERKT_EUlibE_EEviT1_.num_agpr, 0
	.set _ZN2at6native32elementwise_kernel_manual_unrollILi128ELi8EZNS0_22gpu_kernel_impl_nocastINS0_13BinaryFunctorIN3c107complexIdEES6_bNS0_12_GLOBAL__N_116CompareEqFunctorIS6_EEEEEEvRNS_18TensorIteratorBaseERKT_EUlibE_EEviT1_.numbered_sgpr, 46
	.set _ZN2at6native32elementwise_kernel_manual_unrollILi128ELi8EZNS0_22gpu_kernel_impl_nocastINS0_13BinaryFunctorIN3c107complexIdEES6_bNS0_12_GLOBAL__N_116CompareEqFunctorIS6_EEEEEEvRNS_18TensorIteratorBaseERKT_EUlibE_EEviT1_.num_named_barrier, 0
	.set _ZN2at6native32elementwise_kernel_manual_unrollILi128ELi8EZNS0_22gpu_kernel_impl_nocastINS0_13BinaryFunctorIN3c107complexIdEES6_bNS0_12_GLOBAL__N_116CompareEqFunctorIS6_EEEEEEvRNS_18TensorIteratorBaseERKT_EUlibE_EEviT1_.private_seg_size, 0
	.set _ZN2at6native32elementwise_kernel_manual_unrollILi128ELi8EZNS0_22gpu_kernel_impl_nocastINS0_13BinaryFunctorIN3c107complexIdEES6_bNS0_12_GLOBAL__N_116CompareEqFunctorIS6_EEEEEEvRNS_18TensorIteratorBaseERKT_EUlibE_EEviT1_.uses_vcc, 1
	.set _ZN2at6native32elementwise_kernel_manual_unrollILi128ELi8EZNS0_22gpu_kernel_impl_nocastINS0_13BinaryFunctorIN3c107complexIdEES6_bNS0_12_GLOBAL__N_116CompareEqFunctorIS6_EEEEEEvRNS_18TensorIteratorBaseERKT_EUlibE_EEviT1_.uses_flat_scratch, 0
	.set _ZN2at6native32elementwise_kernel_manual_unrollILi128ELi8EZNS0_22gpu_kernel_impl_nocastINS0_13BinaryFunctorIN3c107complexIdEES6_bNS0_12_GLOBAL__N_116CompareEqFunctorIS6_EEEEEEvRNS_18TensorIteratorBaseERKT_EUlibE_EEviT1_.has_dyn_sized_stack, 0
	.set _ZN2at6native32elementwise_kernel_manual_unrollILi128ELi8EZNS0_22gpu_kernel_impl_nocastINS0_13BinaryFunctorIN3c107complexIdEES6_bNS0_12_GLOBAL__N_116CompareEqFunctorIS6_EEEEEEvRNS_18TensorIteratorBaseERKT_EUlibE_EEviT1_.has_recursion, 0
	.set _ZN2at6native32elementwise_kernel_manual_unrollILi128ELi8EZNS0_22gpu_kernel_impl_nocastINS0_13BinaryFunctorIN3c107complexIdEES6_bNS0_12_GLOBAL__N_116CompareEqFunctorIS6_EEEEEEvRNS_18TensorIteratorBaseERKT_EUlibE_EEviT1_.has_indirect_call, 0
	.section	.AMDGPU.csdata,"",@progbits
; Kernel info:
; codeLenInByte = 11888
; TotalNumSgprs: 48
; NumVgprs: 32
; ScratchSize: 0
; MemoryBound: 1
; FloatMode: 240
; IeeeMode: 1
; LDSByteSize: 0 bytes/workgroup (compile time only)
; SGPRBlocks: 0
; VGPRBlocks: 1
; NumSGPRsForWavesPerEU: 48
; NumVGPRsForWavesPerEU: 32
; NamedBarCnt: 0
; Occupancy: 16
; WaveLimiterHint : 1
; COMPUTE_PGM_RSRC2:SCRATCH_EN: 0
; COMPUTE_PGM_RSRC2:USER_SGPR: 2
; COMPUTE_PGM_RSRC2:TRAP_HANDLER: 0
; COMPUTE_PGM_RSRC2:TGID_X_EN: 1
; COMPUTE_PGM_RSRC2:TGID_Y_EN: 0
; COMPUTE_PGM_RSRC2:TGID_Z_EN: 0
; COMPUTE_PGM_RSRC2:TIDIG_COMP_CNT: 0
	.section	.text._ZN2at6native32elementwise_kernel_manual_unrollILi128ELi4EZNS0_15gpu_kernel_implINS0_13BinaryFunctorIN3c107complexIdEES6_bNS0_12_GLOBAL__N_116CompareEqFunctorIS6_EEEEEEvRNS_18TensorIteratorBaseERKT_EUlibE_EEviT1_,"axG",@progbits,_ZN2at6native32elementwise_kernel_manual_unrollILi128ELi4EZNS0_15gpu_kernel_implINS0_13BinaryFunctorIN3c107complexIdEES6_bNS0_12_GLOBAL__N_116CompareEqFunctorIS6_EEEEEEvRNS_18TensorIteratorBaseERKT_EUlibE_EEviT1_,comdat
	.globl	_ZN2at6native32elementwise_kernel_manual_unrollILi128ELi4EZNS0_15gpu_kernel_implINS0_13BinaryFunctorIN3c107complexIdEES6_bNS0_12_GLOBAL__N_116CompareEqFunctorIS6_EEEEEEvRNS_18TensorIteratorBaseERKT_EUlibE_EEviT1_ ; -- Begin function _ZN2at6native32elementwise_kernel_manual_unrollILi128ELi4EZNS0_15gpu_kernel_implINS0_13BinaryFunctorIN3c107complexIdEES6_bNS0_12_GLOBAL__N_116CompareEqFunctorIS6_EEEEEEvRNS_18TensorIteratorBaseERKT_EUlibE_EEviT1_
	.p2align	8
	.type	_ZN2at6native32elementwise_kernel_manual_unrollILi128ELi4EZNS0_15gpu_kernel_implINS0_13BinaryFunctorIN3c107complexIdEES6_bNS0_12_GLOBAL__N_116CompareEqFunctorIS6_EEEEEEvRNS_18TensorIteratorBaseERKT_EUlibE_EEviT1_,@function
_ZN2at6native32elementwise_kernel_manual_unrollILi128ELi4EZNS0_15gpu_kernel_implINS0_13BinaryFunctorIN3c107complexIdEES6_bNS0_12_GLOBAL__N_116CompareEqFunctorIS6_EEEEEEvRNS_18TensorIteratorBaseERKT_EUlibE_EEviT1_: ; @_ZN2at6native32elementwise_kernel_manual_unrollILi128ELi4EZNS0_15gpu_kernel_implINS0_13BinaryFunctorIN3c107complexIdEES6_bNS0_12_GLOBAL__N_116CompareEqFunctorIS6_EEEEEEvRNS_18TensorIteratorBaseERKT_EUlibE_EEviT1_
; %bb.0:
	s_load_b32 s12, s[0:1], 0x30
	s_bfe_u32 s2, ttmp6, 0x4000c
	s_clause 0x1
	s_load_b32 s17, s[0:1], 0x0
	s_load_b128 s[4:7], s[0:1], 0x8
	s_add_co_i32 s14, s2, 1
	s_clause 0x1
	s_load_b64 s[2:3], s[0:1], 0x18
	s_load_b128 s[8:11], s[0:1], 0x20
	s_and_b32 s13, ttmp6, 15
	s_wait_xcnt 0x0
	s_mul_i32 s0, ttmp9, s14
	s_getreg_b32 s15, hwreg(HW_REG_IB_STS2, 6, 4)
	s_add_co_i32 s13, s13, s0
	s_mov_b32 s16, 0
	s_wait_kmcnt 0x0
	s_lshr_b32 s14, s12, 8
	s_lshr_b32 s1, s12, 16
	s_cmp_eq_u32 s15, 0
	s_cselect_b32 s0, ttmp9, s13
	s_mov_b32 s13, 0
	v_lshl_or_b32 v14, s0, 9, v0
	s_mov_b32 s0, exec_lo
	s_delay_alu instid0(VALU_DEP_1) | instskip(NEXT) | instid1(VALU_DEP_1)
	v_or_b32_e32 v0, 0x180, v14
	v_cmpx_le_i32_e64 s17, v0
	s_xor_b32 s15, exec_lo, s0
	s_cbranch_execz .LBB118_1604
; %bb.1:
	s_cmp_lg_u32 s11, 0
	s_mov_b32 s22, 0
	s_cselect_b32 s16, -1, 0
	s_mov_b32 s25, -1
	s_mov_b32 s20, 0
	s_mov_b32 s19, 0
	;; [unrolled: 1-line block ×3, first 2 shown]
	s_mov_b32 s21, exec_lo
	v_cmpx_gt_i32_e64 s17, v14
	s_cbranch_execz .LBB118_395
; %bb.2:
	v_mul_lo_u32 v0, v14, s9
	s_and_b32 s0, s14, 0xff
	s_delay_alu instid0(SALU_CYCLE_1) | instskip(NEXT) | instid1(VALU_DEP_1)
	s_cmp_lt_i32 s0, 11
	v_ashrrev_i32_e32 v1, 31, v0
	s_delay_alu instid0(VALU_DEP_1)
	v_add_nc_u64_e32 v[4:5], s[6:7], v[0:1]
	s_cbranch_scc1 .LBB118_9
; %bb.3:
	s_and_b32 s18, 0xffff, s0
	s_delay_alu instid0(SALU_CYCLE_1)
	s_cmp_gt_i32 s18, 25
	s_cbranch_scc0 .LBB118_18
; %bb.4:
	s_cmp_gt_i32 s18, 28
	s_cbranch_scc0 .LBB118_31
; %bb.5:
	;; [unrolled: 3-line block ×4, first 2 shown]
	s_cmp_eq_u32 s18, 46
	s_mov_b32 s23, 0
	s_cbranch_scc0 .LBB118_41
; %bb.8:
	global_load_b32 v0, v[4:5], off
	s_mov_b32 s19, -1
	s_wait_loadcnt 0x0
	v_lshlrev_b32_e32 v1, 16, v0
	v_and_b32_e32 v2, 0xffff0000, v0
	s_delay_alu instid0(VALU_DEP_2) | instskip(NEXT) | instid1(VALU_DEP_2)
	v_cvt_f64_f32_e32 v[0:1], v1
	v_cvt_f64_f32_e32 v[2:3], v2
	s_branch .LBB118_43
.LBB118_9:
                                        ; implicit-def: $vgpr2_vgpr3
	s_cbranch_execnz .LBB118_111
.LBB118_10:
	s_and_not1_b32 vcc_lo, exec_lo, s19
	s_cbranch_vccnz .LBB118_160
.LBB118_11:
	s_wait_xcnt 0x0
	v_mul_lo_u32 v4, v14, s10
	s_and_b32 s0, s1, 0xff
	s_delay_alu instid0(SALU_CYCLE_1) | instskip(NEXT) | instid1(VALU_DEP_1)
	s_cmp_lt_i32 s0, 11
	v_ashrrev_i32_e32 v5, 31, v4
	s_delay_alu instid0(VALU_DEP_1)
	v_add_nc_u64_e32 v[8:9], s[2:3], v[4:5]
	s_cbranch_scc1 .LBB118_19
; %bb.12:
	s_and_b32 s18, 0xffff, s0
	s_delay_alu instid0(SALU_CYCLE_1)
	s_cmp_gt_i32 s18, 25
	s_cbranch_scc0 .LBB118_32
; %bb.13:
	s_cmp_gt_i32 s18, 28
	s_cbranch_scc0 .LBB118_36
; %bb.14:
	;; [unrolled: 3-line block ×4, first 2 shown]
	s_cmp_eq_u32 s18, 46
	s_mov_b32 s24, 0
	s_cbranch_scc0 .LBB118_161
; %bb.17:
	global_load_b32 v4, v[8:9], off
	s_mov_b32 s23, -1
	s_mov_b32 s19, 0
	s_wait_loadcnt 0x0
	v_lshlrev_b32_e32 v5, 16, v4
	v_and_b32_e32 v6, 0xffff0000, v4
	s_delay_alu instid0(VALU_DEP_2) | instskip(NEXT) | instid1(VALU_DEP_2)
	v_cvt_f64_f32_e32 v[4:5], v5
	v_cvt_f64_f32_e32 v[6:7], v6
	s_branch .LBB118_163
.LBB118_18:
                                        ; implicit-def: $vgpr2_vgpr3
	s_cbranch_execnz .LBB118_76
	s_branch .LBB118_110
.LBB118_19:
	s_mov_b32 s19, 0
	s_mov_b32 s23, 0
                                        ; implicit-def: $vgpr6_vgpr7
	s_cbranch_execnz .LBB118_342
.LBB118_20:
	s_and_not1_b32 vcc_lo, exec_lo, s23
	s_cbranch_vccnz .LBB118_392
.LBB118_21:
	s_and_b32 vcc_lo, exec_lo, s16
	s_cbranch_vccz .LBB118_34
; %bb.22:
	s_wait_loadcnt 0x0
	s_delay_alu instid0(VALU_DEP_1) | instskip(NEXT) | instid1(VALU_DEP_2)
	v_cmp_neq_f64_e32 vcc_lo, v[0:1], v[4:5]
	v_cmp_neq_f64_e64 s0, v[2:3], v[6:7]
	s_or_b32 s18, vcc_lo, s0
	s_cbranch_execnz .LBB118_24
.LBB118_23:
	s_wait_loadcnt 0x0
	s_delay_alu instid0(VALU_DEP_1) | instskip(NEXT) | instid1(VALU_DEP_2)
	v_cmp_eq_f64_e32 vcc_lo, v[0:1], v[4:5]
	v_cmp_eq_f64_e64 s0, v[2:3], v[6:7]
	s_and_not1_b32 s18, s18, exec_lo
	s_and_b32 s0, vcc_lo, s0
	s_delay_alu instid0(SALU_CYCLE_1) | instskip(NEXT) | instid1(SALU_CYCLE_1)
	s_and_b32 s0, s0, exec_lo
	s_or_b32 s18, s18, s0
.LBB118_24:
	s_wait_loadcnt 0x0
	v_mul_lo_u32 v0, v14, s8
	s_and_b32 s23, s12, 0xff
	s_delay_alu instid0(SALU_CYCLE_1) | instskip(NEXT) | instid1(VALU_DEP_1)
	s_cmp_lt_i32 s23, 11
	v_ashrrev_i32_e32 v1, 31, v0
	s_delay_alu instid0(VALU_DEP_1)
	v_add_nc_u64_e32 v[0:1], s[4:5], v[0:1]
	s_cbranch_scc1 .LBB118_33
; %bb.25:
	s_and_b32 s24, 0xffff, s23
	s_delay_alu instid0(SALU_CYCLE_1)
	s_cmp_gt_i32 s24, 25
	s_cbranch_scc0 .LBB118_37
; %bb.26:
	s_cmp_gt_i32 s24, 28
	s_cbranch_scc0 .LBB118_40
; %bb.27:
	;; [unrolled: 3-line block ×4, first 2 shown]
	s_mov_b32 s26, 0
	s_mov_b32 s0, -1
	s_cmp_eq_u32 s24, 46
	s_mov_b32 s25, 0
	s_cbranch_scc0 .LBB118_167
; %bb.30:
	v_cndmask_b32_e64 v2, 0, 1.0, s18
	s_mov_b32 s25, -1
	s_mov_b32 s0, 0
	s_delay_alu instid0(VALU_DEP_1) | instskip(NEXT) | instid1(VALU_DEP_1)
	v_bfe_u32 v3, v2, 16, 1
	v_add3_u32 v2, v2, v3, 0x7fff
	s_delay_alu instid0(VALU_DEP_1)
	v_lshrrev_b32_e32 v2, 16, v2
	global_store_b32 v[0:1], v2, off
	s_branch .LBB118_167
.LBB118_31:
	s_mov_b32 s23, -1
                                        ; implicit-def: $vgpr2_vgpr3
	s_branch .LBB118_57
.LBB118_32:
	s_mov_b32 s24, -1
	s_mov_b32 s19, 0
	s_mov_b32 s23, 0
                                        ; implicit-def: $vgpr6_vgpr7
	s_branch .LBB118_305
.LBB118_33:
	s_mov_b32 s24, -1
	s_mov_b32 s0, 0
	s_mov_b32 s25, 0
	s_branch .LBB118_236
.LBB118_34:
                                        ; implicit-def: $sgpr18
	s_branch .LBB118_23
.LBB118_35:
	s_mov_b32 s23, -1
                                        ; implicit-def: $vgpr2_vgpr3
	s_branch .LBB118_51
.LBB118_36:
	s_mov_b32 s24, -1
	s_mov_b32 s19, 0
	s_mov_b32 s23, 0
                                        ; implicit-def: $vgpr6_vgpr7
	s_branch .LBB118_286
.LBB118_37:
	s_mov_b32 s26, -1
	s_mov_b32 s0, 0
	s_mov_b32 s25, 0
	s_branch .LBB118_194
.LBB118_38:
	s_mov_b32 s23, -1
	s_branch .LBB118_42
.LBB118_39:
	s_mov_b32 s24, -1
	s_mov_b32 s19, 0
	s_mov_b32 s23, 0
                                        ; implicit-def: $vgpr6_vgpr7
	s_branch .LBB118_280
.LBB118_40:
	s_mov_b32 s26, -1
	s_mov_b32 s0, 0
	s_mov_b32 s25, 0
	s_branch .LBB118_177
.LBB118_41:
	s_mov_b32 s20, -1
.LBB118_42:
                                        ; implicit-def: $vgpr2_vgpr3
.LBB118_43:
	s_and_b32 vcc_lo, exec_lo, s23
	s_cbranch_vccz .LBB118_50
; %bb.44:
	s_cmp_eq_u32 s18, 44
	s_cbranch_scc0 .LBB118_48
; %bb.45:
	global_load_u8 v2, v[4:5], off
	s_mov_b32 s20, 0
	s_mov_b32 s19, -1
	s_wait_loadcnt 0x0
	v_cmp_ne_u32_e32 vcc_lo, 0xff, v2
	v_lshlrev_b32_e32 v0, 23, v2
	s_delay_alu instid0(VALU_DEP_1) | instskip(NEXT) | instid1(VALU_DEP_1)
	v_cvt_f64_f32_e32 v[0:1], v0
	v_cndmask_b32_e32 v0, 0x20000000, v0, vcc_lo
	s_delay_alu instid0(VALU_DEP_2) | instskip(SKIP_1) | instid1(VALU_DEP_2)
	v_cndmask_b32_e32 v1, 0x7ff80000, v1, vcc_lo
	v_cmp_ne_u32_e32 vcc_lo, 0, v2
	v_cndmask_b32_e32 v1, 0x38000000, v1, vcc_lo
	s_delay_alu instid0(VALU_DEP_4)
	v_cndmask_b32_e32 v0, 0, v0, vcc_lo
	s_branch .LBB118_49
.LBB118_46:
	s_mov_b32 s24, -1
	s_mov_b32 s19, 0
	s_branch .LBB118_162
.LBB118_47:
	s_mov_b32 s26, -1
	s_mov_b32 s0, 0
	s_mov_b32 s25, 0
	s_branch .LBB118_173
.LBB118_48:
	s_mov_b32 s20, -1
                                        ; implicit-def: $vgpr0_vgpr1
.LBB118_49:
	v_mov_b64_e32 v[2:3], 0
.LBB118_50:
	s_mov_b32 s23, 0
.LBB118_51:
	s_delay_alu instid0(SALU_CYCLE_1)
	s_and_b32 vcc_lo, exec_lo, s23
	s_cbranch_vccz .LBB118_56
; %bb.52:
	s_cmp_eq_u32 s18, 29
	s_cbranch_scc0 .LBB118_54
; %bb.53:
	global_load_b64 v[0:1], v[4:5], off
	s_mov_b32 s19, -1
	s_mov_b32 s20, 0
	s_wait_loadcnt 0x0
	v_cvt_f64_u32_e32 v[2:3], v1
	v_cvt_f64_u32_e32 v[0:1], v0
	s_delay_alu instid0(VALU_DEP_2) | instskip(NEXT) | instid1(VALU_DEP_1)
	v_ldexp_f64 v[2:3], v[2:3], 32
	v_add_f64_e32 v[0:1], v[2:3], v[0:1]
	s_branch .LBB118_55
.LBB118_54:
	s_mov_b32 s20, -1
                                        ; implicit-def: $vgpr0_vgpr1
.LBB118_55:
	v_mov_b64_e32 v[2:3], 0
.LBB118_56:
	s_mov_b32 s23, 0
.LBB118_57:
	s_delay_alu instid0(SALU_CYCLE_1)
	s_and_b32 vcc_lo, exec_lo, s23
	s_cbranch_vccz .LBB118_75
; %bb.58:
	s_cmp_lt_i32 s18, 27
	s_cbranch_scc1 .LBB118_61
; %bb.59:
	s_cmp_gt_i32 s18, 27
	s_cbranch_scc0 .LBB118_62
; %bb.60:
	global_load_b32 v0, v[4:5], off
	s_mov_b32 s19, 0
	s_wait_loadcnt 0x0
	v_cvt_f64_u32_e32 v[0:1], v0
	s_branch .LBB118_63
.LBB118_61:
	s_mov_b32 s19, -1
                                        ; implicit-def: $vgpr0_vgpr1
	s_branch .LBB118_66
.LBB118_62:
	s_mov_b32 s19, -1
                                        ; implicit-def: $vgpr0_vgpr1
.LBB118_63:
	s_delay_alu instid0(SALU_CYCLE_1)
	s_and_not1_b32 vcc_lo, exec_lo, s19
	s_cbranch_vccnz .LBB118_65
; %bb.64:
	global_load_u16 v0, v[4:5], off
	s_wait_loadcnt 0x0
	v_cvt_f64_u32_e32 v[0:1], v0
.LBB118_65:
	s_mov_b32 s19, 0
.LBB118_66:
	s_delay_alu instid0(SALU_CYCLE_1)
	s_and_not1_b32 vcc_lo, exec_lo, s19
	s_cbranch_vccnz .LBB118_74
; %bb.67:
	global_load_u8 v2, v[4:5], off
	s_mov_b32 s19, 0
	s_mov_b32 s23, exec_lo
	s_wait_loadcnt 0x0
	v_cmpx_lt_i16_e32 0x7f, v2
	s_xor_b32 s23, exec_lo, s23
	s_cbranch_execz .LBB118_87
; %bb.68:
	s_mov_b32 s19, -1
	s_mov_b32 s24, exec_lo
	v_cmpx_eq_u16_e32 0x80, v2
; %bb.69:
	s_xor_b32 s19, exec_lo, -1
; %bb.70:
	s_or_b32 exec_lo, exec_lo, s24
	s_delay_alu instid0(SALU_CYCLE_1)
	s_and_b32 s19, s19, exec_lo
	s_or_saveexec_b32 s23, s23
	v_mov_b64_e32 v[0:1], 0x7ff8000020000000
	s_xor_b32 exec_lo, exec_lo, s23
	s_cbranch_execnz .LBB118_88
.LBB118_71:
	s_or_b32 exec_lo, exec_lo, s23
	s_and_saveexec_b32 s23, s19
	s_cbranch_execz .LBB118_73
.LBB118_72:
	v_and_b32_e32 v0, 0xffff, v2
	s_delay_alu instid0(VALU_DEP_1) | instskip(SKIP_1) | instid1(VALU_DEP_2)
	v_and_b32_e32 v1, 7, v0
	v_bfe_u32 v7, v0, 3, 4
	v_clz_i32_u32_e32 v3, v1
	s_delay_alu instid0(VALU_DEP_2) | instskip(NEXT) | instid1(VALU_DEP_2)
	v_cmp_eq_u32_e32 vcc_lo, 0, v7
	v_min_u32_e32 v3, 32, v3
	s_delay_alu instid0(VALU_DEP_1) | instskip(NEXT) | instid1(VALU_DEP_1)
	v_subrev_nc_u32_e32 v6, 28, v3
	v_dual_lshlrev_b32 v0, v6, v0 :: v_dual_sub_nc_u32 v3, 29, v3
	s_delay_alu instid0(VALU_DEP_1) | instskip(NEXT) | instid1(VALU_DEP_1)
	v_dual_lshlrev_b32 v2, 24, v2 :: v_dual_bitop2_b32 v0, 7, v0 bitop3:0x40
	v_dual_cndmask_b32 v3, v7, v3 :: v_dual_cndmask_b32 v0, v1, v0
	s_delay_alu instid0(VALU_DEP_2) | instskip(NEXT) | instid1(VALU_DEP_2)
	v_and_b32_e32 v1, 0x80000000, v2
	v_lshl_add_u32 v2, v3, 23, 0x3b800000
	s_delay_alu instid0(VALU_DEP_3) | instskip(NEXT) | instid1(VALU_DEP_1)
	v_lshlrev_b32_e32 v0, 20, v0
	v_or3_b32 v0, v1, v2, v0
	s_delay_alu instid0(VALU_DEP_1)
	v_cvt_f64_f32_e32 v[0:1], v0
.LBB118_73:
	s_or_b32 exec_lo, exec_lo, s23
.LBB118_74:
	v_mov_b64_e32 v[2:3], 0
	s_mov_b32 s19, -1
.LBB118_75:
	s_branch .LBB118_110
.LBB118_76:
	s_cmp_gt_i32 s18, 22
	s_cbranch_scc0 .LBB118_86
; %bb.77:
	s_cmp_lt_i32 s18, 24
	s_cbranch_scc1 .LBB118_89
; %bb.78:
	s_cmp_gt_i32 s18, 24
	s_cbranch_scc0 .LBB118_90
; %bb.79:
	global_load_u8 v2, v[4:5], off
	s_mov_b32 s19, 0
	s_mov_b32 s23, exec_lo
	s_wait_loadcnt 0x0
	v_cmpx_lt_i16_e32 0x7f, v2
	s_xor_b32 s23, exec_lo, s23
	s_cbranch_execz .LBB118_101
; %bb.80:
	s_mov_b32 s19, -1
	s_mov_b32 s24, exec_lo
	v_cmpx_eq_u16_e32 0x80, v2
; %bb.81:
	s_xor_b32 s19, exec_lo, -1
; %bb.82:
	s_or_b32 exec_lo, exec_lo, s24
	s_delay_alu instid0(SALU_CYCLE_1)
	s_and_b32 s19, s19, exec_lo
	s_or_saveexec_b32 s23, s23
	v_mov_b64_e32 v[0:1], 0x7ff8000020000000
	s_xor_b32 exec_lo, exec_lo, s23
	s_cbranch_execnz .LBB118_102
.LBB118_83:
	s_or_b32 exec_lo, exec_lo, s23
	s_and_saveexec_b32 s23, s19
	s_cbranch_execz .LBB118_85
.LBB118_84:
	v_and_b32_e32 v0, 0xffff, v2
	s_delay_alu instid0(VALU_DEP_1) | instskip(SKIP_1) | instid1(VALU_DEP_2)
	v_and_b32_e32 v1, 3, v0
	v_bfe_u32 v7, v0, 2, 5
	v_clz_i32_u32_e32 v3, v1
	s_delay_alu instid0(VALU_DEP_2) | instskip(NEXT) | instid1(VALU_DEP_2)
	v_cmp_eq_u32_e32 vcc_lo, 0, v7
	v_min_u32_e32 v3, 32, v3
	s_delay_alu instid0(VALU_DEP_1) | instskip(NEXT) | instid1(VALU_DEP_1)
	v_subrev_nc_u32_e32 v6, 29, v3
	v_dual_lshlrev_b32 v0, v6, v0 :: v_dual_sub_nc_u32 v3, 30, v3
	s_delay_alu instid0(VALU_DEP_1) | instskip(NEXT) | instid1(VALU_DEP_1)
	v_dual_lshlrev_b32 v2, 24, v2 :: v_dual_bitop2_b32 v0, 3, v0 bitop3:0x40
	v_dual_cndmask_b32 v3, v7, v3 :: v_dual_cndmask_b32 v0, v1, v0
	s_delay_alu instid0(VALU_DEP_2) | instskip(NEXT) | instid1(VALU_DEP_2)
	v_and_b32_e32 v1, 0x80000000, v2
	v_lshl_add_u32 v2, v3, 23, 0x37800000
	s_delay_alu instid0(VALU_DEP_3) | instskip(NEXT) | instid1(VALU_DEP_1)
	v_lshlrev_b32_e32 v0, 21, v0
	v_or3_b32 v0, v1, v2, v0
	s_delay_alu instid0(VALU_DEP_1)
	v_cvt_f64_f32_e32 v[0:1], v0
.LBB118_85:
	s_or_b32 exec_lo, exec_lo, s23
	s_mov_b32 s19, 0
	s_branch .LBB118_91
.LBB118_86:
                                        ; implicit-def: $vgpr0_vgpr1
	s_branch .LBB118_97
.LBB118_87:
	s_or_saveexec_b32 s23, s23
	v_mov_b64_e32 v[0:1], 0x7ff8000020000000
	s_xor_b32 exec_lo, exec_lo, s23
	s_cbranch_execz .LBB118_71
.LBB118_88:
	v_cmp_ne_u16_e32 vcc_lo, 0, v2
	v_mov_b64_e32 v[0:1], 0
	s_and_not1_b32 s19, s19, exec_lo
	s_and_b32 s24, vcc_lo, exec_lo
	s_delay_alu instid0(SALU_CYCLE_1)
	s_or_b32 s19, s19, s24
	s_or_b32 exec_lo, exec_lo, s23
	s_and_saveexec_b32 s23, s19
	s_cbranch_execnz .LBB118_72
	s_branch .LBB118_73
.LBB118_89:
	s_mov_b32 s19, -1
                                        ; implicit-def: $vgpr0_vgpr1
	s_branch .LBB118_94
.LBB118_90:
	s_mov_b32 s19, -1
                                        ; implicit-def: $vgpr0_vgpr1
.LBB118_91:
	s_delay_alu instid0(SALU_CYCLE_1)
	s_and_b32 vcc_lo, exec_lo, s19
	s_cbranch_vccz .LBB118_93
; %bb.92:
	global_load_u8 v0, v[4:5], off
	s_wait_loadcnt 0x0
	v_lshlrev_b32_e32 v0, 24, v0
	s_delay_alu instid0(VALU_DEP_1) | instskip(NEXT) | instid1(VALU_DEP_1)
	v_and_b32_e32 v1, 0x7f000000, v0
	v_clz_i32_u32_e32 v2, v1
	v_cmp_ne_u32_e32 vcc_lo, 0, v1
	v_add_nc_u32_e32 v6, 0x1000000, v1
	s_delay_alu instid0(VALU_DEP_3) | instskip(NEXT) | instid1(VALU_DEP_1)
	v_min_u32_e32 v2, 32, v2
	v_sub_nc_u32_e64 v2, v2, 4 clamp
	s_delay_alu instid0(VALU_DEP_1) | instskip(NEXT) | instid1(VALU_DEP_1)
	v_dual_lshlrev_b32 v3, v2, v1 :: v_dual_lshlrev_b32 v2, 23, v2
	v_lshrrev_b32_e32 v3, 4, v3
	s_delay_alu instid0(VALU_DEP_1) | instskip(SKIP_1) | instid1(VALU_DEP_2)
	v_sub_nc_u32_e32 v2, v3, v2
	v_ashrrev_i32_e32 v3, 8, v6
	v_add_nc_u32_e32 v2, 0x3c000000, v2
	s_delay_alu instid0(VALU_DEP_1) | instskip(NEXT) | instid1(VALU_DEP_1)
	v_and_or_b32 v2, 0x7f800000, v3, v2
	v_cndmask_b32_e32 v1, 0, v2, vcc_lo
	s_delay_alu instid0(VALU_DEP_1) | instskip(NEXT) | instid1(VALU_DEP_1)
	v_and_or_b32 v0, 0x80000000, v0, v1
	v_cvt_f64_f32_e32 v[0:1], v0
.LBB118_93:
	s_mov_b32 s19, 0
.LBB118_94:
	s_delay_alu instid0(SALU_CYCLE_1)
	s_and_not1_b32 vcc_lo, exec_lo, s19
	s_cbranch_vccnz .LBB118_96
; %bb.95:
	global_load_u8 v0, v[4:5], off
	s_wait_loadcnt 0x0
	v_lshlrev_b32_e32 v1, 25, v0
	v_lshlrev_b16 v0, 8, v0
	s_delay_alu instid0(VALU_DEP_1) | instskip(SKIP_1) | instid1(VALU_DEP_2)
	v_and_or_b32 v3, 0x7f00, v0, 0.5
	v_bfe_i32 v0, v0, 0, 16
	v_dual_add_f32 v3, -0.5, v3 :: v_dual_lshrrev_b32 v2, 4, v1
	v_cmp_gt_u32_e32 vcc_lo, 0x8000000, v1
	s_delay_alu instid0(VALU_DEP_2) | instskip(NEXT) | instid1(VALU_DEP_1)
	v_or_b32_e32 v2, 0x70000000, v2
	v_mul_f32_e32 v2, 0x7800000, v2
	s_delay_alu instid0(VALU_DEP_1) | instskip(NEXT) | instid1(VALU_DEP_1)
	v_cndmask_b32_e32 v1, v2, v3, vcc_lo
	v_and_or_b32 v0, 0x80000000, v0, v1
	s_delay_alu instid0(VALU_DEP_1)
	v_cvt_f64_f32_e32 v[0:1], v0
.LBB118_96:
	s_mov_b32 s19, -1
	s_cbranch_execnz .LBB118_109
.LBB118_97:
	s_cmp_gt_i32 s18, 14
	s_cbranch_scc0 .LBB118_100
; %bb.98:
	s_cmp_eq_u32 s18, 15
	s_cbranch_scc0 .LBB118_103
; %bb.99:
	global_load_u16 v0, v[4:5], off
	s_mov_b32 s19, -1
	s_mov_b32 s20, 0
	s_wait_loadcnt 0x0
	v_lshlrev_b32_e32 v0, 16, v0
	s_delay_alu instid0(VALU_DEP_1)
	v_cvt_f64_f32_e32 v[0:1], v0
	s_branch .LBB118_104
.LBB118_100:
	s_mov_b32 s23, -1
                                        ; implicit-def: $vgpr0_vgpr1
	s_branch .LBB118_105
.LBB118_101:
	s_or_saveexec_b32 s23, s23
	v_mov_b64_e32 v[0:1], 0x7ff8000020000000
	s_xor_b32 exec_lo, exec_lo, s23
	s_cbranch_execz .LBB118_83
.LBB118_102:
	v_cmp_ne_u16_e32 vcc_lo, 0, v2
	v_mov_b64_e32 v[0:1], 0
	s_and_not1_b32 s19, s19, exec_lo
	s_and_b32 s24, vcc_lo, exec_lo
	s_delay_alu instid0(SALU_CYCLE_1)
	s_or_b32 s19, s19, s24
	s_or_b32 exec_lo, exec_lo, s23
	s_and_saveexec_b32 s23, s19
	s_cbranch_execnz .LBB118_84
	s_branch .LBB118_85
.LBB118_103:
	s_mov_b32 s20, -1
                                        ; implicit-def: $vgpr0_vgpr1
.LBB118_104:
	s_mov_b32 s23, 0
.LBB118_105:
	s_delay_alu instid0(SALU_CYCLE_1)
	s_and_b32 vcc_lo, exec_lo, s23
	s_cbranch_vccz .LBB118_109
; %bb.106:
	s_cmp_eq_u32 s18, 11
	s_cbranch_scc0 .LBB118_108
; %bb.107:
	global_load_u8 v0, v[4:5], off
	s_mov_b32 s20, 0
	s_mov_b32 s19, -1
	v_mov_b64_e32 v[2:3], 0
	s_wait_loadcnt 0x0
	v_cmp_ne_u16_e32 vcc_lo, 0, v0
	v_mov_b32_e32 v0, 0
	v_cndmask_b32_e64 v1, 0, 0x3ff00000, vcc_lo
	s_branch .LBB118_110
.LBB118_108:
	s_mov_b32 s20, -1
                                        ; implicit-def: $vgpr0_vgpr1
.LBB118_109:
	v_mov_b64_e32 v[2:3], 0
.LBB118_110:
	s_branch .LBB118_10
.LBB118_111:
	s_and_b32 s0, 0xffff, s0
	s_delay_alu instid0(SALU_CYCLE_1)
	s_cmp_lt_i32 s0, 5
	s_cbranch_scc1 .LBB118_116
; %bb.112:
	s_cmp_lt_i32 s0, 8
	s_cbranch_scc1 .LBB118_117
; %bb.113:
	;; [unrolled: 3-line block ×3, first 2 shown]
	s_cmp_gt_i32 s0, 9
	s_cbranch_scc0 .LBB118_119
; %bb.115:
	global_load_b128 v[0:3], v[4:5], off
	s_mov_b32 s18, 0
	s_branch .LBB118_120
.LBB118_116:
                                        ; implicit-def: $vgpr2_vgpr3
	s_branch .LBB118_139
.LBB118_117:
	s_mov_b32 s18, -1
                                        ; implicit-def: $vgpr2_vgpr3
	s_branch .LBB118_126
.LBB118_118:
	s_mov_b32 s18, -1
                                        ; implicit-def: $vgpr2_vgpr3
	s_branch .LBB118_123
.LBB118_119:
	s_mov_b32 s18, -1
                                        ; implicit-def: $vgpr2_vgpr3
.LBB118_120:
	s_delay_alu instid0(SALU_CYCLE_1)
	s_and_not1_b32 vcc_lo, exec_lo, s18
	s_cbranch_vccnz .LBB118_122
; %bb.121:
	s_wait_loadcnt 0x0
	global_load_b64 v[2:3], v[4:5], off
	s_wait_loadcnt 0x0
	v_cvt_f64_f32_e32 v[0:1], v2
	v_cvt_f64_f32_e32 v[2:3], v3
.LBB118_122:
	s_mov_b32 s18, 0
.LBB118_123:
	s_delay_alu instid0(SALU_CYCLE_1)
	s_and_not1_b32 vcc_lo, exec_lo, s18
	s_cbranch_vccnz .LBB118_125
; %bb.124:
	s_wait_loadcnt 0x0
	global_load_b32 v0, v[4:5], off
	s_wait_loadcnt 0x0
	v_lshrrev_b32_e32 v1, 16, v0
	v_cvt_f32_f16_e32 v0, v0
	s_delay_alu instid0(VALU_DEP_2) | instskip(NEXT) | instid1(VALU_DEP_2)
	v_cvt_f32_f16_e32 v2, v1
	v_cvt_f64_f32_e32 v[0:1], v0
	s_delay_alu instid0(VALU_DEP_2)
	v_cvt_f64_f32_e32 v[2:3], v2
.LBB118_125:
	s_mov_b32 s18, 0
.LBB118_126:
	s_delay_alu instid0(SALU_CYCLE_1)
	s_and_not1_b32 vcc_lo, exec_lo, s18
	s_cbranch_vccnz .LBB118_138
; %bb.127:
	s_cmp_lt_i32 s0, 6
	s_cbranch_scc1 .LBB118_130
; %bb.128:
	s_cmp_gt_i32 s0, 6
	s_cbranch_scc0 .LBB118_131
; %bb.129:
	s_wait_loadcnt 0x0
	global_load_b64 v[0:1], v[4:5], off
	s_mov_b32 s18, 0
	s_branch .LBB118_132
.LBB118_130:
	s_mov_b32 s18, -1
                                        ; implicit-def: $vgpr0_vgpr1
	s_branch .LBB118_135
.LBB118_131:
	s_mov_b32 s18, -1
                                        ; implicit-def: $vgpr0_vgpr1
.LBB118_132:
	s_delay_alu instid0(SALU_CYCLE_1)
	s_and_not1_b32 vcc_lo, exec_lo, s18
	s_cbranch_vccnz .LBB118_134
; %bb.133:
	s_wait_loadcnt 0x0
	global_load_b32 v0, v[4:5], off
	s_wait_loadcnt 0x0
	v_cvt_f64_f32_e32 v[0:1], v0
.LBB118_134:
	s_mov_b32 s18, 0
.LBB118_135:
	s_delay_alu instid0(SALU_CYCLE_1)
	s_and_not1_b32 vcc_lo, exec_lo, s18
	s_cbranch_vccnz .LBB118_137
; %bb.136:
	s_wait_loadcnt 0x0
	global_load_u16 v0, v[4:5], off
	s_wait_loadcnt 0x0
	v_cvt_f32_f16_e32 v0, v0
	s_delay_alu instid0(VALU_DEP_1)
	v_cvt_f64_f32_e32 v[0:1], v0
.LBB118_137:
	s_wait_loadcnt 0x0
	v_mov_b64_e32 v[2:3], 0
.LBB118_138:
	s_cbranch_execnz .LBB118_159
.LBB118_139:
	s_cmp_lt_i32 s0, 2
	s_cbranch_scc1 .LBB118_143
; %bb.140:
	s_cmp_lt_i32 s0, 3
	s_cbranch_scc1 .LBB118_144
; %bb.141:
	s_cmp_gt_i32 s0, 3
	s_cbranch_scc0 .LBB118_145
; %bb.142:
	s_wait_loadcnt 0x0
	global_load_b64 v[0:1], v[4:5], off
	s_mov_b32 s18, 0
	s_wait_loadcnt 0x0
	v_cvt_f64_i32_e32 v[2:3], v1
	v_cvt_f64_u32_e32 v[0:1], v0
	s_delay_alu instid0(VALU_DEP_2) | instskip(NEXT) | instid1(VALU_DEP_1)
	v_ldexp_f64 v[2:3], v[2:3], 32
	v_add_f64_e32 v[0:1], v[2:3], v[0:1]
	s_branch .LBB118_146
.LBB118_143:
	s_mov_b32 s18, -1
                                        ; implicit-def: $vgpr0_vgpr1
	s_branch .LBB118_152
.LBB118_144:
	s_mov_b32 s18, -1
                                        ; implicit-def: $vgpr0_vgpr1
	s_branch .LBB118_149
.LBB118_145:
	s_mov_b32 s18, -1
                                        ; implicit-def: $vgpr0_vgpr1
.LBB118_146:
	s_delay_alu instid0(SALU_CYCLE_1)
	s_and_not1_b32 vcc_lo, exec_lo, s18
	s_cbranch_vccnz .LBB118_148
; %bb.147:
	s_wait_loadcnt 0x0
	global_load_b32 v0, v[4:5], off
	s_wait_loadcnt 0x0
	v_cvt_f64_i32_e32 v[0:1], v0
.LBB118_148:
	s_mov_b32 s18, 0
.LBB118_149:
	s_delay_alu instid0(SALU_CYCLE_1)
	s_and_not1_b32 vcc_lo, exec_lo, s18
	s_cbranch_vccnz .LBB118_151
; %bb.150:
	s_wait_loadcnt 0x0
	global_load_i16 v0, v[4:5], off
	s_wait_loadcnt 0x0
	v_cvt_f64_i32_e32 v[0:1], v0
.LBB118_151:
	s_mov_b32 s18, 0
.LBB118_152:
	s_delay_alu instid0(SALU_CYCLE_1)
	s_and_not1_b32 vcc_lo, exec_lo, s18
	s_cbranch_vccnz .LBB118_158
; %bb.153:
	s_cmp_gt_i32 s0, 0
	s_mov_b32 s0, 0
	s_cbranch_scc0 .LBB118_155
; %bb.154:
	s_wait_loadcnt 0x0
	global_load_i8 v0, v[4:5], off
	s_wait_loadcnt 0x0
	v_cvt_f64_i32_e32 v[0:1], v0
	s_branch .LBB118_156
.LBB118_155:
	s_mov_b32 s0, -1
                                        ; implicit-def: $vgpr0_vgpr1
.LBB118_156:
	s_delay_alu instid0(SALU_CYCLE_1)
	s_and_not1_b32 vcc_lo, exec_lo, s0
	s_cbranch_vccnz .LBB118_158
; %bb.157:
	s_wait_loadcnt 0x0
	global_load_u8 v0, v[4:5], off
	s_wait_loadcnt 0x0
	v_cvt_f64_u32_e32 v[0:1], v0
.LBB118_158:
	s_wait_loadcnt 0x0
	v_mov_b64_e32 v[2:3], 0
.LBB118_159:
	s_branch .LBB118_11
.LBB118_160:
	s_mov_b32 s0, 0
	s_mov_b32 s19, 0
	s_branch .LBB118_393
.LBB118_161:
	s_mov_b32 s19, -1
.LBB118_162:
	s_mov_b32 s23, 0
                                        ; implicit-def: $vgpr6_vgpr7
.LBB118_163:
	s_and_b32 vcc_lo, exec_lo, s24
	s_cbranch_vccz .LBB118_279
; %bb.164:
	s_cmp_eq_u32 s18, 44
	s_cbranch_scc0 .LBB118_277
; %bb.165:
	global_load_u8 v6, v[8:9], off
	s_mov_b32 s19, 0
	s_mov_b32 s23, -1
	s_wait_loadcnt 0x0
	v_cmp_ne_u32_e32 vcc_lo, 0xff, v6
	v_lshlrev_b32_e32 v4, 23, v6
	s_delay_alu instid0(VALU_DEP_1) | instskip(NEXT) | instid1(VALU_DEP_1)
	v_cvt_f64_f32_e32 v[4:5], v4
	v_cndmask_b32_e32 v4, 0x20000000, v4, vcc_lo
	s_delay_alu instid0(VALU_DEP_2) | instskip(SKIP_1) | instid1(VALU_DEP_2)
	v_cndmask_b32_e32 v5, 0x7ff80000, v5, vcc_lo
	v_cmp_ne_u32_e32 vcc_lo, 0, v6
	v_cndmask_b32_e32 v5, 0x38000000, v5, vcc_lo
	s_delay_alu instid0(VALU_DEP_4)
	v_cndmask_b32_e32 v4, 0, v4, vcc_lo
	s_branch .LBB118_278
.LBB118_166:
	s_mov_b32 s26, -1
	s_mov_b32 s0, 0
	s_mov_b32 s25, 0
.LBB118_167:
	s_and_b32 vcc_lo, exec_lo, s26
	s_cbranch_vccz .LBB118_172
; %bb.168:
	s_cmp_eq_u32 s24, 44
	s_mov_b32 s0, -1
	s_cbranch_scc0 .LBB118_172
; %bb.169:
	v_cndmask_b32_e64 v4, 0, 1.0, s18
	s_mov_b32 s25, exec_lo
	s_wait_xcnt 0x0
	s_delay_alu instid0(VALU_DEP_1) | instskip(NEXT) | instid1(VALU_DEP_1)
	v_dual_mov_b32 v3, 0xff :: v_dual_lshrrev_b32 v2, 23, v4
	v_cmpx_ne_u32_e32 0xff, v2
; %bb.170:
	v_and_b32_e32 v3, 0x400000, v4
	v_and_or_b32 v4, 0x3fffff, v4, v2
	s_delay_alu instid0(VALU_DEP_2) | instskip(NEXT) | instid1(VALU_DEP_2)
	v_cmp_ne_u32_e32 vcc_lo, 0, v3
	v_cmp_ne_u32_e64 s0, 0, v4
	s_and_b32 s0, vcc_lo, s0
	s_delay_alu instid0(SALU_CYCLE_1) | instskip(NEXT) | instid1(VALU_DEP_1)
	v_cndmask_b32_e64 v3, 0, 1, s0
	v_add_nc_u32_e32 v3, v2, v3
; %bb.171:
	s_or_b32 exec_lo, exec_lo, s25
	s_mov_b32 s25, -1
	s_mov_b32 s0, 0
	global_store_b8 v[0:1], v3, off
.LBB118_172:
	s_mov_b32 s26, 0
.LBB118_173:
	s_delay_alu instid0(SALU_CYCLE_1)
	s_and_b32 vcc_lo, exec_lo, s26
	s_cbranch_vccz .LBB118_176
; %bb.174:
	s_cmp_eq_u32 s24, 29
	s_mov_b32 s0, -1
	s_cbranch_scc0 .LBB118_176
; %bb.175:
	s_mov_b32 s0, 0
	s_wait_xcnt 0x0
	v_cndmask_b32_e64 v2, 0, 1, s18
	v_mov_b32_e32 v3, s0
	s_mov_b32 s25, -1
	s_mov_b32 s26, 0
	global_store_b64 v[0:1], v[2:3], off
	s_branch .LBB118_177
.LBB118_176:
	s_mov_b32 s26, 0
.LBB118_177:
	s_delay_alu instid0(SALU_CYCLE_1)
	s_and_b32 vcc_lo, exec_lo, s26
	s_cbranch_vccz .LBB118_193
; %bb.178:
	s_cmp_lt_i32 s24, 27
	s_mov_b32 s25, -1
	s_cbranch_scc1 .LBB118_184
; %bb.179:
	s_cmp_gt_i32 s24, 27
	s_cbranch_scc0 .LBB118_181
; %bb.180:
	s_wait_xcnt 0x0
	v_cndmask_b32_e64 v2, 0, 1, s18
	s_mov_b32 s25, 0
	global_store_b32 v[0:1], v2, off
.LBB118_181:
	s_and_not1_b32 vcc_lo, exec_lo, s25
	s_cbranch_vccnz .LBB118_183
; %bb.182:
	s_wait_xcnt 0x0
	v_cndmask_b32_e64 v2, 0, 1, s18
	global_store_b16 v[0:1], v2, off
.LBB118_183:
	s_mov_b32 s25, 0
.LBB118_184:
	s_delay_alu instid0(SALU_CYCLE_1)
	s_and_not1_b32 vcc_lo, exec_lo, s25
	s_cbranch_vccnz .LBB118_192
; %bb.185:
	s_wait_xcnt 0x0
	v_cndmask_b32_e64 v3, 0, 1.0, s18
	v_mov_b32_e32 v4, 0x80
	s_mov_b32 s25, exec_lo
	s_delay_alu instid0(VALU_DEP_2)
	v_cmpx_gt_u32_e32 0x43800000, v3
	s_cbranch_execz .LBB118_191
; %bb.186:
	s_mov_b32 s26, 0
	s_mov_b32 s27, exec_lo
                                        ; implicit-def: $vgpr2
	v_cmpx_lt_u32_e32 0x3bffffff, v3
	s_xor_b32 s27, exec_lo, s27
	s_cbranch_execz .LBB118_424
; %bb.187:
	v_bfe_u32 v2, v3, 20, 1
	s_mov_b32 s26, exec_lo
	s_delay_alu instid0(VALU_DEP_1) | instskip(NEXT) | instid1(VALU_DEP_1)
	v_add3_u32 v2, v3, v2, 0x487ffff
                                        ; implicit-def: $vgpr3
	v_lshrrev_b32_e32 v2, 20, v2
	s_and_not1_saveexec_b32 s27, s27
	s_cbranch_execnz .LBB118_425
.LBB118_188:
	s_or_b32 exec_lo, exec_lo, s27
	v_mov_b32_e32 v4, 0
	s_and_saveexec_b32 s27, s26
.LBB118_189:
	v_mov_b32_e32 v4, v2
.LBB118_190:
	s_or_b32 exec_lo, exec_lo, s27
.LBB118_191:
	s_delay_alu instid0(SALU_CYCLE_1)
	s_or_b32 exec_lo, exec_lo, s25
	global_store_b8 v[0:1], v4, off
.LBB118_192:
	s_mov_b32 s25, -1
.LBB118_193:
	s_mov_b32 s26, 0
.LBB118_194:
	s_delay_alu instid0(SALU_CYCLE_1)
	s_and_b32 vcc_lo, exec_lo, s26
	s_cbranch_vccz .LBB118_235
; %bb.195:
	s_cmp_gt_i32 s24, 22
	s_mov_b32 s26, -1
	s_cbranch_scc0 .LBB118_227
; %bb.196:
	s_cmp_lt_i32 s24, 24
	s_mov_b32 s25, -1
	s_cbranch_scc1 .LBB118_216
; %bb.197:
	s_cmp_gt_i32 s24, 24
	s_cbranch_scc0 .LBB118_205
; %bb.198:
	s_wait_xcnt 0x0
	v_cndmask_b32_e64 v3, 0, 1.0, s18
	v_mov_b32_e32 v4, 0x80
	s_mov_b32 s25, exec_lo
	s_delay_alu instid0(VALU_DEP_2)
	v_cmpx_gt_u32_e32 0x47800000, v3
	s_cbranch_execz .LBB118_204
; %bb.199:
	s_mov_b32 s26, 0
	s_mov_b32 s27, exec_lo
                                        ; implicit-def: $vgpr2
	v_cmpx_lt_u32_e32 0x37ffffff, v3
	s_xor_b32 s27, exec_lo, s27
	s_cbranch_execz .LBB118_548
; %bb.200:
	v_bfe_u32 v2, v3, 21, 1
	s_mov_b32 s26, exec_lo
	s_delay_alu instid0(VALU_DEP_1) | instskip(NEXT) | instid1(VALU_DEP_1)
	v_add3_u32 v2, v3, v2, 0x88fffff
                                        ; implicit-def: $vgpr3
	v_lshrrev_b32_e32 v2, 21, v2
	s_and_not1_saveexec_b32 s27, s27
	s_cbranch_execnz .LBB118_549
.LBB118_201:
	s_or_b32 exec_lo, exec_lo, s27
	v_mov_b32_e32 v4, 0
	s_and_saveexec_b32 s27, s26
.LBB118_202:
	v_mov_b32_e32 v4, v2
.LBB118_203:
	s_or_b32 exec_lo, exec_lo, s27
.LBB118_204:
	s_delay_alu instid0(SALU_CYCLE_1)
	s_or_b32 exec_lo, exec_lo, s25
	s_mov_b32 s25, 0
	global_store_b8 v[0:1], v4, off
.LBB118_205:
	s_and_b32 vcc_lo, exec_lo, s25
	s_cbranch_vccz .LBB118_215
; %bb.206:
	s_wait_xcnt 0x0
	v_cndmask_b32_e64 v3, 0, 1.0, s18
	s_mov_b32 s25, exec_lo
                                        ; implicit-def: $vgpr2
	s_delay_alu instid0(VALU_DEP_1)
	v_cmpx_gt_u32_e32 0x43f00000, v3
	s_xor_b32 s25, exec_lo, s25
	s_cbranch_execz .LBB118_212
; %bb.207:
	s_mov_b32 s26, exec_lo
                                        ; implicit-def: $vgpr2
	v_cmpx_lt_u32_e32 0x3c7fffff, v3
	s_xor_b32 s26, exec_lo, s26
; %bb.208:
	v_bfe_u32 v2, v3, 20, 1
	s_delay_alu instid0(VALU_DEP_1) | instskip(NEXT) | instid1(VALU_DEP_1)
	v_add3_u32 v2, v3, v2, 0x407ffff
	v_and_b32_e32 v3, 0xff00000, v2
	v_lshrrev_b32_e32 v2, 20, v2
	s_delay_alu instid0(VALU_DEP_2) | instskip(NEXT) | instid1(VALU_DEP_2)
	v_cmp_ne_u32_e32 vcc_lo, 0x7f00000, v3
                                        ; implicit-def: $vgpr3
	v_cndmask_b32_e32 v2, 0x7e, v2, vcc_lo
; %bb.209:
	s_and_not1_saveexec_b32 s26, s26
; %bb.210:
	v_add_f32_e32 v2, 0x46800000, v3
; %bb.211:
	s_or_b32 exec_lo, exec_lo, s26
                                        ; implicit-def: $vgpr3
.LBB118_212:
	s_and_not1_saveexec_b32 s25, s25
; %bb.213:
	v_mov_b32_e32 v2, 0x7f
	v_cmp_lt_u32_e32 vcc_lo, 0x7f800000, v3
	s_delay_alu instid0(VALU_DEP_2)
	v_cndmask_b32_e32 v2, 0x7e, v2, vcc_lo
; %bb.214:
	s_or_b32 exec_lo, exec_lo, s25
	global_store_b8 v[0:1], v2, off
.LBB118_215:
	s_mov_b32 s25, 0
.LBB118_216:
	s_delay_alu instid0(SALU_CYCLE_1)
	s_and_not1_b32 vcc_lo, exec_lo, s25
	s_cbranch_vccnz .LBB118_226
; %bb.217:
	s_wait_xcnt 0x0
	v_cndmask_b32_e64 v3, 0, 1.0, s18
	s_mov_b32 s25, exec_lo
                                        ; implicit-def: $vgpr2
	s_delay_alu instid0(VALU_DEP_1)
	v_cmpx_gt_u32_e32 0x47800000, v3
	s_xor_b32 s25, exec_lo, s25
	s_cbranch_execz .LBB118_223
; %bb.218:
	s_mov_b32 s26, exec_lo
                                        ; implicit-def: $vgpr2
	v_cmpx_lt_u32_e32 0x387fffff, v3
	s_xor_b32 s26, exec_lo, s26
; %bb.219:
	v_bfe_u32 v2, v3, 21, 1
	s_delay_alu instid0(VALU_DEP_1) | instskip(NEXT) | instid1(VALU_DEP_1)
	v_add3_u32 v2, v3, v2, 0x80fffff
                                        ; implicit-def: $vgpr3
	v_lshrrev_b32_e32 v2, 21, v2
; %bb.220:
	s_and_not1_saveexec_b32 s26, s26
; %bb.221:
	v_add_f32_e32 v2, 0x43000000, v3
; %bb.222:
	s_or_b32 exec_lo, exec_lo, s26
                                        ; implicit-def: $vgpr3
.LBB118_223:
	s_and_not1_saveexec_b32 s25, s25
; %bb.224:
	v_mov_b32_e32 v2, 0x7f
	v_cmp_lt_u32_e32 vcc_lo, 0x7f800000, v3
	s_delay_alu instid0(VALU_DEP_2)
	v_cndmask_b32_e32 v2, 0x7c, v2, vcc_lo
; %bb.225:
	s_or_b32 exec_lo, exec_lo, s25
	global_store_b8 v[0:1], v2, off
.LBB118_226:
	s_mov_b32 s26, 0
	s_mov_b32 s25, -1
.LBB118_227:
	s_and_not1_b32 vcc_lo, exec_lo, s26
	s_cbranch_vccnz .LBB118_235
; %bb.228:
	s_cmp_gt_i32 s24, 14
	s_mov_b32 s26, -1
	s_cbranch_scc0 .LBB118_232
; %bb.229:
	s_cmp_eq_u32 s24, 15
	s_mov_b32 s0, -1
	s_cbranch_scc0 .LBB118_231
; %bb.230:
	s_wait_xcnt 0x0
	v_cndmask_b32_e64 v2, 0, 1.0, s18
	s_mov_b32 s25, -1
	s_mov_b32 s0, 0
	s_delay_alu instid0(VALU_DEP_1) | instskip(NEXT) | instid1(VALU_DEP_1)
	v_bfe_u32 v3, v2, 16, 1
	v_add3_u32 v2, v2, v3, 0x7fff
	global_store_d16_hi_b16 v[0:1], v2, off
.LBB118_231:
	s_mov_b32 s26, 0
.LBB118_232:
	s_delay_alu instid0(SALU_CYCLE_1)
	s_and_b32 vcc_lo, exec_lo, s26
	s_cbranch_vccz .LBB118_235
; %bb.233:
	s_cmp_eq_u32 s24, 11
	s_mov_b32 s0, -1
	s_cbranch_scc0 .LBB118_235
; %bb.234:
	s_wait_xcnt 0x0
	v_cndmask_b32_e64 v2, 0, 1, s18
	s_mov_b32 s25, -1
	s_mov_b32 s0, 0
	global_store_b8 v[0:1], v2, off
.LBB118_235:
	s_mov_b32 s24, 0
.LBB118_236:
	s_delay_alu instid0(SALU_CYCLE_1)
	s_and_b32 vcc_lo, exec_lo, s24
	s_cbranch_vccz .LBB118_275
; %bb.237:
	s_and_b32 s23, 0xffff, s23
	s_mov_b32 s24, -1
	s_cmp_lt_i32 s23, 5
	s_cbranch_scc1 .LBB118_258
; %bb.238:
	s_cmp_lt_i32 s23, 8
	s_cbranch_scc1 .LBB118_248
; %bb.239:
	;; [unrolled: 3-line block ×3, first 2 shown]
	s_cmp_gt_i32 s23, 9
	s_cbranch_scc0 .LBB118_242
; %bb.241:
	s_wait_xcnt 0x0
	v_cndmask_b32_e64 v2, 0, 1, s18
	v_mov_b32_e32 v4, 0
	s_mov_b32 s24, 0
	s_delay_alu instid0(VALU_DEP_2) | instskip(NEXT) | instid1(VALU_DEP_2)
	v_cvt_f64_u32_e32 v[2:3], v2
	v_mov_b32_e32 v5, v4
	global_store_b128 v[0:1], v[2:5], off
.LBB118_242:
	s_and_not1_b32 vcc_lo, exec_lo, s24
	s_cbranch_vccnz .LBB118_244
; %bb.243:
	s_wait_xcnt 0x0
	v_cndmask_b32_e64 v2, 0, 1.0, s18
	v_mov_b32_e32 v3, 0
	global_store_b64 v[0:1], v[2:3], off
.LBB118_244:
	s_mov_b32 s24, 0
.LBB118_245:
	s_delay_alu instid0(SALU_CYCLE_1)
	s_and_not1_b32 vcc_lo, exec_lo, s24
	s_cbranch_vccnz .LBB118_247
; %bb.246:
	s_wait_xcnt 0x0
	v_cndmask_b32_e64 v2, 0, 1.0, s18
	s_delay_alu instid0(VALU_DEP_1) | instskip(NEXT) | instid1(VALU_DEP_1)
	v_cvt_f16_f32_e32 v2, v2
	v_and_b32_e32 v2, 0xffff, v2
	global_store_b32 v[0:1], v2, off
.LBB118_247:
	s_mov_b32 s24, 0
.LBB118_248:
	s_delay_alu instid0(SALU_CYCLE_1)
	s_and_not1_b32 vcc_lo, exec_lo, s24
	s_cbranch_vccnz .LBB118_257
; %bb.249:
	s_cmp_lt_i32 s23, 6
	s_mov_b32 s24, -1
	s_cbranch_scc1 .LBB118_255
; %bb.250:
	s_cmp_gt_i32 s23, 6
	s_cbranch_scc0 .LBB118_252
; %bb.251:
	s_wait_xcnt 0x0
	v_cndmask_b32_e64 v2, 0, 1, s18
	s_mov_b32 s24, 0
	s_delay_alu instid0(VALU_DEP_1)
	v_cvt_f64_u32_e32 v[2:3], v2
	global_store_b64 v[0:1], v[2:3], off
.LBB118_252:
	s_and_not1_b32 vcc_lo, exec_lo, s24
	s_cbranch_vccnz .LBB118_254
; %bb.253:
	s_wait_xcnt 0x0
	v_cndmask_b32_e64 v2, 0, 1.0, s18
	global_store_b32 v[0:1], v2, off
.LBB118_254:
	s_mov_b32 s24, 0
.LBB118_255:
	s_delay_alu instid0(SALU_CYCLE_1)
	s_and_not1_b32 vcc_lo, exec_lo, s24
	s_cbranch_vccnz .LBB118_257
; %bb.256:
	s_wait_xcnt 0x0
	v_cndmask_b32_e64 v2, 0, 1.0, s18
	s_delay_alu instid0(VALU_DEP_1)
	v_cvt_f16_f32_e32 v2, v2
	global_store_b16 v[0:1], v2, off
.LBB118_257:
	s_mov_b32 s24, 0
.LBB118_258:
	s_delay_alu instid0(SALU_CYCLE_1)
	s_and_not1_b32 vcc_lo, exec_lo, s24
	s_cbranch_vccnz .LBB118_274
; %bb.259:
	s_cmp_lt_i32 s23, 2
	s_mov_b32 s24, -1
	s_cbranch_scc1 .LBB118_269
; %bb.260:
	s_cmp_lt_i32 s23, 3
	s_cbranch_scc1 .LBB118_266
; %bb.261:
	s_cmp_gt_i32 s23, 3
	s_cbranch_scc0 .LBB118_263
; %bb.262:
	s_mov_b32 s24, 0
	s_wait_xcnt 0x0
	v_cndmask_b32_e64 v2, 0, 1, s18
	v_mov_b32_e32 v3, s24
	global_store_b64 v[0:1], v[2:3], off
.LBB118_263:
	s_and_not1_b32 vcc_lo, exec_lo, s24
	s_cbranch_vccnz .LBB118_265
; %bb.264:
	s_wait_xcnt 0x0
	v_cndmask_b32_e64 v2, 0, 1, s18
	global_store_b32 v[0:1], v2, off
.LBB118_265:
	s_mov_b32 s24, 0
.LBB118_266:
	s_delay_alu instid0(SALU_CYCLE_1)
	s_and_not1_b32 vcc_lo, exec_lo, s24
	s_cbranch_vccnz .LBB118_268
; %bb.267:
	s_wait_xcnt 0x0
	v_cndmask_b32_e64 v2, 0, 1, s18
	global_store_b16 v[0:1], v2, off
.LBB118_268:
	s_mov_b32 s24, 0
.LBB118_269:
	s_delay_alu instid0(SALU_CYCLE_1)
	s_and_not1_b32 vcc_lo, exec_lo, s24
	s_cbranch_vccnz .LBB118_274
; %bb.270:
	s_wait_xcnt 0x0
	v_cndmask_b32_e64 v2, 0, 1, s18
	s_cmp_gt_i32 s23, 0
	s_mov_b32 s18, -1
	s_cbranch_scc0 .LBB118_272
; %bb.271:
	s_mov_b32 s18, 0
	global_store_b8 v[0:1], v2, off
.LBB118_272:
	s_and_not1_b32 vcc_lo, exec_lo, s18
	s_cbranch_vccnz .LBB118_274
; %bb.273:
	global_store_b8 v[0:1], v2, off
.LBB118_274:
	s_mov_b32 s25, -1
.LBB118_275:
	s_delay_alu instid0(SALU_CYCLE_1)
	s_and_not1_b32 vcc_lo, exec_lo, s25
	s_cbranch_vccnz .LBB118_393
; %bb.276:
	v_add_nc_u32_e32 v14, 0x80, v14
	s_mov_b32 s23, -1
	s_branch .LBB118_394
.LBB118_277:
	s_mov_b32 s19, -1
                                        ; implicit-def: $vgpr4_vgpr5
.LBB118_278:
	v_mov_b64_e32 v[6:7], 0
.LBB118_279:
	s_mov_b32 s24, 0
.LBB118_280:
	s_delay_alu instid0(SALU_CYCLE_1)
	s_and_b32 vcc_lo, exec_lo, s24
	s_cbranch_vccz .LBB118_285
; %bb.281:
	s_cmp_eq_u32 s18, 29
	s_cbranch_scc0 .LBB118_283
; %bb.282:
	global_load_b64 v[4:5], v[8:9], off
	s_mov_b32 s23, -1
	s_mov_b32 s19, 0
	s_wait_loadcnt 0x0
	v_cvt_f64_u32_e32 v[6:7], v5
	v_cvt_f64_u32_e32 v[4:5], v4
	s_delay_alu instid0(VALU_DEP_2) | instskip(NEXT) | instid1(VALU_DEP_1)
	v_ldexp_f64 v[6:7], v[6:7], 32
	v_add_f64_e32 v[4:5], v[6:7], v[4:5]
	s_branch .LBB118_284
.LBB118_283:
	s_mov_b32 s19, -1
                                        ; implicit-def: $vgpr4_vgpr5
.LBB118_284:
	v_mov_b64_e32 v[6:7], 0
.LBB118_285:
	s_mov_b32 s24, 0
.LBB118_286:
	s_delay_alu instid0(SALU_CYCLE_1)
	s_and_b32 vcc_lo, exec_lo, s24
	s_cbranch_vccz .LBB118_304
; %bb.287:
	s_cmp_lt_i32 s18, 27
	s_cbranch_scc1 .LBB118_290
; %bb.288:
	s_cmp_gt_i32 s18, 27
	s_cbranch_scc0 .LBB118_291
; %bb.289:
	global_load_b32 v4, v[8:9], off
	s_mov_b32 s23, 0
	s_wait_loadcnt 0x0
	v_cvt_f64_u32_e32 v[4:5], v4
	s_branch .LBB118_292
.LBB118_290:
	s_mov_b32 s23, -1
                                        ; implicit-def: $vgpr4_vgpr5
	s_branch .LBB118_295
.LBB118_291:
	s_mov_b32 s23, -1
                                        ; implicit-def: $vgpr4_vgpr5
.LBB118_292:
	s_delay_alu instid0(SALU_CYCLE_1)
	s_and_not1_b32 vcc_lo, exec_lo, s23
	s_cbranch_vccnz .LBB118_294
; %bb.293:
	global_load_u16 v4, v[8:9], off
	s_wait_loadcnt 0x0
	v_cvt_f64_u32_e32 v[4:5], v4
.LBB118_294:
	s_mov_b32 s23, 0
.LBB118_295:
	s_delay_alu instid0(SALU_CYCLE_1)
	s_and_not1_b32 vcc_lo, exec_lo, s23
	s_cbranch_vccnz .LBB118_303
; %bb.296:
	global_load_u8 v6, v[8:9], off
	s_mov_b32 s23, 0
	s_mov_b32 s24, exec_lo
	s_wait_loadcnt 0x0
	v_cmpx_lt_i16_e32 0x7f, v6
	s_xor_b32 s24, exec_lo, s24
	s_cbranch_execz .LBB118_317
; %bb.297:
	s_mov_b32 s23, -1
	s_mov_b32 s25, exec_lo
	v_cmpx_eq_u16_e32 0x80, v6
; %bb.298:
	s_xor_b32 s23, exec_lo, -1
; %bb.299:
	s_or_b32 exec_lo, exec_lo, s25
	s_delay_alu instid0(SALU_CYCLE_1)
	s_and_b32 s23, s23, exec_lo
	s_or_saveexec_b32 s24, s24
	v_mov_b64_e32 v[4:5], 0x7ff8000020000000
	s_xor_b32 exec_lo, exec_lo, s24
	s_cbranch_execnz .LBB118_318
.LBB118_300:
	s_or_b32 exec_lo, exec_lo, s24
	s_and_saveexec_b32 s24, s23
	s_cbranch_execz .LBB118_302
.LBB118_301:
	v_and_b32_e32 v4, 0xffff, v6
	s_delay_alu instid0(VALU_DEP_1) | instskip(SKIP_1) | instid1(VALU_DEP_2)
	v_and_b32_e32 v5, 7, v4
	v_bfe_u32 v11, v4, 3, 4
	v_clz_i32_u32_e32 v7, v5
	s_delay_alu instid0(VALU_DEP_2) | instskip(NEXT) | instid1(VALU_DEP_2)
	v_cmp_eq_u32_e32 vcc_lo, 0, v11
	v_min_u32_e32 v7, 32, v7
	s_delay_alu instid0(VALU_DEP_1) | instskip(NEXT) | instid1(VALU_DEP_1)
	v_subrev_nc_u32_e32 v10, 28, v7
	v_dual_lshlrev_b32 v4, v10, v4 :: v_dual_sub_nc_u32 v7, 29, v7
	s_delay_alu instid0(VALU_DEP_1) | instskip(NEXT) | instid1(VALU_DEP_1)
	v_dual_lshlrev_b32 v6, 24, v6 :: v_dual_bitop2_b32 v4, 7, v4 bitop3:0x40
	v_dual_cndmask_b32 v7, v11, v7 :: v_dual_cndmask_b32 v4, v5, v4
	s_delay_alu instid0(VALU_DEP_2) | instskip(NEXT) | instid1(VALU_DEP_2)
	v_and_b32_e32 v5, 0x80000000, v6
	v_lshl_add_u32 v6, v7, 23, 0x3b800000
	s_delay_alu instid0(VALU_DEP_3) | instskip(NEXT) | instid1(VALU_DEP_1)
	v_lshlrev_b32_e32 v4, 20, v4
	v_or3_b32 v4, v5, v6, v4
	s_delay_alu instid0(VALU_DEP_1)
	v_cvt_f64_f32_e32 v[4:5], v4
.LBB118_302:
	s_or_b32 exec_lo, exec_lo, s24
.LBB118_303:
	v_mov_b64_e32 v[6:7], 0
	s_mov_b32 s23, -1
.LBB118_304:
	s_mov_b32 s24, 0
.LBB118_305:
	s_delay_alu instid0(SALU_CYCLE_1)
	s_and_b32 vcc_lo, exec_lo, s24
	s_cbranch_vccz .LBB118_341
; %bb.306:
	s_cmp_gt_i32 s18, 22
	s_cbranch_scc0 .LBB118_316
; %bb.307:
	s_cmp_lt_i32 s18, 24
	s_cbranch_scc1 .LBB118_319
; %bb.308:
	s_cmp_gt_i32 s18, 24
	s_cbranch_scc0 .LBB118_320
; %bb.309:
	global_load_u8 v6, v[8:9], off
	s_mov_b32 s23, 0
	s_mov_b32 s24, exec_lo
	s_wait_loadcnt 0x0
	v_cmpx_lt_i16_e32 0x7f, v6
	s_xor_b32 s24, exec_lo, s24
	s_cbranch_execz .LBB118_332
; %bb.310:
	s_mov_b32 s23, -1
	s_mov_b32 s25, exec_lo
	v_cmpx_eq_u16_e32 0x80, v6
; %bb.311:
	s_xor_b32 s23, exec_lo, -1
; %bb.312:
	s_or_b32 exec_lo, exec_lo, s25
	s_delay_alu instid0(SALU_CYCLE_1)
	s_and_b32 s23, s23, exec_lo
	s_or_saveexec_b32 s24, s24
	v_mov_b64_e32 v[4:5], 0x7ff8000020000000
	s_xor_b32 exec_lo, exec_lo, s24
	s_cbranch_execnz .LBB118_333
.LBB118_313:
	s_or_b32 exec_lo, exec_lo, s24
	s_and_saveexec_b32 s24, s23
	s_cbranch_execz .LBB118_315
.LBB118_314:
	v_and_b32_e32 v4, 0xffff, v6
	s_delay_alu instid0(VALU_DEP_1) | instskip(SKIP_1) | instid1(VALU_DEP_2)
	v_and_b32_e32 v5, 3, v4
	v_bfe_u32 v11, v4, 2, 5
	v_clz_i32_u32_e32 v7, v5
	s_delay_alu instid0(VALU_DEP_2) | instskip(NEXT) | instid1(VALU_DEP_2)
	v_cmp_eq_u32_e32 vcc_lo, 0, v11
	v_min_u32_e32 v7, 32, v7
	s_delay_alu instid0(VALU_DEP_1) | instskip(NEXT) | instid1(VALU_DEP_1)
	v_subrev_nc_u32_e32 v10, 29, v7
	v_dual_lshlrev_b32 v4, v10, v4 :: v_dual_sub_nc_u32 v7, 30, v7
	s_delay_alu instid0(VALU_DEP_1) | instskip(NEXT) | instid1(VALU_DEP_1)
	v_dual_lshlrev_b32 v6, 24, v6 :: v_dual_bitop2_b32 v4, 3, v4 bitop3:0x40
	v_dual_cndmask_b32 v7, v11, v7 :: v_dual_cndmask_b32 v4, v5, v4
	s_delay_alu instid0(VALU_DEP_2) | instskip(NEXT) | instid1(VALU_DEP_2)
	v_and_b32_e32 v5, 0x80000000, v6
	v_lshl_add_u32 v6, v7, 23, 0x37800000
	s_delay_alu instid0(VALU_DEP_3) | instskip(NEXT) | instid1(VALU_DEP_1)
	v_lshlrev_b32_e32 v4, 21, v4
	v_or3_b32 v4, v5, v6, v4
	s_delay_alu instid0(VALU_DEP_1)
	v_cvt_f64_f32_e32 v[4:5], v4
.LBB118_315:
	s_or_b32 exec_lo, exec_lo, s24
	s_mov_b32 s23, 0
	s_branch .LBB118_321
.LBB118_316:
	s_mov_b32 s24, -1
                                        ; implicit-def: $vgpr4_vgpr5
	s_branch .LBB118_327
.LBB118_317:
	s_or_saveexec_b32 s24, s24
	v_mov_b64_e32 v[4:5], 0x7ff8000020000000
	s_xor_b32 exec_lo, exec_lo, s24
	s_cbranch_execz .LBB118_300
.LBB118_318:
	v_cmp_ne_u16_e32 vcc_lo, 0, v6
	v_mov_b64_e32 v[4:5], 0
	s_and_not1_b32 s23, s23, exec_lo
	s_and_b32 s25, vcc_lo, exec_lo
	s_delay_alu instid0(SALU_CYCLE_1)
	s_or_b32 s23, s23, s25
	s_or_b32 exec_lo, exec_lo, s24
	s_and_saveexec_b32 s24, s23
	s_cbranch_execnz .LBB118_301
	s_branch .LBB118_302
.LBB118_319:
	s_mov_b32 s23, -1
                                        ; implicit-def: $vgpr4_vgpr5
	s_branch .LBB118_324
.LBB118_320:
	s_mov_b32 s23, -1
                                        ; implicit-def: $vgpr4_vgpr5
.LBB118_321:
	s_delay_alu instid0(SALU_CYCLE_1)
	s_and_b32 vcc_lo, exec_lo, s23
	s_cbranch_vccz .LBB118_323
; %bb.322:
	global_load_u8 v4, v[8:9], off
	s_wait_loadcnt 0x0
	v_lshlrev_b32_e32 v4, 24, v4
	s_delay_alu instid0(VALU_DEP_1) | instskip(NEXT) | instid1(VALU_DEP_1)
	v_and_b32_e32 v5, 0x7f000000, v4
	v_clz_i32_u32_e32 v6, v5
	v_cmp_ne_u32_e32 vcc_lo, 0, v5
	v_add_nc_u32_e32 v10, 0x1000000, v5
	s_delay_alu instid0(VALU_DEP_3) | instskip(NEXT) | instid1(VALU_DEP_1)
	v_min_u32_e32 v6, 32, v6
	v_sub_nc_u32_e64 v6, v6, 4 clamp
	s_delay_alu instid0(VALU_DEP_1) | instskip(NEXT) | instid1(VALU_DEP_1)
	v_dual_lshlrev_b32 v7, v6, v5 :: v_dual_lshlrev_b32 v6, 23, v6
	v_lshrrev_b32_e32 v7, 4, v7
	s_delay_alu instid0(VALU_DEP_1) | instskip(SKIP_1) | instid1(VALU_DEP_2)
	v_sub_nc_u32_e32 v6, v7, v6
	v_ashrrev_i32_e32 v7, 8, v10
	v_add_nc_u32_e32 v6, 0x3c000000, v6
	s_delay_alu instid0(VALU_DEP_1) | instskip(NEXT) | instid1(VALU_DEP_1)
	v_and_or_b32 v6, 0x7f800000, v7, v6
	v_cndmask_b32_e32 v5, 0, v6, vcc_lo
	s_delay_alu instid0(VALU_DEP_1) | instskip(NEXT) | instid1(VALU_DEP_1)
	v_and_or_b32 v4, 0x80000000, v4, v5
	v_cvt_f64_f32_e32 v[4:5], v4
.LBB118_323:
	s_mov_b32 s23, 0
.LBB118_324:
	s_delay_alu instid0(SALU_CYCLE_1)
	s_and_not1_b32 vcc_lo, exec_lo, s23
	s_cbranch_vccnz .LBB118_326
; %bb.325:
	global_load_u8 v4, v[8:9], off
	s_wait_loadcnt 0x0
	v_lshlrev_b32_e32 v5, 25, v4
	v_lshlrev_b16 v4, 8, v4
	s_delay_alu instid0(VALU_DEP_1) | instskip(SKIP_1) | instid1(VALU_DEP_2)
	v_and_or_b32 v7, 0x7f00, v4, 0.5
	v_bfe_i32 v4, v4, 0, 16
	v_dual_add_f32 v7, -0.5, v7 :: v_dual_lshrrev_b32 v6, 4, v5
	v_cmp_gt_u32_e32 vcc_lo, 0x8000000, v5
	s_delay_alu instid0(VALU_DEP_2) | instskip(NEXT) | instid1(VALU_DEP_1)
	v_or_b32_e32 v6, 0x70000000, v6
	v_mul_f32_e32 v6, 0x7800000, v6
	s_delay_alu instid0(VALU_DEP_1) | instskip(NEXT) | instid1(VALU_DEP_1)
	v_cndmask_b32_e32 v5, v6, v7, vcc_lo
	v_and_or_b32 v4, 0x80000000, v4, v5
	s_delay_alu instid0(VALU_DEP_1)
	v_cvt_f64_f32_e32 v[4:5], v4
.LBB118_326:
	s_mov_b32 s24, 0
	s_mov_b32 s23, -1
.LBB118_327:
	s_and_not1_b32 vcc_lo, exec_lo, s24
	s_cbranch_vccnz .LBB118_340
; %bb.328:
	s_cmp_gt_i32 s18, 14
	s_cbranch_scc0 .LBB118_331
; %bb.329:
	s_cmp_eq_u32 s18, 15
	s_cbranch_scc0 .LBB118_334
; %bb.330:
	global_load_u16 v4, v[8:9], off
	s_mov_b32 s23, -1
	s_mov_b32 s19, 0
	s_wait_loadcnt 0x0
	v_lshlrev_b32_e32 v4, 16, v4
	s_delay_alu instid0(VALU_DEP_1)
	v_cvt_f64_f32_e32 v[4:5], v4
	s_branch .LBB118_335
.LBB118_331:
	s_mov_b32 s24, -1
                                        ; implicit-def: $vgpr4_vgpr5
	s_branch .LBB118_336
.LBB118_332:
	s_or_saveexec_b32 s24, s24
	v_mov_b64_e32 v[4:5], 0x7ff8000020000000
	s_xor_b32 exec_lo, exec_lo, s24
	s_cbranch_execz .LBB118_313
.LBB118_333:
	v_cmp_ne_u16_e32 vcc_lo, 0, v6
	v_mov_b64_e32 v[4:5], 0
	s_and_not1_b32 s23, s23, exec_lo
	s_and_b32 s25, vcc_lo, exec_lo
	s_delay_alu instid0(SALU_CYCLE_1)
	s_or_b32 s23, s23, s25
	s_or_b32 exec_lo, exec_lo, s24
	s_and_saveexec_b32 s24, s23
	s_cbranch_execnz .LBB118_314
	s_branch .LBB118_315
.LBB118_334:
	s_mov_b32 s19, -1
                                        ; implicit-def: $vgpr4_vgpr5
.LBB118_335:
	s_mov_b32 s24, 0
.LBB118_336:
	s_delay_alu instid0(SALU_CYCLE_1)
	s_and_b32 vcc_lo, exec_lo, s24
	s_cbranch_vccz .LBB118_340
; %bb.337:
	s_cmp_eq_u32 s18, 11
	s_cbranch_scc0 .LBB118_339
; %bb.338:
	global_load_u8 v4, v[8:9], off
	s_mov_b32 s19, 0
	s_mov_b32 s23, -1
	v_mov_b64_e32 v[6:7], 0
	s_wait_loadcnt 0x0
	v_cmp_ne_u16_e32 vcc_lo, 0, v4
	v_mov_b32_e32 v4, 0
	v_cndmask_b32_e64 v5, 0, 0x3ff00000, vcc_lo
	s_branch .LBB118_341
.LBB118_339:
	s_mov_b32 s19, -1
                                        ; implicit-def: $vgpr4_vgpr5
.LBB118_340:
	v_mov_b64_e32 v[6:7], 0
.LBB118_341:
	s_branch .LBB118_20
.LBB118_342:
	s_and_b32 s0, 0xffff, s0
	s_delay_alu instid0(SALU_CYCLE_1)
	s_cmp_lt_i32 s0, 5
	s_cbranch_scc1 .LBB118_347
; %bb.343:
	s_cmp_lt_i32 s0, 8
	s_cbranch_scc1 .LBB118_348
; %bb.344:
	;; [unrolled: 3-line block ×3, first 2 shown]
	s_cmp_gt_i32 s0, 9
	s_cbranch_scc0 .LBB118_350
; %bb.346:
	global_load_b128 v[4:7], v[8:9], off
	s_mov_b32 s18, 0
	s_branch .LBB118_351
.LBB118_347:
	s_mov_b32 s18, -1
                                        ; implicit-def: $vgpr6_vgpr7
	s_branch .LBB118_370
.LBB118_348:
	s_mov_b32 s18, -1
                                        ; implicit-def: $vgpr6_vgpr7
	s_branch .LBB118_357
.LBB118_349:
	s_mov_b32 s18, -1
                                        ; implicit-def: $vgpr6_vgpr7
	s_branch .LBB118_354
.LBB118_350:
	s_mov_b32 s18, -1
                                        ; implicit-def: $vgpr6_vgpr7
.LBB118_351:
	s_delay_alu instid0(SALU_CYCLE_1)
	s_and_not1_b32 vcc_lo, exec_lo, s18
	s_cbranch_vccnz .LBB118_353
; %bb.352:
	s_wait_loadcnt 0x0
	global_load_b64 v[6:7], v[8:9], off
	s_wait_loadcnt 0x0
	v_cvt_f64_f32_e32 v[4:5], v6
	v_cvt_f64_f32_e32 v[6:7], v7
.LBB118_353:
	s_mov_b32 s18, 0
.LBB118_354:
	s_delay_alu instid0(SALU_CYCLE_1)
	s_and_not1_b32 vcc_lo, exec_lo, s18
	s_cbranch_vccnz .LBB118_356
; %bb.355:
	s_wait_loadcnt 0x0
	global_load_b32 v4, v[8:9], off
	s_wait_loadcnt 0x0
	v_lshrrev_b32_e32 v5, 16, v4
	v_cvt_f32_f16_e32 v4, v4
	s_delay_alu instid0(VALU_DEP_2) | instskip(NEXT) | instid1(VALU_DEP_2)
	v_cvt_f32_f16_e32 v6, v5
	v_cvt_f64_f32_e32 v[4:5], v4
	s_delay_alu instid0(VALU_DEP_2)
	v_cvt_f64_f32_e32 v[6:7], v6
.LBB118_356:
	s_mov_b32 s18, 0
.LBB118_357:
	s_delay_alu instid0(SALU_CYCLE_1)
	s_and_not1_b32 vcc_lo, exec_lo, s18
	s_cbranch_vccnz .LBB118_369
; %bb.358:
	s_cmp_lt_i32 s0, 6
	s_cbranch_scc1 .LBB118_361
; %bb.359:
	s_cmp_gt_i32 s0, 6
	s_cbranch_scc0 .LBB118_362
; %bb.360:
	s_wait_loadcnt 0x0
	global_load_b64 v[4:5], v[8:9], off
	s_mov_b32 s18, 0
	s_branch .LBB118_363
.LBB118_361:
	s_mov_b32 s18, -1
                                        ; implicit-def: $vgpr4_vgpr5
	s_branch .LBB118_366
.LBB118_362:
	s_mov_b32 s18, -1
                                        ; implicit-def: $vgpr4_vgpr5
.LBB118_363:
	s_delay_alu instid0(SALU_CYCLE_1)
	s_and_not1_b32 vcc_lo, exec_lo, s18
	s_cbranch_vccnz .LBB118_365
; %bb.364:
	s_wait_loadcnt 0x0
	global_load_b32 v4, v[8:9], off
	s_wait_loadcnt 0x0
	v_cvt_f64_f32_e32 v[4:5], v4
.LBB118_365:
	s_mov_b32 s18, 0
.LBB118_366:
	s_delay_alu instid0(SALU_CYCLE_1)
	s_and_not1_b32 vcc_lo, exec_lo, s18
	s_cbranch_vccnz .LBB118_368
; %bb.367:
	s_wait_loadcnt 0x0
	global_load_u16 v4, v[8:9], off
	s_wait_loadcnt 0x0
	v_cvt_f32_f16_e32 v4, v4
	s_delay_alu instid0(VALU_DEP_1)
	v_cvt_f64_f32_e32 v[4:5], v4
.LBB118_368:
	s_wait_loadcnt 0x0
	v_mov_b64_e32 v[6:7], 0
.LBB118_369:
	s_mov_b32 s18, 0
.LBB118_370:
	s_delay_alu instid0(SALU_CYCLE_1)
	s_and_not1_b32 vcc_lo, exec_lo, s18
	s_cbranch_vccnz .LBB118_391
; %bb.371:
	s_cmp_lt_i32 s0, 2
	s_cbranch_scc1 .LBB118_375
; %bb.372:
	s_cmp_lt_i32 s0, 3
	s_cbranch_scc1 .LBB118_376
; %bb.373:
	s_cmp_gt_i32 s0, 3
	s_cbranch_scc0 .LBB118_377
; %bb.374:
	s_wait_loadcnt 0x0
	global_load_b64 v[4:5], v[8:9], off
	s_mov_b32 s18, 0
	s_wait_loadcnt 0x0
	v_cvt_f64_i32_e32 v[6:7], v5
	v_cvt_f64_u32_e32 v[4:5], v4
	s_delay_alu instid0(VALU_DEP_2) | instskip(NEXT) | instid1(VALU_DEP_1)
	v_ldexp_f64 v[6:7], v[6:7], 32
	v_add_f64_e32 v[4:5], v[6:7], v[4:5]
	s_branch .LBB118_378
.LBB118_375:
	s_mov_b32 s18, -1
                                        ; implicit-def: $vgpr4_vgpr5
	s_branch .LBB118_384
.LBB118_376:
	s_mov_b32 s18, -1
                                        ; implicit-def: $vgpr4_vgpr5
	s_branch .LBB118_381
.LBB118_377:
	s_mov_b32 s18, -1
                                        ; implicit-def: $vgpr4_vgpr5
.LBB118_378:
	s_delay_alu instid0(SALU_CYCLE_1)
	s_and_not1_b32 vcc_lo, exec_lo, s18
	s_cbranch_vccnz .LBB118_380
; %bb.379:
	s_wait_loadcnt 0x0
	global_load_b32 v4, v[8:9], off
	s_wait_loadcnt 0x0
	v_cvt_f64_i32_e32 v[4:5], v4
.LBB118_380:
	s_mov_b32 s18, 0
.LBB118_381:
	s_delay_alu instid0(SALU_CYCLE_1)
	s_and_not1_b32 vcc_lo, exec_lo, s18
	s_cbranch_vccnz .LBB118_383
; %bb.382:
	s_wait_loadcnt 0x0
	global_load_i16 v4, v[8:9], off
	s_wait_loadcnt 0x0
	v_cvt_f64_i32_e32 v[4:5], v4
.LBB118_383:
	s_mov_b32 s18, 0
.LBB118_384:
	s_delay_alu instid0(SALU_CYCLE_1)
	s_and_not1_b32 vcc_lo, exec_lo, s18
	s_cbranch_vccnz .LBB118_390
; %bb.385:
	s_cmp_gt_i32 s0, 0
	s_mov_b32 s0, 0
	s_cbranch_scc0 .LBB118_387
; %bb.386:
	s_wait_loadcnt 0x0
	global_load_i8 v4, v[8:9], off
	s_wait_loadcnt 0x0
	v_cvt_f64_i32_e32 v[4:5], v4
	s_branch .LBB118_388
.LBB118_387:
	s_mov_b32 s0, -1
                                        ; implicit-def: $vgpr4_vgpr5
.LBB118_388:
	s_delay_alu instid0(SALU_CYCLE_1)
	s_and_not1_b32 vcc_lo, exec_lo, s0
	s_cbranch_vccnz .LBB118_390
; %bb.389:
	s_wait_loadcnt 0x0
	global_load_u8 v4, v[8:9], off
	s_wait_loadcnt 0x0
	v_cvt_f64_u32_e32 v[4:5], v4
.LBB118_390:
	s_wait_loadcnt 0x0
	v_mov_b64_e32 v[6:7], 0
.LBB118_391:
	s_branch .LBB118_21
.LBB118_392:
	s_mov_b32 s0, 0
.LBB118_393:
	s_mov_b32 s23, 0
                                        ; implicit-def: $vgpr14
.LBB118_394:
	s_and_b32 s18, s0, exec_lo
	s_and_b32 s19, s19, exec_lo
	;; [unrolled: 1-line block ×3, first 2 shown]
	s_or_not1_b32 s25, s23, exec_lo
.LBB118_395:
	s_wait_xcnt 0x0
	s_or_b32 exec_lo, exec_lo, s21
	s_mov_b32 s24, 0
	s_mov_b32 s23, 0
                                        ; implicit-def: $sgpr0
                                        ; implicit-def: $vgpr4_vgpr5
                                        ; implicit-def: $vgpr2_vgpr3
	s_and_saveexec_b32 s21, s25
	s_cbranch_execz .LBB118_404
; %bb.396:
	s_mov_b32 s27, -1
	s_mov_b32 s22, s20
	s_mov_b32 s24, s19
	;; [unrolled: 1-line block ×3, first 2 shown]
	s_mov_b32 s25, exec_lo
	v_cmpx_gt_i32_e64 s17, v14
	s_cbranch_execz .LBB118_803
; %bb.397:
	s_wait_loadcnt 0x0
	v_mul_lo_u32 v0, v14, s9
	s_and_b32 s0, s14, 0xff
	s_delay_alu instid0(SALU_CYCLE_1) | instskip(NEXT) | instid1(VALU_DEP_1)
	s_cmp_lt_i32 s0, 11
	v_ashrrev_i32_e32 v1, 31, v0
	s_delay_alu instid0(VALU_DEP_1)
	v_add_nc_u64_e32 v[4:5], s[6:7], v[0:1]
	s_cbranch_scc1 .LBB118_407
; %bb.398:
	s_and_b32 s23, 0xffff, s0
	s_delay_alu instid0(SALU_CYCLE_1)
	s_cmp_gt_i32 s23, 25
	s_cbranch_scc0 .LBB118_416
; %bb.399:
	s_cmp_gt_i32 s23, 28
	s_cbranch_scc0 .LBB118_418
; %bb.400:
	;; [unrolled: 3-line block ×4, first 2 shown]
	s_cmp_eq_u32 s23, 46
	s_mov_b32 s26, 0
	s_cbranch_scc0 .LBB118_426
; %bb.403:
	global_load_b32 v0, v[4:5], off
	s_mov_b32 s24, -1
	s_mov_b32 s22, 0
	s_wait_loadcnt 0x0
	v_lshlrev_b32_e32 v1, 16, v0
	v_and_b32_e32 v2, 0xffff0000, v0
	s_delay_alu instid0(VALU_DEP_2) | instskip(NEXT) | instid1(VALU_DEP_2)
	v_cvt_f64_f32_e32 v[0:1], v1
	v_cvt_f64_f32_e32 v[2:3], v2
	s_branch .LBB118_428
.LBB118_404:
	s_or_b32 exec_lo, exec_lo, s21
	s_mov_b32 s17, 0
	s_and_saveexec_b32 s21, s20
	s_cbranch_execnz .LBB118_1297
.LBB118_405:
	s_or_b32 exec_lo, exec_lo, s21
	s_and_saveexec_b32 s20, s22
	s_delay_alu instid0(SALU_CYCLE_1)
	s_xor_b32 s20, exec_lo, s20
	s_cbranch_execz .LBB118_1298
.LBB118_406:
	s_wait_loadcnt 0x0
	global_load_u8 v0, v[4:5], off
	v_mov_b64_e32 v[2:3], 0
	s_or_b32 s23, s23, exec_lo
	s_wait_loadcnt 0x0
	v_cmp_ne_u16_e32 vcc_lo, 0, v0
	v_mov_b32_e32 v0, 0
	v_cndmask_b32_e64 v1, 0, 0x3ff00000, vcc_lo
	s_wait_xcnt 0x0
	s_or_b32 exec_lo, exec_lo, s20
	s_and_saveexec_b32 s20, s24
	s_cbranch_execz .LBB118_1346
	s_branch .LBB118_1299
.LBB118_407:
	s_mov_b32 s24, 0
	s_mov_b32 s22, s20
                                        ; implicit-def: $vgpr2_vgpr3
	s_cbranch_execnz .LBB118_497
.LBB118_408:
	s_and_not1_b32 vcc_lo, exec_lo, s24
	s_cbranch_vccnz .LBB118_547
.LBB118_409:
	s_wait_xcnt 0x0
	v_mul_lo_u32 v4, v14, s10
	s_and_b32 s0, s1, 0xff
	s_delay_alu instid0(SALU_CYCLE_1) | instskip(NEXT) | instid1(VALU_DEP_1)
	s_cmp_lt_i32 s0, 11
	v_ashrrev_i32_e32 v5, 31, v4
	s_delay_alu instid0(VALU_DEP_1)
	v_add_nc_u64_e32 v[8:9], s[2:3], v[4:5]
	s_cbranch_scc1 .LBB118_417
; %bb.410:
	s_and_b32 s23, 0xffff, s0
	s_delay_alu instid0(SALU_CYCLE_1)
	s_cmp_gt_i32 s23, 25
	s_cbranch_scc0 .LBB118_419
; %bb.411:
	s_cmp_gt_i32 s23, 28
	s_cbranch_scc0 .LBB118_421
; %bb.412:
	;; [unrolled: 3-line block ×4, first 2 shown]
	s_cmp_eq_u32 s23, 46
	s_mov_b32 s27, 0
	s_cbranch_scc0 .LBB118_550
; %bb.415:
	global_load_b32 v4, v[8:9], off
	s_mov_b32 s26, -1
	s_mov_b32 s24, 0
	s_wait_loadcnt 0x0
	v_lshlrev_b32_e32 v5, 16, v4
	v_and_b32_e32 v6, 0xffff0000, v4
	s_delay_alu instid0(VALU_DEP_2) | instskip(NEXT) | instid1(VALU_DEP_2)
	v_cvt_f64_f32_e32 v[4:5], v5
	v_cvt_f64_f32_e32 v[6:7], v6
	s_branch .LBB118_552
.LBB118_416:
	s_mov_b32 s26, -1
	s_mov_b32 s24, 0
	s_mov_b32 s22, s20
                                        ; implicit-def: $vgpr2_vgpr3
	s_branch .LBB118_460
.LBB118_417:
	s_mov_b32 s23, -1
	s_mov_b32 s26, 0
	s_mov_b32 s24, s19
                                        ; implicit-def: $vgpr6_vgpr7
	s_branch .LBB118_620
.LBB118_418:
	s_mov_b32 s26, -1
	s_mov_b32 s24, 0
	s_mov_b32 s22, s20
                                        ; implicit-def: $vgpr2_vgpr3
	s_branch .LBB118_441
.LBB118_419:
	s_mov_b32 s27, -1
	s_mov_b32 s26, 0
	s_mov_b32 s24, s19
                                        ; implicit-def: $vgpr6_vgpr7
	s_branch .LBB118_583
.LBB118_420:
	s_mov_b32 s26, -1
	s_mov_b32 s24, 0
	s_mov_b32 s22, s20
                                        ; implicit-def: $vgpr2_vgpr3
	s_branch .LBB118_435
.LBB118_421:
	s_mov_b32 s27, -1
	s_mov_b32 s26, 0
	s_mov_b32 s24, s19
                                        ; implicit-def: $vgpr6_vgpr7
	s_branch .LBB118_564
.LBB118_422:
	s_mov_b32 s26, -1
	s_mov_b32 s24, 0
	s_mov_b32 s22, s20
	s_branch .LBB118_427
.LBB118_423:
	s_mov_b32 s27, -1
	s_mov_b32 s26, 0
	s_mov_b32 s24, s19
                                        ; implicit-def: $vgpr6_vgpr7
	s_branch .LBB118_558
.LBB118_424:
	s_and_not1_saveexec_b32 s27, s27
	s_cbranch_execz .LBB118_188
.LBB118_425:
	v_add_f32_e32 v2, 0x46000000, v3
	s_and_not1_b32 s26, s26, exec_lo
	s_delay_alu instid0(VALU_DEP_1) | instskip(NEXT) | instid1(VALU_DEP_1)
	v_and_b32_e32 v2, 0xff, v2
	v_cmp_ne_u32_e32 vcc_lo, 0, v2
	s_and_b32 s28, vcc_lo, exec_lo
	s_delay_alu instid0(SALU_CYCLE_1)
	s_or_b32 s26, s26, s28
	s_or_b32 exec_lo, exec_lo, s27
	v_mov_b32_e32 v4, 0
	s_and_saveexec_b32 s27, s26
	s_cbranch_execnz .LBB118_189
	s_branch .LBB118_190
.LBB118_426:
	s_mov_b32 s22, -1
	s_mov_b32 s24, 0
.LBB118_427:
                                        ; implicit-def: $vgpr2_vgpr3
.LBB118_428:
	s_and_b32 vcc_lo, exec_lo, s26
	s_cbranch_vccz .LBB118_434
; %bb.429:
	s_cmp_eq_u32 s23, 44
	s_cbranch_scc0 .LBB118_432
; %bb.430:
	global_load_u8 v2, v[4:5], off
	s_mov_b32 s22, 0
	s_mov_b32 s24, -1
	s_wait_loadcnt 0x0
	v_cmp_ne_u32_e32 vcc_lo, 0xff, v2
	v_lshlrev_b32_e32 v0, 23, v2
	s_delay_alu instid0(VALU_DEP_1) | instskip(NEXT) | instid1(VALU_DEP_1)
	v_cvt_f64_f32_e32 v[0:1], v0
	v_cndmask_b32_e32 v0, 0x20000000, v0, vcc_lo
	s_delay_alu instid0(VALU_DEP_2) | instskip(SKIP_1) | instid1(VALU_DEP_2)
	v_cndmask_b32_e32 v1, 0x7ff80000, v1, vcc_lo
	v_cmp_ne_u32_e32 vcc_lo, 0, v2
	v_cndmask_b32_e32 v1, 0x38000000, v1, vcc_lo
	s_delay_alu instid0(VALU_DEP_4)
	v_cndmask_b32_e32 v0, 0, v0, vcc_lo
	s_branch .LBB118_433
.LBB118_431:
	s_mov_b32 s27, -1
	s_mov_b32 s26, 0
	s_mov_b32 s24, s19
	s_branch .LBB118_551
.LBB118_432:
	s_mov_b32 s22, -1
                                        ; implicit-def: $vgpr0_vgpr1
.LBB118_433:
	v_mov_b64_e32 v[2:3], 0
.LBB118_434:
	s_mov_b32 s26, 0
.LBB118_435:
	s_delay_alu instid0(SALU_CYCLE_1)
	s_and_b32 vcc_lo, exec_lo, s26
	s_cbranch_vccz .LBB118_440
; %bb.436:
	s_cmp_eq_u32 s23, 29
	s_cbranch_scc0 .LBB118_438
; %bb.437:
	global_load_b64 v[0:1], v[4:5], off
	s_mov_b32 s24, -1
	s_mov_b32 s22, 0
	s_wait_loadcnt 0x0
	v_cvt_f64_u32_e32 v[2:3], v1
	v_cvt_f64_u32_e32 v[0:1], v0
	s_delay_alu instid0(VALU_DEP_2) | instskip(NEXT) | instid1(VALU_DEP_1)
	v_ldexp_f64 v[2:3], v[2:3], 32
	v_add_f64_e32 v[0:1], v[2:3], v[0:1]
	s_branch .LBB118_439
.LBB118_438:
	s_mov_b32 s22, -1
                                        ; implicit-def: $vgpr0_vgpr1
.LBB118_439:
	v_mov_b64_e32 v[2:3], 0
.LBB118_440:
	s_mov_b32 s26, 0
.LBB118_441:
	s_delay_alu instid0(SALU_CYCLE_1)
	s_and_b32 vcc_lo, exec_lo, s26
	s_cbranch_vccz .LBB118_459
; %bb.442:
	s_cmp_lt_i32 s23, 27
	s_cbranch_scc1 .LBB118_445
; %bb.443:
	s_cmp_gt_i32 s23, 27
	s_cbranch_scc0 .LBB118_446
; %bb.444:
	global_load_b32 v0, v[4:5], off
	s_mov_b32 s24, 0
	s_wait_loadcnt 0x0
	v_cvt_f64_u32_e32 v[0:1], v0
	s_branch .LBB118_447
.LBB118_445:
	s_mov_b32 s24, -1
                                        ; implicit-def: $vgpr0_vgpr1
	s_branch .LBB118_450
.LBB118_446:
	s_mov_b32 s24, -1
                                        ; implicit-def: $vgpr0_vgpr1
.LBB118_447:
	s_delay_alu instid0(SALU_CYCLE_1)
	s_and_not1_b32 vcc_lo, exec_lo, s24
	s_cbranch_vccnz .LBB118_449
; %bb.448:
	global_load_u16 v0, v[4:5], off
	s_wait_loadcnt 0x0
	v_cvt_f64_u32_e32 v[0:1], v0
.LBB118_449:
	s_mov_b32 s24, 0
.LBB118_450:
	s_delay_alu instid0(SALU_CYCLE_1)
	s_and_not1_b32 vcc_lo, exec_lo, s24
	s_cbranch_vccnz .LBB118_458
; %bb.451:
	global_load_u8 v2, v[4:5], off
	s_mov_b32 s24, 0
	s_mov_b32 s26, exec_lo
	s_wait_loadcnt 0x0
	v_cmpx_lt_i16_e32 0x7f, v2
	s_xor_b32 s26, exec_lo, s26
	s_cbranch_execz .LBB118_472
; %bb.452:
	s_mov_b32 s24, -1
	s_mov_b32 s27, exec_lo
	v_cmpx_eq_u16_e32 0x80, v2
; %bb.453:
	s_xor_b32 s24, exec_lo, -1
; %bb.454:
	s_or_b32 exec_lo, exec_lo, s27
	s_delay_alu instid0(SALU_CYCLE_1)
	s_and_b32 s24, s24, exec_lo
	s_or_saveexec_b32 s26, s26
	v_mov_b64_e32 v[0:1], 0x7ff8000020000000
	s_xor_b32 exec_lo, exec_lo, s26
	s_cbranch_execnz .LBB118_473
.LBB118_455:
	s_or_b32 exec_lo, exec_lo, s26
	s_and_saveexec_b32 s26, s24
	s_cbranch_execz .LBB118_457
.LBB118_456:
	v_and_b32_e32 v0, 0xffff, v2
	s_delay_alu instid0(VALU_DEP_1) | instskip(SKIP_1) | instid1(VALU_DEP_2)
	v_and_b32_e32 v1, 7, v0
	v_bfe_u32 v7, v0, 3, 4
	v_clz_i32_u32_e32 v3, v1
	s_delay_alu instid0(VALU_DEP_2) | instskip(NEXT) | instid1(VALU_DEP_2)
	v_cmp_eq_u32_e32 vcc_lo, 0, v7
	v_min_u32_e32 v3, 32, v3
	s_delay_alu instid0(VALU_DEP_1) | instskip(NEXT) | instid1(VALU_DEP_1)
	v_subrev_nc_u32_e32 v6, 28, v3
	v_dual_lshlrev_b32 v0, v6, v0 :: v_dual_sub_nc_u32 v3, 29, v3
	s_delay_alu instid0(VALU_DEP_1) | instskip(NEXT) | instid1(VALU_DEP_1)
	v_dual_lshlrev_b32 v2, 24, v2 :: v_dual_bitop2_b32 v0, 7, v0 bitop3:0x40
	v_dual_cndmask_b32 v3, v7, v3 :: v_dual_cndmask_b32 v0, v1, v0
	s_delay_alu instid0(VALU_DEP_2) | instskip(NEXT) | instid1(VALU_DEP_2)
	v_and_b32_e32 v1, 0x80000000, v2
	v_lshl_add_u32 v2, v3, 23, 0x3b800000
	s_delay_alu instid0(VALU_DEP_3) | instskip(NEXT) | instid1(VALU_DEP_1)
	v_lshlrev_b32_e32 v0, 20, v0
	v_or3_b32 v0, v1, v2, v0
	s_delay_alu instid0(VALU_DEP_1)
	v_cvt_f64_f32_e32 v[0:1], v0
.LBB118_457:
	s_or_b32 exec_lo, exec_lo, s26
.LBB118_458:
	v_mov_b64_e32 v[2:3], 0
	s_mov_b32 s24, -1
.LBB118_459:
	s_mov_b32 s26, 0
.LBB118_460:
	s_delay_alu instid0(SALU_CYCLE_1)
	s_and_b32 vcc_lo, exec_lo, s26
	s_cbranch_vccz .LBB118_496
; %bb.461:
	s_cmp_gt_i32 s23, 22
	s_cbranch_scc0 .LBB118_471
; %bb.462:
	s_cmp_lt_i32 s23, 24
	s_cbranch_scc1 .LBB118_474
; %bb.463:
	s_cmp_gt_i32 s23, 24
	s_cbranch_scc0 .LBB118_475
; %bb.464:
	global_load_u8 v2, v[4:5], off
	s_mov_b32 s24, 0
	s_mov_b32 s26, exec_lo
	s_wait_loadcnt 0x0
	v_cmpx_lt_i16_e32 0x7f, v2
	s_xor_b32 s26, exec_lo, s26
	s_cbranch_execz .LBB118_487
; %bb.465:
	s_mov_b32 s24, -1
	s_mov_b32 s27, exec_lo
	v_cmpx_eq_u16_e32 0x80, v2
; %bb.466:
	s_xor_b32 s24, exec_lo, -1
; %bb.467:
	s_or_b32 exec_lo, exec_lo, s27
	s_delay_alu instid0(SALU_CYCLE_1)
	s_and_b32 s24, s24, exec_lo
	s_or_saveexec_b32 s26, s26
	v_mov_b64_e32 v[0:1], 0x7ff8000020000000
	s_xor_b32 exec_lo, exec_lo, s26
	s_cbranch_execnz .LBB118_488
.LBB118_468:
	s_or_b32 exec_lo, exec_lo, s26
	s_and_saveexec_b32 s26, s24
	s_cbranch_execz .LBB118_470
.LBB118_469:
	v_and_b32_e32 v0, 0xffff, v2
	s_delay_alu instid0(VALU_DEP_1) | instskip(SKIP_1) | instid1(VALU_DEP_2)
	v_and_b32_e32 v1, 3, v0
	v_bfe_u32 v7, v0, 2, 5
	v_clz_i32_u32_e32 v3, v1
	s_delay_alu instid0(VALU_DEP_2) | instskip(NEXT) | instid1(VALU_DEP_2)
	v_cmp_eq_u32_e32 vcc_lo, 0, v7
	v_min_u32_e32 v3, 32, v3
	s_delay_alu instid0(VALU_DEP_1) | instskip(NEXT) | instid1(VALU_DEP_1)
	v_subrev_nc_u32_e32 v6, 29, v3
	v_dual_lshlrev_b32 v0, v6, v0 :: v_dual_sub_nc_u32 v3, 30, v3
	s_delay_alu instid0(VALU_DEP_1) | instskip(NEXT) | instid1(VALU_DEP_1)
	v_dual_lshlrev_b32 v2, 24, v2 :: v_dual_bitop2_b32 v0, 3, v0 bitop3:0x40
	v_dual_cndmask_b32 v3, v7, v3 :: v_dual_cndmask_b32 v0, v1, v0
	s_delay_alu instid0(VALU_DEP_2) | instskip(NEXT) | instid1(VALU_DEP_2)
	v_and_b32_e32 v1, 0x80000000, v2
	v_lshl_add_u32 v2, v3, 23, 0x37800000
	s_delay_alu instid0(VALU_DEP_3) | instskip(NEXT) | instid1(VALU_DEP_1)
	v_lshlrev_b32_e32 v0, 21, v0
	v_or3_b32 v0, v1, v2, v0
	s_delay_alu instid0(VALU_DEP_1)
	v_cvt_f64_f32_e32 v[0:1], v0
.LBB118_470:
	s_or_b32 exec_lo, exec_lo, s26
	s_mov_b32 s24, 0
	s_branch .LBB118_476
.LBB118_471:
	s_mov_b32 s26, -1
                                        ; implicit-def: $vgpr0_vgpr1
	s_branch .LBB118_482
.LBB118_472:
	s_or_saveexec_b32 s26, s26
	v_mov_b64_e32 v[0:1], 0x7ff8000020000000
	s_xor_b32 exec_lo, exec_lo, s26
	s_cbranch_execz .LBB118_455
.LBB118_473:
	v_cmp_ne_u16_e32 vcc_lo, 0, v2
	v_mov_b64_e32 v[0:1], 0
	s_and_not1_b32 s24, s24, exec_lo
	s_and_b32 s27, vcc_lo, exec_lo
	s_delay_alu instid0(SALU_CYCLE_1)
	s_or_b32 s24, s24, s27
	s_or_b32 exec_lo, exec_lo, s26
	s_and_saveexec_b32 s26, s24
	s_cbranch_execnz .LBB118_456
	s_branch .LBB118_457
.LBB118_474:
	s_mov_b32 s24, -1
                                        ; implicit-def: $vgpr0_vgpr1
	s_branch .LBB118_479
.LBB118_475:
	s_mov_b32 s24, -1
                                        ; implicit-def: $vgpr0_vgpr1
.LBB118_476:
	s_delay_alu instid0(SALU_CYCLE_1)
	s_and_b32 vcc_lo, exec_lo, s24
	s_cbranch_vccz .LBB118_478
; %bb.477:
	global_load_u8 v0, v[4:5], off
	s_wait_loadcnt 0x0
	v_lshlrev_b32_e32 v0, 24, v0
	s_delay_alu instid0(VALU_DEP_1) | instskip(NEXT) | instid1(VALU_DEP_1)
	v_and_b32_e32 v1, 0x7f000000, v0
	v_clz_i32_u32_e32 v2, v1
	v_cmp_ne_u32_e32 vcc_lo, 0, v1
	v_add_nc_u32_e32 v6, 0x1000000, v1
	s_delay_alu instid0(VALU_DEP_3) | instskip(NEXT) | instid1(VALU_DEP_1)
	v_min_u32_e32 v2, 32, v2
	v_sub_nc_u32_e64 v2, v2, 4 clamp
	s_delay_alu instid0(VALU_DEP_1) | instskip(NEXT) | instid1(VALU_DEP_1)
	v_dual_lshlrev_b32 v3, v2, v1 :: v_dual_lshlrev_b32 v2, 23, v2
	v_lshrrev_b32_e32 v3, 4, v3
	s_delay_alu instid0(VALU_DEP_1) | instskip(SKIP_1) | instid1(VALU_DEP_2)
	v_sub_nc_u32_e32 v2, v3, v2
	v_ashrrev_i32_e32 v3, 8, v6
	v_add_nc_u32_e32 v2, 0x3c000000, v2
	s_delay_alu instid0(VALU_DEP_1) | instskip(NEXT) | instid1(VALU_DEP_1)
	v_and_or_b32 v2, 0x7f800000, v3, v2
	v_cndmask_b32_e32 v1, 0, v2, vcc_lo
	s_delay_alu instid0(VALU_DEP_1) | instskip(NEXT) | instid1(VALU_DEP_1)
	v_and_or_b32 v0, 0x80000000, v0, v1
	v_cvt_f64_f32_e32 v[0:1], v0
.LBB118_478:
	s_mov_b32 s24, 0
.LBB118_479:
	s_delay_alu instid0(SALU_CYCLE_1)
	s_and_not1_b32 vcc_lo, exec_lo, s24
	s_cbranch_vccnz .LBB118_481
; %bb.480:
	global_load_u8 v0, v[4:5], off
	s_wait_loadcnt 0x0
	v_lshlrev_b32_e32 v1, 25, v0
	v_lshlrev_b16 v0, 8, v0
	s_delay_alu instid0(VALU_DEP_1) | instskip(SKIP_1) | instid1(VALU_DEP_2)
	v_and_or_b32 v3, 0x7f00, v0, 0.5
	v_bfe_i32 v0, v0, 0, 16
	v_dual_add_f32 v3, -0.5, v3 :: v_dual_lshrrev_b32 v2, 4, v1
	v_cmp_gt_u32_e32 vcc_lo, 0x8000000, v1
	s_delay_alu instid0(VALU_DEP_2) | instskip(NEXT) | instid1(VALU_DEP_1)
	v_or_b32_e32 v2, 0x70000000, v2
	v_mul_f32_e32 v2, 0x7800000, v2
	s_delay_alu instid0(VALU_DEP_1) | instskip(NEXT) | instid1(VALU_DEP_1)
	v_cndmask_b32_e32 v1, v2, v3, vcc_lo
	v_and_or_b32 v0, 0x80000000, v0, v1
	s_delay_alu instid0(VALU_DEP_1)
	v_cvt_f64_f32_e32 v[0:1], v0
.LBB118_481:
	s_mov_b32 s26, 0
	s_mov_b32 s24, -1
.LBB118_482:
	s_and_not1_b32 vcc_lo, exec_lo, s26
	s_cbranch_vccnz .LBB118_495
; %bb.483:
	s_cmp_gt_i32 s23, 14
	s_cbranch_scc0 .LBB118_486
; %bb.484:
	s_cmp_eq_u32 s23, 15
	s_cbranch_scc0 .LBB118_489
; %bb.485:
	global_load_u16 v0, v[4:5], off
	s_mov_b32 s24, -1
	s_mov_b32 s22, 0
	s_wait_loadcnt 0x0
	v_lshlrev_b32_e32 v0, 16, v0
	s_delay_alu instid0(VALU_DEP_1)
	v_cvt_f64_f32_e32 v[0:1], v0
	s_branch .LBB118_490
.LBB118_486:
	s_mov_b32 s26, -1
                                        ; implicit-def: $vgpr0_vgpr1
	s_branch .LBB118_491
.LBB118_487:
	s_or_saveexec_b32 s26, s26
	v_mov_b64_e32 v[0:1], 0x7ff8000020000000
	s_xor_b32 exec_lo, exec_lo, s26
	s_cbranch_execz .LBB118_468
.LBB118_488:
	v_cmp_ne_u16_e32 vcc_lo, 0, v2
	v_mov_b64_e32 v[0:1], 0
	s_and_not1_b32 s24, s24, exec_lo
	s_and_b32 s27, vcc_lo, exec_lo
	s_delay_alu instid0(SALU_CYCLE_1)
	s_or_b32 s24, s24, s27
	s_or_b32 exec_lo, exec_lo, s26
	s_and_saveexec_b32 s26, s24
	s_cbranch_execnz .LBB118_469
	s_branch .LBB118_470
.LBB118_489:
	s_mov_b32 s22, -1
                                        ; implicit-def: $vgpr0_vgpr1
.LBB118_490:
	s_mov_b32 s26, 0
.LBB118_491:
	s_delay_alu instid0(SALU_CYCLE_1)
	s_and_b32 vcc_lo, exec_lo, s26
	s_cbranch_vccz .LBB118_495
; %bb.492:
	s_cmp_eq_u32 s23, 11
	s_cbranch_scc0 .LBB118_494
; %bb.493:
	global_load_u8 v0, v[4:5], off
	s_mov_b32 s22, 0
	s_mov_b32 s24, -1
	v_mov_b64_e32 v[2:3], 0
	s_wait_loadcnt 0x0
	v_cmp_ne_u16_e32 vcc_lo, 0, v0
	v_mov_b32_e32 v0, 0
	v_cndmask_b32_e64 v1, 0, 0x3ff00000, vcc_lo
	s_branch .LBB118_496
.LBB118_494:
	s_mov_b32 s22, -1
                                        ; implicit-def: $vgpr0_vgpr1
.LBB118_495:
	v_mov_b64_e32 v[2:3], 0
.LBB118_496:
	s_branch .LBB118_408
.LBB118_497:
	s_and_b32 s0, 0xffff, s0
	s_delay_alu instid0(SALU_CYCLE_1)
	s_cmp_lt_i32 s0, 5
	s_cbranch_scc1 .LBB118_502
; %bb.498:
	s_cmp_lt_i32 s0, 8
	s_cbranch_scc1 .LBB118_503
; %bb.499:
	;; [unrolled: 3-line block ×3, first 2 shown]
	s_cmp_gt_i32 s0, 9
	s_cbranch_scc0 .LBB118_505
; %bb.501:
	global_load_b128 v[0:3], v[4:5], off
	s_mov_b32 s23, 0
	s_branch .LBB118_506
.LBB118_502:
	s_mov_b32 s23, -1
                                        ; implicit-def: $vgpr2_vgpr3
	s_branch .LBB118_525
.LBB118_503:
	s_mov_b32 s23, -1
                                        ; implicit-def: $vgpr2_vgpr3
	s_branch .LBB118_512
.LBB118_504:
	s_mov_b32 s23, -1
                                        ; implicit-def: $vgpr2_vgpr3
	s_branch .LBB118_509
.LBB118_505:
	s_mov_b32 s23, -1
                                        ; implicit-def: $vgpr2_vgpr3
.LBB118_506:
	s_delay_alu instid0(SALU_CYCLE_1)
	s_and_not1_b32 vcc_lo, exec_lo, s23
	s_cbranch_vccnz .LBB118_508
; %bb.507:
	s_wait_loadcnt 0x0
	global_load_b64 v[2:3], v[4:5], off
	s_wait_loadcnt 0x0
	v_cvt_f64_f32_e32 v[0:1], v2
	v_cvt_f64_f32_e32 v[2:3], v3
.LBB118_508:
	s_mov_b32 s23, 0
.LBB118_509:
	s_delay_alu instid0(SALU_CYCLE_1)
	s_and_not1_b32 vcc_lo, exec_lo, s23
	s_cbranch_vccnz .LBB118_511
; %bb.510:
	s_wait_loadcnt 0x0
	global_load_b32 v0, v[4:5], off
	s_wait_loadcnt 0x0
	v_lshrrev_b32_e32 v1, 16, v0
	v_cvt_f32_f16_e32 v0, v0
	s_delay_alu instid0(VALU_DEP_2) | instskip(NEXT) | instid1(VALU_DEP_2)
	v_cvt_f32_f16_e32 v2, v1
	v_cvt_f64_f32_e32 v[0:1], v0
	s_delay_alu instid0(VALU_DEP_2)
	v_cvt_f64_f32_e32 v[2:3], v2
.LBB118_511:
	s_mov_b32 s23, 0
.LBB118_512:
	s_delay_alu instid0(SALU_CYCLE_1)
	s_and_not1_b32 vcc_lo, exec_lo, s23
	s_cbranch_vccnz .LBB118_524
; %bb.513:
	s_cmp_lt_i32 s0, 6
	s_cbranch_scc1 .LBB118_516
; %bb.514:
	s_cmp_gt_i32 s0, 6
	s_cbranch_scc0 .LBB118_517
; %bb.515:
	s_wait_loadcnt 0x0
	global_load_b64 v[0:1], v[4:5], off
	s_mov_b32 s23, 0
	s_branch .LBB118_518
.LBB118_516:
	s_mov_b32 s23, -1
                                        ; implicit-def: $vgpr0_vgpr1
	s_branch .LBB118_521
.LBB118_517:
	s_mov_b32 s23, -1
                                        ; implicit-def: $vgpr0_vgpr1
.LBB118_518:
	s_delay_alu instid0(SALU_CYCLE_1)
	s_and_not1_b32 vcc_lo, exec_lo, s23
	s_cbranch_vccnz .LBB118_520
; %bb.519:
	s_wait_loadcnt 0x0
	global_load_b32 v0, v[4:5], off
	s_wait_loadcnt 0x0
	v_cvt_f64_f32_e32 v[0:1], v0
.LBB118_520:
	s_mov_b32 s23, 0
.LBB118_521:
	s_delay_alu instid0(SALU_CYCLE_1)
	s_and_not1_b32 vcc_lo, exec_lo, s23
	s_cbranch_vccnz .LBB118_523
; %bb.522:
	s_wait_loadcnt 0x0
	global_load_u16 v0, v[4:5], off
	s_wait_loadcnt 0x0
	v_cvt_f32_f16_e32 v0, v0
	s_delay_alu instid0(VALU_DEP_1)
	v_cvt_f64_f32_e32 v[0:1], v0
.LBB118_523:
	s_wait_loadcnt 0x0
	v_mov_b64_e32 v[2:3], 0
.LBB118_524:
	s_mov_b32 s23, 0
.LBB118_525:
	s_delay_alu instid0(SALU_CYCLE_1)
	s_and_not1_b32 vcc_lo, exec_lo, s23
	s_cbranch_vccnz .LBB118_546
; %bb.526:
	s_cmp_lt_i32 s0, 2
	s_cbranch_scc1 .LBB118_530
; %bb.527:
	s_cmp_lt_i32 s0, 3
	s_cbranch_scc1 .LBB118_531
; %bb.528:
	s_cmp_gt_i32 s0, 3
	s_cbranch_scc0 .LBB118_532
; %bb.529:
	s_wait_loadcnt 0x0
	global_load_b64 v[0:1], v[4:5], off
	s_mov_b32 s23, 0
	s_wait_loadcnt 0x0
	v_cvt_f64_i32_e32 v[2:3], v1
	v_cvt_f64_u32_e32 v[0:1], v0
	s_delay_alu instid0(VALU_DEP_2) | instskip(NEXT) | instid1(VALU_DEP_1)
	v_ldexp_f64 v[2:3], v[2:3], 32
	v_add_f64_e32 v[0:1], v[2:3], v[0:1]
	s_branch .LBB118_533
.LBB118_530:
	s_mov_b32 s23, -1
                                        ; implicit-def: $vgpr0_vgpr1
	s_branch .LBB118_539
.LBB118_531:
	s_mov_b32 s23, -1
                                        ; implicit-def: $vgpr0_vgpr1
	s_branch .LBB118_536
.LBB118_532:
	s_mov_b32 s23, -1
                                        ; implicit-def: $vgpr0_vgpr1
.LBB118_533:
	s_delay_alu instid0(SALU_CYCLE_1)
	s_and_not1_b32 vcc_lo, exec_lo, s23
	s_cbranch_vccnz .LBB118_535
; %bb.534:
	s_wait_loadcnt 0x0
	global_load_b32 v0, v[4:5], off
	s_wait_loadcnt 0x0
	v_cvt_f64_i32_e32 v[0:1], v0
.LBB118_535:
	s_mov_b32 s23, 0
.LBB118_536:
	s_delay_alu instid0(SALU_CYCLE_1)
	s_and_not1_b32 vcc_lo, exec_lo, s23
	s_cbranch_vccnz .LBB118_538
; %bb.537:
	s_wait_loadcnt 0x0
	global_load_i16 v0, v[4:5], off
	s_wait_loadcnt 0x0
	v_cvt_f64_i32_e32 v[0:1], v0
.LBB118_538:
	s_mov_b32 s23, 0
.LBB118_539:
	s_delay_alu instid0(SALU_CYCLE_1)
	s_and_not1_b32 vcc_lo, exec_lo, s23
	s_cbranch_vccnz .LBB118_545
; %bb.540:
	s_cmp_gt_i32 s0, 0
	s_mov_b32 s0, 0
	s_cbranch_scc0 .LBB118_542
; %bb.541:
	s_wait_loadcnt 0x0
	global_load_i8 v0, v[4:5], off
	s_wait_loadcnt 0x0
	v_cvt_f64_i32_e32 v[0:1], v0
	s_branch .LBB118_543
.LBB118_542:
	s_mov_b32 s0, -1
                                        ; implicit-def: $vgpr0_vgpr1
.LBB118_543:
	s_delay_alu instid0(SALU_CYCLE_1)
	s_and_not1_b32 vcc_lo, exec_lo, s0
	s_cbranch_vccnz .LBB118_545
; %bb.544:
	s_wait_loadcnt 0x0
	global_load_u8 v0, v[4:5], off
	s_wait_loadcnt 0x0
	v_cvt_f64_u32_e32 v[0:1], v0
.LBB118_545:
	s_wait_loadcnt 0x0
	v_mov_b64_e32 v[2:3], 0
.LBB118_546:
	s_branch .LBB118_409
.LBB118_547:
	s_mov_b32 s26, 0
	s_mov_b32 s0, s18
	;; [unrolled: 1-line block ×3, first 2 shown]
	s_branch .LBB118_801
.LBB118_548:
	s_and_not1_saveexec_b32 s27, s27
	s_cbranch_execz .LBB118_201
.LBB118_549:
	v_add_f32_e32 v2, 0x42800000, v3
	s_and_not1_b32 s26, s26, exec_lo
	s_delay_alu instid0(VALU_DEP_1) | instskip(NEXT) | instid1(VALU_DEP_1)
	v_and_b32_e32 v2, 0xff, v2
	v_cmp_ne_u32_e32 vcc_lo, 0, v2
	s_and_b32 s28, vcc_lo, exec_lo
	s_delay_alu instid0(SALU_CYCLE_1)
	s_or_b32 s26, s26, s28
	s_or_b32 exec_lo, exec_lo, s27
	v_mov_b32_e32 v4, 0
	s_and_saveexec_b32 s27, s26
	s_cbranch_execnz .LBB118_202
	s_branch .LBB118_203
.LBB118_550:
	s_mov_b32 s24, -1
	s_mov_b32 s26, 0
.LBB118_551:
                                        ; implicit-def: $vgpr6_vgpr7
.LBB118_552:
	s_and_b32 vcc_lo, exec_lo, s27
	s_cbranch_vccz .LBB118_557
; %bb.553:
	s_cmp_eq_u32 s23, 44
	s_cbranch_scc0 .LBB118_555
; %bb.554:
	global_load_u8 v6, v[8:9], off
	s_mov_b32 s24, 0
	s_mov_b32 s26, -1
	s_wait_loadcnt 0x0
	v_cmp_ne_u32_e32 vcc_lo, 0xff, v6
	v_lshlrev_b32_e32 v4, 23, v6
	s_delay_alu instid0(VALU_DEP_1) | instskip(NEXT) | instid1(VALU_DEP_1)
	v_cvt_f64_f32_e32 v[4:5], v4
	v_cndmask_b32_e32 v4, 0x20000000, v4, vcc_lo
	s_delay_alu instid0(VALU_DEP_2) | instskip(SKIP_1) | instid1(VALU_DEP_2)
	v_cndmask_b32_e32 v5, 0x7ff80000, v5, vcc_lo
	v_cmp_ne_u32_e32 vcc_lo, 0, v6
	v_cndmask_b32_e32 v5, 0x38000000, v5, vcc_lo
	s_delay_alu instid0(VALU_DEP_4)
	v_cndmask_b32_e32 v4, 0, v4, vcc_lo
	s_branch .LBB118_556
.LBB118_555:
	s_mov_b32 s24, -1
                                        ; implicit-def: $vgpr4_vgpr5
.LBB118_556:
	v_mov_b64_e32 v[6:7], 0
.LBB118_557:
	s_mov_b32 s27, 0
.LBB118_558:
	s_delay_alu instid0(SALU_CYCLE_1)
	s_and_b32 vcc_lo, exec_lo, s27
	s_cbranch_vccz .LBB118_563
; %bb.559:
	s_cmp_eq_u32 s23, 29
	s_cbranch_scc0 .LBB118_561
; %bb.560:
	global_load_b64 v[4:5], v[8:9], off
	s_mov_b32 s26, -1
	s_mov_b32 s24, 0
	s_wait_loadcnt 0x0
	v_cvt_f64_u32_e32 v[6:7], v5
	v_cvt_f64_u32_e32 v[4:5], v4
	s_delay_alu instid0(VALU_DEP_2) | instskip(NEXT) | instid1(VALU_DEP_1)
	v_ldexp_f64 v[6:7], v[6:7], 32
	v_add_f64_e32 v[4:5], v[6:7], v[4:5]
	s_branch .LBB118_562
.LBB118_561:
	s_mov_b32 s24, -1
                                        ; implicit-def: $vgpr4_vgpr5
.LBB118_562:
	v_mov_b64_e32 v[6:7], 0
.LBB118_563:
	s_mov_b32 s27, 0
.LBB118_564:
	s_delay_alu instid0(SALU_CYCLE_1)
	s_and_b32 vcc_lo, exec_lo, s27
	s_cbranch_vccz .LBB118_582
; %bb.565:
	s_cmp_lt_i32 s23, 27
	s_cbranch_scc1 .LBB118_568
; %bb.566:
	s_cmp_gt_i32 s23, 27
	s_cbranch_scc0 .LBB118_569
; %bb.567:
	global_load_b32 v4, v[8:9], off
	s_mov_b32 s26, 0
	s_wait_loadcnt 0x0
	v_cvt_f64_u32_e32 v[4:5], v4
	s_branch .LBB118_570
.LBB118_568:
	s_mov_b32 s26, -1
                                        ; implicit-def: $vgpr4_vgpr5
	s_branch .LBB118_573
.LBB118_569:
	s_mov_b32 s26, -1
                                        ; implicit-def: $vgpr4_vgpr5
.LBB118_570:
	s_delay_alu instid0(SALU_CYCLE_1)
	s_and_not1_b32 vcc_lo, exec_lo, s26
	s_cbranch_vccnz .LBB118_572
; %bb.571:
	global_load_u16 v4, v[8:9], off
	s_wait_loadcnt 0x0
	v_cvt_f64_u32_e32 v[4:5], v4
.LBB118_572:
	s_mov_b32 s26, 0
.LBB118_573:
	s_delay_alu instid0(SALU_CYCLE_1)
	s_and_not1_b32 vcc_lo, exec_lo, s26
	s_cbranch_vccnz .LBB118_581
; %bb.574:
	global_load_u8 v6, v[8:9], off
	s_mov_b32 s26, 0
	s_mov_b32 s27, exec_lo
	s_wait_loadcnt 0x0
	v_cmpx_lt_i16_e32 0x7f, v6
	s_xor_b32 s27, exec_lo, s27
	s_cbranch_execz .LBB118_595
; %bb.575:
	s_mov_b32 s26, -1
	s_mov_b32 s28, exec_lo
	v_cmpx_eq_u16_e32 0x80, v6
; %bb.576:
	s_xor_b32 s26, exec_lo, -1
; %bb.577:
	s_or_b32 exec_lo, exec_lo, s28
	s_delay_alu instid0(SALU_CYCLE_1)
	s_and_b32 s26, s26, exec_lo
	s_or_saveexec_b32 s27, s27
	v_mov_b64_e32 v[4:5], 0x7ff8000020000000
	s_xor_b32 exec_lo, exec_lo, s27
	s_cbranch_execnz .LBB118_596
.LBB118_578:
	s_or_b32 exec_lo, exec_lo, s27
	s_and_saveexec_b32 s27, s26
	s_cbranch_execz .LBB118_580
.LBB118_579:
	v_and_b32_e32 v4, 0xffff, v6
	s_delay_alu instid0(VALU_DEP_1) | instskip(SKIP_1) | instid1(VALU_DEP_2)
	v_and_b32_e32 v5, 7, v4
	v_bfe_u32 v11, v4, 3, 4
	v_clz_i32_u32_e32 v7, v5
	s_delay_alu instid0(VALU_DEP_2) | instskip(NEXT) | instid1(VALU_DEP_2)
	v_cmp_eq_u32_e32 vcc_lo, 0, v11
	v_min_u32_e32 v7, 32, v7
	s_delay_alu instid0(VALU_DEP_1) | instskip(NEXT) | instid1(VALU_DEP_1)
	v_subrev_nc_u32_e32 v10, 28, v7
	v_dual_lshlrev_b32 v4, v10, v4 :: v_dual_sub_nc_u32 v7, 29, v7
	s_delay_alu instid0(VALU_DEP_1) | instskip(NEXT) | instid1(VALU_DEP_1)
	v_dual_lshlrev_b32 v6, 24, v6 :: v_dual_bitop2_b32 v4, 7, v4 bitop3:0x40
	v_dual_cndmask_b32 v7, v11, v7 :: v_dual_cndmask_b32 v4, v5, v4
	s_delay_alu instid0(VALU_DEP_2) | instskip(NEXT) | instid1(VALU_DEP_2)
	v_and_b32_e32 v5, 0x80000000, v6
	v_lshl_add_u32 v6, v7, 23, 0x3b800000
	s_delay_alu instid0(VALU_DEP_3) | instskip(NEXT) | instid1(VALU_DEP_1)
	v_lshlrev_b32_e32 v4, 20, v4
	v_or3_b32 v4, v5, v6, v4
	s_delay_alu instid0(VALU_DEP_1)
	v_cvt_f64_f32_e32 v[4:5], v4
.LBB118_580:
	s_or_b32 exec_lo, exec_lo, s27
.LBB118_581:
	v_mov_b64_e32 v[6:7], 0
	s_mov_b32 s26, -1
.LBB118_582:
	s_mov_b32 s27, 0
.LBB118_583:
	s_delay_alu instid0(SALU_CYCLE_1)
	s_and_b32 vcc_lo, exec_lo, s27
	s_cbranch_vccz .LBB118_619
; %bb.584:
	s_cmp_gt_i32 s23, 22
	s_cbranch_scc0 .LBB118_594
; %bb.585:
	s_cmp_lt_i32 s23, 24
	s_cbranch_scc1 .LBB118_597
; %bb.586:
	s_cmp_gt_i32 s23, 24
	s_cbranch_scc0 .LBB118_598
; %bb.587:
	global_load_u8 v6, v[8:9], off
	s_mov_b32 s26, 0
	s_mov_b32 s27, exec_lo
	s_wait_loadcnt 0x0
	v_cmpx_lt_i16_e32 0x7f, v6
	s_xor_b32 s27, exec_lo, s27
	s_cbranch_execz .LBB118_610
; %bb.588:
	s_mov_b32 s26, -1
	s_mov_b32 s28, exec_lo
	v_cmpx_eq_u16_e32 0x80, v6
; %bb.589:
	s_xor_b32 s26, exec_lo, -1
; %bb.590:
	s_or_b32 exec_lo, exec_lo, s28
	s_delay_alu instid0(SALU_CYCLE_1)
	s_and_b32 s26, s26, exec_lo
	s_or_saveexec_b32 s27, s27
	v_mov_b64_e32 v[4:5], 0x7ff8000020000000
	s_xor_b32 exec_lo, exec_lo, s27
	s_cbranch_execnz .LBB118_611
.LBB118_591:
	s_or_b32 exec_lo, exec_lo, s27
	s_and_saveexec_b32 s27, s26
	s_cbranch_execz .LBB118_593
.LBB118_592:
	v_and_b32_e32 v4, 0xffff, v6
	s_delay_alu instid0(VALU_DEP_1) | instskip(SKIP_1) | instid1(VALU_DEP_2)
	v_and_b32_e32 v5, 3, v4
	v_bfe_u32 v11, v4, 2, 5
	v_clz_i32_u32_e32 v7, v5
	s_delay_alu instid0(VALU_DEP_2) | instskip(NEXT) | instid1(VALU_DEP_2)
	v_cmp_eq_u32_e32 vcc_lo, 0, v11
	v_min_u32_e32 v7, 32, v7
	s_delay_alu instid0(VALU_DEP_1) | instskip(NEXT) | instid1(VALU_DEP_1)
	v_subrev_nc_u32_e32 v10, 29, v7
	v_dual_lshlrev_b32 v4, v10, v4 :: v_dual_sub_nc_u32 v7, 30, v7
	s_delay_alu instid0(VALU_DEP_1) | instskip(NEXT) | instid1(VALU_DEP_1)
	v_dual_lshlrev_b32 v6, 24, v6 :: v_dual_bitop2_b32 v4, 3, v4 bitop3:0x40
	v_dual_cndmask_b32 v7, v11, v7 :: v_dual_cndmask_b32 v4, v5, v4
	s_delay_alu instid0(VALU_DEP_2) | instskip(NEXT) | instid1(VALU_DEP_2)
	v_and_b32_e32 v5, 0x80000000, v6
	v_lshl_add_u32 v6, v7, 23, 0x37800000
	s_delay_alu instid0(VALU_DEP_3) | instskip(NEXT) | instid1(VALU_DEP_1)
	v_lshlrev_b32_e32 v4, 21, v4
	v_or3_b32 v4, v5, v6, v4
	s_delay_alu instid0(VALU_DEP_1)
	v_cvt_f64_f32_e32 v[4:5], v4
.LBB118_593:
	s_or_b32 exec_lo, exec_lo, s27
	s_mov_b32 s26, 0
	s_branch .LBB118_599
.LBB118_594:
	s_mov_b32 s27, -1
                                        ; implicit-def: $vgpr4_vgpr5
	s_branch .LBB118_605
.LBB118_595:
	s_or_saveexec_b32 s27, s27
	v_mov_b64_e32 v[4:5], 0x7ff8000020000000
	s_xor_b32 exec_lo, exec_lo, s27
	s_cbranch_execz .LBB118_578
.LBB118_596:
	v_cmp_ne_u16_e32 vcc_lo, 0, v6
	v_mov_b64_e32 v[4:5], 0
	s_and_not1_b32 s26, s26, exec_lo
	s_and_b32 s28, vcc_lo, exec_lo
	s_delay_alu instid0(SALU_CYCLE_1)
	s_or_b32 s26, s26, s28
	s_or_b32 exec_lo, exec_lo, s27
	s_and_saveexec_b32 s27, s26
	s_cbranch_execnz .LBB118_579
	s_branch .LBB118_580
.LBB118_597:
	s_mov_b32 s26, -1
                                        ; implicit-def: $vgpr4_vgpr5
	s_branch .LBB118_602
.LBB118_598:
	s_mov_b32 s26, -1
                                        ; implicit-def: $vgpr4_vgpr5
.LBB118_599:
	s_delay_alu instid0(SALU_CYCLE_1)
	s_and_b32 vcc_lo, exec_lo, s26
	s_cbranch_vccz .LBB118_601
; %bb.600:
	global_load_u8 v4, v[8:9], off
	s_wait_loadcnt 0x0
	v_lshlrev_b32_e32 v4, 24, v4
	s_delay_alu instid0(VALU_DEP_1) | instskip(NEXT) | instid1(VALU_DEP_1)
	v_and_b32_e32 v5, 0x7f000000, v4
	v_clz_i32_u32_e32 v6, v5
	v_cmp_ne_u32_e32 vcc_lo, 0, v5
	v_add_nc_u32_e32 v10, 0x1000000, v5
	s_delay_alu instid0(VALU_DEP_3) | instskip(NEXT) | instid1(VALU_DEP_1)
	v_min_u32_e32 v6, 32, v6
	v_sub_nc_u32_e64 v6, v6, 4 clamp
	s_delay_alu instid0(VALU_DEP_1) | instskip(NEXT) | instid1(VALU_DEP_1)
	v_dual_lshlrev_b32 v7, v6, v5 :: v_dual_lshlrev_b32 v6, 23, v6
	v_lshrrev_b32_e32 v7, 4, v7
	s_delay_alu instid0(VALU_DEP_1) | instskip(SKIP_1) | instid1(VALU_DEP_2)
	v_sub_nc_u32_e32 v6, v7, v6
	v_ashrrev_i32_e32 v7, 8, v10
	v_add_nc_u32_e32 v6, 0x3c000000, v6
	s_delay_alu instid0(VALU_DEP_1) | instskip(NEXT) | instid1(VALU_DEP_1)
	v_and_or_b32 v6, 0x7f800000, v7, v6
	v_cndmask_b32_e32 v5, 0, v6, vcc_lo
	s_delay_alu instid0(VALU_DEP_1) | instskip(NEXT) | instid1(VALU_DEP_1)
	v_and_or_b32 v4, 0x80000000, v4, v5
	v_cvt_f64_f32_e32 v[4:5], v4
.LBB118_601:
	s_mov_b32 s26, 0
.LBB118_602:
	s_delay_alu instid0(SALU_CYCLE_1)
	s_and_not1_b32 vcc_lo, exec_lo, s26
	s_cbranch_vccnz .LBB118_604
; %bb.603:
	global_load_u8 v4, v[8:9], off
	s_wait_loadcnt 0x0
	v_lshlrev_b32_e32 v5, 25, v4
	v_lshlrev_b16 v4, 8, v4
	s_delay_alu instid0(VALU_DEP_1) | instskip(SKIP_1) | instid1(VALU_DEP_2)
	v_and_or_b32 v7, 0x7f00, v4, 0.5
	v_bfe_i32 v4, v4, 0, 16
	v_dual_add_f32 v7, -0.5, v7 :: v_dual_lshrrev_b32 v6, 4, v5
	v_cmp_gt_u32_e32 vcc_lo, 0x8000000, v5
	s_delay_alu instid0(VALU_DEP_2) | instskip(NEXT) | instid1(VALU_DEP_1)
	v_or_b32_e32 v6, 0x70000000, v6
	v_mul_f32_e32 v6, 0x7800000, v6
	s_delay_alu instid0(VALU_DEP_1) | instskip(NEXT) | instid1(VALU_DEP_1)
	v_cndmask_b32_e32 v5, v6, v7, vcc_lo
	v_and_or_b32 v4, 0x80000000, v4, v5
	s_delay_alu instid0(VALU_DEP_1)
	v_cvt_f64_f32_e32 v[4:5], v4
.LBB118_604:
	s_mov_b32 s27, 0
	s_mov_b32 s26, -1
.LBB118_605:
	s_and_not1_b32 vcc_lo, exec_lo, s27
	s_cbranch_vccnz .LBB118_618
; %bb.606:
	s_cmp_gt_i32 s23, 14
	s_cbranch_scc0 .LBB118_609
; %bb.607:
	s_cmp_eq_u32 s23, 15
	s_cbranch_scc0 .LBB118_612
; %bb.608:
	global_load_u16 v4, v[8:9], off
	s_mov_b32 s26, -1
	s_mov_b32 s24, 0
	s_wait_loadcnt 0x0
	v_lshlrev_b32_e32 v4, 16, v4
	s_delay_alu instid0(VALU_DEP_1)
	v_cvt_f64_f32_e32 v[4:5], v4
	s_branch .LBB118_613
.LBB118_609:
	s_mov_b32 s27, -1
                                        ; implicit-def: $vgpr4_vgpr5
	s_branch .LBB118_614
.LBB118_610:
	s_or_saveexec_b32 s27, s27
	v_mov_b64_e32 v[4:5], 0x7ff8000020000000
	s_xor_b32 exec_lo, exec_lo, s27
	s_cbranch_execz .LBB118_591
.LBB118_611:
	v_cmp_ne_u16_e32 vcc_lo, 0, v6
	v_mov_b64_e32 v[4:5], 0
	s_and_not1_b32 s26, s26, exec_lo
	s_and_b32 s28, vcc_lo, exec_lo
	s_delay_alu instid0(SALU_CYCLE_1)
	s_or_b32 s26, s26, s28
	s_or_b32 exec_lo, exec_lo, s27
	s_and_saveexec_b32 s27, s26
	s_cbranch_execnz .LBB118_592
	s_branch .LBB118_593
.LBB118_612:
	s_mov_b32 s24, -1
                                        ; implicit-def: $vgpr4_vgpr5
.LBB118_613:
	s_mov_b32 s27, 0
.LBB118_614:
	s_delay_alu instid0(SALU_CYCLE_1)
	s_and_b32 vcc_lo, exec_lo, s27
	s_cbranch_vccz .LBB118_618
; %bb.615:
	s_cmp_eq_u32 s23, 11
	s_cbranch_scc0 .LBB118_617
; %bb.616:
	global_load_u8 v4, v[8:9], off
	s_mov_b32 s24, 0
	s_mov_b32 s26, -1
	v_mov_b64_e32 v[6:7], 0
	s_wait_loadcnt 0x0
	v_cmp_ne_u16_e32 vcc_lo, 0, v4
	v_mov_b32_e32 v4, 0
	v_cndmask_b32_e64 v5, 0, 0x3ff00000, vcc_lo
	s_branch .LBB118_619
.LBB118_617:
	s_mov_b32 s24, -1
                                        ; implicit-def: $vgpr4_vgpr5
.LBB118_618:
	v_mov_b64_e32 v[6:7], 0
.LBB118_619:
	s_mov_b32 s23, 0
.LBB118_620:
	s_delay_alu instid0(SALU_CYCLE_1)
	s_and_b32 vcc_lo, exec_lo, s23
	s_cbranch_vccz .LBB118_671
; %bb.621:
	s_and_b32 s0, 0xffff, s0
	s_delay_alu instid0(SALU_CYCLE_1)
	s_cmp_lt_i32 s0, 5
	s_cbranch_scc1 .LBB118_626
; %bb.622:
	s_cmp_lt_i32 s0, 8
	s_cbranch_scc1 .LBB118_627
; %bb.623:
	s_cmp_lt_i32 s0, 9
	s_cbranch_scc1 .LBB118_628
; %bb.624:
	s_cmp_gt_i32 s0, 9
	s_cbranch_scc0 .LBB118_629
; %bb.625:
	global_load_b128 v[4:7], v[8:9], off
	s_mov_b32 s23, 0
	s_branch .LBB118_630
.LBB118_626:
	s_mov_b32 s23, -1
                                        ; implicit-def: $vgpr6_vgpr7
	s_branch .LBB118_649
.LBB118_627:
	s_mov_b32 s23, -1
                                        ; implicit-def: $vgpr6_vgpr7
	s_branch .LBB118_636
.LBB118_628:
	s_mov_b32 s23, -1
                                        ; implicit-def: $vgpr6_vgpr7
	s_branch .LBB118_633
.LBB118_629:
	s_mov_b32 s23, -1
                                        ; implicit-def: $vgpr6_vgpr7
.LBB118_630:
	s_delay_alu instid0(SALU_CYCLE_1)
	s_and_not1_b32 vcc_lo, exec_lo, s23
	s_cbranch_vccnz .LBB118_632
; %bb.631:
	s_wait_loadcnt 0x0
	global_load_b64 v[6:7], v[8:9], off
	s_wait_loadcnt 0x0
	v_cvt_f64_f32_e32 v[4:5], v6
	v_cvt_f64_f32_e32 v[6:7], v7
.LBB118_632:
	s_mov_b32 s23, 0
.LBB118_633:
	s_delay_alu instid0(SALU_CYCLE_1)
	s_and_not1_b32 vcc_lo, exec_lo, s23
	s_cbranch_vccnz .LBB118_635
; %bb.634:
	s_wait_loadcnt 0x0
	global_load_b32 v4, v[8:9], off
	s_wait_loadcnt 0x0
	v_lshrrev_b32_e32 v5, 16, v4
	v_cvt_f32_f16_e32 v4, v4
	s_delay_alu instid0(VALU_DEP_2) | instskip(NEXT) | instid1(VALU_DEP_2)
	v_cvt_f32_f16_e32 v6, v5
	v_cvt_f64_f32_e32 v[4:5], v4
	s_delay_alu instid0(VALU_DEP_2)
	v_cvt_f64_f32_e32 v[6:7], v6
.LBB118_635:
	s_mov_b32 s23, 0
.LBB118_636:
	s_delay_alu instid0(SALU_CYCLE_1)
	s_and_not1_b32 vcc_lo, exec_lo, s23
	s_cbranch_vccnz .LBB118_648
; %bb.637:
	s_cmp_lt_i32 s0, 6
	s_cbranch_scc1 .LBB118_640
; %bb.638:
	s_cmp_gt_i32 s0, 6
	s_cbranch_scc0 .LBB118_641
; %bb.639:
	s_wait_loadcnt 0x0
	global_load_b64 v[4:5], v[8:9], off
	s_mov_b32 s23, 0
	s_branch .LBB118_642
.LBB118_640:
	s_mov_b32 s23, -1
                                        ; implicit-def: $vgpr4_vgpr5
	s_branch .LBB118_645
.LBB118_641:
	s_mov_b32 s23, -1
                                        ; implicit-def: $vgpr4_vgpr5
.LBB118_642:
	s_delay_alu instid0(SALU_CYCLE_1)
	s_and_not1_b32 vcc_lo, exec_lo, s23
	s_cbranch_vccnz .LBB118_644
; %bb.643:
	s_wait_loadcnt 0x0
	global_load_b32 v4, v[8:9], off
	s_wait_loadcnt 0x0
	v_cvt_f64_f32_e32 v[4:5], v4
.LBB118_644:
	s_mov_b32 s23, 0
.LBB118_645:
	s_delay_alu instid0(SALU_CYCLE_1)
	s_and_not1_b32 vcc_lo, exec_lo, s23
	s_cbranch_vccnz .LBB118_647
; %bb.646:
	s_wait_loadcnt 0x0
	global_load_u16 v4, v[8:9], off
	s_wait_loadcnt 0x0
	v_cvt_f32_f16_e32 v4, v4
	s_delay_alu instid0(VALU_DEP_1)
	v_cvt_f64_f32_e32 v[4:5], v4
.LBB118_647:
	s_wait_loadcnt 0x0
	v_mov_b64_e32 v[6:7], 0
.LBB118_648:
	s_mov_b32 s23, 0
.LBB118_649:
	s_delay_alu instid0(SALU_CYCLE_1)
	s_and_not1_b32 vcc_lo, exec_lo, s23
	s_cbranch_vccnz .LBB118_670
; %bb.650:
	s_cmp_lt_i32 s0, 2
	s_cbranch_scc1 .LBB118_654
; %bb.651:
	s_cmp_lt_i32 s0, 3
	s_cbranch_scc1 .LBB118_655
; %bb.652:
	s_cmp_gt_i32 s0, 3
	s_cbranch_scc0 .LBB118_656
; %bb.653:
	s_wait_loadcnt 0x0
	global_load_b64 v[4:5], v[8:9], off
	s_mov_b32 s23, 0
	s_wait_loadcnt 0x0
	v_cvt_f64_i32_e32 v[6:7], v5
	v_cvt_f64_u32_e32 v[4:5], v4
	s_delay_alu instid0(VALU_DEP_2) | instskip(NEXT) | instid1(VALU_DEP_1)
	v_ldexp_f64 v[6:7], v[6:7], 32
	v_add_f64_e32 v[4:5], v[6:7], v[4:5]
	s_branch .LBB118_657
.LBB118_654:
	s_mov_b32 s23, -1
                                        ; implicit-def: $vgpr4_vgpr5
	s_branch .LBB118_663
.LBB118_655:
	s_mov_b32 s23, -1
                                        ; implicit-def: $vgpr4_vgpr5
	s_branch .LBB118_660
.LBB118_656:
	s_mov_b32 s23, -1
                                        ; implicit-def: $vgpr4_vgpr5
.LBB118_657:
	s_delay_alu instid0(SALU_CYCLE_1)
	s_and_not1_b32 vcc_lo, exec_lo, s23
	s_cbranch_vccnz .LBB118_659
; %bb.658:
	s_wait_loadcnt 0x0
	global_load_b32 v4, v[8:9], off
	s_wait_loadcnt 0x0
	v_cvt_f64_i32_e32 v[4:5], v4
.LBB118_659:
	s_mov_b32 s23, 0
.LBB118_660:
	s_delay_alu instid0(SALU_CYCLE_1)
	s_and_not1_b32 vcc_lo, exec_lo, s23
	s_cbranch_vccnz .LBB118_662
; %bb.661:
	s_wait_loadcnt 0x0
	global_load_i16 v4, v[8:9], off
	s_wait_loadcnt 0x0
	v_cvt_f64_i32_e32 v[4:5], v4
.LBB118_662:
	s_mov_b32 s23, 0
.LBB118_663:
	s_delay_alu instid0(SALU_CYCLE_1)
	s_and_not1_b32 vcc_lo, exec_lo, s23
	s_cbranch_vccnz .LBB118_669
; %bb.664:
	s_cmp_gt_i32 s0, 0
	s_mov_b32 s0, 0
	s_cbranch_scc0 .LBB118_666
; %bb.665:
	s_wait_loadcnt 0x0
	global_load_i8 v4, v[8:9], off
	s_wait_loadcnt 0x0
	v_cvt_f64_i32_e32 v[4:5], v4
	s_branch .LBB118_667
.LBB118_666:
	s_mov_b32 s0, -1
                                        ; implicit-def: $vgpr4_vgpr5
.LBB118_667:
	s_delay_alu instid0(SALU_CYCLE_1)
	s_and_not1_b32 vcc_lo, exec_lo, s0
	s_cbranch_vccnz .LBB118_669
; %bb.668:
	s_wait_loadcnt 0x0
	global_load_u8 v4, v[8:9], off
	s_wait_loadcnt 0x0
	v_cvt_f64_u32_e32 v[4:5], v4
.LBB118_669:
	s_wait_loadcnt 0x0
	v_mov_b64_e32 v[6:7], 0
.LBB118_670:
	s_mov_b32 s26, -1
.LBB118_671:
	s_delay_alu instid0(SALU_CYCLE_1)
	s_and_not1_b32 vcc_lo, exec_lo, s26
	s_cbranch_vccnz .LBB118_674
; %bb.672:
	s_and_not1_b32 vcc_lo, exec_lo, s16
	s_cbranch_vccnz .LBB118_675
; %bb.673:
	s_wait_loadcnt 0x0
	s_delay_alu instid0(VALU_DEP_1) | instskip(NEXT) | instid1(VALU_DEP_2)
	v_cmp_neq_f64_e32 vcc_lo, v[0:1], v[4:5]
	v_cmp_neq_f64_e64 s0, v[2:3], v[6:7]
	s_or_b32 s23, vcc_lo, s0
	s_mov_b32 s0, 0
	s_branch .LBB118_676
.LBB118_674:
	s_mov_b32 s26, 0
	s_mov_b32 s0, s18
	s_branch .LBB118_801
.LBB118_675:
	s_mov_b32 s0, -1
                                        ; implicit-def: $sgpr23
.LBB118_676:
	s_delay_alu instid0(SALU_CYCLE_1)
	s_and_not1_b32 vcc_lo, exec_lo, s0
	s_cbranch_vccnz .LBB118_678
; %bb.677:
	s_wait_loadcnt 0x0
	s_delay_alu instid0(VALU_DEP_1) | instskip(NEXT) | instid1(VALU_DEP_2)
	v_cmp_eq_f64_e32 vcc_lo, v[0:1], v[4:5]
	v_cmp_eq_f64_e64 s0, v[2:3], v[6:7]
	s_and_not1_b32 s23, s23, exec_lo
	s_and_b32 s0, vcc_lo, s0
	s_delay_alu instid0(SALU_CYCLE_1) | instskip(NEXT) | instid1(SALU_CYCLE_1)
	s_and_b32 s0, s0, exec_lo
	s_or_b32 s23, s23, s0
.LBB118_678:
	s_wait_loadcnt 0x0
	v_mul_lo_u32 v0, v14, s8
	s_and_b32 s26, s12, 0xff
	s_delay_alu instid0(SALU_CYCLE_1) | instskip(NEXT) | instid1(VALU_DEP_1)
	s_cmp_lt_i32 s26, 11
	v_ashrrev_i32_e32 v1, 31, v0
	s_delay_alu instid0(VALU_DEP_1)
	v_add_nc_u64_e32 v[0:1], s[4:5], v[0:1]
	s_cbranch_scc1 .LBB118_685
; %bb.679:
	s_and_b32 s27, 0xffff, s26
	s_delay_alu instid0(SALU_CYCLE_1)
	s_cmp_gt_i32 s27, 25
	s_cbranch_scc0 .LBB118_686
; %bb.680:
	s_cmp_gt_i32 s27, 28
	s_cbranch_scc0 .LBB118_687
; %bb.681:
	;; [unrolled: 3-line block ×4, first 2 shown]
	s_mov_b32 s29, 0
	s_mov_b32 s0, -1
	s_cmp_eq_u32 s27, 46
	s_mov_b32 s28, 0
	s_cbranch_scc0 .LBB118_690
; %bb.684:
	v_cndmask_b32_e64 v2, 0, 1.0, s23
	s_mov_b32 s28, -1
	s_mov_b32 s0, 0
	s_delay_alu instid0(VALU_DEP_1) | instskip(NEXT) | instid1(VALU_DEP_1)
	v_bfe_u32 v3, v2, 16, 1
	v_add3_u32 v2, v2, v3, 0x7fff
	s_delay_alu instid0(VALU_DEP_1)
	v_lshrrev_b32_e32 v2, 16, v2
	global_store_b32 v[0:1], v2, off
	s_branch .LBB118_690
.LBB118_685:
	s_mov_b32 s27, -1
	s_mov_b32 s28, 0
	s_mov_b32 s0, s18
	s_branch .LBB118_759
.LBB118_686:
	s_mov_b32 s29, -1
	s_mov_b32 s28, 0
	s_mov_b32 s0, s18
	s_branch .LBB118_717
.LBB118_687:
	s_mov_b32 s29, -1
	s_mov_b32 s28, 0
	s_mov_b32 s0, s18
	s_branch .LBB118_700
.LBB118_688:
	s_mov_b32 s29, -1
	s_mov_b32 s28, 0
	s_mov_b32 s0, s18
	s_branch .LBB118_696
.LBB118_689:
	s_mov_b32 s29, -1
	s_mov_b32 s28, 0
	s_mov_b32 s0, s18
.LBB118_690:
	s_and_b32 vcc_lo, exec_lo, s29
	s_cbranch_vccz .LBB118_695
; %bb.691:
	s_cmp_eq_u32 s27, 44
	s_mov_b32 s0, -1
	s_cbranch_scc0 .LBB118_695
; %bb.692:
	v_cndmask_b32_e64 v4, 0, 1.0, s23
	s_mov_b32 s28, exec_lo
	s_wait_xcnt 0x0
	s_delay_alu instid0(VALU_DEP_1) | instskip(NEXT) | instid1(VALU_DEP_1)
	v_dual_mov_b32 v3, 0xff :: v_dual_lshrrev_b32 v2, 23, v4
	v_cmpx_ne_u32_e32 0xff, v2
; %bb.693:
	v_and_b32_e32 v3, 0x400000, v4
	v_and_or_b32 v4, 0x3fffff, v4, v2
	s_delay_alu instid0(VALU_DEP_2) | instskip(NEXT) | instid1(VALU_DEP_2)
	v_cmp_ne_u32_e32 vcc_lo, 0, v3
	v_cmp_ne_u32_e64 s0, 0, v4
	s_and_b32 s0, vcc_lo, s0
	s_delay_alu instid0(SALU_CYCLE_1) | instskip(NEXT) | instid1(VALU_DEP_1)
	v_cndmask_b32_e64 v3, 0, 1, s0
	v_add_nc_u32_e32 v3, v2, v3
; %bb.694:
	s_or_b32 exec_lo, exec_lo, s28
	s_mov_b32 s28, -1
	s_mov_b32 s0, 0
	global_store_b8 v[0:1], v3, off
.LBB118_695:
	s_mov_b32 s29, 0
.LBB118_696:
	s_delay_alu instid0(SALU_CYCLE_1)
	s_and_b32 vcc_lo, exec_lo, s29
	s_cbranch_vccz .LBB118_699
; %bb.697:
	s_cmp_eq_u32 s27, 29
	s_mov_b32 s0, -1
	s_cbranch_scc0 .LBB118_699
; %bb.698:
	s_mov_b32 s0, 0
	s_wait_xcnt 0x0
	v_cndmask_b32_e64 v2, 0, 1, s23
	v_mov_b32_e32 v3, s0
	s_mov_b32 s28, -1
	s_mov_b32 s29, 0
	global_store_b64 v[0:1], v[2:3], off
	s_branch .LBB118_700
.LBB118_699:
	s_mov_b32 s29, 0
.LBB118_700:
	s_delay_alu instid0(SALU_CYCLE_1)
	s_and_b32 vcc_lo, exec_lo, s29
	s_cbranch_vccz .LBB118_716
; %bb.701:
	s_cmp_lt_i32 s27, 27
	s_mov_b32 s28, -1
	s_cbranch_scc1 .LBB118_707
; %bb.702:
	s_cmp_gt_i32 s27, 27
	s_cbranch_scc0 .LBB118_704
; %bb.703:
	s_wait_xcnt 0x0
	v_cndmask_b32_e64 v2, 0, 1, s23
	s_mov_b32 s28, 0
	global_store_b32 v[0:1], v2, off
.LBB118_704:
	s_and_not1_b32 vcc_lo, exec_lo, s28
	s_cbranch_vccnz .LBB118_706
; %bb.705:
	s_wait_xcnt 0x0
	v_cndmask_b32_e64 v2, 0, 1, s23
	global_store_b16 v[0:1], v2, off
.LBB118_706:
	s_mov_b32 s28, 0
.LBB118_707:
	s_delay_alu instid0(SALU_CYCLE_1)
	s_and_not1_b32 vcc_lo, exec_lo, s28
	s_cbranch_vccnz .LBB118_715
; %bb.708:
	s_wait_xcnt 0x0
	v_cndmask_b32_e64 v3, 0, 1.0, s23
	v_mov_b32_e32 v4, 0x80
	s_mov_b32 s28, exec_lo
	s_delay_alu instid0(VALU_DEP_2)
	v_cmpx_gt_u32_e32 0x43800000, v3
	s_cbranch_execz .LBB118_714
; %bb.709:
	s_mov_b32 s29, 0
	s_mov_b32 s30, exec_lo
                                        ; implicit-def: $vgpr2
	v_cmpx_lt_u32_e32 0x3bffffff, v3
	s_xor_b32 s30, exec_lo, s30
	s_cbranch_execz .LBB118_817
; %bb.710:
	v_bfe_u32 v2, v3, 20, 1
	s_mov_b32 s29, exec_lo
	s_delay_alu instid0(VALU_DEP_1) | instskip(NEXT) | instid1(VALU_DEP_1)
	v_add3_u32 v2, v3, v2, 0x487ffff
                                        ; implicit-def: $vgpr3
	v_lshrrev_b32_e32 v2, 20, v2
	s_and_not1_saveexec_b32 s30, s30
	s_cbranch_execnz .LBB118_818
.LBB118_711:
	s_or_b32 exec_lo, exec_lo, s30
	v_mov_b32_e32 v4, 0
	s_and_saveexec_b32 s30, s29
.LBB118_712:
	v_mov_b32_e32 v4, v2
.LBB118_713:
	s_or_b32 exec_lo, exec_lo, s30
.LBB118_714:
	s_delay_alu instid0(SALU_CYCLE_1)
	s_or_b32 exec_lo, exec_lo, s28
	global_store_b8 v[0:1], v4, off
.LBB118_715:
	s_mov_b32 s28, -1
.LBB118_716:
	s_mov_b32 s29, 0
.LBB118_717:
	s_delay_alu instid0(SALU_CYCLE_1)
	s_and_b32 vcc_lo, exec_lo, s29
	s_cbranch_vccz .LBB118_758
; %bb.718:
	s_cmp_gt_i32 s27, 22
	s_mov_b32 s29, -1
	s_cbranch_scc0 .LBB118_750
; %bb.719:
	s_cmp_lt_i32 s27, 24
	s_mov_b32 s28, -1
	s_cbranch_scc1 .LBB118_739
; %bb.720:
	s_cmp_gt_i32 s27, 24
	s_cbranch_scc0 .LBB118_728
; %bb.721:
	s_wait_xcnt 0x0
	v_cndmask_b32_e64 v3, 0, 1.0, s23
	v_mov_b32_e32 v4, 0x80
	s_mov_b32 s28, exec_lo
	s_delay_alu instid0(VALU_DEP_2)
	v_cmpx_gt_u32_e32 0x47800000, v3
	s_cbranch_execz .LBB118_727
; %bb.722:
	s_mov_b32 s29, 0
	s_mov_b32 s30, exec_lo
                                        ; implicit-def: $vgpr2
	v_cmpx_lt_u32_e32 0x37ffffff, v3
	s_xor_b32 s30, exec_lo, s30
	s_cbranch_execz .LBB118_954
; %bb.723:
	v_bfe_u32 v2, v3, 21, 1
	s_mov_b32 s29, exec_lo
	s_delay_alu instid0(VALU_DEP_1) | instskip(NEXT) | instid1(VALU_DEP_1)
	v_add3_u32 v2, v3, v2, 0x88fffff
                                        ; implicit-def: $vgpr3
	v_lshrrev_b32_e32 v2, 21, v2
	s_and_not1_saveexec_b32 s30, s30
	s_cbranch_execnz .LBB118_955
.LBB118_724:
	s_or_b32 exec_lo, exec_lo, s30
	v_mov_b32_e32 v4, 0
	s_and_saveexec_b32 s30, s29
.LBB118_725:
	v_mov_b32_e32 v4, v2
.LBB118_726:
	s_or_b32 exec_lo, exec_lo, s30
.LBB118_727:
	s_delay_alu instid0(SALU_CYCLE_1)
	s_or_b32 exec_lo, exec_lo, s28
	s_mov_b32 s28, 0
	global_store_b8 v[0:1], v4, off
.LBB118_728:
	s_and_b32 vcc_lo, exec_lo, s28
	s_cbranch_vccz .LBB118_738
; %bb.729:
	s_wait_xcnt 0x0
	v_cndmask_b32_e64 v3, 0, 1.0, s23
	s_mov_b32 s28, exec_lo
                                        ; implicit-def: $vgpr2
	s_delay_alu instid0(VALU_DEP_1)
	v_cmpx_gt_u32_e32 0x43f00000, v3
	s_xor_b32 s28, exec_lo, s28
	s_cbranch_execz .LBB118_735
; %bb.730:
	s_mov_b32 s29, exec_lo
                                        ; implicit-def: $vgpr2
	v_cmpx_lt_u32_e32 0x3c7fffff, v3
	s_xor_b32 s29, exec_lo, s29
; %bb.731:
	v_bfe_u32 v2, v3, 20, 1
	s_delay_alu instid0(VALU_DEP_1) | instskip(NEXT) | instid1(VALU_DEP_1)
	v_add3_u32 v2, v3, v2, 0x407ffff
	v_and_b32_e32 v3, 0xff00000, v2
	v_lshrrev_b32_e32 v2, 20, v2
	s_delay_alu instid0(VALU_DEP_2) | instskip(NEXT) | instid1(VALU_DEP_2)
	v_cmp_ne_u32_e32 vcc_lo, 0x7f00000, v3
                                        ; implicit-def: $vgpr3
	v_cndmask_b32_e32 v2, 0x7e, v2, vcc_lo
; %bb.732:
	s_and_not1_saveexec_b32 s29, s29
; %bb.733:
	v_add_f32_e32 v2, 0x46800000, v3
; %bb.734:
	s_or_b32 exec_lo, exec_lo, s29
                                        ; implicit-def: $vgpr3
.LBB118_735:
	s_and_not1_saveexec_b32 s28, s28
; %bb.736:
	v_mov_b32_e32 v2, 0x7f
	v_cmp_lt_u32_e32 vcc_lo, 0x7f800000, v3
	s_delay_alu instid0(VALU_DEP_2)
	v_cndmask_b32_e32 v2, 0x7e, v2, vcc_lo
; %bb.737:
	s_or_b32 exec_lo, exec_lo, s28
	global_store_b8 v[0:1], v2, off
.LBB118_738:
	s_mov_b32 s28, 0
.LBB118_739:
	s_delay_alu instid0(SALU_CYCLE_1)
	s_and_not1_b32 vcc_lo, exec_lo, s28
	s_cbranch_vccnz .LBB118_749
; %bb.740:
	s_wait_xcnt 0x0
	v_cndmask_b32_e64 v3, 0, 1.0, s23
	s_mov_b32 s28, exec_lo
                                        ; implicit-def: $vgpr2
	s_delay_alu instid0(VALU_DEP_1)
	v_cmpx_gt_u32_e32 0x47800000, v3
	s_xor_b32 s28, exec_lo, s28
	s_cbranch_execz .LBB118_746
; %bb.741:
	s_mov_b32 s29, exec_lo
                                        ; implicit-def: $vgpr2
	v_cmpx_lt_u32_e32 0x387fffff, v3
	s_xor_b32 s29, exec_lo, s29
; %bb.742:
	v_bfe_u32 v2, v3, 21, 1
	s_delay_alu instid0(VALU_DEP_1) | instskip(NEXT) | instid1(VALU_DEP_1)
	v_add3_u32 v2, v3, v2, 0x80fffff
                                        ; implicit-def: $vgpr3
	v_lshrrev_b32_e32 v2, 21, v2
; %bb.743:
	s_and_not1_saveexec_b32 s29, s29
; %bb.744:
	v_add_f32_e32 v2, 0x43000000, v3
; %bb.745:
	s_or_b32 exec_lo, exec_lo, s29
                                        ; implicit-def: $vgpr3
.LBB118_746:
	s_and_not1_saveexec_b32 s28, s28
; %bb.747:
	v_mov_b32_e32 v2, 0x7f
	v_cmp_lt_u32_e32 vcc_lo, 0x7f800000, v3
	s_delay_alu instid0(VALU_DEP_2)
	v_cndmask_b32_e32 v2, 0x7c, v2, vcc_lo
; %bb.748:
	s_or_b32 exec_lo, exec_lo, s28
	global_store_b8 v[0:1], v2, off
.LBB118_749:
	s_mov_b32 s29, 0
	s_mov_b32 s28, -1
.LBB118_750:
	s_and_not1_b32 vcc_lo, exec_lo, s29
	s_cbranch_vccnz .LBB118_758
; %bb.751:
	s_cmp_gt_i32 s27, 14
	s_mov_b32 s29, -1
	s_cbranch_scc0 .LBB118_755
; %bb.752:
	s_cmp_eq_u32 s27, 15
	s_mov_b32 s0, -1
	s_cbranch_scc0 .LBB118_754
; %bb.753:
	s_wait_xcnt 0x0
	v_cndmask_b32_e64 v2, 0, 1.0, s23
	s_mov_b32 s28, -1
	s_mov_b32 s0, 0
	s_delay_alu instid0(VALU_DEP_1) | instskip(NEXT) | instid1(VALU_DEP_1)
	v_bfe_u32 v3, v2, 16, 1
	v_add3_u32 v2, v2, v3, 0x7fff
	global_store_d16_hi_b16 v[0:1], v2, off
.LBB118_754:
	s_mov_b32 s29, 0
.LBB118_755:
	s_delay_alu instid0(SALU_CYCLE_1)
	s_and_b32 vcc_lo, exec_lo, s29
	s_cbranch_vccz .LBB118_758
; %bb.756:
	s_cmp_eq_u32 s27, 11
	s_mov_b32 s0, -1
	s_cbranch_scc0 .LBB118_758
; %bb.757:
	s_wait_xcnt 0x0
	v_cndmask_b32_e64 v2, 0, 1, s23
	s_mov_b32 s28, -1
	s_mov_b32 s0, 0
	global_store_b8 v[0:1], v2, off
.LBB118_758:
	s_mov_b32 s27, 0
.LBB118_759:
	s_delay_alu instid0(SALU_CYCLE_1)
	s_and_b32 vcc_lo, exec_lo, s27
	s_cbranch_vccz .LBB118_798
; %bb.760:
	s_and_b32 s26, 0xffff, s26
	s_mov_b32 s27, -1
	s_cmp_lt_i32 s26, 5
	s_cbranch_scc1 .LBB118_781
; %bb.761:
	s_cmp_lt_i32 s26, 8
	s_cbranch_scc1 .LBB118_771
; %bb.762:
	s_cmp_lt_i32 s26, 9
	s_cbranch_scc1 .LBB118_768
; %bb.763:
	s_cmp_gt_i32 s26, 9
	s_cbranch_scc0 .LBB118_765
; %bb.764:
	s_wait_xcnt 0x0
	v_cndmask_b32_e64 v2, 0, 1, s23
	v_mov_b32_e32 v4, 0
	s_mov_b32 s27, 0
	s_delay_alu instid0(VALU_DEP_2) | instskip(NEXT) | instid1(VALU_DEP_2)
	v_cvt_f64_u32_e32 v[2:3], v2
	v_mov_b32_e32 v5, v4
	global_store_b128 v[0:1], v[2:5], off
.LBB118_765:
	s_and_not1_b32 vcc_lo, exec_lo, s27
	s_cbranch_vccnz .LBB118_767
; %bb.766:
	s_wait_xcnt 0x0
	v_cndmask_b32_e64 v2, 0, 1.0, s23
	v_mov_b32_e32 v3, 0
	global_store_b64 v[0:1], v[2:3], off
.LBB118_767:
	s_mov_b32 s27, 0
.LBB118_768:
	s_delay_alu instid0(SALU_CYCLE_1)
	s_and_not1_b32 vcc_lo, exec_lo, s27
	s_cbranch_vccnz .LBB118_770
; %bb.769:
	s_wait_xcnt 0x0
	v_cndmask_b32_e64 v2, 0, 1.0, s23
	s_delay_alu instid0(VALU_DEP_1) | instskip(NEXT) | instid1(VALU_DEP_1)
	v_cvt_f16_f32_e32 v2, v2
	v_and_b32_e32 v2, 0xffff, v2
	global_store_b32 v[0:1], v2, off
.LBB118_770:
	s_mov_b32 s27, 0
.LBB118_771:
	s_delay_alu instid0(SALU_CYCLE_1)
	s_and_not1_b32 vcc_lo, exec_lo, s27
	s_cbranch_vccnz .LBB118_780
; %bb.772:
	s_cmp_lt_i32 s26, 6
	s_mov_b32 s27, -1
	s_cbranch_scc1 .LBB118_778
; %bb.773:
	s_cmp_gt_i32 s26, 6
	s_cbranch_scc0 .LBB118_775
; %bb.774:
	s_wait_xcnt 0x0
	v_cndmask_b32_e64 v2, 0, 1, s23
	s_mov_b32 s27, 0
	s_delay_alu instid0(VALU_DEP_1)
	v_cvt_f64_u32_e32 v[2:3], v2
	global_store_b64 v[0:1], v[2:3], off
.LBB118_775:
	s_and_not1_b32 vcc_lo, exec_lo, s27
	s_cbranch_vccnz .LBB118_777
; %bb.776:
	s_wait_xcnt 0x0
	v_cndmask_b32_e64 v2, 0, 1.0, s23
	global_store_b32 v[0:1], v2, off
.LBB118_777:
	s_mov_b32 s27, 0
.LBB118_778:
	s_delay_alu instid0(SALU_CYCLE_1)
	s_and_not1_b32 vcc_lo, exec_lo, s27
	s_cbranch_vccnz .LBB118_780
; %bb.779:
	s_wait_xcnt 0x0
	v_cndmask_b32_e64 v2, 0, 1.0, s23
	s_delay_alu instid0(VALU_DEP_1)
	v_cvt_f16_f32_e32 v2, v2
	global_store_b16 v[0:1], v2, off
.LBB118_780:
	s_mov_b32 s27, 0
.LBB118_781:
	s_delay_alu instid0(SALU_CYCLE_1)
	s_and_not1_b32 vcc_lo, exec_lo, s27
	s_cbranch_vccnz .LBB118_797
; %bb.782:
	s_cmp_lt_i32 s26, 2
	s_mov_b32 s27, -1
	s_cbranch_scc1 .LBB118_792
; %bb.783:
	s_cmp_lt_i32 s26, 3
	s_cbranch_scc1 .LBB118_789
; %bb.784:
	s_cmp_gt_i32 s26, 3
	s_cbranch_scc0 .LBB118_786
; %bb.785:
	s_mov_b32 s27, 0
	s_wait_xcnt 0x0
	v_cndmask_b32_e64 v2, 0, 1, s23
	v_mov_b32_e32 v3, s27
	global_store_b64 v[0:1], v[2:3], off
.LBB118_786:
	s_and_not1_b32 vcc_lo, exec_lo, s27
	s_cbranch_vccnz .LBB118_788
; %bb.787:
	s_wait_xcnt 0x0
	v_cndmask_b32_e64 v2, 0, 1, s23
	global_store_b32 v[0:1], v2, off
.LBB118_788:
	s_mov_b32 s27, 0
.LBB118_789:
	s_delay_alu instid0(SALU_CYCLE_1)
	s_and_not1_b32 vcc_lo, exec_lo, s27
	s_cbranch_vccnz .LBB118_791
; %bb.790:
	s_wait_xcnt 0x0
	v_cndmask_b32_e64 v2, 0, 1, s23
	global_store_b16 v[0:1], v2, off
.LBB118_791:
	s_mov_b32 s27, 0
.LBB118_792:
	s_delay_alu instid0(SALU_CYCLE_1)
	s_and_not1_b32 vcc_lo, exec_lo, s27
	s_cbranch_vccnz .LBB118_797
; %bb.793:
	s_wait_xcnt 0x0
	v_cndmask_b32_e64 v2, 0, 1, s23
	s_cmp_gt_i32 s26, 0
	s_mov_b32 s23, -1
	s_cbranch_scc0 .LBB118_795
; %bb.794:
	s_mov_b32 s23, 0
	global_store_b8 v[0:1], v2, off
.LBB118_795:
	s_and_not1_b32 vcc_lo, exec_lo, s23
	s_cbranch_vccnz .LBB118_797
; %bb.796:
	global_store_b8 v[0:1], v2, off
.LBB118_797:
	s_mov_b32 s28, -1
.LBB118_798:
	s_delay_alu instid0(SALU_CYCLE_1)
	s_and_not1_b32 vcc_lo, exec_lo, s28
	s_cbranch_vccnz .LBB118_800
; %bb.799:
	v_add_nc_u32_e32 v14, 0x80, v14
	s_mov_b32 s26, -1
	s_branch .LBB118_802
.LBB118_800:
	s_mov_b32 s26, 0
.LBB118_801:
                                        ; implicit-def: $vgpr14
.LBB118_802:
	s_and_not1_b32 s23, s18, exec_lo
	s_and_b32 s0, s0, exec_lo
	s_and_b32 s24, s24, exec_lo
	s_or_b32 s23, s23, s0
	s_and_not1_b32 s0, s19, exec_lo
	s_and_not1_b32 s27, s20, exec_lo
	s_and_b32 s22, s22, exec_lo
	s_or_b32 s24, s0, s24
	s_or_b32 s22, s27, s22
	s_or_not1_b32 s27, s26, exec_lo
.LBB118_803:
	s_wait_xcnt 0x0
	s_or_b32 exec_lo, exec_lo, s25
	s_mov_b32 s26, 0
	s_mov_b32 s28, 0
	s_mov_b32 s29, 0
                                        ; implicit-def: $sgpr0
                                        ; implicit-def: $vgpr4_vgpr5
                                        ; implicit-def: $vgpr2_vgpr3
	s_and_saveexec_b32 s25, s27
	s_cbranch_execz .LBB118_1296
; %bb.804:
	s_mov_b32 s34, -1
	s_mov_b32 s27, s22
	s_mov_b32 s28, s24
	;; [unrolled: 1-line block ×3, first 2 shown]
	s_mov_b32 s26, exec_lo
	v_cmpx_gt_i32_e64 s17, v14
	s_cbranch_execz .LBB118_1209
; %bb.805:
	s_wait_loadcnt 0x0
	v_mul_lo_u32 v0, v14, s9
	s_and_b32 s0, s14, 0xff
	s_delay_alu instid0(SALU_CYCLE_1) | instskip(NEXT) | instid1(VALU_DEP_1)
	s_cmp_lt_i32 s0, 11
	v_ashrrev_i32_e32 v1, 31, v0
	s_delay_alu instid0(VALU_DEP_1)
	v_add_nc_u64_e32 v[4:5], s[6:7], v[0:1]
	s_cbranch_scc1 .LBB118_812
; %bb.806:
	s_and_b32 s28, 0xffff, s0
	s_delay_alu instid0(SALU_CYCLE_1)
	s_cmp_gt_i32 s28, 25
	s_cbranch_scc0 .LBB118_813
; %bb.807:
	s_cmp_gt_i32 s28, 28
	s_cbranch_scc0 .LBB118_814
; %bb.808:
	;; [unrolled: 3-line block ×4, first 2 shown]
	s_cmp_eq_u32 s28, 46
	s_mov_b32 s30, 0
	s_cbranch_scc0 .LBB118_819
; %bb.811:
	global_load_b32 v0, v[4:5], off
	s_mov_b32 s29, -1
	s_mov_b32 s27, 0
	s_wait_loadcnt 0x0
	v_lshlrev_b32_e32 v1, 16, v0
	v_and_b32_e32 v2, 0xffff0000, v0
	s_delay_alu instid0(VALU_DEP_2) | instskip(NEXT) | instid1(VALU_DEP_2)
	v_cvt_f64_f32_e32 v[0:1], v1
	v_cvt_f64_f32_e32 v[2:3], v2
	s_branch .LBB118_821
.LBB118_812:
	s_mov_b32 s28, -1
	s_mov_b32 s29, 0
	s_mov_b32 s27, s22
                                        ; implicit-def: $vgpr2_vgpr3
	s_branch .LBB118_889
.LBB118_813:
	s_mov_b32 s30, -1
	s_mov_b32 s29, 0
	s_mov_b32 s27, s22
                                        ; implicit-def: $vgpr2_vgpr3
	s_branch .LBB118_852
.LBB118_814:
	s_mov_b32 s30, -1
	s_mov_b32 s29, 0
	s_mov_b32 s27, s22
                                        ; implicit-def: $vgpr2_vgpr3
	s_branch .LBB118_833
.LBB118_815:
	s_mov_b32 s30, -1
	s_mov_b32 s29, 0
	s_mov_b32 s27, s22
                                        ; implicit-def: $vgpr2_vgpr3
	s_branch .LBB118_827
.LBB118_816:
	s_mov_b32 s30, -1
	s_mov_b32 s29, 0
	s_mov_b32 s27, s22
	s_branch .LBB118_820
.LBB118_817:
	s_and_not1_saveexec_b32 s30, s30
	s_cbranch_execz .LBB118_711
.LBB118_818:
	v_add_f32_e32 v2, 0x46000000, v3
	s_and_not1_b32 s29, s29, exec_lo
	s_delay_alu instid0(VALU_DEP_1) | instskip(NEXT) | instid1(VALU_DEP_1)
	v_and_b32_e32 v2, 0xff, v2
	v_cmp_ne_u32_e32 vcc_lo, 0, v2
	s_and_b32 s31, vcc_lo, exec_lo
	s_delay_alu instid0(SALU_CYCLE_1)
	s_or_b32 s29, s29, s31
	s_or_b32 exec_lo, exec_lo, s30
	v_mov_b32_e32 v4, 0
	s_and_saveexec_b32 s30, s29
	s_cbranch_execnz .LBB118_712
	s_branch .LBB118_713
.LBB118_819:
	s_mov_b32 s27, -1
	s_mov_b32 s29, 0
.LBB118_820:
                                        ; implicit-def: $vgpr2_vgpr3
.LBB118_821:
	s_and_b32 vcc_lo, exec_lo, s30
	s_cbranch_vccz .LBB118_826
; %bb.822:
	s_cmp_eq_u32 s28, 44
	s_cbranch_scc0 .LBB118_824
; %bb.823:
	global_load_u8 v2, v[4:5], off
	s_mov_b32 s27, 0
	s_mov_b32 s29, -1
	s_wait_loadcnt 0x0
	v_cmp_ne_u32_e32 vcc_lo, 0xff, v2
	v_lshlrev_b32_e32 v0, 23, v2
	s_delay_alu instid0(VALU_DEP_1) | instskip(NEXT) | instid1(VALU_DEP_1)
	v_cvt_f64_f32_e32 v[0:1], v0
	v_cndmask_b32_e32 v0, 0x20000000, v0, vcc_lo
	s_delay_alu instid0(VALU_DEP_2) | instskip(SKIP_1) | instid1(VALU_DEP_2)
	v_cndmask_b32_e32 v1, 0x7ff80000, v1, vcc_lo
	v_cmp_ne_u32_e32 vcc_lo, 0, v2
	v_cndmask_b32_e32 v1, 0x38000000, v1, vcc_lo
	s_delay_alu instid0(VALU_DEP_4)
	v_cndmask_b32_e32 v0, 0, v0, vcc_lo
	s_branch .LBB118_825
.LBB118_824:
	s_mov_b32 s27, -1
                                        ; implicit-def: $vgpr0_vgpr1
.LBB118_825:
	v_mov_b64_e32 v[2:3], 0
.LBB118_826:
	s_mov_b32 s30, 0
.LBB118_827:
	s_delay_alu instid0(SALU_CYCLE_1)
	s_and_b32 vcc_lo, exec_lo, s30
	s_cbranch_vccz .LBB118_832
; %bb.828:
	s_cmp_eq_u32 s28, 29
	s_cbranch_scc0 .LBB118_830
; %bb.829:
	global_load_b64 v[0:1], v[4:5], off
	s_mov_b32 s29, -1
	s_mov_b32 s27, 0
	s_wait_loadcnt 0x0
	v_cvt_f64_u32_e32 v[2:3], v1
	v_cvt_f64_u32_e32 v[0:1], v0
	s_delay_alu instid0(VALU_DEP_2) | instskip(NEXT) | instid1(VALU_DEP_1)
	v_ldexp_f64 v[2:3], v[2:3], 32
	v_add_f64_e32 v[0:1], v[2:3], v[0:1]
	s_branch .LBB118_831
.LBB118_830:
	s_mov_b32 s27, -1
                                        ; implicit-def: $vgpr0_vgpr1
.LBB118_831:
	v_mov_b64_e32 v[2:3], 0
.LBB118_832:
	s_mov_b32 s30, 0
.LBB118_833:
	s_delay_alu instid0(SALU_CYCLE_1)
	s_and_b32 vcc_lo, exec_lo, s30
	s_cbranch_vccz .LBB118_851
; %bb.834:
	s_cmp_lt_i32 s28, 27
	s_cbranch_scc1 .LBB118_837
; %bb.835:
	s_cmp_gt_i32 s28, 27
	s_cbranch_scc0 .LBB118_838
; %bb.836:
	global_load_b32 v0, v[4:5], off
	s_mov_b32 s29, 0
	s_wait_loadcnt 0x0
	v_cvt_f64_u32_e32 v[0:1], v0
	s_branch .LBB118_839
.LBB118_837:
	s_mov_b32 s29, -1
                                        ; implicit-def: $vgpr0_vgpr1
	s_branch .LBB118_842
.LBB118_838:
	s_mov_b32 s29, -1
                                        ; implicit-def: $vgpr0_vgpr1
.LBB118_839:
	s_delay_alu instid0(SALU_CYCLE_1)
	s_and_not1_b32 vcc_lo, exec_lo, s29
	s_cbranch_vccnz .LBB118_841
; %bb.840:
	global_load_u16 v0, v[4:5], off
	s_wait_loadcnt 0x0
	v_cvt_f64_u32_e32 v[0:1], v0
.LBB118_841:
	s_mov_b32 s29, 0
.LBB118_842:
	s_delay_alu instid0(SALU_CYCLE_1)
	s_and_not1_b32 vcc_lo, exec_lo, s29
	s_cbranch_vccnz .LBB118_850
; %bb.843:
	global_load_u8 v2, v[4:5], off
	s_mov_b32 s29, 0
	s_mov_b32 s30, exec_lo
	s_wait_loadcnt 0x0
	v_cmpx_lt_i16_e32 0x7f, v2
	s_xor_b32 s30, exec_lo, s30
	s_cbranch_execz .LBB118_864
; %bb.844:
	s_mov_b32 s29, -1
	s_mov_b32 s31, exec_lo
	v_cmpx_eq_u16_e32 0x80, v2
; %bb.845:
	s_xor_b32 s29, exec_lo, -1
; %bb.846:
	s_or_b32 exec_lo, exec_lo, s31
	s_delay_alu instid0(SALU_CYCLE_1)
	s_and_b32 s29, s29, exec_lo
	s_or_saveexec_b32 s30, s30
	v_mov_b64_e32 v[0:1], 0x7ff8000020000000
	s_xor_b32 exec_lo, exec_lo, s30
	s_cbranch_execnz .LBB118_865
.LBB118_847:
	s_or_b32 exec_lo, exec_lo, s30
	s_and_saveexec_b32 s30, s29
	s_cbranch_execz .LBB118_849
.LBB118_848:
	v_and_b32_e32 v0, 0xffff, v2
	s_delay_alu instid0(VALU_DEP_1) | instskip(SKIP_1) | instid1(VALU_DEP_2)
	v_and_b32_e32 v1, 7, v0
	v_bfe_u32 v7, v0, 3, 4
	v_clz_i32_u32_e32 v3, v1
	s_delay_alu instid0(VALU_DEP_2) | instskip(NEXT) | instid1(VALU_DEP_2)
	v_cmp_eq_u32_e32 vcc_lo, 0, v7
	v_min_u32_e32 v3, 32, v3
	s_delay_alu instid0(VALU_DEP_1) | instskip(NEXT) | instid1(VALU_DEP_1)
	v_subrev_nc_u32_e32 v6, 28, v3
	v_dual_lshlrev_b32 v0, v6, v0 :: v_dual_sub_nc_u32 v3, 29, v3
	s_delay_alu instid0(VALU_DEP_1) | instskip(NEXT) | instid1(VALU_DEP_1)
	v_dual_lshlrev_b32 v2, 24, v2 :: v_dual_bitop2_b32 v0, 7, v0 bitop3:0x40
	v_dual_cndmask_b32 v3, v7, v3 :: v_dual_cndmask_b32 v0, v1, v0
	s_delay_alu instid0(VALU_DEP_2) | instskip(NEXT) | instid1(VALU_DEP_2)
	v_and_b32_e32 v1, 0x80000000, v2
	v_lshl_add_u32 v2, v3, 23, 0x3b800000
	s_delay_alu instid0(VALU_DEP_3) | instskip(NEXT) | instid1(VALU_DEP_1)
	v_lshlrev_b32_e32 v0, 20, v0
	v_or3_b32 v0, v1, v2, v0
	s_delay_alu instid0(VALU_DEP_1)
	v_cvt_f64_f32_e32 v[0:1], v0
.LBB118_849:
	s_or_b32 exec_lo, exec_lo, s30
.LBB118_850:
	v_mov_b64_e32 v[2:3], 0
	s_mov_b32 s29, -1
.LBB118_851:
	s_mov_b32 s30, 0
.LBB118_852:
	s_delay_alu instid0(SALU_CYCLE_1)
	s_and_b32 vcc_lo, exec_lo, s30
	s_cbranch_vccz .LBB118_888
; %bb.853:
	s_cmp_gt_i32 s28, 22
	s_cbranch_scc0 .LBB118_863
; %bb.854:
	s_cmp_lt_i32 s28, 24
	s_cbranch_scc1 .LBB118_866
; %bb.855:
	s_cmp_gt_i32 s28, 24
	s_cbranch_scc0 .LBB118_867
; %bb.856:
	global_load_u8 v2, v[4:5], off
	s_mov_b32 s29, 0
	s_mov_b32 s30, exec_lo
	s_wait_loadcnt 0x0
	v_cmpx_lt_i16_e32 0x7f, v2
	s_xor_b32 s30, exec_lo, s30
	s_cbranch_execz .LBB118_879
; %bb.857:
	s_mov_b32 s29, -1
	s_mov_b32 s31, exec_lo
	v_cmpx_eq_u16_e32 0x80, v2
; %bb.858:
	s_xor_b32 s29, exec_lo, -1
; %bb.859:
	s_or_b32 exec_lo, exec_lo, s31
	s_delay_alu instid0(SALU_CYCLE_1)
	s_and_b32 s29, s29, exec_lo
	s_or_saveexec_b32 s30, s30
	v_mov_b64_e32 v[0:1], 0x7ff8000020000000
	s_xor_b32 exec_lo, exec_lo, s30
	s_cbranch_execnz .LBB118_880
.LBB118_860:
	s_or_b32 exec_lo, exec_lo, s30
	s_and_saveexec_b32 s30, s29
	s_cbranch_execz .LBB118_862
.LBB118_861:
	v_and_b32_e32 v0, 0xffff, v2
	s_delay_alu instid0(VALU_DEP_1) | instskip(SKIP_1) | instid1(VALU_DEP_2)
	v_and_b32_e32 v1, 3, v0
	v_bfe_u32 v7, v0, 2, 5
	v_clz_i32_u32_e32 v3, v1
	s_delay_alu instid0(VALU_DEP_2) | instskip(NEXT) | instid1(VALU_DEP_2)
	v_cmp_eq_u32_e32 vcc_lo, 0, v7
	v_min_u32_e32 v3, 32, v3
	s_delay_alu instid0(VALU_DEP_1) | instskip(NEXT) | instid1(VALU_DEP_1)
	v_subrev_nc_u32_e32 v6, 29, v3
	v_dual_lshlrev_b32 v0, v6, v0 :: v_dual_sub_nc_u32 v3, 30, v3
	s_delay_alu instid0(VALU_DEP_1) | instskip(NEXT) | instid1(VALU_DEP_1)
	v_dual_lshlrev_b32 v2, 24, v2 :: v_dual_bitop2_b32 v0, 3, v0 bitop3:0x40
	v_dual_cndmask_b32 v3, v7, v3 :: v_dual_cndmask_b32 v0, v1, v0
	s_delay_alu instid0(VALU_DEP_2) | instskip(NEXT) | instid1(VALU_DEP_2)
	v_and_b32_e32 v1, 0x80000000, v2
	v_lshl_add_u32 v2, v3, 23, 0x37800000
	s_delay_alu instid0(VALU_DEP_3) | instskip(NEXT) | instid1(VALU_DEP_1)
	v_lshlrev_b32_e32 v0, 21, v0
	v_or3_b32 v0, v1, v2, v0
	s_delay_alu instid0(VALU_DEP_1)
	v_cvt_f64_f32_e32 v[0:1], v0
.LBB118_862:
	s_or_b32 exec_lo, exec_lo, s30
	s_mov_b32 s29, 0
	s_branch .LBB118_868
.LBB118_863:
	s_mov_b32 s30, -1
                                        ; implicit-def: $vgpr0_vgpr1
	s_branch .LBB118_874
.LBB118_864:
	s_or_saveexec_b32 s30, s30
	v_mov_b64_e32 v[0:1], 0x7ff8000020000000
	s_xor_b32 exec_lo, exec_lo, s30
	s_cbranch_execz .LBB118_847
.LBB118_865:
	v_cmp_ne_u16_e32 vcc_lo, 0, v2
	v_mov_b64_e32 v[0:1], 0
	s_and_not1_b32 s29, s29, exec_lo
	s_and_b32 s31, vcc_lo, exec_lo
	s_delay_alu instid0(SALU_CYCLE_1)
	s_or_b32 s29, s29, s31
	s_or_b32 exec_lo, exec_lo, s30
	s_and_saveexec_b32 s30, s29
	s_cbranch_execnz .LBB118_848
	s_branch .LBB118_849
.LBB118_866:
	s_mov_b32 s29, -1
                                        ; implicit-def: $vgpr0_vgpr1
	s_branch .LBB118_871
.LBB118_867:
	s_mov_b32 s29, -1
                                        ; implicit-def: $vgpr0_vgpr1
.LBB118_868:
	s_delay_alu instid0(SALU_CYCLE_1)
	s_and_b32 vcc_lo, exec_lo, s29
	s_cbranch_vccz .LBB118_870
; %bb.869:
	global_load_u8 v0, v[4:5], off
	s_wait_loadcnt 0x0
	v_lshlrev_b32_e32 v0, 24, v0
	s_delay_alu instid0(VALU_DEP_1) | instskip(NEXT) | instid1(VALU_DEP_1)
	v_and_b32_e32 v1, 0x7f000000, v0
	v_clz_i32_u32_e32 v2, v1
	v_cmp_ne_u32_e32 vcc_lo, 0, v1
	v_add_nc_u32_e32 v6, 0x1000000, v1
	s_delay_alu instid0(VALU_DEP_3) | instskip(NEXT) | instid1(VALU_DEP_1)
	v_min_u32_e32 v2, 32, v2
	v_sub_nc_u32_e64 v2, v2, 4 clamp
	s_delay_alu instid0(VALU_DEP_1) | instskip(NEXT) | instid1(VALU_DEP_1)
	v_dual_lshlrev_b32 v3, v2, v1 :: v_dual_lshlrev_b32 v2, 23, v2
	v_lshrrev_b32_e32 v3, 4, v3
	s_delay_alu instid0(VALU_DEP_1) | instskip(SKIP_1) | instid1(VALU_DEP_2)
	v_sub_nc_u32_e32 v2, v3, v2
	v_ashrrev_i32_e32 v3, 8, v6
	v_add_nc_u32_e32 v2, 0x3c000000, v2
	s_delay_alu instid0(VALU_DEP_1) | instskip(NEXT) | instid1(VALU_DEP_1)
	v_and_or_b32 v2, 0x7f800000, v3, v2
	v_cndmask_b32_e32 v1, 0, v2, vcc_lo
	s_delay_alu instid0(VALU_DEP_1) | instskip(NEXT) | instid1(VALU_DEP_1)
	v_and_or_b32 v0, 0x80000000, v0, v1
	v_cvt_f64_f32_e32 v[0:1], v0
.LBB118_870:
	s_mov_b32 s29, 0
.LBB118_871:
	s_delay_alu instid0(SALU_CYCLE_1)
	s_and_not1_b32 vcc_lo, exec_lo, s29
	s_cbranch_vccnz .LBB118_873
; %bb.872:
	global_load_u8 v0, v[4:5], off
	s_wait_loadcnt 0x0
	v_lshlrev_b32_e32 v1, 25, v0
	v_lshlrev_b16 v0, 8, v0
	s_delay_alu instid0(VALU_DEP_1) | instskip(SKIP_1) | instid1(VALU_DEP_2)
	v_and_or_b32 v3, 0x7f00, v0, 0.5
	v_bfe_i32 v0, v0, 0, 16
	v_dual_add_f32 v3, -0.5, v3 :: v_dual_lshrrev_b32 v2, 4, v1
	v_cmp_gt_u32_e32 vcc_lo, 0x8000000, v1
	s_delay_alu instid0(VALU_DEP_2) | instskip(NEXT) | instid1(VALU_DEP_1)
	v_or_b32_e32 v2, 0x70000000, v2
	v_mul_f32_e32 v2, 0x7800000, v2
	s_delay_alu instid0(VALU_DEP_1) | instskip(NEXT) | instid1(VALU_DEP_1)
	v_cndmask_b32_e32 v1, v2, v3, vcc_lo
	v_and_or_b32 v0, 0x80000000, v0, v1
	s_delay_alu instid0(VALU_DEP_1)
	v_cvt_f64_f32_e32 v[0:1], v0
.LBB118_873:
	s_mov_b32 s30, 0
	s_mov_b32 s29, -1
.LBB118_874:
	s_and_not1_b32 vcc_lo, exec_lo, s30
	s_cbranch_vccnz .LBB118_887
; %bb.875:
	s_cmp_gt_i32 s28, 14
	s_cbranch_scc0 .LBB118_878
; %bb.876:
	s_cmp_eq_u32 s28, 15
	s_cbranch_scc0 .LBB118_881
; %bb.877:
	global_load_u16 v0, v[4:5], off
	s_mov_b32 s29, -1
	s_mov_b32 s27, 0
	s_wait_loadcnt 0x0
	v_lshlrev_b32_e32 v0, 16, v0
	s_delay_alu instid0(VALU_DEP_1)
	v_cvt_f64_f32_e32 v[0:1], v0
	s_branch .LBB118_882
.LBB118_878:
	s_mov_b32 s30, -1
                                        ; implicit-def: $vgpr0_vgpr1
	s_branch .LBB118_883
.LBB118_879:
	s_or_saveexec_b32 s30, s30
	v_mov_b64_e32 v[0:1], 0x7ff8000020000000
	s_xor_b32 exec_lo, exec_lo, s30
	s_cbranch_execz .LBB118_860
.LBB118_880:
	v_cmp_ne_u16_e32 vcc_lo, 0, v2
	v_mov_b64_e32 v[0:1], 0
	s_and_not1_b32 s29, s29, exec_lo
	s_and_b32 s31, vcc_lo, exec_lo
	s_delay_alu instid0(SALU_CYCLE_1)
	s_or_b32 s29, s29, s31
	s_or_b32 exec_lo, exec_lo, s30
	s_and_saveexec_b32 s30, s29
	s_cbranch_execnz .LBB118_861
	s_branch .LBB118_862
.LBB118_881:
	s_mov_b32 s27, -1
                                        ; implicit-def: $vgpr0_vgpr1
.LBB118_882:
	s_mov_b32 s30, 0
.LBB118_883:
	s_delay_alu instid0(SALU_CYCLE_1)
	s_and_b32 vcc_lo, exec_lo, s30
	s_cbranch_vccz .LBB118_887
; %bb.884:
	s_cmp_eq_u32 s28, 11
	s_cbranch_scc0 .LBB118_886
; %bb.885:
	global_load_u8 v0, v[4:5], off
	s_mov_b32 s27, 0
	s_mov_b32 s29, -1
	v_mov_b64_e32 v[2:3], 0
	s_wait_loadcnt 0x0
	v_cmp_ne_u16_e32 vcc_lo, 0, v0
	v_mov_b32_e32 v0, 0
	v_cndmask_b32_e64 v1, 0, 0x3ff00000, vcc_lo
	s_branch .LBB118_888
.LBB118_886:
	s_mov_b32 s27, -1
                                        ; implicit-def: $vgpr0_vgpr1
.LBB118_887:
	v_mov_b64_e32 v[2:3], 0
.LBB118_888:
	s_mov_b32 s28, 0
.LBB118_889:
	s_delay_alu instid0(SALU_CYCLE_1)
	s_and_b32 vcc_lo, exec_lo, s28
	s_cbranch_vccz .LBB118_940
; %bb.890:
	s_and_b32 s0, 0xffff, s0
	s_delay_alu instid0(SALU_CYCLE_1)
	s_cmp_lt_i32 s0, 5
	s_cbranch_scc1 .LBB118_895
; %bb.891:
	s_cmp_lt_i32 s0, 8
	s_cbranch_scc1 .LBB118_896
; %bb.892:
	;; [unrolled: 3-line block ×3, first 2 shown]
	s_cmp_gt_i32 s0, 9
	s_cbranch_scc0 .LBB118_898
; %bb.894:
	global_load_b128 v[0:3], v[4:5], off
	s_mov_b32 s28, 0
	s_branch .LBB118_899
.LBB118_895:
	s_mov_b32 s28, -1
                                        ; implicit-def: $vgpr2_vgpr3
	s_branch .LBB118_918
.LBB118_896:
	s_mov_b32 s28, -1
                                        ; implicit-def: $vgpr2_vgpr3
	s_branch .LBB118_905
.LBB118_897:
	s_mov_b32 s28, -1
                                        ; implicit-def: $vgpr2_vgpr3
	s_branch .LBB118_902
.LBB118_898:
	s_mov_b32 s28, -1
                                        ; implicit-def: $vgpr2_vgpr3
.LBB118_899:
	s_delay_alu instid0(SALU_CYCLE_1)
	s_and_not1_b32 vcc_lo, exec_lo, s28
	s_cbranch_vccnz .LBB118_901
; %bb.900:
	s_wait_loadcnt 0x0
	global_load_b64 v[2:3], v[4:5], off
	s_wait_loadcnt 0x0
	v_cvt_f64_f32_e32 v[0:1], v2
	v_cvt_f64_f32_e32 v[2:3], v3
.LBB118_901:
	s_mov_b32 s28, 0
.LBB118_902:
	s_delay_alu instid0(SALU_CYCLE_1)
	s_and_not1_b32 vcc_lo, exec_lo, s28
	s_cbranch_vccnz .LBB118_904
; %bb.903:
	s_wait_loadcnt 0x0
	global_load_b32 v0, v[4:5], off
	s_wait_loadcnt 0x0
	v_lshrrev_b32_e32 v1, 16, v0
	v_cvt_f32_f16_e32 v0, v0
	s_delay_alu instid0(VALU_DEP_2) | instskip(NEXT) | instid1(VALU_DEP_2)
	v_cvt_f32_f16_e32 v2, v1
	v_cvt_f64_f32_e32 v[0:1], v0
	s_delay_alu instid0(VALU_DEP_2)
	v_cvt_f64_f32_e32 v[2:3], v2
.LBB118_904:
	s_mov_b32 s28, 0
.LBB118_905:
	s_delay_alu instid0(SALU_CYCLE_1)
	s_and_not1_b32 vcc_lo, exec_lo, s28
	s_cbranch_vccnz .LBB118_917
; %bb.906:
	s_cmp_lt_i32 s0, 6
	s_cbranch_scc1 .LBB118_909
; %bb.907:
	s_cmp_gt_i32 s0, 6
	s_cbranch_scc0 .LBB118_910
; %bb.908:
	s_wait_loadcnt 0x0
	global_load_b64 v[0:1], v[4:5], off
	s_mov_b32 s28, 0
	s_branch .LBB118_911
.LBB118_909:
	s_mov_b32 s28, -1
                                        ; implicit-def: $vgpr0_vgpr1
	s_branch .LBB118_914
.LBB118_910:
	s_mov_b32 s28, -1
                                        ; implicit-def: $vgpr0_vgpr1
.LBB118_911:
	s_delay_alu instid0(SALU_CYCLE_1)
	s_and_not1_b32 vcc_lo, exec_lo, s28
	s_cbranch_vccnz .LBB118_913
; %bb.912:
	s_wait_loadcnt 0x0
	global_load_b32 v0, v[4:5], off
	s_wait_loadcnt 0x0
	v_cvt_f64_f32_e32 v[0:1], v0
.LBB118_913:
	s_mov_b32 s28, 0
.LBB118_914:
	s_delay_alu instid0(SALU_CYCLE_1)
	s_and_not1_b32 vcc_lo, exec_lo, s28
	s_cbranch_vccnz .LBB118_916
; %bb.915:
	s_wait_loadcnt 0x0
	global_load_u16 v0, v[4:5], off
	s_wait_loadcnt 0x0
	v_cvt_f32_f16_e32 v0, v0
	s_delay_alu instid0(VALU_DEP_1)
	v_cvt_f64_f32_e32 v[0:1], v0
.LBB118_916:
	s_wait_loadcnt 0x0
	v_mov_b64_e32 v[2:3], 0
.LBB118_917:
	s_mov_b32 s28, 0
.LBB118_918:
	s_delay_alu instid0(SALU_CYCLE_1)
	s_and_not1_b32 vcc_lo, exec_lo, s28
	s_cbranch_vccnz .LBB118_939
; %bb.919:
	s_cmp_lt_i32 s0, 2
	s_cbranch_scc1 .LBB118_923
; %bb.920:
	s_cmp_lt_i32 s0, 3
	s_cbranch_scc1 .LBB118_924
; %bb.921:
	s_cmp_gt_i32 s0, 3
	s_cbranch_scc0 .LBB118_925
; %bb.922:
	s_wait_loadcnt 0x0
	global_load_b64 v[0:1], v[4:5], off
	s_mov_b32 s28, 0
	s_wait_loadcnt 0x0
	v_cvt_f64_i32_e32 v[2:3], v1
	v_cvt_f64_u32_e32 v[0:1], v0
	s_delay_alu instid0(VALU_DEP_2) | instskip(NEXT) | instid1(VALU_DEP_1)
	v_ldexp_f64 v[2:3], v[2:3], 32
	v_add_f64_e32 v[0:1], v[2:3], v[0:1]
	s_branch .LBB118_926
.LBB118_923:
	s_mov_b32 s28, -1
                                        ; implicit-def: $vgpr0_vgpr1
	s_branch .LBB118_932
.LBB118_924:
	s_mov_b32 s28, -1
                                        ; implicit-def: $vgpr0_vgpr1
	s_branch .LBB118_929
.LBB118_925:
	s_mov_b32 s28, -1
                                        ; implicit-def: $vgpr0_vgpr1
.LBB118_926:
	s_delay_alu instid0(SALU_CYCLE_1)
	s_and_not1_b32 vcc_lo, exec_lo, s28
	s_cbranch_vccnz .LBB118_928
; %bb.927:
	s_wait_loadcnt 0x0
	global_load_b32 v0, v[4:5], off
	s_wait_loadcnt 0x0
	v_cvt_f64_i32_e32 v[0:1], v0
.LBB118_928:
	s_mov_b32 s28, 0
.LBB118_929:
	s_delay_alu instid0(SALU_CYCLE_1)
	s_and_not1_b32 vcc_lo, exec_lo, s28
	s_cbranch_vccnz .LBB118_931
; %bb.930:
	s_wait_loadcnt 0x0
	global_load_i16 v0, v[4:5], off
	s_wait_loadcnt 0x0
	v_cvt_f64_i32_e32 v[0:1], v0
.LBB118_931:
	s_mov_b32 s28, 0
.LBB118_932:
	s_delay_alu instid0(SALU_CYCLE_1)
	s_and_not1_b32 vcc_lo, exec_lo, s28
	s_cbranch_vccnz .LBB118_938
; %bb.933:
	s_cmp_gt_i32 s0, 0
	s_mov_b32 s0, 0
	s_cbranch_scc0 .LBB118_935
; %bb.934:
	s_wait_loadcnt 0x0
	global_load_i8 v0, v[4:5], off
	s_wait_loadcnt 0x0
	v_cvt_f64_i32_e32 v[0:1], v0
	s_branch .LBB118_936
.LBB118_935:
	s_mov_b32 s0, -1
                                        ; implicit-def: $vgpr0_vgpr1
.LBB118_936:
	s_delay_alu instid0(SALU_CYCLE_1)
	s_and_not1_b32 vcc_lo, exec_lo, s0
	s_cbranch_vccnz .LBB118_938
; %bb.937:
	s_wait_loadcnt 0x0
	global_load_u8 v0, v[4:5], off
	s_wait_loadcnt 0x0
	v_cvt_f64_u32_e32 v[0:1], v0
.LBB118_938:
	s_wait_loadcnt 0x0
	v_mov_b64_e32 v[2:3], 0
.LBB118_939:
	s_mov_b32 s29, -1
.LBB118_940:
	s_delay_alu instid0(SALU_CYCLE_1)
	s_and_not1_b32 vcc_lo, exec_lo, s29
	s_cbranch_vccnz .LBB118_948
; %bb.941:
	s_wait_xcnt 0x0
	v_mul_lo_u32 v4, v14, s10
	s_and_b32 s0, s1, 0xff
	s_delay_alu instid0(SALU_CYCLE_1) | instskip(NEXT) | instid1(VALU_DEP_1)
	s_cmp_lt_i32 s0, 11
	v_ashrrev_i32_e32 v5, 31, v4
	s_delay_alu instid0(VALU_DEP_1)
	v_add_nc_u64_e32 v[8:9], s[2:3], v[4:5]
	s_cbranch_scc1 .LBB118_949
; %bb.942:
	s_and_b32 s29, 0xffff, s0
	s_delay_alu instid0(SALU_CYCLE_1)
	s_cmp_gt_i32 s29, 25
	s_cbranch_scc0 .LBB118_950
; %bb.943:
	s_cmp_gt_i32 s29, 28
	s_cbranch_scc0 .LBB118_951
; %bb.944:
	;; [unrolled: 3-line block ×4, first 2 shown]
	s_cmp_eq_u32 s29, 46
	s_mov_b32 s31, 0
	s_cbranch_scc0 .LBB118_956
; %bb.947:
	global_load_b32 v4, v[8:9], off
	s_mov_b32 s30, -1
	s_mov_b32 s28, 0
	s_wait_loadcnt 0x0
	v_lshlrev_b32_e32 v5, 16, v4
	v_and_b32_e32 v6, 0xffff0000, v4
	s_delay_alu instid0(VALU_DEP_2) | instskip(NEXT) | instid1(VALU_DEP_2)
	v_cvt_f64_f32_e32 v[4:5], v5
	v_cvt_f64_f32_e32 v[6:7], v6
	s_branch .LBB118_958
.LBB118_948:
	s_mov_b32 s30, 0
	s_mov_b32 s0, s23
	;; [unrolled: 1-line block ×3, first 2 shown]
	s_branch .LBB118_1207
.LBB118_949:
	s_mov_b32 s29, -1
	s_mov_b32 s30, 0
	s_mov_b32 s28, s24
                                        ; implicit-def: $vgpr6_vgpr7
	s_branch .LBB118_1026
.LBB118_950:
	s_mov_b32 s31, -1
	s_mov_b32 s30, 0
	s_mov_b32 s28, s24
                                        ; implicit-def: $vgpr6_vgpr7
	s_branch .LBB118_989
.LBB118_951:
	s_mov_b32 s31, -1
	s_mov_b32 s30, 0
	s_mov_b32 s28, s24
                                        ; implicit-def: $vgpr6_vgpr7
	s_branch .LBB118_970
.LBB118_952:
	s_mov_b32 s31, -1
	s_mov_b32 s30, 0
	s_mov_b32 s28, s24
                                        ; implicit-def: $vgpr6_vgpr7
	s_branch .LBB118_964
.LBB118_953:
	s_mov_b32 s31, -1
	s_mov_b32 s30, 0
	s_mov_b32 s28, s24
	s_branch .LBB118_957
.LBB118_954:
	s_and_not1_saveexec_b32 s30, s30
	s_cbranch_execz .LBB118_724
.LBB118_955:
	v_add_f32_e32 v2, 0x42800000, v3
	s_and_not1_b32 s29, s29, exec_lo
	s_delay_alu instid0(VALU_DEP_1) | instskip(NEXT) | instid1(VALU_DEP_1)
	v_and_b32_e32 v2, 0xff, v2
	v_cmp_ne_u32_e32 vcc_lo, 0, v2
	s_and_b32 s31, vcc_lo, exec_lo
	s_delay_alu instid0(SALU_CYCLE_1)
	s_or_b32 s29, s29, s31
	s_or_b32 exec_lo, exec_lo, s30
	v_mov_b32_e32 v4, 0
	s_and_saveexec_b32 s30, s29
	s_cbranch_execnz .LBB118_725
	s_branch .LBB118_726
.LBB118_956:
	s_mov_b32 s28, -1
	s_mov_b32 s30, 0
.LBB118_957:
                                        ; implicit-def: $vgpr6_vgpr7
.LBB118_958:
	s_and_b32 vcc_lo, exec_lo, s31
	s_cbranch_vccz .LBB118_963
; %bb.959:
	s_cmp_eq_u32 s29, 44
	s_cbranch_scc0 .LBB118_961
; %bb.960:
	global_load_u8 v6, v[8:9], off
	s_mov_b32 s28, 0
	s_mov_b32 s30, -1
	s_wait_loadcnt 0x0
	v_cmp_ne_u32_e32 vcc_lo, 0xff, v6
	v_lshlrev_b32_e32 v4, 23, v6
	s_delay_alu instid0(VALU_DEP_1) | instskip(NEXT) | instid1(VALU_DEP_1)
	v_cvt_f64_f32_e32 v[4:5], v4
	v_cndmask_b32_e32 v4, 0x20000000, v4, vcc_lo
	s_delay_alu instid0(VALU_DEP_2) | instskip(SKIP_1) | instid1(VALU_DEP_2)
	v_cndmask_b32_e32 v5, 0x7ff80000, v5, vcc_lo
	v_cmp_ne_u32_e32 vcc_lo, 0, v6
	v_cndmask_b32_e32 v5, 0x38000000, v5, vcc_lo
	s_delay_alu instid0(VALU_DEP_4)
	v_cndmask_b32_e32 v4, 0, v4, vcc_lo
	s_branch .LBB118_962
.LBB118_961:
	s_mov_b32 s28, -1
                                        ; implicit-def: $vgpr4_vgpr5
.LBB118_962:
	v_mov_b64_e32 v[6:7], 0
.LBB118_963:
	s_mov_b32 s31, 0
.LBB118_964:
	s_delay_alu instid0(SALU_CYCLE_1)
	s_and_b32 vcc_lo, exec_lo, s31
	s_cbranch_vccz .LBB118_969
; %bb.965:
	s_cmp_eq_u32 s29, 29
	s_cbranch_scc0 .LBB118_967
; %bb.966:
	global_load_b64 v[4:5], v[8:9], off
	s_mov_b32 s30, -1
	s_mov_b32 s28, 0
	s_wait_loadcnt 0x0
	v_cvt_f64_u32_e32 v[6:7], v5
	v_cvt_f64_u32_e32 v[4:5], v4
	s_delay_alu instid0(VALU_DEP_2) | instskip(NEXT) | instid1(VALU_DEP_1)
	v_ldexp_f64 v[6:7], v[6:7], 32
	v_add_f64_e32 v[4:5], v[6:7], v[4:5]
	s_branch .LBB118_968
.LBB118_967:
	s_mov_b32 s28, -1
                                        ; implicit-def: $vgpr4_vgpr5
.LBB118_968:
	v_mov_b64_e32 v[6:7], 0
.LBB118_969:
	s_mov_b32 s31, 0
.LBB118_970:
	s_delay_alu instid0(SALU_CYCLE_1)
	s_and_b32 vcc_lo, exec_lo, s31
	s_cbranch_vccz .LBB118_988
; %bb.971:
	s_cmp_lt_i32 s29, 27
	s_cbranch_scc1 .LBB118_974
; %bb.972:
	s_cmp_gt_i32 s29, 27
	s_cbranch_scc0 .LBB118_975
; %bb.973:
	global_load_b32 v4, v[8:9], off
	s_mov_b32 s30, 0
	s_wait_loadcnt 0x0
	v_cvt_f64_u32_e32 v[4:5], v4
	s_branch .LBB118_976
.LBB118_974:
	s_mov_b32 s30, -1
                                        ; implicit-def: $vgpr4_vgpr5
	s_branch .LBB118_979
.LBB118_975:
	s_mov_b32 s30, -1
                                        ; implicit-def: $vgpr4_vgpr5
.LBB118_976:
	s_delay_alu instid0(SALU_CYCLE_1)
	s_and_not1_b32 vcc_lo, exec_lo, s30
	s_cbranch_vccnz .LBB118_978
; %bb.977:
	global_load_u16 v4, v[8:9], off
	s_wait_loadcnt 0x0
	v_cvt_f64_u32_e32 v[4:5], v4
.LBB118_978:
	s_mov_b32 s30, 0
.LBB118_979:
	s_delay_alu instid0(SALU_CYCLE_1)
	s_and_not1_b32 vcc_lo, exec_lo, s30
	s_cbranch_vccnz .LBB118_987
; %bb.980:
	global_load_u8 v6, v[8:9], off
	s_mov_b32 s30, 0
	s_mov_b32 s31, exec_lo
	s_wait_loadcnt 0x0
	v_cmpx_lt_i16_e32 0x7f, v6
	s_xor_b32 s31, exec_lo, s31
	s_cbranch_execz .LBB118_1001
; %bb.981:
	s_mov_b32 s30, -1
	s_mov_b32 s33, exec_lo
	v_cmpx_eq_u16_e32 0x80, v6
; %bb.982:
	s_xor_b32 s30, exec_lo, -1
; %bb.983:
	s_or_b32 exec_lo, exec_lo, s33
	s_delay_alu instid0(SALU_CYCLE_1)
	s_and_b32 s30, s30, exec_lo
	s_or_saveexec_b32 s31, s31
	v_mov_b64_e32 v[4:5], 0x7ff8000020000000
	s_xor_b32 exec_lo, exec_lo, s31
	s_cbranch_execnz .LBB118_1002
.LBB118_984:
	s_or_b32 exec_lo, exec_lo, s31
	s_and_saveexec_b32 s31, s30
	s_cbranch_execz .LBB118_986
.LBB118_985:
	v_and_b32_e32 v4, 0xffff, v6
	s_delay_alu instid0(VALU_DEP_1) | instskip(SKIP_1) | instid1(VALU_DEP_2)
	v_and_b32_e32 v5, 7, v4
	v_bfe_u32 v11, v4, 3, 4
	v_clz_i32_u32_e32 v7, v5
	s_delay_alu instid0(VALU_DEP_2) | instskip(NEXT) | instid1(VALU_DEP_2)
	v_cmp_eq_u32_e32 vcc_lo, 0, v11
	v_min_u32_e32 v7, 32, v7
	s_delay_alu instid0(VALU_DEP_1) | instskip(NEXT) | instid1(VALU_DEP_1)
	v_subrev_nc_u32_e32 v10, 28, v7
	v_dual_lshlrev_b32 v4, v10, v4 :: v_dual_sub_nc_u32 v7, 29, v7
	s_delay_alu instid0(VALU_DEP_1) | instskip(NEXT) | instid1(VALU_DEP_1)
	v_dual_lshlrev_b32 v6, 24, v6 :: v_dual_bitop2_b32 v4, 7, v4 bitop3:0x40
	v_dual_cndmask_b32 v7, v11, v7 :: v_dual_cndmask_b32 v4, v5, v4
	s_delay_alu instid0(VALU_DEP_2) | instskip(NEXT) | instid1(VALU_DEP_2)
	v_and_b32_e32 v5, 0x80000000, v6
	v_lshl_add_u32 v6, v7, 23, 0x3b800000
	s_delay_alu instid0(VALU_DEP_3) | instskip(NEXT) | instid1(VALU_DEP_1)
	v_lshlrev_b32_e32 v4, 20, v4
	v_or3_b32 v4, v5, v6, v4
	s_delay_alu instid0(VALU_DEP_1)
	v_cvt_f64_f32_e32 v[4:5], v4
.LBB118_986:
	s_or_b32 exec_lo, exec_lo, s31
.LBB118_987:
	v_mov_b64_e32 v[6:7], 0
	s_mov_b32 s30, -1
.LBB118_988:
	s_mov_b32 s31, 0
.LBB118_989:
	s_delay_alu instid0(SALU_CYCLE_1)
	s_and_b32 vcc_lo, exec_lo, s31
	s_cbranch_vccz .LBB118_1025
; %bb.990:
	s_cmp_gt_i32 s29, 22
	s_cbranch_scc0 .LBB118_1000
; %bb.991:
	s_cmp_lt_i32 s29, 24
	s_cbranch_scc1 .LBB118_1003
; %bb.992:
	s_cmp_gt_i32 s29, 24
	s_cbranch_scc0 .LBB118_1004
; %bb.993:
	global_load_u8 v6, v[8:9], off
	s_mov_b32 s30, 0
	s_mov_b32 s31, exec_lo
	s_wait_loadcnt 0x0
	v_cmpx_lt_i16_e32 0x7f, v6
	s_xor_b32 s31, exec_lo, s31
	s_cbranch_execz .LBB118_1016
; %bb.994:
	s_mov_b32 s30, -1
	s_mov_b32 s33, exec_lo
	v_cmpx_eq_u16_e32 0x80, v6
; %bb.995:
	s_xor_b32 s30, exec_lo, -1
; %bb.996:
	s_or_b32 exec_lo, exec_lo, s33
	s_delay_alu instid0(SALU_CYCLE_1)
	s_and_b32 s30, s30, exec_lo
	s_or_saveexec_b32 s31, s31
	v_mov_b64_e32 v[4:5], 0x7ff8000020000000
	s_xor_b32 exec_lo, exec_lo, s31
	s_cbranch_execnz .LBB118_1017
.LBB118_997:
	s_or_b32 exec_lo, exec_lo, s31
	s_and_saveexec_b32 s31, s30
	s_cbranch_execz .LBB118_999
.LBB118_998:
	v_and_b32_e32 v4, 0xffff, v6
	s_delay_alu instid0(VALU_DEP_1) | instskip(SKIP_1) | instid1(VALU_DEP_2)
	v_and_b32_e32 v5, 3, v4
	v_bfe_u32 v11, v4, 2, 5
	v_clz_i32_u32_e32 v7, v5
	s_delay_alu instid0(VALU_DEP_2) | instskip(NEXT) | instid1(VALU_DEP_2)
	v_cmp_eq_u32_e32 vcc_lo, 0, v11
	v_min_u32_e32 v7, 32, v7
	s_delay_alu instid0(VALU_DEP_1) | instskip(NEXT) | instid1(VALU_DEP_1)
	v_subrev_nc_u32_e32 v10, 29, v7
	v_dual_lshlrev_b32 v4, v10, v4 :: v_dual_sub_nc_u32 v7, 30, v7
	s_delay_alu instid0(VALU_DEP_1) | instskip(NEXT) | instid1(VALU_DEP_1)
	v_dual_lshlrev_b32 v6, 24, v6 :: v_dual_bitop2_b32 v4, 3, v4 bitop3:0x40
	v_dual_cndmask_b32 v7, v11, v7 :: v_dual_cndmask_b32 v4, v5, v4
	s_delay_alu instid0(VALU_DEP_2) | instskip(NEXT) | instid1(VALU_DEP_2)
	v_and_b32_e32 v5, 0x80000000, v6
	v_lshl_add_u32 v6, v7, 23, 0x37800000
	s_delay_alu instid0(VALU_DEP_3) | instskip(NEXT) | instid1(VALU_DEP_1)
	v_lshlrev_b32_e32 v4, 21, v4
	v_or3_b32 v4, v5, v6, v4
	s_delay_alu instid0(VALU_DEP_1)
	v_cvt_f64_f32_e32 v[4:5], v4
.LBB118_999:
	s_or_b32 exec_lo, exec_lo, s31
	s_mov_b32 s30, 0
	s_branch .LBB118_1005
.LBB118_1000:
	s_mov_b32 s31, -1
                                        ; implicit-def: $vgpr4_vgpr5
	s_branch .LBB118_1011
.LBB118_1001:
	s_or_saveexec_b32 s31, s31
	v_mov_b64_e32 v[4:5], 0x7ff8000020000000
	s_xor_b32 exec_lo, exec_lo, s31
	s_cbranch_execz .LBB118_984
.LBB118_1002:
	v_cmp_ne_u16_e32 vcc_lo, 0, v6
	v_mov_b64_e32 v[4:5], 0
	s_and_not1_b32 s30, s30, exec_lo
	s_and_b32 s33, vcc_lo, exec_lo
	s_delay_alu instid0(SALU_CYCLE_1)
	s_or_b32 s30, s30, s33
	s_or_b32 exec_lo, exec_lo, s31
	s_and_saveexec_b32 s31, s30
	s_cbranch_execnz .LBB118_985
	s_branch .LBB118_986
.LBB118_1003:
	s_mov_b32 s30, -1
                                        ; implicit-def: $vgpr4_vgpr5
	s_branch .LBB118_1008
.LBB118_1004:
	s_mov_b32 s30, -1
                                        ; implicit-def: $vgpr4_vgpr5
.LBB118_1005:
	s_delay_alu instid0(SALU_CYCLE_1)
	s_and_b32 vcc_lo, exec_lo, s30
	s_cbranch_vccz .LBB118_1007
; %bb.1006:
	global_load_u8 v4, v[8:9], off
	s_wait_loadcnt 0x0
	v_lshlrev_b32_e32 v4, 24, v4
	s_delay_alu instid0(VALU_DEP_1) | instskip(NEXT) | instid1(VALU_DEP_1)
	v_and_b32_e32 v5, 0x7f000000, v4
	v_clz_i32_u32_e32 v6, v5
	v_cmp_ne_u32_e32 vcc_lo, 0, v5
	v_add_nc_u32_e32 v10, 0x1000000, v5
	s_delay_alu instid0(VALU_DEP_3) | instskip(NEXT) | instid1(VALU_DEP_1)
	v_min_u32_e32 v6, 32, v6
	v_sub_nc_u32_e64 v6, v6, 4 clamp
	s_delay_alu instid0(VALU_DEP_1) | instskip(NEXT) | instid1(VALU_DEP_1)
	v_dual_lshlrev_b32 v7, v6, v5 :: v_dual_lshlrev_b32 v6, 23, v6
	v_lshrrev_b32_e32 v7, 4, v7
	s_delay_alu instid0(VALU_DEP_1) | instskip(SKIP_1) | instid1(VALU_DEP_2)
	v_sub_nc_u32_e32 v6, v7, v6
	v_ashrrev_i32_e32 v7, 8, v10
	v_add_nc_u32_e32 v6, 0x3c000000, v6
	s_delay_alu instid0(VALU_DEP_1) | instskip(NEXT) | instid1(VALU_DEP_1)
	v_and_or_b32 v6, 0x7f800000, v7, v6
	v_cndmask_b32_e32 v5, 0, v6, vcc_lo
	s_delay_alu instid0(VALU_DEP_1) | instskip(NEXT) | instid1(VALU_DEP_1)
	v_and_or_b32 v4, 0x80000000, v4, v5
	v_cvt_f64_f32_e32 v[4:5], v4
.LBB118_1007:
	s_mov_b32 s30, 0
.LBB118_1008:
	s_delay_alu instid0(SALU_CYCLE_1)
	s_and_not1_b32 vcc_lo, exec_lo, s30
	s_cbranch_vccnz .LBB118_1010
; %bb.1009:
	global_load_u8 v4, v[8:9], off
	s_wait_loadcnt 0x0
	v_lshlrev_b32_e32 v5, 25, v4
	v_lshlrev_b16 v4, 8, v4
	s_delay_alu instid0(VALU_DEP_1) | instskip(SKIP_1) | instid1(VALU_DEP_2)
	v_and_or_b32 v7, 0x7f00, v4, 0.5
	v_bfe_i32 v4, v4, 0, 16
	v_dual_add_f32 v7, -0.5, v7 :: v_dual_lshrrev_b32 v6, 4, v5
	v_cmp_gt_u32_e32 vcc_lo, 0x8000000, v5
	s_delay_alu instid0(VALU_DEP_2) | instskip(NEXT) | instid1(VALU_DEP_1)
	v_or_b32_e32 v6, 0x70000000, v6
	v_mul_f32_e32 v6, 0x7800000, v6
	s_delay_alu instid0(VALU_DEP_1) | instskip(NEXT) | instid1(VALU_DEP_1)
	v_cndmask_b32_e32 v5, v6, v7, vcc_lo
	v_and_or_b32 v4, 0x80000000, v4, v5
	s_delay_alu instid0(VALU_DEP_1)
	v_cvt_f64_f32_e32 v[4:5], v4
.LBB118_1010:
	s_mov_b32 s31, 0
	s_mov_b32 s30, -1
.LBB118_1011:
	s_and_not1_b32 vcc_lo, exec_lo, s31
	s_cbranch_vccnz .LBB118_1024
; %bb.1012:
	s_cmp_gt_i32 s29, 14
	s_cbranch_scc0 .LBB118_1015
; %bb.1013:
	s_cmp_eq_u32 s29, 15
	s_cbranch_scc0 .LBB118_1018
; %bb.1014:
	global_load_u16 v4, v[8:9], off
	s_mov_b32 s30, -1
	s_mov_b32 s28, 0
	s_wait_loadcnt 0x0
	v_lshlrev_b32_e32 v4, 16, v4
	s_delay_alu instid0(VALU_DEP_1)
	v_cvt_f64_f32_e32 v[4:5], v4
	s_branch .LBB118_1019
.LBB118_1015:
	s_mov_b32 s31, -1
                                        ; implicit-def: $vgpr4_vgpr5
	s_branch .LBB118_1020
.LBB118_1016:
	s_or_saveexec_b32 s31, s31
	v_mov_b64_e32 v[4:5], 0x7ff8000020000000
	s_xor_b32 exec_lo, exec_lo, s31
	s_cbranch_execz .LBB118_997
.LBB118_1017:
	v_cmp_ne_u16_e32 vcc_lo, 0, v6
	v_mov_b64_e32 v[4:5], 0
	s_and_not1_b32 s30, s30, exec_lo
	s_and_b32 s33, vcc_lo, exec_lo
	s_delay_alu instid0(SALU_CYCLE_1)
	s_or_b32 s30, s30, s33
	s_or_b32 exec_lo, exec_lo, s31
	s_and_saveexec_b32 s31, s30
	s_cbranch_execnz .LBB118_998
	s_branch .LBB118_999
.LBB118_1018:
	s_mov_b32 s28, -1
                                        ; implicit-def: $vgpr4_vgpr5
.LBB118_1019:
	s_mov_b32 s31, 0
.LBB118_1020:
	s_delay_alu instid0(SALU_CYCLE_1)
	s_and_b32 vcc_lo, exec_lo, s31
	s_cbranch_vccz .LBB118_1024
; %bb.1021:
	s_cmp_eq_u32 s29, 11
	s_cbranch_scc0 .LBB118_1023
; %bb.1022:
	global_load_u8 v4, v[8:9], off
	s_mov_b32 s28, 0
	s_mov_b32 s30, -1
	v_mov_b64_e32 v[6:7], 0
	s_wait_loadcnt 0x0
	v_cmp_ne_u16_e32 vcc_lo, 0, v4
	v_mov_b32_e32 v4, 0
	v_cndmask_b32_e64 v5, 0, 0x3ff00000, vcc_lo
	s_branch .LBB118_1025
.LBB118_1023:
	s_mov_b32 s28, -1
                                        ; implicit-def: $vgpr4_vgpr5
.LBB118_1024:
	v_mov_b64_e32 v[6:7], 0
.LBB118_1025:
	s_mov_b32 s29, 0
.LBB118_1026:
	s_delay_alu instid0(SALU_CYCLE_1)
	s_and_b32 vcc_lo, exec_lo, s29
	s_cbranch_vccz .LBB118_1077
; %bb.1027:
	s_and_b32 s0, 0xffff, s0
	s_delay_alu instid0(SALU_CYCLE_1)
	s_cmp_lt_i32 s0, 5
	s_cbranch_scc1 .LBB118_1032
; %bb.1028:
	s_cmp_lt_i32 s0, 8
	s_cbranch_scc1 .LBB118_1033
; %bb.1029:
	;; [unrolled: 3-line block ×3, first 2 shown]
	s_cmp_gt_i32 s0, 9
	s_cbranch_scc0 .LBB118_1035
; %bb.1031:
	global_load_b128 v[4:7], v[8:9], off
	s_mov_b32 s29, 0
	s_branch .LBB118_1036
.LBB118_1032:
	s_mov_b32 s29, -1
                                        ; implicit-def: $vgpr6_vgpr7
	s_branch .LBB118_1055
.LBB118_1033:
	s_mov_b32 s29, -1
                                        ; implicit-def: $vgpr6_vgpr7
	s_branch .LBB118_1042
.LBB118_1034:
	s_mov_b32 s29, -1
                                        ; implicit-def: $vgpr6_vgpr7
	s_branch .LBB118_1039
.LBB118_1035:
	s_mov_b32 s29, -1
                                        ; implicit-def: $vgpr6_vgpr7
.LBB118_1036:
	s_delay_alu instid0(SALU_CYCLE_1)
	s_and_not1_b32 vcc_lo, exec_lo, s29
	s_cbranch_vccnz .LBB118_1038
; %bb.1037:
	s_wait_loadcnt 0x0
	global_load_b64 v[6:7], v[8:9], off
	s_wait_loadcnt 0x0
	v_cvt_f64_f32_e32 v[4:5], v6
	v_cvt_f64_f32_e32 v[6:7], v7
.LBB118_1038:
	s_mov_b32 s29, 0
.LBB118_1039:
	s_delay_alu instid0(SALU_CYCLE_1)
	s_and_not1_b32 vcc_lo, exec_lo, s29
	s_cbranch_vccnz .LBB118_1041
; %bb.1040:
	s_wait_loadcnt 0x0
	global_load_b32 v4, v[8:9], off
	s_wait_loadcnt 0x0
	v_lshrrev_b32_e32 v5, 16, v4
	v_cvt_f32_f16_e32 v4, v4
	s_delay_alu instid0(VALU_DEP_2) | instskip(NEXT) | instid1(VALU_DEP_2)
	v_cvt_f32_f16_e32 v6, v5
	v_cvt_f64_f32_e32 v[4:5], v4
	s_delay_alu instid0(VALU_DEP_2)
	v_cvt_f64_f32_e32 v[6:7], v6
.LBB118_1041:
	s_mov_b32 s29, 0
.LBB118_1042:
	s_delay_alu instid0(SALU_CYCLE_1)
	s_and_not1_b32 vcc_lo, exec_lo, s29
	s_cbranch_vccnz .LBB118_1054
; %bb.1043:
	s_cmp_lt_i32 s0, 6
	s_cbranch_scc1 .LBB118_1046
; %bb.1044:
	s_cmp_gt_i32 s0, 6
	s_cbranch_scc0 .LBB118_1047
; %bb.1045:
	s_wait_loadcnt 0x0
	global_load_b64 v[4:5], v[8:9], off
	s_mov_b32 s29, 0
	s_branch .LBB118_1048
.LBB118_1046:
	s_mov_b32 s29, -1
                                        ; implicit-def: $vgpr4_vgpr5
	s_branch .LBB118_1051
.LBB118_1047:
	s_mov_b32 s29, -1
                                        ; implicit-def: $vgpr4_vgpr5
.LBB118_1048:
	s_delay_alu instid0(SALU_CYCLE_1)
	s_and_not1_b32 vcc_lo, exec_lo, s29
	s_cbranch_vccnz .LBB118_1050
; %bb.1049:
	s_wait_loadcnt 0x0
	global_load_b32 v4, v[8:9], off
	s_wait_loadcnt 0x0
	v_cvt_f64_f32_e32 v[4:5], v4
.LBB118_1050:
	s_mov_b32 s29, 0
.LBB118_1051:
	s_delay_alu instid0(SALU_CYCLE_1)
	s_and_not1_b32 vcc_lo, exec_lo, s29
	s_cbranch_vccnz .LBB118_1053
; %bb.1052:
	s_wait_loadcnt 0x0
	global_load_u16 v4, v[8:9], off
	s_wait_loadcnt 0x0
	v_cvt_f32_f16_e32 v4, v4
	s_delay_alu instid0(VALU_DEP_1)
	v_cvt_f64_f32_e32 v[4:5], v4
.LBB118_1053:
	s_wait_loadcnt 0x0
	v_mov_b64_e32 v[6:7], 0
.LBB118_1054:
	s_mov_b32 s29, 0
.LBB118_1055:
	s_delay_alu instid0(SALU_CYCLE_1)
	s_and_not1_b32 vcc_lo, exec_lo, s29
	s_cbranch_vccnz .LBB118_1076
; %bb.1056:
	s_cmp_lt_i32 s0, 2
	s_cbranch_scc1 .LBB118_1060
; %bb.1057:
	s_cmp_lt_i32 s0, 3
	s_cbranch_scc1 .LBB118_1061
; %bb.1058:
	s_cmp_gt_i32 s0, 3
	s_cbranch_scc0 .LBB118_1062
; %bb.1059:
	s_wait_loadcnt 0x0
	global_load_b64 v[4:5], v[8:9], off
	s_mov_b32 s29, 0
	s_wait_loadcnt 0x0
	v_cvt_f64_i32_e32 v[6:7], v5
	v_cvt_f64_u32_e32 v[4:5], v4
	s_delay_alu instid0(VALU_DEP_2) | instskip(NEXT) | instid1(VALU_DEP_1)
	v_ldexp_f64 v[6:7], v[6:7], 32
	v_add_f64_e32 v[4:5], v[6:7], v[4:5]
	s_branch .LBB118_1063
.LBB118_1060:
	s_mov_b32 s29, -1
                                        ; implicit-def: $vgpr4_vgpr5
	s_branch .LBB118_1069
.LBB118_1061:
	s_mov_b32 s29, -1
                                        ; implicit-def: $vgpr4_vgpr5
	s_branch .LBB118_1066
.LBB118_1062:
	s_mov_b32 s29, -1
                                        ; implicit-def: $vgpr4_vgpr5
.LBB118_1063:
	s_delay_alu instid0(SALU_CYCLE_1)
	s_and_not1_b32 vcc_lo, exec_lo, s29
	s_cbranch_vccnz .LBB118_1065
; %bb.1064:
	s_wait_loadcnt 0x0
	global_load_b32 v4, v[8:9], off
	s_wait_loadcnt 0x0
	v_cvt_f64_i32_e32 v[4:5], v4
.LBB118_1065:
	s_mov_b32 s29, 0
.LBB118_1066:
	s_delay_alu instid0(SALU_CYCLE_1)
	s_and_not1_b32 vcc_lo, exec_lo, s29
	s_cbranch_vccnz .LBB118_1068
; %bb.1067:
	s_wait_loadcnt 0x0
	global_load_i16 v4, v[8:9], off
	s_wait_loadcnt 0x0
	v_cvt_f64_i32_e32 v[4:5], v4
.LBB118_1068:
	s_mov_b32 s29, 0
.LBB118_1069:
	s_delay_alu instid0(SALU_CYCLE_1)
	s_and_not1_b32 vcc_lo, exec_lo, s29
	s_cbranch_vccnz .LBB118_1075
; %bb.1070:
	s_cmp_gt_i32 s0, 0
	s_mov_b32 s0, 0
	s_cbranch_scc0 .LBB118_1072
; %bb.1071:
	s_wait_loadcnt 0x0
	global_load_i8 v4, v[8:9], off
	s_wait_loadcnt 0x0
	v_cvt_f64_i32_e32 v[4:5], v4
	s_branch .LBB118_1073
.LBB118_1072:
	s_mov_b32 s0, -1
                                        ; implicit-def: $vgpr4_vgpr5
.LBB118_1073:
	s_delay_alu instid0(SALU_CYCLE_1)
	s_and_not1_b32 vcc_lo, exec_lo, s0
	s_cbranch_vccnz .LBB118_1075
; %bb.1074:
	s_wait_loadcnt 0x0
	global_load_u8 v4, v[8:9], off
	s_wait_loadcnt 0x0
	v_cvt_f64_u32_e32 v[4:5], v4
.LBB118_1075:
	s_wait_loadcnt 0x0
	v_mov_b64_e32 v[6:7], 0
.LBB118_1076:
	s_mov_b32 s30, -1
.LBB118_1077:
	s_delay_alu instid0(SALU_CYCLE_1)
	s_and_not1_b32 vcc_lo, exec_lo, s30
	s_cbranch_vccnz .LBB118_1080
; %bb.1078:
	s_and_not1_b32 vcc_lo, exec_lo, s16
	s_cbranch_vccnz .LBB118_1081
; %bb.1079:
	s_wait_loadcnt 0x0
	s_delay_alu instid0(VALU_DEP_1) | instskip(NEXT) | instid1(VALU_DEP_2)
	v_cmp_neq_f64_e32 vcc_lo, v[0:1], v[4:5]
	v_cmp_neq_f64_e64 s0, v[2:3], v[6:7]
	s_or_b32 s29, vcc_lo, s0
	s_mov_b32 s0, 0
	s_branch .LBB118_1082
.LBB118_1080:
	s_mov_b32 s30, 0
	s_mov_b32 s0, s23
	s_branch .LBB118_1207
.LBB118_1081:
	s_mov_b32 s0, -1
                                        ; implicit-def: $sgpr29
.LBB118_1082:
	s_delay_alu instid0(SALU_CYCLE_1)
	s_and_not1_b32 vcc_lo, exec_lo, s0
	s_cbranch_vccnz .LBB118_1084
; %bb.1083:
	s_wait_loadcnt 0x0
	s_delay_alu instid0(VALU_DEP_1) | instskip(NEXT) | instid1(VALU_DEP_2)
	v_cmp_eq_f64_e32 vcc_lo, v[0:1], v[4:5]
	v_cmp_eq_f64_e64 s0, v[2:3], v[6:7]
	s_and_not1_b32 s29, s29, exec_lo
	s_and_b32 s0, vcc_lo, s0
	s_delay_alu instid0(SALU_CYCLE_1) | instskip(NEXT) | instid1(SALU_CYCLE_1)
	s_and_b32 s0, s0, exec_lo
	s_or_b32 s29, s29, s0
.LBB118_1084:
	s_wait_loadcnt 0x0
	v_mul_lo_u32 v0, v14, s8
	s_and_b32 s30, s12, 0xff
	s_delay_alu instid0(SALU_CYCLE_1) | instskip(NEXT) | instid1(VALU_DEP_1)
	s_cmp_lt_i32 s30, 11
	v_ashrrev_i32_e32 v1, 31, v0
	s_delay_alu instid0(VALU_DEP_1)
	v_add_nc_u64_e32 v[0:1], s[4:5], v[0:1]
	s_cbranch_scc1 .LBB118_1091
; %bb.1085:
	s_and_b32 s31, 0xffff, s30
	s_delay_alu instid0(SALU_CYCLE_1)
	s_cmp_gt_i32 s31, 25
	s_cbranch_scc0 .LBB118_1092
; %bb.1086:
	s_cmp_gt_i32 s31, 28
	s_cbranch_scc0 .LBB118_1093
; %bb.1087:
	;; [unrolled: 3-line block ×4, first 2 shown]
	s_mov_b32 s34, 0
	s_mov_b32 s0, -1
	s_cmp_eq_u32 s31, 46
	s_mov_b32 s33, 0
	s_cbranch_scc0 .LBB118_1096
; %bb.1090:
	v_cndmask_b32_e64 v2, 0, 1.0, s29
	s_mov_b32 s33, -1
	s_mov_b32 s0, 0
	s_delay_alu instid0(VALU_DEP_1) | instskip(NEXT) | instid1(VALU_DEP_1)
	v_bfe_u32 v3, v2, 16, 1
	v_add3_u32 v2, v2, v3, 0x7fff
	s_delay_alu instid0(VALU_DEP_1)
	v_lshrrev_b32_e32 v2, 16, v2
	global_store_b32 v[0:1], v2, off
	s_branch .LBB118_1096
.LBB118_1091:
	s_mov_b32 s31, -1
	s_mov_b32 s33, 0
	s_mov_b32 s0, s23
	s_branch .LBB118_1165
.LBB118_1092:
	s_mov_b32 s33, 0
	s_mov_b32 s0, s23
	s_branch .LBB118_1123
.LBB118_1093:
	s_mov_b32 s33, 0
	s_mov_b32 s0, s23
	s_branch .LBB118_1106
.LBB118_1094:
	s_mov_b32 s33, 0
	s_mov_b32 s0, s23
	s_branch .LBB118_1102
.LBB118_1095:
	s_mov_b32 s33, 0
	s_mov_b32 s0, s23
.LBB118_1096:
	s_and_b32 vcc_lo, exec_lo, s34
	s_cbranch_vccz .LBB118_1101
; %bb.1097:
	s_cmp_eq_u32 s31, 44
	s_mov_b32 s0, -1
	s_cbranch_scc0 .LBB118_1101
; %bb.1098:
	v_cndmask_b32_e64 v4, 0, 1.0, s29
	s_mov_b32 s33, exec_lo
	s_wait_xcnt 0x0
	s_delay_alu instid0(VALU_DEP_1) | instskip(NEXT) | instid1(VALU_DEP_1)
	v_dual_mov_b32 v3, 0xff :: v_dual_lshrrev_b32 v2, 23, v4
	v_cmpx_ne_u32_e32 0xff, v2
; %bb.1099:
	v_and_b32_e32 v3, 0x400000, v4
	v_and_or_b32 v4, 0x3fffff, v4, v2
	s_delay_alu instid0(VALU_DEP_2) | instskip(NEXT) | instid1(VALU_DEP_2)
	v_cmp_ne_u32_e32 vcc_lo, 0, v3
	v_cmp_ne_u32_e64 s0, 0, v4
	s_and_b32 s0, vcc_lo, s0
	s_delay_alu instid0(SALU_CYCLE_1) | instskip(NEXT) | instid1(VALU_DEP_1)
	v_cndmask_b32_e64 v3, 0, 1, s0
	v_add_nc_u32_e32 v3, v2, v3
; %bb.1100:
	s_or_b32 exec_lo, exec_lo, s33
	s_mov_b32 s33, -1
	s_mov_b32 s0, 0
	global_store_b8 v[0:1], v3, off
.LBB118_1101:
	s_mov_b32 s34, 0
.LBB118_1102:
	s_delay_alu instid0(SALU_CYCLE_1)
	s_and_b32 vcc_lo, exec_lo, s34
	s_cbranch_vccz .LBB118_1105
; %bb.1103:
	s_cmp_eq_u32 s31, 29
	s_mov_b32 s0, -1
	s_cbranch_scc0 .LBB118_1105
; %bb.1104:
	s_mov_b32 s0, 0
	s_wait_xcnt 0x0
	v_cndmask_b32_e64 v2, 0, 1, s29
	v_mov_b32_e32 v3, s0
	s_mov_b32 s33, -1
	s_mov_b32 s34, 0
	global_store_b64 v[0:1], v[2:3], off
	s_branch .LBB118_1106
.LBB118_1105:
	s_mov_b32 s34, 0
.LBB118_1106:
	s_delay_alu instid0(SALU_CYCLE_1)
	s_and_b32 vcc_lo, exec_lo, s34
	s_cbranch_vccz .LBB118_1122
; %bb.1107:
	s_cmp_lt_i32 s31, 27
	s_mov_b32 s33, -1
	s_cbranch_scc1 .LBB118_1113
; %bb.1108:
	s_cmp_gt_i32 s31, 27
	s_cbranch_scc0 .LBB118_1110
; %bb.1109:
	s_wait_xcnt 0x0
	v_cndmask_b32_e64 v2, 0, 1, s29
	s_mov_b32 s33, 0
	global_store_b32 v[0:1], v2, off
.LBB118_1110:
	s_and_not1_b32 vcc_lo, exec_lo, s33
	s_cbranch_vccnz .LBB118_1112
; %bb.1111:
	s_wait_xcnt 0x0
	v_cndmask_b32_e64 v2, 0, 1, s29
	global_store_b16 v[0:1], v2, off
.LBB118_1112:
	s_mov_b32 s33, 0
.LBB118_1113:
	s_delay_alu instid0(SALU_CYCLE_1)
	s_and_not1_b32 vcc_lo, exec_lo, s33
	s_cbranch_vccnz .LBB118_1121
; %bb.1114:
	s_wait_xcnt 0x0
	v_cndmask_b32_e64 v3, 0, 1.0, s29
	v_mov_b32_e32 v4, 0x80
	s_mov_b32 s33, exec_lo
	s_delay_alu instid0(VALU_DEP_2)
	v_cmpx_gt_u32_e32 0x43800000, v3
	s_cbranch_execz .LBB118_1120
; %bb.1115:
	s_mov_b32 s34, 0
	s_mov_b32 s35, exec_lo
                                        ; implicit-def: $vgpr2
	v_cmpx_lt_u32_e32 0x3bffffff, v3
	s_xor_b32 s35, exec_lo, s35
	s_cbranch_execz .LBB118_1223
; %bb.1116:
	v_bfe_u32 v2, v3, 20, 1
	s_mov_b32 s34, exec_lo
	s_delay_alu instid0(VALU_DEP_1) | instskip(NEXT) | instid1(VALU_DEP_1)
	v_add3_u32 v2, v3, v2, 0x487ffff
                                        ; implicit-def: $vgpr3
	v_lshrrev_b32_e32 v2, 20, v2
	s_and_not1_saveexec_b32 s35, s35
	s_cbranch_execnz .LBB118_1224
.LBB118_1117:
	s_or_b32 exec_lo, exec_lo, s35
	v_mov_b32_e32 v4, 0
	s_and_saveexec_b32 s35, s34
.LBB118_1118:
	v_mov_b32_e32 v4, v2
.LBB118_1119:
	s_or_b32 exec_lo, exec_lo, s35
.LBB118_1120:
	s_delay_alu instid0(SALU_CYCLE_1)
	s_or_b32 exec_lo, exec_lo, s33
	global_store_b8 v[0:1], v4, off
.LBB118_1121:
	s_mov_b32 s33, -1
.LBB118_1122:
	s_mov_b32 s34, 0
.LBB118_1123:
	s_delay_alu instid0(SALU_CYCLE_1)
	s_and_b32 vcc_lo, exec_lo, s34
	s_cbranch_vccz .LBB118_1164
; %bb.1124:
	s_cmp_gt_i32 s31, 22
	s_mov_b32 s34, -1
	s_cbranch_scc0 .LBB118_1156
; %bb.1125:
	s_cmp_lt_i32 s31, 24
	s_mov_b32 s33, -1
	s_cbranch_scc1 .LBB118_1145
; %bb.1126:
	s_cmp_gt_i32 s31, 24
	s_cbranch_scc0 .LBB118_1134
; %bb.1127:
	s_wait_xcnt 0x0
	v_cndmask_b32_e64 v3, 0, 1.0, s29
	v_mov_b32_e32 v4, 0x80
	s_mov_b32 s33, exec_lo
	s_delay_alu instid0(VALU_DEP_2)
	v_cmpx_gt_u32_e32 0x47800000, v3
	s_cbranch_execz .LBB118_1133
; %bb.1128:
	s_mov_b32 s34, 0
	s_mov_b32 s35, exec_lo
                                        ; implicit-def: $vgpr2
	v_cmpx_lt_u32_e32 0x37ffffff, v3
	s_xor_b32 s35, exec_lo, s35
	s_cbranch_execz .LBB118_2298
; %bb.1129:
	v_bfe_u32 v2, v3, 21, 1
	s_mov_b32 s34, exec_lo
	s_delay_alu instid0(VALU_DEP_1) | instskip(NEXT) | instid1(VALU_DEP_1)
	v_add3_u32 v2, v3, v2, 0x88fffff
                                        ; implicit-def: $vgpr3
	v_lshrrev_b32_e32 v2, 21, v2
	s_and_not1_saveexec_b32 s35, s35
	s_cbranch_execnz .LBB118_2299
.LBB118_1130:
	s_or_b32 exec_lo, exec_lo, s35
	v_mov_b32_e32 v4, 0
	s_and_saveexec_b32 s35, s34
.LBB118_1131:
	v_mov_b32_e32 v4, v2
.LBB118_1132:
	s_or_b32 exec_lo, exec_lo, s35
.LBB118_1133:
	s_delay_alu instid0(SALU_CYCLE_1)
	s_or_b32 exec_lo, exec_lo, s33
	s_mov_b32 s33, 0
	global_store_b8 v[0:1], v4, off
.LBB118_1134:
	s_and_b32 vcc_lo, exec_lo, s33
	s_cbranch_vccz .LBB118_1144
; %bb.1135:
	s_wait_xcnt 0x0
	v_cndmask_b32_e64 v3, 0, 1.0, s29
	s_mov_b32 s33, exec_lo
                                        ; implicit-def: $vgpr2
	s_delay_alu instid0(VALU_DEP_1)
	v_cmpx_gt_u32_e32 0x43f00000, v3
	s_xor_b32 s33, exec_lo, s33
	s_cbranch_execz .LBB118_1141
; %bb.1136:
	s_mov_b32 s34, exec_lo
                                        ; implicit-def: $vgpr2
	v_cmpx_lt_u32_e32 0x3c7fffff, v3
	s_xor_b32 s34, exec_lo, s34
; %bb.1137:
	v_bfe_u32 v2, v3, 20, 1
	s_delay_alu instid0(VALU_DEP_1) | instskip(NEXT) | instid1(VALU_DEP_1)
	v_add3_u32 v2, v3, v2, 0x407ffff
	v_and_b32_e32 v3, 0xff00000, v2
	v_lshrrev_b32_e32 v2, 20, v2
	s_delay_alu instid0(VALU_DEP_2) | instskip(NEXT) | instid1(VALU_DEP_2)
	v_cmp_ne_u32_e32 vcc_lo, 0x7f00000, v3
                                        ; implicit-def: $vgpr3
	v_cndmask_b32_e32 v2, 0x7e, v2, vcc_lo
; %bb.1138:
	s_and_not1_saveexec_b32 s34, s34
; %bb.1139:
	v_add_f32_e32 v2, 0x46800000, v3
; %bb.1140:
	s_or_b32 exec_lo, exec_lo, s34
                                        ; implicit-def: $vgpr3
.LBB118_1141:
	s_and_not1_saveexec_b32 s33, s33
; %bb.1142:
	v_mov_b32_e32 v2, 0x7f
	v_cmp_lt_u32_e32 vcc_lo, 0x7f800000, v3
	s_delay_alu instid0(VALU_DEP_2)
	v_cndmask_b32_e32 v2, 0x7e, v2, vcc_lo
; %bb.1143:
	s_or_b32 exec_lo, exec_lo, s33
	global_store_b8 v[0:1], v2, off
.LBB118_1144:
	s_mov_b32 s33, 0
.LBB118_1145:
	s_delay_alu instid0(SALU_CYCLE_1)
	s_and_not1_b32 vcc_lo, exec_lo, s33
	s_cbranch_vccnz .LBB118_1155
; %bb.1146:
	s_wait_xcnt 0x0
	v_cndmask_b32_e64 v3, 0, 1.0, s29
	s_mov_b32 s33, exec_lo
                                        ; implicit-def: $vgpr2
	s_delay_alu instid0(VALU_DEP_1)
	v_cmpx_gt_u32_e32 0x47800000, v3
	s_xor_b32 s33, exec_lo, s33
	s_cbranch_execz .LBB118_1152
; %bb.1147:
	s_mov_b32 s34, exec_lo
                                        ; implicit-def: $vgpr2
	v_cmpx_lt_u32_e32 0x387fffff, v3
	s_xor_b32 s34, exec_lo, s34
; %bb.1148:
	v_bfe_u32 v2, v3, 21, 1
	s_delay_alu instid0(VALU_DEP_1) | instskip(NEXT) | instid1(VALU_DEP_1)
	v_add3_u32 v2, v3, v2, 0x80fffff
                                        ; implicit-def: $vgpr3
	v_lshrrev_b32_e32 v2, 21, v2
; %bb.1149:
	s_and_not1_saveexec_b32 s34, s34
; %bb.1150:
	v_add_f32_e32 v2, 0x43000000, v3
; %bb.1151:
	s_or_b32 exec_lo, exec_lo, s34
                                        ; implicit-def: $vgpr3
.LBB118_1152:
	s_and_not1_saveexec_b32 s33, s33
; %bb.1153:
	v_mov_b32_e32 v2, 0x7f
	v_cmp_lt_u32_e32 vcc_lo, 0x7f800000, v3
	s_delay_alu instid0(VALU_DEP_2)
	v_cndmask_b32_e32 v2, 0x7c, v2, vcc_lo
; %bb.1154:
	s_or_b32 exec_lo, exec_lo, s33
	global_store_b8 v[0:1], v2, off
.LBB118_1155:
	s_mov_b32 s34, 0
	s_mov_b32 s33, -1
.LBB118_1156:
	s_and_not1_b32 vcc_lo, exec_lo, s34
	s_cbranch_vccnz .LBB118_1164
; %bb.1157:
	s_cmp_gt_i32 s31, 14
	s_mov_b32 s34, -1
	s_cbranch_scc0 .LBB118_1161
; %bb.1158:
	s_cmp_eq_u32 s31, 15
	s_mov_b32 s0, -1
	s_cbranch_scc0 .LBB118_1160
; %bb.1159:
	s_wait_xcnt 0x0
	v_cndmask_b32_e64 v2, 0, 1.0, s29
	s_mov_b32 s33, -1
	s_mov_b32 s0, 0
	s_delay_alu instid0(VALU_DEP_1) | instskip(NEXT) | instid1(VALU_DEP_1)
	v_bfe_u32 v3, v2, 16, 1
	v_add3_u32 v2, v2, v3, 0x7fff
	global_store_d16_hi_b16 v[0:1], v2, off
.LBB118_1160:
	s_mov_b32 s34, 0
.LBB118_1161:
	s_delay_alu instid0(SALU_CYCLE_1)
	s_and_b32 vcc_lo, exec_lo, s34
	s_cbranch_vccz .LBB118_1164
; %bb.1162:
	s_cmp_eq_u32 s31, 11
	s_mov_b32 s0, -1
	s_cbranch_scc0 .LBB118_1164
; %bb.1163:
	s_wait_xcnt 0x0
	v_cndmask_b32_e64 v2, 0, 1, s29
	s_mov_b32 s33, -1
	s_mov_b32 s0, 0
	global_store_b8 v[0:1], v2, off
.LBB118_1164:
	s_mov_b32 s31, 0
.LBB118_1165:
	s_delay_alu instid0(SALU_CYCLE_1)
	s_and_b32 vcc_lo, exec_lo, s31
	s_cbranch_vccz .LBB118_1204
; %bb.1166:
	s_and_b32 s30, 0xffff, s30
	s_mov_b32 s31, -1
	s_cmp_lt_i32 s30, 5
	s_cbranch_scc1 .LBB118_1187
; %bb.1167:
	s_cmp_lt_i32 s30, 8
	s_cbranch_scc1 .LBB118_1177
; %bb.1168:
	;; [unrolled: 3-line block ×3, first 2 shown]
	s_cmp_gt_i32 s30, 9
	s_cbranch_scc0 .LBB118_1171
; %bb.1170:
	s_wait_xcnt 0x0
	v_cndmask_b32_e64 v2, 0, 1, s29
	v_mov_b32_e32 v4, 0
	s_mov_b32 s31, 0
	s_delay_alu instid0(VALU_DEP_2) | instskip(NEXT) | instid1(VALU_DEP_2)
	v_cvt_f64_u32_e32 v[2:3], v2
	v_mov_b32_e32 v5, v4
	global_store_b128 v[0:1], v[2:5], off
.LBB118_1171:
	s_and_not1_b32 vcc_lo, exec_lo, s31
	s_cbranch_vccnz .LBB118_1173
; %bb.1172:
	s_wait_xcnt 0x0
	v_cndmask_b32_e64 v2, 0, 1.0, s29
	v_mov_b32_e32 v3, 0
	global_store_b64 v[0:1], v[2:3], off
.LBB118_1173:
	s_mov_b32 s31, 0
.LBB118_1174:
	s_delay_alu instid0(SALU_CYCLE_1)
	s_and_not1_b32 vcc_lo, exec_lo, s31
	s_cbranch_vccnz .LBB118_1176
; %bb.1175:
	s_wait_xcnt 0x0
	v_cndmask_b32_e64 v2, 0, 1.0, s29
	s_delay_alu instid0(VALU_DEP_1) | instskip(NEXT) | instid1(VALU_DEP_1)
	v_cvt_f16_f32_e32 v2, v2
	v_and_b32_e32 v2, 0xffff, v2
	global_store_b32 v[0:1], v2, off
.LBB118_1176:
	s_mov_b32 s31, 0
.LBB118_1177:
	s_delay_alu instid0(SALU_CYCLE_1)
	s_and_not1_b32 vcc_lo, exec_lo, s31
	s_cbranch_vccnz .LBB118_1186
; %bb.1178:
	s_cmp_lt_i32 s30, 6
	s_mov_b32 s31, -1
	s_cbranch_scc1 .LBB118_1184
; %bb.1179:
	s_cmp_gt_i32 s30, 6
	s_cbranch_scc0 .LBB118_1181
; %bb.1180:
	s_wait_xcnt 0x0
	v_cndmask_b32_e64 v2, 0, 1, s29
	s_mov_b32 s31, 0
	s_delay_alu instid0(VALU_DEP_1)
	v_cvt_f64_u32_e32 v[2:3], v2
	global_store_b64 v[0:1], v[2:3], off
.LBB118_1181:
	s_and_not1_b32 vcc_lo, exec_lo, s31
	s_cbranch_vccnz .LBB118_1183
; %bb.1182:
	s_wait_xcnt 0x0
	v_cndmask_b32_e64 v2, 0, 1.0, s29
	global_store_b32 v[0:1], v2, off
.LBB118_1183:
	s_mov_b32 s31, 0
.LBB118_1184:
	s_delay_alu instid0(SALU_CYCLE_1)
	s_and_not1_b32 vcc_lo, exec_lo, s31
	s_cbranch_vccnz .LBB118_1186
; %bb.1185:
	s_wait_xcnt 0x0
	v_cndmask_b32_e64 v2, 0, 1.0, s29
	s_delay_alu instid0(VALU_DEP_1)
	v_cvt_f16_f32_e32 v2, v2
	global_store_b16 v[0:1], v2, off
.LBB118_1186:
	s_mov_b32 s31, 0
.LBB118_1187:
	s_delay_alu instid0(SALU_CYCLE_1)
	s_and_not1_b32 vcc_lo, exec_lo, s31
	s_cbranch_vccnz .LBB118_1203
; %bb.1188:
	s_cmp_lt_i32 s30, 2
	s_mov_b32 s31, -1
	s_cbranch_scc1 .LBB118_1198
; %bb.1189:
	s_cmp_lt_i32 s30, 3
	s_cbranch_scc1 .LBB118_1195
; %bb.1190:
	s_cmp_gt_i32 s30, 3
	s_cbranch_scc0 .LBB118_1192
; %bb.1191:
	s_mov_b32 s31, 0
	s_wait_xcnt 0x0
	v_cndmask_b32_e64 v2, 0, 1, s29
	v_mov_b32_e32 v3, s31
	global_store_b64 v[0:1], v[2:3], off
.LBB118_1192:
	s_and_not1_b32 vcc_lo, exec_lo, s31
	s_cbranch_vccnz .LBB118_1194
; %bb.1193:
	s_wait_xcnt 0x0
	v_cndmask_b32_e64 v2, 0, 1, s29
	global_store_b32 v[0:1], v2, off
.LBB118_1194:
	s_mov_b32 s31, 0
.LBB118_1195:
	s_delay_alu instid0(SALU_CYCLE_1)
	s_and_not1_b32 vcc_lo, exec_lo, s31
	s_cbranch_vccnz .LBB118_1197
; %bb.1196:
	s_wait_xcnt 0x0
	v_cndmask_b32_e64 v2, 0, 1, s29
	global_store_b16 v[0:1], v2, off
.LBB118_1197:
	s_mov_b32 s31, 0
.LBB118_1198:
	s_delay_alu instid0(SALU_CYCLE_1)
	s_and_not1_b32 vcc_lo, exec_lo, s31
	s_cbranch_vccnz .LBB118_1203
; %bb.1199:
	s_wait_xcnt 0x0
	v_cndmask_b32_e64 v2, 0, 1, s29
	s_cmp_gt_i32 s30, 0
	s_mov_b32 s29, -1
	s_cbranch_scc0 .LBB118_1201
; %bb.1200:
	s_mov_b32 s29, 0
	global_store_b8 v[0:1], v2, off
.LBB118_1201:
	s_and_not1_b32 vcc_lo, exec_lo, s29
	s_cbranch_vccnz .LBB118_1203
; %bb.1202:
	global_store_b8 v[0:1], v2, off
.LBB118_1203:
	s_mov_b32 s33, -1
.LBB118_1204:
	s_delay_alu instid0(SALU_CYCLE_1)
	s_and_not1_b32 vcc_lo, exec_lo, s33
	s_cbranch_vccnz .LBB118_1206
; %bb.1205:
	v_add_nc_u32_e32 v14, 0x80, v14
	s_mov_b32 s30, -1
	s_branch .LBB118_1208
.LBB118_1206:
	s_mov_b32 s30, 0
.LBB118_1207:
                                        ; implicit-def: $vgpr14
.LBB118_1208:
	s_and_not1_b32 s29, s23, exec_lo
	s_and_b32 s0, s0, exec_lo
	s_and_b32 s28, s28, exec_lo
	s_or_b32 s29, s29, s0
	s_and_not1_b32 s0, s24, exec_lo
	s_and_not1_b32 s31, s22, exec_lo
	s_and_b32 s27, s27, exec_lo
	s_or_b32 s28, s0, s28
	s_or_b32 s27, s31, s27
	s_or_not1_b32 s34, s30, exec_lo
.LBB118_1209:
	s_wait_xcnt 0x0
	s_or_b32 exec_lo, exec_lo, s26
	s_mov_b32 s30, 0
	s_mov_b32 s31, 0
	;; [unrolled: 1-line block ×3, first 2 shown]
                                        ; implicit-def: $sgpr0
                                        ; implicit-def: $vgpr4_vgpr5
                                        ; implicit-def: $vgpr2_vgpr3
	s_and_saveexec_b32 s26, s34
	s_cbranch_execz .LBB118_1295
; %bb.1210:
	v_cmp_gt_i32_e32 vcc_lo, s17, v14
	s_mov_b32 s35, s27
	s_mov_b32 s34, 0
	;; [unrolled: 1-line block ×3, first 2 shown]
                                        ; implicit-def: $sgpr0
                                        ; implicit-def: $vgpr4_vgpr5
                                        ; implicit-def: $vgpr2_vgpr3
	s_and_saveexec_b32 s17, vcc_lo
	s_cbranch_execz .LBB118_1294
; %bb.1211:
	s_wait_loadcnt 0x0
	v_mul_lo_u32 v0, v14, s9
	s_and_b32 s0, s14, 0xff
	s_delay_alu instid0(SALU_CYCLE_1) | instskip(NEXT) | instid1(VALU_DEP_1)
	s_cmp_lt_i32 s0, 11
	v_ashrrev_i32_e32 v1, 31, v0
	s_delay_alu instid0(VALU_DEP_1)
	v_add_nc_u64_e32 v[4:5], s[6:7], v[0:1]
	s_cbranch_scc1 .LBB118_1218
; %bb.1212:
	s_and_b32 s30, 0xffff, s0
	s_delay_alu instid0(SALU_CYCLE_1)
	s_cmp_gt_i32 s30, 25
	s_cbranch_scc0 .LBB118_1219
; %bb.1213:
	s_cmp_gt_i32 s30, 28
	s_cbranch_scc0 .LBB118_1220
; %bb.1214:
	;; [unrolled: 3-line block ×4, first 2 shown]
	s_cmp_eq_u32 s30, 46
	s_mov_b32 s35, 0
	s_cbranch_scc0 .LBB118_1225
; %bb.1217:
	global_load_b32 v0, v[4:5], off
	s_mov_b32 s34, -1
	s_wait_loadcnt 0x0
	v_lshlrev_b32_e32 v1, 16, v0
	v_and_b32_e32 v2, 0xffff0000, v0
	s_delay_alu instid0(VALU_DEP_2) | instskip(NEXT) | instid1(VALU_DEP_2)
	v_cvt_f64_f32_e32 v[0:1], v1
	v_cvt_f64_f32_e32 v[2:3], v2
	s_branch .LBB118_1227
.LBB118_1218:
	s_mov_b32 s30, -1
	s_mov_b32 s31, s27
                                        ; implicit-def: $vgpr2_vgpr3
	s_branch .LBB118_1293
.LBB118_1219:
	s_mov_b32 s35, -1
	s_mov_b32 s31, s27
                                        ; implicit-def: $vgpr2_vgpr3
	s_branch .LBB118_1258
.LBB118_1220:
	s_mov_b32 s35, -1
	s_mov_b32 s31, s27
                                        ; implicit-def: $vgpr2_vgpr3
	s_branch .LBB118_1239
.LBB118_1221:
	s_mov_b32 s35, -1
	s_mov_b32 s31, s27
                                        ; implicit-def: $vgpr2_vgpr3
	s_branch .LBB118_1233
.LBB118_1222:
	s_mov_b32 s35, -1
	s_mov_b32 s31, s27
	s_branch .LBB118_1226
.LBB118_1223:
	s_and_not1_saveexec_b32 s35, s35
	s_cbranch_execz .LBB118_1117
.LBB118_1224:
	v_add_f32_e32 v2, 0x46000000, v3
	s_and_not1_b32 s34, s34, exec_lo
	s_delay_alu instid0(VALU_DEP_1) | instskip(NEXT) | instid1(VALU_DEP_1)
	v_and_b32_e32 v2, 0xff, v2
	v_cmp_ne_u32_e32 vcc_lo, 0, v2
	s_and_b32 s36, vcc_lo, exec_lo
	s_delay_alu instid0(SALU_CYCLE_1)
	s_or_b32 s34, s34, s36
	s_or_b32 exec_lo, exec_lo, s35
	v_mov_b32_e32 v4, 0
	s_and_saveexec_b32 s35, s34
	s_cbranch_execnz .LBB118_1118
	s_branch .LBB118_1119
.LBB118_1225:
	s_mov_b32 s31, -1
.LBB118_1226:
                                        ; implicit-def: $vgpr2_vgpr3
.LBB118_1227:
	s_and_b32 vcc_lo, exec_lo, s35
	s_cbranch_vccz .LBB118_1232
; %bb.1228:
	s_cmp_eq_u32 s30, 44
	s_cbranch_scc0 .LBB118_1230
; %bb.1229:
	global_load_u8 v2, v[4:5], off
	s_mov_b32 s31, 0
	s_mov_b32 s34, -1
	s_wait_loadcnt 0x0
	v_cmp_ne_u32_e32 vcc_lo, 0xff, v2
	v_lshlrev_b32_e32 v0, 23, v2
	s_delay_alu instid0(VALU_DEP_1) | instskip(NEXT) | instid1(VALU_DEP_1)
	v_cvt_f64_f32_e32 v[0:1], v0
	v_cndmask_b32_e32 v0, 0x20000000, v0, vcc_lo
	s_delay_alu instid0(VALU_DEP_2) | instskip(SKIP_1) | instid1(VALU_DEP_2)
	v_cndmask_b32_e32 v1, 0x7ff80000, v1, vcc_lo
	v_cmp_ne_u32_e32 vcc_lo, 0, v2
	v_cndmask_b32_e32 v1, 0x38000000, v1, vcc_lo
	s_delay_alu instid0(VALU_DEP_4)
	v_cndmask_b32_e32 v0, 0, v0, vcc_lo
	s_branch .LBB118_1231
.LBB118_1230:
	s_mov_b32 s31, -1
                                        ; implicit-def: $vgpr0_vgpr1
.LBB118_1231:
	v_mov_b64_e32 v[2:3], 0
.LBB118_1232:
	s_mov_b32 s35, 0
.LBB118_1233:
	s_delay_alu instid0(SALU_CYCLE_1)
	s_and_b32 vcc_lo, exec_lo, s35
	s_cbranch_vccz .LBB118_1238
; %bb.1234:
	s_cmp_eq_u32 s30, 29
	s_cbranch_scc0 .LBB118_1236
; %bb.1235:
	global_load_b64 v[0:1], v[4:5], off
	s_mov_b32 s31, 0
	s_mov_b32 s34, -1
	s_wait_loadcnt 0x0
	v_cvt_f64_u32_e32 v[2:3], v1
	v_cvt_f64_u32_e32 v[0:1], v0
	s_delay_alu instid0(VALU_DEP_2) | instskip(NEXT) | instid1(VALU_DEP_1)
	v_ldexp_f64 v[2:3], v[2:3], 32
	v_add_f64_e32 v[0:1], v[2:3], v[0:1]
	s_branch .LBB118_1237
.LBB118_1236:
	s_mov_b32 s31, -1
                                        ; implicit-def: $vgpr0_vgpr1
.LBB118_1237:
	v_mov_b64_e32 v[2:3], 0
.LBB118_1238:
	s_mov_b32 s35, 0
.LBB118_1239:
	s_delay_alu instid0(SALU_CYCLE_1)
	s_and_b32 vcc_lo, exec_lo, s35
	s_cbranch_vccz .LBB118_1257
; %bb.1240:
	s_cmp_lt_i32 s30, 27
	s_cbranch_scc1 .LBB118_1243
; %bb.1241:
	s_cmp_gt_i32 s30, 27
	s_cbranch_scc0 .LBB118_1244
; %bb.1242:
	global_load_b32 v0, v[4:5], off
	s_mov_b32 s34, 0
	s_wait_loadcnt 0x0
	v_cvt_f64_u32_e32 v[0:1], v0
	s_branch .LBB118_1245
.LBB118_1243:
	s_mov_b32 s34, -1
                                        ; implicit-def: $vgpr0_vgpr1
	s_branch .LBB118_1248
.LBB118_1244:
	s_mov_b32 s34, -1
                                        ; implicit-def: $vgpr0_vgpr1
.LBB118_1245:
	s_delay_alu instid0(SALU_CYCLE_1)
	s_and_not1_b32 vcc_lo, exec_lo, s34
	s_cbranch_vccnz .LBB118_1247
; %bb.1246:
	global_load_u16 v0, v[4:5], off
	s_wait_loadcnt 0x0
	v_cvt_f64_u32_e32 v[0:1], v0
.LBB118_1247:
	s_mov_b32 s34, 0
.LBB118_1248:
	s_delay_alu instid0(SALU_CYCLE_1)
	s_and_not1_b32 vcc_lo, exec_lo, s34
	s_cbranch_vccnz .LBB118_1256
; %bb.1249:
	global_load_u8 v2, v[4:5], off
	s_mov_b32 s34, 0
	s_mov_b32 s35, exec_lo
	s_wait_loadcnt 0x0
	v_cmpx_lt_i16_e32 0x7f, v2
	s_xor_b32 s35, exec_lo, s35
	s_cbranch_execz .LBB118_1270
; %bb.1250:
	s_mov_b32 s34, -1
	s_mov_b32 s36, exec_lo
	v_cmpx_eq_u16_e32 0x80, v2
; %bb.1251:
	s_xor_b32 s34, exec_lo, -1
; %bb.1252:
	s_or_b32 exec_lo, exec_lo, s36
	s_delay_alu instid0(SALU_CYCLE_1)
	s_and_b32 s34, s34, exec_lo
	s_or_saveexec_b32 s35, s35
	v_mov_b64_e32 v[0:1], 0x7ff8000020000000
	s_xor_b32 exec_lo, exec_lo, s35
	s_cbranch_execnz .LBB118_1271
.LBB118_1253:
	s_or_b32 exec_lo, exec_lo, s35
	s_and_saveexec_b32 s35, s34
	s_cbranch_execz .LBB118_1255
.LBB118_1254:
	v_and_b32_e32 v0, 0xffff, v2
	s_delay_alu instid0(VALU_DEP_1) | instskip(SKIP_1) | instid1(VALU_DEP_2)
	v_and_b32_e32 v1, 7, v0
	v_bfe_u32 v7, v0, 3, 4
	v_clz_i32_u32_e32 v3, v1
	s_delay_alu instid0(VALU_DEP_2) | instskip(NEXT) | instid1(VALU_DEP_2)
	v_cmp_eq_u32_e32 vcc_lo, 0, v7
	v_min_u32_e32 v3, 32, v3
	s_delay_alu instid0(VALU_DEP_1) | instskip(NEXT) | instid1(VALU_DEP_1)
	v_subrev_nc_u32_e32 v6, 28, v3
	v_dual_lshlrev_b32 v0, v6, v0 :: v_dual_sub_nc_u32 v3, 29, v3
	s_delay_alu instid0(VALU_DEP_1) | instskip(NEXT) | instid1(VALU_DEP_1)
	v_dual_lshlrev_b32 v2, 24, v2 :: v_dual_bitop2_b32 v0, 7, v0 bitop3:0x40
	v_dual_cndmask_b32 v3, v7, v3 :: v_dual_cndmask_b32 v0, v1, v0
	s_delay_alu instid0(VALU_DEP_2) | instskip(NEXT) | instid1(VALU_DEP_2)
	v_and_b32_e32 v1, 0x80000000, v2
	v_lshl_add_u32 v2, v3, 23, 0x3b800000
	s_delay_alu instid0(VALU_DEP_3) | instskip(NEXT) | instid1(VALU_DEP_1)
	v_lshlrev_b32_e32 v0, 20, v0
	v_or3_b32 v0, v1, v2, v0
	s_delay_alu instid0(VALU_DEP_1)
	v_cvt_f64_f32_e32 v[0:1], v0
.LBB118_1255:
	s_or_b32 exec_lo, exec_lo, s35
.LBB118_1256:
	v_mov_b64_e32 v[2:3], 0
	s_mov_b32 s34, -1
.LBB118_1257:
	s_mov_b32 s35, 0
.LBB118_1258:
	s_delay_alu instid0(SALU_CYCLE_1)
	s_and_b32 vcc_lo, exec_lo, s35
	s_cbranch_vccz .LBB118_1292
; %bb.1259:
	s_cmp_gt_i32 s30, 22
	s_cbranch_scc0 .LBB118_1269
; %bb.1260:
	s_cmp_lt_i32 s30, 24
	s_cbranch_scc1 .LBB118_1272
; %bb.1261:
	s_cmp_gt_i32 s30, 24
	s_cbranch_scc0 .LBB118_1273
; %bb.1262:
	global_load_u8 v2, v[4:5], off
	s_mov_b32 s34, exec_lo
	s_wait_loadcnt 0x0
	v_cmpx_lt_i16_e32 0x7f, v2
	s_xor_b32 s34, exec_lo, s34
	s_cbranch_execz .LBB118_1285
; %bb.1263:
	s_mov_b32 s33, -1
	s_mov_b32 s35, exec_lo
	v_cmpx_eq_u16_e32 0x80, v2
; %bb.1264:
	s_xor_b32 s33, exec_lo, -1
; %bb.1265:
	s_or_b32 exec_lo, exec_lo, s35
	s_delay_alu instid0(SALU_CYCLE_1)
	s_and_b32 s33, s33, exec_lo
	s_or_saveexec_b32 s34, s34
	v_mov_b64_e32 v[0:1], 0x7ff8000020000000
	s_xor_b32 exec_lo, exec_lo, s34
	s_cbranch_execnz .LBB118_1286
.LBB118_1266:
	s_or_b32 exec_lo, exec_lo, s34
	s_and_saveexec_b32 s34, s33
	s_cbranch_execz .LBB118_1268
.LBB118_1267:
	v_and_b32_e32 v0, 0xffff, v2
	s_delay_alu instid0(VALU_DEP_1) | instskip(SKIP_1) | instid1(VALU_DEP_2)
	v_and_b32_e32 v1, 3, v0
	v_bfe_u32 v7, v0, 2, 5
	v_clz_i32_u32_e32 v3, v1
	s_delay_alu instid0(VALU_DEP_2) | instskip(NEXT) | instid1(VALU_DEP_2)
	v_cmp_eq_u32_e32 vcc_lo, 0, v7
	v_min_u32_e32 v3, 32, v3
	s_delay_alu instid0(VALU_DEP_1) | instskip(NEXT) | instid1(VALU_DEP_1)
	v_subrev_nc_u32_e32 v6, 29, v3
	v_dual_lshlrev_b32 v0, v6, v0 :: v_dual_sub_nc_u32 v3, 30, v3
	s_delay_alu instid0(VALU_DEP_1) | instskip(NEXT) | instid1(VALU_DEP_1)
	v_dual_lshlrev_b32 v2, 24, v2 :: v_dual_bitop2_b32 v0, 3, v0 bitop3:0x40
	v_dual_cndmask_b32 v3, v7, v3 :: v_dual_cndmask_b32 v0, v1, v0
	s_delay_alu instid0(VALU_DEP_2) | instskip(NEXT) | instid1(VALU_DEP_2)
	v_and_b32_e32 v1, 0x80000000, v2
	v_lshl_add_u32 v2, v3, 23, 0x37800000
	s_delay_alu instid0(VALU_DEP_3) | instskip(NEXT) | instid1(VALU_DEP_1)
	v_lshlrev_b32_e32 v0, 21, v0
	v_or3_b32 v0, v1, v2, v0
	s_delay_alu instid0(VALU_DEP_1)
	v_cvt_f64_f32_e32 v[0:1], v0
.LBB118_1268:
	s_or_b32 exec_lo, exec_lo, s34
	s_mov_b32 s33, 0
	s_branch .LBB118_1274
.LBB118_1269:
	s_mov_b32 s33, -1
                                        ; implicit-def: $vgpr0_vgpr1
	s_branch .LBB118_1280
.LBB118_1270:
	s_or_saveexec_b32 s35, s35
	v_mov_b64_e32 v[0:1], 0x7ff8000020000000
	s_xor_b32 exec_lo, exec_lo, s35
	s_cbranch_execz .LBB118_1253
.LBB118_1271:
	v_cmp_ne_u16_e32 vcc_lo, 0, v2
	v_mov_b64_e32 v[0:1], 0
	s_and_not1_b32 s34, s34, exec_lo
	s_and_b32 s36, vcc_lo, exec_lo
	s_delay_alu instid0(SALU_CYCLE_1)
	s_or_b32 s34, s34, s36
	s_or_b32 exec_lo, exec_lo, s35
	s_and_saveexec_b32 s35, s34
	s_cbranch_execnz .LBB118_1254
	s_branch .LBB118_1255
.LBB118_1272:
	s_mov_b32 s33, -1
                                        ; implicit-def: $vgpr0_vgpr1
	s_branch .LBB118_1277
.LBB118_1273:
	s_mov_b32 s33, -1
                                        ; implicit-def: $vgpr0_vgpr1
.LBB118_1274:
	s_delay_alu instid0(SALU_CYCLE_1)
	s_and_b32 vcc_lo, exec_lo, s33
	s_cbranch_vccz .LBB118_1276
; %bb.1275:
	global_load_u8 v0, v[4:5], off
	s_wait_loadcnt 0x0
	v_lshlrev_b32_e32 v0, 24, v0
	s_delay_alu instid0(VALU_DEP_1) | instskip(NEXT) | instid1(VALU_DEP_1)
	v_and_b32_e32 v1, 0x7f000000, v0
	v_clz_i32_u32_e32 v2, v1
	v_cmp_ne_u32_e32 vcc_lo, 0, v1
	v_add_nc_u32_e32 v6, 0x1000000, v1
	s_delay_alu instid0(VALU_DEP_3) | instskip(NEXT) | instid1(VALU_DEP_1)
	v_min_u32_e32 v2, 32, v2
	v_sub_nc_u32_e64 v2, v2, 4 clamp
	s_delay_alu instid0(VALU_DEP_1) | instskip(NEXT) | instid1(VALU_DEP_1)
	v_dual_lshlrev_b32 v3, v2, v1 :: v_dual_lshlrev_b32 v2, 23, v2
	v_lshrrev_b32_e32 v3, 4, v3
	s_delay_alu instid0(VALU_DEP_1) | instskip(SKIP_1) | instid1(VALU_DEP_2)
	v_sub_nc_u32_e32 v2, v3, v2
	v_ashrrev_i32_e32 v3, 8, v6
	v_add_nc_u32_e32 v2, 0x3c000000, v2
	s_delay_alu instid0(VALU_DEP_1) | instskip(NEXT) | instid1(VALU_DEP_1)
	v_and_or_b32 v2, 0x7f800000, v3, v2
	v_cndmask_b32_e32 v1, 0, v2, vcc_lo
	s_delay_alu instid0(VALU_DEP_1) | instskip(NEXT) | instid1(VALU_DEP_1)
	v_and_or_b32 v0, 0x80000000, v0, v1
	v_cvt_f64_f32_e32 v[0:1], v0
.LBB118_1276:
	s_mov_b32 s33, 0
.LBB118_1277:
	s_delay_alu instid0(SALU_CYCLE_1)
	s_and_not1_b32 vcc_lo, exec_lo, s33
	s_cbranch_vccnz .LBB118_1279
; %bb.1278:
	global_load_u8 v0, v[4:5], off
	s_wait_loadcnt 0x0
	v_lshlrev_b32_e32 v1, 25, v0
	v_lshlrev_b16 v0, 8, v0
	s_delay_alu instid0(VALU_DEP_1) | instskip(SKIP_1) | instid1(VALU_DEP_2)
	v_and_or_b32 v3, 0x7f00, v0, 0.5
	v_bfe_i32 v0, v0, 0, 16
	v_dual_add_f32 v3, -0.5, v3 :: v_dual_lshrrev_b32 v2, 4, v1
	v_cmp_gt_u32_e32 vcc_lo, 0x8000000, v1
	s_delay_alu instid0(VALU_DEP_2) | instskip(NEXT) | instid1(VALU_DEP_1)
	v_or_b32_e32 v2, 0x70000000, v2
	v_mul_f32_e32 v2, 0x7800000, v2
	s_delay_alu instid0(VALU_DEP_1) | instskip(NEXT) | instid1(VALU_DEP_1)
	v_cndmask_b32_e32 v1, v2, v3, vcc_lo
	v_and_or_b32 v0, 0x80000000, v0, v1
	s_delay_alu instid0(VALU_DEP_1)
	v_cvt_f64_f32_e32 v[0:1], v0
.LBB118_1279:
	s_mov_b32 s33, 0
	s_mov_b32 s34, -1
.LBB118_1280:
	s_and_not1_b32 vcc_lo, exec_lo, s33
	s_mov_b32 s33, 0
	s_cbranch_vccnz .LBB118_1291
; %bb.1281:
	s_cmp_gt_i32 s30, 14
	s_cbranch_scc0 .LBB118_1284
; %bb.1282:
	s_cmp_eq_u32 s30, 15
	s_cbranch_scc0 .LBB118_1287
; %bb.1283:
	global_load_u16 v0, v[4:5], off
	s_mov_b32 s31, 0
	s_mov_b32 s34, -1
	s_wait_loadcnt 0x0
	v_lshlrev_b32_e32 v0, 16, v0
	s_delay_alu instid0(VALU_DEP_1)
	v_cvt_f64_f32_e32 v[0:1], v0
	s_branch .LBB118_1289
.LBB118_1284:
	s_mov_b32 s33, -1
	s_branch .LBB118_1288
.LBB118_1285:
	s_or_saveexec_b32 s34, s34
	v_mov_b64_e32 v[0:1], 0x7ff8000020000000
	s_xor_b32 exec_lo, exec_lo, s34
	s_cbranch_execz .LBB118_1266
.LBB118_1286:
	v_cmp_ne_u16_e32 vcc_lo, 0, v2
	v_mov_b64_e32 v[0:1], 0
	s_and_not1_b32 s33, s33, exec_lo
	s_and_b32 s35, vcc_lo, exec_lo
	s_delay_alu instid0(SALU_CYCLE_1)
	s_or_b32 s33, s33, s35
	s_or_b32 exec_lo, exec_lo, s34
	s_and_saveexec_b32 s34, s33
	s_cbranch_execnz .LBB118_1267
	s_branch .LBB118_1268
.LBB118_1287:
	s_mov_b32 s31, -1
.LBB118_1288:
                                        ; implicit-def: $vgpr0_vgpr1
.LBB118_1289:
	s_and_b32 vcc_lo, exec_lo, s33
	s_mov_b32 s33, 0
	s_cbranch_vccz .LBB118_1291
; %bb.1290:
	s_cmp_lg_u32 s30, 11
	s_mov_b32 s33, -1
	s_cselect_b32 s30, -1, 0
	s_and_not1_b32 s31, s31, exec_lo
	s_and_b32 s30, s30, exec_lo
	s_delay_alu instid0(SALU_CYCLE_1)
	s_or_b32 s31, s31, s30
.LBB118_1291:
	v_mov_b64_e32 v[2:3], 0
.LBB118_1292:
	s_mov_b32 s30, 0
.LBB118_1293:
	s_and_not1_b32 s35, s27, exec_lo
	s_and_b32 s31, s31, exec_lo
	s_and_b32 s36, s34, exec_lo
	;; [unrolled: 1-line block ×4, first 2 shown]
	s_or_b32 s35, s35, s31
.LBB118_1294:
	s_wait_xcnt 0x0
	s_or_b32 exec_lo, exec_lo, s17
	s_delay_alu instid0(SALU_CYCLE_1)
	s_and_not1_b32 s17, s27, exec_lo
	s_and_b32 s27, s35, exec_lo
	s_and_b32 s33, s36, exec_lo
	;; [unrolled: 1-line block ×4, first 2 shown]
	s_or_b32 s27, s17, s27
.LBB118_1295:
	s_or_b32 exec_lo, exec_lo, s26
	s_delay_alu instid0(SALU_CYCLE_1)
	s_and_not1_b32 s17, s23, exec_lo
	s_and_b32 s23, s29, exec_lo
	s_and_not1_b32 s24, s24, exec_lo
	s_and_b32 s26, s28, exec_lo
	s_or_b32 s23, s17, s23
	s_and_not1_b32 s17, s22, exec_lo
	s_and_b32 s22, s27, exec_lo
	s_or_b32 s24, s24, s26
	s_and_b32 s29, s33, exec_lo
	s_and_b32 s28, s31, exec_lo
	;; [unrolled: 1-line block ×3, first 2 shown]
	s_or_b32 s22, s17, s22
.LBB118_1296:
	s_or_b32 exec_lo, exec_lo, s25
	s_delay_alu instid0(SALU_CYCLE_1)
	s_and_not1_b32 s17, s18, exec_lo
	s_and_b32 s18, s23, exec_lo
	s_and_not1_b32 s19, s19, exec_lo
	s_and_b32 s23, s24, exec_lo
	s_or_b32 s18, s17, s18
	s_and_not1_b32 s17, s20, exec_lo
	s_and_b32 s20, s22, exec_lo
	s_or_b32 s19, s19, s23
	s_and_b32 s23, s29, exec_lo
	s_and_b32 s24, s28, exec_lo
	;; [unrolled: 1-line block ×3, first 2 shown]
	s_or_b32 s20, s17, s20
	s_or_b32 exec_lo, exec_lo, s21
	s_mov_b32 s17, 0
	s_and_saveexec_b32 s21, s20
	s_cbranch_execz .LBB118_405
.LBB118_1297:
	s_mov_b32 s17, exec_lo
	s_and_not1_b32 s22, s22, exec_lo
	s_trap 2
	s_or_b32 exec_lo, exec_lo, s21
	s_and_saveexec_b32 s20, s22
	s_delay_alu instid0(SALU_CYCLE_1)
	s_xor_b32 s20, exec_lo, s20
	s_cbranch_execnz .LBB118_406
.LBB118_1298:
	s_or_b32 exec_lo, exec_lo, s20
	s_and_saveexec_b32 s20, s24
	s_cbranch_execz .LBB118_1346
.LBB118_1299:
	s_sext_i32_i16 s21, s0
	s_delay_alu instid0(SALU_CYCLE_1)
	s_cmp_lt_i32 s21, 5
	s_cbranch_scc1 .LBB118_1304
; %bb.1300:
	s_cmp_lt_i32 s21, 8
	s_cbranch_scc1 .LBB118_1305
; %bb.1301:
	;; [unrolled: 3-line block ×3, first 2 shown]
	s_cmp_gt_i32 s21, 9
	s_cbranch_scc0 .LBB118_1307
; %bb.1303:
	s_wait_loadcnt 0x0
	global_load_b128 v[0:3], v[4:5], off
	s_mov_b32 s21, 0
	s_branch .LBB118_1308
.LBB118_1304:
                                        ; implicit-def: $vgpr2_vgpr3
	s_branch .LBB118_1326
.LBB118_1305:
                                        ; implicit-def: $vgpr2_vgpr3
	s_branch .LBB118_1314
.LBB118_1306:
	s_mov_b32 s21, -1
                                        ; implicit-def: $vgpr2_vgpr3
	s_branch .LBB118_1311
.LBB118_1307:
	s_mov_b32 s21, -1
                                        ; implicit-def: $vgpr2_vgpr3
.LBB118_1308:
	s_delay_alu instid0(SALU_CYCLE_1)
	s_and_not1_b32 vcc_lo, exec_lo, s21
	s_cbranch_vccnz .LBB118_1310
; %bb.1309:
	s_wait_loadcnt 0x0
	global_load_b64 v[2:3], v[4:5], off
	s_wait_loadcnt 0x0
	v_cvt_f64_f32_e32 v[0:1], v2
	v_cvt_f64_f32_e32 v[2:3], v3
.LBB118_1310:
	s_mov_b32 s21, 0
.LBB118_1311:
	s_delay_alu instid0(SALU_CYCLE_1)
	s_and_not1_b32 vcc_lo, exec_lo, s21
	s_cbranch_vccnz .LBB118_1313
; %bb.1312:
	s_wait_loadcnt 0x0
	global_load_b32 v0, v[4:5], off
	s_wait_loadcnt 0x0
	v_lshrrev_b32_e32 v1, 16, v0
	v_cvt_f32_f16_e32 v0, v0
	s_delay_alu instid0(VALU_DEP_2) | instskip(NEXT) | instid1(VALU_DEP_2)
	v_cvt_f32_f16_e32 v2, v1
	v_cvt_f64_f32_e32 v[0:1], v0
	s_delay_alu instid0(VALU_DEP_2)
	v_cvt_f64_f32_e32 v[2:3], v2
.LBB118_1313:
	s_cbranch_execnz .LBB118_1325
.LBB118_1314:
	s_sext_i32_i16 s21, s0
	s_delay_alu instid0(SALU_CYCLE_1)
	s_cmp_lt_i32 s21, 6
	s_cbranch_scc1 .LBB118_1317
; %bb.1315:
	s_cmp_gt_i32 s21, 6
	s_cbranch_scc0 .LBB118_1318
; %bb.1316:
	s_wait_loadcnt 0x0
	global_load_b64 v[0:1], v[4:5], off
	s_mov_b32 s21, 0
	s_branch .LBB118_1319
.LBB118_1317:
	s_mov_b32 s21, -1
                                        ; implicit-def: $vgpr0_vgpr1
	s_branch .LBB118_1322
.LBB118_1318:
	s_mov_b32 s21, -1
                                        ; implicit-def: $vgpr0_vgpr1
.LBB118_1319:
	s_delay_alu instid0(SALU_CYCLE_1)
	s_and_not1_b32 vcc_lo, exec_lo, s21
	s_cbranch_vccnz .LBB118_1321
; %bb.1320:
	s_wait_loadcnt 0x0
	global_load_b32 v0, v[4:5], off
	s_wait_loadcnt 0x0
	v_cvt_f64_f32_e32 v[0:1], v0
.LBB118_1321:
	s_mov_b32 s21, 0
.LBB118_1322:
	s_delay_alu instid0(SALU_CYCLE_1)
	s_and_not1_b32 vcc_lo, exec_lo, s21
	s_cbranch_vccnz .LBB118_1324
; %bb.1323:
	s_wait_loadcnt 0x0
	global_load_u16 v0, v[4:5], off
	s_wait_loadcnt 0x0
	v_cvt_f32_f16_e32 v0, v0
	s_delay_alu instid0(VALU_DEP_1)
	v_cvt_f64_f32_e32 v[0:1], v0
.LBB118_1324:
	s_wait_loadcnt 0x0
	v_mov_b64_e32 v[2:3], 0
.LBB118_1325:
	s_cbranch_execnz .LBB118_1345
.LBB118_1326:
	s_sext_i32_i16 s21, s0
	s_delay_alu instid0(SALU_CYCLE_1)
	s_cmp_lt_i32 s21, 2
	s_cbranch_scc1 .LBB118_1330
; %bb.1327:
	s_cmp_lt_i32 s21, 3
	s_cbranch_scc1 .LBB118_1331
; %bb.1328:
	s_cmp_gt_i32 s21, 3
	s_cbranch_scc0 .LBB118_1332
; %bb.1329:
	s_wait_loadcnt 0x0
	global_load_b64 v[0:1], v[4:5], off
	s_mov_b32 s21, 0
	s_wait_loadcnt 0x0
	v_cvt_f64_i32_e32 v[2:3], v1
	v_cvt_f64_u32_e32 v[0:1], v0
	s_delay_alu instid0(VALU_DEP_2) | instskip(NEXT) | instid1(VALU_DEP_1)
	v_ldexp_f64 v[2:3], v[2:3], 32
	v_add_f64_e32 v[0:1], v[2:3], v[0:1]
	s_branch .LBB118_1333
.LBB118_1330:
                                        ; implicit-def: $vgpr0_vgpr1
	s_branch .LBB118_1339
.LBB118_1331:
	s_mov_b32 s21, -1
                                        ; implicit-def: $vgpr0_vgpr1
	s_branch .LBB118_1336
.LBB118_1332:
	s_mov_b32 s21, -1
                                        ; implicit-def: $vgpr0_vgpr1
.LBB118_1333:
	s_delay_alu instid0(SALU_CYCLE_1)
	s_and_not1_b32 vcc_lo, exec_lo, s21
	s_cbranch_vccnz .LBB118_1335
; %bb.1334:
	s_wait_loadcnt 0x0
	global_load_b32 v0, v[4:5], off
	s_wait_loadcnt 0x0
	v_cvt_f64_i32_e32 v[0:1], v0
.LBB118_1335:
	s_mov_b32 s21, 0
.LBB118_1336:
	s_delay_alu instid0(SALU_CYCLE_1)
	s_and_not1_b32 vcc_lo, exec_lo, s21
	s_cbranch_vccnz .LBB118_1338
; %bb.1337:
	s_wait_loadcnt 0x0
	global_load_i16 v0, v[4:5], off
	s_wait_loadcnt 0x0
	v_cvt_f64_i32_e32 v[0:1], v0
.LBB118_1338:
	s_cbranch_execnz .LBB118_1344
.LBB118_1339:
	s_sext_i32_i16 s0, s0
	s_delay_alu instid0(SALU_CYCLE_1)
	s_cmp_gt_i32 s0, 0
	s_mov_b32 s0, 0
	s_cbranch_scc0 .LBB118_1341
; %bb.1340:
	s_wait_loadcnt 0x0
	global_load_i8 v0, v[4:5], off
	s_wait_loadcnt 0x0
	v_cvt_f64_i32_e32 v[0:1], v0
	s_branch .LBB118_1342
.LBB118_1341:
	s_mov_b32 s0, -1
                                        ; implicit-def: $vgpr0_vgpr1
.LBB118_1342:
	s_delay_alu instid0(SALU_CYCLE_1)
	s_and_not1_b32 vcc_lo, exec_lo, s0
	s_cbranch_vccnz .LBB118_1344
; %bb.1343:
	s_wait_loadcnt 0x0
	global_load_u8 v0, v[4:5], off
	s_wait_loadcnt 0x0
	v_cvt_f64_u32_e32 v[0:1], v0
.LBB118_1344:
	s_wait_loadcnt 0x0
	v_mov_b64_e32 v[2:3], 0
.LBB118_1345:
	s_or_b32 s23, s23, exec_lo
.LBB118_1346:
	s_wait_xcnt 0x0
	s_or_b32 exec_lo, exec_lo, s20
	s_mov_b32 s22, 0
	s_mov_b32 s21, 0
	s_mov_b32 s24, 0
                                        ; implicit-def: $sgpr0
                                        ; implicit-def: $vgpr8_vgpr9
                                        ; implicit-def: $vgpr6_vgpr7
	s_and_saveexec_b32 s20, s23
	s_cbranch_execz .LBB118_1354
; %bb.1347:
	s_wait_loadcnt 0x0
	v_mul_lo_u32 v4, v14, s10
	s_and_b32 s0, s1, 0xff
	s_delay_alu instid0(SALU_CYCLE_1) | instskip(NEXT) | instid1(VALU_DEP_1)
	s_cmp_lt_i32 s0, 11
	v_ashrrev_i32_e32 v5, 31, v4
	s_delay_alu instid0(VALU_DEP_1)
	v_add_nc_u64_e32 v[8:9], s[2:3], v[4:5]
	s_cbranch_scc1 .LBB118_1357
; %bb.1348:
	s_and_b32 s21, 0xffff, s0
	s_mov_b32 s23, 0
	s_cmp_gt_i32 s21, 25
	s_cbranch_scc0 .LBB118_1358
; %bb.1349:
	s_cmp_gt_i32 s21, 28
	s_cbranch_scc0 .LBB118_1359
; %bb.1350:
	;; [unrolled: 3-line block ×4, first 2 shown]
	s_cmp_eq_u32 s21, 46
	s_mov_b32 s25, 0
	s_cbranch_scc0 .LBB118_1362
; %bb.1353:
	global_load_b32 v4, v[8:9], off
	s_mov_b32 s24, -1
	s_wait_loadcnt 0x0
	v_lshlrev_b32_e32 v5, 16, v4
	v_and_b32_e32 v6, 0xffff0000, v4
	s_delay_alu instid0(VALU_DEP_2) | instskip(NEXT) | instid1(VALU_DEP_2)
	v_cvt_f64_f32_e32 v[4:5], v5
	v_cvt_f64_f32_e32 v[6:7], v6
	s_branch .LBB118_1364
.LBB118_1354:
	s_or_b32 exec_lo, exec_lo, s20
	s_and_saveexec_b32 s20, s19
	s_cbranch_execnz .LBB118_1430
.LBB118_1355:
	s_or_b32 exec_lo, exec_lo, s20
	s_and_saveexec_b32 s19, s22
	s_delay_alu instid0(SALU_CYCLE_1)
	s_xor_b32 s19, exec_lo, s19
	s_cbranch_execz .LBB118_1431
.LBB118_1356:
	s_wait_loadcnt 0x0
	global_load_u8 v4, v[8:9], off
	v_mov_b64_e32 v[6:7], 0
	s_or_b32 s24, s24, exec_lo
	s_wait_loadcnt 0x0
	v_cmp_ne_u16_e32 vcc_lo, 0, v4
	v_mov_b32_e32 v4, 0
	v_cndmask_b32_e64 v5, 0, 0x3ff00000, vcc_lo
	s_wait_xcnt 0x0
	s_or_b32 exec_lo, exec_lo, s19
	s_and_saveexec_b32 s19, s21
	s_cbranch_execz .LBB118_1479
	s_branch .LBB118_1432
.LBB118_1357:
	s_mov_b32 s21, -1
	s_mov_b32 s23, 0
	s_mov_b32 s22, s19
                                        ; implicit-def: $vgpr6_vgpr7
	s_branch .LBB118_1429
.LBB118_1358:
	s_mov_b32 s22, s19
                                        ; implicit-def: $vgpr6_vgpr7
	s_cbranch_execnz .LBB118_1395
	s_branch .LBB118_1428
.LBB118_1359:
	s_mov_b32 s25, -1
	s_mov_b32 s22, s19
                                        ; implicit-def: $vgpr6_vgpr7
	s_branch .LBB118_1376
.LBB118_1360:
	s_mov_b32 s25, -1
	s_mov_b32 s22, s19
                                        ; implicit-def: $vgpr6_vgpr7
	s_branch .LBB118_1370
.LBB118_1361:
	s_mov_b32 s25, -1
	s_mov_b32 s22, s19
	s_branch .LBB118_1363
.LBB118_1362:
	s_mov_b32 s22, -1
.LBB118_1363:
                                        ; implicit-def: $vgpr6_vgpr7
.LBB118_1364:
	s_and_b32 vcc_lo, exec_lo, s25
	s_cbranch_vccz .LBB118_1369
; %bb.1365:
	s_cmp_eq_u32 s21, 44
	s_cbranch_scc0 .LBB118_1367
; %bb.1366:
	global_load_u8 v6, v[8:9], off
	s_mov_b32 s22, 0
	s_mov_b32 s24, -1
	s_wait_loadcnt 0x0
	v_cmp_ne_u32_e32 vcc_lo, 0xff, v6
	v_lshlrev_b32_e32 v4, 23, v6
	s_delay_alu instid0(VALU_DEP_1) | instskip(NEXT) | instid1(VALU_DEP_1)
	v_cvt_f64_f32_e32 v[4:5], v4
	v_cndmask_b32_e32 v4, 0x20000000, v4, vcc_lo
	s_delay_alu instid0(VALU_DEP_2) | instskip(SKIP_1) | instid1(VALU_DEP_2)
	v_cndmask_b32_e32 v5, 0x7ff80000, v5, vcc_lo
	v_cmp_ne_u32_e32 vcc_lo, 0, v6
	v_cndmask_b32_e32 v5, 0x38000000, v5, vcc_lo
	s_delay_alu instid0(VALU_DEP_4)
	v_cndmask_b32_e32 v4, 0, v4, vcc_lo
	s_branch .LBB118_1368
.LBB118_1367:
	s_mov_b32 s22, -1
                                        ; implicit-def: $vgpr4_vgpr5
.LBB118_1368:
	v_mov_b64_e32 v[6:7], 0
.LBB118_1369:
	s_mov_b32 s25, 0
.LBB118_1370:
	s_delay_alu instid0(SALU_CYCLE_1)
	s_and_b32 vcc_lo, exec_lo, s25
	s_cbranch_vccz .LBB118_1375
; %bb.1371:
	s_cmp_eq_u32 s21, 29
	s_cbranch_scc0 .LBB118_1373
; %bb.1372:
	global_load_b64 v[4:5], v[8:9], off
	s_mov_b32 s22, 0
	s_mov_b32 s24, -1
	s_wait_loadcnt 0x0
	v_cvt_f64_u32_e32 v[6:7], v5
	v_cvt_f64_u32_e32 v[4:5], v4
	s_delay_alu instid0(VALU_DEP_2) | instskip(NEXT) | instid1(VALU_DEP_1)
	v_ldexp_f64 v[6:7], v[6:7], 32
	v_add_f64_e32 v[4:5], v[6:7], v[4:5]
	s_branch .LBB118_1374
.LBB118_1373:
	s_mov_b32 s22, -1
                                        ; implicit-def: $vgpr4_vgpr5
.LBB118_1374:
	v_mov_b64_e32 v[6:7], 0
.LBB118_1375:
	s_mov_b32 s25, 0
.LBB118_1376:
	s_delay_alu instid0(SALU_CYCLE_1)
	s_and_b32 vcc_lo, exec_lo, s25
	s_cbranch_vccz .LBB118_1394
; %bb.1377:
	s_cmp_lt_i32 s21, 27
	s_cbranch_scc1 .LBB118_1380
; %bb.1378:
	s_cmp_gt_i32 s21, 27
	s_cbranch_scc0 .LBB118_1381
; %bb.1379:
	global_load_b32 v4, v[8:9], off
	s_mov_b32 s24, 0
	s_wait_loadcnt 0x0
	v_cvt_f64_u32_e32 v[4:5], v4
	s_branch .LBB118_1382
.LBB118_1380:
	s_mov_b32 s24, -1
                                        ; implicit-def: $vgpr4_vgpr5
	s_branch .LBB118_1385
.LBB118_1381:
	s_mov_b32 s24, -1
                                        ; implicit-def: $vgpr4_vgpr5
.LBB118_1382:
	s_delay_alu instid0(SALU_CYCLE_1)
	s_and_not1_b32 vcc_lo, exec_lo, s24
	s_cbranch_vccnz .LBB118_1384
; %bb.1383:
	global_load_u16 v4, v[8:9], off
	s_wait_loadcnt 0x0
	v_cvt_f64_u32_e32 v[4:5], v4
.LBB118_1384:
	s_mov_b32 s24, 0
.LBB118_1385:
	s_delay_alu instid0(SALU_CYCLE_1)
	s_and_not1_b32 vcc_lo, exec_lo, s24
	s_cbranch_vccnz .LBB118_1393
; %bb.1386:
	global_load_u8 v6, v[8:9], off
	s_mov_b32 s24, 0
	s_mov_b32 s25, exec_lo
	s_wait_loadcnt 0x0
	v_cmpx_lt_i16_e32 0x7f, v6
	s_xor_b32 s25, exec_lo, s25
	s_cbranch_execz .LBB118_1406
; %bb.1387:
	s_mov_b32 s24, -1
	s_mov_b32 s26, exec_lo
	v_cmpx_eq_u16_e32 0x80, v6
; %bb.1388:
	s_xor_b32 s24, exec_lo, -1
; %bb.1389:
	s_or_b32 exec_lo, exec_lo, s26
	s_delay_alu instid0(SALU_CYCLE_1)
	s_and_b32 s24, s24, exec_lo
	s_or_saveexec_b32 s25, s25
	v_mov_b64_e32 v[4:5], 0x7ff8000020000000
	s_xor_b32 exec_lo, exec_lo, s25
	s_cbranch_execnz .LBB118_1407
.LBB118_1390:
	s_or_b32 exec_lo, exec_lo, s25
	s_and_saveexec_b32 s25, s24
	s_cbranch_execz .LBB118_1392
.LBB118_1391:
	v_and_b32_e32 v4, 0xffff, v6
	s_delay_alu instid0(VALU_DEP_1) | instskip(SKIP_1) | instid1(VALU_DEP_2)
	v_and_b32_e32 v5, 7, v4
	v_bfe_u32 v11, v4, 3, 4
	v_clz_i32_u32_e32 v7, v5
	s_delay_alu instid0(VALU_DEP_2) | instskip(NEXT) | instid1(VALU_DEP_2)
	v_cmp_eq_u32_e32 vcc_lo, 0, v11
	v_min_u32_e32 v7, 32, v7
	s_delay_alu instid0(VALU_DEP_1) | instskip(NEXT) | instid1(VALU_DEP_1)
	v_subrev_nc_u32_e32 v10, 28, v7
	v_dual_lshlrev_b32 v4, v10, v4 :: v_dual_sub_nc_u32 v7, 29, v7
	s_delay_alu instid0(VALU_DEP_1) | instskip(NEXT) | instid1(VALU_DEP_1)
	v_dual_lshlrev_b32 v6, 24, v6 :: v_dual_bitop2_b32 v4, 7, v4 bitop3:0x40
	v_dual_cndmask_b32 v7, v11, v7 :: v_dual_cndmask_b32 v4, v5, v4
	s_delay_alu instid0(VALU_DEP_2) | instskip(NEXT) | instid1(VALU_DEP_2)
	v_and_b32_e32 v5, 0x80000000, v6
	v_lshl_add_u32 v6, v7, 23, 0x3b800000
	s_delay_alu instid0(VALU_DEP_3) | instskip(NEXT) | instid1(VALU_DEP_1)
	v_lshlrev_b32_e32 v4, 20, v4
	v_or3_b32 v4, v5, v6, v4
	s_delay_alu instid0(VALU_DEP_1)
	v_cvt_f64_f32_e32 v[4:5], v4
.LBB118_1392:
	s_or_b32 exec_lo, exec_lo, s25
.LBB118_1393:
	v_mov_b64_e32 v[6:7], 0
	s_mov_b32 s24, -1
.LBB118_1394:
	s_branch .LBB118_1428
.LBB118_1395:
	s_cmp_gt_i32 s21, 22
	s_cbranch_scc0 .LBB118_1405
; %bb.1396:
	s_cmp_lt_i32 s21, 24
	s_cbranch_scc1 .LBB118_1408
; %bb.1397:
	s_cmp_gt_i32 s21, 24
	s_cbranch_scc0 .LBB118_1409
; %bb.1398:
	global_load_u8 v6, v[8:9], off
	s_mov_b32 s24, exec_lo
	s_wait_loadcnt 0x0
	v_cmpx_lt_i16_e32 0x7f, v6
	s_xor_b32 s24, exec_lo, s24
	s_cbranch_execz .LBB118_1421
; %bb.1399:
	s_mov_b32 s23, -1
	s_mov_b32 s25, exec_lo
	v_cmpx_eq_u16_e32 0x80, v6
; %bb.1400:
	s_xor_b32 s23, exec_lo, -1
; %bb.1401:
	s_or_b32 exec_lo, exec_lo, s25
	s_delay_alu instid0(SALU_CYCLE_1)
	s_and_b32 s23, s23, exec_lo
	s_or_saveexec_b32 s24, s24
	v_mov_b64_e32 v[4:5], 0x7ff8000020000000
	s_xor_b32 exec_lo, exec_lo, s24
	s_cbranch_execnz .LBB118_1422
.LBB118_1402:
	s_or_b32 exec_lo, exec_lo, s24
	s_and_saveexec_b32 s24, s23
	s_cbranch_execz .LBB118_1404
.LBB118_1403:
	v_and_b32_e32 v4, 0xffff, v6
	s_delay_alu instid0(VALU_DEP_1) | instskip(SKIP_1) | instid1(VALU_DEP_2)
	v_and_b32_e32 v5, 3, v4
	v_bfe_u32 v11, v4, 2, 5
	v_clz_i32_u32_e32 v7, v5
	s_delay_alu instid0(VALU_DEP_2) | instskip(NEXT) | instid1(VALU_DEP_2)
	v_cmp_eq_u32_e32 vcc_lo, 0, v11
	v_min_u32_e32 v7, 32, v7
	s_delay_alu instid0(VALU_DEP_1) | instskip(NEXT) | instid1(VALU_DEP_1)
	v_subrev_nc_u32_e32 v10, 29, v7
	v_dual_lshlrev_b32 v4, v10, v4 :: v_dual_sub_nc_u32 v7, 30, v7
	s_delay_alu instid0(VALU_DEP_1) | instskip(NEXT) | instid1(VALU_DEP_1)
	v_dual_lshlrev_b32 v6, 24, v6 :: v_dual_bitop2_b32 v4, 3, v4 bitop3:0x40
	v_dual_cndmask_b32 v7, v11, v7 :: v_dual_cndmask_b32 v4, v5, v4
	s_delay_alu instid0(VALU_DEP_2) | instskip(NEXT) | instid1(VALU_DEP_2)
	v_and_b32_e32 v5, 0x80000000, v6
	v_lshl_add_u32 v6, v7, 23, 0x37800000
	s_delay_alu instid0(VALU_DEP_3) | instskip(NEXT) | instid1(VALU_DEP_1)
	v_lshlrev_b32_e32 v4, 21, v4
	v_or3_b32 v4, v5, v6, v4
	s_delay_alu instid0(VALU_DEP_1)
	v_cvt_f64_f32_e32 v[4:5], v4
.LBB118_1404:
	s_or_b32 exec_lo, exec_lo, s24
	s_mov_b32 s23, 0
	s_branch .LBB118_1410
.LBB118_1405:
	s_mov_b32 s23, -1
                                        ; implicit-def: $vgpr4_vgpr5
	s_branch .LBB118_1416
.LBB118_1406:
	s_or_saveexec_b32 s25, s25
	v_mov_b64_e32 v[4:5], 0x7ff8000020000000
	s_xor_b32 exec_lo, exec_lo, s25
	s_cbranch_execz .LBB118_1390
.LBB118_1407:
	v_cmp_ne_u16_e32 vcc_lo, 0, v6
	v_mov_b64_e32 v[4:5], 0
	s_and_not1_b32 s24, s24, exec_lo
	s_and_b32 s26, vcc_lo, exec_lo
	s_delay_alu instid0(SALU_CYCLE_1)
	s_or_b32 s24, s24, s26
	s_or_b32 exec_lo, exec_lo, s25
	s_and_saveexec_b32 s25, s24
	s_cbranch_execnz .LBB118_1391
	s_branch .LBB118_1392
.LBB118_1408:
	s_mov_b32 s23, -1
                                        ; implicit-def: $vgpr4_vgpr5
	s_branch .LBB118_1413
.LBB118_1409:
	s_mov_b32 s23, -1
                                        ; implicit-def: $vgpr4_vgpr5
.LBB118_1410:
	s_delay_alu instid0(SALU_CYCLE_1)
	s_and_b32 vcc_lo, exec_lo, s23
	s_cbranch_vccz .LBB118_1412
; %bb.1411:
	global_load_u8 v4, v[8:9], off
	s_wait_loadcnt 0x0
	v_lshlrev_b32_e32 v4, 24, v4
	s_delay_alu instid0(VALU_DEP_1) | instskip(NEXT) | instid1(VALU_DEP_1)
	v_and_b32_e32 v5, 0x7f000000, v4
	v_clz_i32_u32_e32 v6, v5
	v_cmp_ne_u32_e32 vcc_lo, 0, v5
	v_add_nc_u32_e32 v10, 0x1000000, v5
	s_delay_alu instid0(VALU_DEP_3) | instskip(NEXT) | instid1(VALU_DEP_1)
	v_min_u32_e32 v6, 32, v6
	v_sub_nc_u32_e64 v6, v6, 4 clamp
	s_delay_alu instid0(VALU_DEP_1) | instskip(NEXT) | instid1(VALU_DEP_1)
	v_dual_lshlrev_b32 v7, v6, v5 :: v_dual_lshlrev_b32 v6, 23, v6
	v_lshrrev_b32_e32 v7, 4, v7
	s_delay_alu instid0(VALU_DEP_1) | instskip(SKIP_1) | instid1(VALU_DEP_2)
	v_sub_nc_u32_e32 v6, v7, v6
	v_ashrrev_i32_e32 v7, 8, v10
	v_add_nc_u32_e32 v6, 0x3c000000, v6
	s_delay_alu instid0(VALU_DEP_1) | instskip(NEXT) | instid1(VALU_DEP_1)
	v_and_or_b32 v6, 0x7f800000, v7, v6
	v_cndmask_b32_e32 v5, 0, v6, vcc_lo
	s_delay_alu instid0(VALU_DEP_1) | instskip(NEXT) | instid1(VALU_DEP_1)
	v_and_or_b32 v4, 0x80000000, v4, v5
	v_cvt_f64_f32_e32 v[4:5], v4
.LBB118_1412:
	s_mov_b32 s23, 0
.LBB118_1413:
	s_delay_alu instid0(SALU_CYCLE_1)
	s_and_not1_b32 vcc_lo, exec_lo, s23
	s_cbranch_vccnz .LBB118_1415
; %bb.1414:
	global_load_u8 v4, v[8:9], off
	s_wait_loadcnt 0x0
	v_lshlrev_b32_e32 v5, 25, v4
	v_lshlrev_b16 v4, 8, v4
	s_delay_alu instid0(VALU_DEP_1) | instskip(SKIP_1) | instid1(VALU_DEP_2)
	v_and_or_b32 v7, 0x7f00, v4, 0.5
	v_bfe_i32 v4, v4, 0, 16
	v_dual_add_f32 v7, -0.5, v7 :: v_dual_lshrrev_b32 v6, 4, v5
	v_cmp_gt_u32_e32 vcc_lo, 0x8000000, v5
	s_delay_alu instid0(VALU_DEP_2) | instskip(NEXT) | instid1(VALU_DEP_1)
	v_or_b32_e32 v6, 0x70000000, v6
	v_mul_f32_e32 v6, 0x7800000, v6
	s_delay_alu instid0(VALU_DEP_1) | instskip(NEXT) | instid1(VALU_DEP_1)
	v_cndmask_b32_e32 v5, v6, v7, vcc_lo
	v_and_or_b32 v4, 0x80000000, v4, v5
	s_delay_alu instid0(VALU_DEP_1)
	v_cvt_f64_f32_e32 v[4:5], v4
.LBB118_1415:
	s_mov_b32 s23, 0
	s_mov_b32 s24, -1
.LBB118_1416:
	s_and_not1_b32 vcc_lo, exec_lo, s23
	s_mov_b32 s23, 0
	s_cbranch_vccnz .LBB118_1427
; %bb.1417:
	s_cmp_gt_i32 s21, 14
	s_cbranch_scc0 .LBB118_1420
; %bb.1418:
	s_cmp_eq_u32 s21, 15
	s_cbranch_scc0 .LBB118_1423
; %bb.1419:
	global_load_u16 v4, v[8:9], off
	s_mov_b32 s22, 0
	s_mov_b32 s24, -1
	s_wait_loadcnt 0x0
	v_lshlrev_b32_e32 v4, 16, v4
	s_delay_alu instid0(VALU_DEP_1)
	v_cvt_f64_f32_e32 v[4:5], v4
	s_branch .LBB118_1425
.LBB118_1420:
	s_mov_b32 s23, -1
	s_branch .LBB118_1424
.LBB118_1421:
	s_or_saveexec_b32 s24, s24
	v_mov_b64_e32 v[4:5], 0x7ff8000020000000
	s_xor_b32 exec_lo, exec_lo, s24
	s_cbranch_execz .LBB118_1402
.LBB118_1422:
	v_cmp_ne_u16_e32 vcc_lo, 0, v6
	v_mov_b64_e32 v[4:5], 0
	s_and_not1_b32 s23, s23, exec_lo
	s_and_b32 s25, vcc_lo, exec_lo
	s_delay_alu instid0(SALU_CYCLE_1)
	s_or_b32 s23, s23, s25
	s_or_b32 exec_lo, exec_lo, s24
	s_and_saveexec_b32 s24, s23
	s_cbranch_execnz .LBB118_1403
	s_branch .LBB118_1404
.LBB118_1423:
	s_mov_b32 s22, -1
.LBB118_1424:
                                        ; implicit-def: $vgpr4_vgpr5
.LBB118_1425:
	s_and_b32 vcc_lo, exec_lo, s23
	s_mov_b32 s23, 0
	s_cbranch_vccz .LBB118_1427
; %bb.1426:
	s_cmp_lg_u32 s21, 11
	s_mov_b32 s23, -1
	s_cselect_b32 s21, -1, 0
	s_and_not1_b32 s22, s22, exec_lo
	s_and_b32 s21, s21, exec_lo
	s_delay_alu instid0(SALU_CYCLE_1)
	s_or_b32 s22, s22, s21
.LBB118_1427:
	v_mov_b64_e32 v[6:7], 0
.LBB118_1428:
	s_mov_b32 s21, 0
.LBB118_1429:
	s_and_not1_b32 s19, s19, exec_lo
	s_and_b32 s25, s22, exec_lo
	s_and_b32 s24, s24, exec_lo
	s_and_b32 s21, s21, exec_lo
	s_and_b32 s22, s23, exec_lo
	s_or_b32 s19, s19, s25
	s_wait_xcnt 0x0
	s_or_b32 exec_lo, exec_lo, s20
	s_and_saveexec_b32 s20, s19
	s_cbranch_execz .LBB118_1355
.LBB118_1430:
	s_or_b32 s17, s17, exec_lo
	s_and_not1_b32 s22, s22, exec_lo
	s_trap 2
	s_or_b32 exec_lo, exec_lo, s20
	s_and_saveexec_b32 s19, s22
	s_delay_alu instid0(SALU_CYCLE_1)
	s_xor_b32 s19, exec_lo, s19
	s_cbranch_execnz .LBB118_1356
.LBB118_1431:
	s_or_b32 exec_lo, exec_lo, s19
	s_and_saveexec_b32 s19, s21
	s_cbranch_execz .LBB118_1479
.LBB118_1432:
	s_sext_i32_i16 s20, s0
	s_delay_alu instid0(SALU_CYCLE_1)
	s_cmp_lt_i32 s20, 5
	s_cbranch_scc1 .LBB118_1437
; %bb.1433:
	s_cmp_lt_i32 s20, 8
	s_cbranch_scc1 .LBB118_1438
; %bb.1434:
	;; [unrolled: 3-line block ×3, first 2 shown]
	s_cmp_gt_i32 s20, 9
	s_cbranch_scc0 .LBB118_1440
; %bb.1436:
	s_wait_loadcnt 0x0
	global_load_b128 v[4:7], v[8:9], off
	s_mov_b32 s20, 0
	s_branch .LBB118_1441
.LBB118_1437:
                                        ; implicit-def: $vgpr6_vgpr7
	s_branch .LBB118_1459
.LBB118_1438:
                                        ; implicit-def: $vgpr6_vgpr7
	s_branch .LBB118_1447
.LBB118_1439:
	s_mov_b32 s20, -1
                                        ; implicit-def: $vgpr6_vgpr7
	s_branch .LBB118_1444
.LBB118_1440:
	s_mov_b32 s20, -1
                                        ; implicit-def: $vgpr6_vgpr7
.LBB118_1441:
	s_delay_alu instid0(SALU_CYCLE_1)
	s_and_not1_b32 vcc_lo, exec_lo, s20
	s_cbranch_vccnz .LBB118_1443
; %bb.1442:
	s_wait_loadcnt 0x0
	global_load_b64 v[6:7], v[8:9], off
	s_wait_loadcnt 0x0
	v_cvt_f64_f32_e32 v[4:5], v6
	v_cvt_f64_f32_e32 v[6:7], v7
.LBB118_1443:
	s_mov_b32 s20, 0
.LBB118_1444:
	s_delay_alu instid0(SALU_CYCLE_1)
	s_and_not1_b32 vcc_lo, exec_lo, s20
	s_cbranch_vccnz .LBB118_1446
; %bb.1445:
	s_wait_loadcnt 0x0
	global_load_b32 v4, v[8:9], off
	s_wait_loadcnt 0x0
	v_lshrrev_b32_e32 v5, 16, v4
	v_cvt_f32_f16_e32 v4, v4
	s_delay_alu instid0(VALU_DEP_2) | instskip(NEXT) | instid1(VALU_DEP_2)
	v_cvt_f32_f16_e32 v6, v5
	v_cvt_f64_f32_e32 v[4:5], v4
	s_delay_alu instid0(VALU_DEP_2)
	v_cvt_f64_f32_e32 v[6:7], v6
.LBB118_1446:
	s_cbranch_execnz .LBB118_1458
.LBB118_1447:
	s_sext_i32_i16 s20, s0
	s_delay_alu instid0(SALU_CYCLE_1)
	s_cmp_lt_i32 s20, 6
	s_cbranch_scc1 .LBB118_1450
; %bb.1448:
	s_cmp_gt_i32 s20, 6
	s_cbranch_scc0 .LBB118_1451
; %bb.1449:
	s_wait_loadcnt 0x0
	global_load_b64 v[4:5], v[8:9], off
	s_mov_b32 s20, 0
	s_branch .LBB118_1452
.LBB118_1450:
	s_mov_b32 s20, -1
                                        ; implicit-def: $vgpr4_vgpr5
	s_branch .LBB118_1455
.LBB118_1451:
	s_mov_b32 s20, -1
                                        ; implicit-def: $vgpr4_vgpr5
.LBB118_1452:
	s_delay_alu instid0(SALU_CYCLE_1)
	s_and_not1_b32 vcc_lo, exec_lo, s20
	s_cbranch_vccnz .LBB118_1454
; %bb.1453:
	s_wait_loadcnt 0x0
	global_load_b32 v4, v[8:9], off
	s_wait_loadcnt 0x0
	v_cvt_f64_f32_e32 v[4:5], v4
.LBB118_1454:
	s_mov_b32 s20, 0
.LBB118_1455:
	s_delay_alu instid0(SALU_CYCLE_1)
	s_and_not1_b32 vcc_lo, exec_lo, s20
	s_cbranch_vccnz .LBB118_1457
; %bb.1456:
	s_wait_loadcnt 0x0
	global_load_u16 v4, v[8:9], off
	s_wait_loadcnt 0x0
	v_cvt_f32_f16_e32 v4, v4
	s_delay_alu instid0(VALU_DEP_1)
	v_cvt_f64_f32_e32 v[4:5], v4
.LBB118_1457:
	s_wait_loadcnt 0x0
	v_mov_b64_e32 v[6:7], 0
.LBB118_1458:
	s_cbranch_execnz .LBB118_1478
.LBB118_1459:
	s_sext_i32_i16 s20, s0
	s_delay_alu instid0(SALU_CYCLE_1)
	s_cmp_lt_i32 s20, 2
	s_cbranch_scc1 .LBB118_1463
; %bb.1460:
	s_cmp_lt_i32 s20, 3
	s_cbranch_scc1 .LBB118_1464
; %bb.1461:
	s_cmp_gt_i32 s20, 3
	s_cbranch_scc0 .LBB118_1465
; %bb.1462:
	s_wait_loadcnt 0x0
	global_load_b64 v[4:5], v[8:9], off
	s_mov_b32 s20, 0
	s_wait_loadcnt 0x0
	v_cvt_f64_i32_e32 v[6:7], v5
	v_cvt_f64_u32_e32 v[4:5], v4
	s_delay_alu instid0(VALU_DEP_2) | instskip(NEXT) | instid1(VALU_DEP_1)
	v_ldexp_f64 v[6:7], v[6:7], 32
	v_add_f64_e32 v[4:5], v[6:7], v[4:5]
	s_branch .LBB118_1466
.LBB118_1463:
                                        ; implicit-def: $vgpr4_vgpr5
	s_branch .LBB118_1472
.LBB118_1464:
	s_mov_b32 s20, -1
                                        ; implicit-def: $vgpr4_vgpr5
	s_branch .LBB118_1469
.LBB118_1465:
	s_mov_b32 s20, -1
                                        ; implicit-def: $vgpr4_vgpr5
.LBB118_1466:
	s_delay_alu instid0(SALU_CYCLE_1)
	s_and_not1_b32 vcc_lo, exec_lo, s20
	s_cbranch_vccnz .LBB118_1468
; %bb.1467:
	s_wait_loadcnt 0x0
	global_load_b32 v4, v[8:9], off
	s_wait_loadcnt 0x0
	v_cvt_f64_i32_e32 v[4:5], v4
.LBB118_1468:
	s_mov_b32 s20, 0
.LBB118_1469:
	s_delay_alu instid0(SALU_CYCLE_1)
	s_and_not1_b32 vcc_lo, exec_lo, s20
	s_cbranch_vccnz .LBB118_1471
; %bb.1470:
	s_wait_loadcnt 0x0
	global_load_i16 v4, v[8:9], off
	s_wait_loadcnt 0x0
	v_cvt_f64_i32_e32 v[4:5], v4
.LBB118_1471:
	s_cbranch_execnz .LBB118_1477
.LBB118_1472:
	s_sext_i32_i16 s0, s0
	s_delay_alu instid0(SALU_CYCLE_1)
	s_cmp_gt_i32 s0, 0
	s_mov_b32 s0, 0
	s_cbranch_scc0 .LBB118_1474
; %bb.1473:
	s_wait_loadcnt 0x0
	global_load_i8 v4, v[8:9], off
	s_wait_loadcnt 0x0
	v_cvt_f64_i32_e32 v[4:5], v4
	s_branch .LBB118_1475
.LBB118_1474:
	s_mov_b32 s0, -1
                                        ; implicit-def: $vgpr4_vgpr5
.LBB118_1475:
	s_delay_alu instid0(SALU_CYCLE_1)
	s_and_not1_b32 vcc_lo, exec_lo, s0
	s_cbranch_vccnz .LBB118_1477
; %bb.1476:
	s_wait_loadcnt 0x0
	global_load_u8 v4, v[8:9], off
	s_wait_loadcnt 0x0
	v_cvt_f64_u32_e32 v[4:5], v4
.LBB118_1477:
	s_wait_loadcnt 0x0
	v_mov_b64_e32 v[6:7], 0
.LBB118_1478:
	s_or_b32 s24, s24, exec_lo
.LBB118_1479:
	s_wait_xcnt 0x0
	s_or_b32 exec_lo, exec_lo, s19
	s_mov_b32 s0, 0
	s_mov_b32 s22, 0
                                        ; implicit-def: $sgpr19
                                        ; implicit-def: $sgpr20
                                        ; implicit-def: $vgpr8_vgpr9
	s_and_saveexec_b32 s21, s24
	s_cbranch_execz .LBB118_1490
; %bb.1480:
	s_and_not1_b32 vcc_lo, exec_lo, s16
	s_cbranch_vccnz .LBB118_1494
; %bb.1481:
	s_wait_loadcnt 0x0
	s_delay_alu instid0(VALU_DEP_2) | instskip(NEXT) | instid1(VALU_DEP_2)
	v_cmp_neq_f64_e32 vcc_lo, v[0:1], v[4:5]
	v_cmp_neq_f64_e64 s0, v[2:3], v[6:7]
	s_or_b32 s19, vcc_lo, s0
	s_cbranch_execnz .LBB118_1483
.LBB118_1482:
	s_wait_loadcnt 0x0
	s_delay_alu instid0(VALU_DEP_2) | instskip(NEXT) | instid1(VALU_DEP_2)
	v_cmp_eq_f64_e32 vcc_lo, v[0:1], v[4:5]
	v_cmp_eq_f64_e64 s0, v[2:3], v[6:7]
	s_and_not1_b32 s16, s19, exec_lo
	s_and_b32 s0, vcc_lo, s0
	s_delay_alu instid0(SALU_CYCLE_1) | instskip(NEXT) | instid1(SALU_CYCLE_1)
	s_and_b32 s0, s0, exec_lo
	s_or_b32 s19, s16, s0
.LBB118_1483:
	s_wait_loadcnt 0x0
	v_mul_lo_u32 v0, v14, s8
	s_and_b32 s20, s12, 0xff
	s_delay_alu instid0(SALU_CYCLE_1) | instskip(NEXT) | instid1(VALU_DEP_1)
	s_cmp_lt_i32 s20, 11
	v_ashrrev_i32_e32 v1, 31, v0
	s_delay_alu instid0(VALU_DEP_1)
	v_add_nc_u64_e32 v[8:9], s[4:5], v[0:1]
	s_cbranch_scc1 .LBB118_1493
; %bb.1484:
	s_and_b32 s16, 0xffff, s20
	s_mov_b32 s22, -1
	s_cmp_gt_i32 s16, 25
	s_mov_b32 s0, s18
	s_cbranch_scc0 .LBB118_1522
; %bb.1485:
	s_cmp_gt_i32 s16, 28
	s_mov_b32 s0, s18
	s_cbranch_scc0 .LBB118_1506
; %bb.1486:
	;; [unrolled: 4-line block ×4, first 2 shown]
	s_cmp_eq_u32 s16, 46
	s_mov_b32 s0, -1
	s_cbranch_scc0 .LBB118_1495
; %bb.1489:
	v_cndmask_b32_e64 v0, 0, 1.0, s19
	s_mov_b32 s0, 0
	s_mov_b32 s22, 0
	s_delay_alu instid0(VALU_DEP_1) | instskip(NEXT) | instid1(VALU_DEP_1)
	v_bfe_u32 v1, v0, 16, 1
	v_add3_u32 v0, v0, v1, 0x7fff
	s_delay_alu instid0(VALU_DEP_1)
	v_lshrrev_b32_e32 v0, 16, v0
	global_store_b32 v[8:9], v0, off
	s_branch .LBB118_1496
.LBB118_1490:
	s_or_b32 exec_lo, exec_lo, s21
	s_and_saveexec_b32 s16, s18
	s_cbranch_execnz .LBB118_1564
.LBB118_1491:
	s_or_b32 exec_lo, exec_lo, s16
	s_and_saveexec_b32 s16, s0
	s_delay_alu instid0(SALU_CYCLE_1)
	s_xor_b32 s0, exec_lo, s16
	s_cbranch_execz .LBB118_1565
.LBB118_1492:
	s_wait_loadcnt 0x0
	v_cndmask_b32_e64 v0, 0, 1, s19
	global_store_b8 v[8:9], v0, off
	s_wait_xcnt 0x0
	s_or_b32 exec_lo, exec_lo, s0
	s_and_saveexec_b32 s0, s22
	s_delay_alu instid0(SALU_CYCLE_1)
	s_xor_b32 s0, exec_lo, s0
	s_cbranch_execz .LBB118_1603
	s_branch .LBB118_1566
.LBB118_1493:
	s_mov_b32 s23, 0
	s_mov_b32 s22, -1
	s_mov_b32 s0, s18
	s_branch .LBB118_1563
.LBB118_1494:
                                        ; implicit-def: $sgpr19
	s_branch .LBB118_1482
.LBB118_1495:
	s_mov_b32 s22, 0
.LBB118_1496:
	s_delay_alu instid0(SALU_CYCLE_1)
	s_and_b32 vcc_lo, exec_lo, s22
	s_cbranch_vccz .LBB118_1501
; %bb.1497:
	s_cmp_eq_u32 s16, 44
	s_mov_b32 s0, -1
	s_cbranch_scc0 .LBB118_1501
; %bb.1498:
	v_cndmask_b32_e64 v2, 0, 1.0, s19
	s_mov_b32 s22, exec_lo
	s_wait_xcnt 0x0
	s_delay_alu instid0(VALU_DEP_1) | instskip(NEXT) | instid1(VALU_DEP_1)
	v_dual_mov_b32 v1, 0xff :: v_dual_lshrrev_b32 v0, 23, v2
	v_cmpx_ne_u32_e32 0xff, v0
; %bb.1499:
	v_and_b32_e32 v1, 0x400000, v2
	v_and_or_b32 v2, 0x3fffff, v2, v0
	s_delay_alu instid0(VALU_DEP_2) | instskip(NEXT) | instid1(VALU_DEP_2)
	v_cmp_ne_u32_e32 vcc_lo, 0, v1
	v_cmp_ne_u32_e64 s0, 0, v2
	s_and_b32 s0, vcc_lo, s0
	s_delay_alu instid0(SALU_CYCLE_1) | instskip(NEXT) | instid1(VALU_DEP_1)
	v_cndmask_b32_e64 v1, 0, 1, s0
	v_add_nc_u32_e32 v1, v0, v1
; %bb.1500:
	s_or_b32 exec_lo, exec_lo, s22
	s_mov_b32 s0, 0
	global_store_b8 v[8:9], v1, off
.LBB118_1501:
	s_mov_b32 s22, 0
.LBB118_1502:
	s_delay_alu instid0(SALU_CYCLE_1)
	s_and_b32 vcc_lo, exec_lo, s22
	s_cbranch_vccz .LBB118_1505
; %bb.1503:
	s_cmp_eq_u32 s16, 29
	s_mov_b32 s0, -1
	s_cbranch_scc0 .LBB118_1505
; %bb.1504:
	s_mov_b32 s0, 0
	s_wait_xcnt 0x0
	v_cndmask_b32_e64 v0, 0, 1, s19
	v_mov_b32_e32 v1, s0
	s_mov_b32 s22, 0
	global_store_b64 v[8:9], v[0:1], off
	s_branch .LBB118_1506
.LBB118_1505:
	s_mov_b32 s22, 0
.LBB118_1506:
	s_delay_alu instid0(SALU_CYCLE_1)
	s_and_b32 vcc_lo, exec_lo, s22
	s_cbranch_vccz .LBB118_1521
; %bb.1507:
	s_cmp_lt_i32 s16, 27
	s_mov_b32 s22, -1
	s_cbranch_scc1 .LBB118_1513
; %bb.1508:
	s_wait_xcnt 0x0
	v_cndmask_b32_e64 v0, 0, 1, s19
	s_cmp_gt_i32 s16, 27
	s_cbranch_scc0 .LBB118_1510
; %bb.1509:
	s_mov_b32 s22, 0
	global_store_b32 v[8:9], v0, off
.LBB118_1510:
	s_and_not1_b32 vcc_lo, exec_lo, s22
	s_cbranch_vccnz .LBB118_1512
; %bb.1511:
	global_store_b16 v[8:9], v0, off
.LBB118_1512:
	s_mov_b32 s22, 0
.LBB118_1513:
	s_delay_alu instid0(SALU_CYCLE_1)
	s_and_not1_b32 vcc_lo, exec_lo, s22
	s_cbranch_vccnz .LBB118_1521
; %bb.1514:
	s_wait_xcnt 0x0
	v_cndmask_b32_e64 v1, 0, 1.0, s19
	v_mov_b32_e32 v2, 0x80
	s_mov_b32 s22, exec_lo
	s_delay_alu instid0(VALU_DEP_2)
	v_cmpx_gt_u32_e32 0x43800000, v1
	s_cbranch_execz .LBB118_1520
; %bb.1515:
	s_mov_b32 s23, 0
	s_mov_b32 s24, exec_lo
                                        ; implicit-def: $vgpr0
	v_cmpx_lt_u32_e32 0x3bffffff, v1
	s_xor_b32 s24, exec_lo, s24
	s_cbranch_execz .LBB118_1618
; %bb.1516:
	v_bfe_u32 v0, v1, 20, 1
	s_mov_b32 s23, exec_lo
	s_delay_alu instid0(VALU_DEP_1) | instskip(NEXT) | instid1(VALU_DEP_1)
	v_add3_u32 v0, v1, v0, 0x487ffff
                                        ; implicit-def: $vgpr1
	v_lshrrev_b32_e32 v0, 20, v0
	s_and_not1_saveexec_b32 s24, s24
	s_cbranch_execnz .LBB118_1619
.LBB118_1517:
	s_or_b32 exec_lo, exec_lo, s24
	v_mov_b32_e32 v2, 0
	s_and_saveexec_b32 s24, s23
.LBB118_1518:
	v_mov_b32_e32 v2, v0
.LBB118_1519:
	s_or_b32 exec_lo, exec_lo, s24
.LBB118_1520:
	s_delay_alu instid0(SALU_CYCLE_1)
	s_or_b32 exec_lo, exec_lo, s22
	global_store_b8 v[8:9], v2, off
.LBB118_1521:
	s_mov_b32 s22, 0
.LBB118_1522:
	s_delay_alu instid0(SALU_CYCLE_1)
	s_and_b32 vcc_lo, exec_lo, s22
	s_mov_b32 s22, 0
	s_cbranch_vccz .LBB118_1562
; %bb.1523:
	s_cmp_gt_i32 s16, 22
	s_mov_b32 s23, -1
	s_cbranch_scc0 .LBB118_1555
; %bb.1524:
	s_cmp_lt_i32 s16, 24
	s_cbranch_scc1 .LBB118_1544
; %bb.1525:
	s_cmp_gt_i32 s16, 24
	s_cbranch_scc0 .LBB118_1533
; %bb.1526:
	s_wait_xcnt 0x0
	v_cndmask_b32_e64 v1, 0, 1.0, s19
	v_mov_b32_e32 v2, 0x80
	s_mov_b32 s23, exec_lo
	s_delay_alu instid0(VALU_DEP_2)
	v_cmpx_gt_u32_e32 0x47800000, v1
	s_cbranch_execz .LBB118_1532
; %bb.1527:
	s_mov_b32 s24, 0
	s_mov_b32 s25, exec_lo
                                        ; implicit-def: $vgpr0
	v_cmpx_lt_u32_e32 0x37ffffff, v1
	s_xor_b32 s25, exec_lo, s25
	s_cbranch_execz .LBB118_1749
; %bb.1528:
	v_bfe_u32 v0, v1, 21, 1
	s_mov_b32 s24, exec_lo
	s_delay_alu instid0(VALU_DEP_1) | instskip(NEXT) | instid1(VALU_DEP_1)
	v_add3_u32 v0, v1, v0, 0x88fffff
                                        ; implicit-def: $vgpr1
	v_lshrrev_b32_e32 v0, 21, v0
	s_and_not1_saveexec_b32 s25, s25
	s_cbranch_execnz .LBB118_1750
.LBB118_1529:
	s_or_b32 exec_lo, exec_lo, s25
	v_mov_b32_e32 v2, 0
	s_and_saveexec_b32 s25, s24
.LBB118_1530:
	v_mov_b32_e32 v2, v0
.LBB118_1531:
	s_or_b32 exec_lo, exec_lo, s25
.LBB118_1532:
	s_delay_alu instid0(SALU_CYCLE_1)
	s_or_b32 exec_lo, exec_lo, s23
	s_mov_b32 s23, 0
	global_store_b8 v[8:9], v2, off
.LBB118_1533:
	s_and_b32 vcc_lo, exec_lo, s23
	s_cbranch_vccz .LBB118_1543
; %bb.1534:
	s_wait_xcnt 0x0
	v_cndmask_b32_e64 v1, 0, 1.0, s19
	s_mov_b32 s23, exec_lo
                                        ; implicit-def: $vgpr0
	s_delay_alu instid0(VALU_DEP_1)
	v_cmpx_gt_u32_e32 0x43f00000, v1
	s_xor_b32 s23, exec_lo, s23
	s_cbranch_execz .LBB118_1540
; %bb.1535:
	s_mov_b32 s24, exec_lo
                                        ; implicit-def: $vgpr0
	v_cmpx_lt_u32_e32 0x3c7fffff, v1
	s_xor_b32 s24, exec_lo, s24
; %bb.1536:
	v_bfe_u32 v0, v1, 20, 1
	s_delay_alu instid0(VALU_DEP_1) | instskip(NEXT) | instid1(VALU_DEP_1)
	v_add3_u32 v0, v1, v0, 0x407ffff
	v_and_b32_e32 v1, 0xff00000, v0
	v_lshrrev_b32_e32 v0, 20, v0
	s_delay_alu instid0(VALU_DEP_2) | instskip(NEXT) | instid1(VALU_DEP_2)
	v_cmp_ne_u32_e32 vcc_lo, 0x7f00000, v1
                                        ; implicit-def: $vgpr1
	v_cndmask_b32_e32 v0, 0x7e, v0, vcc_lo
; %bb.1537:
	s_and_not1_saveexec_b32 s24, s24
; %bb.1538:
	v_add_f32_e32 v0, 0x46800000, v1
; %bb.1539:
	s_or_b32 exec_lo, exec_lo, s24
                                        ; implicit-def: $vgpr1
.LBB118_1540:
	s_and_not1_saveexec_b32 s23, s23
; %bb.1541:
	v_mov_b32_e32 v0, 0x7f
	v_cmp_lt_u32_e32 vcc_lo, 0x7f800000, v1
	s_delay_alu instid0(VALU_DEP_2)
	v_cndmask_b32_e32 v0, 0x7e, v0, vcc_lo
; %bb.1542:
	s_or_b32 exec_lo, exec_lo, s23
	global_store_b8 v[8:9], v0, off
.LBB118_1543:
	s_mov_b32 s23, 0
.LBB118_1544:
	s_delay_alu instid0(SALU_CYCLE_1)
	s_and_not1_b32 vcc_lo, exec_lo, s23
	s_cbranch_vccnz .LBB118_1554
; %bb.1545:
	s_wait_xcnt 0x0
	v_cndmask_b32_e64 v1, 0, 1.0, s19
	s_mov_b32 s23, exec_lo
                                        ; implicit-def: $vgpr0
	s_delay_alu instid0(VALU_DEP_1)
	v_cmpx_gt_u32_e32 0x47800000, v1
	s_xor_b32 s23, exec_lo, s23
	s_cbranch_execz .LBB118_1551
; %bb.1546:
	s_mov_b32 s24, exec_lo
                                        ; implicit-def: $vgpr0
	v_cmpx_lt_u32_e32 0x387fffff, v1
	s_xor_b32 s24, exec_lo, s24
; %bb.1547:
	v_bfe_u32 v0, v1, 21, 1
	s_delay_alu instid0(VALU_DEP_1) | instskip(NEXT) | instid1(VALU_DEP_1)
	v_add3_u32 v0, v1, v0, 0x80fffff
                                        ; implicit-def: $vgpr1
	v_lshrrev_b32_e32 v0, 21, v0
; %bb.1548:
	s_and_not1_saveexec_b32 s24, s24
; %bb.1549:
	v_add_f32_e32 v0, 0x43000000, v1
; %bb.1550:
	s_or_b32 exec_lo, exec_lo, s24
                                        ; implicit-def: $vgpr1
.LBB118_1551:
	s_and_not1_saveexec_b32 s23, s23
; %bb.1552:
	v_mov_b32_e32 v0, 0x7f
	v_cmp_lt_u32_e32 vcc_lo, 0x7f800000, v1
	s_delay_alu instid0(VALU_DEP_2)
	v_cndmask_b32_e32 v0, 0x7c, v0, vcc_lo
; %bb.1553:
	s_or_b32 exec_lo, exec_lo, s23
	global_store_b8 v[8:9], v0, off
.LBB118_1554:
	s_mov_b32 s23, 0
.LBB118_1555:
	s_delay_alu instid0(SALU_CYCLE_1)
	s_and_not1_b32 vcc_lo, exec_lo, s23
	s_mov_b32 s23, 0
	s_cbranch_vccnz .LBB118_1563
; %bb.1556:
	s_cmp_gt_i32 s16, 14
	s_mov_b32 s23, -1
	s_cbranch_scc0 .LBB118_1560
; %bb.1557:
	s_cmp_eq_u32 s16, 15
	s_mov_b32 s0, -1
	s_cbranch_scc0 .LBB118_1559
; %bb.1558:
	s_wait_xcnt 0x0
	v_cndmask_b32_e64 v0, 0, 1.0, s19
	s_mov_b32 s0, 0
	s_delay_alu instid0(VALU_DEP_1) | instskip(NEXT) | instid1(VALU_DEP_1)
	v_bfe_u32 v1, v0, 16, 1
	v_add3_u32 v0, v0, v1, 0x7fff
	global_store_d16_hi_b16 v[8:9], v0, off
.LBB118_1559:
	s_mov_b32 s23, 0
.LBB118_1560:
	s_delay_alu instid0(SALU_CYCLE_1)
	s_and_b32 vcc_lo, exec_lo, s23
	s_mov_b32 s23, 0
	s_cbranch_vccz .LBB118_1563
; %bb.1561:
	s_cmp_lg_u32 s16, 11
	s_mov_b32 s23, -1
	s_cselect_b32 s16, -1, 0
	s_and_not1_b32 s0, s0, exec_lo
	s_and_b32 s16, s16, exec_lo
	s_delay_alu instid0(SALU_CYCLE_1)
	s_or_b32 s0, s0, s16
	s_branch .LBB118_1563
.LBB118_1562:
	s_mov_b32 s23, 0
.LBB118_1563:
	s_and_not1_b32 s16, s18, exec_lo
	s_and_b32 s18, s0, exec_lo
	s_and_b32 s22, s22, exec_lo
	;; [unrolled: 1-line block ×3, first 2 shown]
	s_or_b32 s18, s16, s18
	s_wait_xcnt 0x0
	s_or_b32 exec_lo, exec_lo, s21
	s_and_saveexec_b32 s16, s18
	s_cbranch_execz .LBB118_1491
.LBB118_1564:
	s_or_b32 s17, s17, exec_lo
	s_and_not1_b32 s0, s0, exec_lo
	s_trap 2
	s_or_b32 exec_lo, exec_lo, s16
	s_and_saveexec_b32 s16, s0
	s_delay_alu instid0(SALU_CYCLE_1)
	s_xor_b32 s0, exec_lo, s16
	s_cbranch_execnz .LBB118_1492
.LBB118_1565:
	s_or_b32 exec_lo, exec_lo, s0
	s_and_saveexec_b32 s0, s22
	s_delay_alu instid0(SALU_CYCLE_1)
	s_xor_b32 s0, exec_lo, s0
	s_cbranch_execz .LBB118_1603
.LBB118_1566:
	s_sext_i32_i16 s18, s20
	s_mov_b32 s16, -1
	s_cmp_lt_i32 s18, 5
	s_cbranch_scc1 .LBB118_1587
; %bb.1567:
	s_cmp_lt_i32 s18, 8
	s_cbranch_scc1 .LBB118_1577
; %bb.1568:
	;; [unrolled: 3-line block ×3, first 2 shown]
	s_cmp_gt_i32 s18, 9
	s_cbranch_scc0 .LBB118_1571
; %bb.1570:
	s_wait_loadcnt 0x0
	v_cndmask_b32_e64 v0, 0, 1, s19
	v_mov_b32_e32 v2, 0
	s_mov_b32 s16, 0
	s_delay_alu instid0(VALU_DEP_2) | instskip(NEXT) | instid1(VALU_DEP_2)
	v_cvt_f64_u32_e32 v[0:1], v0
	v_mov_b32_e32 v3, v2
	global_store_b128 v[8:9], v[0:3], off
.LBB118_1571:
	s_and_not1_b32 vcc_lo, exec_lo, s16
	s_cbranch_vccnz .LBB118_1573
; %bb.1572:
	s_wait_loadcnt 0x0
	v_cndmask_b32_e64 v0, 0, 1.0, s19
	v_mov_b32_e32 v1, 0
	global_store_b64 v[8:9], v[0:1], off
.LBB118_1573:
	s_mov_b32 s16, 0
.LBB118_1574:
	s_delay_alu instid0(SALU_CYCLE_1)
	s_and_not1_b32 vcc_lo, exec_lo, s16
	s_cbranch_vccnz .LBB118_1576
; %bb.1575:
	s_wait_loadcnt 0x0
	v_cndmask_b32_e64 v0, 0, 1.0, s19
	s_delay_alu instid0(VALU_DEP_1) | instskip(NEXT) | instid1(VALU_DEP_1)
	v_cvt_f16_f32_e32 v0, v0
	v_and_b32_e32 v0, 0xffff, v0
	global_store_b32 v[8:9], v0, off
.LBB118_1576:
	s_mov_b32 s16, 0
.LBB118_1577:
	s_delay_alu instid0(SALU_CYCLE_1)
	s_and_not1_b32 vcc_lo, exec_lo, s16
	s_cbranch_vccnz .LBB118_1586
; %bb.1578:
	s_sext_i32_i16 s18, s20
	s_mov_b32 s16, -1
	s_cmp_lt_i32 s18, 6
	s_cbranch_scc1 .LBB118_1584
; %bb.1579:
	s_cmp_gt_i32 s18, 6
	s_cbranch_scc0 .LBB118_1581
; %bb.1580:
	s_wait_loadcnt 0x0
	v_cndmask_b32_e64 v0, 0, 1, s19
	s_mov_b32 s16, 0
	s_delay_alu instid0(VALU_DEP_1)
	v_cvt_f64_u32_e32 v[0:1], v0
	global_store_b64 v[8:9], v[0:1], off
.LBB118_1581:
	s_and_not1_b32 vcc_lo, exec_lo, s16
	s_cbranch_vccnz .LBB118_1583
; %bb.1582:
	s_wait_loadcnt 0x0
	v_cndmask_b32_e64 v0, 0, 1.0, s19
	global_store_b32 v[8:9], v0, off
.LBB118_1583:
	s_mov_b32 s16, 0
.LBB118_1584:
	s_delay_alu instid0(SALU_CYCLE_1)
	s_and_not1_b32 vcc_lo, exec_lo, s16
	s_cbranch_vccnz .LBB118_1586
; %bb.1585:
	s_wait_loadcnt 0x0
	v_cndmask_b32_e64 v0, 0, 1.0, s19
	s_delay_alu instid0(VALU_DEP_1)
	v_cvt_f16_f32_e32 v0, v0
	global_store_b16 v[8:9], v0, off
.LBB118_1586:
	s_mov_b32 s16, 0
.LBB118_1587:
	s_delay_alu instid0(SALU_CYCLE_1)
	s_and_not1_b32 vcc_lo, exec_lo, s16
	s_cbranch_vccnz .LBB118_1603
; %bb.1588:
	s_sext_i32_i16 s18, s20
	s_mov_b32 s16, -1
	s_cmp_lt_i32 s18, 2
	s_cbranch_scc1 .LBB118_1598
; %bb.1589:
	s_cmp_lt_i32 s18, 3
	s_cbranch_scc1 .LBB118_1595
; %bb.1590:
	s_cmp_gt_i32 s18, 3
	s_cbranch_scc0 .LBB118_1592
; %bb.1591:
	s_mov_b32 s16, 0
	s_wait_loadcnt 0x0
	v_cndmask_b32_e64 v0, 0, 1, s19
	v_mov_b32_e32 v1, s16
	global_store_b64 v[8:9], v[0:1], off
.LBB118_1592:
	s_and_not1_b32 vcc_lo, exec_lo, s16
	s_cbranch_vccnz .LBB118_1594
; %bb.1593:
	s_wait_loadcnt 0x0
	v_cndmask_b32_e64 v0, 0, 1, s19
	global_store_b32 v[8:9], v0, off
.LBB118_1594:
	s_mov_b32 s16, 0
.LBB118_1595:
	s_delay_alu instid0(SALU_CYCLE_1)
	s_and_not1_b32 vcc_lo, exec_lo, s16
	s_cbranch_vccnz .LBB118_1597
; %bb.1596:
	s_wait_loadcnt 0x0
	v_cndmask_b32_e64 v0, 0, 1, s19
	global_store_b16 v[8:9], v0, off
.LBB118_1597:
	s_mov_b32 s16, 0
.LBB118_1598:
	s_delay_alu instid0(SALU_CYCLE_1)
	s_and_not1_b32 vcc_lo, exec_lo, s16
	s_cbranch_vccnz .LBB118_1603
; %bb.1599:
	s_wait_loadcnt 0x0
	v_cndmask_b32_e64 v0, 0, 1, s19
	s_sext_i32_i16 s16, s20
	s_delay_alu instid0(SALU_CYCLE_1)
	s_cmp_gt_i32 s16, 0
	s_mov_b32 s16, -1
	s_cbranch_scc0 .LBB118_1601
; %bb.1600:
	s_mov_b32 s16, 0
	global_store_b8 v[8:9], v0, off
.LBB118_1601:
	s_and_not1_b32 vcc_lo, exec_lo, s16
	s_cbranch_vccnz .LBB118_1603
; %bb.1602:
	global_store_b8 v[8:9], v0, off
.LBB118_1603:
	s_wait_xcnt 0x0
	s_or_b32 exec_lo, exec_lo, s0
	s_delay_alu instid0(SALU_CYCLE_1)
	s_and_b32 s16, s17, exec_lo
                                        ; implicit-def: $vgpr14
.LBB118_1604:
	s_or_saveexec_b32 s15, s15
	s_mov_b32 s0, 0
                                        ; implicit-def: $sgpr17
                                        ; implicit-def: $sgpr18
                                        ; implicit-def: $vgpr0_vgpr1
	s_xor_b32 exec_lo, exec_lo, s15
	s_cbranch_execz .LBB118_2706
; %bb.1605:
	v_mul_lo_u32 v8, s9, v14
	s_and_b32 s14, s14, 0xff
	s_delay_alu instid0(SALU_CYCLE_1) | instskip(NEXT) | instid1(VALU_DEP_1)
	s_cmp_lt_i32 s14, 11
	v_ashrrev_i32_e32 v9, 31, v8
	s_wait_loadcnt 0x0
	s_delay_alu instid0(VALU_DEP_1)
	v_add_nc_u64_e32 v[4:5], s[6:7], v[8:9]
	s_cbranch_scc1 .LBB118_1612
; %bb.1606:
	s_and_b32 s0, 0xffff, s14
	s_mov_b32 s17, 0
	s_cmp_gt_i32 s0, 25
	s_cbranch_scc0 .LBB118_1614
; %bb.1607:
	s_cmp_gt_i32 s0, 28
	s_cbranch_scc0 .LBB118_1615
; %bb.1608:
	;; [unrolled: 3-line block ×4, first 2 shown]
	s_cmp_eq_u32 s0, 46
	s_mov_b32 s19, 0
	s_cbranch_scc0 .LBB118_1620
; %bb.1611:
	global_load_b32 v0, v[4:5], off
	s_mov_b32 s18, -1
	s_wait_loadcnt 0x0
	v_lshlrev_b32_e32 v1, 16, v0
	v_and_b32_e32 v2, 0xffff0000, v0
	s_delay_alu instid0(VALU_DEP_2) | instskip(NEXT) | instid1(VALU_DEP_2)
	v_cvt_f64_f32_e32 v[0:1], v1
	v_cvt_f64_f32_e32 v[2:3], v2
	s_branch .LBB118_1622
.LBB118_1612:
	s_mov_b32 s18, 0
	s_mov_b32 s13, s16
                                        ; implicit-def: $vgpr2_vgpr3
	s_cbranch_execnz .LBB118_1688
.LBB118_1613:
	s_and_not1_b32 vcc_lo, exec_lo, s18
	s_cbranch_vccz .LBB118_1735
	s_branch .LBB118_2703
.LBB118_1614:
	s_mov_b32 s18, 0
                                        ; implicit-def: $vgpr2_vgpr3
	s_cbranch_execnz .LBB118_1652
	s_branch .LBB118_1684
.LBB118_1615:
	s_mov_b32 s18, 0
                                        ; implicit-def: $vgpr2_vgpr3
	s_cbranch_execnz .LBB118_1634
	s_branch .LBB118_1651
.LBB118_1616:
	s_mov_b32 s19, -1
	s_mov_b32 s18, 0
                                        ; implicit-def: $vgpr2_vgpr3
	s_branch .LBB118_1628
.LBB118_1617:
	s_mov_b32 s19, -1
	s_branch .LBB118_1621
.LBB118_1618:
	s_and_not1_saveexec_b32 s24, s24
	s_cbranch_execz .LBB118_1517
.LBB118_1619:
	v_add_f32_e32 v0, 0x46000000, v1
	s_and_not1_b32 s23, s23, exec_lo
	s_delay_alu instid0(VALU_DEP_1) | instskip(NEXT) | instid1(VALU_DEP_1)
	v_and_b32_e32 v0, 0xff, v0
	v_cmp_ne_u32_e32 vcc_lo, 0, v0
	s_and_b32 s25, vcc_lo, exec_lo
	s_delay_alu instid0(SALU_CYCLE_1)
	s_or_b32 s23, s23, s25
	s_or_b32 exec_lo, exec_lo, s24
	v_mov_b32_e32 v2, 0
	s_and_saveexec_b32 s24, s23
	s_cbranch_execnz .LBB118_1518
	s_branch .LBB118_1519
.LBB118_1620:
	s_mov_b32 s13, -1
.LBB118_1621:
	s_mov_b32 s18, 0
                                        ; implicit-def: $vgpr2_vgpr3
.LBB118_1622:
	s_and_b32 vcc_lo, exec_lo, s19
	s_cbranch_vccz .LBB118_1627
; %bb.1623:
	s_cmp_eq_u32 s0, 44
	s_cbranch_scc0 .LBB118_1625
; %bb.1624:
	global_load_u8 v2, v[4:5], off
	s_mov_b32 s13, 0
	s_mov_b32 s18, -1
	s_wait_loadcnt 0x0
	v_cmp_ne_u32_e32 vcc_lo, 0xff, v2
	v_lshlrev_b32_e32 v0, 23, v2
	s_delay_alu instid0(VALU_DEP_1) | instskip(NEXT) | instid1(VALU_DEP_1)
	v_cvt_f64_f32_e32 v[0:1], v0
	v_cndmask_b32_e32 v0, 0x20000000, v0, vcc_lo
	s_delay_alu instid0(VALU_DEP_2) | instskip(SKIP_1) | instid1(VALU_DEP_2)
	v_cndmask_b32_e32 v1, 0x7ff80000, v1, vcc_lo
	v_cmp_ne_u32_e32 vcc_lo, 0, v2
	v_cndmask_b32_e32 v1, 0x38000000, v1, vcc_lo
	s_delay_alu instid0(VALU_DEP_4)
	v_cndmask_b32_e32 v0, 0, v0, vcc_lo
	s_branch .LBB118_1626
.LBB118_1625:
	s_mov_b32 s13, -1
                                        ; implicit-def: $vgpr0_vgpr1
.LBB118_1626:
	v_mov_b64_e32 v[2:3], 0
.LBB118_1627:
	s_mov_b32 s19, 0
.LBB118_1628:
	s_delay_alu instid0(SALU_CYCLE_1)
	s_and_b32 vcc_lo, exec_lo, s19
	s_cbranch_vccz .LBB118_1633
; %bb.1629:
	s_cmp_eq_u32 s0, 29
	s_cbranch_scc0 .LBB118_1631
; %bb.1630:
	global_load_b64 v[0:1], v[4:5], off
	s_mov_b32 s13, 0
	s_mov_b32 s18, -1
	s_wait_loadcnt 0x0
	v_cvt_f64_u32_e32 v[2:3], v1
	v_cvt_f64_u32_e32 v[0:1], v0
	s_delay_alu instid0(VALU_DEP_2) | instskip(NEXT) | instid1(VALU_DEP_1)
	v_ldexp_f64 v[2:3], v[2:3], 32
	v_add_f64_e32 v[0:1], v[2:3], v[0:1]
	s_branch .LBB118_1632
.LBB118_1631:
	s_mov_b32 s13, -1
                                        ; implicit-def: $vgpr0_vgpr1
.LBB118_1632:
	v_mov_b64_e32 v[2:3], 0
.LBB118_1633:
	s_branch .LBB118_1651
.LBB118_1634:
	s_cmp_lt_i32 s0, 27
	s_cbranch_scc1 .LBB118_1637
; %bb.1635:
	s_cmp_gt_i32 s0, 27
	s_cbranch_scc0 .LBB118_1638
; %bb.1636:
	global_load_b32 v0, v[4:5], off
	s_mov_b32 s18, 0
	s_wait_loadcnt 0x0
	v_cvt_f64_u32_e32 v[0:1], v0
	s_branch .LBB118_1639
.LBB118_1637:
	s_mov_b32 s18, -1
                                        ; implicit-def: $vgpr0_vgpr1
	s_branch .LBB118_1642
.LBB118_1638:
	s_mov_b32 s18, -1
                                        ; implicit-def: $vgpr0_vgpr1
.LBB118_1639:
	s_delay_alu instid0(SALU_CYCLE_1)
	s_and_not1_b32 vcc_lo, exec_lo, s18
	s_cbranch_vccnz .LBB118_1641
; %bb.1640:
	global_load_u16 v0, v[4:5], off
	s_wait_loadcnt 0x0
	v_cvt_f64_u32_e32 v[0:1], v0
.LBB118_1641:
	s_mov_b32 s18, 0
.LBB118_1642:
	s_delay_alu instid0(SALU_CYCLE_1)
	s_and_not1_b32 vcc_lo, exec_lo, s18
	s_cbranch_vccnz .LBB118_1650
; %bb.1643:
	global_load_u8 v2, v[4:5], off
	s_mov_b32 s18, 0
	s_mov_b32 s19, exec_lo
	s_wait_loadcnt 0x0
	v_cmpx_lt_i16_e32 0x7f, v2
	s_xor_b32 s19, exec_lo, s19
	s_cbranch_execz .LBB118_1663
; %bb.1644:
	s_mov_b32 s18, -1
	s_mov_b32 s20, exec_lo
	v_cmpx_eq_u16_e32 0x80, v2
; %bb.1645:
	s_xor_b32 s18, exec_lo, -1
; %bb.1646:
	s_or_b32 exec_lo, exec_lo, s20
	s_delay_alu instid0(SALU_CYCLE_1)
	s_and_b32 s18, s18, exec_lo
	s_or_saveexec_b32 s19, s19
	v_mov_b64_e32 v[0:1], 0x7ff8000020000000
	s_xor_b32 exec_lo, exec_lo, s19
	s_cbranch_execnz .LBB118_1664
.LBB118_1647:
	s_or_b32 exec_lo, exec_lo, s19
	s_and_saveexec_b32 s19, s18
	s_cbranch_execz .LBB118_1649
.LBB118_1648:
	v_and_b32_e32 v0, 0xffff, v2
	s_delay_alu instid0(VALU_DEP_1) | instskip(SKIP_1) | instid1(VALU_DEP_2)
	v_and_b32_e32 v1, 7, v0
	v_bfe_u32 v7, v0, 3, 4
	v_clz_i32_u32_e32 v3, v1
	s_delay_alu instid0(VALU_DEP_2) | instskip(NEXT) | instid1(VALU_DEP_2)
	v_cmp_eq_u32_e32 vcc_lo, 0, v7
	v_min_u32_e32 v3, 32, v3
	s_delay_alu instid0(VALU_DEP_1) | instskip(NEXT) | instid1(VALU_DEP_1)
	v_subrev_nc_u32_e32 v6, 28, v3
	v_dual_lshlrev_b32 v0, v6, v0 :: v_dual_sub_nc_u32 v3, 29, v3
	s_delay_alu instid0(VALU_DEP_1) | instskip(NEXT) | instid1(VALU_DEP_1)
	v_dual_lshlrev_b32 v2, 24, v2 :: v_dual_bitop2_b32 v0, 7, v0 bitop3:0x40
	v_dual_cndmask_b32 v3, v7, v3 :: v_dual_cndmask_b32 v0, v1, v0
	s_delay_alu instid0(VALU_DEP_2) | instskip(NEXT) | instid1(VALU_DEP_2)
	v_and_b32_e32 v1, 0x80000000, v2
	v_lshl_add_u32 v2, v3, 23, 0x3b800000
	s_delay_alu instid0(VALU_DEP_3) | instskip(NEXT) | instid1(VALU_DEP_1)
	v_lshlrev_b32_e32 v0, 20, v0
	v_or3_b32 v0, v1, v2, v0
	s_delay_alu instid0(VALU_DEP_1)
	v_cvt_f64_f32_e32 v[0:1], v0
.LBB118_1649:
	s_or_b32 exec_lo, exec_lo, s19
.LBB118_1650:
	v_mov_b64_e32 v[2:3], 0
	s_mov_b32 s18, -1
.LBB118_1651:
	s_branch .LBB118_1684
.LBB118_1652:
	s_cmp_gt_i32 s0, 22
	s_cbranch_scc0 .LBB118_1662
; %bb.1653:
	s_cmp_lt_i32 s0, 24
	s_cbranch_scc1 .LBB118_1665
; %bb.1654:
	s_cmp_gt_i32 s0, 24
	s_cbranch_scc0 .LBB118_1666
; %bb.1655:
	global_load_u8 v2, v[4:5], off
	s_mov_b32 s18, exec_lo
	s_wait_loadcnt 0x0
	v_cmpx_lt_i16_e32 0x7f, v2
	s_xor_b32 s18, exec_lo, s18
	s_cbranch_execz .LBB118_1677
; %bb.1656:
	s_mov_b32 s17, -1
	s_mov_b32 s19, exec_lo
	v_cmpx_eq_u16_e32 0x80, v2
; %bb.1657:
	s_xor_b32 s17, exec_lo, -1
; %bb.1658:
	s_or_b32 exec_lo, exec_lo, s19
	s_delay_alu instid0(SALU_CYCLE_1)
	s_and_b32 s17, s17, exec_lo
	s_or_saveexec_b32 s18, s18
	v_mov_b64_e32 v[0:1], 0x7ff8000020000000
	s_xor_b32 exec_lo, exec_lo, s18
	s_cbranch_execnz .LBB118_1678
.LBB118_1659:
	s_or_b32 exec_lo, exec_lo, s18
	s_and_saveexec_b32 s18, s17
	s_cbranch_execz .LBB118_1661
.LBB118_1660:
	v_and_b32_e32 v0, 0xffff, v2
	s_delay_alu instid0(VALU_DEP_1) | instskip(SKIP_1) | instid1(VALU_DEP_2)
	v_and_b32_e32 v1, 3, v0
	v_bfe_u32 v7, v0, 2, 5
	v_clz_i32_u32_e32 v3, v1
	s_delay_alu instid0(VALU_DEP_2) | instskip(NEXT) | instid1(VALU_DEP_2)
	v_cmp_eq_u32_e32 vcc_lo, 0, v7
	v_min_u32_e32 v3, 32, v3
	s_delay_alu instid0(VALU_DEP_1) | instskip(NEXT) | instid1(VALU_DEP_1)
	v_subrev_nc_u32_e32 v6, 29, v3
	v_dual_lshlrev_b32 v0, v6, v0 :: v_dual_sub_nc_u32 v3, 30, v3
	s_delay_alu instid0(VALU_DEP_1) | instskip(NEXT) | instid1(VALU_DEP_1)
	v_dual_lshlrev_b32 v2, 24, v2 :: v_dual_bitop2_b32 v0, 3, v0 bitop3:0x40
	v_dual_cndmask_b32 v3, v7, v3 :: v_dual_cndmask_b32 v0, v1, v0
	s_delay_alu instid0(VALU_DEP_2) | instskip(NEXT) | instid1(VALU_DEP_2)
	v_and_b32_e32 v1, 0x80000000, v2
	v_lshl_add_u32 v2, v3, 23, 0x37800000
	s_delay_alu instid0(VALU_DEP_3) | instskip(NEXT) | instid1(VALU_DEP_1)
	v_lshlrev_b32_e32 v0, 21, v0
	v_or3_b32 v0, v1, v2, v0
	s_delay_alu instid0(VALU_DEP_1)
	v_cvt_f64_f32_e32 v[0:1], v0
.LBB118_1661:
	s_or_b32 exec_lo, exec_lo, s18
	s_mov_b32 s17, 0
	s_branch .LBB118_1667
.LBB118_1662:
                                        ; implicit-def: $vgpr0_vgpr1
	s_mov_b32 s17, 0
	s_branch .LBB118_1673
.LBB118_1663:
	s_or_saveexec_b32 s19, s19
	v_mov_b64_e32 v[0:1], 0x7ff8000020000000
	s_xor_b32 exec_lo, exec_lo, s19
	s_cbranch_execz .LBB118_1647
.LBB118_1664:
	v_cmp_ne_u16_e32 vcc_lo, 0, v2
	v_mov_b64_e32 v[0:1], 0
	s_and_not1_b32 s18, s18, exec_lo
	s_and_b32 s20, vcc_lo, exec_lo
	s_delay_alu instid0(SALU_CYCLE_1)
	s_or_b32 s18, s18, s20
	s_or_b32 exec_lo, exec_lo, s19
	s_and_saveexec_b32 s19, s18
	s_cbranch_execnz .LBB118_1648
	s_branch .LBB118_1649
.LBB118_1665:
	s_mov_b32 s17, -1
                                        ; implicit-def: $vgpr0_vgpr1
	s_branch .LBB118_1670
.LBB118_1666:
	s_mov_b32 s17, -1
                                        ; implicit-def: $vgpr0_vgpr1
.LBB118_1667:
	s_delay_alu instid0(SALU_CYCLE_1)
	s_and_b32 vcc_lo, exec_lo, s17
	s_cbranch_vccz .LBB118_1669
; %bb.1668:
	global_load_u8 v0, v[4:5], off
	s_wait_loadcnt 0x0
	v_lshlrev_b32_e32 v0, 24, v0
	s_delay_alu instid0(VALU_DEP_1) | instskip(NEXT) | instid1(VALU_DEP_1)
	v_and_b32_e32 v1, 0x7f000000, v0
	v_clz_i32_u32_e32 v2, v1
	v_cmp_ne_u32_e32 vcc_lo, 0, v1
	v_add_nc_u32_e32 v6, 0x1000000, v1
	s_delay_alu instid0(VALU_DEP_3) | instskip(NEXT) | instid1(VALU_DEP_1)
	v_min_u32_e32 v2, 32, v2
	v_sub_nc_u32_e64 v2, v2, 4 clamp
	s_delay_alu instid0(VALU_DEP_1) | instskip(NEXT) | instid1(VALU_DEP_1)
	v_dual_lshlrev_b32 v3, v2, v1 :: v_dual_lshlrev_b32 v2, 23, v2
	v_lshrrev_b32_e32 v3, 4, v3
	s_delay_alu instid0(VALU_DEP_1) | instskip(SKIP_1) | instid1(VALU_DEP_2)
	v_sub_nc_u32_e32 v2, v3, v2
	v_ashrrev_i32_e32 v3, 8, v6
	v_add_nc_u32_e32 v2, 0x3c000000, v2
	s_delay_alu instid0(VALU_DEP_1) | instskip(NEXT) | instid1(VALU_DEP_1)
	v_and_or_b32 v2, 0x7f800000, v3, v2
	v_cndmask_b32_e32 v1, 0, v2, vcc_lo
	s_delay_alu instid0(VALU_DEP_1) | instskip(NEXT) | instid1(VALU_DEP_1)
	v_and_or_b32 v0, 0x80000000, v0, v1
	v_cvt_f64_f32_e32 v[0:1], v0
.LBB118_1669:
	s_mov_b32 s17, 0
.LBB118_1670:
	s_delay_alu instid0(SALU_CYCLE_1)
	s_and_not1_b32 vcc_lo, exec_lo, s17
	s_cbranch_vccnz .LBB118_1672
; %bb.1671:
	global_load_u8 v0, v[4:5], off
	s_wait_loadcnt 0x0
	v_lshlrev_b32_e32 v1, 25, v0
	v_lshlrev_b16 v0, 8, v0
	s_delay_alu instid0(VALU_DEP_1) | instskip(SKIP_1) | instid1(VALU_DEP_2)
	v_and_or_b32 v3, 0x7f00, v0, 0.5
	v_bfe_i32 v0, v0, 0, 16
	v_dual_add_f32 v3, -0.5, v3 :: v_dual_lshrrev_b32 v2, 4, v1
	v_cmp_gt_u32_e32 vcc_lo, 0x8000000, v1
	s_delay_alu instid0(VALU_DEP_2) | instskip(NEXT) | instid1(VALU_DEP_1)
	v_or_b32_e32 v2, 0x70000000, v2
	v_mul_f32_e32 v2, 0x7800000, v2
	s_delay_alu instid0(VALU_DEP_1) | instskip(NEXT) | instid1(VALU_DEP_1)
	v_cndmask_b32_e32 v1, v2, v3, vcc_lo
	v_and_or_b32 v0, 0x80000000, v0, v1
	s_delay_alu instid0(VALU_DEP_1)
	v_cvt_f64_f32_e32 v[0:1], v0
.LBB118_1672:
	s_mov_b32 s18, -1
	s_mov_b32 s17, 0
	s_cbranch_execnz .LBB118_1683
.LBB118_1673:
	s_cmp_gt_i32 s0, 14
	s_cbranch_scc0 .LBB118_1676
; %bb.1674:
	s_cmp_eq_u32 s0, 15
	s_cbranch_scc0 .LBB118_1679
; %bb.1675:
	global_load_u16 v0, v[4:5], off
	s_mov_b32 s13, 0
	s_mov_b32 s18, -1
	s_wait_loadcnt 0x0
	v_lshlrev_b32_e32 v0, 16, v0
	s_delay_alu instid0(VALU_DEP_1)
	v_cvt_f64_f32_e32 v[0:1], v0
	s_branch .LBB118_1681
.LBB118_1676:
	s_mov_b32 s17, -1
	s_branch .LBB118_1680
.LBB118_1677:
	s_or_saveexec_b32 s18, s18
	v_mov_b64_e32 v[0:1], 0x7ff8000020000000
	s_xor_b32 exec_lo, exec_lo, s18
	s_cbranch_execz .LBB118_1659
.LBB118_1678:
	v_cmp_ne_u16_e32 vcc_lo, 0, v2
	v_mov_b64_e32 v[0:1], 0
	s_and_not1_b32 s17, s17, exec_lo
	s_and_b32 s19, vcc_lo, exec_lo
	s_delay_alu instid0(SALU_CYCLE_1)
	s_or_b32 s17, s17, s19
	s_or_b32 exec_lo, exec_lo, s18
	s_and_saveexec_b32 s18, s17
	s_cbranch_execnz .LBB118_1660
	s_branch .LBB118_1661
.LBB118_1679:
	s_mov_b32 s13, -1
.LBB118_1680:
                                        ; implicit-def: $vgpr0_vgpr1
.LBB118_1681:
	s_and_b32 vcc_lo, exec_lo, s17
	s_mov_b32 s17, 0
	s_cbranch_vccz .LBB118_1683
; %bb.1682:
	s_cmp_lg_u32 s0, 11
	s_mov_b32 s17, -1
	s_cselect_b32 s13, -1, 0
.LBB118_1683:
	v_mov_b64_e32 v[2:3], 0
.LBB118_1684:
	s_and_b32 vcc_lo, exec_lo, s13
	s_mov_b32 s13, s16
	s_cbranch_vccnz .LBB118_1747
; %bb.1685:
	s_and_not1_b32 vcc_lo, exec_lo, s17
	s_cbranch_vccnz .LBB118_1687
.LBB118_1686:
	global_load_u8 v0, v[4:5], off
	v_mov_b64_e32 v[2:3], 0
	s_mov_b32 s18, -1
	s_wait_loadcnt 0x0
	v_cmp_ne_u16_e32 vcc_lo, 0, v0
	v_mov_b32_e32 v0, 0
	v_cndmask_b32_e64 v1, 0, 0x3ff00000, vcc_lo
.LBB118_1687:
	s_branch .LBB118_1613
.LBB118_1688:
	s_and_b32 s0, 0xffff, s14
	s_delay_alu instid0(SALU_CYCLE_1)
	s_cmp_lt_i32 s0, 5
	s_cbranch_scc1 .LBB118_1693
; %bb.1689:
	s_cmp_lt_i32 s0, 8
	s_cbranch_scc1 .LBB118_1695
; %bb.1690:
	;; [unrolled: 3-line block ×3, first 2 shown]
	s_cmp_gt_i32 s0, 9
	s_cbranch_scc0 .LBB118_1697
; %bb.1692:
	global_load_b128 v[0:3], v[4:5], off
	s_mov_b32 s17, 0
	s_branch .LBB118_1698
.LBB118_1693:
                                        ; implicit-def: $vgpr2_vgpr3
	s_branch .LBB118_1716
.LBB118_1694:
	s_branch .LBB118_1735
.LBB118_1695:
                                        ; implicit-def: $vgpr2_vgpr3
	s_branch .LBB118_1704
.LBB118_1696:
	s_mov_b32 s17, -1
                                        ; implicit-def: $vgpr2_vgpr3
	s_branch .LBB118_1701
.LBB118_1697:
	s_mov_b32 s17, -1
                                        ; implicit-def: $vgpr2_vgpr3
.LBB118_1698:
	s_delay_alu instid0(SALU_CYCLE_1)
	s_and_not1_b32 vcc_lo, exec_lo, s17
	s_cbranch_vccnz .LBB118_1700
; %bb.1699:
	s_wait_loadcnt 0x0
	global_load_b64 v[2:3], v[4:5], off
	s_wait_loadcnt 0x0
	v_cvt_f64_f32_e32 v[0:1], v2
	v_cvt_f64_f32_e32 v[2:3], v3
.LBB118_1700:
	s_mov_b32 s17, 0
.LBB118_1701:
	s_delay_alu instid0(SALU_CYCLE_1)
	s_and_not1_b32 vcc_lo, exec_lo, s17
	s_cbranch_vccnz .LBB118_1703
; %bb.1702:
	s_wait_loadcnt 0x0
	global_load_b32 v0, v[4:5], off
	s_wait_loadcnt 0x0
	v_lshrrev_b32_e32 v1, 16, v0
	v_cvt_f32_f16_e32 v0, v0
	s_delay_alu instid0(VALU_DEP_2) | instskip(NEXT) | instid1(VALU_DEP_2)
	v_cvt_f32_f16_e32 v2, v1
	v_cvt_f64_f32_e32 v[0:1], v0
	s_delay_alu instid0(VALU_DEP_2)
	v_cvt_f64_f32_e32 v[2:3], v2
.LBB118_1703:
	s_cbranch_execnz .LBB118_1715
.LBB118_1704:
	s_cmp_lt_i32 s0, 6
	s_cbranch_scc1 .LBB118_1707
; %bb.1705:
	s_cmp_gt_i32 s0, 6
	s_cbranch_scc0 .LBB118_1708
; %bb.1706:
	s_wait_loadcnt 0x0
	global_load_b64 v[0:1], v[4:5], off
	s_mov_b32 s17, 0
	s_branch .LBB118_1709
.LBB118_1707:
	s_mov_b32 s17, -1
                                        ; implicit-def: $vgpr0_vgpr1
	s_branch .LBB118_1712
.LBB118_1708:
	s_mov_b32 s17, -1
                                        ; implicit-def: $vgpr0_vgpr1
.LBB118_1709:
	s_delay_alu instid0(SALU_CYCLE_1)
	s_and_not1_b32 vcc_lo, exec_lo, s17
	s_cbranch_vccnz .LBB118_1711
; %bb.1710:
	s_wait_loadcnt 0x0
	global_load_b32 v0, v[4:5], off
	s_wait_loadcnt 0x0
	v_cvt_f64_f32_e32 v[0:1], v0
.LBB118_1711:
	s_mov_b32 s17, 0
.LBB118_1712:
	s_delay_alu instid0(SALU_CYCLE_1)
	s_and_not1_b32 vcc_lo, exec_lo, s17
	s_cbranch_vccnz .LBB118_1714
; %bb.1713:
	s_wait_loadcnt 0x0
	global_load_u16 v0, v[4:5], off
	s_wait_loadcnt 0x0
	v_cvt_f32_f16_e32 v0, v0
	s_delay_alu instid0(VALU_DEP_1)
	v_cvt_f64_f32_e32 v[0:1], v0
.LBB118_1714:
	s_wait_loadcnt 0x0
	v_mov_b64_e32 v[2:3], 0
.LBB118_1715:
	s_cbranch_execnz .LBB118_1694
.LBB118_1716:
	s_cmp_lt_i32 s0, 2
	s_cbranch_scc1 .LBB118_1720
; %bb.1717:
	s_cmp_lt_i32 s0, 3
	s_cbranch_scc1 .LBB118_1721
; %bb.1718:
	s_cmp_gt_i32 s0, 3
	s_cbranch_scc0 .LBB118_1722
; %bb.1719:
	s_wait_loadcnt 0x0
	global_load_b64 v[0:1], v[4:5], off
	s_mov_b32 s17, 0
	s_wait_loadcnt 0x0
	v_cvt_f64_i32_e32 v[2:3], v1
	v_cvt_f64_u32_e32 v[0:1], v0
	s_delay_alu instid0(VALU_DEP_2) | instskip(NEXT) | instid1(VALU_DEP_1)
	v_ldexp_f64 v[2:3], v[2:3], 32
	v_add_f64_e32 v[0:1], v[2:3], v[0:1]
	s_branch .LBB118_1723
.LBB118_1720:
                                        ; implicit-def: $vgpr0_vgpr1
	s_branch .LBB118_1729
.LBB118_1721:
	s_mov_b32 s17, -1
                                        ; implicit-def: $vgpr0_vgpr1
	s_branch .LBB118_1726
.LBB118_1722:
	s_mov_b32 s17, -1
                                        ; implicit-def: $vgpr0_vgpr1
.LBB118_1723:
	s_delay_alu instid0(SALU_CYCLE_1)
	s_and_not1_b32 vcc_lo, exec_lo, s17
	s_cbranch_vccnz .LBB118_1725
; %bb.1724:
	s_wait_loadcnt 0x0
	global_load_b32 v0, v[4:5], off
	s_wait_loadcnt 0x0
	v_cvt_f64_i32_e32 v[0:1], v0
.LBB118_1725:
	s_mov_b32 s17, 0
.LBB118_1726:
	s_delay_alu instid0(SALU_CYCLE_1)
	s_and_not1_b32 vcc_lo, exec_lo, s17
	s_cbranch_vccnz .LBB118_1728
; %bb.1727:
	s_wait_loadcnt 0x0
	global_load_i16 v0, v[4:5], off
	s_wait_loadcnt 0x0
	v_cvt_f64_i32_e32 v[0:1], v0
.LBB118_1728:
	s_cbranch_execnz .LBB118_1734
.LBB118_1729:
	s_cmp_gt_i32 s0, 0
	s_mov_b32 s0, 0
	s_cbranch_scc0 .LBB118_1731
; %bb.1730:
	s_wait_loadcnt 0x0
	global_load_i8 v0, v[4:5], off
	s_wait_loadcnt 0x0
	v_cvt_f64_i32_e32 v[0:1], v0
	s_branch .LBB118_1732
.LBB118_1731:
	s_mov_b32 s0, -1
                                        ; implicit-def: $vgpr0_vgpr1
.LBB118_1732:
	s_delay_alu instid0(SALU_CYCLE_1)
	s_and_not1_b32 vcc_lo, exec_lo, s0
	s_cbranch_vccnz .LBB118_1734
; %bb.1733:
	s_wait_loadcnt 0x0
	global_load_u8 v0, v[4:5], off
	s_wait_loadcnt 0x0
	v_cvt_f64_u32_e32 v[0:1], v0
.LBB118_1734:
	s_wait_loadcnt 0x0
	v_mov_b64_e32 v[2:3], 0
.LBB118_1735:
	v_mul_lo_u32 v10, s10, v14
	s_and_b32 s17, s1, 0xff
	s_delay_alu instid0(SALU_CYCLE_1) | instskip(NEXT) | instid1(VALU_DEP_1)
	s_cmp_lt_i32 s17, 11
	v_ashrrev_i32_e32 v11, 31, v10
	s_delay_alu instid0(VALU_DEP_1)
	v_add_nc_u64_e32 v[12:13], s[2:3], v[10:11]
	s_cbranch_scc1 .LBB118_1742
; %bb.1736:
	s_and_b32 s0, 0xffff, s17
	s_mov_b32 s18, 0
	s_cmp_gt_i32 s0, 25
	s_cbranch_scc0 .LBB118_1744
; %bb.1737:
	s_cmp_gt_i32 s0, 28
	s_cbranch_scc0 .LBB118_1745
; %bb.1738:
	;; [unrolled: 3-line block ×4, first 2 shown]
	s_cmp_eq_u32 s0, 46
	s_mov_b32 s20, 0
	s_cbranch_scc0 .LBB118_1751
; %bb.1741:
	global_load_b32 v4, v[12:13], off
	s_mov_b32 s1, 0
	s_mov_b32 s19, -1
	s_wait_loadcnt 0x0
	v_lshlrev_b32_e32 v5, 16, v4
	v_and_b32_e32 v6, 0xffff0000, v4
	s_delay_alu instid0(VALU_DEP_2) | instskip(NEXT) | instid1(VALU_DEP_2)
	v_cvt_f64_f32_e32 v[4:5], v5
	v_cvt_f64_f32_e32 v[6:7], v6
	s_branch .LBB118_1753
.LBB118_1742:
	s_mov_b32 s19, 0
                                        ; implicit-def: $vgpr6_vgpr7
	s_cbranch_execnz .LBB118_1821
.LBB118_1743:
	s_and_not1_b32 vcc_lo, exec_lo, s19
	s_cbranch_vccnz .LBB118_2703
	s_branch .LBB118_1870
.LBB118_1744:
	s_mov_b32 s19, 0
	s_mov_b32 s1, 0
                                        ; implicit-def: $vgpr6_vgpr7
	s_cbranch_execnz .LBB118_1784
	s_branch .LBB118_1817
.LBB118_1745:
	s_mov_b32 s20, -1
	s_mov_b32 s19, 0
	s_mov_b32 s1, 0
                                        ; implicit-def: $vgpr6_vgpr7
	s_branch .LBB118_1765
.LBB118_1746:
	s_mov_b32 s20, -1
	s_mov_b32 s19, 0
	s_mov_b32 s1, 0
                                        ; implicit-def: $vgpr6_vgpr7
	s_branch .LBB118_1759
.LBB118_1747:
	s_or_b32 s13, s16, exec_lo
	s_trap 2
	s_cbranch_execz .LBB118_1686
	s_branch .LBB118_1687
.LBB118_1748:
	s_mov_b32 s20, -1
	s_mov_b32 s19, 0
	s_mov_b32 s1, 0
	s_branch .LBB118_1752
.LBB118_1749:
	s_and_not1_saveexec_b32 s25, s25
	s_cbranch_execz .LBB118_1529
.LBB118_1750:
	v_add_f32_e32 v0, 0x42800000, v1
	s_and_not1_b32 s24, s24, exec_lo
	s_delay_alu instid0(VALU_DEP_1) | instskip(NEXT) | instid1(VALU_DEP_1)
	v_and_b32_e32 v0, 0xff, v0
	v_cmp_ne_u32_e32 vcc_lo, 0, v0
	s_and_b32 s26, vcc_lo, exec_lo
	s_delay_alu instid0(SALU_CYCLE_1)
	s_or_b32 s24, s24, s26
	s_or_b32 exec_lo, exec_lo, s25
	v_mov_b32_e32 v2, 0
	s_and_saveexec_b32 s25, s24
	s_cbranch_execnz .LBB118_1530
	s_branch .LBB118_1531
.LBB118_1751:
	s_mov_b32 s1, -1
	s_mov_b32 s19, 0
.LBB118_1752:
                                        ; implicit-def: $vgpr6_vgpr7
.LBB118_1753:
	s_and_b32 vcc_lo, exec_lo, s20
	s_cbranch_vccz .LBB118_1758
; %bb.1754:
	s_cmp_eq_u32 s0, 44
	s_cbranch_scc0 .LBB118_1756
; %bb.1755:
	global_load_u8 v6, v[12:13], off
	s_mov_b32 s1, 0
	s_mov_b32 s19, -1
	s_wait_loadcnt 0x0
	v_cmp_ne_u32_e32 vcc_lo, 0xff, v6
	s_wait_xcnt 0x1
	v_lshlrev_b32_e32 v4, 23, v6
	s_delay_alu instid0(VALU_DEP_1) | instskip(NEXT) | instid1(VALU_DEP_1)
	v_cvt_f64_f32_e32 v[4:5], v4
	v_cndmask_b32_e32 v4, 0x20000000, v4, vcc_lo
	s_delay_alu instid0(VALU_DEP_2) | instskip(SKIP_1) | instid1(VALU_DEP_2)
	v_cndmask_b32_e32 v5, 0x7ff80000, v5, vcc_lo
	v_cmp_ne_u32_e32 vcc_lo, 0, v6
	v_cndmask_b32_e32 v5, 0x38000000, v5, vcc_lo
	s_delay_alu instid0(VALU_DEP_4)
	v_cndmask_b32_e32 v4, 0, v4, vcc_lo
	s_branch .LBB118_1757
.LBB118_1756:
	s_mov_b32 s1, -1
                                        ; implicit-def: $vgpr4_vgpr5
.LBB118_1757:
	v_mov_b64_e32 v[6:7], 0
.LBB118_1758:
	s_mov_b32 s20, 0
.LBB118_1759:
	s_delay_alu instid0(SALU_CYCLE_1)
	s_and_b32 vcc_lo, exec_lo, s20
	s_cbranch_vccz .LBB118_1764
; %bb.1760:
	s_cmp_eq_u32 s0, 29
	s_cbranch_scc0 .LBB118_1762
; %bb.1761:
	global_load_b64 v[4:5], v[12:13], off
	s_mov_b32 s1, 0
	s_mov_b32 s19, -1
	s_wait_loadcnt 0x0
	v_cvt_f64_u32_e32 v[6:7], v5
	v_cvt_f64_u32_e32 v[4:5], v4
	s_delay_alu instid0(VALU_DEP_2) | instskip(NEXT) | instid1(VALU_DEP_1)
	v_ldexp_f64 v[6:7], v[6:7], 32
	v_add_f64_e32 v[4:5], v[6:7], v[4:5]
	s_branch .LBB118_1763
.LBB118_1762:
	s_mov_b32 s1, -1
                                        ; implicit-def: $vgpr4_vgpr5
.LBB118_1763:
	v_mov_b64_e32 v[6:7], 0
.LBB118_1764:
	s_mov_b32 s20, 0
.LBB118_1765:
	s_delay_alu instid0(SALU_CYCLE_1)
	s_and_b32 vcc_lo, exec_lo, s20
	s_cbranch_vccz .LBB118_1783
; %bb.1766:
	s_cmp_lt_i32 s0, 27
	s_cbranch_scc1 .LBB118_1769
; %bb.1767:
	s_cmp_gt_i32 s0, 27
	s_cbranch_scc0 .LBB118_1770
; %bb.1768:
	global_load_b32 v4, v[12:13], off
	s_mov_b32 s19, 0
	s_wait_loadcnt 0x0
	v_cvt_f64_u32_e32 v[4:5], v4
	s_branch .LBB118_1771
.LBB118_1769:
	s_mov_b32 s19, -1
                                        ; implicit-def: $vgpr4_vgpr5
	s_branch .LBB118_1774
.LBB118_1770:
	s_mov_b32 s19, -1
                                        ; implicit-def: $vgpr4_vgpr5
.LBB118_1771:
	s_delay_alu instid0(SALU_CYCLE_1)
	s_and_not1_b32 vcc_lo, exec_lo, s19
	s_cbranch_vccnz .LBB118_1773
; %bb.1772:
	global_load_u16 v4, v[12:13], off
	s_wait_loadcnt 0x0
	v_cvt_f64_u32_e32 v[4:5], v4
.LBB118_1773:
	s_mov_b32 s19, 0
.LBB118_1774:
	s_delay_alu instid0(SALU_CYCLE_1)
	s_and_not1_b32 vcc_lo, exec_lo, s19
	s_cbranch_vccnz .LBB118_1782
; %bb.1775:
	global_load_u8 v6, v[12:13], off
	s_mov_b32 s19, 0
	s_mov_b32 s20, exec_lo
	s_wait_loadcnt 0x0
	v_cmpx_lt_i16_e32 0x7f, v6
	s_xor_b32 s20, exec_lo, s20
	s_cbranch_execz .LBB118_1795
; %bb.1776:
	s_mov_b32 s19, -1
	s_mov_b32 s21, exec_lo
	v_cmpx_eq_u16_e32 0x80, v6
; %bb.1777:
	s_xor_b32 s19, exec_lo, -1
; %bb.1778:
	s_or_b32 exec_lo, exec_lo, s21
	s_delay_alu instid0(SALU_CYCLE_1)
	s_and_b32 s19, s19, exec_lo
	s_or_saveexec_b32 s20, s20
	v_mov_b64_e32 v[4:5], 0x7ff8000020000000
	s_xor_b32 exec_lo, exec_lo, s20
	s_cbranch_execnz .LBB118_1796
.LBB118_1779:
	s_or_b32 exec_lo, exec_lo, s20
	s_and_saveexec_b32 s20, s19
	s_cbranch_execz .LBB118_1781
.LBB118_1780:
	v_and_b32_e32 v4, 0xffff, v6
	s_delay_alu instid0(VALU_DEP_1) | instskip(SKIP_1) | instid1(VALU_DEP_2)
	v_and_b32_e32 v5, 7, v4
	v_bfe_u32 v11, v4, 3, 4
	v_clz_i32_u32_e32 v7, v5
	s_delay_alu instid0(VALU_DEP_2) | instskip(NEXT) | instid1(VALU_DEP_2)
	v_cmp_eq_u32_e32 vcc_lo, 0, v11
	v_min_u32_e32 v7, 32, v7
	s_delay_alu instid0(VALU_DEP_1) | instskip(NEXT) | instid1(VALU_DEP_1)
	v_subrev_nc_u32_e32 v9, 28, v7
	v_dual_lshlrev_b32 v4, v9, v4 :: v_dual_sub_nc_u32 v7, 29, v7
	s_delay_alu instid0(VALU_DEP_1) | instskip(NEXT) | instid1(VALU_DEP_1)
	v_dual_lshlrev_b32 v6, 24, v6 :: v_dual_bitop2_b32 v4, 7, v4 bitop3:0x40
	v_dual_cndmask_b32 v7, v11, v7 :: v_dual_cndmask_b32 v4, v5, v4
	s_delay_alu instid0(VALU_DEP_2) | instskip(NEXT) | instid1(VALU_DEP_2)
	v_and_b32_e32 v5, 0x80000000, v6
	v_lshl_add_u32 v6, v7, 23, 0x3b800000
	s_delay_alu instid0(VALU_DEP_3) | instskip(NEXT) | instid1(VALU_DEP_1)
	v_lshlrev_b32_e32 v4, 20, v4
	v_or3_b32 v4, v5, v6, v4
	s_delay_alu instid0(VALU_DEP_1)
	v_cvt_f64_f32_e32 v[4:5], v4
.LBB118_1781:
	s_or_b32 exec_lo, exec_lo, s20
.LBB118_1782:
	v_mov_b64_e32 v[6:7], 0
	s_mov_b32 s19, -1
.LBB118_1783:
	s_branch .LBB118_1817
.LBB118_1784:
	s_cmp_gt_i32 s0, 22
	s_cbranch_scc0 .LBB118_1794
; %bb.1785:
	s_cmp_lt_i32 s0, 24
	s_cbranch_scc1 .LBB118_1797
; %bb.1786:
	s_cmp_gt_i32 s0, 24
	s_cbranch_scc0 .LBB118_1798
; %bb.1787:
	global_load_u8 v6, v[12:13], off
	s_mov_b32 s19, exec_lo
	s_wait_loadcnt 0x0
	v_cmpx_lt_i16_e32 0x7f, v6
	s_xor_b32 s19, exec_lo, s19
	s_cbranch_execz .LBB118_1810
; %bb.1788:
	s_mov_b32 s18, -1
	s_mov_b32 s20, exec_lo
	v_cmpx_eq_u16_e32 0x80, v6
; %bb.1789:
	s_xor_b32 s18, exec_lo, -1
; %bb.1790:
	s_or_b32 exec_lo, exec_lo, s20
	s_delay_alu instid0(SALU_CYCLE_1)
	s_and_b32 s18, s18, exec_lo
	s_or_saveexec_b32 s19, s19
	v_mov_b64_e32 v[4:5], 0x7ff8000020000000
	s_xor_b32 exec_lo, exec_lo, s19
	s_cbranch_execnz .LBB118_1811
.LBB118_1791:
	s_or_b32 exec_lo, exec_lo, s19
	s_and_saveexec_b32 s19, s18
	s_cbranch_execz .LBB118_1793
.LBB118_1792:
	v_and_b32_e32 v4, 0xffff, v6
	s_delay_alu instid0(VALU_DEP_1) | instskip(SKIP_1) | instid1(VALU_DEP_2)
	v_and_b32_e32 v5, 3, v4
	v_bfe_u32 v11, v4, 2, 5
	v_clz_i32_u32_e32 v7, v5
	s_delay_alu instid0(VALU_DEP_2) | instskip(NEXT) | instid1(VALU_DEP_2)
	v_cmp_eq_u32_e32 vcc_lo, 0, v11
	v_min_u32_e32 v7, 32, v7
	s_delay_alu instid0(VALU_DEP_1) | instskip(NEXT) | instid1(VALU_DEP_1)
	v_subrev_nc_u32_e32 v9, 29, v7
	v_dual_lshlrev_b32 v4, v9, v4 :: v_dual_sub_nc_u32 v7, 30, v7
	s_delay_alu instid0(VALU_DEP_1) | instskip(NEXT) | instid1(VALU_DEP_1)
	v_dual_lshlrev_b32 v6, 24, v6 :: v_dual_bitop2_b32 v4, 3, v4 bitop3:0x40
	v_dual_cndmask_b32 v7, v11, v7 :: v_dual_cndmask_b32 v4, v5, v4
	s_delay_alu instid0(VALU_DEP_2) | instskip(NEXT) | instid1(VALU_DEP_2)
	v_and_b32_e32 v5, 0x80000000, v6
	v_lshl_add_u32 v6, v7, 23, 0x37800000
	s_delay_alu instid0(VALU_DEP_3) | instskip(NEXT) | instid1(VALU_DEP_1)
	v_lshlrev_b32_e32 v4, 21, v4
	v_or3_b32 v4, v5, v6, v4
	s_delay_alu instid0(VALU_DEP_1)
	v_cvt_f64_f32_e32 v[4:5], v4
.LBB118_1793:
	s_or_b32 exec_lo, exec_lo, s19
	s_mov_b32 s18, 0
	s_branch .LBB118_1799
.LBB118_1794:
	s_mov_b32 s18, -1
                                        ; implicit-def: $vgpr4_vgpr5
	s_branch .LBB118_1805
.LBB118_1795:
	s_or_saveexec_b32 s20, s20
	v_mov_b64_e32 v[4:5], 0x7ff8000020000000
	s_xor_b32 exec_lo, exec_lo, s20
	s_cbranch_execz .LBB118_1779
.LBB118_1796:
	v_cmp_ne_u16_e32 vcc_lo, 0, v6
	v_mov_b64_e32 v[4:5], 0
	s_and_not1_b32 s19, s19, exec_lo
	s_and_b32 s21, vcc_lo, exec_lo
	s_delay_alu instid0(SALU_CYCLE_1)
	s_or_b32 s19, s19, s21
	s_or_b32 exec_lo, exec_lo, s20
	s_and_saveexec_b32 s20, s19
	s_cbranch_execnz .LBB118_1780
	s_branch .LBB118_1781
.LBB118_1797:
	s_mov_b32 s18, -1
                                        ; implicit-def: $vgpr4_vgpr5
	s_branch .LBB118_1802
.LBB118_1798:
	s_mov_b32 s18, -1
                                        ; implicit-def: $vgpr4_vgpr5
.LBB118_1799:
	s_delay_alu instid0(SALU_CYCLE_1)
	s_and_b32 vcc_lo, exec_lo, s18
	s_cbranch_vccz .LBB118_1801
; %bb.1800:
	global_load_u8 v4, v[12:13], off
	s_wait_loadcnt 0x0
	v_lshlrev_b32_e32 v4, 24, v4
	s_delay_alu instid0(VALU_DEP_1) | instskip(NEXT) | instid1(VALU_DEP_1)
	v_and_b32_e32 v5, 0x7f000000, v4
	v_clz_i32_u32_e32 v6, v5
	v_add_nc_u32_e32 v9, 0x1000000, v5
	v_cmp_ne_u32_e32 vcc_lo, 0, v5
	s_delay_alu instid0(VALU_DEP_3) | instskip(NEXT) | instid1(VALU_DEP_1)
	v_min_u32_e32 v6, 32, v6
	v_sub_nc_u32_e64 v6, v6, 4 clamp
	s_delay_alu instid0(VALU_DEP_1) | instskip(NEXT) | instid1(VALU_DEP_1)
	v_dual_lshlrev_b32 v7, v6, v5 :: v_dual_lshlrev_b32 v6, 23, v6
	v_lshrrev_b32_e32 v7, 4, v7
	s_delay_alu instid0(VALU_DEP_1) | instskip(NEXT) | instid1(VALU_DEP_1)
	v_dual_sub_nc_u32 v6, v7, v6 :: v_dual_ashrrev_i32 v7, 8, v9
	v_add_nc_u32_e32 v6, 0x3c000000, v6
	s_delay_alu instid0(VALU_DEP_1) | instskip(NEXT) | instid1(VALU_DEP_1)
	v_and_or_b32 v6, 0x7f800000, v7, v6
	v_cndmask_b32_e32 v5, 0, v6, vcc_lo
	s_delay_alu instid0(VALU_DEP_1) | instskip(NEXT) | instid1(VALU_DEP_1)
	v_and_or_b32 v4, 0x80000000, v4, v5
	v_cvt_f64_f32_e32 v[4:5], v4
.LBB118_1801:
	s_mov_b32 s18, 0
.LBB118_1802:
	s_delay_alu instid0(SALU_CYCLE_1)
	s_and_not1_b32 vcc_lo, exec_lo, s18
	s_cbranch_vccnz .LBB118_1804
; %bb.1803:
	global_load_u8 v4, v[12:13], off
	s_wait_loadcnt 0x0
	v_lshlrev_b32_e32 v5, 25, v4
	v_lshlrev_b16 v4, 8, v4
	s_delay_alu instid0(VALU_DEP_1) | instskip(SKIP_1) | instid1(VALU_DEP_2)
	v_and_or_b32 v7, 0x7f00, v4, 0.5
	v_bfe_i32 v4, v4, 0, 16
	v_dual_add_f32 v7, -0.5, v7 :: v_dual_lshrrev_b32 v6, 4, v5
	v_cmp_gt_u32_e32 vcc_lo, 0x8000000, v5
	s_delay_alu instid0(VALU_DEP_2) | instskip(NEXT) | instid1(VALU_DEP_1)
	v_or_b32_e32 v6, 0x70000000, v6
	v_mul_f32_e32 v6, 0x7800000, v6
	s_delay_alu instid0(VALU_DEP_1) | instskip(NEXT) | instid1(VALU_DEP_1)
	v_cndmask_b32_e32 v5, v6, v7, vcc_lo
	v_and_or_b32 v4, 0x80000000, v4, v5
	s_delay_alu instid0(VALU_DEP_1)
	v_cvt_f64_f32_e32 v[4:5], v4
.LBB118_1804:
	s_mov_b32 s18, 0
	s_mov_b32 s19, -1
.LBB118_1805:
	s_and_not1_b32 vcc_lo, exec_lo, s18
	s_mov_b32 s18, 0
	s_cbranch_vccnz .LBB118_1816
; %bb.1806:
	s_cmp_gt_i32 s0, 14
	s_cbranch_scc0 .LBB118_1809
; %bb.1807:
	s_cmp_eq_u32 s0, 15
	s_cbranch_scc0 .LBB118_1812
; %bb.1808:
	global_load_u16 v4, v[12:13], off
	s_mov_b32 s1, 0
	s_mov_b32 s19, -1
	s_wait_loadcnt 0x0
	v_lshlrev_b32_e32 v4, 16, v4
	s_delay_alu instid0(VALU_DEP_1)
	v_cvt_f64_f32_e32 v[4:5], v4
	s_branch .LBB118_1814
.LBB118_1809:
	s_mov_b32 s18, -1
	s_branch .LBB118_1813
.LBB118_1810:
	s_or_saveexec_b32 s19, s19
	v_mov_b64_e32 v[4:5], 0x7ff8000020000000
	s_xor_b32 exec_lo, exec_lo, s19
	s_cbranch_execz .LBB118_1791
.LBB118_1811:
	v_cmp_ne_u16_e32 vcc_lo, 0, v6
	v_mov_b64_e32 v[4:5], 0
	s_and_not1_b32 s18, s18, exec_lo
	s_and_b32 s20, vcc_lo, exec_lo
	s_delay_alu instid0(SALU_CYCLE_1)
	s_or_b32 s18, s18, s20
	s_or_b32 exec_lo, exec_lo, s19
	s_and_saveexec_b32 s19, s18
	s_cbranch_execnz .LBB118_1792
	s_branch .LBB118_1793
.LBB118_1812:
	s_mov_b32 s1, -1
.LBB118_1813:
                                        ; implicit-def: $vgpr4_vgpr5
.LBB118_1814:
	s_and_b32 vcc_lo, exec_lo, s18
	s_mov_b32 s18, 0
	s_cbranch_vccz .LBB118_1816
; %bb.1815:
	s_cmp_lg_u32 s0, 11
	s_mov_b32 s18, -1
	s_cselect_b32 s1, -1, 0
.LBB118_1816:
	v_mov_b64_e32 v[6:7], 0
.LBB118_1817:
	s_and_b32 vcc_lo, exec_lo, s1
	s_cbranch_vccnz .LBB118_1898
; %bb.1818:
	s_and_not1_b32 vcc_lo, exec_lo, s18
	s_cbranch_vccnz .LBB118_1820
.LBB118_1819:
	global_load_u8 v4, v[12:13], off
	v_mov_b64_e32 v[6:7], 0
	s_mov_b32 s19, -1
	s_wait_loadcnt 0x0
	v_cmp_ne_u16_e32 vcc_lo, 0, v4
	v_mov_b32_e32 v4, 0
	v_cndmask_b32_e64 v5, 0, 0x3ff00000, vcc_lo
.LBB118_1820:
	s_branch .LBB118_1743
.LBB118_1821:
	s_and_b32 s0, 0xffff, s17
	s_delay_alu instid0(SALU_CYCLE_1)
	s_cmp_lt_i32 s0, 5
	s_cbranch_scc1 .LBB118_1826
; %bb.1822:
	s_cmp_lt_i32 s0, 8
	s_cbranch_scc1 .LBB118_1828
; %bb.1823:
	;; [unrolled: 3-line block ×3, first 2 shown]
	s_cmp_gt_i32 s0, 9
	s_cbranch_scc0 .LBB118_1830
; %bb.1825:
	global_load_b128 v[4:7], v[12:13], off
	s_mov_b32 s1, 0
	s_branch .LBB118_1831
.LBB118_1826:
                                        ; implicit-def: $vgpr6_vgpr7
	s_branch .LBB118_1850
.LBB118_1827:
	s_branch .LBB118_1870
.LBB118_1828:
	s_mov_b32 s1, -1
                                        ; implicit-def: $vgpr6_vgpr7
	s_branch .LBB118_1837
.LBB118_1829:
	s_mov_b32 s1, -1
                                        ; implicit-def: $vgpr6_vgpr7
	s_branch .LBB118_1834
.LBB118_1830:
	s_mov_b32 s1, -1
                                        ; implicit-def: $vgpr6_vgpr7
.LBB118_1831:
	s_delay_alu instid0(SALU_CYCLE_1)
	s_and_not1_b32 vcc_lo, exec_lo, s1
	s_cbranch_vccnz .LBB118_1833
; %bb.1832:
	s_wait_loadcnt 0x0
	global_load_b64 v[6:7], v[12:13], off
	s_wait_loadcnt 0x0
	s_wait_xcnt 0x1
	v_cvt_f64_f32_e32 v[4:5], v6
	v_cvt_f64_f32_e32 v[6:7], v7
.LBB118_1833:
	s_mov_b32 s1, 0
.LBB118_1834:
	s_delay_alu instid0(SALU_CYCLE_1)
	s_and_not1_b32 vcc_lo, exec_lo, s1
	s_cbranch_vccnz .LBB118_1836
; %bb.1835:
	s_wait_loadcnt 0x0
	global_load_b32 v4, v[12:13], off
	s_wait_loadcnt 0x0
	v_lshrrev_b32_e32 v5, 16, v4
	v_cvt_f32_f16_e32 v4, v4
	s_delay_alu instid0(VALU_DEP_2) | instskip(NEXT) | instid1(VALU_DEP_2)
	v_cvt_f32_f16_e32 v6, v5
	v_cvt_f64_f32_e32 v[4:5], v4
	s_delay_alu instid0(VALU_DEP_2)
	v_cvt_f64_f32_e32 v[6:7], v6
.LBB118_1836:
	s_mov_b32 s1, 0
.LBB118_1837:
	s_delay_alu instid0(SALU_CYCLE_1)
	s_and_not1_b32 vcc_lo, exec_lo, s1
	s_cbranch_vccnz .LBB118_1849
; %bb.1838:
	s_cmp_lt_i32 s0, 6
	s_cbranch_scc1 .LBB118_1841
; %bb.1839:
	s_cmp_gt_i32 s0, 6
	s_cbranch_scc0 .LBB118_1842
; %bb.1840:
	s_wait_loadcnt 0x0
	global_load_b64 v[4:5], v[12:13], off
	s_mov_b32 s1, 0
	s_branch .LBB118_1843
.LBB118_1841:
	s_mov_b32 s1, -1
                                        ; implicit-def: $vgpr4_vgpr5
	s_branch .LBB118_1846
.LBB118_1842:
	s_mov_b32 s1, -1
                                        ; implicit-def: $vgpr4_vgpr5
.LBB118_1843:
	s_delay_alu instid0(SALU_CYCLE_1)
	s_and_not1_b32 vcc_lo, exec_lo, s1
	s_cbranch_vccnz .LBB118_1845
; %bb.1844:
	s_wait_loadcnt 0x0
	global_load_b32 v4, v[12:13], off
	s_wait_loadcnt 0x0
	v_cvt_f64_f32_e32 v[4:5], v4
.LBB118_1845:
	s_mov_b32 s1, 0
.LBB118_1846:
	s_delay_alu instid0(SALU_CYCLE_1)
	s_and_not1_b32 vcc_lo, exec_lo, s1
	s_cbranch_vccnz .LBB118_1848
; %bb.1847:
	s_wait_loadcnt 0x0
	global_load_u16 v4, v[12:13], off
	s_wait_loadcnt 0x0
	v_cvt_f32_f16_e32 v4, v4
	s_delay_alu instid0(VALU_DEP_1)
	v_cvt_f64_f32_e32 v[4:5], v4
.LBB118_1848:
	s_wait_loadcnt 0x0
	v_mov_b64_e32 v[6:7], 0
.LBB118_1849:
	s_cbranch_execnz .LBB118_1827
.LBB118_1850:
	s_cmp_lt_i32 s0, 2
	s_cbranch_scc1 .LBB118_1854
; %bb.1851:
	s_cmp_lt_i32 s0, 3
	s_cbranch_scc1 .LBB118_1855
; %bb.1852:
	s_cmp_gt_i32 s0, 3
	s_cbranch_scc0 .LBB118_1856
; %bb.1853:
	s_wait_loadcnt 0x0
	global_load_b64 v[4:5], v[12:13], off
	s_mov_b32 s1, 0
	s_wait_loadcnt 0x0
	v_cvt_f64_i32_e32 v[6:7], v5
	v_cvt_f64_u32_e32 v[4:5], v4
	s_delay_alu instid0(VALU_DEP_2) | instskip(NEXT) | instid1(VALU_DEP_1)
	v_ldexp_f64 v[6:7], v[6:7], 32
	v_add_f64_e32 v[4:5], v[6:7], v[4:5]
	s_branch .LBB118_1857
.LBB118_1854:
	s_mov_b32 s1, -1
                                        ; implicit-def: $vgpr4_vgpr5
	s_branch .LBB118_1863
.LBB118_1855:
	s_mov_b32 s1, -1
                                        ; implicit-def: $vgpr4_vgpr5
	s_branch .LBB118_1860
.LBB118_1856:
	s_mov_b32 s1, -1
                                        ; implicit-def: $vgpr4_vgpr5
.LBB118_1857:
	s_delay_alu instid0(SALU_CYCLE_1)
	s_and_not1_b32 vcc_lo, exec_lo, s1
	s_cbranch_vccnz .LBB118_1859
; %bb.1858:
	s_wait_loadcnt 0x0
	global_load_b32 v4, v[12:13], off
	s_wait_loadcnt 0x0
	v_cvt_f64_i32_e32 v[4:5], v4
.LBB118_1859:
	s_mov_b32 s1, 0
.LBB118_1860:
	s_delay_alu instid0(SALU_CYCLE_1)
	s_and_not1_b32 vcc_lo, exec_lo, s1
	s_cbranch_vccnz .LBB118_1862
; %bb.1861:
	s_wait_loadcnt 0x0
	global_load_i16 v4, v[12:13], off
	s_wait_loadcnt 0x0
	v_cvt_f64_i32_e32 v[4:5], v4
.LBB118_1862:
	s_mov_b32 s1, 0
.LBB118_1863:
	s_delay_alu instid0(SALU_CYCLE_1)
	s_and_not1_b32 vcc_lo, exec_lo, s1
	s_cbranch_vccnz .LBB118_1869
; %bb.1864:
	s_cmp_gt_i32 s0, 0
	s_mov_b32 s0, 0
	s_cbranch_scc0 .LBB118_1866
; %bb.1865:
	s_wait_loadcnt 0x0
	global_load_i8 v4, v[12:13], off
	s_wait_loadcnt 0x0
	v_cvt_f64_i32_e32 v[4:5], v4
	s_branch .LBB118_1867
.LBB118_1866:
	s_mov_b32 s0, -1
                                        ; implicit-def: $vgpr4_vgpr5
.LBB118_1867:
	s_delay_alu instid0(SALU_CYCLE_1)
	s_and_not1_b32 vcc_lo, exec_lo, s0
	s_cbranch_vccnz .LBB118_1869
; %bb.1868:
	s_wait_loadcnt 0x0
	global_load_u8 v4, v[12:13], off
	s_wait_loadcnt 0x0
	v_cvt_f64_u32_e32 v[4:5], v4
.LBB118_1869:
	s_wait_loadcnt 0x0
	v_mov_b64_e32 v[6:7], 0
.LBB118_1870:
	s_cmp_lg_u32 s11, 0
	s_mov_b32 s18, 0
	s_cselect_b32 s11, -1, 0
	s_delay_alu instid0(SALU_CYCLE_1)
	s_and_b32 vcc_lo, exec_lo, s11
	s_cbranch_vccz .LBB118_1882
; %bb.1871:
	s_wait_loadcnt 0x0
	s_delay_alu instid0(VALU_DEP_1) | instskip(NEXT) | instid1(VALU_DEP_2)
	v_cmp_neq_f64_e32 vcc_lo, v[0:1], v[4:5]
	v_cmp_neq_f64_e64 s0, v[2:3], v[6:7]
	s_or_b32 s1, vcc_lo, s0
	s_and_not1_b32 vcc_lo, exec_lo, s18
	s_cbranch_vccnz .LBB118_1873
.LBB118_1872:
	s_wait_loadcnt 0x0
	s_delay_alu instid0(VALU_DEP_1) | instskip(NEXT) | instid1(VALU_DEP_2)
	v_cmp_eq_f64_e32 vcc_lo, v[0:1], v[4:5]
	v_cmp_eq_f64_e64 s0, v[2:3], v[6:7]
	s_and_not1_b32 s1, s1, exec_lo
	s_and_b32 s0, vcc_lo, s0
	s_delay_alu instid0(SALU_CYCLE_1) | instskip(NEXT) | instid1(SALU_CYCLE_1)
	s_and_b32 s0, s0, exec_lo
	s_or_b32 s1, s1, s0
.LBB118_1873:
	s_lshl_b32 s18, s9, 7
	s_cmp_lt_i32 s14, 11
	v_add_nc_u32_e32 v8, s18, v8
	s_delay_alu instid0(VALU_DEP_1) | instskip(SKIP_1) | instid1(VALU_DEP_1)
	v_ashrrev_i32_e32 v9, 31, v8
	s_wait_loadcnt 0x0
	v_add_nc_u64_e32 v[4:5], s[6:7], v[8:9]
	s_cbranch_scc1 .LBB118_1880
; %bb.1874:
	s_and_b32 s0, 0xffff, s14
	s_mov_b32 s19, 0
	s_cmp_gt_i32 s0, 25
	s_cbranch_scc0 .LBB118_1883
; %bb.1875:
	s_cmp_gt_i32 s0, 28
	s_cbranch_scc0 .LBB118_1894
; %bb.1876:
	;; [unrolled: 3-line block ×4, first 2 shown]
	s_cmp_eq_u32 s0, 46
	s_mov_b32 s21, 0
	s_cbranch_scc0 .LBB118_1953
; %bb.1879:
	global_load_b32 v0, v[4:5], off
	s_mov_b32 s9, 0
	s_mov_b32 s20, -1
	s_wait_loadcnt 0x0
	v_lshlrev_b32_e32 v1, 16, v0
	v_and_b32_e32 v2, 0xffff0000, v0
	s_delay_alu instid0(VALU_DEP_2) | instskip(NEXT) | instid1(VALU_DEP_2)
	v_cvt_f64_f32_e32 v[0:1], v1
	v_cvt_f64_f32_e32 v[2:3], v2
	s_branch .LBB118_1955
.LBB118_1880:
	s_mov_b32 s20, 0
                                        ; implicit-def: $vgpr2_vgpr3
	s_cbranch_execnz .LBB118_1888
.LBB118_1881:
	s_and_not1_b32 vcc_lo, exec_lo, s20
	s_cbranch_vccnz .LBB118_2703
	s_branch .LBB118_1942
.LBB118_1882:
                                        ; implicit-def: $sgpr1
	s_branch .LBB118_1872
.LBB118_1883:
	s_mov_b32 s20, 0
	s_mov_b32 s9, 0
                                        ; implicit-def: $vgpr2_vgpr3
	s_cbranch_execnz .LBB118_1987
.LBB118_1884:
	s_and_b32 vcc_lo, exec_lo, s9
	s_cbranch_vccnz .LBB118_2020
.LBB118_1885:
	s_and_not1_b32 vcc_lo, exec_lo, s19
	s_cbranch_vccnz .LBB118_1887
.LBB118_1886:
	global_load_u8 v0, v[4:5], off
	v_mov_b64_e32 v[2:3], 0
	s_mov_b32 s20, -1
	s_wait_loadcnt 0x0
	v_cmp_ne_u16_e32 vcc_lo, 0, v0
	v_mov_b32_e32 v0, 0
	v_cndmask_b32_e64 v1, 0, 0x3ff00000, vcc_lo
.LBB118_1887:
	s_branch .LBB118_1881
.LBB118_1888:
	s_and_b32 s0, 0xffff, s14
	s_delay_alu instid0(SALU_CYCLE_1)
	s_cmp_lt_i32 s0, 5
	s_cbranch_scc1 .LBB118_1893
; %bb.1889:
	s_cmp_lt_i32 s0, 8
	s_cbranch_scc1 .LBB118_1895
; %bb.1890:
	;; [unrolled: 3-line block ×3, first 2 shown]
	s_cmp_gt_i32 s0, 9
	s_cbranch_scc0 .LBB118_1900
; %bb.1892:
	global_load_b128 v[0:3], v[4:5], off
	s_mov_b32 s9, 0
	s_branch .LBB118_1901
.LBB118_1893:
	s_mov_b32 s9, -1
                                        ; implicit-def: $vgpr2_vgpr3
	s_branch .LBB118_1920
.LBB118_1894:
	s_mov_b32 s21, -1
	s_mov_b32 s20, 0
	s_mov_b32 s9, 0
                                        ; implicit-def: $vgpr2_vgpr3
	s_branch .LBB118_1968
.LBB118_1895:
	s_mov_b32 s9, -1
                                        ; implicit-def: $vgpr2_vgpr3
	s_branch .LBB118_1907
.LBB118_1896:
	s_mov_b32 s21, -1
	s_mov_b32 s20, 0
	s_mov_b32 s9, 0
                                        ; implicit-def: $vgpr2_vgpr3
	s_branch .LBB118_1962
.LBB118_1897:
	s_mov_b32 s9, -1
                                        ; implicit-def: $vgpr2_vgpr3
	s_branch .LBB118_1904
.LBB118_1898:
	s_or_b32 s13, s13, exec_lo
	s_trap 2
	s_cbranch_execz .LBB118_1819
	s_branch .LBB118_1820
.LBB118_1899:
	s_mov_b32 s21, -1
	s_mov_b32 s20, 0
	s_mov_b32 s9, 0
	s_branch .LBB118_1954
.LBB118_1900:
	s_mov_b32 s9, -1
                                        ; implicit-def: $vgpr2_vgpr3
.LBB118_1901:
	s_delay_alu instid0(SALU_CYCLE_1)
	s_and_not1_b32 vcc_lo, exec_lo, s9
	s_cbranch_vccnz .LBB118_1903
; %bb.1902:
	s_wait_loadcnt 0x0
	global_load_b64 v[2:3], v[4:5], off
	s_wait_loadcnt 0x0
	v_cvt_f64_f32_e32 v[0:1], v2
	v_cvt_f64_f32_e32 v[2:3], v3
.LBB118_1903:
	s_mov_b32 s9, 0
.LBB118_1904:
	s_delay_alu instid0(SALU_CYCLE_1)
	s_and_not1_b32 vcc_lo, exec_lo, s9
	s_cbranch_vccnz .LBB118_1906
; %bb.1905:
	s_wait_loadcnt 0x0
	global_load_b32 v0, v[4:5], off
	s_wait_loadcnt 0x0
	v_lshrrev_b32_e32 v1, 16, v0
	v_cvt_f32_f16_e32 v0, v0
	s_delay_alu instid0(VALU_DEP_2) | instskip(NEXT) | instid1(VALU_DEP_2)
	v_cvt_f32_f16_e32 v2, v1
	v_cvt_f64_f32_e32 v[0:1], v0
	s_delay_alu instid0(VALU_DEP_2)
	v_cvt_f64_f32_e32 v[2:3], v2
.LBB118_1906:
	s_mov_b32 s9, 0
.LBB118_1907:
	s_delay_alu instid0(SALU_CYCLE_1)
	s_and_not1_b32 vcc_lo, exec_lo, s9
	s_cbranch_vccnz .LBB118_1919
; %bb.1908:
	s_cmp_lt_i32 s0, 6
	s_cbranch_scc1 .LBB118_1911
; %bb.1909:
	s_cmp_gt_i32 s0, 6
	s_cbranch_scc0 .LBB118_1912
; %bb.1910:
	s_wait_loadcnt 0x0
	global_load_b64 v[0:1], v[4:5], off
	s_mov_b32 s9, 0
	s_branch .LBB118_1913
.LBB118_1911:
	s_mov_b32 s9, -1
                                        ; implicit-def: $vgpr0_vgpr1
	s_branch .LBB118_1916
.LBB118_1912:
	s_mov_b32 s9, -1
                                        ; implicit-def: $vgpr0_vgpr1
.LBB118_1913:
	s_delay_alu instid0(SALU_CYCLE_1)
	s_and_not1_b32 vcc_lo, exec_lo, s9
	s_cbranch_vccnz .LBB118_1915
; %bb.1914:
	s_wait_loadcnt 0x0
	global_load_b32 v0, v[4:5], off
	s_wait_loadcnt 0x0
	v_cvt_f64_f32_e32 v[0:1], v0
.LBB118_1915:
	s_mov_b32 s9, 0
.LBB118_1916:
	s_delay_alu instid0(SALU_CYCLE_1)
	s_and_not1_b32 vcc_lo, exec_lo, s9
	s_cbranch_vccnz .LBB118_1918
; %bb.1917:
	s_wait_loadcnt 0x0
	global_load_u16 v0, v[4:5], off
	s_wait_loadcnt 0x0
	v_cvt_f32_f16_e32 v0, v0
	s_delay_alu instid0(VALU_DEP_1)
	v_cvt_f64_f32_e32 v[0:1], v0
.LBB118_1918:
	s_wait_loadcnt 0x0
	v_mov_b64_e32 v[2:3], 0
.LBB118_1919:
	s_mov_b32 s9, 0
.LBB118_1920:
	s_delay_alu instid0(SALU_CYCLE_1)
	s_and_not1_b32 vcc_lo, exec_lo, s9
	s_cbranch_vccnz .LBB118_1941
; %bb.1921:
	s_cmp_lt_i32 s0, 2
	s_cbranch_scc1 .LBB118_1925
; %bb.1922:
	s_cmp_lt_i32 s0, 3
	s_cbranch_scc1 .LBB118_1926
; %bb.1923:
	s_cmp_gt_i32 s0, 3
	s_cbranch_scc0 .LBB118_1927
; %bb.1924:
	s_wait_loadcnt 0x0
	global_load_b64 v[0:1], v[4:5], off
	s_mov_b32 s9, 0
	s_wait_loadcnt 0x0
	v_cvt_f64_i32_e32 v[2:3], v1
	v_cvt_f64_u32_e32 v[0:1], v0
	s_delay_alu instid0(VALU_DEP_2) | instskip(NEXT) | instid1(VALU_DEP_1)
	v_ldexp_f64 v[2:3], v[2:3], 32
	v_add_f64_e32 v[0:1], v[2:3], v[0:1]
	s_branch .LBB118_1928
.LBB118_1925:
	s_mov_b32 s9, -1
                                        ; implicit-def: $vgpr0_vgpr1
	s_branch .LBB118_1934
.LBB118_1926:
	s_mov_b32 s9, -1
                                        ; implicit-def: $vgpr0_vgpr1
	s_branch .LBB118_1931
.LBB118_1927:
	s_mov_b32 s9, -1
                                        ; implicit-def: $vgpr0_vgpr1
.LBB118_1928:
	s_delay_alu instid0(SALU_CYCLE_1)
	s_and_not1_b32 vcc_lo, exec_lo, s9
	s_cbranch_vccnz .LBB118_1930
; %bb.1929:
	s_wait_loadcnt 0x0
	global_load_b32 v0, v[4:5], off
	s_wait_loadcnt 0x0
	v_cvt_f64_i32_e32 v[0:1], v0
.LBB118_1930:
	s_mov_b32 s9, 0
.LBB118_1931:
	s_delay_alu instid0(SALU_CYCLE_1)
	s_and_not1_b32 vcc_lo, exec_lo, s9
	s_cbranch_vccnz .LBB118_1933
; %bb.1932:
	s_wait_loadcnt 0x0
	global_load_i16 v0, v[4:5], off
	s_wait_loadcnt 0x0
	v_cvt_f64_i32_e32 v[0:1], v0
.LBB118_1933:
	s_mov_b32 s9, 0
.LBB118_1934:
	s_delay_alu instid0(SALU_CYCLE_1)
	s_and_not1_b32 vcc_lo, exec_lo, s9
	s_cbranch_vccnz .LBB118_1940
; %bb.1935:
	s_cmp_gt_i32 s0, 0
	s_mov_b32 s0, 0
	s_cbranch_scc0 .LBB118_1937
; %bb.1936:
	s_wait_loadcnt 0x0
	global_load_i8 v0, v[4:5], off
	s_wait_loadcnt 0x0
	v_cvt_f64_i32_e32 v[0:1], v0
	s_branch .LBB118_1938
.LBB118_1937:
	s_mov_b32 s0, -1
                                        ; implicit-def: $vgpr0_vgpr1
.LBB118_1938:
	s_delay_alu instid0(SALU_CYCLE_1)
	s_and_not1_b32 vcc_lo, exec_lo, s0
	s_cbranch_vccnz .LBB118_1940
; %bb.1939:
	s_wait_loadcnt 0x0
	global_load_u8 v0, v[4:5], off
	s_wait_loadcnt 0x0
	v_cvt_f64_u32_e32 v[0:1], v0
.LBB118_1940:
	s_wait_loadcnt 0x0
	v_mov_b64_e32 v[2:3], 0
.LBB118_1941:
.LBB118_1942:
	s_lshl_b32 s19, s10, 7
	s_cmp_lt_i32 s17, 11
	v_add_nc_u32_e32 v10, s19, v10
	s_delay_alu instid0(VALU_DEP_1) | instskip(NEXT) | instid1(VALU_DEP_1)
	v_ashrrev_i32_e32 v11, 31, v10
	v_add_nc_u64_e32 v[12:13], s[2:3], v[10:11]
	s_cbranch_scc1 .LBB118_1949
; %bb.1943:
	s_and_b32 s0, 0xffff, s17
	s_mov_b32 s10, 0
	s_cmp_gt_i32 s0, 25
	s_cbranch_scc0 .LBB118_1950
; %bb.1944:
	s_cmp_gt_i32 s0, 28
	s_cbranch_scc0 .LBB118_1951
; %bb.1945:
	;; [unrolled: 3-line block ×4, first 2 shown]
	s_cmp_eq_u32 s0, 46
	s_mov_b32 s21, 0
	s_cbranch_scc0 .LBB118_2021
; %bb.1948:
	global_load_b32 v4, v[12:13], off
	s_mov_b32 s9, 0
	s_mov_b32 s20, -1
	s_wait_loadcnt 0x0
	v_lshlrev_b32_e32 v5, 16, v4
	v_and_b32_e32 v6, 0xffff0000, v4
	s_delay_alu instid0(VALU_DEP_2) | instskip(NEXT) | instid1(VALU_DEP_2)
	v_cvt_f64_f32_e32 v[4:5], v5
	v_cvt_f64_f32_e32 v[6:7], v6
	s_branch .LBB118_2023
.LBB118_1949:
	s_mov_b32 s0, -1
	s_mov_b32 s20, 0
                                        ; implicit-def: $vgpr6_vgpr7
	s_branch .LBB118_2069
.LBB118_1950:
	s_mov_b32 s21, -1
	s_mov_b32 s20, 0
	s_mov_b32 s9, 0
                                        ; implicit-def: $vgpr6_vgpr7
	s_branch .LBB118_2054
.LBB118_1951:
	s_mov_b32 s21, -1
	s_mov_b32 s20, 0
	s_mov_b32 s9, 0
                                        ; implicit-def: $vgpr6_vgpr7
	s_branch .LBB118_2035
.LBB118_1952:
	s_mov_b32 s21, -1
	s_mov_b32 s20, 0
	s_mov_b32 s9, 0
                                        ; implicit-def: $vgpr6_vgpr7
	s_branch .LBB118_2029
.LBB118_1953:
	s_mov_b32 s9, -1
	s_mov_b32 s20, 0
.LBB118_1954:
                                        ; implicit-def: $vgpr2_vgpr3
.LBB118_1955:
	s_and_b32 vcc_lo, exec_lo, s21
	s_cbranch_vccz .LBB118_1961
; %bb.1956:
	s_cmp_eq_u32 s0, 44
	s_cbranch_scc0 .LBB118_1959
; %bb.1957:
	global_load_u8 v2, v[4:5], off
	s_mov_b32 s9, 0
	s_mov_b32 s20, -1
	s_wait_loadcnt 0x0
	v_cmp_ne_u32_e32 vcc_lo, 0xff, v2
	v_lshlrev_b32_e32 v0, 23, v2
	s_delay_alu instid0(VALU_DEP_1) | instskip(NEXT) | instid1(VALU_DEP_1)
	v_cvt_f64_f32_e32 v[0:1], v0
	v_cndmask_b32_e32 v0, 0x20000000, v0, vcc_lo
	s_delay_alu instid0(VALU_DEP_2) | instskip(SKIP_1) | instid1(VALU_DEP_2)
	v_cndmask_b32_e32 v1, 0x7ff80000, v1, vcc_lo
	v_cmp_ne_u32_e32 vcc_lo, 0, v2
	v_cndmask_b32_e32 v1, 0x38000000, v1, vcc_lo
	s_delay_alu instid0(VALU_DEP_4)
	v_cndmask_b32_e32 v0, 0, v0, vcc_lo
	s_branch .LBB118_1960
.LBB118_1958:
	s_mov_b32 s21, -1
	s_mov_b32 s20, 0
	s_mov_b32 s9, 0
	s_branch .LBB118_2022
.LBB118_1959:
	s_mov_b32 s9, -1
                                        ; implicit-def: $vgpr0_vgpr1
.LBB118_1960:
	v_mov_b64_e32 v[2:3], 0
.LBB118_1961:
	s_mov_b32 s21, 0
.LBB118_1962:
	s_delay_alu instid0(SALU_CYCLE_1)
	s_and_b32 vcc_lo, exec_lo, s21
	s_cbranch_vccz .LBB118_1967
; %bb.1963:
	s_cmp_eq_u32 s0, 29
	s_cbranch_scc0 .LBB118_1965
; %bb.1964:
	global_load_b64 v[0:1], v[4:5], off
	s_mov_b32 s9, 0
	s_mov_b32 s20, -1
	s_wait_loadcnt 0x0
	v_cvt_f64_u32_e32 v[2:3], v1
	v_cvt_f64_u32_e32 v[0:1], v0
	s_delay_alu instid0(VALU_DEP_2) | instskip(NEXT) | instid1(VALU_DEP_1)
	v_ldexp_f64 v[2:3], v[2:3], 32
	v_add_f64_e32 v[0:1], v[2:3], v[0:1]
	s_branch .LBB118_1966
.LBB118_1965:
	s_mov_b32 s9, -1
                                        ; implicit-def: $vgpr0_vgpr1
.LBB118_1966:
	v_mov_b64_e32 v[2:3], 0
.LBB118_1967:
	s_mov_b32 s21, 0
.LBB118_1968:
	s_delay_alu instid0(SALU_CYCLE_1)
	s_and_b32 vcc_lo, exec_lo, s21
	s_cbranch_vccz .LBB118_1986
; %bb.1969:
	s_cmp_lt_i32 s0, 27
	s_cbranch_scc1 .LBB118_1972
; %bb.1970:
	s_cmp_gt_i32 s0, 27
	s_cbranch_scc0 .LBB118_1973
; %bb.1971:
	global_load_b32 v0, v[4:5], off
	s_mov_b32 s20, 0
	s_wait_loadcnt 0x0
	v_cvt_f64_u32_e32 v[0:1], v0
	s_branch .LBB118_1974
.LBB118_1972:
	s_mov_b32 s20, -1
                                        ; implicit-def: $vgpr0_vgpr1
	s_branch .LBB118_1977
.LBB118_1973:
	s_mov_b32 s20, -1
                                        ; implicit-def: $vgpr0_vgpr1
.LBB118_1974:
	s_delay_alu instid0(SALU_CYCLE_1)
	s_and_not1_b32 vcc_lo, exec_lo, s20
	s_cbranch_vccnz .LBB118_1976
; %bb.1975:
	global_load_u16 v0, v[4:5], off
	s_wait_loadcnt 0x0
	v_cvt_f64_u32_e32 v[0:1], v0
.LBB118_1976:
	s_mov_b32 s20, 0
.LBB118_1977:
	s_delay_alu instid0(SALU_CYCLE_1)
	s_and_not1_b32 vcc_lo, exec_lo, s20
	s_cbranch_vccnz .LBB118_1985
; %bb.1978:
	global_load_u8 v2, v[4:5], off
	s_mov_b32 s20, 0
	s_mov_b32 s21, exec_lo
	s_wait_loadcnt 0x0
	v_cmpx_lt_i16_e32 0x7f, v2
	s_xor_b32 s21, exec_lo, s21
	s_cbranch_execz .LBB118_1998
; %bb.1979:
	s_mov_b32 s20, -1
	s_mov_b32 s22, exec_lo
	v_cmpx_eq_u16_e32 0x80, v2
; %bb.1980:
	s_xor_b32 s20, exec_lo, -1
; %bb.1981:
	s_or_b32 exec_lo, exec_lo, s22
	s_delay_alu instid0(SALU_CYCLE_1)
	s_and_b32 s20, s20, exec_lo
	s_or_saveexec_b32 s21, s21
	v_mov_b64_e32 v[0:1], 0x7ff8000020000000
	s_xor_b32 exec_lo, exec_lo, s21
	s_cbranch_execnz .LBB118_1999
.LBB118_1982:
	s_or_b32 exec_lo, exec_lo, s21
	s_and_saveexec_b32 s21, s20
	s_cbranch_execz .LBB118_1984
.LBB118_1983:
	v_and_b32_e32 v0, 0xffff, v2
	s_delay_alu instid0(VALU_DEP_1) | instskip(SKIP_1) | instid1(VALU_DEP_2)
	v_and_b32_e32 v1, 7, v0
	v_bfe_u32 v7, v0, 3, 4
	v_clz_i32_u32_e32 v3, v1
	s_delay_alu instid0(VALU_DEP_2) | instskip(NEXT) | instid1(VALU_DEP_2)
	v_cmp_eq_u32_e32 vcc_lo, 0, v7
	v_min_u32_e32 v3, 32, v3
	s_delay_alu instid0(VALU_DEP_1) | instskip(NEXT) | instid1(VALU_DEP_1)
	v_subrev_nc_u32_e32 v6, 28, v3
	v_dual_lshlrev_b32 v0, v6, v0 :: v_dual_sub_nc_u32 v3, 29, v3
	s_delay_alu instid0(VALU_DEP_1) | instskip(NEXT) | instid1(VALU_DEP_1)
	v_dual_lshlrev_b32 v2, 24, v2 :: v_dual_bitop2_b32 v0, 7, v0 bitop3:0x40
	v_dual_cndmask_b32 v3, v7, v3 :: v_dual_cndmask_b32 v0, v1, v0
	s_delay_alu instid0(VALU_DEP_2) | instskip(NEXT) | instid1(VALU_DEP_2)
	v_and_b32_e32 v1, 0x80000000, v2
	v_lshl_add_u32 v2, v3, 23, 0x3b800000
	s_delay_alu instid0(VALU_DEP_3) | instskip(NEXT) | instid1(VALU_DEP_1)
	v_lshlrev_b32_e32 v0, 20, v0
	v_or3_b32 v0, v1, v2, v0
	s_delay_alu instid0(VALU_DEP_1)
	v_cvt_f64_f32_e32 v[0:1], v0
.LBB118_1984:
	s_or_b32 exec_lo, exec_lo, s21
.LBB118_1985:
	v_mov_b64_e32 v[2:3], 0
	s_mov_b32 s20, -1
.LBB118_1986:
	s_branch .LBB118_1884
.LBB118_1987:
	s_cmp_gt_i32 s0, 22
	s_cbranch_scc0 .LBB118_1997
; %bb.1988:
	s_cmp_lt_i32 s0, 24
	s_cbranch_scc1 .LBB118_2000
; %bb.1989:
	s_cmp_gt_i32 s0, 24
	s_cbranch_scc0 .LBB118_2001
; %bb.1990:
	global_load_u8 v2, v[4:5], off
	s_mov_b32 s20, exec_lo
	s_wait_loadcnt 0x0
	v_cmpx_lt_i16_e32 0x7f, v2
	s_xor_b32 s20, exec_lo, s20
	s_cbranch_execz .LBB118_2013
; %bb.1991:
	s_mov_b32 s19, -1
	s_mov_b32 s21, exec_lo
	v_cmpx_eq_u16_e32 0x80, v2
; %bb.1992:
	s_xor_b32 s19, exec_lo, -1
; %bb.1993:
	s_or_b32 exec_lo, exec_lo, s21
	s_delay_alu instid0(SALU_CYCLE_1)
	s_and_b32 s19, s19, exec_lo
	s_or_saveexec_b32 s20, s20
	v_mov_b64_e32 v[0:1], 0x7ff8000020000000
	s_xor_b32 exec_lo, exec_lo, s20
	s_cbranch_execnz .LBB118_2014
.LBB118_1994:
	s_or_b32 exec_lo, exec_lo, s20
	s_and_saveexec_b32 s20, s19
	s_cbranch_execz .LBB118_1996
.LBB118_1995:
	v_and_b32_e32 v0, 0xffff, v2
	s_delay_alu instid0(VALU_DEP_1) | instskip(SKIP_1) | instid1(VALU_DEP_2)
	v_and_b32_e32 v1, 3, v0
	v_bfe_u32 v7, v0, 2, 5
	v_clz_i32_u32_e32 v3, v1
	s_delay_alu instid0(VALU_DEP_2) | instskip(NEXT) | instid1(VALU_DEP_2)
	v_cmp_eq_u32_e32 vcc_lo, 0, v7
	v_min_u32_e32 v3, 32, v3
	s_delay_alu instid0(VALU_DEP_1) | instskip(NEXT) | instid1(VALU_DEP_1)
	v_subrev_nc_u32_e32 v6, 29, v3
	v_dual_lshlrev_b32 v0, v6, v0 :: v_dual_sub_nc_u32 v3, 30, v3
	s_delay_alu instid0(VALU_DEP_1) | instskip(NEXT) | instid1(VALU_DEP_1)
	v_dual_lshlrev_b32 v2, 24, v2 :: v_dual_bitop2_b32 v0, 3, v0 bitop3:0x40
	v_dual_cndmask_b32 v3, v7, v3 :: v_dual_cndmask_b32 v0, v1, v0
	s_delay_alu instid0(VALU_DEP_2) | instskip(NEXT) | instid1(VALU_DEP_2)
	v_and_b32_e32 v1, 0x80000000, v2
	v_lshl_add_u32 v2, v3, 23, 0x37800000
	s_delay_alu instid0(VALU_DEP_3) | instskip(NEXT) | instid1(VALU_DEP_1)
	v_lshlrev_b32_e32 v0, 21, v0
	v_or3_b32 v0, v1, v2, v0
	s_delay_alu instid0(VALU_DEP_1)
	v_cvt_f64_f32_e32 v[0:1], v0
.LBB118_1996:
	s_or_b32 exec_lo, exec_lo, s20
	s_mov_b32 s19, 0
	s_branch .LBB118_2002
.LBB118_1997:
	s_mov_b32 s19, -1
                                        ; implicit-def: $vgpr0_vgpr1
	s_branch .LBB118_2008
.LBB118_1998:
	s_or_saveexec_b32 s21, s21
	v_mov_b64_e32 v[0:1], 0x7ff8000020000000
	s_xor_b32 exec_lo, exec_lo, s21
	s_cbranch_execz .LBB118_1982
.LBB118_1999:
	v_cmp_ne_u16_e32 vcc_lo, 0, v2
	v_mov_b64_e32 v[0:1], 0
	s_and_not1_b32 s20, s20, exec_lo
	s_and_b32 s22, vcc_lo, exec_lo
	s_delay_alu instid0(SALU_CYCLE_1)
	s_or_b32 s20, s20, s22
	s_or_b32 exec_lo, exec_lo, s21
	s_and_saveexec_b32 s21, s20
	s_cbranch_execnz .LBB118_1983
	s_branch .LBB118_1984
.LBB118_2000:
	s_mov_b32 s19, -1
                                        ; implicit-def: $vgpr0_vgpr1
	s_branch .LBB118_2005
.LBB118_2001:
	s_mov_b32 s19, -1
                                        ; implicit-def: $vgpr0_vgpr1
.LBB118_2002:
	s_delay_alu instid0(SALU_CYCLE_1)
	s_and_b32 vcc_lo, exec_lo, s19
	s_cbranch_vccz .LBB118_2004
; %bb.2003:
	global_load_u8 v0, v[4:5], off
	s_wait_loadcnt 0x0
	v_lshlrev_b32_e32 v0, 24, v0
	s_delay_alu instid0(VALU_DEP_1) | instskip(NEXT) | instid1(VALU_DEP_1)
	v_and_b32_e32 v1, 0x7f000000, v0
	v_clz_i32_u32_e32 v2, v1
	v_cmp_ne_u32_e32 vcc_lo, 0, v1
	v_add_nc_u32_e32 v6, 0x1000000, v1
	s_delay_alu instid0(VALU_DEP_3) | instskip(NEXT) | instid1(VALU_DEP_1)
	v_min_u32_e32 v2, 32, v2
	v_sub_nc_u32_e64 v2, v2, 4 clamp
	s_delay_alu instid0(VALU_DEP_1) | instskip(NEXT) | instid1(VALU_DEP_1)
	v_dual_lshlrev_b32 v3, v2, v1 :: v_dual_lshlrev_b32 v2, 23, v2
	v_lshrrev_b32_e32 v3, 4, v3
	s_delay_alu instid0(VALU_DEP_1) | instskip(SKIP_1) | instid1(VALU_DEP_2)
	v_sub_nc_u32_e32 v2, v3, v2
	v_ashrrev_i32_e32 v3, 8, v6
	v_add_nc_u32_e32 v2, 0x3c000000, v2
	s_delay_alu instid0(VALU_DEP_1) | instskip(NEXT) | instid1(VALU_DEP_1)
	v_and_or_b32 v2, 0x7f800000, v3, v2
	v_cndmask_b32_e32 v1, 0, v2, vcc_lo
	s_delay_alu instid0(VALU_DEP_1) | instskip(NEXT) | instid1(VALU_DEP_1)
	v_and_or_b32 v0, 0x80000000, v0, v1
	v_cvt_f64_f32_e32 v[0:1], v0
.LBB118_2004:
	s_mov_b32 s19, 0
.LBB118_2005:
	s_delay_alu instid0(SALU_CYCLE_1)
	s_and_not1_b32 vcc_lo, exec_lo, s19
	s_cbranch_vccnz .LBB118_2007
; %bb.2006:
	global_load_u8 v0, v[4:5], off
	s_wait_loadcnt 0x0
	v_lshlrev_b32_e32 v1, 25, v0
	v_lshlrev_b16 v0, 8, v0
	s_delay_alu instid0(VALU_DEP_1) | instskip(SKIP_1) | instid1(VALU_DEP_2)
	v_and_or_b32 v3, 0x7f00, v0, 0.5
	v_bfe_i32 v0, v0, 0, 16
	v_dual_add_f32 v3, -0.5, v3 :: v_dual_lshrrev_b32 v2, 4, v1
	v_cmp_gt_u32_e32 vcc_lo, 0x8000000, v1
	s_delay_alu instid0(VALU_DEP_2) | instskip(NEXT) | instid1(VALU_DEP_1)
	v_or_b32_e32 v2, 0x70000000, v2
	v_mul_f32_e32 v2, 0x7800000, v2
	s_delay_alu instid0(VALU_DEP_1) | instskip(NEXT) | instid1(VALU_DEP_1)
	v_cndmask_b32_e32 v1, v2, v3, vcc_lo
	v_and_or_b32 v0, 0x80000000, v0, v1
	s_delay_alu instid0(VALU_DEP_1)
	v_cvt_f64_f32_e32 v[0:1], v0
.LBB118_2007:
	s_mov_b32 s19, 0
	s_mov_b32 s20, -1
.LBB118_2008:
	s_and_not1_b32 vcc_lo, exec_lo, s19
	s_mov_b32 s19, 0
	s_cbranch_vccnz .LBB118_2019
; %bb.2009:
	s_cmp_gt_i32 s0, 14
	s_cbranch_scc0 .LBB118_2012
; %bb.2010:
	s_cmp_eq_u32 s0, 15
	s_cbranch_scc0 .LBB118_2015
; %bb.2011:
	global_load_u16 v0, v[4:5], off
	s_mov_b32 s9, 0
	s_mov_b32 s20, -1
	s_wait_loadcnt 0x0
	v_lshlrev_b32_e32 v0, 16, v0
	s_delay_alu instid0(VALU_DEP_1)
	v_cvt_f64_f32_e32 v[0:1], v0
	s_branch .LBB118_2017
.LBB118_2012:
	s_mov_b32 s19, -1
	s_branch .LBB118_2016
.LBB118_2013:
	s_or_saveexec_b32 s20, s20
	v_mov_b64_e32 v[0:1], 0x7ff8000020000000
	s_xor_b32 exec_lo, exec_lo, s20
	s_cbranch_execz .LBB118_1994
.LBB118_2014:
	v_cmp_ne_u16_e32 vcc_lo, 0, v2
	v_mov_b64_e32 v[0:1], 0
	s_and_not1_b32 s19, s19, exec_lo
	s_and_b32 s21, vcc_lo, exec_lo
	s_delay_alu instid0(SALU_CYCLE_1)
	s_or_b32 s19, s19, s21
	s_or_b32 exec_lo, exec_lo, s20
	s_and_saveexec_b32 s20, s19
	s_cbranch_execnz .LBB118_1995
	s_branch .LBB118_1996
.LBB118_2015:
	s_mov_b32 s9, -1
.LBB118_2016:
                                        ; implicit-def: $vgpr0_vgpr1
.LBB118_2017:
	s_and_b32 vcc_lo, exec_lo, s19
	s_mov_b32 s19, 0
	s_cbranch_vccz .LBB118_2019
; %bb.2018:
	s_cmp_lg_u32 s0, 11
	s_mov_b32 s19, -1
	s_cselect_b32 s9, -1, 0
.LBB118_2019:
	v_mov_b64_e32 v[2:3], 0
	s_and_b32 vcc_lo, exec_lo, s9
	s_cbranch_vccz .LBB118_1885
.LBB118_2020:
	s_or_b32 s13, s13, exec_lo
	s_trap 2
	s_cbranch_execz .LBB118_1886
	s_branch .LBB118_1887
.LBB118_2021:
	s_mov_b32 s9, -1
	s_mov_b32 s20, 0
.LBB118_2022:
                                        ; implicit-def: $vgpr6_vgpr7
.LBB118_2023:
	s_and_b32 vcc_lo, exec_lo, s21
	s_cbranch_vccz .LBB118_2028
; %bb.2024:
	s_cmp_eq_u32 s0, 44
	s_cbranch_scc0 .LBB118_2026
; %bb.2025:
	global_load_u8 v6, v[12:13], off
	s_mov_b32 s9, 0
	s_mov_b32 s20, -1
	s_wait_loadcnt 0x0
	v_cmp_ne_u32_e32 vcc_lo, 0xff, v6
	s_wait_xcnt 0x1
	v_lshlrev_b32_e32 v4, 23, v6
	s_delay_alu instid0(VALU_DEP_1) | instskip(NEXT) | instid1(VALU_DEP_1)
	v_cvt_f64_f32_e32 v[4:5], v4
	v_cndmask_b32_e32 v4, 0x20000000, v4, vcc_lo
	s_delay_alu instid0(VALU_DEP_2) | instskip(SKIP_1) | instid1(VALU_DEP_2)
	v_cndmask_b32_e32 v5, 0x7ff80000, v5, vcc_lo
	v_cmp_ne_u32_e32 vcc_lo, 0, v6
	v_cndmask_b32_e32 v5, 0x38000000, v5, vcc_lo
	s_delay_alu instid0(VALU_DEP_4)
	v_cndmask_b32_e32 v4, 0, v4, vcc_lo
	s_branch .LBB118_2027
.LBB118_2026:
	s_mov_b32 s9, -1
                                        ; implicit-def: $vgpr4_vgpr5
.LBB118_2027:
	v_mov_b64_e32 v[6:7], 0
.LBB118_2028:
	s_mov_b32 s21, 0
.LBB118_2029:
	s_delay_alu instid0(SALU_CYCLE_1)
	s_and_b32 vcc_lo, exec_lo, s21
	s_cbranch_vccz .LBB118_2034
; %bb.2030:
	s_cmp_eq_u32 s0, 29
	s_cbranch_scc0 .LBB118_2032
; %bb.2031:
	global_load_b64 v[4:5], v[12:13], off
	s_mov_b32 s9, 0
	s_mov_b32 s20, -1
	s_wait_loadcnt 0x0
	v_cvt_f64_u32_e32 v[6:7], v5
	v_cvt_f64_u32_e32 v[4:5], v4
	s_delay_alu instid0(VALU_DEP_2) | instskip(NEXT) | instid1(VALU_DEP_1)
	v_ldexp_f64 v[6:7], v[6:7], 32
	v_add_f64_e32 v[4:5], v[6:7], v[4:5]
	s_branch .LBB118_2033
.LBB118_2032:
	s_mov_b32 s9, -1
                                        ; implicit-def: $vgpr4_vgpr5
.LBB118_2033:
	v_mov_b64_e32 v[6:7], 0
.LBB118_2034:
	s_mov_b32 s21, 0
.LBB118_2035:
	s_delay_alu instid0(SALU_CYCLE_1)
	s_and_b32 vcc_lo, exec_lo, s21
	s_cbranch_vccz .LBB118_2053
; %bb.2036:
	s_cmp_lt_i32 s0, 27
	s_cbranch_scc1 .LBB118_2039
; %bb.2037:
	s_cmp_gt_i32 s0, 27
	s_cbranch_scc0 .LBB118_2040
; %bb.2038:
	global_load_b32 v4, v[12:13], off
	s_mov_b32 s20, 0
	s_wait_loadcnt 0x0
	v_cvt_f64_u32_e32 v[4:5], v4
	s_branch .LBB118_2041
.LBB118_2039:
	s_mov_b32 s20, -1
                                        ; implicit-def: $vgpr4_vgpr5
	s_branch .LBB118_2044
.LBB118_2040:
	s_mov_b32 s20, -1
                                        ; implicit-def: $vgpr4_vgpr5
.LBB118_2041:
	s_delay_alu instid0(SALU_CYCLE_1)
	s_and_not1_b32 vcc_lo, exec_lo, s20
	s_cbranch_vccnz .LBB118_2043
; %bb.2042:
	global_load_u16 v4, v[12:13], off
	s_wait_loadcnt 0x0
	v_cvt_f64_u32_e32 v[4:5], v4
.LBB118_2043:
	s_mov_b32 s20, 0
.LBB118_2044:
	s_delay_alu instid0(SALU_CYCLE_1)
	s_and_not1_b32 vcc_lo, exec_lo, s20
	s_cbranch_vccnz .LBB118_2052
; %bb.2045:
	global_load_u8 v6, v[12:13], off
	s_mov_b32 s20, 0
	s_mov_b32 s21, exec_lo
	s_wait_loadcnt 0x0
	v_cmpx_lt_i16_e32 0x7f, v6
	s_xor_b32 s21, exec_lo, s21
	s_cbranch_execz .LBB118_2078
; %bb.2046:
	s_mov_b32 s20, -1
	s_mov_b32 s22, exec_lo
	v_cmpx_eq_u16_e32 0x80, v6
; %bb.2047:
	s_xor_b32 s20, exec_lo, -1
; %bb.2048:
	s_or_b32 exec_lo, exec_lo, s22
	s_delay_alu instid0(SALU_CYCLE_1)
	s_and_b32 s20, s20, exec_lo
	s_or_saveexec_b32 s21, s21
	v_mov_b64_e32 v[4:5], 0x7ff8000020000000
	s_xor_b32 exec_lo, exec_lo, s21
	s_cbranch_execnz .LBB118_2079
.LBB118_2049:
	s_or_b32 exec_lo, exec_lo, s21
	s_and_saveexec_b32 s21, s20
	s_cbranch_execz .LBB118_2051
.LBB118_2050:
	v_and_b32_e32 v4, 0xffff, v6
	s_delay_alu instid0(VALU_DEP_1) | instskip(SKIP_1) | instid1(VALU_DEP_2)
	v_and_b32_e32 v5, 7, v4
	v_bfe_u32 v11, v4, 3, 4
	v_clz_i32_u32_e32 v7, v5
	s_delay_alu instid0(VALU_DEP_2) | instskip(NEXT) | instid1(VALU_DEP_2)
	v_cmp_eq_u32_e32 vcc_lo, 0, v11
	v_min_u32_e32 v7, 32, v7
	s_delay_alu instid0(VALU_DEP_1) | instskip(NEXT) | instid1(VALU_DEP_1)
	v_subrev_nc_u32_e32 v9, 28, v7
	v_dual_lshlrev_b32 v4, v9, v4 :: v_dual_sub_nc_u32 v7, 29, v7
	s_delay_alu instid0(VALU_DEP_1) | instskip(NEXT) | instid1(VALU_DEP_1)
	v_dual_lshlrev_b32 v6, 24, v6 :: v_dual_bitop2_b32 v4, 7, v4 bitop3:0x40
	v_dual_cndmask_b32 v7, v11, v7 :: v_dual_cndmask_b32 v4, v5, v4
	s_delay_alu instid0(VALU_DEP_2) | instskip(NEXT) | instid1(VALU_DEP_2)
	v_and_b32_e32 v5, 0x80000000, v6
	v_lshl_add_u32 v6, v7, 23, 0x3b800000
	s_delay_alu instid0(VALU_DEP_3) | instskip(NEXT) | instid1(VALU_DEP_1)
	v_lshlrev_b32_e32 v4, 20, v4
	v_or3_b32 v4, v5, v6, v4
	s_delay_alu instid0(VALU_DEP_1)
	v_cvt_f64_f32_e32 v[4:5], v4
.LBB118_2051:
	s_or_b32 exec_lo, exec_lo, s21
.LBB118_2052:
	v_mov_b64_e32 v[6:7], 0
	s_mov_b32 s20, -1
.LBB118_2053:
	s_mov_b32 s21, 0
.LBB118_2054:
	s_delay_alu instid0(SALU_CYCLE_1)
	s_and_b32 vcc_lo, exec_lo, s21
	s_cbranch_vccz .LBB118_2065
; %bb.2055:
	s_cmp_gt_i32 s0, 22
	s_cbranch_scc0 .LBB118_2076
; %bb.2056:
	s_cmp_lt_i32 s0, 24
	s_cbranch_scc1 .LBB118_2080
; %bb.2057:
	s_cmp_gt_i32 s0, 24
	s_cbranch_scc0 .LBB118_2082
; %bb.2058:
	global_load_u8 v6, v[12:13], off
	s_mov_b32 s20, exec_lo
	s_wait_loadcnt 0x0
	v_cmpx_lt_i16_e32 0x7f, v6
	s_xor_b32 s20, exec_lo, s20
	s_cbranch_execz .LBB118_2094
; %bb.2059:
	s_mov_b32 s10, -1
	s_mov_b32 s21, exec_lo
	v_cmpx_eq_u16_e32 0x80, v6
; %bb.2060:
	s_xor_b32 s10, exec_lo, -1
; %bb.2061:
	s_or_b32 exec_lo, exec_lo, s21
	s_delay_alu instid0(SALU_CYCLE_1)
	s_and_b32 s10, s10, exec_lo
	s_or_saveexec_b32 s20, s20
	v_mov_b64_e32 v[4:5], 0x7ff8000020000000
	s_xor_b32 exec_lo, exec_lo, s20
	s_cbranch_execnz .LBB118_2095
.LBB118_2062:
	s_or_b32 exec_lo, exec_lo, s20
	s_and_saveexec_b32 s20, s10
	s_cbranch_execz .LBB118_2064
.LBB118_2063:
	v_and_b32_e32 v4, 0xffff, v6
	s_delay_alu instid0(VALU_DEP_1) | instskip(SKIP_1) | instid1(VALU_DEP_2)
	v_and_b32_e32 v5, 3, v4
	v_bfe_u32 v11, v4, 2, 5
	v_clz_i32_u32_e32 v7, v5
	s_delay_alu instid0(VALU_DEP_2) | instskip(NEXT) | instid1(VALU_DEP_2)
	v_cmp_eq_u32_e32 vcc_lo, 0, v11
	v_min_u32_e32 v7, 32, v7
	s_delay_alu instid0(VALU_DEP_1) | instskip(NEXT) | instid1(VALU_DEP_1)
	v_subrev_nc_u32_e32 v9, 29, v7
	v_dual_lshlrev_b32 v4, v9, v4 :: v_dual_sub_nc_u32 v7, 30, v7
	s_delay_alu instid0(VALU_DEP_1) | instskip(NEXT) | instid1(VALU_DEP_1)
	v_dual_lshlrev_b32 v6, 24, v6 :: v_dual_bitop2_b32 v4, 3, v4 bitop3:0x40
	v_dual_cndmask_b32 v7, v11, v7 :: v_dual_cndmask_b32 v4, v5, v4
	s_delay_alu instid0(VALU_DEP_2) | instskip(NEXT) | instid1(VALU_DEP_2)
	v_and_b32_e32 v5, 0x80000000, v6
	v_lshl_add_u32 v6, v7, 23, 0x37800000
	s_delay_alu instid0(VALU_DEP_3) | instskip(NEXT) | instid1(VALU_DEP_1)
	v_lshlrev_b32_e32 v4, 21, v4
	v_or3_b32 v4, v5, v6, v4
	s_delay_alu instid0(VALU_DEP_1)
	v_cvt_f64_f32_e32 v[4:5], v4
.LBB118_2064:
	s_or_b32 exec_lo, exec_lo, s20
	s_mov_b32 s10, 0
	s_branch .LBB118_2083
.LBB118_2065:
	s_and_b32 vcc_lo, exec_lo, s9
	s_cbranch_vccnz .LBB118_2113
.LBB118_2066:
	s_and_not1_b32 vcc_lo, exec_lo, s10
	s_cbranch_vccnz .LBB118_2068
.LBB118_2067:
	global_load_u8 v4, v[12:13], off
	v_mov_b64_e32 v[6:7], 0
	s_mov_b32 s20, -1
	s_wait_loadcnt 0x0
	v_cmp_ne_u16_e32 vcc_lo, 0, v4
	v_mov_b32_e32 v4, 0
	v_cndmask_b32_e64 v5, 0, 0x3ff00000, vcc_lo
.LBB118_2068:
	s_mov_b32 s0, 0
.LBB118_2069:
	s_delay_alu instid0(SALU_CYCLE_1)
	s_and_b32 vcc_lo, exec_lo, s0
	s_cbranch_vccz .LBB118_2144
; %bb.2070:
	s_and_b32 s0, 0xffff, s17
	s_delay_alu instid0(SALU_CYCLE_1)
	s_cmp_lt_i32 s0, 5
	s_cbranch_scc1 .LBB118_2075
; %bb.2071:
	s_cmp_lt_i32 s0, 8
	s_cbranch_scc1 .LBB118_2077
; %bb.2072:
	;; [unrolled: 3-line block ×3, first 2 shown]
	s_cmp_gt_i32 s0, 9
	s_cbranch_scc0 .LBB118_2096
; %bb.2074:
	global_load_b128 v[4:7], v[12:13], off
	s_mov_b32 s9, 0
	s_branch .LBB118_2097
.LBB118_2075:
	s_mov_b32 s9, -1
                                        ; implicit-def: $vgpr6_vgpr7
	s_branch .LBB118_2122
.LBB118_2076:
	s_mov_b32 s10, -1
                                        ; implicit-def: $vgpr4_vgpr5
	s_branch .LBB118_2089
.LBB118_2077:
	s_mov_b32 s9, -1
                                        ; implicit-def: $vgpr6_vgpr7
	s_branch .LBB118_2103
.LBB118_2078:
	s_or_saveexec_b32 s21, s21
	v_mov_b64_e32 v[4:5], 0x7ff8000020000000
	s_xor_b32 exec_lo, exec_lo, s21
	s_cbranch_execz .LBB118_2049
.LBB118_2079:
	v_cmp_ne_u16_e32 vcc_lo, 0, v6
	v_mov_b64_e32 v[4:5], 0
	s_and_not1_b32 s20, s20, exec_lo
	s_and_b32 s22, vcc_lo, exec_lo
	s_delay_alu instid0(SALU_CYCLE_1)
	s_or_b32 s20, s20, s22
	s_or_b32 exec_lo, exec_lo, s21
	s_and_saveexec_b32 s21, s20
	s_cbranch_execnz .LBB118_2050
	s_branch .LBB118_2051
.LBB118_2080:
	s_mov_b32 s10, -1
                                        ; implicit-def: $vgpr4_vgpr5
	s_branch .LBB118_2086
.LBB118_2081:
	s_mov_b32 s9, -1
                                        ; implicit-def: $vgpr6_vgpr7
	s_branch .LBB118_2100
.LBB118_2082:
	s_mov_b32 s10, -1
                                        ; implicit-def: $vgpr4_vgpr5
.LBB118_2083:
	s_delay_alu instid0(SALU_CYCLE_1)
	s_and_b32 vcc_lo, exec_lo, s10
	s_cbranch_vccz .LBB118_2085
; %bb.2084:
	global_load_u8 v4, v[12:13], off
	s_wait_loadcnt 0x0
	v_lshlrev_b32_e32 v4, 24, v4
	s_delay_alu instid0(VALU_DEP_1) | instskip(NEXT) | instid1(VALU_DEP_1)
	v_and_b32_e32 v5, 0x7f000000, v4
	v_clz_i32_u32_e32 v6, v5
	v_add_nc_u32_e32 v9, 0x1000000, v5
	v_cmp_ne_u32_e32 vcc_lo, 0, v5
	s_delay_alu instid0(VALU_DEP_3) | instskip(NEXT) | instid1(VALU_DEP_1)
	v_min_u32_e32 v6, 32, v6
	v_sub_nc_u32_e64 v6, v6, 4 clamp
	s_delay_alu instid0(VALU_DEP_1) | instskip(NEXT) | instid1(VALU_DEP_1)
	v_dual_lshlrev_b32 v7, v6, v5 :: v_dual_lshlrev_b32 v6, 23, v6
	v_lshrrev_b32_e32 v7, 4, v7
	s_delay_alu instid0(VALU_DEP_1) | instskip(NEXT) | instid1(VALU_DEP_1)
	v_dual_sub_nc_u32 v6, v7, v6 :: v_dual_ashrrev_i32 v7, 8, v9
	v_add_nc_u32_e32 v6, 0x3c000000, v6
	s_delay_alu instid0(VALU_DEP_1) | instskip(NEXT) | instid1(VALU_DEP_1)
	v_and_or_b32 v6, 0x7f800000, v7, v6
	v_cndmask_b32_e32 v5, 0, v6, vcc_lo
	s_delay_alu instid0(VALU_DEP_1) | instskip(NEXT) | instid1(VALU_DEP_1)
	v_and_or_b32 v4, 0x80000000, v4, v5
	v_cvt_f64_f32_e32 v[4:5], v4
.LBB118_2085:
	s_mov_b32 s10, 0
.LBB118_2086:
	s_delay_alu instid0(SALU_CYCLE_1)
	s_and_not1_b32 vcc_lo, exec_lo, s10
	s_cbranch_vccnz .LBB118_2088
; %bb.2087:
	global_load_u8 v4, v[12:13], off
	s_wait_loadcnt 0x0
	v_lshlrev_b32_e32 v5, 25, v4
	v_lshlrev_b16 v4, 8, v4
	s_delay_alu instid0(VALU_DEP_1) | instskip(SKIP_1) | instid1(VALU_DEP_2)
	v_and_or_b32 v7, 0x7f00, v4, 0.5
	v_bfe_i32 v4, v4, 0, 16
	v_dual_add_f32 v7, -0.5, v7 :: v_dual_lshrrev_b32 v6, 4, v5
	v_cmp_gt_u32_e32 vcc_lo, 0x8000000, v5
	s_delay_alu instid0(VALU_DEP_2) | instskip(NEXT) | instid1(VALU_DEP_1)
	v_or_b32_e32 v6, 0x70000000, v6
	v_mul_f32_e32 v6, 0x7800000, v6
	s_delay_alu instid0(VALU_DEP_1) | instskip(NEXT) | instid1(VALU_DEP_1)
	v_cndmask_b32_e32 v5, v6, v7, vcc_lo
	v_and_or_b32 v4, 0x80000000, v4, v5
	s_delay_alu instid0(VALU_DEP_1)
	v_cvt_f64_f32_e32 v[4:5], v4
.LBB118_2088:
	s_mov_b32 s10, 0
	s_mov_b32 s20, -1
.LBB118_2089:
	s_and_not1_b32 vcc_lo, exec_lo, s10
	s_mov_b32 s10, 0
	s_cbranch_vccnz .LBB118_2112
; %bb.2090:
	s_cmp_gt_i32 s0, 14
	s_cbranch_scc0 .LBB118_2093
; %bb.2091:
	s_cmp_eq_u32 s0, 15
	s_cbranch_scc0 .LBB118_2108
; %bb.2092:
	global_load_u16 v4, v[12:13], off
	s_mov_b32 s9, 0
	s_mov_b32 s20, -1
	s_wait_loadcnt 0x0
	v_lshlrev_b32_e32 v4, 16, v4
	s_delay_alu instid0(VALU_DEP_1)
	v_cvt_f64_f32_e32 v[4:5], v4
	s_branch .LBB118_2110
.LBB118_2093:
	s_mov_b32 s10, -1
	s_branch .LBB118_2109
.LBB118_2094:
	s_or_saveexec_b32 s20, s20
	v_mov_b64_e32 v[4:5], 0x7ff8000020000000
	s_xor_b32 exec_lo, exec_lo, s20
	s_cbranch_execz .LBB118_2062
.LBB118_2095:
	v_cmp_ne_u16_e32 vcc_lo, 0, v6
	v_mov_b64_e32 v[4:5], 0
	s_and_not1_b32 s10, s10, exec_lo
	s_and_b32 s21, vcc_lo, exec_lo
	s_delay_alu instid0(SALU_CYCLE_1)
	s_or_b32 s10, s10, s21
	s_or_b32 exec_lo, exec_lo, s20
	s_and_saveexec_b32 s20, s10
	s_cbranch_execnz .LBB118_2063
	s_branch .LBB118_2064
.LBB118_2096:
	s_mov_b32 s9, -1
                                        ; implicit-def: $vgpr6_vgpr7
.LBB118_2097:
	s_delay_alu instid0(SALU_CYCLE_1)
	s_and_not1_b32 vcc_lo, exec_lo, s9
	s_cbranch_vccnz .LBB118_2099
; %bb.2098:
	s_wait_loadcnt 0x0
	global_load_b64 v[6:7], v[12:13], off
	s_wait_loadcnt 0x0
	s_wait_xcnt 0x1
	v_cvt_f64_f32_e32 v[4:5], v6
	v_cvt_f64_f32_e32 v[6:7], v7
.LBB118_2099:
	s_mov_b32 s9, 0
.LBB118_2100:
	s_delay_alu instid0(SALU_CYCLE_1)
	s_and_not1_b32 vcc_lo, exec_lo, s9
	s_cbranch_vccnz .LBB118_2102
; %bb.2101:
	s_wait_loadcnt 0x0
	global_load_b32 v4, v[12:13], off
	s_wait_loadcnt 0x0
	v_lshrrev_b32_e32 v5, 16, v4
	v_cvt_f32_f16_e32 v4, v4
	s_delay_alu instid0(VALU_DEP_2) | instskip(NEXT) | instid1(VALU_DEP_2)
	v_cvt_f32_f16_e32 v6, v5
	v_cvt_f64_f32_e32 v[4:5], v4
	s_delay_alu instid0(VALU_DEP_2)
	v_cvt_f64_f32_e32 v[6:7], v6
.LBB118_2102:
	s_mov_b32 s9, 0
.LBB118_2103:
	s_delay_alu instid0(SALU_CYCLE_1)
	s_and_not1_b32 vcc_lo, exec_lo, s9
	s_cbranch_vccnz .LBB118_2121
; %bb.2104:
	s_cmp_lt_i32 s0, 6
	s_cbranch_scc1 .LBB118_2107
; %bb.2105:
	s_cmp_gt_i32 s0, 6
	s_cbranch_scc0 .LBB118_2114
; %bb.2106:
	s_wait_loadcnt 0x0
	global_load_b64 v[4:5], v[12:13], off
	s_mov_b32 s9, 0
	s_branch .LBB118_2115
.LBB118_2107:
	s_mov_b32 s9, -1
                                        ; implicit-def: $vgpr4_vgpr5
	s_branch .LBB118_2118
.LBB118_2108:
	s_mov_b32 s9, -1
.LBB118_2109:
                                        ; implicit-def: $vgpr4_vgpr5
.LBB118_2110:
	s_and_b32 vcc_lo, exec_lo, s10
	s_mov_b32 s10, 0
	s_cbranch_vccz .LBB118_2112
; %bb.2111:
	s_cmp_lg_u32 s0, 11
	s_mov_b32 s10, -1
	s_cselect_b32 s9, -1, 0
.LBB118_2112:
	v_mov_b64_e32 v[6:7], 0
	s_and_b32 vcc_lo, exec_lo, s9
	s_cbranch_vccz .LBB118_2066
.LBB118_2113:
	s_or_b32 s13, s13, exec_lo
	s_trap 2
	s_cbranch_execz .LBB118_2067
	s_branch .LBB118_2068
.LBB118_2114:
	s_mov_b32 s9, -1
                                        ; implicit-def: $vgpr4_vgpr5
.LBB118_2115:
	s_delay_alu instid0(SALU_CYCLE_1)
	s_and_not1_b32 vcc_lo, exec_lo, s9
	s_cbranch_vccnz .LBB118_2117
; %bb.2116:
	s_wait_loadcnt 0x0
	global_load_b32 v4, v[12:13], off
	s_wait_loadcnt 0x0
	v_cvt_f64_f32_e32 v[4:5], v4
.LBB118_2117:
	s_mov_b32 s9, 0
.LBB118_2118:
	s_delay_alu instid0(SALU_CYCLE_1)
	s_and_not1_b32 vcc_lo, exec_lo, s9
	s_cbranch_vccnz .LBB118_2120
; %bb.2119:
	s_wait_loadcnt 0x0
	global_load_u16 v4, v[12:13], off
	s_wait_loadcnt 0x0
	v_cvt_f32_f16_e32 v4, v4
	s_delay_alu instid0(VALU_DEP_1)
	v_cvt_f64_f32_e32 v[4:5], v4
.LBB118_2120:
	s_wait_loadcnt 0x0
	v_mov_b64_e32 v[6:7], 0
.LBB118_2121:
	s_mov_b32 s9, 0
.LBB118_2122:
	s_delay_alu instid0(SALU_CYCLE_1)
	s_and_not1_b32 vcc_lo, exec_lo, s9
	s_cbranch_vccnz .LBB118_2143
; %bb.2123:
	s_cmp_lt_i32 s0, 2
	s_cbranch_scc1 .LBB118_2127
; %bb.2124:
	s_cmp_lt_i32 s0, 3
	s_cbranch_scc1 .LBB118_2128
; %bb.2125:
	s_cmp_gt_i32 s0, 3
	s_cbranch_scc0 .LBB118_2129
; %bb.2126:
	s_wait_loadcnt 0x0
	global_load_b64 v[4:5], v[12:13], off
	s_mov_b32 s9, 0
	s_wait_loadcnt 0x0
	v_cvt_f64_i32_e32 v[6:7], v5
	v_cvt_f64_u32_e32 v[4:5], v4
	s_delay_alu instid0(VALU_DEP_2) | instskip(NEXT) | instid1(VALU_DEP_1)
	v_ldexp_f64 v[6:7], v[6:7], 32
	v_add_f64_e32 v[4:5], v[6:7], v[4:5]
	s_branch .LBB118_2130
.LBB118_2127:
	s_mov_b32 s9, -1
                                        ; implicit-def: $vgpr4_vgpr5
	s_branch .LBB118_2136
.LBB118_2128:
	s_mov_b32 s9, -1
                                        ; implicit-def: $vgpr4_vgpr5
	s_branch .LBB118_2133
.LBB118_2129:
	s_mov_b32 s9, -1
                                        ; implicit-def: $vgpr4_vgpr5
.LBB118_2130:
	s_delay_alu instid0(SALU_CYCLE_1)
	s_and_not1_b32 vcc_lo, exec_lo, s9
	s_cbranch_vccnz .LBB118_2132
; %bb.2131:
	s_wait_loadcnt 0x0
	global_load_b32 v4, v[12:13], off
	s_wait_loadcnt 0x0
	v_cvt_f64_i32_e32 v[4:5], v4
.LBB118_2132:
	s_mov_b32 s9, 0
.LBB118_2133:
	s_delay_alu instid0(SALU_CYCLE_1)
	s_and_not1_b32 vcc_lo, exec_lo, s9
	s_cbranch_vccnz .LBB118_2135
; %bb.2134:
	s_wait_loadcnt 0x0
	global_load_i16 v4, v[12:13], off
	s_wait_loadcnt 0x0
	v_cvt_f64_i32_e32 v[4:5], v4
.LBB118_2135:
	s_mov_b32 s9, 0
.LBB118_2136:
	s_delay_alu instid0(SALU_CYCLE_1)
	s_and_not1_b32 vcc_lo, exec_lo, s9
	s_cbranch_vccnz .LBB118_2142
; %bb.2137:
	s_cmp_gt_i32 s0, 0
	s_mov_b32 s0, 0
	s_cbranch_scc0 .LBB118_2139
; %bb.2138:
	s_wait_loadcnt 0x0
	global_load_i8 v4, v[12:13], off
	s_wait_loadcnt 0x0
	v_cvt_f64_i32_e32 v[4:5], v4
	s_branch .LBB118_2140
.LBB118_2139:
	s_mov_b32 s0, -1
                                        ; implicit-def: $vgpr4_vgpr5
.LBB118_2140:
	s_delay_alu instid0(SALU_CYCLE_1)
	s_and_not1_b32 vcc_lo, exec_lo, s0
	s_cbranch_vccnz .LBB118_2142
; %bb.2141:
	s_wait_loadcnt 0x0
	global_load_u8 v4, v[12:13], off
	s_wait_loadcnt 0x0
	v_cvt_f64_u32_e32 v[4:5], v4
.LBB118_2142:
	s_wait_loadcnt 0x0
	v_mov_b64_e32 v[6:7], 0
.LBB118_2143:
	s_mov_b32 s20, -1
.LBB118_2144:
	s_delay_alu instid0(SALU_CYCLE_1)
	s_and_not1_b32 vcc_lo, exec_lo, s20
	s_cbranch_vccnz .LBB118_2703
; %bb.2145:
	s_and_b32 vcc_lo, exec_lo, s11
	s_cbranch_vccz .LBB118_2147
; %bb.2146:
	s_wait_loadcnt 0x0
	s_delay_alu instid0(VALU_DEP_1) | instskip(NEXT) | instid1(VALU_DEP_2)
	v_cmp_neq_f64_e32 vcc_lo, v[0:1], v[4:5]
	v_cmp_neq_f64_e64 s0, v[2:3], v[6:7]
	s_or_b32 s9, vcc_lo, s0
	s_mov_b32 s0, 0
	s_branch .LBB118_2148
.LBB118_2147:
	s_mov_b32 s0, -1
                                        ; implicit-def: $sgpr9
.LBB118_2148:
	s_delay_alu instid0(SALU_CYCLE_1)
	s_and_not1_b32 vcc_lo, exec_lo, s0
	s_cbranch_vccnz .LBB118_2150
; %bb.2149:
	s_wait_loadcnt 0x0
	s_delay_alu instid0(VALU_DEP_1) | instskip(NEXT) | instid1(VALU_DEP_2)
	v_cmp_eq_f64_e32 vcc_lo, v[0:1], v[4:5]
	v_cmp_eq_f64_e64 s0, v[2:3], v[6:7]
	s_and_not1_b32 s9, s9, exec_lo
	s_and_b32 s0, vcc_lo, s0
	s_delay_alu instid0(SALU_CYCLE_1) | instskip(NEXT) | instid1(SALU_CYCLE_1)
	s_and_b32 s0, s0, exec_lo
	s_or_b32 s9, s9, s0
.LBB118_2150:
	v_add_nc_u32_e32 v8, s18, v8
	s_cmp_lt_i32 s14, 11
	s_delay_alu instid0(VALU_DEP_1) | instskip(SKIP_1) | instid1(VALU_DEP_1)
	v_ashrrev_i32_e32 v9, 31, v8
	s_wait_loadcnt 0x0
	v_add_nc_u64_e32 v[4:5], s[6:7], v[8:9]
	s_cbranch_scc1 .LBB118_2157
; %bb.2151:
	s_and_b32 s0, 0xffff, s14
	s_mov_b32 s20, 0
	s_cmp_gt_i32 s0, 25
	s_cbranch_scc0 .LBB118_2158
; %bb.2152:
	s_cmp_gt_i32 s0, 28
	s_cbranch_scc0 .LBB118_2159
; %bb.2153:
	;; [unrolled: 3-line block ×4, first 2 shown]
	s_cmp_eq_u32 s0, 46
	s_mov_b32 s22, 0
	s_cbranch_scc0 .LBB118_2162
; %bb.2156:
	global_load_b32 v0, v[4:5], off
	s_mov_b32 s10, 0
	s_mov_b32 s21, -1
	s_wait_loadcnt 0x0
	v_lshlrev_b32_e32 v1, 16, v0
	v_and_b32_e32 v2, 0xffff0000, v0
	s_delay_alu instid0(VALU_DEP_2) | instskip(NEXT) | instid1(VALU_DEP_2)
	v_cvt_f64_f32_e32 v[0:1], v1
	v_cvt_f64_f32_e32 v[2:3], v2
	s_branch .LBB118_2164
.LBB118_2157:
	s_mov_b32 s0, -1
	s_mov_b32 s21, 0
                                        ; implicit-def: $vgpr2_vgpr3
	s_branch .LBB118_2210
.LBB118_2158:
	s_mov_b32 s22, -1
	s_mov_b32 s21, 0
	s_mov_b32 s10, 0
                                        ; implicit-def: $vgpr2_vgpr3
	s_branch .LBB118_2195
.LBB118_2159:
	s_mov_b32 s22, -1
	s_mov_b32 s21, 0
	s_mov_b32 s10, 0
                                        ; implicit-def: $vgpr2_vgpr3
	s_branch .LBB118_2176
.LBB118_2160:
	s_mov_b32 s22, -1
	s_mov_b32 s21, 0
	s_mov_b32 s10, 0
                                        ; implicit-def: $vgpr2_vgpr3
	s_branch .LBB118_2170
.LBB118_2161:
	s_mov_b32 s22, -1
	s_mov_b32 s21, 0
	s_mov_b32 s10, 0
	s_branch .LBB118_2163
.LBB118_2162:
	s_mov_b32 s10, -1
	s_mov_b32 s21, 0
.LBB118_2163:
                                        ; implicit-def: $vgpr2_vgpr3
.LBB118_2164:
	s_and_b32 vcc_lo, exec_lo, s22
	s_cbranch_vccz .LBB118_2169
; %bb.2165:
	s_cmp_eq_u32 s0, 44
	s_cbranch_scc0 .LBB118_2167
; %bb.2166:
	global_load_u8 v2, v[4:5], off
	s_mov_b32 s10, 0
	s_mov_b32 s21, -1
	s_wait_loadcnt 0x0
	v_cmp_ne_u32_e32 vcc_lo, 0xff, v2
	v_lshlrev_b32_e32 v0, 23, v2
	s_delay_alu instid0(VALU_DEP_1) | instskip(NEXT) | instid1(VALU_DEP_1)
	v_cvt_f64_f32_e32 v[0:1], v0
	v_cndmask_b32_e32 v0, 0x20000000, v0, vcc_lo
	s_delay_alu instid0(VALU_DEP_2) | instskip(SKIP_1) | instid1(VALU_DEP_2)
	v_cndmask_b32_e32 v1, 0x7ff80000, v1, vcc_lo
	v_cmp_ne_u32_e32 vcc_lo, 0, v2
	v_cndmask_b32_e32 v1, 0x38000000, v1, vcc_lo
	s_delay_alu instid0(VALU_DEP_4)
	v_cndmask_b32_e32 v0, 0, v0, vcc_lo
	s_branch .LBB118_2168
.LBB118_2167:
	s_mov_b32 s10, -1
                                        ; implicit-def: $vgpr0_vgpr1
.LBB118_2168:
	v_mov_b64_e32 v[2:3], 0
.LBB118_2169:
	s_mov_b32 s22, 0
.LBB118_2170:
	s_delay_alu instid0(SALU_CYCLE_1)
	s_and_b32 vcc_lo, exec_lo, s22
	s_cbranch_vccz .LBB118_2175
; %bb.2171:
	s_cmp_eq_u32 s0, 29
	s_cbranch_scc0 .LBB118_2173
; %bb.2172:
	global_load_b64 v[0:1], v[4:5], off
	s_mov_b32 s10, 0
	s_mov_b32 s21, -1
	s_wait_loadcnt 0x0
	v_cvt_f64_u32_e32 v[2:3], v1
	v_cvt_f64_u32_e32 v[0:1], v0
	s_delay_alu instid0(VALU_DEP_2) | instskip(NEXT) | instid1(VALU_DEP_1)
	v_ldexp_f64 v[2:3], v[2:3], 32
	v_add_f64_e32 v[0:1], v[2:3], v[0:1]
	s_branch .LBB118_2174
.LBB118_2173:
	s_mov_b32 s10, -1
                                        ; implicit-def: $vgpr0_vgpr1
.LBB118_2174:
	v_mov_b64_e32 v[2:3], 0
.LBB118_2175:
	s_mov_b32 s22, 0
.LBB118_2176:
	s_delay_alu instid0(SALU_CYCLE_1)
	s_and_b32 vcc_lo, exec_lo, s22
	s_cbranch_vccz .LBB118_2194
; %bb.2177:
	s_cmp_lt_i32 s0, 27
	s_cbranch_scc1 .LBB118_2180
; %bb.2178:
	s_cmp_gt_i32 s0, 27
	s_cbranch_scc0 .LBB118_2181
; %bb.2179:
	global_load_b32 v0, v[4:5], off
	s_mov_b32 s21, 0
	s_wait_loadcnt 0x0
	v_cvt_f64_u32_e32 v[0:1], v0
	s_branch .LBB118_2182
.LBB118_2180:
	s_mov_b32 s21, -1
                                        ; implicit-def: $vgpr0_vgpr1
	s_branch .LBB118_2185
.LBB118_2181:
	s_mov_b32 s21, -1
                                        ; implicit-def: $vgpr0_vgpr1
.LBB118_2182:
	s_delay_alu instid0(SALU_CYCLE_1)
	s_and_not1_b32 vcc_lo, exec_lo, s21
	s_cbranch_vccnz .LBB118_2184
; %bb.2183:
	global_load_u16 v0, v[4:5], off
	s_wait_loadcnt 0x0
	v_cvt_f64_u32_e32 v[0:1], v0
.LBB118_2184:
	s_mov_b32 s21, 0
.LBB118_2185:
	s_delay_alu instid0(SALU_CYCLE_1)
	s_and_not1_b32 vcc_lo, exec_lo, s21
	s_cbranch_vccnz .LBB118_2193
; %bb.2186:
	global_load_u8 v2, v[4:5], off
	s_mov_b32 s21, 0
	s_mov_b32 s22, exec_lo
	s_wait_loadcnt 0x0
	v_cmpx_lt_i16_e32 0x7f, v2
	s_xor_b32 s22, exec_lo, s22
	s_cbranch_execz .LBB118_2219
; %bb.2187:
	s_mov_b32 s21, -1
	s_mov_b32 s23, exec_lo
	v_cmpx_eq_u16_e32 0x80, v2
; %bb.2188:
	s_xor_b32 s21, exec_lo, -1
; %bb.2189:
	s_or_b32 exec_lo, exec_lo, s23
	s_delay_alu instid0(SALU_CYCLE_1)
	s_and_b32 s21, s21, exec_lo
	s_or_saveexec_b32 s22, s22
	v_mov_b64_e32 v[0:1], 0x7ff8000020000000
	s_xor_b32 exec_lo, exec_lo, s22
	s_cbranch_execnz .LBB118_2220
.LBB118_2190:
	s_or_b32 exec_lo, exec_lo, s22
	s_and_saveexec_b32 s22, s21
	s_cbranch_execz .LBB118_2192
.LBB118_2191:
	v_and_b32_e32 v0, 0xffff, v2
	s_delay_alu instid0(VALU_DEP_1) | instskip(SKIP_1) | instid1(VALU_DEP_2)
	v_and_b32_e32 v1, 7, v0
	v_bfe_u32 v7, v0, 3, 4
	v_clz_i32_u32_e32 v3, v1
	s_delay_alu instid0(VALU_DEP_2) | instskip(NEXT) | instid1(VALU_DEP_2)
	v_cmp_eq_u32_e32 vcc_lo, 0, v7
	v_min_u32_e32 v3, 32, v3
	s_delay_alu instid0(VALU_DEP_1) | instskip(NEXT) | instid1(VALU_DEP_1)
	v_subrev_nc_u32_e32 v6, 28, v3
	v_dual_lshlrev_b32 v0, v6, v0 :: v_dual_sub_nc_u32 v3, 29, v3
	s_delay_alu instid0(VALU_DEP_1) | instskip(NEXT) | instid1(VALU_DEP_1)
	v_dual_lshlrev_b32 v2, 24, v2 :: v_dual_bitop2_b32 v0, 7, v0 bitop3:0x40
	v_dual_cndmask_b32 v3, v7, v3 :: v_dual_cndmask_b32 v0, v1, v0
	s_delay_alu instid0(VALU_DEP_2) | instskip(NEXT) | instid1(VALU_DEP_2)
	v_and_b32_e32 v1, 0x80000000, v2
	v_lshl_add_u32 v2, v3, 23, 0x3b800000
	s_delay_alu instid0(VALU_DEP_3) | instskip(NEXT) | instid1(VALU_DEP_1)
	v_lshlrev_b32_e32 v0, 20, v0
	v_or3_b32 v0, v1, v2, v0
	s_delay_alu instid0(VALU_DEP_1)
	v_cvt_f64_f32_e32 v[0:1], v0
.LBB118_2192:
	s_or_b32 exec_lo, exec_lo, s22
.LBB118_2193:
	v_mov_b64_e32 v[2:3], 0
	s_mov_b32 s21, -1
.LBB118_2194:
	s_mov_b32 s22, 0
.LBB118_2195:
	s_delay_alu instid0(SALU_CYCLE_1)
	s_and_b32 vcc_lo, exec_lo, s22
	s_cbranch_vccz .LBB118_2206
; %bb.2196:
	s_cmp_gt_i32 s0, 22
	s_cbranch_scc0 .LBB118_2217
; %bb.2197:
	s_cmp_lt_i32 s0, 24
	s_cbranch_scc1 .LBB118_2221
; %bb.2198:
	s_cmp_gt_i32 s0, 24
	s_cbranch_scc0 .LBB118_2223
; %bb.2199:
	global_load_u8 v2, v[4:5], off
	s_mov_b32 s21, exec_lo
	s_wait_loadcnt 0x0
	v_cmpx_lt_i16_e32 0x7f, v2
	s_xor_b32 s21, exec_lo, s21
	s_cbranch_execz .LBB118_2235
; %bb.2200:
	s_mov_b32 s20, -1
	s_mov_b32 s22, exec_lo
	v_cmpx_eq_u16_e32 0x80, v2
; %bb.2201:
	s_xor_b32 s20, exec_lo, -1
; %bb.2202:
	s_or_b32 exec_lo, exec_lo, s22
	s_delay_alu instid0(SALU_CYCLE_1)
	s_and_b32 s20, s20, exec_lo
	s_or_saveexec_b32 s21, s21
	v_mov_b64_e32 v[0:1], 0x7ff8000020000000
	s_xor_b32 exec_lo, exec_lo, s21
	s_cbranch_execnz .LBB118_2236
.LBB118_2203:
	s_or_b32 exec_lo, exec_lo, s21
	s_and_saveexec_b32 s21, s20
	s_cbranch_execz .LBB118_2205
.LBB118_2204:
	v_and_b32_e32 v0, 0xffff, v2
	s_delay_alu instid0(VALU_DEP_1) | instskip(SKIP_1) | instid1(VALU_DEP_2)
	v_and_b32_e32 v1, 3, v0
	v_bfe_u32 v7, v0, 2, 5
	v_clz_i32_u32_e32 v3, v1
	s_delay_alu instid0(VALU_DEP_2) | instskip(NEXT) | instid1(VALU_DEP_2)
	v_cmp_eq_u32_e32 vcc_lo, 0, v7
	v_min_u32_e32 v3, 32, v3
	s_delay_alu instid0(VALU_DEP_1) | instskip(NEXT) | instid1(VALU_DEP_1)
	v_subrev_nc_u32_e32 v6, 29, v3
	v_dual_lshlrev_b32 v0, v6, v0 :: v_dual_sub_nc_u32 v3, 30, v3
	s_delay_alu instid0(VALU_DEP_1) | instskip(NEXT) | instid1(VALU_DEP_1)
	v_dual_lshlrev_b32 v2, 24, v2 :: v_dual_bitop2_b32 v0, 3, v0 bitop3:0x40
	v_dual_cndmask_b32 v3, v7, v3 :: v_dual_cndmask_b32 v0, v1, v0
	s_delay_alu instid0(VALU_DEP_2) | instskip(NEXT) | instid1(VALU_DEP_2)
	v_and_b32_e32 v1, 0x80000000, v2
	v_lshl_add_u32 v2, v3, 23, 0x37800000
	s_delay_alu instid0(VALU_DEP_3) | instskip(NEXT) | instid1(VALU_DEP_1)
	v_lshlrev_b32_e32 v0, 21, v0
	v_or3_b32 v0, v1, v2, v0
	s_delay_alu instid0(VALU_DEP_1)
	v_cvt_f64_f32_e32 v[0:1], v0
.LBB118_2205:
	s_or_b32 exec_lo, exec_lo, s21
	s_mov_b32 s20, 0
	s_branch .LBB118_2224
.LBB118_2206:
	s_and_b32 vcc_lo, exec_lo, s10
	s_cbranch_vccnz .LBB118_2254
.LBB118_2207:
	s_and_not1_b32 vcc_lo, exec_lo, s20
	s_cbranch_vccnz .LBB118_2209
.LBB118_2208:
	global_load_u8 v0, v[4:5], off
	v_mov_b64_e32 v[2:3], 0
	s_mov_b32 s21, -1
	s_wait_loadcnt 0x0
	v_cmp_ne_u16_e32 vcc_lo, 0, v0
	v_mov_b32_e32 v0, 0
	v_cndmask_b32_e64 v1, 0, 0x3ff00000, vcc_lo
.LBB118_2209:
	s_mov_b32 s0, 0
.LBB118_2210:
	s_delay_alu instid0(SALU_CYCLE_1)
	s_and_b32 vcc_lo, exec_lo, s0
	s_cbranch_vccz .LBB118_2285
; %bb.2211:
	s_and_b32 s0, 0xffff, s14
	s_delay_alu instid0(SALU_CYCLE_1)
	s_cmp_lt_i32 s0, 5
	s_cbranch_scc1 .LBB118_2216
; %bb.2212:
	s_cmp_lt_i32 s0, 8
	s_cbranch_scc1 .LBB118_2218
; %bb.2213:
	;; [unrolled: 3-line block ×3, first 2 shown]
	s_cmp_gt_i32 s0, 9
	s_cbranch_scc0 .LBB118_2237
; %bb.2215:
	global_load_b128 v[0:3], v[4:5], off
	s_mov_b32 s10, 0
	s_branch .LBB118_2238
.LBB118_2216:
	s_mov_b32 s10, -1
                                        ; implicit-def: $vgpr2_vgpr3
	s_branch .LBB118_2263
.LBB118_2217:
	s_mov_b32 s20, -1
                                        ; implicit-def: $vgpr0_vgpr1
	s_branch .LBB118_2230
.LBB118_2218:
	s_mov_b32 s10, -1
                                        ; implicit-def: $vgpr2_vgpr3
	s_branch .LBB118_2244
.LBB118_2219:
	s_or_saveexec_b32 s22, s22
	v_mov_b64_e32 v[0:1], 0x7ff8000020000000
	s_xor_b32 exec_lo, exec_lo, s22
	s_cbranch_execz .LBB118_2190
.LBB118_2220:
	v_cmp_ne_u16_e32 vcc_lo, 0, v2
	v_mov_b64_e32 v[0:1], 0
	s_and_not1_b32 s21, s21, exec_lo
	s_and_b32 s23, vcc_lo, exec_lo
	s_delay_alu instid0(SALU_CYCLE_1)
	s_or_b32 s21, s21, s23
	s_or_b32 exec_lo, exec_lo, s22
	s_and_saveexec_b32 s22, s21
	s_cbranch_execnz .LBB118_2191
	s_branch .LBB118_2192
.LBB118_2221:
	s_mov_b32 s20, -1
                                        ; implicit-def: $vgpr0_vgpr1
	s_branch .LBB118_2227
.LBB118_2222:
	s_mov_b32 s10, -1
                                        ; implicit-def: $vgpr2_vgpr3
	s_branch .LBB118_2241
.LBB118_2223:
	s_mov_b32 s20, -1
                                        ; implicit-def: $vgpr0_vgpr1
.LBB118_2224:
	s_delay_alu instid0(SALU_CYCLE_1)
	s_and_b32 vcc_lo, exec_lo, s20
	s_cbranch_vccz .LBB118_2226
; %bb.2225:
	global_load_u8 v0, v[4:5], off
	s_wait_loadcnt 0x0
	v_lshlrev_b32_e32 v0, 24, v0
	s_delay_alu instid0(VALU_DEP_1) | instskip(NEXT) | instid1(VALU_DEP_1)
	v_and_b32_e32 v1, 0x7f000000, v0
	v_clz_i32_u32_e32 v2, v1
	v_cmp_ne_u32_e32 vcc_lo, 0, v1
	v_add_nc_u32_e32 v6, 0x1000000, v1
	s_delay_alu instid0(VALU_DEP_3) | instskip(NEXT) | instid1(VALU_DEP_1)
	v_min_u32_e32 v2, 32, v2
	v_sub_nc_u32_e64 v2, v2, 4 clamp
	s_delay_alu instid0(VALU_DEP_1) | instskip(NEXT) | instid1(VALU_DEP_1)
	v_dual_lshlrev_b32 v3, v2, v1 :: v_dual_lshlrev_b32 v2, 23, v2
	v_lshrrev_b32_e32 v3, 4, v3
	s_delay_alu instid0(VALU_DEP_1) | instskip(SKIP_1) | instid1(VALU_DEP_2)
	v_sub_nc_u32_e32 v2, v3, v2
	v_ashrrev_i32_e32 v3, 8, v6
	v_add_nc_u32_e32 v2, 0x3c000000, v2
	s_delay_alu instid0(VALU_DEP_1) | instskip(NEXT) | instid1(VALU_DEP_1)
	v_and_or_b32 v2, 0x7f800000, v3, v2
	v_cndmask_b32_e32 v1, 0, v2, vcc_lo
	s_delay_alu instid0(VALU_DEP_1) | instskip(NEXT) | instid1(VALU_DEP_1)
	v_and_or_b32 v0, 0x80000000, v0, v1
	v_cvt_f64_f32_e32 v[0:1], v0
.LBB118_2226:
	s_mov_b32 s20, 0
.LBB118_2227:
	s_delay_alu instid0(SALU_CYCLE_1)
	s_and_not1_b32 vcc_lo, exec_lo, s20
	s_cbranch_vccnz .LBB118_2229
; %bb.2228:
	global_load_u8 v0, v[4:5], off
	s_wait_loadcnt 0x0
	v_lshlrev_b32_e32 v1, 25, v0
	v_lshlrev_b16 v0, 8, v0
	s_delay_alu instid0(VALU_DEP_1) | instskip(SKIP_1) | instid1(VALU_DEP_2)
	v_and_or_b32 v3, 0x7f00, v0, 0.5
	v_bfe_i32 v0, v0, 0, 16
	v_dual_add_f32 v3, -0.5, v3 :: v_dual_lshrrev_b32 v2, 4, v1
	v_cmp_gt_u32_e32 vcc_lo, 0x8000000, v1
	s_delay_alu instid0(VALU_DEP_2) | instskip(NEXT) | instid1(VALU_DEP_1)
	v_or_b32_e32 v2, 0x70000000, v2
	v_mul_f32_e32 v2, 0x7800000, v2
	s_delay_alu instid0(VALU_DEP_1) | instskip(NEXT) | instid1(VALU_DEP_1)
	v_cndmask_b32_e32 v1, v2, v3, vcc_lo
	v_and_or_b32 v0, 0x80000000, v0, v1
	s_delay_alu instid0(VALU_DEP_1)
	v_cvt_f64_f32_e32 v[0:1], v0
.LBB118_2229:
	s_mov_b32 s20, 0
	s_mov_b32 s21, -1
.LBB118_2230:
	s_and_not1_b32 vcc_lo, exec_lo, s20
	s_mov_b32 s20, 0
	s_cbranch_vccnz .LBB118_2253
; %bb.2231:
	s_cmp_gt_i32 s0, 14
	s_cbranch_scc0 .LBB118_2234
; %bb.2232:
	s_cmp_eq_u32 s0, 15
	s_cbranch_scc0 .LBB118_2249
; %bb.2233:
	global_load_u16 v0, v[4:5], off
	s_mov_b32 s10, 0
	s_mov_b32 s21, -1
	s_wait_loadcnt 0x0
	v_lshlrev_b32_e32 v0, 16, v0
	s_delay_alu instid0(VALU_DEP_1)
	v_cvt_f64_f32_e32 v[0:1], v0
	s_branch .LBB118_2251
.LBB118_2234:
	s_mov_b32 s20, -1
	s_branch .LBB118_2250
.LBB118_2235:
	s_or_saveexec_b32 s21, s21
	v_mov_b64_e32 v[0:1], 0x7ff8000020000000
	s_xor_b32 exec_lo, exec_lo, s21
	s_cbranch_execz .LBB118_2203
.LBB118_2236:
	v_cmp_ne_u16_e32 vcc_lo, 0, v2
	v_mov_b64_e32 v[0:1], 0
	s_and_not1_b32 s20, s20, exec_lo
	s_and_b32 s22, vcc_lo, exec_lo
	s_delay_alu instid0(SALU_CYCLE_1)
	s_or_b32 s20, s20, s22
	s_or_b32 exec_lo, exec_lo, s21
	s_and_saveexec_b32 s21, s20
	s_cbranch_execnz .LBB118_2204
	s_branch .LBB118_2205
.LBB118_2237:
	s_mov_b32 s10, -1
                                        ; implicit-def: $vgpr2_vgpr3
.LBB118_2238:
	s_delay_alu instid0(SALU_CYCLE_1)
	s_and_not1_b32 vcc_lo, exec_lo, s10
	s_cbranch_vccnz .LBB118_2240
; %bb.2239:
	s_wait_loadcnt 0x0
	global_load_b64 v[2:3], v[4:5], off
	s_wait_loadcnt 0x0
	v_cvt_f64_f32_e32 v[0:1], v2
	v_cvt_f64_f32_e32 v[2:3], v3
.LBB118_2240:
	s_mov_b32 s10, 0
.LBB118_2241:
	s_delay_alu instid0(SALU_CYCLE_1)
	s_and_not1_b32 vcc_lo, exec_lo, s10
	s_cbranch_vccnz .LBB118_2243
; %bb.2242:
	s_wait_loadcnt 0x0
	global_load_b32 v0, v[4:5], off
	s_wait_loadcnt 0x0
	v_lshrrev_b32_e32 v1, 16, v0
	v_cvt_f32_f16_e32 v0, v0
	s_delay_alu instid0(VALU_DEP_2) | instskip(NEXT) | instid1(VALU_DEP_2)
	v_cvt_f32_f16_e32 v2, v1
	v_cvt_f64_f32_e32 v[0:1], v0
	s_delay_alu instid0(VALU_DEP_2)
	v_cvt_f64_f32_e32 v[2:3], v2
.LBB118_2243:
	s_mov_b32 s10, 0
.LBB118_2244:
	s_delay_alu instid0(SALU_CYCLE_1)
	s_and_not1_b32 vcc_lo, exec_lo, s10
	s_cbranch_vccnz .LBB118_2262
; %bb.2245:
	s_cmp_lt_i32 s0, 6
	s_cbranch_scc1 .LBB118_2248
; %bb.2246:
	s_cmp_gt_i32 s0, 6
	s_cbranch_scc0 .LBB118_2255
; %bb.2247:
	s_wait_loadcnt 0x0
	global_load_b64 v[0:1], v[4:5], off
	s_mov_b32 s10, 0
	s_branch .LBB118_2256
.LBB118_2248:
	s_mov_b32 s10, -1
                                        ; implicit-def: $vgpr0_vgpr1
	s_branch .LBB118_2259
.LBB118_2249:
	s_mov_b32 s10, -1
.LBB118_2250:
                                        ; implicit-def: $vgpr0_vgpr1
.LBB118_2251:
	s_and_b32 vcc_lo, exec_lo, s20
	s_mov_b32 s20, 0
	s_cbranch_vccz .LBB118_2253
; %bb.2252:
	s_cmp_lg_u32 s0, 11
	s_mov_b32 s20, -1
	s_cselect_b32 s10, -1, 0
.LBB118_2253:
	v_mov_b64_e32 v[2:3], 0
	s_and_b32 vcc_lo, exec_lo, s10
	s_cbranch_vccz .LBB118_2207
.LBB118_2254:
	s_or_b32 s13, s13, exec_lo
	s_trap 2
	s_cbranch_execz .LBB118_2208
	s_branch .LBB118_2209
.LBB118_2255:
	s_mov_b32 s10, -1
                                        ; implicit-def: $vgpr0_vgpr1
.LBB118_2256:
	s_delay_alu instid0(SALU_CYCLE_1)
	s_and_not1_b32 vcc_lo, exec_lo, s10
	s_cbranch_vccnz .LBB118_2258
; %bb.2257:
	s_wait_loadcnt 0x0
	global_load_b32 v0, v[4:5], off
	s_wait_loadcnt 0x0
	v_cvt_f64_f32_e32 v[0:1], v0
.LBB118_2258:
	s_mov_b32 s10, 0
.LBB118_2259:
	s_delay_alu instid0(SALU_CYCLE_1)
	s_and_not1_b32 vcc_lo, exec_lo, s10
	s_cbranch_vccnz .LBB118_2261
; %bb.2260:
	s_wait_loadcnt 0x0
	global_load_u16 v0, v[4:5], off
	s_wait_loadcnt 0x0
	v_cvt_f32_f16_e32 v0, v0
	s_delay_alu instid0(VALU_DEP_1)
	v_cvt_f64_f32_e32 v[0:1], v0
.LBB118_2261:
	s_wait_loadcnt 0x0
	v_mov_b64_e32 v[2:3], 0
.LBB118_2262:
	s_mov_b32 s10, 0
.LBB118_2263:
	s_delay_alu instid0(SALU_CYCLE_1)
	s_and_not1_b32 vcc_lo, exec_lo, s10
	s_cbranch_vccnz .LBB118_2284
; %bb.2264:
	s_cmp_lt_i32 s0, 2
	s_cbranch_scc1 .LBB118_2268
; %bb.2265:
	s_cmp_lt_i32 s0, 3
	s_cbranch_scc1 .LBB118_2269
; %bb.2266:
	s_cmp_gt_i32 s0, 3
	s_cbranch_scc0 .LBB118_2270
; %bb.2267:
	s_wait_loadcnt 0x0
	global_load_b64 v[0:1], v[4:5], off
	s_mov_b32 s10, 0
	s_wait_loadcnt 0x0
	v_cvt_f64_i32_e32 v[2:3], v1
	v_cvt_f64_u32_e32 v[0:1], v0
	s_delay_alu instid0(VALU_DEP_2) | instskip(NEXT) | instid1(VALU_DEP_1)
	v_ldexp_f64 v[2:3], v[2:3], 32
	v_add_f64_e32 v[0:1], v[2:3], v[0:1]
	s_branch .LBB118_2271
.LBB118_2268:
	s_mov_b32 s10, -1
                                        ; implicit-def: $vgpr0_vgpr1
	s_branch .LBB118_2277
.LBB118_2269:
	s_mov_b32 s10, -1
                                        ; implicit-def: $vgpr0_vgpr1
	s_branch .LBB118_2274
.LBB118_2270:
	s_mov_b32 s10, -1
                                        ; implicit-def: $vgpr0_vgpr1
.LBB118_2271:
	s_delay_alu instid0(SALU_CYCLE_1)
	s_and_not1_b32 vcc_lo, exec_lo, s10
	s_cbranch_vccnz .LBB118_2273
; %bb.2272:
	s_wait_loadcnt 0x0
	global_load_b32 v0, v[4:5], off
	s_wait_loadcnt 0x0
	v_cvt_f64_i32_e32 v[0:1], v0
.LBB118_2273:
	s_mov_b32 s10, 0
.LBB118_2274:
	s_delay_alu instid0(SALU_CYCLE_1)
	s_and_not1_b32 vcc_lo, exec_lo, s10
	s_cbranch_vccnz .LBB118_2276
; %bb.2275:
	s_wait_loadcnt 0x0
	global_load_i16 v0, v[4:5], off
	s_wait_loadcnt 0x0
	v_cvt_f64_i32_e32 v[0:1], v0
.LBB118_2276:
	s_mov_b32 s10, 0
.LBB118_2277:
	s_delay_alu instid0(SALU_CYCLE_1)
	s_and_not1_b32 vcc_lo, exec_lo, s10
	s_cbranch_vccnz .LBB118_2283
; %bb.2278:
	s_cmp_gt_i32 s0, 0
	s_mov_b32 s0, 0
	s_cbranch_scc0 .LBB118_2280
; %bb.2279:
	s_wait_loadcnt 0x0
	global_load_i8 v0, v[4:5], off
	s_wait_loadcnt 0x0
	v_cvt_f64_i32_e32 v[0:1], v0
	s_branch .LBB118_2281
.LBB118_2280:
	s_mov_b32 s0, -1
                                        ; implicit-def: $vgpr0_vgpr1
.LBB118_2281:
	s_delay_alu instid0(SALU_CYCLE_1)
	s_and_not1_b32 vcc_lo, exec_lo, s0
	s_cbranch_vccnz .LBB118_2283
; %bb.2282:
	s_wait_loadcnt 0x0
	global_load_u8 v0, v[4:5], off
	s_wait_loadcnt 0x0
	v_cvt_f64_u32_e32 v[0:1], v0
.LBB118_2283:
	s_wait_loadcnt 0x0
	v_mov_b64_e32 v[2:3], 0
.LBB118_2284:
	s_mov_b32 s21, -1
.LBB118_2285:
	s_delay_alu instid0(SALU_CYCLE_1)
	s_and_not1_b32 vcc_lo, exec_lo, s21
	s_cbranch_vccnz .LBB118_2703
; %bb.2286:
	v_add_nc_u32_e32 v10, s19, v10
	s_cmp_lt_i32 s17, 11
	s_delay_alu instid0(VALU_DEP_1) | instskip(NEXT) | instid1(VALU_DEP_1)
	v_ashrrev_i32_e32 v11, 31, v10
	v_add_nc_u64_e32 v[12:13], s[2:3], v[10:11]
	s_cbranch_scc1 .LBB118_2293
; %bb.2287:
	s_and_b32 s0, 0xffff, s17
	s_mov_b32 s20, 0
	s_cmp_gt_i32 s0, 25
	s_cbranch_scc0 .LBB118_2294
; %bb.2288:
	s_cmp_gt_i32 s0, 28
	s_cbranch_scc0 .LBB118_2295
; %bb.2289:
	;; [unrolled: 3-line block ×4, first 2 shown]
	s_cmp_eq_u32 s0, 46
	s_mov_b32 s22, 0
	s_cbranch_scc0 .LBB118_2300
; %bb.2292:
	global_load_b32 v4, v[12:13], off
	s_mov_b32 s10, 0
	s_mov_b32 s21, -1
	s_wait_loadcnt 0x0
	v_lshlrev_b32_e32 v5, 16, v4
	v_and_b32_e32 v6, 0xffff0000, v4
	s_delay_alu instid0(VALU_DEP_2) | instskip(NEXT) | instid1(VALU_DEP_2)
	v_cvt_f64_f32_e32 v[4:5], v5
	v_cvt_f64_f32_e32 v[6:7], v6
	s_branch .LBB118_2302
.LBB118_2293:
	s_mov_b32 s0, -1
	s_mov_b32 s21, 0
                                        ; implicit-def: $vgpr6_vgpr7
	s_branch .LBB118_2348
.LBB118_2294:
	s_mov_b32 s22, -1
	s_mov_b32 s21, 0
	s_mov_b32 s10, 0
                                        ; implicit-def: $vgpr6_vgpr7
	s_branch .LBB118_2333
.LBB118_2295:
	s_mov_b32 s22, -1
	s_mov_b32 s21, 0
	s_mov_b32 s10, 0
                                        ; implicit-def: $vgpr6_vgpr7
	s_branch .LBB118_2314
.LBB118_2296:
	s_mov_b32 s22, -1
	s_mov_b32 s21, 0
	s_mov_b32 s10, 0
                                        ; implicit-def: $vgpr6_vgpr7
	s_branch .LBB118_2308
.LBB118_2297:
	s_mov_b32 s22, -1
	s_mov_b32 s21, 0
	s_mov_b32 s10, 0
	s_branch .LBB118_2301
.LBB118_2298:
	s_and_not1_saveexec_b32 s35, s35
	s_cbranch_execz .LBB118_1130
.LBB118_2299:
	v_add_f32_e32 v2, 0x42800000, v3
	s_and_not1_b32 s34, s34, exec_lo
	s_delay_alu instid0(VALU_DEP_1) | instskip(NEXT) | instid1(VALU_DEP_1)
	v_and_b32_e32 v2, 0xff, v2
	v_cmp_ne_u32_e32 vcc_lo, 0, v2
	s_and_b32 s36, vcc_lo, exec_lo
	s_delay_alu instid0(SALU_CYCLE_1)
	s_or_b32 s34, s34, s36
	s_or_b32 exec_lo, exec_lo, s35
	v_mov_b32_e32 v4, 0
	s_and_saveexec_b32 s35, s34
	s_cbranch_execnz .LBB118_1131
	s_branch .LBB118_1132
.LBB118_2300:
	s_mov_b32 s10, -1
	s_mov_b32 s21, 0
.LBB118_2301:
                                        ; implicit-def: $vgpr6_vgpr7
.LBB118_2302:
	s_and_b32 vcc_lo, exec_lo, s22
	s_cbranch_vccz .LBB118_2307
; %bb.2303:
	s_cmp_eq_u32 s0, 44
	s_cbranch_scc0 .LBB118_2305
; %bb.2304:
	global_load_u8 v6, v[12:13], off
	s_mov_b32 s10, 0
	s_mov_b32 s21, -1
	s_wait_loadcnt 0x0
	v_cmp_ne_u32_e32 vcc_lo, 0xff, v6
	s_wait_xcnt 0x1
	v_lshlrev_b32_e32 v4, 23, v6
	s_delay_alu instid0(VALU_DEP_1) | instskip(NEXT) | instid1(VALU_DEP_1)
	v_cvt_f64_f32_e32 v[4:5], v4
	v_cndmask_b32_e32 v4, 0x20000000, v4, vcc_lo
	s_delay_alu instid0(VALU_DEP_2) | instskip(SKIP_1) | instid1(VALU_DEP_2)
	v_cndmask_b32_e32 v5, 0x7ff80000, v5, vcc_lo
	v_cmp_ne_u32_e32 vcc_lo, 0, v6
	v_cndmask_b32_e32 v5, 0x38000000, v5, vcc_lo
	s_delay_alu instid0(VALU_DEP_4)
	v_cndmask_b32_e32 v4, 0, v4, vcc_lo
	s_branch .LBB118_2306
.LBB118_2305:
	s_mov_b32 s10, -1
                                        ; implicit-def: $vgpr4_vgpr5
.LBB118_2306:
	v_mov_b64_e32 v[6:7], 0
.LBB118_2307:
	s_mov_b32 s22, 0
.LBB118_2308:
	s_delay_alu instid0(SALU_CYCLE_1)
	s_and_b32 vcc_lo, exec_lo, s22
	s_cbranch_vccz .LBB118_2313
; %bb.2309:
	s_cmp_eq_u32 s0, 29
	s_cbranch_scc0 .LBB118_2311
; %bb.2310:
	global_load_b64 v[4:5], v[12:13], off
	s_mov_b32 s10, 0
	s_mov_b32 s21, -1
	s_wait_loadcnt 0x0
	v_cvt_f64_u32_e32 v[6:7], v5
	v_cvt_f64_u32_e32 v[4:5], v4
	s_delay_alu instid0(VALU_DEP_2) | instskip(NEXT) | instid1(VALU_DEP_1)
	v_ldexp_f64 v[6:7], v[6:7], 32
	v_add_f64_e32 v[4:5], v[6:7], v[4:5]
	s_branch .LBB118_2312
.LBB118_2311:
	s_mov_b32 s10, -1
                                        ; implicit-def: $vgpr4_vgpr5
.LBB118_2312:
	v_mov_b64_e32 v[6:7], 0
.LBB118_2313:
	s_mov_b32 s22, 0
.LBB118_2314:
	s_delay_alu instid0(SALU_CYCLE_1)
	s_and_b32 vcc_lo, exec_lo, s22
	s_cbranch_vccz .LBB118_2332
; %bb.2315:
	s_cmp_lt_i32 s0, 27
	s_cbranch_scc1 .LBB118_2318
; %bb.2316:
	s_cmp_gt_i32 s0, 27
	s_cbranch_scc0 .LBB118_2319
; %bb.2317:
	global_load_b32 v4, v[12:13], off
	s_mov_b32 s21, 0
	s_wait_loadcnt 0x0
	v_cvt_f64_u32_e32 v[4:5], v4
	s_branch .LBB118_2320
.LBB118_2318:
	s_mov_b32 s21, -1
                                        ; implicit-def: $vgpr4_vgpr5
	s_branch .LBB118_2323
.LBB118_2319:
	s_mov_b32 s21, -1
                                        ; implicit-def: $vgpr4_vgpr5
.LBB118_2320:
	s_delay_alu instid0(SALU_CYCLE_1)
	s_and_not1_b32 vcc_lo, exec_lo, s21
	s_cbranch_vccnz .LBB118_2322
; %bb.2321:
	global_load_u16 v4, v[12:13], off
	s_wait_loadcnt 0x0
	v_cvt_f64_u32_e32 v[4:5], v4
.LBB118_2322:
	s_mov_b32 s21, 0
.LBB118_2323:
	s_delay_alu instid0(SALU_CYCLE_1)
	s_and_not1_b32 vcc_lo, exec_lo, s21
	s_cbranch_vccnz .LBB118_2331
; %bb.2324:
	global_load_u8 v6, v[12:13], off
	s_mov_b32 s21, 0
	s_mov_b32 s22, exec_lo
	s_wait_loadcnt 0x0
	v_cmpx_lt_i16_e32 0x7f, v6
	s_xor_b32 s22, exec_lo, s22
	s_cbranch_execz .LBB118_2357
; %bb.2325:
	s_mov_b32 s21, -1
	s_mov_b32 s23, exec_lo
	v_cmpx_eq_u16_e32 0x80, v6
; %bb.2326:
	s_xor_b32 s21, exec_lo, -1
; %bb.2327:
	s_or_b32 exec_lo, exec_lo, s23
	s_delay_alu instid0(SALU_CYCLE_1)
	s_and_b32 s21, s21, exec_lo
	s_or_saveexec_b32 s22, s22
	v_mov_b64_e32 v[4:5], 0x7ff8000020000000
	s_xor_b32 exec_lo, exec_lo, s22
	s_cbranch_execnz .LBB118_2358
.LBB118_2328:
	s_or_b32 exec_lo, exec_lo, s22
	s_and_saveexec_b32 s22, s21
	s_cbranch_execz .LBB118_2330
.LBB118_2329:
	v_and_b32_e32 v4, 0xffff, v6
	s_delay_alu instid0(VALU_DEP_1) | instskip(SKIP_1) | instid1(VALU_DEP_2)
	v_and_b32_e32 v5, 7, v4
	v_bfe_u32 v11, v4, 3, 4
	v_clz_i32_u32_e32 v7, v5
	s_delay_alu instid0(VALU_DEP_2) | instskip(NEXT) | instid1(VALU_DEP_2)
	v_cmp_eq_u32_e32 vcc_lo, 0, v11
	v_min_u32_e32 v7, 32, v7
	s_delay_alu instid0(VALU_DEP_1) | instskip(NEXT) | instid1(VALU_DEP_1)
	v_subrev_nc_u32_e32 v9, 28, v7
	v_dual_lshlrev_b32 v4, v9, v4 :: v_dual_sub_nc_u32 v7, 29, v7
	s_delay_alu instid0(VALU_DEP_1) | instskip(NEXT) | instid1(VALU_DEP_1)
	v_dual_lshlrev_b32 v6, 24, v6 :: v_dual_bitop2_b32 v4, 7, v4 bitop3:0x40
	v_dual_cndmask_b32 v7, v11, v7 :: v_dual_cndmask_b32 v4, v5, v4
	s_delay_alu instid0(VALU_DEP_2) | instskip(NEXT) | instid1(VALU_DEP_2)
	v_and_b32_e32 v5, 0x80000000, v6
	v_lshl_add_u32 v6, v7, 23, 0x3b800000
	s_delay_alu instid0(VALU_DEP_3) | instskip(NEXT) | instid1(VALU_DEP_1)
	v_lshlrev_b32_e32 v4, 20, v4
	v_or3_b32 v4, v5, v6, v4
	s_delay_alu instid0(VALU_DEP_1)
	v_cvt_f64_f32_e32 v[4:5], v4
.LBB118_2330:
	s_or_b32 exec_lo, exec_lo, s22
.LBB118_2331:
	v_mov_b64_e32 v[6:7], 0
	s_mov_b32 s21, -1
.LBB118_2332:
	s_mov_b32 s22, 0
.LBB118_2333:
	s_delay_alu instid0(SALU_CYCLE_1)
	s_and_b32 vcc_lo, exec_lo, s22
	s_cbranch_vccz .LBB118_2344
; %bb.2334:
	s_cmp_gt_i32 s0, 22
	s_cbranch_scc0 .LBB118_2355
; %bb.2335:
	s_cmp_lt_i32 s0, 24
	s_cbranch_scc1 .LBB118_2359
; %bb.2336:
	s_cmp_gt_i32 s0, 24
	s_cbranch_scc0 .LBB118_2361
; %bb.2337:
	global_load_u8 v6, v[12:13], off
	s_mov_b32 s21, exec_lo
	s_wait_loadcnt 0x0
	v_cmpx_lt_i16_e32 0x7f, v6
	s_xor_b32 s21, exec_lo, s21
	s_cbranch_execz .LBB118_2373
; %bb.2338:
	s_mov_b32 s20, -1
	s_mov_b32 s22, exec_lo
	v_cmpx_eq_u16_e32 0x80, v6
; %bb.2339:
	s_xor_b32 s20, exec_lo, -1
; %bb.2340:
	s_or_b32 exec_lo, exec_lo, s22
	s_delay_alu instid0(SALU_CYCLE_1)
	s_and_b32 s20, s20, exec_lo
	s_or_saveexec_b32 s21, s21
	v_mov_b64_e32 v[4:5], 0x7ff8000020000000
	s_xor_b32 exec_lo, exec_lo, s21
	s_cbranch_execnz .LBB118_2374
.LBB118_2341:
	s_or_b32 exec_lo, exec_lo, s21
	s_and_saveexec_b32 s21, s20
	s_cbranch_execz .LBB118_2343
.LBB118_2342:
	v_and_b32_e32 v4, 0xffff, v6
	s_delay_alu instid0(VALU_DEP_1) | instskip(SKIP_1) | instid1(VALU_DEP_2)
	v_and_b32_e32 v5, 3, v4
	v_bfe_u32 v11, v4, 2, 5
	v_clz_i32_u32_e32 v7, v5
	s_delay_alu instid0(VALU_DEP_2) | instskip(NEXT) | instid1(VALU_DEP_2)
	v_cmp_eq_u32_e32 vcc_lo, 0, v11
	v_min_u32_e32 v7, 32, v7
	s_delay_alu instid0(VALU_DEP_1) | instskip(NEXT) | instid1(VALU_DEP_1)
	v_subrev_nc_u32_e32 v9, 29, v7
	v_dual_lshlrev_b32 v4, v9, v4 :: v_dual_sub_nc_u32 v7, 30, v7
	s_delay_alu instid0(VALU_DEP_1) | instskip(NEXT) | instid1(VALU_DEP_1)
	v_dual_lshlrev_b32 v6, 24, v6 :: v_dual_bitop2_b32 v4, 3, v4 bitop3:0x40
	v_dual_cndmask_b32 v7, v11, v7 :: v_dual_cndmask_b32 v4, v5, v4
	s_delay_alu instid0(VALU_DEP_2) | instskip(NEXT) | instid1(VALU_DEP_2)
	v_and_b32_e32 v5, 0x80000000, v6
	v_lshl_add_u32 v6, v7, 23, 0x37800000
	s_delay_alu instid0(VALU_DEP_3) | instskip(NEXT) | instid1(VALU_DEP_1)
	v_lshlrev_b32_e32 v4, 21, v4
	v_or3_b32 v4, v5, v6, v4
	s_delay_alu instid0(VALU_DEP_1)
	v_cvt_f64_f32_e32 v[4:5], v4
.LBB118_2343:
	s_or_b32 exec_lo, exec_lo, s21
	s_mov_b32 s20, 0
	s_branch .LBB118_2362
.LBB118_2344:
	s_and_b32 vcc_lo, exec_lo, s10
	s_cbranch_vccnz .LBB118_2392
.LBB118_2345:
	s_and_not1_b32 vcc_lo, exec_lo, s20
	s_cbranch_vccnz .LBB118_2347
.LBB118_2346:
	global_load_u8 v4, v[12:13], off
	v_mov_b64_e32 v[6:7], 0
	s_mov_b32 s21, -1
	s_wait_loadcnt 0x0
	v_cmp_ne_u16_e32 vcc_lo, 0, v4
	v_mov_b32_e32 v4, 0
	v_cndmask_b32_e64 v5, 0, 0x3ff00000, vcc_lo
.LBB118_2347:
	s_mov_b32 s0, 0
.LBB118_2348:
	s_delay_alu instid0(SALU_CYCLE_1)
	s_and_b32 vcc_lo, exec_lo, s0
	s_cbranch_vccz .LBB118_2423
; %bb.2349:
	s_and_b32 s0, 0xffff, s17
	s_delay_alu instid0(SALU_CYCLE_1)
	s_cmp_lt_i32 s0, 5
	s_cbranch_scc1 .LBB118_2354
; %bb.2350:
	s_cmp_lt_i32 s0, 8
	s_cbranch_scc1 .LBB118_2356
; %bb.2351:
	;; [unrolled: 3-line block ×3, first 2 shown]
	s_cmp_gt_i32 s0, 9
	s_cbranch_scc0 .LBB118_2375
; %bb.2353:
	global_load_b128 v[4:7], v[12:13], off
	s_mov_b32 s10, 0
	s_branch .LBB118_2376
.LBB118_2354:
	s_mov_b32 s10, -1
                                        ; implicit-def: $vgpr6_vgpr7
	s_branch .LBB118_2401
.LBB118_2355:
	s_mov_b32 s20, -1
                                        ; implicit-def: $vgpr4_vgpr5
	s_branch .LBB118_2368
.LBB118_2356:
	s_mov_b32 s10, -1
                                        ; implicit-def: $vgpr6_vgpr7
	s_branch .LBB118_2382
.LBB118_2357:
	s_or_saveexec_b32 s22, s22
	v_mov_b64_e32 v[4:5], 0x7ff8000020000000
	s_xor_b32 exec_lo, exec_lo, s22
	s_cbranch_execz .LBB118_2328
.LBB118_2358:
	v_cmp_ne_u16_e32 vcc_lo, 0, v6
	v_mov_b64_e32 v[4:5], 0
	s_and_not1_b32 s21, s21, exec_lo
	s_and_b32 s23, vcc_lo, exec_lo
	s_delay_alu instid0(SALU_CYCLE_1)
	s_or_b32 s21, s21, s23
	s_or_b32 exec_lo, exec_lo, s22
	s_and_saveexec_b32 s22, s21
	s_cbranch_execnz .LBB118_2329
	s_branch .LBB118_2330
.LBB118_2359:
	s_mov_b32 s20, -1
                                        ; implicit-def: $vgpr4_vgpr5
	s_branch .LBB118_2365
.LBB118_2360:
	s_mov_b32 s10, -1
                                        ; implicit-def: $vgpr6_vgpr7
	s_branch .LBB118_2379
.LBB118_2361:
	s_mov_b32 s20, -1
                                        ; implicit-def: $vgpr4_vgpr5
.LBB118_2362:
	s_delay_alu instid0(SALU_CYCLE_1)
	s_and_b32 vcc_lo, exec_lo, s20
	s_cbranch_vccz .LBB118_2364
; %bb.2363:
	global_load_u8 v4, v[12:13], off
	s_wait_loadcnt 0x0
	v_lshlrev_b32_e32 v4, 24, v4
	s_delay_alu instid0(VALU_DEP_1) | instskip(NEXT) | instid1(VALU_DEP_1)
	v_and_b32_e32 v5, 0x7f000000, v4
	v_clz_i32_u32_e32 v6, v5
	v_add_nc_u32_e32 v9, 0x1000000, v5
	v_cmp_ne_u32_e32 vcc_lo, 0, v5
	s_delay_alu instid0(VALU_DEP_3) | instskip(NEXT) | instid1(VALU_DEP_1)
	v_min_u32_e32 v6, 32, v6
	v_sub_nc_u32_e64 v6, v6, 4 clamp
	s_delay_alu instid0(VALU_DEP_1) | instskip(NEXT) | instid1(VALU_DEP_1)
	v_dual_lshlrev_b32 v7, v6, v5 :: v_dual_lshlrev_b32 v6, 23, v6
	v_lshrrev_b32_e32 v7, 4, v7
	s_delay_alu instid0(VALU_DEP_1) | instskip(NEXT) | instid1(VALU_DEP_1)
	v_dual_sub_nc_u32 v6, v7, v6 :: v_dual_ashrrev_i32 v7, 8, v9
	v_add_nc_u32_e32 v6, 0x3c000000, v6
	s_delay_alu instid0(VALU_DEP_1) | instskip(NEXT) | instid1(VALU_DEP_1)
	v_and_or_b32 v6, 0x7f800000, v7, v6
	v_cndmask_b32_e32 v5, 0, v6, vcc_lo
	s_delay_alu instid0(VALU_DEP_1) | instskip(NEXT) | instid1(VALU_DEP_1)
	v_and_or_b32 v4, 0x80000000, v4, v5
	v_cvt_f64_f32_e32 v[4:5], v4
.LBB118_2364:
	s_mov_b32 s20, 0
.LBB118_2365:
	s_delay_alu instid0(SALU_CYCLE_1)
	s_and_not1_b32 vcc_lo, exec_lo, s20
	s_cbranch_vccnz .LBB118_2367
; %bb.2366:
	global_load_u8 v4, v[12:13], off
	s_wait_loadcnt 0x0
	v_lshlrev_b32_e32 v5, 25, v4
	v_lshlrev_b16 v4, 8, v4
	s_delay_alu instid0(VALU_DEP_1) | instskip(SKIP_1) | instid1(VALU_DEP_2)
	v_and_or_b32 v7, 0x7f00, v4, 0.5
	v_bfe_i32 v4, v4, 0, 16
	v_dual_add_f32 v7, -0.5, v7 :: v_dual_lshrrev_b32 v6, 4, v5
	v_cmp_gt_u32_e32 vcc_lo, 0x8000000, v5
	s_delay_alu instid0(VALU_DEP_2) | instskip(NEXT) | instid1(VALU_DEP_1)
	v_or_b32_e32 v6, 0x70000000, v6
	v_mul_f32_e32 v6, 0x7800000, v6
	s_delay_alu instid0(VALU_DEP_1) | instskip(NEXT) | instid1(VALU_DEP_1)
	v_cndmask_b32_e32 v5, v6, v7, vcc_lo
	v_and_or_b32 v4, 0x80000000, v4, v5
	s_delay_alu instid0(VALU_DEP_1)
	v_cvt_f64_f32_e32 v[4:5], v4
.LBB118_2367:
	s_mov_b32 s20, 0
	s_mov_b32 s21, -1
.LBB118_2368:
	s_and_not1_b32 vcc_lo, exec_lo, s20
	s_mov_b32 s20, 0
	s_cbranch_vccnz .LBB118_2391
; %bb.2369:
	s_cmp_gt_i32 s0, 14
	s_cbranch_scc0 .LBB118_2372
; %bb.2370:
	s_cmp_eq_u32 s0, 15
	s_cbranch_scc0 .LBB118_2387
; %bb.2371:
	global_load_u16 v4, v[12:13], off
	s_mov_b32 s10, 0
	s_mov_b32 s21, -1
	s_wait_loadcnt 0x0
	v_lshlrev_b32_e32 v4, 16, v4
	s_delay_alu instid0(VALU_DEP_1)
	v_cvt_f64_f32_e32 v[4:5], v4
	s_branch .LBB118_2389
.LBB118_2372:
	s_mov_b32 s20, -1
	s_branch .LBB118_2388
.LBB118_2373:
	s_or_saveexec_b32 s21, s21
	v_mov_b64_e32 v[4:5], 0x7ff8000020000000
	s_xor_b32 exec_lo, exec_lo, s21
	s_cbranch_execz .LBB118_2341
.LBB118_2374:
	v_cmp_ne_u16_e32 vcc_lo, 0, v6
	v_mov_b64_e32 v[4:5], 0
	s_and_not1_b32 s20, s20, exec_lo
	s_and_b32 s22, vcc_lo, exec_lo
	s_delay_alu instid0(SALU_CYCLE_1)
	s_or_b32 s20, s20, s22
	s_or_b32 exec_lo, exec_lo, s21
	s_and_saveexec_b32 s21, s20
	s_cbranch_execnz .LBB118_2342
	s_branch .LBB118_2343
.LBB118_2375:
	s_mov_b32 s10, -1
                                        ; implicit-def: $vgpr6_vgpr7
.LBB118_2376:
	s_delay_alu instid0(SALU_CYCLE_1)
	s_and_not1_b32 vcc_lo, exec_lo, s10
	s_cbranch_vccnz .LBB118_2378
; %bb.2377:
	s_wait_loadcnt 0x0
	global_load_b64 v[6:7], v[12:13], off
	s_wait_loadcnt 0x0
	s_wait_xcnt 0x1
	v_cvt_f64_f32_e32 v[4:5], v6
	v_cvt_f64_f32_e32 v[6:7], v7
.LBB118_2378:
	s_mov_b32 s10, 0
.LBB118_2379:
	s_delay_alu instid0(SALU_CYCLE_1)
	s_and_not1_b32 vcc_lo, exec_lo, s10
	s_cbranch_vccnz .LBB118_2381
; %bb.2380:
	s_wait_loadcnt 0x0
	global_load_b32 v4, v[12:13], off
	s_wait_loadcnt 0x0
	v_lshrrev_b32_e32 v5, 16, v4
	v_cvt_f32_f16_e32 v4, v4
	s_delay_alu instid0(VALU_DEP_2) | instskip(NEXT) | instid1(VALU_DEP_2)
	v_cvt_f32_f16_e32 v6, v5
	v_cvt_f64_f32_e32 v[4:5], v4
	s_delay_alu instid0(VALU_DEP_2)
	v_cvt_f64_f32_e32 v[6:7], v6
.LBB118_2381:
	s_mov_b32 s10, 0
.LBB118_2382:
	s_delay_alu instid0(SALU_CYCLE_1)
	s_and_not1_b32 vcc_lo, exec_lo, s10
	s_cbranch_vccnz .LBB118_2400
; %bb.2383:
	s_cmp_lt_i32 s0, 6
	s_cbranch_scc1 .LBB118_2386
; %bb.2384:
	s_cmp_gt_i32 s0, 6
	s_cbranch_scc0 .LBB118_2393
; %bb.2385:
	s_wait_loadcnt 0x0
	global_load_b64 v[4:5], v[12:13], off
	s_mov_b32 s10, 0
	s_branch .LBB118_2394
.LBB118_2386:
	s_mov_b32 s10, -1
                                        ; implicit-def: $vgpr4_vgpr5
	s_branch .LBB118_2397
.LBB118_2387:
	s_mov_b32 s10, -1
.LBB118_2388:
                                        ; implicit-def: $vgpr4_vgpr5
.LBB118_2389:
	s_and_b32 vcc_lo, exec_lo, s20
	s_mov_b32 s20, 0
	s_cbranch_vccz .LBB118_2391
; %bb.2390:
	s_cmp_lg_u32 s0, 11
	s_mov_b32 s20, -1
	s_cselect_b32 s10, -1, 0
.LBB118_2391:
	v_mov_b64_e32 v[6:7], 0
	s_and_b32 vcc_lo, exec_lo, s10
	s_cbranch_vccz .LBB118_2345
.LBB118_2392:
	s_or_b32 s13, s13, exec_lo
	s_trap 2
	s_cbranch_execz .LBB118_2346
	s_branch .LBB118_2347
.LBB118_2393:
	s_mov_b32 s10, -1
                                        ; implicit-def: $vgpr4_vgpr5
.LBB118_2394:
	s_delay_alu instid0(SALU_CYCLE_1)
	s_and_not1_b32 vcc_lo, exec_lo, s10
	s_cbranch_vccnz .LBB118_2396
; %bb.2395:
	s_wait_loadcnt 0x0
	global_load_b32 v4, v[12:13], off
	s_wait_loadcnt 0x0
	v_cvt_f64_f32_e32 v[4:5], v4
.LBB118_2396:
	s_mov_b32 s10, 0
.LBB118_2397:
	s_delay_alu instid0(SALU_CYCLE_1)
	s_and_not1_b32 vcc_lo, exec_lo, s10
	s_cbranch_vccnz .LBB118_2399
; %bb.2398:
	s_wait_loadcnt 0x0
	global_load_u16 v4, v[12:13], off
	s_wait_loadcnt 0x0
	v_cvt_f32_f16_e32 v4, v4
	s_delay_alu instid0(VALU_DEP_1)
	v_cvt_f64_f32_e32 v[4:5], v4
.LBB118_2399:
	s_wait_loadcnt 0x0
	v_mov_b64_e32 v[6:7], 0
.LBB118_2400:
	s_mov_b32 s10, 0
.LBB118_2401:
	s_delay_alu instid0(SALU_CYCLE_1)
	s_and_not1_b32 vcc_lo, exec_lo, s10
	s_cbranch_vccnz .LBB118_2422
; %bb.2402:
	s_cmp_lt_i32 s0, 2
	s_cbranch_scc1 .LBB118_2406
; %bb.2403:
	s_cmp_lt_i32 s0, 3
	s_cbranch_scc1 .LBB118_2407
; %bb.2404:
	s_cmp_gt_i32 s0, 3
	s_cbranch_scc0 .LBB118_2408
; %bb.2405:
	s_wait_loadcnt 0x0
	global_load_b64 v[4:5], v[12:13], off
	s_mov_b32 s10, 0
	s_wait_loadcnt 0x0
	v_cvt_f64_i32_e32 v[6:7], v5
	v_cvt_f64_u32_e32 v[4:5], v4
	s_delay_alu instid0(VALU_DEP_2) | instskip(NEXT) | instid1(VALU_DEP_1)
	v_ldexp_f64 v[6:7], v[6:7], 32
	v_add_f64_e32 v[4:5], v[6:7], v[4:5]
	s_branch .LBB118_2409
.LBB118_2406:
	s_mov_b32 s10, -1
                                        ; implicit-def: $vgpr4_vgpr5
	s_branch .LBB118_2415
.LBB118_2407:
	s_mov_b32 s10, -1
                                        ; implicit-def: $vgpr4_vgpr5
	s_branch .LBB118_2412
.LBB118_2408:
	s_mov_b32 s10, -1
                                        ; implicit-def: $vgpr4_vgpr5
.LBB118_2409:
	s_delay_alu instid0(SALU_CYCLE_1)
	s_and_not1_b32 vcc_lo, exec_lo, s10
	s_cbranch_vccnz .LBB118_2411
; %bb.2410:
	s_wait_loadcnt 0x0
	global_load_b32 v4, v[12:13], off
	s_wait_loadcnt 0x0
	v_cvt_f64_i32_e32 v[4:5], v4
.LBB118_2411:
	s_mov_b32 s10, 0
.LBB118_2412:
	s_delay_alu instid0(SALU_CYCLE_1)
	s_and_not1_b32 vcc_lo, exec_lo, s10
	s_cbranch_vccnz .LBB118_2414
; %bb.2413:
	s_wait_loadcnt 0x0
	global_load_i16 v4, v[12:13], off
	s_wait_loadcnt 0x0
	v_cvt_f64_i32_e32 v[4:5], v4
.LBB118_2414:
	s_mov_b32 s10, 0
.LBB118_2415:
	s_delay_alu instid0(SALU_CYCLE_1)
	s_and_not1_b32 vcc_lo, exec_lo, s10
	s_cbranch_vccnz .LBB118_2421
; %bb.2416:
	s_cmp_gt_i32 s0, 0
	s_mov_b32 s0, 0
	s_cbranch_scc0 .LBB118_2418
; %bb.2417:
	s_wait_loadcnt 0x0
	global_load_i8 v4, v[12:13], off
	s_wait_loadcnt 0x0
	v_cvt_f64_i32_e32 v[4:5], v4
	s_branch .LBB118_2419
.LBB118_2418:
	s_mov_b32 s0, -1
                                        ; implicit-def: $vgpr4_vgpr5
.LBB118_2419:
	s_delay_alu instid0(SALU_CYCLE_1)
	s_and_not1_b32 vcc_lo, exec_lo, s0
	s_cbranch_vccnz .LBB118_2421
; %bb.2420:
	s_wait_loadcnt 0x0
	global_load_u8 v4, v[12:13], off
	s_wait_loadcnt 0x0
	v_cvt_f64_u32_e32 v[4:5], v4
.LBB118_2421:
	s_wait_loadcnt 0x0
	v_mov_b64_e32 v[6:7], 0
.LBB118_2422:
	s_mov_b32 s21, -1
.LBB118_2423:
	s_delay_alu instid0(SALU_CYCLE_1)
	s_and_not1_b32 vcc_lo, exec_lo, s21
	s_cbranch_vccnz .LBB118_2703
; %bb.2424:
	s_and_b32 vcc_lo, exec_lo, s11
	s_cbranch_vccz .LBB118_2426
; %bb.2425:
	s_wait_loadcnt 0x0
	s_delay_alu instid0(VALU_DEP_1) | instskip(NEXT) | instid1(VALU_DEP_2)
	v_cmp_neq_f64_e32 vcc_lo, v[0:1], v[4:5]
	v_cmp_neq_f64_e64 s0, v[2:3], v[6:7]
	s_or_b32 s10, vcc_lo, s0
	s_mov_b32 s0, 0
	s_branch .LBB118_2427
.LBB118_2426:
	s_mov_b32 s0, -1
                                        ; implicit-def: $sgpr10
.LBB118_2427:
	s_delay_alu instid0(SALU_CYCLE_1)
	s_and_not1_b32 vcc_lo, exec_lo, s0
	s_cbranch_vccnz .LBB118_2429
; %bb.2428:
	s_wait_loadcnt 0x0
	s_delay_alu instid0(VALU_DEP_1) | instskip(NEXT) | instid1(VALU_DEP_2)
	v_cmp_eq_f64_e32 vcc_lo, v[0:1], v[4:5]
	v_cmp_eq_f64_e64 s0, v[2:3], v[6:7]
	s_and_not1_b32 s10, s10, exec_lo
	s_and_b32 s0, vcc_lo, s0
	s_delay_alu instid0(SALU_CYCLE_1) | instskip(NEXT) | instid1(SALU_CYCLE_1)
	s_and_b32 s0, s0, exec_lo
	s_or_b32 s10, s10, s0
.LBB118_2429:
	s_wait_loadcnt 0x0
	v_add_nc_u32_e32 v0, s18, v8
	s_cmp_lt_i32 s14, 11
	s_delay_alu instid0(VALU_DEP_1) | instskip(SKIP_1) | instid1(VALU_DEP_1)
	v_ashrrev_i32_e32 v1, 31, v0
	s_wait_xcnt 0x0
	v_add_nc_u64_e32 v[4:5], s[6:7], v[0:1]
	s_cbranch_scc1 .LBB118_2436
; %bb.2430:
	s_and_b32 s0, 0xffff, s14
	s_mov_b32 s7, 0
	s_cmp_gt_i32 s0, 25
	s_cbranch_scc0 .LBB118_2437
; %bb.2431:
	s_cmp_gt_i32 s0, 28
	s_cbranch_scc0 .LBB118_2438
; %bb.2432:
	;; [unrolled: 3-line block ×4, first 2 shown]
	s_cmp_eq_u32 s0, 46
	s_mov_b32 s20, 0
	s_cbranch_scc0 .LBB118_2441
; %bb.2435:
	global_load_b32 v0, v[4:5], off
	s_mov_b32 s6, 0
	s_mov_b32 s18, -1
	s_wait_loadcnt 0x0
	v_lshlrev_b32_e32 v1, 16, v0
	v_and_b32_e32 v2, 0xffff0000, v0
	s_delay_alu instid0(VALU_DEP_2) | instskip(NEXT) | instid1(VALU_DEP_2)
	v_cvt_f64_f32_e32 v[0:1], v1
	v_cvt_f64_f32_e32 v[2:3], v2
	s_branch .LBB118_2443
.LBB118_2436:
	s_mov_b32 s0, -1
	s_mov_b32 s18, 0
                                        ; implicit-def: $vgpr2_vgpr3
	s_branch .LBB118_2489
.LBB118_2437:
	s_mov_b32 s20, -1
	s_mov_b32 s18, 0
	s_mov_b32 s6, 0
                                        ; implicit-def: $vgpr2_vgpr3
	s_branch .LBB118_2474
.LBB118_2438:
	s_mov_b32 s20, -1
	s_mov_b32 s18, 0
	s_mov_b32 s6, 0
                                        ; implicit-def: $vgpr2_vgpr3
	s_branch .LBB118_2455
.LBB118_2439:
	s_mov_b32 s20, -1
	s_mov_b32 s18, 0
	s_mov_b32 s6, 0
                                        ; implicit-def: $vgpr2_vgpr3
	s_branch .LBB118_2449
.LBB118_2440:
	s_mov_b32 s20, -1
	s_mov_b32 s18, 0
	s_mov_b32 s6, 0
	s_branch .LBB118_2442
.LBB118_2441:
	s_mov_b32 s6, -1
	s_mov_b32 s18, 0
.LBB118_2442:
                                        ; implicit-def: $vgpr2_vgpr3
.LBB118_2443:
	s_and_b32 vcc_lo, exec_lo, s20
	s_cbranch_vccz .LBB118_2448
; %bb.2444:
	s_cmp_eq_u32 s0, 44
	s_cbranch_scc0 .LBB118_2446
; %bb.2445:
	global_load_u8 v2, v[4:5], off
	s_mov_b32 s6, 0
	s_mov_b32 s18, -1
	s_wait_loadcnt 0x0
	v_cmp_ne_u32_e32 vcc_lo, 0xff, v2
	v_lshlrev_b32_e32 v0, 23, v2
	s_delay_alu instid0(VALU_DEP_1) | instskip(NEXT) | instid1(VALU_DEP_1)
	v_cvt_f64_f32_e32 v[0:1], v0
	v_cndmask_b32_e32 v0, 0x20000000, v0, vcc_lo
	s_delay_alu instid0(VALU_DEP_2) | instskip(SKIP_1) | instid1(VALU_DEP_2)
	v_cndmask_b32_e32 v1, 0x7ff80000, v1, vcc_lo
	v_cmp_ne_u32_e32 vcc_lo, 0, v2
	v_cndmask_b32_e32 v1, 0x38000000, v1, vcc_lo
	s_delay_alu instid0(VALU_DEP_4)
	v_cndmask_b32_e32 v0, 0, v0, vcc_lo
	s_branch .LBB118_2447
.LBB118_2446:
	s_mov_b32 s6, -1
                                        ; implicit-def: $vgpr0_vgpr1
.LBB118_2447:
	v_mov_b64_e32 v[2:3], 0
.LBB118_2448:
	s_mov_b32 s20, 0
.LBB118_2449:
	s_delay_alu instid0(SALU_CYCLE_1)
	s_and_b32 vcc_lo, exec_lo, s20
	s_cbranch_vccz .LBB118_2454
; %bb.2450:
	s_cmp_eq_u32 s0, 29
	s_cbranch_scc0 .LBB118_2452
; %bb.2451:
	global_load_b64 v[0:1], v[4:5], off
	s_mov_b32 s6, 0
	s_mov_b32 s18, -1
	s_wait_loadcnt 0x0
	v_cvt_f64_u32_e32 v[2:3], v1
	v_cvt_f64_u32_e32 v[0:1], v0
	s_delay_alu instid0(VALU_DEP_2) | instskip(NEXT) | instid1(VALU_DEP_1)
	v_ldexp_f64 v[2:3], v[2:3], 32
	v_add_f64_e32 v[0:1], v[2:3], v[0:1]
	s_branch .LBB118_2453
.LBB118_2452:
	s_mov_b32 s6, -1
                                        ; implicit-def: $vgpr0_vgpr1
.LBB118_2453:
	v_mov_b64_e32 v[2:3], 0
.LBB118_2454:
	s_mov_b32 s20, 0
.LBB118_2455:
	s_delay_alu instid0(SALU_CYCLE_1)
	s_and_b32 vcc_lo, exec_lo, s20
	s_cbranch_vccz .LBB118_2473
; %bb.2456:
	s_cmp_lt_i32 s0, 27
	s_cbranch_scc1 .LBB118_2459
; %bb.2457:
	s_cmp_gt_i32 s0, 27
	s_cbranch_scc0 .LBB118_2460
; %bb.2458:
	global_load_b32 v0, v[4:5], off
	s_mov_b32 s18, 0
	s_wait_loadcnt 0x0
	v_cvt_f64_u32_e32 v[0:1], v0
	s_branch .LBB118_2461
.LBB118_2459:
	s_mov_b32 s18, -1
                                        ; implicit-def: $vgpr0_vgpr1
	s_branch .LBB118_2464
.LBB118_2460:
	s_mov_b32 s18, -1
                                        ; implicit-def: $vgpr0_vgpr1
.LBB118_2461:
	s_delay_alu instid0(SALU_CYCLE_1)
	s_and_not1_b32 vcc_lo, exec_lo, s18
	s_cbranch_vccnz .LBB118_2463
; %bb.2462:
	global_load_u16 v0, v[4:5], off
	s_wait_loadcnt 0x0
	v_cvt_f64_u32_e32 v[0:1], v0
.LBB118_2463:
	s_mov_b32 s18, 0
.LBB118_2464:
	s_delay_alu instid0(SALU_CYCLE_1)
	s_and_not1_b32 vcc_lo, exec_lo, s18
	s_cbranch_vccnz .LBB118_2472
; %bb.2465:
	global_load_u8 v2, v[4:5], off
	s_mov_b32 s18, 0
	s_mov_b32 s20, exec_lo
	s_wait_loadcnt 0x0
	v_cmpx_lt_i16_e32 0x7f, v2
	s_xor_b32 s20, exec_lo, s20
	s_cbranch_execz .LBB118_2498
; %bb.2466:
	s_mov_b32 s18, -1
	s_mov_b32 s21, exec_lo
	v_cmpx_eq_u16_e32 0x80, v2
; %bb.2467:
	s_xor_b32 s18, exec_lo, -1
; %bb.2468:
	s_or_b32 exec_lo, exec_lo, s21
	s_delay_alu instid0(SALU_CYCLE_1)
	s_and_b32 s18, s18, exec_lo
	s_or_saveexec_b32 s20, s20
	v_mov_b64_e32 v[0:1], 0x7ff8000020000000
	s_xor_b32 exec_lo, exec_lo, s20
	s_cbranch_execnz .LBB118_2499
.LBB118_2469:
	s_or_b32 exec_lo, exec_lo, s20
	s_and_saveexec_b32 s20, s18
	s_cbranch_execz .LBB118_2471
.LBB118_2470:
	v_and_b32_e32 v0, 0xffff, v2
	s_delay_alu instid0(VALU_DEP_1) | instskip(SKIP_1) | instid1(VALU_DEP_2)
	v_and_b32_e32 v1, 7, v0
	v_bfe_u32 v7, v0, 3, 4
	v_clz_i32_u32_e32 v3, v1
	s_delay_alu instid0(VALU_DEP_2) | instskip(NEXT) | instid1(VALU_DEP_2)
	v_cmp_eq_u32_e32 vcc_lo, 0, v7
	v_min_u32_e32 v3, 32, v3
	s_delay_alu instid0(VALU_DEP_1) | instskip(NEXT) | instid1(VALU_DEP_1)
	v_subrev_nc_u32_e32 v6, 28, v3
	v_dual_lshlrev_b32 v0, v6, v0 :: v_dual_sub_nc_u32 v3, 29, v3
	s_delay_alu instid0(VALU_DEP_1) | instskip(NEXT) | instid1(VALU_DEP_1)
	v_dual_lshlrev_b32 v2, 24, v2 :: v_dual_bitop2_b32 v0, 7, v0 bitop3:0x40
	v_dual_cndmask_b32 v3, v7, v3 :: v_dual_cndmask_b32 v0, v1, v0
	s_delay_alu instid0(VALU_DEP_2) | instskip(NEXT) | instid1(VALU_DEP_2)
	v_and_b32_e32 v1, 0x80000000, v2
	v_lshl_add_u32 v2, v3, 23, 0x3b800000
	s_delay_alu instid0(VALU_DEP_3) | instskip(NEXT) | instid1(VALU_DEP_1)
	v_lshlrev_b32_e32 v0, 20, v0
	v_or3_b32 v0, v1, v2, v0
	s_delay_alu instid0(VALU_DEP_1)
	v_cvt_f64_f32_e32 v[0:1], v0
.LBB118_2471:
	s_or_b32 exec_lo, exec_lo, s20
.LBB118_2472:
	v_mov_b64_e32 v[2:3], 0
	s_mov_b32 s18, -1
.LBB118_2473:
	s_mov_b32 s20, 0
.LBB118_2474:
	s_delay_alu instid0(SALU_CYCLE_1)
	s_and_b32 vcc_lo, exec_lo, s20
	s_cbranch_vccz .LBB118_2485
; %bb.2475:
	s_cmp_gt_i32 s0, 22
	s_cbranch_scc0 .LBB118_2496
; %bb.2476:
	s_cmp_lt_i32 s0, 24
	s_cbranch_scc1 .LBB118_2500
; %bb.2477:
	s_cmp_gt_i32 s0, 24
	s_cbranch_scc0 .LBB118_2502
; %bb.2478:
	global_load_u8 v2, v[4:5], off
	s_mov_b32 s18, exec_lo
	s_wait_loadcnt 0x0
	v_cmpx_lt_i16_e32 0x7f, v2
	s_xor_b32 s18, exec_lo, s18
	s_cbranch_execz .LBB118_2514
; %bb.2479:
	s_mov_b32 s7, -1
	s_mov_b32 s20, exec_lo
	v_cmpx_eq_u16_e32 0x80, v2
; %bb.2480:
	s_xor_b32 s7, exec_lo, -1
; %bb.2481:
	s_or_b32 exec_lo, exec_lo, s20
	s_delay_alu instid0(SALU_CYCLE_1)
	s_and_b32 s7, s7, exec_lo
	s_or_saveexec_b32 s18, s18
	v_mov_b64_e32 v[0:1], 0x7ff8000020000000
	s_xor_b32 exec_lo, exec_lo, s18
	s_cbranch_execnz .LBB118_2515
.LBB118_2482:
	s_or_b32 exec_lo, exec_lo, s18
	s_and_saveexec_b32 s18, s7
	s_cbranch_execz .LBB118_2484
.LBB118_2483:
	v_and_b32_e32 v0, 0xffff, v2
	s_delay_alu instid0(VALU_DEP_1) | instskip(SKIP_1) | instid1(VALU_DEP_2)
	v_and_b32_e32 v1, 3, v0
	v_bfe_u32 v7, v0, 2, 5
	v_clz_i32_u32_e32 v3, v1
	s_delay_alu instid0(VALU_DEP_2) | instskip(NEXT) | instid1(VALU_DEP_2)
	v_cmp_eq_u32_e32 vcc_lo, 0, v7
	v_min_u32_e32 v3, 32, v3
	s_delay_alu instid0(VALU_DEP_1) | instskip(NEXT) | instid1(VALU_DEP_1)
	v_subrev_nc_u32_e32 v6, 29, v3
	v_dual_lshlrev_b32 v0, v6, v0 :: v_dual_sub_nc_u32 v3, 30, v3
	s_delay_alu instid0(VALU_DEP_1) | instskip(NEXT) | instid1(VALU_DEP_1)
	v_dual_lshlrev_b32 v2, 24, v2 :: v_dual_bitop2_b32 v0, 3, v0 bitop3:0x40
	v_dual_cndmask_b32 v3, v7, v3 :: v_dual_cndmask_b32 v0, v1, v0
	s_delay_alu instid0(VALU_DEP_2) | instskip(NEXT) | instid1(VALU_DEP_2)
	v_and_b32_e32 v1, 0x80000000, v2
	v_lshl_add_u32 v2, v3, 23, 0x37800000
	s_delay_alu instid0(VALU_DEP_3) | instskip(NEXT) | instid1(VALU_DEP_1)
	v_lshlrev_b32_e32 v0, 21, v0
	v_or3_b32 v0, v1, v2, v0
	s_delay_alu instid0(VALU_DEP_1)
	v_cvt_f64_f32_e32 v[0:1], v0
.LBB118_2484:
	s_or_b32 exec_lo, exec_lo, s18
	s_mov_b32 s7, 0
	s_branch .LBB118_2503
.LBB118_2485:
	s_and_b32 vcc_lo, exec_lo, s6
	s_cbranch_vccnz .LBB118_2533
.LBB118_2486:
	s_and_not1_b32 vcc_lo, exec_lo, s7
	s_cbranch_vccnz .LBB118_2488
.LBB118_2487:
	global_load_u8 v0, v[4:5], off
	v_mov_b64_e32 v[2:3], 0
	s_mov_b32 s18, -1
	s_wait_loadcnt 0x0
	v_cmp_ne_u16_e32 vcc_lo, 0, v0
	v_mov_b32_e32 v0, 0
	v_cndmask_b32_e64 v1, 0, 0x3ff00000, vcc_lo
.LBB118_2488:
	s_mov_b32 s0, 0
.LBB118_2489:
	s_delay_alu instid0(SALU_CYCLE_1)
	s_and_b32 vcc_lo, exec_lo, s0
	s_cbranch_vccz .LBB118_2564
; %bb.2490:
	s_and_b32 s0, 0xffff, s14
	s_delay_alu instid0(SALU_CYCLE_1)
	s_cmp_lt_i32 s0, 5
	s_cbranch_scc1 .LBB118_2495
; %bb.2491:
	s_cmp_lt_i32 s0, 8
	s_cbranch_scc1 .LBB118_2497
; %bb.2492:
	;; [unrolled: 3-line block ×3, first 2 shown]
	s_cmp_gt_i32 s0, 9
	s_cbranch_scc0 .LBB118_2516
; %bb.2494:
	global_load_b128 v[0:3], v[4:5], off
	s_mov_b32 s6, 0
	s_branch .LBB118_2517
.LBB118_2495:
	s_mov_b32 s6, -1
                                        ; implicit-def: $vgpr2_vgpr3
	s_branch .LBB118_2542
.LBB118_2496:
	s_mov_b32 s7, -1
                                        ; implicit-def: $vgpr0_vgpr1
	s_branch .LBB118_2509
.LBB118_2497:
	s_mov_b32 s6, -1
                                        ; implicit-def: $vgpr2_vgpr3
	s_branch .LBB118_2523
.LBB118_2498:
	s_or_saveexec_b32 s20, s20
	v_mov_b64_e32 v[0:1], 0x7ff8000020000000
	s_xor_b32 exec_lo, exec_lo, s20
	s_cbranch_execz .LBB118_2469
.LBB118_2499:
	v_cmp_ne_u16_e32 vcc_lo, 0, v2
	v_mov_b64_e32 v[0:1], 0
	s_and_not1_b32 s18, s18, exec_lo
	s_and_b32 s21, vcc_lo, exec_lo
	s_delay_alu instid0(SALU_CYCLE_1)
	s_or_b32 s18, s18, s21
	s_or_b32 exec_lo, exec_lo, s20
	s_and_saveexec_b32 s20, s18
	s_cbranch_execnz .LBB118_2470
	s_branch .LBB118_2471
.LBB118_2500:
	s_mov_b32 s7, -1
                                        ; implicit-def: $vgpr0_vgpr1
	s_branch .LBB118_2506
.LBB118_2501:
	s_mov_b32 s6, -1
                                        ; implicit-def: $vgpr2_vgpr3
	s_branch .LBB118_2520
.LBB118_2502:
	s_mov_b32 s7, -1
                                        ; implicit-def: $vgpr0_vgpr1
.LBB118_2503:
	s_delay_alu instid0(SALU_CYCLE_1)
	s_and_b32 vcc_lo, exec_lo, s7
	s_cbranch_vccz .LBB118_2505
; %bb.2504:
	global_load_u8 v0, v[4:5], off
	s_wait_loadcnt 0x0
	v_lshlrev_b32_e32 v0, 24, v0
	s_delay_alu instid0(VALU_DEP_1) | instskip(NEXT) | instid1(VALU_DEP_1)
	v_and_b32_e32 v1, 0x7f000000, v0
	v_clz_i32_u32_e32 v2, v1
	v_cmp_ne_u32_e32 vcc_lo, 0, v1
	v_add_nc_u32_e32 v6, 0x1000000, v1
	s_delay_alu instid0(VALU_DEP_3) | instskip(NEXT) | instid1(VALU_DEP_1)
	v_min_u32_e32 v2, 32, v2
	v_sub_nc_u32_e64 v2, v2, 4 clamp
	s_delay_alu instid0(VALU_DEP_1) | instskip(NEXT) | instid1(VALU_DEP_1)
	v_dual_lshlrev_b32 v3, v2, v1 :: v_dual_lshlrev_b32 v2, 23, v2
	v_lshrrev_b32_e32 v3, 4, v3
	s_delay_alu instid0(VALU_DEP_1) | instskip(SKIP_1) | instid1(VALU_DEP_2)
	v_sub_nc_u32_e32 v2, v3, v2
	v_ashrrev_i32_e32 v3, 8, v6
	v_add_nc_u32_e32 v2, 0x3c000000, v2
	s_delay_alu instid0(VALU_DEP_1) | instskip(NEXT) | instid1(VALU_DEP_1)
	v_and_or_b32 v2, 0x7f800000, v3, v2
	v_cndmask_b32_e32 v1, 0, v2, vcc_lo
	s_delay_alu instid0(VALU_DEP_1) | instskip(NEXT) | instid1(VALU_DEP_1)
	v_and_or_b32 v0, 0x80000000, v0, v1
	v_cvt_f64_f32_e32 v[0:1], v0
.LBB118_2505:
	s_mov_b32 s7, 0
.LBB118_2506:
	s_delay_alu instid0(SALU_CYCLE_1)
	s_and_not1_b32 vcc_lo, exec_lo, s7
	s_cbranch_vccnz .LBB118_2508
; %bb.2507:
	global_load_u8 v0, v[4:5], off
	s_wait_loadcnt 0x0
	v_lshlrev_b32_e32 v1, 25, v0
	v_lshlrev_b16 v0, 8, v0
	s_delay_alu instid0(VALU_DEP_1) | instskip(SKIP_1) | instid1(VALU_DEP_2)
	v_and_or_b32 v3, 0x7f00, v0, 0.5
	v_bfe_i32 v0, v0, 0, 16
	v_dual_add_f32 v3, -0.5, v3 :: v_dual_lshrrev_b32 v2, 4, v1
	v_cmp_gt_u32_e32 vcc_lo, 0x8000000, v1
	s_delay_alu instid0(VALU_DEP_2) | instskip(NEXT) | instid1(VALU_DEP_1)
	v_or_b32_e32 v2, 0x70000000, v2
	v_mul_f32_e32 v2, 0x7800000, v2
	s_delay_alu instid0(VALU_DEP_1) | instskip(NEXT) | instid1(VALU_DEP_1)
	v_cndmask_b32_e32 v1, v2, v3, vcc_lo
	v_and_or_b32 v0, 0x80000000, v0, v1
	s_delay_alu instid0(VALU_DEP_1)
	v_cvt_f64_f32_e32 v[0:1], v0
.LBB118_2508:
	s_mov_b32 s7, 0
	s_mov_b32 s18, -1
.LBB118_2509:
	s_and_not1_b32 vcc_lo, exec_lo, s7
	s_mov_b32 s7, 0
	s_cbranch_vccnz .LBB118_2532
; %bb.2510:
	s_cmp_gt_i32 s0, 14
	s_cbranch_scc0 .LBB118_2513
; %bb.2511:
	s_cmp_eq_u32 s0, 15
	s_cbranch_scc0 .LBB118_2528
; %bb.2512:
	global_load_u16 v0, v[4:5], off
	s_mov_b32 s6, 0
	s_mov_b32 s18, -1
	s_wait_loadcnt 0x0
	v_lshlrev_b32_e32 v0, 16, v0
	s_delay_alu instid0(VALU_DEP_1)
	v_cvt_f64_f32_e32 v[0:1], v0
	s_branch .LBB118_2530
.LBB118_2513:
	s_mov_b32 s7, -1
	s_branch .LBB118_2529
.LBB118_2514:
	s_or_saveexec_b32 s18, s18
	v_mov_b64_e32 v[0:1], 0x7ff8000020000000
	s_xor_b32 exec_lo, exec_lo, s18
	s_cbranch_execz .LBB118_2482
.LBB118_2515:
	v_cmp_ne_u16_e32 vcc_lo, 0, v2
	v_mov_b64_e32 v[0:1], 0
	s_and_not1_b32 s7, s7, exec_lo
	s_and_b32 s20, vcc_lo, exec_lo
	s_delay_alu instid0(SALU_CYCLE_1)
	s_or_b32 s7, s7, s20
	s_or_b32 exec_lo, exec_lo, s18
	s_and_saveexec_b32 s18, s7
	s_cbranch_execnz .LBB118_2483
	s_branch .LBB118_2484
.LBB118_2516:
	s_mov_b32 s6, -1
                                        ; implicit-def: $vgpr2_vgpr3
.LBB118_2517:
	s_delay_alu instid0(SALU_CYCLE_1)
	s_and_not1_b32 vcc_lo, exec_lo, s6
	s_cbranch_vccnz .LBB118_2519
; %bb.2518:
	s_wait_loadcnt 0x0
	global_load_b64 v[2:3], v[4:5], off
	s_wait_loadcnt 0x0
	v_cvt_f64_f32_e32 v[0:1], v2
	v_cvt_f64_f32_e32 v[2:3], v3
.LBB118_2519:
	s_mov_b32 s6, 0
.LBB118_2520:
	s_delay_alu instid0(SALU_CYCLE_1)
	s_and_not1_b32 vcc_lo, exec_lo, s6
	s_cbranch_vccnz .LBB118_2522
; %bb.2521:
	s_wait_loadcnt 0x0
	global_load_b32 v0, v[4:5], off
	s_wait_loadcnt 0x0
	v_lshrrev_b32_e32 v1, 16, v0
	v_cvt_f32_f16_e32 v0, v0
	s_delay_alu instid0(VALU_DEP_2) | instskip(NEXT) | instid1(VALU_DEP_2)
	v_cvt_f32_f16_e32 v2, v1
	v_cvt_f64_f32_e32 v[0:1], v0
	s_delay_alu instid0(VALU_DEP_2)
	v_cvt_f64_f32_e32 v[2:3], v2
.LBB118_2522:
	s_mov_b32 s6, 0
.LBB118_2523:
	s_delay_alu instid0(SALU_CYCLE_1)
	s_and_not1_b32 vcc_lo, exec_lo, s6
	s_cbranch_vccnz .LBB118_2541
; %bb.2524:
	s_cmp_lt_i32 s0, 6
	s_cbranch_scc1 .LBB118_2527
; %bb.2525:
	s_cmp_gt_i32 s0, 6
	s_cbranch_scc0 .LBB118_2534
; %bb.2526:
	s_wait_loadcnt 0x0
	global_load_b64 v[0:1], v[4:5], off
	s_mov_b32 s6, 0
	s_branch .LBB118_2535
.LBB118_2527:
	s_mov_b32 s6, -1
                                        ; implicit-def: $vgpr0_vgpr1
	s_branch .LBB118_2538
.LBB118_2528:
	s_mov_b32 s6, -1
.LBB118_2529:
                                        ; implicit-def: $vgpr0_vgpr1
.LBB118_2530:
	s_and_b32 vcc_lo, exec_lo, s7
	s_mov_b32 s7, 0
	s_cbranch_vccz .LBB118_2532
; %bb.2531:
	s_cmp_lg_u32 s0, 11
	s_mov_b32 s7, -1
	s_cselect_b32 s6, -1, 0
.LBB118_2532:
	v_mov_b64_e32 v[2:3], 0
	s_and_b32 vcc_lo, exec_lo, s6
	s_cbranch_vccz .LBB118_2486
.LBB118_2533:
	s_or_b32 s13, s13, exec_lo
	s_trap 2
	s_cbranch_execz .LBB118_2487
	s_branch .LBB118_2488
.LBB118_2534:
	s_mov_b32 s6, -1
                                        ; implicit-def: $vgpr0_vgpr1
.LBB118_2535:
	s_delay_alu instid0(SALU_CYCLE_1)
	s_and_not1_b32 vcc_lo, exec_lo, s6
	s_cbranch_vccnz .LBB118_2537
; %bb.2536:
	s_wait_loadcnt 0x0
	global_load_b32 v0, v[4:5], off
	s_wait_loadcnt 0x0
	v_cvt_f64_f32_e32 v[0:1], v0
.LBB118_2537:
	s_mov_b32 s6, 0
.LBB118_2538:
	s_delay_alu instid0(SALU_CYCLE_1)
	s_and_not1_b32 vcc_lo, exec_lo, s6
	s_cbranch_vccnz .LBB118_2540
; %bb.2539:
	s_wait_loadcnt 0x0
	global_load_u16 v0, v[4:5], off
	s_wait_loadcnt 0x0
	v_cvt_f32_f16_e32 v0, v0
	s_delay_alu instid0(VALU_DEP_1)
	v_cvt_f64_f32_e32 v[0:1], v0
.LBB118_2540:
	s_wait_loadcnt 0x0
	v_mov_b64_e32 v[2:3], 0
.LBB118_2541:
	s_mov_b32 s6, 0
.LBB118_2542:
	s_delay_alu instid0(SALU_CYCLE_1)
	s_and_not1_b32 vcc_lo, exec_lo, s6
	s_cbranch_vccnz .LBB118_2563
; %bb.2543:
	s_cmp_lt_i32 s0, 2
	s_cbranch_scc1 .LBB118_2547
; %bb.2544:
	s_cmp_lt_i32 s0, 3
	s_cbranch_scc1 .LBB118_2548
; %bb.2545:
	s_cmp_gt_i32 s0, 3
	s_cbranch_scc0 .LBB118_2549
; %bb.2546:
	s_wait_loadcnt 0x0
	global_load_b64 v[0:1], v[4:5], off
	s_mov_b32 s6, 0
	s_wait_loadcnt 0x0
	v_cvt_f64_i32_e32 v[2:3], v1
	v_cvt_f64_u32_e32 v[0:1], v0
	s_delay_alu instid0(VALU_DEP_2) | instskip(NEXT) | instid1(VALU_DEP_1)
	v_ldexp_f64 v[2:3], v[2:3], 32
	v_add_f64_e32 v[0:1], v[2:3], v[0:1]
	s_branch .LBB118_2550
.LBB118_2547:
	s_mov_b32 s6, -1
                                        ; implicit-def: $vgpr0_vgpr1
	s_branch .LBB118_2556
.LBB118_2548:
	s_mov_b32 s6, -1
                                        ; implicit-def: $vgpr0_vgpr1
	s_branch .LBB118_2553
.LBB118_2549:
	s_mov_b32 s6, -1
                                        ; implicit-def: $vgpr0_vgpr1
.LBB118_2550:
	s_delay_alu instid0(SALU_CYCLE_1)
	s_and_not1_b32 vcc_lo, exec_lo, s6
	s_cbranch_vccnz .LBB118_2552
; %bb.2551:
	s_wait_loadcnt 0x0
	global_load_b32 v0, v[4:5], off
	s_wait_loadcnt 0x0
	v_cvt_f64_i32_e32 v[0:1], v0
.LBB118_2552:
	s_mov_b32 s6, 0
.LBB118_2553:
	s_delay_alu instid0(SALU_CYCLE_1)
	s_and_not1_b32 vcc_lo, exec_lo, s6
	s_cbranch_vccnz .LBB118_2555
; %bb.2554:
	s_wait_loadcnt 0x0
	global_load_i16 v0, v[4:5], off
	s_wait_loadcnt 0x0
	v_cvt_f64_i32_e32 v[0:1], v0
.LBB118_2555:
	s_mov_b32 s6, 0
.LBB118_2556:
	s_delay_alu instid0(SALU_CYCLE_1)
	s_and_not1_b32 vcc_lo, exec_lo, s6
	s_cbranch_vccnz .LBB118_2562
; %bb.2557:
	s_cmp_gt_i32 s0, 0
	s_mov_b32 s0, 0
	s_cbranch_scc0 .LBB118_2559
; %bb.2558:
	s_wait_loadcnt 0x0
	global_load_i8 v0, v[4:5], off
	s_wait_loadcnt 0x0
	v_cvt_f64_i32_e32 v[0:1], v0
	s_branch .LBB118_2560
.LBB118_2559:
	s_mov_b32 s0, -1
                                        ; implicit-def: $vgpr0_vgpr1
.LBB118_2560:
	s_delay_alu instid0(SALU_CYCLE_1)
	s_and_not1_b32 vcc_lo, exec_lo, s0
	s_cbranch_vccnz .LBB118_2562
; %bb.2561:
	s_wait_loadcnt 0x0
	global_load_u8 v0, v[4:5], off
	s_wait_loadcnt 0x0
	v_cvt_f64_u32_e32 v[0:1], v0
.LBB118_2562:
	s_wait_loadcnt 0x0
	v_mov_b64_e32 v[2:3], 0
.LBB118_2563:
	s_mov_b32 s18, -1
.LBB118_2564:
	s_delay_alu instid0(SALU_CYCLE_1)
	s_and_not1_b32 vcc_lo, exec_lo, s18
	s_cbranch_vccnz .LBB118_2703
; %bb.2565:
	s_wait_xcnt 0x0
	v_add_nc_u32_e32 v4, s19, v10
	s_cmp_lt_i32 s17, 11
	s_delay_alu instid0(VALU_DEP_1) | instskip(NEXT) | instid1(VALU_DEP_1)
	v_ashrrev_i32_e32 v5, 31, v4
	v_add_nc_u64_e32 v[8:9], s[2:3], v[4:5]
	s_cbranch_scc1 .LBB118_2572
; %bb.2566:
	s_and_b32 s0, 0xffff, s17
	s_mov_b32 s3, 0
	s_cmp_gt_i32 s0, 25
	s_cbranch_scc0 .LBB118_2573
; %bb.2567:
	s_cmp_gt_i32 s0, 28
	s_cbranch_scc0 .LBB118_2574
; %bb.2568:
	;; [unrolled: 3-line block ×4, first 2 shown]
	s_cmp_eq_u32 s0, 46
	s_mov_b32 s7, 0
	s_cbranch_scc0 .LBB118_2577
; %bb.2571:
	global_load_b32 v4, v[8:9], off
	s_mov_b32 s2, 0
	s_mov_b32 s6, -1
	s_wait_loadcnt 0x0
	v_lshlrev_b32_e32 v5, 16, v4
	v_and_b32_e32 v6, 0xffff0000, v4
	s_delay_alu instid0(VALU_DEP_2) | instskip(NEXT) | instid1(VALU_DEP_2)
	v_cvt_f64_f32_e32 v[4:5], v5
	v_cvt_f64_f32_e32 v[6:7], v6
	s_branch .LBB118_2579
.LBB118_2572:
	s_mov_b32 s0, -1
	s_mov_b32 s6, 0
                                        ; implicit-def: $vgpr6_vgpr7
	s_branch .LBB118_2625
.LBB118_2573:
	s_mov_b32 s7, -1
	s_mov_b32 s6, 0
	s_mov_b32 s2, 0
                                        ; implicit-def: $vgpr6_vgpr7
	s_branch .LBB118_2610
.LBB118_2574:
	s_mov_b32 s7, -1
	s_mov_b32 s6, 0
	s_mov_b32 s2, 0
                                        ; implicit-def: $vgpr6_vgpr7
	s_branch .LBB118_2591
.LBB118_2575:
	s_mov_b32 s7, -1
	s_mov_b32 s6, 0
	s_mov_b32 s2, 0
                                        ; implicit-def: $vgpr6_vgpr7
	s_branch .LBB118_2585
.LBB118_2576:
	s_mov_b32 s7, -1
	s_mov_b32 s6, 0
	s_mov_b32 s2, 0
	s_branch .LBB118_2578
.LBB118_2577:
	s_mov_b32 s2, -1
	s_mov_b32 s6, 0
.LBB118_2578:
                                        ; implicit-def: $vgpr6_vgpr7
.LBB118_2579:
	s_and_b32 vcc_lo, exec_lo, s7
	s_cbranch_vccz .LBB118_2584
; %bb.2580:
	s_cmp_eq_u32 s0, 44
	s_cbranch_scc0 .LBB118_2582
; %bb.2581:
	global_load_u8 v6, v[8:9], off
	s_mov_b32 s2, 0
	s_mov_b32 s6, -1
	s_wait_loadcnt 0x0
	v_cmp_ne_u32_e32 vcc_lo, 0xff, v6
	v_lshlrev_b32_e32 v4, 23, v6
	s_delay_alu instid0(VALU_DEP_1) | instskip(NEXT) | instid1(VALU_DEP_1)
	v_cvt_f64_f32_e32 v[4:5], v4
	v_cndmask_b32_e32 v4, 0x20000000, v4, vcc_lo
	s_delay_alu instid0(VALU_DEP_2) | instskip(SKIP_1) | instid1(VALU_DEP_2)
	v_cndmask_b32_e32 v5, 0x7ff80000, v5, vcc_lo
	v_cmp_ne_u32_e32 vcc_lo, 0, v6
	v_cndmask_b32_e32 v5, 0x38000000, v5, vcc_lo
	s_delay_alu instid0(VALU_DEP_4)
	v_cndmask_b32_e32 v4, 0, v4, vcc_lo
	s_branch .LBB118_2583
.LBB118_2582:
	s_mov_b32 s2, -1
                                        ; implicit-def: $vgpr4_vgpr5
.LBB118_2583:
	v_mov_b64_e32 v[6:7], 0
.LBB118_2584:
	s_mov_b32 s7, 0
.LBB118_2585:
	s_delay_alu instid0(SALU_CYCLE_1)
	s_and_b32 vcc_lo, exec_lo, s7
	s_cbranch_vccz .LBB118_2590
; %bb.2586:
	s_cmp_eq_u32 s0, 29
	s_cbranch_scc0 .LBB118_2588
; %bb.2587:
	global_load_b64 v[4:5], v[8:9], off
	s_mov_b32 s2, 0
	s_mov_b32 s6, -1
	s_wait_loadcnt 0x0
	v_cvt_f64_u32_e32 v[6:7], v5
	v_cvt_f64_u32_e32 v[4:5], v4
	s_delay_alu instid0(VALU_DEP_2) | instskip(NEXT) | instid1(VALU_DEP_1)
	v_ldexp_f64 v[6:7], v[6:7], 32
	v_add_f64_e32 v[4:5], v[6:7], v[4:5]
	s_branch .LBB118_2589
.LBB118_2588:
	s_mov_b32 s2, -1
                                        ; implicit-def: $vgpr4_vgpr5
.LBB118_2589:
	v_mov_b64_e32 v[6:7], 0
.LBB118_2590:
	s_mov_b32 s7, 0
.LBB118_2591:
	s_delay_alu instid0(SALU_CYCLE_1)
	s_and_b32 vcc_lo, exec_lo, s7
	s_cbranch_vccz .LBB118_2609
; %bb.2592:
	s_cmp_lt_i32 s0, 27
	s_cbranch_scc1 .LBB118_2595
; %bb.2593:
	s_cmp_gt_i32 s0, 27
	s_cbranch_scc0 .LBB118_2596
; %bb.2594:
	global_load_b32 v4, v[8:9], off
	s_mov_b32 s6, 0
	s_wait_loadcnt 0x0
	v_cvt_f64_u32_e32 v[4:5], v4
	s_branch .LBB118_2597
.LBB118_2595:
	s_mov_b32 s6, -1
                                        ; implicit-def: $vgpr4_vgpr5
	s_branch .LBB118_2600
.LBB118_2596:
	s_mov_b32 s6, -1
                                        ; implicit-def: $vgpr4_vgpr5
.LBB118_2597:
	s_delay_alu instid0(SALU_CYCLE_1)
	s_and_not1_b32 vcc_lo, exec_lo, s6
	s_cbranch_vccnz .LBB118_2599
; %bb.2598:
	global_load_u16 v4, v[8:9], off
	s_wait_loadcnt 0x0
	v_cvt_f64_u32_e32 v[4:5], v4
.LBB118_2599:
	s_mov_b32 s6, 0
.LBB118_2600:
	s_delay_alu instid0(SALU_CYCLE_1)
	s_and_not1_b32 vcc_lo, exec_lo, s6
	s_cbranch_vccnz .LBB118_2608
; %bb.2601:
	global_load_u8 v6, v[8:9], off
	s_mov_b32 s6, 0
	s_mov_b32 s7, exec_lo
	s_wait_loadcnt 0x0
	v_cmpx_lt_i16_e32 0x7f, v6
	s_xor_b32 s7, exec_lo, s7
	s_cbranch_execz .LBB118_2634
; %bb.2602:
	s_mov_b32 s6, -1
	s_mov_b32 s14, exec_lo
	v_cmpx_eq_u16_e32 0x80, v6
; %bb.2603:
	s_xor_b32 s6, exec_lo, -1
; %bb.2604:
	s_or_b32 exec_lo, exec_lo, s14
	s_delay_alu instid0(SALU_CYCLE_1)
	s_and_b32 s6, s6, exec_lo
	s_or_saveexec_b32 s7, s7
	v_mov_b64_e32 v[4:5], 0x7ff8000020000000
	s_xor_b32 exec_lo, exec_lo, s7
	s_cbranch_execnz .LBB118_2635
.LBB118_2605:
	s_or_b32 exec_lo, exec_lo, s7
	s_and_saveexec_b32 s7, s6
	s_cbranch_execz .LBB118_2607
.LBB118_2606:
	v_and_b32_e32 v4, 0xffff, v6
	s_delay_alu instid0(VALU_DEP_1) | instskip(SKIP_1) | instid1(VALU_DEP_2)
	v_and_b32_e32 v5, 7, v4
	v_bfe_u32 v11, v4, 3, 4
	v_clz_i32_u32_e32 v7, v5
	s_delay_alu instid0(VALU_DEP_2) | instskip(NEXT) | instid1(VALU_DEP_2)
	v_cmp_eq_u32_e32 vcc_lo, 0, v11
	v_min_u32_e32 v7, 32, v7
	s_delay_alu instid0(VALU_DEP_1) | instskip(NEXT) | instid1(VALU_DEP_1)
	v_subrev_nc_u32_e32 v10, 28, v7
	v_dual_lshlrev_b32 v4, v10, v4 :: v_dual_sub_nc_u32 v7, 29, v7
	s_delay_alu instid0(VALU_DEP_1) | instskip(NEXT) | instid1(VALU_DEP_1)
	v_dual_lshlrev_b32 v6, 24, v6 :: v_dual_bitop2_b32 v4, 7, v4 bitop3:0x40
	v_dual_cndmask_b32 v7, v11, v7 :: v_dual_cndmask_b32 v4, v5, v4
	s_delay_alu instid0(VALU_DEP_2) | instskip(NEXT) | instid1(VALU_DEP_2)
	v_and_b32_e32 v5, 0x80000000, v6
	v_lshl_add_u32 v6, v7, 23, 0x3b800000
	s_delay_alu instid0(VALU_DEP_3) | instskip(NEXT) | instid1(VALU_DEP_1)
	v_lshlrev_b32_e32 v4, 20, v4
	v_or3_b32 v4, v5, v6, v4
	s_delay_alu instid0(VALU_DEP_1)
	v_cvt_f64_f32_e32 v[4:5], v4
.LBB118_2607:
	s_or_b32 exec_lo, exec_lo, s7
.LBB118_2608:
	v_mov_b64_e32 v[6:7], 0
	s_mov_b32 s6, -1
.LBB118_2609:
	s_mov_b32 s7, 0
.LBB118_2610:
	s_delay_alu instid0(SALU_CYCLE_1)
	s_and_b32 vcc_lo, exec_lo, s7
	s_cbranch_vccz .LBB118_2621
; %bb.2611:
	s_cmp_gt_i32 s0, 22
	s_cbranch_scc0 .LBB118_2632
; %bb.2612:
	s_cmp_lt_i32 s0, 24
	s_cbranch_scc1 .LBB118_2636
; %bb.2613:
	s_cmp_gt_i32 s0, 24
	s_cbranch_scc0 .LBB118_2638
; %bb.2614:
	global_load_u8 v6, v[8:9], off
	s_mov_b32 s6, exec_lo
	s_wait_loadcnt 0x0
	v_cmpx_lt_i16_e32 0x7f, v6
	s_xor_b32 s6, exec_lo, s6
	s_cbranch_execz .LBB118_2650
; %bb.2615:
	s_mov_b32 s3, -1
	s_mov_b32 s7, exec_lo
	v_cmpx_eq_u16_e32 0x80, v6
; %bb.2616:
	s_xor_b32 s3, exec_lo, -1
; %bb.2617:
	s_or_b32 exec_lo, exec_lo, s7
	s_delay_alu instid0(SALU_CYCLE_1)
	s_and_b32 s3, s3, exec_lo
	s_or_saveexec_b32 s6, s6
	v_mov_b64_e32 v[4:5], 0x7ff8000020000000
	s_xor_b32 exec_lo, exec_lo, s6
	s_cbranch_execnz .LBB118_2651
.LBB118_2618:
	s_or_b32 exec_lo, exec_lo, s6
	s_and_saveexec_b32 s6, s3
	s_cbranch_execz .LBB118_2620
.LBB118_2619:
	v_and_b32_e32 v4, 0xffff, v6
	s_delay_alu instid0(VALU_DEP_1) | instskip(SKIP_1) | instid1(VALU_DEP_2)
	v_and_b32_e32 v5, 3, v4
	v_bfe_u32 v11, v4, 2, 5
	v_clz_i32_u32_e32 v7, v5
	s_delay_alu instid0(VALU_DEP_2) | instskip(NEXT) | instid1(VALU_DEP_2)
	v_cmp_eq_u32_e32 vcc_lo, 0, v11
	v_min_u32_e32 v7, 32, v7
	s_delay_alu instid0(VALU_DEP_1) | instskip(NEXT) | instid1(VALU_DEP_1)
	v_subrev_nc_u32_e32 v10, 29, v7
	v_dual_lshlrev_b32 v4, v10, v4 :: v_dual_sub_nc_u32 v7, 30, v7
	s_delay_alu instid0(VALU_DEP_1) | instskip(NEXT) | instid1(VALU_DEP_1)
	v_dual_lshlrev_b32 v6, 24, v6 :: v_dual_bitop2_b32 v4, 3, v4 bitop3:0x40
	v_dual_cndmask_b32 v7, v11, v7 :: v_dual_cndmask_b32 v4, v5, v4
	s_delay_alu instid0(VALU_DEP_2) | instskip(NEXT) | instid1(VALU_DEP_2)
	v_and_b32_e32 v5, 0x80000000, v6
	v_lshl_add_u32 v6, v7, 23, 0x37800000
	s_delay_alu instid0(VALU_DEP_3) | instskip(NEXT) | instid1(VALU_DEP_1)
	v_lshlrev_b32_e32 v4, 21, v4
	v_or3_b32 v4, v5, v6, v4
	s_delay_alu instid0(VALU_DEP_1)
	v_cvt_f64_f32_e32 v[4:5], v4
.LBB118_2620:
	s_or_b32 exec_lo, exec_lo, s6
	s_mov_b32 s3, 0
	s_branch .LBB118_2639
.LBB118_2621:
	s_and_b32 vcc_lo, exec_lo, s2
	s_cbranch_vccnz .LBB118_2669
.LBB118_2622:
	s_and_not1_b32 vcc_lo, exec_lo, s3
	s_cbranch_vccnz .LBB118_2624
.LBB118_2623:
	global_load_u8 v4, v[8:9], off
	v_mov_b64_e32 v[6:7], 0
	s_mov_b32 s6, -1
	s_wait_loadcnt 0x0
	v_cmp_ne_u16_e32 vcc_lo, 0, v4
	v_mov_b32_e32 v4, 0
	v_cndmask_b32_e64 v5, 0, 0x3ff00000, vcc_lo
.LBB118_2624:
	s_mov_b32 s0, 0
.LBB118_2625:
	s_delay_alu instid0(SALU_CYCLE_1)
	s_and_b32 vcc_lo, exec_lo, s0
	s_cbranch_vccz .LBB118_2700
; %bb.2626:
	s_and_b32 s0, 0xffff, s17
	s_delay_alu instid0(SALU_CYCLE_1)
	s_cmp_lt_i32 s0, 5
	s_cbranch_scc1 .LBB118_2631
; %bb.2627:
	s_cmp_lt_i32 s0, 8
	s_cbranch_scc1 .LBB118_2633
; %bb.2628:
	s_cmp_lt_i32 s0, 9
	s_cbranch_scc1 .LBB118_2637
; %bb.2629:
	s_cmp_gt_i32 s0, 9
	s_cbranch_scc0 .LBB118_2652
; %bb.2630:
	global_load_b128 v[4:7], v[8:9], off
	s_mov_b32 s2, 0
	s_branch .LBB118_2653
.LBB118_2631:
	s_mov_b32 s2, -1
                                        ; implicit-def: $vgpr6_vgpr7
	s_branch .LBB118_2678
.LBB118_2632:
	s_mov_b32 s3, -1
                                        ; implicit-def: $vgpr4_vgpr5
	s_branch .LBB118_2645
.LBB118_2633:
	s_mov_b32 s2, -1
                                        ; implicit-def: $vgpr6_vgpr7
	s_branch .LBB118_2659
.LBB118_2634:
	s_or_saveexec_b32 s7, s7
	v_mov_b64_e32 v[4:5], 0x7ff8000020000000
	s_xor_b32 exec_lo, exec_lo, s7
	s_cbranch_execz .LBB118_2605
.LBB118_2635:
	v_cmp_ne_u16_e32 vcc_lo, 0, v6
	v_mov_b64_e32 v[4:5], 0
	s_and_not1_b32 s6, s6, exec_lo
	s_and_b32 s14, vcc_lo, exec_lo
	s_delay_alu instid0(SALU_CYCLE_1)
	s_or_b32 s6, s6, s14
	s_or_b32 exec_lo, exec_lo, s7
	s_and_saveexec_b32 s7, s6
	s_cbranch_execnz .LBB118_2606
	s_branch .LBB118_2607
.LBB118_2636:
	s_mov_b32 s3, -1
                                        ; implicit-def: $vgpr4_vgpr5
	s_branch .LBB118_2642
.LBB118_2637:
	s_mov_b32 s2, -1
                                        ; implicit-def: $vgpr6_vgpr7
	s_branch .LBB118_2656
.LBB118_2638:
	s_mov_b32 s3, -1
                                        ; implicit-def: $vgpr4_vgpr5
.LBB118_2639:
	s_delay_alu instid0(SALU_CYCLE_1)
	s_and_b32 vcc_lo, exec_lo, s3
	s_cbranch_vccz .LBB118_2641
; %bb.2640:
	global_load_u8 v4, v[8:9], off
	s_wait_loadcnt 0x0
	v_lshlrev_b32_e32 v4, 24, v4
	s_delay_alu instid0(VALU_DEP_1) | instskip(NEXT) | instid1(VALU_DEP_1)
	v_and_b32_e32 v5, 0x7f000000, v4
	v_clz_i32_u32_e32 v6, v5
	v_cmp_ne_u32_e32 vcc_lo, 0, v5
	v_add_nc_u32_e32 v10, 0x1000000, v5
	s_delay_alu instid0(VALU_DEP_3) | instskip(NEXT) | instid1(VALU_DEP_1)
	v_min_u32_e32 v6, 32, v6
	v_sub_nc_u32_e64 v6, v6, 4 clamp
	s_delay_alu instid0(VALU_DEP_1) | instskip(NEXT) | instid1(VALU_DEP_1)
	v_dual_lshlrev_b32 v7, v6, v5 :: v_dual_lshlrev_b32 v6, 23, v6
	v_lshrrev_b32_e32 v7, 4, v7
	s_delay_alu instid0(VALU_DEP_1) | instskip(SKIP_1) | instid1(VALU_DEP_2)
	v_sub_nc_u32_e32 v6, v7, v6
	v_ashrrev_i32_e32 v7, 8, v10
	v_add_nc_u32_e32 v6, 0x3c000000, v6
	s_delay_alu instid0(VALU_DEP_1) | instskip(NEXT) | instid1(VALU_DEP_1)
	v_and_or_b32 v6, 0x7f800000, v7, v6
	v_cndmask_b32_e32 v5, 0, v6, vcc_lo
	s_delay_alu instid0(VALU_DEP_1) | instskip(NEXT) | instid1(VALU_DEP_1)
	v_and_or_b32 v4, 0x80000000, v4, v5
	v_cvt_f64_f32_e32 v[4:5], v4
.LBB118_2641:
	s_mov_b32 s3, 0
.LBB118_2642:
	s_delay_alu instid0(SALU_CYCLE_1)
	s_and_not1_b32 vcc_lo, exec_lo, s3
	s_cbranch_vccnz .LBB118_2644
; %bb.2643:
	global_load_u8 v4, v[8:9], off
	s_wait_loadcnt 0x0
	v_lshlrev_b32_e32 v5, 25, v4
	v_lshlrev_b16 v4, 8, v4
	s_delay_alu instid0(VALU_DEP_1) | instskip(SKIP_1) | instid1(VALU_DEP_2)
	v_and_or_b32 v7, 0x7f00, v4, 0.5
	v_bfe_i32 v4, v4, 0, 16
	v_dual_add_f32 v7, -0.5, v7 :: v_dual_lshrrev_b32 v6, 4, v5
	v_cmp_gt_u32_e32 vcc_lo, 0x8000000, v5
	s_delay_alu instid0(VALU_DEP_2) | instskip(NEXT) | instid1(VALU_DEP_1)
	v_or_b32_e32 v6, 0x70000000, v6
	v_mul_f32_e32 v6, 0x7800000, v6
	s_delay_alu instid0(VALU_DEP_1) | instskip(NEXT) | instid1(VALU_DEP_1)
	v_cndmask_b32_e32 v5, v6, v7, vcc_lo
	v_and_or_b32 v4, 0x80000000, v4, v5
	s_delay_alu instid0(VALU_DEP_1)
	v_cvt_f64_f32_e32 v[4:5], v4
.LBB118_2644:
	s_mov_b32 s3, 0
	s_mov_b32 s6, -1
.LBB118_2645:
	s_and_not1_b32 vcc_lo, exec_lo, s3
	s_mov_b32 s3, 0
	s_cbranch_vccnz .LBB118_2668
; %bb.2646:
	s_cmp_gt_i32 s0, 14
	s_cbranch_scc0 .LBB118_2649
; %bb.2647:
	s_cmp_eq_u32 s0, 15
	s_cbranch_scc0 .LBB118_2664
; %bb.2648:
	global_load_u16 v4, v[8:9], off
	s_mov_b32 s2, 0
	s_mov_b32 s6, -1
	s_wait_loadcnt 0x0
	v_lshlrev_b32_e32 v4, 16, v4
	s_delay_alu instid0(VALU_DEP_1)
	v_cvt_f64_f32_e32 v[4:5], v4
	s_branch .LBB118_2666
.LBB118_2649:
	s_mov_b32 s3, -1
	s_branch .LBB118_2665
.LBB118_2650:
	s_or_saveexec_b32 s6, s6
	v_mov_b64_e32 v[4:5], 0x7ff8000020000000
	s_xor_b32 exec_lo, exec_lo, s6
	s_cbranch_execz .LBB118_2618
.LBB118_2651:
	v_cmp_ne_u16_e32 vcc_lo, 0, v6
	v_mov_b64_e32 v[4:5], 0
	s_and_not1_b32 s3, s3, exec_lo
	s_and_b32 s7, vcc_lo, exec_lo
	s_delay_alu instid0(SALU_CYCLE_1)
	s_or_b32 s3, s3, s7
	s_or_b32 exec_lo, exec_lo, s6
	s_and_saveexec_b32 s6, s3
	s_cbranch_execnz .LBB118_2619
	s_branch .LBB118_2620
.LBB118_2652:
	s_mov_b32 s2, -1
                                        ; implicit-def: $vgpr6_vgpr7
.LBB118_2653:
	s_delay_alu instid0(SALU_CYCLE_1)
	s_and_not1_b32 vcc_lo, exec_lo, s2
	s_cbranch_vccnz .LBB118_2655
; %bb.2654:
	s_wait_loadcnt 0x0
	global_load_b64 v[6:7], v[8:9], off
	s_wait_loadcnt 0x0
	v_cvt_f64_f32_e32 v[4:5], v6
	v_cvt_f64_f32_e32 v[6:7], v7
.LBB118_2655:
	s_mov_b32 s2, 0
.LBB118_2656:
	s_delay_alu instid0(SALU_CYCLE_1)
	s_and_not1_b32 vcc_lo, exec_lo, s2
	s_cbranch_vccnz .LBB118_2658
; %bb.2657:
	s_wait_loadcnt 0x0
	global_load_b32 v4, v[8:9], off
	s_wait_loadcnt 0x0
	v_lshrrev_b32_e32 v5, 16, v4
	v_cvt_f32_f16_e32 v4, v4
	s_delay_alu instid0(VALU_DEP_2) | instskip(NEXT) | instid1(VALU_DEP_2)
	v_cvt_f32_f16_e32 v6, v5
	v_cvt_f64_f32_e32 v[4:5], v4
	s_delay_alu instid0(VALU_DEP_2)
	v_cvt_f64_f32_e32 v[6:7], v6
.LBB118_2658:
	s_mov_b32 s2, 0
.LBB118_2659:
	s_delay_alu instid0(SALU_CYCLE_1)
	s_and_not1_b32 vcc_lo, exec_lo, s2
	s_cbranch_vccnz .LBB118_2677
; %bb.2660:
	s_cmp_lt_i32 s0, 6
	s_cbranch_scc1 .LBB118_2663
; %bb.2661:
	s_cmp_gt_i32 s0, 6
	s_cbranch_scc0 .LBB118_2670
; %bb.2662:
	s_wait_loadcnt 0x0
	global_load_b64 v[4:5], v[8:9], off
	s_mov_b32 s2, 0
	s_branch .LBB118_2671
.LBB118_2663:
	s_mov_b32 s2, -1
                                        ; implicit-def: $vgpr4_vgpr5
	s_branch .LBB118_2674
.LBB118_2664:
	s_mov_b32 s2, -1
.LBB118_2665:
                                        ; implicit-def: $vgpr4_vgpr5
.LBB118_2666:
	s_and_b32 vcc_lo, exec_lo, s3
	s_mov_b32 s3, 0
	s_cbranch_vccz .LBB118_2668
; %bb.2667:
	s_cmp_lg_u32 s0, 11
	s_mov_b32 s3, -1
	s_cselect_b32 s2, -1, 0
.LBB118_2668:
	v_mov_b64_e32 v[6:7], 0
	s_and_b32 vcc_lo, exec_lo, s2
	s_cbranch_vccz .LBB118_2622
.LBB118_2669:
	s_or_b32 s13, s13, exec_lo
	s_trap 2
	s_cbranch_execz .LBB118_2623
	s_branch .LBB118_2624
.LBB118_2670:
	s_mov_b32 s2, -1
                                        ; implicit-def: $vgpr4_vgpr5
.LBB118_2671:
	s_delay_alu instid0(SALU_CYCLE_1)
	s_and_not1_b32 vcc_lo, exec_lo, s2
	s_cbranch_vccnz .LBB118_2673
; %bb.2672:
	s_wait_loadcnt 0x0
	global_load_b32 v4, v[8:9], off
	s_wait_loadcnt 0x0
	v_cvt_f64_f32_e32 v[4:5], v4
.LBB118_2673:
	s_mov_b32 s2, 0
.LBB118_2674:
	s_delay_alu instid0(SALU_CYCLE_1)
	s_and_not1_b32 vcc_lo, exec_lo, s2
	s_cbranch_vccnz .LBB118_2676
; %bb.2675:
	s_wait_loadcnt 0x0
	global_load_u16 v4, v[8:9], off
	s_wait_loadcnt 0x0
	v_cvt_f32_f16_e32 v4, v4
	s_delay_alu instid0(VALU_DEP_1)
	v_cvt_f64_f32_e32 v[4:5], v4
.LBB118_2676:
	s_wait_loadcnt 0x0
	v_mov_b64_e32 v[6:7], 0
.LBB118_2677:
	s_mov_b32 s2, 0
.LBB118_2678:
	s_delay_alu instid0(SALU_CYCLE_1)
	s_and_not1_b32 vcc_lo, exec_lo, s2
	s_cbranch_vccnz .LBB118_2699
; %bb.2679:
	s_cmp_lt_i32 s0, 2
	s_cbranch_scc1 .LBB118_2683
; %bb.2680:
	s_cmp_lt_i32 s0, 3
	s_cbranch_scc1 .LBB118_2684
; %bb.2681:
	s_cmp_gt_i32 s0, 3
	s_cbranch_scc0 .LBB118_2685
; %bb.2682:
	s_wait_loadcnt 0x0
	global_load_b64 v[4:5], v[8:9], off
	s_mov_b32 s2, 0
	s_wait_loadcnt 0x0
	v_cvt_f64_i32_e32 v[6:7], v5
	v_cvt_f64_u32_e32 v[4:5], v4
	s_delay_alu instid0(VALU_DEP_2) | instskip(NEXT) | instid1(VALU_DEP_1)
	v_ldexp_f64 v[6:7], v[6:7], 32
	v_add_f64_e32 v[4:5], v[6:7], v[4:5]
	s_branch .LBB118_2686
.LBB118_2683:
	s_mov_b32 s2, -1
                                        ; implicit-def: $vgpr4_vgpr5
	s_branch .LBB118_2692
.LBB118_2684:
	s_mov_b32 s2, -1
                                        ; implicit-def: $vgpr4_vgpr5
	s_branch .LBB118_2689
.LBB118_2685:
	s_mov_b32 s2, -1
                                        ; implicit-def: $vgpr4_vgpr5
.LBB118_2686:
	s_delay_alu instid0(SALU_CYCLE_1)
	s_and_not1_b32 vcc_lo, exec_lo, s2
	s_cbranch_vccnz .LBB118_2688
; %bb.2687:
	s_wait_loadcnt 0x0
	global_load_b32 v4, v[8:9], off
	s_wait_loadcnt 0x0
	v_cvt_f64_i32_e32 v[4:5], v4
.LBB118_2688:
	s_mov_b32 s2, 0
.LBB118_2689:
	s_delay_alu instid0(SALU_CYCLE_1)
	s_and_not1_b32 vcc_lo, exec_lo, s2
	s_cbranch_vccnz .LBB118_2691
; %bb.2690:
	s_wait_loadcnt 0x0
	global_load_i16 v4, v[8:9], off
	s_wait_loadcnt 0x0
	v_cvt_f64_i32_e32 v[4:5], v4
.LBB118_2691:
	s_mov_b32 s2, 0
.LBB118_2692:
	s_delay_alu instid0(SALU_CYCLE_1)
	s_and_not1_b32 vcc_lo, exec_lo, s2
	s_cbranch_vccnz .LBB118_2698
; %bb.2693:
	s_cmp_gt_i32 s0, 0
	s_mov_b32 s0, 0
	s_cbranch_scc0 .LBB118_2695
; %bb.2694:
	s_wait_loadcnt 0x0
	global_load_i8 v4, v[8:9], off
	s_wait_loadcnt 0x0
	v_cvt_f64_i32_e32 v[4:5], v4
	s_branch .LBB118_2696
.LBB118_2695:
	s_mov_b32 s0, -1
                                        ; implicit-def: $vgpr4_vgpr5
.LBB118_2696:
	s_delay_alu instid0(SALU_CYCLE_1)
	s_and_not1_b32 vcc_lo, exec_lo, s0
	s_cbranch_vccnz .LBB118_2698
; %bb.2697:
	s_wait_loadcnt 0x0
	global_load_u8 v4, v[8:9], off
	s_wait_loadcnt 0x0
	v_cvt_f64_u32_e32 v[4:5], v4
.LBB118_2698:
	s_wait_loadcnt 0x0
	v_mov_b64_e32 v[6:7], 0
.LBB118_2699:
	s_mov_b32 s6, -1
.LBB118_2700:
	s_delay_alu instid0(SALU_CYCLE_1)
	s_and_not1_b32 vcc_lo, exec_lo, s6
	s_cbranch_vccnz .LBB118_2703
; %bb.2701:
	s_and_b32 vcc_lo, exec_lo, s11
	s_cbranch_vccz .LBB118_2749
; %bb.2702:
	s_wait_loadcnt 0x0
	s_delay_alu instid0(VALU_DEP_1) | instskip(NEXT) | instid1(VALU_DEP_2)
	v_cmp_neq_f64_e32 vcc_lo, v[0:1], v[4:5]
	v_cmp_neq_f64_e64 s0, v[2:3], v[6:7]
	s_or_b32 s17, vcc_lo, s0
	s_mov_b32 s0, 0
	s_branch .LBB118_2750
.LBB118_2703:
	s_mov_b32 s0, 0
	s_mov_b32 s2, 0
                                        ; implicit-def: $sgpr17
.LBB118_2704:
                                        ; implicit-def: $sgpr18
                                        ; implicit-def: $vgpr0_vgpr1
.LBB118_2705:
	s_and_not1_b32 s1, s16, exec_lo
	s_and_b32 s3, s13, exec_lo
	s_and_b32 s0, s0, exec_lo
	;; [unrolled: 1-line block ×3, first 2 shown]
	s_or_b32 s16, s1, s3
.LBB118_2706:
	s_wait_xcnt 0x0
	s_or_b32 exec_lo, exec_lo, s15
	s_and_saveexec_b32 s1, s16
	s_cbranch_execz .LBB118_2709
; %bb.2707:
	; divergent unreachable
	s_or_b32 exec_lo, exec_lo, s1
	s_and_saveexec_b32 s1, s13
	s_delay_alu instid0(SALU_CYCLE_1)
	s_xor_b32 s1, exec_lo, s1
	s_cbranch_execnz .LBB118_2710
.LBB118_2708:
	s_or_b32 exec_lo, exec_lo, s1
	s_and_saveexec_b32 s1, s0
	s_cbranch_execnz .LBB118_2711
	s_branch .LBB118_2748
.LBB118_2709:
	s_or_b32 exec_lo, exec_lo, s1
	s_and_saveexec_b32 s1, s13
	s_delay_alu instid0(SALU_CYCLE_1)
	s_xor_b32 s1, exec_lo, s1
	s_cbranch_execz .LBB118_2708
.LBB118_2710:
	s_wait_loadcnt 0x0
	v_cndmask_b32_e64 v2, 0, 1, s17
	global_store_b8 v[0:1], v2, off
	s_wait_xcnt 0x0
	s_or_b32 exec_lo, exec_lo, s1
	s_and_saveexec_b32 s1, s0
	s_cbranch_execz .LBB118_2748
.LBB118_2711:
	s_sext_i32_i16 s1, s18
	s_mov_b32 s0, -1
	s_cmp_lt_i32 s1, 5
	s_cbranch_scc1 .LBB118_2732
; %bb.2712:
	s_cmp_lt_i32 s1, 8
	s_cbranch_scc1 .LBB118_2722
; %bb.2713:
	;; [unrolled: 3-line block ×3, first 2 shown]
	s_cmp_gt_i32 s1, 9
	s_cbranch_scc0 .LBB118_2716
; %bb.2715:
	s_wait_loadcnt 0x0
	v_cndmask_b32_e64 v2, 0, 1, s17
	v_mov_b32_e32 v4, 0
	s_mov_b32 s0, 0
	s_delay_alu instid0(VALU_DEP_2) | instskip(NEXT) | instid1(VALU_DEP_2)
	v_cvt_f64_u32_e32 v[2:3], v2
	v_mov_b32_e32 v5, v4
	global_store_b128 v[0:1], v[2:5], off
.LBB118_2716:
	s_and_not1_b32 vcc_lo, exec_lo, s0
	s_cbranch_vccnz .LBB118_2718
; %bb.2717:
	s_wait_loadcnt 0x0
	v_cndmask_b32_e64 v2, 0, 1.0, s17
	v_mov_b32_e32 v3, 0
	global_store_b64 v[0:1], v[2:3], off
.LBB118_2718:
	s_mov_b32 s0, 0
.LBB118_2719:
	s_delay_alu instid0(SALU_CYCLE_1)
	s_and_not1_b32 vcc_lo, exec_lo, s0
	s_cbranch_vccnz .LBB118_2721
; %bb.2720:
	s_wait_loadcnt 0x0
	v_cndmask_b32_e64 v2, 0, 1.0, s17
	s_delay_alu instid0(VALU_DEP_1) | instskip(NEXT) | instid1(VALU_DEP_1)
	v_cvt_f16_f32_e32 v2, v2
	v_and_b32_e32 v2, 0xffff, v2
	global_store_b32 v[0:1], v2, off
.LBB118_2721:
	s_mov_b32 s0, 0
.LBB118_2722:
	s_delay_alu instid0(SALU_CYCLE_1)
	s_and_not1_b32 vcc_lo, exec_lo, s0
	s_cbranch_vccnz .LBB118_2731
; %bb.2723:
	s_sext_i32_i16 s1, s18
	s_mov_b32 s0, -1
	s_cmp_lt_i32 s1, 6
	s_cbranch_scc1 .LBB118_2729
; %bb.2724:
	s_cmp_gt_i32 s1, 6
	s_cbranch_scc0 .LBB118_2726
; %bb.2725:
	s_wait_loadcnt 0x0
	v_cndmask_b32_e64 v2, 0, 1, s17
	s_mov_b32 s0, 0
	s_delay_alu instid0(VALU_DEP_1)
	v_cvt_f64_u32_e32 v[2:3], v2
	global_store_b64 v[0:1], v[2:3], off
.LBB118_2726:
	s_and_not1_b32 vcc_lo, exec_lo, s0
	s_cbranch_vccnz .LBB118_2728
; %bb.2727:
	s_wait_loadcnt 0x0
	v_cndmask_b32_e64 v2, 0, 1.0, s17
	global_store_b32 v[0:1], v2, off
.LBB118_2728:
	s_mov_b32 s0, 0
.LBB118_2729:
	s_delay_alu instid0(SALU_CYCLE_1)
	s_and_not1_b32 vcc_lo, exec_lo, s0
	s_cbranch_vccnz .LBB118_2731
; %bb.2730:
	s_wait_loadcnt 0x0
	v_cndmask_b32_e64 v2, 0, 1.0, s17
	s_delay_alu instid0(VALU_DEP_1)
	v_cvt_f16_f32_e32 v2, v2
	global_store_b16 v[0:1], v2, off
.LBB118_2731:
	s_mov_b32 s0, 0
.LBB118_2732:
	s_delay_alu instid0(SALU_CYCLE_1)
	s_and_not1_b32 vcc_lo, exec_lo, s0
	s_cbranch_vccnz .LBB118_2748
; %bb.2733:
	s_sext_i32_i16 s1, s18
	s_mov_b32 s0, -1
	s_cmp_lt_i32 s1, 2
	s_cbranch_scc1 .LBB118_2743
; %bb.2734:
	s_cmp_lt_i32 s1, 3
	s_cbranch_scc1 .LBB118_2740
; %bb.2735:
	s_cmp_gt_i32 s1, 3
	s_cbranch_scc0 .LBB118_2737
; %bb.2736:
	s_mov_b32 s0, 0
	s_wait_loadcnt 0x0
	v_cndmask_b32_e64 v2, 0, 1, s17
	v_mov_b32_e32 v3, s0
	global_store_b64 v[0:1], v[2:3], off
.LBB118_2737:
	s_and_not1_b32 vcc_lo, exec_lo, s0
	s_cbranch_vccnz .LBB118_2739
; %bb.2738:
	s_wait_loadcnt 0x0
	v_cndmask_b32_e64 v2, 0, 1, s17
	global_store_b32 v[0:1], v2, off
.LBB118_2739:
	s_mov_b32 s0, 0
.LBB118_2740:
	s_delay_alu instid0(SALU_CYCLE_1)
	s_and_not1_b32 vcc_lo, exec_lo, s0
	s_cbranch_vccnz .LBB118_2742
; %bb.2741:
	s_wait_loadcnt 0x0
	v_cndmask_b32_e64 v2, 0, 1, s17
	global_store_b16 v[0:1], v2, off
.LBB118_2742:
	s_mov_b32 s0, 0
.LBB118_2743:
	s_delay_alu instid0(SALU_CYCLE_1)
	s_and_not1_b32 vcc_lo, exec_lo, s0
	s_cbranch_vccnz .LBB118_2748
; %bb.2744:
	s_wait_loadcnt 0x0
	v_cndmask_b32_e64 v2, 0, 1, s17
	s_sext_i32_i16 s0, s18
	s_delay_alu instid0(SALU_CYCLE_1)
	s_cmp_gt_i32 s0, 0
	s_mov_b32 s0, -1
	s_cbranch_scc0 .LBB118_2746
; %bb.2745:
	s_mov_b32 s0, 0
	global_store_b8 v[0:1], v2, off
.LBB118_2746:
	s_and_not1_b32 vcc_lo, exec_lo, s0
	s_cbranch_vccnz .LBB118_2748
; %bb.2747:
	global_store_b8 v[0:1], v2, off
	s_endpgm
.LBB118_2748:
	s_endpgm
.LBB118_2749:
	s_mov_b32 s0, -1
                                        ; implicit-def: $sgpr17
.LBB118_2750:
	s_delay_alu instid0(SALU_CYCLE_1)
	s_and_not1_b32 vcc_lo, exec_lo, s0
	s_cbranch_vccnz .LBB118_2752
; %bb.2751:
	s_wait_loadcnt 0x0
	s_delay_alu instid0(VALU_DEP_1) | instskip(NEXT) | instid1(VALU_DEP_2)
	v_cmp_eq_f64_e32 vcc_lo, v[0:1], v[4:5]
	v_cmp_eq_f64_e64 s0, v[2:3], v[6:7]
	s_and_not1_b32 s2, s17, exec_lo
	s_and_b32 s0, vcc_lo, s0
	s_delay_alu instid0(SALU_CYCLE_1) | instskip(NEXT) | instid1(SALU_CYCLE_1)
	s_and_b32 s0, s0, exec_lo
	s_or_b32 s17, s2, s0
.LBB118_2752:
	s_wait_loadcnt 0x0
	v_mul_lo_u32 v0, s8, v14
	s_and_b32 s18, s12, 0xff
	s_delay_alu instid0(SALU_CYCLE_1) | instskip(NEXT) | instid1(VALU_DEP_1)
	s_cmp_lt_i32 s18, 11
	v_ashrrev_i32_e32 v1, 31, v0
	s_delay_alu instid0(VALU_DEP_1)
	v_add_nc_u64_e32 v[2:3], s[4:5], v[0:1]
	s_cbranch_scc1 .LBB118_2830
; %bb.2753:
	s_and_b32 s2, 0xffff, s18
	s_mov_b32 s7, -1
	s_mov_b32 s3, 0
	s_cmp_gt_i32 s2, 25
	s_mov_b32 s6, 0
	s_mov_b32 s0, 0
	s_cbranch_scc0 .LBB118_2786
; %bb.2754:
	s_cmp_gt_i32 s2, 28
	s_cbranch_scc0 .LBB118_2769
; %bb.2755:
	s_cmp_gt_i32 s2, 43
	;; [unrolled: 3-line block ×3, first 2 shown]
	s_cbranch_scc0 .LBB118_2759
; %bb.2757:
	s_mov_b32 s0, -1
	s_mov_b32 s7, 0
	s_cmp_eq_u32 s2, 46
	s_cbranch_scc0 .LBB118_2759
; %bb.2758:
	v_cndmask_b32_e64 v1, 0, 1.0, s1
	s_mov_b32 s0, 0
	s_mov_b32 s6, -1
	s_delay_alu instid0(VALU_DEP_1) | instskip(NEXT) | instid1(VALU_DEP_1)
	v_bfe_u32 v4, v1, 16, 1
	v_add3_u32 v1, v1, v4, 0x7fff
	s_delay_alu instid0(VALU_DEP_1)
	v_lshrrev_b32_e32 v1, 16, v1
	global_store_b32 v[2:3], v1, off
.LBB118_2759:
	s_and_b32 vcc_lo, exec_lo, s7
	s_cbranch_vccz .LBB118_2764
; %bb.2760:
	s_cmp_eq_u32 s2, 44
	s_mov_b32 s0, -1
	s_cbranch_scc0 .LBB118_2764
; %bb.2761:
	v_cndmask_b32_e64 v5, 0, 1.0, s1
	s_mov_b32 s6, exec_lo
	s_wait_xcnt 0x0
	s_delay_alu instid0(VALU_DEP_1) | instskip(NEXT) | instid1(VALU_DEP_1)
	v_dual_mov_b32 v4, 0xff :: v_dual_lshrrev_b32 v1, 23, v5
	v_cmpx_ne_u32_e32 0xff, v1
; %bb.2762:
	v_and_b32_e32 v4, 0x400000, v5
	v_and_or_b32 v5, 0x3fffff, v5, v1
	s_delay_alu instid0(VALU_DEP_2) | instskip(NEXT) | instid1(VALU_DEP_2)
	v_cmp_ne_u32_e32 vcc_lo, 0, v4
	v_cmp_ne_u32_e64 s0, 0, v5
	s_and_b32 s0, vcc_lo, s0
	s_delay_alu instid0(SALU_CYCLE_1) | instskip(NEXT) | instid1(VALU_DEP_1)
	v_cndmask_b32_e64 v4, 0, 1, s0
	v_add_nc_u32_e32 v4, v1, v4
; %bb.2763:
	s_or_b32 exec_lo, exec_lo, s6
	s_mov_b32 s0, 0
	s_mov_b32 s6, -1
	global_store_b8 v[2:3], v4, off
.LBB118_2764:
	s_mov_b32 s7, 0
.LBB118_2765:
	s_delay_alu instid0(SALU_CYCLE_1)
	s_and_b32 vcc_lo, exec_lo, s7
	s_cbranch_vccz .LBB118_2768
; %bb.2766:
	s_cmp_eq_u32 s2, 29
	s_mov_b32 s0, -1
	s_cbranch_scc0 .LBB118_2768
; %bb.2767:
	s_mov_b32 s0, 0
	s_wait_xcnt 0x0
	v_cndmask_b32_e64 v4, 0, 1, s1
	v_mov_b32_e32 v5, s0
	s_mov_b32 s6, -1
	global_store_b64 v[2:3], v[4:5], off
.LBB118_2768:
	s_mov_b32 s7, 0
.LBB118_2769:
	s_delay_alu instid0(SALU_CYCLE_1)
	s_and_b32 vcc_lo, exec_lo, s7
	s_cbranch_vccz .LBB118_2785
; %bb.2770:
	s_cmp_lt_i32 s2, 27
	s_mov_b32 s6, -1
	s_cbranch_scc1 .LBB118_2776
; %bb.2771:
	s_cmp_gt_i32 s2, 27
	s_cbranch_scc0 .LBB118_2773
; %bb.2772:
	s_wait_xcnt 0x0
	v_cndmask_b32_e64 v1, 0, 1, s1
	s_mov_b32 s6, 0
	global_store_b32 v[2:3], v1, off
.LBB118_2773:
	s_and_not1_b32 vcc_lo, exec_lo, s6
	s_cbranch_vccnz .LBB118_2775
; %bb.2774:
	s_wait_xcnt 0x0
	v_cndmask_b32_e64 v1, 0, 1, s1
	global_store_b16 v[2:3], v1, off
.LBB118_2775:
	s_mov_b32 s6, 0
.LBB118_2776:
	s_delay_alu instid0(SALU_CYCLE_1)
	s_and_not1_b32 vcc_lo, exec_lo, s6
	s_cbranch_vccnz .LBB118_2784
; %bb.2777:
	s_wait_xcnt 0x0
	v_cndmask_b32_e64 v4, 0, 1.0, s1
	v_mov_b32_e32 v5, 0x80
	s_mov_b32 s6, exec_lo
	s_delay_alu instid0(VALU_DEP_2)
	v_cmpx_gt_u32_e32 0x43800000, v4
	s_cbranch_execz .LBB118_2783
; %bb.2778:
	s_mov_b32 s7, 0
	s_mov_b32 s11, exec_lo
                                        ; implicit-def: $vgpr1
	v_cmpx_lt_u32_e32 0x3bffffff, v4
	s_xor_b32 s11, exec_lo, s11
	s_cbranch_execz .LBB118_3187
; %bb.2779:
	v_bfe_u32 v1, v4, 20, 1
	s_mov_b32 s7, exec_lo
	s_delay_alu instid0(VALU_DEP_1) | instskip(NEXT) | instid1(VALU_DEP_1)
	v_add3_u32 v1, v4, v1, 0x487ffff
                                        ; implicit-def: $vgpr4
	v_lshrrev_b32_e32 v1, 20, v1
	s_and_not1_saveexec_b32 s11, s11
	s_cbranch_execnz .LBB118_3188
.LBB118_2780:
	s_or_b32 exec_lo, exec_lo, s11
	v_mov_b32_e32 v5, 0
	s_and_saveexec_b32 s11, s7
.LBB118_2781:
	v_mov_b32_e32 v5, v1
.LBB118_2782:
	s_or_b32 exec_lo, exec_lo, s11
.LBB118_2783:
	s_delay_alu instid0(SALU_CYCLE_1)
	s_or_b32 exec_lo, exec_lo, s6
	global_store_b8 v[2:3], v5, off
.LBB118_2784:
	s_mov_b32 s6, -1
.LBB118_2785:
	s_mov_b32 s7, 0
.LBB118_2786:
	s_delay_alu instid0(SALU_CYCLE_1)
	s_and_b32 vcc_lo, exec_lo, s7
	s_cbranch_vccz .LBB118_2826
; %bb.2787:
	s_cmp_gt_i32 s2, 22
	s_mov_b32 s3, -1
	s_cbranch_scc0 .LBB118_2819
; %bb.2788:
	s_cmp_lt_i32 s2, 24
	s_cbranch_scc1 .LBB118_2808
; %bb.2789:
	s_cmp_gt_i32 s2, 24
	s_cbranch_scc0 .LBB118_2797
; %bb.2790:
	s_wait_xcnt 0x0
	v_cndmask_b32_e64 v4, 0, 1.0, s1
	v_mov_b32_e32 v5, 0x80
	s_mov_b32 s3, exec_lo
	s_delay_alu instid0(VALU_DEP_2)
	v_cmpx_gt_u32_e32 0x47800000, v4
	s_cbranch_execz .LBB118_2796
; %bb.2791:
	s_mov_b32 s6, 0
	s_mov_b32 s7, exec_lo
                                        ; implicit-def: $vgpr1
	v_cmpx_lt_u32_e32 0x37ffffff, v4
	s_xor_b32 s7, exec_lo, s7
	s_cbranch_execz .LBB118_3190
; %bb.2792:
	v_bfe_u32 v1, v4, 21, 1
	s_mov_b32 s6, exec_lo
	s_delay_alu instid0(VALU_DEP_1) | instskip(NEXT) | instid1(VALU_DEP_1)
	v_add3_u32 v1, v4, v1, 0x88fffff
                                        ; implicit-def: $vgpr4
	v_lshrrev_b32_e32 v1, 21, v1
	s_and_not1_saveexec_b32 s7, s7
	s_cbranch_execnz .LBB118_3191
.LBB118_2793:
	s_or_b32 exec_lo, exec_lo, s7
	v_mov_b32_e32 v5, 0
	s_and_saveexec_b32 s7, s6
.LBB118_2794:
	v_mov_b32_e32 v5, v1
.LBB118_2795:
	s_or_b32 exec_lo, exec_lo, s7
.LBB118_2796:
	s_delay_alu instid0(SALU_CYCLE_1)
	s_or_b32 exec_lo, exec_lo, s3
	s_mov_b32 s3, 0
	global_store_b8 v[2:3], v5, off
.LBB118_2797:
	s_and_b32 vcc_lo, exec_lo, s3
	s_cbranch_vccz .LBB118_2807
; %bb.2798:
	s_wait_xcnt 0x0
	v_cndmask_b32_e64 v4, 0, 1.0, s1
	s_mov_b32 s3, exec_lo
                                        ; implicit-def: $vgpr1
	s_delay_alu instid0(VALU_DEP_1)
	v_cmpx_gt_u32_e32 0x43f00000, v4
	s_xor_b32 s3, exec_lo, s3
	s_cbranch_execz .LBB118_2804
; %bb.2799:
	s_mov_b32 s6, exec_lo
                                        ; implicit-def: $vgpr1
	v_cmpx_lt_u32_e32 0x3c7fffff, v4
	s_xor_b32 s6, exec_lo, s6
; %bb.2800:
	v_bfe_u32 v1, v4, 20, 1
	s_delay_alu instid0(VALU_DEP_1) | instskip(NEXT) | instid1(VALU_DEP_1)
	v_add3_u32 v1, v4, v1, 0x407ffff
	v_and_b32_e32 v4, 0xff00000, v1
	v_lshrrev_b32_e32 v1, 20, v1
	s_delay_alu instid0(VALU_DEP_2) | instskip(NEXT) | instid1(VALU_DEP_2)
	v_cmp_ne_u32_e32 vcc_lo, 0x7f00000, v4
                                        ; implicit-def: $vgpr4
	v_cndmask_b32_e32 v1, 0x7e, v1, vcc_lo
; %bb.2801:
	s_and_not1_saveexec_b32 s6, s6
; %bb.2802:
	v_add_f32_e32 v1, 0x46800000, v4
; %bb.2803:
	s_or_b32 exec_lo, exec_lo, s6
                                        ; implicit-def: $vgpr4
.LBB118_2804:
	s_and_not1_saveexec_b32 s3, s3
; %bb.2805:
	v_mov_b32_e32 v1, 0x7f
	v_cmp_lt_u32_e32 vcc_lo, 0x7f800000, v4
	s_delay_alu instid0(VALU_DEP_2)
	v_cndmask_b32_e32 v1, 0x7e, v1, vcc_lo
; %bb.2806:
	s_or_b32 exec_lo, exec_lo, s3
	global_store_b8 v[2:3], v1, off
.LBB118_2807:
	s_mov_b32 s3, 0
.LBB118_2808:
	s_delay_alu instid0(SALU_CYCLE_1)
	s_and_not1_b32 vcc_lo, exec_lo, s3
	s_cbranch_vccnz .LBB118_2818
; %bb.2809:
	s_wait_xcnt 0x0
	v_cndmask_b32_e64 v4, 0, 1.0, s1
	s_mov_b32 s3, exec_lo
                                        ; implicit-def: $vgpr1
	s_delay_alu instid0(VALU_DEP_1)
	v_cmpx_gt_u32_e32 0x47800000, v4
	s_xor_b32 s3, exec_lo, s3
	s_cbranch_execz .LBB118_2815
; %bb.2810:
	s_mov_b32 s6, exec_lo
                                        ; implicit-def: $vgpr1
	v_cmpx_lt_u32_e32 0x387fffff, v4
	s_xor_b32 s6, exec_lo, s6
; %bb.2811:
	v_bfe_u32 v1, v4, 21, 1
	s_delay_alu instid0(VALU_DEP_1) | instskip(NEXT) | instid1(VALU_DEP_1)
	v_add3_u32 v1, v4, v1, 0x80fffff
                                        ; implicit-def: $vgpr4
	v_lshrrev_b32_e32 v1, 21, v1
; %bb.2812:
	s_and_not1_saveexec_b32 s6, s6
; %bb.2813:
	v_add_f32_e32 v1, 0x43000000, v4
; %bb.2814:
	s_or_b32 exec_lo, exec_lo, s6
                                        ; implicit-def: $vgpr4
.LBB118_2815:
	s_and_not1_saveexec_b32 s3, s3
; %bb.2816:
	v_mov_b32_e32 v1, 0x7f
	v_cmp_lt_u32_e32 vcc_lo, 0x7f800000, v4
	s_delay_alu instid0(VALU_DEP_2)
	v_cndmask_b32_e32 v1, 0x7c, v1, vcc_lo
; %bb.2817:
	s_or_b32 exec_lo, exec_lo, s3
	global_store_b8 v[2:3], v1, off
.LBB118_2818:
	s_mov_b32 s3, 0
	s_mov_b32 s6, -1
.LBB118_2819:
	s_and_not1_b32 vcc_lo, exec_lo, s3
	s_mov_b32 s3, 0
	s_cbranch_vccnz .LBB118_2826
; %bb.2820:
	s_cmp_gt_i32 s2, 14
	s_mov_b32 s3, -1
	s_cbranch_scc0 .LBB118_2824
; %bb.2821:
	s_cmp_eq_u32 s2, 15
	s_mov_b32 s0, -1
	s_cbranch_scc0 .LBB118_2823
; %bb.2822:
	s_wait_xcnt 0x0
	v_cndmask_b32_e64 v1, 0, 1.0, s1
	s_mov_b32 s0, 0
	s_mov_b32 s6, -1
	s_delay_alu instid0(VALU_DEP_1) | instskip(NEXT) | instid1(VALU_DEP_1)
	v_bfe_u32 v4, v1, 16, 1
	v_add3_u32 v1, v1, v4, 0x7fff
	global_store_d16_hi_b16 v[2:3], v1, off
.LBB118_2823:
	s_mov_b32 s3, 0
.LBB118_2824:
	s_delay_alu instid0(SALU_CYCLE_1)
	s_and_b32 vcc_lo, exec_lo, s3
	s_mov_b32 s3, 0
	s_cbranch_vccz .LBB118_2826
; %bb.2825:
	s_cmp_lg_u32 s2, 11
	s_mov_b32 s3, -1
	s_cselect_b32 s0, -1, 0
.LBB118_2826:
	s_delay_alu instid0(SALU_CYCLE_1)
	s_and_b32 vcc_lo, exec_lo, s0
	s_cbranch_vccnz .LBB118_3189
; %bb.2827:
	s_and_not1_b32 vcc_lo, exec_lo, s3
	s_cbranch_vccnz .LBB118_2829
.LBB118_2828:
	s_wait_xcnt 0x0
	v_cndmask_b32_e64 v1, 0, 1, s1
	s_mov_b32 s6, -1
	global_store_b8 v[2:3], v1, off
.LBB118_2829:
	s_mov_b32 s0, 0
	s_branch .LBB118_2831
.LBB118_2830:
	s_mov_b32 s0, -1
	s_mov_b32 s6, 0
.LBB118_2831:
	s_and_b32 vcc_lo, exec_lo, s0
	s_cbranch_vccz .LBB118_2870
; %bb.2832:
	s_and_b32 s0, 0xffff, s18
	s_mov_b32 s2, -1
	s_cmp_lt_i32 s0, 5
	s_cbranch_scc1 .LBB118_2853
; %bb.2833:
	s_cmp_lt_i32 s0, 8
	s_cbranch_scc1 .LBB118_2843
; %bb.2834:
	;; [unrolled: 3-line block ×3, first 2 shown]
	s_cmp_gt_i32 s0, 9
	s_cbranch_scc0 .LBB118_2837
; %bb.2836:
	s_wait_xcnt 0x0
	v_cndmask_b32_e64 v1, 0, 1, s1
	v_mov_b32_e32 v6, 0
	s_mov_b32 s2, 0
	s_delay_alu instid0(VALU_DEP_2) | instskip(NEXT) | instid1(VALU_DEP_2)
	v_cvt_f64_u32_e32 v[4:5], v1
	v_mov_b32_e32 v7, v6
	global_store_b128 v[2:3], v[4:7], off
.LBB118_2837:
	s_and_not1_b32 vcc_lo, exec_lo, s2
	s_cbranch_vccnz .LBB118_2839
; %bb.2838:
	s_wait_xcnt 0x0
	v_cndmask_b32_e64 v4, 0, 1.0, s1
	v_mov_b32_e32 v5, 0
	global_store_b64 v[2:3], v[4:5], off
.LBB118_2839:
	s_mov_b32 s2, 0
.LBB118_2840:
	s_delay_alu instid0(SALU_CYCLE_1)
	s_and_not1_b32 vcc_lo, exec_lo, s2
	s_cbranch_vccnz .LBB118_2842
; %bb.2841:
	s_wait_xcnt 0x0
	v_cndmask_b32_e64 v1, 0, 1.0, s1
	s_delay_alu instid0(VALU_DEP_1) | instskip(NEXT) | instid1(VALU_DEP_1)
	v_cvt_f16_f32_e32 v1, v1
	v_and_b32_e32 v1, 0xffff, v1
	global_store_b32 v[2:3], v1, off
.LBB118_2842:
	s_mov_b32 s2, 0
.LBB118_2843:
	s_delay_alu instid0(SALU_CYCLE_1)
	s_and_not1_b32 vcc_lo, exec_lo, s2
	s_cbranch_vccnz .LBB118_2852
; %bb.2844:
	s_cmp_lt_i32 s0, 6
	s_mov_b32 s2, -1
	s_cbranch_scc1 .LBB118_2850
; %bb.2845:
	s_cmp_gt_i32 s0, 6
	s_cbranch_scc0 .LBB118_2847
; %bb.2846:
	s_wait_xcnt 0x0
	v_cndmask_b32_e64 v1, 0, 1, s1
	s_mov_b32 s2, 0
	s_delay_alu instid0(VALU_DEP_1)
	v_cvt_f64_u32_e32 v[4:5], v1
	global_store_b64 v[2:3], v[4:5], off
.LBB118_2847:
	s_and_not1_b32 vcc_lo, exec_lo, s2
	s_cbranch_vccnz .LBB118_2849
; %bb.2848:
	s_wait_xcnt 0x0
	v_cndmask_b32_e64 v1, 0, 1.0, s1
	global_store_b32 v[2:3], v1, off
.LBB118_2849:
	s_mov_b32 s2, 0
.LBB118_2850:
	s_delay_alu instid0(SALU_CYCLE_1)
	s_and_not1_b32 vcc_lo, exec_lo, s2
	s_cbranch_vccnz .LBB118_2852
; %bb.2851:
	s_wait_xcnt 0x0
	v_cndmask_b32_e64 v1, 0, 1.0, s1
	s_delay_alu instid0(VALU_DEP_1)
	v_cvt_f16_f32_e32 v1, v1
	global_store_b16 v[2:3], v1, off
.LBB118_2852:
	s_mov_b32 s2, 0
.LBB118_2853:
	s_delay_alu instid0(SALU_CYCLE_1)
	s_and_not1_b32 vcc_lo, exec_lo, s2
	s_cbranch_vccnz .LBB118_2869
; %bb.2854:
	s_cmp_lt_i32 s0, 2
	s_mov_b32 s2, -1
	s_cbranch_scc1 .LBB118_2864
; %bb.2855:
	s_cmp_lt_i32 s0, 3
	s_cbranch_scc1 .LBB118_2861
; %bb.2856:
	s_cmp_gt_i32 s0, 3
	s_cbranch_scc0 .LBB118_2858
; %bb.2857:
	s_mov_b32 s2, 0
	s_wait_xcnt 0x0
	v_cndmask_b32_e64 v4, 0, 1, s1
	v_mov_b32_e32 v5, s2
	global_store_b64 v[2:3], v[4:5], off
.LBB118_2858:
	s_and_not1_b32 vcc_lo, exec_lo, s2
	s_cbranch_vccnz .LBB118_2860
; %bb.2859:
	s_wait_xcnt 0x0
	v_cndmask_b32_e64 v1, 0, 1, s1
	global_store_b32 v[2:3], v1, off
.LBB118_2860:
	s_mov_b32 s2, 0
.LBB118_2861:
	s_delay_alu instid0(SALU_CYCLE_1)
	s_and_not1_b32 vcc_lo, exec_lo, s2
	s_cbranch_vccnz .LBB118_2863
; %bb.2862:
	s_wait_xcnt 0x0
	v_cndmask_b32_e64 v1, 0, 1, s1
	global_store_b16 v[2:3], v1, off
.LBB118_2863:
	s_mov_b32 s2, 0
.LBB118_2864:
	s_delay_alu instid0(SALU_CYCLE_1)
	s_and_not1_b32 vcc_lo, exec_lo, s2
	s_cbranch_vccnz .LBB118_2869
; %bb.2865:
	s_wait_xcnt 0x0
	v_cndmask_b32_e64 v1, 0, 1, s1
	s_cmp_gt_i32 s0, 0
	s_mov_b32 s0, -1
	s_cbranch_scc0 .LBB118_2867
; %bb.2866:
	s_mov_b32 s0, 0
	global_store_b8 v[2:3], v1, off
.LBB118_2867:
	s_and_not1_b32 vcc_lo, exec_lo, s0
	s_cbranch_vccnz .LBB118_2869
; %bb.2868:
	global_store_b8 v[2:3], v1, off
.LBB118_2869:
	s_mov_b32 s6, -1
.LBB118_2870:
	s_delay_alu instid0(SALU_CYCLE_1)
	s_and_not1_b32 vcc_lo, exec_lo, s6
	s_cbranch_vccnz .LBB118_3185
; %bb.2871:
	s_lshl_b32 s1, s8, 7
	s_cmp_lt_i32 s18, 11
	v_add_nc_u32_e32 v0, s1, v0
	s_wait_xcnt 0x0
	s_delay_alu instid0(VALU_DEP_1) | instskip(NEXT) | instid1(VALU_DEP_1)
	v_ashrrev_i32_e32 v1, 31, v0
	v_add_nc_u64_e32 v[2:3], s[4:5], v[0:1]
	s_cbranch_scc1 .LBB118_2949
; %bb.2872:
	s_and_b32 s2, 0xffff, s18
	s_mov_b32 s7, -1
	s_mov_b32 s3, 0
	s_cmp_gt_i32 s2, 25
	s_mov_b32 s6, 0
	s_mov_b32 s0, 0
	s_cbranch_scc0 .LBB118_2905
; %bb.2873:
	s_cmp_gt_i32 s2, 28
	s_cbranch_scc0 .LBB118_2888
; %bb.2874:
	s_cmp_gt_i32 s2, 43
	;; [unrolled: 3-line block ×3, first 2 shown]
	s_cbranch_scc0 .LBB118_2878
; %bb.2876:
	s_mov_b32 s0, -1
	s_mov_b32 s7, 0
	s_cmp_eq_u32 s2, 46
	s_cbranch_scc0 .LBB118_2878
; %bb.2877:
	v_cndmask_b32_e64 v1, 0, 1.0, s9
	s_mov_b32 s0, 0
	s_mov_b32 s6, -1
	s_delay_alu instid0(VALU_DEP_1) | instskip(NEXT) | instid1(VALU_DEP_1)
	v_bfe_u32 v4, v1, 16, 1
	v_add3_u32 v1, v1, v4, 0x7fff
	s_delay_alu instid0(VALU_DEP_1)
	v_lshrrev_b32_e32 v1, 16, v1
	global_store_b32 v[2:3], v1, off
.LBB118_2878:
	s_and_b32 vcc_lo, exec_lo, s7
	s_cbranch_vccz .LBB118_2883
; %bb.2879:
	s_cmp_eq_u32 s2, 44
	s_mov_b32 s0, -1
	s_cbranch_scc0 .LBB118_2883
; %bb.2880:
	v_cndmask_b32_e64 v5, 0, 1.0, s9
	s_mov_b32 s6, exec_lo
	s_wait_xcnt 0x0
	s_delay_alu instid0(VALU_DEP_1) | instskip(NEXT) | instid1(VALU_DEP_1)
	v_dual_mov_b32 v4, 0xff :: v_dual_lshrrev_b32 v1, 23, v5
	v_cmpx_ne_u32_e32 0xff, v1
; %bb.2881:
	v_and_b32_e32 v4, 0x400000, v5
	v_and_or_b32 v5, 0x3fffff, v5, v1
	s_delay_alu instid0(VALU_DEP_2) | instskip(NEXT) | instid1(VALU_DEP_2)
	v_cmp_ne_u32_e32 vcc_lo, 0, v4
	v_cmp_ne_u32_e64 s0, 0, v5
	s_and_b32 s0, vcc_lo, s0
	s_delay_alu instid0(SALU_CYCLE_1) | instskip(NEXT) | instid1(VALU_DEP_1)
	v_cndmask_b32_e64 v4, 0, 1, s0
	v_add_nc_u32_e32 v4, v1, v4
; %bb.2882:
	s_or_b32 exec_lo, exec_lo, s6
	s_mov_b32 s0, 0
	s_mov_b32 s6, -1
	global_store_b8 v[2:3], v4, off
.LBB118_2883:
	s_mov_b32 s7, 0
.LBB118_2884:
	s_delay_alu instid0(SALU_CYCLE_1)
	s_and_b32 vcc_lo, exec_lo, s7
	s_cbranch_vccz .LBB118_2887
; %bb.2885:
	s_cmp_eq_u32 s2, 29
	s_mov_b32 s0, -1
	s_cbranch_scc0 .LBB118_2887
; %bb.2886:
	s_mov_b32 s0, 0
	s_wait_xcnt 0x0
	v_cndmask_b32_e64 v4, 0, 1, s9
	v_mov_b32_e32 v5, s0
	s_mov_b32 s6, -1
	global_store_b64 v[2:3], v[4:5], off
.LBB118_2887:
	s_mov_b32 s7, 0
.LBB118_2888:
	s_delay_alu instid0(SALU_CYCLE_1)
	s_and_b32 vcc_lo, exec_lo, s7
	s_cbranch_vccz .LBB118_2904
; %bb.2889:
	s_cmp_lt_i32 s2, 27
	s_mov_b32 s6, -1
	s_cbranch_scc1 .LBB118_2895
; %bb.2890:
	s_cmp_gt_i32 s2, 27
	s_cbranch_scc0 .LBB118_2892
; %bb.2891:
	s_wait_xcnt 0x0
	v_cndmask_b32_e64 v1, 0, 1, s9
	s_mov_b32 s6, 0
	global_store_b32 v[2:3], v1, off
.LBB118_2892:
	s_and_not1_b32 vcc_lo, exec_lo, s6
	s_cbranch_vccnz .LBB118_2894
; %bb.2893:
	s_wait_xcnt 0x0
	v_cndmask_b32_e64 v1, 0, 1, s9
	global_store_b16 v[2:3], v1, off
.LBB118_2894:
	s_mov_b32 s6, 0
.LBB118_2895:
	s_delay_alu instid0(SALU_CYCLE_1)
	s_and_not1_b32 vcc_lo, exec_lo, s6
	s_cbranch_vccnz .LBB118_2903
; %bb.2896:
	s_wait_xcnt 0x0
	v_cndmask_b32_e64 v4, 0, 1.0, s9
	v_mov_b32_e32 v5, 0x80
	s_mov_b32 s6, exec_lo
	s_delay_alu instid0(VALU_DEP_2)
	v_cmpx_gt_u32_e32 0x43800000, v4
	s_cbranch_execz .LBB118_2902
; %bb.2897:
	s_mov_b32 s7, 0
	s_mov_b32 s8, exec_lo
                                        ; implicit-def: $vgpr1
	v_cmpx_lt_u32_e32 0x3bffffff, v4
	s_xor_b32 s8, exec_lo, s8
	s_cbranch_execz .LBB118_3192
; %bb.2898:
	v_bfe_u32 v1, v4, 20, 1
	s_mov_b32 s7, exec_lo
	s_delay_alu instid0(VALU_DEP_1) | instskip(NEXT) | instid1(VALU_DEP_1)
	v_add3_u32 v1, v4, v1, 0x487ffff
                                        ; implicit-def: $vgpr4
	v_lshrrev_b32_e32 v1, 20, v1
	s_and_not1_saveexec_b32 s8, s8
	s_cbranch_execnz .LBB118_3193
.LBB118_2899:
	s_or_b32 exec_lo, exec_lo, s8
	v_mov_b32_e32 v5, 0
	s_and_saveexec_b32 s8, s7
.LBB118_2900:
	v_mov_b32_e32 v5, v1
.LBB118_2901:
	s_or_b32 exec_lo, exec_lo, s8
.LBB118_2902:
	s_delay_alu instid0(SALU_CYCLE_1)
	s_or_b32 exec_lo, exec_lo, s6
	global_store_b8 v[2:3], v5, off
.LBB118_2903:
	s_mov_b32 s6, -1
.LBB118_2904:
	s_mov_b32 s7, 0
.LBB118_2905:
	s_delay_alu instid0(SALU_CYCLE_1)
	s_and_b32 vcc_lo, exec_lo, s7
	s_cbranch_vccz .LBB118_2945
; %bb.2906:
	s_cmp_gt_i32 s2, 22
	s_mov_b32 s3, -1
	s_cbranch_scc0 .LBB118_2938
; %bb.2907:
	s_cmp_lt_i32 s2, 24
	s_cbranch_scc1 .LBB118_2927
; %bb.2908:
	s_cmp_gt_i32 s2, 24
	s_cbranch_scc0 .LBB118_2916
; %bb.2909:
	s_wait_xcnt 0x0
	v_cndmask_b32_e64 v4, 0, 1.0, s9
	v_mov_b32_e32 v5, 0x80
	s_mov_b32 s3, exec_lo
	s_delay_alu instid0(VALU_DEP_2)
	v_cmpx_gt_u32_e32 0x47800000, v4
	s_cbranch_execz .LBB118_2915
; %bb.2910:
	s_mov_b32 s6, 0
	s_mov_b32 s7, exec_lo
                                        ; implicit-def: $vgpr1
	v_cmpx_lt_u32_e32 0x37ffffff, v4
	s_xor_b32 s7, exec_lo, s7
	s_cbranch_execz .LBB118_3195
; %bb.2911:
	v_bfe_u32 v1, v4, 21, 1
	s_mov_b32 s6, exec_lo
	s_delay_alu instid0(VALU_DEP_1) | instskip(NEXT) | instid1(VALU_DEP_1)
	v_add3_u32 v1, v4, v1, 0x88fffff
                                        ; implicit-def: $vgpr4
	v_lshrrev_b32_e32 v1, 21, v1
	s_and_not1_saveexec_b32 s7, s7
	s_cbranch_execnz .LBB118_3196
.LBB118_2912:
	s_or_b32 exec_lo, exec_lo, s7
	v_mov_b32_e32 v5, 0
	s_and_saveexec_b32 s7, s6
.LBB118_2913:
	v_mov_b32_e32 v5, v1
.LBB118_2914:
	s_or_b32 exec_lo, exec_lo, s7
.LBB118_2915:
	s_delay_alu instid0(SALU_CYCLE_1)
	s_or_b32 exec_lo, exec_lo, s3
	s_mov_b32 s3, 0
	global_store_b8 v[2:3], v5, off
.LBB118_2916:
	s_and_b32 vcc_lo, exec_lo, s3
	s_cbranch_vccz .LBB118_2926
; %bb.2917:
	s_wait_xcnt 0x0
	v_cndmask_b32_e64 v4, 0, 1.0, s9
	s_mov_b32 s3, exec_lo
                                        ; implicit-def: $vgpr1
	s_delay_alu instid0(VALU_DEP_1)
	v_cmpx_gt_u32_e32 0x43f00000, v4
	s_xor_b32 s3, exec_lo, s3
	s_cbranch_execz .LBB118_2923
; %bb.2918:
	s_mov_b32 s6, exec_lo
                                        ; implicit-def: $vgpr1
	v_cmpx_lt_u32_e32 0x3c7fffff, v4
	s_xor_b32 s6, exec_lo, s6
; %bb.2919:
	v_bfe_u32 v1, v4, 20, 1
	s_delay_alu instid0(VALU_DEP_1) | instskip(NEXT) | instid1(VALU_DEP_1)
	v_add3_u32 v1, v4, v1, 0x407ffff
	v_and_b32_e32 v4, 0xff00000, v1
	v_lshrrev_b32_e32 v1, 20, v1
	s_delay_alu instid0(VALU_DEP_2) | instskip(NEXT) | instid1(VALU_DEP_2)
	v_cmp_ne_u32_e32 vcc_lo, 0x7f00000, v4
                                        ; implicit-def: $vgpr4
	v_cndmask_b32_e32 v1, 0x7e, v1, vcc_lo
; %bb.2920:
	s_and_not1_saveexec_b32 s6, s6
; %bb.2921:
	v_add_f32_e32 v1, 0x46800000, v4
; %bb.2922:
	s_or_b32 exec_lo, exec_lo, s6
                                        ; implicit-def: $vgpr4
.LBB118_2923:
	s_and_not1_saveexec_b32 s3, s3
; %bb.2924:
	v_mov_b32_e32 v1, 0x7f
	v_cmp_lt_u32_e32 vcc_lo, 0x7f800000, v4
	s_delay_alu instid0(VALU_DEP_2)
	v_cndmask_b32_e32 v1, 0x7e, v1, vcc_lo
; %bb.2925:
	s_or_b32 exec_lo, exec_lo, s3
	global_store_b8 v[2:3], v1, off
.LBB118_2926:
	s_mov_b32 s3, 0
.LBB118_2927:
	s_delay_alu instid0(SALU_CYCLE_1)
	s_and_not1_b32 vcc_lo, exec_lo, s3
	s_cbranch_vccnz .LBB118_2937
; %bb.2928:
	s_wait_xcnt 0x0
	v_cndmask_b32_e64 v4, 0, 1.0, s9
	s_mov_b32 s3, exec_lo
                                        ; implicit-def: $vgpr1
	s_delay_alu instid0(VALU_DEP_1)
	v_cmpx_gt_u32_e32 0x47800000, v4
	s_xor_b32 s3, exec_lo, s3
	s_cbranch_execz .LBB118_2934
; %bb.2929:
	s_mov_b32 s6, exec_lo
                                        ; implicit-def: $vgpr1
	v_cmpx_lt_u32_e32 0x387fffff, v4
	s_xor_b32 s6, exec_lo, s6
; %bb.2930:
	v_bfe_u32 v1, v4, 21, 1
	s_delay_alu instid0(VALU_DEP_1) | instskip(NEXT) | instid1(VALU_DEP_1)
	v_add3_u32 v1, v4, v1, 0x80fffff
                                        ; implicit-def: $vgpr4
	v_lshrrev_b32_e32 v1, 21, v1
; %bb.2931:
	s_and_not1_saveexec_b32 s6, s6
; %bb.2932:
	v_add_f32_e32 v1, 0x43000000, v4
; %bb.2933:
	s_or_b32 exec_lo, exec_lo, s6
                                        ; implicit-def: $vgpr4
.LBB118_2934:
	s_and_not1_saveexec_b32 s3, s3
; %bb.2935:
	v_mov_b32_e32 v1, 0x7f
	v_cmp_lt_u32_e32 vcc_lo, 0x7f800000, v4
	s_delay_alu instid0(VALU_DEP_2)
	v_cndmask_b32_e32 v1, 0x7c, v1, vcc_lo
; %bb.2936:
	s_or_b32 exec_lo, exec_lo, s3
	global_store_b8 v[2:3], v1, off
.LBB118_2937:
	s_mov_b32 s3, 0
	s_mov_b32 s6, -1
.LBB118_2938:
	s_and_not1_b32 vcc_lo, exec_lo, s3
	s_mov_b32 s3, 0
	s_cbranch_vccnz .LBB118_2945
; %bb.2939:
	s_cmp_gt_i32 s2, 14
	s_mov_b32 s3, -1
	s_cbranch_scc0 .LBB118_2943
; %bb.2940:
	s_cmp_eq_u32 s2, 15
	s_mov_b32 s0, -1
	s_cbranch_scc0 .LBB118_2942
; %bb.2941:
	s_wait_xcnt 0x0
	v_cndmask_b32_e64 v1, 0, 1.0, s9
	s_mov_b32 s0, 0
	s_mov_b32 s6, -1
	s_delay_alu instid0(VALU_DEP_1) | instskip(NEXT) | instid1(VALU_DEP_1)
	v_bfe_u32 v4, v1, 16, 1
	v_add3_u32 v1, v1, v4, 0x7fff
	global_store_d16_hi_b16 v[2:3], v1, off
.LBB118_2942:
	s_mov_b32 s3, 0
.LBB118_2943:
	s_delay_alu instid0(SALU_CYCLE_1)
	s_and_b32 vcc_lo, exec_lo, s3
	s_mov_b32 s3, 0
	s_cbranch_vccz .LBB118_2945
; %bb.2944:
	s_cmp_lg_u32 s2, 11
	s_mov_b32 s3, -1
	s_cselect_b32 s0, -1, 0
.LBB118_2945:
	s_delay_alu instid0(SALU_CYCLE_1)
	s_and_b32 vcc_lo, exec_lo, s0
	s_cbranch_vccnz .LBB118_3194
; %bb.2946:
	s_and_not1_b32 vcc_lo, exec_lo, s3
	s_cbranch_vccnz .LBB118_2948
.LBB118_2947:
	s_wait_xcnt 0x0
	v_cndmask_b32_e64 v1, 0, 1, s9
	s_mov_b32 s6, -1
	global_store_b8 v[2:3], v1, off
.LBB118_2948:
	s_mov_b32 s0, 0
	s_branch .LBB118_2950
.LBB118_2949:
	s_mov_b32 s0, -1
	s_mov_b32 s6, 0
.LBB118_2950:
	s_and_b32 vcc_lo, exec_lo, s0
	s_cbranch_vccz .LBB118_2989
; %bb.2951:
	s_and_b32 s0, 0xffff, s18
	s_mov_b32 s2, -1
	s_cmp_lt_i32 s0, 5
	s_cbranch_scc1 .LBB118_2972
; %bb.2952:
	s_cmp_lt_i32 s0, 8
	s_cbranch_scc1 .LBB118_2962
; %bb.2953:
	;; [unrolled: 3-line block ×3, first 2 shown]
	s_cmp_gt_i32 s0, 9
	s_cbranch_scc0 .LBB118_2956
; %bb.2955:
	s_wait_xcnt 0x0
	v_cndmask_b32_e64 v1, 0, 1, s9
	v_mov_b32_e32 v6, 0
	s_mov_b32 s2, 0
	s_delay_alu instid0(VALU_DEP_2) | instskip(NEXT) | instid1(VALU_DEP_2)
	v_cvt_f64_u32_e32 v[4:5], v1
	v_mov_b32_e32 v7, v6
	global_store_b128 v[2:3], v[4:7], off
.LBB118_2956:
	s_and_not1_b32 vcc_lo, exec_lo, s2
	s_cbranch_vccnz .LBB118_2958
; %bb.2957:
	s_wait_xcnt 0x0
	v_cndmask_b32_e64 v4, 0, 1.0, s9
	v_mov_b32_e32 v5, 0
	global_store_b64 v[2:3], v[4:5], off
.LBB118_2958:
	s_mov_b32 s2, 0
.LBB118_2959:
	s_delay_alu instid0(SALU_CYCLE_1)
	s_and_not1_b32 vcc_lo, exec_lo, s2
	s_cbranch_vccnz .LBB118_2961
; %bb.2960:
	s_wait_xcnt 0x0
	v_cndmask_b32_e64 v1, 0, 1.0, s9
	s_delay_alu instid0(VALU_DEP_1) | instskip(NEXT) | instid1(VALU_DEP_1)
	v_cvt_f16_f32_e32 v1, v1
	v_and_b32_e32 v1, 0xffff, v1
	global_store_b32 v[2:3], v1, off
.LBB118_2961:
	s_mov_b32 s2, 0
.LBB118_2962:
	s_delay_alu instid0(SALU_CYCLE_1)
	s_and_not1_b32 vcc_lo, exec_lo, s2
	s_cbranch_vccnz .LBB118_2971
; %bb.2963:
	s_cmp_lt_i32 s0, 6
	s_mov_b32 s2, -1
	s_cbranch_scc1 .LBB118_2969
; %bb.2964:
	s_cmp_gt_i32 s0, 6
	s_cbranch_scc0 .LBB118_2966
; %bb.2965:
	s_wait_xcnt 0x0
	v_cndmask_b32_e64 v1, 0, 1, s9
	s_mov_b32 s2, 0
	s_delay_alu instid0(VALU_DEP_1)
	v_cvt_f64_u32_e32 v[4:5], v1
	global_store_b64 v[2:3], v[4:5], off
.LBB118_2966:
	s_and_not1_b32 vcc_lo, exec_lo, s2
	s_cbranch_vccnz .LBB118_2968
; %bb.2967:
	s_wait_xcnt 0x0
	v_cndmask_b32_e64 v1, 0, 1.0, s9
	global_store_b32 v[2:3], v1, off
.LBB118_2968:
	s_mov_b32 s2, 0
.LBB118_2969:
	s_delay_alu instid0(SALU_CYCLE_1)
	s_and_not1_b32 vcc_lo, exec_lo, s2
	s_cbranch_vccnz .LBB118_2971
; %bb.2970:
	s_wait_xcnt 0x0
	v_cndmask_b32_e64 v1, 0, 1.0, s9
	s_delay_alu instid0(VALU_DEP_1)
	v_cvt_f16_f32_e32 v1, v1
	global_store_b16 v[2:3], v1, off
.LBB118_2971:
	s_mov_b32 s2, 0
.LBB118_2972:
	s_delay_alu instid0(SALU_CYCLE_1)
	s_and_not1_b32 vcc_lo, exec_lo, s2
	s_cbranch_vccnz .LBB118_2988
; %bb.2973:
	s_cmp_lt_i32 s0, 2
	s_mov_b32 s2, -1
	s_cbranch_scc1 .LBB118_2983
; %bb.2974:
	s_cmp_lt_i32 s0, 3
	s_cbranch_scc1 .LBB118_2980
; %bb.2975:
	s_cmp_gt_i32 s0, 3
	s_cbranch_scc0 .LBB118_2977
; %bb.2976:
	s_mov_b32 s2, 0
	s_wait_xcnt 0x0
	v_cndmask_b32_e64 v4, 0, 1, s9
	v_mov_b32_e32 v5, s2
	global_store_b64 v[2:3], v[4:5], off
.LBB118_2977:
	s_and_not1_b32 vcc_lo, exec_lo, s2
	s_cbranch_vccnz .LBB118_2979
; %bb.2978:
	s_wait_xcnt 0x0
	v_cndmask_b32_e64 v1, 0, 1, s9
	global_store_b32 v[2:3], v1, off
.LBB118_2979:
	s_mov_b32 s2, 0
.LBB118_2980:
	s_delay_alu instid0(SALU_CYCLE_1)
	s_and_not1_b32 vcc_lo, exec_lo, s2
	s_cbranch_vccnz .LBB118_2982
; %bb.2981:
	s_wait_xcnt 0x0
	v_cndmask_b32_e64 v1, 0, 1, s9
	global_store_b16 v[2:3], v1, off
.LBB118_2982:
	s_mov_b32 s2, 0
.LBB118_2983:
	s_delay_alu instid0(SALU_CYCLE_1)
	s_and_not1_b32 vcc_lo, exec_lo, s2
	s_cbranch_vccnz .LBB118_2988
; %bb.2984:
	s_wait_xcnt 0x0
	v_cndmask_b32_e64 v1, 0, 1, s9
	s_cmp_gt_i32 s0, 0
	s_mov_b32 s0, -1
	s_cbranch_scc0 .LBB118_2986
; %bb.2985:
	s_mov_b32 s0, 0
	global_store_b8 v[2:3], v1, off
.LBB118_2986:
	s_and_not1_b32 vcc_lo, exec_lo, s0
	s_cbranch_vccnz .LBB118_2988
; %bb.2987:
	global_store_b8 v[2:3], v1, off
.LBB118_2988:
	s_mov_b32 s6, -1
.LBB118_2989:
	s_delay_alu instid0(SALU_CYCLE_1)
	s_and_not1_b32 vcc_lo, exec_lo, s6
	s_cbranch_vccnz .LBB118_3185
; %bb.2990:
	v_add_nc_u32_e32 v0, s1, v0
	s_cmp_lt_i32 s18, 11
	s_wait_xcnt 0x0
	s_delay_alu instid0(VALU_DEP_1) | instskip(NEXT) | instid1(VALU_DEP_1)
	v_ashrrev_i32_e32 v1, 31, v0
	v_add_nc_u64_e32 v[2:3], s[4:5], v[0:1]
	s_cbranch_scc1 .LBB118_3068
; %bb.2991:
	s_and_b32 s2, 0xffff, s18
	s_mov_b32 s7, -1
	s_mov_b32 s3, 0
	s_cmp_gt_i32 s2, 25
	s_mov_b32 s6, 0
	s_mov_b32 s0, 0
	s_cbranch_scc0 .LBB118_3024
; %bb.2992:
	s_cmp_gt_i32 s2, 28
	s_cbranch_scc0 .LBB118_3007
; %bb.2993:
	s_cmp_gt_i32 s2, 43
	;; [unrolled: 3-line block ×3, first 2 shown]
	s_cbranch_scc0 .LBB118_2997
; %bb.2995:
	s_mov_b32 s0, -1
	s_mov_b32 s7, 0
	s_cmp_eq_u32 s2, 46
	s_cbranch_scc0 .LBB118_2997
; %bb.2996:
	v_cndmask_b32_e64 v1, 0, 1.0, s10
	s_mov_b32 s0, 0
	s_mov_b32 s6, -1
	s_delay_alu instid0(VALU_DEP_1) | instskip(NEXT) | instid1(VALU_DEP_1)
	v_bfe_u32 v4, v1, 16, 1
	v_add3_u32 v1, v1, v4, 0x7fff
	s_delay_alu instid0(VALU_DEP_1)
	v_lshrrev_b32_e32 v1, 16, v1
	global_store_b32 v[2:3], v1, off
.LBB118_2997:
	s_and_b32 vcc_lo, exec_lo, s7
	s_cbranch_vccz .LBB118_3002
; %bb.2998:
	s_cmp_eq_u32 s2, 44
	s_mov_b32 s0, -1
	s_cbranch_scc0 .LBB118_3002
; %bb.2999:
	v_cndmask_b32_e64 v5, 0, 1.0, s10
	s_mov_b32 s6, exec_lo
	s_wait_xcnt 0x0
	s_delay_alu instid0(VALU_DEP_1) | instskip(NEXT) | instid1(VALU_DEP_1)
	v_dual_mov_b32 v4, 0xff :: v_dual_lshrrev_b32 v1, 23, v5
	v_cmpx_ne_u32_e32 0xff, v1
; %bb.3000:
	v_and_b32_e32 v4, 0x400000, v5
	v_and_or_b32 v5, 0x3fffff, v5, v1
	s_delay_alu instid0(VALU_DEP_2) | instskip(NEXT) | instid1(VALU_DEP_2)
	v_cmp_ne_u32_e32 vcc_lo, 0, v4
	v_cmp_ne_u32_e64 s0, 0, v5
	s_and_b32 s0, vcc_lo, s0
	s_delay_alu instid0(SALU_CYCLE_1) | instskip(NEXT) | instid1(VALU_DEP_1)
	v_cndmask_b32_e64 v4, 0, 1, s0
	v_add_nc_u32_e32 v4, v1, v4
; %bb.3001:
	s_or_b32 exec_lo, exec_lo, s6
	s_mov_b32 s0, 0
	s_mov_b32 s6, -1
	global_store_b8 v[2:3], v4, off
.LBB118_3002:
	s_mov_b32 s7, 0
.LBB118_3003:
	s_delay_alu instid0(SALU_CYCLE_1)
	s_and_b32 vcc_lo, exec_lo, s7
	s_cbranch_vccz .LBB118_3006
; %bb.3004:
	s_cmp_eq_u32 s2, 29
	s_mov_b32 s0, -1
	s_cbranch_scc0 .LBB118_3006
; %bb.3005:
	s_mov_b32 s0, 0
	s_wait_xcnt 0x0
	v_cndmask_b32_e64 v4, 0, 1, s10
	v_mov_b32_e32 v5, s0
	s_mov_b32 s6, -1
	global_store_b64 v[2:3], v[4:5], off
.LBB118_3006:
	s_mov_b32 s7, 0
.LBB118_3007:
	s_delay_alu instid0(SALU_CYCLE_1)
	s_and_b32 vcc_lo, exec_lo, s7
	s_cbranch_vccz .LBB118_3023
; %bb.3008:
	s_cmp_lt_i32 s2, 27
	s_mov_b32 s6, -1
	s_cbranch_scc1 .LBB118_3014
; %bb.3009:
	s_cmp_gt_i32 s2, 27
	s_cbranch_scc0 .LBB118_3011
; %bb.3010:
	s_wait_xcnt 0x0
	v_cndmask_b32_e64 v1, 0, 1, s10
	s_mov_b32 s6, 0
	global_store_b32 v[2:3], v1, off
.LBB118_3011:
	s_and_not1_b32 vcc_lo, exec_lo, s6
	s_cbranch_vccnz .LBB118_3013
; %bb.3012:
	s_wait_xcnt 0x0
	v_cndmask_b32_e64 v1, 0, 1, s10
	global_store_b16 v[2:3], v1, off
.LBB118_3013:
	s_mov_b32 s6, 0
.LBB118_3014:
	s_delay_alu instid0(SALU_CYCLE_1)
	s_and_not1_b32 vcc_lo, exec_lo, s6
	s_cbranch_vccnz .LBB118_3022
; %bb.3015:
	s_wait_xcnt 0x0
	v_cndmask_b32_e64 v4, 0, 1.0, s10
	v_mov_b32_e32 v5, 0x80
	s_mov_b32 s6, exec_lo
	s_delay_alu instid0(VALU_DEP_2)
	v_cmpx_gt_u32_e32 0x43800000, v4
	s_cbranch_execz .LBB118_3021
; %bb.3016:
	s_mov_b32 s7, 0
	s_mov_b32 s8, exec_lo
                                        ; implicit-def: $vgpr1
	v_cmpx_lt_u32_e32 0x3bffffff, v4
	s_xor_b32 s8, exec_lo, s8
	s_cbranch_execz .LBB118_3197
; %bb.3017:
	v_bfe_u32 v1, v4, 20, 1
	s_mov_b32 s7, exec_lo
	s_delay_alu instid0(VALU_DEP_1) | instskip(NEXT) | instid1(VALU_DEP_1)
	v_add3_u32 v1, v4, v1, 0x487ffff
                                        ; implicit-def: $vgpr4
	v_lshrrev_b32_e32 v1, 20, v1
	s_and_not1_saveexec_b32 s8, s8
	s_cbranch_execnz .LBB118_3198
.LBB118_3018:
	s_or_b32 exec_lo, exec_lo, s8
	v_mov_b32_e32 v5, 0
	s_and_saveexec_b32 s8, s7
.LBB118_3019:
	v_mov_b32_e32 v5, v1
.LBB118_3020:
	s_or_b32 exec_lo, exec_lo, s8
.LBB118_3021:
	s_delay_alu instid0(SALU_CYCLE_1)
	s_or_b32 exec_lo, exec_lo, s6
	global_store_b8 v[2:3], v5, off
.LBB118_3022:
	s_mov_b32 s6, -1
.LBB118_3023:
	s_mov_b32 s7, 0
.LBB118_3024:
	s_delay_alu instid0(SALU_CYCLE_1)
	s_and_b32 vcc_lo, exec_lo, s7
	s_cbranch_vccz .LBB118_3064
; %bb.3025:
	s_cmp_gt_i32 s2, 22
	s_mov_b32 s3, -1
	s_cbranch_scc0 .LBB118_3057
; %bb.3026:
	s_cmp_lt_i32 s2, 24
	s_cbranch_scc1 .LBB118_3046
; %bb.3027:
	s_cmp_gt_i32 s2, 24
	s_cbranch_scc0 .LBB118_3035
; %bb.3028:
	s_wait_xcnt 0x0
	v_cndmask_b32_e64 v4, 0, 1.0, s10
	v_mov_b32_e32 v5, 0x80
	s_mov_b32 s3, exec_lo
	s_delay_alu instid0(VALU_DEP_2)
	v_cmpx_gt_u32_e32 0x47800000, v4
	s_cbranch_execz .LBB118_3034
; %bb.3029:
	s_mov_b32 s6, 0
	s_mov_b32 s7, exec_lo
                                        ; implicit-def: $vgpr1
	v_cmpx_lt_u32_e32 0x37ffffff, v4
	s_xor_b32 s7, exec_lo, s7
	s_cbranch_execz .LBB118_3200
; %bb.3030:
	v_bfe_u32 v1, v4, 21, 1
	s_mov_b32 s6, exec_lo
	s_delay_alu instid0(VALU_DEP_1) | instskip(NEXT) | instid1(VALU_DEP_1)
	v_add3_u32 v1, v4, v1, 0x88fffff
                                        ; implicit-def: $vgpr4
	v_lshrrev_b32_e32 v1, 21, v1
	s_and_not1_saveexec_b32 s7, s7
	s_cbranch_execnz .LBB118_3201
.LBB118_3031:
	s_or_b32 exec_lo, exec_lo, s7
	v_mov_b32_e32 v5, 0
	s_and_saveexec_b32 s7, s6
.LBB118_3032:
	v_mov_b32_e32 v5, v1
.LBB118_3033:
	s_or_b32 exec_lo, exec_lo, s7
.LBB118_3034:
	s_delay_alu instid0(SALU_CYCLE_1)
	s_or_b32 exec_lo, exec_lo, s3
	s_mov_b32 s3, 0
	global_store_b8 v[2:3], v5, off
.LBB118_3035:
	s_and_b32 vcc_lo, exec_lo, s3
	s_cbranch_vccz .LBB118_3045
; %bb.3036:
	s_wait_xcnt 0x0
	v_cndmask_b32_e64 v4, 0, 1.0, s10
	s_mov_b32 s3, exec_lo
                                        ; implicit-def: $vgpr1
	s_delay_alu instid0(VALU_DEP_1)
	v_cmpx_gt_u32_e32 0x43f00000, v4
	s_xor_b32 s3, exec_lo, s3
	s_cbranch_execz .LBB118_3042
; %bb.3037:
	s_mov_b32 s6, exec_lo
                                        ; implicit-def: $vgpr1
	v_cmpx_lt_u32_e32 0x3c7fffff, v4
	s_xor_b32 s6, exec_lo, s6
; %bb.3038:
	v_bfe_u32 v1, v4, 20, 1
	s_delay_alu instid0(VALU_DEP_1) | instskip(NEXT) | instid1(VALU_DEP_1)
	v_add3_u32 v1, v4, v1, 0x407ffff
	v_and_b32_e32 v4, 0xff00000, v1
	v_lshrrev_b32_e32 v1, 20, v1
	s_delay_alu instid0(VALU_DEP_2) | instskip(NEXT) | instid1(VALU_DEP_2)
	v_cmp_ne_u32_e32 vcc_lo, 0x7f00000, v4
                                        ; implicit-def: $vgpr4
	v_cndmask_b32_e32 v1, 0x7e, v1, vcc_lo
; %bb.3039:
	s_and_not1_saveexec_b32 s6, s6
; %bb.3040:
	v_add_f32_e32 v1, 0x46800000, v4
; %bb.3041:
	s_or_b32 exec_lo, exec_lo, s6
                                        ; implicit-def: $vgpr4
.LBB118_3042:
	s_and_not1_saveexec_b32 s3, s3
; %bb.3043:
	v_mov_b32_e32 v1, 0x7f
	v_cmp_lt_u32_e32 vcc_lo, 0x7f800000, v4
	s_delay_alu instid0(VALU_DEP_2)
	v_cndmask_b32_e32 v1, 0x7e, v1, vcc_lo
; %bb.3044:
	s_or_b32 exec_lo, exec_lo, s3
	global_store_b8 v[2:3], v1, off
.LBB118_3045:
	s_mov_b32 s3, 0
.LBB118_3046:
	s_delay_alu instid0(SALU_CYCLE_1)
	s_and_not1_b32 vcc_lo, exec_lo, s3
	s_cbranch_vccnz .LBB118_3056
; %bb.3047:
	s_wait_xcnt 0x0
	v_cndmask_b32_e64 v4, 0, 1.0, s10
	s_mov_b32 s3, exec_lo
                                        ; implicit-def: $vgpr1
	s_delay_alu instid0(VALU_DEP_1)
	v_cmpx_gt_u32_e32 0x47800000, v4
	s_xor_b32 s3, exec_lo, s3
	s_cbranch_execz .LBB118_3053
; %bb.3048:
	s_mov_b32 s6, exec_lo
                                        ; implicit-def: $vgpr1
	v_cmpx_lt_u32_e32 0x387fffff, v4
	s_xor_b32 s6, exec_lo, s6
; %bb.3049:
	v_bfe_u32 v1, v4, 21, 1
	s_delay_alu instid0(VALU_DEP_1) | instskip(NEXT) | instid1(VALU_DEP_1)
	v_add3_u32 v1, v4, v1, 0x80fffff
                                        ; implicit-def: $vgpr4
	v_lshrrev_b32_e32 v1, 21, v1
; %bb.3050:
	s_and_not1_saveexec_b32 s6, s6
; %bb.3051:
	v_add_f32_e32 v1, 0x43000000, v4
; %bb.3052:
	s_or_b32 exec_lo, exec_lo, s6
                                        ; implicit-def: $vgpr4
.LBB118_3053:
	s_and_not1_saveexec_b32 s3, s3
; %bb.3054:
	v_mov_b32_e32 v1, 0x7f
	v_cmp_lt_u32_e32 vcc_lo, 0x7f800000, v4
	s_delay_alu instid0(VALU_DEP_2)
	v_cndmask_b32_e32 v1, 0x7c, v1, vcc_lo
; %bb.3055:
	s_or_b32 exec_lo, exec_lo, s3
	global_store_b8 v[2:3], v1, off
.LBB118_3056:
	s_mov_b32 s3, 0
	s_mov_b32 s6, -1
.LBB118_3057:
	s_and_not1_b32 vcc_lo, exec_lo, s3
	s_mov_b32 s3, 0
	s_cbranch_vccnz .LBB118_3064
; %bb.3058:
	s_cmp_gt_i32 s2, 14
	s_mov_b32 s3, -1
	s_cbranch_scc0 .LBB118_3062
; %bb.3059:
	s_cmp_eq_u32 s2, 15
	s_mov_b32 s0, -1
	s_cbranch_scc0 .LBB118_3061
; %bb.3060:
	s_wait_xcnt 0x0
	v_cndmask_b32_e64 v1, 0, 1.0, s10
	s_mov_b32 s0, 0
	s_mov_b32 s6, -1
	s_delay_alu instid0(VALU_DEP_1) | instskip(NEXT) | instid1(VALU_DEP_1)
	v_bfe_u32 v4, v1, 16, 1
	v_add3_u32 v1, v1, v4, 0x7fff
	global_store_d16_hi_b16 v[2:3], v1, off
.LBB118_3061:
	s_mov_b32 s3, 0
.LBB118_3062:
	s_delay_alu instid0(SALU_CYCLE_1)
	s_and_b32 vcc_lo, exec_lo, s3
	s_mov_b32 s3, 0
	s_cbranch_vccz .LBB118_3064
; %bb.3063:
	s_cmp_lg_u32 s2, 11
	s_mov_b32 s3, -1
	s_cselect_b32 s0, -1, 0
.LBB118_3064:
	s_delay_alu instid0(SALU_CYCLE_1)
	s_and_b32 vcc_lo, exec_lo, s0
	s_cbranch_vccnz .LBB118_3199
; %bb.3065:
	s_and_not1_b32 vcc_lo, exec_lo, s3
	s_cbranch_vccnz .LBB118_3067
.LBB118_3066:
	s_wait_xcnt 0x0
	v_cndmask_b32_e64 v1, 0, 1, s10
	s_mov_b32 s6, -1
	global_store_b8 v[2:3], v1, off
.LBB118_3067:
	s_mov_b32 s0, 0
	s_branch .LBB118_3069
.LBB118_3068:
	s_mov_b32 s0, -1
	s_mov_b32 s6, 0
.LBB118_3069:
	s_and_b32 vcc_lo, exec_lo, s0
	s_cbranch_vccz .LBB118_3108
; %bb.3070:
	s_and_b32 s0, 0xffff, s18
	s_mov_b32 s2, -1
	s_cmp_lt_i32 s0, 5
	s_cbranch_scc1 .LBB118_3091
; %bb.3071:
	s_cmp_lt_i32 s0, 8
	s_cbranch_scc1 .LBB118_3081
; %bb.3072:
	;; [unrolled: 3-line block ×3, first 2 shown]
	s_cmp_gt_i32 s0, 9
	s_cbranch_scc0 .LBB118_3075
; %bb.3074:
	s_wait_xcnt 0x0
	v_cndmask_b32_e64 v1, 0, 1, s10
	v_mov_b32_e32 v6, 0
	s_mov_b32 s2, 0
	s_delay_alu instid0(VALU_DEP_2) | instskip(NEXT) | instid1(VALU_DEP_2)
	v_cvt_f64_u32_e32 v[4:5], v1
	v_mov_b32_e32 v7, v6
	global_store_b128 v[2:3], v[4:7], off
.LBB118_3075:
	s_and_not1_b32 vcc_lo, exec_lo, s2
	s_cbranch_vccnz .LBB118_3077
; %bb.3076:
	s_wait_xcnt 0x0
	v_cndmask_b32_e64 v4, 0, 1.0, s10
	v_mov_b32_e32 v5, 0
	global_store_b64 v[2:3], v[4:5], off
.LBB118_3077:
	s_mov_b32 s2, 0
.LBB118_3078:
	s_delay_alu instid0(SALU_CYCLE_1)
	s_and_not1_b32 vcc_lo, exec_lo, s2
	s_cbranch_vccnz .LBB118_3080
; %bb.3079:
	s_wait_xcnt 0x0
	v_cndmask_b32_e64 v1, 0, 1.0, s10
	s_delay_alu instid0(VALU_DEP_1) | instskip(NEXT) | instid1(VALU_DEP_1)
	v_cvt_f16_f32_e32 v1, v1
	v_and_b32_e32 v1, 0xffff, v1
	global_store_b32 v[2:3], v1, off
.LBB118_3080:
	s_mov_b32 s2, 0
.LBB118_3081:
	s_delay_alu instid0(SALU_CYCLE_1)
	s_and_not1_b32 vcc_lo, exec_lo, s2
	s_cbranch_vccnz .LBB118_3090
; %bb.3082:
	s_cmp_lt_i32 s0, 6
	s_mov_b32 s2, -1
	s_cbranch_scc1 .LBB118_3088
; %bb.3083:
	s_cmp_gt_i32 s0, 6
	s_cbranch_scc0 .LBB118_3085
; %bb.3084:
	s_wait_xcnt 0x0
	v_cndmask_b32_e64 v1, 0, 1, s10
	s_mov_b32 s2, 0
	s_delay_alu instid0(VALU_DEP_1)
	v_cvt_f64_u32_e32 v[4:5], v1
	global_store_b64 v[2:3], v[4:5], off
.LBB118_3085:
	s_and_not1_b32 vcc_lo, exec_lo, s2
	s_cbranch_vccnz .LBB118_3087
; %bb.3086:
	s_wait_xcnt 0x0
	v_cndmask_b32_e64 v1, 0, 1.0, s10
	global_store_b32 v[2:3], v1, off
.LBB118_3087:
	s_mov_b32 s2, 0
.LBB118_3088:
	s_delay_alu instid0(SALU_CYCLE_1)
	s_and_not1_b32 vcc_lo, exec_lo, s2
	s_cbranch_vccnz .LBB118_3090
; %bb.3089:
	s_wait_xcnt 0x0
	v_cndmask_b32_e64 v1, 0, 1.0, s10
	s_delay_alu instid0(VALU_DEP_1)
	v_cvt_f16_f32_e32 v1, v1
	global_store_b16 v[2:3], v1, off
.LBB118_3090:
	s_mov_b32 s2, 0
.LBB118_3091:
	s_delay_alu instid0(SALU_CYCLE_1)
	s_and_not1_b32 vcc_lo, exec_lo, s2
	s_cbranch_vccnz .LBB118_3107
; %bb.3092:
	s_cmp_lt_i32 s0, 2
	s_mov_b32 s2, -1
	s_cbranch_scc1 .LBB118_3102
; %bb.3093:
	s_cmp_lt_i32 s0, 3
	s_cbranch_scc1 .LBB118_3099
; %bb.3094:
	s_cmp_gt_i32 s0, 3
	s_cbranch_scc0 .LBB118_3096
; %bb.3095:
	s_mov_b32 s2, 0
	s_wait_xcnt 0x0
	v_cndmask_b32_e64 v4, 0, 1, s10
	v_mov_b32_e32 v5, s2
	global_store_b64 v[2:3], v[4:5], off
.LBB118_3096:
	s_and_not1_b32 vcc_lo, exec_lo, s2
	s_cbranch_vccnz .LBB118_3098
; %bb.3097:
	s_wait_xcnt 0x0
	v_cndmask_b32_e64 v1, 0, 1, s10
	global_store_b32 v[2:3], v1, off
.LBB118_3098:
	s_mov_b32 s2, 0
.LBB118_3099:
	s_delay_alu instid0(SALU_CYCLE_1)
	s_and_not1_b32 vcc_lo, exec_lo, s2
	s_cbranch_vccnz .LBB118_3101
; %bb.3100:
	s_wait_xcnt 0x0
	v_cndmask_b32_e64 v1, 0, 1, s10
	global_store_b16 v[2:3], v1, off
.LBB118_3101:
	s_mov_b32 s2, 0
.LBB118_3102:
	s_delay_alu instid0(SALU_CYCLE_1)
	s_and_not1_b32 vcc_lo, exec_lo, s2
	s_cbranch_vccnz .LBB118_3107
; %bb.3103:
	s_wait_xcnt 0x0
	v_cndmask_b32_e64 v1, 0, 1, s10
	s_cmp_gt_i32 s0, 0
	s_mov_b32 s0, -1
	s_cbranch_scc0 .LBB118_3105
; %bb.3104:
	s_mov_b32 s0, 0
	global_store_b8 v[2:3], v1, off
.LBB118_3105:
	s_and_not1_b32 vcc_lo, exec_lo, s0
	s_cbranch_vccnz .LBB118_3107
; %bb.3106:
	global_store_b8 v[2:3], v1, off
.LBB118_3107:
	s_mov_b32 s6, -1
.LBB118_3108:
	s_delay_alu instid0(SALU_CYCLE_1)
	s_and_not1_b32 vcc_lo, exec_lo, s6
	s_cbranch_vccnz .LBB118_3185
; %bb.3109:
	v_add_nc_u32_e32 v0, s1, v0
	s_cmp_lt_i32 s18, 11
	s_wait_xcnt 0x0
	s_delay_alu instid0(VALU_DEP_1) | instskip(NEXT) | instid1(VALU_DEP_1)
	v_ashrrev_i32_e32 v1, 31, v0
	v_add_nc_u64_e32 v[0:1], s[4:5], v[0:1]
	s_cbranch_scc1 .LBB118_3186
; %bb.3110:
	s_and_b32 s1, 0xffff, s18
	s_mov_b32 s3, -1
	s_mov_b32 s2, 0
	s_cmp_gt_i32 s1, 25
	s_mov_b32 s0, 0
	s_cbranch_scc0 .LBB118_3143
; %bb.3111:
	s_cmp_gt_i32 s1, 28
	s_cbranch_scc0 .LBB118_3127
; %bb.3112:
	s_cmp_gt_i32 s1, 43
	;; [unrolled: 3-line block ×3, first 2 shown]
	s_cbranch_scc0 .LBB118_3117
; %bb.3114:
	s_cmp_eq_u32 s1, 46
	s_mov_b32 s0, -1
	s_cbranch_scc0 .LBB118_3116
; %bb.3115:
	v_cndmask_b32_e64 v2, 0, 1.0, s17
	s_mov_b32 s0, 0
	s_delay_alu instid0(VALU_DEP_1) | instskip(NEXT) | instid1(VALU_DEP_1)
	v_bfe_u32 v3, v2, 16, 1
	v_add3_u32 v2, v2, v3, 0x7fff
	s_delay_alu instid0(VALU_DEP_1)
	v_lshrrev_b32_e32 v2, 16, v2
	global_store_b32 v[0:1], v2, off
.LBB118_3116:
	s_mov_b32 s3, 0
.LBB118_3117:
	s_delay_alu instid0(SALU_CYCLE_1)
	s_and_b32 vcc_lo, exec_lo, s3
	s_cbranch_vccz .LBB118_3122
; %bb.3118:
	s_cmp_eq_u32 s1, 44
	s_mov_b32 s0, -1
	s_cbranch_scc0 .LBB118_3122
; %bb.3119:
	v_cndmask_b32_e64 v4, 0, 1.0, s17
	s_mov_b32 s3, exec_lo
	s_wait_xcnt 0x0
	s_delay_alu instid0(VALU_DEP_1) | instskip(NEXT) | instid1(VALU_DEP_1)
	v_dual_mov_b32 v3, 0xff :: v_dual_lshrrev_b32 v2, 23, v4
	v_cmpx_ne_u32_e32 0xff, v2
; %bb.3120:
	v_and_b32_e32 v3, 0x400000, v4
	v_and_or_b32 v4, 0x3fffff, v4, v2
	s_delay_alu instid0(VALU_DEP_2) | instskip(NEXT) | instid1(VALU_DEP_2)
	v_cmp_ne_u32_e32 vcc_lo, 0, v3
	v_cmp_ne_u32_e64 s0, 0, v4
	s_and_b32 s0, vcc_lo, s0
	s_delay_alu instid0(SALU_CYCLE_1) | instskip(NEXT) | instid1(VALU_DEP_1)
	v_cndmask_b32_e64 v3, 0, 1, s0
	v_add_nc_u32_e32 v3, v2, v3
; %bb.3121:
	s_or_b32 exec_lo, exec_lo, s3
	s_mov_b32 s0, 0
	global_store_b8 v[0:1], v3, off
.LBB118_3122:
	s_mov_b32 s3, 0
.LBB118_3123:
	s_delay_alu instid0(SALU_CYCLE_1)
	s_and_b32 vcc_lo, exec_lo, s3
	s_cbranch_vccz .LBB118_3126
; %bb.3124:
	s_cmp_eq_u32 s1, 29
	s_mov_b32 s0, -1
	s_cbranch_scc0 .LBB118_3126
; %bb.3125:
	s_mov_b32 s0, 0
	s_wait_xcnt 0x0
	v_cndmask_b32_e64 v2, 0, 1, s17
	v_mov_b32_e32 v3, s0
	global_store_b64 v[0:1], v[2:3], off
.LBB118_3126:
	s_mov_b32 s3, 0
.LBB118_3127:
	s_delay_alu instid0(SALU_CYCLE_1)
	s_and_b32 vcc_lo, exec_lo, s3
	s_cbranch_vccz .LBB118_3142
; %bb.3128:
	s_cmp_lt_i32 s1, 27
	s_mov_b32 s3, -1
	s_cbranch_scc1 .LBB118_3134
; %bb.3129:
	s_wait_xcnt 0x0
	v_cndmask_b32_e64 v2, 0, 1, s17
	s_cmp_gt_i32 s1, 27
	s_cbranch_scc0 .LBB118_3131
; %bb.3130:
	s_mov_b32 s3, 0
	global_store_b32 v[0:1], v2, off
.LBB118_3131:
	s_and_not1_b32 vcc_lo, exec_lo, s3
	s_cbranch_vccnz .LBB118_3133
; %bb.3132:
	global_store_b16 v[0:1], v2, off
.LBB118_3133:
	s_mov_b32 s3, 0
.LBB118_3134:
	s_delay_alu instid0(SALU_CYCLE_1)
	s_and_not1_b32 vcc_lo, exec_lo, s3
	s_cbranch_vccnz .LBB118_3142
; %bb.3135:
	s_wait_xcnt 0x0
	v_cndmask_b32_e64 v3, 0, 1.0, s17
	v_mov_b32_e32 v4, 0x80
	s_mov_b32 s3, exec_lo
	s_delay_alu instid0(VALU_DEP_2)
	v_cmpx_gt_u32_e32 0x43800000, v3
	s_cbranch_execz .LBB118_3141
; %bb.3136:
	s_mov_b32 s4, 0
	s_mov_b32 s5, exec_lo
                                        ; implicit-def: $vgpr2
	v_cmpx_lt_u32_e32 0x3bffffff, v3
	s_xor_b32 s5, exec_lo, s5
	s_cbranch_execz .LBB118_3202
; %bb.3137:
	v_bfe_u32 v2, v3, 20, 1
	s_mov_b32 s4, exec_lo
	s_delay_alu instid0(VALU_DEP_1) | instskip(NEXT) | instid1(VALU_DEP_1)
	v_add3_u32 v2, v3, v2, 0x487ffff
                                        ; implicit-def: $vgpr3
	v_lshrrev_b32_e32 v2, 20, v2
	s_and_not1_saveexec_b32 s5, s5
	s_cbranch_execnz .LBB118_3203
.LBB118_3138:
	s_or_b32 exec_lo, exec_lo, s5
	v_mov_b32_e32 v4, 0
	s_and_saveexec_b32 s5, s4
.LBB118_3139:
	v_mov_b32_e32 v4, v2
.LBB118_3140:
	s_or_b32 exec_lo, exec_lo, s5
.LBB118_3141:
	s_delay_alu instid0(SALU_CYCLE_1)
	s_or_b32 exec_lo, exec_lo, s3
	global_store_b8 v[0:1], v4, off
.LBB118_3142:
	s_mov_b32 s3, 0
.LBB118_3143:
	s_delay_alu instid0(SALU_CYCLE_1)
	s_and_b32 vcc_lo, exec_lo, s3
	s_cbranch_vccz .LBB118_3183
; %bb.3144:
	s_cmp_gt_i32 s1, 22
	s_mov_b32 s2, -1
	s_cbranch_scc0 .LBB118_3176
; %bb.3145:
	s_cmp_lt_i32 s1, 24
	s_cbranch_scc1 .LBB118_3165
; %bb.3146:
	s_cmp_gt_i32 s1, 24
	s_cbranch_scc0 .LBB118_3154
; %bb.3147:
	s_wait_xcnt 0x0
	v_cndmask_b32_e64 v3, 0, 1.0, s17
	v_mov_b32_e32 v4, 0x80
	s_mov_b32 s2, exec_lo
	s_delay_alu instid0(VALU_DEP_2)
	v_cmpx_gt_u32_e32 0x47800000, v3
	s_cbranch_execz .LBB118_3153
; %bb.3148:
	s_mov_b32 s3, 0
	s_mov_b32 s4, exec_lo
                                        ; implicit-def: $vgpr2
	v_cmpx_lt_u32_e32 0x37ffffff, v3
	s_xor_b32 s4, exec_lo, s4
	s_cbranch_execz .LBB118_3205
; %bb.3149:
	v_bfe_u32 v2, v3, 21, 1
	s_mov_b32 s3, exec_lo
	s_delay_alu instid0(VALU_DEP_1) | instskip(NEXT) | instid1(VALU_DEP_1)
	v_add3_u32 v2, v3, v2, 0x88fffff
                                        ; implicit-def: $vgpr3
	v_lshrrev_b32_e32 v2, 21, v2
	s_and_not1_saveexec_b32 s4, s4
	s_cbranch_execnz .LBB118_3206
.LBB118_3150:
	s_or_b32 exec_lo, exec_lo, s4
	v_mov_b32_e32 v4, 0
	s_and_saveexec_b32 s4, s3
.LBB118_3151:
	v_mov_b32_e32 v4, v2
.LBB118_3152:
	s_or_b32 exec_lo, exec_lo, s4
.LBB118_3153:
	s_delay_alu instid0(SALU_CYCLE_1)
	s_or_b32 exec_lo, exec_lo, s2
	s_mov_b32 s2, 0
	global_store_b8 v[0:1], v4, off
.LBB118_3154:
	s_and_b32 vcc_lo, exec_lo, s2
	s_cbranch_vccz .LBB118_3164
; %bb.3155:
	s_wait_xcnt 0x0
	v_cndmask_b32_e64 v3, 0, 1.0, s17
	s_mov_b32 s2, exec_lo
                                        ; implicit-def: $vgpr2
	s_delay_alu instid0(VALU_DEP_1)
	v_cmpx_gt_u32_e32 0x43f00000, v3
	s_xor_b32 s2, exec_lo, s2
	s_cbranch_execz .LBB118_3161
; %bb.3156:
	s_mov_b32 s3, exec_lo
                                        ; implicit-def: $vgpr2
	v_cmpx_lt_u32_e32 0x3c7fffff, v3
	s_xor_b32 s3, exec_lo, s3
; %bb.3157:
	v_bfe_u32 v2, v3, 20, 1
	s_delay_alu instid0(VALU_DEP_1) | instskip(NEXT) | instid1(VALU_DEP_1)
	v_add3_u32 v2, v3, v2, 0x407ffff
	v_and_b32_e32 v3, 0xff00000, v2
	v_lshrrev_b32_e32 v2, 20, v2
	s_delay_alu instid0(VALU_DEP_2) | instskip(NEXT) | instid1(VALU_DEP_2)
	v_cmp_ne_u32_e32 vcc_lo, 0x7f00000, v3
                                        ; implicit-def: $vgpr3
	v_cndmask_b32_e32 v2, 0x7e, v2, vcc_lo
; %bb.3158:
	s_and_not1_saveexec_b32 s3, s3
; %bb.3159:
	v_add_f32_e32 v2, 0x46800000, v3
; %bb.3160:
	s_or_b32 exec_lo, exec_lo, s3
                                        ; implicit-def: $vgpr3
.LBB118_3161:
	s_and_not1_saveexec_b32 s2, s2
; %bb.3162:
	v_mov_b32_e32 v2, 0x7f
	v_cmp_lt_u32_e32 vcc_lo, 0x7f800000, v3
	s_delay_alu instid0(VALU_DEP_2)
	v_cndmask_b32_e32 v2, 0x7e, v2, vcc_lo
; %bb.3163:
	s_or_b32 exec_lo, exec_lo, s2
	global_store_b8 v[0:1], v2, off
.LBB118_3164:
	s_mov_b32 s2, 0
.LBB118_3165:
	s_delay_alu instid0(SALU_CYCLE_1)
	s_and_not1_b32 vcc_lo, exec_lo, s2
	s_cbranch_vccnz .LBB118_3175
; %bb.3166:
	s_wait_xcnt 0x0
	v_cndmask_b32_e64 v3, 0, 1.0, s17
	s_mov_b32 s2, exec_lo
                                        ; implicit-def: $vgpr2
	s_delay_alu instid0(VALU_DEP_1)
	v_cmpx_gt_u32_e32 0x47800000, v3
	s_xor_b32 s2, exec_lo, s2
	s_cbranch_execz .LBB118_3172
; %bb.3167:
	s_mov_b32 s3, exec_lo
                                        ; implicit-def: $vgpr2
	v_cmpx_lt_u32_e32 0x387fffff, v3
	s_xor_b32 s3, exec_lo, s3
; %bb.3168:
	v_bfe_u32 v2, v3, 21, 1
	s_delay_alu instid0(VALU_DEP_1) | instskip(NEXT) | instid1(VALU_DEP_1)
	v_add3_u32 v2, v3, v2, 0x80fffff
                                        ; implicit-def: $vgpr3
	v_lshrrev_b32_e32 v2, 21, v2
; %bb.3169:
	s_and_not1_saveexec_b32 s3, s3
; %bb.3170:
	v_add_f32_e32 v2, 0x43000000, v3
; %bb.3171:
	s_or_b32 exec_lo, exec_lo, s3
                                        ; implicit-def: $vgpr3
.LBB118_3172:
	s_and_not1_saveexec_b32 s2, s2
; %bb.3173:
	v_mov_b32_e32 v2, 0x7f
	v_cmp_lt_u32_e32 vcc_lo, 0x7f800000, v3
	s_delay_alu instid0(VALU_DEP_2)
	v_cndmask_b32_e32 v2, 0x7c, v2, vcc_lo
; %bb.3174:
	s_or_b32 exec_lo, exec_lo, s2
	global_store_b8 v[0:1], v2, off
.LBB118_3175:
	s_mov_b32 s2, 0
.LBB118_3176:
	s_delay_alu instid0(SALU_CYCLE_1)
	s_and_not1_b32 vcc_lo, exec_lo, s2
	s_mov_b32 s2, 0
	s_cbranch_vccnz .LBB118_3183
; %bb.3177:
	s_cmp_gt_i32 s1, 14
	s_mov_b32 s2, -1
	s_cbranch_scc0 .LBB118_3181
; %bb.3178:
	s_cmp_eq_u32 s1, 15
	s_mov_b32 s0, -1
	s_cbranch_scc0 .LBB118_3180
; %bb.3179:
	s_wait_xcnt 0x0
	v_cndmask_b32_e64 v2, 0, 1.0, s17
	s_mov_b32 s0, 0
	s_delay_alu instid0(VALU_DEP_1) | instskip(NEXT) | instid1(VALU_DEP_1)
	v_bfe_u32 v3, v2, 16, 1
	v_add3_u32 v2, v2, v3, 0x7fff
	global_store_d16_hi_b16 v[0:1], v2, off
.LBB118_3180:
	s_mov_b32 s2, 0
.LBB118_3181:
	s_delay_alu instid0(SALU_CYCLE_1)
	s_and_b32 vcc_lo, exec_lo, s2
	s_mov_b32 s2, 0
	s_cbranch_vccz .LBB118_3183
; %bb.3182:
	s_cmp_lg_u32 s1, 11
	s_mov_b32 s2, -1
	s_cselect_b32 s0, -1, 0
.LBB118_3183:
	s_delay_alu instid0(SALU_CYCLE_1)
	s_and_b32 vcc_lo, exec_lo, s0
	s_cbranch_vccnz .LBB118_3204
.LBB118_3184:
	s_mov_b32 s0, 0
	s_branch .LBB118_2705
.LBB118_3185:
	s_mov_b32 s0, 0
	s_mov_b32 s2, 0
	s_branch .LBB118_2704
.LBB118_3186:
	s_mov_b32 s2, 0
	s_mov_b32 s0, -1
	s_branch .LBB118_2705
.LBB118_3187:
	s_and_not1_saveexec_b32 s11, s11
	s_cbranch_execz .LBB118_2780
.LBB118_3188:
	v_add_f32_e32 v1, 0x46000000, v4
	s_and_not1_b32 s7, s7, exec_lo
	s_delay_alu instid0(VALU_DEP_1) | instskip(NEXT) | instid1(VALU_DEP_1)
	v_and_b32_e32 v1, 0xff, v1
	v_cmp_ne_u32_e32 vcc_lo, 0, v1
	s_and_b32 s12, vcc_lo, exec_lo
	s_delay_alu instid0(SALU_CYCLE_1)
	s_or_b32 s7, s7, s12
	s_or_b32 exec_lo, exec_lo, s11
	v_mov_b32_e32 v5, 0
	s_and_saveexec_b32 s11, s7
	s_cbranch_execnz .LBB118_2781
	s_branch .LBB118_2782
.LBB118_3189:
	s_or_b32 s13, s13, exec_lo
	s_trap 2
	s_cbranch_execz .LBB118_2828
	s_branch .LBB118_2829
.LBB118_3190:
	s_and_not1_saveexec_b32 s7, s7
	s_cbranch_execz .LBB118_2793
.LBB118_3191:
	v_add_f32_e32 v1, 0x42800000, v4
	s_and_not1_b32 s6, s6, exec_lo
	s_delay_alu instid0(VALU_DEP_1) | instskip(NEXT) | instid1(VALU_DEP_1)
	v_and_b32_e32 v1, 0xff, v1
	v_cmp_ne_u32_e32 vcc_lo, 0, v1
	s_and_b32 s11, vcc_lo, exec_lo
	s_delay_alu instid0(SALU_CYCLE_1)
	s_or_b32 s6, s6, s11
	s_or_b32 exec_lo, exec_lo, s7
	v_mov_b32_e32 v5, 0
	s_and_saveexec_b32 s7, s6
	s_cbranch_execnz .LBB118_2794
	s_branch .LBB118_2795
.LBB118_3192:
	s_and_not1_saveexec_b32 s8, s8
	s_cbranch_execz .LBB118_2899
.LBB118_3193:
	v_add_f32_e32 v1, 0x46000000, v4
	s_and_not1_b32 s7, s7, exec_lo
	s_delay_alu instid0(VALU_DEP_1) | instskip(NEXT) | instid1(VALU_DEP_1)
	v_and_b32_e32 v1, 0xff, v1
	v_cmp_ne_u32_e32 vcc_lo, 0, v1
	s_and_b32 s11, vcc_lo, exec_lo
	s_delay_alu instid0(SALU_CYCLE_1)
	s_or_b32 s7, s7, s11
	s_or_b32 exec_lo, exec_lo, s8
	v_mov_b32_e32 v5, 0
	s_and_saveexec_b32 s8, s7
	s_cbranch_execnz .LBB118_2900
	s_branch .LBB118_2901
.LBB118_3194:
	s_or_b32 s13, s13, exec_lo
	s_trap 2
	s_cbranch_execz .LBB118_2947
	s_branch .LBB118_2948
.LBB118_3195:
	s_and_not1_saveexec_b32 s7, s7
	s_cbranch_execz .LBB118_2912
.LBB118_3196:
	v_add_f32_e32 v1, 0x42800000, v4
	s_and_not1_b32 s6, s6, exec_lo
	s_delay_alu instid0(VALU_DEP_1) | instskip(NEXT) | instid1(VALU_DEP_1)
	v_and_b32_e32 v1, 0xff, v1
	v_cmp_ne_u32_e32 vcc_lo, 0, v1
	s_and_b32 s8, vcc_lo, exec_lo
	s_delay_alu instid0(SALU_CYCLE_1)
	s_or_b32 s6, s6, s8
	s_or_b32 exec_lo, exec_lo, s7
	v_mov_b32_e32 v5, 0
	s_and_saveexec_b32 s7, s6
	s_cbranch_execnz .LBB118_2913
	s_branch .LBB118_2914
.LBB118_3197:
	s_and_not1_saveexec_b32 s8, s8
	s_cbranch_execz .LBB118_3018
.LBB118_3198:
	v_add_f32_e32 v1, 0x46000000, v4
	s_and_not1_b32 s7, s7, exec_lo
	s_delay_alu instid0(VALU_DEP_1) | instskip(NEXT) | instid1(VALU_DEP_1)
	v_and_b32_e32 v1, 0xff, v1
	v_cmp_ne_u32_e32 vcc_lo, 0, v1
	s_and_b32 s9, vcc_lo, exec_lo
	s_delay_alu instid0(SALU_CYCLE_1)
	s_or_b32 s7, s7, s9
	s_or_b32 exec_lo, exec_lo, s8
	v_mov_b32_e32 v5, 0
	s_and_saveexec_b32 s8, s7
	s_cbranch_execnz .LBB118_3019
	s_branch .LBB118_3020
.LBB118_3199:
	s_or_b32 s13, s13, exec_lo
	s_trap 2
	s_cbranch_execz .LBB118_3066
	s_branch .LBB118_3067
.LBB118_3200:
	s_and_not1_saveexec_b32 s7, s7
	s_cbranch_execz .LBB118_3031
.LBB118_3201:
	v_add_f32_e32 v1, 0x42800000, v4
	s_and_not1_b32 s6, s6, exec_lo
	s_delay_alu instid0(VALU_DEP_1) | instskip(NEXT) | instid1(VALU_DEP_1)
	v_and_b32_e32 v1, 0xff, v1
	v_cmp_ne_u32_e32 vcc_lo, 0, v1
	s_and_b32 s8, vcc_lo, exec_lo
	s_delay_alu instid0(SALU_CYCLE_1)
	s_or_b32 s6, s6, s8
	s_or_b32 exec_lo, exec_lo, s7
	v_mov_b32_e32 v5, 0
	s_and_saveexec_b32 s7, s6
	s_cbranch_execnz .LBB118_3032
	s_branch .LBB118_3033
.LBB118_3202:
	s_and_not1_saveexec_b32 s5, s5
	s_cbranch_execz .LBB118_3138
.LBB118_3203:
	v_add_f32_e32 v2, 0x46000000, v3
	s_and_not1_b32 s4, s4, exec_lo
	s_delay_alu instid0(VALU_DEP_1) | instskip(NEXT) | instid1(VALU_DEP_1)
	v_and_b32_e32 v2, 0xff, v2
	v_cmp_ne_u32_e32 vcc_lo, 0, v2
	s_and_b32 s6, vcc_lo, exec_lo
	s_delay_alu instid0(SALU_CYCLE_1)
	s_or_b32 s4, s4, s6
	s_or_b32 exec_lo, exec_lo, s5
	v_mov_b32_e32 v4, 0
	s_and_saveexec_b32 s5, s4
	s_cbranch_execnz .LBB118_3139
	s_branch .LBB118_3140
.LBB118_3204:
	s_mov_b32 s2, 0
	s_or_b32 s13, s13, exec_lo
	s_trap 2
	s_branch .LBB118_3184
.LBB118_3205:
	s_and_not1_saveexec_b32 s4, s4
	s_cbranch_execz .LBB118_3150
.LBB118_3206:
	v_add_f32_e32 v2, 0x42800000, v3
	s_and_not1_b32 s3, s3, exec_lo
	s_delay_alu instid0(VALU_DEP_1) | instskip(NEXT) | instid1(VALU_DEP_1)
	v_and_b32_e32 v2, 0xff, v2
	v_cmp_ne_u32_e32 vcc_lo, 0, v2
	s_and_b32 s5, vcc_lo, exec_lo
	s_delay_alu instid0(SALU_CYCLE_1)
	s_or_b32 s3, s3, s5
	s_or_b32 exec_lo, exec_lo, s4
	v_mov_b32_e32 v4, 0
	s_and_saveexec_b32 s4, s3
	s_cbranch_execnz .LBB118_3151
	s_branch .LBB118_3152
	.section	.rodata,"a",@progbits
	.p2align	6, 0x0
	.amdhsa_kernel _ZN2at6native32elementwise_kernel_manual_unrollILi128ELi4EZNS0_15gpu_kernel_implINS0_13BinaryFunctorIN3c107complexIdEES6_bNS0_12_GLOBAL__N_116CompareEqFunctorIS6_EEEEEEvRNS_18TensorIteratorBaseERKT_EUlibE_EEviT1_
		.amdhsa_group_segment_fixed_size 0
		.amdhsa_private_segment_fixed_size 0
		.amdhsa_kernarg_size 56
		.amdhsa_user_sgpr_count 2
		.amdhsa_user_sgpr_dispatch_ptr 0
		.amdhsa_user_sgpr_queue_ptr 0
		.amdhsa_user_sgpr_kernarg_segment_ptr 1
		.amdhsa_user_sgpr_dispatch_id 0
		.amdhsa_user_sgpr_kernarg_preload_length 0
		.amdhsa_user_sgpr_kernarg_preload_offset 0
		.amdhsa_user_sgpr_private_segment_size 0
		.amdhsa_wavefront_size32 1
		.amdhsa_uses_dynamic_stack 0
		.amdhsa_enable_private_segment 0
		.amdhsa_system_sgpr_workgroup_id_x 1
		.amdhsa_system_sgpr_workgroup_id_y 0
		.amdhsa_system_sgpr_workgroup_id_z 0
		.amdhsa_system_sgpr_workgroup_info 0
		.amdhsa_system_vgpr_workitem_id 0
		.amdhsa_next_free_vgpr 15
		.amdhsa_next_free_sgpr 37
		.amdhsa_named_barrier_count 0
		.amdhsa_reserve_vcc 1
		.amdhsa_float_round_mode_32 0
		.amdhsa_float_round_mode_16_64 0
		.amdhsa_float_denorm_mode_32 3
		.amdhsa_float_denorm_mode_16_64 3
		.amdhsa_fp16_overflow 0
		.amdhsa_memory_ordered 1
		.amdhsa_forward_progress 1
		.amdhsa_inst_pref_size 255
		.amdhsa_round_robin_scheduling 0
		.amdhsa_exception_fp_ieee_invalid_op 0
		.amdhsa_exception_fp_denorm_src 0
		.amdhsa_exception_fp_ieee_div_zero 0
		.amdhsa_exception_fp_ieee_overflow 0
		.amdhsa_exception_fp_ieee_underflow 0
		.amdhsa_exception_fp_ieee_inexact 0
		.amdhsa_exception_int_div_zero 0
	.end_amdhsa_kernel
	.section	.text._ZN2at6native32elementwise_kernel_manual_unrollILi128ELi4EZNS0_15gpu_kernel_implINS0_13BinaryFunctorIN3c107complexIdEES6_bNS0_12_GLOBAL__N_116CompareEqFunctorIS6_EEEEEEvRNS_18TensorIteratorBaseERKT_EUlibE_EEviT1_,"axG",@progbits,_ZN2at6native32elementwise_kernel_manual_unrollILi128ELi4EZNS0_15gpu_kernel_implINS0_13BinaryFunctorIN3c107complexIdEES6_bNS0_12_GLOBAL__N_116CompareEqFunctorIS6_EEEEEEvRNS_18TensorIteratorBaseERKT_EUlibE_EEviT1_,comdat
.Lfunc_end118:
	.size	_ZN2at6native32elementwise_kernel_manual_unrollILi128ELi4EZNS0_15gpu_kernel_implINS0_13BinaryFunctorIN3c107complexIdEES6_bNS0_12_GLOBAL__N_116CompareEqFunctorIS6_EEEEEEvRNS_18TensorIteratorBaseERKT_EUlibE_EEviT1_, .Lfunc_end118-_ZN2at6native32elementwise_kernel_manual_unrollILi128ELi4EZNS0_15gpu_kernel_implINS0_13BinaryFunctorIN3c107complexIdEES6_bNS0_12_GLOBAL__N_116CompareEqFunctorIS6_EEEEEEvRNS_18TensorIteratorBaseERKT_EUlibE_EEviT1_
                                        ; -- End function
	.set _ZN2at6native32elementwise_kernel_manual_unrollILi128ELi4EZNS0_15gpu_kernel_implINS0_13BinaryFunctorIN3c107complexIdEES6_bNS0_12_GLOBAL__N_116CompareEqFunctorIS6_EEEEEEvRNS_18TensorIteratorBaseERKT_EUlibE_EEviT1_.num_vgpr, 15
	.set _ZN2at6native32elementwise_kernel_manual_unrollILi128ELi4EZNS0_15gpu_kernel_implINS0_13BinaryFunctorIN3c107complexIdEES6_bNS0_12_GLOBAL__N_116CompareEqFunctorIS6_EEEEEEvRNS_18TensorIteratorBaseERKT_EUlibE_EEviT1_.num_agpr, 0
	.set _ZN2at6native32elementwise_kernel_manual_unrollILi128ELi4EZNS0_15gpu_kernel_implINS0_13BinaryFunctorIN3c107complexIdEES6_bNS0_12_GLOBAL__N_116CompareEqFunctorIS6_EEEEEEvRNS_18TensorIteratorBaseERKT_EUlibE_EEviT1_.numbered_sgpr, 37
	.set _ZN2at6native32elementwise_kernel_manual_unrollILi128ELi4EZNS0_15gpu_kernel_implINS0_13BinaryFunctorIN3c107complexIdEES6_bNS0_12_GLOBAL__N_116CompareEqFunctorIS6_EEEEEEvRNS_18TensorIteratorBaseERKT_EUlibE_EEviT1_.num_named_barrier, 0
	.set _ZN2at6native32elementwise_kernel_manual_unrollILi128ELi4EZNS0_15gpu_kernel_implINS0_13BinaryFunctorIN3c107complexIdEES6_bNS0_12_GLOBAL__N_116CompareEqFunctorIS6_EEEEEEvRNS_18TensorIteratorBaseERKT_EUlibE_EEviT1_.private_seg_size, 0
	.set _ZN2at6native32elementwise_kernel_manual_unrollILi128ELi4EZNS0_15gpu_kernel_implINS0_13BinaryFunctorIN3c107complexIdEES6_bNS0_12_GLOBAL__N_116CompareEqFunctorIS6_EEEEEEvRNS_18TensorIteratorBaseERKT_EUlibE_EEviT1_.uses_vcc, 1
	.set _ZN2at6native32elementwise_kernel_manual_unrollILi128ELi4EZNS0_15gpu_kernel_implINS0_13BinaryFunctorIN3c107complexIdEES6_bNS0_12_GLOBAL__N_116CompareEqFunctorIS6_EEEEEEvRNS_18TensorIteratorBaseERKT_EUlibE_EEviT1_.uses_flat_scratch, 0
	.set _ZN2at6native32elementwise_kernel_manual_unrollILi128ELi4EZNS0_15gpu_kernel_implINS0_13BinaryFunctorIN3c107complexIdEES6_bNS0_12_GLOBAL__N_116CompareEqFunctorIS6_EEEEEEvRNS_18TensorIteratorBaseERKT_EUlibE_EEviT1_.has_dyn_sized_stack, 0
	.set _ZN2at6native32elementwise_kernel_manual_unrollILi128ELi4EZNS0_15gpu_kernel_implINS0_13BinaryFunctorIN3c107complexIdEES6_bNS0_12_GLOBAL__N_116CompareEqFunctorIS6_EEEEEEvRNS_18TensorIteratorBaseERKT_EUlibE_EEviT1_.has_recursion, 0
	.set _ZN2at6native32elementwise_kernel_manual_unrollILi128ELi4EZNS0_15gpu_kernel_implINS0_13BinaryFunctorIN3c107complexIdEES6_bNS0_12_GLOBAL__N_116CompareEqFunctorIS6_EEEEEEvRNS_18TensorIteratorBaseERKT_EUlibE_EEviT1_.has_indirect_call, 0
	.section	.AMDGPU.csdata,"",@progbits
; Kernel info:
; codeLenInByte = 56652
; TotalNumSgprs: 39
; NumVgprs: 15
; ScratchSize: 0
; MemoryBound: 1
; FloatMode: 240
; IeeeMode: 1
; LDSByteSize: 0 bytes/workgroup (compile time only)
; SGPRBlocks: 0
; VGPRBlocks: 0
; NumSGPRsForWavesPerEU: 39
; NumVGPRsForWavesPerEU: 15
; NamedBarCnt: 0
; Occupancy: 16
; WaveLimiterHint : 0
; COMPUTE_PGM_RSRC2:SCRATCH_EN: 0
; COMPUTE_PGM_RSRC2:USER_SGPR: 2
; COMPUTE_PGM_RSRC2:TRAP_HANDLER: 0
; COMPUTE_PGM_RSRC2:TGID_X_EN: 1
; COMPUTE_PGM_RSRC2:TGID_Y_EN: 0
; COMPUTE_PGM_RSRC2:TGID_Z_EN: 0
; COMPUTE_PGM_RSRC2:TIDIG_COMP_CNT: 0
	.section	.text._ZN2at6native32elementwise_kernel_manual_unrollILi128ELi4EZNS0_15gpu_kernel_implINS0_13BinaryFunctorIN3c107complexIdEES6_bNS0_12_GLOBAL__N_116CompareEqFunctorIS6_EEEEEEvRNS_18TensorIteratorBaseERKT_EUlibE0_EEviT1_,"axG",@progbits,_ZN2at6native32elementwise_kernel_manual_unrollILi128ELi4EZNS0_15gpu_kernel_implINS0_13BinaryFunctorIN3c107complexIdEES6_bNS0_12_GLOBAL__N_116CompareEqFunctorIS6_EEEEEEvRNS_18TensorIteratorBaseERKT_EUlibE0_EEviT1_,comdat
	.globl	_ZN2at6native32elementwise_kernel_manual_unrollILi128ELi4EZNS0_15gpu_kernel_implINS0_13BinaryFunctorIN3c107complexIdEES6_bNS0_12_GLOBAL__N_116CompareEqFunctorIS6_EEEEEEvRNS_18TensorIteratorBaseERKT_EUlibE0_EEviT1_ ; -- Begin function _ZN2at6native32elementwise_kernel_manual_unrollILi128ELi4EZNS0_15gpu_kernel_implINS0_13BinaryFunctorIN3c107complexIdEES6_bNS0_12_GLOBAL__N_116CompareEqFunctorIS6_EEEEEEvRNS_18TensorIteratorBaseERKT_EUlibE0_EEviT1_
	.p2align	8
	.type	_ZN2at6native32elementwise_kernel_manual_unrollILi128ELi4EZNS0_15gpu_kernel_implINS0_13BinaryFunctorIN3c107complexIdEES6_bNS0_12_GLOBAL__N_116CompareEqFunctorIS6_EEEEEEvRNS_18TensorIteratorBaseERKT_EUlibE0_EEviT1_,@function
_ZN2at6native32elementwise_kernel_manual_unrollILi128ELi4EZNS0_15gpu_kernel_implINS0_13BinaryFunctorIN3c107complexIdEES6_bNS0_12_GLOBAL__N_116CompareEqFunctorIS6_EEEEEEvRNS_18TensorIteratorBaseERKT_EUlibE0_EEviT1_: ; @_ZN2at6native32elementwise_kernel_manual_unrollILi128ELi4EZNS0_15gpu_kernel_implINS0_13BinaryFunctorIN3c107complexIdEES6_bNS0_12_GLOBAL__N_116CompareEqFunctorIS6_EEEEEEvRNS_18TensorIteratorBaseERKT_EUlibE0_EEviT1_
; %bb.0:
	s_clause 0x1
	s_load_b32 s28, s[0:1], 0x8
	s_load_b32 s37, s[0:1], 0x0
	s_bfe_u32 s2, ttmp6, 0x4000c
	s_and_b32 s3, ttmp6, 15
	s_add_co_i32 s2, s2, 1
	s_getreg_b32 s4, hwreg(HW_REG_IB_STS2, 6, 4)
	s_mul_i32 s2, ttmp9, s2
	s_mov_b32 s30, 0
	s_add_co_i32 s3, s3, s2
	s_cmp_eq_u32 s4, 0
	s_mov_b32 s43, -1
	s_cselect_b32 s2, ttmp9, s3
	s_mov_b32 s10, 0
	v_lshl_or_b32 v8, s2, 9, v0
	s_add_nc_u64 s[2:3], s[0:1], 8
	s_wait_xcnt 0x0
	s_mov_b32 s0, exec_lo
	s_delay_alu instid0(VALU_DEP_1) | instskip(SKIP_2) | instid1(SALU_CYCLE_1)
	v_or_b32_e32 v2, 0x180, v8
	s_wait_kmcnt 0x0
	s_add_co_i32 s29, s28, -1
	s_cmp_gt_u32 s29, 1
	s_cselect_b32 s31, -1, 0
	v_cmpx_le_i32_e64 s37, v2
	s_xor_b32 s33, exec_lo, s0
	s_cbranch_execz .LBB119_1650
; %bb.1:
	s_clause 0x4
	s_load_b128 s[12:15], s[2:3], 0x4
	s_load_b256 s[4:11], s[2:3], 0x188
	s_load_b64 s[0:1], s[2:3], 0x14
	s_load_b128 s[16:19], s[2:3], 0xc4
	s_load_b64 s[22:23], s[2:3], 0xd4
	s_cmp_lg_u32 s28, 0
	s_mov_b32 s21, 0
	s_cselect_b32 s38, -1, 0
	s_min_u32 s36, s29, 15
	s_cmp_gt_u32 s28, 1
	s_mov_b32 s25, s21
	s_cselect_b32 s35, -1, 0
	s_mov_b32 s41, s21
	s_mov_b32 s40, s21
	;; [unrolled: 1-line block ×3, first 2 shown]
	s_mov_b32 s42, exec_lo
	s_wait_kmcnt 0x0
	s_mov_b32 s20, s13
	s_lshr_b32 s34, s11, 8
	s_lshr_b32 s13, s11, 16
	s_cmp_lg_u32 s10, 0
	s_mov_b32 s24, s0
	s_cselect_b32 s10, -1, 0
	v_cmpx_gt_i32_e64 s37, v8
	s_cbranch_execz .LBB119_406
; %bb.2:
	s_and_not1_b32 vcc_lo, exec_lo, s31
	s_cbranch_vccnz .LBB119_8
; %bb.3:
	s_and_not1_b32 vcc_lo, exec_lo, s38
	s_cbranch_vccnz .LBB119_9
; %bb.4:
	v_dual_mov_b32 v10, 0 :: v_dual_mov_b32 v1, v8
	v_dual_mov_b32 v0, 0 :: v_dual_mov_b32 v4, 0
	s_add_co_i32 s0, s36, 1
	s_mov_b64 s[26:27], 0xffffffffffffffe8
	s_and_b32 s0, s0, 30
	s_add_nc_u64 s[26:27], s[2:3], s[26:27]
.LBB119_5:                              ; =>This Inner Loop Header: Depth=1
	s_clause 0x1
	s_load_b128 s[44:47], s[26:27], 0x1c
	s_load_b64 s[40:41], s[26:27], 0x2c
	s_add_co_i32 s0, s0, -2
	s_delay_alu instid0(SALU_CYCLE_1) | instskip(SKIP_2) | instid1(VALU_DEP_1)
	s_cmp_lg_u32 s0, 0
	s_wait_kmcnt 0x0
	v_mul_hi_u32 v2, s45, v1
	v_add_nc_u32_e32 v2, v1, v2
	s_delay_alu instid0(VALU_DEP_1) | instskip(NEXT) | instid1(VALU_DEP_1)
	v_lshrrev_b32_e32 v2, s46, v2
	v_mul_hi_u32 v3, s40, v2
	v_mul_lo_u32 v5, v2, s44
	s_clause 0x1
	s_load_b128 s[48:51], s[26:27], 0xdc
	s_load_b64 s[44:45], s[26:27], 0xec
	s_wait_xcnt 0x0
	s_add_nc_u64 s[26:27], s[26:27], 24
	s_delay_alu instid0(VALU_DEP_1) | instskip(NEXT) | instid1(VALU_DEP_1)
	v_dual_add_nc_u32 v3, v2, v3 :: v_dual_sub_nc_u32 v5, v1, v5
	v_lshrrev_b32_e32 v1, s41, v3
	s_wait_kmcnt 0x0
	s_delay_alu instid0(VALU_DEP_2) | instskip(NEXT) | instid1(VALU_DEP_2)
	v_mad_u32 v6, v5, s48, v10
	v_mul_lo_u32 v3, v1, s47
	v_mad_u32 v4, v5, s50, v4
	v_mad_u32 v0, v5, s49, v0
	s_delay_alu instid0(VALU_DEP_3) | instskip(NEXT) | instid1(VALU_DEP_1)
	v_sub_nc_u32_e32 v2, v2, v3
	v_mad_u32 v10, v2, s51, v6
	s_delay_alu instid0(VALU_DEP_4) | instskip(NEXT) | instid1(VALU_DEP_4)
	v_mad_u32 v4, v2, s45, v4
	v_mad_u32 v0, v2, s44, v0
	s_cbranch_scc1 .LBB119_5
; %bb.6:
	s_bitcmp1_b32 s36, 0
	s_cselect_b32 s0, -1, 0
	s_delay_alu instid0(SALU_CYCLE_1)
	s_and_b32 vcc_lo, exec_lo, s0
	s_cbranch_vccnz .LBB119_10
; %bb.7:
	s_clause 0x1
	s_load_b96 s[44:46], s[26:27], 0x1c
	s_load_b96 s[48:50], s[26:27], 0xdc
	s_wait_kmcnt 0x0
	v_mul_hi_u32 v2, s45, v1
	s_delay_alu instid0(VALU_DEP_1) | instskip(NEXT) | instid1(VALU_DEP_1)
	v_add_nc_u32_e32 v2, v1, v2
	v_lshrrev_b32_e32 v2, s46, v2
	s_delay_alu instid0(VALU_DEP_1) | instskip(NEXT) | instid1(VALU_DEP_1)
	v_mul_lo_u32 v2, v2, s44
	v_sub_nc_u32_e32 v1, v1, v2
	s_delay_alu instid0(VALU_DEP_1)
	v_mad_u32 v10, v1, s48, v10
	v_mad_u32 v0, v1, s49, v0
	;; [unrolled: 1-line block ×3, first 2 shown]
	s_cbranch_execz .LBB119_11
	s_branch .LBB119_13
.LBB119_8:
                                        ; implicit-def: $vgpr4
                                        ; implicit-def: $vgpr0
                                        ; implicit-def: $vgpr10
	s_branch .LBB119_11
.LBB119_9:
	v_dual_mov_b32 v4, 0 :: v_dual_mov_b32 v0, 0
	v_mov_b32_e32 v10, 0
.LBB119_10:
	s_cbranch_execnz .LBB119_13
.LBB119_11:
	v_mov_b32_e32 v9, 0
	s_and_not1_b32 vcc_lo, exec_lo, s35
	s_delay_alu instid0(VALU_DEP_1) | instskip(NEXT) | instid1(VALU_DEP_1)
	v_mul_u64_e32 v[0:1], s[20:21], v[8:9]
	v_add_nc_u32_e32 v0, v8, v1
	s_delay_alu instid0(VALU_DEP_1) | instskip(NEXT) | instid1(VALU_DEP_1)
	v_lshrrev_b32_e32 v2, s14, v0
	v_mul_lo_u32 v0, v2, s12
	s_delay_alu instid0(VALU_DEP_1) | instskip(NEXT) | instid1(VALU_DEP_1)
	v_sub_nc_u32_e32 v0, v8, v0
	v_mul_lo_u32 v10, v0, s16
	v_mul_lo_u32 v4, v0, s18
	;; [unrolled: 1-line block ×3, first 2 shown]
	s_cbranch_vccnz .LBB119_13
; %bb.12:
	v_mov_b32_e32 v3, v9
	s_delay_alu instid0(VALU_DEP_1) | instskip(NEXT) | instid1(VALU_DEP_1)
	v_mul_u64_e32 v[6:7], s[24:25], v[2:3]
	v_add_nc_u32_e32 v1, v2, v7
	s_delay_alu instid0(VALU_DEP_1) | instskip(NEXT) | instid1(VALU_DEP_1)
	v_lshrrev_b32_e32 v1, s1, v1
	v_mul_lo_u32 v1, v1, s15
	s_delay_alu instid0(VALU_DEP_1) | instskip(NEXT) | instid1(VALU_DEP_1)
	v_sub_nc_u32_e32 v1, v2, v1
	v_mad_u32 v10, v1, s19, v10
	v_mad_u32 v0, v1, s22, v0
	;; [unrolled: 1-line block ×3, first 2 shown]
.LBB119_13:
	v_mov_b32_e32 v1, 0
	s_and_b32 s0, s34, 0xff
	s_delay_alu instid0(SALU_CYCLE_1) | instskip(NEXT) | instid1(VALU_DEP_1)
	s_cmp_lt_i32 s0, 11
	v_add_nc_u64_e32 v[6:7], s[6:7], v[0:1]
	s_cbranch_scc1 .LBB119_20
; %bb.14:
	s_and_b32 s27, 0xffff, s0
	s_delay_alu instid0(SALU_CYCLE_1)
	s_cmp_gt_i32 s27, 25
	s_cbranch_scc0 .LBB119_29
; %bb.15:
	s_cmp_gt_i32 s27, 28
	s_cbranch_scc0 .LBB119_42
; %bb.16:
	;; [unrolled: 3-line block ×4, first 2 shown]
	s_cmp_eq_u32 s27, 46
	s_mov_b32 s40, 0
	s_cbranch_scc0 .LBB119_52
; %bb.19:
	global_load_b32 v0, v[6:7], off
	s_mov_b32 s39, -1
	s_mov_b32 s26, 0
	s_wait_loadcnt 0x0
	v_lshlrev_b32_e32 v1, 16, v0
	v_and_b32_e32 v2, 0xffff0000, v0
	s_delay_alu instid0(VALU_DEP_2) | instskip(NEXT) | instid1(VALU_DEP_2)
	v_cvt_f64_f32_e32 v[0:1], v1
	v_cvt_f64_f32_e32 v[2:3], v2
	s_branch .LBB119_54
.LBB119_20:
	s_mov_b32 s26, 0
	s_mov_b32 s39, 0
                                        ; implicit-def: $vgpr2_vgpr3
	s_cbranch_execnz .LBB119_122
.LBB119_21:
	s_and_not1_b32 vcc_lo, exec_lo, s39
	s_cbranch_vccnz .LBB119_171
.LBB119_22:
	v_mov_b32_e32 v5, 0
	s_and_b32 s0, s13, 0xff
	s_delay_alu instid0(SALU_CYCLE_1) | instskip(NEXT) | instid1(VALU_DEP_1)
	s_cmp_lt_i32 s0, 11
	v_add_nc_u64_e32 v[12:13], s[8:9], v[4:5]
	s_cbranch_scc1 .LBB119_30
; %bb.23:
	s_and_b32 s39, 0xffff, s0
	s_delay_alu instid0(SALU_CYCLE_1)
	s_cmp_gt_i32 s39, 25
	s_cbranch_scc0 .LBB119_43
; %bb.24:
	s_cmp_gt_i32 s39, 28
	s_cbranch_scc0 .LBB119_47
; %bb.25:
	;; [unrolled: 3-line block ×4, first 2 shown]
	s_cmp_eq_u32 s39, 46
	s_mov_b32 s41, 0
	s_cbranch_scc0 .LBB119_172
; %bb.28:
	global_load_b32 v4, v[12:13], off
	s_mov_b32 s40, -1
	s_mov_b32 s27, 0
	s_wait_loadcnt 0x0
	v_lshlrev_b32_e32 v5, 16, v4
	v_and_b32_e32 v6, 0xffff0000, v4
	s_delay_alu instid0(VALU_DEP_2) | instskip(NEXT) | instid1(VALU_DEP_2)
	v_cvt_f64_f32_e32 v[4:5], v5
	v_cvt_f64_f32_e32 v[6:7], v6
	s_branch .LBB119_174
.LBB119_29:
	s_mov_b32 s26, 0
	s_mov_b32 s39, 0
                                        ; implicit-def: $vgpr2_vgpr3
	s_cbranch_execnz .LBB119_87
	s_branch .LBB119_121
.LBB119_30:
	s_mov_b32 s27, 0
	s_mov_b32 s40, 0
                                        ; implicit-def: $vgpr6_vgpr7
	s_cbranch_execnz .LBB119_353
.LBB119_31:
	s_and_not1_b32 vcc_lo, exec_lo, s40
	s_cbranch_vccnz .LBB119_403
.LBB119_32:
	s_and_b32 vcc_lo, exec_lo, s10
	s_cbranch_vccz .LBB119_45
; %bb.33:
	s_wait_loadcnt 0x0
	s_delay_alu instid0(VALU_DEP_1) | instskip(NEXT) | instid1(VALU_DEP_2)
	v_cmp_neq_f64_e32 vcc_lo, v[0:1], v[4:5]
	v_cmp_neq_f64_e64 s0, v[2:3], v[6:7]
	s_or_b32 s39, vcc_lo, s0
	s_cbranch_execnz .LBB119_35
.LBB119_34:
	s_wait_loadcnt 0x0
	s_delay_alu instid0(VALU_DEP_1) | instskip(NEXT) | instid1(VALU_DEP_2)
	v_cmp_eq_f64_e32 vcc_lo, v[0:1], v[4:5]
	v_cmp_eq_f64_e64 s0, v[2:3], v[6:7]
	s_and_not1_b32 s39, s39, exec_lo
	s_and_b32 s0, vcc_lo, s0
	s_delay_alu instid0(SALU_CYCLE_1) | instskip(NEXT) | instid1(SALU_CYCLE_1)
	s_and_b32 s0, s0, exec_lo
	s_or_b32 s39, s39, s0
.LBB119_35:
	v_mov_b32_e32 v11, 0
	s_and_b32 s40, s11, 0xff
	s_delay_alu instid0(SALU_CYCLE_1) | instskip(SKIP_1) | instid1(VALU_DEP_1)
	s_cmp_lt_i32 s40, 11
	s_wait_loadcnt 0x0
	v_add_nc_u64_e32 v[0:1], s[4:5], v[10:11]
	s_cbranch_scc1 .LBB119_44
; %bb.36:
	s_and_b32 s41, 0xffff, s40
	s_delay_alu instid0(SALU_CYCLE_1)
	s_cmp_gt_i32 s41, 25
	s_cbranch_scc0 .LBB119_48
; %bb.37:
	s_cmp_gt_i32 s41, 28
	s_cbranch_scc0 .LBB119_51
; %bb.38:
	;; [unrolled: 3-line block ×4, first 2 shown]
	s_mov_b32 s44, 0
	s_mov_b32 s0, -1
	s_cmp_eq_u32 s41, 46
	s_mov_b32 s43, 0
	s_cbranch_scc0 .LBB119_178
; %bb.41:
	v_cndmask_b32_e64 v2, 0, 1.0, s39
	s_mov_b32 s43, -1
	s_mov_b32 s0, 0
	s_delay_alu instid0(VALU_DEP_1) | instskip(NEXT) | instid1(VALU_DEP_1)
	v_bfe_u32 v3, v2, 16, 1
	v_add3_u32 v2, v2, v3, 0x7fff
	s_delay_alu instid0(VALU_DEP_1)
	v_lshrrev_b32_e32 v2, 16, v2
	global_store_b32 v[0:1], v2, off
	s_branch .LBB119_178
.LBB119_42:
	s_mov_b32 s40, -1
	s_mov_b32 s26, 0
	s_mov_b32 s39, 0
                                        ; implicit-def: $vgpr2_vgpr3
	s_branch .LBB119_68
.LBB119_43:
	s_mov_b32 s41, -1
	s_mov_b32 s27, 0
	s_mov_b32 s40, 0
                                        ; implicit-def: $vgpr6_vgpr7
	s_branch .LBB119_316
.LBB119_44:
	s_mov_b32 s41, -1
	s_mov_b32 s0, 0
	s_mov_b32 s43, 0
	s_branch .LBB119_247
.LBB119_45:
                                        ; implicit-def: $sgpr39
	s_branch .LBB119_34
.LBB119_46:
	s_mov_b32 s40, -1
	s_mov_b32 s26, 0
	s_mov_b32 s39, 0
                                        ; implicit-def: $vgpr2_vgpr3
	s_branch .LBB119_62
.LBB119_47:
	s_mov_b32 s41, -1
	s_mov_b32 s27, 0
	s_mov_b32 s40, 0
                                        ; implicit-def: $vgpr6_vgpr7
	s_branch .LBB119_297
.LBB119_48:
	s_mov_b32 s44, -1
	s_mov_b32 s0, 0
	s_mov_b32 s43, 0
	s_branch .LBB119_205
.LBB119_49:
	s_mov_b32 s40, -1
	s_mov_b32 s26, 0
	s_branch .LBB119_53
.LBB119_50:
	s_mov_b32 s41, -1
	s_mov_b32 s27, 0
	s_mov_b32 s40, 0
                                        ; implicit-def: $vgpr6_vgpr7
	s_branch .LBB119_291
.LBB119_51:
	s_mov_b32 s44, -1
	s_mov_b32 s0, 0
	s_mov_b32 s43, 0
	s_branch .LBB119_188
.LBB119_52:
	s_mov_b32 s26, -1
.LBB119_53:
	s_mov_b32 s39, 0
                                        ; implicit-def: $vgpr2_vgpr3
.LBB119_54:
	s_and_b32 vcc_lo, exec_lo, s40
	s_cbranch_vccz .LBB119_61
; %bb.55:
	s_cmp_eq_u32 s27, 44
	s_cbranch_scc0 .LBB119_59
; %bb.56:
	global_load_u8 v2, v[6:7], off
	s_mov_b32 s26, 0
	s_mov_b32 s39, -1
	s_wait_loadcnt 0x0
	v_cmp_ne_u32_e32 vcc_lo, 0xff, v2
	v_lshlrev_b32_e32 v0, 23, v2
	s_delay_alu instid0(VALU_DEP_1) | instskip(NEXT) | instid1(VALU_DEP_1)
	v_cvt_f64_f32_e32 v[0:1], v0
	v_cndmask_b32_e32 v0, 0x20000000, v0, vcc_lo
	s_delay_alu instid0(VALU_DEP_2) | instskip(SKIP_1) | instid1(VALU_DEP_2)
	v_cndmask_b32_e32 v1, 0x7ff80000, v1, vcc_lo
	v_cmp_ne_u32_e32 vcc_lo, 0, v2
	v_cndmask_b32_e32 v1, 0x38000000, v1, vcc_lo
	s_delay_alu instid0(VALU_DEP_4)
	v_cndmask_b32_e32 v0, 0, v0, vcc_lo
	s_branch .LBB119_60
.LBB119_57:
	s_mov_b32 s41, -1
	s_mov_b32 s27, 0
	s_branch .LBB119_173
.LBB119_58:
	s_mov_b32 s44, -1
	s_mov_b32 s0, 0
	s_mov_b32 s43, 0
	s_branch .LBB119_184
.LBB119_59:
	s_mov_b32 s26, -1
                                        ; implicit-def: $vgpr0_vgpr1
.LBB119_60:
	v_mov_b64_e32 v[2:3], 0
.LBB119_61:
	s_mov_b32 s40, 0
.LBB119_62:
	s_delay_alu instid0(SALU_CYCLE_1)
	s_and_b32 vcc_lo, exec_lo, s40
	s_cbranch_vccz .LBB119_67
; %bb.63:
	s_cmp_eq_u32 s27, 29
	s_cbranch_scc0 .LBB119_65
; %bb.64:
	global_load_b64 v[0:1], v[6:7], off
	s_mov_b32 s39, -1
	s_mov_b32 s26, 0
	s_wait_loadcnt 0x0
	v_cvt_f64_u32_e32 v[2:3], v1
	v_cvt_f64_u32_e32 v[0:1], v0
	s_delay_alu instid0(VALU_DEP_2) | instskip(NEXT) | instid1(VALU_DEP_1)
	v_ldexp_f64 v[2:3], v[2:3], 32
	v_add_f64_e32 v[0:1], v[2:3], v[0:1]
	s_branch .LBB119_66
.LBB119_65:
	s_mov_b32 s26, -1
                                        ; implicit-def: $vgpr0_vgpr1
.LBB119_66:
	v_mov_b64_e32 v[2:3], 0
.LBB119_67:
	s_mov_b32 s40, 0
.LBB119_68:
	s_delay_alu instid0(SALU_CYCLE_1)
	s_and_b32 vcc_lo, exec_lo, s40
	s_cbranch_vccz .LBB119_86
; %bb.69:
	s_cmp_lt_i32 s27, 27
	s_cbranch_scc1 .LBB119_72
; %bb.70:
	s_cmp_gt_i32 s27, 27
	s_cbranch_scc0 .LBB119_73
; %bb.71:
	global_load_b32 v0, v[6:7], off
	s_mov_b32 s39, 0
	s_wait_loadcnt 0x0
	v_cvt_f64_u32_e32 v[0:1], v0
	s_branch .LBB119_74
.LBB119_72:
	s_mov_b32 s39, -1
                                        ; implicit-def: $vgpr0_vgpr1
	s_branch .LBB119_77
.LBB119_73:
	s_mov_b32 s39, -1
                                        ; implicit-def: $vgpr0_vgpr1
.LBB119_74:
	s_delay_alu instid0(SALU_CYCLE_1)
	s_and_not1_b32 vcc_lo, exec_lo, s39
	s_cbranch_vccnz .LBB119_76
; %bb.75:
	global_load_u16 v0, v[6:7], off
	s_wait_loadcnt 0x0
	v_cvt_f64_u32_e32 v[0:1], v0
.LBB119_76:
	s_mov_b32 s39, 0
.LBB119_77:
	s_delay_alu instid0(SALU_CYCLE_1)
	s_and_not1_b32 vcc_lo, exec_lo, s39
	s_cbranch_vccnz .LBB119_85
; %bb.78:
	global_load_u8 v2, v[6:7], off
	s_mov_b32 s39, 0
	s_mov_b32 s40, exec_lo
	s_wait_loadcnt 0x0
	v_cmpx_lt_i16_e32 0x7f, v2
	s_xor_b32 s40, exec_lo, s40
	s_cbranch_execz .LBB119_98
; %bb.79:
	s_mov_b32 s39, -1
	s_mov_b32 s41, exec_lo
	v_cmpx_eq_u16_e32 0x80, v2
; %bb.80:
	s_xor_b32 s39, exec_lo, -1
; %bb.81:
	s_or_b32 exec_lo, exec_lo, s41
	s_delay_alu instid0(SALU_CYCLE_1)
	s_and_b32 s39, s39, exec_lo
	s_or_saveexec_b32 s40, s40
	v_mov_b64_e32 v[0:1], 0x7ff8000020000000
	s_xor_b32 exec_lo, exec_lo, s40
	s_cbranch_execnz .LBB119_99
.LBB119_82:
	s_or_b32 exec_lo, exec_lo, s40
	s_and_saveexec_b32 s40, s39
	s_cbranch_execz .LBB119_84
.LBB119_83:
	v_and_b32_e32 v0, 0xffff, v2
	s_delay_alu instid0(VALU_DEP_1) | instskip(SKIP_1) | instid1(VALU_DEP_2)
	v_and_b32_e32 v1, 7, v0
	v_bfe_u32 v9, v0, 3, 4
	v_clz_i32_u32_e32 v3, v1
	s_delay_alu instid0(VALU_DEP_2) | instskip(NEXT) | instid1(VALU_DEP_2)
	v_cmp_eq_u32_e32 vcc_lo, 0, v9
	v_min_u32_e32 v3, 32, v3
	s_delay_alu instid0(VALU_DEP_1) | instskip(NEXT) | instid1(VALU_DEP_1)
	v_subrev_nc_u32_e32 v5, 28, v3
	v_dual_lshlrev_b32 v0, v5, v0 :: v_dual_sub_nc_u32 v3, 29, v3
	s_delay_alu instid0(VALU_DEP_1) | instskip(NEXT) | instid1(VALU_DEP_2)
	v_dual_lshlrev_b32 v2, 24, v2 :: v_dual_bitop2_b32 v0, 7, v0 bitop3:0x40
	v_cndmask_b32_e32 v3, v9, v3, vcc_lo
	s_delay_alu instid0(VALU_DEP_2) | instskip(NEXT) | instid1(VALU_DEP_3)
	v_cndmask_b32_e32 v0, v1, v0, vcc_lo
	v_and_b32_e32 v1, 0x80000000, v2
	s_delay_alu instid0(VALU_DEP_3) | instskip(NEXT) | instid1(VALU_DEP_3)
	v_lshl_add_u32 v2, v3, 23, 0x3b800000
	v_lshlrev_b32_e32 v0, 20, v0
	s_delay_alu instid0(VALU_DEP_1) | instskip(NEXT) | instid1(VALU_DEP_1)
	v_or3_b32 v0, v1, v2, v0
	v_cvt_f64_f32_e32 v[0:1], v0
.LBB119_84:
	s_or_b32 exec_lo, exec_lo, s40
.LBB119_85:
	v_mov_b64_e32 v[2:3], 0
	s_mov_b32 s39, -1
.LBB119_86:
	s_branch .LBB119_121
.LBB119_87:
	s_cmp_gt_i32 s27, 22
	s_cbranch_scc0 .LBB119_97
; %bb.88:
	s_cmp_lt_i32 s27, 24
	s_cbranch_scc1 .LBB119_100
; %bb.89:
	s_cmp_gt_i32 s27, 24
	s_cbranch_scc0 .LBB119_101
; %bb.90:
	global_load_u8 v2, v[6:7], off
	s_mov_b32 s39, 0
	s_mov_b32 s40, exec_lo
	s_wait_loadcnt 0x0
	v_cmpx_lt_i16_e32 0x7f, v2
	s_xor_b32 s40, exec_lo, s40
	s_cbranch_execz .LBB119_112
; %bb.91:
	s_mov_b32 s39, -1
	s_mov_b32 s41, exec_lo
	v_cmpx_eq_u16_e32 0x80, v2
; %bb.92:
	s_xor_b32 s39, exec_lo, -1
; %bb.93:
	s_or_b32 exec_lo, exec_lo, s41
	s_delay_alu instid0(SALU_CYCLE_1)
	s_and_b32 s39, s39, exec_lo
	s_or_saveexec_b32 s40, s40
	v_mov_b64_e32 v[0:1], 0x7ff8000020000000
	s_xor_b32 exec_lo, exec_lo, s40
	s_cbranch_execnz .LBB119_113
.LBB119_94:
	s_or_b32 exec_lo, exec_lo, s40
	s_and_saveexec_b32 s40, s39
	s_cbranch_execz .LBB119_96
.LBB119_95:
	v_and_b32_e32 v0, 0xffff, v2
	s_delay_alu instid0(VALU_DEP_1) | instskip(SKIP_1) | instid1(VALU_DEP_2)
	v_and_b32_e32 v1, 3, v0
	v_bfe_u32 v9, v0, 2, 5
	v_clz_i32_u32_e32 v3, v1
	s_delay_alu instid0(VALU_DEP_2) | instskip(NEXT) | instid1(VALU_DEP_2)
	v_cmp_eq_u32_e32 vcc_lo, 0, v9
	v_min_u32_e32 v3, 32, v3
	s_delay_alu instid0(VALU_DEP_1) | instskip(NEXT) | instid1(VALU_DEP_1)
	v_subrev_nc_u32_e32 v5, 29, v3
	v_dual_lshlrev_b32 v0, v5, v0 :: v_dual_sub_nc_u32 v3, 30, v3
	s_delay_alu instid0(VALU_DEP_1) | instskip(NEXT) | instid1(VALU_DEP_2)
	v_dual_lshlrev_b32 v2, 24, v2 :: v_dual_bitop2_b32 v0, 3, v0 bitop3:0x40
	v_cndmask_b32_e32 v3, v9, v3, vcc_lo
	s_delay_alu instid0(VALU_DEP_2) | instskip(NEXT) | instid1(VALU_DEP_3)
	v_cndmask_b32_e32 v0, v1, v0, vcc_lo
	v_and_b32_e32 v1, 0x80000000, v2
	s_delay_alu instid0(VALU_DEP_3) | instskip(NEXT) | instid1(VALU_DEP_3)
	v_lshl_add_u32 v2, v3, 23, 0x37800000
	v_lshlrev_b32_e32 v0, 21, v0
	s_delay_alu instid0(VALU_DEP_1) | instskip(NEXT) | instid1(VALU_DEP_1)
	v_or3_b32 v0, v1, v2, v0
	v_cvt_f64_f32_e32 v[0:1], v0
.LBB119_96:
	s_or_b32 exec_lo, exec_lo, s40
	s_mov_b32 s39, 0
	s_branch .LBB119_102
.LBB119_97:
                                        ; implicit-def: $vgpr0_vgpr1
	s_branch .LBB119_108
.LBB119_98:
	s_or_saveexec_b32 s40, s40
	v_mov_b64_e32 v[0:1], 0x7ff8000020000000
	s_xor_b32 exec_lo, exec_lo, s40
	s_cbranch_execz .LBB119_82
.LBB119_99:
	v_cmp_ne_u16_e32 vcc_lo, 0, v2
	v_mov_b64_e32 v[0:1], 0
	s_and_not1_b32 s39, s39, exec_lo
	s_and_b32 s41, vcc_lo, exec_lo
	s_delay_alu instid0(SALU_CYCLE_1)
	s_or_b32 s39, s39, s41
	s_or_b32 exec_lo, exec_lo, s40
	s_and_saveexec_b32 s40, s39
	s_cbranch_execnz .LBB119_83
	s_branch .LBB119_84
.LBB119_100:
	s_mov_b32 s39, -1
                                        ; implicit-def: $vgpr0_vgpr1
	s_branch .LBB119_105
.LBB119_101:
	s_mov_b32 s39, -1
                                        ; implicit-def: $vgpr0_vgpr1
.LBB119_102:
	s_delay_alu instid0(SALU_CYCLE_1)
	s_and_b32 vcc_lo, exec_lo, s39
	s_cbranch_vccz .LBB119_104
; %bb.103:
	global_load_u8 v0, v[6:7], off
	s_wait_loadcnt 0x0
	v_lshlrev_b32_e32 v0, 24, v0
	s_delay_alu instid0(VALU_DEP_1) | instskip(NEXT) | instid1(VALU_DEP_1)
	v_and_b32_e32 v1, 0x7f000000, v0
	v_clz_i32_u32_e32 v2, v1
	v_add_nc_u32_e32 v5, 0x1000000, v1
	v_cmp_ne_u32_e32 vcc_lo, 0, v1
	s_delay_alu instid0(VALU_DEP_3) | instskip(NEXT) | instid1(VALU_DEP_1)
	v_min_u32_e32 v2, 32, v2
	v_sub_nc_u32_e64 v2, v2, 4 clamp
	s_delay_alu instid0(VALU_DEP_1) | instskip(NEXT) | instid1(VALU_DEP_1)
	v_dual_lshlrev_b32 v3, v2, v1 :: v_dual_lshlrev_b32 v2, 23, v2
	v_lshrrev_b32_e32 v3, 4, v3
	s_delay_alu instid0(VALU_DEP_1) | instskip(NEXT) | instid1(VALU_DEP_1)
	v_dual_sub_nc_u32 v2, v3, v2 :: v_dual_ashrrev_i32 v3, 8, v5
	v_add_nc_u32_e32 v2, 0x3c000000, v2
	s_delay_alu instid0(VALU_DEP_1) | instskip(NEXT) | instid1(VALU_DEP_1)
	v_and_or_b32 v2, 0x7f800000, v3, v2
	v_cndmask_b32_e32 v1, 0, v2, vcc_lo
	s_delay_alu instid0(VALU_DEP_1) | instskip(NEXT) | instid1(VALU_DEP_1)
	v_and_or_b32 v0, 0x80000000, v0, v1
	v_cvt_f64_f32_e32 v[0:1], v0
.LBB119_104:
	s_mov_b32 s39, 0
.LBB119_105:
	s_delay_alu instid0(SALU_CYCLE_1)
	s_and_not1_b32 vcc_lo, exec_lo, s39
	s_cbranch_vccnz .LBB119_107
; %bb.106:
	global_load_u8 v0, v[6:7], off
	s_wait_loadcnt 0x0
	v_lshlrev_b32_e32 v1, 25, v0
	v_lshlrev_b16 v0, 8, v0
	s_delay_alu instid0(VALU_DEP_1) | instskip(SKIP_1) | instid1(VALU_DEP_2)
	v_and_or_b32 v3, 0x7f00, v0, 0.5
	v_bfe_i32 v0, v0, 0, 16
	v_dual_add_f32 v3, -0.5, v3 :: v_dual_lshrrev_b32 v2, 4, v1
	v_cmp_gt_u32_e32 vcc_lo, 0x8000000, v1
	s_delay_alu instid0(VALU_DEP_2) | instskip(NEXT) | instid1(VALU_DEP_1)
	v_or_b32_e32 v2, 0x70000000, v2
	v_mul_f32_e32 v2, 0x7800000, v2
	s_delay_alu instid0(VALU_DEP_1) | instskip(NEXT) | instid1(VALU_DEP_1)
	v_cndmask_b32_e32 v1, v2, v3, vcc_lo
	v_and_or_b32 v0, 0x80000000, v0, v1
	s_delay_alu instid0(VALU_DEP_1)
	v_cvt_f64_f32_e32 v[0:1], v0
.LBB119_107:
	s_mov_b32 s39, -1
	s_cbranch_execnz .LBB119_120
.LBB119_108:
	s_cmp_gt_i32 s27, 14
	s_cbranch_scc0 .LBB119_111
; %bb.109:
	s_cmp_eq_u32 s27, 15
	s_cbranch_scc0 .LBB119_114
; %bb.110:
	global_load_u16 v0, v[6:7], off
	s_mov_b32 s39, -1
	s_mov_b32 s26, 0
	s_wait_loadcnt 0x0
	v_lshlrev_b32_e32 v0, 16, v0
	s_delay_alu instid0(VALU_DEP_1)
	v_cvt_f64_f32_e32 v[0:1], v0
	s_branch .LBB119_115
.LBB119_111:
	s_mov_b32 s40, -1
                                        ; implicit-def: $vgpr0_vgpr1
	s_branch .LBB119_116
.LBB119_112:
	s_or_saveexec_b32 s40, s40
	v_mov_b64_e32 v[0:1], 0x7ff8000020000000
	s_xor_b32 exec_lo, exec_lo, s40
	s_cbranch_execz .LBB119_94
.LBB119_113:
	v_cmp_ne_u16_e32 vcc_lo, 0, v2
	v_mov_b64_e32 v[0:1], 0
	s_and_not1_b32 s39, s39, exec_lo
	s_and_b32 s41, vcc_lo, exec_lo
	s_delay_alu instid0(SALU_CYCLE_1)
	s_or_b32 s39, s39, s41
	s_or_b32 exec_lo, exec_lo, s40
	s_and_saveexec_b32 s40, s39
	s_cbranch_execnz .LBB119_95
	s_branch .LBB119_96
.LBB119_114:
	s_mov_b32 s26, -1
                                        ; implicit-def: $vgpr0_vgpr1
.LBB119_115:
	s_mov_b32 s40, 0
.LBB119_116:
	s_delay_alu instid0(SALU_CYCLE_1)
	s_and_b32 vcc_lo, exec_lo, s40
	s_cbranch_vccz .LBB119_120
; %bb.117:
	s_cmp_eq_u32 s27, 11
	s_cbranch_scc0 .LBB119_119
; %bb.118:
	global_load_u8 v0, v[6:7], off
	s_mov_b32 s26, 0
	s_mov_b32 s39, -1
	v_mov_b64_e32 v[2:3], 0
	s_wait_loadcnt 0x0
	v_cmp_ne_u16_e32 vcc_lo, 0, v0
	v_mov_b32_e32 v0, 0
	v_cndmask_b32_e64 v1, 0, 0x3ff00000, vcc_lo
	s_branch .LBB119_121
.LBB119_119:
	s_mov_b32 s26, -1
                                        ; implicit-def: $vgpr0_vgpr1
.LBB119_120:
	v_mov_b64_e32 v[2:3], 0
.LBB119_121:
	s_branch .LBB119_21
.LBB119_122:
	s_and_b32 s0, 0xffff, s0
	s_delay_alu instid0(SALU_CYCLE_1)
	s_cmp_lt_i32 s0, 5
	s_cbranch_scc1 .LBB119_127
; %bb.123:
	s_cmp_lt_i32 s0, 8
	s_cbranch_scc1 .LBB119_128
; %bb.124:
	;; [unrolled: 3-line block ×3, first 2 shown]
	s_cmp_gt_i32 s0, 9
	s_cbranch_scc0 .LBB119_130
; %bb.126:
	global_load_b128 v[0:3], v[6:7], off
	s_mov_b32 s27, 0
	s_branch .LBB119_131
.LBB119_127:
                                        ; implicit-def: $vgpr2_vgpr3
	s_branch .LBB119_150
.LBB119_128:
	s_mov_b32 s27, -1
                                        ; implicit-def: $vgpr2_vgpr3
	s_branch .LBB119_137
.LBB119_129:
	s_mov_b32 s27, -1
                                        ; implicit-def: $vgpr2_vgpr3
	s_branch .LBB119_134
.LBB119_130:
	s_mov_b32 s27, -1
                                        ; implicit-def: $vgpr2_vgpr3
.LBB119_131:
	s_delay_alu instid0(SALU_CYCLE_1)
	s_and_not1_b32 vcc_lo, exec_lo, s27
	s_cbranch_vccnz .LBB119_133
; %bb.132:
	s_wait_loadcnt 0x0
	global_load_b64 v[2:3], v[6:7], off
	s_wait_loadcnt 0x0
	v_cvt_f64_f32_e32 v[0:1], v2
	v_cvt_f64_f32_e32 v[2:3], v3
.LBB119_133:
	s_mov_b32 s27, 0
.LBB119_134:
	s_delay_alu instid0(SALU_CYCLE_1)
	s_and_not1_b32 vcc_lo, exec_lo, s27
	s_cbranch_vccnz .LBB119_136
; %bb.135:
	s_wait_loadcnt 0x0
	global_load_b32 v0, v[6:7], off
	s_wait_loadcnt 0x0
	v_lshrrev_b32_e32 v1, 16, v0
	v_cvt_f32_f16_e32 v0, v0
	s_delay_alu instid0(VALU_DEP_2) | instskip(NEXT) | instid1(VALU_DEP_2)
	v_cvt_f32_f16_e32 v2, v1
	v_cvt_f64_f32_e32 v[0:1], v0
	s_delay_alu instid0(VALU_DEP_2)
	v_cvt_f64_f32_e32 v[2:3], v2
.LBB119_136:
	s_mov_b32 s27, 0
.LBB119_137:
	s_delay_alu instid0(SALU_CYCLE_1)
	s_and_not1_b32 vcc_lo, exec_lo, s27
	s_cbranch_vccnz .LBB119_149
; %bb.138:
	s_cmp_lt_i32 s0, 6
	s_cbranch_scc1 .LBB119_141
; %bb.139:
	s_cmp_gt_i32 s0, 6
	s_cbranch_scc0 .LBB119_142
; %bb.140:
	s_wait_loadcnt 0x0
	global_load_b64 v[0:1], v[6:7], off
	s_mov_b32 s27, 0
	s_branch .LBB119_143
.LBB119_141:
	s_mov_b32 s27, -1
                                        ; implicit-def: $vgpr0_vgpr1
	s_branch .LBB119_146
.LBB119_142:
	s_mov_b32 s27, -1
                                        ; implicit-def: $vgpr0_vgpr1
.LBB119_143:
	s_delay_alu instid0(SALU_CYCLE_1)
	s_and_not1_b32 vcc_lo, exec_lo, s27
	s_cbranch_vccnz .LBB119_145
; %bb.144:
	s_wait_loadcnt 0x0
	global_load_b32 v0, v[6:7], off
	s_wait_loadcnt 0x0
	v_cvt_f64_f32_e32 v[0:1], v0
.LBB119_145:
	s_mov_b32 s27, 0
.LBB119_146:
	s_delay_alu instid0(SALU_CYCLE_1)
	s_and_not1_b32 vcc_lo, exec_lo, s27
	s_cbranch_vccnz .LBB119_148
; %bb.147:
	s_wait_loadcnt 0x0
	global_load_u16 v0, v[6:7], off
	s_wait_loadcnt 0x0
	v_cvt_f32_f16_e32 v0, v0
	s_delay_alu instid0(VALU_DEP_1)
	v_cvt_f64_f32_e32 v[0:1], v0
.LBB119_148:
	s_wait_loadcnt 0x0
	v_mov_b64_e32 v[2:3], 0
.LBB119_149:
	s_cbranch_execnz .LBB119_170
.LBB119_150:
	s_cmp_lt_i32 s0, 2
	s_cbranch_scc1 .LBB119_154
; %bb.151:
	s_cmp_lt_i32 s0, 3
	s_cbranch_scc1 .LBB119_155
; %bb.152:
	s_cmp_gt_i32 s0, 3
	s_cbranch_scc0 .LBB119_156
; %bb.153:
	s_wait_loadcnt 0x0
	global_load_b64 v[0:1], v[6:7], off
	s_mov_b32 s27, 0
	s_wait_loadcnt 0x0
	v_cvt_f64_i32_e32 v[2:3], v1
	v_cvt_f64_u32_e32 v[0:1], v0
	s_delay_alu instid0(VALU_DEP_2) | instskip(NEXT) | instid1(VALU_DEP_1)
	v_ldexp_f64 v[2:3], v[2:3], 32
	v_add_f64_e32 v[0:1], v[2:3], v[0:1]
	s_branch .LBB119_157
.LBB119_154:
	s_mov_b32 s27, -1
                                        ; implicit-def: $vgpr0_vgpr1
	s_branch .LBB119_163
.LBB119_155:
	s_mov_b32 s27, -1
                                        ; implicit-def: $vgpr0_vgpr1
	s_branch .LBB119_160
.LBB119_156:
	s_mov_b32 s27, -1
                                        ; implicit-def: $vgpr0_vgpr1
.LBB119_157:
	s_delay_alu instid0(SALU_CYCLE_1)
	s_and_not1_b32 vcc_lo, exec_lo, s27
	s_cbranch_vccnz .LBB119_159
; %bb.158:
	s_wait_loadcnt 0x0
	global_load_b32 v0, v[6:7], off
	s_wait_loadcnt 0x0
	v_cvt_f64_i32_e32 v[0:1], v0
.LBB119_159:
	s_mov_b32 s27, 0
.LBB119_160:
	s_delay_alu instid0(SALU_CYCLE_1)
	s_and_not1_b32 vcc_lo, exec_lo, s27
	s_cbranch_vccnz .LBB119_162
; %bb.161:
	s_wait_loadcnt 0x0
	global_load_i16 v0, v[6:7], off
	s_wait_loadcnt 0x0
	v_cvt_f64_i32_e32 v[0:1], v0
.LBB119_162:
	s_mov_b32 s27, 0
.LBB119_163:
	s_delay_alu instid0(SALU_CYCLE_1)
	s_and_not1_b32 vcc_lo, exec_lo, s27
	s_cbranch_vccnz .LBB119_169
; %bb.164:
	s_cmp_gt_i32 s0, 0
	s_mov_b32 s0, 0
	s_cbranch_scc0 .LBB119_166
; %bb.165:
	s_wait_loadcnt 0x0
	global_load_i8 v0, v[6:7], off
	s_wait_loadcnt 0x0
	v_cvt_f64_i32_e32 v[0:1], v0
	s_branch .LBB119_167
.LBB119_166:
	s_mov_b32 s0, -1
                                        ; implicit-def: $vgpr0_vgpr1
.LBB119_167:
	s_delay_alu instid0(SALU_CYCLE_1)
	s_and_not1_b32 vcc_lo, exec_lo, s0
	s_cbranch_vccnz .LBB119_169
; %bb.168:
	s_wait_loadcnt 0x0
	global_load_u8 v0, v[6:7], off
	s_wait_loadcnt 0x0
	v_cvt_f64_u32_e32 v[0:1], v0
.LBB119_169:
	s_wait_loadcnt 0x0
	v_mov_b64_e32 v[2:3], 0
.LBB119_170:
	s_branch .LBB119_22
.LBB119_171:
	s_mov_b32 s0, 0
	s_mov_b32 s27, 0
	s_branch .LBB119_404
.LBB119_172:
	s_mov_b32 s27, -1
.LBB119_173:
	s_mov_b32 s40, 0
                                        ; implicit-def: $vgpr6_vgpr7
.LBB119_174:
	s_and_b32 vcc_lo, exec_lo, s41
	s_cbranch_vccz .LBB119_290
; %bb.175:
	s_cmp_eq_u32 s39, 44
	s_cbranch_scc0 .LBB119_288
; %bb.176:
	global_load_u8 v6, v[12:13], off
	s_mov_b32 s27, 0
	s_mov_b32 s40, -1
	s_wait_loadcnt 0x0
	v_cmp_ne_u32_e32 vcc_lo, 0xff, v6
	v_lshlrev_b32_e32 v4, 23, v6
	s_delay_alu instid0(VALU_DEP_1) | instskip(NEXT) | instid1(VALU_DEP_1)
	v_cvt_f64_f32_e32 v[4:5], v4
	v_cndmask_b32_e32 v4, 0x20000000, v4, vcc_lo
	s_delay_alu instid0(VALU_DEP_2) | instskip(SKIP_1) | instid1(VALU_DEP_2)
	v_cndmask_b32_e32 v5, 0x7ff80000, v5, vcc_lo
	v_cmp_ne_u32_e32 vcc_lo, 0, v6
	v_cndmask_b32_e32 v5, 0x38000000, v5, vcc_lo
	s_delay_alu instid0(VALU_DEP_4)
	v_cndmask_b32_e32 v4, 0, v4, vcc_lo
	s_branch .LBB119_289
.LBB119_177:
	s_mov_b32 s44, -1
	s_mov_b32 s0, 0
	s_mov_b32 s43, 0
.LBB119_178:
	s_and_b32 vcc_lo, exec_lo, s44
	s_cbranch_vccz .LBB119_183
; %bb.179:
	s_cmp_eq_u32 s41, 44
	s_mov_b32 s0, -1
	s_cbranch_scc0 .LBB119_183
; %bb.180:
	v_cndmask_b32_e64 v4, 0, 1.0, s39
	s_mov_b32 s43, exec_lo
	s_wait_xcnt 0x0
	s_delay_alu instid0(VALU_DEP_1) | instskip(NEXT) | instid1(VALU_DEP_1)
	v_dual_mov_b32 v3, 0xff :: v_dual_lshrrev_b32 v2, 23, v4
	v_cmpx_ne_u32_e32 0xff, v2
; %bb.181:
	v_and_b32_e32 v3, 0x400000, v4
	v_and_or_b32 v4, 0x3fffff, v4, v2
	s_delay_alu instid0(VALU_DEP_2) | instskip(NEXT) | instid1(VALU_DEP_2)
	v_cmp_ne_u32_e32 vcc_lo, 0, v3
	v_cmp_ne_u32_e64 s0, 0, v4
	s_and_b32 s0, vcc_lo, s0
	s_delay_alu instid0(SALU_CYCLE_1) | instskip(NEXT) | instid1(VALU_DEP_1)
	v_cndmask_b32_e64 v3, 0, 1, s0
	v_add_nc_u32_e32 v3, v2, v3
; %bb.182:
	s_or_b32 exec_lo, exec_lo, s43
	s_mov_b32 s43, -1
	s_mov_b32 s0, 0
	global_store_b8 v[0:1], v3, off
.LBB119_183:
	s_mov_b32 s44, 0
.LBB119_184:
	s_delay_alu instid0(SALU_CYCLE_1)
	s_and_b32 vcc_lo, exec_lo, s44
	s_cbranch_vccz .LBB119_187
; %bb.185:
	s_cmp_eq_u32 s41, 29
	s_mov_b32 s0, -1
	s_cbranch_scc0 .LBB119_187
; %bb.186:
	s_mov_b32 s0, 0
	s_wait_xcnt 0x0
	v_cndmask_b32_e64 v2, 0, 1, s39
	v_mov_b32_e32 v3, s0
	s_mov_b32 s43, -1
	s_mov_b32 s44, 0
	global_store_b64 v[0:1], v[2:3], off
	s_branch .LBB119_188
.LBB119_187:
	s_mov_b32 s44, 0
.LBB119_188:
	s_delay_alu instid0(SALU_CYCLE_1)
	s_and_b32 vcc_lo, exec_lo, s44
	s_cbranch_vccz .LBB119_204
; %bb.189:
	s_cmp_lt_i32 s41, 27
	s_mov_b32 s43, -1
	s_cbranch_scc1 .LBB119_195
; %bb.190:
	s_cmp_gt_i32 s41, 27
	s_cbranch_scc0 .LBB119_192
; %bb.191:
	s_wait_xcnt 0x0
	v_cndmask_b32_e64 v2, 0, 1, s39
	s_mov_b32 s43, 0
	global_store_b32 v[0:1], v2, off
.LBB119_192:
	s_and_not1_b32 vcc_lo, exec_lo, s43
	s_cbranch_vccnz .LBB119_194
; %bb.193:
	s_wait_xcnt 0x0
	v_cndmask_b32_e64 v2, 0, 1, s39
	global_store_b16 v[0:1], v2, off
.LBB119_194:
	s_mov_b32 s43, 0
.LBB119_195:
	s_delay_alu instid0(SALU_CYCLE_1)
	s_and_not1_b32 vcc_lo, exec_lo, s43
	s_cbranch_vccnz .LBB119_203
; %bb.196:
	s_wait_xcnt 0x0
	v_cndmask_b32_e64 v3, 0, 1.0, s39
	v_mov_b32_e32 v4, 0x80
	s_mov_b32 s43, exec_lo
	s_delay_alu instid0(VALU_DEP_2)
	v_cmpx_gt_u32_e32 0x43800000, v3
	s_cbranch_execz .LBB119_202
; %bb.197:
	s_mov_b32 s44, 0
	s_mov_b32 s45, exec_lo
                                        ; implicit-def: $vgpr2
	v_cmpx_lt_u32_e32 0x3bffffff, v3
	s_xor_b32 s45, exec_lo, s45
	s_cbranch_execz .LBB119_446
; %bb.198:
	v_bfe_u32 v2, v3, 20, 1
	s_mov_b32 s44, exec_lo
	s_delay_alu instid0(VALU_DEP_1) | instskip(NEXT) | instid1(VALU_DEP_1)
	v_add3_u32 v2, v3, v2, 0x487ffff
                                        ; implicit-def: $vgpr3
	v_lshrrev_b32_e32 v2, 20, v2
	s_and_not1_saveexec_b32 s45, s45
	s_cbranch_execnz .LBB119_447
.LBB119_199:
	s_or_b32 exec_lo, exec_lo, s45
	v_mov_b32_e32 v4, 0
	s_and_saveexec_b32 s45, s44
.LBB119_200:
	v_mov_b32_e32 v4, v2
.LBB119_201:
	s_or_b32 exec_lo, exec_lo, s45
.LBB119_202:
	s_delay_alu instid0(SALU_CYCLE_1)
	s_or_b32 exec_lo, exec_lo, s43
	global_store_b8 v[0:1], v4, off
.LBB119_203:
	s_mov_b32 s43, -1
.LBB119_204:
	s_mov_b32 s44, 0
.LBB119_205:
	s_delay_alu instid0(SALU_CYCLE_1)
	s_and_b32 vcc_lo, exec_lo, s44
	s_cbranch_vccz .LBB119_246
; %bb.206:
	s_cmp_gt_i32 s41, 22
	s_mov_b32 s44, -1
	s_cbranch_scc0 .LBB119_238
; %bb.207:
	s_cmp_lt_i32 s41, 24
	s_mov_b32 s43, -1
	s_cbranch_scc1 .LBB119_227
; %bb.208:
	s_cmp_gt_i32 s41, 24
	s_cbranch_scc0 .LBB119_216
; %bb.209:
	s_wait_xcnt 0x0
	v_cndmask_b32_e64 v3, 0, 1.0, s39
	v_mov_b32_e32 v4, 0x80
	s_mov_b32 s43, exec_lo
	s_delay_alu instid0(VALU_DEP_2)
	v_cmpx_gt_u32_e32 0x47800000, v3
	s_cbranch_execz .LBB119_215
; %bb.210:
	s_mov_b32 s44, 0
	s_mov_b32 s45, exec_lo
                                        ; implicit-def: $vgpr2
	v_cmpx_lt_u32_e32 0x37ffffff, v3
	s_xor_b32 s45, exec_lo, s45
	s_cbranch_execz .LBB119_570
; %bb.211:
	v_bfe_u32 v2, v3, 21, 1
	s_mov_b32 s44, exec_lo
	s_delay_alu instid0(VALU_DEP_1) | instskip(NEXT) | instid1(VALU_DEP_1)
	v_add3_u32 v2, v3, v2, 0x88fffff
                                        ; implicit-def: $vgpr3
	v_lshrrev_b32_e32 v2, 21, v2
	s_and_not1_saveexec_b32 s45, s45
	s_cbranch_execnz .LBB119_571
.LBB119_212:
	s_or_b32 exec_lo, exec_lo, s45
	v_mov_b32_e32 v4, 0
	s_and_saveexec_b32 s45, s44
.LBB119_213:
	v_mov_b32_e32 v4, v2
.LBB119_214:
	s_or_b32 exec_lo, exec_lo, s45
.LBB119_215:
	s_delay_alu instid0(SALU_CYCLE_1)
	s_or_b32 exec_lo, exec_lo, s43
	s_mov_b32 s43, 0
	global_store_b8 v[0:1], v4, off
.LBB119_216:
	s_and_b32 vcc_lo, exec_lo, s43
	s_cbranch_vccz .LBB119_226
; %bb.217:
	s_wait_xcnt 0x0
	v_cndmask_b32_e64 v3, 0, 1.0, s39
	s_mov_b32 s43, exec_lo
                                        ; implicit-def: $vgpr2
	s_delay_alu instid0(VALU_DEP_1)
	v_cmpx_gt_u32_e32 0x43f00000, v3
	s_xor_b32 s43, exec_lo, s43
	s_cbranch_execz .LBB119_223
; %bb.218:
	s_mov_b32 s44, exec_lo
                                        ; implicit-def: $vgpr2
	v_cmpx_lt_u32_e32 0x3c7fffff, v3
	s_xor_b32 s44, exec_lo, s44
; %bb.219:
	v_bfe_u32 v2, v3, 20, 1
	s_delay_alu instid0(VALU_DEP_1) | instskip(NEXT) | instid1(VALU_DEP_1)
	v_add3_u32 v2, v3, v2, 0x407ffff
	v_and_b32_e32 v3, 0xff00000, v2
	v_lshrrev_b32_e32 v2, 20, v2
	s_delay_alu instid0(VALU_DEP_2) | instskip(NEXT) | instid1(VALU_DEP_2)
	v_cmp_ne_u32_e32 vcc_lo, 0x7f00000, v3
                                        ; implicit-def: $vgpr3
	v_cndmask_b32_e32 v2, 0x7e, v2, vcc_lo
; %bb.220:
	s_and_not1_saveexec_b32 s44, s44
; %bb.221:
	v_add_f32_e32 v2, 0x46800000, v3
; %bb.222:
	s_or_b32 exec_lo, exec_lo, s44
                                        ; implicit-def: $vgpr3
.LBB119_223:
	s_and_not1_saveexec_b32 s43, s43
; %bb.224:
	v_mov_b32_e32 v2, 0x7f
	v_cmp_lt_u32_e32 vcc_lo, 0x7f800000, v3
	s_delay_alu instid0(VALU_DEP_2)
	v_cndmask_b32_e32 v2, 0x7e, v2, vcc_lo
; %bb.225:
	s_or_b32 exec_lo, exec_lo, s43
	global_store_b8 v[0:1], v2, off
.LBB119_226:
	s_mov_b32 s43, 0
.LBB119_227:
	s_delay_alu instid0(SALU_CYCLE_1)
	s_and_not1_b32 vcc_lo, exec_lo, s43
	s_cbranch_vccnz .LBB119_237
; %bb.228:
	s_wait_xcnt 0x0
	v_cndmask_b32_e64 v3, 0, 1.0, s39
	s_mov_b32 s43, exec_lo
                                        ; implicit-def: $vgpr2
	s_delay_alu instid0(VALU_DEP_1)
	v_cmpx_gt_u32_e32 0x47800000, v3
	s_xor_b32 s43, exec_lo, s43
	s_cbranch_execz .LBB119_234
; %bb.229:
	s_mov_b32 s44, exec_lo
                                        ; implicit-def: $vgpr2
	v_cmpx_lt_u32_e32 0x387fffff, v3
	s_xor_b32 s44, exec_lo, s44
; %bb.230:
	v_bfe_u32 v2, v3, 21, 1
	s_delay_alu instid0(VALU_DEP_1) | instskip(NEXT) | instid1(VALU_DEP_1)
	v_add3_u32 v2, v3, v2, 0x80fffff
                                        ; implicit-def: $vgpr3
	v_lshrrev_b32_e32 v2, 21, v2
; %bb.231:
	s_and_not1_saveexec_b32 s44, s44
; %bb.232:
	v_add_f32_e32 v2, 0x43000000, v3
; %bb.233:
	s_or_b32 exec_lo, exec_lo, s44
                                        ; implicit-def: $vgpr3
.LBB119_234:
	s_and_not1_saveexec_b32 s43, s43
; %bb.235:
	v_mov_b32_e32 v2, 0x7f
	v_cmp_lt_u32_e32 vcc_lo, 0x7f800000, v3
	s_delay_alu instid0(VALU_DEP_2)
	v_cndmask_b32_e32 v2, 0x7c, v2, vcc_lo
; %bb.236:
	s_or_b32 exec_lo, exec_lo, s43
	global_store_b8 v[0:1], v2, off
.LBB119_237:
	s_mov_b32 s44, 0
	s_mov_b32 s43, -1
.LBB119_238:
	s_and_not1_b32 vcc_lo, exec_lo, s44
	s_cbranch_vccnz .LBB119_246
; %bb.239:
	s_cmp_gt_i32 s41, 14
	s_mov_b32 s44, -1
	s_cbranch_scc0 .LBB119_243
; %bb.240:
	s_cmp_eq_u32 s41, 15
	s_mov_b32 s0, -1
	s_cbranch_scc0 .LBB119_242
; %bb.241:
	s_wait_xcnt 0x0
	v_cndmask_b32_e64 v2, 0, 1.0, s39
	s_mov_b32 s43, -1
	s_mov_b32 s0, 0
	s_delay_alu instid0(VALU_DEP_1) | instskip(NEXT) | instid1(VALU_DEP_1)
	v_bfe_u32 v3, v2, 16, 1
	v_add3_u32 v2, v2, v3, 0x7fff
	global_store_d16_hi_b16 v[0:1], v2, off
.LBB119_242:
	s_mov_b32 s44, 0
.LBB119_243:
	s_delay_alu instid0(SALU_CYCLE_1)
	s_and_b32 vcc_lo, exec_lo, s44
	s_cbranch_vccz .LBB119_246
; %bb.244:
	s_cmp_eq_u32 s41, 11
	s_mov_b32 s0, -1
	s_cbranch_scc0 .LBB119_246
; %bb.245:
	s_wait_xcnt 0x0
	v_cndmask_b32_e64 v2, 0, 1, s39
	s_mov_b32 s43, -1
	s_mov_b32 s0, 0
	global_store_b8 v[0:1], v2, off
.LBB119_246:
	s_mov_b32 s41, 0
.LBB119_247:
	s_delay_alu instid0(SALU_CYCLE_1)
	s_and_b32 vcc_lo, exec_lo, s41
	s_cbranch_vccz .LBB119_286
; %bb.248:
	s_and_b32 s40, 0xffff, s40
	s_mov_b32 s41, -1
	s_cmp_lt_i32 s40, 5
	s_cbranch_scc1 .LBB119_269
; %bb.249:
	s_cmp_lt_i32 s40, 8
	s_cbranch_scc1 .LBB119_259
; %bb.250:
	;; [unrolled: 3-line block ×3, first 2 shown]
	s_cmp_gt_i32 s40, 9
	s_cbranch_scc0 .LBB119_253
; %bb.252:
	s_wait_xcnt 0x0
	v_cndmask_b32_e64 v2, 0, 1, s39
	v_mov_b32_e32 v4, 0
	s_mov_b32 s41, 0
	s_delay_alu instid0(VALU_DEP_2) | instskip(NEXT) | instid1(VALU_DEP_2)
	v_cvt_f64_u32_e32 v[2:3], v2
	v_mov_b32_e32 v5, v4
	global_store_b128 v[0:1], v[2:5], off
.LBB119_253:
	s_and_not1_b32 vcc_lo, exec_lo, s41
	s_cbranch_vccnz .LBB119_255
; %bb.254:
	s_wait_xcnt 0x0
	v_cndmask_b32_e64 v2, 0, 1.0, s39
	v_mov_b32_e32 v3, 0
	global_store_b64 v[0:1], v[2:3], off
.LBB119_255:
	s_mov_b32 s41, 0
.LBB119_256:
	s_delay_alu instid0(SALU_CYCLE_1)
	s_and_not1_b32 vcc_lo, exec_lo, s41
	s_cbranch_vccnz .LBB119_258
; %bb.257:
	s_wait_xcnt 0x0
	v_cndmask_b32_e64 v2, 0, 1.0, s39
	s_delay_alu instid0(VALU_DEP_1) | instskip(NEXT) | instid1(VALU_DEP_1)
	v_cvt_f16_f32_e32 v2, v2
	v_and_b32_e32 v2, 0xffff, v2
	global_store_b32 v[0:1], v2, off
.LBB119_258:
	s_mov_b32 s41, 0
.LBB119_259:
	s_delay_alu instid0(SALU_CYCLE_1)
	s_and_not1_b32 vcc_lo, exec_lo, s41
	s_cbranch_vccnz .LBB119_268
; %bb.260:
	s_cmp_lt_i32 s40, 6
	s_mov_b32 s41, -1
	s_cbranch_scc1 .LBB119_266
; %bb.261:
	s_cmp_gt_i32 s40, 6
	s_cbranch_scc0 .LBB119_263
; %bb.262:
	s_wait_xcnt 0x0
	v_cndmask_b32_e64 v2, 0, 1, s39
	s_mov_b32 s41, 0
	s_delay_alu instid0(VALU_DEP_1)
	v_cvt_f64_u32_e32 v[2:3], v2
	global_store_b64 v[0:1], v[2:3], off
.LBB119_263:
	s_and_not1_b32 vcc_lo, exec_lo, s41
	s_cbranch_vccnz .LBB119_265
; %bb.264:
	s_wait_xcnt 0x0
	v_cndmask_b32_e64 v2, 0, 1.0, s39
	global_store_b32 v[0:1], v2, off
.LBB119_265:
	s_mov_b32 s41, 0
.LBB119_266:
	s_delay_alu instid0(SALU_CYCLE_1)
	s_and_not1_b32 vcc_lo, exec_lo, s41
	s_cbranch_vccnz .LBB119_268
; %bb.267:
	s_wait_xcnt 0x0
	v_cndmask_b32_e64 v2, 0, 1.0, s39
	s_delay_alu instid0(VALU_DEP_1)
	v_cvt_f16_f32_e32 v2, v2
	global_store_b16 v[0:1], v2, off
.LBB119_268:
	s_mov_b32 s41, 0
.LBB119_269:
	s_delay_alu instid0(SALU_CYCLE_1)
	s_and_not1_b32 vcc_lo, exec_lo, s41
	s_cbranch_vccnz .LBB119_285
; %bb.270:
	s_cmp_lt_i32 s40, 2
	s_mov_b32 s41, -1
	s_cbranch_scc1 .LBB119_280
; %bb.271:
	s_cmp_lt_i32 s40, 3
	s_cbranch_scc1 .LBB119_277
; %bb.272:
	s_cmp_gt_i32 s40, 3
	s_cbranch_scc0 .LBB119_274
; %bb.273:
	s_mov_b32 s41, 0
	s_wait_xcnt 0x0
	v_cndmask_b32_e64 v2, 0, 1, s39
	v_mov_b32_e32 v3, s41
	global_store_b64 v[0:1], v[2:3], off
.LBB119_274:
	s_and_not1_b32 vcc_lo, exec_lo, s41
	s_cbranch_vccnz .LBB119_276
; %bb.275:
	s_wait_xcnt 0x0
	v_cndmask_b32_e64 v2, 0, 1, s39
	global_store_b32 v[0:1], v2, off
.LBB119_276:
	s_mov_b32 s41, 0
.LBB119_277:
	s_delay_alu instid0(SALU_CYCLE_1)
	s_and_not1_b32 vcc_lo, exec_lo, s41
	s_cbranch_vccnz .LBB119_279
; %bb.278:
	s_wait_xcnt 0x0
	v_cndmask_b32_e64 v2, 0, 1, s39
	global_store_b16 v[0:1], v2, off
.LBB119_279:
	s_mov_b32 s41, 0
.LBB119_280:
	s_delay_alu instid0(SALU_CYCLE_1)
	s_and_not1_b32 vcc_lo, exec_lo, s41
	s_cbranch_vccnz .LBB119_285
; %bb.281:
	s_cmp_gt_i32 s40, 0
	s_mov_b32 s40, -1
	s_cbranch_scc0 .LBB119_283
; %bb.282:
	s_wait_xcnt 0x0
	v_cndmask_b32_e64 v2, 0, 1, s39
	s_mov_b32 s40, 0
	global_store_b8 v[0:1], v2, off
.LBB119_283:
	s_and_not1_b32 vcc_lo, exec_lo, s40
	s_cbranch_vccnz .LBB119_285
; %bb.284:
	s_wait_xcnt 0x0
	v_cndmask_b32_e64 v2, 0, 1, s39
	global_store_b8 v[0:1], v2, off
.LBB119_285:
	s_mov_b32 s43, -1
.LBB119_286:
	s_delay_alu instid0(SALU_CYCLE_1)
	s_and_not1_b32 vcc_lo, exec_lo, s43
	s_cbranch_vccnz .LBB119_404
; %bb.287:
	v_add_nc_u32_e32 v8, 0x80, v8
	s_mov_b32 s43, -1
	s_branch .LBB119_405
.LBB119_288:
	s_mov_b32 s27, -1
                                        ; implicit-def: $vgpr4_vgpr5
.LBB119_289:
	s_wait_xcnt 0x0
	v_mov_b64_e32 v[6:7], 0
.LBB119_290:
	s_mov_b32 s41, 0
.LBB119_291:
	s_delay_alu instid0(SALU_CYCLE_1)
	s_and_b32 vcc_lo, exec_lo, s41
	s_cbranch_vccz .LBB119_296
; %bb.292:
	s_cmp_eq_u32 s39, 29
	s_cbranch_scc0 .LBB119_294
; %bb.293:
	global_load_b64 v[4:5], v[12:13], off
	s_mov_b32 s40, -1
	s_mov_b32 s27, 0
	s_wait_loadcnt 0x0
	v_cvt_f64_u32_e32 v[6:7], v5
	v_cvt_f64_u32_e32 v[4:5], v4
	s_delay_alu instid0(VALU_DEP_2) | instskip(NEXT) | instid1(VALU_DEP_1)
	v_ldexp_f64 v[6:7], v[6:7], 32
	v_add_f64_e32 v[4:5], v[6:7], v[4:5]
	s_branch .LBB119_295
.LBB119_294:
	s_mov_b32 s27, -1
                                        ; implicit-def: $vgpr4_vgpr5
.LBB119_295:
	s_wait_xcnt 0x0
	v_mov_b64_e32 v[6:7], 0
.LBB119_296:
	s_mov_b32 s41, 0
.LBB119_297:
	s_delay_alu instid0(SALU_CYCLE_1)
	s_and_b32 vcc_lo, exec_lo, s41
	s_cbranch_vccz .LBB119_315
; %bb.298:
	s_cmp_lt_i32 s39, 27
	s_cbranch_scc1 .LBB119_301
; %bb.299:
	s_cmp_gt_i32 s39, 27
	s_cbranch_scc0 .LBB119_302
; %bb.300:
	global_load_b32 v4, v[12:13], off
	s_mov_b32 s40, 0
	s_wait_loadcnt 0x0
	v_cvt_f64_u32_e32 v[4:5], v4
	s_branch .LBB119_303
.LBB119_301:
	s_mov_b32 s40, -1
                                        ; implicit-def: $vgpr4_vgpr5
	s_branch .LBB119_306
.LBB119_302:
	s_mov_b32 s40, -1
                                        ; implicit-def: $vgpr4_vgpr5
.LBB119_303:
	s_delay_alu instid0(SALU_CYCLE_1)
	s_and_not1_b32 vcc_lo, exec_lo, s40
	s_cbranch_vccnz .LBB119_305
; %bb.304:
	global_load_u16 v4, v[12:13], off
	s_wait_loadcnt 0x0
	v_cvt_f64_u32_e32 v[4:5], v4
.LBB119_305:
	s_mov_b32 s40, 0
.LBB119_306:
	s_delay_alu instid0(SALU_CYCLE_1)
	s_and_not1_b32 vcc_lo, exec_lo, s40
	s_cbranch_vccnz .LBB119_314
; %bb.307:
	global_load_u8 v6, v[12:13], off
	s_mov_b32 s40, 0
	s_mov_b32 s41, exec_lo
	s_wait_loadcnt 0x0
	v_cmpx_lt_i16_e32 0x7f, v6
	s_xor_b32 s41, exec_lo, s41
	s_cbranch_execz .LBB119_328
; %bb.308:
	s_mov_b32 s40, -1
	s_mov_b32 s43, exec_lo
	v_cmpx_eq_u16_e32 0x80, v6
; %bb.309:
	s_xor_b32 s40, exec_lo, -1
; %bb.310:
	s_or_b32 exec_lo, exec_lo, s43
	s_delay_alu instid0(SALU_CYCLE_1)
	s_and_b32 s40, s40, exec_lo
	s_or_saveexec_b32 s41, s41
	v_mov_b64_e32 v[4:5], 0x7ff8000020000000
	s_xor_b32 exec_lo, exec_lo, s41
	s_cbranch_execnz .LBB119_329
.LBB119_311:
	s_or_b32 exec_lo, exec_lo, s41
	s_and_saveexec_b32 s41, s40
	s_cbranch_execz .LBB119_313
.LBB119_312:
	v_and_b32_e32 v4, 0xffff, v6
	s_delay_alu instid0(VALU_DEP_1) | instskip(SKIP_1) | instid1(VALU_DEP_2)
	v_and_b32_e32 v5, 7, v4
	v_bfe_u32 v11, v4, 3, 4
	v_clz_i32_u32_e32 v7, v5
	s_delay_alu instid0(VALU_DEP_2) | instskip(NEXT) | instid1(VALU_DEP_2)
	v_cmp_eq_u32_e32 vcc_lo, 0, v11
	v_min_u32_e32 v7, 32, v7
	s_delay_alu instid0(VALU_DEP_1) | instskip(NEXT) | instid1(VALU_DEP_1)
	v_subrev_nc_u32_e32 v9, 28, v7
	v_dual_lshlrev_b32 v4, v9, v4 :: v_dual_sub_nc_u32 v7, 29, v7
	s_delay_alu instid0(VALU_DEP_1) | instskip(NEXT) | instid1(VALU_DEP_1)
	v_dual_lshlrev_b32 v6, 24, v6 :: v_dual_bitop2_b32 v4, 7, v4 bitop3:0x40
	v_dual_cndmask_b32 v7, v11, v7 :: v_dual_cndmask_b32 v4, v5, v4
	s_delay_alu instid0(VALU_DEP_2) | instskip(NEXT) | instid1(VALU_DEP_2)
	v_and_b32_e32 v5, 0x80000000, v6
	v_lshl_add_u32 v6, v7, 23, 0x3b800000
	s_delay_alu instid0(VALU_DEP_3) | instskip(NEXT) | instid1(VALU_DEP_1)
	v_lshlrev_b32_e32 v4, 20, v4
	v_or3_b32 v4, v5, v6, v4
	s_delay_alu instid0(VALU_DEP_1)
	v_cvt_f64_f32_e32 v[4:5], v4
.LBB119_313:
	s_or_b32 exec_lo, exec_lo, s41
.LBB119_314:
	s_wait_xcnt 0x0
	v_mov_b64_e32 v[6:7], 0
	s_mov_b32 s40, -1
.LBB119_315:
	s_mov_b32 s41, 0
.LBB119_316:
	s_delay_alu instid0(SALU_CYCLE_1)
	s_and_b32 vcc_lo, exec_lo, s41
	s_cbranch_vccz .LBB119_352
; %bb.317:
	s_cmp_gt_i32 s39, 22
	s_cbranch_scc0 .LBB119_327
; %bb.318:
	s_cmp_lt_i32 s39, 24
	s_cbranch_scc1 .LBB119_330
; %bb.319:
	s_cmp_gt_i32 s39, 24
	s_cbranch_scc0 .LBB119_331
; %bb.320:
	global_load_u8 v6, v[12:13], off
	s_mov_b32 s40, 0
	s_mov_b32 s41, exec_lo
	s_wait_loadcnt 0x0
	v_cmpx_lt_i16_e32 0x7f, v6
	s_xor_b32 s41, exec_lo, s41
	s_cbranch_execz .LBB119_343
; %bb.321:
	s_mov_b32 s40, -1
	s_mov_b32 s43, exec_lo
	v_cmpx_eq_u16_e32 0x80, v6
; %bb.322:
	s_xor_b32 s40, exec_lo, -1
; %bb.323:
	s_or_b32 exec_lo, exec_lo, s43
	s_delay_alu instid0(SALU_CYCLE_1)
	s_and_b32 s40, s40, exec_lo
	s_or_saveexec_b32 s41, s41
	v_mov_b64_e32 v[4:5], 0x7ff8000020000000
	s_xor_b32 exec_lo, exec_lo, s41
	s_cbranch_execnz .LBB119_344
.LBB119_324:
	s_or_b32 exec_lo, exec_lo, s41
	s_and_saveexec_b32 s41, s40
	s_cbranch_execz .LBB119_326
.LBB119_325:
	v_and_b32_e32 v4, 0xffff, v6
	s_delay_alu instid0(VALU_DEP_1) | instskip(SKIP_1) | instid1(VALU_DEP_2)
	v_and_b32_e32 v5, 3, v4
	v_bfe_u32 v11, v4, 2, 5
	v_clz_i32_u32_e32 v7, v5
	s_delay_alu instid0(VALU_DEP_2) | instskip(NEXT) | instid1(VALU_DEP_2)
	v_cmp_eq_u32_e32 vcc_lo, 0, v11
	v_min_u32_e32 v7, 32, v7
	s_delay_alu instid0(VALU_DEP_1) | instskip(NEXT) | instid1(VALU_DEP_1)
	v_subrev_nc_u32_e32 v9, 29, v7
	v_dual_lshlrev_b32 v4, v9, v4 :: v_dual_sub_nc_u32 v7, 30, v7
	s_delay_alu instid0(VALU_DEP_1) | instskip(NEXT) | instid1(VALU_DEP_1)
	v_dual_lshlrev_b32 v6, 24, v6 :: v_dual_bitop2_b32 v4, 3, v4 bitop3:0x40
	v_dual_cndmask_b32 v7, v11, v7 :: v_dual_cndmask_b32 v4, v5, v4
	s_delay_alu instid0(VALU_DEP_2) | instskip(NEXT) | instid1(VALU_DEP_2)
	v_and_b32_e32 v5, 0x80000000, v6
	v_lshl_add_u32 v6, v7, 23, 0x37800000
	s_delay_alu instid0(VALU_DEP_3) | instskip(NEXT) | instid1(VALU_DEP_1)
	v_lshlrev_b32_e32 v4, 21, v4
	v_or3_b32 v4, v5, v6, v4
	s_delay_alu instid0(VALU_DEP_1)
	v_cvt_f64_f32_e32 v[4:5], v4
.LBB119_326:
	s_or_b32 exec_lo, exec_lo, s41
	s_mov_b32 s40, 0
	s_branch .LBB119_332
.LBB119_327:
	s_mov_b32 s41, -1
                                        ; implicit-def: $vgpr4_vgpr5
	s_branch .LBB119_338
.LBB119_328:
	s_or_saveexec_b32 s41, s41
	v_mov_b64_e32 v[4:5], 0x7ff8000020000000
	s_xor_b32 exec_lo, exec_lo, s41
	s_cbranch_execz .LBB119_311
.LBB119_329:
	v_cmp_ne_u16_e32 vcc_lo, 0, v6
	v_mov_b64_e32 v[4:5], 0
	s_and_not1_b32 s40, s40, exec_lo
	s_and_b32 s43, vcc_lo, exec_lo
	s_delay_alu instid0(SALU_CYCLE_1)
	s_or_b32 s40, s40, s43
	s_or_b32 exec_lo, exec_lo, s41
	s_and_saveexec_b32 s41, s40
	s_cbranch_execnz .LBB119_312
	s_branch .LBB119_313
.LBB119_330:
	s_mov_b32 s40, -1
                                        ; implicit-def: $vgpr4_vgpr5
	s_branch .LBB119_335
.LBB119_331:
	s_mov_b32 s40, -1
                                        ; implicit-def: $vgpr4_vgpr5
.LBB119_332:
	s_delay_alu instid0(SALU_CYCLE_1)
	s_and_b32 vcc_lo, exec_lo, s40
	s_cbranch_vccz .LBB119_334
; %bb.333:
	global_load_u8 v4, v[12:13], off
	s_wait_loadcnt 0x0
	v_lshlrev_b32_e32 v4, 24, v4
	s_delay_alu instid0(VALU_DEP_1) | instskip(NEXT) | instid1(VALU_DEP_1)
	v_and_b32_e32 v5, 0x7f000000, v4
	v_clz_i32_u32_e32 v6, v5
	v_add_nc_u32_e32 v9, 0x1000000, v5
	v_cmp_ne_u32_e32 vcc_lo, 0, v5
	s_delay_alu instid0(VALU_DEP_3) | instskip(NEXT) | instid1(VALU_DEP_1)
	v_min_u32_e32 v6, 32, v6
	v_sub_nc_u32_e64 v6, v6, 4 clamp
	s_delay_alu instid0(VALU_DEP_1) | instskip(NEXT) | instid1(VALU_DEP_1)
	v_dual_lshlrev_b32 v7, v6, v5 :: v_dual_lshlrev_b32 v6, 23, v6
	v_lshrrev_b32_e32 v7, 4, v7
	s_delay_alu instid0(VALU_DEP_1) | instskip(NEXT) | instid1(VALU_DEP_1)
	v_dual_sub_nc_u32 v6, v7, v6 :: v_dual_ashrrev_i32 v7, 8, v9
	v_add_nc_u32_e32 v6, 0x3c000000, v6
	s_delay_alu instid0(VALU_DEP_1) | instskip(NEXT) | instid1(VALU_DEP_1)
	v_and_or_b32 v6, 0x7f800000, v7, v6
	v_cndmask_b32_e32 v5, 0, v6, vcc_lo
	s_delay_alu instid0(VALU_DEP_1) | instskip(NEXT) | instid1(VALU_DEP_1)
	v_and_or_b32 v4, 0x80000000, v4, v5
	v_cvt_f64_f32_e32 v[4:5], v4
.LBB119_334:
	s_mov_b32 s40, 0
.LBB119_335:
	s_delay_alu instid0(SALU_CYCLE_1)
	s_and_not1_b32 vcc_lo, exec_lo, s40
	s_cbranch_vccnz .LBB119_337
; %bb.336:
	global_load_u8 v4, v[12:13], off
	s_wait_loadcnt 0x0
	v_lshlrev_b32_e32 v5, 25, v4
	v_lshlrev_b16 v4, 8, v4
	s_delay_alu instid0(VALU_DEP_1) | instskip(SKIP_1) | instid1(VALU_DEP_2)
	v_and_or_b32 v7, 0x7f00, v4, 0.5
	v_bfe_i32 v4, v4, 0, 16
	v_dual_add_f32 v7, -0.5, v7 :: v_dual_lshrrev_b32 v6, 4, v5
	v_cmp_gt_u32_e32 vcc_lo, 0x8000000, v5
	s_delay_alu instid0(VALU_DEP_2) | instskip(NEXT) | instid1(VALU_DEP_1)
	v_or_b32_e32 v6, 0x70000000, v6
	v_mul_f32_e32 v6, 0x7800000, v6
	s_delay_alu instid0(VALU_DEP_1) | instskip(NEXT) | instid1(VALU_DEP_1)
	v_cndmask_b32_e32 v5, v6, v7, vcc_lo
	v_and_or_b32 v4, 0x80000000, v4, v5
	s_delay_alu instid0(VALU_DEP_1)
	v_cvt_f64_f32_e32 v[4:5], v4
.LBB119_337:
	s_mov_b32 s41, 0
	s_mov_b32 s40, -1
.LBB119_338:
	s_and_not1_b32 vcc_lo, exec_lo, s41
	s_cbranch_vccnz .LBB119_351
; %bb.339:
	s_cmp_gt_i32 s39, 14
	s_cbranch_scc0 .LBB119_342
; %bb.340:
	s_cmp_eq_u32 s39, 15
	s_cbranch_scc0 .LBB119_345
; %bb.341:
	global_load_u16 v4, v[12:13], off
	s_mov_b32 s40, -1
	s_mov_b32 s27, 0
	s_wait_loadcnt 0x0
	v_lshlrev_b32_e32 v4, 16, v4
	s_delay_alu instid0(VALU_DEP_1)
	v_cvt_f64_f32_e32 v[4:5], v4
	s_branch .LBB119_346
.LBB119_342:
	s_mov_b32 s41, -1
                                        ; implicit-def: $vgpr4_vgpr5
	s_branch .LBB119_347
.LBB119_343:
	s_or_saveexec_b32 s41, s41
	v_mov_b64_e32 v[4:5], 0x7ff8000020000000
	s_xor_b32 exec_lo, exec_lo, s41
	s_cbranch_execz .LBB119_324
.LBB119_344:
	v_cmp_ne_u16_e32 vcc_lo, 0, v6
	v_mov_b64_e32 v[4:5], 0
	s_and_not1_b32 s40, s40, exec_lo
	s_and_b32 s43, vcc_lo, exec_lo
	s_delay_alu instid0(SALU_CYCLE_1)
	s_or_b32 s40, s40, s43
	s_or_b32 exec_lo, exec_lo, s41
	s_and_saveexec_b32 s41, s40
	s_cbranch_execnz .LBB119_325
	s_branch .LBB119_326
.LBB119_345:
	s_mov_b32 s27, -1
                                        ; implicit-def: $vgpr4_vgpr5
.LBB119_346:
	s_mov_b32 s41, 0
.LBB119_347:
	s_delay_alu instid0(SALU_CYCLE_1)
	s_and_b32 vcc_lo, exec_lo, s41
	s_cbranch_vccz .LBB119_351
; %bb.348:
	s_cmp_eq_u32 s39, 11
	s_cbranch_scc0 .LBB119_350
; %bb.349:
	global_load_u8 v4, v[12:13], off
	s_mov_b32 s27, 0
	s_mov_b32 s40, -1
	s_wait_xcnt 0x1
	v_mov_b64_e32 v[6:7], 0
	s_wait_loadcnt 0x0
	v_cmp_ne_u16_e32 vcc_lo, 0, v4
	v_mov_b32_e32 v4, 0
	v_cndmask_b32_e64 v5, 0, 0x3ff00000, vcc_lo
	s_branch .LBB119_352
.LBB119_350:
	s_mov_b32 s27, -1
                                        ; implicit-def: $vgpr4_vgpr5
.LBB119_351:
	s_wait_xcnt 0x0
	v_mov_b64_e32 v[6:7], 0
.LBB119_352:
	s_branch .LBB119_31
.LBB119_353:
	s_and_b32 s0, 0xffff, s0
	s_delay_alu instid0(SALU_CYCLE_1)
	s_cmp_lt_i32 s0, 5
	s_cbranch_scc1 .LBB119_358
; %bb.354:
	s_cmp_lt_i32 s0, 8
	s_cbranch_scc1 .LBB119_359
; %bb.355:
	;; [unrolled: 3-line block ×3, first 2 shown]
	s_cmp_gt_i32 s0, 9
	s_cbranch_scc0 .LBB119_361
; %bb.357:
	global_load_b128 v[4:7], v[12:13], off
	s_mov_b32 s39, 0
	s_branch .LBB119_362
.LBB119_358:
	s_mov_b32 s39, -1
                                        ; implicit-def: $vgpr6_vgpr7
	s_branch .LBB119_381
.LBB119_359:
	s_mov_b32 s39, -1
                                        ; implicit-def: $vgpr6_vgpr7
	s_branch .LBB119_368
.LBB119_360:
	s_mov_b32 s39, -1
                                        ; implicit-def: $vgpr6_vgpr7
	s_branch .LBB119_365
.LBB119_361:
	s_mov_b32 s39, -1
                                        ; implicit-def: $vgpr6_vgpr7
.LBB119_362:
	s_delay_alu instid0(SALU_CYCLE_1)
	s_and_not1_b32 vcc_lo, exec_lo, s39
	s_cbranch_vccnz .LBB119_364
; %bb.363:
	s_wait_loadcnt 0x0
	global_load_b64 v[6:7], v[12:13], off
	s_wait_loadcnt 0x0
	v_cvt_f64_f32_e32 v[4:5], v6
	v_cvt_f64_f32_e32 v[6:7], v7
.LBB119_364:
	s_mov_b32 s39, 0
.LBB119_365:
	s_delay_alu instid0(SALU_CYCLE_1)
	s_and_not1_b32 vcc_lo, exec_lo, s39
	s_cbranch_vccnz .LBB119_367
; %bb.366:
	s_wait_loadcnt 0x0
	global_load_b32 v4, v[12:13], off
	s_wait_loadcnt 0x0
	v_lshrrev_b32_e32 v5, 16, v4
	v_cvt_f32_f16_e32 v4, v4
	s_delay_alu instid0(VALU_DEP_2) | instskip(NEXT) | instid1(VALU_DEP_2)
	v_cvt_f32_f16_e32 v6, v5
	v_cvt_f64_f32_e32 v[4:5], v4
	s_delay_alu instid0(VALU_DEP_2)
	v_cvt_f64_f32_e32 v[6:7], v6
.LBB119_367:
	s_mov_b32 s39, 0
.LBB119_368:
	s_delay_alu instid0(SALU_CYCLE_1)
	s_and_not1_b32 vcc_lo, exec_lo, s39
	s_cbranch_vccnz .LBB119_380
; %bb.369:
	s_cmp_lt_i32 s0, 6
	s_cbranch_scc1 .LBB119_372
; %bb.370:
	s_cmp_gt_i32 s0, 6
	s_cbranch_scc0 .LBB119_373
; %bb.371:
	s_wait_loadcnt 0x0
	global_load_b64 v[4:5], v[12:13], off
	s_mov_b32 s39, 0
	s_branch .LBB119_374
.LBB119_372:
	s_mov_b32 s39, -1
                                        ; implicit-def: $vgpr4_vgpr5
	s_branch .LBB119_377
.LBB119_373:
	s_mov_b32 s39, -1
                                        ; implicit-def: $vgpr4_vgpr5
.LBB119_374:
	s_delay_alu instid0(SALU_CYCLE_1)
	s_and_not1_b32 vcc_lo, exec_lo, s39
	s_cbranch_vccnz .LBB119_376
; %bb.375:
	s_wait_loadcnt 0x0
	global_load_b32 v4, v[12:13], off
	s_wait_loadcnt 0x0
	v_cvt_f64_f32_e32 v[4:5], v4
.LBB119_376:
	s_mov_b32 s39, 0
.LBB119_377:
	s_delay_alu instid0(SALU_CYCLE_1)
	s_and_not1_b32 vcc_lo, exec_lo, s39
	s_cbranch_vccnz .LBB119_379
; %bb.378:
	s_wait_loadcnt 0x0
	global_load_u16 v4, v[12:13], off
	s_wait_loadcnt 0x0
	v_cvt_f32_f16_e32 v4, v4
	s_delay_alu instid0(VALU_DEP_1)
	v_cvt_f64_f32_e32 v[4:5], v4
.LBB119_379:
	s_wait_loadcnt 0x0
	v_mov_b64_e32 v[6:7], 0
.LBB119_380:
	s_mov_b32 s39, 0
.LBB119_381:
	s_delay_alu instid0(SALU_CYCLE_1)
	s_and_not1_b32 vcc_lo, exec_lo, s39
	s_cbranch_vccnz .LBB119_402
; %bb.382:
	s_cmp_lt_i32 s0, 2
	s_cbranch_scc1 .LBB119_386
; %bb.383:
	s_cmp_lt_i32 s0, 3
	s_cbranch_scc1 .LBB119_387
; %bb.384:
	s_cmp_gt_i32 s0, 3
	s_cbranch_scc0 .LBB119_388
; %bb.385:
	s_wait_loadcnt 0x0
	global_load_b64 v[4:5], v[12:13], off
	s_mov_b32 s39, 0
	s_wait_loadcnt 0x0
	v_cvt_f64_i32_e32 v[6:7], v5
	v_cvt_f64_u32_e32 v[4:5], v4
	s_delay_alu instid0(VALU_DEP_2) | instskip(NEXT) | instid1(VALU_DEP_1)
	v_ldexp_f64 v[6:7], v[6:7], 32
	v_add_f64_e32 v[4:5], v[6:7], v[4:5]
	s_branch .LBB119_389
.LBB119_386:
	s_mov_b32 s39, -1
                                        ; implicit-def: $vgpr4_vgpr5
	s_branch .LBB119_395
.LBB119_387:
	s_mov_b32 s39, -1
                                        ; implicit-def: $vgpr4_vgpr5
	s_branch .LBB119_392
.LBB119_388:
	s_mov_b32 s39, -1
                                        ; implicit-def: $vgpr4_vgpr5
.LBB119_389:
	s_delay_alu instid0(SALU_CYCLE_1)
	s_and_not1_b32 vcc_lo, exec_lo, s39
	s_cbranch_vccnz .LBB119_391
; %bb.390:
	s_wait_loadcnt 0x0
	global_load_b32 v4, v[12:13], off
	s_wait_loadcnt 0x0
	v_cvt_f64_i32_e32 v[4:5], v4
.LBB119_391:
	s_mov_b32 s39, 0
.LBB119_392:
	s_delay_alu instid0(SALU_CYCLE_1)
	s_and_not1_b32 vcc_lo, exec_lo, s39
	s_cbranch_vccnz .LBB119_394
; %bb.393:
	s_wait_loadcnt 0x0
	global_load_i16 v4, v[12:13], off
	s_wait_loadcnt 0x0
	v_cvt_f64_i32_e32 v[4:5], v4
.LBB119_394:
	s_mov_b32 s39, 0
.LBB119_395:
	s_delay_alu instid0(SALU_CYCLE_1)
	s_and_not1_b32 vcc_lo, exec_lo, s39
	s_cbranch_vccnz .LBB119_401
; %bb.396:
	s_cmp_gt_i32 s0, 0
	s_mov_b32 s0, 0
	s_cbranch_scc0 .LBB119_398
; %bb.397:
	s_wait_loadcnt 0x0
	global_load_i8 v4, v[12:13], off
	s_wait_loadcnt 0x0
	v_cvt_f64_i32_e32 v[4:5], v4
	s_branch .LBB119_399
.LBB119_398:
	s_mov_b32 s0, -1
                                        ; implicit-def: $vgpr4_vgpr5
.LBB119_399:
	s_delay_alu instid0(SALU_CYCLE_1)
	s_and_not1_b32 vcc_lo, exec_lo, s0
	s_cbranch_vccnz .LBB119_401
; %bb.400:
	s_wait_loadcnt 0x0
	global_load_u8 v4, v[12:13], off
	s_wait_loadcnt 0x0
	v_cvt_f64_u32_e32 v[4:5], v4
.LBB119_401:
	s_wait_loadcnt 0x0
	v_mov_b64_e32 v[6:7], 0
.LBB119_402:
	s_branch .LBB119_32
.LBB119_403:
	s_mov_b32 s0, 0
.LBB119_404:
	s_mov_b32 s43, 0
                                        ; implicit-def: $vgpr8
.LBB119_405:
	s_and_b32 s39, s0, exec_lo
	s_and_b32 s40, s27, exec_lo
	;; [unrolled: 1-line block ×3, first 2 shown]
	s_or_not1_b32 s43, s43, exec_lo
.LBB119_406:
	s_wait_xcnt 0x0
	s_or_b32 exec_lo, exec_lo, s42
	s_mov_b32 s27, 0
	s_mov_b32 s26, 0
                                        ; implicit-def: $sgpr0
                                        ; implicit-def: $vgpr6_vgpr7
                                        ; implicit-def: $vgpr4
                                        ; implicit-def: $vgpr10
                                        ; implicit-def: $vgpr2_vgpr3
	s_and_saveexec_b32 s42, s43
	s_cbranch_execz .LBB119_414
; %bb.407:
	s_mov_b32 s48, -1
	s_mov_b32 s43, s41
	s_mov_b32 s45, s40
	;; [unrolled: 1-line block ×3, first 2 shown]
	s_mov_b32 s46, exec_lo
	v_cmpx_gt_i32_e64 s37, v8
	s_cbranch_execz .LBB119_825
; %bb.408:
	s_and_not1_b32 vcc_lo, exec_lo, s31
	s_cbranch_vccnz .LBB119_417
; %bb.409:
	s_and_not1_b32 vcc_lo, exec_lo, s38
	s_cbranch_vccnz .LBB119_418
; %bb.410:
	s_wait_loadcnt 0x0
	v_dual_mov_b32 v10, 0 :: v_dual_mov_b32 v1, v8
	v_dual_mov_b32 v0, 0 :: v_dual_mov_b32 v4, 0
	s_add_co_i32 s0, s36, 1
	s_mov_b64 s[26:27], 0xffffffffffffffe8
	s_and_b32 s0, s0, 30
	s_add_nc_u64 s[26:27], s[2:3], s[26:27]
.LBB119_411:                            ; =>This Inner Loop Header: Depth=1
	s_clause 0x1
	s_load_b128 s[48:51], s[26:27], 0x1c
	s_load_b64 s[44:45], s[26:27], 0x2c
	s_add_co_i32 s0, s0, -2
	s_delay_alu instid0(SALU_CYCLE_1) | instskip(SKIP_2) | instid1(VALU_DEP_1)
	s_cmp_eq_u32 s0, 0
	s_wait_kmcnt 0x0
	v_mul_hi_u32 v2, s49, v1
	v_add_nc_u32_e32 v2, v1, v2
	s_delay_alu instid0(VALU_DEP_1) | instskip(NEXT) | instid1(VALU_DEP_1)
	v_lshrrev_b32_e32 v2, s50, v2
	v_mul_hi_u32 v3, s44, v2
	v_mul_lo_u32 v5, v2, s48
	s_clause 0x1
	s_load_b128 s[52:55], s[26:27], 0xdc
	s_load_b64 s[48:49], s[26:27], 0xec
	s_wait_xcnt 0x0
	s_add_nc_u64 s[26:27], s[26:27], 24
	s_delay_alu instid0(VALU_DEP_1) | instskip(NEXT) | instid1(VALU_DEP_1)
	v_dual_add_nc_u32 v3, v2, v3 :: v_dual_sub_nc_u32 v5, v1, v5
	v_lshrrev_b32_e32 v1, s45, v3
	s_wait_kmcnt 0x0
	s_delay_alu instid0(VALU_DEP_2) | instskip(NEXT) | instid1(VALU_DEP_2)
	v_mad_u32 v6, v5, s52, v10
	v_mul_lo_u32 v3, v1, s51
	v_mad_u32 v4, v5, s54, v4
	v_mad_u32 v0, v5, s53, v0
	s_delay_alu instid0(VALU_DEP_3) | instskip(NEXT) | instid1(VALU_DEP_1)
	v_sub_nc_u32_e32 v2, v2, v3
	v_mad_u32 v10, v2, s55, v6
	s_delay_alu instid0(VALU_DEP_4) | instskip(NEXT) | instid1(VALU_DEP_4)
	v_mad_u32 v4, v2, s49, v4
	v_mad_u32 v0, v2, s48, v0
	s_cbranch_scc0 .LBB119_411
; %bb.412:
	s_bitcmp1_b32 s36, 0
	s_cselect_b32 s0, -1, 0
	s_delay_alu instid0(SALU_CYCLE_1)
	s_and_b32 vcc_lo, exec_lo, s0
	s_cbranch_vccnz .LBB119_419
; %bb.413:
	s_clause 0x1
	s_load_b96 s[48:50], s[26:27], 0x1c
	s_load_b96 s[52:54], s[26:27], 0xdc
	s_wait_kmcnt 0x0
	v_mul_hi_u32 v2, s49, v1
	s_delay_alu instid0(VALU_DEP_1) | instskip(NEXT) | instid1(VALU_DEP_1)
	v_add_nc_u32_e32 v2, v1, v2
	v_lshrrev_b32_e32 v2, s50, v2
	s_delay_alu instid0(VALU_DEP_1) | instskip(NEXT) | instid1(VALU_DEP_1)
	v_mul_lo_u32 v2, v2, s48
	v_sub_nc_u32_e32 v1, v1, v2
	s_delay_alu instid0(VALU_DEP_1)
	v_mad_u32 v10, v1, s52, v10
	v_mad_u32 v0, v1, s53, v0
	v_mad_u32 v4, v1, s54, v4
	s_branch .LBB119_419
.LBB119_414:
	s_or_b32 exec_lo, exec_lo, s42
	s_mov_b32 s1, 0
	s_and_saveexec_b32 s6, s41
	s_cbranch_execnz .LBB119_1343
.LBB119_415:
	s_or_b32 exec_lo, exec_lo, s6
	s_and_saveexec_b32 s6, s21
	s_delay_alu instid0(SALU_CYCLE_1)
	s_xor_b32 s6, exec_lo, s6
	s_cbranch_execz .LBB119_1344
.LBB119_416:
	s_wait_loadcnt 0x0
	global_load_u8 v0, v[6:7], off
	v_mov_b64_e32 v[2:3], 0
	s_or_b32 s26, s26, exec_lo
	s_wait_loadcnt 0x0
	v_cmp_ne_u16_e32 vcc_lo, 0, v0
	v_mov_b32_e32 v0, 0
	v_cndmask_b32_e64 v1, 0, 0x3ff00000, vcc_lo
	s_wait_xcnt 0x0
	s_or_b32 exec_lo, exec_lo, s6
	s_and_saveexec_b32 s6, s27
	s_cbranch_execz .LBB119_1392
	s_branch .LBB119_1345
.LBB119_417:
                                        ; implicit-def: $vgpr4
                                        ; implicit-def: $vgpr0
                                        ; implicit-def: $vgpr10
	s_branch .LBB119_420
.LBB119_418:
	s_wait_loadcnt 0x0
	v_dual_mov_b32 v4, 0 :: v_dual_mov_b32 v0, 0
	v_mov_b32_e32 v10, 0
.LBB119_419:
	s_cbranch_execnz .LBB119_422
.LBB119_420:
	v_mov_b32_e32 v9, 0
	s_and_not1_b32 vcc_lo, exec_lo, s35
	s_wait_loadcnt 0x0
	s_delay_alu instid0(VALU_DEP_1) | instskip(NEXT) | instid1(VALU_DEP_1)
	v_mul_u64_e32 v[0:1], s[20:21], v[8:9]
	v_add_nc_u32_e32 v0, v8, v1
	s_delay_alu instid0(VALU_DEP_1) | instskip(NEXT) | instid1(VALU_DEP_1)
	v_lshrrev_b32_e32 v2, s14, v0
	v_mul_lo_u32 v0, v2, s12
	s_delay_alu instid0(VALU_DEP_1) | instskip(NEXT) | instid1(VALU_DEP_1)
	v_sub_nc_u32_e32 v0, v8, v0
	v_mul_lo_u32 v10, v0, s16
	v_mul_lo_u32 v4, v0, s18
	;; [unrolled: 1-line block ×3, first 2 shown]
	s_cbranch_vccnz .LBB119_422
; %bb.421:
	v_mov_b32_e32 v3, v9
	s_delay_alu instid0(VALU_DEP_1) | instskip(NEXT) | instid1(VALU_DEP_1)
	v_mul_u64_e32 v[6:7], s[24:25], v[2:3]
	v_add_nc_u32_e32 v1, v2, v7
	s_delay_alu instid0(VALU_DEP_1) | instskip(NEXT) | instid1(VALU_DEP_1)
	v_lshrrev_b32_e32 v1, s1, v1
	v_mul_lo_u32 v1, v1, s15
	s_delay_alu instid0(VALU_DEP_1) | instskip(NEXT) | instid1(VALU_DEP_1)
	v_sub_nc_u32_e32 v1, v2, v1
	v_mad_u32 v10, v1, s19, v10
	v_mad_u32 v0, v1, s22, v0
	;; [unrolled: 1-line block ×3, first 2 shown]
.LBB119_422:
	s_wait_loadcnt 0x0
	v_mov_b32_e32 v1, 0
	s_and_b32 s0, s34, 0xff
	s_delay_alu instid0(SALU_CYCLE_1) | instskip(NEXT) | instid1(VALU_DEP_1)
	s_cmp_lt_i32 s0, 11
	v_add_nc_u64_e32 v[6:7], s[6:7], v[0:1]
	s_cbranch_scc1 .LBB119_429
; %bb.423:
	s_and_b32 s27, 0xffff, s0
	s_delay_alu instid0(SALU_CYCLE_1)
	s_cmp_gt_i32 s27, 25
	s_cbranch_scc0 .LBB119_438
; %bb.424:
	s_cmp_gt_i32 s27, 28
	s_cbranch_scc0 .LBB119_440
; %bb.425:
	;; [unrolled: 3-line block ×4, first 2 shown]
	s_cmp_eq_u32 s27, 46
	s_mov_b32 s44, 0
	s_cbranch_scc0 .LBB119_448
; %bb.428:
	global_load_b32 v0, v[6:7], off
	s_mov_b32 s43, -1
	s_mov_b32 s26, 0
	s_wait_loadcnt 0x0
	v_lshlrev_b32_e32 v1, 16, v0
	v_and_b32_e32 v2, 0xffff0000, v0
	s_delay_alu instid0(VALU_DEP_2) | instskip(NEXT) | instid1(VALU_DEP_2)
	v_cvt_f64_f32_e32 v[0:1], v1
	v_cvt_f64_f32_e32 v[2:3], v2
	s_branch .LBB119_450
.LBB119_429:
	s_mov_b32 s43, 0
	s_mov_b32 s26, s41
                                        ; implicit-def: $vgpr2_vgpr3
	s_cbranch_execnz .LBB119_519
.LBB119_430:
	s_and_not1_b32 vcc_lo, exec_lo, s43
	s_cbranch_vccnz .LBB119_569
.LBB119_431:
	v_mov_b32_e32 v5, 0
	s_and_b32 s0, s13, 0xff
	s_delay_alu instid0(SALU_CYCLE_1) | instskip(NEXT) | instid1(VALU_DEP_1)
	s_cmp_lt_i32 s0, 11
	v_add_nc_u64_e32 v[12:13], s[8:9], v[4:5]
	s_cbranch_scc1 .LBB119_439
; %bb.432:
	s_and_b32 s43, 0xffff, s0
	s_delay_alu instid0(SALU_CYCLE_1)
	s_cmp_gt_i32 s43, 25
	s_cbranch_scc0 .LBB119_441
; %bb.433:
	s_cmp_gt_i32 s43, 28
	s_cbranch_scc0 .LBB119_443
; %bb.434:
	;; [unrolled: 3-line block ×4, first 2 shown]
	s_cmp_eq_u32 s43, 46
	s_mov_b32 s45, 0
	s_cbranch_scc0 .LBB119_572
; %bb.437:
	global_load_b32 v4, v[12:13], off
	s_mov_b32 s44, -1
	s_mov_b32 s27, 0
	s_wait_loadcnt 0x0
	v_lshlrev_b32_e32 v5, 16, v4
	s_wait_xcnt 0x1
	v_and_b32_e32 v6, 0xffff0000, v4
	s_delay_alu instid0(VALU_DEP_2) | instskip(NEXT) | instid1(VALU_DEP_2)
	v_cvt_f64_f32_e32 v[4:5], v5
	v_cvt_f64_f32_e32 v[6:7], v6
	s_branch .LBB119_574
.LBB119_438:
	s_mov_b32 s44, -1
	s_mov_b32 s43, 0
	s_mov_b32 s26, s41
                                        ; implicit-def: $vgpr2_vgpr3
	s_branch .LBB119_482
.LBB119_439:
	s_mov_b32 s43, -1
	s_mov_b32 s44, 0
	s_mov_b32 s27, s40
                                        ; implicit-def: $vgpr6_vgpr7
	s_branch .LBB119_642
.LBB119_440:
	s_mov_b32 s44, -1
	s_mov_b32 s43, 0
	s_mov_b32 s26, s41
                                        ; implicit-def: $vgpr2_vgpr3
	s_branch .LBB119_463
.LBB119_441:
	s_mov_b32 s45, -1
	s_mov_b32 s44, 0
	s_mov_b32 s27, s40
                                        ; implicit-def: $vgpr6_vgpr7
	s_branch .LBB119_605
.LBB119_442:
	s_mov_b32 s44, -1
	s_mov_b32 s43, 0
	s_mov_b32 s26, s41
                                        ; implicit-def: $vgpr2_vgpr3
	s_branch .LBB119_457
.LBB119_443:
	s_mov_b32 s45, -1
	s_mov_b32 s44, 0
	s_mov_b32 s27, s40
                                        ; implicit-def: $vgpr6_vgpr7
	s_branch .LBB119_586
.LBB119_444:
	s_mov_b32 s44, -1
	s_mov_b32 s43, 0
	s_mov_b32 s26, s41
	s_branch .LBB119_449
.LBB119_445:
	s_mov_b32 s45, -1
	s_mov_b32 s44, 0
	s_mov_b32 s27, s40
                                        ; implicit-def: $vgpr6_vgpr7
	s_branch .LBB119_580
.LBB119_446:
	s_and_not1_saveexec_b32 s45, s45
	s_cbranch_execz .LBB119_199
.LBB119_447:
	v_add_f32_e32 v2, 0x46000000, v3
	s_and_not1_b32 s44, s44, exec_lo
	s_delay_alu instid0(VALU_DEP_1) | instskip(NEXT) | instid1(VALU_DEP_1)
	v_and_b32_e32 v2, 0xff, v2
	v_cmp_ne_u32_e32 vcc_lo, 0, v2
	s_and_b32 s46, vcc_lo, exec_lo
	s_delay_alu instid0(SALU_CYCLE_1)
	s_or_b32 s44, s44, s46
	s_or_b32 exec_lo, exec_lo, s45
	v_mov_b32_e32 v4, 0
	s_and_saveexec_b32 s45, s44
	s_cbranch_execnz .LBB119_200
	s_branch .LBB119_201
.LBB119_448:
	s_mov_b32 s26, -1
	s_mov_b32 s43, 0
.LBB119_449:
                                        ; implicit-def: $vgpr2_vgpr3
.LBB119_450:
	s_and_b32 vcc_lo, exec_lo, s44
	s_cbranch_vccz .LBB119_456
; %bb.451:
	s_cmp_eq_u32 s27, 44
	s_cbranch_scc0 .LBB119_454
; %bb.452:
	global_load_u8 v2, v[6:7], off
	s_mov_b32 s26, 0
	s_mov_b32 s43, -1
	s_wait_loadcnt 0x0
	v_cmp_ne_u32_e32 vcc_lo, 0xff, v2
	v_lshlrev_b32_e32 v0, 23, v2
	s_delay_alu instid0(VALU_DEP_1) | instskip(NEXT) | instid1(VALU_DEP_1)
	v_cvt_f64_f32_e32 v[0:1], v0
	v_cndmask_b32_e32 v0, 0x20000000, v0, vcc_lo
	s_delay_alu instid0(VALU_DEP_2) | instskip(SKIP_1) | instid1(VALU_DEP_2)
	v_cndmask_b32_e32 v1, 0x7ff80000, v1, vcc_lo
	v_cmp_ne_u32_e32 vcc_lo, 0, v2
	v_cndmask_b32_e32 v1, 0x38000000, v1, vcc_lo
	s_delay_alu instid0(VALU_DEP_4)
	v_cndmask_b32_e32 v0, 0, v0, vcc_lo
	s_branch .LBB119_455
.LBB119_453:
	s_mov_b32 s45, -1
	s_mov_b32 s44, 0
	s_mov_b32 s27, s40
	s_branch .LBB119_573
.LBB119_454:
	s_mov_b32 s26, -1
                                        ; implicit-def: $vgpr0_vgpr1
.LBB119_455:
	v_mov_b64_e32 v[2:3], 0
.LBB119_456:
	s_mov_b32 s44, 0
.LBB119_457:
	s_delay_alu instid0(SALU_CYCLE_1)
	s_and_b32 vcc_lo, exec_lo, s44
	s_cbranch_vccz .LBB119_462
; %bb.458:
	s_cmp_eq_u32 s27, 29
	s_cbranch_scc0 .LBB119_460
; %bb.459:
	global_load_b64 v[0:1], v[6:7], off
	s_mov_b32 s43, -1
	s_mov_b32 s26, 0
	s_wait_loadcnt 0x0
	v_cvt_f64_u32_e32 v[2:3], v1
	v_cvt_f64_u32_e32 v[0:1], v0
	s_delay_alu instid0(VALU_DEP_2) | instskip(NEXT) | instid1(VALU_DEP_1)
	v_ldexp_f64 v[2:3], v[2:3], 32
	v_add_f64_e32 v[0:1], v[2:3], v[0:1]
	s_branch .LBB119_461
.LBB119_460:
	s_mov_b32 s26, -1
                                        ; implicit-def: $vgpr0_vgpr1
.LBB119_461:
	v_mov_b64_e32 v[2:3], 0
.LBB119_462:
	s_mov_b32 s44, 0
.LBB119_463:
	s_delay_alu instid0(SALU_CYCLE_1)
	s_and_b32 vcc_lo, exec_lo, s44
	s_cbranch_vccz .LBB119_481
; %bb.464:
	s_cmp_lt_i32 s27, 27
	s_cbranch_scc1 .LBB119_467
; %bb.465:
	s_cmp_gt_i32 s27, 27
	s_cbranch_scc0 .LBB119_468
; %bb.466:
	global_load_b32 v0, v[6:7], off
	s_mov_b32 s43, 0
	s_wait_loadcnt 0x0
	v_cvt_f64_u32_e32 v[0:1], v0
	s_branch .LBB119_469
.LBB119_467:
	s_mov_b32 s43, -1
                                        ; implicit-def: $vgpr0_vgpr1
	s_branch .LBB119_472
.LBB119_468:
	s_mov_b32 s43, -1
                                        ; implicit-def: $vgpr0_vgpr1
.LBB119_469:
	s_delay_alu instid0(SALU_CYCLE_1)
	s_and_not1_b32 vcc_lo, exec_lo, s43
	s_cbranch_vccnz .LBB119_471
; %bb.470:
	global_load_u16 v0, v[6:7], off
	s_wait_loadcnt 0x0
	v_cvt_f64_u32_e32 v[0:1], v0
.LBB119_471:
	s_mov_b32 s43, 0
.LBB119_472:
	s_delay_alu instid0(SALU_CYCLE_1)
	s_and_not1_b32 vcc_lo, exec_lo, s43
	s_cbranch_vccnz .LBB119_480
; %bb.473:
	global_load_u8 v2, v[6:7], off
	s_mov_b32 s43, 0
	s_mov_b32 s44, exec_lo
	s_wait_loadcnt 0x0
	v_cmpx_lt_i16_e32 0x7f, v2
	s_xor_b32 s44, exec_lo, s44
	s_cbranch_execz .LBB119_494
; %bb.474:
	s_mov_b32 s43, -1
	s_mov_b32 s45, exec_lo
	v_cmpx_eq_u16_e32 0x80, v2
; %bb.475:
	s_xor_b32 s43, exec_lo, -1
; %bb.476:
	s_or_b32 exec_lo, exec_lo, s45
	s_delay_alu instid0(SALU_CYCLE_1)
	s_and_b32 s43, s43, exec_lo
	s_or_saveexec_b32 s44, s44
	v_mov_b64_e32 v[0:1], 0x7ff8000020000000
	s_xor_b32 exec_lo, exec_lo, s44
	s_cbranch_execnz .LBB119_495
.LBB119_477:
	s_or_b32 exec_lo, exec_lo, s44
	s_and_saveexec_b32 s44, s43
	s_cbranch_execz .LBB119_479
.LBB119_478:
	v_and_b32_e32 v0, 0xffff, v2
	s_delay_alu instid0(VALU_DEP_1) | instskip(SKIP_1) | instid1(VALU_DEP_2)
	v_and_b32_e32 v1, 7, v0
	v_bfe_u32 v9, v0, 3, 4
	v_clz_i32_u32_e32 v3, v1
	s_delay_alu instid0(VALU_DEP_2) | instskip(NEXT) | instid1(VALU_DEP_2)
	v_cmp_eq_u32_e32 vcc_lo, 0, v9
	v_min_u32_e32 v3, 32, v3
	s_delay_alu instid0(VALU_DEP_1) | instskip(NEXT) | instid1(VALU_DEP_1)
	v_subrev_nc_u32_e32 v5, 28, v3
	v_dual_lshlrev_b32 v0, v5, v0 :: v_dual_sub_nc_u32 v3, 29, v3
	s_delay_alu instid0(VALU_DEP_1) | instskip(NEXT) | instid1(VALU_DEP_2)
	v_dual_lshlrev_b32 v2, 24, v2 :: v_dual_bitop2_b32 v0, 7, v0 bitop3:0x40
	v_cndmask_b32_e32 v3, v9, v3, vcc_lo
	s_delay_alu instid0(VALU_DEP_2) | instskip(NEXT) | instid1(VALU_DEP_3)
	v_cndmask_b32_e32 v0, v1, v0, vcc_lo
	v_and_b32_e32 v1, 0x80000000, v2
	s_delay_alu instid0(VALU_DEP_3) | instskip(NEXT) | instid1(VALU_DEP_3)
	v_lshl_add_u32 v2, v3, 23, 0x3b800000
	v_lshlrev_b32_e32 v0, 20, v0
	s_delay_alu instid0(VALU_DEP_1) | instskip(NEXT) | instid1(VALU_DEP_1)
	v_or3_b32 v0, v1, v2, v0
	v_cvt_f64_f32_e32 v[0:1], v0
.LBB119_479:
	s_or_b32 exec_lo, exec_lo, s44
.LBB119_480:
	v_mov_b64_e32 v[2:3], 0
	s_mov_b32 s43, -1
.LBB119_481:
	s_mov_b32 s44, 0
.LBB119_482:
	s_delay_alu instid0(SALU_CYCLE_1)
	s_and_b32 vcc_lo, exec_lo, s44
	s_cbranch_vccz .LBB119_518
; %bb.483:
	s_cmp_gt_i32 s27, 22
	s_cbranch_scc0 .LBB119_493
; %bb.484:
	s_cmp_lt_i32 s27, 24
	s_cbranch_scc1 .LBB119_496
; %bb.485:
	s_cmp_gt_i32 s27, 24
	s_cbranch_scc0 .LBB119_497
; %bb.486:
	global_load_u8 v2, v[6:7], off
	s_mov_b32 s43, 0
	s_mov_b32 s44, exec_lo
	s_wait_loadcnt 0x0
	v_cmpx_lt_i16_e32 0x7f, v2
	s_xor_b32 s44, exec_lo, s44
	s_cbranch_execz .LBB119_509
; %bb.487:
	s_mov_b32 s43, -1
	s_mov_b32 s45, exec_lo
	v_cmpx_eq_u16_e32 0x80, v2
; %bb.488:
	s_xor_b32 s43, exec_lo, -1
; %bb.489:
	s_or_b32 exec_lo, exec_lo, s45
	s_delay_alu instid0(SALU_CYCLE_1)
	s_and_b32 s43, s43, exec_lo
	s_or_saveexec_b32 s44, s44
	v_mov_b64_e32 v[0:1], 0x7ff8000020000000
	s_xor_b32 exec_lo, exec_lo, s44
	s_cbranch_execnz .LBB119_510
.LBB119_490:
	s_or_b32 exec_lo, exec_lo, s44
	s_and_saveexec_b32 s44, s43
	s_cbranch_execz .LBB119_492
.LBB119_491:
	v_and_b32_e32 v0, 0xffff, v2
	s_delay_alu instid0(VALU_DEP_1) | instskip(SKIP_1) | instid1(VALU_DEP_2)
	v_and_b32_e32 v1, 3, v0
	v_bfe_u32 v9, v0, 2, 5
	v_clz_i32_u32_e32 v3, v1
	s_delay_alu instid0(VALU_DEP_2) | instskip(NEXT) | instid1(VALU_DEP_2)
	v_cmp_eq_u32_e32 vcc_lo, 0, v9
	v_min_u32_e32 v3, 32, v3
	s_delay_alu instid0(VALU_DEP_1) | instskip(NEXT) | instid1(VALU_DEP_1)
	v_subrev_nc_u32_e32 v5, 29, v3
	v_dual_lshlrev_b32 v0, v5, v0 :: v_dual_sub_nc_u32 v3, 30, v3
	s_delay_alu instid0(VALU_DEP_1) | instskip(NEXT) | instid1(VALU_DEP_2)
	v_dual_lshlrev_b32 v2, 24, v2 :: v_dual_bitop2_b32 v0, 3, v0 bitop3:0x40
	v_cndmask_b32_e32 v3, v9, v3, vcc_lo
	s_delay_alu instid0(VALU_DEP_2) | instskip(NEXT) | instid1(VALU_DEP_3)
	v_cndmask_b32_e32 v0, v1, v0, vcc_lo
	v_and_b32_e32 v1, 0x80000000, v2
	s_delay_alu instid0(VALU_DEP_3) | instskip(NEXT) | instid1(VALU_DEP_3)
	v_lshl_add_u32 v2, v3, 23, 0x37800000
	v_lshlrev_b32_e32 v0, 21, v0
	s_delay_alu instid0(VALU_DEP_1) | instskip(NEXT) | instid1(VALU_DEP_1)
	v_or3_b32 v0, v1, v2, v0
	v_cvt_f64_f32_e32 v[0:1], v0
.LBB119_492:
	s_or_b32 exec_lo, exec_lo, s44
	s_mov_b32 s43, 0
	s_branch .LBB119_498
.LBB119_493:
	s_mov_b32 s44, -1
                                        ; implicit-def: $vgpr0_vgpr1
	s_branch .LBB119_504
.LBB119_494:
	s_or_saveexec_b32 s44, s44
	v_mov_b64_e32 v[0:1], 0x7ff8000020000000
	s_xor_b32 exec_lo, exec_lo, s44
	s_cbranch_execz .LBB119_477
.LBB119_495:
	v_cmp_ne_u16_e32 vcc_lo, 0, v2
	v_mov_b64_e32 v[0:1], 0
	s_and_not1_b32 s43, s43, exec_lo
	s_and_b32 s45, vcc_lo, exec_lo
	s_delay_alu instid0(SALU_CYCLE_1)
	s_or_b32 s43, s43, s45
	s_or_b32 exec_lo, exec_lo, s44
	s_and_saveexec_b32 s44, s43
	s_cbranch_execnz .LBB119_478
	s_branch .LBB119_479
.LBB119_496:
	s_mov_b32 s43, -1
                                        ; implicit-def: $vgpr0_vgpr1
	s_branch .LBB119_501
.LBB119_497:
	s_mov_b32 s43, -1
                                        ; implicit-def: $vgpr0_vgpr1
.LBB119_498:
	s_delay_alu instid0(SALU_CYCLE_1)
	s_and_b32 vcc_lo, exec_lo, s43
	s_cbranch_vccz .LBB119_500
; %bb.499:
	global_load_u8 v0, v[6:7], off
	s_wait_loadcnt 0x0
	v_lshlrev_b32_e32 v0, 24, v0
	s_delay_alu instid0(VALU_DEP_1) | instskip(NEXT) | instid1(VALU_DEP_1)
	v_and_b32_e32 v1, 0x7f000000, v0
	v_clz_i32_u32_e32 v2, v1
	v_add_nc_u32_e32 v5, 0x1000000, v1
	v_cmp_ne_u32_e32 vcc_lo, 0, v1
	s_delay_alu instid0(VALU_DEP_3) | instskip(NEXT) | instid1(VALU_DEP_1)
	v_min_u32_e32 v2, 32, v2
	v_sub_nc_u32_e64 v2, v2, 4 clamp
	s_delay_alu instid0(VALU_DEP_1) | instskip(NEXT) | instid1(VALU_DEP_1)
	v_dual_lshlrev_b32 v3, v2, v1 :: v_dual_lshlrev_b32 v2, 23, v2
	v_lshrrev_b32_e32 v3, 4, v3
	s_delay_alu instid0(VALU_DEP_1) | instskip(NEXT) | instid1(VALU_DEP_1)
	v_dual_sub_nc_u32 v2, v3, v2 :: v_dual_ashrrev_i32 v3, 8, v5
	v_add_nc_u32_e32 v2, 0x3c000000, v2
	s_delay_alu instid0(VALU_DEP_1) | instskip(NEXT) | instid1(VALU_DEP_1)
	v_and_or_b32 v2, 0x7f800000, v3, v2
	v_cndmask_b32_e32 v1, 0, v2, vcc_lo
	s_delay_alu instid0(VALU_DEP_1) | instskip(NEXT) | instid1(VALU_DEP_1)
	v_and_or_b32 v0, 0x80000000, v0, v1
	v_cvt_f64_f32_e32 v[0:1], v0
.LBB119_500:
	s_mov_b32 s43, 0
.LBB119_501:
	s_delay_alu instid0(SALU_CYCLE_1)
	s_and_not1_b32 vcc_lo, exec_lo, s43
	s_cbranch_vccnz .LBB119_503
; %bb.502:
	global_load_u8 v0, v[6:7], off
	s_wait_loadcnt 0x0
	v_lshlrev_b32_e32 v1, 25, v0
	v_lshlrev_b16 v0, 8, v0
	s_delay_alu instid0(VALU_DEP_1) | instskip(SKIP_1) | instid1(VALU_DEP_2)
	v_and_or_b32 v3, 0x7f00, v0, 0.5
	v_bfe_i32 v0, v0, 0, 16
	v_dual_add_f32 v3, -0.5, v3 :: v_dual_lshrrev_b32 v2, 4, v1
	v_cmp_gt_u32_e32 vcc_lo, 0x8000000, v1
	s_delay_alu instid0(VALU_DEP_2) | instskip(NEXT) | instid1(VALU_DEP_1)
	v_or_b32_e32 v2, 0x70000000, v2
	v_mul_f32_e32 v2, 0x7800000, v2
	s_delay_alu instid0(VALU_DEP_1) | instskip(NEXT) | instid1(VALU_DEP_1)
	v_cndmask_b32_e32 v1, v2, v3, vcc_lo
	v_and_or_b32 v0, 0x80000000, v0, v1
	s_delay_alu instid0(VALU_DEP_1)
	v_cvt_f64_f32_e32 v[0:1], v0
.LBB119_503:
	s_mov_b32 s44, 0
	s_mov_b32 s43, -1
.LBB119_504:
	s_and_not1_b32 vcc_lo, exec_lo, s44
	s_cbranch_vccnz .LBB119_517
; %bb.505:
	s_cmp_gt_i32 s27, 14
	s_cbranch_scc0 .LBB119_508
; %bb.506:
	s_cmp_eq_u32 s27, 15
	s_cbranch_scc0 .LBB119_511
; %bb.507:
	global_load_u16 v0, v[6:7], off
	s_mov_b32 s43, -1
	s_mov_b32 s26, 0
	s_wait_loadcnt 0x0
	v_lshlrev_b32_e32 v0, 16, v0
	s_delay_alu instid0(VALU_DEP_1)
	v_cvt_f64_f32_e32 v[0:1], v0
	s_branch .LBB119_512
.LBB119_508:
	s_mov_b32 s44, -1
                                        ; implicit-def: $vgpr0_vgpr1
	s_branch .LBB119_513
.LBB119_509:
	s_or_saveexec_b32 s44, s44
	v_mov_b64_e32 v[0:1], 0x7ff8000020000000
	s_xor_b32 exec_lo, exec_lo, s44
	s_cbranch_execz .LBB119_490
.LBB119_510:
	v_cmp_ne_u16_e32 vcc_lo, 0, v2
	v_mov_b64_e32 v[0:1], 0
	s_and_not1_b32 s43, s43, exec_lo
	s_and_b32 s45, vcc_lo, exec_lo
	s_delay_alu instid0(SALU_CYCLE_1)
	s_or_b32 s43, s43, s45
	s_or_b32 exec_lo, exec_lo, s44
	s_and_saveexec_b32 s44, s43
	s_cbranch_execnz .LBB119_491
	s_branch .LBB119_492
.LBB119_511:
	s_mov_b32 s26, -1
                                        ; implicit-def: $vgpr0_vgpr1
.LBB119_512:
	s_mov_b32 s44, 0
.LBB119_513:
	s_delay_alu instid0(SALU_CYCLE_1)
	s_and_b32 vcc_lo, exec_lo, s44
	s_cbranch_vccz .LBB119_517
; %bb.514:
	s_cmp_eq_u32 s27, 11
	s_cbranch_scc0 .LBB119_516
; %bb.515:
	global_load_u8 v0, v[6:7], off
	s_mov_b32 s26, 0
	s_mov_b32 s43, -1
	v_mov_b64_e32 v[2:3], 0
	s_wait_loadcnt 0x0
	v_cmp_ne_u16_e32 vcc_lo, 0, v0
	v_mov_b32_e32 v0, 0
	v_cndmask_b32_e64 v1, 0, 0x3ff00000, vcc_lo
	s_branch .LBB119_518
.LBB119_516:
	s_mov_b32 s26, -1
                                        ; implicit-def: $vgpr0_vgpr1
.LBB119_517:
	v_mov_b64_e32 v[2:3], 0
.LBB119_518:
	s_branch .LBB119_430
.LBB119_519:
	s_and_b32 s0, 0xffff, s0
	s_delay_alu instid0(SALU_CYCLE_1)
	s_cmp_lt_i32 s0, 5
	s_cbranch_scc1 .LBB119_524
; %bb.520:
	s_cmp_lt_i32 s0, 8
	s_cbranch_scc1 .LBB119_525
; %bb.521:
	;; [unrolled: 3-line block ×3, first 2 shown]
	s_cmp_gt_i32 s0, 9
	s_cbranch_scc0 .LBB119_527
; %bb.523:
	global_load_b128 v[0:3], v[6:7], off
	s_mov_b32 s27, 0
	s_branch .LBB119_528
.LBB119_524:
	s_mov_b32 s27, -1
                                        ; implicit-def: $vgpr2_vgpr3
	s_branch .LBB119_547
.LBB119_525:
	s_mov_b32 s27, -1
                                        ; implicit-def: $vgpr2_vgpr3
	s_branch .LBB119_534
.LBB119_526:
	s_mov_b32 s27, -1
                                        ; implicit-def: $vgpr2_vgpr3
	s_branch .LBB119_531
.LBB119_527:
	s_mov_b32 s27, -1
                                        ; implicit-def: $vgpr2_vgpr3
.LBB119_528:
	s_delay_alu instid0(SALU_CYCLE_1)
	s_and_not1_b32 vcc_lo, exec_lo, s27
	s_cbranch_vccnz .LBB119_530
; %bb.529:
	s_wait_loadcnt 0x0
	global_load_b64 v[2:3], v[6:7], off
	s_wait_loadcnt 0x0
	v_cvt_f64_f32_e32 v[0:1], v2
	v_cvt_f64_f32_e32 v[2:3], v3
.LBB119_530:
	s_mov_b32 s27, 0
.LBB119_531:
	s_delay_alu instid0(SALU_CYCLE_1)
	s_and_not1_b32 vcc_lo, exec_lo, s27
	s_cbranch_vccnz .LBB119_533
; %bb.532:
	s_wait_loadcnt 0x0
	global_load_b32 v0, v[6:7], off
	s_wait_loadcnt 0x0
	v_lshrrev_b32_e32 v1, 16, v0
	v_cvt_f32_f16_e32 v0, v0
	s_delay_alu instid0(VALU_DEP_2) | instskip(NEXT) | instid1(VALU_DEP_2)
	v_cvt_f32_f16_e32 v2, v1
	v_cvt_f64_f32_e32 v[0:1], v0
	s_delay_alu instid0(VALU_DEP_2)
	v_cvt_f64_f32_e32 v[2:3], v2
.LBB119_533:
	s_mov_b32 s27, 0
.LBB119_534:
	s_delay_alu instid0(SALU_CYCLE_1)
	s_and_not1_b32 vcc_lo, exec_lo, s27
	s_cbranch_vccnz .LBB119_546
; %bb.535:
	s_cmp_lt_i32 s0, 6
	s_cbranch_scc1 .LBB119_538
; %bb.536:
	s_cmp_gt_i32 s0, 6
	s_cbranch_scc0 .LBB119_539
; %bb.537:
	s_wait_loadcnt 0x0
	global_load_b64 v[0:1], v[6:7], off
	s_mov_b32 s27, 0
	s_branch .LBB119_540
.LBB119_538:
	s_mov_b32 s27, -1
                                        ; implicit-def: $vgpr0_vgpr1
	s_branch .LBB119_543
.LBB119_539:
	s_mov_b32 s27, -1
                                        ; implicit-def: $vgpr0_vgpr1
.LBB119_540:
	s_delay_alu instid0(SALU_CYCLE_1)
	s_and_not1_b32 vcc_lo, exec_lo, s27
	s_cbranch_vccnz .LBB119_542
; %bb.541:
	s_wait_loadcnt 0x0
	global_load_b32 v0, v[6:7], off
	s_wait_loadcnt 0x0
	v_cvt_f64_f32_e32 v[0:1], v0
.LBB119_542:
	s_mov_b32 s27, 0
.LBB119_543:
	s_delay_alu instid0(SALU_CYCLE_1)
	s_and_not1_b32 vcc_lo, exec_lo, s27
	s_cbranch_vccnz .LBB119_545
; %bb.544:
	s_wait_loadcnt 0x0
	global_load_u16 v0, v[6:7], off
	s_wait_loadcnt 0x0
	v_cvt_f32_f16_e32 v0, v0
	s_delay_alu instid0(VALU_DEP_1)
	v_cvt_f64_f32_e32 v[0:1], v0
.LBB119_545:
	s_wait_loadcnt 0x0
	v_mov_b64_e32 v[2:3], 0
.LBB119_546:
	s_mov_b32 s27, 0
.LBB119_547:
	s_delay_alu instid0(SALU_CYCLE_1)
	s_and_not1_b32 vcc_lo, exec_lo, s27
	s_cbranch_vccnz .LBB119_568
; %bb.548:
	s_cmp_lt_i32 s0, 2
	s_cbranch_scc1 .LBB119_552
; %bb.549:
	s_cmp_lt_i32 s0, 3
	s_cbranch_scc1 .LBB119_553
; %bb.550:
	s_cmp_gt_i32 s0, 3
	s_cbranch_scc0 .LBB119_554
; %bb.551:
	s_wait_loadcnt 0x0
	global_load_b64 v[0:1], v[6:7], off
	s_mov_b32 s27, 0
	s_wait_loadcnt 0x0
	v_cvt_f64_i32_e32 v[2:3], v1
	v_cvt_f64_u32_e32 v[0:1], v0
	s_delay_alu instid0(VALU_DEP_2) | instskip(NEXT) | instid1(VALU_DEP_1)
	v_ldexp_f64 v[2:3], v[2:3], 32
	v_add_f64_e32 v[0:1], v[2:3], v[0:1]
	s_branch .LBB119_555
.LBB119_552:
	s_mov_b32 s27, -1
                                        ; implicit-def: $vgpr0_vgpr1
	s_branch .LBB119_561
.LBB119_553:
	s_mov_b32 s27, -1
                                        ; implicit-def: $vgpr0_vgpr1
	s_branch .LBB119_558
.LBB119_554:
	s_mov_b32 s27, -1
                                        ; implicit-def: $vgpr0_vgpr1
.LBB119_555:
	s_delay_alu instid0(SALU_CYCLE_1)
	s_and_not1_b32 vcc_lo, exec_lo, s27
	s_cbranch_vccnz .LBB119_557
; %bb.556:
	s_wait_loadcnt 0x0
	global_load_b32 v0, v[6:7], off
	s_wait_loadcnt 0x0
	v_cvt_f64_i32_e32 v[0:1], v0
.LBB119_557:
	s_mov_b32 s27, 0
.LBB119_558:
	s_delay_alu instid0(SALU_CYCLE_1)
	s_and_not1_b32 vcc_lo, exec_lo, s27
	s_cbranch_vccnz .LBB119_560
; %bb.559:
	s_wait_loadcnt 0x0
	global_load_i16 v0, v[6:7], off
	s_wait_loadcnt 0x0
	v_cvt_f64_i32_e32 v[0:1], v0
.LBB119_560:
	s_mov_b32 s27, 0
.LBB119_561:
	s_delay_alu instid0(SALU_CYCLE_1)
	s_and_not1_b32 vcc_lo, exec_lo, s27
	s_cbranch_vccnz .LBB119_567
; %bb.562:
	s_cmp_gt_i32 s0, 0
	s_mov_b32 s0, 0
	s_cbranch_scc0 .LBB119_564
; %bb.563:
	s_wait_loadcnt 0x0
	global_load_i8 v0, v[6:7], off
	s_wait_loadcnt 0x0
	v_cvt_f64_i32_e32 v[0:1], v0
	s_branch .LBB119_565
.LBB119_564:
	s_mov_b32 s0, -1
                                        ; implicit-def: $vgpr0_vgpr1
.LBB119_565:
	s_delay_alu instid0(SALU_CYCLE_1)
	s_and_not1_b32 vcc_lo, exec_lo, s0
	s_cbranch_vccnz .LBB119_567
; %bb.566:
	s_wait_loadcnt 0x0
	global_load_u8 v0, v[6:7], off
	s_wait_loadcnt 0x0
	v_cvt_f64_u32_e32 v[0:1], v0
.LBB119_567:
	s_wait_loadcnt 0x0
	v_mov_b64_e32 v[2:3], 0
.LBB119_568:
	s_branch .LBB119_431
.LBB119_569:
	s_mov_b32 s47, 0
	s_mov_b32 s0, s39
	;; [unrolled: 1-line block ×3, first 2 shown]
	s_branch .LBB119_823
.LBB119_570:
	s_and_not1_saveexec_b32 s45, s45
	s_cbranch_execz .LBB119_212
.LBB119_571:
	v_add_f32_e32 v2, 0x42800000, v3
	s_and_not1_b32 s44, s44, exec_lo
	s_delay_alu instid0(VALU_DEP_1) | instskip(NEXT) | instid1(VALU_DEP_1)
	v_and_b32_e32 v2, 0xff, v2
	v_cmp_ne_u32_e32 vcc_lo, 0, v2
	s_and_b32 s46, vcc_lo, exec_lo
	s_delay_alu instid0(SALU_CYCLE_1)
	s_or_b32 s44, s44, s46
	s_or_b32 exec_lo, exec_lo, s45
	v_mov_b32_e32 v4, 0
	s_and_saveexec_b32 s45, s44
	s_cbranch_execnz .LBB119_213
	s_branch .LBB119_214
.LBB119_572:
	s_mov_b32 s27, -1
	s_mov_b32 s44, 0
.LBB119_573:
                                        ; implicit-def: $vgpr6_vgpr7
.LBB119_574:
	s_and_b32 vcc_lo, exec_lo, s45
	s_cbranch_vccz .LBB119_579
; %bb.575:
	s_cmp_eq_u32 s43, 44
	s_cbranch_scc0 .LBB119_577
; %bb.576:
	global_load_u8 v6, v[12:13], off
	s_mov_b32 s27, 0
	s_mov_b32 s44, -1
	s_wait_loadcnt 0x0
	v_cmp_ne_u32_e32 vcc_lo, 0xff, v6
	v_lshlrev_b32_e32 v4, 23, v6
	s_delay_alu instid0(VALU_DEP_1) | instskip(NEXT) | instid1(VALU_DEP_1)
	v_cvt_f64_f32_e32 v[4:5], v4
	v_cndmask_b32_e32 v4, 0x20000000, v4, vcc_lo
	s_delay_alu instid0(VALU_DEP_2) | instskip(SKIP_1) | instid1(VALU_DEP_2)
	v_cndmask_b32_e32 v5, 0x7ff80000, v5, vcc_lo
	v_cmp_ne_u32_e32 vcc_lo, 0, v6
	v_cndmask_b32_e32 v5, 0x38000000, v5, vcc_lo
	s_delay_alu instid0(VALU_DEP_4)
	v_cndmask_b32_e32 v4, 0, v4, vcc_lo
	s_branch .LBB119_578
.LBB119_577:
	s_mov_b32 s27, -1
                                        ; implicit-def: $vgpr4_vgpr5
.LBB119_578:
	s_wait_xcnt 0x0
	v_mov_b64_e32 v[6:7], 0
.LBB119_579:
	s_mov_b32 s45, 0
.LBB119_580:
	s_delay_alu instid0(SALU_CYCLE_1)
	s_and_b32 vcc_lo, exec_lo, s45
	s_cbranch_vccz .LBB119_585
; %bb.581:
	s_cmp_eq_u32 s43, 29
	s_cbranch_scc0 .LBB119_583
; %bb.582:
	global_load_b64 v[4:5], v[12:13], off
	s_mov_b32 s44, -1
	s_mov_b32 s27, 0
	s_wait_loadcnt 0x0
	s_wait_xcnt 0x1
	v_cvt_f64_u32_e32 v[6:7], v5
	v_cvt_f64_u32_e32 v[4:5], v4
	s_delay_alu instid0(VALU_DEP_2) | instskip(NEXT) | instid1(VALU_DEP_1)
	v_ldexp_f64 v[6:7], v[6:7], 32
	v_add_f64_e32 v[4:5], v[6:7], v[4:5]
	s_branch .LBB119_584
.LBB119_583:
	s_mov_b32 s27, -1
                                        ; implicit-def: $vgpr4_vgpr5
.LBB119_584:
	s_wait_xcnt 0x0
	v_mov_b64_e32 v[6:7], 0
.LBB119_585:
	s_mov_b32 s45, 0
.LBB119_586:
	s_delay_alu instid0(SALU_CYCLE_1)
	s_and_b32 vcc_lo, exec_lo, s45
	s_cbranch_vccz .LBB119_604
; %bb.587:
	s_cmp_lt_i32 s43, 27
	s_cbranch_scc1 .LBB119_590
; %bb.588:
	s_cmp_gt_i32 s43, 27
	s_cbranch_scc0 .LBB119_591
; %bb.589:
	global_load_b32 v4, v[12:13], off
	s_mov_b32 s44, 0
	s_wait_loadcnt 0x0
	v_cvt_f64_u32_e32 v[4:5], v4
	s_branch .LBB119_592
.LBB119_590:
	s_mov_b32 s44, -1
                                        ; implicit-def: $vgpr4_vgpr5
	s_branch .LBB119_595
.LBB119_591:
	s_mov_b32 s44, -1
                                        ; implicit-def: $vgpr4_vgpr5
.LBB119_592:
	s_delay_alu instid0(SALU_CYCLE_1)
	s_and_not1_b32 vcc_lo, exec_lo, s44
	s_cbranch_vccnz .LBB119_594
; %bb.593:
	global_load_u16 v4, v[12:13], off
	s_wait_loadcnt 0x0
	v_cvt_f64_u32_e32 v[4:5], v4
.LBB119_594:
	s_mov_b32 s44, 0
.LBB119_595:
	s_delay_alu instid0(SALU_CYCLE_1)
	s_and_not1_b32 vcc_lo, exec_lo, s44
	s_cbranch_vccnz .LBB119_603
; %bb.596:
	global_load_u8 v6, v[12:13], off
	s_mov_b32 s44, 0
	s_mov_b32 s45, exec_lo
	s_wait_loadcnt 0x0
	v_cmpx_lt_i16_e32 0x7f, v6
	s_xor_b32 s45, exec_lo, s45
	s_cbranch_execz .LBB119_617
; %bb.597:
	s_mov_b32 s44, -1
	s_mov_b32 s47, exec_lo
	v_cmpx_eq_u16_e32 0x80, v6
; %bb.598:
	s_xor_b32 s44, exec_lo, -1
; %bb.599:
	s_or_b32 exec_lo, exec_lo, s47
	s_delay_alu instid0(SALU_CYCLE_1)
	s_and_b32 s44, s44, exec_lo
	s_or_saveexec_b32 s45, s45
	v_mov_b64_e32 v[4:5], 0x7ff8000020000000
	s_xor_b32 exec_lo, exec_lo, s45
	s_cbranch_execnz .LBB119_618
.LBB119_600:
	s_or_b32 exec_lo, exec_lo, s45
	s_and_saveexec_b32 s45, s44
	s_cbranch_execz .LBB119_602
.LBB119_601:
	v_and_b32_e32 v4, 0xffff, v6
	s_delay_alu instid0(VALU_DEP_1) | instskip(SKIP_1) | instid1(VALU_DEP_2)
	v_and_b32_e32 v5, 7, v4
	v_bfe_u32 v11, v4, 3, 4
	v_clz_i32_u32_e32 v7, v5
	s_delay_alu instid0(VALU_DEP_2) | instskip(NEXT) | instid1(VALU_DEP_2)
	v_cmp_eq_u32_e32 vcc_lo, 0, v11
	v_min_u32_e32 v7, 32, v7
	s_delay_alu instid0(VALU_DEP_1) | instskip(NEXT) | instid1(VALU_DEP_1)
	v_subrev_nc_u32_e32 v9, 28, v7
	v_dual_lshlrev_b32 v4, v9, v4 :: v_dual_sub_nc_u32 v7, 29, v7
	s_delay_alu instid0(VALU_DEP_1) | instskip(NEXT) | instid1(VALU_DEP_1)
	v_dual_lshlrev_b32 v6, 24, v6 :: v_dual_bitop2_b32 v4, 7, v4 bitop3:0x40
	v_dual_cndmask_b32 v7, v11, v7 :: v_dual_cndmask_b32 v4, v5, v4
	s_delay_alu instid0(VALU_DEP_2) | instskip(NEXT) | instid1(VALU_DEP_2)
	v_and_b32_e32 v5, 0x80000000, v6
	v_lshl_add_u32 v6, v7, 23, 0x3b800000
	s_delay_alu instid0(VALU_DEP_3) | instskip(NEXT) | instid1(VALU_DEP_1)
	v_lshlrev_b32_e32 v4, 20, v4
	v_or3_b32 v4, v5, v6, v4
	s_delay_alu instid0(VALU_DEP_1)
	v_cvt_f64_f32_e32 v[4:5], v4
.LBB119_602:
	s_or_b32 exec_lo, exec_lo, s45
.LBB119_603:
	s_wait_xcnt 0x0
	v_mov_b64_e32 v[6:7], 0
	s_mov_b32 s44, -1
.LBB119_604:
	s_mov_b32 s45, 0
.LBB119_605:
	s_delay_alu instid0(SALU_CYCLE_1)
	s_and_b32 vcc_lo, exec_lo, s45
	s_cbranch_vccz .LBB119_641
; %bb.606:
	s_cmp_gt_i32 s43, 22
	s_cbranch_scc0 .LBB119_616
; %bb.607:
	s_cmp_lt_i32 s43, 24
	s_cbranch_scc1 .LBB119_619
; %bb.608:
	s_cmp_gt_i32 s43, 24
	s_cbranch_scc0 .LBB119_620
; %bb.609:
	global_load_u8 v6, v[12:13], off
	s_mov_b32 s44, 0
	s_mov_b32 s45, exec_lo
	s_wait_loadcnt 0x0
	v_cmpx_lt_i16_e32 0x7f, v6
	s_xor_b32 s45, exec_lo, s45
	s_cbranch_execz .LBB119_632
; %bb.610:
	s_mov_b32 s44, -1
	s_mov_b32 s47, exec_lo
	v_cmpx_eq_u16_e32 0x80, v6
; %bb.611:
	s_xor_b32 s44, exec_lo, -1
; %bb.612:
	s_or_b32 exec_lo, exec_lo, s47
	s_delay_alu instid0(SALU_CYCLE_1)
	s_and_b32 s44, s44, exec_lo
	s_or_saveexec_b32 s45, s45
	v_mov_b64_e32 v[4:5], 0x7ff8000020000000
	s_xor_b32 exec_lo, exec_lo, s45
	s_cbranch_execnz .LBB119_633
.LBB119_613:
	s_or_b32 exec_lo, exec_lo, s45
	s_and_saveexec_b32 s45, s44
	s_cbranch_execz .LBB119_615
.LBB119_614:
	v_and_b32_e32 v4, 0xffff, v6
	s_delay_alu instid0(VALU_DEP_1) | instskip(SKIP_1) | instid1(VALU_DEP_2)
	v_and_b32_e32 v5, 3, v4
	v_bfe_u32 v11, v4, 2, 5
	v_clz_i32_u32_e32 v7, v5
	s_delay_alu instid0(VALU_DEP_2) | instskip(NEXT) | instid1(VALU_DEP_2)
	v_cmp_eq_u32_e32 vcc_lo, 0, v11
	v_min_u32_e32 v7, 32, v7
	s_delay_alu instid0(VALU_DEP_1) | instskip(NEXT) | instid1(VALU_DEP_1)
	v_subrev_nc_u32_e32 v9, 29, v7
	v_dual_lshlrev_b32 v4, v9, v4 :: v_dual_sub_nc_u32 v7, 30, v7
	s_delay_alu instid0(VALU_DEP_1) | instskip(NEXT) | instid1(VALU_DEP_1)
	v_dual_lshlrev_b32 v6, 24, v6 :: v_dual_bitop2_b32 v4, 3, v4 bitop3:0x40
	v_dual_cndmask_b32 v7, v11, v7 :: v_dual_cndmask_b32 v4, v5, v4
	s_delay_alu instid0(VALU_DEP_2) | instskip(NEXT) | instid1(VALU_DEP_2)
	v_and_b32_e32 v5, 0x80000000, v6
	v_lshl_add_u32 v6, v7, 23, 0x37800000
	s_delay_alu instid0(VALU_DEP_3) | instskip(NEXT) | instid1(VALU_DEP_1)
	v_lshlrev_b32_e32 v4, 21, v4
	v_or3_b32 v4, v5, v6, v4
	s_delay_alu instid0(VALU_DEP_1)
	v_cvt_f64_f32_e32 v[4:5], v4
.LBB119_615:
	s_or_b32 exec_lo, exec_lo, s45
	s_mov_b32 s44, 0
	s_branch .LBB119_621
.LBB119_616:
	s_mov_b32 s45, -1
                                        ; implicit-def: $vgpr4_vgpr5
	s_branch .LBB119_627
.LBB119_617:
	s_or_saveexec_b32 s45, s45
	v_mov_b64_e32 v[4:5], 0x7ff8000020000000
	s_xor_b32 exec_lo, exec_lo, s45
	s_cbranch_execz .LBB119_600
.LBB119_618:
	v_cmp_ne_u16_e32 vcc_lo, 0, v6
	v_mov_b64_e32 v[4:5], 0
	s_and_not1_b32 s44, s44, exec_lo
	s_and_b32 s47, vcc_lo, exec_lo
	s_delay_alu instid0(SALU_CYCLE_1)
	s_or_b32 s44, s44, s47
	s_or_b32 exec_lo, exec_lo, s45
	s_and_saveexec_b32 s45, s44
	s_cbranch_execnz .LBB119_601
	s_branch .LBB119_602
.LBB119_619:
	s_mov_b32 s44, -1
                                        ; implicit-def: $vgpr4_vgpr5
	s_branch .LBB119_624
.LBB119_620:
	s_mov_b32 s44, -1
                                        ; implicit-def: $vgpr4_vgpr5
.LBB119_621:
	s_delay_alu instid0(SALU_CYCLE_1)
	s_and_b32 vcc_lo, exec_lo, s44
	s_cbranch_vccz .LBB119_623
; %bb.622:
	global_load_u8 v4, v[12:13], off
	s_wait_loadcnt 0x0
	v_lshlrev_b32_e32 v4, 24, v4
	s_delay_alu instid0(VALU_DEP_1) | instskip(SKIP_1) | instid1(VALU_DEP_1)
	v_and_b32_e32 v5, 0x7f000000, v4
	s_wait_xcnt 0x1
	v_clz_i32_u32_e32 v6, v5
	v_add_nc_u32_e32 v9, 0x1000000, v5
	v_cmp_ne_u32_e32 vcc_lo, 0, v5
	s_delay_alu instid0(VALU_DEP_3) | instskip(NEXT) | instid1(VALU_DEP_1)
	v_min_u32_e32 v6, 32, v6
	v_sub_nc_u32_e64 v6, v6, 4 clamp
	s_delay_alu instid0(VALU_DEP_1) | instskip(NEXT) | instid1(VALU_DEP_1)
	v_dual_lshlrev_b32 v7, v6, v5 :: v_dual_lshlrev_b32 v6, 23, v6
	v_lshrrev_b32_e32 v7, 4, v7
	s_delay_alu instid0(VALU_DEP_1) | instskip(NEXT) | instid1(VALU_DEP_1)
	v_dual_sub_nc_u32 v6, v7, v6 :: v_dual_ashrrev_i32 v7, 8, v9
	v_add_nc_u32_e32 v6, 0x3c000000, v6
	s_delay_alu instid0(VALU_DEP_1) | instskip(NEXT) | instid1(VALU_DEP_1)
	v_and_or_b32 v6, 0x7f800000, v7, v6
	v_cndmask_b32_e32 v5, 0, v6, vcc_lo
	s_delay_alu instid0(VALU_DEP_1) | instskip(NEXT) | instid1(VALU_DEP_1)
	v_and_or_b32 v4, 0x80000000, v4, v5
	v_cvt_f64_f32_e32 v[4:5], v4
.LBB119_623:
	s_mov_b32 s44, 0
.LBB119_624:
	s_delay_alu instid0(SALU_CYCLE_1)
	s_and_not1_b32 vcc_lo, exec_lo, s44
	s_cbranch_vccnz .LBB119_626
; %bb.625:
	global_load_u8 v4, v[12:13], off
	s_wait_loadcnt 0x0
	v_lshlrev_b32_e32 v5, 25, v4
	v_lshlrev_b16 v4, 8, v4
	s_wait_xcnt 0x1
	s_delay_alu instid0(VALU_DEP_1) | instskip(SKIP_1) | instid1(VALU_DEP_2)
	v_and_or_b32 v7, 0x7f00, v4, 0.5
	v_bfe_i32 v4, v4, 0, 16
	v_dual_add_f32 v7, -0.5, v7 :: v_dual_lshrrev_b32 v6, 4, v5
	v_cmp_gt_u32_e32 vcc_lo, 0x8000000, v5
	s_delay_alu instid0(VALU_DEP_2) | instskip(NEXT) | instid1(VALU_DEP_1)
	v_or_b32_e32 v6, 0x70000000, v6
	v_mul_f32_e32 v6, 0x7800000, v6
	s_delay_alu instid0(VALU_DEP_1) | instskip(NEXT) | instid1(VALU_DEP_1)
	v_cndmask_b32_e32 v5, v6, v7, vcc_lo
	v_and_or_b32 v4, 0x80000000, v4, v5
	s_delay_alu instid0(VALU_DEP_1)
	v_cvt_f64_f32_e32 v[4:5], v4
.LBB119_626:
	s_mov_b32 s45, 0
	s_mov_b32 s44, -1
.LBB119_627:
	s_and_not1_b32 vcc_lo, exec_lo, s45
	s_cbranch_vccnz .LBB119_640
; %bb.628:
	s_cmp_gt_i32 s43, 14
	s_cbranch_scc0 .LBB119_631
; %bb.629:
	s_cmp_eq_u32 s43, 15
	s_cbranch_scc0 .LBB119_634
; %bb.630:
	global_load_u16 v4, v[12:13], off
	s_mov_b32 s44, -1
	s_mov_b32 s27, 0
	s_wait_loadcnt 0x0
	v_lshlrev_b32_e32 v4, 16, v4
	s_delay_alu instid0(VALU_DEP_1)
	v_cvt_f64_f32_e32 v[4:5], v4
	s_branch .LBB119_635
.LBB119_631:
	s_mov_b32 s45, -1
                                        ; implicit-def: $vgpr4_vgpr5
	s_branch .LBB119_636
.LBB119_632:
	s_or_saveexec_b32 s45, s45
	v_mov_b64_e32 v[4:5], 0x7ff8000020000000
	s_xor_b32 exec_lo, exec_lo, s45
	s_cbranch_execz .LBB119_613
.LBB119_633:
	v_cmp_ne_u16_e32 vcc_lo, 0, v6
	v_mov_b64_e32 v[4:5], 0
	s_and_not1_b32 s44, s44, exec_lo
	s_and_b32 s47, vcc_lo, exec_lo
	s_delay_alu instid0(SALU_CYCLE_1)
	s_or_b32 s44, s44, s47
	s_or_b32 exec_lo, exec_lo, s45
	s_and_saveexec_b32 s45, s44
	s_cbranch_execnz .LBB119_614
	s_branch .LBB119_615
.LBB119_634:
	s_mov_b32 s27, -1
                                        ; implicit-def: $vgpr4_vgpr5
.LBB119_635:
	s_mov_b32 s45, 0
.LBB119_636:
	s_delay_alu instid0(SALU_CYCLE_1)
	s_and_b32 vcc_lo, exec_lo, s45
	s_cbranch_vccz .LBB119_640
; %bb.637:
	s_cmp_eq_u32 s43, 11
	s_cbranch_scc0 .LBB119_639
; %bb.638:
	global_load_u8 v4, v[12:13], off
	s_mov_b32 s27, 0
	s_mov_b32 s44, -1
	s_wait_xcnt 0x1
	v_mov_b64_e32 v[6:7], 0
	s_wait_loadcnt 0x0
	v_cmp_ne_u16_e32 vcc_lo, 0, v4
	v_mov_b32_e32 v4, 0
	v_cndmask_b32_e64 v5, 0, 0x3ff00000, vcc_lo
	s_branch .LBB119_641
.LBB119_639:
	s_mov_b32 s27, -1
                                        ; implicit-def: $vgpr4_vgpr5
.LBB119_640:
	s_wait_xcnt 0x0
	v_mov_b64_e32 v[6:7], 0
.LBB119_641:
	s_mov_b32 s43, 0
.LBB119_642:
	s_delay_alu instid0(SALU_CYCLE_1)
	s_and_b32 vcc_lo, exec_lo, s43
	s_cbranch_vccz .LBB119_693
; %bb.643:
	s_and_b32 s0, 0xffff, s0
	s_delay_alu instid0(SALU_CYCLE_1)
	s_cmp_lt_i32 s0, 5
	s_cbranch_scc1 .LBB119_648
; %bb.644:
	s_cmp_lt_i32 s0, 8
	s_cbranch_scc1 .LBB119_649
; %bb.645:
	;; [unrolled: 3-line block ×3, first 2 shown]
	s_cmp_gt_i32 s0, 9
	s_cbranch_scc0 .LBB119_651
; %bb.647:
	global_load_b128 v[4:7], v[12:13], off
	s_mov_b32 s43, 0
	s_branch .LBB119_652
.LBB119_648:
	s_mov_b32 s43, -1
                                        ; implicit-def: $vgpr6_vgpr7
	s_branch .LBB119_671
.LBB119_649:
	s_mov_b32 s43, -1
                                        ; implicit-def: $vgpr6_vgpr7
	s_branch .LBB119_658
.LBB119_650:
	s_mov_b32 s43, -1
                                        ; implicit-def: $vgpr6_vgpr7
	s_branch .LBB119_655
.LBB119_651:
	s_mov_b32 s43, -1
                                        ; implicit-def: $vgpr6_vgpr7
.LBB119_652:
	s_delay_alu instid0(SALU_CYCLE_1)
	s_and_not1_b32 vcc_lo, exec_lo, s43
	s_cbranch_vccnz .LBB119_654
; %bb.653:
	s_wait_loadcnt 0x0
	global_load_b64 v[6:7], v[12:13], off
	s_wait_loadcnt 0x0
	v_cvt_f64_f32_e32 v[4:5], v6
	v_cvt_f64_f32_e32 v[6:7], v7
.LBB119_654:
	s_mov_b32 s43, 0
.LBB119_655:
	s_delay_alu instid0(SALU_CYCLE_1)
	s_and_not1_b32 vcc_lo, exec_lo, s43
	s_cbranch_vccnz .LBB119_657
; %bb.656:
	s_wait_loadcnt 0x0
	global_load_b32 v4, v[12:13], off
	s_wait_loadcnt 0x0
	v_lshrrev_b32_e32 v5, 16, v4
	v_cvt_f32_f16_e32 v4, v4
	s_wait_xcnt 0x1
	s_delay_alu instid0(VALU_DEP_2) | instskip(NEXT) | instid1(VALU_DEP_2)
	v_cvt_f32_f16_e32 v6, v5
	v_cvt_f64_f32_e32 v[4:5], v4
	s_delay_alu instid0(VALU_DEP_2)
	v_cvt_f64_f32_e32 v[6:7], v6
.LBB119_657:
	s_mov_b32 s43, 0
.LBB119_658:
	s_delay_alu instid0(SALU_CYCLE_1)
	s_and_not1_b32 vcc_lo, exec_lo, s43
	s_cbranch_vccnz .LBB119_670
; %bb.659:
	s_cmp_lt_i32 s0, 6
	s_cbranch_scc1 .LBB119_662
; %bb.660:
	s_cmp_gt_i32 s0, 6
	s_cbranch_scc0 .LBB119_663
; %bb.661:
	s_wait_loadcnt 0x0
	global_load_b64 v[4:5], v[12:13], off
	s_mov_b32 s43, 0
	s_branch .LBB119_664
.LBB119_662:
	s_mov_b32 s43, -1
                                        ; implicit-def: $vgpr4_vgpr5
	s_branch .LBB119_667
.LBB119_663:
	s_mov_b32 s43, -1
                                        ; implicit-def: $vgpr4_vgpr5
.LBB119_664:
	s_delay_alu instid0(SALU_CYCLE_1)
	s_and_not1_b32 vcc_lo, exec_lo, s43
	s_cbranch_vccnz .LBB119_666
; %bb.665:
	s_wait_loadcnt 0x0
	global_load_b32 v4, v[12:13], off
	s_wait_loadcnt 0x0
	v_cvt_f64_f32_e32 v[4:5], v4
.LBB119_666:
	s_mov_b32 s43, 0
.LBB119_667:
	s_delay_alu instid0(SALU_CYCLE_1)
	s_and_not1_b32 vcc_lo, exec_lo, s43
	s_cbranch_vccnz .LBB119_669
; %bb.668:
	s_wait_loadcnt 0x0
	global_load_u16 v4, v[12:13], off
	s_wait_loadcnt 0x0
	v_cvt_f32_f16_e32 v4, v4
	s_delay_alu instid0(VALU_DEP_1)
	v_cvt_f64_f32_e32 v[4:5], v4
.LBB119_669:
	s_wait_loadcnt 0x0
	v_mov_b64_e32 v[6:7], 0
.LBB119_670:
	s_mov_b32 s43, 0
.LBB119_671:
	s_delay_alu instid0(SALU_CYCLE_1)
	s_and_not1_b32 vcc_lo, exec_lo, s43
	s_cbranch_vccnz .LBB119_692
; %bb.672:
	s_cmp_lt_i32 s0, 2
	s_cbranch_scc1 .LBB119_676
; %bb.673:
	s_cmp_lt_i32 s0, 3
	s_cbranch_scc1 .LBB119_677
; %bb.674:
	s_cmp_gt_i32 s0, 3
	s_cbranch_scc0 .LBB119_678
; %bb.675:
	s_wait_loadcnt 0x0
	global_load_b64 v[4:5], v[12:13], off
	s_mov_b32 s43, 0
	s_wait_loadcnt 0x0
	s_wait_xcnt 0x1
	v_cvt_f64_i32_e32 v[6:7], v5
	v_cvt_f64_u32_e32 v[4:5], v4
	s_delay_alu instid0(VALU_DEP_2) | instskip(NEXT) | instid1(VALU_DEP_1)
	v_ldexp_f64 v[6:7], v[6:7], 32
	v_add_f64_e32 v[4:5], v[6:7], v[4:5]
	s_branch .LBB119_679
.LBB119_676:
	s_mov_b32 s43, -1
                                        ; implicit-def: $vgpr4_vgpr5
	s_branch .LBB119_685
.LBB119_677:
	s_mov_b32 s43, -1
                                        ; implicit-def: $vgpr4_vgpr5
	s_branch .LBB119_682
.LBB119_678:
	s_mov_b32 s43, -1
                                        ; implicit-def: $vgpr4_vgpr5
.LBB119_679:
	s_delay_alu instid0(SALU_CYCLE_1)
	s_and_not1_b32 vcc_lo, exec_lo, s43
	s_cbranch_vccnz .LBB119_681
; %bb.680:
	s_wait_loadcnt 0x0
	global_load_b32 v4, v[12:13], off
	s_wait_loadcnt 0x0
	v_cvt_f64_i32_e32 v[4:5], v4
.LBB119_681:
	s_mov_b32 s43, 0
.LBB119_682:
	s_delay_alu instid0(SALU_CYCLE_1)
	s_and_not1_b32 vcc_lo, exec_lo, s43
	s_cbranch_vccnz .LBB119_684
; %bb.683:
	s_wait_loadcnt 0x0
	global_load_i16 v4, v[12:13], off
	s_wait_loadcnt 0x0
	v_cvt_f64_i32_e32 v[4:5], v4
.LBB119_684:
	s_mov_b32 s43, 0
.LBB119_685:
	s_delay_alu instid0(SALU_CYCLE_1)
	s_and_not1_b32 vcc_lo, exec_lo, s43
	s_cbranch_vccnz .LBB119_691
; %bb.686:
	s_cmp_gt_i32 s0, 0
	s_mov_b32 s0, 0
	s_cbranch_scc0 .LBB119_688
; %bb.687:
	s_wait_loadcnt 0x0
	global_load_i8 v4, v[12:13], off
	s_wait_loadcnt 0x0
	v_cvt_f64_i32_e32 v[4:5], v4
	s_branch .LBB119_689
.LBB119_688:
	s_mov_b32 s0, -1
                                        ; implicit-def: $vgpr4_vgpr5
.LBB119_689:
	s_delay_alu instid0(SALU_CYCLE_1)
	s_and_not1_b32 vcc_lo, exec_lo, s0
	s_cbranch_vccnz .LBB119_691
; %bb.690:
	s_wait_loadcnt 0x0
	global_load_u8 v4, v[12:13], off
	s_wait_loadcnt 0x0
	v_cvt_f64_u32_e32 v[4:5], v4
.LBB119_691:
	s_wait_loadcnt 0x0
	v_mov_b64_e32 v[6:7], 0
.LBB119_692:
	s_mov_b32 s44, -1
.LBB119_693:
	s_delay_alu instid0(SALU_CYCLE_1)
	s_and_not1_b32 vcc_lo, exec_lo, s44
	s_cbranch_vccnz .LBB119_696
; %bb.694:
	s_and_not1_b32 vcc_lo, exec_lo, s10
	s_cbranch_vccnz .LBB119_697
; %bb.695:
	s_wait_loadcnt 0x0
	s_delay_alu instid0(VALU_DEP_1) | instskip(NEXT) | instid1(VALU_DEP_2)
	v_cmp_neq_f64_e32 vcc_lo, v[0:1], v[4:5]
	v_cmp_neq_f64_e64 s0, v[2:3], v[6:7]
	s_or_b32 s43, vcc_lo, s0
	s_mov_b32 s0, 0
	s_branch .LBB119_698
.LBB119_696:
	s_mov_b32 s47, 0
	s_mov_b32 s0, s39
	s_branch .LBB119_823
.LBB119_697:
	s_mov_b32 s0, -1
                                        ; implicit-def: $sgpr43
.LBB119_698:
	s_delay_alu instid0(SALU_CYCLE_1)
	s_and_not1_b32 vcc_lo, exec_lo, s0
	s_cbranch_vccnz .LBB119_700
; %bb.699:
	s_wait_loadcnt 0x0
	s_delay_alu instid0(VALU_DEP_1) | instskip(NEXT) | instid1(VALU_DEP_2)
	v_cmp_eq_f64_e32 vcc_lo, v[0:1], v[4:5]
	v_cmp_eq_f64_e64 s0, v[2:3], v[6:7]
	s_and_not1_b32 s43, s43, exec_lo
	s_and_b32 s0, vcc_lo, s0
	s_delay_alu instid0(SALU_CYCLE_1) | instskip(NEXT) | instid1(SALU_CYCLE_1)
	s_and_b32 s0, s0, exec_lo
	s_or_b32 s43, s43, s0
.LBB119_700:
	v_mov_b32_e32 v11, 0
	s_and_b32 s44, s11, 0xff
	s_delay_alu instid0(SALU_CYCLE_1) | instskip(SKIP_1) | instid1(VALU_DEP_1)
	s_cmp_lt_i32 s44, 11
	s_wait_loadcnt 0x0
	v_add_nc_u64_e32 v[0:1], s[4:5], v[10:11]
	s_cbranch_scc1 .LBB119_707
; %bb.701:
	s_and_b32 s45, 0xffff, s44
	s_delay_alu instid0(SALU_CYCLE_1)
	s_cmp_gt_i32 s45, 25
	s_cbranch_scc0 .LBB119_708
; %bb.702:
	s_cmp_gt_i32 s45, 28
	s_cbranch_scc0 .LBB119_709
; %bb.703:
	;; [unrolled: 3-line block ×4, first 2 shown]
	s_mov_b32 s48, 0
	s_mov_b32 s0, -1
	s_cmp_eq_u32 s45, 46
	s_mov_b32 s47, 0
	s_cbranch_scc0 .LBB119_712
; %bb.706:
	v_cndmask_b32_e64 v2, 0, 1.0, s43
	s_mov_b32 s47, -1
	s_mov_b32 s0, 0
	s_delay_alu instid0(VALU_DEP_1) | instskip(NEXT) | instid1(VALU_DEP_1)
	v_bfe_u32 v3, v2, 16, 1
	v_add3_u32 v2, v2, v3, 0x7fff
	s_delay_alu instid0(VALU_DEP_1)
	v_lshrrev_b32_e32 v2, 16, v2
	global_store_b32 v[0:1], v2, off
	s_branch .LBB119_712
.LBB119_707:
	s_mov_b32 s45, -1
	s_mov_b32 s47, 0
	s_mov_b32 s0, s39
	s_branch .LBB119_781
.LBB119_708:
	s_mov_b32 s48, -1
	s_mov_b32 s47, 0
	s_mov_b32 s0, s39
	s_branch .LBB119_739
.LBB119_709:
	s_mov_b32 s48, -1
	s_mov_b32 s47, 0
	s_mov_b32 s0, s39
	s_branch .LBB119_722
.LBB119_710:
	s_mov_b32 s48, -1
	s_mov_b32 s47, 0
	s_mov_b32 s0, s39
	s_branch .LBB119_718
.LBB119_711:
	s_mov_b32 s48, -1
	s_mov_b32 s47, 0
	s_mov_b32 s0, s39
.LBB119_712:
	s_and_b32 vcc_lo, exec_lo, s48
	s_cbranch_vccz .LBB119_717
; %bb.713:
	s_cmp_eq_u32 s45, 44
	s_mov_b32 s0, -1
	s_cbranch_scc0 .LBB119_717
; %bb.714:
	v_cndmask_b32_e64 v4, 0, 1.0, s43
	s_mov_b32 s47, exec_lo
	s_wait_xcnt 0x0
	s_delay_alu instid0(VALU_DEP_1) | instskip(NEXT) | instid1(VALU_DEP_1)
	v_dual_mov_b32 v3, 0xff :: v_dual_lshrrev_b32 v2, 23, v4
	v_cmpx_ne_u32_e32 0xff, v2
; %bb.715:
	v_and_b32_e32 v3, 0x400000, v4
	v_and_or_b32 v4, 0x3fffff, v4, v2
	s_delay_alu instid0(VALU_DEP_2) | instskip(NEXT) | instid1(VALU_DEP_2)
	v_cmp_ne_u32_e32 vcc_lo, 0, v3
	v_cmp_ne_u32_e64 s0, 0, v4
	s_and_b32 s0, vcc_lo, s0
	s_delay_alu instid0(SALU_CYCLE_1) | instskip(NEXT) | instid1(VALU_DEP_1)
	v_cndmask_b32_e64 v3, 0, 1, s0
	v_add_nc_u32_e32 v3, v2, v3
; %bb.716:
	s_or_b32 exec_lo, exec_lo, s47
	s_mov_b32 s47, -1
	s_mov_b32 s0, 0
	global_store_b8 v[0:1], v3, off
.LBB119_717:
	s_mov_b32 s48, 0
.LBB119_718:
	s_delay_alu instid0(SALU_CYCLE_1)
	s_and_b32 vcc_lo, exec_lo, s48
	s_cbranch_vccz .LBB119_721
; %bb.719:
	s_cmp_eq_u32 s45, 29
	s_mov_b32 s0, -1
	s_cbranch_scc0 .LBB119_721
; %bb.720:
	s_mov_b32 s0, 0
	s_wait_xcnt 0x0
	v_cndmask_b32_e64 v2, 0, 1, s43
	v_mov_b32_e32 v3, s0
	s_mov_b32 s47, -1
	s_mov_b32 s48, 0
	global_store_b64 v[0:1], v[2:3], off
	s_branch .LBB119_722
.LBB119_721:
	s_mov_b32 s48, 0
.LBB119_722:
	s_delay_alu instid0(SALU_CYCLE_1)
	s_and_b32 vcc_lo, exec_lo, s48
	s_cbranch_vccz .LBB119_738
; %bb.723:
	s_cmp_lt_i32 s45, 27
	s_mov_b32 s47, -1
	s_cbranch_scc1 .LBB119_729
; %bb.724:
	s_cmp_gt_i32 s45, 27
	s_cbranch_scc0 .LBB119_726
; %bb.725:
	s_wait_xcnt 0x0
	v_cndmask_b32_e64 v2, 0, 1, s43
	s_mov_b32 s47, 0
	global_store_b32 v[0:1], v2, off
.LBB119_726:
	s_and_not1_b32 vcc_lo, exec_lo, s47
	s_cbranch_vccnz .LBB119_728
; %bb.727:
	s_wait_xcnt 0x0
	v_cndmask_b32_e64 v2, 0, 1, s43
	global_store_b16 v[0:1], v2, off
.LBB119_728:
	s_mov_b32 s47, 0
.LBB119_729:
	s_delay_alu instid0(SALU_CYCLE_1)
	s_and_not1_b32 vcc_lo, exec_lo, s47
	s_cbranch_vccnz .LBB119_737
; %bb.730:
	s_wait_xcnt 0x0
	v_cndmask_b32_e64 v3, 0, 1.0, s43
	v_mov_b32_e32 v4, 0x80
	s_mov_b32 s47, exec_lo
	s_delay_alu instid0(VALU_DEP_2)
	v_cmpx_gt_u32_e32 0x43800000, v3
	s_cbranch_execz .LBB119_736
; %bb.731:
	s_mov_b32 s48, 0
	s_mov_b32 s49, exec_lo
                                        ; implicit-def: $vgpr2
	v_cmpx_lt_u32_e32 0x3bffffff, v3
	s_xor_b32 s49, exec_lo, s49
	s_cbranch_execz .LBB119_851
; %bb.732:
	v_bfe_u32 v2, v3, 20, 1
	s_mov_b32 s48, exec_lo
	s_delay_alu instid0(VALU_DEP_1) | instskip(NEXT) | instid1(VALU_DEP_1)
	v_add3_u32 v2, v3, v2, 0x487ffff
                                        ; implicit-def: $vgpr3
	v_lshrrev_b32_e32 v2, 20, v2
	s_and_not1_saveexec_b32 s49, s49
	s_cbranch_execnz .LBB119_852
.LBB119_733:
	s_or_b32 exec_lo, exec_lo, s49
	v_mov_b32_e32 v4, 0
	s_and_saveexec_b32 s49, s48
.LBB119_734:
	v_mov_b32_e32 v4, v2
.LBB119_735:
	s_or_b32 exec_lo, exec_lo, s49
.LBB119_736:
	s_delay_alu instid0(SALU_CYCLE_1)
	s_or_b32 exec_lo, exec_lo, s47
	global_store_b8 v[0:1], v4, off
.LBB119_737:
	s_mov_b32 s47, -1
.LBB119_738:
	s_mov_b32 s48, 0
.LBB119_739:
	s_delay_alu instid0(SALU_CYCLE_1)
	s_and_b32 vcc_lo, exec_lo, s48
	s_cbranch_vccz .LBB119_780
; %bb.740:
	s_cmp_gt_i32 s45, 22
	s_mov_b32 s48, -1
	s_cbranch_scc0 .LBB119_772
; %bb.741:
	s_cmp_lt_i32 s45, 24
	s_mov_b32 s47, -1
	s_cbranch_scc1 .LBB119_761
; %bb.742:
	s_cmp_gt_i32 s45, 24
	s_cbranch_scc0 .LBB119_750
; %bb.743:
	s_wait_xcnt 0x0
	v_cndmask_b32_e64 v3, 0, 1.0, s43
	v_mov_b32_e32 v4, 0x80
	s_mov_b32 s47, exec_lo
	s_delay_alu instid0(VALU_DEP_2)
	v_cmpx_gt_u32_e32 0x47800000, v3
	s_cbranch_execz .LBB119_749
; %bb.744:
	s_mov_b32 s48, 0
	s_mov_b32 s49, exec_lo
                                        ; implicit-def: $vgpr2
	v_cmpx_lt_u32_e32 0x37ffffff, v3
	s_xor_b32 s49, exec_lo, s49
	s_cbranch_execz .LBB119_988
; %bb.745:
	v_bfe_u32 v2, v3, 21, 1
	s_mov_b32 s48, exec_lo
	s_delay_alu instid0(VALU_DEP_1) | instskip(NEXT) | instid1(VALU_DEP_1)
	v_add3_u32 v2, v3, v2, 0x88fffff
                                        ; implicit-def: $vgpr3
	v_lshrrev_b32_e32 v2, 21, v2
	s_and_not1_saveexec_b32 s49, s49
	s_cbranch_execnz .LBB119_989
.LBB119_746:
	s_or_b32 exec_lo, exec_lo, s49
	v_mov_b32_e32 v4, 0
	s_and_saveexec_b32 s49, s48
.LBB119_747:
	v_mov_b32_e32 v4, v2
.LBB119_748:
	s_or_b32 exec_lo, exec_lo, s49
.LBB119_749:
	s_delay_alu instid0(SALU_CYCLE_1)
	s_or_b32 exec_lo, exec_lo, s47
	s_mov_b32 s47, 0
	global_store_b8 v[0:1], v4, off
.LBB119_750:
	s_and_b32 vcc_lo, exec_lo, s47
	s_cbranch_vccz .LBB119_760
; %bb.751:
	s_wait_xcnt 0x0
	v_cndmask_b32_e64 v3, 0, 1.0, s43
	s_mov_b32 s47, exec_lo
                                        ; implicit-def: $vgpr2
	s_delay_alu instid0(VALU_DEP_1)
	v_cmpx_gt_u32_e32 0x43f00000, v3
	s_xor_b32 s47, exec_lo, s47
	s_cbranch_execz .LBB119_757
; %bb.752:
	s_mov_b32 s48, exec_lo
                                        ; implicit-def: $vgpr2
	v_cmpx_lt_u32_e32 0x3c7fffff, v3
	s_xor_b32 s48, exec_lo, s48
; %bb.753:
	v_bfe_u32 v2, v3, 20, 1
	s_delay_alu instid0(VALU_DEP_1) | instskip(NEXT) | instid1(VALU_DEP_1)
	v_add3_u32 v2, v3, v2, 0x407ffff
	v_and_b32_e32 v3, 0xff00000, v2
	v_lshrrev_b32_e32 v2, 20, v2
	s_delay_alu instid0(VALU_DEP_2) | instskip(NEXT) | instid1(VALU_DEP_2)
	v_cmp_ne_u32_e32 vcc_lo, 0x7f00000, v3
                                        ; implicit-def: $vgpr3
	v_cndmask_b32_e32 v2, 0x7e, v2, vcc_lo
; %bb.754:
	s_and_not1_saveexec_b32 s48, s48
; %bb.755:
	v_add_f32_e32 v2, 0x46800000, v3
; %bb.756:
	s_or_b32 exec_lo, exec_lo, s48
                                        ; implicit-def: $vgpr3
.LBB119_757:
	s_and_not1_saveexec_b32 s47, s47
; %bb.758:
	v_mov_b32_e32 v2, 0x7f
	v_cmp_lt_u32_e32 vcc_lo, 0x7f800000, v3
	s_delay_alu instid0(VALU_DEP_2)
	v_cndmask_b32_e32 v2, 0x7e, v2, vcc_lo
; %bb.759:
	s_or_b32 exec_lo, exec_lo, s47
	global_store_b8 v[0:1], v2, off
.LBB119_760:
	s_mov_b32 s47, 0
.LBB119_761:
	s_delay_alu instid0(SALU_CYCLE_1)
	s_and_not1_b32 vcc_lo, exec_lo, s47
	s_cbranch_vccnz .LBB119_771
; %bb.762:
	s_wait_xcnt 0x0
	v_cndmask_b32_e64 v3, 0, 1.0, s43
	s_mov_b32 s47, exec_lo
                                        ; implicit-def: $vgpr2
	s_delay_alu instid0(VALU_DEP_1)
	v_cmpx_gt_u32_e32 0x47800000, v3
	s_xor_b32 s47, exec_lo, s47
	s_cbranch_execz .LBB119_768
; %bb.763:
	s_mov_b32 s48, exec_lo
                                        ; implicit-def: $vgpr2
	v_cmpx_lt_u32_e32 0x387fffff, v3
	s_xor_b32 s48, exec_lo, s48
; %bb.764:
	v_bfe_u32 v2, v3, 21, 1
	s_delay_alu instid0(VALU_DEP_1) | instskip(NEXT) | instid1(VALU_DEP_1)
	v_add3_u32 v2, v3, v2, 0x80fffff
                                        ; implicit-def: $vgpr3
	v_lshrrev_b32_e32 v2, 21, v2
; %bb.765:
	s_and_not1_saveexec_b32 s48, s48
; %bb.766:
	v_add_f32_e32 v2, 0x43000000, v3
; %bb.767:
	s_or_b32 exec_lo, exec_lo, s48
                                        ; implicit-def: $vgpr3
.LBB119_768:
	s_and_not1_saveexec_b32 s47, s47
; %bb.769:
	v_mov_b32_e32 v2, 0x7f
	v_cmp_lt_u32_e32 vcc_lo, 0x7f800000, v3
	s_delay_alu instid0(VALU_DEP_2)
	v_cndmask_b32_e32 v2, 0x7c, v2, vcc_lo
; %bb.770:
	s_or_b32 exec_lo, exec_lo, s47
	global_store_b8 v[0:1], v2, off
.LBB119_771:
	s_mov_b32 s48, 0
	s_mov_b32 s47, -1
.LBB119_772:
	s_and_not1_b32 vcc_lo, exec_lo, s48
	s_cbranch_vccnz .LBB119_780
; %bb.773:
	s_cmp_gt_i32 s45, 14
	s_mov_b32 s48, -1
	s_cbranch_scc0 .LBB119_777
; %bb.774:
	s_cmp_eq_u32 s45, 15
	s_mov_b32 s0, -1
	s_cbranch_scc0 .LBB119_776
; %bb.775:
	s_wait_xcnt 0x0
	v_cndmask_b32_e64 v2, 0, 1.0, s43
	s_mov_b32 s47, -1
	s_mov_b32 s0, 0
	s_delay_alu instid0(VALU_DEP_1) | instskip(NEXT) | instid1(VALU_DEP_1)
	v_bfe_u32 v3, v2, 16, 1
	v_add3_u32 v2, v2, v3, 0x7fff
	global_store_d16_hi_b16 v[0:1], v2, off
.LBB119_776:
	s_mov_b32 s48, 0
.LBB119_777:
	s_delay_alu instid0(SALU_CYCLE_1)
	s_and_b32 vcc_lo, exec_lo, s48
	s_cbranch_vccz .LBB119_780
; %bb.778:
	s_cmp_eq_u32 s45, 11
	s_mov_b32 s0, -1
	s_cbranch_scc0 .LBB119_780
; %bb.779:
	s_wait_xcnt 0x0
	v_cndmask_b32_e64 v2, 0, 1, s43
	s_mov_b32 s47, -1
	s_mov_b32 s0, 0
	global_store_b8 v[0:1], v2, off
.LBB119_780:
	s_mov_b32 s45, 0
.LBB119_781:
	s_delay_alu instid0(SALU_CYCLE_1)
	s_and_b32 vcc_lo, exec_lo, s45
	s_cbranch_vccz .LBB119_820
; %bb.782:
	s_and_b32 s44, 0xffff, s44
	s_mov_b32 s45, -1
	s_cmp_lt_i32 s44, 5
	s_cbranch_scc1 .LBB119_803
; %bb.783:
	s_cmp_lt_i32 s44, 8
	s_cbranch_scc1 .LBB119_793
; %bb.784:
	;; [unrolled: 3-line block ×3, first 2 shown]
	s_cmp_gt_i32 s44, 9
	s_cbranch_scc0 .LBB119_787
; %bb.786:
	s_wait_xcnt 0x0
	v_cndmask_b32_e64 v2, 0, 1, s43
	v_mov_b32_e32 v4, 0
	s_mov_b32 s45, 0
	s_delay_alu instid0(VALU_DEP_2) | instskip(NEXT) | instid1(VALU_DEP_2)
	v_cvt_f64_u32_e32 v[2:3], v2
	v_mov_b32_e32 v5, v4
	global_store_b128 v[0:1], v[2:5], off
.LBB119_787:
	s_and_not1_b32 vcc_lo, exec_lo, s45
	s_cbranch_vccnz .LBB119_789
; %bb.788:
	s_wait_xcnt 0x0
	v_cndmask_b32_e64 v2, 0, 1.0, s43
	v_mov_b32_e32 v3, 0
	global_store_b64 v[0:1], v[2:3], off
.LBB119_789:
	s_mov_b32 s45, 0
.LBB119_790:
	s_delay_alu instid0(SALU_CYCLE_1)
	s_and_not1_b32 vcc_lo, exec_lo, s45
	s_cbranch_vccnz .LBB119_792
; %bb.791:
	s_wait_xcnt 0x0
	v_cndmask_b32_e64 v2, 0, 1.0, s43
	s_delay_alu instid0(VALU_DEP_1) | instskip(NEXT) | instid1(VALU_DEP_1)
	v_cvt_f16_f32_e32 v2, v2
	v_and_b32_e32 v2, 0xffff, v2
	global_store_b32 v[0:1], v2, off
.LBB119_792:
	s_mov_b32 s45, 0
.LBB119_793:
	s_delay_alu instid0(SALU_CYCLE_1)
	s_and_not1_b32 vcc_lo, exec_lo, s45
	s_cbranch_vccnz .LBB119_802
; %bb.794:
	s_cmp_lt_i32 s44, 6
	s_mov_b32 s45, -1
	s_cbranch_scc1 .LBB119_800
; %bb.795:
	s_cmp_gt_i32 s44, 6
	s_cbranch_scc0 .LBB119_797
; %bb.796:
	s_wait_xcnt 0x0
	v_cndmask_b32_e64 v2, 0, 1, s43
	s_mov_b32 s45, 0
	s_delay_alu instid0(VALU_DEP_1)
	v_cvt_f64_u32_e32 v[2:3], v2
	global_store_b64 v[0:1], v[2:3], off
.LBB119_797:
	s_and_not1_b32 vcc_lo, exec_lo, s45
	s_cbranch_vccnz .LBB119_799
; %bb.798:
	s_wait_xcnt 0x0
	v_cndmask_b32_e64 v2, 0, 1.0, s43
	global_store_b32 v[0:1], v2, off
.LBB119_799:
	s_mov_b32 s45, 0
.LBB119_800:
	s_delay_alu instid0(SALU_CYCLE_1)
	s_and_not1_b32 vcc_lo, exec_lo, s45
	s_cbranch_vccnz .LBB119_802
; %bb.801:
	s_wait_xcnt 0x0
	v_cndmask_b32_e64 v2, 0, 1.0, s43
	s_delay_alu instid0(VALU_DEP_1)
	v_cvt_f16_f32_e32 v2, v2
	global_store_b16 v[0:1], v2, off
.LBB119_802:
	s_mov_b32 s45, 0
.LBB119_803:
	s_delay_alu instid0(SALU_CYCLE_1)
	s_and_not1_b32 vcc_lo, exec_lo, s45
	s_cbranch_vccnz .LBB119_819
; %bb.804:
	s_cmp_lt_i32 s44, 2
	s_mov_b32 s45, -1
	s_cbranch_scc1 .LBB119_814
; %bb.805:
	s_cmp_lt_i32 s44, 3
	s_cbranch_scc1 .LBB119_811
; %bb.806:
	s_cmp_gt_i32 s44, 3
	s_cbranch_scc0 .LBB119_808
; %bb.807:
	s_mov_b32 s45, 0
	s_wait_xcnt 0x0
	v_cndmask_b32_e64 v2, 0, 1, s43
	v_mov_b32_e32 v3, s45
	global_store_b64 v[0:1], v[2:3], off
.LBB119_808:
	s_and_not1_b32 vcc_lo, exec_lo, s45
	s_cbranch_vccnz .LBB119_810
; %bb.809:
	s_wait_xcnt 0x0
	v_cndmask_b32_e64 v2, 0, 1, s43
	global_store_b32 v[0:1], v2, off
.LBB119_810:
	s_mov_b32 s45, 0
.LBB119_811:
	s_delay_alu instid0(SALU_CYCLE_1)
	s_and_not1_b32 vcc_lo, exec_lo, s45
	s_cbranch_vccnz .LBB119_813
; %bb.812:
	s_wait_xcnt 0x0
	v_cndmask_b32_e64 v2, 0, 1, s43
	global_store_b16 v[0:1], v2, off
.LBB119_813:
	s_mov_b32 s45, 0
.LBB119_814:
	s_delay_alu instid0(SALU_CYCLE_1)
	s_and_not1_b32 vcc_lo, exec_lo, s45
	s_cbranch_vccnz .LBB119_819
; %bb.815:
	s_wait_xcnt 0x0
	v_cndmask_b32_e64 v2, 0, 1, s43
	s_cmp_gt_i32 s44, 0
	s_mov_b32 s43, -1
	s_cbranch_scc0 .LBB119_817
; %bb.816:
	s_mov_b32 s43, 0
	global_store_b8 v[0:1], v2, off
.LBB119_817:
	s_and_not1_b32 vcc_lo, exec_lo, s43
	s_cbranch_vccnz .LBB119_819
; %bb.818:
	global_store_b8 v[0:1], v2, off
.LBB119_819:
	s_mov_b32 s47, -1
.LBB119_820:
	s_delay_alu instid0(SALU_CYCLE_1)
	s_and_not1_b32 vcc_lo, exec_lo, s47
	s_cbranch_vccnz .LBB119_822
; %bb.821:
	v_add_nc_u32_e32 v8, 0x80, v8
	s_mov_b32 s47, -1
	s_branch .LBB119_824
.LBB119_822:
	s_mov_b32 s47, 0
.LBB119_823:
                                        ; implicit-def: $vgpr8
.LBB119_824:
	s_and_not1_b32 s43, s39, exec_lo
	s_and_b32 s0, s0, exec_lo
	s_and_b32 s27, s27, exec_lo
	s_or_b32 s44, s43, s0
	s_and_not1_b32 s0, s40, exec_lo
	s_and_not1_b32 s43, s41, exec_lo
	s_and_b32 s26, s26, exec_lo
	s_or_b32 s45, s0, s27
	s_or_b32 s43, s43, s26
	s_or_not1_b32 s48, s47, exec_lo
.LBB119_825:
	s_wait_xcnt 0x0
	s_or_b32 exec_lo, exec_lo, s46
	s_mov_b32 s47, 0
	s_mov_b32 s27, 0
	;; [unrolled: 1-line block ×3, first 2 shown]
                                        ; implicit-def: $sgpr0
                                        ; implicit-def: $vgpr6_vgpr7
                                        ; implicit-def: $vgpr4
                                        ; implicit-def: $vgpr10
                                        ; implicit-def: $vgpr2_vgpr3
	s_and_saveexec_b32 s46, s48
	s_cbranch_execz .LBB119_1342
; %bb.826:
	s_mov_b32 s52, -1
	s_mov_b32 s48, s43
	s_mov_b32 s50, s45
	;; [unrolled: 1-line block ×3, first 2 shown]
	s_mov_b32 s47, exec_lo
	v_cmpx_gt_i32_e64 s37, v8
	s_cbranch_execz .LBB119_1243
; %bb.827:
	s_and_not1_b32 vcc_lo, exec_lo, s31
	s_cbranch_vccnz .LBB119_833
; %bb.828:
	s_and_not1_b32 vcc_lo, exec_lo, s38
	s_cbranch_vccnz .LBB119_834
; %bb.829:
	s_wait_loadcnt 0x0
	v_dual_mov_b32 v10, 0 :: v_dual_mov_b32 v1, v8
	v_dual_mov_b32 v0, 0 :: v_dual_mov_b32 v4, 0
	s_add_co_i32 s0, s36, 1
	s_mov_b64 s[26:27], 0xffffffffffffffe8
	s_and_b32 s0, s0, 30
	s_add_nc_u64 s[26:27], s[2:3], s[26:27]
.LBB119_830:                            ; =>This Inner Loop Header: Depth=1
	s_clause 0x1
	s_load_b128 s[48:51], s[26:27], 0x1c
	s_load_b64 s[56:57], s[26:27], 0x2c
	s_add_co_i32 s0, s0, -2
	s_delay_alu instid0(SALU_CYCLE_1) | instskip(SKIP_2) | instid1(VALU_DEP_1)
	s_cmp_eq_u32 s0, 0
	s_wait_kmcnt 0x0
	v_mul_hi_u32 v2, s49, v1
	v_add_nc_u32_e32 v2, v1, v2
	s_delay_alu instid0(VALU_DEP_1) | instskip(NEXT) | instid1(VALU_DEP_1)
	v_lshrrev_b32_e32 v2, s50, v2
	v_mul_hi_u32 v3, s56, v2
	v_mul_lo_u32 v5, v2, s48
	s_clause 0x1
	s_load_b128 s[52:55], s[26:27], 0xdc
	s_load_b64 s[48:49], s[26:27], 0xec
	s_wait_xcnt 0x0
	s_add_nc_u64 s[26:27], s[26:27], 24
	s_delay_alu instid0(VALU_DEP_1) | instskip(NEXT) | instid1(VALU_DEP_1)
	v_dual_add_nc_u32 v3, v2, v3 :: v_dual_sub_nc_u32 v5, v1, v5
	v_lshrrev_b32_e32 v1, s57, v3
	s_wait_kmcnt 0x0
	s_delay_alu instid0(VALU_DEP_2) | instskip(NEXT) | instid1(VALU_DEP_2)
	v_mad_u32 v6, v5, s52, v10
	v_mul_lo_u32 v3, v1, s51
	v_mad_u32 v4, v5, s54, v4
	v_mad_u32 v0, v5, s53, v0
	s_delay_alu instid0(VALU_DEP_3) | instskip(NEXT) | instid1(VALU_DEP_1)
	v_sub_nc_u32_e32 v2, v2, v3
	v_mad_u32 v10, v2, s55, v6
	s_delay_alu instid0(VALU_DEP_4) | instskip(NEXT) | instid1(VALU_DEP_4)
	v_mad_u32 v4, v2, s49, v4
	v_mad_u32 v0, v2, s48, v0
	s_cbranch_scc0 .LBB119_830
; %bb.831:
	s_bitcmp1_b32 s36, 0
	s_cselect_b32 s0, -1, 0
	s_delay_alu instid0(SALU_CYCLE_1)
	s_and_b32 vcc_lo, exec_lo, s0
	s_cbranch_vccnz .LBB119_835
; %bb.832:
	s_clause 0x1
	s_load_b96 s[48:50], s[26:27], 0x1c
	s_load_b96 s[52:54], s[26:27], 0xdc
	s_wait_kmcnt 0x0
	v_mul_hi_u32 v2, s49, v1
	s_delay_alu instid0(VALU_DEP_1) | instskip(NEXT) | instid1(VALU_DEP_1)
	v_add_nc_u32_e32 v2, v1, v2
	v_lshrrev_b32_e32 v2, s50, v2
	s_delay_alu instid0(VALU_DEP_1) | instskip(NEXT) | instid1(VALU_DEP_1)
	v_mul_lo_u32 v2, v2, s48
	v_sub_nc_u32_e32 v1, v1, v2
	s_delay_alu instid0(VALU_DEP_1)
	v_mad_u32 v10, v1, s52, v10
	v_mad_u32 v0, v1, s53, v0
	;; [unrolled: 1-line block ×3, first 2 shown]
	s_branch .LBB119_835
.LBB119_833:
	s_mov_b32 s0, -1
                                        ; implicit-def: $vgpr4
                                        ; implicit-def: $vgpr0
                                        ; implicit-def: $vgpr10
	s_branch .LBB119_836
.LBB119_834:
	s_wait_loadcnt 0x0
	v_dual_mov_b32 v4, 0 :: v_dual_mov_b32 v0, 0
	v_mov_b32_e32 v10, 0
.LBB119_835:
	s_mov_b32 s0, 0
.LBB119_836:
	s_delay_alu instid0(SALU_CYCLE_1)
	s_and_not1_b32 vcc_lo, exec_lo, s0
	s_cbranch_vccnz .LBB119_839
; %bb.837:
	v_mov_b32_e32 v9, 0
	s_and_not1_b32 vcc_lo, exec_lo, s35
	s_wait_loadcnt 0x0
	s_delay_alu instid0(VALU_DEP_1) | instskip(NEXT) | instid1(VALU_DEP_1)
	v_mul_u64_e32 v[0:1], s[20:21], v[8:9]
	v_add_nc_u32_e32 v0, v8, v1
	s_delay_alu instid0(VALU_DEP_1) | instskip(NEXT) | instid1(VALU_DEP_1)
	v_lshrrev_b32_e32 v2, s14, v0
	v_mul_lo_u32 v0, v2, s12
	s_delay_alu instid0(VALU_DEP_1) | instskip(NEXT) | instid1(VALU_DEP_1)
	v_sub_nc_u32_e32 v0, v8, v0
	v_mul_lo_u32 v10, v0, s16
	v_mul_lo_u32 v4, v0, s18
	;; [unrolled: 1-line block ×3, first 2 shown]
	s_cbranch_vccnz .LBB119_839
; %bb.838:
	v_mov_b32_e32 v3, v9
	s_delay_alu instid0(VALU_DEP_1) | instskip(NEXT) | instid1(VALU_DEP_1)
	v_mul_u64_e32 v[6:7], s[24:25], v[2:3]
	v_add_nc_u32_e32 v1, v2, v7
	s_delay_alu instid0(VALU_DEP_1) | instskip(NEXT) | instid1(VALU_DEP_1)
	v_lshrrev_b32_e32 v1, s1, v1
	v_mul_lo_u32 v1, v1, s15
	s_delay_alu instid0(VALU_DEP_1) | instskip(NEXT) | instid1(VALU_DEP_1)
	v_sub_nc_u32_e32 v1, v2, v1
	v_mad_u32 v10, v1, s19, v10
	v_mad_u32 v0, v1, s22, v0
	;; [unrolled: 1-line block ×3, first 2 shown]
.LBB119_839:
	s_wait_loadcnt 0x0
	v_mov_b32_e32 v1, 0
	s_and_b32 s0, s34, 0xff
	s_delay_alu instid0(SALU_CYCLE_1) | instskip(NEXT) | instid1(VALU_DEP_1)
	s_cmp_lt_i32 s0, 11
	v_add_nc_u64_e32 v[6:7], s[6:7], v[0:1]
	s_cbranch_scc1 .LBB119_846
; %bb.840:
	s_and_b32 s27, 0xffff, s0
	s_delay_alu instid0(SALU_CYCLE_1)
	s_cmp_gt_i32 s27, 25
	s_cbranch_scc0 .LBB119_847
; %bb.841:
	s_cmp_gt_i32 s27, 28
	s_cbranch_scc0 .LBB119_848
; %bb.842:
	;; [unrolled: 3-line block ×4, first 2 shown]
	s_cmp_eq_u32 s27, 46
	s_mov_b32 s49, 0
	s_cbranch_scc0 .LBB119_853
; %bb.845:
	global_load_b32 v0, v[6:7], off
	s_mov_b32 s48, -1
	s_mov_b32 s26, 0
	s_wait_loadcnt 0x0
	v_lshlrev_b32_e32 v1, 16, v0
	v_and_b32_e32 v2, 0xffff0000, v0
	s_delay_alu instid0(VALU_DEP_2) | instskip(NEXT) | instid1(VALU_DEP_2)
	v_cvt_f64_f32_e32 v[0:1], v1
	v_cvt_f64_f32_e32 v[2:3], v2
	s_branch .LBB119_855
.LBB119_846:
	s_mov_b32 s27, -1
	s_mov_b32 s48, 0
	s_mov_b32 s26, s43
                                        ; implicit-def: $vgpr2_vgpr3
	s_branch .LBB119_923
.LBB119_847:
	s_mov_b32 s49, -1
	s_mov_b32 s48, 0
	s_mov_b32 s26, s43
                                        ; implicit-def: $vgpr2_vgpr3
	s_branch .LBB119_886
.LBB119_848:
	s_mov_b32 s49, -1
	s_mov_b32 s48, 0
	s_mov_b32 s26, s43
                                        ; implicit-def: $vgpr2_vgpr3
	s_branch .LBB119_867
.LBB119_849:
	s_mov_b32 s49, -1
	s_mov_b32 s48, 0
	s_mov_b32 s26, s43
                                        ; implicit-def: $vgpr2_vgpr3
	s_branch .LBB119_861
.LBB119_850:
	s_mov_b32 s49, -1
	s_mov_b32 s48, 0
	s_mov_b32 s26, s43
	s_branch .LBB119_854
.LBB119_851:
	s_and_not1_saveexec_b32 s49, s49
	s_cbranch_execz .LBB119_733
.LBB119_852:
	v_add_f32_e32 v2, 0x46000000, v3
	s_and_not1_b32 s48, s48, exec_lo
	s_delay_alu instid0(VALU_DEP_1) | instskip(NEXT) | instid1(VALU_DEP_1)
	v_and_b32_e32 v2, 0xff, v2
	v_cmp_ne_u32_e32 vcc_lo, 0, v2
	s_and_b32 s50, vcc_lo, exec_lo
	s_delay_alu instid0(SALU_CYCLE_1)
	s_or_b32 s48, s48, s50
	s_or_b32 exec_lo, exec_lo, s49
	v_mov_b32_e32 v4, 0
	s_and_saveexec_b32 s49, s48
	s_cbranch_execnz .LBB119_734
	s_branch .LBB119_735
.LBB119_853:
	s_mov_b32 s26, -1
	s_mov_b32 s48, 0
.LBB119_854:
                                        ; implicit-def: $vgpr2_vgpr3
.LBB119_855:
	s_and_b32 vcc_lo, exec_lo, s49
	s_cbranch_vccz .LBB119_860
; %bb.856:
	s_cmp_eq_u32 s27, 44
	s_cbranch_scc0 .LBB119_858
; %bb.857:
	global_load_u8 v2, v[6:7], off
	s_mov_b32 s26, 0
	s_mov_b32 s48, -1
	s_wait_loadcnt 0x0
	v_cmp_ne_u32_e32 vcc_lo, 0xff, v2
	v_lshlrev_b32_e32 v0, 23, v2
	s_delay_alu instid0(VALU_DEP_1) | instskip(NEXT) | instid1(VALU_DEP_1)
	v_cvt_f64_f32_e32 v[0:1], v0
	v_cndmask_b32_e32 v0, 0x20000000, v0, vcc_lo
	s_delay_alu instid0(VALU_DEP_2) | instskip(SKIP_1) | instid1(VALU_DEP_2)
	v_cndmask_b32_e32 v1, 0x7ff80000, v1, vcc_lo
	v_cmp_ne_u32_e32 vcc_lo, 0, v2
	v_cndmask_b32_e32 v1, 0x38000000, v1, vcc_lo
	s_delay_alu instid0(VALU_DEP_4)
	v_cndmask_b32_e32 v0, 0, v0, vcc_lo
	s_branch .LBB119_859
.LBB119_858:
	s_mov_b32 s26, -1
                                        ; implicit-def: $vgpr0_vgpr1
.LBB119_859:
	v_mov_b64_e32 v[2:3], 0
.LBB119_860:
	s_mov_b32 s49, 0
.LBB119_861:
	s_delay_alu instid0(SALU_CYCLE_1)
	s_and_b32 vcc_lo, exec_lo, s49
	s_cbranch_vccz .LBB119_866
; %bb.862:
	s_cmp_eq_u32 s27, 29
	s_cbranch_scc0 .LBB119_864
; %bb.863:
	global_load_b64 v[0:1], v[6:7], off
	s_mov_b32 s48, -1
	s_mov_b32 s26, 0
	s_wait_loadcnt 0x0
	v_cvt_f64_u32_e32 v[2:3], v1
	v_cvt_f64_u32_e32 v[0:1], v0
	s_delay_alu instid0(VALU_DEP_2) | instskip(NEXT) | instid1(VALU_DEP_1)
	v_ldexp_f64 v[2:3], v[2:3], 32
	v_add_f64_e32 v[0:1], v[2:3], v[0:1]
	s_branch .LBB119_865
.LBB119_864:
	s_mov_b32 s26, -1
                                        ; implicit-def: $vgpr0_vgpr1
.LBB119_865:
	v_mov_b64_e32 v[2:3], 0
.LBB119_866:
	s_mov_b32 s49, 0
.LBB119_867:
	s_delay_alu instid0(SALU_CYCLE_1)
	s_and_b32 vcc_lo, exec_lo, s49
	s_cbranch_vccz .LBB119_885
; %bb.868:
	s_cmp_lt_i32 s27, 27
	s_cbranch_scc1 .LBB119_871
; %bb.869:
	s_cmp_gt_i32 s27, 27
	s_cbranch_scc0 .LBB119_872
; %bb.870:
	global_load_b32 v0, v[6:7], off
	s_mov_b32 s48, 0
	s_wait_loadcnt 0x0
	v_cvt_f64_u32_e32 v[0:1], v0
	s_branch .LBB119_873
.LBB119_871:
	s_mov_b32 s48, -1
                                        ; implicit-def: $vgpr0_vgpr1
	s_branch .LBB119_876
.LBB119_872:
	s_mov_b32 s48, -1
                                        ; implicit-def: $vgpr0_vgpr1
.LBB119_873:
	s_delay_alu instid0(SALU_CYCLE_1)
	s_and_not1_b32 vcc_lo, exec_lo, s48
	s_cbranch_vccnz .LBB119_875
; %bb.874:
	global_load_u16 v0, v[6:7], off
	s_wait_loadcnt 0x0
	v_cvt_f64_u32_e32 v[0:1], v0
.LBB119_875:
	s_mov_b32 s48, 0
.LBB119_876:
	s_delay_alu instid0(SALU_CYCLE_1)
	s_and_not1_b32 vcc_lo, exec_lo, s48
	s_cbranch_vccnz .LBB119_884
; %bb.877:
	global_load_u8 v2, v[6:7], off
	s_mov_b32 s48, 0
	s_mov_b32 s49, exec_lo
	s_wait_loadcnt 0x0
	v_cmpx_lt_i16_e32 0x7f, v2
	s_xor_b32 s49, exec_lo, s49
	s_cbranch_execz .LBB119_898
; %bb.878:
	s_mov_b32 s48, -1
	s_mov_b32 s50, exec_lo
	v_cmpx_eq_u16_e32 0x80, v2
; %bb.879:
	s_xor_b32 s48, exec_lo, -1
; %bb.880:
	s_or_b32 exec_lo, exec_lo, s50
	s_delay_alu instid0(SALU_CYCLE_1)
	s_and_b32 s48, s48, exec_lo
	s_or_saveexec_b32 s49, s49
	v_mov_b64_e32 v[0:1], 0x7ff8000020000000
	s_xor_b32 exec_lo, exec_lo, s49
	s_cbranch_execnz .LBB119_899
.LBB119_881:
	s_or_b32 exec_lo, exec_lo, s49
	s_and_saveexec_b32 s49, s48
	s_cbranch_execz .LBB119_883
.LBB119_882:
	v_and_b32_e32 v0, 0xffff, v2
	s_delay_alu instid0(VALU_DEP_1) | instskip(SKIP_1) | instid1(VALU_DEP_2)
	v_and_b32_e32 v1, 7, v0
	v_bfe_u32 v9, v0, 3, 4
	v_clz_i32_u32_e32 v3, v1
	s_delay_alu instid0(VALU_DEP_2) | instskip(NEXT) | instid1(VALU_DEP_2)
	v_cmp_eq_u32_e32 vcc_lo, 0, v9
	v_min_u32_e32 v3, 32, v3
	s_delay_alu instid0(VALU_DEP_1) | instskip(NEXT) | instid1(VALU_DEP_1)
	v_subrev_nc_u32_e32 v5, 28, v3
	v_dual_lshlrev_b32 v0, v5, v0 :: v_dual_sub_nc_u32 v3, 29, v3
	s_delay_alu instid0(VALU_DEP_1) | instskip(NEXT) | instid1(VALU_DEP_2)
	v_dual_lshlrev_b32 v2, 24, v2 :: v_dual_bitop2_b32 v0, 7, v0 bitop3:0x40
	v_cndmask_b32_e32 v3, v9, v3, vcc_lo
	s_delay_alu instid0(VALU_DEP_2) | instskip(NEXT) | instid1(VALU_DEP_3)
	v_cndmask_b32_e32 v0, v1, v0, vcc_lo
	v_and_b32_e32 v1, 0x80000000, v2
	s_delay_alu instid0(VALU_DEP_3) | instskip(NEXT) | instid1(VALU_DEP_3)
	v_lshl_add_u32 v2, v3, 23, 0x3b800000
	v_lshlrev_b32_e32 v0, 20, v0
	s_delay_alu instid0(VALU_DEP_1) | instskip(NEXT) | instid1(VALU_DEP_1)
	v_or3_b32 v0, v1, v2, v0
	v_cvt_f64_f32_e32 v[0:1], v0
.LBB119_883:
	s_or_b32 exec_lo, exec_lo, s49
.LBB119_884:
	v_mov_b64_e32 v[2:3], 0
	s_mov_b32 s48, -1
.LBB119_885:
	s_mov_b32 s49, 0
.LBB119_886:
	s_delay_alu instid0(SALU_CYCLE_1)
	s_and_b32 vcc_lo, exec_lo, s49
	s_cbranch_vccz .LBB119_922
; %bb.887:
	s_cmp_gt_i32 s27, 22
	s_cbranch_scc0 .LBB119_897
; %bb.888:
	s_cmp_lt_i32 s27, 24
	s_cbranch_scc1 .LBB119_900
; %bb.889:
	s_cmp_gt_i32 s27, 24
	s_cbranch_scc0 .LBB119_901
; %bb.890:
	global_load_u8 v2, v[6:7], off
	s_mov_b32 s48, 0
	s_mov_b32 s49, exec_lo
	s_wait_loadcnt 0x0
	v_cmpx_lt_i16_e32 0x7f, v2
	s_xor_b32 s49, exec_lo, s49
	s_cbranch_execz .LBB119_913
; %bb.891:
	s_mov_b32 s48, -1
	s_mov_b32 s50, exec_lo
	v_cmpx_eq_u16_e32 0x80, v2
; %bb.892:
	s_xor_b32 s48, exec_lo, -1
; %bb.893:
	s_or_b32 exec_lo, exec_lo, s50
	s_delay_alu instid0(SALU_CYCLE_1)
	s_and_b32 s48, s48, exec_lo
	s_or_saveexec_b32 s49, s49
	v_mov_b64_e32 v[0:1], 0x7ff8000020000000
	s_xor_b32 exec_lo, exec_lo, s49
	s_cbranch_execnz .LBB119_914
.LBB119_894:
	s_or_b32 exec_lo, exec_lo, s49
	s_and_saveexec_b32 s49, s48
	s_cbranch_execz .LBB119_896
.LBB119_895:
	v_and_b32_e32 v0, 0xffff, v2
	s_delay_alu instid0(VALU_DEP_1) | instskip(SKIP_1) | instid1(VALU_DEP_2)
	v_and_b32_e32 v1, 3, v0
	v_bfe_u32 v9, v0, 2, 5
	v_clz_i32_u32_e32 v3, v1
	s_delay_alu instid0(VALU_DEP_2) | instskip(NEXT) | instid1(VALU_DEP_2)
	v_cmp_eq_u32_e32 vcc_lo, 0, v9
	v_min_u32_e32 v3, 32, v3
	s_delay_alu instid0(VALU_DEP_1) | instskip(NEXT) | instid1(VALU_DEP_1)
	v_subrev_nc_u32_e32 v5, 29, v3
	v_dual_lshlrev_b32 v0, v5, v0 :: v_dual_sub_nc_u32 v3, 30, v3
	s_delay_alu instid0(VALU_DEP_1) | instskip(NEXT) | instid1(VALU_DEP_2)
	v_dual_lshlrev_b32 v2, 24, v2 :: v_dual_bitop2_b32 v0, 3, v0 bitop3:0x40
	v_cndmask_b32_e32 v3, v9, v3, vcc_lo
	s_delay_alu instid0(VALU_DEP_2) | instskip(NEXT) | instid1(VALU_DEP_3)
	v_cndmask_b32_e32 v0, v1, v0, vcc_lo
	v_and_b32_e32 v1, 0x80000000, v2
	s_delay_alu instid0(VALU_DEP_3) | instskip(NEXT) | instid1(VALU_DEP_3)
	v_lshl_add_u32 v2, v3, 23, 0x37800000
	v_lshlrev_b32_e32 v0, 21, v0
	s_delay_alu instid0(VALU_DEP_1) | instskip(NEXT) | instid1(VALU_DEP_1)
	v_or3_b32 v0, v1, v2, v0
	v_cvt_f64_f32_e32 v[0:1], v0
.LBB119_896:
	s_or_b32 exec_lo, exec_lo, s49
	s_mov_b32 s48, 0
	s_branch .LBB119_902
.LBB119_897:
	s_mov_b32 s49, -1
                                        ; implicit-def: $vgpr0_vgpr1
	s_branch .LBB119_908
.LBB119_898:
	s_or_saveexec_b32 s49, s49
	v_mov_b64_e32 v[0:1], 0x7ff8000020000000
	s_xor_b32 exec_lo, exec_lo, s49
	s_cbranch_execz .LBB119_881
.LBB119_899:
	v_cmp_ne_u16_e32 vcc_lo, 0, v2
	v_mov_b64_e32 v[0:1], 0
	s_and_not1_b32 s48, s48, exec_lo
	s_and_b32 s50, vcc_lo, exec_lo
	s_delay_alu instid0(SALU_CYCLE_1)
	s_or_b32 s48, s48, s50
	s_or_b32 exec_lo, exec_lo, s49
	s_and_saveexec_b32 s49, s48
	s_cbranch_execnz .LBB119_882
	s_branch .LBB119_883
.LBB119_900:
	s_mov_b32 s48, -1
                                        ; implicit-def: $vgpr0_vgpr1
	s_branch .LBB119_905
.LBB119_901:
	s_mov_b32 s48, -1
                                        ; implicit-def: $vgpr0_vgpr1
.LBB119_902:
	s_delay_alu instid0(SALU_CYCLE_1)
	s_and_b32 vcc_lo, exec_lo, s48
	s_cbranch_vccz .LBB119_904
; %bb.903:
	global_load_u8 v0, v[6:7], off
	s_wait_loadcnt 0x0
	v_lshlrev_b32_e32 v0, 24, v0
	s_delay_alu instid0(VALU_DEP_1) | instskip(NEXT) | instid1(VALU_DEP_1)
	v_and_b32_e32 v1, 0x7f000000, v0
	v_clz_i32_u32_e32 v2, v1
	v_add_nc_u32_e32 v5, 0x1000000, v1
	v_cmp_ne_u32_e32 vcc_lo, 0, v1
	s_delay_alu instid0(VALU_DEP_3) | instskip(NEXT) | instid1(VALU_DEP_1)
	v_min_u32_e32 v2, 32, v2
	v_sub_nc_u32_e64 v2, v2, 4 clamp
	s_delay_alu instid0(VALU_DEP_1) | instskip(NEXT) | instid1(VALU_DEP_1)
	v_dual_lshlrev_b32 v3, v2, v1 :: v_dual_lshlrev_b32 v2, 23, v2
	v_lshrrev_b32_e32 v3, 4, v3
	s_delay_alu instid0(VALU_DEP_1) | instskip(NEXT) | instid1(VALU_DEP_1)
	v_dual_sub_nc_u32 v2, v3, v2 :: v_dual_ashrrev_i32 v3, 8, v5
	v_add_nc_u32_e32 v2, 0x3c000000, v2
	s_delay_alu instid0(VALU_DEP_1) | instskip(NEXT) | instid1(VALU_DEP_1)
	v_and_or_b32 v2, 0x7f800000, v3, v2
	v_cndmask_b32_e32 v1, 0, v2, vcc_lo
	s_delay_alu instid0(VALU_DEP_1) | instskip(NEXT) | instid1(VALU_DEP_1)
	v_and_or_b32 v0, 0x80000000, v0, v1
	v_cvt_f64_f32_e32 v[0:1], v0
.LBB119_904:
	s_mov_b32 s48, 0
.LBB119_905:
	s_delay_alu instid0(SALU_CYCLE_1)
	s_and_not1_b32 vcc_lo, exec_lo, s48
	s_cbranch_vccnz .LBB119_907
; %bb.906:
	global_load_u8 v0, v[6:7], off
	s_wait_loadcnt 0x0
	v_lshlrev_b32_e32 v1, 25, v0
	v_lshlrev_b16 v0, 8, v0
	s_delay_alu instid0(VALU_DEP_1) | instskip(SKIP_1) | instid1(VALU_DEP_2)
	v_and_or_b32 v3, 0x7f00, v0, 0.5
	v_bfe_i32 v0, v0, 0, 16
	v_dual_add_f32 v3, -0.5, v3 :: v_dual_lshrrev_b32 v2, 4, v1
	v_cmp_gt_u32_e32 vcc_lo, 0x8000000, v1
	s_delay_alu instid0(VALU_DEP_2) | instskip(NEXT) | instid1(VALU_DEP_1)
	v_or_b32_e32 v2, 0x70000000, v2
	v_mul_f32_e32 v2, 0x7800000, v2
	s_delay_alu instid0(VALU_DEP_1) | instskip(NEXT) | instid1(VALU_DEP_1)
	v_cndmask_b32_e32 v1, v2, v3, vcc_lo
	v_and_or_b32 v0, 0x80000000, v0, v1
	s_delay_alu instid0(VALU_DEP_1)
	v_cvt_f64_f32_e32 v[0:1], v0
.LBB119_907:
	s_mov_b32 s49, 0
	s_mov_b32 s48, -1
.LBB119_908:
	s_and_not1_b32 vcc_lo, exec_lo, s49
	s_cbranch_vccnz .LBB119_921
; %bb.909:
	s_cmp_gt_i32 s27, 14
	s_cbranch_scc0 .LBB119_912
; %bb.910:
	s_cmp_eq_u32 s27, 15
	s_cbranch_scc0 .LBB119_915
; %bb.911:
	global_load_u16 v0, v[6:7], off
	s_mov_b32 s48, -1
	s_mov_b32 s26, 0
	s_wait_loadcnt 0x0
	v_lshlrev_b32_e32 v0, 16, v0
	s_delay_alu instid0(VALU_DEP_1)
	v_cvt_f64_f32_e32 v[0:1], v0
	s_branch .LBB119_916
.LBB119_912:
	s_mov_b32 s49, -1
                                        ; implicit-def: $vgpr0_vgpr1
	s_branch .LBB119_917
.LBB119_913:
	s_or_saveexec_b32 s49, s49
	v_mov_b64_e32 v[0:1], 0x7ff8000020000000
	s_xor_b32 exec_lo, exec_lo, s49
	s_cbranch_execz .LBB119_894
.LBB119_914:
	v_cmp_ne_u16_e32 vcc_lo, 0, v2
	v_mov_b64_e32 v[0:1], 0
	s_and_not1_b32 s48, s48, exec_lo
	s_and_b32 s50, vcc_lo, exec_lo
	s_delay_alu instid0(SALU_CYCLE_1)
	s_or_b32 s48, s48, s50
	s_or_b32 exec_lo, exec_lo, s49
	s_and_saveexec_b32 s49, s48
	s_cbranch_execnz .LBB119_895
	s_branch .LBB119_896
.LBB119_915:
	s_mov_b32 s26, -1
                                        ; implicit-def: $vgpr0_vgpr1
.LBB119_916:
	s_mov_b32 s49, 0
.LBB119_917:
	s_delay_alu instid0(SALU_CYCLE_1)
	s_and_b32 vcc_lo, exec_lo, s49
	s_cbranch_vccz .LBB119_921
; %bb.918:
	s_cmp_eq_u32 s27, 11
	s_cbranch_scc0 .LBB119_920
; %bb.919:
	global_load_u8 v0, v[6:7], off
	s_mov_b32 s26, 0
	s_mov_b32 s48, -1
	v_mov_b64_e32 v[2:3], 0
	s_wait_loadcnt 0x0
	v_cmp_ne_u16_e32 vcc_lo, 0, v0
	v_mov_b32_e32 v0, 0
	v_cndmask_b32_e64 v1, 0, 0x3ff00000, vcc_lo
	s_branch .LBB119_922
.LBB119_920:
	s_mov_b32 s26, -1
                                        ; implicit-def: $vgpr0_vgpr1
.LBB119_921:
	v_mov_b64_e32 v[2:3], 0
.LBB119_922:
	s_mov_b32 s27, 0
.LBB119_923:
	s_delay_alu instid0(SALU_CYCLE_1)
	s_and_b32 vcc_lo, exec_lo, s27
	s_cbranch_vccz .LBB119_974
; %bb.924:
	s_and_b32 s0, 0xffff, s0
	s_delay_alu instid0(SALU_CYCLE_1)
	s_cmp_lt_i32 s0, 5
	s_cbranch_scc1 .LBB119_929
; %bb.925:
	s_cmp_lt_i32 s0, 8
	s_cbranch_scc1 .LBB119_930
; %bb.926:
	s_cmp_lt_i32 s0, 9
	s_cbranch_scc1 .LBB119_931
; %bb.927:
	s_cmp_gt_i32 s0, 9
	s_cbranch_scc0 .LBB119_932
; %bb.928:
	global_load_b128 v[0:3], v[6:7], off
	s_mov_b32 s27, 0
	s_branch .LBB119_933
.LBB119_929:
	s_mov_b32 s27, -1
                                        ; implicit-def: $vgpr2_vgpr3
	s_branch .LBB119_952
.LBB119_930:
	s_mov_b32 s27, -1
                                        ; implicit-def: $vgpr2_vgpr3
	s_branch .LBB119_939
.LBB119_931:
	s_mov_b32 s27, -1
                                        ; implicit-def: $vgpr2_vgpr3
	s_branch .LBB119_936
.LBB119_932:
	s_mov_b32 s27, -1
                                        ; implicit-def: $vgpr2_vgpr3
.LBB119_933:
	s_delay_alu instid0(SALU_CYCLE_1)
	s_and_not1_b32 vcc_lo, exec_lo, s27
	s_cbranch_vccnz .LBB119_935
; %bb.934:
	s_wait_loadcnt 0x0
	global_load_b64 v[2:3], v[6:7], off
	s_wait_loadcnt 0x0
	v_cvt_f64_f32_e32 v[0:1], v2
	v_cvt_f64_f32_e32 v[2:3], v3
.LBB119_935:
	s_mov_b32 s27, 0
.LBB119_936:
	s_delay_alu instid0(SALU_CYCLE_1)
	s_and_not1_b32 vcc_lo, exec_lo, s27
	s_cbranch_vccnz .LBB119_938
; %bb.937:
	s_wait_loadcnt 0x0
	global_load_b32 v0, v[6:7], off
	s_wait_loadcnt 0x0
	v_lshrrev_b32_e32 v1, 16, v0
	v_cvt_f32_f16_e32 v0, v0
	s_delay_alu instid0(VALU_DEP_2) | instskip(NEXT) | instid1(VALU_DEP_2)
	v_cvt_f32_f16_e32 v2, v1
	v_cvt_f64_f32_e32 v[0:1], v0
	s_delay_alu instid0(VALU_DEP_2)
	v_cvt_f64_f32_e32 v[2:3], v2
.LBB119_938:
	s_mov_b32 s27, 0
.LBB119_939:
	s_delay_alu instid0(SALU_CYCLE_1)
	s_and_not1_b32 vcc_lo, exec_lo, s27
	s_cbranch_vccnz .LBB119_951
; %bb.940:
	s_cmp_lt_i32 s0, 6
	s_cbranch_scc1 .LBB119_943
; %bb.941:
	s_cmp_gt_i32 s0, 6
	s_cbranch_scc0 .LBB119_944
; %bb.942:
	s_wait_loadcnt 0x0
	global_load_b64 v[0:1], v[6:7], off
	s_mov_b32 s27, 0
	s_branch .LBB119_945
.LBB119_943:
	s_mov_b32 s27, -1
                                        ; implicit-def: $vgpr0_vgpr1
	s_branch .LBB119_948
.LBB119_944:
	s_mov_b32 s27, -1
                                        ; implicit-def: $vgpr0_vgpr1
.LBB119_945:
	s_delay_alu instid0(SALU_CYCLE_1)
	s_and_not1_b32 vcc_lo, exec_lo, s27
	s_cbranch_vccnz .LBB119_947
; %bb.946:
	s_wait_loadcnt 0x0
	global_load_b32 v0, v[6:7], off
	s_wait_loadcnt 0x0
	v_cvt_f64_f32_e32 v[0:1], v0
.LBB119_947:
	s_mov_b32 s27, 0
.LBB119_948:
	s_delay_alu instid0(SALU_CYCLE_1)
	s_and_not1_b32 vcc_lo, exec_lo, s27
	s_cbranch_vccnz .LBB119_950
; %bb.949:
	s_wait_loadcnt 0x0
	global_load_u16 v0, v[6:7], off
	s_wait_loadcnt 0x0
	v_cvt_f32_f16_e32 v0, v0
	s_delay_alu instid0(VALU_DEP_1)
	v_cvt_f64_f32_e32 v[0:1], v0
.LBB119_950:
	s_wait_loadcnt 0x0
	v_mov_b64_e32 v[2:3], 0
.LBB119_951:
	s_mov_b32 s27, 0
.LBB119_952:
	s_delay_alu instid0(SALU_CYCLE_1)
	s_and_not1_b32 vcc_lo, exec_lo, s27
	s_cbranch_vccnz .LBB119_973
; %bb.953:
	s_cmp_lt_i32 s0, 2
	s_cbranch_scc1 .LBB119_957
; %bb.954:
	s_cmp_lt_i32 s0, 3
	s_cbranch_scc1 .LBB119_958
; %bb.955:
	s_cmp_gt_i32 s0, 3
	s_cbranch_scc0 .LBB119_959
; %bb.956:
	s_wait_loadcnt 0x0
	global_load_b64 v[0:1], v[6:7], off
	s_mov_b32 s27, 0
	s_wait_loadcnt 0x0
	v_cvt_f64_i32_e32 v[2:3], v1
	v_cvt_f64_u32_e32 v[0:1], v0
	s_delay_alu instid0(VALU_DEP_2) | instskip(NEXT) | instid1(VALU_DEP_1)
	v_ldexp_f64 v[2:3], v[2:3], 32
	v_add_f64_e32 v[0:1], v[2:3], v[0:1]
	s_branch .LBB119_960
.LBB119_957:
	s_mov_b32 s27, -1
                                        ; implicit-def: $vgpr0_vgpr1
	s_branch .LBB119_966
.LBB119_958:
	s_mov_b32 s27, -1
                                        ; implicit-def: $vgpr0_vgpr1
	s_branch .LBB119_963
.LBB119_959:
	s_mov_b32 s27, -1
                                        ; implicit-def: $vgpr0_vgpr1
.LBB119_960:
	s_delay_alu instid0(SALU_CYCLE_1)
	s_and_not1_b32 vcc_lo, exec_lo, s27
	s_cbranch_vccnz .LBB119_962
; %bb.961:
	s_wait_loadcnt 0x0
	global_load_b32 v0, v[6:7], off
	s_wait_loadcnt 0x0
	v_cvt_f64_i32_e32 v[0:1], v0
.LBB119_962:
	s_mov_b32 s27, 0
.LBB119_963:
	s_delay_alu instid0(SALU_CYCLE_1)
	s_and_not1_b32 vcc_lo, exec_lo, s27
	s_cbranch_vccnz .LBB119_965
; %bb.964:
	s_wait_loadcnt 0x0
	global_load_i16 v0, v[6:7], off
	s_wait_loadcnt 0x0
	v_cvt_f64_i32_e32 v[0:1], v0
.LBB119_965:
	s_mov_b32 s27, 0
.LBB119_966:
	s_delay_alu instid0(SALU_CYCLE_1)
	s_and_not1_b32 vcc_lo, exec_lo, s27
	s_cbranch_vccnz .LBB119_972
; %bb.967:
	s_cmp_gt_i32 s0, 0
	s_mov_b32 s0, 0
	s_cbranch_scc0 .LBB119_969
; %bb.968:
	s_wait_loadcnt 0x0
	global_load_i8 v0, v[6:7], off
	s_wait_loadcnt 0x0
	v_cvt_f64_i32_e32 v[0:1], v0
	s_branch .LBB119_970
.LBB119_969:
	s_mov_b32 s0, -1
                                        ; implicit-def: $vgpr0_vgpr1
.LBB119_970:
	s_delay_alu instid0(SALU_CYCLE_1)
	s_and_not1_b32 vcc_lo, exec_lo, s0
	s_cbranch_vccnz .LBB119_972
; %bb.971:
	s_wait_loadcnt 0x0
	global_load_u8 v0, v[6:7], off
	s_wait_loadcnt 0x0
	v_cvt_f64_u32_e32 v[0:1], v0
.LBB119_972:
	s_wait_loadcnt 0x0
	v_mov_b64_e32 v[2:3], 0
.LBB119_973:
	s_mov_b32 s48, -1
.LBB119_974:
	s_delay_alu instid0(SALU_CYCLE_1)
	s_and_not1_b32 vcc_lo, exec_lo, s48
	s_cbranch_vccnz .LBB119_982
; %bb.975:
	v_mov_b32_e32 v5, 0
	s_and_b32 s0, s13, 0xff
	s_delay_alu instid0(SALU_CYCLE_1) | instskip(NEXT) | instid1(VALU_DEP_1)
	s_cmp_lt_i32 s0, 11
	v_add_nc_u64_e32 v[12:13], s[8:9], v[4:5]
	s_cbranch_scc1 .LBB119_983
; %bb.976:
	s_and_b32 s48, 0xffff, s0
	s_delay_alu instid0(SALU_CYCLE_1)
	s_cmp_gt_i32 s48, 25
	s_cbranch_scc0 .LBB119_984
; %bb.977:
	s_cmp_gt_i32 s48, 28
	s_cbranch_scc0 .LBB119_985
; %bb.978:
	;; [unrolled: 3-line block ×4, first 2 shown]
	s_cmp_eq_u32 s48, 46
	s_mov_b32 s50, 0
	s_cbranch_scc0 .LBB119_990
; %bb.981:
	global_load_b32 v4, v[12:13], off
	s_mov_b32 s49, -1
	s_mov_b32 s27, 0
	s_wait_loadcnt 0x0
	v_lshlrev_b32_e32 v5, 16, v4
	s_wait_xcnt 0x1
	v_and_b32_e32 v6, 0xffff0000, v4
	s_delay_alu instid0(VALU_DEP_2) | instskip(NEXT) | instid1(VALU_DEP_2)
	v_cvt_f64_f32_e32 v[4:5], v5
	v_cvt_f64_f32_e32 v[6:7], v6
	s_branch .LBB119_992
.LBB119_982:
	s_mov_b32 s51, 0
	s_mov_b32 s0, s44
	;; [unrolled: 1-line block ×3, first 2 shown]
	s_branch .LBB119_1241
.LBB119_983:
	s_mov_b32 s48, -1
	s_mov_b32 s49, 0
	s_mov_b32 s27, s45
                                        ; implicit-def: $vgpr6_vgpr7
	s_branch .LBB119_1060
.LBB119_984:
	s_mov_b32 s50, -1
	s_mov_b32 s49, 0
	s_mov_b32 s27, s45
                                        ; implicit-def: $vgpr6_vgpr7
	s_branch .LBB119_1023
.LBB119_985:
	s_mov_b32 s50, -1
	s_mov_b32 s49, 0
	s_mov_b32 s27, s45
                                        ; implicit-def: $vgpr6_vgpr7
	s_branch .LBB119_1004
.LBB119_986:
	s_mov_b32 s50, -1
	s_mov_b32 s49, 0
	s_mov_b32 s27, s45
                                        ; implicit-def: $vgpr6_vgpr7
	s_branch .LBB119_998
.LBB119_987:
	s_mov_b32 s50, -1
	s_mov_b32 s49, 0
	s_mov_b32 s27, s45
	s_branch .LBB119_991
.LBB119_988:
	s_and_not1_saveexec_b32 s49, s49
	s_cbranch_execz .LBB119_746
.LBB119_989:
	v_add_f32_e32 v2, 0x42800000, v3
	s_and_not1_b32 s48, s48, exec_lo
	s_delay_alu instid0(VALU_DEP_1) | instskip(NEXT) | instid1(VALU_DEP_1)
	v_and_b32_e32 v2, 0xff, v2
	v_cmp_ne_u32_e32 vcc_lo, 0, v2
	s_and_b32 s50, vcc_lo, exec_lo
	s_delay_alu instid0(SALU_CYCLE_1)
	s_or_b32 s48, s48, s50
	s_or_b32 exec_lo, exec_lo, s49
	v_mov_b32_e32 v4, 0
	s_and_saveexec_b32 s49, s48
	s_cbranch_execnz .LBB119_747
	s_branch .LBB119_748
.LBB119_990:
	s_mov_b32 s27, -1
	s_mov_b32 s49, 0
.LBB119_991:
                                        ; implicit-def: $vgpr6_vgpr7
.LBB119_992:
	s_and_b32 vcc_lo, exec_lo, s50
	s_cbranch_vccz .LBB119_997
; %bb.993:
	s_cmp_eq_u32 s48, 44
	s_cbranch_scc0 .LBB119_995
; %bb.994:
	global_load_u8 v6, v[12:13], off
	s_mov_b32 s27, 0
	s_mov_b32 s49, -1
	s_wait_loadcnt 0x0
	v_cmp_ne_u32_e32 vcc_lo, 0xff, v6
	v_lshlrev_b32_e32 v4, 23, v6
	s_delay_alu instid0(VALU_DEP_1) | instskip(NEXT) | instid1(VALU_DEP_1)
	v_cvt_f64_f32_e32 v[4:5], v4
	v_cndmask_b32_e32 v4, 0x20000000, v4, vcc_lo
	s_delay_alu instid0(VALU_DEP_2) | instskip(SKIP_1) | instid1(VALU_DEP_2)
	v_cndmask_b32_e32 v5, 0x7ff80000, v5, vcc_lo
	v_cmp_ne_u32_e32 vcc_lo, 0, v6
	v_cndmask_b32_e32 v5, 0x38000000, v5, vcc_lo
	s_delay_alu instid0(VALU_DEP_4)
	v_cndmask_b32_e32 v4, 0, v4, vcc_lo
	s_branch .LBB119_996
.LBB119_995:
	s_mov_b32 s27, -1
                                        ; implicit-def: $vgpr4_vgpr5
.LBB119_996:
	s_wait_xcnt 0x0
	v_mov_b64_e32 v[6:7], 0
.LBB119_997:
	s_mov_b32 s50, 0
.LBB119_998:
	s_delay_alu instid0(SALU_CYCLE_1)
	s_and_b32 vcc_lo, exec_lo, s50
	s_cbranch_vccz .LBB119_1003
; %bb.999:
	s_cmp_eq_u32 s48, 29
	s_cbranch_scc0 .LBB119_1001
; %bb.1000:
	global_load_b64 v[4:5], v[12:13], off
	s_mov_b32 s49, -1
	s_mov_b32 s27, 0
	s_wait_loadcnt 0x0
	s_wait_xcnt 0x1
	v_cvt_f64_u32_e32 v[6:7], v5
	v_cvt_f64_u32_e32 v[4:5], v4
	s_delay_alu instid0(VALU_DEP_2) | instskip(NEXT) | instid1(VALU_DEP_1)
	v_ldexp_f64 v[6:7], v[6:7], 32
	v_add_f64_e32 v[4:5], v[6:7], v[4:5]
	s_branch .LBB119_1002
.LBB119_1001:
	s_mov_b32 s27, -1
                                        ; implicit-def: $vgpr4_vgpr5
.LBB119_1002:
	s_wait_xcnt 0x0
	v_mov_b64_e32 v[6:7], 0
.LBB119_1003:
	s_mov_b32 s50, 0
.LBB119_1004:
	s_delay_alu instid0(SALU_CYCLE_1)
	s_and_b32 vcc_lo, exec_lo, s50
	s_cbranch_vccz .LBB119_1022
; %bb.1005:
	s_cmp_lt_i32 s48, 27
	s_cbranch_scc1 .LBB119_1008
; %bb.1006:
	s_cmp_gt_i32 s48, 27
	s_cbranch_scc0 .LBB119_1009
; %bb.1007:
	global_load_b32 v4, v[12:13], off
	s_mov_b32 s49, 0
	s_wait_loadcnt 0x0
	v_cvt_f64_u32_e32 v[4:5], v4
	s_branch .LBB119_1010
.LBB119_1008:
	s_mov_b32 s49, -1
                                        ; implicit-def: $vgpr4_vgpr5
	s_branch .LBB119_1013
.LBB119_1009:
	s_mov_b32 s49, -1
                                        ; implicit-def: $vgpr4_vgpr5
.LBB119_1010:
	s_delay_alu instid0(SALU_CYCLE_1)
	s_and_not1_b32 vcc_lo, exec_lo, s49
	s_cbranch_vccnz .LBB119_1012
; %bb.1011:
	global_load_u16 v4, v[12:13], off
	s_wait_loadcnt 0x0
	v_cvt_f64_u32_e32 v[4:5], v4
.LBB119_1012:
	s_mov_b32 s49, 0
.LBB119_1013:
	s_delay_alu instid0(SALU_CYCLE_1)
	s_and_not1_b32 vcc_lo, exec_lo, s49
	s_cbranch_vccnz .LBB119_1021
; %bb.1014:
	global_load_u8 v6, v[12:13], off
	s_mov_b32 s49, 0
	s_mov_b32 s50, exec_lo
	s_wait_loadcnt 0x0
	v_cmpx_lt_i16_e32 0x7f, v6
	s_xor_b32 s50, exec_lo, s50
	s_cbranch_execz .LBB119_1035
; %bb.1015:
	s_mov_b32 s49, -1
	s_mov_b32 s51, exec_lo
	v_cmpx_eq_u16_e32 0x80, v6
; %bb.1016:
	s_xor_b32 s49, exec_lo, -1
; %bb.1017:
	s_or_b32 exec_lo, exec_lo, s51
	s_delay_alu instid0(SALU_CYCLE_1)
	s_and_b32 s49, s49, exec_lo
	s_or_saveexec_b32 s50, s50
	v_mov_b64_e32 v[4:5], 0x7ff8000020000000
	s_xor_b32 exec_lo, exec_lo, s50
	s_cbranch_execnz .LBB119_1036
.LBB119_1018:
	s_or_b32 exec_lo, exec_lo, s50
	s_and_saveexec_b32 s50, s49
	s_cbranch_execz .LBB119_1020
.LBB119_1019:
	v_and_b32_e32 v4, 0xffff, v6
	s_delay_alu instid0(VALU_DEP_1) | instskip(SKIP_1) | instid1(VALU_DEP_2)
	v_and_b32_e32 v5, 7, v4
	v_bfe_u32 v11, v4, 3, 4
	v_clz_i32_u32_e32 v7, v5
	s_delay_alu instid0(VALU_DEP_2) | instskip(NEXT) | instid1(VALU_DEP_2)
	v_cmp_eq_u32_e32 vcc_lo, 0, v11
	v_min_u32_e32 v7, 32, v7
	s_delay_alu instid0(VALU_DEP_1) | instskip(NEXT) | instid1(VALU_DEP_1)
	v_subrev_nc_u32_e32 v9, 28, v7
	v_dual_lshlrev_b32 v4, v9, v4 :: v_dual_sub_nc_u32 v7, 29, v7
	s_delay_alu instid0(VALU_DEP_1) | instskip(NEXT) | instid1(VALU_DEP_1)
	v_dual_lshlrev_b32 v6, 24, v6 :: v_dual_bitop2_b32 v4, 7, v4 bitop3:0x40
	v_dual_cndmask_b32 v7, v11, v7 :: v_dual_cndmask_b32 v4, v5, v4
	s_delay_alu instid0(VALU_DEP_2) | instskip(NEXT) | instid1(VALU_DEP_2)
	v_and_b32_e32 v5, 0x80000000, v6
	v_lshl_add_u32 v6, v7, 23, 0x3b800000
	s_delay_alu instid0(VALU_DEP_3) | instskip(NEXT) | instid1(VALU_DEP_1)
	v_lshlrev_b32_e32 v4, 20, v4
	v_or3_b32 v4, v5, v6, v4
	s_delay_alu instid0(VALU_DEP_1)
	v_cvt_f64_f32_e32 v[4:5], v4
.LBB119_1020:
	s_or_b32 exec_lo, exec_lo, s50
.LBB119_1021:
	s_wait_xcnt 0x0
	v_mov_b64_e32 v[6:7], 0
	s_mov_b32 s49, -1
.LBB119_1022:
	s_mov_b32 s50, 0
.LBB119_1023:
	s_delay_alu instid0(SALU_CYCLE_1)
	s_and_b32 vcc_lo, exec_lo, s50
	s_cbranch_vccz .LBB119_1059
; %bb.1024:
	s_cmp_gt_i32 s48, 22
	s_cbranch_scc0 .LBB119_1034
; %bb.1025:
	s_cmp_lt_i32 s48, 24
	s_cbranch_scc1 .LBB119_1037
; %bb.1026:
	s_cmp_gt_i32 s48, 24
	s_cbranch_scc0 .LBB119_1038
; %bb.1027:
	global_load_u8 v6, v[12:13], off
	s_mov_b32 s49, 0
	s_mov_b32 s50, exec_lo
	s_wait_loadcnt 0x0
	v_cmpx_lt_i16_e32 0x7f, v6
	s_xor_b32 s50, exec_lo, s50
	s_cbranch_execz .LBB119_1050
; %bb.1028:
	s_mov_b32 s49, -1
	s_mov_b32 s51, exec_lo
	v_cmpx_eq_u16_e32 0x80, v6
; %bb.1029:
	s_xor_b32 s49, exec_lo, -1
; %bb.1030:
	s_or_b32 exec_lo, exec_lo, s51
	s_delay_alu instid0(SALU_CYCLE_1)
	s_and_b32 s49, s49, exec_lo
	s_or_saveexec_b32 s50, s50
	v_mov_b64_e32 v[4:5], 0x7ff8000020000000
	s_xor_b32 exec_lo, exec_lo, s50
	s_cbranch_execnz .LBB119_1051
.LBB119_1031:
	s_or_b32 exec_lo, exec_lo, s50
	s_and_saveexec_b32 s50, s49
	s_cbranch_execz .LBB119_1033
.LBB119_1032:
	v_and_b32_e32 v4, 0xffff, v6
	s_delay_alu instid0(VALU_DEP_1) | instskip(SKIP_1) | instid1(VALU_DEP_2)
	v_and_b32_e32 v5, 3, v4
	v_bfe_u32 v11, v4, 2, 5
	v_clz_i32_u32_e32 v7, v5
	s_delay_alu instid0(VALU_DEP_2) | instskip(NEXT) | instid1(VALU_DEP_2)
	v_cmp_eq_u32_e32 vcc_lo, 0, v11
	v_min_u32_e32 v7, 32, v7
	s_delay_alu instid0(VALU_DEP_1) | instskip(NEXT) | instid1(VALU_DEP_1)
	v_subrev_nc_u32_e32 v9, 29, v7
	v_dual_lshlrev_b32 v4, v9, v4 :: v_dual_sub_nc_u32 v7, 30, v7
	s_delay_alu instid0(VALU_DEP_1) | instskip(NEXT) | instid1(VALU_DEP_1)
	v_dual_lshlrev_b32 v6, 24, v6 :: v_dual_bitop2_b32 v4, 3, v4 bitop3:0x40
	v_dual_cndmask_b32 v7, v11, v7 :: v_dual_cndmask_b32 v4, v5, v4
	s_delay_alu instid0(VALU_DEP_2) | instskip(NEXT) | instid1(VALU_DEP_2)
	v_and_b32_e32 v5, 0x80000000, v6
	v_lshl_add_u32 v6, v7, 23, 0x37800000
	s_delay_alu instid0(VALU_DEP_3) | instskip(NEXT) | instid1(VALU_DEP_1)
	v_lshlrev_b32_e32 v4, 21, v4
	v_or3_b32 v4, v5, v6, v4
	s_delay_alu instid0(VALU_DEP_1)
	v_cvt_f64_f32_e32 v[4:5], v4
.LBB119_1033:
	s_or_b32 exec_lo, exec_lo, s50
	s_mov_b32 s49, 0
	s_branch .LBB119_1039
.LBB119_1034:
	s_mov_b32 s50, -1
                                        ; implicit-def: $vgpr4_vgpr5
	s_branch .LBB119_1045
.LBB119_1035:
	s_or_saveexec_b32 s50, s50
	v_mov_b64_e32 v[4:5], 0x7ff8000020000000
	s_xor_b32 exec_lo, exec_lo, s50
	s_cbranch_execz .LBB119_1018
.LBB119_1036:
	v_cmp_ne_u16_e32 vcc_lo, 0, v6
	v_mov_b64_e32 v[4:5], 0
	s_and_not1_b32 s49, s49, exec_lo
	s_and_b32 s51, vcc_lo, exec_lo
	s_delay_alu instid0(SALU_CYCLE_1)
	s_or_b32 s49, s49, s51
	s_or_b32 exec_lo, exec_lo, s50
	s_and_saveexec_b32 s50, s49
	s_cbranch_execnz .LBB119_1019
	s_branch .LBB119_1020
.LBB119_1037:
	s_mov_b32 s49, -1
                                        ; implicit-def: $vgpr4_vgpr5
	s_branch .LBB119_1042
.LBB119_1038:
	s_mov_b32 s49, -1
                                        ; implicit-def: $vgpr4_vgpr5
.LBB119_1039:
	s_delay_alu instid0(SALU_CYCLE_1)
	s_and_b32 vcc_lo, exec_lo, s49
	s_cbranch_vccz .LBB119_1041
; %bb.1040:
	global_load_u8 v4, v[12:13], off
	s_wait_loadcnt 0x0
	v_lshlrev_b32_e32 v4, 24, v4
	s_delay_alu instid0(VALU_DEP_1) | instskip(SKIP_1) | instid1(VALU_DEP_1)
	v_and_b32_e32 v5, 0x7f000000, v4
	s_wait_xcnt 0x1
	v_clz_i32_u32_e32 v6, v5
	v_add_nc_u32_e32 v9, 0x1000000, v5
	v_cmp_ne_u32_e32 vcc_lo, 0, v5
	s_delay_alu instid0(VALU_DEP_3) | instskip(NEXT) | instid1(VALU_DEP_1)
	v_min_u32_e32 v6, 32, v6
	v_sub_nc_u32_e64 v6, v6, 4 clamp
	s_delay_alu instid0(VALU_DEP_1) | instskip(NEXT) | instid1(VALU_DEP_1)
	v_dual_lshlrev_b32 v7, v6, v5 :: v_dual_lshlrev_b32 v6, 23, v6
	v_lshrrev_b32_e32 v7, 4, v7
	s_delay_alu instid0(VALU_DEP_1) | instskip(NEXT) | instid1(VALU_DEP_1)
	v_dual_sub_nc_u32 v6, v7, v6 :: v_dual_ashrrev_i32 v7, 8, v9
	v_add_nc_u32_e32 v6, 0x3c000000, v6
	s_delay_alu instid0(VALU_DEP_1) | instskip(NEXT) | instid1(VALU_DEP_1)
	v_and_or_b32 v6, 0x7f800000, v7, v6
	v_cndmask_b32_e32 v5, 0, v6, vcc_lo
	s_delay_alu instid0(VALU_DEP_1) | instskip(NEXT) | instid1(VALU_DEP_1)
	v_and_or_b32 v4, 0x80000000, v4, v5
	v_cvt_f64_f32_e32 v[4:5], v4
.LBB119_1041:
	s_mov_b32 s49, 0
.LBB119_1042:
	s_delay_alu instid0(SALU_CYCLE_1)
	s_and_not1_b32 vcc_lo, exec_lo, s49
	s_cbranch_vccnz .LBB119_1044
; %bb.1043:
	global_load_u8 v4, v[12:13], off
	s_wait_loadcnt 0x0
	v_lshlrev_b32_e32 v5, 25, v4
	v_lshlrev_b16 v4, 8, v4
	s_wait_xcnt 0x1
	s_delay_alu instid0(VALU_DEP_1) | instskip(SKIP_1) | instid1(VALU_DEP_2)
	v_and_or_b32 v7, 0x7f00, v4, 0.5
	v_bfe_i32 v4, v4, 0, 16
	v_dual_add_f32 v7, -0.5, v7 :: v_dual_lshrrev_b32 v6, 4, v5
	v_cmp_gt_u32_e32 vcc_lo, 0x8000000, v5
	s_delay_alu instid0(VALU_DEP_2) | instskip(NEXT) | instid1(VALU_DEP_1)
	v_or_b32_e32 v6, 0x70000000, v6
	v_mul_f32_e32 v6, 0x7800000, v6
	s_delay_alu instid0(VALU_DEP_1) | instskip(NEXT) | instid1(VALU_DEP_1)
	v_cndmask_b32_e32 v5, v6, v7, vcc_lo
	v_and_or_b32 v4, 0x80000000, v4, v5
	s_delay_alu instid0(VALU_DEP_1)
	v_cvt_f64_f32_e32 v[4:5], v4
.LBB119_1044:
	s_mov_b32 s50, 0
	s_mov_b32 s49, -1
.LBB119_1045:
	s_and_not1_b32 vcc_lo, exec_lo, s50
	s_cbranch_vccnz .LBB119_1058
; %bb.1046:
	s_cmp_gt_i32 s48, 14
	s_cbranch_scc0 .LBB119_1049
; %bb.1047:
	s_cmp_eq_u32 s48, 15
	s_cbranch_scc0 .LBB119_1052
; %bb.1048:
	global_load_u16 v4, v[12:13], off
	s_mov_b32 s49, -1
	s_mov_b32 s27, 0
	s_wait_loadcnt 0x0
	v_lshlrev_b32_e32 v4, 16, v4
	s_delay_alu instid0(VALU_DEP_1)
	v_cvt_f64_f32_e32 v[4:5], v4
	s_branch .LBB119_1053
.LBB119_1049:
	s_mov_b32 s50, -1
                                        ; implicit-def: $vgpr4_vgpr5
	s_branch .LBB119_1054
.LBB119_1050:
	s_or_saveexec_b32 s50, s50
	v_mov_b64_e32 v[4:5], 0x7ff8000020000000
	s_xor_b32 exec_lo, exec_lo, s50
	s_cbranch_execz .LBB119_1031
.LBB119_1051:
	v_cmp_ne_u16_e32 vcc_lo, 0, v6
	v_mov_b64_e32 v[4:5], 0
	s_and_not1_b32 s49, s49, exec_lo
	s_and_b32 s51, vcc_lo, exec_lo
	s_delay_alu instid0(SALU_CYCLE_1)
	s_or_b32 s49, s49, s51
	s_or_b32 exec_lo, exec_lo, s50
	s_and_saveexec_b32 s50, s49
	s_cbranch_execnz .LBB119_1032
	s_branch .LBB119_1033
.LBB119_1052:
	s_mov_b32 s27, -1
                                        ; implicit-def: $vgpr4_vgpr5
.LBB119_1053:
	s_mov_b32 s50, 0
.LBB119_1054:
	s_delay_alu instid0(SALU_CYCLE_1)
	s_and_b32 vcc_lo, exec_lo, s50
	s_cbranch_vccz .LBB119_1058
; %bb.1055:
	s_cmp_eq_u32 s48, 11
	s_cbranch_scc0 .LBB119_1057
; %bb.1056:
	global_load_u8 v4, v[12:13], off
	s_mov_b32 s27, 0
	s_mov_b32 s49, -1
	s_wait_xcnt 0x1
	v_mov_b64_e32 v[6:7], 0
	s_wait_loadcnt 0x0
	v_cmp_ne_u16_e32 vcc_lo, 0, v4
	v_mov_b32_e32 v4, 0
	v_cndmask_b32_e64 v5, 0, 0x3ff00000, vcc_lo
	s_branch .LBB119_1059
.LBB119_1057:
	s_mov_b32 s27, -1
                                        ; implicit-def: $vgpr4_vgpr5
.LBB119_1058:
	s_wait_xcnt 0x0
	v_mov_b64_e32 v[6:7], 0
.LBB119_1059:
	s_mov_b32 s48, 0
.LBB119_1060:
	s_delay_alu instid0(SALU_CYCLE_1)
	s_and_b32 vcc_lo, exec_lo, s48
	s_cbranch_vccz .LBB119_1111
; %bb.1061:
	s_and_b32 s0, 0xffff, s0
	s_delay_alu instid0(SALU_CYCLE_1)
	s_cmp_lt_i32 s0, 5
	s_cbranch_scc1 .LBB119_1066
; %bb.1062:
	s_cmp_lt_i32 s0, 8
	s_cbranch_scc1 .LBB119_1067
; %bb.1063:
	;; [unrolled: 3-line block ×3, first 2 shown]
	s_cmp_gt_i32 s0, 9
	s_cbranch_scc0 .LBB119_1069
; %bb.1065:
	global_load_b128 v[4:7], v[12:13], off
	s_mov_b32 s48, 0
	s_branch .LBB119_1070
.LBB119_1066:
	s_mov_b32 s48, -1
                                        ; implicit-def: $vgpr6_vgpr7
	s_branch .LBB119_1089
.LBB119_1067:
	s_mov_b32 s48, -1
                                        ; implicit-def: $vgpr6_vgpr7
	s_branch .LBB119_1076
.LBB119_1068:
	s_mov_b32 s48, -1
                                        ; implicit-def: $vgpr6_vgpr7
	s_branch .LBB119_1073
.LBB119_1069:
	s_mov_b32 s48, -1
                                        ; implicit-def: $vgpr6_vgpr7
.LBB119_1070:
	s_delay_alu instid0(SALU_CYCLE_1)
	s_and_not1_b32 vcc_lo, exec_lo, s48
	s_cbranch_vccnz .LBB119_1072
; %bb.1071:
	s_wait_loadcnt 0x0
	global_load_b64 v[6:7], v[12:13], off
	s_wait_loadcnt 0x0
	v_cvt_f64_f32_e32 v[4:5], v6
	v_cvt_f64_f32_e32 v[6:7], v7
.LBB119_1072:
	s_mov_b32 s48, 0
.LBB119_1073:
	s_delay_alu instid0(SALU_CYCLE_1)
	s_and_not1_b32 vcc_lo, exec_lo, s48
	s_cbranch_vccnz .LBB119_1075
; %bb.1074:
	s_wait_loadcnt 0x0
	global_load_b32 v4, v[12:13], off
	s_wait_loadcnt 0x0
	v_lshrrev_b32_e32 v5, 16, v4
	v_cvt_f32_f16_e32 v4, v4
	s_wait_xcnt 0x1
	s_delay_alu instid0(VALU_DEP_2) | instskip(NEXT) | instid1(VALU_DEP_2)
	v_cvt_f32_f16_e32 v6, v5
	v_cvt_f64_f32_e32 v[4:5], v4
	s_delay_alu instid0(VALU_DEP_2)
	v_cvt_f64_f32_e32 v[6:7], v6
.LBB119_1075:
	s_mov_b32 s48, 0
.LBB119_1076:
	s_delay_alu instid0(SALU_CYCLE_1)
	s_and_not1_b32 vcc_lo, exec_lo, s48
	s_cbranch_vccnz .LBB119_1088
; %bb.1077:
	s_cmp_lt_i32 s0, 6
	s_cbranch_scc1 .LBB119_1080
; %bb.1078:
	s_cmp_gt_i32 s0, 6
	s_cbranch_scc0 .LBB119_1081
; %bb.1079:
	s_wait_loadcnt 0x0
	global_load_b64 v[4:5], v[12:13], off
	s_mov_b32 s48, 0
	s_branch .LBB119_1082
.LBB119_1080:
	s_mov_b32 s48, -1
                                        ; implicit-def: $vgpr4_vgpr5
	s_branch .LBB119_1085
.LBB119_1081:
	s_mov_b32 s48, -1
                                        ; implicit-def: $vgpr4_vgpr5
.LBB119_1082:
	s_delay_alu instid0(SALU_CYCLE_1)
	s_and_not1_b32 vcc_lo, exec_lo, s48
	s_cbranch_vccnz .LBB119_1084
; %bb.1083:
	s_wait_loadcnt 0x0
	global_load_b32 v4, v[12:13], off
	s_wait_loadcnt 0x0
	v_cvt_f64_f32_e32 v[4:5], v4
.LBB119_1084:
	s_mov_b32 s48, 0
.LBB119_1085:
	s_delay_alu instid0(SALU_CYCLE_1)
	s_and_not1_b32 vcc_lo, exec_lo, s48
	s_cbranch_vccnz .LBB119_1087
; %bb.1086:
	s_wait_loadcnt 0x0
	global_load_u16 v4, v[12:13], off
	s_wait_loadcnt 0x0
	v_cvt_f32_f16_e32 v4, v4
	s_delay_alu instid0(VALU_DEP_1)
	v_cvt_f64_f32_e32 v[4:5], v4
.LBB119_1087:
	s_wait_loadcnt 0x0
	v_mov_b64_e32 v[6:7], 0
.LBB119_1088:
	s_mov_b32 s48, 0
.LBB119_1089:
	s_delay_alu instid0(SALU_CYCLE_1)
	s_and_not1_b32 vcc_lo, exec_lo, s48
	s_cbranch_vccnz .LBB119_1110
; %bb.1090:
	s_cmp_lt_i32 s0, 2
	s_cbranch_scc1 .LBB119_1094
; %bb.1091:
	s_cmp_lt_i32 s0, 3
	s_cbranch_scc1 .LBB119_1095
; %bb.1092:
	s_cmp_gt_i32 s0, 3
	s_cbranch_scc0 .LBB119_1096
; %bb.1093:
	s_wait_loadcnt 0x0
	global_load_b64 v[4:5], v[12:13], off
	s_mov_b32 s48, 0
	s_wait_loadcnt 0x0
	s_wait_xcnt 0x1
	v_cvt_f64_i32_e32 v[6:7], v5
	v_cvt_f64_u32_e32 v[4:5], v4
	s_delay_alu instid0(VALU_DEP_2) | instskip(NEXT) | instid1(VALU_DEP_1)
	v_ldexp_f64 v[6:7], v[6:7], 32
	v_add_f64_e32 v[4:5], v[6:7], v[4:5]
	s_branch .LBB119_1097
.LBB119_1094:
	s_mov_b32 s48, -1
                                        ; implicit-def: $vgpr4_vgpr5
	s_branch .LBB119_1103
.LBB119_1095:
	s_mov_b32 s48, -1
                                        ; implicit-def: $vgpr4_vgpr5
	s_branch .LBB119_1100
.LBB119_1096:
	s_mov_b32 s48, -1
                                        ; implicit-def: $vgpr4_vgpr5
.LBB119_1097:
	s_delay_alu instid0(SALU_CYCLE_1)
	s_and_not1_b32 vcc_lo, exec_lo, s48
	s_cbranch_vccnz .LBB119_1099
; %bb.1098:
	s_wait_loadcnt 0x0
	global_load_b32 v4, v[12:13], off
	s_wait_loadcnt 0x0
	v_cvt_f64_i32_e32 v[4:5], v4
.LBB119_1099:
	s_mov_b32 s48, 0
.LBB119_1100:
	s_delay_alu instid0(SALU_CYCLE_1)
	s_and_not1_b32 vcc_lo, exec_lo, s48
	s_cbranch_vccnz .LBB119_1102
; %bb.1101:
	s_wait_loadcnt 0x0
	global_load_i16 v4, v[12:13], off
	s_wait_loadcnt 0x0
	v_cvt_f64_i32_e32 v[4:5], v4
.LBB119_1102:
	s_mov_b32 s48, 0
.LBB119_1103:
	s_delay_alu instid0(SALU_CYCLE_1)
	s_and_not1_b32 vcc_lo, exec_lo, s48
	s_cbranch_vccnz .LBB119_1109
; %bb.1104:
	s_cmp_gt_i32 s0, 0
	s_mov_b32 s0, 0
	s_cbranch_scc0 .LBB119_1106
; %bb.1105:
	s_wait_loadcnt 0x0
	global_load_i8 v4, v[12:13], off
	s_wait_loadcnt 0x0
	v_cvt_f64_i32_e32 v[4:5], v4
	s_branch .LBB119_1107
.LBB119_1106:
	s_mov_b32 s0, -1
                                        ; implicit-def: $vgpr4_vgpr5
.LBB119_1107:
	s_delay_alu instid0(SALU_CYCLE_1)
	s_and_not1_b32 vcc_lo, exec_lo, s0
	s_cbranch_vccnz .LBB119_1109
; %bb.1108:
	s_wait_loadcnt 0x0
	global_load_u8 v4, v[12:13], off
	s_wait_loadcnt 0x0
	v_cvt_f64_u32_e32 v[4:5], v4
.LBB119_1109:
	s_wait_loadcnt 0x0
	v_mov_b64_e32 v[6:7], 0
.LBB119_1110:
	s_mov_b32 s49, -1
.LBB119_1111:
	s_delay_alu instid0(SALU_CYCLE_1)
	s_and_not1_b32 vcc_lo, exec_lo, s49
	s_cbranch_vccnz .LBB119_1114
; %bb.1112:
	s_and_not1_b32 vcc_lo, exec_lo, s10
	s_cbranch_vccnz .LBB119_1115
; %bb.1113:
	s_wait_loadcnt 0x0
	s_delay_alu instid0(VALU_DEP_1) | instskip(NEXT) | instid1(VALU_DEP_2)
	v_cmp_neq_f64_e32 vcc_lo, v[0:1], v[4:5]
	v_cmp_neq_f64_e64 s0, v[2:3], v[6:7]
	s_or_b32 s48, vcc_lo, s0
	s_mov_b32 s0, 0
	s_branch .LBB119_1116
.LBB119_1114:
	s_mov_b32 s51, 0
	s_mov_b32 s0, s44
	s_branch .LBB119_1241
.LBB119_1115:
	s_mov_b32 s0, -1
                                        ; implicit-def: $sgpr48
.LBB119_1116:
	s_delay_alu instid0(SALU_CYCLE_1)
	s_and_not1_b32 vcc_lo, exec_lo, s0
	s_cbranch_vccnz .LBB119_1118
; %bb.1117:
	s_wait_loadcnt 0x0
	s_delay_alu instid0(VALU_DEP_1) | instskip(NEXT) | instid1(VALU_DEP_2)
	v_cmp_eq_f64_e32 vcc_lo, v[0:1], v[4:5]
	v_cmp_eq_f64_e64 s0, v[2:3], v[6:7]
	s_and_not1_b32 s48, s48, exec_lo
	s_and_b32 s0, vcc_lo, s0
	s_delay_alu instid0(SALU_CYCLE_1) | instskip(NEXT) | instid1(SALU_CYCLE_1)
	s_and_b32 s0, s0, exec_lo
	s_or_b32 s48, s48, s0
.LBB119_1118:
	v_mov_b32_e32 v11, 0
	s_and_b32 s49, s11, 0xff
	s_delay_alu instid0(SALU_CYCLE_1) | instskip(SKIP_1) | instid1(VALU_DEP_1)
	s_cmp_lt_i32 s49, 11
	s_wait_loadcnt 0x0
	v_add_nc_u64_e32 v[0:1], s[4:5], v[10:11]
	s_cbranch_scc1 .LBB119_1125
; %bb.1119:
	s_and_b32 s50, 0xffff, s49
	s_delay_alu instid0(SALU_CYCLE_1)
	s_cmp_gt_i32 s50, 25
	s_cbranch_scc0 .LBB119_1126
; %bb.1120:
	s_cmp_gt_i32 s50, 28
	s_cbranch_scc0 .LBB119_1127
; %bb.1121:
	;; [unrolled: 3-line block ×4, first 2 shown]
	s_mov_b32 s52, 0
	s_mov_b32 s0, -1
	s_cmp_eq_u32 s50, 46
	s_mov_b32 s51, 0
	s_cbranch_scc0 .LBB119_1130
; %bb.1124:
	v_cndmask_b32_e64 v2, 0, 1.0, s48
	s_mov_b32 s51, -1
	s_mov_b32 s0, 0
	s_delay_alu instid0(VALU_DEP_1) | instskip(NEXT) | instid1(VALU_DEP_1)
	v_bfe_u32 v3, v2, 16, 1
	v_add3_u32 v2, v2, v3, 0x7fff
	s_delay_alu instid0(VALU_DEP_1)
	v_lshrrev_b32_e32 v2, 16, v2
	global_store_b32 v[0:1], v2, off
	s_branch .LBB119_1130
.LBB119_1125:
	s_mov_b32 s50, -1
	s_mov_b32 s51, 0
	s_mov_b32 s0, s44
	s_branch .LBB119_1199
.LBB119_1126:
	s_mov_b32 s52, -1
	s_mov_b32 s51, 0
	s_mov_b32 s0, s44
	s_branch .LBB119_1157
.LBB119_1127:
	s_mov_b32 s52, -1
	s_mov_b32 s51, 0
	s_mov_b32 s0, s44
	s_branch .LBB119_1140
.LBB119_1128:
	s_mov_b32 s52, -1
	s_mov_b32 s51, 0
	s_mov_b32 s0, s44
	s_branch .LBB119_1136
.LBB119_1129:
	s_mov_b32 s52, -1
	s_mov_b32 s51, 0
	s_mov_b32 s0, s44
.LBB119_1130:
	s_and_b32 vcc_lo, exec_lo, s52
	s_cbranch_vccz .LBB119_1135
; %bb.1131:
	s_cmp_eq_u32 s50, 44
	s_mov_b32 s0, -1
	s_cbranch_scc0 .LBB119_1135
; %bb.1132:
	v_cndmask_b32_e64 v4, 0, 1.0, s48
	s_mov_b32 s51, exec_lo
	s_wait_xcnt 0x0
	s_delay_alu instid0(VALU_DEP_1) | instskip(NEXT) | instid1(VALU_DEP_1)
	v_dual_mov_b32 v3, 0xff :: v_dual_lshrrev_b32 v2, 23, v4
	v_cmpx_ne_u32_e32 0xff, v2
; %bb.1133:
	v_and_b32_e32 v3, 0x400000, v4
	v_and_or_b32 v4, 0x3fffff, v4, v2
	s_delay_alu instid0(VALU_DEP_2) | instskip(NEXT) | instid1(VALU_DEP_2)
	v_cmp_ne_u32_e32 vcc_lo, 0, v3
	v_cmp_ne_u32_e64 s0, 0, v4
	s_and_b32 s0, vcc_lo, s0
	s_delay_alu instid0(SALU_CYCLE_1) | instskip(NEXT) | instid1(VALU_DEP_1)
	v_cndmask_b32_e64 v3, 0, 1, s0
	v_add_nc_u32_e32 v3, v2, v3
; %bb.1134:
	s_or_b32 exec_lo, exec_lo, s51
	s_mov_b32 s51, -1
	s_mov_b32 s0, 0
	global_store_b8 v[0:1], v3, off
.LBB119_1135:
	s_mov_b32 s52, 0
.LBB119_1136:
	s_delay_alu instid0(SALU_CYCLE_1)
	s_and_b32 vcc_lo, exec_lo, s52
	s_cbranch_vccz .LBB119_1139
; %bb.1137:
	s_cmp_eq_u32 s50, 29
	s_mov_b32 s0, -1
	s_cbranch_scc0 .LBB119_1139
; %bb.1138:
	s_mov_b32 s0, 0
	s_wait_xcnt 0x0
	v_cndmask_b32_e64 v2, 0, 1, s48
	v_mov_b32_e32 v3, s0
	s_mov_b32 s51, -1
	s_mov_b32 s52, 0
	global_store_b64 v[0:1], v[2:3], off
	s_branch .LBB119_1140
.LBB119_1139:
	s_mov_b32 s52, 0
.LBB119_1140:
	s_delay_alu instid0(SALU_CYCLE_1)
	s_and_b32 vcc_lo, exec_lo, s52
	s_cbranch_vccz .LBB119_1156
; %bb.1141:
	s_cmp_lt_i32 s50, 27
	s_mov_b32 s51, -1
	s_cbranch_scc1 .LBB119_1147
; %bb.1142:
	s_cmp_gt_i32 s50, 27
	s_cbranch_scc0 .LBB119_1144
; %bb.1143:
	s_wait_xcnt 0x0
	v_cndmask_b32_e64 v2, 0, 1, s48
	s_mov_b32 s51, 0
	global_store_b32 v[0:1], v2, off
.LBB119_1144:
	s_and_not1_b32 vcc_lo, exec_lo, s51
	s_cbranch_vccnz .LBB119_1146
; %bb.1145:
	s_wait_xcnt 0x0
	v_cndmask_b32_e64 v2, 0, 1, s48
	global_store_b16 v[0:1], v2, off
.LBB119_1146:
	s_mov_b32 s51, 0
.LBB119_1147:
	s_delay_alu instid0(SALU_CYCLE_1)
	s_and_not1_b32 vcc_lo, exec_lo, s51
	s_cbranch_vccnz .LBB119_1155
; %bb.1148:
	s_wait_xcnt 0x0
	v_cndmask_b32_e64 v3, 0, 1.0, s48
	v_mov_b32_e32 v4, 0x80
	s_mov_b32 s51, exec_lo
	s_delay_alu instid0(VALU_DEP_2)
	v_cmpx_gt_u32_e32 0x43800000, v3
	s_cbranch_execz .LBB119_1154
; %bb.1149:
	s_mov_b32 s52, 0
	s_mov_b32 s53, exec_lo
                                        ; implicit-def: $vgpr2
	v_cmpx_lt_u32_e32 0x3bffffff, v3
	s_xor_b32 s53, exec_lo, s53
	s_cbranch_execz .LBB119_1269
; %bb.1150:
	v_bfe_u32 v2, v3, 20, 1
	s_mov_b32 s52, exec_lo
	s_delay_alu instid0(VALU_DEP_1) | instskip(NEXT) | instid1(VALU_DEP_1)
	v_add3_u32 v2, v3, v2, 0x487ffff
                                        ; implicit-def: $vgpr3
	v_lshrrev_b32_e32 v2, 20, v2
	s_and_not1_saveexec_b32 s53, s53
	s_cbranch_execnz .LBB119_1270
.LBB119_1151:
	s_or_b32 exec_lo, exec_lo, s53
	v_mov_b32_e32 v4, 0
	s_and_saveexec_b32 s53, s52
.LBB119_1152:
	v_mov_b32_e32 v4, v2
.LBB119_1153:
	s_or_b32 exec_lo, exec_lo, s53
.LBB119_1154:
	s_delay_alu instid0(SALU_CYCLE_1)
	s_or_b32 exec_lo, exec_lo, s51
	global_store_b8 v[0:1], v4, off
.LBB119_1155:
	s_mov_b32 s51, -1
.LBB119_1156:
	s_mov_b32 s52, 0
.LBB119_1157:
	s_delay_alu instid0(SALU_CYCLE_1)
	s_and_b32 vcc_lo, exec_lo, s52
	s_cbranch_vccz .LBB119_1198
; %bb.1158:
	s_cmp_gt_i32 s50, 22
	s_mov_b32 s52, -1
	s_cbranch_scc0 .LBB119_1190
; %bb.1159:
	s_cmp_lt_i32 s50, 24
	s_mov_b32 s51, -1
	s_cbranch_scc1 .LBB119_1179
; %bb.1160:
	s_cmp_gt_i32 s50, 24
	s_cbranch_scc0 .LBB119_1168
; %bb.1161:
	s_wait_xcnt 0x0
	v_cndmask_b32_e64 v3, 0, 1.0, s48
	v_mov_b32_e32 v4, 0x80
	s_mov_b32 s51, exec_lo
	s_delay_alu instid0(VALU_DEP_2)
	v_cmpx_gt_u32_e32 0x47800000, v3
	s_cbranch_execz .LBB119_1167
; %bb.1162:
	s_mov_b32 s52, 0
	s_mov_b32 s53, exec_lo
                                        ; implicit-def: $vgpr2
	v_cmpx_lt_u32_e32 0x37ffffff, v3
	s_xor_b32 s53, exec_lo, s53
	s_cbranch_execz .LBB119_2388
; %bb.1163:
	v_bfe_u32 v2, v3, 21, 1
	s_mov_b32 s52, exec_lo
	s_delay_alu instid0(VALU_DEP_1) | instskip(NEXT) | instid1(VALU_DEP_1)
	v_add3_u32 v2, v3, v2, 0x88fffff
                                        ; implicit-def: $vgpr3
	v_lshrrev_b32_e32 v2, 21, v2
	s_and_not1_saveexec_b32 s53, s53
	s_cbranch_execnz .LBB119_2389
.LBB119_1164:
	s_or_b32 exec_lo, exec_lo, s53
	v_mov_b32_e32 v4, 0
	s_and_saveexec_b32 s53, s52
.LBB119_1165:
	v_mov_b32_e32 v4, v2
.LBB119_1166:
	s_or_b32 exec_lo, exec_lo, s53
.LBB119_1167:
	s_delay_alu instid0(SALU_CYCLE_1)
	s_or_b32 exec_lo, exec_lo, s51
	s_mov_b32 s51, 0
	global_store_b8 v[0:1], v4, off
.LBB119_1168:
	s_and_b32 vcc_lo, exec_lo, s51
	s_cbranch_vccz .LBB119_1178
; %bb.1169:
	s_wait_xcnt 0x0
	v_cndmask_b32_e64 v3, 0, 1.0, s48
	s_mov_b32 s51, exec_lo
                                        ; implicit-def: $vgpr2
	s_delay_alu instid0(VALU_DEP_1)
	v_cmpx_gt_u32_e32 0x43f00000, v3
	s_xor_b32 s51, exec_lo, s51
	s_cbranch_execz .LBB119_1175
; %bb.1170:
	s_mov_b32 s52, exec_lo
                                        ; implicit-def: $vgpr2
	v_cmpx_lt_u32_e32 0x3c7fffff, v3
	s_xor_b32 s52, exec_lo, s52
; %bb.1171:
	v_bfe_u32 v2, v3, 20, 1
	s_delay_alu instid0(VALU_DEP_1) | instskip(NEXT) | instid1(VALU_DEP_1)
	v_add3_u32 v2, v3, v2, 0x407ffff
	v_and_b32_e32 v3, 0xff00000, v2
	v_lshrrev_b32_e32 v2, 20, v2
	s_delay_alu instid0(VALU_DEP_2) | instskip(NEXT) | instid1(VALU_DEP_2)
	v_cmp_ne_u32_e32 vcc_lo, 0x7f00000, v3
                                        ; implicit-def: $vgpr3
	v_cndmask_b32_e32 v2, 0x7e, v2, vcc_lo
; %bb.1172:
	s_and_not1_saveexec_b32 s52, s52
; %bb.1173:
	v_add_f32_e32 v2, 0x46800000, v3
; %bb.1174:
	s_or_b32 exec_lo, exec_lo, s52
                                        ; implicit-def: $vgpr3
.LBB119_1175:
	s_and_not1_saveexec_b32 s51, s51
; %bb.1176:
	v_mov_b32_e32 v2, 0x7f
	v_cmp_lt_u32_e32 vcc_lo, 0x7f800000, v3
	s_delay_alu instid0(VALU_DEP_2)
	v_cndmask_b32_e32 v2, 0x7e, v2, vcc_lo
; %bb.1177:
	s_or_b32 exec_lo, exec_lo, s51
	global_store_b8 v[0:1], v2, off
.LBB119_1178:
	s_mov_b32 s51, 0
.LBB119_1179:
	s_delay_alu instid0(SALU_CYCLE_1)
	s_and_not1_b32 vcc_lo, exec_lo, s51
	s_cbranch_vccnz .LBB119_1189
; %bb.1180:
	s_wait_xcnt 0x0
	v_cndmask_b32_e64 v3, 0, 1.0, s48
	s_mov_b32 s51, exec_lo
                                        ; implicit-def: $vgpr2
	s_delay_alu instid0(VALU_DEP_1)
	v_cmpx_gt_u32_e32 0x47800000, v3
	s_xor_b32 s51, exec_lo, s51
	s_cbranch_execz .LBB119_1186
; %bb.1181:
	s_mov_b32 s52, exec_lo
                                        ; implicit-def: $vgpr2
	v_cmpx_lt_u32_e32 0x387fffff, v3
	s_xor_b32 s52, exec_lo, s52
; %bb.1182:
	v_bfe_u32 v2, v3, 21, 1
	s_delay_alu instid0(VALU_DEP_1) | instskip(NEXT) | instid1(VALU_DEP_1)
	v_add3_u32 v2, v3, v2, 0x80fffff
                                        ; implicit-def: $vgpr3
	v_lshrrev_b32_e32 v2, 21, v2
; %bb.1183:
	s_and_not1_saveexec_b32 s52, s52
; %bb.1184:
	v_add_f32_e32 v2, 0x43000000, v3
; %bb.1185:
	s_or_b32 exec_lo, exec_lo, s52
                                        ; implicit-def: $vgpr3
.LBB119_1186:
	s_and_not1_saveexec_b32 s51, s51
; %bb.1187:
	v_mov_b32_e32 v2, 0x7f
	v_cmp_lt_u32_e32 vcc_lo, 0x7f800000, v3
	s_delay_alu instid0(VALU_DEP_2)
	v_cndmask_b32_e32 v2, 0x7c, v2, vcc_lo
; %bb.1188:
	s_or_b32 exec_lo, exec_lo, s51
	global_store_b8 v[0:1], v2, off
.LBB119_1189:
	s_mov_b32 s52, 0
	s_mov_b32 s51, -1
.LBB119_1190:
	s_and_not1_b32 vcc_lo, exec_lo, s52
	s_cbranch_vccnz .LBB119_1198
; %bb.1191:
	s_cmp_gt_i32 s50, 14
	s_mov_b32 s52, -1
	s_cbranch_scc0 .LBB119_1195
; %bb.1192:
	s_cmp_eq_u32 s50, 15
	s_mov_b32 s0, -1
	s_cbranch_scc0 .LBB119_1194
; %bb.1193:
	s_wait_xcnt 0x0
	v_cndmask_b32_e64 v2, 0, 1.0, s48
	s_mov_b32 s51, -1
	s_mov_b32 s0, 0
	s_delay_alu instid0(VALU_DEP_1) | instskip(NEXT) | instid1(VALU_DEP_1)
	v_bfe_u32 v3, v2, 16, 1
	v_add3_u32 v2, v2, v3, 0x7fff
	global_store_d16_hi_b16 v[0:1], v2, off
.LBB119_1194:
	s_mov_b32 s52, 0
.LBB119_1195:
	s_delay_alu instid0(SALU_CYCLE_1)
	s_and_b32 vcc_lo, exec_lo, s52
	s_cbranch_vccz .LBB119_1198
; %bb.1196:
	s_cmp_eq_u32 s50, 11
	s_mov_b32 s0, -1
	s_cbranch_scc0 .LBB119_1198
; %bb.1197:
	s_wait_xcnt 0x0
	v_cndmask_b32_e64 v2, 0, 1, s48
	s_mov_b32 s51, -1
	s_mov_b32 s0, 0
	global_store_b8 v[0:1], v2, off
.LBB119_1198:
	s_mov_b32 s50, 0
.LBB119_1199:
	s_delay_alu instid0(SALU_CYCLE_1)
	s_and_b32 vcc_lo, exec_lo, s50
	s_cbranch_vccz .LBB119_1238
; %bb.1200:
	s_and_b32 s49, 0xffff, s49
	s_mov_b32 s50, -1
	s_cmp_lt_i32 s49, 5
	s_cbranch_scc1 .LBB119_1221
; %bb.1201:
	s_cmp_lt_i32 s49, 8
	s_cbranch_scc1 .LBB119_1211
; %bb.1202:
	;; [unrolled: 3-line block ×3, first 2 shown]
	s_cmp_gt_i32 s49, 9
	s_cbranch_scc0 .LBB119_1205
; %bb.1204:
	s_wait_xcnt 0x0
	v_cndmask_b32_e64 v2, 0, 1, s48
	v_mov_b32_e32 v4, 0
	s_mov_b32 s50, 0
	s_delay_alu instid0(VALU_DEP_2) | instskip(NEXT) | instid1(VALU_DEP_2)
	v_cvt_f64_u32_e32 v[2:3], v2
	v_mov_b32_e32 v5, v4
	global_store_b128 v[0:1], v[2:5], off
.LBB119_1205:
	s_and_not1_b32 vcc_lo, exec_lo, s50
	s_cbranch_vccnz .LBB119_1207
; %bb.1206:
	s_wait_xcnt 0x0
	v_cndmask_b32_e64 v2, 0, 1.0, s48
	v_mov_b32_e32 v3, 0
	global_store_b64 v[0:1], v[2:3], off
.LBB119_1207:
	s_mov_b32 s50, 0
.LBB119_1208:
	s_delay_alu instid0(SALU_CYCLE_1)
	s_and_not1_b32 vcc_lo, exec_lo, s50
	s_cbranch_vccnz .LBB119_1210
; %bb.1209:
	s_wait_xcnt 0x0
	v_cndmask_b32_e64 v2, 0, 1.0, s48
	s_delay_alu instid0(VALU_DEP_1) | instskip(NEXT) | instid1(VALU_DEP_1)
	v_cvt_f16_f32_e32 v2, v2
	v_and_b32_e32 v2, 0xffff, v2
	global_store_b32 v[0:1], v2, off
.LBB119_1210:
	s_mov_b32 s50, 0
.LBB119_1211:
	s_delay_alu instid0(SALU_CYCLE_1)
	s_and_not1_b32 vcc_lo, exec_lo, s50
	s_cbranch_vccnz .LBB119_1220
; %bb.1212:
	s_cmp_lt_i32 s49, 6
	s_mov_b32 s50, -1
	s_cbranch_scc1 .LBB119_1218
; %bb.1213:
	s_cmp_gt_i32 s49, 6
	s_cbranch_scc0 .LBB119_1215
; %bb.1214:
	s_wait_xcnt 0x0
	v_cndmask_b32_e64 v2, 0, 1, s48
	s_mov_b32 s50, 0
	s_delay_alu instid0(VALU_DEP_1)
	v_cvt_f64_u32_e32 v[2:3], v2
	global_store_b64 v[0:1], v[2:3], off
.LBB119_1215:
	s_and_not1_b32 vcc_lo, exec_lo, s50
	s_cbranch_vccnz .LBB119_1217
; %bb.1216:
	s_wait_xcnt 0x0
	v_cndmask_b32_e64 v2, 0, 1.0, s48
	global_store_b32 v[0:1], v2, off
.LBB119_1217:
	s_mov_b32 s50, 0
.LBB119_1218:
	s_delay_alu instid0(SALU_CYCLE_1)
	s_and_not1_b32 vcc_lo, exec_lo, s50
	s_cbranch_vccnz .LBB119_1220
; %bb.1219:
	s_wait_xcnt 0x0
	v_cndmask_b32_e64 v2, 0, 1.0, s48
	s_delay_alu instid0(VALU_DEP_1)
	v_cvt_f16_f32_e32 v2, v2
	global_store_b16 v[0:1], v2, off
.LBB119_1220:
	s_mov_b32 s50, 0
.LBB119_1221:
	s_delay_alu instid0(SALU_CYCLE_1)
	s_and_not1_b32 vcc_lo, exec_lo, s50
	s_cbranch_vccnz .LBB119_1237
; %bb.1222:
	s_cmp_lt_i32 s49, 2
	s_mov_b32 s50, -1
	s_cbranch_scc1 .LBB119_1232
; %bb.1223:
	s_cmp_lt_i32 s49, 3
	s_cbranch_scc1 .LBB119_1229
; %bb.1224:
	s_cmp_gt_i32 s49, 3
	s_cbranch_scc0 .LBB119_1226
; %bb.1225:
	s_mov_b32 s50, 0
	s_wait_xcnt 0x0
	v_cndmask_b32_e64 v2, 0, 1, s48
	v_mov_b32_e32 v3, s50
	global_store_b64 v[0:1], v[2:3], off
.LBB119_1226:
	s_and_not1_b32 vcc_lo, exec_lo, s50
	s_cbranch_vccnz .LBB119_1228
; %bb.1227:
	s_wait_xcnt 0x0
	v_cndmask_b32_e64 v2, 0, 1, s48
	global_store_b32 v[0:1], v2, off
.LBB119_1228:
	s_mov_b32 s50, 0
.LBB119_1229:
	s_delay_alu instid0(SALU_CYCLE_1)
	s_and_not1_b32 vcc_lo, exec_lo, s50
	s_cbranch_vccnz .LBB119_1231
; %bb.1230:
	s_wait_xcnt 0x0
	v_cndmask_b32_e64 v2, 0, 1, s48
	global_store_b16 v[0:1], v2, off
.LBB119_1231:
	s_mov_b32 s50, 0
.LBB119_1232:
	s_delay_alu instid0(SALU_CYCLE_1)
	s_and_not1_b32 vcc_lo, exec_lo, s50
	s_cbranch_vccnz .LBB119_1237
; %bb.1233:
	s_wait_xcnt 0x0
	v_cndmask_b32_e64 v2, 0, 1, s48
	s_cmp_gt_i32 s49, 0
	s_mov_b32 s48, -1
	s_cbranch_scc0 .LBB119_1235
; %bb.1234:
	s_mov_b32 s48, 0
	global_store_b8 v[0:1], v2, off
.LBB119_1235:
	s_and_not1_b32 vcc_lo, exec_lo, s48
	s_cbranch_vccnz .LBB119_1237
; %bb.1236:
	global_store_b8 v[0:1], v2, off
.LBB119_1237:
	s_mov_b32 s51, -1
.LBB119_1238:
	s_delay_alu instid0(SALU_CYCLE_1)
	s_and_not1_b32 vcc_lo, exec_lo, s51
	s_cbranch_vccnz .LBB119_1240
; %bb.1239:
	v_add_nc_u32_e32 v8, 0x80, v8
	s_mov_b32 s51, -1
	s_branch .LBB119_1242
.LBB119_1240:
	s_mov_b32 s51, 0
.LBB119_1241:
                                        ; implicit-def: $vgpr8
.LBB119_1242:
	s_and_not1_b32 s48, s44, exec_lo
	s_and_b32 s0, s0, exec_lo
	s_and_b32 s27, s27, exec_lo
	s_or_b32 s49, s48, s0
	s_and_not1_b32 s0, s45, exec_lo
	s_and_not1_b32 s48, s43, exec_lo
	s_and_b32 s26, s26, exec_lo
	s_or_b32 s50, s0, s27
	s_or_b32 s48, s48, s26
	s_or_not1_b32 s52, s51, exec_lo
.LBB119_1243:
	s_wait_xcnt 0x0
	s_or_b32 exec_lo, exec_lo, s47
	s_mov_b32 s51, 0
	s_mov_b32 s27, 0
	;; [unrolled: 1-line block ×3, first 2 shown]
                                        ; implicit-def: $sgpr0
                                        ; implicit-def: $vgpr6_vgpr7
                                        ; implicit-def: $vgpr4
                                        ; implicit-def: $vgpr10
                                        ; implicit-def: $vgpr2_vgpr3
	s_and_saveexec_b32 s47, s52
	s_cbranch_execz .LBB119_1341
; %bb.1244:
	v_cmp_gt_i32_e32 vcc_lo, s37, v8
	s_mov_b32 s52, s48
                                        ; implicit-def: $sgpr0
                                        ; implicit-def: $vgpr6_vgpr7
                                        ; implicit-def: $vgpr4
                                        ; implicit-def: $vgpr10
                                        ; implicit-def: $vgpr2_vgpr3
	s_and_saveexec_b32 s37, vcc_lo
	s_cbranch_execz .LBB119_1340
; %bb.1245:
	s_and_not1_b32 vcc_lo, exec_lo, s31
	s_cbranch_vccnz .LBB119_1251
; %bb.1246:
	s_and_not1_b32 vcc_lo, exec_lo, s38
	s_cbranch_vccnz .LBB119_1252
; %bb.1247:
	s_wait_loadcnt 0x0
	v_dual_mov_b32 v10, 0 :: v_dual_mov_b32 v1, v8
	v_dual_mov_b32 v0, 0 :: v_dual_mov_b32 v4, 0
	s_add_co_i32 s0, s36, 1
	s_mov_b64 s[26:27], 0xffffffffffffffe8
	s_and_b32 s0, s0, 30
	s_add_nc_u64 s[26:27], s[2:3], s[26:27]
.LBB119_1248:                           ; =>This Inner Loop Header: Depth=1
	s_clause 0x1
	s_load_b128 s[52:55], s[26:27], 0x1c
	s_load_b64 s[60:61], s[26:27], 0x2c
	s_add_co_i32 s0, s0, -2
	s_delay_alu instid0(SALU_CYCLE_1) | instskip(SKIP_2) | instid1(VALU_DEP_1)
	s_cmp_eq_u32 s0, 0
	s_wait_kmcnt 0x0
	v_mul_hi_u32 v2, s53, v1
	v_add_nc_u32_e32 v2, v1, v2
	s_delay_alu instid0(VALU_DEP_1) | instskip(NEXT) | instid1(VALU_DEP_1)
	v_lshrrev_b32_e32 v2, s54, v2
	v_mul_hi_u32 v3, s60, v2
	v_mul_lo_u32 v5, v2, s52
	s_clause 0x1
	s_load_b128 s[56:59], s[26:27], 0xdc
	s_load_b64 s[52:53], s[26:27], 0xec
	s_wait_xcnt 0x0
	s_add_nc_u64 s[26:27], s[26:27], 24
	s_delay_alu instid0(VALU_DEP_1) | instskip(NEXT) | instid1(VALU_DEP_1)
	v_dual_add_nc_u32 v3, v2, v3 :: v_dual_sub_nc_u32 v5, v1, v5
	v_lshrrev_b32_e32 v1, s61, v3
	s_wait_kmcnt 0x0
	s_delay_alu instid0(VALU_DEP_2) | instskip(NEXT) | instid1(VALU_DEP_2)
	v_mad_u32 v6, v5, s56, v10
	v_mul_lo_u32 v3, v1, s55
	v_mad_u32 v4, v5, s58, v4
	v_mad_u32 v0, v5, s57, v0
	s_delay_alu instid0(VALU_DEP_3) | instskip(NEXT) | instid1(VALU_DEP_1)
	v_sub_nc_u32_e32 v2, v2, v3
	v_mad_u32 v10, v2, s59, v6
	s_delay_alu instid0(VALU_DEP_4) | instskip(NEXT) | instid1(VALU_DEP_4)
	v_mad_u32 v4, v2, s53, v4
	v_mad_u32 v0, v2, s52, v0
	s_cbranch_scc0 .LBB119_1248
; %bb.1249:
	s_bitcmp1_b32 s36, 0
	s_cselect_b32 s0, -1, 0
	s_delay_alu instid0(SALU_CYCLE_1)
	s_and_b32 vcc_lo, exec_lo, s0
	s_cbranch_vccnz .LBB119_1253
; %bb.1250:
	s_clause 0x1
	s_load_b96 s[52:54], s[26:27], 0x1c
	s_load_b96 s[56:58], s[26:27], 0xdc
	s_wait_kmcnt 0x0
	v_mul_hi_u32 v2, s53, v1
	s_delay_alu instid0(VALU_DEP_1) | instskip(NEXT) | instid1(VALU_DEP_1)
	v_add_nc_u32_e32 v2, v1, v2
	v_lshrrev_b32_e32 v2, s54, v2
	s_delay_alu instid0(VALU_DEP_1) | instskip(NEXT) | instid1(VALU_DEP_1)
	v_mul_lo_u32 v2, v2, s52
	v_sub_nc_u32_e32 v1, v1, v2
	s_delay_alu instid0(VALU_DEP_1)
	v_mad_u32 v10, v1, s56, v10
	v_mad_u32 v0, v1, s57, v0
	;; [unrolled: 1-line block ×3, first 2 shown]
	s_branch .LBB119_1253
.LBB119_1251:
	s_mov_b32 s0, -1
                                        ; implicit-def: $vgpr4
                                        ; implicit-def: $vgpr0
                                        ; implicit-def: $vgpr10
	s_branch .LBB119_1254
.LBB119_1252:
	s_wait_loadcnt 0x0
	v_dual_mov_b32 v4, 0 :: v_dual_mov_b32 v0, 0
	v_mov_b32_e32 v10, 0
.LBB119_1253:
	s_mov_b32 s0, 0
.LBB119_1254:
	s_delay_alu instid0(SALU_CYCLE_1)
	s_and_not1_b32 vcc_lo, exec_lo, s0
	s_cbranch_vccnz .LBB119_1257
; %bb.1255:
	v_mov_b32_e32 v9, 0
	s_and_not1_b32 vcc_lo, exec_lo, s35
	s_wait_loadcnt 0x0
	s_delay_alu instid0(VALU_DEP_1) | instskip(NEXT) | instid1(VALU_DEP_1)
	v_mul_u64_e32 v[0:1], s[20:21], v[8:9]
	v_add_nc_u32_e32 v0, v8, v1
	s_delay_alu instid0(VALU_DEP_1) | instskip(NEXT) | instid1(VALU_DEP_1)
	v_lshrrev_b32_e32 v2, s14, v0
	v_mul_lo_u32 v0, v2, s12
	s_delay_alu instid0(VALU_DEP_1) | instskip(NEXT) | instid1(VALU_DEP_1)
	v_sub_nc_u32_e32 v0, v8, v0
	v_mul_lo_u32 v10, v0, s16
	v_mul_lo_u32 v4, v0, s18
	;; [unrolled: 1-line block ×3, first 2 shown]
	s_cbranch_vccnz .LBB119_1257
; %bb.1256:
	v_mov_b32_e32 v3, v9
	s_delay_alu instid0(VALU_DEP_1) | instskip(NEXT) | instid1(VALU_DEP_1)
	v_mul_u64_e32 v[6:7], s[24:25], v[2:3]
	v_add_nc_u32_e32 v1, v2, v7
	s_delay_alu instid0(VALU_DEP_1) | instskip(NEXT) | instid1(VALU_DEP_1)
	v_lshrrev_b32_e32 v1, s1, v1
	v_mul_lo_u32 v1, v1, s15
	s_delay_alu instid0(VALU_DEP_1) | instskip(NEXT) | instid1(VALU_DEP_1)
	v_sub_nc_u32_e32 v1, v2, v1
	v_mad_u32 v10, v1, s19, v10
	v_mad_u32 v0, v1, s22, v0
	;; [unrolled: 1-line block ×3, first 2 shown]
.LBB119_1257:
	s_wait_loadcnt 0x0
	v_mov_b32_e32 v1, 0
	s_and_b32 s0, s34, 0xff
	s_delay_alu instid0(SALU_CYCLE_1) | instskip(NEXT) | instid1(VALU_DEP_1)
	s_cmp_lt_i32 s0, 11
	v_add_nc_u64_e32 v[6:7], s[6:7], v[0:1]
	s_cbranch_scc1 .LBB119_1264
; %bb.1258:
	s_and_b32 s1, 0xffff, s0
	s_mov_b32 s7, 0
	s_cmp_gt_i32 s1, 25
	s_cbranch_scc0 .LBB119_1265
; %bb.1259:
	s_cmp_gt_i32 s1, 28
	s_cbranch_scc0 .LBB119_1266
; %bb.1260:
	;; [unrolled: 3-line block ×4, first 2 shown]
	s_cmp_eq_u32 s1, 46
	s_mov_b32 s14, 0
	s_cbranch_scc0 .LBB119_1271
; %bb.1263:
	global_load_b32 v0, v[6:7], off
	s_mov_b32 s6, 0
	s_mov_b32 s12, -1
	s_wait_loadcnt 0x0
	v_lshlrev_b32_e32 v1, 16, v0
	v_and_b32_e32 v2, 0xffff0000, v0
	s_delay_alu instid0(VALU_DEP_2) | instskip(NEXT) | instid1(VALU_DEP_2)
	v_cvt_f64_f32_e32 v[0:1], v1
	v_cvt_f64_f32_e32 v[2:3], v2
	s_branch .LBB119_1273
.LBB119_1264:
	s_mov_b32 s1, -1
	s_mov_b32 s12, 0
	s_mov_b32 s7, 0
	;; [unrolled: 1-line block ×3, first 2 shown]
                                        ; implicit-def: $vgpr2_vgpr3
	s_branch .LBB119_1339
.LBB119_1265:
	s_mov_b32 s14, -1
	s_mov_b32 s12, 0
	s_mov_b32 s6, s48
                                        ; implicit-def: $vgpr2_vgpr3
	s_branch .LBB119_1304
.LBB119_1266:
	s_mov_b32 s14, -1
	s_mov_b32 s12, 0
	s_mov_b32 s6, s48
                                        ; implicit-def: $vgpr2_vgpr3
	s_branch .LBB119_1285
.LBB119_1267:
	s_mov_b32 s14, -1
	s_mov_b32 s12, 0
	s_mov_b32 s6, s48
                                        ; implicit-def: $vgpr2_vgpr3
	s_branch .LBB119_1279
.LBB119_1268:
	s_mov_b32 s14, -1
	s_mov_b32 s12, 0
	s_mov_b32 s6, s48
	s_branch .LBB119_1272
.LBB119_1269:
	s_and_not1_saveexec_b32 s53, s53
	s_cbranch_execz .LBB119_1151
.LBB119_1270:
	v_add_f32_e32 v2, 0x46000000, v3
	s_and_not1_b32 s52, s52, exec_lo
	s_delay_alu instid0(VALU_DEP_1) | instskip(NEXT) | instid1(VALU_DEP_1)
	v_and_b32_e32 v2, 0xff, v2
	v_cmp_ne_u32_e32 vcc_lo, 0, v2
	s_and_b32 s54, vcc_lo, exec_lo
	s_delay_alu instid0(SALU_CYCLE_1)
	s_or_b32 s52, s52, s54
	s_or_b32 exec_lo, exec_lo, s53
	v_mov_b32_e32 v4, 0
	s_and_saveexec_b32 s53, s52
	s_cbranch_execnz .LBB119_1152
	s_branch .LBB119_1153
.LBB119_1271:
	s_mov_b32 s6, -1
	s_mov_b32 s12, 0
.LBB119_1272:
                                        ; implicit-def: $vgpr2_vgpr3
.LBB119_1273:
	s_and_b32 vcc_lo, exec_lo, s14
	s_cbranch_vccz .LBB119_1278
; %bb.1274:
	s_cmp_eq_u32 s1, 44
	s_cbranch_scc0 .LBB119_1276
; %bb.1275:
	global_load_u8 v2, v[6:7], off
	s_mov_b32 s6, 0
	s_mov_b32 s12, -1
	s_wait_loadcnt 0x0
	v_cmp_ne_u32_e32 vcc_lo, 0xff, v2
	v_lshlrev_b32_e32 v0, 23, v2
	s_delay_alu instid0(VALU_DEP_1) | instskip(NEXT) | instid1(VALU_DEP_1)
	v_cvt_f64_f32_e32 v[0:1], v0
	v_cndmask_b32_e32 v0, 0x20000000, v0, vcc_lo
	s_delay_alu instid0(VALU_DEP_2) | instskip(SKIP_1) | instid1(VALU_DEP_2)
	v_cndmask_b32_e32 v1, 0x7ff80000, v1, vcc_lo
	v_cmp_ne_u32_e32 vcc_lo, 0, v2
	v_cndmask_b32_e32 v1, 0x38000000, v1, vcc_lo
	s_delay_alu instid0(VALU_DEP_4)
	v_cndmask_b32_e32 v0, 0, v0, vcc_lo
	s_branch .LBB119_1277
.LBB119_1276:
	s_mov_b32 s6, -1
                                        ; implicit-def: $vgpr0_vgpr1
.LBB119_1277:
	v_mov_b64_e32 v[2:3], 0
.LBB119_1278:
	s_mov_b32 s14, 0
.LBB119_1279:
	s_delay_alu instid0(SALU_CYCLE_1)
	s_and_b32 vcc_lo, exec_lo, s14
	s_cbranch_vccz .LBB119_1284
; %bb.1280:
	s_cmp_eq_u32 s1, 29
	s_cbranch_scc0 .LBB119_1282
; %bb.1281:
	global_load_b64 v[0:1], v[6:7], off
	s_mov_b32 s6, 0
	s_mov_b32 s12, -1
	s_wait_loadcnt 0x0
	v_cvt_f64_u32_e32 v[2:3], v1
	v_cvt_f64_u32_e32 v[0:1], v0
	s_delay_alu instid0(VALU_DEP_2) | instskip(NEXT) | instid1(VALU_DEP_1)
	v_ldexp_f64 v[2:3], v[2:3], 32
	v_add_f64_e32 v[0:1], v[2:3], v[0:1]
	s_branch .LBB119_1283
.LBB119_1282:
	s_mov_b32 s6, -1
                                        ; implicit-def: $vgpr0_vgpr1
.LBB119_1283:
	v_mov_b64_e32 v[2:3], 0
.LBB119_1284:
	s_mov_b32 s14, 0
.LBB119_1285:
	s_delay_alu instid0(SALU_CYCLE_1)
	s_and_b32 vcc_lo, exec_lo, s14
	s_cbranch_vccz .LBB119_1303
; %bb.1286:
	s_cmp_lt_i32 s1, 27
	s_cbranch_scc1 .LBB119_1289
; %bb.1287:
	s_cmp_gt_i32 s1, 27
	s_cbranch_scc0 .LBB119_1290
; %bb.1288:
	global_load_b32 v0, v[6:7], off
	s_mov_b32 s12, 0
	s_wait_loadcnt 0x0
	v_cvt_f64_u32_e32 v[0:1], v0
	s_branch .LBB119_1291
.LBB119_1289:
	s_mov_b32 s12, -1
                                        ; implicit-def: $vgpr0_vgpr1
	s_branch .LBB119_1294
.LBB119_1290:
	s_mov_b32 s12, -1
                                        ; implicit-def: $vgpr0_vgpr1
.LBB119_1291:
	s_delay_alu instid0(SALU_CYCLE_1)
	s_and_not1_b32 vcc_lo, exec_lo, s12
	s_cbranch_vccnz .LBB119_1293
; %bb.1292:
	global_load_u16 v0, v[6:7], off
	s_wait_loadcnt 0x0
	v_cvt_f64_u32_e32 v[0:1], v0
.LBB119_1293:
	s_mov_b32 s12, 0
.LBB119_1294:
	s_delay_alu instid0(SALU_CYCLE_1)
	s_and_not1_b32 vcc_lo, exec_lo, s12
	s_cbranch_vccnz .LBB119_1302
; %bb.1295:
	global_load_u8 v2, v[6:7], off
	s_mov_b32 s12, 0
	s_mov_b32 s14, exec_lo
	s_wait_loadcnt 0x0
	v_cmpx_lt_i16_e32 0x7f, v2
	s_xor_b32 s14, exec_lo, s14
	s_cbranch_execz .LBB119_1316
; %bb.1296:
	s_mov_b32 s12, -1
	s_mov_b32 s15, exec_lo
	v_cmpx_eq_u16_e32 0x80, v2
; %bb.1297:
	s_xor_b32 s12, exec_lo, -1
; %bb.1298:
	s_or_b32 exec_lo, exec_lo, s15
	s_delay_alu instid0(SALU_CYCLE_1)
	s_and_b32 s12, s12, exec_lo
	s_or_saveexec_b32 s14, s14
	v_mov_b64_e32 v[0:1], 0x7ff8000020000000
	s_xor_b32 exec_lo, exec_lo, s14
	s_cbranch_execnz .LBB119_1317
.LBB119_1299:
	s_or_b32 exec_lo, exec_lo, s14
	s_and_saveexec_b32 s14, s12
	s_cbranch_execz .LBB119_1301
.LBB119_1300:
	v_and_b32_e32 v0, 0xffff, v2
	s_delay_alu instid0(VALU_DEP_1) | instskip(SKIP_1) | instid1(VALU_DEP_2)
	v_and_b32_e32 v1, 7, v0
	v_bfe_u32 v8, v0, 3, 4
	v_clz_i32_u32_e32 v3, v1
	s_delay_alu instid0(VALU_DEP_2) | instskip(NEXT) | instid1(VALU_DEP_2)
	v_cmp_eq_u32_e32 vcc_lo, 0, v8
	v_min_u32_e32 v3, 32, v3
	s_delay_alu instid0(VALU_DEP_1) | instskip(NEXT) | instid1(VALU_DEP_1)
	v_subrev_nc_u32_e32 v5, 28, v3
	v_dual_lshlrev_b32 v0, v5, v0 :: v_dual_sub_nc_u32 v3, 29, v3
	s_delay_alu instid0(VALU_DEP_1) | instskip(NEXT) | instid1(VALU_DEP_1)
	v_dual_lshlrev_b32 v2, 24, v2 :: v_dual_bitop2_b32 v0, 7, v0 bitop3:0x40
	v_dual_cndmask_b32 v3, v8, v3 :: v_dual_cndmask_b32 v0, v1, v0
	s_delay_alu instid0(VALU_DEP_2) | instskip(NEXT) | instid1(VALU_DEP_2)
	v_and_b32_e32 v1, 0x80000000, v2
	v_lshl_add_u32 v2, v3, 23, 0x3b800000
	s_delay_alu instid0(VALU_DEP_3) | instskip(NEXT) | instid1(VALU_DEP_1)
	v_lshlrev_b32_e32 v0, 20, v0
	v_or3_b32 v0, v1, v2, v0
	s_delay_alu instid0(VALU_DEP_1)
	v_cvt_f64_f32_e32 v[0:1], v0
.LBB119_1301:
	s_or_b32 exec_lo, exec_lo, s14
.LBB119_1302:
	v_mov_b64_e32 v[2:3], 0
	s_mov_b32 s12, -1
.LBB119_1303:
	s_mov_b32 s14, 0
.LBB119_1304:
	s_delay_alu instid0(SALU_CYCLE_1)
	s_and_b32 vcc_lo, exec_lo, s14
	s_cbranch_vccz .LBB119_1338
; %bb.1305:
	s_cmp_gt_i32 s1, 22
	s_cbranch_scc0 .LBB119_1315
; %bb.1306:
	s_cmp_lt_i32 s1, 24
	s_cbranch_scc1 .LBB119_1318
; %bb.1307:
	s_cmp_gt_i32 s1, 24
	s_cbranch_scc0 .LBB119_1319
; %bb.1308:
	global_load_u8 v2, v[6:7], off
	s_mov_b32 s12, exec_lo
	s_wait_loadcnt 0x0
	v_cmpx_lt_i16_e32 0x7f, v2
	s_xor_b32 s12, exec_lo, s12
	s_cbranch_execz .LBB119_1331
; %bb.1309:
	s_mov_b32 s7, -1
	s_mov_b32 s14, exec_lo
	v_cmpx_eq_u16_e32 0x80, v2
; %bb.1310:
	s_xor_b32 s7, exec_lo, -1
; %bb.1311:
	s_or_b32 exec_lo, exec_lo, s14
	s_delay_alu instid0(SALU_CYCLE_1)
	s_and_b32 s7, s7, exec_lo
	s_or_saveexec_b32 s12, s12
	v_mov_b64_e32 v[0:1], 0x7ff8000020000000
	s_xor_b32 exec_lo, exec_lo, s12
	s_cbranch_execnz .LBB119_1332
.LBB119_1312:
	s_or_b32 exec_lo, exec_lo, s12
	s_and_saveexec_b32 s12, s7
	s_cbranch_execz .LBB119_1314
.LBB119_1313:
	v_and_b32_e32 v0, 0xffff, v2
	s_delay_alu instid0(VALU_DEP_1) | instskip(SKIP_1) | instid1(VALU_DEP_2)
	v_and_b32_e32 v1, 3, v0
	v_bfe_u32 v8, v0, 2, 5
	v_clz_i32_u32_e32 v3, v1
	s_delay_alu instid0(VALU_DEP_2) | instskip(NEXT) | instid1(VALU_DEP_2)
	v_cmp_eq_u32_e32 vcc_lo, 0, v8
	v_min_u32_e32 v3, 32, v3
	s_delay_alu instid0(VALU_DEP_1) | instskip(NEXT) | instid1(VALU_DEP_1)
	v_subrev_nc_u32_e32 v5, 29, v3
	v_dual_lshlrev_b32 v0, v5, v0 :: v_dual_sub_nc_u32 v3, 30, v3
	s_delay_alu instid0(VALU_DEP_1) | instskip(NEXT) | instid1(VALU_DEP_1)
	v_dual_lshlrev_b32 v2, 24, v2 :: v_dual_bitop2_b32 v0, 3, v0 bitop3:0x40
	v_dual_cndmask_b32 v3, v8, v3 :: v_dual_cndmask_b32 v0, v1, v0
	s_delay_alu instid0(VALU_DEP_2) | instskip(NEXT) | instid1(VALU_DEP_2)
	v_and_b32_e32 v1, 0x80000000, v2
	v_lshl_add_u32 v2, v3, 23, 0x37800000
	s_delay_alu instid0(VALU_DEP_3) | instskip(NEXT) | instid1(VALU_DEP_1)
	v_lshlrev_b32_e32 v0, 21, v0
	v_or3_b32 v0, v1, v2, v0
	s_delay_alu instid0(VALU_DEP_1)
	v_cvt_f64_f32_e32 v[0:1], v0
.LBB119_1314:
	s_or_b32 exec_lo, exec_lo, s12
	s_mov_b32 s7, 0
	s_branch .LBB119_1320
.LBB119_1315:
	s_mov_b32 s7, -1
                                        ; implicit-def: $vgpr0_vgpr1
	s_branch .LBB119_1326
.LBB119_1316:
	s_or_saveexec_b32 s14, s14
	v_mov_b64_e32 v[0:1], 0x7ff8000020000000
	s_xor_b32 exec_lo, exec_lo, s14
	s_cbranch_execz .LBB119_1299
.LBB119_1317:
	v_cmp_ne_u16_e32 vcc_lo, 0, v2
	v_mov_b64_e32 v[0:1], 0
	s_and_not1_b32 s12, s12, exec_lo
	s_and_b32 s15, vcc_lo, exec_lo
	s_delay_alu instid0(SALU_CYCLE_1)
	s_or_b32 s12, s12, s15
	s_or_b32 exec_lo, exec_lo, s14
	s_and_saveexec_b32 s14, s12
	s_cbranch_execnz .LBB119_1300
	s_branch .LBB119_1301
.LBB119_1318:
	s_mov_b32 s7, -1
                                        ; implicit-def: $vgpr0_vgpr1
	s_branch .LBB119_1323
.LBB119_1319:
	s_mov_b32 s7, -1
                                        ; implicit-def: $vgpr0_vgpr1
.LBB119_1320:
	s_delay_alu instid0(SALU_CYCLE_1)
	s_and_b32 vcc_lo, exec_lo, s7
	s_cbranch_vccz .LBB119_1322
; %bb.1321:
	global_load_u8 v0, v[6:7], off
	s_wait_loadcnt 0x0
	v_lshlrev_b32_e32 v0, 24, v0
	s_delay_alu instid0(VALU_DEP_1) | instskip(NEXT) | instid1(VALU_DEP_1)
	v_and_b32_e32 v1, 0x7f000000, v0
	v_clz_i32_u32_e32 v2, v1
	v_add_nc_u32_e32 v5, 0x1000000, v1
	v_cmp_ne_u32_e32 vcc_lo, 0, v1
	s_delay_alu instid0(VALU_DEP_3) | instskip(NEXT) | instid1(VALU_DEP_1)
	v_min_u32_e32 v2, 32, v2
	v_sub_nc_u32_e64 v2, v2, 4 clamp
	s_delay_alu instid0(VALU_DEP_1) | instskip(NEXT) | instid1(VALU_DEP_1)
	v_dual_lshlrev_b32 v3, v2, v1 :: v_dual_lshlrev_b32 v2, 23, v2
	v_lshrrev_b32_e32 v3, 4, v3
	s_delay_alu instid0(VALU_DEP_1) | instskip(NEXT) | instid1(VALU_DEP_1)
	v_dual_sub_nc_u32 v2, v3, v2 :: v_dual_ashrrev_i32 v3, 8, v5
	v_add_nc_u32_e32 v2, 0x3c000000, v2
	s_delay_alu instid0(VALU_DEP_1) | instskip(NEXT) | instid1(VALU_DEP_1)
	v_and_or_b32 v2, 0x7f800000, v3, v2
	v_cndmask_b32_e32 v1, 0, v2, vcc_lo
	s_delay_alu instid0(VALU_DEP_1) | instskip(NEXT) | instid1(VALU_DEP_1)
	v_and_or_b32 v0, 0x80000000, v0, v1
	v_cvt_f64_f32_e32 v[0:1], v0
.LBB119_1322:
	s_mov_b32 s7, 0
.LBB119_1323:
	s_delay_alu instid0(SALU_CYCLE_1)
	s_and_not1_b32 vcc_lo, exec_lo, s7
	s_cbranch_vccnz .LBB119_1325
; %bb.1324:
	global_load_u8 v0, v[6:7], off
	s_wait_loadcnt 0x0
	v_lshlrev_b32_e32 v1, 25, v0
	v_lshlrev_b16 v0, 8, v0
	s_delay_alu instid0(VALU_DEP_1) | instskip(SKIP_1) | instid1(VALU_DEP_2)
	v_and_or_b32 v3, 0x7f00, v0, 0.5
	v_bfe_i32 v0, v0, 0, 16
	v_dual_add_f32 v3, -0.5, v3 :: v_dual_lshrrev_b32 v2, 4, v1
	v_cmp_gt_u32_e32 vcc_lo, 0x8000000, v1
	s_delay_alu instid0(VALU_DEP_2) | instskip(NEXT) | instid1(VALU_DEP_1)
	v_or_b32_e32 v2, 0x70000000, v2
	v_mul_f32_e32 v2, 0x7800000, v2
	s_delay_alu instid0(VALU_DEP_1) | instskip(NEXT) | instid1(VALU_DEP_1)
	v_cndmask_b32_e32 v1, v2, v3, vcc_lo
	v_and_or_b32 v0, 0x80000000, v0, v1
	s_delay_alu instid0(VALU_DEP_1)
	v_cvt_f64_f32_e32 v[0:1], v0
.LBB119_1325:
	s_mov_b32 s7, 0
	s_mov_b32 s12, -1
.LBB119_1326:
	s_and_not1_b32 vcc_lo, exec_lo, s7
	s_mov_b32 s7, 0
	s_cbranch_vccnz .LBB119_1337
; %bb.1327:
	s_cmp_gt_i32 s1, 14
	s_cbranch_scc0 .LBB119_1330
; %bb.1328:
	s_cmp_eq_u32 s1, 15
	s_cbranch_scc0 .LBB119_1333
; %bb.1329:
	global_load_u16 v0, v[6:7], off
	s_mov_b32 s6, 0
	s_mov_b32 s12, -1
	s_wait_loadcnt 0x0
	v_lshlrev_b32_e32 v0, 16, v0
	s_delay_alu instid0(VALU_DEP_1)
	v_cvt_f64_f32_e32 v[0:1], v0
	s_branch .LBB119_1335
.LBB119_1330:
	s_mov_b32 s7, -1
	s_branch .LBB119_1334
.LBB119_1331:
	s_or_saveexec_b32 s12, s12
	v_mov_b64_e32 v[0:1], 0x7ff8000020000000
	s_xor_b32 exec_lo, exec_lo, s12
	s_cbranch_execz .LBB119_1312
.LBB119_1332:
	v_cmp_ne_u16_e32 vcc_lo, 0, v2
	v_mov_b64_e32 v[0:1], 0
	s_and_not1_b32 s7, s7, exec_lo
	s_and_b32 s14, vcc_lo, exec_lo
	s_delay_alu instid0(SALU_CYCLE_1)
	s_or_b32 s7, s7, s14
	s_or_b32 exec_lo, exec_lo, s12
	s_and_saveexec_b32 s12, s7
	s_cbranch_execnz .LBB119_1313
	s_branch .LBB119_1314
.LBB119_1333:
	s_mov_b32 s6, -1
.LBB119_1334:
                                        ; implicit-def: $vgpr0_vgpr1
.LBB119_1335:
	s_and_b32 vcc_lo, exec_lo, s7
	s_mov_b32 s7, 0
	s_cbranch_vccz .LBB119_1337
; %bb.1336:
	s_cmp_lg_u32 s1, 11
	s_mov_b32 s7, -1
	s_cselect_b32 s1, -1, 0
	s_and_not1_b32 s6, s6, exec_lo
	s_and_b32 s1, s1, exec_lo
	s_delay_alu instid0(SALU_CYCLE_1)
	s_or_b32 s6, s6, s1
.LBB119_1337:
	v_mov_b64_e32 v[2:3], 0
.LBB119_1338:
	s_mov_b32 s1, 0
.LBB119_1339:
	s_delay_alu instid0(SALU_CYCLE_1)
	s_and_b32 s27, s1, exec_lo
	s_and_not1_b32 s1, s48, exec_lo
	s_and_b32 s6, s6, exec_lo
	s_and_b32 s26, s12, exec_lo
	;; [unrolled: 1-line block ×3, first 2 shown]
	s_or_b32 s52, s1, s6
.LBB119_1340:
	s_wait_xcnt 0x0
	s_or_b32 exec_lo, exec_lo, s37
	s_delay_alu instid0(SALU_CYCLE_1)
	s_and_not1_b32 s1, s48, exec_lo
	s_and_b32 s6, s52, exec_lo
	s_and_b32 s26, s26, exec_lo
	;; [unrolled: 1-line block ×4, first 2 shown]
	s_or_b32 s48, s1, s6
.LBB119_1341:
	s_or_b32 exec_lo, exec_lo, s47
	s_delay_alu instid0(SALU_CYCLE_1)
	s_and_not1_b32 s1, s44, exec_lo
	s_and_b32 s6, s49, exec_lo
	s_and_not1_b32 s7, s45, exec_lo
	s_and_b32 s12, s50, exec_lo
	s_or_b32 s44, s1, s6
	s_and_not1_b32 s1, s43, exec_lo
	s_and_b32 s6, s48, exec_lo
	s_or_b32 s45, s7, s12
	s_and_b32 s26, s26, exec_lo
	s_and_b32 s27, s27, exec_lo
	;; [unrolled: 1-line block ×3, first 2 shown]
	s_or_b32 s43, s1, s6
.LBB119_1342:
	s_or_b32 exec_lo, exec_lo, s46
	s_delay_alu instid0(SALU_CYCLE_1)
	s_and_not1_b32 s1, s39, exec_lo
	s_and_b32 s6, s44, exec_lo
	s_and_not1_b32 s7, s40, exec_lo
	s_and_b32 s12, s45, exec_lo
	s_or_b32 s39, s1, s6
	s_and_not1_b32 s1, s41, exec_lo
	s_and_b32 s6, s43, exec_lo
	s_or_b32 s40, s7, s12
	s_and_b32 s26, s26, exec_lo
	s_and_b32 s27, s27, exec_lo
	;; [unrolled: 1-line block ×3, first 2 shown]
	s_or_b32 s41, s1, s6
	s_or_b32 exec_lo, exec_lo, s42
	s_mov_b32 s1, 0
	s_and_saveexec_b32 s6, s41
	s_cbranch_execz .LBB119_415
.LBB119_1343:
	s_mov_b32 s1, exec_lo
	s_and_not1_b32 s21, s21, exec_lo
	s_trap 2
	s_or_b32 exec_lo, exec_lo, s6
	s_and_saveexec_b32 s6, s21
	s_delay_alu instid0(SALU_CYCLE_1)
	s_xor_b32 s6, exec_lo, s6
	s_cbranch_execnz .LBB119_416
.LBB119_1344:
	s_or_b32 exec_lo, exec_lo, s6
	s_and_saveexec_b32 s6, s27
	s_cbranch_execz .LBB119_1392
.LBB119_1345:
	s_sext_i32_i16 s7, s0
	s_delay_alu instid0(SALU_CYCLE_1)
	s_cmp_lt_i32 s7, 5
	s_cbranch_scc1 .LBB119_1350
; %bb.1346:
	s_cmp_lt_i32 s7, 8
	s_cbranch_scc1 .LBB119_1351
; %bb.1347:
	;; [unrolled: 3-line block ×3, first 2 shown]
	s_cmp_gt_i32 s7, 9
	s_cbranch_scc0 .LBB119_1353
; %bb.1349:
	s_wait_loadcnt 0x0
	global_load_b128 v[0:3], v[6:7], off
	s_mov_b32 s7, 0
	s_branch .LBB119_1354
.LBB119_1350:
                                        ; implicit-def: $vgpr2_vgpr3
	s_branch .LBB119_1372
.LBB119_1351:
                                        ; implicit-def: $vgpr2_vgpr3
	s_branch .LBB119_1360
.LBB119_1352:
	s_mov_b32 s7, -1
                                        ; implicit-def: $vgpr2_vgpr3
	s_branch .LBB119_1357
.LBB119_1353:
	s_mov_b32 s7, -1
                                        ; implicit-def: $vgpr2_vgpr3
.LBB119_1354:
	s_delay_alu instid0(SALU_CYCLE_1)
	s_and_not1_b32 vcc_lo, exec_lo, s7
	s_cbranch_vccnz .LBB119_1356
; %bb.1355:
	s_wait_loadcnt 0x0
	global_load_b64 v[2:3], v[6:7], off
	s_wait_loadcnt 0x0
	v_cvt_f64_f32_e32 v[0:1], v2
	v_cvt_f64_f32_e32 v[2:3], v3
.LBB119_1356:
	s_mov_b32 s7, 0
.LBB119_1357:
	s_delay_alu instid0(SALU_CYCLE_1)
	s_and_not1_b32 vcc_lo, exec_lo, s7
	s_cbranch_vccnz .LBB119_1359
; %bb.1358:
	s_wait_loadcnt 0x0
	global_load_b32 v0, v[6:7], off
	s_wait_loadcnt 0x0
	v_lshrrev_b32_e32 v1, 16, v0
	v_cvt_f32_f16_e32 v0, v0
	s_delay_alu instid0(VALU_DEP_2) | instskip(NEXT) | instid1(VALU_DEP_2)
	v_cvt_f32_f16_e32 v2, v1
	v_cvt_f64_f32_e32 v[0:1], v0
	s_delay_alu instid0(VALU_DEP_2)
	v_cvt_f64_f32_e32 v[2:3], v2
.LBB119_1359:
	s_cbranch_execnz .LBB119_1371
.LBB119_1360:
	s_sext_i32_i16 s7, s0
	s_delay_alu instid0(SALU_CYCLE_1)
	s_cmp_lt_i32 s7, 6
	s_cbranch_scc1 .LBB119_1363
; %bb.1361:
	s_cmp_gt_i32 s7, 6
	s_cbranch_scc0 .LBB119_1364
; %bb.1362:
	s_wait_loadcnt 0x0
	global_load_b64 v[0:1], v[6:7], off
	s_mov_b32 s7, 0
	s_branch .LBB119_1365
.LBB119_1363:
	s_mov_b32 s7, -1
                                        ; implicit-def: $vgpr0_vgpr1
	s_branch .LBB119_1368
.LBB119_1364:
	s_mov_b32 s7, -1
                                        ; implicit-def: $vgpr0_vgpr1
.LBB119_1365:
	s_delay_alu instid0(SALU_CYCLE_1)
	s_and_not1_b32 vcc_lo, exec_lo, s7
	s_cbranch_vccnz .LBB119_1367
; %bb.1366:
	s_wait_loadcnt 0x0
	global_load_b32 v0, v[6:7], off
	s_wait_loadcnt 0x0
	v_cvt_f64_f32_e32 v[0:1], v0
.LBB119_1367:
	s_mov_b32 s7, 0
.LBB119_1368:
	s_delay_alu instid0(SALU_CYCLE_1)
	s_and_not1_b32 vcc_lo, exec_lo, s7
	s_cbranch_vccnz .LBB119_1370
; %bb.1369:
	s_wait_loadcnt 0x0
	global_load_u16 v0, v[6:7], off
	s_wait_loadcnt 0x0
	v_cvt_f32_f16_e32 v0, v0
	s_delay_alu instid0(VALU_DEP_1)
	v_cvt_f64_f32_e32 v[0:1], v0
.LBB119_1370:
	s_wait_loadcnt 0x0
	v_mov_b64_e32 v[2:3], 0
.LBB119_1371:
	s_cbranch_execnz .LBB119_1391
.LBB119_1372:
	s_sext_i32_i16 s7, s0
	s_delay_alu instid0(SALU_CYCLE_1)
	s_cmp_lt_i32 s7, 2
	s_cbranch_scc1 .LBB119_1376
; %bb.1373:
	s_cmp_lt_i32 s7, 3
	s_cbranch_scc1 .LBB119_1377
; %bb.1374:
	s_cmp_gt_i32 s7, 3
	s_cbranch_scc0 .LBB119_1378
; %bb.1375:
	s_wait_loadcnt 0x0
	global_load_b64 v[0:1], v[6:7], off
	s_mov_b32 s7, 0
	s_wait_loadcnt 0x0
	v_cvt_f64_i32_e32 v[2:3], v1
	v_cvt_f64_u32_e32 v[0:1], v0
	s_delay_alu instid0(VALU_DEP_2) | instskip(NEXT) | instid1(VALU_DEP_1)
	v_ldexp_f64 v[2:3], v[2:3], 32
	v_add_f64_e32 v[0:1], v[2:3], v[0:1]
	s_branch .LBB119_1379
.LBB119_1376:
                                        ; implicit-def: $vgpr0_vgpr1
	s_branch .LBB119_1385
.LBB119_1377:
	s_mov_b32 s7, -1
                                        ; implicit-def: $vgpr0_vgpr1
	s_branch .LBB119_1382
.LBB119_1378:
	s_mov_b32 s7, -1
                                        ; implicit-def: $vgpr0_vgpr1
.LBB119_1379:
	s_delay_alu instid0(SALU_CYCLE_1)
	s_and_not1_b32 vcc_lo, exec_lo, s7
	s_cbranch_vccnz .LBB119_1381
; %bb.1380:
	s_wait_loadcnt 0x0
	global_load_b32 v0, v[6:7], off
	s_wait_loadcnt 0x0
	v_cvt_f64_i32_e32 v[0:1], v0
.LBB119_1381:
	s_mov_b32 s7, 0
.LBB119_1382:
	s_delay_alu instid0(SALU_CYCLE_1)
	s_and_not1_b32 vcc_lo, exec_lo, s7
	s_cbranch_vccnz .LBB119_1384
; %bb.1383:
	s_wait_loadcnt 0x0
	global_load_i16 v0, v[6:7], off
	s_wait_loadcnt 0x0
	v_cvt_f64_i32_e32 v[0:1], v0
.LBB119_1384:
	s_cbranch_execnz .LBB119_1390
.LBB119_1385:
	s_sext_i32_i16 s0, s0
	s_delay_alu instid0(SALU_CYCLE_1)
	s_cmp_gt_i32 s0, 0
	s_mov_b32 s0, 0
	s_cbranch_scc0 .LBB119_1387
; %bb.1386:
	s_wait_loadcnt 0x0
	global_load_i8 v0, v[6:7], off
	s_wait_loadcnt 0x0
	v_cvt_f64_i32_e32 v[0:1], v0
	s_branch .LBB119_1388
.LBB119_1387:
	s_mov_b32 s0, -1
                                        ; implicit-def: $vgpr0_vgpr1
.LBB119_1388:
	s_delay_alu instid0(SALU_CYCLE_1)
	s_and_not1_b32 vcc_lo, exec_lo, s0
	s_cbranch_vccnz .LBB119_1390
; %bb.1389:
	s_wait_loadcnt 0x0
	global_load_u8 v0, v[6:7], off
	s_wait_loadcnt 0x0
	v_cvt_f64_u32_e32 v[0:1], v0
.LBB119_1390:
	s_wait_loadcnt 0x0
	v_mov_b64_e32 v[2:3], 0
.LBB119_1391:
	s_or_b32 s26, s26, exec_lo
.LBB119_1392:
	s_wait_xcnt 0x0
	s_or_b32 exec_lo, exec_lo, s6
	s_mov_b32 s14, 0
	s_mov_b32 s7, 0
	s_mov_b32 s12, 0
                                        ; implicit-def: $sgpr0
                                        ; implicit-def: $vgpr8_vgpr9
                                        ; implicit-def: $vgpr6_vgpr7
	s_and_saveexec_b32 s6, s26
	s_cbranch_execz .LBB119_1400
; %bb.1393:
	s_wait_loadcnt 0x0
	v_mov_b32_e32 v5, 0
	s_and_b32 s0, s13, 0xff
	s_delay_alu instid0(SALU_CYCLE_1) | instskip(NEXT) | instid1(VALU_DEP_1)
	s_cmp_lt_i32 s0, 11
	v_add_nc_u64_e32 v[8:9], s[8:9], v[4:5]
	s_cbranch_scc1 .LBB119_1403
; %bb.1394:
	s_and_b32 s7, 0xffff, s0
	s_mov_b32 s9, 0
	s_cmp_gt_i32 s7, 25
	s_cbranch_scc0 .LBB119_1404
; %bb.1395:
	s_cmp_gt_i32 s7, 28
	s_cbranch_scc0 .LBB119_1405
; %bb.1396:
	;; [unrolled: 3-line block ×4, first 2 shown]
	s_cmp_eq_u32 s7, 46
	s_mov_b32 s13, 0
	s_cbranch_scc0 .LBB119_1408
; %bb.1399:
	global_load_b32 v4, v[8:9], off
	s_mov_b32 s8, 0
	s_mov_b32 s12, -1
	s_wait_loadcnt 0x0
	v_lshlrev_b32_e32 v5, 16, v4
	v_and_b32_e32 v6, 0xffff0000, v4
	s_delay_alu instid0(VALU_DEP_2) | instskip(NEXT) | instid1(VALU_DEP_2)
	v_cvt_f64_f32_e32 v[4:5], v5
	v_cvt_f64_f32_e32 v[6:7], v6
	s_branch .LBB119_1410
.LBB119_1400:
	s_or_b32 exec_lo, exec_lo, s6
	s_and_saveexec_b32 s6, s40
	s_cbranch_execnz .LBB119_1476
.LBB119_1401:
	s_or_b32 exec_lo, exec_lo, s6
	s_and_saveexec_b32 s6, s14
	s_delay_alu instid0(SALU_CYCLE_1)
	s_xor_b32 s6, exec_lo, s6
	s_cbranch_execz .LBB119_1477
.LBB119_1402:
	s_wait_loadcnt 0x0
	global_load_u8 v4, v[8:9], off
	v_mov_b64_e32 v[6:7], 0
	s_or_b32 s12, s12, exec_lo
	s_wait_loadcnt 0x0
	v_cmp_ne_u16_e32 vcc_lo, 0, v4
	v_mov_b32_e32 v4, 0
	v_cndmask_b32_e64 v5, 0, 0x3ff00000, vcc_lo
	s_wait_xcnt 0x0
	s_or_b32 exec_lo, exec_lo, s6
	s_and_saveexec_b32 s6, s7
	s_cbranch_execz .LBB119_1525
	s_branch .LBB119_1478
.LBB119_1403:
	s_mov_b32 s7, -1
	s_mov_b32 s9, 0
	s_mov_b32 s8, s40
                                        ; implicit-def: $vgpr6_vgpr7
	s_branch .LBB119_1475
.LBB119_1404:
	s_mov_b32 s8, s40
                                        ; implicit-def: $vgpr6_vgpr7
	s_cbranch_execnz .LBB119_1441
	s_branch .LBB119_1474
.LBB119_1405:
	s_mov_b32 s13, -1
	s_mov_b32 s8, s40
                                        ; implicit-def: $vgpr6_vgpr7
	s_branch .LBB119_1422
.LBB119_1406:
	s_mov_b32 s13, -1
	s_mov_b32 s8, s40
                                        ; implicit-def: $vgpr6_vgpr7
	s_branch .LBB119_1416
.LBB119_1407:
	s_mov_b32 s13, -1
	s_mov_b32 s8, s40
	s_branch .LBB119_1409
.LBB119_1408:
	s_mov_b32 s8, -1
.LBB119_1409:
                                        ; implicit-def: $vgpr6_vgpr7
.LBB119_1410:
	s_and_b32 vcc_lo, exec_lo, s13
	s_cbranch_vccz .LBB119_1415
; %bb.1411:
	s_cmp_eq_u32 s7, 44
	s_cbranch_scc0 .LBB119_1413
; %bb.1412:
	global_load_u8 v6, v[8:9], off
	s_mov_b32 s8, 0
	s_mov_b32 s12, -1
	s_wait_loadcnt 0x0
	v_cmp_ne_u32_e32 vcc_lo, 0xff, v6
	v_lshlrev_b32_e32 v4, 23, v6
	s_delay_alu instid0(VALU_DEP_1) | instskip(NEXT) | instid1(VALU_DEP_1)
	v_cvt_f64_f32_e32 v[4:5], v4
	v_cndmask_b32_e32 v4, 0x20000000, v4, vcc_lo
	s_delay_alu instid0(VALU_DEP_2) | instskip(SKIP_1) | instid1(VALU_DEP_2)
	v_cndmask_b32_e32 v5, 0x7ff80000, v5, vcc_lo
	v_cmp_ne_u32_e32 vcc_lo, 0, v6
	v_cndmask_b32_e32 v5, 0x38000000, v5, vcc_lo
	s_delay_alu instid0(VALU_DEP_4)
	v_cndmask_b32_e32 v4, 0, v4, vcc_lo
	s_branch .LBB119_1414
.LBB119_1413:
	s_mov_b32 s8, -1
                                        ; implicit-def: $vgpr4_vgpr5
.LBB119_1414:
	v_mov_b64_e32 v[6:7], 0
.LBB119_1415:
	s_mov_b32 s13, 0
.LBB119_1416:
	s_delay_alu instid0(SALU_CYCLE_1)
	s_and_b32 vcc_lo, exec_lo, s13
	s_cbranch_vccz .LBB119_1421
; %bb.1417:
	s_cmp_eq_u32 s7, 29
	s_cbranch_scc0 .LBB119_1419
; %bb.1418:
	global_load_b64 v[4:5], v[8:9], off
	s_mov_b32 s8, 0
	s_mov_b32 s12, -1
	s_wait_loadcnt 0x0
	v_cvt_f64_u32_e32 v[6:7], v5
	v_cvt_f64_u32_e32 v[4:5], v4
	s_delay_alu instid0(VALU_DEP_2) | instskip(NEXT) | instid1(VALU_DEP_1)
	v_ldexp_f64 v[6:7], v[6:7], 32
	v_add_f64_e32 v[4:5], v[6:7], v[4:5]
	s_branch .LBB119_1420
.LBB119_1419:
	s_mov_b32 s8, -1
                                        ; implicit-def: $vgpr4_vgpr5
.LBB119_1420:
	v_mov_b64_e32 v[6:7], 0
.LBB119_1421:
	s_mov_b32 s13, 0
.LBB119_1422:
	s_delay_alu instid0(SALU_CYCLE_1)
	s_and_b32 vcc_lo, exec_lo, s13
	s_cbranch_vccz .LBB119_1440
; %bb.1423:
	s_cmp_lt_i32 s7, 27
	s_cbranch_scc1 .LBB119_1426
; %bb.1424:
	s_cmp_gt_i32 s7, 27
	s_cbranch_scc0 .LBB119_1427
; %bb.1425:
	global_load_b32 v4, v[8:9], off
	s_mov_b32 s12, 0
	s_wait_loadcnt 0x0
	v_cvt_f64_u32_e32 v[4:5], v4
	s_branch .LBB119_1428
.LBB119_1426:
	s_mov_b32 s12, -1
                                        ; implicit-def: $vgpr4_vgpr5
	s_branch .LBB119_1431
.LBB119_1427:
	s_mov_b32 s12, -1
                                        ; implicit-def: $vgpr4_vgpr5
.LBB119_1428:
	s_delay_alu instid0(SALU_CYCLE_1)
	s_and_not1_b32 vcc_lo, exec_lo, s12
	s_cbranch_vccnz .LBB119_1430
; %bb.1429:
	global_load_u16 v4, v[8:9], off
	s_wait_loadcnt 0x0
	v_cvt_f64_u32_e32 v[4:5], v4
.LBB119_1430:
	s_mov_b32 s12, 0
.LBB119_1431:
	s_delay_alu instid0(SALU_CYCLE_1)
	s_and_not1_b32 vcc_lo, exec_lo, s12
	s_cbranch_vccnz .LBB119_1439
; %bb.1432:
	global_load_u8 v6, v[8:9], off
	s_mov_b32 s12, 0
	s_mov_b32 s13, exec_lo
	s_wait_loadcnt 0x0
	v_cmpx_lt_i16_e32 0x7f, v6
	s_xor_b32 s13, exec_lo, s13
	s_cbranch_execz .LBB119_1452
; %bb.1433:
	s_mov_b32 s12, -1
	s_mov_b32 s14, exec_lo
	v_cmpx_eq_u16_e32 0x80, v6
; %bb.1434:
	s_xor_b32 s12, exec_lo, -1
; %bb.1435:
	s_or_b32 exec_lo, exec_lo, s14
	s_delay_alu instid0(SALU_CYCLE_1)
	s_and_b32 s12, s12, exec_lo
	s_or_saveexec_b32 s13, s13
	v_mov_b64_e32 v[4:5], 0x7ff8000020000000
	s_xor_b32 exec_lo, exec_lo, s13
	s_cbranch_execnz .LBB119_1453
.LBB119_1436:
	s_or_b32 exec_lo, exec_lo, s13
	s_and_saveexec_b32 s13, s12
	s_cbranch_execz .LBB119_1438
.LBB119_1437:
	v_and_b32_e32 v4, 0xffff, v6
	s_delay_alu instid0(VALU_DEP_1) | instskip(SKIP_1) | instid1(VALU_DEP_2)
	v_and_b32_e32 v5, 7, v4
	v_bfe_u32 v12, v4, 3, 4
	v_clz_i32_u32_e32 v7, v5
	s_delay_alu instid0(VALU_DEP_2) | instskip(NEXT) | instid1(VALU_DEP_2)
	v_cmp_eq_u32_e32 vcc_lo, 0, v12
	v_min_u32_e32 v7, 32, v7
	s_delay_alu instid0(VALU_DEP_1) | instskip(NEXT) | instid1(VALU_DEP_1)
	v_subrev_nc_u32_e32 v11, 28, v7
	v_dual_lshlrev_b32 v4, v11, v4 :: v_dual_sub_nc_u32 v7, 29, v7
	s_delay_alu instid0(VALU_DEP_1) | instskip(NEXT) | instid1(VALU_DEP_1)
	v_dual_lshlrev_b32 v6, 24, v6 :: v_dual_bitop2_b32 v4, 7, v4 bitop3:0x40
	v_dual_cndmask_b32 v7, v12, v7 :: v_dual_cndmask_b32 v4, v5, v4
	s_delay_alu instid0(VALU_DEP_2) | instskip(NEXT) | instid1(VALU_DEP_2)
	v_and_b32_e32 v5, 0x80000000, v6
	v_lshl_add_u32 v6, v7, 23, 0x3b800000
	s_delay_alu instid0(VALU_DEP_3) | instskip(NEXT) | instid1(VALU_DEP_1)
	v_lshlrev_b32_e32 v4, 20, v4
	v_or3_b32 v4, v5, v6, v4
	s_delay_alu instid0(VALU_DEP_1)
	v_cvt_f64_f32_e32 v[4:5], v4
.LBB119_1438:
	s_or_b32 exec_lo, exec_lo, s13
.LBB119_1439:
	v_mov_b64_e32 v[6:7], 0
	s_mov_b32 s12, -1
.LBB119_1440:
	s_branch .LBB119_1474
.LBB119_1441:
	s_cmp_gt_i32 s7, 22
	s_cbranch_scc0 .LBB119_1451
; %bb.1442:
	s_cmp_lt_i32 s7, 24
	s_cbranch_scc1 .LBB119_1454
; %bb.1443:
	s_cmp_gt_i32 s7, 24
	s_cbranch_scc0 .LBB119_1455
; %bb.1444:
	global_load_u8 v6, v[8:9], off
	s_mov_b32 s12, exec_lo
	s_wait_loadcnt 0x0
	v_cmpx_lt_i16_e32 0x7f, v6
	s_xor_b32 s12, exec_lo, s12
	s_cbranch_execz .LBB119_1467
; %bb.1445:
	s_mov_b32 s9, -1
	s_mov_b32 s13, exec_lo
	v_cmpx_eq_u16_e32 0x80, v6
; %bb.1446:
	s_xor_b32 s9, exec_lo, -1
; %bb.1447:
	s_or_b32 exec_lo, exec_lo, s13
	s_delay_alu instid0(SALU_CYCLE_1)
	s_and_b32 s9, s9, exec_lo
	s_or_saveexec_b32 s12, s12
	v_mov_b64_e32 v[4:5], 0x7ff8000020000000
	s_xor_b32 exec_lo, exec_lo, s12
	s_cbranch_execnz .LBB119_1468
.LBB119_1448:
	s_or_b32 exec_lo, exec_lo, s12
	s_and_saveexec_b32 s12, s9
	s_cbranch_execz .LBB119_1450
.LBB119_1449:
	v_and_b32_e32 v4, 0xffff, v6
	s_delay_alu instid0(VALU_DEP_1) | instskip(SKIP_1) | instid1(VALU_DEP_2)
	v_and_b32_e32 v5, 3, v4
	v_bfe_u32 v12, v4, 2, 5
	v_clz_i32_u32_e32 v7, v5
	s_delay_alu instid0(VALU_DEP_2) | instskip(NEXT) | instid1(VALU_DEP_2)
	v_cmp_eq_u32_e32 vcc_lo, 0, v12
	v_min_u32_e32 v7, 32, v7
	s_delay_alu instid0(VALU_DEP_1) | instskip(NEXT) | instid1(VALU_DEP_1)
	v_subrev_nc_u32_e32 v11, 29, v7
	v_dual_lshlrev_b32 v4, v11, v4 :: v_dual_sub_nc_u32 v7, 30, v7
	s_delay_alu instid0(VALU_DEP_1) | instskip(NEXT) | instid1(VALU_DEP_1)
	v_dual_lshlrev_b32 v6, 24, v6 :: v_dual_bitop2_b32 v4, 3, v4 bitop3:0x40
	v_dual_cndmask_b32 v7, v12, v7 :: v_dual_cndmask_b32 v4, v5, v4
	s_delay_alu instid0(VALU_DEP_2) | instskip(NEXT) | instid1(VALU_DEP_2)
	v_and_b32_e32 v5, 0x80000000, v6
	v_lshl_add_u32 v6, v7, 23, 0x37800000
	s_delay_alu instid0(VALU_DEP_3) | instskip(NEXT) | instid1(VALU_DEP_1)
	v_lshlrev_b32_e32 v4, 21, v4
	v_or3_b32 v4, v5, v6, v4
	s_delay_alu instid0(VALU_DEP_1)
	v_cvt_f64_f32_e32 v[4:5], v4
.LBB119_1450:
	s_or_b32 exec_lo, exec_lo, s12
	s_mov_b32 s9, 0
	s_branch .LBB119_1456
.LBB119_1451:
	s_mov_b32 s9, -1
                                        ; implicit-def: $vgpr4_vgpr5
	s_branch .LBB119_1462
.LBB119_1452:
	s_or_saveexec_b32 s13, s13
	v_mov_b64_e32 v[4:5], 0x7ff8000020000000
	s_xor_b32 exec_lo, exec_lo, s13
	s_cbranch_execz .LBB119_1436
.LBB119_1453:
	v_cmp_ne_u16_e32 vcc_lo, 0, v6
	v_mov_b64_e32 v[4:5], 0
	s_and_not1_b32 s12, s12, exec_lo
	s_and_b32 s14, vcc_lo, exec_lo
	s_delay_alu instid0(SALU_CYCLE_1)
	s_or_b32 s12, s12, s14
	s_or_b32 exec_lo, exec_lo, s13
	s_and_saveexec_b32 s13, s12
	s_cbranch_execnz .LBB119_1437
	s_branch .LBB119_1438
.LBB119_1454:
	s_mov_b32 s9, -1
                                        ; implicit-def: $vgpr4_vgpr5
	s_branch .LBB119_1459
.LBB119_1455:
	s_mov_b32 s9, -1
                                        ; implicit-def: $vgpr4_vgpr5
.LBB119_1456:
	s_delay_alu instid0(SALU_CYCLE_1)
	s_and_b32 vcc_lo, exec_lo, s9
	s_cbranch_vccz .LBB119_1458
; %bb.1457:
	global_load_u8 v4, v[8:9], off
	s_wait_loadcnt 0x0
	v_lshlrev_b32_e32 v4, 24, v4
	s_delay_alu instid0(VALU_DEP_1) | instskip(NEXT) | instid1(VALU_DEP_1)
	v_and_b32_e32 v5, 0x7f000000, v4
	v_clz_i32_u32_e32 v6, v5
	v_add_nc_u32_e32 v11, 0x1000000, v5
	v_cmp_ne_u32_e32 vcc_lo, 0, v5
	s_delay_alu instid0(VALU_DEP_3) | instskip(NEXT) | instid1(VALU_DEP_1)
	v_min_u32_e32 v6, 32, v6
	v_sub_nc_u32_e64 v6, v6, 4 clamp
	s_delay_alu instid0(VALU_DEP_1) | instskip(NEXT) | instid1(VALU_DEP_1)
	v_dual_lshlrev_b32 v7, v6, v5 :: v_dual_lshlrev_b32 v6, 23, v6
	v_lshrrev_b32_e32 v7, 4, v7
	s_delay_alu instid0(VALU_DEP_1) | instskip(NEXT) | instid1(VALU_DEP_1)
	v_dual_sub_nc_u32 v6, v7, v6 :: v_dual_ashrrev_i32 v7, 8, v11
	v_add_nc_u32_e32 v6, 0x3c000000, v6
	s_delay_alu instid0(VALU_DEP_1) | instskip(NEXT) | instid1(VALU_DEP_1)
	v_and_or_b32 v6, 0x7f800000, v7, v6
	v_cndmask_b32_e32 v5, 0, v6, vcc_lo
	s_delay_alu instid0(VALU_DEP_1) | instskip(NEXT) | instid1(VALU_DEP_1)
	v_and_or_b32 v4, 0x80000000, v4, v5
	v_cvt_f64_f32_e32 v[4:5], v4
.LBB119_1458:
	s_mov_b32 s9, 0
.LBB119_1459:
	s_delay_alu instid0(SALU_CYCLE_1)
	s_and_not1_b32 vcc_lo, exec_lo, s9
	s_cbranch_vccnz .LBB119_1461
; %bb.1460:
	global_load_u8 v4, v[8:9], off
	s_wait_loadcnt 0x0
	v_lshlrev_b32_e32 v5, 25, v4
	v_lshlrev_b16 v4, 8, v4
	s_delay_alu instid0(VALU_DEP_1) | instskip(SKIP_1) | instid1(VALU_DEP_2)
	v_and_or_b32 v7, 0x7f00, v4, 0.5
	v_bfe_i32 v4, v4, 0, 16
	v_dual_add_f32 v7, -0.5, v7 :: v_dual_lshrrev_b32 v6, 4, v5
	v_cmp_gt_u32_e32 vcc_lo, 0x8000000, v5
	s_delay_alu instid0(VALU_DEP_2) | instskip(NEXT) | instid1(VALU_DEP_1)
	v_or_b32_e32 v6, 0x70000000, v6
	v_mul_f32_e32 v6, 0x7800000, v6
	s_delay_alu instid0(VALU_DEP_1) | instskip(NEXT) | instid1(VALU_DEP_1)
	v_cndmask_b32_e32 v5, v6, v7, vcc_lo
	v_and_or_b32 v4, 0x80000000, v4, v5
	s_delay_alu instid0(VALU_DEP_1)
	v_cvt_f64_f32_e32 v[4:5], v4
.LBB119_1461:
	s_mov_b32 s9, 0
	s_mov_b32 s12, -1
.LBB119_1462:
	s_and_not1_b32 vcc_lo, exec_lo, s9
	s_mov_b32 s9, 0
	s_cbranch_vccnz .LBB119_1473
; %bb.1463:
	s_cmp_gt_i32 s7, 14
	s_cbranch_scc0 .LBB119_1466
; %bb.1464:
	s_cmp_eq_u32 s7, 15
	s_cbranch_scc0 .LBB119_1469
; %bb.1465:
	global_load_u16 v4, v[8:9], off
	s_mov_b32 s8, 0
	s_mov_b32 s12, -1
	s_wait_loadcnt 0x0
	v_lshlrev_b32_e32 v4, 16, v4
	s_delay_alu instid0(VALU_DEP_1)
	v_cvt_f64_f32_e32 v[4:5], v4
	s_branch .LBB119_1471
.LBB119_1466:
	s_mov_b32 s9, -1
	s_branch .LBB119_1470
.LBB119_1467:
	s_or_saveexec_b32 s12, s12
	v_mov_b64_e32 v[4:5], 0x7ff8000020000000
	s_xor_b32 exec_lo, exec_lo, s12
	s_cbranch_execz .LBB119_1448
.LBB119_1468:
	v_cmp_ne_u16_e32 vcc_lo, 0, v6
	v_mov_b64_e32 v[4:5], 0
	s_and_not1_b32 s9, s9, exec_lo
	s_and_b32 s13, vcc_lo, exec_lo
	s_delay_alu instid0(SALU_CYCLE_1)
	s_or_b32 s9, s9, s13
	s_or_b32 exec_lo, exec_lo, s12
	s_and_saveexec_b32 s12, s9
	s_cbranch_execnz .LBB119_1449
	s_branch .LBB119_1450
.LBB119_1469:
	s_mov_b32 s8, -1
.LBB119_1470:
                                        ; implicit-def: $vgpr4_vgpr5
.LBB119_1471:
	s_and_b32 vcc_lo, exec_lo, s9
	s_mov_b32 s9, 0
	s_cbranch_vccz .LBB119_1473
; %bb.1472:
	s_cmp_lg_u32 s7, 11
	s_mov_b32 s9, -1
	s_cselect_b32 s7, -1, 0
	s_and_not1_b32 s8, s8, exec_lo
	s_and_b32 s7, s7, exec_lo
	s_delay_alu instid0(SALU_CYCLE_1)
	s_or_b32 s8, s8, s7
.LBB119_1473:
	v_mov_b64_e32 v[6:7], 0
.LBB119_1474:
	s_mov_b32 s7, 0
.LBB119_1475:
	s_and_not1_b32 s13, s40, exec_lo
	s_and_b32 s8, s8, exec_lo
	s_and_b32 s12, s12, exec_lo
	;; [unrolled: 1-line block ×4, first 2 shown]
	s_or_b32 s40, s13, s8
	s_wait_xcnt 0x0
	s_or_b32 exec_lo, exec_lo, s6
	s_and_saveexec_b32 s6, s40
	s_cbranch_execz .LBB119_1401
.LBB119_1476:
	s_or_b32 s1, s1, exec_lo
	s_and_not1_b32 s14, s14, exec_lo
	s_trap 2
	s_or_b32 exec_lo, exec_lo, s6
	s_and_saveexec_b32 s6, s14
	s_delay_alu instid0(SALU_CYCLE_1)
	s_xor_b32 s6, exec_lo, s6
	s_cbranch_execnz .LBB119_1402
.LBB119_1477:
	s_or_b32 exec_lo, exec_lo, s6
	s_and_saveexec_b32 s6, s7
	s_cbranch_execz .LBB119_1525
.LBB119_1478:
	s_sext_i32_i16 s7, s0
	s_delay_alu instid0(SALU_CYCLE_1)
	s_cmp_lt_i32 s7, 5
	s_cbranch_scc1 .LBB119_1483
; %bb.1479:
	s_cmp_lt_i32 s7, 8
	s_cbranch_scc1 .LBB119_1484
; %bb.1480:
	;; [unrolled: 3-line block ×3, first 2 shown]
	s_cmp_gt_i32 s7, 9
	s_cbranch_scc0 .LBB119_1486
; %bb.1482:
	s_wait_loadcnt 0x0
	global_load_b128 v[4:7], v[8:9], off
	s_mov_b32 s7, 0
	s_branch .LBB119_1487
.LBB119_1483:
                                        ; implicit-def: $vgpr6_vgpr7
	s_branch .LBB119_1505
.LBB119_1484:
                                        ; implicit-def: $vgpr6_vgpr7
	s_branch .LBB119_1493
.LBB119_1485:
	s_mov_b32 s7, -1
                                        ; implicit-def: $vgpr6_vgpr7
	s_branch .LBB119_1490
.LBB119_1486:
	s_mov_b32 s7, -1
                                        ; implicit-def: $vgpr6_vgpr7
.LBB119_1487:
	s_delay_alu instid0(SALU_CYCLE_1)
	s_and_not1_b32 vcc_lo, exec_lo, s7
	s_cbranch_vccnz .LBB119_1489
; %bb.1488:
	s_wait_loadcnt 0x0
	global_load_b64 v[6:7], v[8:9], off
	s_wait_loadcnt 0x0
	v_cvt_f64_f32_e32 v[4:5], v6
	v_cvt_f64_f32_e32 v[6:7], v7
.LBB119_1489:
	s_mov_b32 s7, 0
.LBB119_1490:
	s_delay_alu instid0(SALU_CYCLE_1)
	s_and_not1_b32 vcc_lo, exec_lo, s7
	s_cbranch_vccnz .LBB119_1492
; %bb.1491:
	s_wait_loadcnt 0x0
	global_load_b32 v4, v[8:9], off
	s_wait_loadcnt 0x0
	v_lshrrev_b32_e32 v5, 16, v4
	v_cvt_f32_f16_e32 v4, v4
	s_delay_alu instid0(VALU_DEP_2) | instskip(NEXT) | instid1(VALU_DEP_2)
	v_cvt_f32_f16_e32 v6, v5
	v_cvt_f64_f32_e32 v[4:5], v4
	s_delay_alu instid0(VALU_DEP_2)
	v_cvt_f64_f32_e32 v[6:7], v6
.LBB119_1492:
	s_cbranch_execnz .LBB119_1504
.LBB119_1493:
	s_sext_i32_i16 s7, s0
	s_delay_alu instid0(SALU_CYCLE_1)
	s_cmp_lt_i32 s7, 6
	s_cbranch_scc1 .LBB119_1496
; %bb.1494:
	s_cmp_gt_i32 s7, 6
	s_cbranch_scc0 .LBB119_1497
; %bb.1495:
	s_wait_loadcnt 0x0
	global_load_b64 v[4:5], v[8:9], off
	s_mov_b32 s7, 0
	s_branch .LBB119_1498
.LBB119_1496:
	s_mov_b32 s7, -1
                                        ; implicit-def: $vgpr4_vgpr5
	s_branch .LBB119_1501
.LBB119_1497:
	s_mov_b32 s7, -1
                                        ; implicit-def: $vgpr4_vgpr5
.LBB119_1498:
	s_delay_alu instid0(SALU_CYCLE_1)
	s_and_not1_b32 vcc_lo, exec_lo, s7
	s_cbranch_vccnz .LBB119_1500
; %bb.1499:
	s_wait_loadcnt 0x0
	global_load_b32 v4, v[8:9], off
	s_wait_loadcnt 0x0
	v_cvt_f64_f32_e32 v[4:5], v4
.LBB119_1500:
	s_mov_b32 s7, 0
.LBB119_1501:
	s_delay_alu instid0(SALU_CYCLE_1)
	s_and_not1_b32 vcc_lo, exec_lo, s7
	s_cbranch_vccnz .LBB119_1503
; %bb.1502:
	s_wait_loadcnt 0x0
	global_load_u16 v4, v[8:9], off
	s_wait_loadcnt 0x0
	v_cvt_f32_f16_e32 v4, v4
	s_delay_alu instid0(VALU_DEP_1)
	v_cvt_f64_f32_e32 v[4:5], v4
.LBB119_1503:
	s_wait_loadcnt 0x0
	v_mov_b64_e32 v[6:7], 0
.LBB119_1504:
	s_cbranch_execnz .LBB119_1524
.LBB119_1505:
	s_sext_i32_i16 s7, s0
	s_delay_alu instid0(SALU_CYCLE_1)
	s_cmp_lt_i32 s7, 2
	s_cbranch_scc1 .LBB119_1509
; %bb.1506:
	s_cmp_lt_i32 s7, 3
	s_cbranch_scc1 .LBB119_1510
; %bb.1507:
	s_cmp_gt_i32 s7, 3
	s_cbranch_scc0 .LBB119_1511
; %bb.1508:
	s_wait_loadcnt 0x0
	global_load_b64 v[4:5], v[8:9], off
	s_mov_b32 s7, 0
	s_wait_loadcnt 0x0
	v_cvt_f64_i32_e32 v[6:7], v5
	v_cvt_f64_u32_e32 v[4:5], v4
	s_delay_alu instid0(VALU_DEP_2) | instskip(NEXT) | instid1(VALU_DEP_1)
	v_ldexp_f64 v[6:7], v[6:7], 32
	v_add_f64_e32 v[4:5], v[6:7], v[4:5]
	s_branch .LBB119_1512
.LBB119_1509:
                                        ; implicit-def: $vgpr4_vgpr5
	s_branch .LBB119_1518
.LBB119_1510:
	s_mov_b32 s7, -1
                                        ; implicit-def: $vgpr4_vgpr5
	s_branch .LBB119_1515
.LBB119_1511:
	s_mov_b32 s7, -1
                                        ; implicit-def: $vgpr4_vgpr5
.LBB119_1512:
	s_delay_alu instid0(SALU_CYCLE_1)
	s_and_not1_b32 vcc_lo, exec_lo, s7
	s_cbranch_vccnz .LBB119_1514
; %bb.1513:
	s_wait_loadcnt 0x0
	global_load_b32 v4, v[8:9], off
	s_wait_loadcnt 0x0
	v_cvt_f64_i32_e32 v[4:5], v4
.LBB119_1514:
	s_mov_b32 s7, 0
.LBB119_1515:
	s_delay_alu instid0(SALU_CYCLE_1)
	s_and_not1_b32 vcc_lo, exec_lo, s7
	s_cbranch_vccnz .LBB119_1517
; %bb.1516:
	s_wait_loadcnt 0x0
	global_load_i16 v4, v[8:9], off
	s_wait_loadcnt 0x0
	v_cvt_f64_i32_e32 v[4:5], v4
.LBB119_1517:
	s_cbranch_execnz .LBB119_1523
.LBB119_1518:
	s_sext_i32_i16 s0, s0
	s_delay_alu instid0(SALU_CYCLE_1)
	s_cmp_gt_i32 s0, 0
	s_mov_b32 s0, 0
	s_cbranch_scc0 .LBB119_1520
; %bb.1519:
	s_wait_loadcnt 0x0
	global_load_i8 v4, v[8:9], off
	s_wait_loadcnt 0x0
	v_cvt_f64_i32_e32 v[4:5], v4
	s_branch .LBB119_1521
.LBB119_1520:
	s_mov_b32 s0, -1
                                        ; implicit-def: $vgpr4_vgpr5
.LBB119_1521:
	s_delay_alu instid0(SALU_CYCLE_1)
	s_and_not1_b32 vcc_lo, exec_lo, s0
	s_cbranch_vccnz .LBB119_1523
; %bb.1522:
	s_wait_loadcnt 0x0
	global_load_u8 v4, v[8:9], off
	s_wait_loadcnt 0x0
	v_cvt_f64_u32_e32 v[4:5], v4
.LBB119_1523:
	s_wait_loadcnt 0x0
	v_mov_b64_e32 v[6:7], 0
.LBB119_1524:
	s_or_b32 s12, s12, exec_lo
.LBB119_1525:
	s_wait_xcnt 0x0
	s_or_b32 exec_lo, exec_lo, s6
	s_mov_b32 s0, 0
	s_mov_b32 s9, 0
                                        ; implicit-def: $sgpr6
                                        ; implicit-def: $sgpr7
                                        ; implicit-def: $vgpr8_vgpr9
	s_and_saveexec_b32 s8, s12
	s_cbranch_execz .LBB119_1536
; %bb.1526:
	s_and_not1_b32 vcc_lo, exec_lo, s10
	s_cbranch_vccnz .LBB119_1540
; %bb.1527:
	s_wait_loadcnt 0x0
	s_delay_alu instid0(VALU_DEP_2) | instskip(NEXT) | instid1(VALU_DEP_2)
	v_cmp_neq_f64_e32 vcc_lo, v[0:1], v[4:5]
	v_cmp_neq_f64_e64 s0, v[2:3], v[6:7]
	s_or_b32 s6, vcc_lo, s0
	s_cbranch_execnz .LBB119_1529
.LBB119_1528:
	s_wait_loadcnt 0x0
	s_delay_alu instid0(VALU_DEP_2) | instskip(NEXT) | instid1(VALU_DEP_2)
	v_cmp_eq_f64_e32 vcc_lo, v[0:1], v[4:5]
	v_cmp_eq_f64_e64 s0, v[2:3], v[6:7]
	s_and_not1_b32 s6, s6, exec_lo
	s_and_b32 s0, vcc_lo, s0
	s_delay_alu instid0(SALU_CYCLE_1) | instskip(NEXT) | instid1(SALU_CYCLE_1)
	s_and_b32 s0, s0, exec_lo
	s_or_b32 s6, s6, s0
.LBB119_1529:
	v_mov_b32_e32 v11, 0
	s_and_b32 s7, s11, 0xff
	s_delay_alu instid0(SALU_CYCLE_1) | instskip(NEXT) | instid1(VALU_DEP_1)
	s_cmp_lt_i32 s7, 11
	v_add_nc_u64_e32 v[8:9], s[4:5], v[10:11]
	s_cbranch_scc1 .LBB119_1539
; %bb.1530:
	s_and_b32 s4, 0xffff, s7
	s_mov_b32 s5, -1
	s_cmp_gt_i32 s4, 25
	s_mov_b32 s0, s39
	s_cbranch_scc0 .LBB119_1568
; %bb.1531:
	s_cmp_gt_i32 s4, 28
	s_mov_b32 s0, s39
	s_cbranch_scc0 .LBB119_1552
; %bb.1532:
	;; [unrolled: 4-line block ×4, first 2 shown]
	s_cmp_eq_u32 s4, 46
	s_mov_b32 s0, -1
	s_cbranch_scc0 .LBB119_1541
; %bb.1535:
	s_wait_loadcnt 0x0
	v_cndmask_b32_e64 v0, 0, 1.0, s6
	s_mov_b32 s0, 0
	s_mov_b32 s5, 0
	s_delay_alu instid0(VALU_DEP_1) | instskip(NEXT) | instid1(VALU_DEP_1)
	v_bfe_u32 v1, v0, 16, 1
	v_add3_u32 v0, v0, v1, 0x7fff
	s_delay_alu instid0(VALU_DEP_1)
	v_lshrrev_b32_e32 v0, 16, v0
	global_store_b32 v[8:9], v0, off
	s_branch .LBB119_1542
.LBB119_1536:
	s_or_b32 exec_lo, exec_lo, s8
	s_and_saveexec_b32 s4, s39
	s_cbranch_execnz .LBB119_1610
.LBB119_1537:
	s_or_b32 exec_lo, exec_lo, s4
	s_and_saveexec_b32 s4, s0
	s_delay_alu instid0(SALU_CYCLE_1)
	s_xor_b32 s0, exec_lo, s4
	s_cbranch_execz .LBB119_1611
.LBB119_1538:
	s_wait_loadcnt 0x0
	v_cndmask_b32_e64 v0, 0, 1, s6
	global_store_b8 v[8:9], v0, off
	s_wait_xcnt 0x0
	s_or_b32 exec_lo, exec_lo, s0
	s_and_saveexec_b32 s0, s9
	s_delay_alu instid0(SALU_CYCLE_1)
	s_xor_b32 s0, exec_lo, s0
	s_cbranch_execz .LBB119_1649
	s_branch .LBB119_1612
.LBB119_1539:
	s_mov_b32 s10, 0
	s_mov_b32 s5, -1
	s_mov_b32 s0, s39
	s_branch .LBB119_1609
.LBB119_1540:
                                        ; implicit-def: $sgpr6
	s_branch .LBB119_1528
.LBB119_1541:
	s_mov_b32 s5, 0
.LBB119_1542:
	s_delay_alu instid0(SALU_CYCLE_1)
	s_and_b32 vcc_lo, exec_lo, s5
	s_cbranch_vccz .LBB119_1547
; %bb.1543:
	s_cmp_eq_u32 s4, 44
	s_mov_b32 s0, -1
	s_cbranch_scc0 .LBB119_1547
; %bb.1544:
	s_wait_loadcnt 0x0
	v_cndmask_b32_e64 v2, 0, 1.0, s6
	s_mov_b32 s5, exec_lo
	s_wait_xcnt 0x0
	s_delay_alu instid0(VALU_DEP_1) | instskip(NEXT) | instid1(VALU_DEP_1)
	v_dual_mov_b32 v1, 0xff :: v_dual_lshrrev_b32 v0, 23, v2
	v_cmpx_ne_u32_e32 0xff, v0
; %bb.1545:
	v_and_b32_e32 v1, 0x400000, v2
	v_and_or_b32 v2, 0x3fffff, v2, v0
	s_delay_alu instid0(VALU_DEP_2) | instskip(NEXT) | instid1(VALU_DEP_2)
	v_cmp_ne_u32_e32 vcc_lo, 0, v1
	v_cmp_ne_u32_e64 s0, 0, v2
	s_and_b32 s0, vcc_lo, s0
	s_delay_alu instid0(SALU_CYCLE_1) | instskip(NEXT) | instid1(VALU_DEP_1)
	v_cndmask_b32_e64 v1, 0, 1, s0
	v_add_nc_u32_e32 v1, v0, v1
; %bb.1546:
	s_or_b32 exec_lo, exec_lo, s5
	s_mov_b32 s0, 0
	global_store_b8 v[8:9], v1, off
.LBB119_1547:
	s_mov_b32 s5, 0
.LBB119_1548:
	s_delay_alu instid0(SALU_CYCLE_1)
	s_and_b32 vcc_lo, exec_lo, s5
	s_cbranch_vccz .LBB119_1551
; %bb.1549:
	s_cmp_eq_u32 s4, 29
	s_mov_b32 s0, -1
	s_cbranch_scc0 .LBB119_1551
; %bb.1550:
	s_mov_b32 s0, 0
	s_wait_loadcnt 0x0
	v_cndmask_b32_e64 v0, 0, 1, s6
	v_mov_b32_e32 v1, s0
	s_mov_b32 s5, 0
	global_store_b64 v[8:9], v[0:1], off
	s_branch .LBB119_1552
.LBB119_1551:
	s_mov_b32 s5, 0
.LBB119_1552:
	s_delay_alu instid0(SALU_CYCLE_1)
	s_and_b32 vcc_lo, exec_lo, s5
	s_cbranch_vccz .LBB119_1567
; %bb.1553:
	s_cmp_lt_i32 s4, 27
	s_mov_b32 s5, -1
	s_cbranch_scc1 .LBB119_1559
; %bb.1554:
	s_cmp_gt_i32 s4, 27
	s_cbranch_scc0 .LBB119_1556
; %bb.1555:
	s_wait_loadcnt 0x0
	v_cndmask_b32_e64 v0, 0, 1, s6
	s_mov_b32 s5, 0
	global_store_b32 v[8:9], v0, off
.LBB119_1556:
	s_and_not1_b32 vcc_lo, exec_lo, s5
	s_cbranch_vccnz .LBB119_1558
; %bb.1557:
	s_wait_loadcnt 0x0
	v_cndmask_b32_e64 v0, 0, 1, s6
	global_store_b16 v[8:9], v0, off
.LBB119_1558:
	s_mov_b32 s5, 0
.LBB119_1559:
	s_delay_alu instid0(SALU_CYCLE_1)
	s_and_not1_b32 vcc_lo, exec_lo, s5
	s_cbranch_vccnz .LBB119_1567
; %bb.1560:
	s_wait_loadcnt 0x0
	v_cndmask_b32_e64 v1, 0, 1.0, s6
	v_mov_b32_e32 v2, 0x80
	s_mov_b32 s5, exec_lo
	s_delay_alu instid0(VALU_DEP_2)
	v_cmpx_gt_u32_e32 0x43800000, v1
	s_cbranch_execz .LBB119_1566
; %bb.1561:
	s_mov_b32 s10, exec_lo
                                        ; implicit-def: $vgpr0
	v_cmpx_lt_u32_e32 0x3bffffff, v1
	s_xor_b32 s10, exec_lo, s10
	s_cbranch_execz .LBB119_1708
; %bb.1562:
	v_bfe_u32 v0, v1, 20, 1
	s_mov_b32 s9, exec_lo
	s_delay_alu instid0(VALU_DEP_1) | instskip(NEXT) | instid1(VALU_DEP_1)
	v_add3_u32 v0, v1, v0, 0x487ffff
                                        ; implicit-def: $vgpr1
	v_lshrrev_b32_e32 v0, 20, v0
	s_and_not1_saveexec_b32 s10, s10
	s_cbranch_execnz .LBB119_1709
.LBB119_1563:
	s_or_b32 exec_lo, exec_lo, s10
	v_mov_b32_e32 v2, 0
	s_and_saveexec_b32 s10, s9
.LBB119_1564:
	v_mov_b32_e32 v2, v0
.LBB119_1565:
	s_or_b32 exec_lo, exec_lo, s10
.LBB119_1566:
	s_delay_alu instid0(SALU_CYCLE_1)
	s_or_b32 exec_lo, exec_lo, s5
	global_store_b8 v[8:9], v2, off
.LBB119_1567:
	s_mov_b32 s5, 0
.LBB119_1568:
	s_delay_alu instid0(SALU_CYCLE_1)
	s_and_b32 vcc_lo, exec_lo, s5
	s_mov_b32 s5, 0
	s_cbranch_vccz .LBB119_1608
; %bb.1569:
	s_cmp_gt_i32 s4, 22
	s_mov_b32 s9, -1
	s_cbranch_scc0 .LBB119_1601
; %bb.1570:
	s_cmp_lt_i32 s4, 24
	s_cbranch_scc1 .LBB119_1590
; %bb.1571:
	s_cmp_gt_i32 s4, 24
	s_cbranch_scc0 .LBB119_1579
; %bb.1572:
	s_wait_loadcnt 0x0
	v_cndmask_b32_e64 v1, 0, 1.0, s6
	v_mov_b32_e32 v2, 0x80
	s_mov_b32 s9, exec_lo
	s_delay_alu instid0(VALU_DEP_2)
	v_cmpx_gt_u32_e32 0x47800000, v1
	s_cbranch_execz .LBB119_1578
; %bb.1573:
	s_mov_b32 s10, 0
	s_mov_b32 s11, exec_lo
                                        ; implicit-def: $vgpr0
	v_cmpx_lt_u32_e32 0x37ffffff, v1
	s_xor_b32 s11, exec_lo, s11
	s_cbranch_execz .LBB119_1839
; %bb.1574:
	v_bfe_u32 v0, v1, 21, 1
	s_mov_b32 s10, exec_lo
	s_delay_alu instid0(VALU_DEP_1) | instskip(NEXT) | instid1(VALU_DEP_1)
	v_add3_u32 v0, v1, v0, 0x88fffff
                                        ; implicit-def: $vgpr1
	v_lshrrev_b32_e32 v0, 21, v0
	s_and_not1_saveexec_b32 s11, s11
	s_cbranch_execnz .LBB119_1840
.LBB119_1575:
	s_or_b32 exec_lo, exec_lo, s11
	v_mov_b32_e32 v2, 0
	s_and_saveexec_b32 s11, s10
.LBB119_1576:
	v_mov_b32_e32 v2, v0
.LBB119_1577:
	s_or_b32 exec_lo, exec_lo, s11
.LBB119_1578:
	s_delay_alu instid0(SALU_CYCLE_1)
	s_or_b32 exec_lo, exec_lo, s9
	s_mov_b32 s9, 0
	global_store_b8 v[8:9], v2, off
.LBB119_1579:
	s_and_b32 vcc_lo, exec_lo, s9
	s_cbranch_vccz .LBB119_1589
; %bb.1580:
	s_wait_loadcnt 0x0
	v_cndmask_b32_e64 v1, 0, 1.0, s6
	s_mov_b32 s9, exec_lo
                                        ; implicit-def: $vgpr0
	s_delay_alu instid0(VALU_DEP_1)
	v_cmpx_gt_u32_e32 0x43f00000, v1
	s_xor_b32 s9, exec_lo, s9
	s_cbranch_execz .LBB119_1586
; %bb.1581:
	s_mov_b32 s10, exec_lo
                                        ; implicit-def: $vgpr0
	v_cmpx_lt_u32_e32 0x3c7fffff, v1
	s_xor_b32 s10, exec_lo, s10
; %bb.1582:
	v_bfe_u32 v0, v1, 20, 1
	s_delay_alu instid0(VALU_DEP_1) | instskip(NEXT) | instid1(VALU_DEP_1)
	v_add3_u32 v0, v1, v0, 0x407ffff
	v_and_b32_e32 v1, 0xff00000, v0
	v_lshrrev_b32_e32 v0, 20, v0
	s_delay_alu instid0(VALU_DEP_2) | instskip(NEXT) | instid1(VALU_DEP_2)
	v_cmp_ne_u32_e32 vcc_lo, 0x7f00000, v1
                                        ; implicit-def: $vgpr1
	v_cndmask_b32_e32 v0, 0x7e, v0, vcc_lo
; %bb.1583:
	s_and_not1_saveexec_b32 s10, s10
; %bb.1584:
	v_add_f32_e32 v0, 0x46800000, v1
; %bb.1585:
	s_or_b32 exec_lo, exec_lo, s10
                                        ; implicit-def: $vgpr1
.LBB119_1586:
	s_and_not1_saveexec_b32 s9, s9
; %bb.1587:
	v_mov_b32_e32 v0, 0x7f
	v_cmp_lt_u32_e32 vcc_lo, 0x7f800000, v1
	s_delay_alu instid0(VALU_DEP_2)
	v_cndmask_b32_e32 v0, 0x7e, v0, vcc_lo
; %bb.1588:
	s_or_b32 exec_lo, exec_lo, s9
	global_store_b8 v[8:9], v0, off
.LBB119_1589:
	s_mov_b32 s9, 0
.LBB119_1590:
	s_delay_alu instid0(SALU_CYCLE_1)
	s_and_not1_b32 vcc_lo, exec_lo, s9
	s_cbranch_vccnz .LBB119_1600
; %bb.1591:
	s_wait_loadcnt 0x0
	v_cndmask_b32_e64 v1, 0, 1.0, s6
	s_mov_b32 s9, exec_lo
                                        ; implicit-def: $vgpr0
	s_delay_alu instid0(VALU_DEP_1)
	v_cmpx_gt_u32_e32 0x47800000, v1
	s_xor_b32 s9, exec_lo, s9
	s_cbranch_execz .LBB119_1597
; %bb.1592:
	s_mov_b32 s10, exec_lo
                                        ; implicit-def: $vgpr0
	v_cmpx_lt_u32_e32 0x387fffff, v1
	s_xor_b32 s10, exec_lo, s10
; %bb.1593:
	v_bfe_u32 v0, v1, 21, 1
	s_delay_alu instid0(VALU_DEP_1) | instskip(NEXT) | instid1(VALU_DEP_1)
	v_add3_u32 v0, v1, v0, 0x80fffff
                                        ; implicit-def: $vgpr1
	v_lshrrev_b32_e32 v0, 21, v0
; %bb.1594:
	s_and_not1_saveexec_b32 s10, s10
; %bb.1595:
	v_add_f32_e32 v0, 0x43000000, v1
; %bb.1596:
	s_or_b32 exec_lo, exec_lo, s10
                                        ; implicit-def: $vgpr1
.LBB119_1597:
	s_and_not1_saveexec_b32 s9, s9
; %bb.1598:
	v_mov_b32_e32 v0, 0x7f
	v_cmp_lt_u32_e32 vcc_lo, 0x7f800000, v1
	s_delay_alu instid0(VALU_DEP_2)
	v_cndmask_b32_e32 v0, 0x7c, v0, vcc_lo
; %bb.1599:
	s_or_b32 exec_lo, exec_lo, s9
	global_store_b8 v[8:9], v0, off
.LBB119_1600:
	s_mov_b32 s9, 0
.LBB119_1601:
	s_delay_alu instid0(SALU_CYCLE_1)
	s_and_not1_b32 vcc_lo, exec_lo, s9
	s_mov_b32 s10, 0
	s_cbranch_vccnz .LBB119_1609
; %bb.1602:
	s_cmp_gt_i32 s4, 14
	s_mov_b32 s9, -1
	s_cbranch_scc0 .LBB119_1606
; %bb.1603:
	s_cmp_eq_u32 s4, 15
	s_mov_b32 s0, -1
	s_cbranch_scc0 .LBB119_1605
; %bb.1604:
	s_wait_loadcnt 0x0
	v_cndmask_b32_e64 v0, 0, 1.0, s6
	s_mov_b32 s0, 0
	s_delay_alu instid0(VALU_DEP_1) | instskip(NEXT) | instid1(VALU_DEP_1)
	v_bfe_u32 v1, v0, 16, 1
	v_add3_u32 v0, v0, v1, 0x7fff
	global_store_d16_hi_b16 v[8:9], v0, off
.LBB119_1605:
	s_mov_b32 s9, 0
.LBB119_1606:
	s_delay_alu instid0(SALU_CYCLE_1)
	s_and_b32 vcc_lo, exec_lo, s9
	s_cbranch_vccz .LBB119_1609
; %bb.1607:
	s_cmp_lg_u32 s4, 11
	s_mov_b32 s10, -1
	s_cselect_b32 s4, -1, 0
	s_and_not1_b32 s0, s0, exec_lo
	s_and_b32 s4, s4, exec_lo
	s_delay_alu instid0(SALU_CYCLE_1)
	s_or_b32 s0, s0, s4
	s_branch .LBB119_1609
.LBB119_1608:
	s_mov_b32 s10, 0
.LBB119_1609:
	s_and_b32 s9, s5, exec_lo
	s_and_not1_b32 s4, s39, exec_lo
	s_and_b32 s5, s0, exec_lo
	s_and_b32 s0, s10, exec_lo
	s_or_b32 s39, s4, s5
	s_wait_xcnt 0x0
	s_or_b32 exec_lo, exec_lo, s8
	s_and_saveexec_b32 s4, s39
	s_cbranch_execz .LBB119_1537
.LBB119_1610:
	s_or_b32 s1, s1, exec_lo
	s_and_not1_b32 s0, s0, exec_lo
	s_trap 2
	s_or_b32 exec_lo, exec_lo, s4
	s_and_saveexec_b32 s4, s0
	s_delay_alu instid0(SALU_CYCLE_1)
	s_xor_b32 s0, exec_lo, s4
	s_cbranch_execnz .LBB119_1538
.LBB119_1611:
	s_or_b32 exec_lo, exec_lo, s0
	s_and_saveexec_b32 s0, s9
	s_delay_alu instid0(SALU_CYCLE_1)
	s_xor_b32 s0, exec_lo, s0
	s_cbranch_execz .LBB119_1649
.LBB119_1612:
	s_sext_i32_i16 s5, s7
	s_mov_b32 s4, -1
	s_cmp_lt_i32 s5, 5
	s_cbranch_scc1 .LBB119_1633
; %bb.1613:
	s_cmp_lt_i32 s5, 8
	s_cbranch_scc1 .LBB119_1623
; %bb.1614:
	;; [unrolled: 3-line block ×3, first 2 shown]
	s_cmp_gt_i32 s5, 9
	s_cbranch_scc0 .LBB119_1617
; %bb.1616:
	s_wait_loadcnt 0x0
	v_cndmask_b32_e64 v0, 0, 1, s6
	v_mov_b32_e32 v2, 0
	s_mov_b32 s4, 0
	s_delay_alu instid0(VALU_DEP_2) | instskip(NEXT) | instid1(VALU_DEP_2)
	v_cvt_f64_u32_e32 v[0:1], v0
	v_mov_b32_e32 v3, v2
	global_store_b128 v[8:9], v[0:3], off
.LBB119_1617:
	s_and_not1_b32 vcc_lo, exec_lo, s4
	s_cbranch_vccnz .LBB119_1619
; %bb.1618:
	s_wait_loadcnt 0x0
	v_cndmask_b32_e64 v0, 0, 1.0, s6
	v_mov_b32_e32 v1, 0
	global_store_b64 v[8:9], v[0:1], off
.LBB119_1619:
	s_mov_b32 s4, 0
.LBB119_1620:
	s_delay_alu instid0(SALU_CYCLE_1)
	s_and_not1_b32 vcc_lo, exec_lo, s4
	s_cbranch_vccnz .LBB119_1622
; %bb.1621:
	s_wait_loadcnt 0x0
	v_cndmask_b32_e64 v0, 0, 1.0, s6
	s_delay_alu instid0(VALU_DEP_1) | instskip(NEXT) | instid1(VALU_DEP_1)
	v_cvt_f16_f32_e32 v0, v0
	v_and_b32_e32 v0, 0xffff, v0
	global_store_b32 v[8:9], v0, off
.LBB119_1622:
	s_mov_b32 s4, 0
.LBB119_1623:
	s_delay_alu instid0(SALU_CYCLE_1)
	s_and_not1_b32 vcc_lo, exec_lo, s4
	s_cbranch_vccnz .LBB119_1632
; %bb.1624:
	s_sext_i32_i16 s5, s7
	s_mov_b32 s4, -1
	s_cmp_lt_i32 s5, 6
	s_cbranch_scc1 .LBB119_1630
; %bb.1625:
	s_cmp_gt_i32 s5, 6
	s_cbranch_scc0 .LBB119_1627
; %bb.1626:
	s_wait_loadcnt 0x0
	v_cndmask_b32_e64 v0, 0, 1, s6
	s_mov_b32 s4, 0
	s_delay_alu instid0(VALU_DEP_1)
	v_cvt_f64_u32_e32 v[0:1], v0
	global_store_b64 v[8:9], v[0:1], off
.LBB119_1627:
	s_and_not1_b32 vcc_lo, exec_lo, s4
	s_cbranch_vccnz .LBB119_1629
; %bb.1628:
	s_wait_loadcnt 0x0
	v_cndmask_b32_e64 v0, 0, 1.0, s6
	global_store_b32 v[8:9], v0, off
.LBB119_1629:
	s_mov_b32 s4, 0
.LBB119_1630:
	s_delay_alu instid0(SALU_CYCLE_1)
	s_and_not1_b32 vcc_lo, exec_lo, s4
	s_cbranch_vccnz .LBB119_1632
; %bb.1631:
	s_wait_loadcnt 0x0
	v_cndmask_b32_e64 v0, 0, 1.0, s6
	s_delay_alu instid0(VALU_DEP_1)
	v_cvt_f16_f32_e32 v0, v0
	global_store_b16 v[8:9], v0, off
.LBB119_1632:
	s_mov_b32 s4, 0
.LBB119_1633:
	s_delay_alu instid0(SALU_CYCLE_1)
	s_and_not1_b32 vcc_lo, exec_lo, s4
	s_cbranch_vccnz .LBB119_1649
; %bb.1634:
	s_sext_i32_i16 s5, s7
	s_mov_b32 s4, -1
	s_cmp_lt_i32 s5, 2
	s_cbranch_scc1 .LBB119_1644
; %bb.1635:
	s_cmp_lt_i32 s5, 3
	s_cbranch_scc1 .LBB119_1641
; %bb.1636:
	s_cmp_gt_i32 s5, 3
	s_cbranch_scc0 .LBB119_1638
; %bb.1637:
	s_mov_b32 s4, 0
	s_wait_loadcnt 0x0
	v_cndmask_b32_e64 v0, 0, 1, s6
	v_mov_b32_e32 v1, s4
	global_store_b64 v[8:9], v[0:1], off
.LBB119_1638:
	s_and_not1_b32 vcc_lo, exec_lo, s4
	s_cbranch_vccnz .LBB119_1640
; %bb.1639:
	s_wait_loadcnt 0x0
	v_cndmask_b32_e64 v0, 0, 1, s6
	global_store_b32 v[8:9], v0, off
.LBB119_1640:
	s_mov_b32 s4, 0
.LBB119_1641:
	s_delay_alu instid0(SALU_CYCLE_1)
	s_and_not1_b32 vcc_lo, exec_lo, s4
	s_cbranch_vccnz .LBB119_1643
; %bb.1642:
	s_wait_loadcnt 0x0
	v_cndmask_b32_e64 v0, 0, 1, s6
	global_store_b16 v[8:9], v0, off
.LBB119_1643:
	s_mov_b32 s4, 0
.LBB119_1644:
	s_delay_alu instid0(SALU_CYCLE_1)
	s_and_not1_b32 vcc_lo, exec_lo, s4
	s_cbranch_vccnz .LBB119_1649
; %bb.1645:
	s_wait_loadcnt 0x0
	v_cndmask_b32_e64 v0, 0, 1, s6
	s_sext_i32_i16 s4, s7
	s_delay_alu instid0(SALU_CYCLE_1)
	s_cmp_gt_i32 s4, 0
	s_mov_b32 s4, -1
	s_cbranch_scc0 .LBB119_1647
; %bb.1646:
	s_mov_b32 s4, 0
	global_store_b8 v[8:9], v0, off
.LBB119_1647:
	s_and_not1_b32 vcc_lo, exec_lo, s4
	s_cbranch_vccnz .LBB119_1649
; %bb.1648:
	global_store_b8 v[8:9], v0, off
.LBB119_1649:
	s_wait_xcnt 0x0
	s_or_b32 exec_lo, exec_lo, s0
	s_delay_alu instid0(SALU_CYCLE_1)
	s_and_b32 s10, s1, exec_lo
                                        ; implicit-def: $vgpr2
                                        ; implicit-def: $vgpr8
.LBB119_1650:
	s_or_saveexec_b32 s11, s33
	s_mov_b32 s0, 0
                                        ; implicit-def: $sgpr6
                                        ; implicit-def: $vgpr0_vgpr1
                                        ; implicit-def: $sgpr7
	s_xor_b32 exec_lo, exec_lo, s11
	s_cbranch_execz .LBB119_2796
; %bb.1651:
	s_wait_loadcnt 0x0
	v_cndmask_b32_e64 v1, 0, 1, s31
	s_and_not1_b32 vcc_lo, exec_lo, s31
	s_cbranch_vccnz .LBB119_1657
; %bb.1652:
	s_cmp_lg_u32 s28, 0
	s_mov_b32 s4, 0
	s_cbranch_scc0 .LBB119_1661
; %bb.1653:
	s_min_u32 s5, s29, 15
	v_dual_mov_b32 v14, 0 :: v_dual_mov_b32 v3, v8
	v_dual_mov_b32 v0, 0 :: v_dual_mov_b32 v4, 0
	s_add_co_i32 s6, s5, 1
	s_mov_b64 s[0:1], 0xffffffffffffffe8
	s_and_b32 s6, s6, 30
	s_add_nc_u64 s[0:1], s[2:3], s[0:1]
.LBB119_1654:                           ; =>This Inner Loop Header: Depth=1
	s_clause 0x1
	s_load_b128 s[12:15], s[0:1], 0x1c
	s_load_b64 s[8:9], s[0:1], 0x2c
	s_add_co_i32 s6, s6, -2
	s_delay_alu instid0(SALU_CYCLE_1) | instskip(SKIP_2) | instid1(VALU_DEP_1)
	s_cmp_lg_u32 s6, 0
	s_wait_kmcnt 0x0
	v_mul_hi_u32 v5, s13, v3
	v_add_nc_u32_e32 v5, v3, v5
	s_delay_alu instid0(VALU_DEP_1) | instskip(NEXT) | instid1(VALU_DEP_1)
	v_lshrrev_b32_e32 v5, s14, v5
	v_mul_hi_u32 v6, s8, v5
	v_mul_lo_u32 v7, v5, s12
	s_clause 0x1
	s_load_b128 s[16:19], s[0:1], 0xdc
	s_load_b64 s[12:13], s[0:1], 0xec
	s_wait_xcnt 0x0
	s_add_nc_u64 s[0:1], s[0:1], 24
	s_delay_alu instid0(VALU_DEP_1) | instskip(NEXT) | instid1(VALU_DEP_1)
	v_dual_add_nc_u32 v6, v5, v6 :: v_dual_sub_nc_u32 v7, v3, v7
	v_lshrrev_b32_e32 v3, s9, v6
	s_wait_kmcnt 0x0
	s_delay_alu instid0(VALU_DEP_2) | instskip(NEXT) | instid1(VALU_DEP_2)
	v_mad_u32 v9, v7, s16, v14
	v_mul_lo_u32 v6, v3, s15
	v_mad_u32 v4, v7, s18, v4
	v_mad_u32 v0, v7, s17, v0
	s_delay_alu instid0(VALU_DEP_3) | instskip(NEXT) | instid1(VALU_DEP_1)
	v_sub_nc_u32_e32 v5, v5, v6
	v_mad_u32 v14, v5, s19, v9
	s_delay_alu instid0(VALU_DEP_4) | instskip(NEXT) | instid1(VALU_DEP_4)
	v_mad_u32 v4, v5, s13, v4
	v_mad_u32 v0, v5, s12, v0
	s_cbranch_scc1 .LBB119_1654
; %bb.1655:
	s_bitcmp1_b32 s5, 0
	s_cselect_b32 s5, -1, 0
	s_delay_alu instid0(SALU_CYCLE_1)
	s_and_b32 vcc_lo, exec_lo, s5
	s_cbranch_vccnz .LBB119_1658
; %bb.1656:
	s_clause 0x1
	s_load_b96 s[12:14], s[0:1], 0x1c
	s_load_b96 s[16:18], s[0:1], 0xdc
	s_wait_kmcnt 0x0
	v_mul_hi_u32 v5, s13, v3
	s_delay_alu instid0(VALU_DEP_1) | instskip(NEXT) | instid1(VALU_DEP_1)
	v_add_nc_u32_e32 v5, v3, v5
	v_lshrrev_b32_e32 v5, s14, v5
	s_delay_alu instid0(VALU_DEP_1) | instskip(NEXT) | instid1(VALU_DEP_1)
	v_mul_lo_u32 v5, v5, s12
	v_sub_nc_u32_e32 v3, v3, v5
	s_delay_alu instid0(VALU_DEP_1)
	v_mad_u32 v14, v3, s16, v14
	v_mad_u32 v0, v3, s17, v0
	;; [unrolled: 1-line block ×3, first 2 shown]
	s_and_not1_b32 vcc_lo, exec_lo, s4
	s_cbranch_vccz .LBB119_1659
	s_branch .LBB119_1662
.LBB119_1657:
	s_mov_b32 s4, -1
                                        ; implicit-def: $vgpr4
                                        ; implicit-def: $vgpr0
                                        ; implicit-def: $vgpr14
.LBB119_1658:
	s_delay_alu instid0(SALU_CYCLE_1)
	s_and_not1_b32 vcc_lo, exec_lo, s4
	s_cbranch_vccnz .LBB119_1662
.LBB119_1659:
	s_clause 0x1
	s_load_b96 s[4:6], s[2:3], 0x4
	s_load_b96 s[12:14], s[2:3], 0xc4
	s_cmp_lt_u32 s28, 2
	s_wait_kmcnt 0x0
	v_mul_hi_u32 v0, s5, v8
	s_delay_alu instid0(VALU_DEP_1) | instskip(NEXT) | instid1(VALU_DEP_1)
	v_add_nc_u32_e32 v0, v8, v0
	v_lshrrev_b32_e32 v3, s6, v0
	s_delay_alu instid0(VALU_DEP_1) | instskip(NEXT) | instid1(VALU_DEP_1)
	v_mul_lo_u32 v0, v3, s4
	v_sub_nc_u32_e32 v0, v8, v0
	s_delay_alu instid0(VALU_DEP_1)
	v_mul_lo_u32 v14, v0, s12
	v_mul_lo_u32 v4, v0, s14
	;; [unrolled: 1-line block ×3, first 2 shown]
	s_cbranch_scc1 .LBB119_1662
; %bb.1660:
	s_clause 0x1
	s_load_b96 s[4:6], s[2:3], 0x10
	s_load_b96 s[12:14], s[2:3], 0xd0
	s_wait_kmcnt 0x0
	v_mul_hi_u32 v5, s5, v3
	s_delay_alu instid0(VALU_DEP_1) | instskip(NEXT) | instid1(VALU_DEP_1)
	v_add_nc_u32_e32 v5, v3, v5
	v_lshrrev_b32_e32 v5, s6, v5
	s_delay_alu instid0(VALU_DEP_1) | instskip(NEXT) | instid1(VALU_DEP_1)
	v_mul_lo_u32 v5, v5, s4
	v_sub_nc_u32_e32 v3, v3, v5
	s_delay_alu instid0(VALU_DEP_1)
	v_mad_u32 v14, v3, s12, v14
	v_mad_u32 v0, v3, s13, v0
	;; [unrolled: 1-line block ×3, first 2 shown]
	s_branch .LBB119_1662
.LBB119_1661:
	v_dual_mov_b32 v4, 0 :: v_dual_mov_b32 v0, 0
	v_mov_b32_e32 v14, 0
	s_and_not1_b32 vcc_lo, exec_lo, s4
	s_cbranch_vccz .LBB119_1659
.LBB119_1662:
	v_cmp_ne_u32_e32 vcc_lo, 1, v1
	v_add_nc_u32_e32 v3, 0x80, v8
	s_cbranch_vccnz .LBB119_1668
; %bb.1663:
	s_cmp_lg_u32 s28, 0
	s_mov_b32 s4, 0
	s_cbranch_scc0 .LBB119_1672
; %bb.1664:
	s_min_u32 s5, s29, 15
	v_dual_mov_b32 v12, 0 :: v_dual_mov_b32 v5, v3
	v_dual_mov_b32 v26, 0 :: v_dual_mov_b32 v24, 0
	s_add_co_i32 s6, s5, 1
	s_mov_b64 s[0:1], 0xffffffffffffffe8
	s_and_b32 s6, s6, 30
	s_add_nc_u64 s[0:1], s[2:3], s[0:1]
.LBB119_1665:                           ; =>This Inner Loop Header: Depth=1
	s_clause 0x1
	s_load_b128 s[12:15], s[0:1], 0x1c
	s_load_b64 s[8:9], s[0:1], 0x2c
	s_add_co_i32 s6, s6, -2
	s_delay_alu instid0(SALU_CYCLE_1) | instskip(SKIP_2) | instid1(VALU_DEP_1)
	s_cmp_lg_u32 s6, 0
	s_wait_kmcnt 0x0
	v_mul_hi_u32 v6, s13, v5
	v_add_nc_u32_e32 v6, v5, v6
	s_delay_alu instid0(VALU_DEP_1) | instskip(NEXT) | instid1(VALU_DEP_1)
	v_lshrrev_b32_e32 v6, s14, v6
	v_mul_hi_u32 v7, s8, v6
	v_mul_lo_u32 v9, v6, s12
	s_clause 0x1
	s_load_b128 s[16:19], s[0:1], 0xdc
	s_load_b64 s[12:13], s[0:1], 0xec
	s_wait_xcnt 0x0
	s_add_nc_u64 s[0:1], s[0:1], 24
	s_delay_alu instid0(VALU_DEP_1) | instskip(NEXT) | instid1(VALU_DEP_1)
	v_dual_add_nc_u32 v7, v6, v7 :: v_dual_sub_nc_u32 v9, v5, v9
	v_lshrrev_b32_e32 v5, s9, v7
	s_wait_kmcnt 0x0
	s_delay_alu instid0(VALU_DEP_2) | instskip(NEXT) | instid1(VALU_DEP_2)
	v_mad_u32 v10, v9, s16, v12
	v_mul_lo_u32 v7, v5, s15
	v_mad_u32 v11, v9, s18, v24
	v_mad_u32 v9, v9, s17, v26
	s_delay_alu instid0(VALU_DEP_3) | instskip(NEXT) | instid1(VALU_DEP_1)
	v_sub_nc_u32_e32 v6, v6, v7
	v_mad_u32 v12, v6, s19, v10
	s_delay_alu instid0(VALU_DEP_4) | instskip(NEXT) | instid1(VALU_DEP_4)
	v_mad_u32 v24, v6, s13, v11
	v_mad_u32 v26, v6, s12, v9
	s_cbranch_scc1 .LBB119_1665
; %bb.1666:
	s_bitcmp1_b32 s5, 0
	s_cselect_b32 s5, -1, 0
	s_delay_alu instid0(SALU_CYCLE_1)
	s_and_b32 vcc_lo, exec_lo, s5
	s_cbranch_vccnz .LBB119_1669
; %bb.1667:
	s_clause 0x1
	s_load_b96 s[12:14], s[0:1], 0x1c
	s_load_b96 s[16:18], s[0:1], 0xdc
	s_wait_kmcnt 0x0
	v_mul_hi_u32 v6, s13, v5
	s_delay_alu instid0(VALU_DEP_1) | instskip(NEXT) | instid1(VALU_DEP_1)
	v_add_nc_u32_e32 v6, v5, v6
	v_lshrrev_b32_e32 v6, s14, v6
	s_delay_alu instid0(VALU_DEP_1) | instskip(NEXT) | instid1(VALU_DEP_1)
	v_mul_lo_u32 v6, v6, s12
	v_sub_nc_u32_e32 v5, v5, v6
	s_delay_alu instid0(VALU_DEP_1)
	v_mad_u32 v12, v5, s16, v12
	v_mad_u32 v26, v5, s17, v26
	;; [unrolled: 1-line block ×3, first 2 shown]
	s_and_not1_b32 vcc_lo, exec_lo, s4
	s_cbranch_vccz .LBB119_1670
	s_branch .LBB119_1673
.LBB119_1668:
	s_mov_b32 s4, -1
                                        ; implicit-def: $vgpr24
                                        ; implicit-def: $vgpr26
                                        ; implicit-def: $vgpr12
.LBB119_1669:
	s_delay_alu instid0(SALU_CYCLE_1)
	s_and_not1_b32 vcc_lo, exec_lo, s4
	s_cbranch_vccnz .LBB119_1673
.LBB119_1670:
	s_clause 0x1
	s_load_b96 s[4:6], s[2:3], 0x4
	s_load_b96 s[12:14], s[2:3], 0xc4
	s_cmp_lt_u32 s28, 2
	s_wait_kmcnt 0x0
	v_mul_hi_u32 v5, s5, v3
	s_delay_alu instid0(VALU_DEP_1) | instskip(NEXT) | instid1(VALU_DEP_1)
	v_add_nc_u32_e32 v5, v3, v5
	v_lshrrev_b32_e32 v5, s6, v5
	s_delay_alu instid0(VALU_DEP_1) | instskip(NEXT) | instid1(VALU_DEP_1)
	v_mul_lo_u32 v6, v5, s4
	v_sub_nc_u32_e32 v3, v3, v6
	s_delay_alu instid0(VALU_DEP_1)
	v_mul_lo_u32 v12, v3, s12
	v_mul_lo_u32 v24, v3, s14
	v_mul_lo_u32 v26, v3, s13
	s_cbranch_scc1 .LBB119_1673
; %bb.1671:
	s_clause 0x1
	s_load_b96 s[4:6], s[2:3], 0x10
	s_load_b96 s[12:14], s[2:3], 0xd0
	s_wait_kmcnt 0x0
	v_mul_hi_u32 v3, s5, v5
	s_delay_alu instid0(VALU_DEP_1) | instskip(NEXT) | instid1(VALU_DEP_1)
	v_add_nc_u32_e32 v3, v5, v3
	v_lshrrev_b32_e32 v3, s6, v3
	s_delay_alu instid0(VALU_DEP_1) | instskip(NEXT) | instid1(VALU_DEP_1)
	v_mul_lo_u32 v3, v3, s4
	v_sub_nc_u32_e32 v3, v5, v3
	s_delay_alu instid0(VALU_DEP_1)
	v_mad_u32 v12, v3, s12, v12
	v_mad_u32 v26, v3, s13, v26
	;; [unrolled: 1-line block ×3, first 2 shown]
	s_branch .LBB119_1673
.LBB119_1672:
	v_dual_mov_b32 v24, 0 :: v_dual_mov_b32 v26, 0
	v_mov_b32_e32 v12, 0
	s_and_not1_b32 vcc_lo, exec_lo, s4
	s_cbranch_vccz .LBB119_1670
.LBB119_1673:
	v_cmp_ne_u32_e32 vcc_lo, 1, v1
	v_add_nc_u32_e32 v3, 0x100, v8
	s_cbranch_vccnz .LBB119_1679
; %bb.1674:
	s_cmp_lg_u32 s28, 0
	s_mov_b32 s4, 0
	s_cbranch_scc0 .LBB119_1683
; %bb.1675:
	s_min_u32 s5, s29, 15
	v_dual_mov_b32 v10, 0 :: v_dual_mov_b32 v5, v3
	v_dual_mov_b32 v22, 0 :: v_dual_mov_b32 v20, 0
	s_add_co_i32 s6, s5, 1
	s_mov_b64 s[0:1], 0xffffffffffffffe8
	s_and_b32 s6, s6, 30
	s_add_nc_u64 s[0:1], s[2:3], s[0:1]
.LBB119_1676:                           ; =>This Inner Loop Header: Depth=1
	s_clause 0x1
	s_load_b128 s[12:15], s[0:1], 0x1c
	s_load_b64 s[8:9], s[0:1], 0x2c
	s_add_co_i32 s6, s6, -2
	s_delay_alu instid0(SALU_CYCLE_1) | instskip(SKIP_2) | instid1(VALU_DEP_1)
	s_cmp_lg_u32 s6, 0
	s_wait_kmcnt 0x0
	v_mul_hi_u32 v6, s13, v5
	v_add_nc_u32_e32 v6, v5, v6
	s_delay_alu instid0(VALU_DEP_1) | instskip(NEXT) | instid1(VALU_DEP_1)
	v_lshrrev_b32_e32 v6, s14, v6
	v_mul_hi_u32 v7, s8, v6
	v_mul_lo_u32 v8, v6, s12
	s_clause 0x1
	s_load_b128 s[16:19], s[0:1], 0xdc
	s_load_b64 s[12:13], s[0:1], 0xec
	s_wait_xcnt 0x0
	s_add_nc_u64 s[0:1], s[0:1], 24
	s_delay_alu instid0(VALU_DEP_1) | instskip(NEXT) | instid1(VALU_DEP_1)
	v_dual_add_nc_u32 v7, v6, v7 :: v_dual_sub_nc_u32 v8, v5, v8
	v_lshrrev_b32_e32 v5, s9, v7
	s_wait_kmcnt 0x0
	s_delay_alu instid0(VALU_DEP_2) | instskip(NEXT) | instid1(VALU_DEP_2)
	v_mad_u32 v9, v8, s16, v10
	v_mul_lo_u32 v7, v5, s15
	v_mad_u32 v11, v8, s18, v20
	v_mad_u32 v8, v8, s17, v22
	s_delay_alu instid0(VALU_DEP_3) | instskip(NEXT) | instid1(VALU_DEP_1)
	v_sub_nc_u32_e32 v6, v6, v7
	v_mad_u32 v10, v6, s19, v9
	s_delay_alu instid0(VALU_DEP_4) | instskip(NEXT) | instid1(VALU_DEP_4)
	v_mad_u32 v20, v6, s13, v11
	v_mad_u32 v22, v6, s12, v8
	s_cbranch_scc1 .LBB119_1676
; %bb.1677:
	s_bitcmp1_b32 s5, 0
	s_cselect_b32 s5, -1, 0
	s_delay_alu instid0(SALU_CYCLE_1)
	s_and_b32 vcc_lo, exec_lo, s5
	s_cbranch_vccnz .LBB119_1680
; %bb.1678:
	s_clause 0x1
	s_load_b96 s[12:14], s[0:1], 0x1c
	s_load_b96 s[16:18], s[0:1], 0xdc
	s_wait_kmcnt 0x0
	v_mul_hi_u32 v6, s13, v5
	s_delay_alu instid0(VALU_DEP_1) | instskip(NEXT) | instid1(VALU_DEP_1)
	v_add_nc_u32_e32 v6, v5, v6
	v_lshrrev_b32_e32 v6, s14, v6
	s_delay_alu instid0(VALU_DEP_1) | instskip(NEXT) | instid1(VALU_DEP_1)
	v_mul_lo_u32 v6, v6, s12
	v_sub_nc_u32_e32 v5, v5, v6
	s_delay_alu instid0(VALU_DEP_1)
	v_mad_u32 v10, v5, s16, v10
	v_mad_u32 v22, v5, s17, v22
	;; [unrolled: 1-line block ×3, first 2 shown]
	s_and_not1_b32 vcc_lo, exec_lo, s4
	s_cbranch_vccz .LBB119_1681
	s_branch .LBB119_1684
.LBB119_1679:
	s_mov_b32 s4, -1
                                        ; implicit-def: $vgpr20
                                        ; implicit-def: $vgpr22
                                        ; implicit-def: $vgpr10
.LBB119_1680:
	s_delay_alu instid0(SALU_CYCLE_1)
	s_and_not1_b32 vcc_lo, exec_lo, s4
	s_cbranch_vccnz .LBB119_1684
.LBB119_1681:
	s_clause 0x1
	s_load_b96 s[4:6], s[2:3], 0x4
	s_load_b96 s[12:14], s[2:3], 0xc4
	s_cmp_lt_u32 s28, 2
	s_wait_kmcnt 0x0
	v_mul_hi_u32 v5, s5, v3
	s_delay_alu instid0(VALU_DEP_1) | instskip(NEXT) | instid1(VALU_DEP_1)
	v_add_nc_u32_e32 v5, v3, v5
	v_lshrrev_b32_e32 v5, s6, v5
	s_delay_alu instid0(VALU_DEP_1) | instskip(NEXT) | instid1(VALU_DEP_1)
	v_mul_lo_u32 v6, v5, s4
	v_sub_nc_u32_e32 v3, v3, v6
	s_delay_alu instid0(VALU_DEP_1)
	v_mul_lo_u32 v10, v3, s12
	v_mul_lo_u32 v20, v3, s14
	;; [unrolled: 1-line block ×3, first 2 shown]
	s_cbranch_scc1 .LBB119_1684
; %bb.1682:
	s_clause 0x1
	s_load_b96 s[4:6], s[2:3], 0x10
	s_load_b96 s[12:14], s[2:3], 0xd0
	s_wait_kmcnt 0x0
	v_mul_hi_u32 v3, s5, v5
	s_delay_alu instid0(VALU_DEP_1) | instskip(NEXT) | instid1(VALU_DEP_1)
	v_add_nc_u32_e32 v3, v5, v3
	v_lshrrev_b32_e32 v3, s6, v3
	s_delay_alu instid0(VALU_DEP_1) | instskip(NEXT) | instid1(VALU_DEP_1)
	v_mul_lo_u32 v3, v3, s4
	v_sub_nc_u32_e32 v3, v5, v3
	s_delay_alu instid0(VALU_DEP_1)
	v_mad_u32 v10, v3, s12, v10
	v_mad_u32 v22, v3, s13, v22
	;; [unrolled: 1-line block ×3, first 2 shown]
	s_branch .LBB119_1684
.LBB119_1683:
	v_dual_mov_b32 v20, 0 :: v_dual_mov_b32 v22, 0
	v_mov_b32_e32 v10, 0
	s_and_not1_b32 vcc_lo, exec_lo, s4
	s_cbranch_vccz .LBB119_1681
.LBB119_1684:
	v_cmp_ne_u32_e32 vcc_lo, 1, v1
	s_cbranch_vccnz .LBB119_1690
; %bb.1685:
	s_cmp_lg_u32 s28, 0
	s_mov_b32 s4, 0
	s_cbranch_scc0 .LBB119_1694
; %bb.1686:
	s_min_u32 s5, s29, 15
	v_dual_mov_b32 v8, 0 :: v_dual_mov_b32 v1, v2
	v_dual_mov_b32 v18, 0 :: v_dual_mov_b32 v16, 0
	s_add_co_i32 s6, s5, 1
	s_mov_b64 s[0:1], 0xffffffffffffffe8
	s_and_b32 s6, s6, 30
	s_add_nc_u64 s[0:1], s[2:3], s[0:1]
.LBB119_1687:                           ; =>This Inner Loop Header: Depth=1
	s_clause 0x1
	s_load_b128 s[12:15], s[0:1], 0x1c
	s_load_b64 s[8:9], s[0:1], 0x2c
	s_add_co_i32 s6, s6, -2
	s_delay_alu instid0(SALU_CYCLE_1) | instskip(SKIP_2) | instid1(VALU_DEP_1)
	s_cmp_lg_u32 s6, 0
	s_wait_kmcnt 0x0
	v_mul_hi_u32 v3, s13, v1
	v_add_nc_u32_e32 v3, v1, v3
	s_delay_alu instid0(VALU_DEP_1) | instskip(NEXT) | instid1(VALU_DEP_1)
	v_lshrrev_b32_e32 v3, s14, v3
	v_mul_hi_u32 v5, s8, v3
	v_mul_lo_u32 v6, v3, s12
	s_clause 0x1
	s_load_b128 s[16:19], s[0:1], 0xdc
	s_load_b64 s[12:13], s[0:1], 0xec
	s_wait_xcnt 0x0
	s_add_nc_u64 s[0:1], s[0:1], 24
	s_delay_alu instid0(VALU_DEP_1) | instskip(NEXT) | instid1(VALU_DEP_1)
	v_dual_add_nc_u32 v5, v3, v5 :: v_dual_sub_nc_u32 v6, v1, v6
	v_lshrrev_b32_e32 v1, s9, v5
	s_wait_kmcnt 0x0
	s_delay_alu instid0(VALU_DEP_2) | instskip(NEXT) | instid1(VALU_DEP_2)
	v_mad_u32 v7, v6, s16, v8
	v_mul_lo_u32 v5, v1, s15
	v_mad_u32 v9, v6, s18, v16
	v_mad_u32 v6, v6, s17, v18
	s_delay_alu instid0(VALU_DEP_3) | instskip(NEXT) | instid1(VALU_DEP_1)
	v_sub_nc_u32_e32 v3, v3, v5
	v_mad_u32 v8, v3, s19, v7
	s_delay_alu instid0(VALU_DEP_4) | instskip(NEXT) | instid1(VALU_DEP_4)
	v_mad_u32 v16, v3, s13, v9
	v_mad_u32 v18, v3, s12, v6
	s_cbranch_scc1 .LBB119_1687
; %bb.1688:
	s_bitcmp1_b32 s5, 0
	s_cselect_b32 s5, -1, 0
	s_delay_alu instid0(SALU_CYCLE_1)
	s_and_b32 vcc_lo, exec_lo, s5
	s_cbranch_vccnz .LBB119_1691
; %bb.1689:
	s_clause 0x1
	s_load_b96 s[12:14], s[0:1], 0x1c
	s_load_b96 s[16:18], s[0:1], 0xdc
	s_wait_kmcnt 0x0
	v_mul_hi_u32 v3, s13, v1
	s_delay_alu instid0(VALU_DEP_1) | instskip(NEXT) | instid1(VALU_DEP_1)
	v_add_nc_u32_e32 v3, v1, v3
	v_lshrrev_b32_e32 v3, s14, v3
	s_delay_alu instid0(VALU_DEP_1) | instskip(NEXT) | instid1(VALU_DEP_1)
	v_mul_lo_u32 v3, v3, s12
	v_sub_nc_u32_e32 v1, v1, v3
	s_delay_alu instid0(VALU_DEP_1)
	v_mad_u32 v8, v1, s16, v8
	v_mad_u32 v18, v1, s17, v18
	;; [unrolled: 1-line block ×3, first 2 shown]
	s_and_not1_b32 vcc_lo, exec_lo, s4
	s_cbranch_vccz .LBB119_1692
	s_branch .LBB119_1695
.LBB119_1690:
	s_mov_b32 s4, -1
                                        ; implicit-def: $vgpr16
                                        ; implicit-def: $vgpr18
                                        ; implicit-def: $vgpr8
.LBB119_1691:
	s_delay_alu instid0(SALU_CYCLE_1)
	s_and_not1_b32 vcc_lo, exec_lo, s4
	s_cbranch_vccnz .LBB119_1695
.LBB119_1692:
	s_clause 0x1
	s_load_b96 s[4:6], s[2:3], 0x4
	s_load_b96 s[12:14], s[2:3], 0xc4
	s_cmp_lt_u32 s28, 2
	s_wait_kmcnt 0x0
	v_mul_hi_u32 v1, s5, v2
	s_delay_alu instid0(VALU_DEP_1) | instskip(NEXT) | instid1(VALU_DEP_1)
	v_add_nc_u32_e32 v1, v2, v1
	v_lshrrev_b32_e32 v1, s6, v1
	s_delay_alu instid0(VALU_DEP_1) | instskip(NEXT) | instid1(VALU_DEP_1)
	v_mul_lo_u32 v3, v1, s4
	v_sub_nc_u32_e32 v2, v2, v3
	s_delay_alu instid0(VALU_DEP_1)
	v_mul_lo_u32 v8, v2, s12
	v_mul_lo_u32 v16, v2, s14
	;; [unrolled: 1-line block ×3, first 2 shown]
	s_cbranch_scc1 .LBB119_1695
; %bb.1693:
	s_clause 0x1
	s_load_b96 s[4:6], s[2:3], 0x10
	s_load_b96 s[12:14], s[2:3], 0xd0
	s_wait_kmcnt 0x0
	v_mul_hi_u32 v2, s5, v1
	s_delay_alu instid0(VALU_DEP_1) | instskip(NEXT) | instid1(VALU_DEP_1)
	v_add_nc_u32_e32 v2, v1, v2
	v_lshrrev_b32_e32 v2, s6, v2
	s_delay_alu instid0(VALU_DEP_1) | instskip(NEXT) | instid1(VALU_DEP_1)
	v_mul_lo_u32 v2, v2, s4
	v_sub_nc_u32_e32 v1, v1, v2
	s_delay_alu instid0(VALU_DEP_1)
	v_mad_u32 v8, v1, s12, v8
	v_mad_u32 v18, v1, s13, v18
	;; [unrolled: 1-line block ×3, first 2 shown]
	s_branch .LBB119_1695
.LBB119_1694:
	v_dual_mov_b32 v16, 0 :: v_dual_mov_b32 v18, 0
	v_mov_b32_e32 v8, 0
	s_and_not1_b32 vcc_lo, exec_lo, s4
	s_cbranch_vccz .LBB119_1692
.LBB119_1695:
	v_mov_b32_e32 v1, 0
	s_load_b128 s[4:7], s[2:3], 0x188
	global_load_u8 v2, v1, s[2:3] offset:421
	s_wait_kmcnt 0x0
	v_add_nc_u64_e32 v[6:7], s[6:7], v[0:1]
	s_wait_loadcnt 0x0
	v_and_b32_e32 v3, 0xffff, v2
	v_readfirstlane_b32 s14, v2
	s_delay_alu instid0(VALU_DEP_2)
	v_cmp_gt_i32_e32 vcc_lo, 11, v3
	s_cbranch_vccnz .LBB119_1702
; %bb.1696:
	s_and_b32 s0, 0xffff, s14
	s_mov_b32 s8, 0
	s_cmp_gt_i32 s0, 25
	s_cbranch_scc0 .LBB119_1704
; %bb.1697:
	s_cmp_gt_i32 s0, 28
	s_cbranch_scc0 .LBB119_1705
; %bb.1698:
	;; [unrolled: 3-line block ×4, first 2 shown]
	s_cmp_eq_u32 s0, 46
	s_mov_b32 s12, 0
	s_cbranch_scc0 .LBB119_1710
; %bb.1701:
	global_load_b32 v0, v[6:7], off
	s_mov_b32 s1, 0
	s_mov_b32 s9, -1
	s_wait_loadcnt 0x0
	s_wait_xcnt 0x1
	v_lshlrev_b32_e32 v1, 16, v0
	v_and_b32_e32 v2, 0xffff0000, v0
	s_delay_alu instid0(VALU_DEP_2) | instskip(NEXT) | instid1(VALU_DEP_2)
	v_cvt_f64_f32_e32 v[0:1], v1
	v_cvt_f64_f32_e32 v[2:3], v2
	s_branch .LBB119_1712
.LBB119_1702:
	s_mov_b32 s9, 0
	s_mov_b32 s1, s10
                                        ; implicit-def: $vgpr2_vgpr3
	s_cbranch_execnz .LBB119_1778
.LBB119_1703:
	s_and_not1_b32 vcc_lo, exec_lo, s9
	s_cbranch_vccz .LBB119_1825
	s_branch .LBB119_2793
.LBB119_1704:
	s_mov_b32 s9, 0
	s_mov_b32 s1, 0
                                        ; implicit-def: $vgpr2_vgpr3
	s_cbranch_execnz .LBB119_1742
	s_branch .LBB119_1774
.LBB119_1705:
	s_mov_b32 s9, 0
	s_mov_b32 s1, 0
                                        ; implicit-def: $vgpr2_vgpr3
	s_cbranch_execnz .LBB119_1724
	s_branch .LBB119_1741
.LBB119_1706:
	s_mov_b32 s12, -1
	s_mov_b32 s9, 0
	s_mov_b32 s1, 0
                                        ; implicit-def: $vgpr2_vgpr3
	s_branch .LBB119_1718
.LBB119_1707:
	s_mov_b32 s12, -1
	s_mov_b32 s9, 0
	s_mov_b32 s1, 0
	s_branch .LBB119_1711
.LBB119_1708:
	s_and_not1_saveexec_b32 s10, s10
	s_cbranch_execz .LBB119_1563
.LBB119_1709:
	v_add_f32_e32 v0, 0x46000000, v1
	s_and_not1_b32 s9, s9, exec_lo
	s_delay_alu instid0(VALU_DEP_1) | instskip(NEXT) | instid1(VALU_DEP_1)
	v_and_b32_e32 v0, 0xff, v0
	v_cmp_ne_u32_e32 vcc_lo, 0, v0
	s_and_b32 s11, vcc_lo, exec_lo
	s_delay_alu instid0(SALU_CYCLE_1)
	s_or_b32 s9, s9, s11
	s_or_b32 exec_lo, exec_lo, s10
	v_mov_b32_e32 v2, 0
	s_and_saveexec_b32 s10, s9
	s_cbranch_execnz .LBB119_1564
	s_branch .LBB119_1565
.LBB119_1710:
	s_mov_b32 s1, -1
	s_mov_b32 s9, 0
.LBB119_1711:
                                        ; implicit-def: $vgpr2_vgpr3
.LBB119_1712:
	s_and_b32 vcc_lo, exec_lo, s12
	s_cbranch_vccz .LBB119_1717
; %bb.1713:
	s_cmp_eq_u32 s0, 44
	s_cbranch_scc0 .LBB119_1715
; %bb.1714:
	global_load_u8 v2, v[6:7], off
	s_mov_b32 s1, 0
	s_mov_b32 s9, -1
	s_wait_loadcnt 0x0
	v_cmp_ne_u32_e32 vcc_lo, 0xff, v2
	v_lshlrev_b32_e32 v0, 23, v2
	s_wait_xcnt 0x1
	s_delay_alu instid0(VALU_DEP_1) | instskip(NEXT) | instid1(VALU_DEP_1)
	v_cvt_f64_f32_e32 v[0:1], v0
	v_cndmask_b32_e32 v0, 0x20000000, v0, vcc_lo
	s_delay_alu instid0(VALU_DEP_2) | instskip(SKIP_1) | instid1(VALU_DEP_2)
	v_cndmask_b32_e32 v1, 0x7ff80000, v1, vcc_lo
	v_cmp_ne_u32_e32 vcc_lo, 0, v2
	v_cndmask_b32_e32 v1, 0x38000000, v1, vcc_lo
	s_delay_alu instid0(VALU_DEP_4)
	v_cndmask_b32_e32 v0, 0, v0, vcc_lo
	s_branch .LBB119_1716
.LBB119_1715:
	s_mov_b32 s1, -1
                                        ; implicit-def: $vgpr0_vgpr1
.LBB119_1716:
	v_mov_b64_e32 v[2:3], 0
.LBB119_1717:
	s_mov_b32 s12, 0
.LBB119_1718:
	s_delay_alu instid0(SALU_CYCLE_1)
	s_and_b32 vcc_lo, exec_lo, s12
	s_cbranch_vccz .LBB119_1723
; %bb.1719:
	s_cmp_eq_u32 s0, 29
	s_cbranch_scc0 .LBB119_1721
; %bb.1720:
	global_load_b64 v[0:1], v[6:7], off
	s_mov_b32 s1, 0
	s_mov_b32 s9, -1
	s_wait_loadcnt 0x0
	v_cvt_f64_u32_e32 v[2:3], v1
	v_cvt_f64_u32_e32 v[0:1], v0
	s_delay_alu instid0(VALU_DEP_2) | instskip(NEXT) | instid1(VALU_DEP_1)
	v_ldexp_f64 v[2:3], v[2:3], 32
	v_add_f64_e32 v[0:1], v[2:3], v[0:1]
	s_branch .LBB119_1722
.LBB119_1721:
	s_mov_b32 s1, -1
                                        ; implicit-def: $vgpr0_vgpr1
.LBB119_1722:
	v_mov_b64_e32 v[2:3], 0
.LBB119_1723:
	s_branch .LBB119_1741
.LBB119_1724:
	s_cmp_lt_i32 s0, 27
	s_cbranch_scc1 .LBB119_1727
; %bb.1725:
	s_cmp_gt_i32 s0, 27
	s_cbranch_scc0 .LBB119_1728
; %bb.1726:
	global_load_b32 v0, v[6:7], off
	s_mov_b32 s9, 0
	s_wait_loadcnt 0x0
	s_wait_xcnt 0x1
	v_cvt_f64_u32_e32 v[0:1], v0
	s_branch .LBB119_1729
.LBB119_1727:
	s_mov_b32 s9, -1
                                        ; implicit-def: $vgpr0_vgpr1
	s_branch .LBB119_1732
.LBB119_1728:
	s_mov_b32 s9, -1
                                        ; implicit-def: $vgpr0_vgpr1
.LBB119_1729:
	s_delay_alu instid0(SALU_CYCLE_1)
	s_and_not1_b32 vcc_lo, exec_lo, s9
	s_cbranch_vccnz .LBB119_1731
; %bb.1730:
	global_load_u16 v0, v[6:7], off
	s_wait_loadcnt 0x0
	s_wait_xcnt 0x1
	v_cvt_f64_u32_e32 v[0:1], v0
.LBB119_1731:
	s_mov_b32 s9, 0
.LBB119_1732:
	s_delay_alu instid0(SALU_CYCLE_1)
	s_and_not1_b32 vcc_lo, exec_lo, s9
	s_cbranch_vccnz .LBB119_1740
; %bb.1733:
	global_load_u8 v2, v[6:7], off
	s_mov_b32 s9, 0
	s_mov_b32 s12, exec_lo
	s_wait_loadcnt 0x0
	v_cmpx_lt_i16_e32 0x7f, v2
	s_xor_b32 s12, exec_lo, s12
	s_cbranch_execz .LBB119_1753
; %bb.1734:
	s_mov_b32 s9, -1
	s_mov_b32 s13, exec_lo
	v_cmpx_eq_u16_e32 0x80, v2
; %bb.1735:
	s_xor_b32 s9, exec_lo, -1
; %bb.1736:
	s_or_b32 exec_lo, exec_lo, s13
	s_delay_alu instid0(SALU_CYCLE_1)
	s_and_b32 s9, s9, exec_lo
	s_or_saveexec_b32 s12, s12
	v_mov_b64_e32 v[0:1], 0x7ff8000020000000
	s_xor_b32 exec_lo, exec_lo, s12
	s_cbranch_execnz .LBB119_1754
.LBB119_1737:
	s_or_b32 exec_lo, exec_lo, s12
	s_and_saveexec_b32 s12, s9
	s_cbranch_execz .LBB119_1739
.LBB119_1738:
	v_and_b32_e32 v0, 0xffff, v2
	s_delay_alu instid0(VALU_DEP_1) | instskip(SKIP_1) | instid1(VALU_DEP_2)
	v_and_b32_e32 v1, 7, v0
	v_bfe_u32 v9, v0, 3, 4
	v_clz_i32_u32_e32 v3, v1
	s_delay_alu instid0(VALU_DEP_2) | instskip(NEXT) | instid1(VALU_DEP_2)
	v_cmp_eq_u32_e32 vcc_lo, 0, v9
	v_min_u32_e32 v3, 32, v3
	s_delay_alu instid0(VALU_DEP_1) | instskip(NEXT) | instid1(VALU_DEP_1)
	v_subrev_nc_u32_e32 v5, 28, v3
	v_dual_lshlrev_b32 v0, v5, v0 :: v_dual_sub_nc_u32 v3, 29, v3
	s_delay_alu instid0(VALU_DEP_1) | instskip(NEXT) | instid1(VALU_DEP_2)
	v_dual_lshlrev_b32 v2, 24, v2 :: v_dual_bitop2_b32 v0, 7, v0 bitop3:0x40
	v_cndmask_b32_e32 v3, v9, v3, vcc_lo
	s_delay_alu instid0(VALU_DEP_2) | instskip(NEXT) | instid1(VALU_DEP_3)
	v_cndmask_b32_e32 v0, v1, v0, vcc_lo
	v_and_b32_e32 v1, 0x80000000, v2
	s_delay_alu instid0(VALU_DEP_3) | instskip(NEXT) | instid1(VALU_DEP_3)
	v_lshl_add_u32 v2, v3, 23, 0x3b800000
	v_lshlrev_b32_e32 v0, 20, v0
	s_delay_alu instid0(VALU_DEP_1) | instskip(NEXT) | instid1(VALU_DEP_1)
	v_or3_b32 v0, v1, v2, v0
	v_cvt_f64_f32_e32 v[0:1], v0
.LBB119_1739:
	s_or_b32 exec_lo, exec_lo, s12
.LBB119_1740:
	v_mov_b64_e32 v[2:3], 0
	s_mov_b32 s9, -1
.LBB119_1741:
	s_branch .LBB119_1774
.LBB119_1742:
	s_cmp_gt_i32 s0, 22
	s_cbranch_scc0 .LBB119_1752
; %bb.1743:
	s_cmp_lt_i32 s0, 24
	s_cbranch_scc1 .LBB119_1755
; %bb.1744:
	s_cmp_gt_i32 s0, 24
	s_cbranch_scc0 .LBB119_1756
; %bb.1745:
	global_load_u8 v2, v[6:7], off
	s_mov_b32 s9, exec_lo
	s_wait_loadcnt 0x0
	v_cmpx_lt_i16_e32 0x7f, v2
	s_xor_b32 s9, exec_lo, s9
	s_cbranch_execz .LBB119_1767
; %bb.1746:
	s_mov_b32 s8, -1
	s_mov_b32 s12, exec_lo
	v_cmpx_eq_u16_e32 0x80, v2
; %bb.1747:
	s_xor_b32 s8, exec_lo, -1
; %bb.1748:
	s_or_b32 exec_lo, exec_lo, s12
	s_delay_alu instid0(SALU_CYCLE_1)
	s_and_b32 s8, s8, exec_lo
	s_or_saveexec_b32 s9, s9
	v_mov_b64_e32 v[0:1], 0x7ff8000020000000
	s_xor_b32 exec_lo, exec_lo, s9
	s_cbranch_execnz .LBB119_1768
.LBB119_1749:
	s_or_b32 exec_lo, exec_lo, s9
	s_and_saveexec_b32 s9, s8
	s_cbranch_execz .LBB119_1751
.LBB119_1750:
	v_and_b32_e32 v0, 0xffff, v2
	s_delay_alu instid0(VALU_DEP_1) | instskip(SKIP_1) | instid1(VALU_DEP_2)
	v_and_b32_e32 v1, 3, v0
	v_bfe_u32 v9, v0, 2, 5
	v_clz_i32_u32_e32 v3, v1
	s_delay_alu instid0(VALU_DEP_2) | instskip(NEXT) | instid1(VALU_DEP_2)
	v_cmp_eq_u32_e32 vcc_lo, 0, v9
	v_min_u32_e32 v3, 32, v3
	s_delay_alu instid0(VALU_DEP_1) | instskip(NEXT) | instid1(VALU_DEP_1)
	v_subrev_nc_u32_e32 v5, 29, v3
	v_dual_lshlrev_b32 v0, v5, v0 :: v_dual_sub_nc_u32 v3, 30, v3
	s_delay_alu instid0(VALU_DEP_1) | instskip(NEXT) | instid1(VALU_DEP_2)
	v_dual_lshlrev_b32 v2, 24, v2 :: v_dual_bitop2_b32 v0, 3, v0 bitop3:0x40
	v_cndmask_b32_e32 v3, v9, v3, vcc_lo
	s_delay_alu instid0(VALU_DEP_2) | instskip(NEXT) | instid1(VALU_DEP_3)
	v_cndmask_b32_e32 v0, v1, v0, vcc_lo
	v_and_b32_e32 v1, 0x80000000, v2
	s_delay_alu instid0(VALU_DEP_3) | instskip(NEXT) | instid1(VALU_DEP_3)
	v_lshl_add_u32 v2, v3, 23, 0x37800000
	v_lshlrev_b32_e32 v0, 21, v0
	s_delay_alu instid0(VALU_DEP_1) | instskip(NEXT) | instid1(VALU_DEP_1)
	v_or3_b32 v0, v1, v2, v0
	v_cvt_f64_f32_e32 v[0:1], v0
.LBB119_1751:
	s_or_b32 exec_lo, exec_lo, s9
	s_mov_b32 s8, 0
	s_branch .LBB119_1757
.LBB119_1752:
                                        ; implicit-def: $vgpr0_vgpr1
	s_mov_b32 s8, 0
	s_branch .LBB119_1763
.LBB119_1753:
	s_or_saveexec_b32 s12, s12
	v_mov_b64_e32 v[0:1], 0x7ff8000020000000
	s_xor_b32 exec_lo, exec_lo, s12
	s_cbranch_execz .LBB119_1737
.LBB119_1754:
	v_cmp_ne_u16_e32 vcc_lo, 0, v2
	v_mov_b64_e32 v[0:1], 0
	s_and_not1_b32 s9, s9, exec_lo
	s_and_b32 s13, vcc_lo, exec_lo
	s_delay_alu instid0(SALU_CYCLE_1)
	s_or_b32 s9, s9, s13
	s_or_b32 exec_lo, exec_lo, s12
	s_and_saveexec_b32 s12, s9
	s_cbranch_execnz .LBB119_1738
	s_branch .LBB119_1739
.LBB119_1755:
	s_mov_b32 s8, -1
                                        ; implicit-def: $vgpr0_vgpr1
	s_branch .LBB119_1760
.LBB119_1756:
	s_mov_b32 s8, -1
                                        ; implicit-def: $vgpr0_vgpr1
.LBB119_1757:
	s_delay_alu instid0(SALU_CYCLE_1)
	s_and_b32 vcc_lo, exec_lo, s8
	s_cbranch_vccz .LBB119_1759
; %bb.1758:
	global_load_u8 v0, v[6:7], off
	s_wait_loadcnt 0x0
	v_lshlrev_b32_e32 v0, 24, v0
	s_wait_xcnt 0x1
	s_delay_alu instid0(VALU_DEP_1) | instskip(NEXT) | instid1(VALU_DEP_1)
	v_and_b32_e32 v1, 0x7f000000, v0
	v_clz_i32_u32_e32 v2, v1
	v_add_nc_u32_e32 v5, 0x1000000, v1
	v_cmp_ne_u32_e32 vcc_lo, 0, v1
	s_delay_alu instid0(VALU_DEP_3) | instskip(NEXT) | instid1(VALU_DEP_1)
	v_min_u32_e32 v2, 32, v2
	v_sub_nc_u32_e64 v2, v2, 4 clamp
	s_delay_alu instid0(VALU_DEP_1) | instskip(NEXT) | instid1(VALU_DEP_1)
	v_dual_lshlrev_b32 v3, v2, v1 :: v_dual_lshlrev_b32 v2, 23, v2
	v_lshrrev_b32_e32 v3, 4, v3
	s_delay_alu instid0(VALU_DEP_1) | instskip(NEXT) | instid1(VALU_DEP_1)
	v_dual_sub_nc_u32 v2, v3, v2 :: v_dual_ashrrev_i32 v3, 8, v5
	v_add_nc_u32_e32 v2, 0x3c000000, v2
	s_delay_alu instid0(VALU_DEP_1) | instskip(NEXT) | instid1(VALU_DEP_1)
	v_and_or_b32 v2, 0x7f800000, v3, v2
	v_cndmask_b32_e32 v1, 0, v2, vcc_lo
	s_delay_alu instid0(VALU_DEP_1) | instskip(NEXT) | instid1(VALU_DEP_1)
	v_and_or_b32 v0, 0x80000000, v0, v1
	v_cvt_f64_f32_e32 v[0:1], v0
.LBB119_1759:
	s_mov_b32 s8, 0
.LBB119_1760:
	s_delay_alu instid0(SALU_CYCLE_1)
	s_and_not1_b32 vcc_lo, exec_lo, s8
	s_cbranch_vccnz .LBB119_1762
; %bb.1761:
	global_load_u8 v0, v[6:7], off
	s_wait_loadcnt 0x0
	s_wait_xcnt 0x1
	v_lshlrev_b32_e32 v1, 25, v0
	v_lshlrev_b16 v0, 8, v0
	s_delay_alu instid0(VALU_DEP_1) | instskip(SKIP_1) | instid1(VALU_DEP_2)
	v_and_or_b32 v3, 0x7f00, v0, 0.5
	v_bfe_i32 v0, v0, 0, 16
	v_dual_add_f32 v3, -0.5, v3 :: v_dual_lshrrev_b32 v2, 4, v1
	v_cmp_gt_u32_e32 vcc_lo, 0x8000000, v1
	s_delay_alu instid0(VALU_DEP_2) | instskip(NEXT) | instid1(VALU_DEP_1)
	v_or_b32_e32 v2, 0x70000000, v2
	v_mul_f32_e32 v2, 0x7800000, v2
	s_delay_alu instid0(VALU_DEP_1) | instskip(NEXT) | instid1(VALU_DEP_1)
	v_cndmask_b32_e32 v1, v2, v3, vcc_lo
	v_and_or_b32 v0, 0x80000000, v0, v1
	s_delay_alu instid0(VALU_DEP_1)
	v_cvt_f64_f32_e32 v[0:1], v0
.LBB119_1762:
	s_mov_b32 s9, -1
	s_mov_b32 s8, 0
	s_cbranch_execnz .LBB119_1773
.LBB119_1763:
	s_cmp_gt_i32 s0, 14
	s_cbranch_scc0 .LBB119_1766
; %bb.1764:
	s_cmp_eq_u32 s0, 15
	s_cbranch_scc0 .LBB119_1769
; %bb.1765:
	global_load_u16 v0, v[6:7], off
	s_mov_b32 s1, 0
	s_mov_b32 s9, -1
	s_wait_loadcnt 0x0
	v_lshlrev_b32_e32 v0, 16, v0
	s_wait_xcnt 0x1
	s_delay_alu instid0(VALU_DEP_1)
	v_cvt_f64_f32_e32 v[0:1], v0
	s_branch .LBB119_1771
.LBB119_1766:
	s_mov_b32 s8, -1
	s_branch .LBB119_1770
.LBB119_1767:
	s_or_saveexec_b32 s9, s9
	v_mov_b64_e32 v[0:1], 0x7ff8000020000000
	s_xor_b32 exec_lo, exec_lo, s9
	s_cbranch_execz .LBB119_1749
.LBB119_1768:
	v_cmp_ne_u16_e32 vcc_lo, 0, v2
	v_mov_b64_e32 v[0:1], 0
	s_and_not1_b32 s8, s8, exec_lo
	s_and_b32 s12, vcc_lo, exec_lo
	s_delay_alu instid0(SALU_CYCLE_1)
	s_or_b32 s8, s8, s12
	s_or_b32 exec_lo, exec_lo, s9
	s_and_saveexec_b32 s9, s8
	s_cbranch_execnz .LBB119_1750
	s_branch .LBB119_1751
.LBB119_1769:
	s_mov_b32 s1, -1
.LBB119_1770:
                                        ; implicit-def: $vgpr0_vgpr1
.LBB119_1771:
	s_and_b32 vcc_lo, exec_lo, s8
	s_mov_b32 s8, 0
	s_cbranch_vccz .LBB119_1773
; %bb.1772:
	s_cmp_lg_u32 s0, 11
	s_mov_b32 s8, -1
	s_cselect_b32 s1, -1, 0
.LBB119_1773:
	v_mov_b64_e32 v[2:3], 0
.LBB119_1774:
	s_and_b32 vcc_lo, exec_lo, s1
	s_mov_b32 s1, s10
	s_cbranch_vccnz .LBB119_1837
; %bb.1775:
	s_and_not1_b32 vcc_lo, exec_lo, s8
	s_cbranch_vccnz .LBB119_1777
.LBB119_1776:
	global_load_u8 v0, v[6:7], off
	v_mov_b64_e32 v[2:3], 0
	s_mov_b32 s9, -1
	s_wait_loadcnt 0x0
	v_cmp_ne_u16_e32 vcc_lo, 0, v0
	v_mov_b32_e32 v0, 0
	s_wait_xcnt 0x1
	v_cndmask_b32_e64 v1, 0, 0x3ff00000, vcc_lo
.LBB119_1777:
	s_branch .LBB119_1703
.LBB119_1778:
	s_and_b32 s0, 0xffff, s14
	s_delay_alu instid0(SALU_CYCLE_1)
	s_cmp_lt_i32 s0, 5
	s_cbranch_scc1 .LBB119_1783
; %bb.1779:
	s_cmp_lt_i32 s0, 8
	s_cbranch_scc1 .LBB119_1785
; %bb.1780:
	;; [unrolled: 3-line block ×3, first 2 shown]
	s_cmp_gt_i32 s0, 9
	s_cbranch_scc0 .LBB119_1787
; %bb.1782:
	global_load_b128 v[0:3], v[6:7], off
	s_mov_b32 s8, 0
	s_branch .LBB119_1788
.LBB119_1783:
                                        ; implicit-def: $vgpr2_vgpr3
	s_branch .LBB119_1806
.LBB119_1784:
	s_branch .LBB119_1825
.LBB119_1785:
                                        ; implicit-def: $vgpr2_vgpr3
	s_branch .LBB119_1794
.LBB119_1786:
	s_mov_b32 s8, -1
                                        ; implicit-def: $vgpr2_vgpr3
	s_branch .LBB119_1791
.LBB119_1787:
	s_mov_b32 s8, -1
                                        ; implicit-def: $vgpr2_vgpr3
.LBB119_1788:
	s_delay_alu instid0(SALU_CYCLE_1)
	s_and_not1_b32 vcc_lo, exec_lo, s8
	s_cbranch_vccnz .LBB119_1790
; %bb.1789:
	s_wait_loadcnt 0x0
	global_load_b64 v[2:3], v[6:7], off
	s_wait_loadcnt 0x0
	s_wait_xcnt 0x1
	v_cvt_f64_f32_e32 v[0:1], v2
	v_cvt_f64_f32_e32 v[2:3], v3
.LBB119_1790:
	s_mov_b32 s8, 0
.LBB119_1791:
	s_delay_alu instid0(SALU_CYCLE_1)
	s_and_not1_b32 vcc_lo, exec_lo, s8
	s_cbranch_vccnz .LBB119_1793
; %bb.1792:
	s_wait_loadcnt 0x0
	global_load_b32 v0, v[6:7], off
	s_wait_loadcnt 0x0
	s_wait_xcnt 0x1
	v_lshrrev_b32_e32 v1, 16, v0
	v_cvt_f32_f16_e32 v0, v0
	s_delay_alu instid0(VALU_DEP_2) | instskip(NEXT) | instid1(VALU_DEP_2)
	v_cvt_f32_f16_e32 v2, v1
	v_cvt_f64_f32_e32 v[0:1], v0
	s_delay_alu instid0(VALU_DEP_2)
	v_cvt_f64_f32_e32 v[2:3], v2
.LBB119_1793:
	s_cbranch_execnz .LBB119_1805
.LBB119_1794:
	s_cmp_lt_i32 s0, 6
	s_cbranch_scc1 .LBB119_1797
; %bb.1795:
	s_cmp_gt_i32 s0, 6
	s_cbranch_scc0 .LBB119_1798
; %bb.1796:
	s_wait_loadcnt 0x0
	global_load_b64 v[0:1], v[6:7], off
	s_mov_b32 s8, 0
	s_branch .LBB119_1799
.LBB119_1797:
	s_mov_b32 s8, -1
                                        ; implicit-def: $vgpr0_vgpr1
	s_branch .LBB119_1802
.LBB119_1798:
	s_mov_b32 s8, -1
                                        ; implicit-def: $vgpr0_vgpr1
.LBB119_1799:
	s_delay_alu instid0(SALU_CYCLE_1)
	s_and_not1_b32 vcc_lo, exec_lo, s8
	s_cbranch_vccnz .LBB119_1801
; %bb.1800:
	s_wait_loadcnt 0x0
	global_load_b32 v0, v[6:7], off
	s_wait_loadcnt 0x0
	s_wait_xcnt 0x1
	v_cvt_f64_f32_e32 v[0:1], v0
.LBB119_1801:
	s_mov_b32 s8, 0
.LBB119_1802:
	s_delay_alu instid0(SALU_CYCLE_1)
	s_and_not1_b32 vcc_lo, exec_lo, s8
	s_cbranch_vccnz .LBB119_1804
; %bb.1803:
	s_wait_loadcnt 0x0
	global_load_u16 v0, v[6:7], off
	s_wait_loadcnt 0x0
	v_cvt_f32_f16_e32 v0, v0
	s_wait_xcnt 0x1
	s_delay_alu instid0(VALU_DEP_1)
	v_cvt_f64_f32_e32 v[0:1], v0
.LBB119_1804:
	s_wait_loadcnt 0x0
	v_mov_b64_e32 v[2:3], 0
.LBB119_1805:
	s_cbranch_execnz .LBB119_1784
.LBB119_1806:
	s_cmp_lt_i32 s0, 2
	s_cbranch_scc1 .LBB119_1810
; %bb.1807:
	s_cmp_lt_i32 s0, 3
	s_cbranch_scc1 .LBB119_1811
; %bb.1808:
	s_cmp_gt_i32 s0, 3
	s_cbranch_scc0 .LBB119_1812
; %bb.1809:
	s_wait_loadcnt 0x0
	global_load_b64 v[0:1], v[6:7], off
	s_mov_b32 s8, 0
	s_wait_loadcnt 0x0
	v_cvt_f64_i32_e32 v[2:3], v1
	v_cvt_f64_u32_e32 v[0:1], v0
	s_delay_alu instid0(VALU_DEP_2) | instskip(NEXT) | instid1(VALU_DEP_1)
	v_ldexp_f64 v[2:3], v[2:3], 32
	v_add_f64_e32 v[0:1], v[2:3], v[0:1]
	s_branch .LBB119_1813
.LBB119_1810:
                                        ; implicit-def: $vgpr0_vgpr1
	s_branch .LBB119_1819
.LBB119_1811:
	s_mov_b32 s8, -1
                                        ; implicit-def: $vgpr0_vgpr1
	s_branch .LBB119_1816
.LBB119_1812:
	s_mov_b32 s8, -1
                                        ; implicit-def: $vgpr0_vgpr1
.LBB119_1813:
	s_delay_alu instid0(SALU_CYCLE_1)
	s_and_not1_b32 vcc_lo, exec_lo, s8
	s_cbranch_vccnz .LBB119_1815
; %bb.1814:
	s_wait_loadcnt 0x0
	global_load_b32 v0, v[6:7], off
	s_wait_loadcnt 0x0
	s_wait_xcnt 0x1
	v_cvt_f64_i32_e32 v[0:1], v0
.LBB119_1815:
	s_mov_b32 s8, 0
.LBB119_1816:
	s_delay_alu instid0(SALU_CYCLE_1)
	s_and_not1_b32 vcc_lo, exec_lo, s8
	s_cbranch_vccnz .LBB119_1818
; %bb.1817:
	s_wait_loadcnt 0x0
	global_load_i16 v0, v[6:7], off
	s_wait_loadcnt 0x0
	s_wait_xcnt 0x1
	v_cvt_f64_i32_e32 v[0:1], v0
.LBB119_1818:
	s_cbranch_execnz .LBB119_1824
.LBB119_1819:
	s_cmp_gt_i32 s0, 0
	s_mov_b32 s0, 0
	s_cbranch_scc0 .LBB119_1821
; %bb.1820:
	s_wait_loadcnt 0x0
	global_load_i8 v0, v[6:7], off
	s_wait_loadcnt 0x0
	s_wait_xcnt 0x1
	v_cvt_f64_i32_e32 v[0:1], v0
	s_branch .LBB119_1822
.LBB119_1821:
	s_mov_b32 s0, -1
                                        ; implicit-def: $vgpr0_vgpr1
.LBB119_1822:
	s_delay_alu instid0(SALU_CYCLE_1)
	s_and_not1_b32 vcc_lo, exec_lo, s0
	s_cbranch_vccnz .LBB119_1824
; %bb.1823:
	s_wait_loadcnt 0x0
	global_load_u8 v0, v[6:7], off
	s_wait_loadcnt 0x0
	s_wait_xcnt 0x1
	v_cvt_f64_u32_e32 v[0:1], v0
.LBB119_1824:
	s_wait_loadcnt 0x0
	v_mov_b64_e32 v[2:3], 0
.LBB119_1825:
	v_mov_b32_e32 v5, 0
	s_load_b64 s[8:9], s[2:3], 0x198
	global_load_u8 v6, v5, s[2:3] offset:422
	s_wait_kmcnt 0x0
	v_add_nc_u64_e32 v[28:29], s[8:9], v[4:5]
	s_wait_loadcnt 0x0
	v_and_b32_e32 v7, 0xffff, v6
	v_readfirstlane_b32 s16, v6
	s_delay_alu instid0(VALU_DEP_2)
	v_cmp_gt_i32_e32 vcc_lo, 11, v7
	s_cbranch_vccnz .LBB119_1832
; %bb.1826:
	s_and_b32 s0, 0xffff, s16
	s_mov_b32 s13, 0
	s_cmp_gt_i32 s0, 25
	s_cbranch_scc0 .LBB119_1834
; %bb.1827:
	s_cmp_gt_i32 s0, 28
	s_cbranch_scc0 .LBB119_1835
; %bb.1828:
	;; [unrolled: 3-line block ×4, first 2 shown]
	s_cmp_eq_u32 s0, 46
	s_mov_b32 s17, 0
	s_cbranch_scc0 .LBB119_1841
; %bb.1831:
	global_load_b32 v4, v[28:29], off
	s_mov_b32 s12, 0
	s_mov_b32 s15, -1
	s_wait_loadcnt 0x0
	s_wait_xcnt 0x1
	v_lshlrev_b32_e32 v5, 16, v4
	v_and_b32_e32 v6, 0xffff0000, v4
	s_delay_alu instid0(VALU_DEP_2) | instskip(NEXT) | instid1(VALU_DEP_2)
	v_cvt_f64_f32_e32 v[4:5], v5
	v_cvt_f64_f32_e32 v[6:7], v6
	s_branch .LBB119_1843
.LBB119_1832:
	s_mov_b32 s15, 0
                                        ; implicit-def: $vgpr6_vgpr7
	s_cbranch_execnz .LBB119_1911
.LBB119_1833:
	s_and_not1_b32 vcc_lo, exec_lo, s15
	s_cbranch_vccnz .LBB119_2793
	s_branch .LBB119_1960
.LBB119_1834:
	s_mov_b32 s15, 0
	s_mov_b32 s12, 0
                                        ; implicit-def: $vgpr6_vgpr7
	s_cbranch_execnz .LBB119_1874
	s_branch .LBB119_1907
.LBB119_1835:
	s_mov_b32 s17, -1
	s_mov_b32 s15, 0
	s_mov_b32 s12, 0
                                        ; implicit-def: $vgpr6_vgpr7
	s_branch .LBB119_1855
.LBB119_1836:
	s_mov_b32 s17, -1
	s_mov_b32 s15, 0
	s_mov_b32 s12, 0
                                        ; implicit-def: $vgpr6_vgpr7
	s_branch .LBB119_1849
.LBB119_1837:
	s_or_b32 s1, s10, exec_lo
	s_trap 2
	s_cbranch_execz .LBB119_1776
	s_branch .LBB119_1777
.LBB119_1838:
	s_mov_b32 s17, -1
	s_mov_b32 s15, 0
	s_mov_b32 s12, 0
	s_branch .LBB119_1842
.LBB119_1839:
	s_and_not1_saveexec_b32 s11, s11
	s_cbranch_execz .LBB119_1575
.LBB119_1840:
	v_add_f32_e32 v0, 0x42800000, v1
	s_and_not1_b32 s10, s10, exec_lo
	s_delay_alu instid0(VALU_DEP_1) | instskip(NEXT) | instid1(VALU_DEP_1)
	v_and_b32_e32 v0, 0xff, v0
	v_cmp_ne_u32_e32 vcc_lo, 0, v0
	s_and_b32 s12, vcc_lo, exec_lo
	s_delay_alu instid0(SALU_CYCLE_1)
	s_or_b32 s10, s10, s12
	s_or_b32 exec_lo, exec_lo, s11
	v_mov_b32_e32 v2, 0
	s_and_saveexec_b32 s11, s10
	s_cbranch_execnz .LBB119_1576
	s_branch .LBB119_1577
.LBB119_1841:
	s_mov_b32 s12, -1
	s_mov_b32 s15, 0
.LBB119_1842:
                                        ; implicit-def: $vgpr6_vgpr7
.LBB119_1843:
	s_and_b32 vcc_lo, exec_lo, s17
	s_cbranch_vccz .LBB119_1848
; %bb.1844:
	s_cmp_eq_u32 s0, 44
	s_cbranch_scc0 .LBB119_1846
; %bb.1845:
	global_load_u8 v6, v[28:29], off
	s_mov_b32 s12, 0
	s_mov_b32 s15, -1
	s_wait_loadcnt 0x0
	v_cmp_ne_u32_e32 vcc_lo, 0xff, v6
	v_lshlrev_b32_e32 v4, 23, v6
	s_wait_xcnt 0x1
	s_delay_alu instid0(VALU_DEP_1) | instskip(NEXT) | instid1(VALU_DEP_1)
	v_cvt_f64_f32_e32 v[4:5], v4
	v_cndmask_b32_e32 v4, 0x20000000, v4, vcc_lo
	s_delay_alu instid0(VALU_DEP_2) | instskip(SKIP_1) | instid1(VALU_DEP_2)
	v_cndmask_b32_e32 v5, 0x7ff80000, v5, vcc_lo
	v_cmp_ne_u32_e32 vcc_lo, 0, v6
	v_cndmask_b32_e32 v5, 0x38000000, v5, vcc_lo
	s_delay_alu instid0(VALU_DEP_4)
	v_cndmask_b32_e32 v4, 0, v4, vcc_lo
	s_branch .LBB119_1847
.LBB119_1846:
	s_mov_b32 s12, -1
                                        ; implicit-def: $vgpr4_vgpr5
.LBB119_1847:
	v_mov_b64_e32 v[6:7], 0
.LBB119_1848:
	s_mov_b32 s17, 0
.LBB119_1849:
	s_delay_alu instid0(SALU_CYCLE_1)
	s_and_b32 vcc_lo, exec_lo, s17
	s_cbranch_vccz .LBB119_1854
; %bb.1850:
	s_cmp_eq_u32 s0, 29
	s_cbranch_scc0 .LBB119_1852
; %bb.1851:
	global_load_b64 v[4:5], v[28:29], off
	s_mov_b32 s12, 0
	s_mov_b32 s15, -1
	s_wait_loadcnt 0x0
	v_cvt_f64_u32_e32 v[6:7], v5
	v_cvt_f64_u32_e32 v[4:5], v4
	s_delay_alu instid0(VALU_DEP_2) | instskip(NEXT) | instid1(VALU_DEP_1)
	v_ldexp_f64 v[6:7], v[6:7], 32
	v_add_f64_e32 v[4:5], v[6:7], v[4:5]
	s_branch .LBB119_1853
.LBB119_1852:
	s_mov_b32 s12, -1
                                        ; implicit-def: $vgpr4_vgpr5
.LBB119_1853:
	v_mov_b64_e32 v[6:7], 0
.LBB119_1854:
	s_mov_b32 s17, 0
.LBB119_1855:
	s_delay_alu instid0(SALU_CYCLE_1)
	s_and_b32 vcc_lo, exec_lo, s17
	s_cbranch_vccz .LBB119_1873
; %bb.1856:
	s_cmp_lt_i32 s0, 27
	s_cbranch_scc1 .LBB119_1859
; %bb.1857:
	s_cmp_gt_i32 s0, 27
	s_cbranch_scc0 .LBB119_1860
; %bb.1858:
	global_load_b32 v4, v[28:29], off
	s_mov_b32 s15, 0
	s_wait_loadcnt 0x0
	s_wait_xcnt 0x1
	v_cvt_f64_u32_e32 v[4:5], v4
	s_branch .LBB119_1861
.LBB119_1859:
	s_mov_b32 s15, -1
                                        ; implicit-def: $vgpr4_vgpr5
	s_branch .LBB119_1864
.LBB119_1860:
	s_mov_b32 s15, -1
                                        ; implicit-def: $vgpr4_vgpr5
.LBB119_1861:
	s_delay_alu instid0(SALU_CYCLE_1)
	s_and_not1_b32 vcc_lo, exec_lo, s15
	s_cbranch_vccnz .LBB119_1863
; %bb.1862:
	global_load_u16 v4, v[28:29], off
	s_wait_loadcnt 0x0
	s_wait_xcnt 0x1
	v_cvt_f64_u32_e32 v[4:5], v4
.LBB119_1863:
	s_mov_b32 s15, 0
.LBB119_1864:
	s_delay_alu instid0(SALU_CYCLE_1)
	s_and_not1_b32 vcc_lo, exec_lo, s15
	s_cbranch_vccnz .LBB119_1872
; %bb.1865:
	global_load_u8 v6, v[28:29], off
	s_mov_b32 s15, 0
	s_mov_b32 s17, exec_lo
	s_wait_loadcnt 0x0
	v_cmpx_lt_i16_e32 0x7f, v6
	s_xor_b32 s17, exec_lo, s17
	s_cbranch_execz .LBB119_1885
; %bb.1866:
	s_mov_b32 s15, -1
	s_mov_b32 s18, exec_lo
	v_cmpx_eq_u16_e32 0x80, v6
; %bb.1867:
	s_xor_b32 s15, exec_lo, -1
; %bb.1868:
	s_or_b32 exec_lo, exec_lo, s18
	s_delay_alu instid0(SALU_CYCLE_1)
	s_and_b32 s15, s15, exec_lo
	s_or_saveexec_b32 s17, s17
	v_mov_b64_e32 v[4:5], 0x7ff8000020000000
	s_xor_b32 exec_lo, exec_lo, s17
	s_cbranch_execnz .LBB119_1886
.LBB119_1869:
	s_or_b32 exec_lo, exec_lo, s17
	s_and_saveexec_b32 s17, s15
	s_cbranch_execz .LBB119_1871
.LBB119_1870:
	v_and_b32_e32 v4, 0xffff, v6
	s_delay_alu instid0(VALU_DEP_1) | instskip(SKIP_1) | instid1(VALU_DEP_2)
	v_and_b32_e32 v5, 7, v4
	v_bfe_u32 v11, v4, 3, 4
	v_clz_i32_u32_e32 v7, v5
	s_delay_alu instid0(VALU_DEP_2) | instskip(NEXT) | instid1(VALU_DEP_2)
	v_cmp_eq_u32_e32 vcc_lo, 0, v11
	v_min_u32_e32 v7, 32, v7
	s_delay_alu instid0(VALU_DEP_1) | instskip(NEXT) | instid1(VALU_DEP_1)
	v_subrev_nc_u32_e32 v9, 28, v7
	v_dual_lshlrev_b32 v4, v9, v4 :: v_dual_sub_nc_u32 v7, 29, v7
	s_delay_alu instid0(VALU_DEP_1) | instskip(NEXT) | instid1(VALU_DEP_1)
	v_dual_lshlrev_b32 v6, 24, v6 :: v_dual_bitop2_b32 v4, 7, v4 bitop3:0x40
	v_dual_cndmask_b32 v7, v11, v7 :: v_dual_cndmask_b32 v4, v5, v4
	s_delay_alu instid0(VALU_DEP_2) | instskip(NEXT) | instid1(VALU_DEP_2)
	v_and_b32_e32 v5, 0x80000000, v6
	v_lshl_add_u32 v6, v7, 23, 0x3b800000
	s_delay_alu instid0(VALU_DEP_3) | instskip(NEXT) | instid1(VALU_DEP_1)
	v_lshlrev_b32_e32 v4, 20, v4
	v_or3_b32 v4, v5, v6, v4
	s_delay_alu instid0(VALU_DEP_1)
	v_cvt_f64_f32_e32 v[4:5], v4
.LBB119_1871:
	s_or_b32 exec_lo, exec_lo, s17
.LBB119_1872:
	v_mov_b64_e32 v[6:7], 0
	s_mov_b32 s15, -1
.LBB119_1873:
	s_branch .LBB119_1907
.LBB119_1874:
	s_cmp_gt_i32 s0, 22
	s_cbranch_scc0 .LBB119_1884
; %bb.1875:
	s_cmp_lt_i32 s0, 24
	s_cbranch_scc1 .LBB119_1887
; %bb.1876:
	s_cmp_gt_i32 s0, 24
	s_cbranch_scc0 .LBB119_1888
; %bb.1877:
	global_load_u8 v6, v[28:29], off
	s_mov_b32 s15, exec_lo
	s_wait_loadcnt 0x0
	v_cmpx_lt_i16_e32 0x7f, v6
	s_xor_b32 s15, exec_lo, s15
	s_cbranch_execz .LBB119_1900
; %bb.1878:
	s_mov_b32 s13, -1
	s_mov_b32 s17, exec_lo
	v_cmpx_eq_u16_e32 0x80, v6
; %bb.1879:
	s_xor_b32 s13, exec_lo, -1
; %bb.1880:
	s_or_b32 exec_lo, exec_lo, s17
	s_delay_alu instid0(SALU_CYCLE_1)
	s_and_b32 s13, s13, exec_lo
	s_or_saveexec_b32 s15, s15
	v_mov_b64_e32 v[4:5], 0x7ff8000020000000
	s_xor_b32 exec_lo, exec_lo, s15
	s_cbranch_execnz .LBB119_1901
.LBB119_1881:
	s_or_b32 exec_lo, exec_lo, s15
	s_and_saveexec_b32 s15, s13
	s_cbranch_execz .LBB119_1883
.LBB119_1882:
	v_and_b32_e32 v4, 0xffff, v6
	s_delay_alu instid0(VALU_DEP_1) | instskip(SKIP_1) | instid1(VALU_DEP_2)
	v_and_b32_e32 v5, 3, v4
	v_bfe_u32 v11, v4, 2, 5
	v_clz_i32_u32_e32 v7, v5
	s_delay_alu instid0(VALU_DEP_2) | instskip(NEXT) | instid1(VALU_DEP_2)
	v_cmp_eq_u32_e32 vcc_lo, 0, v11
	v_min_u32_e32 v7, 32, v7
	s_delay_alu instid0(VALU_DEP_1) | instskip(NEXT) | instid1(VALU_DEP_1)
	v_subrev_nc_u32_e32 v9, 29, v7
	v_dual_lshlrev_b32 v4, v9, v4 :: v_dual_sub_nc_u32 v7, 30, v7
	s_delay_alu instid0(VALU_DEP_1) | instskip(NEXT) | instid1(VALU_DEP_1)
	v_dual_lshlrev_b32 v6, 24, v6 :: v_dual_bitop2_b32 v4, 3, v4 bitop3:0x40
	v_dual_cndmask_b32 v7, v11, v7 :: v_dual_cndmask_b32 v4, v5, v4
	s_delay_alu instid0(VALU_DEP_2) | instskip(NEXT) | instid1(VALU_DEP_2)
	v_and_b32_e32 v5, 0x80000000, v6
	v_lshl_add_u32 v6, v7, 23, 0x37800000
	s_delay_alu instid0(VALU_DEP_3) | instskip(NEXT) | instid1(VALU_DEP_1)
	v_lshlrev_b32_e32 v4, 21, v4
	v_or3_b32 v4, v5, v6, v4
	s_delay_alu instid0(VALU_DEP_1)
	v_cvt_f64_f32_e32 v[4:5], v4
.LBB119_1883:
	s_or_b32 exec_lo, exec_lo, s15
	s_mov_b32 s13, 0
	s_branch .LBB119_1889
.LBB119_1884:
	s_mov_b32 s13, -1
                                        ; implicit-def: $vgpr4_vgpr5
	s_branch .LBB119_1895
.LBB119_1885:
	s_or_saveexec_b32 s17, s17
	v_mov_b64_e32 v[4:5], 0x7ff8000020000000
	s_xor_b32 exec_lo, exec_lo, s17
	s_cbranch_execz .LBB119_1869
.LBB119_1886:
	v_cmp_ne_u16_e32 vcc_lo, 0, v6
	v_mov_b64_e32 v[4:5], 0
	s_and_not1_b32 s15, s15, exec_lo
	s_and_b32 s18, vcc_lo, exec_lo
	s_delay_alu instid0(SALU_CYCLE_1)
	s_or_b32 s15, s15, s18
	s_or_b32 exec_lo, exec_lo, s17
	s_and_saveexec_b32 s17, s15
	s_cbranch_execnz .LBB119_1870
	s_branch .LBB119_1871
.LBB119_1887:
	s_mov_b32 s13, -1
                                        ; implicit-def: $vgpr4_vgpr5
	s_branch .LBB119_1892
.LBB119_1888:
	s_mov_b32 s13, -1
                                        ; implicit-def: $vgpr4_vgpr5
.LBB119_1889:
	s_delay_alu instid0(SALU_CYCLE_1)
	s_and_b32 vcc_lo, exec_lo, s13
	s_cbranch_vccz .LBB119_1891
; %bb.1890:
	global_load_u8 v4, v[28:29], off
	s_wait_loadcnt 0x0
	v_lshlrev_b32_e32 v4, 24, v4
	s_wait_xcnt 0x1
	s_delay_alu instid0(VALU_DEP_1) | instskip(NEXT) | instid1(VALU_DEP_1)
	v_and_b32_e32 v5, 0x7f000000, v4
	v_clz_i32_u32_e32 v6, v5
	v_add_nc_u32_e32 v9, 0x1000000, v5
	v_cmp_ne_u32_e32 vcc_lo, 0, v5
	s_delay_alu instid0(VALU_DEP_3) | instskip(NEXT) | instid1(VALU_DEP_1)
	v_min_u32_e32 v6, 32, v6
	v_sub_nc_u32_e64 v6, v6, 4 clamp
	s_delay_alu instid0(VALU_DEP_1) | instskip(NEXT) | instid1(VALU_DEP_1)
	v_dual_lshlrev_b32 v7, v6, v5 :: v_dual_lshlrev_b32 v6, 23, v6
	v_lshrrev_b32_e32 v7, 4, v7
	s_delay_alu instid0(VALU_DEP_1) | instskip(NEXT) | instid1(VALU_DEP_1)
	v_dual_sub_nc_u32 v6, v7, v6 :: v_dual_ashrrev_i32 v7, 8, v9
	v_add_nc_u32_e32 v6, 0x3c000000, v6
	s_delay_alu instid0(VALU_DEP_1) | instskip(NEXT) | instid1(VALU_DEP_1)
	v_and_or_b32 v6, 0x7f800000, v7, v6
	v_cndmask_b32_e32 v5, 0, v6, vcc_lo
	s_delay_alu instid0(VALU_DEP_1) | instskip(NEXT) | instid1(VALU_DEP_1)
	v_and_or_b32 v4, 0x80000000, v4, v5
	v_cvt_f64_f32_e32 v[4:5], v4
.LBB119_1891:
	s_mov_b32 s13, 0
.LBB119_1892:
	s_delay_alu instid0(SALU_CYCLE_1)
	s_and_not1_b32 vcc_lo, exec_lo, s13
	s_cbranch_vccnz .LBB119_1894
; %bb.1893:
	global_load_u8 v4, v[28:29], off
	s_wait_loadcnt 0x0
	s_wait_xcnt 0x1
	v_lshlrev_b32_e32 v5, 25, v4
	v_lshlrev_b16 v4, 8, v4
	s_delay_alu instid0(VALU_DEP_1) | instskip(SKIP_1) | instid1(VALU_DEP_2)
	v_and_or_b32 v7, 0x7f00, v4, 0.5
	v_bfe_i32 v4, v4, 0, 16
	v_dual_add_f32 v7, -0.5, v7 :: v_dual_lshrrev_b32 v6, 4, v5
	v_cmp_gt_u32_e32 vcc_lo, 0x8000000, v5
	s_delay_alu instid0(VALU_DEP_2) | instskip(NEXT) | instid1(VALU_DEP_1)
	v_or_b32_e32 v6, 0x70000000, v6
	v_mul_f32_e32 v6, 0x7800000, v6
	s_delay_alu instid0(VALU_DEP_1) | instskip(NEXT) | instid1(VALU_DEP_1)
	v_cndmask_b32_e32 v5, v6, v7, vcc_lo
	v_and_or_b32 v4, 0x80000000, v4, v5
	s_delay_alu instid0(VALU_DEP_1)
	v_cvt_f64_f32_e32 v[4:5], v4
.LBB119_1894:
	s_mov_b32 s13, 0
	s_mov_b32 s15, -1
.LBB119_1895:
	s_and_not1_b32 vcc_lo, exec_lo, s13
	s_mov_b32 s13, 0
	s_cbranch_vccnz .LBB119_1906
; %bb.1896:
	s_cmp_gt_i32 s0, 14
	s_cbranch_scc0 .LBB119_1899
; %bb.1897:
	s_cmp_eq_u32 s0, 15
	s_cbranch_scc0 .LBB119_1902
; %bb.1898:
	global_load_u16 v4, v[28:29], off
	s_mov_b32 s12, 0
	s_mov_b32 s15, -1
	s_wait_loadcnt 0x0
	v_lshlrev_b32_e32 v4, 16, v4
	s_wait_xcnt 0x1
	s_delay_alu instid0(VALU_DEP_1)
	v_cvt_f64_f32_e32 v[4:5], v4
	s_branch .LBB119_1904
.LBB119_1899:
	s_mov_b32 s13, -1
	s_branch .LBB119_1903
.LBB119_1900:
	s_or_saveexec_b32 s15, s15
	v_mov_b64_e32 v[4:5], 0x7ff8000020000000
	s_xor_b32 exec_lo, exec_lo, s15
	s_cbranch_execz .LBB119_1881
.LBB119_1901:
	v_cmp_ne_u16_e32 vcc_lo, 0, v6
	v_mov_b64_e32 v[4:5], 0
	s_and_not1_b32 s13, s13, exec_lo
	s_and_b32 s17, vcc_lo, exec_lo
	s_delay_alu instid0(SALU_CYCLE_1)
	s_or_b32 s13, s13, s17
	s_or_b32 exec_lo, exec_lo, s15
	s_and_saveexec_b32 s15, s13
	s_cbranch_execnz .LBB119_1882
	s_branch .LBB119_1883
.LBB119_1902:
	s_mov_b32 s12, -1
.LBB119_1903:
                                        ; implicit-def: $vgpr4_vgpr5
.LBB119_1904:
	s_and_b32 vcc_lo, exec_lo, s13
	s_mov_b32 s13, 0
	s_cbranch_vccz .LBB119_1906
; %bb.1905:
	s_cmp_lg_u32 s0, 11
	s_mov_b32 s13, -1
	s_cselect_b32 s12, -1, 0
.LBB119_1906:
	v_mov_b64_e32 v[6:7], 0
.LBB119_1907:
	s_and_b32 vcc_lo, exec_lo, s12
	s_cbranch_vccnz .LBB119_1988
; %bb.1908:
	s_and_not1_b32 vcc_lo, exec_lo, s13
	s_cbranch_vccnz .LBB119_1910
.LBB119_1909:
	global_load_u8 v4, v[28:29], off
	v_mov_b64_e32 v[6:7], 0
	s_mov_b32 s15, -1
	s_wait_loadcnt 0x0
	v_cmp_ne_u16_e32 vcc_lo, 0, v4
	v_mov_b32_e32 v4, 0
	s_wait_xcnt 0x1
	v_cndmask_b32_e64 v5, 0, 0x3ff00000, vcc_lo
.LBB119_1910:
	s_branch .LBB119_1833
.LBB119_1911:
	s_and_b32 s0, 0xffff, s16
	s_delay_alu instid0(SALU_CYCLE_1)
	s_cmp_lt_i32 s0, 5
	s_cbranch_scc1 .LBB119_1916
; %bb.1912:
	s_cmp_lt_i32 s0, 8
	s_cbranch_scc1 .LBB119_1918
; %bb.1913:
	;; [unrolled: 3-line block ×3, first 2 shown]
	s_cmp_gt_i32 s0, 9
	s_cbranch_scc0 .LBB119_1920
; %bb.1915:
	global_load_b128 v[4:7], v[28:29], off
	s_mov_b32 s12, 0
	s_branch .LBB119_1921
.LBB119_1916:
                                        ; implicit-def: $vgpr6_vgpr7
	s_branch .LBB119_1940
.LBB119_1917:
	s_branch .LBB119_1960
.LBB119_1918:
	s_mov_b32 s12, -1
                                        ; implicit-def: $vgpr6_vgpr7
	s_branch .LBB119_1927
.LBB119_1919:
	s_mov_b32 s12, -1
                                        ; implicit-def: $vgpr6_vgpr7
	s_branch .LBB119_1924
.LBB119_1920:
	s_mov_b32 s12, -1
                                        ; implicit-def: $vgpr6_vgpr7
.LBB119_1921:
	s_delay_alu instid0(SALU_CYCLE_1)
	s_and_not1_b32 vcc_lo, exec_lo, s12
	s_cbranch_vccnz .LBB119_1923
; %bb.1922:
	s_wait_loadcnt 0x0
	global_load_b64 v[6:7], v[28:29], off
	s_wait_loadcnt 0x0
	s_wait_xcnt 0x1
	v_cvt_f64_f32_e32 v[4:5], v6
	v_cvt_f64_f32_e32 v[6:7], v7
.LBB119_1923:
	s_mov_b32 s12, 0
.LBB119_1924:
	s_delay_alu instid0(SALU_CYCLE_1)
	s_and_not1_b32 vcc_lo, exec_lo, s12
	s_cbranch_vccnz .LBB119_1926
; %bb.1925:
	s_wait_loadcnt 0x0
	global_load_b32 v4, v[28:29], off
	s_wait_loadcnt 0x0
	s_wait_xcnt 0x1
	v_lshrrev_b32_e32 v5, 16, v4
	v_cvt_f32_f16_e32 v4, v4
	s_delay_alu instid0(VALU_DEP_2) | instskip(NEXT) | instid1(VALU_DEP_2)
	v_cvt_f32_f16_e32 v6, v5
	v_cvt_f64_f32_e32 v[4:5], v4
	s_delay_alu instid0(VALU_DEP_2)
	v_cvt_f64_f32_e32 v[6:7], v6
.LBB119_1926:
	s_mov_b32 s12, 0
.LBB119_1927:
	s_delay_alu instid0(SALU_CYCLE_1)
	s_and_not1_b32 vcc_lo, exec_lo, s12
	s_cbranch_vccnz .LBB119_1939
; %bb.1928:
	s_cmp_lt_i32 s0, 6
	s_cbranch_scc1 .LBB119_1931
; %bb.1929:
	s_cmp_gt_i32 s0, 6
	s_cbranch_scc0 .LBB119_1932
; %bb.1930:
	s_wait_loadcnt 0x0
	global_load_b64 v[4:5], v[28:29], off
	s_mov_b32 s12, 0
	s_branch .LBB119_1933
.LBB119_1931:
	s_mov_b32 s12, -1
                                        ; implicit-def: $vgpr4_vgpr5
	s_branch .LBB119_1936
.LBB119_1932:
	s_mov_b32 s12, -1
                                        ; implicit-def: $vgpr4_vgpr5
.LBB119_1933:
	s_delay_alu instid0(SALU_CYCLE_1)
	s_and_not1_b32 vcc_lo, exec_lo, s12
	s_cbranch_vccnz .LBB119_1935
; %bb.1934:
	s_wait_loadcnt 0x0
	global_load_b32 v4, v[28:29], off
	s_wait_loadcnt 0x0
	s_wait_xcnt 0x1
	v_cvt_f64_f32_e32 v[4:5], v4
.LBB119_1935:
	s_mov_b32 s12, 0
.LBB119_1936:
	s_delay_alu instid0(SALU_CYCLE_1)
	s_and_not1_b32 vcc_lo, exec_lo, s12
	s_cbranch_vccnz .LBB119_1938
; %bb.1937:
	s_wait_loadcnt 0x0
	global_load_u16 v4, v[28:29], off
	s_wait_loadcnt 0x0
	v_cvt_f32_f16_e32 v4, v4
	s_wait_xcnt 0x1
	s_delay_alu instid0(VALU_DEP_1)
	v_cvt_f64_f32_e32 v[4:5], v4
.LBB119_1938:
	s_wait_loadcnt 0x0
	v_mov_b64_e32 v[6:7], 0
.LBB119_1939:
	s_cbranch_execnz .LBB119_1917
.LBB119_1940:
	s_cmp_lt_i32 s0, 2
	s_cbranch_scc1 .LBB119_1944
; %bb.1941:
	s_cmp_lt_i32 s0, 3
	s_cbranch_scc1 .LBB119_1945
; %bb.1942:
	s_cmp_gt_i32 s0, 3
	s_cbranch_scc0 .LBB119_1946
; %bb.1943:
	s_wait_loadcnt 0x0
	global_load_b64 v[4:5], v[28:29], off
	s_mov_b32 s12, 0
	s_wait_loadcnt 0x0
	v_cvt_f64_i32_e32 v[6:7], v5
	v_cvt_f64_u32_e32 v[4:5], v4
	s_delay_alu instid0(VALU_DEP_2) | instskip(NEXT) | instid1(VALU_DEP_1)
	v_ldexp_f64 v[6:7], v[6:7], 32
	v_add_f64_e32 v[4:5], v[6:7], v[4:5]
	s_branch .LBB119_1947
.LBB119_1944:
	s_mov_b32 s12, -1
                                        ; implicit-def: $vgpr4_vgpr5
	s_branch .LBB119_1953
.LBB119_1945:
	s_mov_b32 s12, -1
                                        ; implicit-def: $vgpr4_vgpr5
	s_branch .LBB119_1950
.LBB119_1946:
	s_mov_b32 s12, -1
                                        ; implicit-def: $vgpr4_vgpr5
.LBB119_1947:
	s_delay_alu instid0(SALU_CYCLE_1)
	s_and_not1_b32 vcc_lo, exec_lo, s12
	s_cbranch_vccnz .LBB119_1949
; %bb.1948:
	s_wait_loadcnt 0x0
	global_load_b32 v4, v[28:29], off
	s_wait_loadcnt 0x0
	s_wait_xcnt 0x1
	v_cvt_f64_i32_e32 v[4:5], v4
.LBB119_1949:
	s_mov_b32 s12, 0
.LBB119_1950:
	s_delay_alu instid0(SALU_CYCLE_1)
	s_and_not1_b32 vcc_lo, exec_lo, s12
	s_cbranch_vccnz .LBB119_1952
; %bb.1951:
	s_wait_loadcnt 0x0
	global_load_i16 v4, v[28:29], off
	s_wait_loadcnt 0x0
	s_wait_xcnt 0x1
	v_cvt_f64_i32_e32 v[4:5], v4
.LBB119_1952:
	s_mov_b32 s12, 0
.LBB119_1953:
	s_delay_alu instid0(SALU_CYCLE_1)
	s_and_not1_b32 vcc_lo, exec_lo, s12
	s_cbranch_vccnz .LBB119_1959
; %bb.1954:
	s_cmp_gt_i32 s0, 0
	s_mov_b32 s0, 0
	s_cbranch_scc0 .LBB119_1956
; %bb.1955:
	s_wait_loadcnt 0x0
	global_load_i8 v4, v[28:29], off
	s_wait_loadcnt 0x0
	s_wait_xcnt 0x1
	v_cvt_f64_i32_e32 v[4:5], v4
	s_branch .LBB119_1957
.LBB119_1956:
	s_mov_b32 s0, -1
                                        ; implicit-def: $vgpr4_vgpr5
.LBB119_1957:
	s_delay_alu instid0(SALU_CYCLE_1)
	s_and_not1_b32 vcc_lo, exec_lo, s0
	s_cbranch_vccnz .LBB119_1959
; %bb.1958:
	s_wait_loadcnt 0x0
	global_load_u8 v4, v[28:29], off
	s_wait_loadcnt 0x0
	s_wait_xcnt 0x1
	v_cvt_f64_u32_e32 v[4:5], v4
.LBB119_1959:
	s_wait_loadcnt 0x0
	v_mov_b64_e32 v[6:7], 0
.LBB119_1960:
	s_load_b32 s0, s[2:3], 0x1a0
	s_mov_b32 s15, 0
	s_wait_kmcnt 0x0
	s_cmp_lg_u32 s0, 0
	s_cselect_b32 s13, -1, 0
	s_delay_alu instid0(SALU_CYCLE_1)
	s_and_b32 vcc_lo, exec_lo, s13
	s_cbranch_vccz .LBB119_1972
; %bb.1961:
	s_wait_loadcnt 0x0
	s_delay_alu instid0(VALU_DEP_1) | instskip(NEXT) | instid1(VALU_DEP_2)
	v_cmp_neq_f64_e32 vcc_lo, v[0:1], v[4:5]
	v_cmp_neq_f64_e64 s0, v[2:3], v[6:7]
	s_or_b32 s12, vcc_lo, s0
	s_and_not1_b32 vcc_lo, exec_lo, s15
	s_cbranch_vccnz .LBB119_1963
.LBB119_1962:
	s_wait_loadcnt 0x0
	s_delay_alu instid0(VALU_DEP_1) | instskip(NEXT) | instid1(VALU_DEP_2)
	v_cmp_eq_f64_e32 vcc_lo, v[0:1], v[4:5]
	v_cmp_eq_f64_e64 s0, v[2:3], v[6:7]
	s_and_not1_b32 s12, s12, exec_lo
	s_and_b32 s0, vcc_lo, s0
	s_delay_alu instid0(SALU_CYCLE_1) | instskip(NEXT) | instid1(SALU_CYCLE_1)
	s_and_b32 s0, s0, exec_lo
	s_or_b32 s12, s12, s0
.LBB119_1963:
	v_mov_b32_e32 v27, 0
	s_and_b32 s15, 0xffff, s14
	s_delay_alu instid0(SALU_CYCLE_1) | instskip(SKIP_1) | instid1(VALU_DEP_1)
	s_cmp_lt_i32 s15, 11
	s_wait_loadcnt 0x0
	v_add_nc_u64_e32 v[4:5], s[6:7], v[26:27]
	s_cbranch_scc1 .LBB119_1970
; %bb.1964:
	s_cmp_gt_i32 s15, 25
	s_mov_b32 s14, 0
	s_cbranch_scc0 .LBB119_1973
; %bb.1965:
	s_cmp_gt_i32 s15, 28
	s_cbranch_scc0 .LBB119_1984
; %bb.1966:
	s_cmp_gt_i32 s15, 43
	;; [unrolled: 3-line block ×3, first 2 shown]
	s_cbranch_scc0 .LBB119_1989
; %bb.1968:
	s_cmp_eq_u32 s15, 46
	s_mov_b32 s18, 0
	s_cbranch_scc0 .LBB119_2043
; %bb.1969:
	global_load_b32 v0, v[4:5], off
	s_mov_b32 s0, 0
	s_mov_b32 s17, -1
	s_wait_loadcnt 0x0
	v_lshlrev_b32_e32 v1, 16, v0
	v_and_b32_e32 v2, 0xffff0000, v0
	s_delay_alu instid0(VALU_DEP_2) | instskip(NEXT) | instid1(VALU_DEP_2)
	v_cvt_f64_f32_e32 v[0:1], v1
	v_cvt_f64_f32_e32 v[2:3], v2
	s_branch .LBB119_2045
.LBB119_1970:
	s_mov_b32 s17, 0
                                        ; implicit-def: $vgpr2_vgpr3
	s_cbranch_execnz .LBB119_1978
.LBB119_1971:
	s_and_not1_b32 vcc_lo, exec_lo, s17
	s_cbranch_vccnz .LBB119_2793
	s_branch .LBB119_2032
.LBB119_1972:
                                        ; implicit-def: $sgpr12
	s_branch .LBB119_1962
.LBB119_1973:
	s_mov_b32 s17, 0
	s_mov_b32 s0, 0
                                        ; implicit-def: $vgpr2_vgpr3
	s_cbranch_execnz .LBB119_2077
.LBB119_1974:
	s_and_b32 vcc_lo, exec_lo, s0
	s_cbranch_vccnz .LBB119_2110
.LBB119_1975:
	s_and_not1_b32 vcc_lo, exec_lo, s14
	s_cbranch_vccnz .LBB119_1977
.LBB119_1976:
	global_load_u8 v0, v[4:5], off
	v_mov_b64_e32 v[2:3], 0
	s_mov_b32 s17, -1
	s_wait_loadcnt 0x0
	v_cmp_ne_u16_e32 vcc_lo, 0, v0
	v_mov_b32_e32 v0, 0
	v_cndmask_b32_e64 v1, 0, 0x3ff00000, vcc_lo
.LBB119_1977:
	s_branch .LBB119_1971
.LBB119_1978:
	s_cmp_lt_i32 s15, 5
	s_cbranch_scc1 .LBB119_1983
; %bb.1979:
	s_cmp_lt_i32 s15, 8
	s_cbranch_scc1 .LBB119_1985
; %bb.1980:
	;; [unrolled: 3-line block ×3, first 2 shown]
	s_cmp_gt_i32 s15, 9
	s_cbranch_scc0 .LBB119_1990
; %bb.1982:
	global_load_b128 v[0:3], v[4:5], off
	s_mov_b32 s0, 0
	s_branch .LBB119_1991
.LBB119_1983:
	s_mov_b32 s0, -1
                                        ; implicit-def: $vgpr2_vgpr3
	s_branch .LBB119_2010
.LBB119_1984:
	s_mov_b32 s18, -1
	s_mov_b32 s17, 0
	s_mov_b32 s0, 0
                                        ; implicit-def: $vgpr2_vgpr3
	s_branch .LBB119_2058
.LBB119_1985:
	s_mov_b32 s0, -1
                                        ; implicit-def: $vgpr2_vgpr3
	s_branch .LBB119_1997
.LBB119_1986:
	s_mov_b32 s18, -1
	s_mov_b32 s17, 0
	s_mov_b32 s0, 0
                                        ; implicit-def: $vgpr2_vgpr3
	s_branch .LBB119_2052
.LBB119_1987:
	s_mov_b32 s0, -1
                                        ; implicit-def: $vgpr2_vgpr3
	s_branch .LBB119_1994
.LBB119_1988:
	s_or_b32 s1, s1, exec_lo
	s_trap 2
	s_cbranch_execz .LBB119_1909
	s_branch .LBB119_1910
.LBB119_1989:
	s_mov_b32 s18, -1
	s_mov_b32 s17, 0
	s_mov_b32 s0, 0
	s_branch .LBB119_2044
.LBB119_1990:
	s_mov_b32 s0, -1
                                        ; implicit-def: $vgpr2_vgpr3
.LBB119_1991:
	s_delay_alu instid0(SALU_CYCLE_1)
	s_and_not1_b32 vcc_lo, exec_lo, s0
	s_cbranch_vccnz .LBB119_1993
; %bb.1992:
	s_wait_loadcnt 0x0
	global_load_b64 v[2:3], v[4:5], off
	s_wait_loadcnt 0x0
	v_cvt_f64_f32_e32 v[0:1], v2
	v_cvt_f64_f32_e32 v[2:3], v3
.LBB119_1993:
	s_mov_b32 s0, 0
.LBB119_1994:
	s_delay_alu instid0(SALU_CYCLE_1)
	s_and_not1_b32 vcc_lo, exec_lo, s0
	s_cbranch_vccnz .LBB119_1996
; %bb.1995:
	s_wait_loadcnt 0x0
	global_load_b32 v0, v[4:5], off
	s_wait_loadcnt 0x0
	v_lshrrev_b32_e32 v1, 16, v0
	v_cvt_f32_f16_e32 v0, v0
	s_delay_alu instid0(VALU_DEP_2) | instskip(NEXT) | instid1(VALU_DEP_2)
	v_cvt_f32_f16_e32 v2, v1
	v_cvt_f64_f32_e32 v[0:1], v0
	s_delay_alu instid0(VALU_DEP_2)
	v_cvt_f64_f32_e32 v[2:3], v2
.LBB119_1996:
	s_mov_b32 s0, 0
.LBB119_1997:
	s_delay_alu instid0(SALU_CYCLE_1)
	s_and_not1_b32 vcc_lo, exec_lo, s0
	s_cbranch_vccnz .LBB119_2009
; %bb.1998:
	s_cmp_lt_i32 s15, 6
	s_cbranch_scc1 .LBB119_2001
; %bb.1999:
	s_cmp_gt_i32 s15, 6
	s_cbranch_scc0 .LBB119_2002
; %bb.2000:
	s_wait_loadcnt 0x0
	global_load_b64 v[0:1], v[4:5], off
	s_mov_b32 s0, 0
	s_branch .LBB119_2003
.LBB119_2001:
	s_mov_b32 s0, -1
                                        ; implicit-def: $vgpr0_vgpr1
	s_branch .LBB119_2006
.LBB119_2002:
	s_mov_b32 s0, -1
                                        ; implicit-def: $vgpr0_vgpr1
.LBB119_2003:
	s_delay_alu instid0(SALU_CYCLE_1)
	s_and_not1_b32 vcc_lo, exec_lo, s0
	s_cbranch_vccnz .LBB119_2005
; %bb.2004:
	s_wait_loadcnt 0x0
	global_load_b32 v0, v[4:5], off
	s_wait_loadcnt 0x0
	v_cvt_f64_f32_e32 v[0:1], v0
.LBB119_2005:
	s_mov_b32 s0, 0
.LBB119_2006:
	s_delay_alu instid0(SALU_CYCLE_1)
	s_and_not1_b32 vcc_lo, exec_lo, s0
	s_cbranch_vccnz .LBB119_2008
; %bb.2007:
	s_wait_loadcnt 0x0
	global_load_u16 v0, v[4:5], off
	s_wait_loadcnt 0x0
	v_cvt_f32_f16_e32 v0, v0
	s_delay_alu instid0(VALU_DEP_1)
	v_cvt_f64_f32_e32 v[0:1], v0
.LBB119_2008:
	s_wait_loadcnt 0x0
	v_mov_b64_e32 v[2:3], 0
.LBB119_2009:
	s_mov_b32 s0, 0
.LBB119_2010:
	s_delay_alu instid0(SALU_CYCLE_1)
	s_and_not1_b32 vcc_lo, exec_lo, s0
	s_cbranch_vccnz .LBB119_2031
; %bb.2011:
	s_cmp_lt_i32 s15, 2
	s_cbranch_scc1 .LBB119_2015
; %bb.2012:
	s_cmp_lt_i32 s15, 3
	s_cbranch_scc1 .LBB119_2016
; %bb.2013:
	s_cmp_gt_i32 s15, 3
	s_cbranch_scc0 .LBB119_2017
; %bb.2014:
	s_wait_loadcnt 0x0
	global_load_b64 v[0:1], v[4:5], off
	s_mov_b32 s0, 0
	s_wait_loadcnt 0x0
	v_cvt_f64_i32_e32 v[2:3], v1
	v_cvt_f64_u32_e32 v[0:1], v0
	s_delay_alu instid0(VALU_DEP_2) | instskip(NEXT) | instid1(VALU_DEP_1)
	v_ldexp_f64 v[2:3], v[2:3], 32
	v_add_f64_e32 v[0:1], v[2:3], v[0:1]
	s_branch .LBB119_2018
.LBB119_2015:
	s_mov_b32 s0, -1
                                        ; implicit-def: $vgpr0_vgpr1
	s_branch .LBB119_2024
.LBB119_2016:
	s_mov_b32 s0, -1
                                        ; implicit-def: $vgpr0_vgpr1
	s_branch .LBB119_2021
.LBB119_2017:
	s_mov_b32 s0, -1
                                        ; implicit-def: $vgpr0_vgpr1
.LBB119_2018:
	s_delay_alu instid0(SALU_CYCLE_1)
	s_and_not1_b32 vcc_lo, exec_lo, s0
	s_cbranch_vccnz .LBB119_2020
; %bb.2019:
	s_wait_loadcnt 0x0
	global_load_b32 v0, v[4:5], off
	s_wait_loadcnt 0x0
	v_cvt_f64_i32_e32 v[0:1], v0
.LBB119_2020:
	s_mov_b32 s0, 0
.LBB119_2021:
	s_delay_alu instid0(SALU_CYCLE_1)
	s_and_not1_b32 vcc_lo, exec_lo, s0
	s_cbranch_vccnz .LBB119_2023
; %bb.2022:
	s_wait_loadcnt 0x0
	global_load_i16 v0, v[4:5], off
	s_wait_loadcnt 0x0
	v_cvt_f64_i32_e32 v[0:1], v0
.LBB119_2023:
	s_mov_b32 s0, 0
.LBB119_2024:
	s_delay_alu instid0(SALU_CYCLE_1)
	s_and_not1_b32 vcc_lo, exec_lo, s0
	s_cbranch_vccnz .LBB119_2030
; %bb.2025:
	s_cmp_gt_i32 s15, 0
	s_mov_b32 s0, 0
	s_cbranch_scc0 .LBB119_2027
; %bb.2026:
	s_wait_loadcnt 0x0
	global_load_i8 v0, v[4:5], off
	s_wait_loadcnt 0x0
	v_cvt_f64_i32_e32 v[0:1], v0
	s_branch .LBB119_2028
.LBB119_2027:
	s_mov_b32 s0, -1
                                        ; implicit-def: $vgpr0_vgpr1
.LBB119_2028:
	s_delay_alu instid0(SALU_CYCLE_1)
	s_and_not1_b32 vcc_lo, exec_lo, s0
	s_cbranch_vccnz .LBB119_2030
; %bb.2029:
	s_wait_loadcnt 0x0
	global_load_u8 v0, v[4:5], off
	s_wait_loadcnt 0x0
	v_cvt_f64_u32_e32 v[0:1], v0
.LBB119_2030:
	s_wait_loadcnt 0x0
	v_mov_b64_e32 v[2:3], 0
.LBB119_2031:
.LBB119_2032:
	v_mov_b32_e32 v25, 0
	s_and_b32 s16, 0xffff, s16
	s_delay_alu instid0(SALU_CYCLE_1) | instskip(NEXT) | instid1(VALU_DEP_1)
	s_cmp_lt_i32 s16, 11
	v_add_nc_u64_e32 v[24:25], s[8:9], v[24:25]
	s_cbranch_scc1 .LBB119_2039
; %bb.2033:
	s_cmp_gt_i32 s16, 25
	s_mov_b32 s14, 0
	s_cbranch_scc0 .LBB119_2040
; %bb.2034:
	s_cmp_gt_i32 s16, 28
	s_cbranch_scc0 .LBB119_2041
; %bb.2035:
	s_cmp_gt_i32 s16, 43
	s_cbranch_scc0 .LBB119_2042
; %bb.2036:
	s_cmp_gt_i32 s16, 45
	s_cbranch_scc0 .LBB119_2048
; %bb.2037:
	s_cmp_eq_u32 s16, 46
	s_mov_b32 s18, 0
	s_cbranch_scc0 .LBB119_2111
; %bb.2038:
	global_load_b32 v4, v[24:25], off
	s_mov_b32 s0, 0
	s_mov_b32 s17, -1
	s_wait_loadcnt 0x0
	v_lshlrev_b32_e32 v5, 16, v4
	v_and_b32_e32 v6, 0xffff0000, v4
	s_delay_alu instid0(VALU_DEP_2) | instskip(NEXT) | instid1(VALU_DEP_2)
	v_cvt_f64_f32_e32 v[4:5], v5
	v_cvt_f64_f32_e32 v[6:7], v6
	s_branch .LBB119_2113
.LBB119_2039:
	s_mov_b32 s0, -1
	s_mov_b32 s17, 0
                                        ; implicit-def: $vgpr6_vgpr7
	s_branch .LBB119_2159
.LBB119_2040:
	s_mov_b32 s18, -1
	s_mov_b32 s17, 0
	s_mov_b32 s0, 0
                                        ; implicit-def: $vgpr6_vgpr7
	s_branch .LBB119_2144
.LBB119_2041:
	s_mov_b32 s18, -1
	s_mov_b32 s17, 0
	s_mov_b32 s0, 0
                                        ; implicit-def: $vgpr6_vgpr7
	s_branch .LBB119_2125
.LBB119_2042:
	s_mov_b32 s18, -1
	s_mov_b32 s17, 0
	s_mov_b32 s0, 0
                                        ; implicit-def: $vgpr6_vgpr7
	s_branch .LBB119_2119
.LBB119_2043:
	s_mov_b32 s0, -1
	s_mov_b32 s17, 0
.LBB119_2044:
                                        ; implicit-def: $vgpr2_vgpr3
.LBB119_2045:
	s_and_b32 vcc_lo, exec_lo, s18
	s_cbranch_vccz .LBB119_2051
; %bb.2046:
	s_cmp_eq_u32 s15, 44
	s_cbranch_scc0 .LBB119_2049
; %bb.2047:
	global_load_u8 v2, v[4:5], off
	s_mov_b32 s0, 0
	s_mov_b32 s17, -1
	s_wait_loadcnt 0x0
	v_cmp_ne_u32_e32 vcc_lo, 0xff, v2
	v_lshlrev_b32_e32 v0, 23, v2
	s_delay_alu instid0(VALU_DEP_1) | instskip(NEXT) | instid1(VALU_DEP_1)
	v_cvt_f64_f32_e32 v[0:1], v0
	v_cndmask_b32_e32 v0, 0x20000000, v0, vcc_lo
	s_delay_alu instid0(VALU_DEP_2) | instskip(SKIP_1) | instid1(VALU_DEP_2)
	v_cndmask_b32_e32 v1, 0x7ff80000, v1, vcc_lo
	v_cmp_ne_u32_e32 vcc_lo, 0, v2
	v_cndmask_b32_e32 v1, 0x38000000, v1, vcc_lo
	s_delay_alu instid0(VALU_DEP_4)
	v_cndmask_b32_e32 v0, 0, v0, vcc_lo
	s_branch .LBB119_2050
.LBB119_2048:
	s_mov_b32 s18, -1
	s_mov_b32 s17, 0
	s_mov_b32 s0, 0
	s_branch .LBB119_2112
.LBB119_2049:
	s_mov_b32 s0, -1
                                        ; implicit-def: $vgpr0_vgpr1
.LBB119_2050:
	v_mov_b64_e32 v[2:3], 0
.LBB119_2051:
	s_mov_b32 s18, 0
.LBB119_2052:
	s_delay_alu instid0(SALU_CYCLE_1)
	s_and_b32 vcc_lo, exec_lo, s18
	s_cbranch_vccz .LBB119_2057
; %bb.2053:
	s_cmp_eq_u32 s15, 29
	s_cbranch_scc0 .LBB119_2055
; %bb.2054:
	global_load_b64 v[0:1], v[4:5], off
	s_mov_b32 s0, 0
	s_mov_b32 s17, -1
	s_wait_loadcnt 0x0
	v_cvt_f64_u32_e32 v[2:3], v1
	v_cvt_f64_u32_e32 v[0:1], v0
	s_delay_alu instid0(VALU_DEP_2) | instskip(NEXT) | instid1(VALU_DEP_1)
	v_ldexp_f64 v[2:3], v[2:3], 32
	v_add_f64_e32 v[0:1], v[2:3], v[0:1]
	s_branch .LBB119_2056
.LBB119_2055:
	s_mov_b32 s0, -1
                                        ; implicit-def: $vgpr0_vgpr1
.LBB119_2056:
	v_mov_b64_e32 v[2:3], 0
.LBB119_2057:
	s_mov_b32 s18, 0
.LBB119_2058:
	s_delay_alu instid0(SALU_CYCLE_1)
	s_and_b32 vcc_lo, exec_lo, s18
	s_cbranch_vccz .LBB119_2076
; %bb.2059:
	s_cmp_lt_i32 s15, 27
	s_cbranch_scc1 .LBB119_2062
; %bb.2060:
	s_cmp_gt_i32 s15, 27
	s_cbranch_scc0 .LBB119_2063
; %bb.2061:
	global_load_b32 v0, v[4:5], off
	s_mov_b32 s17, 0
	s_wait_loadcnt 0x0
	v_cvt_f64_u32_e32 v[0:1], v0
	s_branch .LBB119_2064
.LBB119_2062:
	s_mov_b32 s17, -1
                                        ; implicit-def: $vgpr0_vgpr1
	s_branch .LBB119_2067
.LBB119_2063:
	s_mov_b32 s17, -1
                                        ; implicit-def: $vgpr0_vgpr1
.LBB119_2064:
	s_delay_alu instid0(SALU_CYCLE_1)
	s_and_not1_b32 vcc_lo, exec_lo, s17
	s_cbranch_vccnz .LBB119_2066
; %bb.2065:
	global_load_u16 v0, v[4:5], off
	s_wait_loadcnt 0x0
	v_cvt_f64_u32_e32 v[0:1], v0
.LBB119_2066:
	s_mov_b32 s17, 0
.LBB119_2067:
	s_delay_alu instid0(SALU_CYCLE_1)
	s_and_not1_b32 vcc_lo, exec_lo, s17
	s_cbranch_vccnz .LBB119_2075
; %bb.2068:
	global_load_u8 v2, v[4:5], off
	s_mov_b32 s17, 0
	s_mov_b32 s18, exec_lo
	s_wait_loadcnt 0x0
	v_cmpx_lt_i16_e32 0x7f, v2
	s_xor_b32 s18, exec_lo, s18
	s_cbranch_execz .LBB119_2088
; %bb.2069:
	s_mov_b32 s17, -1
	s_mov_b32 s19, exec_lo
	v_cmpx_eq_u16_e32 0x80, v2
; %bb.2070:
	s_xor_b32 s17, exec_lo, -1
; %bb.2071:
	s_or_b32 exec_lo, exec_lo, s19
	s_delay_alu instid0(SALU_CYCLE_1)
	s_and_b32 s17, s17, exec_lo
	s_or_saveexec_b32 s18, s18
	v_mov_b64_e32 v[0:1], 0x7ff8000020000000
	s_xor_b32 exec_lo, exec_lo, s18
	s_cbranch_execnz .LBB119_2089
.LBB119_2072:
	s_or_b32 exec_lo, exec_lo, s18
	s_and_saveexec_b32 s18, s17
	s_cbranch_execz .LBB119_2074
.LBB119_2073:
	v_and_b32_e32 v0, 0xffff, v2
	s_delay_alu instid0(VALU_DEP_1) | instskip(SKIP_1) | instid1(VALU_DEP_2)
	v_and_b32_e32 v1, 7, v0
	v_bfe_u32 v7, v0, 3, 4
	v_clz_i32_u32_e32 v3, v1
	s_delay_alu instid0(VALU_DEP_2) | instskip(NEXT) | instid1(VALU_DEP_2)
	v_cmp_eq_u32_e32 vcc_lo, 0, v7
	v_min_u32_e32 v3, 32, v3
	s_delay_alu instid0(VALU_DEP_1) | instskip(NEXT) | instid1(VALU_DEP_1)
	v_subrev_nc_u32_e32 v6, 28, v3
	v_dual_lshlrev_b32 v0, v6, v0 :: v_dual_sub_nc_u32 v3, 29, v3
	s_delay_alu instid0(VALU_DEP_1) | instskip(NEXT) | instid1(VALU_DEP_1)
	v_dual_lshlrev_b32 v2, 24, v2 :: v_dual_bitop2_b32 v0, 7, v0 bitop3:0x40
	v_dual_cndmask_b32 v3, v7, v3 :: v_dual_cndmask_b32 v0, v1, v0
	s_delay_alu instid0(VALU_DEP_2) | instskip(NEXT) | instid1(VALU_DEP_2)
	v_and_b32_e32 v1, 0x80000000, v2
	v_lshl_add_u32 v2, v3, 23, 0x3b800000
	s_delay_alu instid0(VALU_DEP_3) | instskip(NEXT) | instid1(VALU_DEP_1)
	v_lshlrev_b32_e32 v0, 20, v0
	v_or3_b32 v0, v1, v2, v0
	s_delay_alu instid0(VALU_DEP_1)
	v_cvt_f64_f32_e32 v[0:1], v0
.LBB119_2074:
	s_or_b32 exec_lo, exec_lo, s18
.LBB119_2075:
	v_mov_b64_e32 v[2:3], 0
	s_mov_b32 s17, -1
.LBB119_2076:
	s_branch .LBB119_1974
.LBB119_2077:
	s_cmp_gt_i32 s15, 22
	s_cbranch_scc0 .LBB119_2087
; %bb.2078:
	s_cmp_lt_i32 s15, 24
	s_cbranch_scc1 .LBB119_2090
; %bb.2079:
	s_cmp_gt_i32 s15, 24
	s_cbranch_scc0 .LBB119_2091
; %bb.2080:
	global_load_u8 v2, v[4:5], off
	s_mov_b32 s17, exec_lo
	s_wait_loadcnt 0x0
	v_cmpx_lt_i16_e32 0x7f, v2
	s_xor_b32 s17, exec_lo, s17
	s_cbranch_execz .LBB119_2103
; %bb.2081:
	s_mov_b32 s14, -1
	s_mov_b32 s18, exec_lo
	v_cmpx_eq_u16_e32 0x80, v2
; %bb.2082:
	s_xor_b32 s14, exec_lo, -1
; %bb.2083:
	s_or_b32 exec_lo, exec_lo, s18
	s_delay_alu instid0(SALU_CYCLE_1)
	s_and_b32 s14, s14, exec_lo
	s_or_saveexec_b32 s17, s17
	v_mov_b64_e32 v[0:1], 0x7ff8000020000000
	s_xor_b32 exec_lo, exec_lo, s17
	s_cbranch_execnz .LBB119_2104
.LBB119_2084:
	s_or_b32 exec_lo, exec_lo, s17
	s_and_saveexec_b32 s17, s14
	s_cbranch_execz .LBB119_2086
.LBB119_2085:
	v_and_b32_e32 v0, 0xffff, v2
	s_delay_alu instid0(VALU_DEP_1) | instskip(SKIP_1) | instid1(VALU_DEP_2)
	v_and_b32_e32 v1, 3, v0
	v_bfe_u32 v7, v0, 2, 5
	v_clz_i32_u32_e32 v3, v1
	s_delay_alu instid0(VALU_DEP_2) | instskip(NEXT) | instid1(VALU_DEP_2)
	v_cmp_eq_u32_e32 vcc_lo, 0, v7
	v_min_u32_e32 v3, 32, v3
	s_delay_alu instid0(VALU_DEP_1) | instskip(NEXT) | instid1(VALU_DEP_1)
	v_subrev_nc_u32_e32 v6, 29, v3
	v_dual_lshlrev_b32 v0, v6, v0 :: v_dual_sub_nc_u32 v3, 30, v3
	s_delay_alu instid0(VALU_DEP_1) | instskip(NEXT) | instid1(VALU_DEP_1)
	v_dual_lshlrev_b32 v2, 24, v2 :: v_dual_bitop2_b32 v0, 3, v0 bitop3:0x40
	v_dual_cndmask_b32 v3, v7, v3 :: v_dual_cndmask_b32 v0, v1, v0
	s_delay_alu instid0(VALU_DEP_2) | instskip(NEXT) | instid1(VALU_DEP_2)
	v_and_b32_e32 v1, 0x80000000, v2
	v_lshl_add_u32 v2, v3, 23, 0x37800000
	s_delay_alu instid0(VALU_DEP_3) | instskip(NEXT) | instid1(VALU_DEP_1)
	v_lshlrev_b32_e32 v0, 21, v0
	v_or3_b32 v0, v1, v2, v0
	s_delay_alu instid0(VALU_DEP_1)
	v_cvt_f64_f32_e32 v[0:1], v0
.LBB119_2086:
	s_or_b32 exec_lo, exec_lo, s17
	s_mov_b32 s14, 0
	s_branch .LBB119_2092
.LBB119_2087:
	s_mov_b32 s14, -1
                                        ; implicit-def: $vgpr0_vgpr1
	s_branch .LBB119_2098
.LBB119_2088:
	s_or_saveexec_b32 s18, s18
	v_mov_b64_e32 v[0:1], 0x7ff8000020000000
	s_xor_b32 exec_lo, exec_lo, s18
	s_cbranch_execz .LBB119_2072
.LBB119_2089:
	v_cmp_ne_u16_e32 vcc_lo, 0, v2
	v_mov_b64_e32 v[0:1], 0
	s_and_not1_b32 s17, s17, exec_lo
	s_and_b32 s19, vcc_lo, exec_lo
	s_delay_alu instid0(SALU_CYCLE_1)
	s_or_b32 s17, s17, s19
	s_or_b32 exec_lo, exec_lo, s18
	s_and_saveexec_b32 s18, s17
	s_cbranch_execnz .LBB119_2073
	s_branch .LBB119_2074
.LBB119_2090:
	s_mov_b32 s14, -1
                                        ; implicit-def: $vgpr0_vgpr1
	s_branch .LBB119_2095
.LBB119_2091:
	s_mov_b32 s14, -1
                                        ; implicit-def: $vgpr0_vgpr1
.LBB119_2092:
	s_delay_alu instid0(SALU_CYCLE_1)
	s_and_b32 vcc_lo, exec_lo, s14
	s_cbranch_vccz .LBB119_2094
; %bb.2093:
	global_load_u8 v0, v[4:5], off
	s_wait_loadcnt 0x0
	v_lshlrev_b32_e32 v0, 24, v0
	s_delay_alu instid0(VALU_DEP_1) | instskip(NEXT) | instid1(VALU_DEP_1)
	v_and_b32_e32 v1, 0x7f000000, v0
	v_clz_i32_u32_e32 v2, v1
	v_cmp_ne_u32_e32 vcc_lo, 0, v1
	v_add_nc_u32_e32 v6, 0x1000000, v1
	s_delay_alu instid0(VALU_DEP_3) | instskip(NEXT) | instid1(VALU_DEP_1)
	v_min_u32_e32 v2, 32, v2
	v_sub_nc_u32_e64 v2, v2, 4 clamp
	s_delay_alu instid0(VALU_DEP_1) | instskip(NEXT) | instid1(VALU_DEP_1)
	v_dual_lshlrev_b32 v3, v2, v1 :: v_dual_lshlrev_b32 v2, 23, v2
	v_lshrrev_b32_e32 v3, 4, v3
	s_delay_alu instid0(VALU_DEP_1) | instskip(SKIP_1) | instid1(VALU_DEP_2)
	v_sub_nc_u32_e32 v2, v3, v2
	v_ashrrev_i32_e32 v3, 8, v6
	v_add_nc_u32_e32 v2, 0x3c000000, v2
	s_delay_alu instid0(VALU_DEP_1) | instskip(NEXT) | instid1(VALU_DEP_1)
	v_and_or_b32 v2, 0x7f800000, v3, v2
	v_cndmask_b32_e32 v1, 0, v2, vcc_lo
	s_delay_alu instid0(VALU_DEP_1) | instskip(NEXT) | instid1(VALU_DEP_1)
	v_and_or_b32 v0, 0x80000000, v0, v1
	v_cvt_f64_f32_e32 v[0:1], v0
.LBB119_2094:
	s_mov_b32 s14, 0
.LBB119_2095:
	s_delay_alu instid0(SALU_CYCLE_1)
	s_and_not1_b32 vcc_lo, exec_lo, s14
	s_cbranch_vccnz .LBB119_2097
; %bb.2096:
	global_load_u8 v0, v[4:5], off
	s_wait_loadcnt 0x0
	v_lshlrev_b32_e32 v1, 25, v0
	v_lshlrev_b16 v0, 8, v0
	s_delay_alu instid0(VALU_DEP_1) | instskip(SKIP_1) | instid1(VALU_DEP_2)
	v_and_or_b32 v3, 0x7f00, v0, 0.5
	v_bfe_i32 v0, v0, 0, 16
	v_dual_add_f32 v3, -0.5, v3 :: v_dual_lshrrev_b32 v2, 4, v1
	v_cmp_gt_u32_e32 vcc_lo, 0x8000000, v1
	s_delay_alu instid0(VALU_DEP_2) | instskip(NEXT) | instid1(VALU_DEP_1)
	v_or_b32_e32 v2, 0x70000000, v2
	v_mul_f32_e32 v2, 0x7800000, v2
	s_delay_alu instid0(VALU_DEP_1) | instskip(NEXT) | instid1(VALU_DEP_1)
	v_cndmask_b32_e32 v1, v2, v3, vcc_lo
	v_and_or_b32 v0, 0x80000000, v0, v1
	s_delay_alu instid0(VALU_DEP_1)
	v_cvt_f64_f32_e32 v[0:1], v0
.LBB119_2097:
	s_mov_b32 s14, 0
	s_mov_b32 s17, -1
.LBB119_2098:
	s_and_not1_b32 vcc_lo, exec_lo, s14
	s_mov_b32 s14, 0
	s_cbranch_vccnz .LBB119_2109
; %bb.2099:
	s_cmp_gt_i32 s15, 14
	s_cbranch_scc0 .LBB119_2102
; %bb.2100:
	s_cmp_eq_u32 s15, 15
	s_cbranch_scc0 .LBB119_2105
; %bb.2101:
	global_load_u16 v0, v[4:5], off
	s_mov_b32 s0, 0
	s_mov_b32 s17, -1
	s_wait_loadcnt 0x0
	v_lshlrev_b32_e32 v0, 16, v0
	s_delay_alu instid0(VALU_DEP_1)
	v_cvt_f64_f32_e32 v[0:1], v0
	s_branch .LBB119_2107
.LBB119_2102:
	s_mov_b32 s14, -1
	s_branch .LBB119_2106
.LBB119_2103:
	s_or_saveexec_b32 s17, s17
	v_mov_b64_e32 v[0:1], 0x7ff8000020000000
	s_xor_b32 exec_lo, exec_lo, s17
	s_cbranch_execz .LBB119_2084
.LBB119_2104:
	v_cmp_ne_u16_e32 vcc_lo, 0, v2
	v_mov_b64_e32 v[0:1], 0
	s_and_not1_b32 s14, s14, exec_lo
	s_and_b32 s18, vcc_lo, exec_lo
	s_delay_alu instid0(SALU_CYCLE_1)
	s_or_b32 s14, s14, s18
	s_or_b32 exec_lo, exec_lo, s17
	s_and_saveexec_b32 s17, s14
	s_cbranch_execnz .LBB119_2085
	s_branch .LBB119_2086
.LBB119_2105:
	s_mov_b32 s0, -1
.LBB119_2106:
                                        ; implicit-def: $vgpr0_vgpr1
.LBB119_2107:
	s_and_b32 vcc_lo, exec_lo, s14
	s_mov_b32 s14, 0
	s_cbranch_vccz .LBB119_2109
; %bb.2108:
	s_cmp_lg_u32 s15, 11
	s_mov_b32 s14, -1
	s_cselect_b32 s0, -1, 0
.LBB119_2109:
	v_mov_b64_e32 v[2:3], 0
	s_and_b32 vcc_lo, exec_lo, s0
	s_cbranch_vccz .LBB119_1975
.LBB119_2110:
	s_or_b32 s1, s1, exec_lo
	s_trap 2
	s_cbranch_execz .LBB119_1976
	s_branch .LBB119_1977
.LBB119_2111:
	s_mov_b32 s0, -1
	s_mov_b32 s17, 0
.LBB119_2112:
                                        ; implicit-def: $vgpr6_vgpr7
.LBB119_2113:
	s_and_b32 vcc_lo, exec_lo, s18
	s_cbranch_vccz .LBB119_2118
; %bb.2114:
	s_cmp_eq_u32 s16, 44
	s_cbranch_scc0 .LBB119_2116
; %bb.2115:
	global_load_u8 v6, v[24:25], off
	s_mov_b32 s0, 0
	s_mov_b32 s17, -1
	s_wait_loadcnt 0x0
	v_cmp_ne_u32_e32 vcc_lo, 0xff, v6
	s_wait_xcnt 0x1
	v_lshlrev_b32_e32 v4, 23, v6
	s_delay_alu instid0(VALU_DEP_1) | instskip(NEXT) | instid1(VALU_DEP_1)
	v_cvt_f64_f32_e32 v[4:5], v4
	v_cndmask_b32_e32 v4, 0x20000000, v4, vcc_lo
	s_delay_alu instid0(VALU_DEP_2) | instskip(SKIP_1) | instid1(VALU_DEP_2)
	v_cndmask_b32_e32 v5, 0x7ff80000, v5, vcc_lo
	v_cmp_ne_u32_e32 vcc_lo, 0, v6
	v_cndmask_b32_e32 v5, 0x38000000, v5, vcc_lo
	s_delay_alu instid0(VALU_DEP_4)
	v_cndmask_b32_e32 v4, 0, v4, vcc_lo
	s_branch .LBB119_2117
.LBB119_2116:
	s_mov_b32 s0, -1
                                        ; implicit-def: $vgpr4_vgpr5
.LBB119_2117:
	v_mov_b64_e32 v[6:7], 0
.LBB119_2118:
	s_mov_b32 s18, 0
.LBB119_2119:
	s_delay_alu instid0(SALU_CYCLE_1)
	s_and_b32 vcc_lo, exec_lo, s18
	s_cbranch_vccz .LBB119_2124
; %bb.2120:
	s_cmp_eq_u32 s16, 29
	s_cbranch_scc0 .LBB119_2122
; %bb.2121:
	global_load_b64 v[4:5], v[24:25], off
	s_mov_b32 s0, 0
	s_mov_b32 s17, -1
	s_wait_loadcnt 0x0
	v_cvt_f64_u32_e32 v[6:7], v5
	v_cvt_f64_u32_e32 v[4:5], v4
	s_delay_alu instid0(VALU_DEP_2) | instskip(NEXT) | instid1(VALU_DEP_1)
	v_ldexp_f64 v[6:7], v[6:7], 32
	v_add_f64_e32 v[4:5], v[6:7], v[4:5]
	s_branch .LBB119_2123
.LBB119_2122:
	s_mov_b32 s0, -1
                                        ; implicit-def: $vgpr4_vgpr5
.LBB119_2123:
	v_mov_b64_e32 v[6:7], 0
.LBB119_2124:
	s_mov_b32 s18, 0
.LBB119_2125:
	s_delay_alu instid0(SALU_CYCLE_1)
	s_and_b32 vcc_lo, exec_lo, s18
	s_cbranch_vccz .LBB119_2143
; %bb.2126:
	s_cmp_lt_i32 s16, 27
	s_cbranch_scc1 .LBB119_2129
; %bb.2127:
	s_cmp_gt_i32 s16, 27
	s_cbranch_scc0 .LBB119_2130
; %bb.2128:
	global_load_b32 v4, v[24:25], off
	s_mov_b32 s17, 0
	s_wait_loadcnt 0x0
	v_cvt_f64_u32_e32 v[4:5], v4
	s_branch .LBB119_2131
.LBB119_2129:
	s_mov_b32 s17, -1
                                        ; implicit-def: $vgpr4_vgpr5
	s_branch .LBB119_2134
.LBB119_2130:
	s_mov_b32 s17, -1
                                        ; implicit-def: $vgpr4_vgpr5
.LBB119_2131:
	s_delay_alu instid0(SALU_CYCLE_1)
	s_and_not1_b32 vcc_lo, exec_lo, s17
	s_cbranch_vccnz .LBB119_2133
; %bb.2132:
	global_load_u16 v4, v[24:25], off
	s_wait_loadcnt 0x0
	v_cvt_f64_u32_e32 v[4:5], v4
.LBB119_2133:
	s_mov_b32 s17, 0
.LBB119_2134:
	s_delay_alu instid0(SALU_CYCLE_1)
	s_and_not1_b32 vcc_lo, exec_lo, s17
	s_cbranch_vccnz .LBB119_2142
; %bb.2135:
	global_load_u8 v6, v[24:25], off
	s_mov_b32 s17, 0
	s_mov_b32 s18, exec_lo
	s_wait_loadcnt 0x0
	v_cmpx_lt_i16_e32 0x7f, v6
	s_xor_b32 s18, exec_lo, s18
	s_cbranch_execz .LBB119_2168
; %bb.2136:
	s_mov_b32 s17, -1
	s_mov_b32 s19, exec_lo
	v_cmpx_eq_u16_e32 0x80, v6
; %bb.2137:
	s_xor_b32 s17, exec_lo, -1
; %bb.2138:
	s_or_b32 exec_lo, exec_lo, s19
	s_delay_alu instid0(SALU_CYCLE_1)
	s_and_b32 s17, s17, exec_lo
	s_or_saveexec_b32 s18, s18
	v_mov_b64_e32 v[4:5], 0x7ff8000020000000
	s_xor_b32 exec_lo, exec_lo, s18
	s_cbranch_execnz .LBB119_2169
.LBB119_2139:
	s_or_b32 exec_lo, exec_lo, s18
	s_and_saveexec_b32 s18, s17
	s_cbranch_execz .LBB119_2141
.LBB119_2140:
	v_and_b32_e32 v4, 0xffff, v6
	s_delay_alu instid0(VALU_DEP_1) | instskip(SKIP_1) | instid1(VALU_DEP_2)
	v_and_b32_e32 v5, 7, v4
	v_bfe_u32 v11, v4, 3, 4
	v_clz_i32_u32_e32 v7, v5
	s_delay_alu instid0(VALU_DEP_2) | instskip(NEXT) | instid1(VALU_DEP_2)
	v_cmp_eq_u32_e32 vcc_lo, 0, v11
	v_min_u32_e32 v7, 32, v7
	s_delay_alu instid0(VALU_DEP_1) | instskip(NEXT) | instid1(VALU_DEP_1)
	v_subrev_nc_u32_e32 v9, 28, v7
	v_dual_lshlrev_b32 v4, v9, v4 :: v_dual_sub_nc_u32 v7, 29, v7
	s_delay_alu instid0(VALU_DEP_1) | instskip(NEXT) | instid1(VALU_DEP_1)
	v_dual_lshlrev_b32 v6, 24, v6 :: v_dual_bitop2_b32 v4, 7, v4 bitop3:0x40
	v_dual_cndmask_b32 v7, v11, v7 :: v_dual_cndmask_b32 v4, v5, v4
	s_delay_alu instid0(VALU_DEP_2) | instskip(NEXT) | instid1(VALU_DEP_2)
	v_and_b32_e32 v5, 0x80000000, v6
	v_lshl_add_u32 v6, v7, 23, 0x3b800000
	s_delay_alu instid0(VALU_DEP_3) | instskip(NEXT) | instid1(VALU_DEP_1)
	v_lshlrev_b32_e32 v4, 20, v4
	v_or3_b32 v4, v5, v6, v4
	s_delay_alu instid0(VALU_DEP_1)
	v_cvt_f64_f32_e32 v[4:5], v4
.LBB119_2141:
	s_or_b32 exec_lo, exec_lo, s18
.LBB119_2142:
	v_mov_b64_e32 v[6:7], 0
	s_mov_b32 s17, -1
.LBB119_2143:
	s_mov_b32 s18, 0
.LBB119_2144:
	s_delay_alu instid0(SALU_CYCLE_1)
	s_and_b32 vcc_lo, exec_lo, s18
	s_cbranch_vccz .LBB119_2155
; %bb.2145:
	s_cmp_gt_i32 s16, 22
	s_cbranch_scc0 .LBB119_2166
; %bb.2146:
	s_cmp_lt_i32 s16, 24
	s_cbranch_scc1 .LBB119_2170
; %bb.2147:
	s_cmp_gt_i32 s16, 24
	s_cbranch_scc0 .LBB119_2172
; %bb.2148:
	global_load_u8 v6, v[24:25], off
	s_mov_b32 s17, exec_lo
	s_wait_loadcnt 0x0
	v_cmpx_lt_i16_e32 0x7f, v6
	s_xor_b32 s17, exec_lo, s17
	s_cbranch_execz .LBB119_2184
; %bb.2149:
	s_mov_b32 s14, -1
	s_mov_b32 s18, exec_lo
	v_cmpx_eq_u16_e32 0x80, v6
; %bb.2150:
	s_xor_b32 s14, exec_lo, -1
; %bb.2151:
	s_or_b32 exec_lo, exec_lo, s18
	s_delay_alu instid0(SALU_CYCLE_1)
	s_and_b32 s14, s14, exec_lo
	s_or_saveexec_b32 s17, s17
	v_mov_b64_e32 v[4:5], 0x7ff8000020000000
	s_xor_b32 exec_lo, exec_lo, s17
	s_cbranch_execnz .LBB119_2185
.LBB119_2152:
	s_or_b32 exec_lo, exec_lo, s17
	s_and_saveexec_b32 s17, s14
	s_cbranch_execz .LBB119_2154
.LBB119_2153:
	v_and_b32_e32 v4, 0xffff, v6
	s_delay_alu instid0(VALU_DEP_1) | instskip(SKIP_1) | instid1(VALU_DEP_2)
	v_and_b32_e32 v5, 3, v4
	v_bfe_u32 v11, v4, 2, 5
	v_clz_i32_u32_e32 v7, v5
	s_delay_alu instid0(VALU_DEP_2) | instskip(NEXT) | instid1(VALU_DEP_2)
	v_cmp_eq_u32_e32 vcc_lo, 0, v11
	v_min_u32_e32 v7, 32, v7
	s_delay_alu instid0(VALU_DEP_1) | instskip(NEXT) | instid1(VALU_DEP_1)
	v_subrev_nc_u32_e32 v9, 29, v7
	v_dual_lshlrev_b32 v4, v9, v4 :: v_dual_sub_nc_u32 v7, 30, v7
	s_delay_alu instid0(VALU_DEP_1) | instskip(NEXT) | instid1(VALU_DEP_1)
	v_dual_lshlrev_b32 v6, 24, v6 :: v_dual_bitop2_b32 v4, 3, v4 bitop3:0x40
	v_dual_cndmask_b32 v7, v11, v7 :: v_dual_cndmask_b32 v4, v5, v4
	s_delay_alu instid0(VALU_DEP_2) | instskip(NEXT) | instid1(VALU_DEP_2)
	v_and_b32_e32 v5, 0x80000000, v6
	v_lshl_add_u32 v6, v7, 23, 0x37800000
	s_delay_alu instid0(VALU_DEP_3) | instskip(NEXT) | instid1(VALU_DEP_1)
	v_lshlrev_b32_e32 v4, 21, v4
	v_or3_b32 v4, v5, v6, v4
	s_delay_alu instid0(VALU_DEP_1)
	v_cvt_f64_f32_e32 v[4:5], v4
.LBB119_2154:
	s_or_b32 exec_lo, exec_lo, s17
	s_mov_b32 s14, 0
	s_branch .LBB119_2173
.LBB119_2155:
	s_and_b32 vcc_lo, exec_lo, s0
	s_cbranch_vccnz .LBB119_2203
.LBB119_2156:
	s_and_not1_b32 vcc_lo, exec_lo, s14
	s_cbranch_vccnz .LBB119_2158
.LBB119_2157:
	global_load_u8 v4, v[24:25], off
	v_mov_b64_e32 v[6:7], 0
	s_mov_b32 s17, -1
	s_wait_loadcnt 0x0
	v_cmp_ne_u16_e32 vcc_lo, 0, v4
	v_mov_b32_e32 v4, 0
	v_cndmask_b32_e64 v5, 0, 0x3ff00000, vcc_lo
.LBB119_2158:
	s_mov_b32 s0, 0
.LBB119_2159:
	s_delay_alu instid0(SALU_CYCLE_1)
	s_and_b32 vcc_lo, exec_lo, s0
	s_cbranch_vccz .LBB119_2234
; %bb.2160:
	s_cmp_lt_i32 s16, 5
	s_cbranch_scc1 .LBB119_2165
; %bb.2161:
	s_cmp_lt_i32 s16, 8
	s_cbranch_scc1 .LBB119_2167
	;; [unrolled: 3-line block ×3, first 2 shown]
; %bb.2163:
	s_cmp_gt_i32 s16, 9
	s_cbranch_scc0 .LBB119_2186
; %bb.2164:
	global_load_b128 v[4:7], v[24:25], off
	s_mov_b32 s0, 0
	s_branch .LBB119_2187
.LBB119_2165:
	s_mov_b32 s0, -1
                                        ; implicit-def: $vgpr6_vgpr7
	s_branch .LBB119_2212
.LBB119_2166:
	s_mov_b32 s14, -1
                                        ; implicit-def: $vgpr4_vgpr5
	s_branch .LBB119_2179
.LBB119_2167:
	s_mov_b32 s0, -1
                                        ; implicit-def: $vgpr6_vgpr7
	s_branch .LBB119_2193
.LBB119_2168:
	s_or_saveexec_b32 s18, s18
	v_mov_b64_e32 v[4:5], 0x7ff8000020000000
	s_xor_b32 exec_lo, exec_lo, s18
	s_cbranch_execz .LBB119_2139
.LBB119_2169:
	v_cmp_ne_u16_e32 vcc_lo, 0, v6
	v_mov_b64_e32 v[4:5], 0
	s_and_not1_b32 s17, s17, exec_lo
	s_and_b32 s19, vcc_lo, exec_lo
	s_delay_alu instid0(SALU_CYCLE_1)
	s_or_b32 s17, s17, s19
	s_or_b32 exec_lo, exec_lo, s18
	s_and_saveexec_b32 s18, s17
	s_cbranch_execnz .LBB119_2140
	s_branch .LBB119_2141
.LBB119_2170:
	s_mov_b32 s14, -1
                                        ; implicit-def: $vgpr4_vgpr5
	s_branch .LBB119_2176
.LBB119_2171:
	s_mov_b32 s0, -1
                                        ; implicit-def: $vgpr6_vgpr7
	s_branch .LBB119_2190
.LBB119_2172:
	s_mov_b32 s14, -1
                                        ; implicit-def: $vgpr4_vgpr5
.LBB119_2173:
	s_delay_alu instid0(SALU_CYCLE_1)
	s_and_b32 vcc_lo, exec_lo, s14
	s_cbranch_vccz .LBB119_2175
; %bb.2174:
	global_load_u8 v4, v[24:25], off
	s_wait_loadcnt 0x0
	v_lshlrev_b32_e32 v4, 24, v4
	s_delay_alu instid0(VALU_DEP_1) | instskip(NEXT) | instid1(VALU_DEP_1)
	v_and_b32_e32 v5, 0x7f000000, v4
	v_clz_i32_u32_e32 v6, v5
	v_add_nc_u32_e32 v9, 0x1000000, v5
	v_cmp_ne_u32_e32 vcc_lo, 0, v5
	s_delay_alu instid0(VALU_DEP_3) | instskip(NEXT) | instid1(VALU_DEP_1)
	v_min_u32_e32 v6, 32, v6
	v_sub_nc_u32_e64 v6, v6, 4 clamp
	s_delay_alu instid0(VALU_DEP_1) | instskip(NEXT) | instid1(VALU_DEP_1)
	v_dual_lshlrev_b32 v7, v6, v5 :: v_dual_lshlrev_b32 v6, 23, v6
	v_lshrrev_b32_e32 v7, 4, v7
	s_delay_alu instid0(VALU_DEP_1) | instskip(NEXT) | instid1(VALU_DEP_1)
	v_dual_sub_nc_u32 v6, v7, v6 :: v_dual_ashrrev_i32 v7, 8, v9
	v_add_nc_u32_e32 v6, 0x3c000000, v6
	s_delay_alu instid0(VALU_DEP_1) | instskip(NEXT) | instid1(VALU_DEP_1)
	v_and_or_b32 v6, 0x7f800000, v7, v6
	v_cndmask_b32_e32 v5, 0, v6, vcc_lo
	s_delay_alu instid0(VALU_DEP_1) | instskip(NEXT) | instid1(VALU_DEP_1)
	v_and_or_b32 v4, 0x80000000, v4, v5
	v_cvt_f64_f32_e32 v[4:5], v4
.LBB119_2175:
	s_mov_b32 s14, 0
.LBB119_2176:
	s_delay_alu instid0(SALU_CYCLE_1)
	s_and_not1_b32 vcc_lo, exec_lo, s14
	s_cbranch_vccnz .LBB119_2178
; %bb.2177:
	global_load_u8 v4, v[24:25], off
	s_wait_loadcnt 0x0
	v_lshlrev_b32_e32 v5, 25, v4
	v_lshlrev_b16 v4, 8, v4
	s_delay_alu instid0(VALU_DEP_1) | instskip(SKIP_1) | instid1(VALU_DEP_2)
	v_and_or_b32 v7, 0x7f00, v4, 0.5
	v_bfe_i32 v4, v4, 0, 16
	v_dual_add_f32 v7, -0.5, v7 :: v_dual_lshrrev_b32 v6, 4, v5
	v_cmp_gt_u32_e32 vcc_lo, 0x8000000, v5
	s_delay_alu instid0(VALU_DEP_2) | instskip(NEXT) | instid1(VALU_DEP_1)
	v_or_b32_e32 v6, 0x70000000, v6
	v_mul_f32_e32 v6, 0x7800000, v6
	s_delay_alu instid0(VALU_DEP_1) | instskip(NEXT) | instid1(VALU_DEP_1)
	v_cndmask_b32_e32 v5, v6, v7, vcc_lo
	v_and_or_b32 v4, 0x80000000, v4, v5
	s_delay_alu instid0(VALU_DEP_1)
	v_cvt_f64_f32_e32 v[4:5], v4
.LBB119_2178:
	s_mov_b32 s14, 0
	s_mov_b32 s17, -1
.LBB119_2179:
	s_and_not1_b32 vcc_lo, exec_lo, s14
	s_mov_b32 s14, 0
	s_cbranch_vccnz .LBB119_2202
; %bb.2180:
	s_cmp_gt_i32 s16, 14
	s_cbranch_scc0 .LBB119_2183
; %bb.2181:
	s_cmp_eq_u32 s16, 15
	s_cbranch_scc0 .LBB119_2198
; %bb.2182:
	global_load_u16 v4, v[24:25], off
	s_mov_b32 s0, 0
	s_mov_b32 s17, -1
	s_wait_loadcnt 0x0
	v_lshlrev_b32_e32 v4, 16, v4
	s_delay_alu instid0(VALU_DEP_1)
	v_cvt_f64_f32_e32 v[4:5], v4
	s_branch .LBB119_2200
.LBB119_2183:
	s_mov_b32 s14, -1
	s_branch .LBB119_2199
.LBB119_2184:
	s_or_saveexec_b32 s17, s17
	v_mov_b64_e32 v[4:5], 0x7ff8000020000000
	s_xor_b32 exec_lo, exec_lo, s17
	s_cbranch_execz .LBB119_2152
.LBB119_2185:
	v_cmp_ne_u16_e32 vcc_lo, 0, v6
	v_mov_b64_e32 v[4:5], 0
	s_and_not1_b32 s14, s14, exec_lo
	s_and_b32 s18, vcc_lo, exec_lo
	s_delay_alu instid0(SALU_CYCLE_1)
	s_or_b32 s14, s14, s18
	s_or_b32 exec_lo, exec_lo, s17
	s_and_saveexec_b32 s17, s14
	s_cbranch_execnz .LBB119_2153
	s_branch .LBB119_2154
.LBB119_2186:
	s_mov_b32 s0, -1
                                        ; implicit-def: $vgpr6_vgpr7
.LBB119_2187:
	s_delay_alu instid0(SALU_CYCLE_1)
	s_and_not1_b32 vcc_lo, exec_lo, s0
	s_cbranch_vccnz .LBB119_2189
; %bb.2188:
	s_wait_loadcnt 0x0
	global_load_b64 v[6:7], v[24:25], off
	s_wait_loadcnt 0x0
	s_wait_xcnt 0x1
	v_cvt_f64_f32_e32 v[4:5], v6
	v_cvt_f64_f32_e32 v[6:7], v7
.LBB119_2189:
	s_mov_b32 s0, 0
.LBB119_2190:
	s_delay_alu instid0(SALU_CYCLE_1)
	s_and_not1_b32 vcc_lo, exec_lo, s0
	s_cbranch_vccnz .LBB119_2192
; %bb.2191:
	s_wait_loadcnt 0x0
	global_load_b32 v4, v[24:25], off
	s_wait_loadcnt 0x0
	v_lshrrev_b32_e32 v5, 16, v4
	v_cvt_f32_f16_e32 v4, v4
	s_delay_alu instid0(VALU_DEP_2) | instskip(NEXT) | instid1(VALU_DEP_2)
	v_cvt_f32_f16_e32 v6, v5
	v_cvt_f64_f32_e32 v[4:5], v4
	s_delay_alu instid0(VALU_DEP_2)
	v_cvt_f64_f32_e32 v[6:7], v6
.LBB119_2192:
	s_mov_b32 s0, 0
.LBB119_2193:
	s_delay_alu instid0(SALU_CYCLE_1)
	s_and_not1_b32 vcc_lo, exec_lo, s0
	s_cbranch_vccnz .LBB119_2211
; %bb.2194:
	s_cmp_lt_i32 s16, 6
	s_cbranch_scc1 .LBB119_2197
; %bb.2195:
	s_cmp_gt_i32 s16, 6
	s_cbranch_scc0 .LBB119_2204
; %bb.2196:
	s_wait_loadcnt 0x0
	global_load_b64 v[4:5], v[24:25], off
	s_mov_b32 s0, 0
	s_branch .LBB119_2205
.LBB119_2197:
	s_mov_b32 s0, -1
                                        ; implicit-def: $vgpr4_vgpr5
	s_branch .LBB119_2208
.LBB119_2198:
	s_mov_b32 s0, -1
.LBB119_2199:
                                        ; implicit-def: $vgpr4_vgpr5
.LBB119_2200:
	s_and_b32 vcc_lo, exec_lo, s14
	s_mov_b32 s14, 0
	s_cbranch_vccz .LBB119_2202
; %bb.2201:
	s_cmp_lg_u32 s16, 11
	s_mov_b32 s14, -1
	s_cselect_b32 s0, -1, 0
.LBB119_2202:
	v_mov_b64_e32 v[6:7], 0
	s_and_b32 vcc_lo, exec_lo, s0
	s_cbranch_vccz .LBB119_2156
.LBB119_2203:
	s_or_b32 s1, s1, exec_lo
	s_trap 2
	s_cbranch_execz .LBB119_2157
	s_branch .LBB119_2158
.LBB119_2204:
	s_mov_b32 s0, -1
                                        ; implicit-def: $vgpr4_vgpr5
.LBB119_2205:
	s_delay_alu instid0(SALU_CYCLE_1)
	s_and_not1_b32 vcc_lo, exec_lo, s0
	s_cbranch_vccnz .LBB119_2207
; %bb.2206:
	s_wait_loadcnt 0x0
	global_load_b32 v4, v[24:25], off
	s_wait_loadcnt 0x0
	v_cvt_f64_f32_e32 v[4:5], v4
.LBB119_2207:
	s_mov_b32 s0, 0
.LBB119_2208:
	s_delay_alu instid0(SALU_CYCLE_1)
	s_and_not1_b32 vcc_lo, exec_lo, s0
	s_cbranch_vccnz .LBB119_2210
; %bb.2209:
	s_wait_loadcnt 0x0
	global_load_u16 v4, v[24:25], off
	s_wait_loadcnt 0x0
	v_cvt_f32_f16_e32 v4, v4
	s_delay_alu instid0(VALU_DEP_1)
	v_cvt_f64_f32_e32 v[4:5], v4
.LBB119_2210:
	s_wait_loadcnt 0x0
	v_mov_b64_e32 v[6:7], 0
.LBB119_2211:
	s_mov_b32 s0, 0
.LBB119_2212:
	s_delay_alu instid0(SALU_CYCLE_1)
	s_and_not1_b32 vcc_lo, exec_lo, s0
	s_cbranch_vccnz .LBB119_2233
; %bb.2213:
	s_cmp_lt_i32 s16, 2
	s_cbranch_scc1 .LBB119_2217
; %bb.2214:
	s_cmp_lt_i32 s16, 3
	s_cbranch_scc1 .LBB119_2218
; %bb.2215:
	s_cmp_gt_i32 s16, 3
	s_cbranch_scc0 .LBB119_2219
; %bb.2216:
	s_wait_loadcnt 0x0
	global_load_b64 v[4:5], v[24:25], off
	s_mov_b32 s0, 0
	s_wait_loadcnt 0x0
	v_cvt_f64_i32_e32 v[6:7], v5
	v_cvt_f64_u32_e32 v[4:5], v4
	s_delay_alu instid0(VALU_DEP_2) | instskip(NEXT) | instid1(VALU_DEP_1)
	v_ldexp_f64 v[6:7], v[6:7], 32
	v_add_f64_e32 v[4:5], v[6:7], v[4:5]
	s_branch .LBB119_2220
.LBB119_2217:
	s_mov_b32 s0, -1
                                        ; implicit-def: $vgpr4_vgpr5
	s_branch .LBB119_2226
.LBB119_2218:
	s_mov_b32 s0, -1
                                        ; implicit-def: $vgpr4_vgpr5
	s_branch .LBB119_2223
.LBB119_2219:
	s_mov_b32 s0, -1
                                        ; implicit-def: $vgpr4_vgpr5
.LBB119_2220:
	s_delay_alu instid0(SALU_CYCLE_1)
	s_and_not1_b32 vcc_lo, exec_lo, s0
	s_cbranch_vccnz .LBB119_2222
; %bb.2221:
	s_wait_loadcnt 0x0
	global_load_b32 v4, v[24:25], off
	s_wait_loadcnt 0x0
	v_cvt_f64_i32_e32 v[4:5], v4
.LBB119_2222:
	s_mov_b32 s0, 0
.LBB119_2223:
	s_delay_alu instid0(SALU_CYCLE_1)
	s_and_not1_b32 vcc_lo, exec_lo, s0
	s_cbranch_vccnz .LBB119_2225
; %bb.2224:
	s_wait_loadcnt 0x0
	global_load_i16 v4, v[24:25], off
	s_wait_loadcnt 0x0
	v_cvt_f64_i32_e32 v[4:5], v4
.LBB119_2225:
	s_mov_b32 s0, 0
.LBB119_2226:
	s_delay_alu instid0(SALU_CYCLE_1)
	s_and_not1_b32 vcc_lo, exec_lo, s0
	s_cbranch_vccnz .LBB119_2232
; %bb.2227:
	s_cmp_gt_i32 s16, 0
	s_mov_b32 s0, 0
	s_cbranch_scc0 .LBB119_2229
; %bb.2228:
	s_wait_loadcnt 0x0
	global_load_i8 v4, v[24:25], off
	s_wait_loadcnt 0x0
	v_cvt_f64_i32_e32 v[4:5], v4
	s_branch .LBB119_2230
.LBB119_2229:
	s_mov_b32 s0, -1
                                        ; implicit-def: $vgpr4_vgpr5
.LBB119_2230:
	s_delay_alu instid0(SALU_CYCLE_1)
	s_and_not1_b32 vcc_lo, exec_lo, s0
	s_cbranch_vccnz .LBB119_2232
; %bb.2231:
	s_wait_loadcnt 0x0
	global_load_u8 v4, v[24:25], off
	s_wait_loadcnt 0x0
	v_cvt_f64_u32_e32 v[4:5], v4
.LBB119_2232:
	s_wait_loadcnt 0x0
	v_mov_b64_e32 v[6:7], 0
.LBB119_2233:
	s_mov_b32 s17, -1
.LBB119_2234:
	s_delay_alu instid0(SALU_CYCLE_1)
	s_and_not1_b32 vcc_lo, exec_lo, s17
	s_cbranch_vccnz .LBB119_2793
; %bb.2235:
	s_and_b32 vcc_lo, exec_lo, s13
	s_cbranch_vccz .LBB119_2237
; %bb.2236:
	s_wait_loadcnt 0x0
	s_delay_alu instid0(VALU_DEP_1) | instskip(NEXT) | instid1(VALU_DEP_2)
	v_cmp_neq_f64_e32 vcc_lo, v[0:1], v[4:5]
	v_cmp_neq_f64_e64 s0, v[2:3], v[6:7]
	s_or_b32 s14, vcc_lo, s0
	s_mov_b32 s0, 0
	s_branch .LBB119_2238
.LBB119_2237:
	s_mov_b32 s0, -1
                                        ; implicit-def: $sgpr14
.LBB119_2238:
	s_delay_alu instid0(SALU_CYCLE_1)
	s_and_not1_b32 vcc_lo, exec_lo, s0
	s_cbranch_vccnz .LBB119_2240
; %bb.2239:
	s_wait_loadcnt 0x0
	s_delay_alu instid0(VALU_DEP_1) | instskip(NEXT) | instid1(VALU_DEP_2)
	v_cmp_eq_f64_e32 vcc_lo, v[0:1], v[4:5]
	v_cmp_eq_f64_e64 s0, v[2:3], v[6:7]
	s_and_not1_b32 s14, s14, exec_lo
	s_and_b32 s0, vcc_lo, s0
	s_delay_alu instid0(SALU_CYCLE_1) | instskip(NEXT) | instid1(SALU_CYCLE_1)
	s_and_b32 s0, s0, exec_lo
	s_or_b32 s14, s14, s0
.LBB119_2240:
	v_mov_b32_e32 v23, 0
	s_cmp_lt_i32 s15, 11
	s_wait_loadcnt 0x0
	s_delay_alu instid0(VALU_DEP_1)
	v_add_nc_u64_e32 v[4:5], s[6:7], v[22:23]
	s_cbranch_scc1 .LBB119_2247
; %bb.2241:
	s_cmp_gt_i32 s15, 25
	s_mov_b32 s17, 0
	s_cbranch_scc0 .LBB119_2248
; %bb.2242:
	s_cmp_gt_i32 s15, 28
	s_cbranch_scc0 .LBB119_2249
; %bb.2243:
	s_cmp_gt_i32 s15, 43
	;; [unrolled: 3-line block ×3, first 2 shown]
	s_cbranch_scc0 .LBB119_2251
; %bb.2245:
	s_cmp_eq_u32 s15, 46
	s_mov_b32 s19, 0
	s_cbranch_scc0 .LBB119_2252
; %bb.2246:
	global_load_b32 v0, v[4:5], off
	s_mov_b32 s0, 0
	s_mov_b32 s18, -1
	s_wait_loadcnt 0x0
	v_lshlrev_b32_e32 v1, 16, v0
	v_and_b32_e32 v2, 0xffff0000, v0
	s_delay_alu instid0(VALU_DEP_2) | instskip(NEXT) | instid1(VALU_DEP_2)
	v_cvt_f64_f32_e32 v[0:1], v1
	v_cvt_f64_f32_e32 v[2:3], v2
	s_branch .LBB119_2254
.LBB119_2247:
	s_mov_b32 s0, -1
	s_mov_b32 s18, 0
                                        ; implicit-def: $vgpr2_vgpr3
	s_branch .LBB119_2300
.LBB119_2248:
	s_mov_b32 s19, -1
	s_mov_b32 s18, 0
	s_mov_b32 s0, 0
                                        ; implicit-def: $vgpr2_vgpr3
	s_branch .LBB119_2285
.LBB119_2249:
	s_mov_b32 s19, -1
	s_mov_b32 s18, 0
	s_mov_b32 s0, 0
                                        ; implicit-def: $vgpr2_vgpr3
	s_branch .LBB119_2266
.LBB119_2250:
	s_mov_b32 s19, -1
	s_mov_b32 s18, 0
	s_mov_b32 s0, 0
                                        ; implicit-def: $vgpr2_vgpr3
	s_branch .LBB119_2260
.LBB119_2251:
	s_mov_b32 s19, -1
	s_mov_b32 s18, 0
	s_mov_b32 s0, 0
	s_branch .LBB119_2253
.LBB119_2252:
	s_mov_b32 s0, -1
	s_mov_b32 s18, 0
.LBB119_2253:
                                        ; implicit-def: $vgpr2_vgpr3
.LBB119_2254:
	s_and_b32 vcc_lo, exec_lo, s19
	s_cbranch_vccz .LBB119_2259
; %bb.2255:
	s_cmp_eq_u32 s15, 44
	s_cbranch_scc0 .LBB119_2257
; %bb.2256:
	global_load_u8 v2, v[4:5], off
	s_mov_b32 s0, 0
	s_mov_b32 s18, -1
	s_wait_loadcnt 0x0
	v_cmp_ne_u32_e32 vcc_lo, 0xff, v2
	v_lshlrev_b32_e32 v0, 23, v2
	s_delay_alu instid0(VALU_DEP_1) | instskip(NEXT) | instid1(VALU_DEP_1)
	v_cvt_f64_f32_e32 v[0:1], v0
	v_cndmask_b32_e32 v0, 0x20000000, v0, vcc_lo
	s_delay_alu instid0(VALU_DEP_2) | instskip(SKIP_1) | instid1(VALU_DEP_2)
	v_cndmask_b32_e32 v1, 0x7ff80000, v1, vcc_lo
	v_cmp_ne_u32_e32 vcc_lo, 0, v2
	v_cndmask_b32_e32 v1, 0x38000000, v1, vcc_lo
	s_delay_alu instid0(VALU_DEP_4)
	v_cndmask_b32_e32 v0, 0, v0, vcc_lo
	s_branch .LBB119_2258
.LBB119_2257:
	s_mov_b32 s0, -1
                                        ; implicit-def: $vgpr0_vgpr1
.LBB119_2258:
	v_mov_b64_e32 v[2:3], 0
.LBB119_2259:
	s_mov_b32 s19, 0
.LBB119_2260:
	s_delay_alu instid0(SALU_CYCLE_1)
	s_and_b32 vcc_lo, exec_lo, s19
	s_cbranch_vccz .LBB119_2265
; %bb.2261:
	s_cmp_eq_u32 s15, 29
	s_cbranch_scc0 .LBB119_2263
; %bb.2262:
	global_load_b64 v[0:1], v[4:5], off
	s_mov_b32 s0, 0
	s_mov_b32 s18, -1
	s_wait_loadcnt 0x0
	v_cvt_f64_u32_e32 v[2:3], v1
	v_cvt_f64_u32_e32 v[0:1], v0
	s_delay_alu instid0(VALU_DEP_2) | instskip(NEXT) | instid1(VALU_DEP_1)
	v_ldexp_f64 v[2:3], v[2:3], 32
	v_add_f64_e32 v[0:1], v[2:3], v[0:1]
	s_branch .LBB119_2264
.LBB119_2263:
	s_mov_b32 s0, -1
                                        ; implicit-def: $vgpr0_vgpr1
.LBB119_2264:
	v_mov_b64_e32 v[2:3], 0
.LBB119_2265:
	s_mov_b32 s19, 0
.LBB119_2266:
	s_delay_alu instid0(SALU_CYCLE_1)
	s_and_b32 vcc_lo, exec_lo, s19
	s_cbranch_vccz .LBB119_2284
; %bb.2267:
	s_cmp_lt_i32 s15, 27
	s_cbranch_scc1 .LBB119_2270
; %bb.2268:
	s_cmp_gt_i32 s15, 27
	s_cbranch_scc0 .LBB119_2271
; %bb.2269:
	global_load_b32 v0, v[4:5], off
	s_mov_b32 s18, 0
	s_wait_loadcnt 0x0
	v_cvt_f64_u32_e32 v[0:1], v0
	s_branch .LBB119_2272
.LBB119_2270:
	s_mov_b32 s18, -1
                                        ; implicit-def: $vgpr0_vgpr1
	s_branch .LBB119_2275
.LBB119_2271:
	s_mov_b32 s18, -1
                                        ; implicit-def: $vgpr0_vgpr1
.LBB119_2272:
	s_delay_alu instid0(SALU_CYCLE_1)
	s_and_not1_b32 vcc_lo, exec_lo, s18
	s_cbranch_vccnz .LBB119_2274
; %bb.2273:
	global_load_u16 v0, v[4:5], off
	s_wait_loadcnt 0x0
	v_cvt_f64_u32_e32 v[0:1], v0
.LBB119_2274:
	s_mov_b32 s18, 0
.LBB119_2275:
	s_delay_alu instid0(SALU_CYCLE_1)
	s_and_not1_b32 vcc_lo, exec_lo, s18
	s_cbranch_vccnz .LBB119_2283
; %bb.2276:
	global_load_u8 v2, v[4:5], off
	s_mov_b32 s18, 0
	s_mov_b32 s19, exec_lo
	s_wait_loadcnt 0x0
	v_cmpx_lt_i16_e32 0x7f, v2
	s_xor_b32 s19, exec_lo, s19
	s_cbranch_execz .LBB119_2309
; %bb.2277:
	s_mov_b32 s18, -1
	s_mov_b32 s20, exec_lo
	v_cmpx_eq_u16_e32 0x80, v2
; %bb.2278:
	s_xor_b32 s18, exec_lo, -1
; %bb.2279:
	s_or_b32 exec_lo, exec_lo, s20
	s_delay_alu instid0(SALU_CYCLE_1)
	s_and_b32 s18, s18, exec_lo
	s_or_saveexec_b32 s19, s19
	v_mov_b64_e32 v[0:1], 0x7ff8000020000000
	s_xor_b32 exec_lo, exec_lo, s19
	s_cbranch_execnz .LBB119_2310
.LBB119_2280:
	s_or_b32 exec_lo, exec_lo, s19
	s_and_saveexec_b32 s19, s18
	s_cbranch_execz .LBB119_2282
.LBB119_2281:
	v_and_b32_e32 v0, 0xffff, v2
	s_delay_alu instid0(VALU_DEP_1) | instskip(SKIP_1) | instid1(VALU_DEP_2)
	v_and_b32_e32 v1, 7, v0
	v_bfe_u32 v7, v0, 3, 4
	v_clz_i32_u32_e32 v3, v1
	s_delay_alu instid0(VALU_DEP_2) | instskip(NEXT) | instid1(VALU_DEP_2)
	v_cmp_eq_u32_e32 vcc_lo, 0, v7
	v_min_u32_e32 v3, 32, v3
	s_delay_alu instid0(VALU_DEP_1) | instskip(NEXT) | instid1(VALU_DEP_1)
	v_subrev_nc_u32_e32 v6, 28, v3
	v_dual_lshlrev_b32 v0, v6, v0 :: v_dual_sub_nc_u32 v3, 29, v3
	s_delay_alu instid0(VALU_DEP_1) | instskip(NEXT) | instid1(VALU_DEP_1)
	v_dual_lshlrev_b32 v2, 24, v2 :: v_dual_bitop2_b32 v0, 7, v0 bitop3:0x40
	v_dual_cndmask_b32 v3, v7, v3 :: v_dual_cndmask_b32 v0, v1, v0
	s_delay_alu instid0(VALU_DEP_2) | instskip(NEXT) | instid1(VALU_DEP_2)
	v_and_b32_e32 v1, 0x80000000, v2
	v_lshl_add_u32 v2, v3, 23, 0x3b800000
	s_delay_alu instid0(VALU_DEP_3) | instskip(NEXT) | instid1(VALU_DEP_1)
	v_lshlrev_b32_e32 v0, 20, v0
	v_or3_b32 v0, v1, v2, v0
	s_delay_alu instid0(VALU_DEP_1)
	v_cvt_f64_f32_e32 v[0:1], v0
.LBB119_2282:
	s_or_b32 exec_lo, exec_lo, s19
.LBB119_2283:
	v_mov_b64_e32 v[2:3], 0
	s_mov_b32 s18, -1
.LBB119_2284:
	s_mov_b32 s19, 0
.LBB119_2285:
	s_delay_alu instid0(SALU_CYCLE_1)
	s_and_b32 vcc_lo, exec_lo, s19
	s_cbranch_vccz .LBB119_2296
; %bb.2286:
	s_cmp_gt_i32 s15, 22
	s_cbranch_scc0 .LBB119_2307
; %bb.2287:
	s_cmp_lt_i32 s15, 24
	s_cbranch_scc1 .LBB119_2311
; %bb.2288:
	s_cmp_gt_i32 s15, 24
	s_cbranch_scc0 .LBB119_2313
; %bb.2289:
	global_load_u8 v2, v[4:5], off
	s_mov_b32 s18, exec_lo
	s_wait_loadcnt 0x0
	v_cmpx_lt_i16_e32 0x7f, v2
	s_xor_b32 s18, exec_lo, s18
	s_cbranch_execz .LBB119_2325
; %bb.2290:
	s_mov_b32 s17, -1
	s_mov_b32 s19, exec_lo
	v_cmpx_eq_u16_e32 0x80, v2
; %bb.2291:
	s_xor_b32 s17, exec_lo, -1
; %bb.2292:
	s_or_b32 exec_lo, exec_lo, s19
	s_delay_alu instid0(SALU_CYCLE_1)
	s_and_b32 s17, s17, exec_lo
	s_or_saveexec_b32 s18, s18
	v_mov_b64_e32 v[0:1], 0x7ff8000020000000
	s_xor_b32 exec_lo, exec_lo, s18
	s_cbranch_execnz .LBB119_2326
.LBB119_2293:
	s_or_b32 exec_lo, exec_lo, s18
	s_and_saveexec_b32 s18, s17
	s_cbranch_execz .LBB119_2295
.LBB119_2294:
	v_and_b32_e32 v0, 0xffff, v2
	s_delay_alu instid0(VALU_DEP_1) | instskip(SKIP_1) | instid1(VALU_DEP_2)
	v_and_b32_e32 v1, 3, v0
	v_bfe_u32 v7, v0, 2, 5
	v_clz_i32_u32_e32 v3, v1
	s_delay_alu instid0(VALU_DEP_2) | instskip(NEXT) | instid1(VALU_DEP_2)
	v_cmp_eq_u32_e32 vcc_lo, 0, v7
	v_min_u32_e32 v3, 32, v3
	s_delay_alu instid0(VALU_DEP_1) | instskip(NEXT) | instid1(VALU_DEP_1)
	v_subrev_nc_u32_e32 v6, 29, v3
	v_dual_lshlrev_b32 v0, v6, v0 :: v_dual_sub_nc_u32 v3, 30, v3
	s_delay_alu instid0(VALU_DEP_1) | instskip(NEXT) | instid1(VALU_DEP_1)
	v_dual_lshlrev_b32 v2, 24, v2 :: v_dual_bitop2_b32 v0, 3, v0 bitop3:0x40
	v_dual_cndmask_b32 v3, v7, v3 :: v_dual_cndmask_b32 v0, v1, v0
	s_delay_alu instid0(VALU_DEP_2) | instskip(NEXT) | instid1(VALU_DEP_2)
	v_and_b32_e32 v1, 0x80000000, v2
	v_lshl_add_u32 v2, v3, 23, 0x37800000
	s_delay_alu instid0(VALU_DEP_3) | instskip(NEXT) | instid1(VALU_DEP_1)
	v_lshlrev_b32_e32 v0, 21, v0
	v_or3_b32 v0, v1, v2, v0
	s_delay_alu instid0(VALU_DEP_1)
	v_cvt_f64_f32_e32 v[0:1], v0
.LBB119_2295:
	s_or_b32 exec_lo, exec_lo, s18
	s_mov_b32 s17, 0
	s_branch .LBB119_2314
.LBB119_2296:
	s_and_b32 vcc_lo, exec_lo, s0
	s_cbranch_vccnz .LBB119_2344
.LBB119_2297:
	s_and_not1_b32 vcc_lo, exec_lo, s17
	s_cbranch_vccnz .LBB119_2299
.LBB119_2298:
	global_load_u8 v0, v[4:5], off
	v_mov_b64_e32 v[2:3], 0
	s_mov_b32 s18, -1
	s_wait_loadcnt 0x0
	v_cmp_ne_u16_e32 vcc_lo, 0, v0
	v_mov_b32_e32 v0, 0
	v_cndmask_b32_e64 v1, 0, 0x3ff00000, vcc_lo
.LBB119_2299:
	s_mov_b32 s0, 0
.LBB119_2300:
	s_delay_alu instid0(SALU_CYCLE_1)
	s_and_b32 vcc_lo, exec_lo, s0
	s_cbranch_vccz .LBB119_2375
; %bb.2301:
	s_cmp_lt_i32 s15, 5
	s_cbranch_scc1 .LBB119_2306
; %bb.2302:
	s_cmp_lt_i32 s15, 8
	s_cbranch_scc1 .LBB119_2308
; %bb.2303:
	s_cmp_lt_i32 s15, 9
	s_cbranch_scc1 .LBB119_2312
; %bb.2304:
	s_cmp_gt_i32 s15, 9
	s_cbranch_scc0 .LBB119_2327
; %bb.2305:
	global_load_b128 v[0:3], v[4:5], off
	s_mov_b32 s0, 0
	s_branch .LBB119_2328
.LBB119_2306:
	s_mov_b32 s0, -1
                                        ; implicit-def: $vgpr2_vgpr3
	s_branch .LBB119_2353
.LBB119_2307:
	s_mov_b32 s17, -1
                                        ; implicit-def: $vgpr0_vgpr1
	s_branch .LBB119_2320
.LBB119_2308:
	s_mov_b32 s0, -1
                                        ; implicit-def: $vgpr2_vgpr3
	s_branch .LBB119_2334
.LBB119_2309:
	s_or_saveexec_b32 s19, s19
	v_mov_b64_e32 v[0:1], 0x7ff8000020000000
	s_xor_b32 exec_lo, exec_lo, s19
	s_cbranch_execz .LBB119_2280
.LBB119_2310:
	v_cmp_ne_u16_e32 vcc_lo, 0, v2
	v_mov_b64_e32 v[0:1], 0
	s_and_not1_b32 s18, s18, exec_lo
	s_and_b32 s20, vcc_lo, exec_lo
	s_delay_alu instid0(SALU_CYCLE_1)
	s_or_b32 s18, s18, s20
	s_or_b32 exec_lo, exec_lo, s19
	s_and_saveexec_b32 s19, s18
	s_cbranch_execnz .LBB119_2281
	s_branch .LBB119_2282
.LBB119_2311:
	s_mov_b32 s17, -1
                                        ; implicit-def: $vgpr0_vgpr1
	s_branch .LBB119_2317
.LBB119_2312:
	s_mov_b32 s0, -1
                                        ; implicit-def: $vgpr2_vgpr3
	s_branch .LBB119_2331
.LBB119_2313:
	s_mov_b32 s17, -1
                                        ; implicit-def: $vgpr0_vgpr1
.LBB119_2314:
	s_delay_alu instid0(SALU_CYCLE_1)
	s_and_b32 vcc_lo, exec_lo, s17
	s_cbranch_vccz .LBB119_2316
; %bb.2315:
	global_load_u8 v0, v[4:5], off
	s_wait_loadcnt 0x0
	v_lshlrev_b32_e32 v0, 24, v0
	s_delay_alu instid0(VALU_DEP_1) | instskip(NEXT) | instid1(VALU_DEP_1)
	v_and_b32_e32 v1, 0x7f000000, v0
	v_clz_i32_u32_e32 v2, v1
	v_cmp_ne_u32_e32 vcc_lo, 0, v1
	v_add_nc_u32_e32 v6, 0x1000000, v1
	s_delay_alu instid0(VALU_DEP_3) | instskip(NEXT) | instid1(VALU_DEP_1)
	v_min_u32_e32 v2, 32, v2
	v_sub_nc_u32_e64 v2, v2, 4 clamp
	s_delay_alu instid0(VALU_DEP_1) | instskip(NEXT) | instid1(VALU_DEP_1)
	v_dual_lshlrev_b32 v3, v2, v1 :: v_dual_lshlrev_b32 v2, 23, v2
	v_lshrrev_b32_e32 v3, 4, v3
	s_delay_alu instid0(VALU_DEP_1) | instskip(SKIP_1) | instid1(VALU_DEP_2)
	v_sub_nc_u32_e32 v2, v3, v2
	v_ashrrev_i32_e32 v3, 8, v6
	v_add_nc_u32_e32 v2, 0x3c000000, v2
	s_delay_alu instid0(VALU_DEP_1) | instskip(NEXT) | instid1(VALU_DEP_1)
	v_and_or_b32 v2, 0x7f800000, v3, v2
	v_cndmask_b32_e32 v1, 0, v2, vcc_lo
	s_delay_alu instid0(VALU_DEP_1) | instskip(NEXT) | instid1(VALU_DEP_1)
	v_and_or_b32 v0, 0x80000000, v0, v1
	v_cvt_f64_f32_e32 v[0:1], v0
.LBB119_2316:
	s_mov_b32 s17, 0
.LBB119_2317:
	s_delay_alu instid0(SALU_CYCLE_1)
	s_and_not1_b32 vcc_lo, exec_lo, s17
	s_cbranch_vccnz .LBB119_2319
; %bb.2318:
	global_load_u8 v0, v[4:5], off
	s_wait_loadcnt 0x0
	v_lshlrev_b32_e32 v1, 25, v0
	v_lshlrev_b16 v0, 8, v0
	s_delay_alu instid0(VALU_DEP_1) | instskip(SKIP_1) | instid1(VALU_DEP_2)
	v_and_or_b32 v3, 0x7f00, v0, 0.5
	v_bfe_i32 v0, v0, 0, 16
	v_dual_add_f32 v3, -0.5, v3 :: v_dual_lshrrev_b32 v2, 4, v1
	v_cmp_gt_u32_e32 vcc_lo, 0x8000000, v1
	s_delay_alu instid0(VALU_DEP_2) | instskip(NEXT) | instid1(VALU_DEP_1)
	v_or_b32_e32 v2, 0x70000000, v2
	v_mul_f32_e32 v2, 0x7800000, v2
	s_delay_alu instid0(VALU_DEP_1) | instskip(NEXT) | instid1(VALU_DEP_1)
	v_cndmask_b32_e32 v1, v2, v3, vcc_lo
	v_and_or_b32 v0, 0x80000000, v0, v1
	s_delay_alu instid0(VALU_DEP_1)
	v_cvt_f64_f32_e32 v[0:1], v0
.LBB119_2319:
	s_mov_b32 s17, 0
	s_mov_b32 s18, -1
.LBB119_2320:
	s_and_not1_b32 vcc_lo, exec_lo, s17
	s_mov_b32 s17, 0
	s_cbranch_vccnz .LBB119_2343
; %bb.2321:
	s_cmp_gt_i32 s15, 14
	s_cbranch_scc0 .LBB119_2324
; %bb.2322:
	s_cmp_eq_u32 s15, 15
	s_cbranch_scc0 .LBB119_2339
; %bb.2323:
	global_load_u16 v0, v[4:5], off
	s_mov_b32 s0, 0
	s_mov_b32 s18, -1
	s_wait_loadcnt 0x0
	v_lshlrev_b32_e32 v0, 16, v0
	s_delay_alu instid0(VALU_DEP_1)
	v_cvt_f64_f32_e32 v[0:1], v0
	s_branch .LBB119_2341
.LBB119_2324:
	s_mov_b32 s17, -1
	s_branch .LBB119_2340
.LBB119_2325:
	s_or_saveexec_b32 s18, s18
	v_mov_b64_e32 v[0:1], 0x7ff8000020000000
	s_xor_b32 exec_lo, exec_lo, s18
	s_cbranch_execz .LBB119_2293
.LBB119_2326:
	v_cmp_ne_u16_e32 vcc_lo, 0, v2
	v_mov_b64_e32 v[0:1], 0
	s_and_not1_b32 s17, s17, exec_lo
	s_and_b32 s19, vcc_lo, exec_lo
	s_delay_alu instid0(SALU_CYCLE_1)
	s_or_b32 s17, s17, s19
	s_or_b32 exec_lo, exec_lo, s18
	s_and_saveexec_b32 s18, s17
	s_cbranch_execnz .LBB119_2294
	s_branch .LBB119_2295
.LBB119_2327:
	s_mov_b32 s0, -1
                                        ; implicit-def: $vgpr2_vgpr3
.LBB119_2328:
	s_delay_alu instid0(SALU_CYCLE_1)
	s_and_not1_b32 vcc_lo, exec_lo, s0
	s_cbranch_vccnz .LBB119_2330
; %bb.2329:
	s_wait_loadcnt 0x0
	global_load_b64 v[2:3], v[4:5], off
	s_wait_loadcnt 0x0
	v_cvt_f64_f32_e32 v[0:1], v2
	v_cvt_f64_f32_e32 v[2:3], v3
.LBB119_2330:
	s_mov_b32 s0, 0
.LBB119_2331:
	s_delay_alu instid0(SALU_CYCLE_1)
	s_and_not1_b32 vcc_lo, exec_lo, s0
	s_cbranch_vccnz .LBB119_2333
; %bb.2332:
	s_wait_loadcnt 0x0
	global_load_b32 v0, v[4:5], off
	s_wait_loadcnt 0x0
	v_lshrrev_b32_e32 v1, 16, v0
	v_cvt_f32_f16_e32 v0, v0
	s_delay_alu instid0(VALU_DEP_2) | instskip(NEXT) | instid1(VALU_DEP_2)
	v_cvt_f32_f16_e32 v2, v1
	v_cvt_f64_f32_e32 v[0:1], v0
	s_delay_alu instid0(VALU_DEP_2)
	v_cvt_f64_f32_e32 v[2:3], v2
.LBB119_2333:
	s_mov_b32 s0, 0
.LBB119_2334:
	s_delay_alu instid0(SALU_CYCLE_1)
	s_and_not1_b32 vcc_lo, exec_lo, s0
	s_cbranch_vccnz .LBB119_2352
; %bb.2335:
	s_cmp_lt_i32 s15, 6
	s_cbranch_scc1 .LBB119_2338
; %bb.2336:
	s_cmp_gt_i32 s15, 6
	s_cbranch_scc0 .LBB119_2345
; %bb.2337:
	s_wait_loadcnt 0x0
	global_load_b64 v[0:1], v[4:5], off
	s_mov_b32 s0, 0
	s_branch .LBB119_2346
.LBB119_2338:
	s_mov_b32 s0, -1
                                        ; implicit-def: $vgpr0_vgpr1
	s_branch .LBB119_2349
.LBB119_2339:
	s_mov_b32 s0, -1
.LBB119_2340:
                                        ; implicit-def: $vgpr0_vgpr1
.LBB119_2341:
	s_and_b32 vcc_lo, exec_lo, s17
	s_mov_b32 s17, 0
	s_cbranch_vccz .LBB119_2343
; %bb.2342:
	s_cmp_lg_u32 s15, 11
	s_mov_b32 s17, -1
	s_cselect_b32 s0, -1, 0
.LBB119_2343:
	v_mov_b64_e32 v[2:3], 0
	s_and_b32 vcc_lo, exec_lo, s0
	s_cbranch_vccz .LBB119_2297
.LBB119_2344:
	s_or_b32 s1, s1, exec_lo
	s_trap 2
	s_cbranch_execz .LBB119_2298
	s_branch .LBB119_2299
.LBB119_2345:
	s_mov_b32 s0, -1
                                        ; implicit-def: $vgpr0_vgpr1
.LBB119_2346:
	s_delay_alu instid0(SALU_CYCLE_1)
	s_and_not1_b32 vcc_lo, exec_lo, s0
	s_cbranch_vccnz .LBB119_2348
; %bb.2347:
	s_wait_loadcnt 0x0
	global_load_b32 v0, v[4:5], off
	s_wait_loadcnt 0x0
	v_cvt_f64_f32_e32 v[0:1], v0
.LBB119_2348:
	s_mov_b32 s0, 0
.LBB119_2349:
	s_delay_alu instid0(SALU_CYCLE_1)
	s_and_not1_b32 vcc_lo, exec_lo, s0
	s_cbranch_vccnz .LBB119_2351
; %bb.2350:
	s_wait_loadcnt 0x0
	global_load_u16 v0, v[4:5], off
	s_wait_loadcnt 0x0
	v_cvt_f32_f16_e32 v0, v0
	s_delay_alu instid0(VALU_DEP_1)
	v_cvt_f64_f32_e32 v[0:1], v0
.LBB119_2351:
	s_wait_loadcnt 0x0
	v_mov_b64_e32 v[2:3], 0
.LBB119_2352:
	s_mov_b32 s0, 0
.LBB119_2353:
	s_delay_alu instid0(SALU_CYCLE_1)
	s_and_not1_b32 vcc_lo, exec_lo, s0
	s_cbranch_vccnz .LBB119_2374
; %bb.2354:
	s_cmp_lt_i32 s15, 2
	s_cbranch_scc1 .LBB119_2358
; %bb.2355:
	s_cmp_lt_i32 s15, 3
	s_cbranch_scc1 .LBB119_2359
; %bb.2356:
	s_cmp_gt_i32 s15, 3
	s_cbranch_scc0 .LBB119_2360
; %bb.2357:
	s_wait_loadcnt 0x0
	global_load_b64 v[0:1], v[4:5], off
	s_mov_b32 s0, 0
	s_wait_loadcnt 0x0
	v_cvt_f64_i32_e32 v[2:3], v1
	v_cvt_f64_u32_e32 v[0:1], v0
	s_delay_alu instid0(VALU_DEP_2) | instskip(NEXT) | instid1(VALU_DEP_1)
	v_ldexp_f64 v[2:3], v[2:3], 32
	v_add_f64_e32 v[0:1], v[2:3], v[0:1]
	s_branch .LBB119_2361
.LBB119_2358:
	s_mov_b32 s0, -1
                                        ; implicit-def: $vgpr0_vgpr1
	s_branch .LBB119_2367
.LBB119_2359:
	s_mov_b32 s0, -1
                                        ; implicit-def: $vgpr0_vgpr1
	s_branch .LBB119_2364
.LBB119_2360:
	s_mov_b32 s0, -1
                                        ; implicit-def: $vgpr0_vgpr1
.LBB119_2361:
	s_delay_alu instid0(SALU_CYCLE_1)
	s_and_not1_b32 vcc_lo, exec_lo, s0
	s_cbranch_vccnz .LBB119_2363
; %bb.2362:
	s_wait_loadcnt 0x0
	global_load_b32 v0, v[4:5], off
	s_wait_loadcnt 0x0
	v_cvt_f64_i32_e32 v[0:1], v0
.LBB119_2363:
	s_mov_b32 s0, 0
.LBB119_2364:
	s_delay_alu instid0(SALU_CYCLE_1)
	s_and_not1_b32 vcc_lo, exec_lo, s0
	s_cbranch_vccnz .LBB119_2366
; %bb.2365:
	s_wait_loadcnt 0x0
	global_load_i16 v0, v[4:5], off
	s_wait_loadcnt 0x0
	v_cvt_f64_i32_e32 v[0:1], v0
.LBB119_2366:
	s_mov_b32 s0, 0
.LBB119_2367:
	s_delay_alu instid0(SALU_CYCLE_1)
	s_and_not1_b32 vcc_lo, exec_lo, s0
	s_cbranch_vccnz .LBB119_2373
; %bb.2368:
	s_cmp_gt_i32 s15, 0
	s_mov_b32 s0, 0
	s_cbranch_scc0 .LBB119_2370
; %bb.2369:
	s_wait_loadcnt 0x0
	global_load_i8 v0, v[4:5], off
	s_wait_loadcnt 0x0
	v_cvt_f64_i32_e32 v[0:1], v0
	s_branch .LBB119_2371
.LBB119_2370:
	s_mov_b32 s0, -1
                                        ; implicit-def: $vgpr0_vgpr1
.LBB119_2371:
	s_delay_alu instid0(SALU_CYCLE_1)
	s_and_not1_b32 vcc_lo, exec_lo, s0
	s_cbranch_vccnz .LBB119_2373
; %bb.2372:
	s_wait_loadcnt 0x0
	global_load_u8 v0, v[4:5], off
	s_wait_loadcnt 0x0
	v_cvt_f64_u32_e32 v[0:1], v0
.LBB119_2373:
	s_wait_loadcnt 0x0
	v_mov_b64_e32 v[2:3], 0
.LBB119_2374:
	s_mov_b32 s18, -1
.LBB119_2375:
	s_delay_alu instid0(SALU_CYCLE_1)
	s_and_not1_b32 vcc_lo, exec_lo, s18
	s_cbranch_vccnz .LBB119_2793
; %bb.2376:
	v_mov_b32_e32 v21, 0
	s_cmp_lt_i32 s16, 11
	s_delay_alu instid0(VALU_DEP_1)
	v_add_nc_u64_e32 v[20:21], s[8:9], v[20:21]
	s_cbranch_scc1 .LBB119_2383
; %bb.2377:
	s_cmp_gt_i32 s16, 25
	s_mov_b32 s17, 0
	s_cbranch_scc0 .LBB119_2384
; %bb.2378:
	s_cmp_gt_i32 s16, 28
	s_cbranch_scc0 .LBB119_2385
; %bb.2379:
	s_cmp_gt_i32 s16, 43
	;; [unrolled: 3-line block ×3, first 2 shown]
	s_cbranch_scc0 .LBB119_2387
; %bb.2381:
	s_cmp_eq_u32 s16, 46
	s_mov_b32 s19, 0
	s_cbranch_scc0 .LBB119_2390
; %bb.2382:
	global_load_b32 v4, v[20:21], off
	s_mov_b32 s0, 0
	s_mov_b32 s18, -1
	s_wait_loadcnt 0x0
	v_lshlrev_b32_e32 v5, 16, v4
	v_and_b32_e32 v6, 0xffff0000, v4
	s_delay_alu instid0(VALU_DEP_2) | instskip(NEXT) | instid1(VALU_DEP_2)
	v_cvt_f64_f32_e32 v[4:5], v5
	v_cvt_f64_f32_e32 v[6:7], v6
	s_branch .LBB119_2392
.LBB119_2383:
	s_mov_b32 s0, -1
	s_mov_b32 s18, 0
                                        ; implicit-def: $vgpr6_vgpr7
	s_branch .LBB119_2438
.LBB119_2384:
	s_mov_b32 s19, -1
	s_mov_b32 s18, 0
	s_mov_b32 s0, 0
                                        ; implicit-def: $vgpr6_vgpr7
	s_branch .LBB119_2423
.LBB119_2385:
	s_mov_b32 s19, -1
	s_mov_b32 s18, 0
	s_mov_b32 s0, 0
                                        ; implicit-def: $vgpr6_vgpr7
	s_branch .LBB119_2404
.LBB119_2386:
	s_mov_b32 s19, -1
	s_mov_b32 s18, 0
	s_mov_b32 s0, 0
                                        ; implicit-def: $vgpr6_vgpr7
	s_branch .LBB119_2398
.LBB119_2387:
	s_mov_b32 s19, -1
	s_mov_b32 s18, 0
	s_mov_b32 s0, 0
	s_branch .LBB119_2391
.LBB119_2388:
	s_and_not1_saveexec_b32 s53, s53
	s_cbranch_execz .LBB119_1164
.LBB119_2389:
	v_add_f32_e32 v2, 0x42800000, v3
	s_and_not1_b32 s52, s52, exec_lo
	s_delay_alu instid0(VALU_DEP_1) | instskip(NEXT) | instid1(VALU_DEP_1)
	v_and_b32_e32 v2, 0xff, v2
	v_cmp_ne_u32_e32 vcc_lo, 0, v2
	s_and_b32 s54, vcc_lo, exec_lo
	s_delay_alu instid0(SALU_CYCLE_1)
	s_or_b32 s52, s52, s54
	s_or_b32 exec_lo, exec_lo, s53
	v_mov_b32_e32 v4, 0
	s_and_saveexec_b32 s53, s52
	s_cbranch_execnz .LBB119_1165
	s_branch .LBB119_1166
.LBB119_2390:
	s_mov_b32 s0, -1
	s_mov_b32 s18, 0
.LBB119_2391:
                                        ; implicit-def: $vgpr6_vgpr7
.LBB119_2392:
	s_and_b32 vcc_lo, exec_lo, s19
	s_cbranch_vccz .LBB119_2397
; %bb.2393:
	s_cmp_eq_u32 s16, 44
	s_cbranch_scc0 .LBB119_2395
; %bb.2394:
	global_load_u8 v6, v[20:21], off
	s_mov_b32 s0, 0
	s_mov_b32 s18, -1
	s_wait_loadcnt 0x0
	v_cmp_ne_u32_e32 vcc_lo, 0xff, v6
	s_wait_xcnt 0x1
	v_lshlrev_b32_e32 v4, 23, v6
	s_delay_alu instid0(VALU_DEP_1) | instskip(NEXT) | instid1(VALU_DEP_1)
	v_cvt_f64_f32_e32 v[4:5], v4
	v_cndmask_b32_e32 v4, 0x20000000, v4, vcc_lo
	s_delay_alu instid0(VALU_DEP_2) | instskip(SKIP_1) | instid1(VALU_DEP_2)
	v_cndmask_b32_e32 v5, 0x7ff80000, v5, vcc_lo
	v_cmp_ne_u32_e32 vcc_lo, 0, v6
	v_cndmask_b32_e32 v5, 0x38000000, v5, vcc_lo
	s_delay_alu instid0(VALU_DEP_4)
	v_cndmask_b32_e32 v4, 0, v4, vcc_lo
	s_branch .LBB119_2396
.LBB119_2395:
	s_mov_b32 s0, -1
                                        ; implicit-def: $vgpr4_vgpr5
.LBB119_2396:
	v_mov_b64_e32 v[6:7], 0
.LBB119_2397:
	s_mov_b32 s19, 0
.LBB119_2398:
	s_delay_alu instid0(SALU_CYCLE_1)
	s_and_b32 vcc_lo, exec_lo, s19
	s_cbranch_vccz .LBB119_2403
; %bb.2399:
	s_cmp_eq_u32 s16, 29
	s_cbranch_scc0 .LBB119_2401
; %bb.2400:
	global_load_b64 v[4:5], v[20:21], off
	s_mov_b32 s0, 0
	s_mov_b32 s18, -1
	s_wait_loadcnt 0x0
	v_cvt_f64_u32_e32 v[6:7], v5
	v_cvt_f64_u32_e32 v[4:5], v4
	s_delay_alu instid0(VALU_DEP_2) | instskip(NEXT) | instid1(VALU_DEP_1)
	v_ldexp_f64 v[6:7], v[6:7], 32
	v_add_f64_e32 v[4:5], v[6:7], v[4:5]
	s_branch .LBB119_2402
.LBB119_2401:
	s_mov_b32 s0, -1
                                        ; implicit-def: $vgpr4_vgpr5
.LBB119_2402:
	v_mov_b64_e32 v[6:7], 0
.LBB119_2403:
	s_mov_b32 s19, 0
.LBB119_2404:
	s_delay_alu instid0(SALU_CYCLE_1)
	s_and_b32 vcc_lo, exec_lo, s19
	s_cbranch_vccz .LBB119_2422
; %bb.2405:
	s_cmp_lt_i32 s16, 27
	s_cbranch_scc1 .LBB119_2408
; %bb.2406:
	s_cmp_gt_i32 s16, 27
	s_cbranch_scc0 .LBB119_2409
; %bb.2407:
	global_load_b32 v4, v[20:21], off
	s_mov_b32 s18, 0
	s_wait_loadcnt 0x0
	v_cvt_f64_u32_e32 v[4:5], v4
	s_branch .LBB119_2410
.LBB119_2408:
	s_mov_b32 s18, -1
                                        ; implicit-def: $vgpr4_vgpr5
	s_branch .LBB119_2413
.LBB119_2409:
	s_mov_b32 s18, -1
                                        ; implicit-def: $vgpr4_vgpr5
.LBB119_2410:
	s_delay_alu instid0(SALU_CYCLE_1)
	s_and_not1_b32 vcc_lo, exec_lo, s18
	s_cbranch_vccnz .LBB119_2412
; %bb.2411:
	global_load_u16 v4, v[20:21], off
	s_wait_loadcnt 0x0
	v_cvt_f64_u32_e32 v[4:5], v4
.LBB119_2412:
	s_mov_b32 s18, 0
.LBB119_2413:
	s_delay_alu instid0(SALU_CYCLE_1)
	s_and_not1_b32 vcc_lo, exec_lo, s18
	s_cbranch_vccnz .LBB119_2421
; %bb.2414:
	global_load_u8 v6, v[20:21], off
	s_mov_b32 s18, 0
	s_mov_b32 s19, exec_lo
	s_wait_loadcnt 0x0
	v_cmpx_lt_i16_e32 0x7f, v6
	s_xor_b32 s19, exec_lo, s19
	s_cbranch_execz .LBB119_2447
; %bb.2415:
	s_mov_b32 s18, -1
	s_mov_b32 s20, exec_lo
	v_cmpx_eq_u16_e32 0x80, v6
; %bb.2416:
	s_xor_b32 s18, exec_lo, -1
; %bb.2417:
	s_or_b32 exec_lo, exec_lo, s20
	s_delay_alu instid0(SALU_CYCLE_1)
	s_and_b32 s18, s18, exec_lo
	s_or_saveexec_b32 s19, s19
	v_mov_b64_e32 v[4:5], 0x7ff8000020000000
	s_xor_b32 exec_lo, exec_lo, s19
	s_cbranch_execnz .LBB119_2448
.LBB119_2418:
	s_or_b32 exec_lo, exec_lo, s19
	s_and_saveexec_b32 s19, s18
	s_cbranch_execz .LBB119_2420
.LBB119_2419:
	v_and_b32_e32 v4, 0xffff, v6
	s_delay_alu instid0(VALU_DEP_1) | instskip(SKIP_1) | instid1(VALU_DEP_2)
	v_and_b32_e32 v5, 7, v4
	v_bfe_u32 v11, v4, 3, 4
	v_clz_i32_u32_e32 v7, v5
	s_delay_alu instid0(VALU_DEP_2) | instskip(NEXT) | instid1(VALU_DEP_2)
	v_cmp_eq_u32_e32 vcc_lo, 0, v11
	v_min_u32_e32 v7, 32, v7
	s_delay_alu instid0(VALU_DEP_1) | instskip(NEXT) | instid1(VALU_DEP_1)
	v_subrev_nc_u32_e32 v9, 28, v7
	v_dual_lshlrev_b32 v4, v9, v4 :: v_dual_sub_nc_u32 v7, 29, v7
	s_delay_alu instid0(VALU_DEP_1) | instskip(NEXT) | instid1(VALU_DEP_1)
	v_dual_lshlrev_b32 v6, 24, v6 :: v_dual_bitop2_b32 v4, 7, v4 bitop3:0x40
	v_dual_cndmask_b32 v7, v11, v7 :: v_dual_cndmask_b32 v4, v5, v4
	s_delay_alu instid0(VALU_DEP_2) | instskip(NEXT) | instid1(VALU_DEP_2)
	v_and_b32_e32 v5, 0x80000000, v6
	v_lshl_add_u32 v6, v7, 23, 0x3b800000
	s_delay_alu instid0(VALU_DEP_3) | instskip(NEXT) | instid1(VALU_DEP_1)
	v_lshlrev_b32_e32 v4, 20, v4
	v_or3_b32 v4, v5, v6, v4
	s_delay_alu instid0(VALU_DEP_1)
	v_cvt_f64_f32_e32 v[4:5], v4
.LBB119_2420:
	s_or_b32 exec_lo, exec_lo, s19
.LBB119_2421:
	v_mov_b64_e32 v[6:7], 0
	s_mov_b32 s18, -1
.LBB119_2422:
	s_mov_b32 s19, 0
.LBB119_2423:
	s_delay_alu instid0(SALU_CYCLE_1)
	s_and_b32 vcc_lo, exec_lo, s19
	s_cbranch_vccz .LBB119_2434
; %bb.2424:
	s_cmp_gt_i32 s16, 22
	s_cbranch_scc0 .LBB119_2445
; %bb.2425:
	s_cmp_lt_i32 s16, 24
	s_cbranch_scc1 .LBB119_2449
; %bb.2426:
	s_cmp_gt_i32 s16, 24
	s_cbranch_scc0 .LBB119_2451
; %bb.2427:
	global_load_u8 v6, v[20:21], off
	s_mov_b32 s18, exec_lo
	s_wait_loadcnt 0x0
	v_cmpx_lt_i16_e32 0x7f, v6
	s_xor_b32 s18, exec_lo, s18
	s_cbranch_execz .LBB119_2463
; %bb.2428:
	s_mov_b32 s17, -1
	s_mov_b32 s19, exec_lo
	v_cmpx_eq_u16_e32 0x80, v6
; %bb.2429:
	s_xor_b32 s17, exec_lo, -1
; %bb.2430:
	s_or_b32 exec_lo, exec_lo, s19
	s_delay_alu instid0(SALU_CYCLE_1)
	s_and_b32 s17, s17, exec_lo
	s_or_saveexec_b32 s18, s18
	v_mov_b64_e32 v[4:5], 0x7ff8000020000000
	s_xor_b32 exec_lo, exec_lo, s18
	s_cbranch_execnz .LBB119_2464
.LBB119_2431:
	s_or_b32 exec_lo, exec_lo, s18
	s_and_saveexec_b32 s18, s17
	s_cbranch_execz .LBB119_2433
.LBB119_2432:
	v_and_b32_e32 v4, 0xffff, v6
	s_delay_alu instid0(VALU_DEP_1) | instskip(SKIP_1) | instid1(VALU_DEP_2)
	v_and_b32_e32 v5, 3, v4
	v_bfe_u32 v11, v4, 2, 5
	v_clz_i32_u32_e32 v7, v5
	s_delay_alu instid0(VALU_DEP_2) | instskip(NEXT) | instid1(VALU_DEP_2)
	v_cmp_eq_u32_e32 vcc_lo, 0, v11
	v_min_u32_e32 v7, 32, v7
	s_delay_alu instid0(VALU_DEP_1) | instskip(NEXT) | instid1(VALU_DEP_1)
	v_subrev_nc_u32_e32 v9, 29, v7
	v_dual_lshlrev_b32 v4, v9, v4 :: v_dual_sub_nc_u32 v7, 30, v7
	s_delay_alu instid0(VALU_DEP_1) | instskip(NEXT) | instid1(VALU_DEP_1)
	v_dual_lshlrev_b32 v6, 24, v6 :: v_dual_bitop2_b32 v4, 3, v4 bitop3:0x40
	v_dual_cndmask_b32 v7, v11, v7 :: v_dual_cndmask_b32 v4, v5, v4
	s_delay_alu instid0(VALU_DEP_2) | instskip(NEXT) | instid1(VALU_DEP_2)
	v_and_b32_e32 v5, 0x80000000, v6
	v_lshl_add_u32 v6, v7, 23, 0x37800000
	s_delay_alu instid0(VALU_DEP_3) | instskip(NEXT) | instid1(VALU_DEP_1)
	v_lshlrev_b32_e32 v4, 21, v4
	v_or3_b32 v4, v5, v6, v4
	s_delay_alu instid0(VALU_DEP_1)
	v_cvt_f64_f32_e32 v[4:5], v4
.LBB119_2433:
	s_or_b32 exec_lo, exec_lo, s18
	s_mov_b32 s17, 0
	s_branch .LBB119_2452
.LBB119_2434:
	s_and_b32 vcc_lo, exec_lo, s0
	s_cbranch_vccnz .LBB119_2482
.LBB119_2435:
	s_and_not1_b32 vcc_lo, exec_lo, s17
	s_cbranch_vccnz .LBB119_2437
.LBB119_2436:
	global_load_u8 v4, v[20:21], off
	v_mov_b64_e32 v[6:7], 0
	s_mov_b32 s18, -1
	s_wait_loadcnt 0x0
	v_cmp_ne_u16_e32 vcc_lo, 0, v4
	v_mov_b32_e32 v4, 0
	v_cndmask_b32_e64 v5, 0, 0x3ff00000, vcc_lo
.LBB119_2437:
	s_mov_b32 s0, 0
.LBB119_2438:
	s_delay_alu instid0(SALU_CYCLE_1)
	s_and_b32 vcc_lo, exec_lo, s0
	s_cbranch_vccz .LBB119_2513
; %bb.2439:
	s_cmp_lt_i32 s16, 5
	s_cbranch_scc1 .LBB119_2444
; %bb.2440:
	s_cmp_lt_i32 s16, 8
	s_cbranch_scc1 .LBB119_2446
	;; [unrolled: 3-line block ×3, first 2 shown]
; %bb.2442:
	s_cmp_gt_i32 s16, 9
	s_cbranch_scc0 .LBB119_2465
; %bb.2443:
	global_load_b128 v[4:7], v[20:21], off
	s_mov_b32 s0, 0
	s_branch .LBB119_2466
.LBB119_2444:
	s_mov_b32 s0, -1
                                        ; implicit-def: $vgpr6_vgpr7
	s_branch .LBB119_2491
.LBB119_2445:
	s_mov_b32 s17, -1
                                        ; implicit-def: $vgpr4_vgpr5
	s_branch .LBB119_2458
.LBB119_2446:
	s_mov_b32 s0, -1
                                        ; implicit-def: $vgpr6_vgpr7
	s_branch .LBB119_2472
.LBB119_2447:
	s_or_saveexec_b32 s19, s19
	v_mov_b64_e32 v[4:5], 0x7ff8000020000000
	s_xor_b32 exec_lo, exec_lo, s19
	s_cbranch_execz .LBB119_2418
.LBB119_2448:
	v_cmp_ne_u16_e32 vcc_lo, 0, v6
	v_mov_b64_e32 v[4:5], 0
	s_and_not1_b32 s18, s18, exec_lo
	s_and_b32 s20, vcc_lo, exec_lo
	s_delay_alu instid0(SALU_CYCLE_1)
	s_or_b32 s18, s18, s20
	s_or_b32 exec_lo, exec_lo, s19
	s_and_saveexec_b32 s19, s18
	s_cbranch_execnz .LBB119_2419
	s_branch .LBB119_2420
.LBB119_2449:
	s_mov_b32 s17, -1
                                        ; implicit-def: $vgpr4_vgpr5
	s_branch .LBB119_2455
.LBB119_2450:
	s_mov_b32 s0, -1
                                        ; implicit-def: $vgpr6_vgpr7
	s_branch .LBB119_2469
.LBB119_2451:
	s_mov_b32 s17, -1
                                        ; implicit-def: $vgpr4_vgpr5
.LBB119_2452:
	s_delay_alu instid0(SALU_CYCLE_1)
	s_and_b32 vcc_lo, exec_lo, s17
	s_cbranch_vccz .LBB119_2454
; %bb.2453:
	global_load_u8 v4, v[20:21], off
	s_wait_loadcnt 0x0
	v_lshlrev_b32_e32 v4, 24, v4
	s_delay_alu instid0(VALU_DEP_1) | instskip(NEXT) | instid1(VALU_DEP_1)
	v_and_b32_e32 v5, 0x7f000000, v4
	v_clz_i32_u32_e32 v6, v5
	v_add_nc_u32_e32 v9, 0x1000000, v5
	v_cmp_ne_u32_e32 vcc_lo, 0, v5
	s_delay_alu instid0(VALU_DEP_3) | instskip(NEXT) | instid1(VALU_DEP_1)
	v_min_u32_e32 v6, 32, v6
	v_sub_nc_u32_e64 v6, v6, 4 clamp
	s_delay_alu instid0(VALU_DEP_1) | instskip(NEXT) | instid1(VALU_DEP_1)
	v_dual_lshlrev_b32 v7, v6, v5 :: v_dual_lshlrev_b32 v6, 23, v6
	v_lshrrev_b32_e32 v7, 4, v7
	s_delay_alu instid0(VALU_DEP_1) | instskip(NEXT) | instid1(VALU_DEP_1)
	v_dual_sub_nc_u32 v6, v7, v6 :: v_dual_ashrrev_i32 v7, 8, v9
	v_add_nc_u32_e32 v6, 0x3c000000, v6
	s_delay_alu instid0(VALU_DEP_1) | instskip(NEXT) | instid1(VALU_DEP_1)
	v_and_or_b32 v6, 0x7f800000, v7, v6
	v_cndmask_b32_e32 v5, 0, v6, vcc_lo
	s_delay_alu instid0(VALU_DEP_1) | instskip(NEXT) | instid1(VALU_DEP_1)
	v_and_or_b32 v4, 0x80000000, v4, v5
	v_cvt_f64_f32_e32 v[4:5], v4
.LBB119_2454:
	s_mov_b32 s17, 0
.LBB119_2455:
	s_delay_alu instid0(SALU_CYCLE_1)
	s_and_not1_b32 vcc_lo, exec_lo, s17
	s_cbranch_vccnz .LBB119_2457
; %bb.2456:
	global_load_u8 v4, v[20:21], off
	s_wait_loadcnt 0x0
	v_lshlrev_b32_e32 v5, 25, v4
	v_lshlrev_b16 v4, 8, v4
	s_delay_alu instid0(VALU_DEP_1) | instskip(SKIP_1) | instid1(VALU_DEP_2)
	v_and_or_b32 v7, 0x7f00, v4, 0.5
	v_bfe_i32 v4, v4, 0, 16
	v_dual_add_f32 v7, -0.5, v7 :: v_dual_lshrrev_b32 v6, 4, v5
	v_cmp_gt_u32_e32 vcc_lo, 0x8000000, v5
	s_delay_alu instid0(VALU_DEP_2) | instskip(NEXT) | instid1(VALU_DEP_1)
	v_or_b32_e32 v6, 0x70000000, v6
	v_mul_f32_e32 v6, 0x7800000, v6
	s_delay_alu instid0(VALU_DEP_1) | instskip(NEXT) | instid1(VALU_DEP_1)
	v_cndmask_b32_e32 v5, v6, v7, vcc_lo
	v_and_or_b32 v4, 0x80000000, v4, v5
	s_delay_alu instid0(VALU_DEP_1)
	v_cvt_f64_f32_e32 v[4:5], v4
.LBB119_2457:
	s_mov_b32 s17, 0
	s_mov_b32 s18, -1
.LBB119_2458:
	s_and_not1_b32 vcc_lo, exec_lo, s17
	s_mov_b32 s17, 0
	s_cbranch_vccnz .LBB119_2481
; %bb.2459:
	s_cmp_gt_i32 s16, 14
	s_cbranch_scc0 .LBB119_2462
; %bb.2460:
	s_cmp_eq_u32 s16, 15
	s_cbranch_scc0 .LBB119_2477
; %bb.2461:
	global_load_u16 v4, v[20:21], off
	s_mov_b32 s0, 0
	s_mov_b32 s18, -1
	s_wait_loadcnt 0x0
	v_lshlrev_b32_e32 v4, 16, v4
	s_delay_alu instid0(VALU_DEP_1)
	v_cvt_f64_f32_e32 v[4:5], v4
	s_branch .LBB119_2479
.LBB119_2462:
	s_mov_b32 s17, -1
	s_branch .LBB119_2478
.LBB119_2463:
	s_or_saveexec_b32 s18, s18
	v_mov_b64_e32 v[4:5], 0x7ff8000020000000
	s_xor_b32 exec_lo, exec_lo, s18
	s_cbranch_execz .LBB119_2431
.LBB119_2464:
	v_cmp_ne_u16_e32 vcc_lo, 0, v6
	v_mov_b64_e32 v[4:5], 0
	s_and_not1_b32 s17, s17, exec_lo
	s_and_b32 s19, vcc_lo, exec_lo
	s_delay_alu instid0(SALU_CYCLE_1)
	s_or_b32 s17, s17, s19
	s_or_b32 exec_lo, exec_lo, s18
	s_and_saveexec_b32 s18, s17
	s_cbranch_execnz .LBB119_2432
	s_branch .LBB119_2433
.LBB119_2465:
	s_mov_b32 s0, -1
                                        ; implicit-def: $vgpr6_vgpr7
.LBB119_2466:
	s_delay_alu instid0(SALU_CYCLE_1)
	s_and_not1_b32 vcc_lo, exec_lo, s0
	s_cbranch_vccnz .LBB119_2468
; %bb.2467:
	s_wait_loadcnt 0x0
	global_load_b64 v[6:7], v[20:21], off
	s_wait_loadcnt 0x0
	s_wait_xcnt 0x1
	v_cvt_f64_f32_e32 v[4:5], v6
	v_cvt_f64_f32_e32 v[6:7], v7
.LBB119_2468:
	s_mov_b32 s0, 0
.LBB119_2469:
	s_delay_alu instid0(SALU_CYCLE_1)
	s_and_not1_b32 vcc_lo, exec_lo, s0
	s_cbranch_vccnz .LBB119_2471
; %bb.2470:
	s_wait_loadcnt 0x0
	global_load_b32 v4, v[20:21], off
	s_wait_loadcnt 0x0
	v_lshrrev_b32_e32 v5, 16, v4
	v_cvt_f32_f16_e32 v4, v4
	s_delay_alu instid0(VALU_DEP_2) | instskip(NEXT) | instid1(VALU_DEP_2)
	v_cvt_f32_f16_e32 v6, v5
	v_cvt_f64_f32_e32 v[4:5], v4
	s_delay_alu instid0(VALU_DEP_2)
	v_cvt_f64_f32_e32 v[6:7], v6
.LBB119_2471:
	s_mov_b32 s0, 0
.LBB119_2472:
	s_delay_alu instid0(SALU_CYCLE_1)
	s_and_not1_b32 vcc_lo, exec_lo, s0
	s_cbranch_vccnz .LBB119_2490
; %bb.2473:
	s_cmp_lt_i32 s16, 6
	s_cbranch_scc1 .LBB119_2476
; %bb.2474:
	s_cmp_gt_i32 s16, 6
	s_cbranch_scc0 .LBB119_2483
; %bb.2475:
	s_wait_loadcnt 0x0
	global_load_b64 v[4:5], v[20:21], off
	s_mov_b32 s0, 0
	s_branch .LBB119_2484
.LBB119_2476:
	s_mov_b32 s0, -1
                                        ; implicit-def: $vgpr4_vgpr5
	s_branch .LBB119_2487
.LBB119_2477:
	s_mov_b32 s0, -1
.LBB119_2478:
                                        ; implicit-def: $vgpr4_vgpr5
.LBB119_2479:
	s_and_b32 vcc_lo, exec_lo, s17
	s_mov_b32 s17, 0
	s_cbranch_vccz .LBB119_2481
; %bb.2480:
	s_cmp_lg_u32 s16, 11
	s_mov_b32 s17, -1
	s_cselect_b32 s0, -1, 0
.LBB119_2481:
	v_mov_b64_e32 v[6:7], 0
	s_and_b32 vcc_lo, exec_lo, s0
	s_cbranch_vccz .LBB119_2435
.LBB119_2482:
	s_or_b32 s1, s1, exec_lo
	s_trap 2
	s_cbranch_execz .LBB119_2436
	s_branch .LBB119_2437
.LBB119_2483:
	s_mov_b32 s0, -1
                                        ; implicit-def: $vgpr4_vgpr5
.LBB119_2484:
	s_delay_alu instid0(SALU_CYCLE_1)
	s_and_not1_b32 vcc_lo, exec_lo, s0
	s_cbranch_vccnz .LBB119_2486
; %bb.2485:
	s_wait_loadcnt 0x0
	global_load_b32 v4, v[20:21], off
	s_wait_loadcnt 0x0
	v_cvt_f64_f32_e32 v[4:5], v4
.LBB119_2486:
	s_mov_b32 s0, 0
.LBB119_2487:
	s_delay_alu instid0(SALU_CYCLE_1)
	s_and_not1_b32 vcc_lo, exec_lo, s0
	s_cbranch_vccnz .LBB119_2489
; %bb.2488:
	s_wait_loadcnt 0x0
	global_load_u16 v4, v[20:21], off
	s_wait_loadcnt 0x0
	v_cvt_f32_f16_e32 v4, v4
	s_delay_alu instid0(VALU_DEP_1)
	v_cvt_f64_f32_e32 v[4:5], v4
.LBB119_2489:
	s_wait_loadcnt 0x0
	v_mov_b64_e32 v[6:7], 0
.LBB119_2490:
	s_mov_b32 s0, 0
.LBB119_2491:
	s_delay_alu instid0(SALU_CYCLE_1)
	s_and_not1_b32 vcc_lo, exec_lo, s0
	s_cbranch_vccnz .LBB119_2512
; %bb.2492:
	s_cmp_lt_i32 s16, 2
	s_cbranch_scc1 .LBB119_2496
; %bb.2493:
	s_cmp_lt_i32 s16, 3
	s_cbranch_scc1 .LBB119_2497
; %bb.2494:
	s_cmp_gt_i32 s16, 3
	s_cbranch_scc0 .LBB119_2498
; %bb.2495:
	s_wait_loadcnt 0x0
	global_load_b64 v[4:5], v[20:21], off
	s_mov_b32 s0, 0
	s_wait_loadcnt 0x0
	v_cvt_f64_i32_e32 v[6:7], v5
	v_cvt_f64_u32_e32 v[4:5], v4
	s_delay_alu instid0(VALU_DEP_2) | instskip(NEXT) | instid1(VALU_DEP_1)
	v_ldexp_f64 v[6:7], v[6:7], 32
	v_add_f64_e32 v[4:5], v[6:7], v[4:5]
	s_branch .LBB119_2499
.LBB119_2496:
	s_mov_b32 s0, -1
                                        ; implicit-def: $vgpr4_vgpr5
	s_branch .LBB119_2505
.LBB119_2497:
	s_mov_b32 s0, -1
                                        ; implicit-def: $vgpr4_vgpr5
	s_branch .LBB119_2502
.LBB119_2498:
	s_mov_b32 s0, -1
                                        ; implicit-def: $vgpr4_vgpr5
.LBB119_2499:
	s_delay_alu instid0(SALU_CYCLE_1)
	s_and_not1_b32 vcc_lo, exec_lo, s0
	s_cbranch_vccnz .LBB119_2501
; %bb.2500:
	s_wait_loadcnt 0x0
	global_load_b32 v4, v[20:21], off
	s_wait_loadcnt 0x0
	v_cvt_f64_i32_e32 v[4:5], v4
.LBB119_2501:
	s_mov_b32 s0, 0
.LBB119_2502:
	s_delay_alu instid0(SALU_CYCLE_1)
	s_and_not1_b32 vcc_lo, exec_lo, s0
	s_cbranch_vccnz .LBB119_2504
; %bb.2503:
	s_wait_loadcnt 0x0
	global_load_i16 v4, v[20:21], off
	s_wait_loadcnt 0x0
	v_cvt_f64_i32_e32 v[4:5], v4
.LBB119_2504:
	s_mov_b32 s0, 0
.LBB119_2505:
	s_delay_alu instid0(SALU_CYCLE_1)
	s_and_not1_b32 vcc_lo, exec_lo, s0
	s_cbranch_vccnz .LBB119_2511
; %bb.2506:
	s_cmp_gt_i32 s16, 0
	s_mov_b32 s0, 0
	s_cbranch_scc0 .LBB119_2508
; %bb.2507:
	s_wait_loadcnt 0x0
	global_load_i8 v4, v[20:21], off
	s_wait_loadcnt 0x0
	v_cvt_f64_i32_e32 v[4:5], v4
	s_branch .LBB119_2509
.LBB119_2508:
	s_mov_b32 s0, -1
                                        ; implicit-def: $vgpr4_vgpr5
.LBB119_2509:
	s_delay_alu instid0(SALU_CYCLE_1)
	s_and_not1_b32 vcc_lo, exec_lo, s0
	s_cbranch_vccnz .LBB119_2511
; %bb.2510:
	s_wait_loadcnt 0x0
	global_load_u8 v4, v[20:21], off
	s_wait_loadcnt 0x0
	v_cvt_f64_u32_e32 v[4:5], v4
.LBB119_2511:
	s_wait_loadcnt 0x0
	v_mov_b64_e32 v[6:7], 0
.LBB119_2512:
	s_mov_b32 s18, -1
.LBB119_2513:
	s_delay_alu instid0(SALU_CYCLE_1)
	s_and_not1_b32 vcc_lo, exec_lo, s18
	s_cbranch_vccnz .LBB119_2793
; %bb.2514:
	s_and_b32 vcc_lo, exec_lo, s13
	s_cbranch_vccz .LBB119_2516
; %bb.2515:
	s_wait_loadcnt 0x0
	s_delay_alu instid0(VALU_DEP_1) | instskip(NEXT) | instid1(VALU_DEP_2)
	v_cmp_neq_f64_e32 vcc_lo, v[0:1], v[4:5]
	v_cmp_neq_f64_e64 s0, v[2:3], v[6:7]
	s_or_b32 s17, vcc_lo, s0
	s_mov_b32 s0, 0
	s_branch .LBB119_2517
.LBB119_2516:
	s_mov_b32 s0, -1
                                        ; implicit-def: $sgpr17
.LBB119_2517:
	s_delay_alu instid0(SALU_CYCLE_1)
	s_and_not1_b32 vcc_lo, exec_lo, s0
	s_cbranch_vccnz .LBB119_2519
; %bb.2518:
	s_wait_loadcnt 0x0
	s_delay_alu instid0(VALU_DEP_1) | instskip(NEXT) | instid1(VALU_DEP_2)
	v_cmp_eq_f64_e32 vcc_lo, v[0:1], v[4:5]
	v_cmp_eq_f64_e64 s0, v[2:3], v[6:7]
	s_and_not1_b32 s17, s17, exec_lo
	s_and_b32 s0, vcc_lo, s0
	s_delay_alu instid0(SALU_CYCLE_1) | instskip(NEXT) | instid1(SALU_CYCLE_1)
	s_and_b32 s0, s0, exec_lo
	s_or_b32 s17, s17, s0
.LBB119_2519:
	v_mov_b32_e32 v19, 0
	s_cmp_lt_i32 s15, 11
	s_wait_loadcnt 0x0
	s_delay_alu instid0(VALU_DEP_1)
	v_add_nc_u64_e32 v[4:5], s[6:7], v[18:19]
	s_cbranch_scc1 .LBB119_2526
; %bb.2520:
	s_cmp_gt_i32 s15, 25
	s_mov_b32 s6, 0
	s_cbranch_scc0 .LBB119_2527
; %bb.2521:
	s_cmp_gt_i32 s15, 28
	s_cbranch_scc0 .LBB119_2528
; %bb.2522:
	s_cmp_gt_i32 s15, 43
	;; [unrolled: 3-line block ×3, first 2 shown]
	s_cbranch_scc0 .LBB119_2530
; %bb.2524:
	s_cmp_eq_u32 s15, 46
	s_mov_b32 s18, 0
	s_cbranch_scc0 .LBB119_2531
; %bb.2525:
	global_load_b32 v0, v[4:5], off
	s_mov_b32 s0, 0
	s_mov_b32 s7, -1
	s_wait_loadcnt 0x0
	v_lshlrev_b32_e32 v1, 16, v0
	v_and_b32_e32 v2, 0xffff0000, v0
	s_delay_alu instid0(VALU_DEP_2) | instskip(NEXT) | instid1(VALU_DEP_2)
	v_cvt_f64_f32_e32 v[0:1], v1
	v_cvt_f64_f32_e32 v[2:3], v2
	s_branch .LBB119_2533
.LBB119_2526:
	s_mov_b32 s0, -1
	s_mov_b32 s7, 0
                                        ; implicit-def: $vgpr2_vgpr3
	s_branch .LBB119_2579
.LBB119_2527:
	s_mov_b32 s18, -1
	s_mov_b32 s7, 0
	s_mov_b32 s0, 0
                                        ; implicit-def: $vgpr2_vgpr3
	s_branch .LBB119_2564
.LBB119_2528:
	s_mov_b32 s18, -1
	s_mov_b32 s7, 0
	s_mov_b32 s0, 0
                                        ; implicit-def: $vgpr2_vgpr3
	s_branch .LBB119_2545
.LBB119_2529:
	s_mov_b32 s18, -1
	s_mov_b32 s7, 0
	s_mov_b32 s0, 0
                                        ; implicit-def: $vgpr2_vgpr3
	s_branch .LBB119_2539
.LBB119_2530:
	s_mov_b32 s18, -1
	s_mov_b32 s7, 0
	s_mov_b32 s0, 0
	s_branch .LBB119_2532
.LBB119_2531:
	s_mov_b32 s0, -1
	s_mov_b32 s7, 0
.LBB119_2532:
                                        ; implicit-def: $vgpr2_vgpr3
.LBB119_2533:
	s_and_b32 vcc_lo, exec_lo, s18
	s_cbranch_vccz .LBB119_2538
; %bb.2534:
	s_cmp_eq_u32 s15, 44
	s_cbranch_scc0 .LBB119_2536
; %bb.2535:
	global_load_u8 v2, v[4:5], off
	s_mov_b32 s0, 0
	s_mov_b32 s7, -1
	s_wait_loadcnt 0x0
	v_cmp_ne_u32_e32 vcc_lo, 0xff, v2
	v_lshlrev_b32_e32 v0, 23, v2
	s_delay_alu instid0(VALU_DEP_1) | instskip(NEXT) | instid1(VALU_DEP_1)
	v_cvt_f64_f32_e32 v[0:1], v0
	v_cndmask_b32_e32 v0, 0x20000000, v0, vcc_lo
	s_delay_alu instid0(VALU_DEP_2) | instskip(SKIP_1) | instid1(VALU_DEP_2)
	v_cndmask_b32_e32 v1, 0x7ff80000, v1, vcc_lo
	v_cmp_ne_u32_e32 vcc_lo, 0, v2
	v_cndmask_b32_e32 v1, 0x38000000, v1, vcc_lo
	s_delay_alu instid0(VALU_DEP_4)
	v_cndmask_b32_e32 v0, 0, v0, vcc_lo
	s_branch .LBB119_2537
.LBB119_2536:
	s_mov_b32 s0, -1
                                        ; implicit-def: $vgpr0_vgpr1
.LBB119_2537:
	v_mov_b64_e32 v[2:3], 0
.LBB119_2538:
	s_mov_b32 s18, 0
.LBB119_2539:
	s_delay_alu instid0(SALU_CYCLE_1)
	s_and_b32 vcc_lo, exec_lo, s18
	s_cbranch_vccz .LBB119_2544
; %bb.2540:
	s_cmp_eq_u32 s15, 29
	s_cbranch_scc0 .LBB119_2542
; %bb.2541:
	global_load_b64 v[0:1], v[4:5], off
	s_mov_b32 s0, 0
	s_mov_b32 s7, -1
	s_wait_loadcnt 0x0
	v_cvt_f64_u32_e32 v[2:3], v1
	v_cvt_f64_u32_e32 v[0:1], v0
	s_delay_alu instid0(VALU_DEP_2) | instskip(NEXT) | instid1(VALU_DEP_1)
	v_ldexp_f64 v[2:3], v[2:3], 32
	v_add_f64_e32 v[0:1], v[2:3], v[0:1]
	s_branch .LBB119_2543
.LBB119_2542:
	s_mov_b32 s0, -1
                                        ; implicit-def: $vgpr0_vgpr1
.LBB119_2543:
	v_mov_b64_e32 v[2:3], 0
.LBB119_2544:
	s_mov_b32 s18, 0
.LBB119_2545:
	s_delay_alu instid0(SALU_CYCLE_1)
	s_and_b32 vcc_lo, exec_lo, s18
	s_cbranch_vccz .LBB119_2563
; %bb.2546:
	s_cmp_lt_i32 s15, 27
	s_cbranch_scc1 .LBB119_2549
; %bb.2547:
	s_cmp_gt_i32 s15, 27
	s_cbranch_scc0 .LBB119_2550
; %bb.2548:
	global_load_b32 v0, v[4:5], off
	s_mov_b32 s7, 0
	s_wait_loadcnt 0x0
	v_cvt_f64_u32_e32 v[0:1], v0
	s_branch .LBB119_2551
.LBB119_2549:
	s_mov_b32 s7, -1
                                        ; implicit-def: $vgpr0_vgpr1
	s_branch .LBB119_2554
.LBB119_2550:
	s_mov_b32 s7, -1
                                        ; implicit-def: $vgpr0_vgpr1
.LBB119_2551:
	s_delay_alu instid0(SALU_CYCLE_1)
	s_and_not1_b32 vcc_lo, exec_lo, s7
	s_cbranch_vccnz .LBB119_2553
; %bb.2552:
	global_load_u16 v0, v[4:5], off
	s_wait_loadcnt 0x0
	v_cvt_f64_u32_e32 v[0:1], v0
.LBB119_2553:
	s_mov_b32 s7, 0
.LBB119_2554:
	s_delay_alu instid0(SALU_CYCLE_1)
	s_and_not1_b32 vcc_lo, exec_lo, s7
	s_cbranch_vccnz .LBB119_2562
; %bb.2555:
	global_load_u8 v2, v[4:5], off
	s_mov_b32 s7, 0
	s_mov_b32 s18, exec_lo
	s_wait_loadcnt 0x0
	v_cmpx_lt_i16_e32 0x7f, v2
	s_xor_b32 s18, exec_lo, s18
	s_cbranch_execz .LBB119_2588
; %bb.2556:
	s_mov_b32 s7, -1
	s_mov_b32 s19, exec_lo
	v_cmpx_eq_u16_e32 0x80, v2
; %bb.2557:
	s_xor_b32 s7, exec_lo, -1
; %bb.2558:
	s_or_b32 exec_lo, exec_lo, s19
	s_delay_alu instid0(SALU_CYCLE_1)
	s_and_b32 s7, s7, exec_lo
	s_or_saveexec_b32 s18, s18
	v_mov_b64_e32 v[0:1], 0x7ff8000020000000
	s_xor_b32 exec_lo, exec_lo, s18
	s_cbranch_execnz .LBB119_2589
.LBB119_2559:
	s_or_b32 exec_lo, exec_lo, s18
	s_and_saveexec_b32 s18, s7
	s_cbranch_execz .LBB119_2561
.LBB119_2560:
	v_and_b32_e32 v0, 0xffff, v2
	s_delay_alu instid0(VALU_DEP_1) | instskip(SKIP_1) | instid1(VALU_DEP_2)
	v_and_b32_e32 v1, 7, v0
	v_bfe_u32 v7, v0, 3, 4
	v_clz_i32_u32_e32 v3, v1
	s_delay_alu instid0(VALU_DEP_2) | instskip(NEXT) | instid1(VALU_DEP_2)
	v_cmp_eq_u32_e32 vcc_lo, 0, v7
	v_min_u32_e32 v3, 32, v3
	s_delay_alu instid0(VALU_DEP_1) | instskip(NEXT) | instid1(VALU_DEP_1)
	v_subrev_nc_u32_e32 v6, 28, v3
	v_dual_lshlrev_b32 v0, v6, v0 :: v_dual_sub_nc_u32 v3, 29, v3
	s_delay_alu instid0(VALU_DEP_1) | instskip(NEXT) | instid1(VALU_DEP_1)
	v_dual_lshlrev_b32 v2, 24, v2 :: v_dual_bitop2_b32 v0, 7, v0 bitop3:0x40
	v_dual_cndmask_b32 v3, v7, v3 :: v_dual_cndmask_b32 v0, v1, v0
	s_delay_alu instid0(VALU_DEP_2) | instskip(NEXT) | instid1(VALU_DEP_2)
	v_and_b32_e32 v1, 0x80000000, v2
	v_lshl_add_u32 v2, v3, 23, 0x3b800000
	s_delay_alu instid0(VALU_DEP_3) | instskip(NEXT) | instid1(VALU_DEP_1)
	v_lshlrev_b32_e32 v0, 20, v0
	v_or3_b32 v0, v1, v2, v0
	s_delay_alu instid0(VALU_DEP_1)
	v_cvt_f64_f32_e32 v[0:1], v0
.LBB119_2561:
	s_or_b32 exec_lo, exec_lo, s18
.LBB119_2562:
	v_mov_b64_e32 v[2:3], 0
	s_mov_b32 s7, -1
.LBB119_2563:
	s_mov_b32 s18, 0
.LBB119_2564:
	s_delay_alu instid0(SALU_CYCLE_1)
	s_and_b32 vcc_lo, exec_lo, s18
	s_cbranch_vccz .LBB119_2575
; %bb.2565:
	s_cmp_gt_i32 s15, 22
	s_cbranch_scc0 .LBB119_2586
; %bb.2566:
	s_cmp_lt_i32 s15, 24
	s_cbranch_scc1 .LBB119_2590
; %bb.2567:
	s_cmp_gt_i32 s15, 24
	s_cbranch_scc0 .LBB119_2592
; %bb.2568:
	global_load_u8 v2, v[4:5], off
	s_mov_b32 s7, exec_lo
	s_wait_loadcnt 0x0
	v_cmpx_lt_i16_e32 0x7f, v2
	s_xor_b32 s7, exec_lo, s7
	s_cbranch_execz .LBB119_2604
; %bb.2569:
	s_mov_b32 s6, -1
	s_mov_b32 s18, exec_lo
	v_cmpx_eq_u16_e32 0x80, v2
; %bb.2570:
	s_xor_b32 s6, exec_lo, -1
; %bb.2571:
	s_or_b32 exec_lo, exec_lo, s18
	s_delay_alu instid0(SALU_CYCLE_1)
	s_and_b32 s6, s6, exec_lo
	s_or_saveexec_b32 s7, s7
	v_mov_b64_e32 v[0:1], 0x7ff8000020000000
	s_xor_b32 exec_lo, exec_lo, s7
	s_cbranch_execnz .LBB119_2605
.LBB119_2572:
	s_or_b32 exec_lo, exec_lo, s7
	s_and_saveexec_b32 s7, s6
	s_cbranch_execz .LBB119_2574
.LBB119_2573:
	v_and_b32_e32 v0, 0xffff, v2
	s_delay_alu instid0(VALU_DEP_1) | instskip(SKIP_1) | instid1(VALU_DEP_2)
	v_and_b32_e32 v1, 3, v0
	v_bfe_u32 v7, v0, 2, 5
	v_clz_i32_u32_e32 v3, v1
	s_delay_alu instid0(VALU_DEP_2) | instskip(NEXT) | instid1(VALU_DEP_2)
	v_cmp_eq_u32_e32 vcc_lo, 0, v7
	v_min_u32_e32 v3, 32, v3
	s_delay_alu instid0(VALU_DEP_1) | instskip(NEXT) | instid1(VALU_DEP_1)
	v_subrev_nc_u32_e32 v6, 29, v3
	v_dual_lshlrev_b32 v0, v6, v0 :: v_dual_sub_nc_u32 v3, 30, v3
	s_delay_alu instid0(VALU_DEP_1) | instskip(NEXT) | instid1(VALU_DEP_1)
	v_dual_lshlrev_b32 v2, 24, v2 :: v_dual_bitop2_b32 v0, 3, v0 bitop3:0x40
	v_dual_cndmask_b32 v3, v7, v3 :: v_dual_cndmask_b32 v0, v1, v0
	s_delay_alu instid0(VALU_DEP_2) | instskip(NEXT) | instid1(VALU_DEP_2)
	v_and_b32_e32 v1, 0x80000000, v2
	v_lshl_add_u32 v2, v3, 23, 0x37800000
	s_delay_alu instid0(VALU_DEP_3) | instskip(NEXT) | instid1(VALU_DEP_1)
	v_lshlrev_b32_e32 v0, 21, v0
	v_or3_b32 v0, v1, v2, v0
	s_delay_alu instid0(VALU_DEP_1)
	v_cvt_f64_f32_e32 v[0:1], v0
.LBB119_2574:
	s_or_b32 exec_lo, exec_lo, s7
	s_mov_b32 s6, 0
	s_branch .LBB119_2593
.LBB119_2575:
	s_and_b32 vcc_lo, exec_lo, s0
	s_cbranch_vccnz .LBB119_2623
.LBB119_2576:
	s_and_not1_b32 vcc_lo, exec_lo, s6
	s_cbranch_vccnz .LBB119_2578
.LBB119_2577:
	global_load_u8 v0, v[4:5], off
	v_mov_b64_e32 v[2:3], 0
	s_mov_b32 s7, -1
	s_wait_loadcnt 0x0
	v_cmp_ne_u16_e32 vcc_lo, 0, v0
	v_mov_b32_e32 v0, 0
	v_cndmask_b32_e64 v1, 0, 0x3ff00000, vcc_lo
.LBB119_2578:
	s_mov_b32 s0, 0
.LBB119_2579:
	s_delay_alu instid0(SALU_CYCLE_1)
	s_and_b32 vcc_lo, exec_lo, s0
	s_cbranch_vccz .LBB119_2654
; %bb.2580:
	s_cmp_lt_i32 s15, 5
	s_cbranch_scc1 .LBB119_2585
; %bb.2581:
	s_cmp_lt_i32 s15, 8
	s_cbranch_scc1 .LBB119_2587
	;; [unrolled: 3-line block ×3, first 2 shown]
; %bb.2583:
	s_cmp_gt_i32 s15, 9
	s_cbranch_scc0 .LBB119_2606
; %bb.2584:
	global_load_b128 v[0:3], v[4:5], off
	s_mov_b32 s0, 0
	s_branch .LBB119_2607
.LBB119_2585:
	s_mov_b32 s0, -1
                                        ; implicit-def: $vgpr2_vgpr3
	s_branch .LBB119_2632
.LBB119_2586:
	s_mov_b32 s6, -1
                                        ; implicit-def: $vgpr0_vgpr1
	s_branch .LBB119_2599
.LBB119_2587:
	s_mov_b32 s0, -1
                                        ; implicit-def: $vgpr2_vgpr3
	s_branch .LBB119_2613
.LBB119_2588:
	s_or_saveexec_b32 s18, s18
	v_mov_b64_e32 v[0:1], 0x7ff8000020000000
	s_xor_b32 exec_lo, exec_lo, s18
	s_cbranch_execz .LBB119_2559
.LBB119_2589:
	v_cmp_ne_u16_e32 vcc_lo, 0, v2
	v_mov_b64_e32 v[0:1], 0
	s_and_not1_b32 s7, s7, exec_lo
	s_and_b32 s19, vcc_lo, exec_lo
	s_delay_alu instid0(SALU_CYCLE_1)
	s_or_b32 s7, s7, s19
	s_or_b32 exec_lo, exec_lo, s18
	s_and_saveexec_b32 s18, s7
	s_cbranch_execnz .LBB119_2560
	s_branch .LBB119_2561
.LBB119_2590:
	s_mov_b32 s6, -1
                                        ; implicit-def: $vgpr0_vgpr1
	s_branch .LBB119_2596
.LBB119_2591:
	s_mov_b32 s0, -1
                                        ; implicit-def: $vgpr2_vgpr3
	s_branch .LBB119_2610
.LBB119_2592:
	s_mov_b32 s6, -1
                                        ; implicit-def: $vgpr0_vgpr1
.LBB119_2593:
	s_delay_alu instid0(SALU_CYCLE_1)
	s_and_b32 vcc_lo, exec_lo, s6
	s_cbranch_vccz .LBB119_2595
; %bb.2594:
	global_load_u8 v0, v[4:5], off
	s_wait_loadcnt 0x0
	v_lshlrev_b32_e32 v0, 24, v0
	s_delay_alu instid0(VALU_DEP_1) | instskip(NEXT) | instid1(VALU_DEP_1)
	v_and_b32_e32 v1, 0x7f000000, v0
	v_clz_i32_u32_e32 v2, v1
	v_cmp_ne_u32_e32 vcc_lo, 0, v1
	v_add_nc_u32_e32 v6, 0x1000000, v1
	s_delay_alu instid0(VALU_DEP_3) | instskip(NEXT) | instid1(VALU_DEP_1)
	v_min_u32_e32 v2, 32, v2
	v_sub_nc_u32_e64 v2, v2, 4 clamp
	s_delay_alu instid0(VALU_DEP_1) | instskip(NEXT) | instid1(VALU_DEP_1)
	v_dual_lshlrev_b32 v3, v2, v1 :: v_dual_lshlrev_b32 v2, 23, v2
	v_lshrrev_b32_e32 v3, 4, v3
	s_delay_alu instid0(VALU_DEP_1) | instskip(SKIP_1) | instid1(VALU_DEP_2)
	v_sub_nc_u32_e32 v2, v3, v2
	v_ashrrev_i32_e32 v3, 8, v6
	v_add_nc_u32_e32 v2, 0x3c000000, v2
	s_delay_alu instid0(VALU_DEP_1) | instskip(NEXT) | instid1(VALU_DEP_1)
	v_and_or_b32 v2, 0x7f800000, v3, v2
	v_cndmask_b32_e32 v1, 0, v2, vcc_lo
	s_delay_alu instid0(VALU_DEP_1) | instskip(NEXT) | instid1(VALU_DEP_1)
	v_and_or_b32 v0, 0x80000000, v0, v1
	v_cvt_f64_f32_e32 v[0:1], v0
.LBB119_2595:
	s_mov_b32 s6, 0
.LBB119_2596:
	s_delay_alu instid0(SALU_CYCLE_1)
	s_and_not1_b32 vcc_lo, exec_lo, s6
	s_cbranch_vccnz .LBB119_2598
; %bb.2597:
	global_load_u8 v0, v[4:5], off
	s_wait_loadcnt 0x0
	v_lshlrev_b32_e32 v1, 25, v0
	v_lshlrev_b16 v0, 8, v0
	s_delay_alu instid0(VALU_DEP_1) | instskip(SKIP_1) | instid1(VALU_DEP_2)
	v_and_or_b32 v3, 0x7f00, v0, 0.5
	v_bfe_i32 v0, v0, 0, 16
	v_dual_add_f32 v3, -0.5, v3 :: v_dual_lshrrev_b32 v2, 4, v1
	v_cmp_gt_u32_e32 vcc_lo, 0x8000000, v1
	s_delay_alu instid0(VALU_DEP_2) | instskip(NEXT) | instid1(VALU_DEP_1)
	v_or_b32_e32 v2, 0x70000000, v2
	v_mul_f32_e32 v2, 0x7800000, v2
	s_delay_alu instid0(VALU_DEP_1) | instskip(NEXT) | instid1(VALU_DEP_1)
	v_cndmask_b32_e32 v1, v2, v3, vcc_lo
	v_and_or_b32 v0, 0x80000000, v0, v1
	s_delay_alu instid0(VALU_DEP_1)
	v_cvt_f64_f32_e32 v[0:1], v0
.LBB119_2598:
	s_mov_b32 s6, 0
	s_mov_b32 s7, -1
.LBB119_2599:
	s_and_not1_b32 vcc_lo, exec_lo, s6
	s_mov_b32 s6, 0
	s_cbranch_vccnz .LBB119_2622
; %bb.2600:
	s_cmp_gt_i32 s15, 14
	s_cbranch_scc0 .LBB119_2603
; %bb.2601:
	s_cmp_eq_u32 s15, 15
	s_cbranch_scc0 .LBB119_2618
; %bb.2602:
	global_load_u16 v0, v[4:5], off
	s_mov_b32 s0, 0
	s_mov_b32 s7, -1
	s_wait_loadcnt 0x0
	v_lshlrev_b32_e32 v0, 16, v0
	s_delay_alu instid0(VALU_DEP_1)
	v_cvt_f64_f32_e32 v[0:1], v0
	s_branch .LBB119_2620
.LBB119_2603:
	s_mov_b32 s6, -1
	s_branch .LBB119_2619
.LBB119_2604:
	s_or_saveexec_b32 s7, s7
	v_mov_b64_e32 v[0:1], 0x7ff8000020000000
	s_xor_b32 exec_lo, exec_lo, s7
	s_cbranch_execz .LBB119_2572
.LBB119_2605:
	v_cmp_ne_u16_e32 vcc_lo, 0, v2
	v_mov_b64_e32 v[0:1], 0
	s_and_not1_b32 s6, s6, exec_lo
	s_and_b32 s18, vcc_lo, exec_lo
	s_delay_alu instid0(SALU_CYCLE_1)
	s_or_b32 s6, s6, s18
	s_or_b32 exec_lo, exec_lo, s7
	s_and_saveexec_b32 s7, s6
	s_cbranch_execnz .LBB119_2573
	s_branch .LBB119_2574
.LBB119_2606:
	s_mov_b32 s0, -1
                                        ; implicit-def: $vgpr2_vgpr3
.LBB119_2607:
	s_delay_alu instid0(SALU_CYCLE_1)
	s_and_not1_b32 vcc_lo, exec_lo, s0
	s_cbranch_vccnz .LBB119_2609
; %bb.2608:
	s_wait_loadcnt 0x0
	global_load_b64 v[2:3], v[4:5], off
	s_wait_loadcnt 0x0
	v_cvt_f64_f32_e32 v[0:1], v2
	v_cvt_f64_f32_e32 v[2:3], v3
.LBB119_2609:
	s_mov_b32 s0, 0
.LBB119_2610:
	s_delay_alu instid0(SALU_CYCLE_1)
	s_and_not1_b32 vcc_lo, exec_lo, s0
	s_cbranch_vccnz .LBB119_2612
; %bb.2611:
	s_wait_loadcnt 0x0
	global_load_b32 v0, v[4:5], off
	s_wait_loadcnt 0x0
	v_lshrrev_b32_e32 v1, 16, v0
	v_cvt_f32_f16_e32 v0, v0
	s_delay_alu instid0(VALU_DEP_2) | instskip(NEXT) | instid1(VALU_DEP_2)
	v_cvt_f32_f16_e32 v2, v1
	v_cvt_f64_f32_e32 v[0:1], v0
	s_delay_alu instid0(VALU_DEP_2)
	v_cvt_f64_f32_e32 v[2:3], v2
.LBB119_2612:
	s_mov_b32 s0, 0
.LBB119_2613:
	s_delay_alu instid0(SALU_CYCLE_1)
	s_and_not1_b32 vcc_lo, exec_lo, s0
	s_cbranch_vccnz .LBB119_2631
; %bb.2614:
	s_cmp_lt_i32 s15, 6
	s_cbranch_scc1 .LBB119_2617
; %bb.2615:
	s_cmp_gt_i32 s15, 6
	s_cbranch_scc0 .LBB119_2624
; %bb.2616:
	s_wait_loadcnt 0x0
	global_load_b64 v[0:1], v[4:5], off
	s_mov_b32 s0, 0
	s_branch .LBB119_2625
.LBB119_2617:
	s_mov_b32 s0, -1
                                        ; implicit-def: $vgpr0_vgpr1
	s_branch .LBB119_2628
.LBB119_2618:
	s_mov_b32 s0, -1
.LBB119_2619:
                                        ; implicit-def: $vgpr0_vgpr1
.LBB119_2620:
	s_and_b32 vcc_lo, exec_lo, s6
	s_mov_b32 s6, 0
	s_cbranch_vccz .LBB119_2622
; %bb.2621:
	s_cmp_lg_u32 s15, 11
	s_mov_b32 s6, -1
	s_cselect_b32 s0, -1, 0
.LBB119_2622:
	v_mov_b64_e32 v[2:3], 0
	s_and_b32 vcc_lo, exec_lo, s0
	s_cbranch_vccz .LBB119_2576
.LBB119_2623:
	s_or_b32 s1, s1, exec_lo
	s_trap 2
	s_cbranch_execz .LBB119_2577
	s_branch .LBB119_2578
.LBB119_2624:
	s_mov_b32 s0, -1
                                        ; implicit-def: $vgpr0_vgpr1
.LBB119_2625:
	s_delay_alu instid0(SALU_CYCLE_1)
	s_and_not1_b32 vcc_lo, exec_lo, s0
	s_cbranch_vccnz .LBB119_2627
; %bb.2626:
	s_wait_loadcnt 0x0
	global_load_b32 v0, v[4:5], off
	s_wait_loadcnt 0x0
	v_cvt_f64_f32_e32 v[0:1], v0
.LBB119_2627:
	s_mov_b32 s0, 0
.LBB119_2628:
	s_delay_alu instid0(SALU_CYCLE_1)
	s_and_not1_b32 vcc_lo, exec_lo, s0
	s_cbranch_vccnz .LBB119_2630
; %bb.2629:
	s_wait_loadcnt 0x0
	global_load_u16 v0, v[4:5], off
	s_wait_loadcnt 0x0
	v_cvt_f32_f16_e32 v0, v0
	s_delay_alu instid0(VALU_DEP_1)
	v_cvt_f64_f32_e32 v[0:1], v0
.LBB119_2630:
	s_wait_loadcnt 0x0
	v_mov_b64_e32 v[2:3], 0
.LBB119_2631:
	s_mov_b32 s0, 0
.LBB119_2632:
	s_delay_alu instid0(SALU_CYCLE_1)
	s_and_not1_b32 vcc_lo, exec_lo, s0
	s_cbranch_vccnz .LBB119_2653
; %bb.2633:
	s_cmp_lt_i32 s15, 2
	s_cbranch_scc1 .LBB119_2637
; %bb.2634:
	s_cmp_lt_i32 s15, 3
	s_cbranch_scc1 .LBB119_2638
; %bb.2635:
	s_cmp_gt_i32 s15, 3
	s_cbranch_scc0 .LBB119_2639
; %bb.2636:
	s_wait_loadcnt 0x0
	global_load_b64 v[0:1], v[4:5], off
	s_mov_b32 s0, 0
	s_wait_loadcnt 0x0
	v_cvt_f64_i32_e32 v[2:3], v1
	v_cvt_f64_u32_e32 v[0:1], v0
	s_delay_alu instid0(VALU_DEP_2) | instskip(NEXT) | instid1(VALU_DEP_1)
	v_ldexp_f64 v[2:3], v[2:3], 32
	v_add_f64_e32 v[0:1], v[2:3], v[0:1]
	s_branch .LBB119_2640
.LBB119_2637:
	s_mov_b32 s0, -1
                                        ; implicit-def: $vgpr0_vgpr1
	s_branch .LBB119_2646
.LBB119_2638:
	s_mov_b32 s0, -1
                                        ; implicit-def: $vgpr0_vgpr1
	s_branch .LBB119_2643
.LBB119_2639:
	s_mov_b32 s0, -1
                                        ; implicit-def: $vgpr0_vgpr1
.LBB119_2640:
	s_delay_alu instid0(SALU_CYCLE_1)
	s_and_not1_b32 vcc_lo, exec_lo, s0
	s_cbranch_vccnz .LBB119_2642
; %bb.2641:
	s_wait_loadcnt 0x0
	global_load_b32 v0, v[4:5], off
	s_wait_loadcnt 0x0
	v_cvt_f64_i32_e32 v[0:1], v0
.LBB119_2642:
	s_mov_b32 s0, 0
.LBB119_2643:
	s_delay_alu instid0(SALU_CYCLE_1)
	s_and_not1_b32 vcc_lo, exec_lo, s0
	s_cbranch_vccnz .LBB119_2645
; %bb.2644:
	s_wait_loadcnt 0x0
	global_load_i16 v0, v[4:5], off
	s_wait_loadcnt 0x0
	v_cvt_f64_i32_e32 v[0:1], v0
.LBB119_2645:
	s_mov_b32 s0, 0
.LBB119_2646:
	s_delay_alu instid0(SALU_CYCLE_1)
	s_and_not1_b32 vcc_lo, exec_lo, s0
	s_cbranch_vccnz .LBB119_2652
; %bb.2647:
	s_cmp_gt_i32 s15, 0
	s_mov_b32 s0, 0
	s_cbranch_scc0 .LBB119_2649
; %bb.2648:
	s_wait_loadcnt 0x0
	global_load_i8 v0, v[4:5], off
	s_wait_loadcnt 0x0
	v_cvt_f64_i32_e32 v[0:1], v0
	s_branch .LBB119_2650
.LBB119_2649:
	s_mov_b32 s0, -1
                                        ; implicit-def: $vgpr0_vgpr1
.LBB119_2650:
	s_delay_alu instid0(SALU_CYCLE_1)
	s_and_not1_b32 vcc_lo, exec_lo, s0
	s_cbranch_vccnz .LBB119_2652
; %bb.2651:
	s_wait_loadcnt 0x0
	global_load_u8 v0, v[4:5], off
	s_wait_loadcnt 0x0
	v_cvt_f64_u32_e32 v[0:1], v0
.LBB119_2652:
	s_wait_loadcnt 0x0
	v_mov_b64_e32 v[2:3], 0
.LBB119_2653:
	s_mov_b32 s7, -1
.LBB119_2654:
	s_delay_alu instid0(SALU_CYCLE_1)
	s_and_not1_b32 vcc_lo, exec_lo, s7
	s_cbranch_vccnz .LBB119_2793
; %bb.2655:
	v_mov_b32_e32 v17, 0
	s_cmp_lt_i32 s16, 11
	s_delay_alu instid0(VALU_DEP_1)
	v_add_nc_u64_e32 v[16:17], s[8:9], v[16:17]
	s_cbranch_scc1 .LBB119_2662
; %bb.2656:
	s_cmp_gt_i32 s16, 25
	s_mov_b32 s6, 0
	s_cbranch_scc0 .LBB119_2663
; %bb.2657:
	s_cmp_gt_i32 s16, 28
	s_cbranch_scc0 .LBB119_2664
; %bb.2658:
	s_cmp_gt_i32 s16, 43
	s_cbranch_scc0 .LBB119_2665
; %bb.2659:
	s_cmp_gt_i32 s16, 45
	s_cbranch_scc0 .LBB119_2666
; %bb.2660:
	s_cmp_eq_u32 s16, 46
	s_mov_b32 s8, 0
	s_cbranch_scc0 .LBB119_2667
; %bb.2661:
	global_load_b32 v4, v[16:17], off
	s_mov_b32 s0, 0
	s_mov_b32 s7, -1
	s_wait_loadcnt 0x0
	v_lshlrev_b32_e32 v5, 16, v4
	v_and_b32_e32 v6, 0xffff0000, v4
	s_delay_alu instid0(VALU_DEP_2) | instskip(NEXT) | instid1(VALU_DEP_2)
	v_cvt_f64_f32_e32 v[4:5], v5
	v_cvt_f64_f32_e32 v[6:7], v6
	s_branch .LBB119_2669
.LBB119_2662:
	s_mov_b32 s0, -1
	s_mov_b32 s7, 0
                                        ; implicit-def: $vgpr6_vgpr7
	s_branch .LBB119_2715
.LBB119_2663:
	s_mov_b32 s8, -1
	s_mov_b32 s7, 0
	s_mov_b32 s0, 0
                                        ; implicit-def: $vgpr6_vgpr7
	s_branch .LBB119_2700
.LBB119_2664:
	s_mov_b32 s8, -1
	s_mov_b32 s7, 0
	s_mov_b32 s0, 0
                                        ; implicit-def: $vgpr6_vgpr7
	s_branch .LBB119_2681
.LBB119_2665:
	s_mov_b32 s8, -1
	s_mov_b32 s7, 0
	s_mov_b32 s0, 0
                                        ; implicit-def: $vgpr6_vgpr7
	s_branch .LBB119_2675
.LBB119_2666:
	s_mov_b32 s8, -1
	s_mov_b32 s7, 0
	s_mov_b32 s0, 0
	s_branch .LBB119_2668
.LBB119_2667:
	s_mov_b32 s0, -1
	s_mov_b32 s7, 0
.LBB119_2668:
                                        ; implicit-def: $vgpr6_vgpr7
.LBB119_2669:
	s_and_b32 vcc_lo, exec_lo, s8
	s_cbranch_vccz .LBB119_2674
; %bb.2670:
	s_cmp_eq_u32 s16, 44
	s_cbranch_scc0 .LBB119_2672
; %bb.2671:
	global_load_u8 v6, v[16:17], off
	s_mov_b32 s0, 0
	s_mov_b32 s7, -1
	s_wait_loadcnt 0x0
	v_cmp_ne_u32_e32 vcc_lo, 0xff, v6
	s_wait_xcnt 0x1
	v_lshlrev_b32_e32 v4, 23, v6
	s_delay_alu instid0(VALU_DEP_1) | instskip(NEXT) | instid1(VALU_DEP_1)
	v_cvt_f64_f32_e32 v[4:5], v4
	v_cndmask_b32_e32 v4, 0x20000000, v4, vcc_lo
	s_delay_alu instid0(VALU_DEP_2) | instskip(SKIP_1) | instid1(VALU_DEP_2)
	v_cndmask_b32_e32 v5, 0x7ff80000, v5, vcc_lo
	v_cmp_ne_u32_e32 vcc_lo, 0, v6
	v_cndmask_b32_e32 v5, 0x38000000, v5, vcc_lo
	s_delay_alu instid0(VALU_DEP_4)
	v_cndmask_b32_e32 v4, 0, v4, vcc_lo
	s_branch .LBB119_2673
.LBB119_2672:
	s_mov_b32 s0, -1
                                        ; implicit-def: $vgpr4_vgpr5
.LBB119_2673:
	v_mov_b64_e32 v[6:7], 0
.LBB119_2674:
	s_mov_b32 s8, 0
.LBB119_2675:
	s_delay_alu instid0(SALU_CYCLE_1)
	s_and_b32 vcc_lo, exec_lo, s8
	s_cbranch_vccz .LBB119_2680
; %bb.2676:
	s_cmp_eq_u32 s16, 29
	s_cbranch_scc0 .LBB119_2678
; %bb.2677:
	global_load_b64 v[4:5], v[16:17], off
	s_mov_b32 s0, 0
	s_mov_b32 s7, -1
	s_wait_loadcnt 0x0
	v_cvt_f64_u32_e32 v[6:7], v5
	v_cvt_f64_u32_e32 v[4:5], v4
	s_delay_alu instid0(VALU_DEP_2) | instskip(NEXT) | instid1(VALU_DEP_1)
	v_ldexp_f64 v[6:7], v[6:7], 32
	v_add_f64_e32 v[4:5], v[6:7], v[4:5]
	s_branch .LBB119_2679
.LBB119_2678:
	s_mov_b32 s0, -1
                                        ; implicit-def: $vgpr4_vgpr5
.LBB119_2679:
	v_mov_b64_e32 v[6:7], 0
.LBB119_2680:
	s_mov_b32 s8, 0
.LBB119_2681:
	s_delay_alu instid0(SALU_CYCLE_1)
	s_and_b32 vcc_lo, exec_lo, s8
	s_cbranch_vccz .LBB119_2699
; %bb.2682:
	s_cmp_lt_i32 s16, 27
	s_cbranch_scc1 .LBB119_2685
; %bb.2683:
	s_cmp_gt_i32 s16, 27
	s_cbranch_scc0 .LBB119_2686
; %bb.2684:
	global_load_b32 v4, v[16:17], off
	s_mov_b32 s7, 0
	s_wait_loadcnt 0x0
	v_cvt_f64_u32_e32 v[4:5], v4
	s_branch .LBB119_2687
.LBB119_2685:
	s_mov_b32 s7, -1
                                        ; implicit-def: $vgpr4_vgpr5
	s_branch .LBB119_2690
.LBB119_2686:
	s_mov_b32 s7, -1
                                        ; implicit-def: $vgpr4_vgpr5
.LBB119_2687:
	s_delay_alu instid0(SALU_CYCLE_1)
	s_and_not1_b32 vcc_lo, exec_lo, s7
	s_cbranch_vccnz .LBB119_2689
; %bb.2688:
	global_load_u16 v4, v[16:17], off
	s_wait_loadcnt 0x0
	v_cvt_f64_u32_e32 v[4:5], v4
.LBB119_2689:
	s_mov_b32 s7, 0
.LBB119_2690:
	s_delay_alu instid0(SALU_CYCLE_1)
	s_and_not1_b32 vcc_lo, exec_lo, s7
	s_cbranch_vccnz .LBB119_2698
; %bb.2691:
	global_load_u8 v6, v[16:17], off
	s_mov_b32 s7, 0
	s_mov_b32 s8, exec_lo
	s_wait_loadcnt 0x0
	v_cmpx_lt_i16_e32 0x7f, v6
	s_xor_b32 s8, exec_lo, s8
	s_cbranch_execz .LBB119_2724
; %bb.2692:
	s_mov_b32 s7, -1
	s_mov_b32 s9, exec_lo
	v_cmpx_eq_u16_e32 0x80, v6
; %bb.2693:
	s_xor_b32 s7, exec_lo, -1
; %bb.2694:
	s_or_b32 exec_lo, exec_lo, s9
	s_delay_alu instid0(SALU_CYCLE_1)
	s_and_b32 s7, s7, exec_lo
	s_or_saveexec_b32 s8, s8
	v_mov_b64_e32 v[4:5], 0x7ff8000020000000
	s_xor_b32 exec_lo, exec_lo, s8
	s_cbranch_execnz .LBB119_2725
.LBB119_2695:
	s_or_b32 exec_lo, exec_lo, s8
	s_and_saveexec_b32 s8, s7
	s_cbranch_execz .LBB119_2697
.LBB119_2696:
	v_and_b32_e32 v4, 0xffff, v6
	s_delay_alu instid0(VALU_DEP_1) | instskip(SKIP_1) | instid1(VALU_DEP_2)
	v_and_b32_e32 v5, 7, v4
	v_bfe_u32 v11, v4, 3, 4
	v_clz_i32_u32_e32 v7, v5
	s_delay_alu instid0(VALU_DEP_2) | instskip(NEXT) | instid1(VALU_DEP_2)
	v_cmp_eq_u32_e32 vcc_lo, 0, v11
	v_min_u32_e32 v7, 32, v7
	s_delay_alu instid0(VALU_DEP_1) | instskip(NEXT) | instid1(VALU_DEP_1)
	v_subrev_nc_u32_e32 v9, 28, v7
	v_dual_lshlrev_b32 v4, v9, v4 :: v_dual_sub_nc_u32 v7, 29, v7
	s_delay_alu instid0(VALU_DEP_1) | instskip(NEXT) | instid1(VALU_DEP_1)
	v_dual_lshlrev_b32 v6, 24, v6 :: v_dual_bitop2_b32 v4, 7, v4 bitop3:0x40
	v_dual_cndmask_b32 v7, v11, v7 :: v_dual_cndmask_b32 v4, v5, v4
	s_delay_alu instid0(VALU_DEP_2) | instskip(NEXT) | instid1(VALU_DEP_2)
	v_and_b32_e32 v5, 0x80000000, v6
	v_lshl_add_u32 v6, v7, 23, 0x3b800000
	s_delay_alu instid0(VALU_DEP_3) | instskip(NEXT) | instid1(VALU_DEP_1)
	v_lshlrev_b32_e32 v4, 20, v4
	v_or3_b32 v4, v5, v6, v4
	s_delay_alu instid0(VALU_DEP_1)
	v_cvt_f64_f32_e32 v[4:5], v4
.LBB119_2697:
	s_or_b32 exec_lo, exec_lo, s8
.LBB119_2698:
	v_mov_b64_e32 v[6:7], 0
	s_mov_b32 s7, -1
.LBB119_2699:
	s_mov_b32 s8, 0
.LBB119_2700:
	s_delay_alu instid0(SALU_CYCLE_1)
	s_and_b32 vcc_lo, exec_lo, s8
	s_cbranch_vccz .LBB119_2711
; %bb.2701:
	s_cmp_gt_i32 s16, 22
	s_cbranch_scc0 .LBB119_2722
; %bb.2702:
	s_cmp_lt_i32 s16, 24
	s_cbranch_scc1 .LBB119_2726
; %bb.2703:
	s_cmp_gt_i32 s16, 24
	s_cbranch_scc0 .LBB119_2728
; %bb.2704:
	global_load_u8 v6, v[16:17], off
	s_mov_b32 s7, exec_lo
	s_wait_loadcnt 0x0
	v_cmpx_lt_i16_e32 0x7f, v6
	s_xor_b32 s7, exec_lo, s7
	s_cbranch_execz .LBB119_2740
; %bb.2705:
	s_mov_b32 s6, -1
	s_mov_b32 s8, exec_lo
	v_cmpx_eq_u16_e32 0x80, v6
; %bb.2706:
	s_xor_b32 s6, exec_lo, -1
; %bb.2707:
	s_or_b32 exec_lo, exec_lo, s8
	s_delay_alu instid0(SALU_CYCLE_1)
	s_and_b32 s6, s6, exec_lo
	s_or_saveexec_b32 s7, s7
	v_mov_b64_e32 v[4:5], 0x7ff8000020000000
	s_xor_b32 exec_lo, exec_lo, s7
	s_cbranch_execnz .LBB119_2741
.LBB119_2708:
	s_or_b32 exec_lo, exec_lo, s7
	s_and_saveexec_b32 s7, s6
	s_cbranch_execz .LBB119_2710
.LBB119_2709:
	v_and_b32_e32 v4, 0xffff, v6
	s_delay_alu instid0(VALU_DEP_1) | instskip(SKIP_1) | instid1(VALU_DEP_2)
	v_and_b32_e32 v5, 3, v4
	v_bfe_u32 v11, v4, 2, 5
	v_clz_i32_u32_e32 v7, v5
	s_delay_alu instid0(VALU_DEP_2) | instskip(NEXT) | instid1(VALU_DEP_2)
	v_cmp_eq_u32_e32 vcc_lo, 0, v11
	v_min_u32_e32 v7, 32, v7
	s_delay_alu instid0(VALU_DEP_1) | instskip(NEXT) | instid1(VALU_DEP_1)
	v_subrev_nc_u32_e32 v9, 29, v7
	v_dual_lshlrev_b32 v4, v9, v4 :: v_dual_sub_nc_u32 v7, 30, v7
	s_delay_alu instid0(VALU_DEP_1) | instskip(NEXT) | instid1(VALU_DEP_1)
	v_dual_lshlrev_b32 v6, 24, v6 :: v_dual_bitop2_b32 v4, 3, v4 bitop3:0x40
	v_dual_cndmask_b32 v7, v11, v7 :: v_dual_cndmask_b32 v4, v5, v4
	s_delay_alu instid0(VALU_DEP_2) | instskip(NEXT) | instid1(VALU_DEP_2)
	v_and_b32_e32 v5, 0x80000000, v6
	v_lshl_add_u32 v6, v7, 23, 0x37800000
	s_delay_alu instid0(VALU_DEP_3) | instskip(NEXT) | instid1(VALU_DEP_1)
	v_lshlrev_b32_e32 v4, 21, v4
	v_or3_b32 v4, v5, v6, v4
	s_delay_alu instid0(VALU_DEP_1)
	v_cvt_f64_f32_e32 v[4:5], v4
.LBB119_2710:
	s_or_b32 exec_lo, exec_lo, s7
	s_mov_b32 s6, 0
	s_branch .LBB119_2729
.LBB119_2711:
	s_and_b32 vcc_lo, exec_lo, s0
	s_cbranch_vccnz .LBB119_2759
.LBB119_2712:
	s_and_not1_b32 vcc_lo, exec_lo, s6
	s_cbranch_vccnz .LBB119_2714
.LBB119_2713:
	global_load_u8 v4, v[16:17], off
	v_mov_b64_e32 v[6:7], 0
	s_mov_b32 s7, -1
	s_wait_loadcnt 0x0
	v_cmp_ne_u16_e32 vcc_lo, 0, v4
	v_mov_b32_e32 v4, 0
	v_cndmask_b32_e64 v5, 0, 0x3ff00000, vcc_lo
.LBB119_2714:
	s_mov_b32 s0, 0
.LBB119_2715:
	s_delay_alu instid0(SALU_CYCLE_1)
	s_and_b32 vcc_lo, exec_lo, s0
	s_cbranch_vccz .LBB119_2790
; %bb.2716:
	s_cmp_lt_i32 s16, 5
	s_cbranch_scc1 .LBB119_2721
; %bb.2717:
	s_cmp_lt_i32 s16, 8
	s_cbranch_scc1 .LBB119_2723
	;; [unrolled: 3-line block ×3, first 2 shown]
; %bb.2719:
	s_cmp_gt_i32 s16, 9
	s_cbranch_scc0 .LBB119_2742
; %bb.2720:
	global_load_b128 v[4:7], v[16:17], off
	s_mov_b32 s0, 0
	s_branch .LBB119_2743
.LBB119_2721:
	s_mov_b32 s0, -1
                                        ; implicit-def: $vgpr6_vgpr7
	s_branch .LBB119_2768
.LBB119_2722:
	s_mov_b32 s6, -1
                                        ; implicit-def: $vgpr4_vgpr5
	s_branch .LBB119_2735
.LBB119_2723:
	s_mov_b32 s0, -1
                                        ; implicit-def: $vgpr6_vgpr7
	s_branch .LBB119_2749
.LBB119_2724:
	s_or_saveexec_b32 s8, s8
	v_mov_b64_e32 v[4:5], 0x7ff8000020000000
	s_xor_b32 exec_lo, exec_lo, s8
	s_cbranch_execz .LBB119_2695
.LBB119_2725:
	v_cmp_ne_u16_e32 vcc_lo, 0, v6
	v_mov_b64_e32 v[4:5], 0
	s_and_not1_b32 s7, s7, exec_lo
	s_and_b32 s9, vcc_lo, exec_lo
	s_delay_alu instid0(SALU_CYCLE_1)
	s_or_b32 s7, s7, s9
	s_or_b32 exec_lo, exec_lo, s8
	s_and_saveexec_b32 s8, s7
	s_cbranch_execnz .LBB119_2696
	s_branch .LBB119_2697
.LBB119_2726:
	s_mov_b32 s6, -1
                                        ; implicit-def: $vgpr4_vgpr5
	s_branch .LBB119_2732
.LBB119_2727:
	s_mov_b32 s0, -1
                                        ; implicit-def: $vgpr6_vgpr7
	s_branch .LBB119_2746
.LBB119_2728:
	s_mov_b32 s6, -1
                                        ; implicit-def: $vgpr4_vgpr5
.LBB119_2729:
	s_delay_alu instid0(SALU_CYCLE_1)
	s_and_b32 vcc_lo, exec_lo, s6
	s_cbranch_vccz .LBB119_2731
; %bb.2730:
	global_load_u8 v4, v[16:17], off
	s_wait_loadcnt 0x0
	v_lshlrev_b32_e32 v4, 24, v4
	s_delay_alu instid0(VALU_DEP_1) | instskip(NEXT) | instid1(VALU_DEP_1)
	v_and_b32_e32 v5, 0x7f000000, v4
	v_clz_i32_u32_e32 v6, v5
	v_add_nc_u32_e32 v9, 0x1000000, v5
	v_cmp_ne_u32_e32 vcc_lo, 0, v5
	s_delay_alu instid0(VALU_DEP_3) | instskip(NEXT) | instid1(VALU_DEP_1)
	v_min_u32_e32 v6, 32, v6
	v_sub_nc_u32_e64 v6, v6, 4 clamp
	s_delay_alu instid0(VALU_DEP_1) | instskip(NEXT) | instid1(VALU_DEP_1)
	v_dual_lshlrev_b32 v7, v6, v5 :: v_dual_lshlrev_b32 v6, 23, v6
	v_lshrrev_b32_e32 v7, 4, v7
	s_delay_alu instid0(VALU_DEP_1) | instskip(NEXT) | instid1(VALU_DEP_1)
	v_dual_sub_nc_u32 v6, v7, v6 :: v_dual_ashrrev_i32 v7, 8, v9
	v_add_nc_u32_e32 v6, 0x3c000000, v6
	s_delay_alu instid0(VALU_DEP_1) | instskip(NEXT) | instid1(VALU_DEP_1)
	v_and_or_b32 v6, 0x7f800000, v7, v6
	v_cndmask_b32_e32 v5, 0, v6, vcc_lo
	s_delay_alu instid0(VALU_DEP_1) | instskip(NEXT) | instid1(VALU_DEP_1)
	v_and_or_b32 v4, 0x80000000, v4, v5
	v_cvt_f64_f32_e32 v[4:5], v4
.LBB119_2731:
	s_mov_b32 s6, 0
.LBB119_2732:
	s_delay_alu instid0(SALU_CYCLE_1)
	s_and_not1_b32 vcc_lo, exec_lo, s6
	s_cbranch_vccnz .LBB119_2734
; %bb.2733:
	global_load_u8 v4, v[16:17], off
	s_wait_loadcnt 0x0
	v_lshlrev_b32_e32 v5, 25, v4
	v_lshlrev_b16 v4, 8, v4
	s_delay_alu instid0(VALU_DEP_1) | instskip(SKIP_1) | instid1(VALU_DEP_2)
	v_and_or_b32 v7, 0x7f00, v4, 0.5
	v_bfe_i32 v4, v4, 0, 16
	v_dual_add_f32 v7, -0.5, v7 :: v_dual_lshrrev_b32 v6, 4, v5
	v_cmp_gt_u32_e32 vcc_lo, 0x8000000, v5
	s_delay_alu instid0(VALU_DEP_2) | instskip(NEXT) | instid1(VALU_DEP_1)
	v_or_b32_e32 v6, 0x70000000, v6
	v_mul_f32_e32 v6, 0x7800000, v6
	s_delay_alu instid0(VALU_DEP_1) | instskip(NEXT) | instid1(VALU_DEP_1)
	v_cndmask_b32_e32 v5, v6, v7, vcc_lo
	v_and_or_b32 v4, 0x80000000, v4, v5
	s_delay_alu instid0(VALU_DEP_1)
	v_cvt_f64_f32_e32 v[4:5], v4
.LBB119_2734:
	s_mov_b32 s6, 0
	s_mov_b32 s7, -1
.LBB119_2735:
	s_and_not1_b32 vcc_lo, exec_lo, s6
	s_mov_b32 s6, 0
	s_cbranch_vccnz .LBB119_2758
; %bb.2736:
	s_cmp_gt_i32 s16, 14
	s_cbranch_scc0 .LBB119_2739
; %bb.2737:
	s_cmp_eq_u32 s16, 15
	s_cbranch_scc0 .LBB119_2754
; %bb.2738:
	global_load_u16 v4, v[16:17], off
	s_mov_b32 s0, 0
	s_mov_b32 s7, -1
	s_wait_loadcnt 0x0
	v_lshlrev_b32_e32 v4, 16, v4
	s_delay_alu instid0(VALU_DEP_1)
	v_cvt_f64_f32_e32 v[4:5], v4
	s_branch .LBB119_2756
.LBB119_2739:
	s_mov_b32 s6, -1
	s_branch .LBB119_2755
.LBB119_2740:
	s_or_saveexec_b32 s7, s7
	v_mov_b64_e32 v[4:5], 0x7ff8000020000000
	s_xor_b32 exec_lo, exec_lo, s7
	s_cbranch_execz .LBB119_2708
.LBB119_2741:
	v_cmp_ne_u16_e32 vcc_lo, 0, v6
	v_mov_b64_e32 v[4:5], 0
	s_and_not1_b32 s6, s6, exec_lo
	s_and_b32 s8, vcc_lo, exec_lo
	s_delay_alu instid0(SALU_CYCLE_1)
	s_or_b32 s6, s6, s8
	s_or_b32 exec_lo, exec_lo, s7
	s_and_saveexec_b32 s7, s6
	s_cbranch_execnz .LBB119_2709
	s_branch .LBB119_2710
.LBB119_2742:
	s_mov_b32 s0, -1
                                        ; implicit-def: $vgpr6_vgpr7
.LBB119_2743:
	s_delay_alu instid0(SALU_CYCLE_1)
	s_and_not1_b32 vcc_lo, exec_lo, s0
	s_cbranch_vccnz .LBB119_2745
; %bb.2744:
	s_wait_loadcnt 0x0
	global_load_b64 v[6:7], v[16:17], off
	s_wait_loadcnt 0x0
	s_wait_xcnt 0x1
	v_cvt_f64_f32_e32 v[4:5], v6
	v_cvt_f64_f32_e32 v[6:7], v7
.LBB119_2745:
	s_mov_b32 s0, 0
.LBB119_2746:
	s_delay_alu instid0(SALU_CYCLE_1)
	s_and_not1_b32 vcc_lo, exec_lo, s0
	s_cbranch_vccnz .LBB119_2748
; %bb.2747:
	s_wait_loadcnt 0x0
	global_load_b32 v4, v[16:17], off
	s_wait_loadcnt 0x0
	v_lshrrev_b32_e32 v5, 16, v4
	v_cvt_f32_f16_e32 v4, v4
	s_delay_alu instid0(VALU_DEP_2) | instskip(NEXT) | instid1(VALU_DEP_2)
	v_cvt_f32_f16_e32 v6, v5
	v_cvt_f64_f32_e32 v[4:5], v4
	s_delay_alu instid0(VALU_DEP_2)
	v_cvt_f64_f32_e32 v[6:7], v6
.LBB119_2748:
	s_mov_b32 s0, 0
.LBB119_2749:
	s_delay_alu instid0(SALU_CYCLE_1)
	s_and_not1_b32 vcc_lo, exec_lo, s0
	s_cbranch_vccnz .LBB119_2767
; %bb.2750:
	s_cmp_lt_i32 s16, 6
	s_cbranch_scc1 .LBB119_2753
; %bb.2751:
	s_cmp_gt_i32 s16, 6
	s_cbranch_scc0 .LBB119_2760
; %bb.2752:
	s_wait_loadcnt 0x0
	global_load_b64 v[4:5], v[16:17], off
	s_mov_b32 s0, 0
	s_branch .LBB119_2761
.LBB119_2753:
	s_mov_b32 s0, -1
                                        ; implicit-def: $vgpr4_vgpr5
	s_branch .LBB119_2764
.LBB119_2754:
	s_mov_b32 s0, -1
.LBB119_2755:
                                        ; implicit-def: $vgpr4_vgpr5
.LBB119_2756:
	s_and_b32 vcc_lo, exec_lo, s6
	s_mov_b32 s6, 0
	s_cbranch_vccz .LBB119_2758
; %bb.2757:
	s_cmp_lg_u32 s16, 11
	s_mov_b32 s6, -1
	s_cselect_b32 s0, -1, 0
.LBB119_2758:
	v_mov_b64_e32 v[6:7], 0
	s_and_b32 vcc_lo, exec_lo, s0
	s_cbranch_vccz .LBB119_2712
.LBB119_2759:
	s_or_b32 s1, s1, exec_lo
	s_trap 2
	s_cbranch_execz .LBB119_2713
	s_branch .LBB119_2714
.LBB119_2760:
	s_mov_b32 s0, -1
                                        ; implicit-def: $vgpr4_vgpr5
.LBB119_2761:
	s_delay_alu instid0(SALU_CYCLE_1)
	s_and_not1_b32 vcc_lo, exec_lo, s0
	s_cbranch_vccnz .LBB119_2763
; %bb.2762:
	s_wait_loadcnt 0x0
	global_load_b32 v4, v[16:17], off
	s_wait_loadcnt 0x0
	v_cvt_f64_f32_e32 v[4:5], v4
.LBB119_2763:
	s_mov_b32 s0, 0
.LBB119_2764:
	s_delay_alu instid0(SALU_CYCLE_1)
	s_and_not1_b32 vcc_lo, exec_lo, s0
	s_cbranch_vccnz .LBB119_2766
; %bb.2765:
	s_wait_loadcnt 0x0
	global_load_u16 v4, v[16:17], off
	s_wait_loadcnt 0x0
	v_cvt_f32_f16_e32 v4, v4
	s_delay_alu instid0(VALU_DEP_1)
	v_cvt_f64_f32_e32 v[4:5], v4
.LBB119_2766:
	s_wait_loadcnt 0x0
	v_mov_b64_e32 v[6:7], 0
.LBB119_2767:
	s_mov_b32 s0, 0
.LBB119_2768:
	s_delay_alu instid0(SALU_CYCLE_1)
	s_and_not1_b32 vcc_lo, exec_lo, s0
	s_cbranch_vccnz .LBB119_2789
; %bb.2769:
	s_cmp_lt_i32 s16, 2
	s_cbranch_scc1 .LBB119_2773
; %bb.2770:
	s_cmp_lt_i32 s16, 3
	s_cbranch_scc1 .LBB119_2774
; %bb.2771:
	s_cmp_gt_i32 s16, 3
	s_cbranch_scc0 .LBB119_2775
; %bb.2772:
	s_wait_loadcnt 0x0
	global_load_b64 v[4:5], v[16:17], off
	s_mov_b32 s0, 0
	s_wait_loadcnt 0x0
	v_cvt_f64_i32_e32 v[6:7], v5
	v_cvt_f64_u32_e32 v[4:5], v4
	s_delay_alu instid0(VALU_DEP_2) | instskip(NEXT) | instid1(VALU_DEP_1)
	v_ldexp_f64 v[6:7], v[6:7], 32
	v_add_f64_e32 v[4:5], v[6:7], v[4:5]
	s_branch .LBB119_2776
.LBB119_2773:
	s_mov_b32 s0, -1
                                        ; implicit-def: $vgpr4_vgpr5
	s_branch .LBB119_2782
.LBB119_2774:
	s_mov_b32 s0, -1
                                        ; implicit-def: $vgpr4_vgpr5
	s_branch .LBB119_2779
.LBB119_2775:
	s_mov_b32 s0, -1
                                        ; implicit-def: $vgpr4_vgpr5
.LBB119_2776:
	s_delay_alu instid0(SALU_CYCLE_1)
	s_and_not1_b32 vcc_lo, exec_lo, s0
	s_cbranch_vccnz .LBB119_2778
; %bb.2777:
	s_wait_loadcnt 0x0
	global_load_b32 v4, v[16:17], off
	s_wait_loadcnt 0x0
	v_cvt_f64_i32_e32 v[4:5], v4
.LBB119_2778:
	s_mov_b32 s0, 0
.LBB119_2779:
	s_delay_alu instid0(SALU_CYCLE_1)
	s_and_not1_b32 vcc_lo, exec_lo, s0
	s_cbranch_vccnz .LBB119_2781
; %bb.2780:
	s_wait_loadcnt 0x0
	global_load_i16 v4, v[16:17], off
	s_wait_loadcnt 0x0
	v_cvt_f64_i32_e32 v[4:5], v4
.LBB119_2781:
	s_mov_b32 s0, 0
.LBB119_2782:
	s_delay_alu instid0(SALU_CYCLE_1)
	s_and_not1_b32 vcc_lo, exec_lo, s0
	s_cbranch_vccnz .LBB119_2788
; %bb.2783:
	s_cmp_gt_i32 s16, 0
	s_mov_b32 s0, 0
	s_cbranch_scc0 .LBB119_2785
; %bb.2784:
	s_wait_loadcnt 0x0
	global_load_i8 v4, v[16:17], off
	s_wait_loadcnt 0x0
	v_cvt_f64_i32_e32 v[4:5], v4
	s_branch .LBB119_2786
.LBB119_2785:
	s_mov_b32 s0, -1
                                        ; implicit-def: $vgpr4_vgpr5
.LBB119_2786:
	s_delay_alu instid0(SALU_CYCLE_1)
	s_and_not1_b32 vcc_lo, exec_lo, s0
	s_cbranch_vccnz .LBB119_2788
; %bb.2787:
	s_wait_loadcnt 0x0
	global_load_u8 v4, v[16:17], off
	s_wait_loadcnt 0x0
	v_cvt_f64_u32_e32 v[4:5], v4
.LBB119_2788:
	s_wait_loadcnt 0x0
	v_mov_b64_e32 v[6:7], 0
.LBB119_2789:
	s_mov_b32 s7, -1
.LBB119_2790:
	s_delay_alu instid0(SALU_CYCLE_1)
	s_and_not1_b32 vcc_lo, exec_lo, s7
	s_cbranch_vccnz .LBB119_2793
; %bb.2791:
	s_and_b32 vcc_lo, exec_lo, s13
	s_cbranch_vccz .LBB119_2839
; %bb.2792:
	s_wait_loadcnt 0x0
	s_delay_alu instid0(VALU_DEP_1) | instskip(NEXT) | instid1(VALU_DEP_2)
	v_cmp_neq_f64_e32 vcc_lo, v[0:1], v[4:5]
	v_cmp_neq_f64_e64 s0, v[2:3], v[6:7]
	s_or_b32 s6, vcc_lo, s0
	s_mov_b32 s0, 0
	s_branch .LBB119_2840
.LBB119_2793:
	s_mov_b32 s0, 0
	s_wait_xcnt 0x0
	s_mov_b32 s3, 0
                                        ; implicit-def: $sgpr6
.LBB119_2794:
                                        ; implicit-def: $vgpr0_vgpr1
                                        ; implicit-def: $sgpr7
.LBB119_2795:
	s_and_not1_b32 s2, s10, exec_lo
	s_and_b32 s1, s1, exec_lo
	s_and_b32 s0, s0, exec_lo
	;; [unrolled: 1-line block ×3, first 2 shown]
	s_or_b32 s10, s2, s1
.LBB119_2796:
	s_wait_xcnt 0x0
	s_or_b32 exec_lo, exec_lo, s11
	s_and_saveexec_b32 s1, s10
	s_cbranch_execz .LBB119_2799
; %bb.2797:
	; divergent unreachable
	s_or_b32 exec_lo, exec_lo, s1
	s_and_saveexec_b32 s1, s30
	s_delay_alu instid0(SALU_CYCLE_1)
	s_xor_b32 s1, exec_lo, s1
	s_cbranch_execnz .LBB119_2800
.LBB119_2798:
	s_or_b32 exec_lo, exec_lo, s1
	s_and_saveexec_b32 s1, s0
	s_cbranch_execnz .LBB119_2801
	s_branch .LBB119_2838
.LBB119_2799:
	s_or_b32 exec_lo, exec_lo, s1
	s_and_saveexec_b32 s1, s30
	s_delay_alu instid0(SALU_CYCLE_1)
	s_xor_b32 s1, exec_lo, s1
	s_cbranch_execz .LBB119_2798
.LBB119_2800:
	s_wait_loadcnt 0x0
	v_cndmask_b32_e64 v2, 0, 1, s6
	global_store_b8 v[0:1], v2, off
	s_wait_xcnt 0x0
	s_or_b32 exec_lo, exec_lo, s1
	s_and_saveexec_b32 s1, s0
	s_cbranch_execz .LBB119_2838
.LBB119_2801:
	s_sext_i32_i16 s1, s7
	s_mov_b32 s0, -1
	s_cmp_lt_i32 s1, 5
	s_cbranch_scc1 .LBB119_2822
; %bb.2802:
	s_cmp_lt_i32 s1, 8
	s_cbranch_scc1 .LBB119_2812
; %bb.2803:
	;; [unrolled: 3-line block ×3, first 2 shown]
	s_cmp_gt_i32 s1, 9
	s_cbranch_scc0 .LBB119_2806
; %bb.2805:
	s_wait_loadcnt 0x0
	v_cndmask_b32_e64 v2, 0, 1, s6
	v_mov_b32_e32 v4, 0
	s_mov_b32 s0, 0
	s_delay_alu instid0(VALU_DEP_2) | instskip(NEXT) | instid1(VALU_DEP_2)
	v_cvt_f64_u32_e32 v[2:3], v2
	v_mov_b32_e32 v5, v4
	global_store_b128 v[0:1], v[2:5], off
.LBB119_2806:
	s_and_not1_b32 vcc_lo, exec_lo, s0
	s_cbranch_vccnz .LBB119_2808
; %bb.2807:
	s_wait_loadcnt 0x0
	v_cndmask_b32_e64 v2, 0, 1.0, s6
	v_mov_b32_e32 v3, 0
	global_store_b64 v[0:1], v[2:3], off
.LBB119_2808:
	s_mov_b32 s0, 0
.LBB119_2809:
	s_delay_alu instid0(SALU_CYCLE_1)
	s_and_not1_b32 vcc_lo, exec_lo, s0
	s_cbranch_vccnz .LBB119_2811
; %bb.2810:
	s_wait_loadcnt 0x0
	v_cndmask_b32_e64 v2, 0, 1.0, s6
	s_delay_alu instid0(VALU_DEP_1) | instskip(NEXT) | instid1(VALU_DEP_1)
	v_cvt_f16_f32_e32 v2, v2
	v_and_b32_e32 v2, 0xffff, v2
	global_store_b32 v[0:1], v2, off
.LBB119_2811:
	s_mov_b32 s0, 0
.LBB119_2812:
	s_delay_alu instid0(SALU_CYCLE_1)
	s_and_not1_b32 vcc_lo, exec_lo, s0
	s_cbranch_vccnz .LBB119_2821
; %bb.2813:
	s_sext_i32_i16 s1, s7
	s_mov_b32 s0, -1
	s_cmp_lt_i32 s1, 6
	s_cbranch_scc1 .LBB119_2819
; %bb.2814:
	s_cmp_gt_i32 s1, 6
	s_cbranch_scc0 .LBB119_2816
; %bb.2815:
	s_wait_loadcnt 0x0
	v_cndmask_b32_e64 v2, 0, 1, s6
	s_mov_b32 s0, 0
	s_delay_alu instid0(VALU_DEP_1)
	v_cvt_f64_u32_e32 v[2:3], v2
	global_store_b64 v[0:1], v[2:3], off
.LBB119_2816:
	s_and_not1_b32 vcc_lo, exec_lo, s0
	s_cbranch_vccnz .LBB119_2818
; %bb.2817:
	s_wait_loadcnt 0x0
	v_cndmask_b32_e64 v2, 0, 1.0, s6
	global_store_b32 v[0:1], v2, off
.LBB119_2818:
	s_mov_b32 s0, 0
.LBB119_2819:
	s_delay_alu instid0(SALU_CYCLE_1)
	s_and_not1_b32 vcc_lo, exec_lo, s0
	s_cbranch_vccnz .LBB119_2821
; %bb.2820:
	s_wait_loadcnt 0x0
	v_cndmask_b32_e64 v2, 0, 1.0, s6
	s_delay_alu instid0(VALU_DEP_1)
	v_cvt_f16_f32_e32 v2, v2
	global_store_b16 v[0:1], v2, off
.LBB119_2821:
	s_mov_b32 s0, 0
.LBB119_2822:
	s_delay_alu instid0(SALU_CYCLE_1)
	s_and_not1_b32 vcc_lo, exec_lo, s0
	s_cbranch_vccnz .LBB119_2838
; %bb.2823:
	s_sext_i32_i16 s1, s7
	s_mov_b32 s0, -1
	s_cmp_lt_i32 s1, 2
	s_cbranch_scc1 .LBB119_2833
; %bb.2824:
	s_cmp_lt_i32 s1, 3
	s_cbranch_scc1 .LBB119_2830
; %bb.2825:
	s_cmp_gt_i32 s1, 3
	s_cbranch_scc0 .LBB119_2827
; %bb.2826:
	s_mov_b32 s0, 0
	s_wait_loadcnt 0x0
	v_cndmask_b32_e64 v2, 0, 1, s6
	v_mov_b32_e32 v3, s0
	global_store_b64 v[0:1], v[2:3], off
.LBB119_2827:
	s_and_not1_b32 vcc_lo, exec_lo, s0
	s_cbranch_vccnz .LBB119_2829
; %bb.2828:
	s_wait_loadcnt 0x0
	v_cndmask_b32_e64 v2, 0, 1, s6
	global_store_b32 v[0:1], v2, off
.LBB119_2829:
	s_mov_b32 s0, 0
.LBB119_2830:
	s_delay_alu instid0(SALU_CYCLE_1)
	s_and_not1_b32 vcc_lo, exec_lo, s0
	s_cbranch_vccnz .LBB119_2832
; %bb.2831:
	s_wait_loadcnt 0x0
	v_cndmask_b32_e64 v2, 0, 1, s6
	global_store_b16 v[0:1], v2, off
.LBB119_2832:
	s_mov_b32 s0, 0
.LBB119_2833:
	s_delay_alu instid0(SALU_CYCLE_1)
	s_and_not1_b32 vcc_lo, exec_lo, s0
	s_cbranch_vccnz .LBB119_2838
; %bb.2834:
	s_sext_i32_i16 s0, s7
	s_delay_alu instid0(SALU_CYCLE_1)
	s_cmp_gt_i32 s0, 0
	s_mov_b32 s0, -1
	s_cbranch_scc0 .LBB119_2836
; %bb.2835:
	s_wait_loadcnt 0x0
	v_cndmask_b32_e64 v2, 0, 1, s6
	s_mov_b32 s0, 0
	global_store_b8 v[0:1], v2, off
.LBB119_2836:
	s_and_not1_b32 vcc_lo, exec_lo, s0
	s_cbranch_vccnz .LBB119_2838
; %bb.2837:
	s_wait_loadcnt 0x0
	v_cndmask_b32_e64 v2, 0, 1, s6
	global_store_b8 v[0:1], v2, off
	s_endpgm
.LBB119_2838:
	s_endpgm
.LBB119_2839:
	s_mov_b32 s0, -1
                                        ; implicit-def: $sgpr6
.LBB119_2840:
	s_delay_alu instid0(SALU_CYCLE_1)
	s_and_not1_b32 vcc_lo, exec_lo, s0
	s_cbranch_vccnz .LBB119_2842
; %bb.2841:
	s_wait_loadcnt 0x0
	s_delay_alu instid0(VALU_DEP_1) | instskip(NEXT) | instid1(VALU_DEP_2)
	v_cmp_eq_f64_e32 vcc_lo, v[0:1], v[4:5]
	v_cmp_eq_f64_e64 s0, v[2:3], v[6:7]
	s_and_not1_b32 s6, s6, exec_lo
	s_and_b32 s0, vcc_lo, s0
	s_delay_alu instid0(SALU_CYCLE_1) | instskip(NEXT) | instid1(SALU_CYCLE_1)
	s_and_b32 s0, s0, exec_lo
	s_or_b32 s6, s6, s0
.LBB119_2842:
	s_load_b32 s0, s[2:3], 0x1a4
	v_mov_b32_e32 v15, 0
	s_wait_loadcnt 0x0
	s_delay_alu instid0(VALU_DEP_1) | instskip(SKIP_2) | instid1(SALU_CYCLE_1)
	v_add_nc_u64_e32 v[0:1], s[4:5], v[14:15]
	s_wait_kmcnt 0x0
	s_and_b32 s7, s0, 0xff
	s_cmp_lt_i32 s7, 11
	s_cbranch_scc1 .LBB119_2920
; %bb.2843:
	s_and_b32 s2, 0xffff, s7
	s_mov_b32 s9, -1
	s_mov_b32 s3, 0
	s_cmp_gt_i32 s2, 25
	s_mov_b32 s8, 0
	s_mov_b32 s0, 0
	s_cbranch_scc0 .LBB119_2876
; %bb.2844:
	s_cmp_gt_i32 s2, 28
	s_cbranch_scc0 .LBB119_2859
; %bb.2845:
	s_cmp_gt_i32 s2, 43
	;; [unrolled: 3-line block ×3, first 2 shown]
	s_cbranch_scc0 .LBB119_2849
; %bb.2847:
	s_mov_b32 s0, -1
	s_mov_b32 s9, 0
	s_cmp_eq_u32 s2, 46
	s_cbranch_scc0 .LBB119_2849
; %bb.2848:
	v_cndmask_b32_e64 v2, 0, 1.0, s12
	s_mov_b32 s0, 0
	s_mov_b32 s8, -1
	s_delay_alu instid0(VALU_DEP_1) | instskip(NEXT) | instid1(VALU_DEP_1)
	v_bfe_u32 v3, v2, 16, 1
	v_add3_u32 v2, v2, v3, 0x7fff
	s_delay_alu instid0(VALU_DEP_1)
	v_lshrrev_b32_e32 v2, 16, v2
	global_store_b32 v[0:1], v2, off
.LBB119_2849:
	s_and_b32 vcc_lo, exec_lo, s9
	s_cbranch_vccz .LBB119_2854
; %bb.2850:
	s_cmp_eq_u32 s2, 44
	s_mov_b32 s0, -1
	s_cbranch_scc0 .LBB119_2854
; %bb.2851:
	v_cndmask_b32_e64 v4, 0, 1.0, s12
	s_mov_b32 s8, exec_lo
	s_wait_xcnt 0x0
	s_delay_alu instid0(VALU_DEP_1) | instskip(NEXT) | instid1(VALU_DEP_1)
	v_dual_mov_b32 v3, 0xff :: v_dual_lshrrev_b32 v2, 23, v4
	v_cmpx_ne_u32_e32 0xff, v2
; %bb.2852:
	v_and_b32_e32 v3, 0x400000, v4
	v_and_or_b32 v4, 0x3fffff, v4, v2
	s_delay_alu instid0(VALU_DEP_2) | instskip(NEXT) | instid1(VALU_DEP_2)
	v_cmp_ne_u32_e32 vcc_lo, 0, v3
	v_cmp_ne_u32_e64 s0, 0, v4
	s_and_b32 s0, vcc_lo, s0
	s_delay_alu instid0(SALU_CYCLE_1) | instskip(NEXT) | instid1(VALU_DEP_1)
	v_cndmask_b32_e64 v3, 0, 1, s0
	v_add_nc_u32_e32 v3, v2, v3
; %bb.2853:
	s_or_b32 exec_lo, exec_lo, s8
	s_mov_b32 s0, 0
	s_mov_b32 s8, -1
	global_store_b8 v[0:1], v3, off
.LBB119_2854:
	s_mov_b32 s9, 0
.LBB119_2855:
	s_delay_alu instid0(SALU_CYCLE_1)
	s_and_b32 vcc_lo, exec_lo, s9
	s_cbranch_vccz .LBB119_2858
; %bb.2856:
	s_cmp_eq_u32 s2, 29
	s_mov_b32 s0, -1
	s_cbranch_scc0 .LBB119_2858
; %bb.2857:
	s_mov_b32 s0, 0
	s_wait_xcnt 0x0
	v_cndmask_b32_e64 v2, 0, 1, s12
	v_mov_b32_e32 v3, s0
	s_mov_b32 s8, -1
	global_store_b64 v[0:1], v[2:3], off
.LBB119_2858:
	s_mov_b32 s9, 0
.LBB119_2859:
	s_delay_alu instid0(SALU_CYCLE_1)
	s_and_b32 vcc_lo, exec_lo, s9
	s_cbranch_vccz .LBB119_2875
; %bb.2860:
	s_cmp_lt_i32 s2, 27
	s_mov_b32 s8, -1
	s_cbranch_scc1 .LBB119_2866
; %bb.2861:
	s_cmp_gt_i32 s2, 27
	s_cbranch_scc0 .LBB119_2863
; %bb.2862:
	s_wait_xcnt 0x0
	v_cndmask_b32_e64 v2, 0, 1, s12
	s_mov_b32 s8, 0
	global_store_b32 v[0:1], v2, off
.LBB119_2863:
	s_and_not1_b32 vcc_lo, exec_lo, s8
	s_cbranch_vccnz .LBB119_2865
; %bb.2864:
	s_wait_xcnt 0x0
	v_cndmask_b32_e64 v2, 0, 1, s12
	global_store_b16 v[0:1], v2, off
.LBB119_2865:
	s_mov_b32 s8, 0
.LBB119_2866:
	s_delay_alu instid0(SALU_CYCLE_1)
	s_and_not1_b32 vcc_lo, exec_lo, s8
	s_cbranch_vccnz .LBB119_2874
; %bb.2867:
	s_wait_xcnt 0x0
	v_cndmask_b32_e64 v3, 0, 1.0, s12
	v_mov_b32_e32 v4, 0x80
	s_mov_b32 s8, exec_lo
	s_delay_alu instid0(VALU_DEP_2)
	v_cmpx_gt_u32_e32 0x43800000, v3
	s_cbranch_execz .LBB119_2873
; %bb.2868:
	s_mov_b32 s9, 0
	s_mov_b32 s13, exec_lo
                                        ; implicit-def: $vgpr2
	v_cmpx_lt_u32_e32 0x3bffffff, v3
	s_xor_b32 s13, exec_lo, s13
	s_cbranch_execz .LBB119_3277
; %bb.2869:
	v_bfe_u32 v2, v3, 20, 1
	s_mov_b32 s9, exec_lo
	s_delay_alu instid0(VALU_DEP_1) | instskip(NEXT) | instid1(VALU_DEP_1)
	v_add3_u32 v2, v3, v2, 0x487ffff
                                        ; implicit-def: $vgpr3
	v_lshrrev_b32_e32 v2, 20, v2
	s_and_not1_saveexec_b32 s13, s13
	s_cbranch_execnz .LBB119_3278
.LBB119_2870:
	s_or_b32 exec_lo, exec_lo, s13
	v_mov_b32_e32 v4, 0
	s_and_saveexec_b32 s13, s9
.LBB119_2871:
	v_mov_b32_e32 v4, v2
.LBB119_2872:
	s_or_b32 exec_lo, exec_lo, s13
.LBB119_2873:
	s_delay_alu instid0(SALU_CYCLE_1)
	s_or_b32 exec_lo, exec_lo, s8
	global_store_b8 v[0:1], v4, off
.LBB119_2874:
	s_mov_b32 s8, -1
.LBB119_2875:
	s_mov_b32 s9, 0
.LBB119_2876:
	s_delay_alu instid0(SALU_CYCLE_1)
	s_and_b32 vcc_lo, exec_lo, s9
	s_cbranch_vccz .LBB119_2916
; %bb.2877:
	s_cmp_gt_i32 s2, 22
	s_mov_b32 s3, -1
	s_cbranch_scc0 .LBB119_2909
; %bb.2878:
	s_cmp_lt_i32 s2, 24
	s_cbranch_scc1 .LBB119_2898
; %bb.2879:
	s_cmp_gt_i32 s2, 24
	s_cbranch_scc0 .LBB119_2887
; %bb.2880:
	s_wait_xcnt 0x0
	v_cndmask_b32_e64 v3, 0, 1.0, s12
	v_mov_b32_e32 v4, 0x80
	s_mov_b32 s3, exec_lo
	s_delay_alu instid0(VALU_DEP_2)
	v_cmpx_gt_u32_e32 0x47800000, v3
	s_cbranch_execz .LBB119_2886
; %bb.2881:
	s_mov_b32 s8, 0
	s_mov_b32 s9, exec_lo
                                        ; implicit-def: $vgpr2
	v_cmpx_lt_u32_e32 0x37ffffff, v3
	s_xor_b32 s9, exec_lo, s9
	s_cbranch_execz .LBB119_3280
; %bb.2882:
	v_bfe_u32 v2, v3, 21, 1
	s_mov_b32 s8, exec_lo
	s_delay_alu instid0(VALU_DEP_1) | instskip(NEXT) | instid1(VALU_DEP_1)
	v_add3_u32 v2, v3, v2, 0x88fffff
                                        ; implicit-def: $vgpr3
	v_lshrrev_b32_e32 v2, 21, v2
	s_and_not1_saveexec_b32 s9, s9
	s_cbranch_execnz .LBB119_3281
.LBB119_2883:
	s_or_b32 exec_lo, exec_lo, s9
	v_mov_b32_e32 v4, 0
	s_and_saveexec_b32 s9, s8
.LBB119_2884:
	v_mov_b32_e32 v4, v2
.LBB119_2885:
	s_or_b32 exec_lo, exec_lo, s9
.LBB119_2886:
	s_delay_alu instid0(SALU_CYCLE_1)
	s_or_b32 exec_lo, exec_lo, s3
	s_mov_b32 s3, 0
	global_store_b8 v[0:1], v4, off
.LBB119_2887:
	s_and_b32 vcc_lo, exec_lo, s3
	s_cbranch_vccz .LBB119_2897
; %bb.2888:
	s_wait_xcnt 0x0
	v_cndmask_b32_e64 v3, 0, 1.0, s12
	s_mov_b32 s3, exec_lo
                                        ; implicit-def: $vgpr2
	s_delay_alu instid0(VALU_DEP_1)
	v_cmpx_gt_u32_e32 0x43f00000, v3
	s_xor_b32 s3, exec_lo, s3
	s_cbranch_execz .LBB119_2894
; %bb.2889:
	s_mov_b32 s8, exec_lo
                                        ; implicit-def: $vgpr2
	v_cmpx_lt_u32_e32 0x3c7fffff, v3
	s_xor_b32 s8, exec_lo, s8
; %bb.2890:
	v_bfe_u32 v2, v3, 20, 1
	s_delay_alu instid0(VALU_DEP_1) | instskip(NEXT) | instid1(VALU_DEP_1)
	v_add3_u32 v2, v3, v2, 0x407ffff
	v_and_b32_e32 v3, 0xff00000, v2
	v_lshrrev_b32_e32 v2, 20, v2
	s_delay_alu instid0(VALU_DEP_2) | instskip(NEXT) | instid1(VALU_DEP_2)
	v_cmp_ne_u32_e32 vcc_lo, 0x7f00000, v3
                                        ; implicit-def: $vgpr3
	v_cndmask_b32_e32 v2, 0x7e, v2, vcc_lo
; %bb.2891:
	s_and_not1_saveexec_b32 s8, s8
; %bb.2892:
	v_add_f32_e32 v2, 0x46800000, v3
; %bb.2893:
	s_or_b32 exec_lo, exec_lo, s8
                                        ; implicit-def: $vgpr3
.LBB119_2894:
	s_and_not1_saveexec_b32 s3, s3
; %bb.2895:
	v_mov_b32_e32 v2, 0x7f
	v_cmp_lt_u32_e32 vcc_lo, 0x7f800000, v3
	s_delay_alu instid0(VALU_DEP_2)
	v_cndmask_b32_e32 v2, 0x7e, v2, vcc_lo
; %bb.2896:
	s_or_b32 exec_lo, exec_lo, s3
	global_store_b8 v[0:1], v2, off
.LBB119_2897:
	s_mov_b32 s3, 0
.LBB119_2898:
	s_delay_alu instid0(SALU_CYCLE_1)
	s_and_not1_b32 vcc_lo, exec_lo, s3
	s_cbranch_vccnz .LBB119_2908
; %bb.2899:
	s_wait_xcnt 0x0
	v_cndmask_b32_e64 v3, 0, 1.0, s12
	s_mov_b32 s3, exec_lo
                                        ; implicit-def: $vgpr2
	s_delay_alu instid0(VALU_DEP_1)
	v_cmpx_gt_u32_e32 0x47800000, v3
	s_xor_b32 s3, exec_lo, s3
	s_cbranch_execz .LBB119_2905
; %bb.2900:
	s_mov_b32 s8, exec_lo
                                        ; implicit-def: $vgpr2
	v_cmpx_lt_u32_e32 0x387fffff, v3
	s_xor_b32 s8, exec_lo, s8
; %bb.2901:
	v_bfe_u32 v2, v3, 21, 1
	s_delay_alu instid0(VALU_DEP_1) | instskip(NEXT) | instid1(VALU_DEP_1)
	v_add3_u32 v2, v3, v2, 0x80fffff
                                        ; implicit-def: $vgpr3
	v_lshrrev_b32_e32 v2, 21, v2
; %bb.2902:
	s_and_not1_saveexec_b32 s8, s8
; %bb.2903:
	v_add_f32_e32 v2, 0x43000000, v3
; %bb.2904:
	s_or_b32 exec_lo, exec_lo, s8
                                        ; implicit-def: $vgpr3
.LBB119_2905:
	s_and_not1_saveexec_b32 s3, s3
; %bb.2906:
	v_mov_b32_e32 v2, 0x7f
	v_cmp_lt_u32_e32 vcc_lo, 0x7f800000, v3
	s_delay_alu instid0(VALU_DEP_2)
	v_cndmask_b32_e32 v2, 0x7c, v2, vcc_lo
; %bb.2907:
	s_or_b32 exec_lo, exec_lo, s3
	global_store_b8 v[0:1], v2, off
.LBB119_2908:
	s_mov_b32 s3, 0
	s_mov_b32 s8, -1
.LBB119_2909:
	s_and_not1_b32 vcc_lo, exec_lo, s3
	s_mov_b32 s3, 0
	s_cbranch_vccnz .LBB119_2916
; %bb.2910:
	s_cmp_gt_i32 s2, 14
	s_mov_b32 s3, -1
	s_cbranch_scc0 .LBB119_2914
; %bb.2911:
	s_cmp_eq_u32 s2, 15
	s_mov_b32 s0, -1
	s_cbranch_scc0 .LBB119_2913
; %bb.2912:
	s_wait_xcnt 0x0
	v_cndmask_b32_e64 v2, 0, 1.0, s12
	s_mov_b32 s0, 0
	s_mov_b32 s8, -1
	s_delay_alu instid0(VALU_DEP_1) | instskip(NEXT) | instid1(VALU_DEP_1)
	v_bfe_u32 v3, v2, 16, 1
	v_add3_u32 v2, v2, v3, 0x7fff
	global_store_d16_hi_b16 v[0:1], v2, off
.LBB119_2913:
	s_mov_b32 s3, 0
.LBB119_2914:
	s_delay_alu instid0(SALU_CYCLE_1)
	s_and_b32 vcc_lo, exec_lo, s3
	s_mov_b32 s3, 0
	s_cbranch_vccz .LBB119_2916
; %bb.2915:
	s_cmp_lg_u32 s2, 11
	s_mov_b32 s3, -1
	s_cselect_b32 s0, -1, 0
.LBB119_2916:
	s_delay_alu instid0(SALU_CYCLE_1)
	s_and_b32 vcc_lo, exec_lo, s0
	s_cbranch_vccnz .LBB119_3279
; %bb.2917:
	s_and_not1_b32 vcc_lo, exec_lo, s3
	s_cbranch_vccnz .LBB119_2919
.LBB119_2918:
	s_wait_xcnt 0x0
	v_cndmask_b32_e64 v2, 0, 1, s12
	s_mov_b32 s8, -1
	global_store_b8 v[0:1], v2, off
.LBB119_2919:
	s_mov_b32 s0, 0
	s_branch .LBB119_2921
.LBB119_2920:
	s_mov_b32 s0, -1
	s_mov_b32 s8, 0
.LBB119_2921:
	s_and_b32 vcc_lo, exec_lo, s0
	s_cbranch_vccz .LBB119_2960
; %bb.2922:
	s_and_b32 s0, 0xffff, s7
	s_mov_b32 s2, -1
	s_cmp_lt_i32 s0, 5
	s_cbranch_scc1 .LBB119_2943
; %bb.2923:
	s_cmp_lt_i32 s0, 8
	s_cbranch_scc1 .LBB119_2933
; %bb.2924:
	;; [unrolled: 3-line block ×3, first 2 shown]
	s_cmp_gt_i32 s0, 9
	s_cbranch_scc0 .LBB119_2927
; %bb.2926:
	s_wait_xcnt 0x0
	v_cndmask_b32_e64 v2, 0, 1, s12
	v_mov_b32_e32 v4, 0
	s_mov_b32 s2, 0
	s_delay_alu instid0(VALU_DEP_2) | instskip(NEXT) | instid1(VALU_DEP_2)
	v_cvt_f64_u32_e32 v[2:3], v2
	v_mov_b32_e32 v5, v4
	global_store_b128 v[0:1], v[2:5], off
.LBB119_2927:
	s_and_not1_b32 vcc_lo, exec_lo, s2
	s_cbranch_vccnz .LBB119_2929
; %bb.2928:
	s_wait_xcnt 0x0
	v_cndmask_b32_e64 v2, 0, 1.0, s12
	v_mov_b32_e32 v3, 0
	global_store_b64 v[0:1], v[2:3], off
.LBB119_2929:
	s_mov_b32 s2, 0
.LBB119_2930:
	s_delay_alu instid0(SALU_CYCLE_1)
	s_and_not1_b32 vcc_lo, exec_lo, s2
	s_cbranch_vccnz .LBB119_2932
; %bb.2931:
	s_wait_xcnt 0x0
	v_cndmask_b32_e64 v2, 0, 1.0, s12
	s_delay_alu instid0(VALU_DEP_1) | instskip(NEXT) | instid1(VALU_DEP_1)
	v_cvt_f16_f32_e32 v2, v2
	v_and_b32_e32 v2, 0xffff, v2
	global_store_b32 v[0:1], v2, off
.LBB119_2932:
	s_mov_b32 s2, 0
.LBB119_2933:
	s_delay_alu instid0(SALU_CYCLE_1)
	s_and_not1_b32 vcc_lo, exec_lo, s2
	s_cbranch_vccnz .LBB119_2942
; %bb.2934:
	s_cmp_lt_i32 s0, 6
	s_mov_b32 s2, -1
	s_cbranch_scc1 .LBB119_2940
; %bb.2935:
	s_cmp_gt_i32 s0, 6
	s_cbranch_scc0 .LBB119_2937
; %bb.2936:
	s_wait_xcnt 0x0
	v_cndmask_b32_e64 v2, 0, 1, s12
	s_mov_b32 s2, 0
	s_delay_alu instid0(VALU_DEP_1)
	v_cvt_f64_u32_e32 v[2:3], v2
	global_store_b64 v[0:1], v[2:3], off
.LBB119_2937:
	s_and_not1_b32 vcc_lo, exec_lo, s2
	s_cbranch_vccnz .LBB119_2939
; %bb.2938:
	s_wait_xcnt 0x0
	v_cndmask_b32_e64 v2, 0, 1.0, s12
	global_store_b32 v[0:1], v2, off
.LBB119_2939:
	s_mov_b32 s2, 0
.LBB119_2940:
	s_delay_alu instid0(SALU_CYCLE_1)
	s_and_not1_b32 vcc_lo, exec_lo, s2
	s_cbranch_vccnz .LBB119_2942
; %bb.2941:
	s_wait_xcnt 0x0
	v_cndmask_b32_e64 v2, 0, 1.0, s12
	s_delay_alu instid0(VALU_DEP_1)
	v_cvt_f16_f32_e32 v2, v2
	global_store_b16 v[0:1], v2, off
.LBB119_2942:
	s_mov_b32 s2, 0
.LBB119_2943:
	s_delay_alu instid0(SALU_CYCLE_1)
	s_and_not1_b32 vcc_lo, exec_lo, s2
	s_cbranch_vccnz .LBB119_2959
; %bb.2944:
	s_cmp_lt_i32 s0, 2
	s_mov_b32 s2, -1
	s_cbranch_scc1 .LBB119_2954
; %bb.2945:
	s_cmp_lt_i32 s0, 3
	s_cbranch_scc1 .LBB119_2951
; %bb.2946:
	s_cmp_gt_i32 s0, 3
	s_cbranch_scc0 .LBB119_2948
; %bb.2947:
	s_mov_b32 s2, 0
	s_wait_xcnt 0x0
	v_cndmask_b32_e64 v2, 0, 1, s12
	v_mov_b32_e32 v3, s2
	global_store_b64 v[0:1], v[2:3], off
.LBB119_2948:
	s_and_not1_b32 vcc_lo, exec_lo, s2
	s_cbranch_vccnz .LBB119_2950
; %bb.2949:
	s_wait_xcnt 0x0
	v_cndmask_b32_e64 v2, 0, 1, s12
	global_store_b32 v[0:1], v2, off
.LBB119_2950:
	s_mov_b32 s2, 0
.LBB119_2951:
	s_delay_alu instid0(SALU_CYCLE_1)
	s_and_not1_b32 vcc_lo, exec_lo, s2
	s_cbranch_vccnz .LBB119_2953
; %bb.2952:
	s_wait_xcnt 0x0
	v_cndmask_b32_e64 v2, 0, 1, s12
	global_store_b16 v[0:1], v2, off
.LBB119_2953:
	s_mov_b32 s2, 0
.LBB119_2954:
	s_delay_alu instid0(SALU_CYCLE_1)
	s_and_not1_b32 vcc_lo, exec_lo, s2
	s_cbranch_vccnz .LBB119_2959
; %bb.2955:
	s_wait_xcnt 0x0
	v_cndmask_b32_e64 v2, 0, 1, s12
	s_cmp_gt_i32 s0, 0
	s_mov_b32 s0, -1
	s_cbranch_scc0 .LBB119_2957
; %bb.2956:
	s_mov_b32 s0, 0
	global_store_b8 v[0:1], v2, off
.LBB119_2957:
	s_and_not1_b32 vcc_lo, exec_lo, s0
	s_cbranch_vccnz .LBB119_2959
; %bb.2958:
	global_store_b8 v[0:1], v2, off
.LBB119_2959:
	s_mov_b32 s8, -1
.LBB119_2960:
	s_delay_alu instid0(SALU_CYCLE_1)
	s_and_not1_b32 vcc_lo, exec_lo, s8
	s_cbranch_vccnz .LBB119_3275
; %bb.2961:
	v_mov_b32_e32 v13, 0
	s_and_b32 s2, 0xffff, s7
	s_delay_alu instid0(SALU_CYCLE_1) | instskip(SKIP_1) | instid1(VALU_DEP_1)
	s_cmp_lt_i32 s2, 11
	s_wait_xcnt 0x0
	v_add_nc_u64_e32 v[0:1], s[4:5], v[12:13]
	s_cbranch_scc1 .LBB119_3039
; %bb.2962:
	s_mov_b32 s9, -1
	s_mov_b32 s3, 0
	s_cmp_gt_i32 s2, 25
	s_mov_b32 s8, 0
	s_mov_b32 s0, 0
	s_cbranch_scc0 .LBB119_2995
; %bb.2963:
	s_cmp_gt_i32 s2, 28
	s_cbranch_scc0 .LBB119_2978
; %bb.2964:
	s_cmp_gt_i32 s2, 43
	;; [unrolled: 3-line block ×3, first 2 shown]
	s_cbranch_scc0 .LBB119_2968
; %bb.2966:
	s_mov_b32 s0, -1
	s_mov_b32 s9, 0
	s_cmp_eq_u32 s2, 46
	s_cbranch_scc0 .LBB119_2968
; %bb.2967:
	v_cndmask_b32_e64 v2, 0, 1.0, s14
	s_mov_b32 s0, 0
	s_mov_b32 s8, -1
	s_delay_alu instid0(VALU_DEP_1) | instskip(NEXT) | instid1(VALU_DEP_1)
	v_bfe_u32 v3, v2, 16, 1
	v_add3_u32 v2, v2, v3, 0x7fff
	s_delay_alu instid0(VALU_DEP_1)
	v_lshrrev_b32_e32 v2, 16, v2
	global_store_b32 v[0:1], v2, off
.LBB119_2968:
	s_and_b32 vcc_lo, exec_lo, s9
	s_cbranch_vccz .LBB119_2973
; %bb.2969:
	s_cmp_eq_u32 s2, 44
	s_mov_b32 s0, -1
	s_cbranch_scc0 .LBB119_2973
; %bb.2970:
	v_cndmask_b32_e64 v4, 0, 1.0, s14
	s_mov_b32 s8, exec_lo
	s_wait_xcnt 0x0
	s_delay_alu instid0(VALU_DEP_1) | instskip(NEXT) | instid1(VALU_DEP_1)
	v_dual_mov_b32 v3, 0xff :: v_dual_lshrrev_b32 v2, 23, v4
	v_cmpx_ne_u32_e32 0xff, v2
; %bb.2971:
	v_and_b32_e32 v3, 0x400000, v4
	v_and_or_b32 v4, 0x3fffff, v4, v2
	s_delay_alu instid0(VALU_DEP_2) | instskip(NEXT) | instid1(VALU_DEP_2)
	v_cmp_ne_u32_e32 vcc_lo, 0, v3
	v_cmp_ne_u32_e64 s0, 0, v4
	s_and_b32 s0, vcc_lo, s0
	s_delay_alu instid0(SALU_CYCLE_1) | instskip(NEXT) | instid1(VALU_DEP_1)
	v_cndmask_b32_e64 v3, 0, 1, s0
	v_add_nc_u32_e32 v3, v2, v3
; %bb.2972:
	s_or_b32 exec_lo, exec_lo, s8
	s_mov_b32 s0, 0
	s_mov_b32 s8, -1
	global_store_b8 v[0:1], v3, off
.LBB119_2973:
	s_mov_b32 s9, 0
.LBB119_2974:
	s_delay_alu instid0(SALU_CYCLE_1)
	s_and_b32 vcc_lo, exec_lo, s9
	s_cbranch_vccz .LBB119_2977
; %bb.2975:
	s_cmp_eq_u32 s2, 29
	s_mov_b32 s0, -1
	s_cbranch_scc0 .LBB119_2977
; %bb.2976:
	s_mov_b32 s0, 0
	s_wait_xcnt 0x0
	v_cndmask_b32_e64 v2, 0, 1, s14
	v_mov_b32_e32 v3, s0
	s_mov_b32 s8, -1
	global_store_b64 v[0:1], v[2:3], off
.LBB119_2977:
	s_mov_b32 s9, 0
.LBB119_2978:
	s_delay_alu instid0(SALU_CYCLE_1)
	s_and_b32 vcc_lo, exec_lo, s9
	s_cbranch_vccz .LBB119_2994
; %bb.2979:
	s_cmp_lt_i32 s2, 27
	s_mov_b32 s8, -1
	s_cbranch_scc1 .LBB119_2985
; %bb.2980:
	s_cmp_gt_i32 s2, 27
	s_cbranch_scc0 .LBB119_2982
; %bb.2981:
	s_wait_xcnt 0x0
	v_cndmask_b32_e64 v2, 0, 1, s14
	s_mov_b32 s8, 0
	global_store_b32 v[0:1], v2, off
.LBB119_2982:
	s_and_not1_b32 vcc_lo, exec_lo, s8
	s_cbranch_vccnz .LBB119_2984
; %bb.2983:
	s_wait_xcnt 0x0
	v_cndmask_b32_e64 v2, 0, 1, s14
	global_store_b16 v[0:1], v2, off
.LBB119_2984:
	s_mov_b32 s8, 0
.LBB119_2985:
	s_delay_alu instid0(SALU_CYCLE_1)
	s_and_not1_b32 vcc_lo, exec_lo, s8
	s_cbranch_vccnz .LBB119_2993
; %bb.2986:
	s_wait_xcnt 0x0
	v_cndmask_b32_e64 v3, 0, 1.0, s14
	v_mov_b32_e32 v4, 0x80
	s_mov_b32 s8, exec_lo
	s_delay_alu instid0(VALU_DEP_2)
	v_cmpx_gt_u32_e32 0x43800000, v3
	s_cbranch_execz .LBB119_2992
; %bb.2987:
	s_mov_b32 s9, 0
	s_mov_b32 s12, exec_lo
                                        ; implicit-def: $vgpr2
	v_cmpx_lt_u32_e32 0x3bffffff, v3
	s_xor_b32 s12, exec_lo, s12
	s_cbranch_execz .LBB119_3282
; %bb.2988:
	v_bfe_u32 v2, v3, 20, 1
	s_mov_b32 s9, exec_lo
	s_delay_alu instid0(VALU_DEP_1) | instskip(NEXT) | instid1(VALU_DEP_1)
	v_add3_u32 v2, v3, v2, 0x487ffff
                                        ; implicit-def: $vgpr3
	v_lshrrev_b32_e32 v2, 20, v2
	s_and_not1_saveexec_b32 s12, s12
	s_cbranch_execnz .LBB119_3283
.LBB119_2989:
	s_or_b32 exec_lo, exec_lo, s12
	v_mov_b32_e32 v4, 0
	s_and_saveexec_b32 s12, s9
.LBB119_2990:
	v_mov_b32_e32 v4, v2
.LBB119_2991:
	s_or_b32 exec_lo, exec_lo, s12
.LBB119_2992:
	s_delay_alu instid0(SALU_CYCLE_1)
	s_or_b32 exec_lo, exec_lo, s8
	global_store_b8 v[0:1], v4, off
.LBB119_2993:
	s_mov_b32 s8, -1
.LBB119_2994:
	s_mov_b32 s9, 0
.LBB119_2995:
	s_delay_alu instid0(SALU_CYCLE_1)
	s_and_b32 vcc_lo, exec_lo, s9
	s_cbranch_vccz .LBB119_3035
; %bb.2996:
	s_cmp_gt_i32 s2, 22
	s_mov_b32 s3, -1
	s_cbranch_scc0 .LBB119_3028
; %bb.2997:
	s_cmp_lt_i32 s2, 24
	s_cbranch_scc1 .LBB119_3017
; %bb.2998:
	s_cmp_gt_i32 s2, 24
	s_cbranch_scc0 .LBB119_3006
; %bb.2999:
	s_wait_xcnt 0x0
	v_cndmask_b32_e64 v3, 0, 1.0, s14
	v_mov_b32_e32 v4, 0x80
	s_mov_b32 s3, exec_lo
	s_delay_alu instid0(VALU_DEP_2)
	v_cmpx_gt_u32_e32 0x47800000, v3
	s_cbranch_execz .LBB119_3005
; %bb.3000:
	s_mov_b32 s8, 0
	s_mov_b32 s9, exec_lo
                                        ; implicit-def: $vgpr2
	v_cmpx_lt_u32_e32 0x37ffffff, v3
	s_xor_b32 s9, exec_lo, s9
	s_cbranch_execz .LBB119_3285
; %bb.3001:
	v_bfe_u32 v2, v3, 21, 1
	s_mov_b32 s8, exec_lo
	s_delay_alu instid0(VALU_DEP_1) | instskip(NEXT) | instid1(VALU_DEP_1)
	v_add3_u32 v2, v3, v2, 0x88fffff
                                        ; implicit-def: $vgpr3
	v_lshrrev_b32_e32 v2, 21, v2
	s_and_not1_saveexec_b32 s9, s9
	s_cbranch_execnz .LBB119_3286
.LBB119_3002:
	s_or_b32 exec_lo, exec_lo, s9
	v_mov_b32_e32 v4, 0
	s_and_saveexec_b32 s9, s8
.LBB119_3003:
	v_mov_b32_e32 v4, v2
.LBB119_3004:
	s_or_b32 exec_lo, exec_lo, s9
.LBB119_3005:
	s_delay_alu instid0(SALU_CYCLE_1)
	s_or_b32 exec_lo, exec_lo, s3
	s_mov_b32 s3, 0
	global_store_b8 v[0:1], v4, off
.LBB119_3006:
	s_and_b32 vcc_lo, exec_lo, s3
	s_cbranch_vccz .LBB119_3016
; %bb.3007:
	s_wait_xcnt 0x0
	v_cndmask_b32_e64 v3, 0, 1.0, s14
	s_mov_b32 s3, exec_lo
                                        ; implicit-def: $vgpr2
	s_delay_alu instid0(VALU_DEP_1)
	v_cmpx_gt_u32_e32 0x43f00000, v3
	s_xor_b32 s3, exec_lo, s3
	s_cbranch_execz .LBB119_3013
; %bb.3008:
	s_mov_b32 s8, exec_lo
                                        ; implicit-def: $vgpr2
	v_cmpx_lt_u32_e32 0x3c7fffff, v3
	s_xor_b32 s8, exec_lo, s8
; %bb.3009:
	v_bfe_u32 v2, v3, 20, 1
	s_delay_alu instid0(VALU_DEP_1) | instskip(NEXT) | instid1(VALU_DEP_1)
	v_add3_u32 v2, v3, v2, 0x407ffff
	v_and_b32_e32 v3, 0xff00000, v2
	v_lshrrev_b32_e32 v2, 20, v2
	s_delay_alu instid0(VALU_DEP_2) | instskip(NEXT) | instid1(VALU_DEP_2)
	v_cmp_ne_u32_e32 vcc_lo, 0x7f00000, v3
                                        ; implicit-def: $vgpr3
	v_cndmask_b32_e32 v2, 0x7e, v2, vcc_lo
; %bb.3010:
	s_and_not1_saveexec_b32 s8, s8
; %bb.3011:
	v_add_f32_e32 v2, 0x46800000, v3
; %bb.3012:
	s_or_b32 exec_lo, exec_lo, s8
                                        ; implicit-def: $vgpr3
.LBB119_3013:
	s_and_not1_saveexec_b32 s3, s3
; %bb.3014:
	v_mov_b32_e32 v2, 0x7f
	v_cmp_lt_u32_e32 vcc_lo, 0x7f800000, v3
	s_delay_alu instid0(VALU_DEP_2)
	v_cndmask_b32_e32 v2, 0x7e, v2, vcc_lo
; %bb.3015:
	s_or_b32 exec_lo, exec_lo, s3
	global_store_b8 v[0:1], v2, off
.LBB119_3016:
	s_mov_b32 s3, 0
.LBB119_3017:
	s_delay_alu instid0(SALU_CYCLE_1)
	s_and_not1_b32 vcc_lo, exec_lo, s3
	s_cbranch_vccnz .LBB119_3027
; %bb.3018:
	s_wait_xcnt 0x0
	v_cndmask_b32_e64 v3, 0, 1.0, s14
	s_mov_b32 s3, exec_lo
                                        ; implicit-def: $vgpr2
	s_delay_alu instid0(VALU_DEP_1)
	v_cmpx_gt_u32_e32 0x47800000, v3
	s_xor_b32 s3, exec_lo, s3
	s_cbranch_execz .LBB119_3024
; %bb.3019:
	s_mov_b32 s8, exec_lo
                                        ; implicit-def: $vgpr2
	v_cmpx_lt_u32_e32 0x387fffff, v3
	s_xor_b32 s8, exec_lo, s8
; %bb.3020:
	v_bfe_u32 v2, v3, 21, 1
	s_delay_alu instid0(VALU_DEP_1) | instskip(NEXT) | instid1(VALU_DEP_1)
	v_add3_u32 v2, v3, v2, 0x80fffff
                                        ; implicit-def: $vgpr3
	v_lshrrev_b32_e32 v2, 21, v2
; %bb.3021:
	s_and_not1_saveexec_b32 s8, s8
; %bb.3022:
	v_add_f32_e32 v2, 0x43000000, v3
; %bb.3023:
	s_or_b32 exec_lo, exec_lo, s8
                                        ; implicit-def: $vgpr3
.LBB119_3024:
	s_and_not1_saveexec_b32 s3, s3
; %bb.3025:
	v_mov_b32_e32 v2, 0x7f
	v_cmp_lt_u32_e32 vcc_lo, 0x7f800000, v3
	s_delay_alu instid0(VALU_DEP_2)
	v_cndmask_b32_e32 v2, 0x7c, v2, vcc_lo
; %bb.3026:
	s_or_b32 exec_lo, exec_lo, s3
	global_store_b8 v[0:1], v2, off
.LBB119_3027:
	s_mov_b32 s3, 0
	s_mov_b32 s8, -1
.LBB119_3028:
	s_and_not1_b32 vcc_lo, exec_lo, s3
	s_mov_b32 s3, 0
	s_cbranch_vccnz .LBB119_3035
; %bb.3029:
	s_cmp_gt_i32 s2, 14
	s_mov_b32 s3, -1
	s_cbranch_scc0 .LBB119_3033
; %bb.3030:
	s_cmp_eq_u32 s2, 15
	s_mov_b32 s0, -1
	s_cbranch_scc0 .LBB119_3032
; %bb.3031:
	s_wait_xcnt 0x0
	v_cndmask_b32_e64 v2, 0, 1.0, s14
	s_mov_b32 s0, 0
	s_mov_b32 s8, -1
	s_delay_alu instid0(VALU_DEP_1) | instskip(NEXT) | instid1(VALU_DEP_1)
	v_bfe_u32 v3, v2, 16, 1
	v_add3_u32 v2, v2, v3, 0x7fff
	global_store_d16_hi_b16 v[0:1], v2, off
.LBB119_3032:
	s_mov_b32 s3, 0
.LBB119_3033:
	s_delay_alu instid0(SALU_CYCLE_1)
	s_and_b32 vcc_lo, exec_lo, s3
	s_mov_b32 s3, 0
	s_cbranch_vccz .LBB119_3035
; %bb.3034:
	s_cmp_lg_u32 s2, 11
	s_mov_b32 s3, -1
	s_cselect_b32 s0, -1, 0
.LBB119_3035:
	s_delay_alu instid0(SALU_CYCLE_1)
	s_and_b32 vcc_lo, exec_lo, s0
	s_cbranch_vccnz .LBB119_3284
; %bb.3036:
	s_and_not1_b32 vcc_lo, exec_lo, s3
	s_cbranch_vccnz .LBB119_3038
.LBB119_3037:
	s_wait_xcnt 0x0
	v_cndmask_b32_e64 v2, 0, 1, s14
	s_mov_b32 s8, -1
	global_store_b8 v[0:1], v2, off
.LBB119_3038:
	s_mov_b32 s0, 0
	s_branch .LBB119_3040
.LBB119_3039:
	s_mov_b32 s0, -1
	s_mov_b32 s8, 0
.LBB119_3040:
	s_and_b32 vcc_lo, exec_lo, s0
	s_cbranch_vccz .LBB119_3079
; %bb.3041:
	s_cmp_lt_i32 s2, 5
	s_mov_b32 s0, -1
	s_cbranch_scc1 .LBB119_3062
; %bb.3042:
	s_cmp_lt_i32 s2, 8
	s_cbranch_scc1 .LBB119_3052
; %bb.3043:
	s_cmp_lt_i32 s2, 9
	s_cbranch_scc1 .LBB119_3049
; %bb.3044:
	s_cmp_gt_i32 s2, 9
	s_cbranch_scc0 .LBB119_3046
; %bb.3045:
	s_wait_xcnt 0x0
	v_cndmask_b32_e64 v2, 0, 1, s14
	v_mov_b32_e32 v4, 0
	s_mov_b32 s0, 0
	s_delay_alu instid0(VALU_DEP_2) | instskip(NEXT) | instid1(VALU_DEP_2)
	v_cvt_f64_u32_e32 v[2:3], v2
	v_mov_b32_e32 v5, v4
	global_store_b128 v[0:1], v[2:5], off
.LBB119_3046:
	s_and_not1_b32 vcc_lo, exec_lo, s0
	s_cbranch_vccnz .LBB119_3048
; %bb.3047:
	s_wait_xcnt 0x0
	v_cndmask_b32_e64 v2, 0, 1.0, s14
	v_mov_b32_e32 v3, 0
	global_store_b64 v[0:1], v[2:3], off
.LBB119_3048:
	s_mov_b32 s0, 0
.LBB119_3049:
	s_delay_alu instid0(SALU_CYCLE_1)
	s_and_not1_b32 vcc_lo, exec_lo, s0
	s_cbranch_vccnz .LBB119_3051
; %bb.3050:
	s_wait_xcnt 0x0
	v_cndmask_b32_e64 v2, 0, 1.0, s14
	s_delay_alu instid0(VALU_DEP_1) | instskip(NEXT) | instid1(VALU_DEP_1)
	v_cvt_f16_f32_e32 v2, v2
	v_and_b32_e32 v2, 0xffff, v2
	global_store_b32 v[0:1], v2, off
.LBB119_3051:
	s_mov_b32 s0, 0
.LBB119_3052:
	s_delay_alu instid0(SALU_CYCLE_1)
	s_and_not1_b32 vcc_lo, exec_lo, s0
	s_cbranch_vccnz .LBB119_3061
; %bb.3053:
	s_cmp_lt_i32 s2, 6
	s_mov_b32 s0, -1
	s_cbranch_scc1 .LBB119_3059
; %bb.3054:
	s_cmp_gt_i32 s2, 6
	s_cbranch_scc0 .LBB119_3056
; %bb.3055:
	s_wait_xcnt 0x0
	v_cndmask_b32_e64 v2, 0, 1, s14
	s_mov_b32 s0, 0
	s_delay_alu instid0(VALU_DEP_1)
	v_cvt_f64_u32_e32 v[2:3], v2
	global_store_b64 v[0:1], v[2:3], off
.LBB119_3056:
	s_and_not1_b32 vcc_lo, exec_lo, s0
	s_cbranch_vccnz .LBB119_3058
; %bb.3057:
	s_wait_xcnt 0x0
	v_cndmask_b32_e64 v2, 0, 1.0, s14
	global_store_b32 v[0:1], v2, off
.LBB119_3058:
	s_mov_b32 s0, 0
.LBB119_3059:
	s_delay_alu instid0(SALU_CYCLE_1)
	s_and_not1_b32 vcc_lo, exec_lo, s0
	s_cbranch_vccnz .LBB119_3061
; %bb.3060:
	s_wait_xcnt 0x0
	v_cndmask_b32_e64 v2, 0, 1.0, s14
	s_delay_alu instid0(VALU_DEP_1)
	v_cvt_f16_f32_e32 v2, v2
	global_store_b16 v[0:1], v2, off
.LBB119_3061:
	s_mov_b32 s0, 0
.LBB119_3062:
	s_delay_alu instid0(SALU_CYCLE_1)
	s_and_not1_b32 vcc_lo, exec_lo, s0
	s_cbranch_vccnz .LBB119_3078
; %bb.3063:
	s_cmp_lt_i32 s2, 2
	s_mov_b32 s0, -1
	s_cbranch_scc1 .LBB119_3073
; %bb.3064:
	s_cmp_lt_i32 s2, 3
	s_cbranch_scc1 .LBB119_3070
; %bb.3065:
	s_cmp_gt_i32 s2, 3
	s_cbranch_scc0 .LBB119_3067
; %bb.3066:
	s_mov_b32 s0, 0
	s_wait_xcnt 0x0
	v_cndmask_b32_e64 v2, 0, 1, s14
	v_mov_b32_e32 v3, s0
	global_store_b64 v[0:1], v[2:3], off
.LBB119_3067:
	s_and_not1_b32 vcc_lo, exec_lo, s0
	s_cbranch_vccnz .LBB119_3069
; %bb.3068:
	s_wait_xcnt 0x0
	v_cndmask_b32_e64 v2, 0, 1, s14
	global_store_b32 v[0:1], v2, off
.LBB119_3069:
	s_mov_b32 s0, 0
.LBB119_3070:
	s_delay_alu instid0(SALU_CYCLE_1)
	s_and_not1_b32 vcc_lo, exec_lo, s0
	s_cbranch_vccnz .LBB119_3072
; %bb.3071:
	s_wait_xcnt 0x0
	v_cndmask_b32_e64 v2, 0, 1, s14
	global_store_b16 v[0:1], v2, off
.LBB119_3072:
	s_mov_b32 s0, 0
.LBB119_3073:
	s_delay_alu instid0(SALU_CYCLE_1)
	s_and_not1_b32 vcc_lo, exec_lo, s0
	s_cbranch_vccnz .LBB119_3078
; %bb.3074:
	s_wait_xcnt 0x0
	v_cndmask_b32_e64 v2, 0, 1, s14
	s_cmp_gt_i32 s2, 0
	s_mov_b32 s0, -1
	s_cbranch_scc0 .LBB119_3076
; %bb.3075:
	s_mov_b32 s0, 0
	global_store_b8 v[0:1], v2, off
.LBB119_3076:
	s_and_not1_b32 vcc_lo, exec_lo, s0
	s_cbranch_vccnz .LBB119_3078
; %bb.3077:
	global_store_b8 v[0:1], v2, off
.LBB119_3078:
	s_mov_b32 s8, -1
.LBB119_3079:
	s_delay_alu instid0(SALU_CYCLE_1)
	s_and_not1_b32 vcc_lo, exec_lo, s8
	s_cbranch_vccnz .LBB119_3275
; %bb.3080:
	v_mov_b32_e32 v11, 0
	s_cmp_lt_i32 s2, 11
	s_wait_xcnt 0x0
	s_delay_alu instid0(VALU_DEP_1)
	v_add_nc_u64_e32 v[0:1], s[4:5], v[10:11]
	s_cbranch_scc1 .LBB119_3158
; %bb.3081:
	s_mov_b32 s9, -1
	s_mov_b32 s3, 0
	s_cmp_gt_i32 s2, 25
	s_mov_b32 s8, 0
	s_mov_b32 s0, 0
	s_cbranch_scc0 .LBB119_3114
; %bb.3082:
	s_cmp_gt_i32 s2, 28
	s_cbranch_scc0 .LBB119_3097
; %bb.3083:
	s_cmp_gt_i32 s2, 43
	;; [unrolled: 3-line block ×3, first 2 shown]
	s_cbranch_scc0 .LBB119_3087
; %bb.3085:
	s_mov_b32 s0, -1
	s_mov_b32 s9, 0
	s_cmp_eq_u32 s2, 46
	s_cbranch_scc0 .LBB119_3087
; %bb.3086:
	v_cndmask_b32_e64 v2, 0, 1.0, s17
	s_mov_b32 s0, 0
	s_mov_b32 s8, -1
	s_delay_alu instid0(VALU_DEP_1) | instskip(NEXT) | instid1(VALU_DEP_1)
	v_bfe_u32 v3, v2, 16, 1
	v_add3_u32 v2, v2, v3, 0x7fff
	s_delay_alu instid0(VALU_DEP_1)
	v_lshrrev_b32_e32 v2, 16, v2
	global_store_b32 v[0:1], v2, off
.LBB119_3087:
	s_and_b32 vcc_lo, exec_lo, s9
	s_cbranch_vccz .LBB119_3092
; %bb.3088:
	s_cmp_eq_u32 s2, 44
	s_mov_b32 s0, -1
	s_cbranch_scc0 .LBB119_3092
; %bb.3089:
	v_cndmask_b32_e64 v4, 0, 1.0, s17
	s_mov_b32 s8, exec_lo
	s_wait_xcnt 0x0
	s_delay_alu instid0(VALU_DEP_1) | instskip(NEXT) | instid1(VALU_DEP_1)
	v_dual_mov_b32 v3, 0xff :: v_dual_lshrrev_b32 v2, 23, v4
	v_cmpx_ne_u32_e32 0xff, v2
; %bb.3090:
	v_and_b32_e32 v3, 0x400000, v4
	v_and_or_b32 v4, 0x3fffff, v4, v2
	s_delay_alu instid0(VALU_DEP_2) | instskip(NEXT) | instid1(VALU_DEP_2)
	v_cmp_ne_u32_e32 vcc_lo, 0, v3
	v_cmp_ne_u32_e64 s0, 0, v4
	s_and_b32 s0, vcc_lo, s0
	s_delay_alu instid0(SALU_CYCLE_1) | instskip(NEXT) | instid1(VALU_DEP_1)
	v_cndmask_b32_e64 v3, 0, 1, s0
	v_add_nc_u32_e32 v3, v2, v3
; %bb.3091:
	s_or_b32 exec_lo, exec_lo, s8
	s_mov_b32 s0, 0
	s_mov_b32 s8, -1
	global_store_b8 v[0:1], v3, off
.LBB119_3092:
	s_mov_b32 s9, 0
.LBB119_3093:
	s_delay_alu instid0(SALU_CYCLE_1)
	s_and_b32 vcc_lo, exec_lo, s9
	s_cbranch_vccz .LBB119_3096
; %bb.3094:
	s_cmp_eq_u32 s2, 29
	s_mov_b32 s0, -1
	s_cbranch_scc0 .LBB119_3096
; %bb.3095:
	s_mov_b32 s0, 0
	s_wait_xcnt 0x0
	v_cndmask_b32_e64 v2, 0, 1, s17
	v_mov_b32_e32 v3, s0
	s_mov_b32 s8, -1
	global_store_b64 v[0:1], v[2:3], off
.LBB119_3096:
	s_mov_b32 s9, 0
.LBB119_3097:
	s_delay_alu instid0(SALU_CYCLE_1)
	s_and_b32 vcc_lo, exec_lo, s9
	s_cbranch_vccz .LBB119_3113
; %bb.3098:
	s_cmp_lt_i32 s2, 27
	s_mov_b32 s8, -1
	s_cbranch_scc1 .LBB119_3104
; %bb.3099:
	s_cmp_gt_i32 s2, 27
	s_cbranch_scc0 .LBB119_3101
; %bb.3100:
	s_wait_xcnt 0x0
	v_cndmask_b32_e64 v2, 0, 1, s17
	s_mov_b32 s8, 0
	global_store_b32 v[0:1], v2, off
.LBB119_3101:
	s_and_not1_b32 vcc_lo, exec_lo, s8
	s_cbranch_vccnz .LBB119_3103
; %bb.3102:
	s_wait_xcnt 0x0
	v_cndmask_b32_e64 v2, 0, 1, s17
	global_store_b16 v[0:1], v2, off
.LBB119_3103:
	s_mov_b32 s8, 0
.LBB119_3104:
	s_delay_alu instid0(SALU_CYCLE_1)
	s_and_not1_b32 vcc_lo, exec_lo, s8
	s_cbranch_vccnz .LBB119_3112
; %bb.3105:
	s_wait_xcnt 0x0
	v_cndmask_b32_e64 v3, 0, 1.0, s17
	v_mov_b32_e32 v4, 0x80
	s_mov_b32 s8, exec_lo
	s_delay_alu instid0(VALU_DEP_2)
	v_cmpx_gt_u32_e32 0x43800000, v3
	s_cbranch_execz .LBB119_3111
; %bb.3106:
	s_mov_b32 s9, 0
	s_mov_b32 s12, exec_lo
                                        ; implicit-def: $vgpr2
	v_cmpx_lt_u32_e32 0x3bffffff, v3
	s_xor_b32 s12, exec_lo, s12
	s_cbranch_execz .LBB119_3287
; %bb.3107:
	v_bfe_u32 v2, v3, 20, 1
	s_mov_b32 s9, exec_lo
	s_delay_alu instid0(VALU_DEP_1) | instskip(NEXT) | instid1(VALU_DEP_1)
	v_add3_u32 v2, v3, v2, 0x487ffff
                                        ; implicit-def: $vgpr3
	v_lshrrev_b32_e32 v2, 20, v2
	s_and_not1_saveexec_b32 s12, s12
	s_cbranch_execnz .LBB119_3288
.LBB119_3108:
	s_or_b32 exec_lo, exec_lo, s12
	v_mov_b32_e32 v4, 0
	s_and_saveexec_b32 s12, s9
.LBB119_3109:
	v_mov_b32_e32 v4, v2
.LBB119_3110:
	s_or_b32 exec_lo, exec_lo, s12
.LBB119_3111:
	s_delay_alu instid0(SALU_CYCLE_1)
	s_or_b32 exec_lo, exec_lo, s8
	global_store_b8 v[0:1], v4, off
.LBB119_3112:
	s_mov_b32 s8, -1
.LBB119_3113:
	s_mov_b32 s9, 0
.LBB119_3114:
	s_delay_alu instid0(SALU_CYCLE_1)
	s_and_b32 vcc_lo, exec_lo, s9
	s_cbranch_vccz .LBB119_3154
; %bb.3115:
	s_cmp_gt_i32 s2, 22
	s_mov_b32 s3, -1
	s_cbranch_scc0 .LBB119_3147
; %bb.3116:
	s_cmp_lt_i32 s2, 24
	s_cbranch_scc1 .LBB119_3136
; %bb.3117:
	s_cmp_gt_i32 s2, 24
	s_cbranch_scc0 .LBB119_3125
; %bb.3118:
	s_wait_xcnt 0x0
	v_cndmask_b32_e64 v3, 0, 1.0, s17
	v_mov_b32_e32 v4, 0x80
	s_mov_b32 s3, exec_lo
	s_delay_alu instid0(VALU_DEP_2)
	v_cmpx_gt_u32_e32 0x47800000, v3
	s_cbranch_execz .LBB119_3124
; %bb.3119:
	s_mov_b32 s8, 0
	s_mov_b32 s9, exec_lo
                                        ; implicit-def: $vgpr2
	v_cmpx_lt_u32_e32 0x37ffffff, v3
	s_xor_b32 s9, exec_lo, s9
	s_cbranch_execz .LBB119_3290
; %bb.3120:
	v_bfe_u32 v2, v3, 21, 1
	s_mov_b32 s8, exec_lo
	s_delay_alu instid0(VALU_DEP_1) | instskip(NEXT) | instid1(VALU_DEP_1)
	v_add3_u32 v2, v3, v2, 0x88fffff
                                        ; implicit-def: $vgpr3
	v_lshrrev_b32_e32 v2, 21, v2
	s_and_not1_saveexec_b32 s9, s9
	s_cbranch_execnz .LBB119_3291
.LBB119_3121:
	s_or_b32 exec_lo, exec_lo, s9
	v_mov_b32_e32 v4, 0
	s_and_saveexec_b32 s9, s8
.LBB119_3122:
	v_mov_b32_e32 v4, v2
.LBB119_3123:
	s_or_b32 exec_lo, exec_lo, s9
.LBB119_3124:
	s_delay_alu instid0(SALU_CYCLE_1)
	s_or_b32 exec_lo, exec_lo, s3
	s_mov_b32 s3, 0
	global_store_b8 v[0:1], v4, off
.LBB119_3125:
	s_and_b32 vcc_lo, exec_lo, s3
	s_cbranch_vccz .LBB119_3135
; %bb.3126:
	s_wait_xcnt 0x0
	v_cndmask_b32_e64 v3, 0, 1.0, s17
	s_mov_b32 s3, exec_lo
                                        ; implicit-def: $vgpr2
	s_delay_alu instid0(VALU_DEP_1)
	v_cmpx_gt_u32_e32 0x43f00000, v3
	s_xor_b32 s3, exec_lo, s3
	s_cbranch_execz .LBB119_3132
; %bb.3127:
	s_mov_b32 s8, exec_lo
                                        ; implicit-def: $vgpr2
	v_cmpx_lt_u32_e32 0x3c7fffff, v3
	s_xor_b32 s8, exec_lo, s8
; %bb.3128:
	v_bfe_u32 v2, v3, 20, 1
	s_delay_alu instid0(VALU_DEP_1) | instskip(NEXT) | instid1(VALU_DEP_1)
	v_add3_u32 v2, v3, v2, 0x407ffff
	v_and_b32_e32 v3, 0xff00000, v2
	v_lshrrev_b32_e32 v2, 20, v2
	s_delay_alu instid0(VALU_DEP_2) | instskip(NEXT) | instid1(VALU_DEP_2)
	v_cmp_ne_u32_e32 vcc_lo, 0x7f00000, v3
                                        ; implicit-def: $vgpr3
	v_cndmask_b32_e32 v2, 0x7e, v2, vcc_lo
; %bb.3129:
	s_and_not1_saveexec_b32 s8, s8
; %bb.3130:
	v_add_f32_e32 v2, 0x46800000, v3
; %bb.3131:
	s_or_b32 exec_lo, exec_lo, s8
                                        ; implicit-def: $vgpr3
.LBB119_3132:
	s_and_not1_saveexec_b32 s3, s3
; %bb.3133:
	v_mov_b32_e32 v2, 0x7f
	v_cmp_lt_u32_e32 vcc_lo, 0x7f800000, v3
	s_delay_alu instid0(VALU_DEP_2)
	v_cndmask_b32_e32 v2, 0x7e, v2, vcc_lo
; %bb.3134:
	s_or_b32 exec_lo, exec_lo, s3
	global_store_b8 v[0:1], v2, off
.LBB119_3135:
	s_mov_b32 s3, 0
.LBB119_3136:
	s_delay_alu instid0(SALU_CYCLE_1)
	s_and_not1_b32 vcc_lo, exec_lo, s3
	s_cbranch_vccnz .LBB119_3146
; %bb.3137:
	s_wait_xcnt 0x0
	v_cndmask_b32_e64 v3, 0, 1.0, s17
	s_mov_b32 s3, exec_lo
                                        ; implicit-def: $vgpr2
	s_delay_alu instid0(VALU_DEP_1)
	v_cmpx_gt_u32_e32 0x47800000, v3
	s_xor_b32 s3, exec_lo, s3
	s_cbranch_execz .LBB119_3143
; %bb.3138:
	s_mov_b32 s8, exec_lo
                                        ; implicit-def: $vgpr2
	v_cmpx_lt_u32_e32 0x387fffff, v3
	s_xor_b32 s8, exec_lo, s8
; %bb.3139:
	v_bfe_u32 v2, v3, 21, 1
	s_delay_alu instid0(VALU_DEP_1) | instskip(NEXT) | instid1(VALU_DEP_1)
	v_add3_u32 v2, v3, v2, 0x80fffff
                                        ; implicit-def: $vgpr3
	v_lshrrev_b32_e32 v2, 21, v2
; %bb.3140:
	s_and_not1_saveexec_b32 s8, s8
; %bb.3141:
	v_add_f32_e32 v2, 0x43000000, v3
; %bb.3142:
	s_or_b32 exec_lo, exec_lo, s8
                                        ; implicit-def: $vgpr3
.LBB119_3143:
	s_and_not1_saveexec_b32 s3, s3
; %bb.3144:
	v_mov_b32_e32 v2, 0x7f
	v_cmp_lt_u32_e32 vcc_lo, 0x7f800000, v3
	s_delay_alu instid0(VALU_DEP_2)
	v_cndmask_b32_e32 v2, 0x7c, v2, vcc_lo
; %bb.3145:
	s_or_b32 exec_lo, exec_lo, s3
	global_store_b8 v[0:1], v2, off
.LBB119_3146:
	s_mov_b32 s3, 0
	s_mov_b32 s8, -1
.LBB119_3147:
	s_and_not1_b32 vcc_lo, exec_lo, s3
	s_mov_b32 s3, 0
	s_cbranch_vccnz .LBB119_3154
; %bb.3148:
	s_cmp_gt_i32 s2, 14
	s_mov_b32 s3, -1
	s_cbranch_scc0 .LBB119_3152
; %bb.3149:
	s_cmp_eq_u32 s2, 15
	s_mov_b32 s0, -1
	s_cbranch_scc0 .LBB119_3151
; %bb.3150:
	s_wait_xcnt 0x0
	v_cndmask_b32_e64 v2, 0, 1.0, s17
	s_mov_b32 s0, 0
	s_mov_b32 s8, -1
	s_delay_alu instid0(VALU_DEP_1) | instskip(NEXT) | instid1(VALU_DEP_1)
	v_bfe_u32 v3, v2, 16, 1
	v_add3_u32 v2, v2, v3, 0x7fff
	global_store_d16_hi_b16 v[0:1], v2, off
.LBB119_3151:
	s_mov_b32 s3, 0
.LBB119_3152:
	s_delay_alu instid0(SALU_CYCLE_1)
	s_and_b32 vcc_lo, exec_lo, s3
	s_mov_b32 s3, 0
	s_cbranch_vccz .LBB119_3154
; %bb.3153:
	s_cmp_lg_u32 s2, 11
	s_mov_b32 s3, -1
	s_cselect_b32 s0, -1, 0
.LBB119_3154:
	s_delay_alu instid0(SALU_CYCLE_1)
	s_and_b32 vcc_lo, exec_lo, s0
	s_cbranch_vccnz .LBB119_3289
; %bb.3155:
	s_and_not1_b32 vcc_lo, exec_lo, s3
	s_cbranch_vccnz .LBB119_3157
.LBB119_3156:
	s_wait_xcnt 0x0
	v_cndmask_b32_e64 v2, 0, 1, s17
	s_mov_b32 s8, -1
	global_store_b8 v[0:1], v2, off
.LBB119_3157:
	s_mov_b32 s0, 0
	s_branch .LBB119_3159
.LBB119_3158:
	s_mov_b32 s0, -1
	s_mov_b32 s8, 0
.LBB119_3159:
	s_and_b32 vcc_lo, exec_lo, s0
	s_cbranch_vccz .LBB119_3198
; %bb.3160:
	s_cmp_lt_i32 s2, 5
	s_mov_b32 s0, -1
	s_cbranch_scc1 .LBB119_3181
; %bb.3161:
	s_cmp_lt_i32 s2, 8
	s_cbranch_scc1 .LBB119_3171
; %bb.3162:
	s_cmp_lt_i32 s2, 9
	s_cbranch_scc1 .LBB119_3168
; %bb.3163:
	s_cmp_gt_i32 s2, 9
	s_cbranch_scc0 .LBB119_3165
; %bb.3164:
	s_wait_xcnt 0x0
	v_cndmask_b32_e64 v2, 0, 1, s17
	v_mov_b32_e32 v4, 0
	s_mov_b32 s0, 0
	s_delay_alu instid0(VALU_DEP_2) | instskip(NEXT) | instid1(VALU_DEP_2)
	v_cvt_f64_u32_e32 v[2:3], v2
	v_mov_b32_e32 v5, v4
	global_store_b128 v[0:1], v[2:5], off
.LBB119_3165:
	s_and_not1_b32 vcc_lo, exec_lo, s0
	s_cbranch_vccnz .LBB119_3167
; %bb.3166:
	s_wait_xcnt 0x0
	v_cndmask_b32_e64 v2, 0, 1.0, s17
	v_mov_b32_e32 v3, 0
	global_store_b64 v[0:1], v[2:3], off
.LBB119_3167:
	s_mov_b32 s0, 0
.LBB119_3168:
	s_delay_alu instid0(SALU_CYCLE_1)
	s_and_not1_b32 vcc_lo, exec_lo, s0
	s_cbranch_vccnz .LBB119_3170
; %bb.3169:
	s_wait_xcnt 0x0
	v_cndmask_b32_e64 v2, 0, 1.0, s17
	s_delay_alu instid0(VALU_DEP_1) | instskip(NEXT) | instid1(VALU_DEP_1)
	v_cvt_f16_f32_e32 v2, v2
	v_and_b32_e32 v2, 0xffff, v2
	global_store_b32 v[0:1], v2, off
.LBB119_3170:
	s_mov_b32 s0, 0
.LBB119_3171:
	s_delay_alu instid0(SALU_CYCLE_1)
	s_and_not1_b32 vcc_lo, exec_lo, s0
	s_cbranch_vccnz .LBB119_3180
; %bb.3172:
	s_cmp_lt_i32 s2, 6
	s_mov_b32 s0, -1
	s_cbranch_scc1 .LBB119_3178
; %bb.3173:
	s_cmp_gt_i32 s2, 6
	s_cbranch_scc0 .LBB119_3175
; %bb.3174:
	s_wait_xcnt 0x0
	v_cndmask_b32_e64 v2, 0, 1, s17
	s_mov_b32 s0, 0
	s_delay_alu instid0(VALU_DEP_1)
	v_cvt_f64_u32_e32 v[2:3], v2
	global_store_b64 v[0:1], v[2:3], off
.LBB119_3175:
	s_and_not1_b32 vcc_lo, exec_lo, s0
	s_cbranch_vccnz .LBB119_3177
; %bb.3176:
	s_wait_xcnt 0x0
	v_cndmask_b32_e64 v2, 0, 1.0, s17
	global_store_b32 v[0:1], v2, off
.LBB119_3177:
	s_mov_b32 s0, 0
.LBB119_3178:
	s_delay_alu instid0(SALU_CYCLE_1)
	s_and_not1_b32 vcc_lo, exec_lo, s0
	s_cbranch_vccnz .LBB119_3180
; %bb.3179:
	s_wait_xcnt 0x0
	v_cndmask_b32_e64 v2, 0, 1.0, s17
	s_delay_alu instid0(VALU_DEP_1)
	v_cvt_f16_f32_e32 v2, v2
	global_store_b16 v[0:1], v2, off
.LBB119_3180:
	s_mov_b32 s0, 0
.LBB119_3181:
	s_delay_alu instid0(SALU_CYCLE_1)
	s_and_not1_b32 vcc_lo, exec_lo, s0
	s_cbranch_vccnz .LBB119_3197
; %bb.3182:
	s_cmp_lt_i32 s2, 2
	s_mov_b32 s0, -1
	s_cbranch_scc1 .LBB119_3192
; %bb.3183:
	s_cmp_lt_i32 s2, 3
	s_cbranch_scc1 .LBB119_3189
; %bb.3184:
	s_cmp_gt_i32 s2, 3
	s_cbranch_scc0 .LBB119_3186
; %bb.3185:
	s_mov_b32 s0, 0
	s_wait_xcnt 0x0
	v_cndmask_b32_e64 v2, 0, 1, s17
	v_mov_b32_e32 v3, s0
	global_store_b64 v[0:1], v[2:3], off
.LBB119_3186:
	s_and_not1_b32 vcc_lo, exec_lo, s0
	s_cbranch_vccnz .LBB119_3188
; %bb.3187:
	s_wait_xcnt 0x0
	v_cndmask_b32_e64 v2, 0, 1, s17
	global_store_b32 v[0:1], v2, off
.LBB119_3188:
	s_mov_b32 s0, 0
.LBB119_3189:
	s_delay_alu instid0(SALU_CYCLE_1)
	s_and_not1_b32 vcc_lo, exec_lo, s0
	s_cbranch_vccnz .LBB119_3191
; %bb.3190:
	s_wait_xcnt 0x0
	v_cndmask_b32_e64 v2, 0, 1, s17
	global_store_b16 v[0:1], v2, off
.LBB119_3191:
	s_mov_b32 s0, 0
.LBB119_3192:
	s_delay_alu instid0(SALU_CYCLE_1)
	s_and_not1_b32 vcc_lo, exec_lo, s0
	s_cbranch_vccnz .LBB119_3197
; %bb.3193:
	s_cmp_gt_i32 s2, 0
	s_mov_b32 s0, -1
	s_cbranch_scc0 .LBB119_3195
; %bb.3194:
	s_wait_xcnt 0x0
	v_cndmask_b32_e64 v2, 0, 1, s17
	s_mov_b32 s0, 0
	global_store_b8 v[0:1], v2, off
.LBB119_3195:
	s_and_not1_b32 vcc_lo, exec_lo, s0
	s_cbranch_vccnz .LBB119_3197
; %bb.3196:
	s_wait_xcnt 0x0
	v_cndmask_b32_e64 v2, 0, 1, s17
	global_store_b8 v[0:1], v2, off
.LBB119_3197:
	s_mov_b32 s8, -1
.LBB119_3198:
	s_delay_alu instid0(SALU_CYCLE_1)
	s_and_not1_b32 vcc_lo, exec_lo, s8
	s_cbranch_vccnz .LBB119_3275
; %bb.3199:
	v_mov_b32_e32 v9, 0
	s_cmp_lt_i32 s2, 11
	s_wait_xcnt 0x0
	s_delay_alu instid0(VALU_DEP_1)
	v_add_nc_u64_e32 v[0:1], s[4:5], v[8:9]
	s_cbranch_scc1 .LBB119_3276
; %bb.3200:
	s_mov_b32 s4, -1
	s_mov_b32 s3, 0
	s_cmp_gt_i32 s2, 25
	s_mov_b32 s0, 0
	s_cbranch_scc0 .LBB119_3233
; %bb.3201:
	s_cmp_gt_i32 s2, 28
	s_cbranch_scc0 .LBB119_3217
; %bb.3202:
	s_cmp_gt_i32 s2, 43
	;; [unrolled: 3-line block ×3, first 2 shown]
	s_cbranch_scc0 .LBB119_3207
; %bb.3204:
	s_cmp_eq_u32 s2, 46
	s_mov_b32 s0, -1
	s_cbranch_scc0 .LBB119_3206
; %bb.3205:
	v_cndmask_b32_e64 v2, 0, 1.0, s6
	s_mov_b32 s0, 0
	s_delay_alu instid0(VALU_DEP_1) | instskip(NEXT) | instid1(VALU_DEP_1)
	v_bfe_u32 v3, v2, 16, 1
	v_add3_u32 v2, v2, v3, 0x7fff
	s_delay_alu instid0(VALU_DEP_1)
	v_lshrrev_b32_e32 v2, 16, v2
	global_store_b32 v[0:1], v2, off
.LBB119_3206:
	s_mov_b32 s4, 0
.LBB119_3207:
	s_delay_alu instid0(SALU_CYCLE_1)
	s_and_b32 vcc_lo, exec_lo, s4
	s_cbranch_vccz .LBB119_3212
; %bb.3208:
	s_cmp_eq_u32 s2, 44
	s_mov_b32 s0, -1
	s_cbranch_scc0 .LBB119_3212
; %bb.3209:
	v_cndmask_b32_e64 v4, 0, 1.0, s6
	s_mov_b32 s4, exec_lo
	s_wait_xcnt 0x0
	s_delay_alu instid0(VALU_DEP_1) | instskip(NEXT) | instid1(VALU_DEP_1)
	v_dual_mov_b32 v3, 0xff :: v_dual_lshrrev_b32 v2, 23, v4
	v_cmpx_ne_u32_e32 0xff, v2
; %bb.3210:
	v_and_b32_e32 v3, 0x400000, v4
	v_and_or_b32 v4, 0x3fffff, v4, v2
	s_delay_alu instid0(VALU_DEP_2) | instskip(NEXT) | instid1(VALU_DEP_2)
	v_cmp_ne_u32_e32 vcc_lo, 0, v3
	v_cmp_ne_u32_e64 s0, 0, v4
	s_and_b32 s0, vcc_lo, s0
	s_delay_alu instid0(SALU_CYCLE_1) | instskip(NEXT) | instid1(VALU_DEP_1)
	v_cndmask_b32_e64 v3, 0, 1, s0
	v_add_nc_u32_e32 v3, v2, v3
; %bb.3211:
	s_or_b32 exec_lo, exec_lo, s4
	s_mov_b32 s0, 0
	global_store_b8 v[0:1], v3, off
.LBB119_3212:
	s_mov_b32 s4, 0
.LBB119_3213:
	s_delay_alu instid0(SALU_CYCLE_1)
	s_and_b32 vcc_lo, exec_lo, s4
	s_cbranch_vccz .LBB119_3216
; %bb.3214:
	s_cmp_eq_u32 s2, 29
	s_mov_b32 s0, -1
	s_cbranch_scc0 .LBB119_3216
; %bb.3215:
	s_mov_b32 s0, 0
	s_wait_xcnt 0x0
	v_cndmask_b32_e64 v2, 0, 1, s6
	v_mov_b32_e32 v3, s0
	global_store_b64 v[0:1], v[2:3], off
.LBB119_3216:
	s_mov_b32 s4, 0
.LBB119_3217:
	s_delay_alu instid0(SALU_CYCLE_1)
	s_and_b32 vcc_lo, exec_lo, s4
	s_cbranch_vccz .LBB119_3232
; %bb.3218:
	s_cmp_lt_i32 s2, 27
	s_mov_b32 s4, -1
	s_cbranch_scc1 .LBB119_3224
; %bb.3219:
	s_wait_xcnt 0x0
	v_cndmask_b32_e64 v2, 0, 1, s6
	s_cmp_gt_i32 s2, 27
	s_cbranch_scc0 .LBB119_3221
; %bb.3220:
	s_mov_b32 s4, 0
	global_store_b32 v[0:1], v2, off
.LBB119_3221:
	s_and_not1_b32 vcc_lo, exec_lo, s4
	s_cbranch_vccnz .LBB119_3223
; %bb.3222:
	global_store_b16 v[0:1], v2, off
.LBB119_3223:
	s_mov_b32 s4, 0
.LBB119_3224:
	s_delay_alu instid0(SALU_CYCLE_1)
	s_and_not1_b32 vcc_lo, exec_lo, s4
	s_cbranch_vccnz .LBB119_3232
; %bb.3225:
	s_wait_xcnt 0x0
	v_cndmask_b32_e64 v3, 0, 1.0, s6
	v_mov_b32_e32 v4, 0x80
	s_mov_b32 s4, exec_lo
	s_delay_alu instid0(VALU_DEP_2)
	v_cmpx_gt_u32_e32 0x43800000, v3
	s_cbranch_execz .LBB119_3231
; %bb.3226:
	s_mov_b32 s5, 0
	s_mov_b32 s8, exec_lo
                                        ; implicit-def: $vgpr2
	v_cmpx_lt_u32_e32 0x3bffffff, v3
	s_xor_b32 s8, exec_lo, s8
	s_cbranch_execz .LBB119_3292
; %bb.3227:
	v_bfe_u32 v2, v3, 20, 1
	s_mov_b32 s5, exec_lo
	s_delay_alu instid0(VALU_DEP_1) | instskip(NEXT) | instid1(VALU_DEP_1)
	v_add3_u32 v2, v3, v2, 0x487ffff
                                        ; implicit-def: $vgpr3
	v_lshrrev_b32_e32 v2, 20, v2
	s_and_not1_saveexec_b32 s8, s8
	s_cbranch_execnz .LBB119_3293
.LBB119_3228:
	s_or_b32 exec_lo, exec_lo, s8
	v_mov_b32_e32 v4, 0
	s_and_saveexec_b32 s8, s5
.LBB119_3229:
	v_mov_b32_e32 v4, v2
.LBB119_3230:
	s_or_b32 exec_lo, exec_lo, s8
.LBB119_3231:
	s_delay_alu instid0(SALU_CYCLE_1)
	s_or_b32 exec_lo, exec_lo, s4
	global_store_b8 v[0:1], v4, off
.LBB119_3232:
	s_mov_b32 s4, 0
.LBB119_3233:
	s_delay_alu instid0(SALU_CYCLE_1)
	s_and_b32 vcc_lo, exec_lo, s4
	s_cbranch_vccz .LBB119_3273
; %bb.3234:
	s_cmp_gt_i32 s2, 22
	s_mov_b32 s3, -1
	s_cbranch_scc0 .LBB119_3266
; %bb.3235:
	s_cmp_lt_i32 s2, 24
	s_cbranch_scc1 .LBB119_3255
; %bb.3236:
	s_cmp_gt_i32 s2, 24
	s_cbranch_scc0 .LBB119_3244
; %bb.3237:
	s_wait_xcnt 0x0
	v_cndmask_b32_e64 v3, 0, 1.0, s6
	v_mov_b32_e32 v4, 0x80
	s_mov_b32 s3, exec_lo
	s_delay_alu instid0(VALU_DEP_2)
	v_cmpx_gt_u32_e32 0x47800000, v3
	s_cbranch_execz .LBB119_3243
; %bb.3238:
	s_mov_b32 s4, 0
	s_mov_b32 s5, exec_lo
                                        ; implicit-def: $vgpr2
	v_cmpx_lt_u32_e32 0x37ffffff, v3
	s_xor_b32 s5, exec_lo, s5
	s_cbranch_execz .LBB119_3295
; %bb.3239:
	v_bfe_u32 v2, v3, 21, 1
	s_mov_b32 s4, exec_lo
	s_delay_alu instid0(VALU_DEP_1) | instskip(NEXT) | instid1(VALU_DEP_1)
	v_add3_u32 v2, v3, v2, 0x88fffff
                                        ; implicit-def: $vgpr3
	v_lshrrev_b32_e32 v2, 21, v2
	s_and_not1_saveexec_b32 s5, s5
	s_cbranch_execnz .LBB119_3296
.LBB119_3240:
	s_or_b32 exec_lo, exec_lo, s5
	v_mov_b32_e32 v4, 0
	s_and_saveexec_b32 s5, s4
.LBB119_3241:
	v_mov_b32_e32 v4, v2
.LBB119_3242:
	s_or_b32 exec_lo, exec_lo, s5
.LBB119_3243:
	s_delay_alu instid0(SALU_CYCLE_1)
	s_or_b32 exec_lo, exec_lo, s3
	s_mov_b32 s3, 0
	global_store_b8 v[0:1], v4, off
.LBB119_3244:
	s_and_b32 vcc_lo, exec_lo, s3
	s_cbranch_vccz .LBB119_3254
; %bb.3245:
	s_wait_xcnt 0x0
	v_cndmask_b32_e64 v3, 0, 1.0, s6
	s_mov_b32 s3, exec_lo
                                        ; implicit-def: $vgpr2
	s_delay_alu instid0(VALU_DEP_1)
	v_cmpx_gt_u32_e32 0x43f00000, v3
	s_xor_b32 s3, exec_lo, s3
	s_cbranch_execz .LBB119_3251
; %bb.3246:
	s_mov_b32 s4, exec_lo
                                        ; implicit-def: $vgpr2
	v_cmpx_lt_u32_e32 0x3c7fffff, v3
	s_xor_b32 s4, exec_lo, s4
; %bb.3247:
	v_bfe_u32 v2, v3, 20, 1
	s_delay_alu instid0(VALU_DEP_1) | instskip(NEXT) | instid1(VALU_DEP_1)
	v_add3_u32 v2, v3, v2, 0x407ffff
	v_and_b32_e32 v3, 0xff00000, v2
	v_lshrrev_b32_e32 v2, 20, v2
	s_delay_alu instid0(VALU_DEP_2) | instskip(NEXT) | instid1(VALU_DEP_2)
	v_cmp_ne_u32_e32 vcc_lo, 0x7f00000, v3
                                        ; implicit-def: $vgpr3
	v_cndmask_b32_e32 v2, 0x7e, v2, vcc_lo
; %bb.3248:
	s_and_not1_saveexec_b32 s4, s4
; %bb.3249:
	v_add_f32_e32 v2, 0x46800000, v3
; %bb.3250:
	s_or_b32 exec_lo, exec_lo, s4
                                        ; implicit-def: $vgpr3
.LBB119_3251:
	s_and_not1_saveexec_b32 s3, s3
; %bb.3252:
	v_mov_b32_e32 v2, 0x7f
	v_cmp_lt_u32_e32 vcc_lo, 0x7f800000, v3
	s_delay_alu instid0(VALU_DEP_2)
	v_cndmask_b32_e32 v2, 0x7e, v2, vcc_lo
; %bb.3253:
	s_or_b32 exec_lo, exec_lo, s3
	global_store_b8 v[0:1], v2, off
.LBB119_3254:
	s_mov_b32 s3, 0
.LBB119_3255:
	s_delay_alu instid0(SALU_CYCLE_1)
	s_and_not1_b32 vcc_lo, exec_lo, s3
	s_cbranch_vccnz .LBB119_3265
; %bb.3256:
	s_wait_xcnt 0x0
	v_cndmask_b32_e64 v3, 0, 1.0, s6
	s_mov_b32 s3, exec_lo
                                        ; implicit-def: $vgpr2
	s_delay_alu instid0(VALU_DEP_1)
	v_cmpx_gt_u32_e32 0x47800000, v3
	s_xor_b32 s3, exec_lo, s3
	s_cbranch_execz .LBB119_3262
; %bb.3257:
	s_mov_b32 s4, exec_lo
                                        ; implicit-def: $vgpr2
	v_cmpx_lt_u32_e32 0x387fffff, v3
	s_xor_b32 s4, exec_lo, s4
; %bb.3258:
	v_bfe_u32 v2, v3, 21, 1
	s_delay_alu instid0(VALU_DEP_1) | instskip(NEXT) | instid1(VALU_DEP_1)
	v_add3_u32 v2, v3, v2, 0x80fffff
                                        ; implicit-def: $vgpr3
	v_lshrrev_b32_e32 v2, 21, v2
; %bb.3259:
	s_and_not1_saveexec_b32 s4, s4
; %bb.3260:
	v_add_f32_e32 v2, 0x43000000, v3
; %bb.3261:
	s_or_b32 exec_lo, exec_lo, s4
                                        ; implicit-def: $vgpr3
.LBB119_3262:
	s_and_not1_saveexec_b32 s3, s3
; %bb.3263:
	v_mov_b32_e32 v2, 0x7f
	v_cmp_lt_u32_e32 vcc_lo, 0x7f800000, v3
	s_delay_alu instid0(VALU_DEP_2)
	v_cndmask_b32_e32 v2, 0x7c, v2, vcc_lo
; %bb.3264:
	s_or_b32 exec_lo, exec_lo, s3
	global_store_b8 v[0:1], v2, off
.LBB119_3265:
	s_mov_b32 s3, 0
.LBB119_3266:
	s_delay_alu instid0(SALU_CYCLE_1)
	s_and_not1_b32 vcc_lo, exec_lo, s3
	s_mov_b32 s3, 0
	s_cbranch_vccnz .LBB119_3273
; %bb.3267:
	s_cmp_gt_i32 s2, 14
	s_mov_b32 s3, -1
	s_cbranch_scc0 .LBB119_3271
; %bb.3268:
	s_cmp_eq_u32 s2, 15
	s_mov_b32 s0, -1
	s_cbranch_scc0 .LBB119_3270
; %bb.3269:
	s_wait_xcnt 0x0
	v_cndmask_b32_e64 v2, 0, 1.0, s6
	s_mov_b32 s0, 0
	s_delay_alu instid0(VALU_DEP_1) | instskip(NEXT) | instid1(VALU_DEP_1)
	v_bfe_u32 v3, v2, 16, 1
	v_add3_u32 v2, v2, v3, 0x7fff
	global_store_d16_hi_b16 v[0:1], v2, off
.LBB119_3270:
	s_mov_b32 s3, 0
.LBB119_3271:
	s_delay_alu instid0(SALU_CYCLE_1)
	s_and_b32 vcc_lo, exec_lo, s3
	s_mov_b32 s3, 0
	s_cbranch_vccz .LBB119_3273
; %bb.3272:
	s_cmp_lg_u32 s2, 11
	s_mov_b32 s3, -1
	s_cselect_b32 s0, -1, 0
.LBB119_3273:
	s_delay_alu instid0(SALU_CYCLE_1)
	s_and_b32 vcc_lo, exec_lo, s0
	s_cbranch_vccnz .LBB119_3294
.LBB119_3274:
	s_mov_b32 s0, 0
	s_branch .LBB119_2795
.LBB119_3275:
	s_mov_b32 s0, 0
	s_mov_b32 s3, 0
	s_branch .LBB119_2794
.LBB119_3276:
	s_mov_b32 s3, 0
	s_mov_b32 s0, -1
	s_branch .LBB119_2795
.LBB119_3277:
	s_and_not1_saveexec_b32 s13, s13
	s_cbranch_execz .LBB119_2870
.LBB119_3278:
	v_add_f32_e32 v2, 0x46000000, v3
	s_and_not1_b32 s9, s9, exec_lo
	s_delay_alu instid0(VALU_DEP_1) | instskip(NEXT) | instid1(VALU_DEP_1)
	v_and_b32_e32 v2, 0xff, v2
	v_cmp_ne_u32_e32 vcc_lo, 0, v2
	s_and_b32 s15, vcc_lo, exec_lo
	s_delay_alu instid0(SALU_CYCLE_1)
	s_or_b32 s9, s9, s15
	s_or_b32 exec_lo, exec_lo, s13
	v_mov_b32_e32 v4, 0
	s_and_saveexec_b32 s13, s9
	s_cbranch_execnz .LBB119_2871
	s_branch .LBB119_2872
.LBB119_3279:
	s_or_b32 s1, s1, exec_lo
	s_trap 2
	s_cbranch_execz .LBB119_2918
	s_branch .LBB119_2919
.LBB119_3280:
	s_and_not1_saveexec_b32 s9, s9
	s_cbranch_execz .LBB119_2883
.LBB119_3281:
	v_add_f32_e32 v2, 0x42800000, v3
	s_and_not1_b32 s8, s8, exec_lo
	s_delay_alu instid0(VALU_DEP_1) | instskip(NEXT) | instid1(VALU_DEP_1)
	v_and_b32_e32 v2, 0xff, v2
	v_cmp_ne_u32_e32 vcc_lo, 0, v2
	s_and_b32 s13, vcc_lo, exec_lo
	s_delay_alu instid0(SALU_CYCLE_1)
	s_or_b32 s8, s8, s13
	s_or_b32 exec_lo, exec_lo, s9
	v_mov_b32_e32 v4, 0
	s_and_saveexec_b32 s9, s8
	s_cbranch_execnz .LBB119_2884
	s_branch .LBB119_2885
.LBB119_3282:
	s_and_not1_saveexec_b32 s12, s12
	s_cbranch_execz .LBB119_2989
.LBB119_3283:
	v_add_f32_e32 v2, 0x46000000, v3
	s_and_not1_b32 s9, s9, exec_lo
	s_delay_alu instid0(VALU_DEP_1) | instskip(NEXT) | instid1(VALU_DEP_1)
	v_and_b32_e32 v2, 0xff, v2
	v_cmp_ne_u32_e32 vcc_lo, 0, v2
	s_and_b32 s13, vcc_lo, exec_lo
	s_delay_alu instid0(SALU_CYCLE_1)
	s_or_b32 s9, s9, s13
	s_or_b32 exec_lo, exec_lo, s12
	v_mov_b32_e32 v4, 0
	s_and_saveexec_b32 s12, s9
	s_cbranch_execnz .LBB119_2990
	s_branch .LBB119_2991
.LBB119_3284:
	s_or_b32 s1, s1, exec_lo
	s_trap 2
	s_cbranch_execz .LBB119_3037
	s_branch .LBB119_3038
.LBB119_3285:
	s_and_not1_saveexec_b32 s9, s9
	s_cbranch_execz .LBB119_3002
.LBB119_3286:
	v_add_f32_e32 v2, 0x42800000, v3
	s_and_not1_b32 s8, s8, exec_lo
	s_delay_alu instid0(VALU_DEP_1) | instskip(NEXT) | instid1(VALU_DEP_1)
	v_and_b32_e32 v2, 0xff, v2
	v_cmp_ne_u32_e32 vcc_lo, 0, v2
	s_and_b32 s12, vcc_lo, exec_lo
	s_delay_alu instid0(SALU_CYCLE_1)
	s_or_b32 s8, s8, s12
	s_or_b32 exec_lo, exec_lo, s9
	v_mov_b32_e32 v4, 0
	s_and_saveexec_b32 s9, s8
	s_cbranch_execnz .LBB119_3003
	s_branch .LBB119_3004
.LBB119_3287:
	s_and_not1_saveexec_b32 s12, s12
	s_cbranch_execz .LBB119_3108
.LBB119_3288:
	v_add_f32_e32 v2, 0x46000000, v3
	s_and_not1_b32 s9, s9, exec_lo
	s_delay_alu instid0(VALU_DEP_1) | instskip(NEXT) | instid1(VALU_DEP_1)
	v_and_b32_e32 v2, 0xff, v2
	v_cmp_ne_u32_e32 vcc_lo, 0, v2
	s_and_b32 s13, vcc_lo, exec_lo
	s_delay_alu instid0(SALU_CYCLE_1)
	s_or_b32 s9, s9, s13
	s_or_b32 exec_lo, exec_lo, s12
	v_mov_b32_e32 v4, 0
	s_and_saveexec_b32 s12, s9
	s_cbranch_execnz .LBB119_3109
	s_branch .LBB119_3110
.LBB119_3289:
	s_or_b32 s1, s1, exec_lo
	s_trap 2
	s_cbranch_execz .LBB119_3156
	s_branch .LBB119_3157
.LBB119_3290:
	s_and_not1_saveexec_b32 s9, s9
	s_cbranch_execz .LBB119_3121
.LBB119_3291:
	v_add_f32_e32 v2, 0x42800000, v3
	s_and_not1_b32 s8, s8, exec_lo
	s_delay_alu instid0(VALU_DEP_1) | instskip(NEXT) | instid1(VALU_DEP_1)
	v_and_b32_e32 v2, 0xff, v2
	v_cmp_ne_u32_e32 vcc_lo, 0, v2
	s_and_b32 s12, vcc_lo, exec_lo
	s_delay_alu instid0(SALU_CYCLE_1)
	s_or_b32 s8, s8, s12
	s_or_b32 exec_lo, exec_lo, s9
	v_mov_b32_e32 v4, 0
	s_and_saveexec_b32 s9, s8
	s_cbranch_execnz .LBB119_3122
	s_branch .LBB119_3123
.LBB119_3292:
	s_and_not1_saveexec_b32 s8, s8
	s_cbranch_execz .LBB119_3228
.LBB119_3293:
	v_add_f32_e32 v2, 0x46000000, v3
	s_and_not1_b32 s5, s5, exec_lo
	s_delay_alu instid0(VALU_DEP_1) | instskip(NEXT) | instid1(VALU_DEP_1)
	v_and_b32_e32 v2, 0xff, v2
	v_cmp_ne_u32_e32 vcc_lo, 0, v2
	s_and_b32 s9, vcc_lo, exec_lo
	s_delay_alu instid0(SALU_CYCLE_1)
	s_or_b32 s5, s5, s9
	s_or_b32 exec_lo, exec_lo, s8
	v_mov_b32_e32 v4, 0
	s_and_saveexec_b32 s8, s5
	s_cbranch_execnz .LBB119_3229
	s_branch .LBB119_3230
.LBB119_3294:
	s_mov_b32 s3, 0
	s_or_b32 s1, s1, exec_lo
	s_trap 2
	s_branch .LBB119_3274
.LBB119_3295:
	s_and_not1_saveexec_b32 s5, s5
	s_cbranch_execz .LBB119_3240
.LBB119_3296:
	v_add_f32_e32 v2, 0x42800000, v3
	s_and_not1_b32 s4, s4, exec_lo
	s_delay_alu instid0(VALU_DEP_1) | instskip(NEXT) | instid1(VALU_DEP_1)
	v_and_b32_e32 v2, 0xff, v2
	v_cmp_ne_u32_e32 vcc_lo, 0, v2
	s_and_b32 s8, vcc_lo, exec_lo
	s_delay_alu instid0(SALU_CYCLE_1)
	s_or_b32 s4, s4, s8
	s_or_b32 exec_lo, exec_lo, s5
	v_mov_b32_e32 v4, 0
	s_and_saveexec_b32 s5, s4
	s_cbranch_execnz .LBB119_3241
	s_branch .LBB119_3242
	.section	.rodata,"a",@progbits
	.p2align	6, 0x0
	.amdhsa_kernel _ZN2at6native32elementwise_kernel_manual_unrollILi128ELi4EZNS0_15gpu_kernel_implINS0_13BinaryFunctorIN3c107complexIdEES6_bNS0_12_GLOBAL__N_116CompareEqFunctorIS6_EEEEEEvRNS_18TensorIteratorBaseERKT_EUlibE0_EEviT1_
		.amdhsa_group_segment_fixed_size 0
		.amdhsa_private_segment_fixed_size 0
		.amdhsa_kernarg_size 432
		.amdhsa_user_sgpr_count 2
		.amdhsa_user_sgpr_dispatch_ptr 0
		.amdhsa_user_sgpr_queue_ptr 0
		.amdhsa_user_sgpr_kernarg_segment_ptr 1
		.amdhsa_user_sgpr_dispatch_id 0
		.amdhsa_user_sgpr_kernarg_preload_length 0
		.amdhsa_user_sgpr_kernarg_preload_offset 0
		.amdhsa_user_sgpr_private_segment_size 0
		.amdhsa_wavefront_size32 1
		.amdhsa_uses_dynamic_stack 0
		.amdhsa_enable_private_segment 0
		.amdhsa_system_sgpr_workgroup_id_x 1
		.amdhsa_system_sgpr_workgroup_id_y 0
		.amdhsa_system_sgpr_workgroup_id_z 0
		.amdhsa_system_sgpr_workgroup_info 0
		.amdhsa_system_vgpr_workitem_id 0
		.amdhsa_next_free_vgpr 30
		.amdhsa_next_free_sgpr 62
		.amdhsa_named_barrier_count 0
		.amdhsa_reserve_vcc 1
		.amdhsa_float_round_mode_32 0
		.amdhsa_float_round_mode_16_64 0
		.amdhsa_float_denorm_mode_32 3
		.amdhsa_float_denorm_mode_16_64 3
		.amdhsa_fp16_overflow 0
		.amdhsa_memory_ordered 1
		.amdhsa_forward_progress 1
		.amdhsa_inst_pref_size 255
		.amdhsa_round_robin_scheduling 0
		.amdhsa_exception_fp_ieee_invalid_op 0
		.amdhsa_exception_fp_denorm_src 0
		.amdhsa_exception_fp_ieee_div_zero 0
		.amdhsa_exception_fp_ieee_overflow 0
		.amdhsa_exception_fp_ieee_underflow 0
		.amdhsa_exception_fp_ieee_inexact 0
		.amdhsa_exception_int_div_zero 0
	.end_amdhsa_kernel
	.section	.text._ZN2at6native32elementwise_kernel_manual_unrollILi128ELi4EZNS0_15gpu_kernel_implINS0_13BinaryFunctorIN3c107complexIdEES6_bNS0_12_GLOBAL__N_116CompareEqFunctorIS6_EEEEEEvRNS_18TensorIteratorBaseERKT_EUlibE0_EEviT1_,"axG",@progbits,_ZN2at6native32elementwise_kernel_manual_unrollILi128ELi4EZNS0_15gpu_kernel_implINS0_13BinaryFunctorIN3c107complexIdEES6_bNS0_12_GLOBAL__N_116CompareEqFunctorIS6_EEEEEEvRNS_18TensorIteratorBaseERKT_EUlibE0_EEviT1_,comdat
.Lfunc_end119:
	.size	_ZN2at6native32elementwise_kernel_manual_unrollILi128ELi4EZNS0_15gpu_kernel_implINS0_13BinaryFunctorIN3c107complexIdEES6_bNS0_12_GLOBAL__N_116CompareEqFunctorIS6_EEEEEEvRNS_18TensorIteratorBaseERKT_EUlibE0_EEviT1_, .Lfunc_end119-_ZN2at6native32elementwise_kernel_manual_unrollILi128ELi4EZNS0_15gpu_kernel_implINS0_13BinaryFunctorIN3c107complexIdEES6_bNS0_12_GLOBAL__N_116CompareEqFunctorIS6_EEEEEEvRNS_18TensorIteratorBaseERKT_EUlibE0_EEviT1_
                                        ; -- End function
	.set _ZN2at6native32elementwise_kernel_manual_unrollILi128ELi4EZNS0_15gpu_kernel_implINS0_13BinaryFunctorIN3c107complexIdEES6_bNS0_12_GLOBAL__N_116CompareEqFunctorIS6_EEEEEEvRNS_18TensorIteratorBaseERKT_EUlibE0_EEviT1_.num_vgpr, 30
	.set _ZN2at6native32elementwise_kernel_manual_unrollILi128ELi4EZNS0_15gpu_kernel_implINS0_13BinaryFunctorIN3c107complexIdEES6_bNS0_12_GLOBAL__N_116CompareEqFunctorIS6_EEEEEEvRNS_18TensorIteratorBaseERKT_EUlibE0_EEviT1_.num_agpr, 0
	.set _ZN2at6native32elementwise_kernel_manual_unrollILi128ELi4EZNS0_15gpu_kernel_implINS0_13BinaryFunctorIN3c107complexIdEES6_bNS0_12_GLOBAL__N_116CompareEqFunctorIS6_EEEEEEvRNS_18TensorIteratorBaseERKT_EUlibE0_EEviT1_.numbered_sgpr, 62
	.set _ZN2at6native32elementwise_kernel_manual_unrollILi128ELi4EZNS0_15gpu_kernel_implINS0_13BinaryFunctorIN3c107complexIdEES6_bNS0_12_GLOBAL__N_116CompareEqFunctorIS6_EEEEEEvRNS_18TensorIteratorBaseERKT_EUlibE0_EEviT1_.num_named_barrier, 0
	.set _ZN2at6native32elementwise_kernel_manual_unrollILi128ELi4EZNS0_15gpu_kernel_implINS0_13BinaryFunctorIN3c107complexIdEES6_bNS0_12_GLOBAL__N_116CompareEqFunctorIS6_EEEEEEvRNS_18TensorIteratorBaseERKT_EUlibE0_EEviT1_.private_seg_size, 0
	.set _ZN2at6native32elementwise_kernel_manual_unrollILi128ELi4EZNS0_15gpu_kernel_implINS0_13BinaryFunctorIN3c107complexIdEES6_bNS0_12_GLOBAL__N_116CompareEqFunctorIS6_EEEEEEvRNS_18TensorIteratorBaseERKT_EUlibE0_EEviT1_.uses_vcc, 1
	.set _ZN2at6native32elementwise_kernel_manual_unrollILi128ELi4EZNS0_15gpu_kernel_implINS0_13BinaryFunctorIN3c107complexIdEES6_bNS0_12_GLOBAL__N_116CompareEqFunctorIS6_EEEEEEvRNS_18TensorIteratorBaseERKT_EUlibE0_EEviT1_.uses_flat_scratch, 0
	.set _ZN2at6native32elementwise_kernel_manual_unrollILi128ELi4EZNS0_15gpu_kernel_implINS0_13BinaryFunctorIN3c107complexIdEES6_bNS0_12_GLOBAL__N_116CompareEqFunctorIS6_EEEEEEvRNS_18TensorIteratorBaseERKT_EUlibE0_EEviT1_.has_dyn_sized_stack, 0
	.set _ZN2at6native32elementwise_kernel_manual_unrollILi128ELi4EZNS0_15gpu_kernel_implINS0_13BinaryFunctorIN3c107complexIdEES6_bNS0_12_GLOBAL__N_116CompareEqFunctorIS6_EEEEEEvRNS_18TensorIteratorBaseERKT_EUlibE0_EEviT1_.has_recursion, 0
	.set _ZN2at6native32elementwise_kernel_manual_unrollILi128ELi4EZNS0_15gpu_kernel_implINS0_13BinaryFunctorIN3c107complexIdEES6_bNS0_12_GLOBAL__N_116CompareEqFunctorIS6_EEEEEEvRNS_18TensorIteratorBaseERKT_EUlibE0_EEviT1_.has_indirect_call, 0
	.section	.AMDGPU.csdata,"",@progbits
; Kernel info:
; codeLenInByte = 61520
; TotalNumSgprs: 64
; NumVgprs: 30
; ScratchSize: 0
; MemoryBound: 1
; FloatMode: 240
; IeeeMode: 1
; LDSByteSize: 0 bytes/workgroup (compile time only)
; SGPRBlocks: 0
; VGPRBlocks: 1
; NumSGPRsForWavesPerEU: 64
; NumVGPRsForWavesPerEU: 30
; NamedBarCnt: 0
; Occupancy: 16
; WaveLimiterHint : 1
; COMPUTE_PGM_RSRC2:SCRATCH_EN: 0
; COMPUTE_PGM_RSRC2:USER_SGPR: 2
; COMPUTE_PGM_RSRC2:TRAP_HANDLER: 0
; COMPUTE_PGM_RSRC2:TGID_X_EN: 1
; COMPUTE_PGM_RSRC2:TGID_Y_EN: 0
; COMPUTE_PGM_RSRC2:TGID_Z_EN: 0
; COMPUTE_PGM_RSRC2:TIDIG_COMP_CNT: 0
	.section	.text._ZN2at6native29vectorized_elementwise_kernelILi16ENS0_13AUnaryFunctorIN3c107complexIdEES5_bNS0_12_GLOBAL__N_116CompareEqFunctorIS5_EEEESt5arrayIPcLm2EEEEviT0_T1_,"axG",@progbits,_ZN2at6native29vectorized_elementwise_kernelILi16ENS0_13AUnaryFunctorIN3c107complexIdEES5_bNS0_12_GLOBAL__N_116CompareEqFunctorIS5_EEEESt5arrayIPcLm2EEEEviT0_T1_,comdat
	.globl	_ZN2at6native29vectorized_elementwise_kernelILi16ENS0_13AUnaryFunctorIN3c107complexIdEES5_bNS0_12_GLOBAL__N_116CompareEqFunctorIS5_EEEESt5arrayIPcLm2EEEEviT0_T1_ ; -- Begin function _ZN2at6native29vectorized_elementwise_kernelILi16ENS0_13AUnaryFunctorIN3c107complexIdEES5_bNS0_12_GLOBAL__N_116CompareEqFunctorIS5_EEEESt5arrayIPcLm2EEEEviT0_T1_
	.p2align	8
	.type	_ZN2at6native29vectorized_elementwise_kernelILi16ENS0_13AUnaryFunctorIN3c107complexIdEES5_bNS0_12_GLOBAL__N_116CompareEqFunctorIS5_EEEESt5arrayIPcLm2EEEEviT0_T1_,@function
_ZN2at6native29vectorized_elementwise_kernelILi16ENS0_13AUnaryFunctorIN3c107complexIdEES5_bNS0_12_GLOBAL__N_116CompareEqFunctorIS5_EEEESt5arrayIPcLm2EEEEviT0_T1_: ; @_ZN2at6native29vectorized_elementwise_kernelILi16ENS0_13AUnaryFunctorIN3c107complexIdEES5_bNS0_12_GLOBAL__N_116CompareEqFunctorIS5_EEEESt5arrayIPcLm2EEEEviT0_T1_
; %bb.0:
	s_clause 0x2
	s_load_b32 s3, s[0:1], 0x0
	s_load_b32 s13, s[0:1], 0x10
	s_load_b256 s[4:11], s[0:1], 0x20
	s_wait_xcnt 0x0
	s_bfe_u32 s0, ttmp6, 0x4000c
	s_and_b32 s1, ttmp6, 15
	s_add_co_i32 s0, s0, 1
	s_getreg_b32 s2, hwreg(HW_REG_IB_STS2, 6, 4)
	s_mul_i32 s0, ttmp9, s0
	s_delay_alu instid0(SALU_CYCLE_1) | instskip(SKIP_2) | instid1(SALU_CYCLE_1)
	s_add_co_i32 s1, s1, s0
	s_cmp_eq_u32 s2, 0
	s_cselect_b32 s0, ttmp9, s1
	s_lshl_b32 s2, s0, 12
	s_mov_b32 s0, -1
	s_wait_kmcnt 0x0
	s_sub_co_i32 s12, s3, s2
	s_delay_alu instid0(SALU_CYCLE_1)
	s_cmp_gt_i32 s12, 0xfff
	s_cbranch_scc0 .LBB120_50
; %bb.1:
	s_ashr_i32 s3, s2, 31
	v_lshlrev_b32_e32 v1, 8, v0
	s_lshl_b64 s[0:1], s[2:3], 4
	s_cmp_lg_u32 s13, 0
	s_add_nc_u64 s[0:1], s[10:11], s[0:1]
	s_cselect_b32 s14, -1, 0
	s_clause 0xf
	global_load_b128 v[50:53], v1, s[0:1] offset:48
	global_load_b128 v[54:57], v1, s[0:1] offset:32
	;; [unrolled: 1-line block ×3, first 2 shown]
	global_load_b128 v[62:65], v1, s[0:1]
	global_load_b128 v[34:37], v1, s[0:1] offset:112
	global_load_b128 v[38:41], v1, s[0:1] offset:96
	;; [unrolled: 1-line block ×12, first 2 shown]
	s_and_b32 vcc_lo, exec_lo, s14
	s_cbranch_vccz .LBB120_196
; %bb.2:
	s_wait_loadcnt 0xc
	v_cmp_neq_f64_e32 vcc_lo, s[4:5], v[62:63]
	s_wait_xcnt 0x0
	v_cmp_neq_f64_e64 s0, s[6:7], v[64:65]
	s_or_b32 s1, vcc_lo, s0
	s_cbranch_execnz .LBB120_4
.LBB120_3:
	s_wait_loadcnt 0xc
	v_cmp_eq_f64_e32 vcc_lo, s[4:5], v[62:63]
	v_cmp_eq_f64_e64 s0, s[6:7], v[64:65]
	s_and_not1_b32 s1, s1, exec_lo
	s_and_b32 s0, vcc_lo, s0
	s_delay_alu instid0(SALU_CYCLE_1) | instskip(NEXT) | instid1(SALU_CYCLE_1)
	s_and_b32 s0, s0, exec_lo
	s_or_b32 s1, s1, s0
.LBB120_4:
	v_cndmask_b32_e64 v1, 0, 1, s14
	s_and_not1_b32 vcc_lo, exec_lo, s14
	s_cbranch_vccnz .LBB120_197
; %bb.5:
	s_wait_loadcnt 0xd
	v_cmp_neq_f64_e32 vcc_lo, s[4:5], v[58:59]
	v_cmp_neq_f64_e64 s0, s[6:7], v[60:61]
	s_or_b32 s14, vcc_lo, s0
	s_cbranch_execnz .LBB120_7
.LBB120_6:
	s_wait_loadcnt 0xd
	v_cmp_eq_f64_e32 vcc_lo, s[4:5], v[58:59]
	v_cmp_eq_f64_e64 s0, s[6:7], v[60:61]
	s_and_not1_b32 s14, s14, exec_lo
	s_and_b32 s0, vcc_lo, s0
	s_delay_alu instid0(SALU_CYCLE_1) | instskip(NEXT) | instid1(SALU_CYCLE_1)
	s_and_b32 s0, s0, exec_lo
	s_or_b32 s14, s14, s0
.LBB120_7:
	v_cmp_ne_u32_e32 vcc_lo, 1, v1
	s_cbranch_vccnz .LBB120_198
; %bb.8:
	s_wait_loadcnt 0xe
	v_cmp_neq_f64_e32 vcc_lo, s[4:5], v[54:55]
	v_cmp_neq_f64_e64 s0, s[6:7], v[56:57]
	s_or_b32 s15, vcc_lo, s0
	s_cbranch_execnz .LBB120_10
.LBB120_9:
	s_wait_loadcnt 0xe
	v_cmp_eq_f64_e32 vcc_lo, s[4:5], v[54:55]
	v_cmp_eq_f64_e64 s0, s[6:7], v[56:57]
	s_and_not1_b32 s15, s15, exec_lo
	s_and_b32 s0, vcc_lo, s0
	s_delay_alu instid0(SALU_CYCLE_1) | instskip(NEXT) | instid1(SALU_CYCLE_1)
	s_and_b32 s0, s0, exec_lo
	s_or_b32 s15, s15, s0
.LBB120_10:
	v_cmp_ne_u32_e32 vcc_lo, 1, v1
	s_cbranch_vccnz .LBB120_199
; %bb.11:
	s_wait_loadcnt 0xf
	v_cmp_neq_f64_e32 vcc_lo, s[4:5], v[50:51]
	v_cmp_neq_f64_e64 s0, s[6:7], v[52:53]
	s_or_b32 s16, vcc_lo, s0
	s_cbranch_execnz .LBB120_13
.LBB120_12:
	s_wait_loadcnt 0xf
	v_cmp_eq_f64_e32 vcc_lo, s[4:5], v[50:51]
	v_cmp_eq_f64_e64 s0, s[6:7], v[52:53]
	s_and_not1_b32 s16, s16, exec_lo
	s_and_b32 s0, vcc_lo, s0
	s_delay_alu instid0(SALU_CYCLE_1) | instskip(NEXT) | instid1(SALU_CYCLE_1)
	s_and_b32 s0, s0, exec_lo
	s_or_b32 s16, s16, s0
.LBB120_13:
	v_cmp_ne_u32_e32 vcc_lo, 1, v1
	s_cbranch_vccnz .LBB120_200
; %bb.14:
	s_wait_loadcnt 0x8
	v_cmp_neq_f64_e32 vcc_lo, s[4:5], v[46:47]
	v_cmp_neq_f64_e64 s0, s[6:7], v[48:49]
	s_or_b32 s17, vcc_lo, s0
	s_cbranch_execnz .LBB120_16
.LBB120_15:
	s_wait_loadcnt 0x8
	v_cmp_eq_f64_e32 vcc_lo, s[4:5], v[46:47]
	v_cmp_eq_f64_e64 s0, s[6:7], v[48:49]
	s_and_not1_b32 s17, s17, exec_lo
	s_and_b32 s0, vcc_lo, s0
	s_delay_alu instid0(SALU_CYCLE_1) | instskip(NEXT) | instid1(SALU_CYCLE_1)
	s_and_b32 s0, s0, exec_lo
	s_or_b32 s17, s17, s0
.LBB120_16:
	v_cmp_ne_u32_e32 vcc_lo, 1, v1
	s_cbranch_vccnz .LBB120_201
; %bb.17:
	s_wait_loadcnt 0x9
	v_cmp_neq_f64_e32 vcc_lo, s[4:5], v[42:43]
	v_cmp_neq_f64_e64 s0, s[6:7], v[44:45]
	s_or_b32 s18, vcc_lo, s0
	s_cbranch_execnz .LBB120_19
.LBB120_18:
	s_wait_loadcnt 0x9
	v_cmp_eq_f64_e32 vcc_lo, s[4:5], v[42:43]
	v_cmp_eq_f64_e64 s0, s[6:7], v[44:45]
	s_and_not1_b32 s18, s18, exec_lo
	s_and_b32 s0, vcc_lo, s0
	s_delay_alu instid0(SALU_CYCLE_1) | instskip(NEXT) | instid1(SALU_CYCLE_1)
	s_and_b32 s0, s0, exec_lo
	s_or_b32 s18, s18, s0
.LBB120_19:
	v_cmp_ne_u32_e32 vcc_lo, 1, v1
	s_cbranch_vccnz .LBB120_202
; %bb.20:
	s_wait_loadcnt 0xa
	v_cmp_neq_f64_e32 vcc_lo, s[4:5], v[38:39]
	v_cmp_neq_f64_e64 s0, s[6:7], v[40:41]
	s_or_b32 s19, vcc_lo, s0
	s_cbranch_execnz .LBB120_22
.LBB120_21:
	s_wait_loadcnt 0xa
	v_cmp_eq_f64_e32 vcc_lo, s[4:5], v[38:39]
	v_cmp_eq_f64_e64 s0, s[6:7], v[40:41]
	s_and_not1_b32 s19, s19, exec_lo
	s_and_b32 s0, vcc_lo, s0
	s_delay_alu instid0(SALU_CYCLE_1) | instskip(NEXT) | instid1(SALU_CYCLE_1)
	s_and_b32 s0, s0, exec_lo
	s_or_b32 s19, s19, s0
.LBB120_22:
	v_cmp_ne_u32_e32 vcc_lo, 1, v1
	s_cbranch_vccnz .LBB120_203
; %bb.23:
	s_wait_loadcnt 0xb
	v_cmp_neq_f64_e32 vcc_lo, s[4:5], v[34:35]
	v_cmp_neq_f64_e64 s0, s[6:7], v[36:37]
	s_or_b32 s21, vcc_lo, s0
	s_cbranch_execnz .LBB120_25
.LBB120_24:
	s_wait_loadcnt 0xb
	v_cmp_eq_f64_e32 vcc_lo, s[4:5], v[34:35]
	v_cmp_eq_f64_e64 s0, s[6:7], v[36:37]
	s_and_not1_b32 s20, s21, exec_lo
	s_and_b32 s0, vcc_lo, s0
	s_delay_alu instid0(SALU_CYCLE_1) | instskip(NEXT) | instid1(SALU_CYCLE_1)
	s_and_b32 s0, s0, exec_lo
	s_or_b32 s21, s20, s0
.LBB120_25:
	v_cmp_ne_u32_e32 vcc_lo, 1, v1
	s_cbranch_vccnz .LBB120_204
; %bb.26:
	s_wait_loadcnt 0x4
	v_cmp_neq_f64_e32 vcc_lo, s[4:5], v[30:31]
	v_cmp_neq_f64_e64 s0, s[6:7], v[32:33]
	s_or_b32 s20, vcc_lo, s0
	s_cbranch_execnz .LBB120_28
.LBB120_27:
	s_wait_loadcnt 0x4
	v_cmp_eq_f64_e32 vcc_lo, s[4:5], v[30:31]
	v_cmp_eq_f64_e64 s0, s[6:7], v[32:33]
	s_and_not1_b32 s20, s20, exec_lo
	s_and_b32 s0, vcc_lo, s0
	s_delay_alu instid0(SALU_CYCLE_1) | instskip(NEXT) | instid1(SALU_CYCLE_1)
	s_and_b32 s0, s0, exec_lo
	s_or_b32 s20, s20, s0
.LBB120_28:
	v_cmp_ne_u32_e32 vcc_lo, 1, v1
	s_cbranch_vccnz .LBB120_205
; %bb.29:
	s_wait_loadcnt 0x5
	v_cmp_neq_f64_e32 vcc_lo, s[4:5], v[26:27]
	v_cmp_neq_f64_e64 s0, s[6:7], v[28:29]
	s_or_b32 s22, vcc_lo, s0
	s_cbranch_execnz .LBB120_31
.LBB120_30:
	s_wait_loadcnt 0x5
	v_cmp_eq_f64_e32 vcc_lo, s[4:5], v[26:27]
	v_cmp_eq_f64_e64 s0, s[6:7], v[28:29]
	s_and_not1_b32 s22, s22, exec_lo
	s_and_b32 s0, vcc_lo, s0
	s_delay_alu instid0(SALU_CYCLE_1) | instskip(NEXT) | instid1(SALU_CYCLE_1)
	s_and_b32 s0, s0, exec_lo
	s_or_b32 s22, s22, s0
.LBB120_31:
	v_cmp_ne_u32_e32 vcc_lo, 1, v1
	s_cbranch_vccnz .LBB120_206
; %bb.32:
	s_wait_loadcnt 0x6
	v_cmp_neq_f64_e32 vcc_lo, s[4:5], v[22:23]
	v_cmp_neq_f64_e64 s0, s[6:7], v[24:25]
	s_or_b32 s23, vcc_lo, s0
	s_cbranch_execnz .LBB120_34
.LBB120_33:
	s_wait_loadcnt 0x6
	v_cmp_eq_f64_e32 vcc_lo, s[4:5], v[22:23]
	v_cmp_eq_f64_e64 s0, s[6:7], v[24:25]
	s_and_not1_b32 s23, s23, exec_lo
	s_and_b32 s0, vcc_lo, s0
	s_delay_alu instid0(SALU_CYCLE_1) | instskip(NEXT) | instid1(SALU_CYCLE_1)
	s_and_b32 s0, s0, exec_lo
	s_or_b32 s23, s23, s0
.LBB120_34:
	v_cmp_ne_u32_e32 vcc_lo, 1, v1
	s_cbranch_vccnz .LBB120_207
; %bb.35:
	s_wait_loadcnt 0x7
	v_cmp_neq_f64_e32 vcc_lo, s[4:5], v[18:19]
	v_cmp_neq_f64_e64 s0, s[6:7], v[20:21]
	s_or_b32 s24, vcc_lo, s0
	s_cbranch_execnz .LBB120_37
.LBB120_36:
	s_wait_loadcnt 0x7
	v_cmp_eq_f64_e32 vcc_lo, s[4:5], v[18:19]
	v_cmp_eq_f64_e64 s0, s[6:7], v[20:21]
	s_and_not1_b32 s24, s24, exec_lo
	s_and_b32 s0, vcc_lo, s0
	s_delay_alu instid0(SALU_CYCLE_1) | instskip(NEXT) | instid1(SALU_CYCLE_1)
	s_and_b32 s0, s0, exec_lo
	s_or_b32 s24, s24, s0
.LBB120_37:
	v_cmp_ne_u32_e32 vcc_lo, 1, v1
	s_cbranch_vccnz .LBB120_208
; %bb.38:
	s_wait_loadcnt 0x0
	v_cmp_neq_f64_e32 vcc_lo, s[4:5], v[14:15]
	v_cmp_neq_f64_e64 s0, s[6:7], v[16:17]
	s_or_b32 s25, vcc_lo, s0
	s_cbranch_execnz .LBB120_40
.LBB120_39:
	s_wait_loadcnt 0x0
	v_cmp_eq_f64_e32 vcc_lo, s[4:5], v[14:15]
	v_cmp_eq_f64_e64 s0, s[6:7], v[16:17]
	s_and_not1_b32 s25, s25, exec_lo
	s_and_b32 s0, vcc_lo, s0
	s_delay_alu instid0(SALU_CYCLE_1) | instskip(NEXT) | instid1(SALU_CYCLE_1)
	s_and_b32 s0, s0, exec_lo
	s_or_b32 s25, s25, s0
.LBB120_40:
	v_cmp_ne_u32_e32 vcc_lo, 1, v1
	s_cbranch_vccnz .LBB120_209
; %bb.41:
	s_wait_loadcnt 0x1
	v_cmp_neq_f64_e32 vcc_lo, s[4:5], v[10:11]
	v_cmp_neq_f64_e64 s0, s[6:7], v[12:13]
	s_or_b32 s26, vcc_lo, s0
	s_cbranch_execnz .LBB120_43
.LBB120_42:
	s_wait_loadcnt 0x1
	v_cmp_eq_f64_e32 vcc_lo, s[4:5], v[10:11]
	v_cmp_eq_f64_e64 s0, s[6:7], v[12:13]
	s_and_not1_b32 s26, s26, exec_lo
	s_and_b32 s0, vcc_lo, s0
	s_delay_alu instid0(SALU_CYCLE_1) | instskip(NEXT) | instid1(SALU_CYCLE_1)
	s_and_b32 s0, s0, exec_lo
	s_or_b32 s26, s26, s0
.LBB120_43:
	v_cmp_ne_u32_e32 vcc_lo, 1, v1
	s_cbranch_vccnz .LBB120_210
; %bb.44:
	s_wait_loadcnt 0x2
	v_cmp_neq_f64_e32 vcc_lo, s[4:5], v[6:7]
	v_cmp_neq_f64_e64 s0, s[6:7], v[8:9]
	s_or_b32 s27, vcc_lo, s0
	s_cbranch_execnz .LBB120_46
.LBB120_45:
	s_wait_loadcnt 0x2
	v_cmp_eq_f64_e32 vcc_lo, s[4:5], v[6:7]
	v_cmp_eq_f64_e64 s0, s[6:7], v[8:9]
	s_and_not1_b32 s27, s27, exec_lo
	s_and_b32 s0, vcc_lo, s0
	s_delay_alu instid0(SALU_CYCLE_1) | instskip(NEXT) | instid1(SALU_CYCLE_1)
	s_and_b32 s0, s0, exec_lo
	s_or_b32 s27, s27, s0
.LBB120_46:
	v_cmp_ne_u32_e32 vcc_lo, 1, v1
	s_cbranch_vccnz .LBB120_211
; %bb.47:
	s_wait_loadcnt 0x3
	v_cmp_neq_f64_e32 vcc_lo, s[4:5], v[2:3]
	v_cmp_neq_f64_e64 s0, s[6:7], v[4:5]
	s_or_b32 s28, vcc_lo, s0
	s_cbranch_execnz .LBB120_49
.LBB120_48:
	s_wait_loadcnt 0x3
	v_cmp_eq_f64_e32 vcc_lo, s[4:5], v[2:3]
	v_cmp_eq_f64_e64 s0, s[6:7], v[4:5]
	s_and_not1_b32 s28, s28, exec_lo
	s_and_b32 s0, vcc_lo, s0
	s_delay_alu instid0(SALU_CYCLE_1) | instskip(NEXT) | instid1(SALU_CYCLE_1)
	s_and_b32 s0, s0, exec_lo
	s_or_b32 s28, s28, s0
.LBB120_49:
	v_cndmask_b32_e64 v1, 0, 1, s18
	s_wait_loadcnt 0x3
	v_cndmask_b32_e64 v2, 0, 1, s21
	v_cndmask_b32_e64 v4, 0, 1, s14
	;; [unrolled: 1-line block ×4, first 2 shown]
	v_lshlrev_b16 v1, 8, v1
	v_lshlrev_b16 v2, 8, v2
	s_wait_loadcnt 0x2
	v_cndmask_b32_e64 v6, 0, 1, s1
	v_lshlrev_b16 v4, 8, v4
	v_cndmask_b32_e64 v7, 0, 1, s28
	v_cndmask_b32_e64 v8, 0, 1, s22
	v_or_b32_e32 v2, v5, v2
	v_or_b32_e32 v1, v3, v1
	;; [unrolled: 1-line block ×3, first 2 shown]
	v_cndmask_b32_e64 v4, 0, 1, s16
	v_cndmask_b32_e64 v5, 0, 1, s26
	s_wait_loadcnt 0x1
	v_cndmask_b32_e64 v10, 0, 1, s24
	v_cndmask_b32_e64 v9, 0, 1, s25
	v_and_b32_e32 v6, 0xffff, v3
	v_lshlrev_b16 v3, 8, v4
	v_cndmask_b32_e64 v4, 0, 1, s15
	v_lshlrev_b16 v5, 8, v5
	v_lshlrev_b16 v7, 8, v7
	v_cndmask_b32_e64 v11, 0, 1, s27
	v_lshlrev_b16 v8, 8, v8
	v_cndmask_b32_e64 v12, 0, 1, s20
	;; [unrolled: 2-line block ×3, first 2 shown]
	v_or_b32_e32 v3, v4, v3
	v_or_b32_e32 v4, v9, v5
	;; [unrolled: 1-line block ×5, first 2 shown]
	s_add_nc_u64 s[14:15], s[8:9], s[2:3]
	v_and_b32_e32 v4, 0xffff, v4
	v_lshlrev_b32_e32 v5, 16, v5
	v_and_b32_e32 v7, 0xffff, v7
	v_dual_lshlrev_b32 v8, 16, v8 :: v_dual_lshlrev_b32 v9, 16, v3
	v_lshlrev_b32_e32 v2, 16, v2
	v_and_b32_e32 v1, 0xffff, v1
	v_or_b32_e32 v5, v4, v5
	s_delay_alu instid0(VALU_DEP_4) | instskip(SKIP_1) | instid1(VALU_DEP_3)
	v_or_b32_e32 v4, v7, v8
	s_mov_b32 s0, 0
	v_or_b32_e32 v3, v1, v2
	v_or_b32_e32 v2, v6, v9
	global_store_b128 v0, v[2:5], s[14:15] scale_offset
.LBB120_50:
	s_and_b32 vcc_lo, exec_lo, s0
	s_cbranch_vccz .LBB120_195
; %bb.51:
	v_mov_b64_e32 v[54:55], 0
	v_mov_b64_e32 v[62:63], 0
	;; [unrolled: 1-line block ×3, first 2 shown]
	v_cmp_gt_i32_e64 s0, s12, v0
	v_dual_mov_b32 v67, v0 :: v_dual_bitop2_b32 v1, s2, v0 bitop3:0x54
	v_or_b32_e32 v66, 0x100, v0
	s_wait_xcnt 0x0
	s_and_saveexec_b32 s1, s0
	s_cbranch_execz .LBB120_53
; %bb.52:
	global_load_b128 v[62:65], v1, s[10:11] scale_offset
	v_or_b32_e32 v67, 0x100, v0
.LBB120_53:
	s_wait_xcnt 0x0
	s_or_b32 exec_lo, exec_lo, s1
	v_mov_b64_e32 v[56:57], 0
	s_mov_b32 s1, exec_lo
	v_cmpx_gt_i32_e64 s12, v67
	s_cbranch_execz .LBB120_55
; %bb.54:
	v_add_nc_u32_e32 v2, s2, v67
	v_add_nc_u32_e32 v67, 0x100, v67
	global_load_b128 v[54:57], v2, s[10:11] scale_offset
.LBB120_55:
	s_wait_xcnt 0x0
	s_or_b32 exec_lo, exec_lo, s1
	v_mov_b64_e32 v[46:47], 0
	v_mov_b64_e32 v[58:59], 0
	v_mov_b64_e32 v[60:61], 0
	s_mov_b32 s1, exec_lo
	v_cmpx_gt_i32_e64 s12, v67
	s_cbranch_execz .LBB120_57
; %bb.56:
	v_add_nc_u32_e32 v2, s2, v67
	v_add_nc_u32_e32 v67, 0x100, v67
	global_load_b128 v[58:61], v2, s[10:11] scale_offset
.LBB120_57:
	s_wait_xcnt 0x0
	s_or_b32 exec_lo, exec_lo, s1
	v_mov_b64_e32 v[48:49], 0
	s_mov_b32 s1, exec_lo
	v_cmpx_gt_i32_e64 s12, v67
	s_cbranch_execz .LBB120_59
; %bb.58:
	v_add_nc_u32_e32 v2, s2, v67
	v_add_nc_u32_e32 v67, 0x100, v67
	global_load_b128 v[46:49], v2, s[10:11] scale_offset
.LBB120_59:
	s_wait_xcnt 0x0
	s_or_b32 exec_lo, exec_lo, s1
	v_mov_b64_e32 v[38:39], 0
	v_mov_b64_e32 v[50:51], 0
	v_mov_b64_e32 v[52:53], 0
	s_mov_b32 s1, exec_lo
	v_cmpx_gt_i32_e64 s12, v67
	s_cbranch_execz .LBB120_61
; %bb.60:
	v_add_nc_u32_e32 v2, s2, v67
	v_add_nc_u32_e32 v67, 0x100, v67
	global_load_b128 v[50:53], v2, s[10:11] scale_offset
.LBB120_61:
	;; [unrolled: 24-line block ×4, first 2 shown]
	s_wait_xcnt 0x0
	s_or_b32 exec_lo, exec_lo, s1
	v_mov_b64_e32 v[24:25], 0
	s_mov_b32 s1, exec_lo
	v_cmpx_gt_i32_e64 s12, v67
	s_cbranch_execz .LBB120_71
; %bb.70:
	v_add_nc_u32_e32 v2, s2, v67
	v_add_nc_u32_e32 v67, 0x100, v67
	global_load_b128 v[22:25], v2, s[10:11] scale_offset
.LBB120_71:
	s_wait_xcnt 0x0
	s_or_b32 exec_lo, exec_lo, s1
	s_wait_loadcnt 0x0
	v_mov_b64_e32 v[14:15], 0
	v_mov_b64_e32 v[26:27], 0
	v_mov_b64_e32 v[28:29], 0
	s_mov_b32 s1, exec_lo
	v_cmpx_gt_i32_e64 s12, v67
	s_cbranch_execz .LBB120_73
; %bb.72:
	v_add_nc_u32_e32 v2, s2, v67
	v_add_nc_u32_e32 v67, 0x100, v67
	global_load_b128 v[26:29], v2, s[10:11] scale_offset
.LBB120_73:
	s_wait_xcnt 0x0
	s_or_b32 exec_lo, exec_lo, s1
	v_mov_b64_e32 v[16:17], 0
	s_mov_b32 s1, exec_lo
	v_cmpx_gt_i32_e64 s12, v67
	s_cbranch_execz .LBB120_75
; %bb.74:
	v_add_nc_u32_e32 v2, s2, v67
	v_add_nc_u32_e32 v67, 0x100, v67
	global_load_b128 v[14:17], v2, s[10:11] scale_offset
.LBB120_75:
	s_wait_xcnt 0x0
	s_or_b32 exec_lo, exec_lo, s1
	v_mov_b64_e32 v[6:7], 0
	v_mov_b64_e32 v[18:19], 0
	;; [unrolled: 1-line block ×3, first 2 shown]
	s_mov_b32 s1, exec_lo
	v_cmpx_gt_i32_e64 s12, v67
	s_cbranch_execz .LBB120_77
; %bb.76:
	v_add_nc_u32_e32 v2, s2, v67
	v_add_nc_u32_e32 v67, 0x100, v67
	global_load_b128 v[18:21], v2, s[10:11] scale_offset
.LBB120_77:
	s_wait_xcnt 0x0
	s_or_b32 exec_lo, exec_lo, s1
	v_mov_b64_e32 v[8:9], 0
	s_mov_b32 s1, exec_lo
	v_cmpx_gt_i32_e64 s12, v67
	s_cbranch_execz .LBB120_79
; %bb.78:
	v_add_nc_u32_e32 v2, s2, v67
	v_add_nc_u32_e32 v67, 0x100, v67
	global_load_b128 v[6:9], v2, s[10:11] scale_offset
.LBB120_79:
	s_wait_xcnt 0x0
	s_or_b32 exec_lo, exec_lo, s1
	v_mov_b64_e32 v[2:3], 0
	v_mov_b64_e32 v[10:11], 0
	;; [unrolled: 1-line block ×3, first 2 shown]
	s_mov_b32 s1, exec_lo
	v_cmpx_gt_i32_e64 s12, v67
	s_cbranch_execz .LBB120_81
; %bb.80:
	v_add_nc_u32_e32 v4, s2, v67
	v_add_nc_u32_e32 v67, 0x100, v67
	global_load_b128 v[10:13], v4, s[10:11] scale_offset
.LBB120_81:
	s_wait_xcnt 0x0
	s_or_b32 exec_lo, exec_lo, s1
	v_mov_b64_e32 v[4:5], 0
	s_mov_b32 s1, exec_lo
	v_cmpx_gt_i32_e64 s12, v67
	s_cbranch_execz .LBB120_83
; %bb.82:
	v_add_nc_u32_e32 v2, s2, v67
	global_load_b128 v[2:5], v2, s[10:11] scale_offset
.LBB120_83:
	s_wait_xcnt 0x0
	s_or_b32 exec_lo, exec_lo, s1
	s_cmp_lg_u32 s13, 0
                                        ; implicit-def: $vgpr67
	s_cselect_b32 s3, -1, 0
	s_and_saveexec_b32 s10, s0
	s_cbranch_execz .LBB120_88
; %bb.84:
	s_and_b32 vcc_lo, exec_lo, s3
	s_cbranch_vccz .LBB120_212
; %bb.85:
	v_cmp_neq_f64_e32 vcc_lo, s[4:5], v[62:63]
	v_cmp_neq_f64_e64 s1, s[6:7], v[64:65]
	s_or_b32 s11, vcc_lo, s1
	s_cbranch_execnz .LBB120_87
.LBB120_86:
	v_cmp_eq_f64_e32 vcc_lo, s[4:5], v[62:63]
	v_cmp_eq_f64_e64 s1, s[6:7], v[64:65]
	s_and_not1_b32 s11, s11, exec_lo
	s_and_b32 s1, vcc_lo, s1
	s_delay_alu instid0(SALU_CYCLE_1) | instskip(NEXT) | instid1(SALU_CYCLE_1)
	s_and_b32 s1, s1, exec_lo
	s_or_b32 s11, s11, s1
.LBB120_87:
	s_delay_alu instid0(SALU_CYCLE_1)
	v_cndmask_b32_e64 v67, 0, 1, s11
.LBB120_88:
	s_or_b32 exec_lo, exec_lo, s10
	v_cndmask_b32_e64 v63, 0, 1, s3
	s_mov_b32 s10, exec_lo
                                        ; implicit-def: $vgpr62
	v_cmpx_gt_i32_e64 s12, v66
	s_cbranch_execz .LBB120_93
; %bb.89:
	s_and_not1_b32 vcc_lo, exec_lo, s3
	s_cbranch_vccnz .LBB120_213
; %bb.90:
	v_cmp_neq_f64_e32 vcc_lo, s[4:5], v[54:55]
	v_cmp_neq_f64_e64 s1, s[6:7], v[56:57]
	s_or_b32 s3, vcc_lo, s1
	s_cbranch_execnz .LBB120_92
.LBB120_91:
	v_cmp_eq_f64_e32 vcc_lo, s[4:5], v[54:55]
	v_cmp_eq_f64_e64 s1, s[6:7], v[56:57]
	s_and_not1_b32 s3, s3, exec_lo
	s_and_b32 s1, vcc_lo, s1
	s_delay_alu instid0(SALU_CYCLE_1) | instskip(NEXT) | instid1(SALU_CYCLE_1)
	s_and_b32 s1, s1, exec_lo
	s_or_b32 s3, s3, s1
.LBB120_92:
	s_delay_alu instid0(SALU_CYCLE_1)
	v_cndmask_b32_e64 v62, 0, 1, s3
.LBB120_93:
	s_or_b32 exec_lo, exec_lo, s10
	v_or_b32_e32 v54, 0x200, v0
	s_delay_alu instid0(VALU_DEP_1)
	v_cmp_gt_i32_e32 vcc_lo, s12, v54
                                        ; implicit-def: $vgpr54
	s_and_saveexec_b32 s3, vcc_lo
	s_cbranch_execz .LBB120_98
; %bb.94:
	v_cmp_ne_u32_e32 vcc_lo, 1, v63
	s_cbranch_vccnz .LBB120_214
; %bb.95:
	v_cmp_neq_f64_e32 vcc_lo, s[4:5], v[58:59]
	v_cmp_neq_f64_e64 s1, s[6:7], v[60:61]
	s_or_b32 s10, vcc_lo, s1
	s_cbranch_execnz .LBB120_97
.LBB120_96:
	v_cmp_eq_f64_e32 vcc_lo, s[4:5], v[58:59]
	v_cmp_eq_f64_e64 s1, s[6:7], v[60:61]
	s_and_not1_b32 s10, s10, exec_lo
	s_and_b32 s1, vcc_lo, s1
	s_delay_alu instid0(SALU_CYCLE_1) | instskip(NEXT) | instid1(SALU_CYCLE_1)
	s_and_b32 s1, s1, exec_lo
	s_or_b32 s10, s10, s1
.LBB120_97:
	s_delay_alu instid0(SALU_CYCLE_1)
	v_cndmask_b32_e64 v54, 0, 1, s10
.LBB120_98:
	s_or_b32 exec_lo, exec_lo, s3
	v_or_b32_e32 v55, 0x300, v0
	s_delay_alu instid0(VALU_DEP_1)
	v_cmp_gt_i32_e32 vcc_lo, s12, v55
                                        ; implicit-def: $vgpr55
	s_and_saveexec_b32 s3, vcc_lo
	s_cbranch_execz .LBB120_103
; %bb.99:
	v_cmp_ne_u32_e32 vcc_lo, 1, v63
	s_cbranch_vccnz .LBB120_215
; %bb.100:
	v_cmp_neq_f64_e32 vcc_lo, s[4:5], v[46:47]
	v_cmp_neq_f64_e64 s1, s[6:7], v[48:49]
	s_or_b32 s10, vcc_lo, s1
	s_cbranch_execnz .LBB120_102
.LBB120_101:
	v_cmp_eq_f64_e32 vcc_lo, s[4:5], v[46:47]
	v_cmp_eq_f64_e64 s1, s[6:7], v[48:49]
	s_and_not1_b32 s10, s10, exec_lo
	s_and_b32 s1, vcc_lo, s1
	s_delay_alu instid0(SALU_CYCLE_1) | instskip(NEXT) | instid1(SALU_CYCLE_1)
	s_and_b32 s1, s1, exec_lo
	s_or_b32 s10, s10, s1
.LBB120_102:
	s_delay_alu instid0(SALU_CYCLE_1)
	v_cndmask_b32_e64 v55, 0, 1, s10
.LBB120_103:
	s_or_b32 exec_lo, exec_lo, s3
	v_or_b32_e32 v46, 0x400, v0
	s_delay_alu instid0(VALU_DEP_1)
	v_cmp_gt_i32_e32 vcc_lo, s12, v46
                                        ; implicit-def: $vgpr46
	s_and_saveexec_b32 s3, vcc_lo
	s_cbranch_execz .LBB120_108
; %bb.104:
	v_cmp_ne_u32_e32 vcc_lo, 1, v63
	s_cbranch_vccnz .LBB120_216
; %bb.105:
	v_cmp_neq_f64_e32 vcc_lo, s[4:5], v[50:51]
	v_cmp_neq_f64_e64 s1, s[6:7], v[52:53]
	s_or_b32 s10, vcc_lo, s1
	s_cbranch_execnz .LBB120_107
.LBB120_106:
	v_cmp_eq_f64_e32 vcc_lo, s[4:5], v[50:51]
	v_cmp_eq_f64_e64 s1, s[6:7], v[52:53]
	s_and_not1_b32 s10, s10, exec_lo
	s_and_b32 s1, vcc_lo, s1
	s_delay_alu instid0(SALU_CYCLE_1) | instskip(NEXT) | instid1(SALU_CYCLE_1)
	s_and_b32 s1, s1, exec_lo
	s_or_b32 s10, s10, s1
.LBB120_107:
	s_delay_alu instid0(SALU_CYCLE_1)
	v_cndmask_b32_e64 v46, 0, 1, s10
.LBB120_108:
	s_or_b32 exec_lo, exec_lo, s3
	v_or_b32_e32 v47, 0x500, v0
	s_delay_alu instid0(VALU_DEP_1)
	v_cmp_gt_i32_e32 vcc_lo, s12, v47
                                        ; implicit-def: $vgpr47
	s_and_saveexec_b32 s3, vcc_lo
	s_cbranch_execz .LBB120_113
; %bb.109:
	v_cmp_ne_u32_e32 vcc_lo, 1, v63
	s_cbranch_vccnz .LBB120_217
; %bb.110:
	v_cmp_neq_f64_e32 vcc_lo, s[4:5], v[38:39]
	v_cmp_neq_f64_e64 s1, s[6:7], v[40:41]
	s_or_b32 s10, vcc_lo, s1
	s_cbranch_execnz .LBB120_112
.LBB120_111:
	v_cmp_eq_f64_e32 vcc_lo, s[4:5], v[38:39]
	v_cmp_eq_f64_e64 s1, s[6:7], v[40:41]
	s_and_not1_b32 s10, s10, exec_lo
	s_and_b32 s1, vcc_lo, s1
	s_delay_alu instid0(SALU_CYCLE_1) | instskip(NEXT) | instid1(SALU_CYCLE_1)
	s_and_b32 s1, s1, exec_lo
	s_or_b32 s10, s10, s1
.LBB120_112:
	s_delay_alu instid0(SALU_CYCLE_1)
	v_cndmask_b32_e64 v47, 0, 1, s10
.LBB120_113:
	s_or_b32 exec_lo, exec_lo, s3
	v_or_b32_e32 v38, 0x600, v0
	s_delay_alu instid0(VALU_DEP_1)
	v_cmp_gt_i32_e32 vcc_lo, s12, v38
                                        ; implicit-def: $vgpr38
	s_and_saveexec_b32 s3, vcc_lo
	s_cbranch_execz .LBB120_118
; %bb.114:
	v_cmp_ne_u32_e32 vcc_lo, 1, v63
	s_cbranch_vccnz .LBB120_218
; %bb.115:
	v_cmp_neq_f64_e32 vcc_lo, s[4:5], v[42:43]
	v_cmp_neq_f64_e64 s1, s[6:7], v[44:45]
	s_or_b32 s10, vcc_lo, s1
	s_cbranch_execnz .LBB120_117
.LBB120_116:
	v_cmp_eq_f64_e32 vcc_lo, s[4:5], v[42:43]
	v_cmp_eq_f64_e64 s1, s[6:7], v[44:45]
	s_and_not1_b32 s10, s10, exec_lo
	s_and_b32 s1, vcc_lo, s1
	s_delay_alu instid0(SALU_CYCLE_1) | instskip(NEXT) | instid1(SALU_CYCLE_1)
	s_and_b32 s1, s1, exec_lo
	s_or_b32 s10, s10, s1
.LBB120_117:
	s_delay_alu instid0(SALU_CYCLE_1)
	v_cndmask_b32_e64 v38, 0, 1, s10
.LBB120_118:
	s_or_b32 exec_lo, exec_lo, s3
	v_or_b32_e32 v39, 0x700, v0
	s_delay_alu instid0(VALU_DEP_1)
	v_cmp_gt_i32_e32 vcc_lo, s12, v39
                                        ; implicit-def: $vgpr39
	s_and_saveexec_b32 s3, vcc_lo
	s_cbranch_execz .LBB120_123
; %bb.119:
	v_cmp_ne_u32_e32 vcc_lo, 1, v63
	s_cbranch_vccnz .LBB120_219
; %bb.120:
	v_cmp_neq_f64_e32 vcc_lo, s[4:5], v[30:31]
	v_cmp_neq_f64_e64 s1, s[6:7], v[32:33]
	s_or_b32 s10, vcc_lo, s1
	s_cbranch_execnz .LBB120_122
.LBB120_121:
	v_cmp_eq_f64_e32 vcc_lo, s[4:5], v[30:31]
	v_cmp_eq_f64_e64 s1, s[6:7], v[32:33]
	s_and_not1_b32 s10, s10, exec_lo
	s_and_b32 s1, vcc_lo, s1
	s_delay_alu instid0(SALU_CYCLE_1) | instskip(NEXT) | instid1(SALU_CYCLE_1)
	s_and_b32 s1, s1, exec_lo
	s_or_b32 s10, s10, s1
.LBB120_122:
	s_delay_alu instid0(SALU_CYCLE_1)
	v_cndmask_b32_e64 v39, 0, 1, s10
.LBB120_123:
	s_or_b32 exec_lo, exec_lo, s3
	v_or_b32_e32 v30, 0x800, v0
	s_delay_alu instid0(VALU_DEP_1)
	v_cmp_gt_i32_e32 vcc_lo, s12, v30
                                        ; implicit-def: $vgpr30
	s_and_saveexec_b32 s3, vcc_lo
	s_cbranch_execz .LBB120_128
; %bb.124:
	v_cmp_ne_u32_e32 vcc_lo, 1, v63
	s_cbranch_vccnz .LBB120_220
; %bb.125:
	v_cmp_neq_f64_e32 vcc_lo, s[4:5], v[34:35]
	v_cmp_neq_f64_e64 s1, s[6:7], v[36:37]
	s_or_b32 s10, vcc_lo, s1
	s_cbranch_execnz .LBB120_127
.LBB120_126:
	v_cmp_eq_f64_e32 vcc_lo, s[4:5], v[34:35]
	v_cmp_eq_f64_e64 s1, s[6:7], v[36:37]
	s_and_not1_b32 s10, s10, exec_lo
	s_and_b32 s1, vcc_lo, s1
	s_delay_alu instid0(SALU_CYCLE_1) | instskip(NEXT) | instid1(SALU_CYCLE_1)
	s_and_b32 s1, s1, exec_lo
	s_or_b32 s10, s10, s1
.LBB120_127:
	s_delay_alu instid0(SALU_CYCLE_1)
	v_cndmask_b32_e64 v30, 0, 1, s10
.LBB120_128:
	s_or_b32 exec_lo, exec_lo, s3
	v_or_b32_e32 v31, 0x900, v0
	s_delay_alu instid0(VALU_DEP_1)
	v_cmp_gt_i32_e32 vcc_lo, s12, v31
                                        ; implicit-def: $vgpr31
	s_and_saveexec_b32 s3, vcc_lo
	s_cbranch_execz .LBB120_133
; %bb.129:
	v_cmp_ne_u32_e32 vcc_lo, 1, v63
	s_cbranch_vccnz .LBB120_221
; %bb.130:
	v_cmp_neq_f64_e32 vcc_lo, s[4:5], v[22:23]
	v_cmp_neq_f64_e64 s1, s[6:7], v[24:25]
	s_or_b32 s10, vcc_lo, s1
	s_cbranch_execnz .LBB120_132
.LBB120_131:
	v_cmp_eq_f64_e32 vcc_lo, s[4:5], v[22:23]
	v_cmp_eq_f64_e64 s1, s[6:7], v[24:25]
	s_and_not1_b32 s10, s10, exec_lo
	s_and_b32 s1, vcc_lo, s1
	s_delay_alu instid0(SALU_CYCLE_1) | instskip(NEXT) | instid1(SALU_CYCLE_1)
	s_and_b32 s1, s1, exec_lo
	s_or_b32 s10, s10, s1
.LBB120_132:
	s_delay_alu instid0(SALU_CYCLE_1)
	v_cndmask_b32_e64 v31, 0, 1, s10
.LBB120_133:
	s_or_b32 exec_lo, exec_lo, s3
	v_or_b32_e32 v22, 0xa00, v0
	s_delay_alu instid0(VALU_DEP_1)
	v_cmp_gt_i32_e32 vcc_lo, s12, v22
                                        ; implicit-def: $vgpr22
	s_and_saveexec_b32 s3, vcc_lo
	s_cbranch_execz .LBB120_138
; %bb.134:
	v_cmp_ne_u32_e32 vcc_lo, 1, v63
	s_cbranch_vccnz .LBB120_222
; %bb.135:
	s_wait_loadcnt 0x0
	v_cmp_neq_f64_e32 vcc_lo, s[4:5], v[26:27]
	v_cmp_neq_f64_e64 s1, s[6:7], v[28:29]
	s_or_b32 s10, vcc_lo, s1
	s_cbranch_execnz .LBB120_137
.LBB120_136:
	s_wait_loadcnt 0x0
	v_cmp_eq_f64_e32 vcc_lo, s[4:5], v[26:27]
	v_cmp_eq_f64_e64 s1, s[6:7], v[28:29]
	s_and_not1_b32 s10, s10, exec_lo
	s_and_b32 s1, vcc_lo, s1
	s_delay_alu instid0(SALU_CYCLE_1) | instskip(NEXT) | instid1(SALU_CYCLE_1)
	s_and_b32 s1, s1, exec_lo
	s_or_b32 s10, s10, s1
.LBB120_137:
	s_delay_alu instid0(SALU_CYCLE_1)
	v_cndmask_b32_e64 v22, 0, 1, s10
.LBB120_138:
	s_or_b32 exec_lo, exec_lo, s3
	v_or_b32_e32 v23, 0xb00, v0
	s_delay_alu instid0(VALU_DEP_1)
	v_cmp_gt_i32_e32 vcc_lo, s12, v23
                                        ; implicit-def: $vgpr23
	s_and_saveexec_b32 s3, vcc_lo
	s_cbranch_execz .LBB120_143
; %bb.139:
	v_cmp_ne_u32_e32 vcc_lo, 1, v63
	s_cbranch_vccnz .LBB120_223
; %bb.140:
	s_wait_loadcnt 0x0
	v_cmp_neq_f64_e32 vcc_lo, s[4:5], v[14:15]
	v_cmp_neq_f64_e64 s1, s[6:7], v[16:17]
	s_or_b32 s10, vcc_lo, s1
	s_cbranch_execnz .LBB120_142
.LBB120_141:
	s_wait_loadcnt 0x0
	v_cmp_eq_f64_e32 vcc_lo, s[4:5], v[14:15]
	v_cmp_eq_f64_e64 s1, s[6:7], v[16:17]
	s_and_not1_b32 s10, s10, exec_lo
	s_and_b32 s1, vcc_lo, s1
	s_delay_alu instid0(SALU_CYCLE_1) | instskip(NEXT) | instid1(SALU_CYCLE_1)
	s_and_b32 s1, s1, exec_lo
	s_or_b32 s10, s10, s1
.LBB120_142:
	s_delay_alu instid0(SALU_CYCLE_1)
	v_cndmask_b32_e64 v23, 0, 1, s10
.LBB120_143:
	s_or_b32 exec_lo, exec_lo, s3
	s_wait_loadcnt 0x0
	v_or_b32_e32 v14, 0xc00, v0
	s_delay_alu instid0(VALU_DEP_1)
	v_cmp_gt_i32_e32 vcc_lo, s12, v14
                                        ; implicit-def: $vgpr14
	s_and_saveexec_b32 s3, vcc_lo
	s_cbranch_execz .LBB120_148
; %bb.144:
	v_cmp_ne_u32_e32 vcc_lo, 1, v63
	s_cbranch_vccnz .LBB120_224
; %bb.145:
	v_cmp_neq_f64_e32 vcc_lo, s[4:5], v[18:19]
	v_cmp_neq_f64_e64 s1, s[6:7], v[20:21]
	s_or_b32 s10, vcc_lo, s1
	s_cbranch_execnz .LBB120_147
.LBB120_146:
	v_cmp_eq_f64_e32 vcc_lo, s[4:5], v[18:19]
	v_cmp_eq_f64_e64 s1, s[6:7], v[20:21]
	s_and_not1_b32 s10, s10, exec_lo
	s_and_b32 s1, vcc_lo, s1
	s_delay_alu instid0(SALU_CYCLE_1) | instskip(NEXT) | instid1(SALU_CYCLE_1)
	s_and_b32 s1, s1, exec_lo
	s_or_b32 s10, s10, s1
.LBB120_147:
	s_delay_alu instid0(SALU_CYCLE_1)
	v_cndmask_b32_e64 v14, 0, 1, s10
.LBB120_148:
	s_or_b32 exec_lo, exec_lo, s3
	v_or_b32_e32 v15, 0xd00, v0
	s_delay_alu instid0(VALU_DEP_1)
	v_cmp_gt_i32_e32 vcc_lo, s12, v15
                                        ; implicit-def: $vgpr15
	s_and_saveexec_b32 s3, vcc_lo
	s_cbranch_execz .LBB120_153
; %bb.149:
	v_cmp_ne_u32_e32 vcc_lo, 1, v63
	s_cbranch_vccnz .LBB120_225
; %bb.150:
	v_cmp_neq_f64_e32 vcc_lo, s[4:5], v[6:7]
	v_cmp_neq_f64_e64 s1, s[6:7], v[8:9]
	s_or_b32 s10, vcc_lo, s1
	s_cbranch_execnz .LBB120_152
.LBB120_151:
	v_cmp_eq_f64_e32 vcc_lo, s[4:5], v[6:7]
	v_cmp_eq_f64_e64 s1, s[6:7], v[8:9]
	s_and_not1_b32 s10, s10, exec_lo
	s_and_b32 s1, vcc_lo, s1
	s_delay_alu instid0(SALU_CYCLE_1) | instskip(NEXT) | instid1(SALU_CYCLE_1)
	s_and_b32 s1, s1, exec_lo
	s_or_b32 s10, s10, s1
.LBB120_152:
	s_delay_alu instid0(SALU_CYCLE_1)
	v_cndmask_b32_e64 v15, 0, 1, s10
.LBB120_153:
	s_or_b32 exec_lo, exec_lo, s3
	v_or_b32_e32 v6, 0xe00, v0
	s_delay_alu instid0(VALU_DEP_1)
	v_cmp_gt_i32_e32 vcc_lo, s12, v6
                                        ; implicit-def: $vgpr6
	s_and_saveexec_b32 s3, vcc_lo
	s_cbranch_execz .LBB120_158
; %bb.154:
	v_cmp_ne_u32_e32 vcc_lo, 1, v63
	s_cbranch_vccnz .LBB120_226
; %bb.155:
	v_cmp_neq_f64_e32 vcc_lo, s[4:5], v[10:11]
	v_cmp_neq_f64_e64 s1, s[6:7], v[12:13]
	s_or_b32 s10, vcc_lo, s1
	s_cbranch_execnz .LBB120_157
.LBB120_156:
	v_cmp_eq_f64_e32 vcc_lo, s[4:5], v[10:11]
	v_cmp_eq_f64_e64 s1, s[6:7], v[12:13]
	s_and_not1_b32 s10, s10, exec_lo
	s_and_b32 s1, vcc_lo, s1
	s_delay_alu instid0(SALU_CYCLE_1) | instskip(NEXT) | instid1(SALU_CYCLE_1)
	s_and_b32 s1, s1, exec_lo
	s_or_b32 s10, s10, s1
.LBB120_157:
	s_delay_alu instid0(SALU_CYCLE_1)
	v_cndmask_b32_e64 v6, 0, 1, s10
.LBB120_158:
	s_or_b32 exec_lo, exec_lo, s3
	v_or_b32_e32 v7, 0xf00, v0
	s_delay_alu instid0(VALU_DEP_1)
	v_cmp_gt_i32_e32 vcc_lo, s12, v7
                                        ; implicit-def: $vgpr7
	s_and_saveexec_b32 s3, vcc_lo
	s_cbranch_execz .LBB120_163
; %bb.159:
	v_cmp_ne_u32_e32 vcc_lo, 1, v63
	s_cbranch_vccnz .LBB120_227
; %bb.160:
	v_cmp_neq_f64_e32 vcc_lo, s[4:5], v[2:3]
	v_cmp_neq_f64_e64 s1, s[6:7], v[4:5]
	s_or_b32 s10, vcc_lo, s1
	s_cbranch_execnz .LBB120_162
.LBB120_161:
	v_cmp_eq_f64_e32 vcc_lo, s[4:5], v[2:3]
	v_cmp_eq_f64_e64 s1, s[6:7], v[4:5]
	s_and_not1_b32 s4, s10, exec_lo
	s_and_b32 s1, vcc_lo, s1
	s_delay_alu instid0(SALU_CYCLE_1) | instskip(NEXT) | instid1(SALU_CYCLE_1)
	s_and_b32 s1, s1, exec_lo
	s_or_b32 s10, s4, s1
.LBB120_162:
	s_delay_alu instid0(SALU_CYCLE_1)
	v_cndmask_b32_e64 v7, 0, 1, s10
.LBB120_163:
	s_or_b32 exec_lo, exec_lo, s3
	s_and_saveexec_b32 s1, s0
	s_delay_alu instid0(SALU_CYCLE_1)
	s_xor_b32 s0, exec_lo, s1
	s_cbranch_execz .LBB120_165
; %bb.164:
	v_mov_b32_e32 v0, v66
	global_store_b8 v1, v67, s[8:9]
.LBB120_165:
	s_wait_xcnt 0x0
	s_or_b32 exec_lo, exec_lo, s0
	s_delay_alu instid0(SALU_CYCLE_1)
	s_mov_b32 s0, exec_lo
	v_cmpx_gt_i32_e64 s12, v0
	s_cbranch_execnz .LBB120_181
; %bb.166:
	s_or_b32 exec_lo, exec_lo, s0
	s_delay_alu instid0(SALU_CYCLE_1)
	s_mov_b32 s0, exec_lo
	v_cmpx_gt_i32_e64 s12, v0
	s_cbranch_execnz .LBB120_182
.LBB120_167:
	s_or_b32 exec_lo, exec_lo, s0
	s_delay_alu instid0(SALU_CYCLE_1)
	s_mov_b32 s0, exec_lo
	v_cmpx_gt_i32_e64 s12, v0
	s_cbranch_execnz .LBB120_183
.LBB120_168:
	s_or_b32 exec_lo, exec_lo, s0
	s_delay_alu instid0(SALU_CYCLE_1)
	s_mov_b32 s0, exec_lo
	v_cmpx_gt_i32_e64 s12, v0
	s_cbranch_execnz .LBB120_184
.LBB120_169:
	s_or_b32 exec_lo, exec_lo, s0
	s_delay_alu instid0(SALU_CYCLE_1)
	s_mov_b32 s0, exec_lo
	v_cmpx_gt_i32_e64 s12, v0
	s_cbranch_execnz .LBB120_185
.LBB120_170:
	s_or_b32 exec_lo, exec_lo, s0
	s_delay_alu instid0(SALU_CYCLE_1)
	s_mov_b32 s0, exec_lo
	v_cmpx_gt_i32_e64 s12, v0
	s_cbranch_execnz .LBB120_186
.LBB120_171:
	s_or_b32 exec_lo, exec_lo, s0
	s_delay_alu instid0(SALU_CYCLE_1)
	s_mov_b32 s0, exec_lo
	v_cmpx_gt_i32_e64 s12, v0
	s_cbranch_execnz .LBB120_187
.LBB120_172:
	s_or_b32 exec_lo, exec_lo, s0
	s_delay_alu instid0(SALU_CYCLE_1)
	s_mov_b32 s0, exec_lo
	v_cmpx_gt_i32_e64 s12, v0
	s_cbranch_execnz .LBB120_188
.LBB120_173:
	s_or_b32 exec_lo, exec_lo, s0
	s_delay_alu instid0(SALU_CYCLE_1)
	s_mov_b32 s0, exec_lo
	v_cmpx_gt_i32_e64 s12, v0
	s_cbranch_execnz .LBB120_189
.LBB120_174:
	s_or_b32 exec_lo, exec_lo, s0
	s_delay_alu instid0(SALU_CYCLE_1)
	s_mov_b32 s0, exec_lo
	v_cmpx_gt_i32_e64 s12, v0
	s_cbranch_execnz .LBB120_190
.LBB120_175:
	s_or_b32 exec_lo, exec_lo, s0
	s_delay_alu instid0(SALU_CYCLE_1)
	s_mov_b32 s0, exec_lo
	v_cmpx_gt_i32_e64 s12, v0
	s_cbranch_execnz .LBB120_191
.LBB120_176:
	s_or_b32 exec_lo, exec_lo, s0
	s_delay_alu instid0(SALU_CYCLE_1)
	s_mov_b32 s0, exec_lo
	v_cmpx_gt_i32_e64 s12, v0
	s_cbranch_execnz .LBB120_192
.LBB120_177:
	s_or_b32 exec_lo, exec_lo, s0
	s_delay_alu instid0(SALU_CYCLE_1)
	s_mov_b32 s0, exec_lo
	v_cmpx_gt_i32_e64 s12, v0
	s_cbranch_execnz .LBB120_193
.LBB120_178:
	s_or_b32 exec_lo, exec_lo, s0
	s_delay_alu instid0(SALU_CYCLE_1)
	s_mov_b32 s0, exec_lo
	v_cmpx_gt_i32_e64 s12, v0
	s_cbranch_execnz .LBB120_194
.LBB120_179:
	s_or_b32 exec_lo, exec_lo, s0
	s_delay_alu instid0(SALU_CYCLE_1)
	s_mov_b32 s0, exec_lo
	v_cmpx_gt_i32_e64 s12, v0
	s_cbranch_execz .LBB120_195
.LBB120_180:
	v_add_nc_u32_e32 v0, s2, v0
	global_store_b8 v0, v7, s[8:9]
	s_sendmsg sendmsg(MSG_DEALLOC_VGPRS)
	s_endpgm
.LBB120_181:
	v_add_nc_u32_e32 v1, s2, v0
	v_add_nc_u32_e32 v0, 0x100, v0
	global_store_b8 v1, v62, s[8:9]
	s_wait_xcnt 0x0
	s_or_b32 exec_lo, exec_lo, s0
	s_delay_alu instid0(SALU_CYCLE_1)
	s_mov_b32 s0, exec_lo
	v_cmpx_gt_i32_e64 s12, v0
	s_cbranch_execz .LBB120_167
.LBB120_182:
	v_add_nc_u32_e32 v1, s2, v0
	v_add_nc_u32_e32 v0, 0x100, v0
	global_store_b8 v1, v54, s[8:9]
	s_wait_xcnt 0x0
	s_or_b32 exec_lo, exec_lo, s0
	s_delay_alu instid0(SALU_CYCLE_1)
	s_mov_b32 s0, exec_lo
	v_cmpx_gt_i32_e64 s12, v0
	s_cbranch_execz .LBB120_168
.LBB120_183:
	v_add_nc_u32_e32 v1, s2, v0
	v_add_nc_u32_e32 v0, 0x100, v0
	global_store_b8 v1, v55, s[8:9]
	s_wait_xcnt 0x0
	s_or_b32 exec_lo, exec_lo, s0
	s_delay_alu instid0(SALU_CYCLE_1)
	s_mov_b32 s0, exec_lo
	v_cmpx_gt_i32_e64 s12, v0
	s_cbranch_execz .LBB120_169
.LBB120_184:
	v_add_nc_u32_e32 v1, s2, v0
	v_add_nc_u32_e32 v0, 0x100, v0
	global_store_b8 v1, v46, s[8:9]
	s_wait_xcnt 0x0
	s_or_b32 exec_lo, exec_lo, s0
	s_delay_alu instid0(SALU_CYCLE_1)
	s_mov_b32 s0, exec_lo
	v_cmpx_gt_i32_e64 s12, v0
	s_cbranch_execz .LBB120_170
.LBB120_185:
	v_add_nc_u32_e32 v1, s2, v0
	v_add_nc_u32_e32 v0, 0x100, v0
	global_store_b8 v1, v47, s[8:9]
	s_wait_xcnt 0x0
	s_or_b32 exec_lo, exec_lo, s0
	s_delay_alu instid0(SALU_CYCLE_1)
	s_mov_b32 s0, exec_lo
	v_cmpx_gt_i32_e64 s12, v0
	s_cbranch_execz .LBB120_171
.LBB120_186:
	v_add_nc_u32_e32 v1, s2, v0
	v_add_nc_u32_e32 v0, 0x100, v0
	global_store_b8 v1, v38, s[8:9]
	s_wait_xcnt 0x0
	s_or_b32 exec_lo, exec_lo, s0
	s_delay_alu instid0(SALU_CYCLE_1)
	s_mov_b32 s0, exec_lo
	v_cmpx_gt_i32_e64 s12, v0
	s_cbranch_execz .LBB120_172
.LBB120_187:
	v_add_nc_u32_e32 v1, s2, v0
	v_add_nc_u32_e32 v0, 0x100, v0
	global_store_b8 v1, v39, s[8:9]
	s_wait_xcnt 0x0
	s_or_b32 exec_lo, exec_lo, s0
	s_delay_alu instid0(SALU_CYCLE_1)
	s_mov_b32 s0, exec_lo
	v_cmpx_gt_i32_e64 s12, v0
	s_cbranch_execz .LBB120_173
.LBB120_188:
	v_add_nc_u32_e32 v1, s2, v0
	v_add_nc_u32_e32 v0, 0x100, v0
	global_store_b8 v1, v30, s[8:9]
	s_wait_xcnt 0x0
	s_or_b32 exec_lo, exec_lo, s0
	s_delay_alu instid0(SALU_CYCLE_1)
	s_mov_b32 s0, exec_lo
	v_cmpx_gt_i32_e64 s12, v0
	s_cbranch_execz .LBB120_174
.LBB120_189:
	v_add_nc_u32_e32 v1, s2, v0
	v_add_nc_u32_e32 v0, 0x100, v0
	global_store_b8 v1, v31, s[8:9]
	s_wait_xcnt 0x0
	s_or_b32 exec_lo, exec_lo, s0
	s_delay_alu instid0(SALU_CYCLE_1)
	s_mov_b32 s0, exec_lo
	v_cmpx_gt_i32_e64 s12, v0
	s_cbranch_execz .LBB120_175
.LBB120_190:
	v_add_nc_u32_e32 v1, s2, v0
	v_add_nc_u32_e32 v0, 0x100, v0
	global_store_b8 v1, v22, s[8:9]
	s_wait_xcnt 0x0
	s_or_b32 exec_lo, exec_lo, s0
	s_delay_alu instid0(SALU_CYCLE_1)
	s_mov_b32 s0, exec_lo
	v_cmpx_gt_i32_e64 s12, v0
	s_cbranch_execz .LBB120_176
.LBB120_191:
	v_add_nc_u32_e32 v1, s2, v0
	v_add_nc_u32_e32 v0, 0x100, v0
	global_store_b8 v1, v23, s[8:9]
	s_wait_xcnt 0x0
	s_or_b32 exec_lo, exec_lo, s0
	s_delay_alu instid0(SALU_CYCLE_1)
	s_mov_b32 s0, exec_lo
	v_cmpx_gt_i32_e64 s12, v0
	s_cbranch_execz .LBB120_177
.LBB120_192:
	v_add_nc_u32_e32 v1, s2, v0
	v_add_nc_u32_e32 v0, 0x100, v0
	global_store_b8 v1, v14, s[8:9]
	s_wait_xcnt 0x0
	s_or_b32 exec_lo, exec_lo, s0
	s_delay_alu instid0(SALU_CYCLE_1)
	s_mov_b32 s0, exec_lo
	v_cmpx_gt_i32_e64 s12, v0
	s_cbranch_execz .LBB120_178
.LBB120_193:
	v_add_nc_u32_e32 v1, s2, v0
	v_add_nc_u32_e32 v0, 0x100, v0
	global_store_b8 v1, v15, s[8:9]
	s_wait_xcnt 0x0
	s_or_b32 exec_lo, exec_lo, s0
	s_delay_alu instid0(SALU_CYCLE_1)
	s_mov_b32 s0, exec_lo
	v_cmpx_gt_i32_e64 s12, v0
	s_cbranch_execz .LBB120_179
.LBB120_194:
	v_add_nc_u32_e32 v1, s2, v0
	v_add_nc_u32_e32 v0, 0x100, v0
	global_store_b8 v1, v6, s[8:9]
	s_wait_xcnt 0x0
	s_or_b32 exec_lo, exec_lo, s0
	s_delay_alu instid0(SALU_CYCLE_1)
	s_mov_b32 s0, exec_lo
	v_cmpx_gt_i32_e64 s12, v0
	s_cbranch_execnz .LBB120_180
.LBB120_195:
	s_sendmsg sendmsg(MSG_DEALLOC_VGPRS)
	s_endpgm
.LBB120_196:
	s_wait_xcnt 0x0
                                        ; implicit-def: $sgpr1
	s_branch .LBB120_3
.LBB120_197:
                                        ; implicit-def: $sgpr14
	s_branch .LBB120_6
.LBB120_198:
                                        ; implicit-def: $sgpr15
	s_branch .LBB120_9
.LBB120_199:
                                        ; implicit-def: $sgpr16
	s_branch .LBB120_12
.LBB120_200:
                                        ; implicit-def: $sgpr17
	s_branch .LBB120_15
.LBB120_201:
                                        ; implicit-def: $sgpr18
	s_branch .LBB120_18
.LBB120_202:
                                        ; implicit-def: $sgpr19
	s_branch .LBB120_21
.LBB120_203:
                                        ; implicit-def: $sgpr21
	s_branch .LBB120_24
.LBB120_204:
                                        ; implicit-def: $sgpr20
	s_branch .LBB120_27
.LBB120_205:
                                        ; implicit-def: $sgpr22
	s_branch .LBB120_30
.LBB120_206:
                                        ; implicit-def: $sgpr23
	s_branch .LBB120_33
.LBB120_207:
                                        ; implicit-def: $sgpr24
	s_branch .LBB120_36
.LBB120_208:
                                        ; implicit-def: $sgpr25
	s_branch .LBB120_39
.LBB120_209:
                                        ; implicit-def: $sgpr26
	s_branch .LBB120_42
.LBB120_210:
                                        ; implicit-def: $sgpr27
	s_branch .LBB120_45
.LBB120_211:
                                        ; implicit-def: $sgpr28
	s_branch .LBB120_48
.LBB120_212:
                                        ; implicit-def: $sgpr11
	s_branch .LBB120_86
.LBB120_213:
                                        ; implicit-def: $sgpr3
	s_branch .LBB120_91
.LBB120_214:
                                        ; implicit-def: $sgpr10
	s_branch .LBB120_96
.LBB120_215:
                                        ; implicit-def: $sgpr10
	s_branch .LBB120_101
.LBB120_216:
                                        ; implicit-def: $sgpr10
	s_branch .LBB120_106
.LBB120_217:
                                        ; implicit-def: $sgpr10
	s_branch .LBB120_111
.LBB120_218:
                                        ; implicit-def: $sgpr10
	s_branch .LBB120_116
.LBB120_219:
                                        ; implicit-def: $sgpr10
	s_branch .LBB120_121
.LBB120_220:
                                        ; implicit-def: $sgpr10
	s_branch .LBB120_126
.LBB120_221:
                                        ; implicit-def: $sgpr10
	s_branch .LBB120_131
.LBB120_222:
                                        ; implicit-def: $sgpr10
	s_branch .LBB120_136
.LBB120_223:
                                        ; implicit-def: $sgpr10
	s_branch .LBB120_141
.LBB120_224:
                                        ; implicit-def: $sgpr10
	s_branch .LBB120_146
.LBB120_225:
                                        ; implicit-def: $sgpr10
	s_branch .LBB120_151
.LBB120_226:
                                        ; implicit-def: $sgpr10
	s_branch .LBB120_156
.LBB120_227:
                                        ; implicit-def: $sgpr10
	s_branch .LBB120_161
	.section	.rodata,"a",@progbits
	.p2align	6, 0x0
	.amdhsa_kernel _ZN2at6native29vectorized_elementwise_kernelILi16ENS0_13AUnaryFunctorIN3c107complexIdEES5_bNS0_12_GLOBAL__N_116CompareEqFunctorIS5_EEEESt5arrayIPcLm2EEEEviT0_T1_
		.amdhsa_group_segment_fixed_size 0
		.amdhsa_private_segment_fixed_size 0
		.amdhsa_kernarg_size 64
		.amdhsa_user_sgpr_count 2
		.amdhsa_user_sgpr_dispatch_ptr 0
		.amdhsa_user_sgpr_queue_ptr 0
		.amdhsa_user_sgpr_kernarg_segment_ptr 1
		.amdhsa_user_sgpr_dispatch_id 0
		.amdhsa_user_sgpr_kernarg_preload_length 0
		.amdhsa_user_sgpr_kernarg_preload_offset 0
		.amdhsa_user_sgpr_private_segment_size 0
		.amdhsa_wavefront_size32 1
		.amdhsa_uses_dynamic_stack 0
		.amdhsa_enable_private_segment 0
		.amdhsa_system_sgpr_workgroup_id_x 1
		.amdhsa_system_sgpr_workgroup_id_y 0
		.amdhsa_system_sgpr_workgroup_id_z 0
		.amdhsa_system_sgpr_workgroup_info 0
		.amdhsa_system_vgpr_workitem_id 0
		.amdhsa_next_free_vgpr 68
		.amdhsa_next_free_sgpr 29
		.amdhsa_named_barrier_count 0
		.amdhsa_reserve_vcc 1
		.amdhsa_float_round_mode_32 0
		.amdhsa_float_round_mode_16_64 0
		.amdhsa_float_denorm_mode_32 3
		.amdhsa_float_denorm_mode_16_64 3
		.amdhsa_fp16_overflow 0
		.amdhsa_memory_ordered 1
		.amdhsa_forward_progress 1
		.amdhsa_inst_pref_size 44
		.amdhsa_round_robin_scheduling 0
		.amdhsa_exception_fp_ieee_invalid_op 0
		.amdhsa_exception_fp_denorm_src 0
		.amdhsa_exception_fp_ieee_div_zero 0
		.amdhsa_exception_fp_ieee_overflow 0
		.amdhsa_exception_fp_ieee_underflow 0
		.amdhsa_exception_fp_ieee_inexact 0
		.amdhsa_exception_int_div_zero 0
	.end_amdhsa_kernel
	.section	.text._ZN2at6native29vectorized_elementwise_kernelILi16ENS0_13AUnaryFunctorIN3c107complexIdEES5_bNS0_12_GLOBAL__N_116CompareEqFunctorIS5_EEEESt5arrayIPcLm2EEEEviT0_T1_,"axG",@progbits,_ZN2at6native29vectorized_elementwise_kernelILi16ENS0_13AUnaryFunctorIN3c107complexIdEES5_bNS0_12_GLOBAL__N_116CompareEqFunctorIS5_EEEESt5arrayIPcLm2EEEEviT0_T1_,comdat
.Lfunc_end120:
	.size	_ZN2at6native29vectorized_elementwise_kernelILi16ENS0_13AUnaryFunctorIN3c107complexIdEES5_bNS0_12_GLOBAL__N_116CompareEqFunctorIS5_EEEESt5arrayIPcLm2EEEEviT0_T1_, .Lfunc_end120-_ZN2at6native29vectorized_elementwise_kernelILi16ENS0_13AUnaryFunctorIN3c107complexIdEES5_bNS0_12_GLOBAL__N_116CompareEqFunctorIS5_EEEESt5arrayIPcLm2EEEEviT0_T1_
                                        ; -- End function
	.set _ZN2at6native29vectorized_elementwise_kernelILi16ENS0_13AUnaryFunctorIN3c107complexIdEES5_bNS0_12_GLOBAL__N_116CompareEqFunctorIS5_EEEESt5arrayIPcLm2EEEEviT0_T1_.num_vgpr, 68
	.set _ZN2at6native29vectorized_elementwise_kernelILi16ENS0_13AUnaryFunctorIN3c107complexIdEES5_bNS0_12_GLOBAL__N_116CompareEqFunctorIS5_EEEESt5arrayIPcLm2EEEEviT0_T1_.num_agpr, 0
	.set _ZN2at6native29vectorized_elementwise_kernelILi16ENS0_13AUnaryFunctorIN3c107complexIdEES5_bNS0_12_GLOBAL__N_116CompareEqFunctorIS5_EEEESt5arrayIPcLm2EEEEviT0_T1_.numbered_sgpr, 29
	.set _ZN2at6native29vectorized_elementwise_kernelILi16ENS0_13AUnaryFunctorIN3c107complexIdEES5_bNS0_12_GLOBAL__N_116CompareEqFunctorIS5_EEEESt5arrayIPcLm2EEEEviT0_T1_.num_named_barrier, 0
	.set _ZN2at6native29vectorized_elementwise_kernelILi16ENS0_13AUnaryFunctorIN3c107complexIdEES5_bNS0_12_GLOBAL__N_116CompareEqFunctorIS5_EEEESt5arrayIPcLm2EEEEviT0_T1_.private_seg_size, 0
	.set _ZN2at6native29vectorized_elementwise_kernelILi16ENS0_13AUnaryFunctorIN3c107complexIdEES5_bNS0_12_GLOBAL__N_116CompareEqFunctorIS5_EEEESt5arrayIPcLm2EEEEviT0_T1_.uses_vcc, 1
	.set _ZN2at6native29vectorized_elementwise_kernelILi16ENS0_13AUnaryFunctorIN3c107complexIdEES5_bNS0_12_GLOBAL__N_116CompareEqFunctorIS5_EEEESt5arrayIPcLm2EEEEviT0_T1_.uses_flat_scratch, 0
	.set _ZN2at6native29vectorized_elementwise_kernelILi16ENS0_13AUnaryFunctorIN3c107complexIdEES5_bNS0_12_GLOBAL__N_116CompareEqFunctorIS5_EEEESt5arrayIPcLm2EEEEviT0_T1_.has_dyn_sized_stack, 0
	.set _ZN2at6native29vectorized_elementwise_kernelILi16ENS0_13AUnaryFunctorIN3c107complexIdEES5_bNS0_12_GLOBAL__N_116CompareEqFunctorIS5_EEEESt5arrayIPcLm2EEEEviT0_T1_.has_recursion, 0
	.set _ZN2at6native29vectorized_elementwise_kernelILi16ENS0_13AUnaryFunctorIN3c107complexIdEES5_bNS0_12_GLOBAL__N_116CompareEqFunctorIS5_EEEESt5arrayIPcLm2EEEEviT0_T1_.has_indirect_call, 0
	.section	.AMDGPU.csdata,"",@progbits
; Kernel info:
; codeLenInByte = 5572
; TotalNumSgprs: 31
; NumVgprs: 68
; ScratchSize: 0
; MemoryBound: 1
; FloatMode: 240
; IeeeMode: 1
; LDSByteSize: 0 bytes/workgroup (compile time only)
; SGPRBlocks: 0
; VGPRBlocks: 4
; NumSGPRsForWavesPerEU: 31
; NumVGPRsForWavesPerEU: 68
; NamedBarCnt: 0
; Occupancy: 12
; WaveLimiterHint : 0
; COMPUTE_PGM_RSRC2:SCRATCH_EN: 0
; COMPUTE_PGM_RSRC2:USER_SGPR: 2
; COMPUTE_PGM_RSRC2:TRAP_HANDLER: 0
; COMPUTE_PGM_RSRC2:TGID_X_EN: 1
; COMPUTE_PGM_RSRC2:TGID_Y_EN: 0
; COMPUTE_PGM_RSRC2:TGID_Z_EN: 0
; COMPUTE_PGM_RSRC2:TIDIG_COMP_CNT: 0
	.section	.text._ZN2at6native29vectorized_elementwise_kernelILi8ENS0_13AUnaryFunctorIN3c107complexIdEES5_bNS0_12_GLOBAL__N_116CompareEqFunctorIS5_EEEESt5arrayIPcLm2EEEEviT0_T1_,"axG",@progbits,_ZN2at6native29vectorized_elementwise_kernelILi8ENS0_13AUnaryFunctorIN3c107complexIdEES5_bNS0_12_GLOBAL__N_116CompareEqFunctorIS5_EEEESt5arrayIPcLm2EEEEviT0_T1_,comdat
	.globl	_ZN2at6native29vectorized_elementwise_kernelILi8ENS0_13AUnaryFunctorIN3c107complexIdEES5_bNS0_12_GLOBAL__N_116CompareEqFunctorIS5_EEEESt5arrayIPcLm2EEEEviT0_T1_ ; -- Begin function _ZN2at6native29vectorized_elementwise_kernelILi8ENS0_13AUnaryFunctorIN3c107complexIdEES5_bNS0_12_GLOBAL__N_116CompareEqFunctorIS5_EEEESt5arrayIPcLm2EEEEviT0_T1_
	.p2align	8
	.type	_ZN2at6native29vectorized_elementwise_kernelILi8ENS0_13AUnaryFunctorIN3c107complexIdEES5_bNS0_12_GLOBAL__N_116CompareEqFunctorIS5_EEEESt5arrayIPcLm2EEEEviT0_T1_,@function
_ZN2at6native29vectorized_elementwise_kernelILi8ENS0_13AUnaryFunctorIN3c107complexIdEES5_bNS0_12_GLOBAL__N_116CompareEqFunctorIS5_EEEESt5arrayIPcLm2EEEEviT0_T1_: ; @_ZN2at6native29vectorized_elementwise_kernelILi8ENS0_13AUnaryFunctorIN3c107complexIdEES5_bNS0_12_GLOBAL__N_116CompareEqFunctorIS5_EEEESt5arrayIPcLm2EEEEviT0_T1_
; %bb.0:
	s_clause 0x2
	s_load_b32 s3, s[0:1], 0x0
	s_load_b32 s13, s[0:1], 0x10
	s_load_b256 s[4:11], s[0:1], 0x20
	s_wait_xcnt 0x0
	s_bfe_u32 s0, ttmp6, 0x4000c
	s_and_b32 s1, ttmp6, 15
	s_add_co_i32 s0, s0, 1
	s_getreg_b32 s2, hwreg(HW_REG_IB_STS2, 6, 4)
	s_mul_i32 s0, ttmp9, s0
	s_delay_alu instid0(SALU_CYCLE_1) | instskip(SKIP_2) | instid1(SALU_CYCLE_1)
	s_add_co_i32 s1, s1, s0
	s_cmp_eq_u32 s2, 0
	s_cselect_b32 s0, ttmp9, s1
	s_lshl_b32 s2, s0, 12
	s_mov_b32 s0, -1
	s_wait_kmcnt 0x0
	s_sub_co_i32 s12, s3, s2
	s_delay_alu instid0(SALU_CYCLE_1)
	s_cmp_gt_i32 s12, 0xfff
	s_cbranch_scc0 .LBB121_50
; %bb.1:
	s_ashr_i32 s3, s2, 31
	v_lshlrev_b32_e32 v1, 7, v0
	s_lshl_b64 s[0:1], s[2:3], 4
	s_cmp_lg_u32 s13, 0
	s_add_nc_u64 s[0:1], s[10:11], s[0:1]
	s_cselect_b32 s14, -1, 0
	s_clause 0xf
	global_load_b128 v[50:53], v1, s[0:1] offset:48
	global_load_b128 v[54:57], v1, s[0:1] offset:32
	;; [unrolled: 1-line block ×3, first 2 shown]
	global_load_b128 v[62:65], v1, s[0:1]
	global_load_b128 v[34:37], v1, s[0:1] offset:112
	global_load_b128 v[38:41], v1, s[0:1] offset:96
	;; [unrolled: 1-line block ×12, first 2 shown]
	s_and_b32 vcc_lo, exec_lo, s14
	s_cbranch_vccz .LBB121_196
; %bb.2:
	s_wait_loadcnt 0xc
	v_cmp_neq_f64_e32 vcc_lo, s[4:5], v[62:63]
	s_wait_xcnt 0x0
	v_cmp_neq_f64_e64 s0, s[6:7], v[64:65]
	s_or_b32 s1, vcc_lo, s0
	s_cbranch_execnz .LBB121_4
.LBB121_3:
	s_wait_loadcnt 0xc
	v_cmp_eq_f64_e32 vcc_lo, s[4:5], v[62:63]
	v_cmp_eq_f64_e64 s0, s[6:7], v[64:65]
	s_and_not1_b32 s1, s1, exec_lo
	s_and_b32 s0, vcc_lo, s0
	s_delay_alu instid0(SALU_CYCLE_1) | instskip(NEXT) | instid1(SALU_CYCLE_1)
	s_and_b32 s0, s0, exec_lo
	s_or_b32 s1, s1, s0
.LBB121_4:
	v_cndmask_b32_e64 v1, 0, 1, s14
	s_and_not1_b32 vcc_lo, exec_lo, s14
	s_cbranch_vccnz .LBB121_197
; %bb.5:
	s_wait_loadcnt 0xd
	v_cmp_neq_f64_e32 vcc_lo, s[4:5], v[58:59]
	v_cmp_neq_f64_e64 s0, s[6:7], v[60:61]
	s_or_b32 s14, vcc_lo, s0
	s_cbranch_execnz .LBB121_7
.LBB121_6:
	s_wait_loadcnt 0xd
	v_cmp_eq_f64_e32 vcc_lo, s[4:5], v[58:59]
	v_cmp_eq_f64_e64 s0, s[6:7], v[60:61]
	s_and_not1_b32 s14, s14, exec_lo
	s_and_b32 s0, vcc_lo, s0
	s_delay_alu instid0(SALU_CYCLE_1) | instskip(NEXT) | instid1(SALU_CYCLE_1)
	s_and_b32 s0, s0, exec_lo
	s_or_b32 s14, s14, s0
.LBB121_7:
	v_cmp_ne_u32_e32 vcc_lo, 1, v1
	s_cbranch_vccnz .LBB121_198
; %bb.8:
	s_wait_loadcnt 0xe
	v_cmp_neq_f64_e32 vcc_lo, s[4:5], v[54:55]
	v_cmp_neq_f64_e64 s0, s[6:7], v[56:57]
	s_or_b32 s15, vcc_lo, s0
	s_cbranch_execnz .LBB121_10
.LBB121_9:
	s_wait_loadcnt 0xe
	v_cmp_eq_f64_e32 vcc_lo, s[4:5], v[54:55]
	v_cmp_eq_f64_e64 s0, s[6:7], v[56:57]
	s_and_not1_b32 s15, s15, exec_lo
	s_and_b32 s0, vcc_lo, s0
	s_delay_alu instid0(SALU_CYCLE_1) | instskip(NEXT) | instid1(SALU_CYCLE_1)
	s_and_b32 s0, s0, exec_lo
	s_or_b32 s15, s15, s0
.LBB121_10:
	v_cmp_ne_u32_e32 vcc_lo, 1, v1
	s_cbranch_vccnz .LBB121_199
; %bb.11:
	s_wait_loadcnt 0xf
	v_cmp_neq_f64_e32 vcc_lo, s[4:5], v[50:51]
	v_cmp_neq_f64_e64 s0, s[6:7], v[52:53]
	s_or_b32 s16, vcc_lo, s0
	s_cbranch_execnz .LBB121_13
.LBB121_12:
	s_wait_loadcnt 0xf
	v_cmp_eq_f64_e32 vcc_lo, s[4:5], v[50:51]
	v_cmp_eq_f64_e64 s0, s[6:7], v[52:53]
	s_and_not1_b32 s16, s16, exec_lo
	s_and_b32 s0, vcc_lo, s0
	s_delay_alu instid0(SALU_CYCLE_1) | instskip(NEXT) | instid1(SALU_CYCLE_1)
	s_and_b32 s0, s0, exec_lo
	s_or_b32 s16, s16, s0
.LBB121_13:
	v_cmp_ne_u32_e32 vcc_lo, 1, v1
	s_cbranch_vccnz .LBB121_200
; %bb.14:
	s_wait_loadcnt 0x8
	v_cmp_neq_f64_e32 vcc_lo, s[4:5], v[46:47]
	v_cmp_neq_f64_e64 s0, s[6:7], v[48:49]
	s_or_b32 s17, vcc_lo, s0
	s_cbranch_execnz .LBB121_16
.LBB121_15:
	s_wait_loadcnt 0x8
	v_cmp_eq_f64_e32 vcc_lo, s[4:5], v[46:47]
	v_cmp_eq_f64_e64 s0, s[6:7], v[48:49]
	s_and_not1_b32 s17, s17, exec_lo
	s_and_b32 s0, vcc_lo, s0
	s_delay_alu instid0(SALU_CYCLE_1) | instskip(NEXT) | instid1(SALU_CYCLE_1)
	s_and_b32 s0, s0, exec_lo
	s_or_b32 s17, s17, s0
.LBB121_16:
	v_cmp_ne_u32_e32 vcc_lo, 1, v1
	s_cbranch_vccnz .LBB121_201
; %bb.17:
	s_wait_loadcnt 0x9
	v_cmp_neq_f64_e32 vcc_lo, s[4:5], v[42:43]
	v_cmp_neq_f64_e64 s0, s[6:7], v[44:45]
	s_or_b32 s18, vcc_lo, s0
	s_cbranch_execnz .LBB121_19
.LBB121_18:
	s_wait_loadcnt 0x9
	v_cmp_eq_f64_e32 vcc_lo, s[4:5], v[42:43]
	v_cmp_eq_f64_e64 s0, s[6:7], v[44:45]
	s_and_not1_b32 s18, s18, exec_lo
	s_and_b32 s0, vcc_lo, s0
	s_delay_alu instid0(SALU_CYCLE_1) | instskip(NEXT) | instid1(SALU_CYCLE_1)
	s_and_b32 s0, s0, exec_lo
	s_or_b32 s18, s18, s0
.LBB121_19:
	v_cmp_ne_u32_e32 vcc_lo, 1, v1
	s_cbranch_vccnz .LBB121_202
; %bb.20:
	s_wait_loadcnt 0xa
	v_cmp_neq_f64_e32 vcc_lo, s[4:5], v[38:39]
	v_cmp_neq_f64_e64 s0, s[6:7], v[40:41]
	s_or_b32 s19, vcc_lo, s0
	s_cbranch_execnz .LBB121_22
.LBB121_21:
	s_wait_loadcnt 0xa
	v_cmp_eq_f64_e32 vcc_lo, s[4:5], v[38:39]
	v_cmp_eq_f64_e64 s0, s[6:7], v[40:41]
	s_and_not1_b32 s19, s19, exec_lo
	s_and_b32 s0, vcc_lo, s0
	s_delay_alu instid0(SALU_CYCLE_1) | instskip(NEXT) | instid1(SALU_CYCLE_1)
	s_and_b32 s0, s0, exec_lo
	s_or_b32 s19, s19, s0
.LBB121_22:
	v_cmp_ne_u32_e32 vcc_lo, 1, v1
	s_cbranch_vccnz .LBB121_203
; %bb.23:
	s_wait_loadcnt 0xb
	v_cmp_neq_f64_e32 vcc_lo, s[4:5], v[34:35]
	v_cmp_neq_f64_e64 s0, s[6:7], v[36:37]
	s_or_b32 s20, vcc_lo, s0
	s_cbranch_execnz .LBB121_25
.LBB121_24:
	s_wait_loadcnt 0xb
	v_cmp_eq_f64_e32 vcc_lo, s[4:5], v[34:35]
	v_cmp_eq_f64_e64 s0, s[6:7], v[36:37]
	s_and_not1_b32 s20, s20, exec_lo
	s_and_b32 s0, vcc_lo, s0
	s_delay_alu instid0(SALU_CYCLE_1) | instskip(NEXT) | instid1(SALU_CYCLE_1)
	s_and_b32 s0, s0, exec_lo
	s_or_b32 s20, s20, s0
.LBB121_25:
	v_cmp_ne_u32_e32 vcc_lo, 1, v1
	s_cbranch_vccnz .LBB121_204
; %bb.26:
	s_wait_loadcnt 0x4
	v_cmp_neq_f64_e32 vcc_lo, s[4:5], v[30:31]
	v_cmp_neq_f64_e64 s0, s[6:7], v[32:33]
	s_or_b32 s21, vcc_lo, s0
	s_cbranch_execnz .LBB121_28
.LBB121_27:
	s_wait_loadcnt 0x4
	v_cmp_eq_f64_e32 vcc_lo, s[4:5], v[30:31]
	v_cmp_eq_f64_e64 s0, s[6:7], v[32:33]
	s_and_not1_b32 s21, s21, exec_lo
	s_and_b32 s0, vcc_lo, s0
	s_delay_alu instid0(SALU_CYCLE_1) | instskip(NEXT) | instid1(SALU_CYCLE_1)
	s_and_b32 s0, s0, exec_lo
	s_or_b32 s21, s21, s0
.LBB121_28:
	v_cmp_ne_u32_e32 vcc_lo, 1, v1
	s_cbranch_vccnz .LBB121_205
; %bb.29:
	s_wait_loadcnt 0x5
	v_cmp_neq_f64_e32 vcc_lo, s[4:5], v[26:27]
	v_cmp_neq_f64_e64 s0, s[6:7], v[28:29]
	s_or_b32 s22, vcc_lo, s0
	s_cbranch_execnz .LBB121_31
.LBB121_30:
	s_wait_loadcnt 0x5
	v_cmp_eq_f64_e32 vcc_lo, s[4:5], v[26:27]
	v_cmp_eq_f64_e64 s0, s[6:7], v[28:29]
	s_and_not1_b32 s22, s22, exec_lo
	s_and_b32 s0, vcc_lo, s0
	s_delay_alu instid0(SALU_CYCLE_1) | instskip(NEXT) | instid1(SALU_CYCLE_1)
	s_and_b32 s0, s0, exec_lo
	s_or_b32 s22, s22, s0
.LBB121_31:
	v_cmp_ne_u32_e32 vcc_lo, 1, v1
	s_cbranch_vccnz .LBB121_206
; %bb.32:
	s_wait_loadcnt 0x6
	v_cmp_neq_f64_e32 vcc_lo, s[4:5], v[22:23]
	v_cmp_neq_f64_e64 s0, s[6:7], v[24:25]
	s_or_b32 s23, vcc_lo, s0
	s_cbranch_execnz .LBB121_34
.LBB121_33:
	s_wait_loadcnt 0x6
	v_cmp_eq_f64_e32 vcc_lo, s[4:5], v[22:23]
	v_cmp_eq_f64_e64 s0, s[6:7], v[24:25]
	s_and_not1_b32 s23, s23, exec_lo
	s_and_b32 s0, vcc_lo, s0
	s_delay_alu instid0(SALU_CYCLE_1) | instskip(NEXT) | instid1(SALU_CYCLE_1)
	s_and_b32 s0, s0, exec_lo
	s_or_b32 s23, s23, s0
.LBB121_34:
	v_cmp_ne_u32_e32 vcc_lo, 1, v1
	s_cbranch_vccnz .LBB121_207
; %bb.35:
	s_wait_loadcnt 0x7
	v_cmp_neq_f64_e32 vcc_lo, s[4:5], v[18:19]
	v_cmp_neq_f64_e64 s0, s[6:7], v[20:21]
	s_or_b32 s24, vcc_lo, s0
	s_cbranch_execnz .LBB121_37
.LBB121_36:
	s_wait_loadcnt 0x7
	v_cmp_eq_f64_e32 vcc_lo, s[4:5], v[18:19]
	v_cmp_eq_f64_e64 s0, s[6:7], v[20:21]
	s_and_not1_b32 s24, s24, exec_lo
	s_and_b32 s0, vcc_lo, s0
	s_delay_alu instid0(SALU_CYCLE_1) | instskip(NEXT) | instid1(SALU_CYCLE_1)
	s_and_b32 s0, s0, exec_lo
	s_or_b32 s24, s24, s0
.LBB121_37:
	v_cmp_ne_u32_e32 vcc_lo, 1, v1
	s_cbranch_vccnz .LBB121_208
; %bb.38:
	s_wait_loadcnt 0x0
	v_cmp_neq_f64_e32 vcc_lo, s[4:5], v[14:15]
	v_cmp_neq_f64_e64 s0, s[6:7], v[16:17]
	s_or_b32 s25, vcc_lo, s0
	s_cbranch_execnz .LBB121_40
.LBB121_39:
	s_wait_loadcnt 0x0
	v_cmp_eq_f64_e32 vcc_lo, s[4:5], v[14:15]
	v_cmp_eq_f64_e64 s0, s[6:7], v[16:17]
	s_and_not1_b32 s25, s25, exec_lo
	s_and_b32 s0, vcc_lo, s0
	s_delay_alu instid0(SALU_CYCLE_1) | instskip(NEXT) | instid1(SALU_CYCLE_1)
	s_and_b32 s0, s0, exec_lo
	s_or_b32 s25, s25, s0
.LBB121_40:
	v_cmp_ne_u32_e32 vcc_lo, 1, v1
	s_cbranch_vccnz .LBB121_209
; %bb.41:
	s_wait_loadcnt 0x1
	v_cmp_neq_f64_e32 vcc_lo, s[4:5], v[10:11]
	v_cmp_neq_f64_e64 s0, s[6:7], v[12:13]
	s_or_b32 s26, vcc_lo, s0
	s_cbranch_execnz .LBB121_43
.LBB121_42:
	s_wait_loadcnt 0x1
	v_cmp_eq_f64_e32 vcc_lo, s[4:5], v[10:11]
	v_cmp_eq_f64_e64 s0, s[6:7], v[12:13]
	s_and_not1_b32 s26, s26, exec_lo
	s_and_b32 s0, vcc_lo, s0
	s_delay_alu instid0(SALU_CYCLE_1) | instskip(NEXT) | instid1(SALU_CYCLE_1)
	s_and_b32 s0, s0, exec_lo
	s_or_b32 s26, s26, s0
.LBB121_43:
	v_cmp_ne_u32_e32 vcc_lo, 1, v1
	s_cbranch_vccnz .LBB121_210
; %bb.44:
	s_wait_loadcnt 0x2
	v_cmp_neq_f64_e32 vcc_lo, s[4:5], v[6:7]
	v_cmp_neq_f64_e64 s0, s[6:7], v[8:9]
	s_or_b32 s27, vcc_lo, s0
	s_cbranch_execnz .LBB121_46
.LBB121_45:
	s_wait_loadcnt 0x2
	v_cmp_eq_f64_e32 vcc_lo, s[4:5], v[6:7]
	v_cmp_eq_f64_e64 s0, s[6:7], v[8:9]
	s_and_not1_b32 s27, s27, exec_lo
	s_and_b32 s0, vcc_lo, s0
	s_delay_alu instid0(SALU_CYCLE_1) | instskip(NEXT) | instid1(SALU_CYCLE_1)
	s_and_b32 s0, s0, exec_lo
	s_or_b32 s27, s27, s0
.LBB121_46:
	v_cmp_ne_u32_e32 vcc_lo, 1, v1
	s_cbranch_vccnz .LBB121_211
; %bb.47:
	s_wait_loadcnt 0x3
	v_cmp_neq_f64_e32 vcc_lo, s[4:5], v[2:3]
	v_cmp_neq_f64_e64 s0, s[6:7], v[4:5]
	s_or_b32 s28, vcc_lo, s0
	s_cbranch_execnz .LBB121_49
.LBB121_48:
	s_wait_loadcnt 0x3
	v_cmp_eq_f64_e32 vcc_lo, s[4:5], v[2:3]
	v_cmp_eq_f64_e64 s0, s[6:7], v[4:5]
	s_and_not1_b32 s28, s28, exec_lo
	s_and_b32 s0, vcc_lo, s0
	s_delay_alu instid0(SALU_CYCLE_1) | instskip(NEXT) | instid1(SALU_CYCLE_1)
	s_and_b32 s0, s0, exec_lo
	s_or_b32 s28, s28, s0
.LBB121_49:
	v_cndmask_b32_e64 v1, 0, 0x100, s22
	s_wait_loadcnt 0x3
	v_cndmask_b32_e64 v2, 0, 1, s21
	v_cndmask_b32_e64 v4, 0, 0x100, s14
	;; [unrolled: 1-line block ×4, first 2 shown]
	s_wait_loadcnt 0x2
	v_cndmask_b32_e64 v9, 0, 0x1000000, s16
	v_or_b32_e32 v1, v1, v2
	v_cndmask_b32_e64 v2, 0, 0x1000000, s24
	v_or_b32_e32 v4, v4, v5
	v_cndmask_b32_e64 v5, 0, 0x10000, s15
	v_or3_b32 v6, 0, 0, 0
	v_cndmask_b32_e64 v7, 0, 1, s25
	v_cndmask_b32_e64 v8, 0, 0x100, s26
	s_wait_loadcnt 0x1
	v_cndmask_b32_e64 v10, 0, 1, s17
	v_cndmask_b32_e64 v11, 0, 0x100, s18
	v_or3_b32 v1, v1, v3, v2
	v_or3_b32 v2, v4, v5, v9
	v_or3_b32 v7, v6, v7, v8
	v_cndmask_b32_e64 v5, 0, 0x10000, s19
	v_or3_b32 v3, v6, v10, v11
	v_cndmask_b32_e64 v6, 0, 0x1000000, s20
	v_or3_b32 v2, v2, 0, 0
	v_cndmask_b32_e64 v4, 0, 0x10000, s27
	v_cndmask_b32_e64 v8, 0, 0x1000000, s28
	v_or3_b32 v1, v1, 0, 0
	v_or3_b32 v3, v3, v5, v6
	v_or3_b32 v2, v2, 0, 0
	s_add_nc_u64 s[14:15], s[8:9], s[2:3]
	v_or3_b32 v5, v7, v4, v8
	v_or3_b32 v4, v1, 0, 0
	s_mov_b32 s0, 0
	s_clause 0x1
	global_store_b64 v0, v[2:3], s[14:15] scale_offset
	global_store_b64 v0, v[4:5], s[14:15] offset:2048 scale_offset
.LBB121_50:
	s_and_b32 vcc_lo, exec_lo, s0
	s_cbranch_vccz .LBB121_195
; %bb.51:
	v_mov_b64_e32 v[54:55], 0
	v_mov_b64_e32 v[62:63], 0
	v_mov_b64_e32 v[64:65], 0
	v_cmp_gt_i32_e64 s0, s12, v0
	v_dual_mov_b32 v67, v0 :: v_dual_bitop2_b32 v1, s2, v0 bitop3:0x54
	v_or_b32_e32 v66, 0x100, v0
	s_wait_xcnt 0x0
	s_and_saveexec_b32 s1, s0
	s_cbranch_execz .LBB121_53
; %bb.52:
	global_load_b128 v[62:65], v1, s[10:11] scale_offset
	v_or_b32_e32 v67, 0x100, v0
.LBB121_53:
	s_wait_xcnt 0x0
	s_or_b32 exec_lo, exec_lo, s1
	v_mov_b64_e32 v[56:57], 0
	s_mov_b32 s1, exec_lo
	v_cmpx_gt_i32_e64 s12, v67
	s_cbranch_execz .LBB121_55
; %bb.54:
	v_add_nc_u32_e32 v2, s2, v67
	v_add_nc_u32_e32 v67, 0x100, v67
	global_load_b128 v[54:57], v2, s[10:11] scale_offset
.LBB121_55:
	s_wait_xcnt 0x0
	s_or_b32 exec_lo, exec_lo, s1
	v_mov_b64_e32 v[46:47], 0
	v_mov_b64_e32 v[58:59], 0
	v_mov_b64_e32 v[60:61], 0
	s_mov_b32 s1, exec_lo
	v_cmpx_gt_i32_e64 s12, v67
	s_cbranch_execz .LBB121_57
; %bb.56:
	v_add_nc_u32_e32 v2, s2, v67
	v_add_nc_u32_e32 v67, 0x100, v67
	global_load_b128 v[58:61], v2, s[10:11] scale_offset
.LBB121_57:
	s_wait_xcnt 0x0
	s_or_b32 exec_lo, exec_lo, s1
	v_mov_b64_e32 v[48:49], 0
	s_mov_b32 s1, exec_lo
	v_cmpx_gt_i32_e64 s12, v67
	s_cbranch_execz .LBB121_59
; %bb.58:
	v_add_nc_u32_e32 v2, s2, v67
	v_add_nc_u32_e32 v67, 0x100, v67
	global_load_b128 v[46:49], v2, s[10:11] scale_offset
.LBB121_59:
	s_wait_xcnt 0x0
	s_or_b32 exec_lo, exec_lo, s1
	v_mov_b64_e32 v[38:39], 0
	v_mov_b64_e32 v[50:51], 0
	v_mov_b64_e32 v[52:53], 0
	s_mov_b32 s1, exec_lo
	v_cmpx_gt_i32_e64 s12, v67
	s_cbranch_execz .LBB121_61
; %bb.60:
	v_add_nc_u32_e32 v2, s2, v67
	v_add_nc_u32_e32 v67, 0x100, v67
	global_load_b128 v[50:53], v2, s[10:11] scale_offset
.LBB121_61:
	;; [unrolled: 24-line block ×4, first 2 shown]
	s_wait_xcnt 0x0
	s_or_b32 exec_lo, exec_lo, s1
	v_mov_b64_e32 v[24:25], 0
	s_mov_b32 s1, exec_lo
	v_cmpx_gt_i32_e64 s12, v67
	s_cbranch_execz .LBB121_71
; %bb.70:
	v_add_nc_u32_e32 v2, s2, v67
	v_add_nc_u32_e32 v67, 0x100, v67
	global_load_b128 v[22:25], v2, s[10:11] scale_offset
.LBB121_71:
	s_wait_xcnt 0x0
	s_or_b32 exec_lo, exec_lo, s1
	s_wait_loadcnt 0x0
	v_mov_b64_e32 v[14:15], 0
	v_mov_b64_e32 v[26:27], 0
	;; [unrolled: 1-line block ×3, first 2 shown]
	s_mov_b32 s1, exec_lo
	v_cmpx_gt_i32_e64 s12, v67
	s_cbranch_execz .LBB121_73
; %bb.72:
	v_add_nc_u32_e32 v2, s2, v67
	v_add_nc_u32_e32 v67, 0x100, v67
	global_load_b128 v[26:29], v2, s[10:11] scale_offset
.LBB121_73:
	s_wait_xcnt 0x0
	s_or_b32 exec_lo, exec_lo, s1
	v_mov_b64_e32 v[16:17], 0
	s_mov_b32 s1, exec_lo
	v_cmpx_gt_i32_e64 s12, v67
	s_cbranch_execz .LBB121_75
; %bb.74:
	v_add_nc_u32_e32 v2, s2, v67
	v_add_nc_u32_e32 v67, 0x100, v67
	global_load_b128 v[14:17], v2, s[10:11] scale_offset
.LBB121_75:
	s_wait_xcnt 0x0
	s_or_b32 exec_lo, exec_lo, s1
	v_mov_b64_e32 v[6:7], 0
	v_mov_b64_e32 v[18:19], 0
	;; [unrolled: 1-line block ×3, first 2 shown]
	s_mov_b32 s1, exec_lo
	v_cmpx_gt_i32_e64 s12, v67
	s_cbranch_execz .LBB121_77
; %bb.76:
	v_add_nc_u32_e32 v2, s2, v67
	v_add_nc_u32_e32 v67, 0x100, v67
	global_load_b128 v[18:21], v2, s[10:11] scale_offset
.LBB121_77:
	s_wait_xcnt 0x0
	s_or_b32 exec_lo, exec_lo, s1
	v_mov_b64_e32 v[8:9], 0
	s_mov_b32 s1, exec_lo
	v_cmpx_gt_i32_e64 s12, v67
	s_cbranch_execz .LBB121_79
; %bb.78:
	v_add_nc_u32_e32 v2, s2, v67
	v_add_nc_u32_e32 v67, 0x100, v67
	global_load_b128 v[6:9], v2, s[10:11] scale_offset
.LBB121_79:
	s_wait_xcnt 0x0
	s_or_b32 exec_lo, exec_lo, s1
	v_mov_b64_e32 v[2:3], 0
	v_mov_b64_e32 v[10:11], 0
	;; [unrolled: 1-line block ×3, first 2 shown]
	s_mov_b32 s1, exec_lo
	v_cmpx_gt_i32_e64 s12, v67
	s_cbranch_execz .LBB121_81
; %bb.80:
	v_add_nc_u32_e32 v4, s2, v67
	v_add_nc_u32_e32 v67, 0x100, v67
	global_load_b128 v[10:13], v4, s[10:11] scale_offset
.LBB121_81:
	s_wait_xcnt 0x0
	s_or_b32 exec_lo, exec_lo, s1
	v_mov_b64_e32 v[4:5], 0
	s_mov_b32 s1, exec_lo
	v_cmpx_gt_i32_e64 s12, v67
	s_cbranch_execz .LBB121_83
; %bb.82:
	v_add_nc_u32_e32 v2, s2, v67
	global_load_b128 v[2:5], v2, s[10:11] scale_offset
.LBB121_83:
	s_wait_xcnt 0x0
	s_or_b32 exec_lo, exec_lo, s1
	s_cmp_lg_u32 s13, 0
                                        ; implicit-def: $vgpr67
	s_cselect_b32 s3, -1, 0
	s_and_saveexec_b32 s10, s0
	s_cbranch_execz .LBB121_88
; %bb.84:
	s_and_b32 vcc_lo, exec_lo, s3
	s_cbranch_vccz .LBB121_212
; %bb.85:
	v_cmp_neq_f64_e32 vcc_lo, s[4:5], v[62:63]
	v_cmp_neq_f64_e64 s1, s[6:7], v[64:65]
	s_or_b32 s11, vcc_lo, s1
	s_cbranch_execnz .LBB121_87
.LBB121_86:
	v_cmp_eq_f64_e32 vcc_lo, s[4:5], v[62:63]
	v_cmp_eq_f64_e64 s1, s[6:7], v[64:65]
	s_and_not1_b32 s11, s11, exec_lo
	s_and_b32 s1, vcc_lo, s1
	s_delay_alu instid0(SALU_CYCLE_1) | instskip(NEXT) | instid1(SALU_CYCLE_1)
	s_and_b32 s1, s1, exec_lo
	s_or_b32 s11, s11, s1
.LBB121_87:
	s_delay_alu instid0(SALU_CYCLE_1)
	v_cndmask_b32_e64 v67, 0, 1, s11
.LBB121_88:
	s_or_b32 exec_lo, exec_lo, s10
	v_cndmask_b32_e64 v63, 0, 1, s3
	s_mov_b32 s10, exec_lo
                                        ; implicit-def: $vgpr62
	v_cmpx_gt_i32_e64 s12, v66
	s_cbranch_execz .LBB121_93
; %bb.89:
	s_and_not1_b32 vcc_lo, exec_lo, s3
	s_cbranch_vccnz .LBB121_213
; %bb.90:
	v_cmp_neq_f64_e32 vcc_lo, s[4:5], v[54:55]
	v_cmp_neq_f64_e64 s1, s[6:7], v[56:57]
	s_or_b32 s3, vcc_lo, s1
	s_cbranch_execnz .LBB121_92
.LBB121_91:
	v_cmp_eq_f64_e32 vcc_lo, s[4:5], v[54:55]
	v_cmp_eq_f64_e64 s1, s[6:7], v[56:57]
	s_and_not1_b32 s3, s3, exec_lo
	s_and_b32 s1, vcc_lo, s1
	s_delay_alu instid0(SALU_CYCLE_1) | instskip(NEXT) | instid1(SALU_CYCLE_1)
	s_and_b32 s1, s1, exec_lo
	s_or_b32 s3, s3, s1
.LBB121_92:
	s_delay_alu instid0(SALU_CYCLE_1)
	v_cndmask_b32_e64 v62, 0, 1, s3
.LBB121_93:
	s_or_b32 exec_lo, exec_lo, s10
	v_or_b32_e32 v54, 0x200, v0
	s_delay_alu instid0(VALU_DEP_1)
	v_cmp_gt_i32_e32 vcc_lo, s12, v54
                                        ; implicit-def: $vgpr54
	s_and_saveexec_b32 s3, vcc_lo
	s_cbranch_execz .LBB121_98
; %bb.94:
	v_cmp_ne_u32_e32 vcc_lo, 1, v63
	s_cbranch_vccnz .LBB121_214
; %bb.95:
	v_cmp_neq_f64_e32 vcc_lo, s[4:5], v[58:59]
	v_cmp_neq_f64_e64 s1, s[6:7], v[60:61]
	s_or_b32 s10, vcc_lo, s1
	s_cbranch_execnz .LBB121_97
.LBB121_96:
	v_cmp_eq_f64_e32 vcc_lo, s[4:5], v[58:59]
	v_cmp_eq_f64_e64 s1, s[6:7], v[60:61]
	s_and_not1_b32 s10, s10, exec_lo
	s_and_b32 s1, vcc_lo, s1
	s_delay_alu instid0(SALU_CYCLE_1) | instskip(NEXT) | instid1(SALU_CYCLE_1)
	s_and_b32 s1, s1, exec_lo
	s_or_b32 s10, s10, s1
.LBB121_97:
	s_delay_alu instid0(SALU_CYCLE_1)
	v_cndmask_b32_e64 v54, 0, 1, s10
.LBB121_98:
	s_or_b32 exec_lo, exec_lo, s3
	v_or_b32_e32 v55, 0x300, v0
	s_delay_alu instid0(VALU_DEP_1)
	v_cmp_gt_i32_e32 vcc_lo, s12, v55
                                        ; implicit-def: $vgpr55
	s_and_saveexec_b32 s3, vcc_lo
	s_cbranch_execz .LBB121_103
; %bb.99:
	v_cmp_ne_u32_e32 vcc_lo, 1, v63
	s_cbranch_vccnz .LBB121_215
; %bb.100:
	v_cmp_neq_f64_e32 vcc_lo, s[4:5], v[46:47]
	v_cmp_neq_f64_e64 s1, s[6:7], v[48:49]
	s_or_b32 s10, vcc_lo, s1
	s_cbranch_execnz .LBB121_102
.LBB121_101:
	v_cmp_eq_f64_e32 vcc_lo, s[4:5], v[46:47]
	v_cmp_eq_f64_e64 s1, s[6:7], v[48:49]
	s_and_not1_b32 s10, s10, exec_lo
	s_and_b32 s1, vcc_lo, s1
	s_delay_alu instid0(SALU_CYCLE_1) | instskip(NEXT) | instid1(SALU_CYCLE_1)
	s_and_b32 s1, s1, exec_lo
	s_or_b32 s10, s10, s1
.LBB121_102:
	s_delay_alu instid0(SALU_CYCLE_1)
	v_cndmask_b32_e64 v55, 0, 1, s10
.LBB121_103:
	s_or_b32 exec_lo, exec_lo, s3
	v_or_b32_e32 v46, 0x400, v0
	s_delay_alu instid0(VALU_DEP_1)
	v_cmp_gt_i32_e32 vcc_lo, s12, v46
                                        ; implicit-def: $vgpr46
	s_and_saveexec_b32 s3, vcc_lo
	s_cbranch_execz .LBB121_108
; %bb.104:
	v_cmp_ne_u32_e32 vcc_lo, 1, v63
	s_cbranch_vccnz .LBB121_216
; %bb.105:
	v_cmp_neq_f64_e32 vcc_lo, s[4:5], v[50:51]
	v_cmp_neq_f64_e64 s1, s[6:7], v[52:53]
	s_or_b32 s10, vcc_lo, s1
	s_cbranch_execnz .LBB121_107
.LBB121_106:
	v_cmp_eq_f64_e32 vcc_lo, s[4:5], v[50:51]
	v_cmp_eq_f64_e64 s1, s[6:7], v[52:53]
	s_and_not1_b32 s10, s10, exec_lo
	s_and_b32 s1, vcc_lo, s1
	s_delay_alu instid0(SALU_CYCLE_1) | instskip(NEXT) | instid1(SALU_CYCLE_1)
	s_and_b32 s1, s1, exec_lo
	s_or_b32 s10, s10, s1
.LBB121_107:
	s_delay_alu instid0(SALU_CYCLE_1)
	v_cndmask_b32_e64 v46, 0, 1, s10
.LBB121_108:
	s_or_b32 exec_lo, exec_lo, s3
	v_or_b32_e32 v47, 0x500, v0
	s_delay_alu instid0(VALU_DEP_1)
	v_cmp_gt_i32_e32 vcc_lo, s12, v47
                                        ; implicit-def: $vgpr47
	s_and_saveexec_b32 s3, vcc_lo
	s_cbranch_execz .LBB121_113
; %bb.109:
	v_cmp_ne_u32_e32 vcc_lo, 1, v63
	s_cbranch_vccnz .LBB121_217
; %bb.110:
	v_cmp_neq_f64_e32 vcc_lo, s[4:5], v[38:39]
	v_cmp_neq_f64_e64 s1, s[6:7], v[40:41]
	s_or_b32 s10, vcc_lo, s1
	s_cbranch_execnz .LBB121_112
.LBB121_111:
	v_cmp_eq_f64_e32 vcc_lo, s[4:5], v[38:39]
	v_cmp_eq_f64_e64 s1, s[6:7], v[40:41]
	s_and_not1_b32 s10, s10, exec_lo
	s_and_b32 s1, vcc_lo, s1
	s_delay_alu instid0(SALU_CYCLE_1) | instskip(NEXT) | instid1(SALU_CYCLE_1)
	s_and_b32 s1, s1, exec_lo
	s_or_b32 s10, s10, s1
.LBB121_112:
	s_delay_alu instid0(SALU_CYCLE_1)
	v_cndmask_b32_e64 v47, 0, 1, s10
.LBB121_113:
	s_or_b32 exec_lo, exec_lo, s3
	v_or_b32_e32 v38, 0x600, v0
	s_delay_alu instid0(VALU_DEP_1)
	v_cmp_gt_i32_e32 vcc_lo, s12, v38
                                        ; implicit-def: $vgpr38
	s_and_saveexec_b32 s3, vcc_lo
	s_cbranch_execz .LBB121_118
; %bb.114:
	v_cmp_ne_u32_e32 vcc_lo, 1, v63
	s_cbranch_vccnz .LBB121_218
; %bb.115:
	v_cmp_neq_f64_e32 vcc_lo, s[4:5], v[42:43]
	v_cmp_neq_f64_e64 s1, s[6:7], v[44:45]
	s_or_b32 s10, vcc_lo, s1
	s_cbranch_execnz .LBB121_117
.LBB121_116:
	v_cmp_eq_f64_e32 vcc_lo, s[4:5], v[42:43]
	v_cmp_eq_f64_e64 s1, s[6:7], v[44:45]
	s_and_not1_b32 s10, s10, exec_lo
	s_and_b32 s1, vcc_lo, s1
	s_delay_alu instid0(SALU_CYCLE_1) | instskip(NEXT) | instid1(SALU_CYCLE_1)
	s_and_b32 s1, s1, exec_lo
	s_or_b32 s10, s10, s1
.LBB121_117:
	s_delay_alu instid0(SALU_CYCLE_1)
	v_cndmask_b32_e64 v38, 0, 1, s10
.LBB121_118:
	s_or_b32 exec_lo, exec_lo, s3
	v_or_b32_e32 v39, 0x700, v0
	s_delay_alu instid0(VALU_DEP_1)
	v_cmp_gt_i32_e32 vcc_lo, s12, v39
                                        ; implicit-def: $vgpr39
	s_and_saveexec_b32 s3, vcc_lo
	s_cbranch_execz .LBB121_123
; %bb.119:
	v_cmp_ne_u32_e32 vcc_lo, 1, v63
	s_cbranch_vccnz .LBB121_219
; %bb.120:
	v_cmp_neq_f64_e32 vcc_lo, s[4:5], v[30:31]
	v_cmp_neq_f64_e64 s1, s[6:7], v[32:33]
	s_or_b32 s10, vcc_lo, s1
	s_cbranch_execnz .LBB121_122
.LBB121_121:
	v_cmp_eq_f64_e32 vcc_lo, s[4:5], v[30:31]
	v_cmp_eq_f64_e64 s1, s[6:7], v[32:33]
	s_and_not1_b32 s10, s10, exec_lo
	s_and_b32 s1, vcc_lo, s1
	s_delay_alu instid0(SALU_CYCLE_1) | instskip(NEXT) | instid1(SALU_CYCLE_1)
	s_and_b32 s1, s1, exec_lo
	s_or_b32 s10, s10, s1
.LBB121_122:
	s_delay_alu instid0(SALU_CYCLE_1)
	v_cndmask_b32_e64 v39, 0, 1, s10
.LBB121_123:
	s_or_b32 exec_lo, exec_lo, s3
	v_or_b32_e32 v30, 0x800, v0
	s_delay_alu instid0(VALU_DEP_1)
	v_cmp_gt_i32_e32 vcc_lo, s12, v30
                                        ; implicit-def: $vgpr30
	s_and_saveexec_b32 s3, vcc_lo
	s_cbranch_execz .LBB121_128
; %bb.124:
	v_cmp_ne_u32_e32 vcc_lo, 1, v63
	s_cbranch_vccnz .LBB121_220
; %bb.125:
	v_cmp_neq_f64_e32 vcc_lo, s[4:5], v[34:35]
	v_cmp_neq_f64_e64 s1, s[6:7], v[36:37]
	s_or_b32 s10, vcc_lo, s1
	s_cbranch_execnz .LBB121_127
.LBB121_126:
	v_cmp_eq_f64_e32 vcc_lo, s[4:5], v[34:35]
	v_cmp_eq_f64_e64 s1, s[6:7], v[36:37]
	s_and_not1_b32 s10, s10, exec_lo
	s_and_b32 s1, vcc_lo, s1
	s_delay_alu instid0(SALU_CYCLE_1) | instskip(NEXT) | instid1(SALU_CYCLE_1)
	s_and_b32 s1, s1, exec_lo
	s_or_b32 s10, s10, s1
.LBB121_127:
	s_delay_alu instid0(SALU_CYCLE_1)
	v_cndmask_b32_e64 v30, 0, 1, s10
.LBB121_128:
	s_or_b32 exec_lo, exec_lo, s3
	v_or_b32_e32 v31, 0x900, v0
	s_delay_alu instid0(VALU_DEP_1)
	v_cmp_gt_i32_e32 vcc_lo, s12, v31
                                        ; implicit-def: $vgpr31
	s_and_saveexec_b32 s3, vcc_lo
	s_cbranch_execz .LBB121_133
; %bb.129:
	v_cmp_ne_u32_e32 vcc_lo, 1, v63
	s_cbranch_vccnz .LBB121_221
; %bb.130:
	v_cmp_neq_f64_e32 vcc_lo, s[4:5], v[22:23]
	v_cmp_neq_f64_e64 s1, s[6:7], v[24:25]
	s_or_b32 s10, vcc_lo, s1
	s_cbranch_execnz .LBB121_132
.LBB121_131:
	v_cmp_eq_f64_e32 vcc_lo, s[4:5], v[22:23]
	v_cmp_eq_f64_e64 s1, s[6:7], v[24:25]
	s_and_not1_b32 s10, s10, exec_lo
	s_and_b32 s1, vcc_lo, s1
	s_delay_alu instid0(SALU_CYCLE_1) | instskip(NEXT) | instid1(SALU_CYCLE_1)
	s_and_b32 s1, s1, exec_lo
	s_or_b32 s10, s10, s1
.LBB121_132:
	s_delay_alu instid0(SALU_CYCLE_1)
	v_cndmask_b32_e64 v31, 0, 1, s10
.LBB121_133:
	s_or_b32 exec_lo, exec_lo, s3
	v_or_b32_e32 v22, 0xa00, v0
	s_delay_alu instid0(VALU_DEP_1)
	v_cmp_gt_i32_e32 vcc_lo, s12, v22
                                        ; implicit-def: $vgpr22
	s_and_saveexec_b32 s3, vcc_lo
	s_cbranch_execz .LBB121_138
; %bb.134:
	v_cmp_ne_u32_e32 vcc_lo, 1, v63
	s_cbranch_vccnz .LBB121_222
; %bb.135:
	s_wait_loadcnt 0x0
	v_cmp_neq_f64_e32 vcc_lo, s[4:5], v[26:27]
	v_cmp_neq_f64_e64 s1, s[6:7], v[28:29]
	s_or_b32 s10, vcc_lo, s1
	s_cbranch_execnz .LBB121_137
.LBB121_136:
	s_wait_loadcnt 0x0
	v_cmp_eq_f64_e32 vcc_lo, s[4:5], v[26:27]
	v_cmp_eq_f64_e64 s1, s[6:7], v[28:29]
	s_and_not1_b32 s10, s10, exec_lo
	s_and_b32 s1, vcc_lo, s1
	s_delay_alu instid0(SALU_CYCLE_1) | instskip(NEXT) | instid1(SALU_CYCLE_1)
	s_and_b32 s1, s1, exec_lo
	s_or_b32 s10, s10, s1
.LBB121_137:
	s_delay_alu instid0(SALU_CYCLE_1)
	v_cndmask_b32_e64 v22, 0, 1, s10
.LBB121_138:
	s_or_b32 exec_lo, exec_lo, s3
	v_or_b32_e32 v23, 0xb00, v0
	s_delay_alu instid0(VALU_DEP_1)
	v_cmp_gt_i32_e32 vcc_lo, s12, v23
                                        ; implicit-def: $vgpr23
	s_and_saveexec_b32 s3, vcc_lo
	s_cbranch_execz .LBB121_143
; %bb.139:
	v_cmp_ne_u32_e32 vcc_lo, 1, v63
	s_cbranch_vccnz .LBB121_223
; %bb.140:
	s_wait_loadcnt 0x0
	v_cmp_neq_f64_e32 vcc_lo, s[4:5], v[14:15]
	v_cmp_neq_f64_e64 s1, s[6:7], v[16:17]
	s_or_b32 s10, vcc_lo, s1
	s_cbranch_execnz .LBB121_142
.LBB121_141:
	s_wait_loadcnt 0x0
	v_cmp_eq_f64_e32 vcc_lo, s[4:5], v[14:15]
	v_cmp_eq_f64_e64 s1, s[6:7], v[16:17]
	s_and_not1_b32 s10, s10, exec_lo
	s_and_b32 s1, vcc_lo, s1
	s_delay_alu instid0(SALU_CYCLE_1) | instskip(NEXT) | instid1(SALU_CYCLE_1)
	s_and_b32 s1, s1, exec_lo
	s_or_b32 s10, s10, s1
.LBB121_142:
	s_delay_alu instid0(SALU_CYCLE_1)
	v_cndmask_b32_e64 v23, 0, 1, s10
.LBB121_143:
	s_or_b32 exec_lo, exec_lo, s3
	s_wait_loadcnt 0x0
	v_or_b32_e32 v14, 0xc00, v0
	s_delay_alu instid0(VALU_DEP_1)
	v_cmp_gt_i32_e32 vcc_lo, s12, v14
                                        ; implicit-def: $vgpr14
	s_and_saveexec_b32 s3, vcc_lo
	s_cbranch_execz .LBB121_148
; %bb.144:
	v_cmp_ne_u32_e32 vcc_lo, 1, v63
	s_cbranch_vccnz .LBB121_224
; %bb.145:
	v_cmp_neq_f64_e32 vcc_lo, s[4:5], v[18:19]
	v_cmp_neq_f64_e64 s1, s[6:7], v[20:21]
	s_or_b32 s10, vcc_lo, s1
	s_cbranch_execnz .LBB121_147
.LBB121_146:
	v_cmp_eq_f64_e32 vcc_lo, s[4:5], v[18:19]
	v_cmp_eq_f64_e64 s1, s[6:7], v[20:21]
	s_and_not1_b32 s10, s10, exec_lo
	s_and_b32 s1, vcc_lo, s1
	s_delay_alu instid0(SALU_CYCLE_1) | instskip(NEXT) | instid1(SALU_CYCLE_1)
	s_and_b32 s1, s1, exec_lo
	s_or_b32 s10, s10, s1
.LBB121_147:
	s_delay_alu instid0(SALU_CYCLE_1)
	v_cndmask_b32_e64 v14, 0, 1, s10
.LBB121_148:
	s_or_b32 exec_lo, exec_lo, s3
	v_or_b32_e32 v15, 0xd00, v0
	s_delay_alu instid0(VALU_DEP_1)
	v_cmp_gt_i32_e32 vcc_lo, s12, v15
                                        ; implicit-def: $vgpr15
	s_and_saveexec_b32 s3, vcc_lo
	s_cbranch_execz .LBB121_153
; %bb.149:
	v_cmp_ne_u32_e32 vcc_lo, 1, v63
	s_cbranch_vccnz .LBB121_225
; %bb.150:
	v_cmp_neq_f64_e32 vcc_lo, s[4:5], v[6:7]
	v_cmp_neq_f64_e64 s1, s[6:7], v[8:9]
	s_or_b32 s10, vcc_lo, s1
	s_cbranch_execnz .LBB121_152
.LBB121_151:
	v_cmp_eq_f64_e32 vcc_lo, s[4:5], v[6:7]
	v_cmp_eq_f64_e64 s1, s[6:7], v[8:9]
	s_and_not1_b32 s10, s10, exec_lo
	s_and_b32 s1, vcc_lo, s1
	s_delay_alu instid0(SALU_CYCLE_1) | instskip(NEXT) | instid1(SALU_CYCLE_1)
	s_and_b32 s1, s1, exec_lo
	s_or_b32 s10, s10, s1
.LBB121_152:
	s_delay_alu instid0(SALU_CYCLE_1)
	v_cndmask_b32_e64 v15, 0, 1, s10
.LBB121_153:
	s_or_b32 exec_lo, exec_lo, s3
	v_or_b32_e32 v6, 0xe00, v0
	s_delay_alu instid0(VALU_DEP_1)
	v_cmp_gt_i32_e32 vcc_lo, s12, v6
                                        ; implicit-def: $vgpr6
	s_and_saveexec_b32 s3, vcc_lo
	s_cbranch_execz .LBB121_158
; %bb.154:
	v_cmp_ne_u32_e32 vcc_lo, 1, v63
	s_cbranch_vccnz .LBB121_226
; %bb.155:
	v_cmp_neq_f64_e32 vcc_lo, s[4:5], v[10:11]
	v_cmp_neq_f64_e64 s1, s[6:7], v[12:13]
	s_or_b32 s10, vcc_lo, s1
	s_cbranch_execnz .LBB121_157
.LBB121_156:
	v_cmp_eq_f64_e32 vcc_lo, s[4:5], v[10:11]
	v_cmp_eq_f64_e64 s1, s[6:7], v[12:13]
	s_and_not1_b32 s10, s10, exec_lo
	s_and_b32 s1, vcc_lo, s1
	s_delay_alu instid0(SALU_CYCLE_1) | instskip(NEXT) | instid1(SALU_CYCLE_1)
	s_and_b32 s1, s1, exec_lo
	s_or_b32 s10, s10, s1
.LBB121_157:
	s_delay_alu instid0(SALU_CYCLE_1)
	v_cndmask_b32_e64 v6, 0, 1, s10
.LBB121_158:
	s_or_b32 exec_lo, exec_lo, s3
	v_or_b32_e32 v7, 0xf00, v0
	s_delay_alu instid0(VALU_DEP_1)
	v_cmp_gt_i32_e32 vcc_lo, s12, v7
                                        ; implicit-def: $vgpr7
	s_and_saveexec_b32 s3, vcc_lo
	s_cbranch_execz .LBB121_163
; %bb.159:
	v_cmp_ne_u32_e32 vcc_lo, 1, v63
	s_cbranch_vccnz .LBB121_227
; %bb.160:
	v_cmp_neq_f64_e32 vcc_lo, s[4:5], v[2:3]
	v_cmp_neq_f64_e64 s1, s[6:7], v[4:5]
	s_or_b32 s10, vcc_lo, s1
	s_cbranch_execnz .LBB121_162
.LBB121_161:
	v_cmp_eq_f64_e32 vcc_lo, s[4:5], v[2:3]
	v_cmp_eq_f64_e64 s1, s[6:7], v[4:5]
	s_and_not1_b32 s4, s10, exec_lo
	s_and_b32 s1, vcc_lo, s1
	s_delay_alu instid0(SALU_CYCLE_1) | instskip(NEXT) | instid1(SALU_CYCLE_1)
	s_and_b32 s1, s1, exec_lo
	s_or_b32 s10, s4, s1
.LBB121_162:
	s_delay_alu instid0(SALU_CYCLE_1)
	v_cndmask_b32_e64 v7, 0, 1, s10
.LBB121_163:
	s_or_b32 exec_lo, exec_lo, s3
	s_and_saveexec_b32 s1, s0
	s_delay_alu instid0(SALU_CYCLE_1)
	s_xor_b32 s0, exec_lo, s1
	s_cbranch_execz .LBB121_165
; %bb.164:
	v_mov_b32_e32 v0, v66
	global_store_b8 v1, v67, s[8:9]
.LBB121_165:
	s_wait_xcnt 0x0
	s_or_b32 exec_lo, exec_lo, s0
	s_delay_alu instid0(SALU_CYCLE_1)
	s_mov_b32 s0, exec_lo
	v_cmpx_gt_i32_e64 s12, v0
	s_cbranch_execnz .LBB121_181
; %bb.166:
	s_or_b32 exec_lo, exec_lo, s0
	s_delay_alu instid0(SALU_CYCLE_1)
	s_mov_b32 s0, exec_lo
	v_cmpx_gt_i32_e64 s12, v0
	s_cbranch_execnz .LBB121_182
.LBB121_167:
	s_or_b32 exec_lo, exec_lo, s0
	s_delay_alu instid0(SALU_CYCLE_1)
	s_mov_b32 s0, exec_lo
	v_cmpx_gt_i32_e64 s12, v0
	s_cbranch_execnz .LBB121_183
.LBB121_168:
	s_or_b32 exec_lo, exec_lo, s0
	s_delay_alu instid0(SALU_CYCLE_1)
	s_mov_b32 s0, exec_lo
	v_cmpx_gt_i32_e64 s12, v0
	s_cbranch_execnz .LBB121_184
.LBB121_169:
	s_or_b32 exec_lo, exec_lo, s0
	s_delay_alu instid0(SALU_CYCLE_1)
	s_mov_b32 s0, exec_lo
	v_cmpx_gt_i32_e64 s12, v0
	s_cbranch_execnz .LBB121_185
.LBB121_170:
	s_or_b32 exec_lo, exec_lo, s0
	s_delay_alu instid0(SALU_CYCLE_1)
	s_mov_b32 s0, exec_lo
	v_cmpx_gt_i32_e64 s12, v0
	s_cbranch_execnz .LBB121_186
.LBB121_171:
	s_or_b32 exec_lo, exec_lo, s0
	s_delay_alu instid0(SALU_CYCLE_1)
	s_mov_b32 s0, exec_lo
	v_cmpx_gt_i32_e64 s12, v0
	s_cbranch_execnz .LBB121_187
.LBB121_172:
	s_or_b32 exec_lo, exec_lo, s0
	s_delay_alu instid0(SALU_CYCLE_1)
	s_mov_b32 s0, exec_lo
	v_cmpx_gt_i32_e64 s12, v0
	s_cbranch_execnz .LBB121_188
.LBB121_173:
	s_or_b32 exec_lo, exec_lo, s0
	s_delay_alu instid0(SALU_CYCLE_1)
	s_mov_b32 s0, exec_lo
	v_cmpx_gt_i32_e64 s12, v0
	s_cbranch_execnz .LBB121_189
.LBB121_174:
	s_or_b32 exec_lo, exec_lo, s0
	s_delay_alu instid0(SALU_CYCLE_1)
	s_mov_b32 s0, exec_lo
	v_cmpx_gt_i32_e64 s12, v0
	s_cbranch_execnz .LBB121_190
.LBB121_175:
	s_or_b32 exec_lo, exec_lo, s0
	s_delay_alu instid0(SALU_CYCLE_1)
	s_mov_b32 s0, exec_lo
	v_cmpx_gt_i32_e64 s12, v0
	s_cbranch_execnz .LBB121_191
.LBB121_176:
	s_or_b32 exec_lo, exec_lo, s0
	s_delay_alu instid0(SALU_CYCLE_1)
	s_mov_b32 s0, exec_lo
	v_cmpx_gt_i32_e64 s12, v0
	s_cbranch_execnz .LBB121_192
.LBB121_177:
	s_or_b32 exec_lo, exec_lo, s0
	s_delay_alu instid0(SALU_CYCLE_1)
	s_mov_b32 s0, exec_lo
	v_cmpx_gt_i32_e64 s12, v0
	s_cbranch_execnz .LBB121_193
.LBB121_178:
	s_or_b32 exec_lo, exec_lo, s0
	s_delay_alu instid0(SALU_CYCLE_1)
	s_mov_b32 s0, exec_lo
	v_cmpx_gt_i32_e64 s12, v0
	s_cbranch_execnz .LBB121_194
.LBB121_179:
	s_or_b32 exec_lo, exec_lo, s0
	s_delay_alu instid0(SALU_CYCLE_1)
	s_mov_b32 s0, exec_lo
	v_cmpx_gt_i32_e64 s12, v0
	s_cbranch_execz .LBB121_195
.LBB121_180:
	v_add_nc_u32_e32 v0, s2, v0
	global_store_b8 v0, v7, s[8:9]
	s_sendmsg sendmsg(MSG_DEALLOC_VGPRS)
	s_endpgm
.LBB121_181:
	v_add_nc_u32_e32 v1, s2, v0
	v_add_nc_u32_e32 v0, 0x100, v0
	global_store_b8 v1, v62, s[8:9]
	s_wait_xcnt 0x0
	s_or_b32 exec_lo, exec_lo, s0
	s_delay_alu instid0(SALU_CYCLE_1)
	s_mov_b32 s0, exec_lo
	v_cmpx_gt_i32_e64 s12, v0
	s_cbranch_execz .LBB121_167
.LBB121_182:
	v_add_nc_u32_e32 v1, s2, v0
	v_add_nc_u32_e32 v0, 0x100, v0
	global_store_b8 v1, v54, s[8:9]
	s_wait_xcnt 0x0
	s_or_b32 exec_lo, exec_lo, s0
	s_delay_alu instid0(SALU_CYCLE_1)
	s_mov_b32 s0, exec_lo
	v_cmpx_gt_i32_e64 s12, v0
	s_cbranch_execz .LBB121_168
.LBB121_183:
	v_add_nc_u32_e32 v1, s2, v0
	v_add_nc_u32_e32 v0, 0x100, v0
	global_store_b8 v1, v55, s[8:9]
	s_wait_xcnt 0x0
	s_or_b32 exec_lo, exec_lo, s0
	s_delay_alu instid0(SALU_CYCLE_1)
	s_mov_b32 s0, exec_lo
	v_cmpx_gt_i32_e64 s12, v0
	s_cbranch_execz .LBB121_169
.LBB121_184:
	v_add_nc_u32_e32 v1, s2, v0
	v_add_nc_u32_e32 v0, 0x100, v0
	global_store_b8 v1, v46, s[8:9]
	s_wait_xcnt 0x0
	s_or_b32 exec_lo, exec_lo, s0
	s_delay_alu instid0(SALU_CYCLE_1)
	s_mov_b32 s0, exec_lo
	v_cmpx_gt_i32_e64 s12, v0
	s_cbranch_execz .LBB121_170
.LBB121_185:
	v_add_nc_u32_e32 v1, s2, v0
	v_add_nc_u32_e32 v0, 0x100, v0
	global_store_b8 v1, v47, s[8:9]
	s_wait_xcnt 0x0
	s_or_b32 exec_lo, exec_lo, s0
	s_delay_alu instid0(SALU_CYCLE_1)
	s_mov_b32 s0, exec_lo
	v_cmpx_gt_i32_e64 s12, v0
	s_cbranch_execz .LBB121_171
.LBB121_186:
	v_add_nc_u32_e32 v1, s2, v0
	v_add_nc_u32_e32 v0, 0x100, v0
	global_store_b8 v1, v38, s[8:9]
	s_wait_xcnt 0x0
	s_or_b32 exec_lo, exec_lo, s0
	s_delay_alu instid0(SALU_CYCLE_1)
	s_mov_b32 s0, exec_lo
	v_cmpx_gt_i32_e64 s12, v0
	s_cbranch_execz .LBB121_172
.LBB121_187:
	v_add_nc_u32_e32 v1, s2, v0
	v_add_nc_u32_e32 v0, 0x100, v0
	global_store_b8 v1, v39, s[8:9]
	s_wait_xcnt 0x0
	s_or_b32 exec_lo, exec_lo, s0
	s_delay_alu instid0(SALU_CYCLE_1)
	s_mov_b32 s0, exec_lo
	v_cmpx_gt_i32_e64 s12, v0
	s_cbranch_execz .LBB121_173
.LBB121_188:
	v_add_nc_u32_e32 v1, s2, v0
	v_add_nc_u32_e32 v0, 0x100, v0
	global_store_b8 v1, v30, s[8:9]
	s_wait_xcnt 0x0
	s_or_b32 exec_lo, exec_lo, s0
	s_delay_alu instid0(SALU_CYCLE_1)
	s_mov_b32 s0, exec_lo
	v_cmpx_gt_i32_e64 s12, v0
	s_cbranch_execz .LBB121_174
.LBB121_189:
	v_add_nc_u32_e32 v1, s2, v0
	v_add_nc_u32_e32 v0, 0x100, v0
	global_store_b8 v1, v31, s[8:9]
	s_wait_xcnt 0x0
	s_or_b32 exec_lo, exec_lo, s0
	s_delay_alu instid0(SALU_CYCLE_1)
	s_mov_b32 s0, exec_lo
	v_cmpx_gt_i32_e64 s12, v0
	s_cbranch_execz .LBB121_175
.LBB121_190:
	v_add_nc_u32_e32 v1, s2, v0
	v_add_nc_u32_e32 v0, 0x100, v0
	global_store_b8 v1, v22, s[8:9]
	s_wait_xcnt 0x0
	s_or_b32 exec_lo, exec_lo, s0
	s_delay_alu instid0(SALU_CYCLE_1)
	s_mov_b32 s0, exec_lo
	v_cmpx_gt_i32_e64 s12, v0
	s_cbranch_execz .LBB121_176
.LBB121_191:
	v_add_nc_u32_e32 v1, s2, v0
	v_add_nc_u32_e32 v0, 0x100, v0
	global_store_b8 v1, v23, s[8:9]
	s_wait_xcnt 0x0
	s_or_b32 exec_lo, exec_lo, s0
	s_delay_alu instid0(SALU_CYCLE_1)
	s_mov_b32 s0, exec_lo
	v_cmpx_gt_i32_e64 s12, v0
	s_cbranch_execz .LBB121_177
.LBB121_192:
	v_add_nc_u32_e32 v1, s2, v0
	v_add_nc_u32_e32 v0, 0x100, v0
	global_store_b8 v1, v14, s[8:9]
	s_wait_xcnt 0x0
	s_or_b32 exec_lo, exec_lo, s0
	s_delay_alu instid0(SALU_CYCLE_1)
	s_mov_b32 s0, exec_lo
	v_cmpx_gt_i32_e64 s12, v0
	s_cbranch_execz .LBB121_178
.LBB121_193:
	v_add_nc_u32_e32 v1, s2, v0
	v_add_nc_u32_e32 v0, 0x100, v0
	global_store_b8 v1, v15, s[8:9]
	s_wait_xcnt 0x0
	s_or_b32 exec_lo, exec_lo, s0
	s_delay_alu instid0(SALU_CYCLE_1)
	s_mov_b32 s0, exec_lo
	v_cmpx_gt_i32_e64 s12, v0
	s_cbranch_execz .LBB121_179
.LBB121_194:
	v_add_nc_u32_e32 v1, s2, v0
	v_add_nc_u32_e32 v0, 0x100, v0
	global_store_b8 v1, v6, s[8:9]
	s_wait_xcnt 0x0
	s_or_b32 exec_lo, exec_lo, s0
	s_delay_alu instid0(SALU_CYCLE_1)
	s_mov_b32 s0, exec_lo
	v_cmpx_gt_i32_e64 s12, v0
	s_cbranch_execnz .LBB121_180
.LBB121_195:
	s_sendmsg sendmsg(MSG_DEALLOC_VGPRS)
	s_endpgm
.LBB121_196:
	s_wait_xcnt 0x0
                                        ; implicit-def: $sgpr1
	s_branch .LBB121_3
.LBB121_197:
                                        ; implicit-def: $sgpr14
	s_branch .LBB121_6
.LBB121_198:
                                        ; implicit-def: $sgpr15
	s_branch .LBB121_9
.LBB121_199:
                                        ; implicit-def: $sgpr16
	s_branch .LBB121_12
.LBB121_200:
                                        ; implicit-def: $sgpr17
	s_branch .LBB121_15
.LBB121_201:
                                        ; implicit-def: $sgpr18
	s_branch .LBB121_18
.LBB121_202:
                                        ; implicit-def: $sgpr19
	s_branch .LBB121_21
.LBB121_203:
                                        ; implicit-def: $sgpr20
	s_branch .LBB121_24
.LBB121_204:
                                        ; implicit-def: $sgpr21
	s_branch .LBB121_27
.LBB121_205:
                                        ; implicit-def: $sgpr22
	s_branch .LBB121_30
.LBB121_206:
                                        ; implicit-def: $sgpr23
	s_branch .LBB121_33
.LBB121_207:
                                        ; implicit-def: $sgpr24
	s_branch .LBB121_36
.LBB121_208:
                                        ; implicit-def: $sgpr25
	s_branch .LBB121_39
.LBB121_209:
                                        ; implicit-def: $sgpr26
	s_branch .LBB121_42
.LBB121_210:
                                        ; implicit-def: $sgpr27
	s_branch .LBB121_45
.LBB121_211:
                                        ; implicit-def: $sgpr28
	s_branch .LBB121_48
.LBB121_212:
                                        ; implicit-def: $sgpr11
	s_branch .LBB121_86
.LBB121_213:
                                        ; implicit-def: $sgpr3
	s_branch .LBB121_91
.LBB121_214:
                                        ; implicit-def: $sgpr10
	s_branch .LBB121_96
.LBB121_215:
                                        ; implicit-def: $sgpr10
	s_branch .LBB121_101
.LBB121_216:
                                        ; implicit-def: $sgpr10
	s_branch .LBB121_106
.LBB121_217:
                                        ; implicit-def: $sgpr10
	s_branch .LBB121_111
.LBB121_218:
                                        ; implicit-def: $sgpr10
	s_branch .LBB121_116
.LBB121_219:
                                        ; implicit-def: $sgpr10
	s_branch .LBB121_121
.LBB121_220:
                                        ; implicit-def: $sgpr10
	s_branch .LBB121_126
.LBB121_221:
                                        ; implicit-def: $sgpr10
	s_branch .LBB121_131
.LBB121_222:
                                        ; implicit-def: $sgpr10
	s_branch .LBB121_136
.LBB121_223:
                                        ; implicit-def: $sgpr10
	s_branch .LBB121_141
.LBB121_224:
                                        ; implicit-def: $sgpr10
	s_branch .LBB121_146
.LBB121_225:
                                        ; implicit-def: $sgpr10
	s_branch .LBB121_151
.LBB121_226:
                                        ; implicit-def: $sgpr10
	s_branch .LBB121_156
.LBB121_227:
                                        ; implicit-def: $sgpr10
	s_branch .LBB121_161
	.section	.rodata,"a",@progbits
	.p2align	6, 0x0
	.amdhsa_kernel _ZN2at6native29vectorized_elementwise_kernelILi8ENS0_13AUnaryFunctorIN3c107complexIdEES5_bNS0_12_GLOBAL__N_116CompareEqFunctorIS5_EEEESt5arrayIPcLm2EEEEviT0_T1_
		.amdhsa_group_segment_fixed_size 0
		.amdhsa_private_segment_fixed_size 0
		.amdhsa_kernarg_size 64
		.amdhsa_user_sgpr_count 2
		.amdhsa_user_sgpr_dispatch_ptr 0
		.amdhsa_user_sgpr_queue_ptr 0
		.amdhsa_user_sgpr_kernarg_segment_ptr 1
		.amdhsa_user_sgpr_dispatch_id 0
		.amdhsa_user_sgpr_kernarg_preload_length 0
		.amdhsa_user_sgpr_kernarg_preload_offset 0
		.amdhsa_user_sgpr_private_segment_size 0
		.amdhsa_wavefront_size32 1
		.amdhsa_uses_dynamic_stack 0
		.amdhsa_enable_private_segment 0
		.amdhsa_system_sgpr_workgroup_id_x 1
		.amdhsa_system_sgpr_workgroup_id_y 0
		.amdhsa_system_sgpr_workgroup_id_z 0
		.amdhsa_system_sgpr_workgroup_info 0
		.amdhsa_system_vgpr_workitem_id 0
		.amdhsa_next_free_vgpr 68
		.amdhsa_next_free_sgpr 29
		.amdhsa_named_barrier_count 0
		.amdhsa_reserve_vcc 1
		.amdhsa_float_round_mode_32 0
		.amdhsa_float_round_mode_16_64 0
		.amdhsa_float_denorm_mode_32 3
		.amdhsa_float_denorm_mode_16_64 3
		.amdhsa_fp16_overflow 0
		.amdhsa_memory_ordered 1
		.amdhsa_forward_progress 1
		.amdhsa_inst_pref_size 44
		.amdhsa_round_robin_scheduling 0
		.amdhsa_exception_fp_ieee_invalid_op 0
		.amdhsa_exception_fp_denorm_src 0
		.amdhsa_exception_fp_ieee_div_zero 0
		.amdhsa_exception_fp_ieee_overflow 0
		.amdhsa_exception_fp_ieee_underflow 0
		.amdhsa_exception_fp_ieee_inexact 0
		.amdhsa_exception_int_div_zero 0
	.end_amdhsa_kernel
	.section	.text._ZN2at6native29vectorized_elementwise_kernelILi8ENS0_13AUnaryFunctorIN3c107complexIdEES5_bNS0_12_GLOBAL__N_116CompareEqFunctorIS5_EEEESt5arrayIPcLm2EEEEviT0_T1_,"axG",@progbits,_ZN2at6native29vectorized_elementwise_kernelILi8ENS0_13AUnaryFunctorIN3c107complexIdEES5_bNS0_12_GLOBAL__N_116CompareEqFunctorIS5_EEEESt5arrayIPcLm2EEEEviT0_T1_,comdat
.Lfunc_end121:
	.size	_ZN2at6native29vectorized_elementwise_kernelILi8ENS0_13AUnaryFunctorIN3c107complexIdEES5_bNS0_12_GLOBAL__N_116CompareEqFunctorIS5_EEEESt5arrayIPcLm2EEEEviT0_T1_, .Lfunc_end121-_ZN2at6native29vectorized_elementwise_kernelILi8ENS0_13AUnaryFunctorIN3c107complexIdEES5_bNS0_12_GLOBAL__N_116CompareEqFunctorIS5_EEEESt5arrayIPcLm2EEEEviT0_T1_
                                        ; -- End function
	.set _ZN2at6native29vectorized_elementwise_kernelILi8ENS0_13AUnaryFunctorIN3c107complexIdEES5_bNS0_12_GLOBAL__N_116CompareEqFunctorIS5_EEEESt5arrayIPcLm2EEEEviT0_T1_.num_vgpr, 68
	.set _ZN2at6native29vectorized_elementwise_kernelILi8ENS0_13AUnaryFunctorIN3c107complexIdEES5_bNS0_12_GLOBAL__N_116CompareEqFunctorIS5_EEEESt5arrayIPcLm2EEEEviT0_T1_.num_agpr, 0
	.set _ZN2at6native29vectorized_elementwise_kernelILi8ENS0_13AUnaryFunctorIN3c107complexIdEES5_bNS0_12_GLOBAL__N_116CompareEqFunctorIS5_EEEESt5arrayIPcLm2EEEEviT0_T1_.numbered_sgpr, 29
	.set _ZN2at6native29vectorized_elementwise_kernelILi8ENS0_13AUnaryFunctorIN3c107complexIdEES5_bNS0_12_GLOBAL__N_116CompareEqFunctorIS5_EEEESt5arrayIPcLm2EEEEviT0_T1_.num_named_barrier, 0
	.set _ZN2at6native29vectorized_elementwise_kernelILi8ENS0_13AUnaryFunctorIN3c107complexIdEES5_bNS0_12_GLOBAL__N_116CompareEqFunctorIS5_EEEESt5arrayIPcLm2EEEEviT0_T1_.private_seg_size, 0
	.set _ZN2at6native29vectorized_elementwise_kernelILi8ENS0_13AUnaryFunctorIN3c107complexIdEES5_bNS0_12_GLOBAL__N_116CompareEqFunctorIS5_EEEESt5arrayIPcLm2EEEEviT0_T1_.uses_vcc, 1
	.set _ZN2at6native29vectorized_elementwise_kernelILi8ENS0_13AUnaryFunctorIN3c107complexIdEES5_bNS0_12_GLOBAL__N_116CompareEqFunctorIS5_EEEESt5arrayIPcLm2EEEEviT0_T1_.uses_flat_scratch, 0
	.set _ZN2at6native29vectorized_elementwise_kernelILi8ENS0_13AUnaryFunctorIN3c107complexIdEES5_bNS0_12_GLOBAL__N_116CompareEqFunctorIS5_EEEESt5arrayIPcLm2EEEEviT0_T1_.has_dyn_sized_stack, 0
	.set _ZN2at6native29vectorized_elementwise_kernelILi8ENS0_13AUnaryFunctorIN3c107complexIdEES5_bNS0_12_GLOBAL__N_116CompareEqFunctorIS5_EEEESt5arrayIPcLm2EEEEviT0_T1_.has_recursion, 0
	.set _ZN2at6native29vectorized_elementwise_kernelILi8ENS0_13AUnaryFunctorIN3c107complexIdEES5_bNS0_12_GLOBAL__N_116CompareEqFunctorIS5_EEEESt5arrayIPcLm2EEEEviT0_T1_.has_indirect_call, 0
	.section	.AMDGPU.csdata,"",@progbits
; Kernel info:
; codeLenInByte = 5564
; TotalNumSgprs: 31
; NumVgprs: 68
; ScratchSize: 0
; MemoryBound: 1
; FloatMode: 240
; IeeeMode: 1
; LDSByteSize: 0 bytes/workgroup (compile time only)
; SGPRBlocks: 0
; VGPRBlocks: 4
; NumSGPRsForWavesPerEU: 31
; NumVGPRsForWavesPerEU: 68
; NamedBarCnt: 0
; Occupancy: 12
; WaveLimiterHint : 1
; COMPUTE_PGM_RSRC2:SCRATCH_EN: 0
; COMPUTE_PGM_RSRC2:USER_SGPR: 2
; COMPUTE_PGM_RSRC2:TRAP_HANDLER: 0
; COMPUTE_PGM_RSRC2:TGID_X_EN: 1
; COMPUTE_PGM_RSRC2:TGID_Y_EN: 0
; COMPUTE_PGM_RSRC2:TGID_Z_EN: 0
; COMPUTE_PGM_RSRC2:TIDIG_COMP_CNT: 0
	.section	.text._ZN2at6native29vectorized_elementwise_kernelILi4ENS0_13AUnaryFunctorIN3c107complexIdEES5_bNS0_12_GLOBAL__N_116CompareEqFunctorIS5_EEEESt5arrayIPcLm2EEEEviT0_T1_,"axG",@progbits,_ZN2at6native29vectorized_elementwise_kernelILi4ENS0_13AUnaryFunctorIN3c107complexIdEES5_bNS0_12_GLOBAL__N_116CompareEqFunctorIS5_EEEESt5arrayIPcLm2EEEEviT0_T1_,comdat
	.globl	_ZN2at6native29vectorized_elementwise_kernelILi4ENS0_13AUnaryFunctorIN3c107complexIdEES5_bNS0_12_GLOBAL__N_116CompareEqFunctorIS5_EEEESt5arrayIPcLm2EEEEviT0_T1_ ; -- Begin function _ZN2at6native29vectorized_elementwise_kernelILi4ENS0_13AUnaryFunctorIN3c107complexIdEES5_bNS0_12_GLOBAL__N_116CompareEqFunctorIS5_EEEESt5arrayIPcLm2EEEEviT0_T1_
	.p2align	8
	.type	_ZN2at6native29vectorized_elementwise_kernelILi4ENS0_13AUnaryFunctorIN3c107complexIdEES5_bNS0_12_GLOBAL__N_116CompareEqFunctorIS5_EEEESt5arrayIPcLm2EEEEviT0_T1_,@function
_ZN2at6native29vectorized_elementwise_kernelILi4ENS0_13AUnaryFunctorIN3c107complexIdEES5_bNS0_12_GLOBAL__N_116CompareEqFunctorIS5_EEEESt5arrayIPcLm2EEEEviT0_T1_: ; @_ZN2at6native29vectorized_elementwise_kernelILi4ENS0_13AUnaryFunctorIN3c107complexIdEES5_bNS0_12_GLOBAL__N_116CompareEqFunctorIS5_EEEESt5arrayIPcLm2EEEEviT0_T1_
; %bb.0:
	s_clause 0x2
	s_load_b32 s3, s[0:1], 0x0
	s_load_b32 s13, s[0:1], 0x10
	s_load_b256 s[4:11], s[0:1], 0x20
	s_wait_xcnt 0x0
	s_bfe_u32 s0, ttmp6, 0x4000c
	s_and_b32 s1, ttmp6, 15
	s_add_co_i32 s0, s0, 1
	s_getreg_b32 s2, hwreg(HW_REG_IB_STS2, 6, 4)
	s_mul_i32 s0, ttmp9, s0
	s_delay_alu instid0(SALU_CYCLE_1) | instskip(SKIP_2) | instid1(SALU_CYCLE_1)
	s_add_co_i32 s1, s1, s0
	s_cmp_eq_u32 s2, 0
	s_cselect_b32 s0, ttmp9, s1
	s_lshl_b32 s2, s0, 12
	s_mov_b32 s0, -1
	s_wait_kmcnt 0x0
	s_sub_co_i32 s12, s3, s2
	s_delay_alu instid0(SALU_CYCLE_1)
	s_cmp_gt_i32 s12, 0xfff
	s_cbranch_scc0 .LBB122_50
; %bb.1:
	s_ashr_i32 s3, s2, 31
	v_lshlrev_b32_e32 v1, 6, v0
	s_lshl_b64 s[0:1], s[2:3], 4
	s_cmp_lg_u32 s13, 0
	s_add_nc_u64 s[0:1], s[10:11], s[0:1]
	s_cselect_b32 s14, -1, 0
	s_clause 0xf
	global_load_b128 v[50:53], v1, s[0:1] offset:48
	global_load_b128 v[54:57], v1, s[0:1] offset:32
	global_load_b128 v[58:61], v1, s[0:1] offset:16
	global_load_b128 v[62:65], v1, s[0:1]
	global_load_b128 v[34:37], v1, s[0:1] offset:16432
	global_load_b128 v[38:41], v1, s[0:1] offset:16416
	;; [unrolled: 1-line block ×12, first 2 shown]
	s_and_b32 vcc_lo, exec_lo, s14
	s_cbranch_vccz .LBB122_196
; %bb.2:
	s_wait_loadcnt 0xc
	v_cmp_neq_f64_e32 vcc_lo, s[4:5], v[62:63]
	s_wait_xcnt 0x0
	v_cmp_neq_f64_e64 s0, s[6:7], v[64:65]
	s_or_b32 s1, vcc_lo, s0
	s_cbranch_execnz .LBB122_4
.LBB122_3:
	s_wait_loadcnt 0xc
	v_cmp_eq_f64_e32 vcc_lo, s[4:5], v[62:63]
	v_cmp_eq_f64_e64 s0, s[6:7], v[64:65]
	s_and_not1_b32 s1, s1, exec_lo
	s_and_b32 s0, vcc_lo, s0
	s_delay_alu instid0(SALU_CYCLE_1) | instskip(NEXT) | instid1(SALU_CYCLE_1)
	s_and_b32 s0, s0, exec_lo
	s_or_b32 s1, s1, s0
.LBB122_4:
	v_cndmask_b32_e64 v1, 0, 1, s14
	s_and_not1_b32 vcc_lo, exec_lo, s14
	s_cbranch_vccnz .LBB122_197
; %bb.5:
	s_wait_loadcnt 0xd
	v_cmp_neq_f64_e32 vcc_lo, s[4:5], v[58:59]
	v_cmp_neq_f64_e64 s0, s[6:7], v[60:61]
	s_or_b32 s14, vcc_lo, s0
	s_cbranch_execnz .LBB122_7
.LBB122_6:
	s_wait_loadcnt 0xd
	v_cmp_eq_f64_e32 vcc_lo, s[4:5], v[58:59]
	v_cmp_eq_f64_e64 s0, s[6:7], v[60:61]
	s_and_not1_b32 s14, s14, exec_lo
	s_and_b32 s0, vcc_lo, s0
	s_delay_alu instid0(SALU_CYCLE_1) | instskip(NEXT) | instid1(SALU_CYCLE_1)
	s_and_b32 s0, s0, exec_lo
	s_or_b32 s14, s14, s0
.LBB122_7:
	v_cmp_ne_u32_e32 vcc_lo, 1, v1
	s_cbranch_vccnz .LBB122_198
; %bb.8:
	s_wait_loadcnt 0xe
	v_cmp_neq_f64_e32 vcc_lo, s[4:5], v[54:55]
	v_cmp_neq_f64_e64 s0, s[6:7], v[56:57]
	s_or_b32 s15, vcc_lo, s0
	s_cbranch_execnz .LBB122_10
.LBB122_9:
	s_wait_loadcnt 0xe
	v_cmp_eq_f64_e32 vcc_lo, s[4:5], v[54:55]
	v_cmp_eq_f64_e64 s0, s[6:7], v[56:57]
	s_and_not1_b32 s15, s15, exec_lo
	s_and_b32 s0, vcc_lo, s0
	s_delay_alu instid0(SALU_CYCLE_1) | instskip(NEXT) | instid1(SALU_CYCLE_1)
	s_and_b32 s0, s0, exec_lo
	s_or_b32 s15, s15, s0
.LBB122_10:
	v_cmp_ne_u32_e32 vcc_lo, 1, v1
	s_cbranch_vccnz .LBB122_199
; %bb.11:
	s_wait_loadcnt 0xf
	v_cmp_neq_f64_e32 vcc_lo, s[4:5], v[50:51]
	v_cmp_neq_f64_e64 s0, s[6:7], v[52:53]
	s_or_b32 s16, vcc_lo, s0
	s_cbranch_execnz .LBB122_13
.LBB122_12:
	s_wait_loadcnt 0xf
	v_cmp_eq_f64_e32 vcc_lo, s[4:5], v[50:51]
	v_cmp_eq_f64_e64 s0, s[6:7], v[52:53]
	s_and_not1_b32 s16, s16, exec_lo
	s_and_b32 s0, vcc_lo, s0
	s_delay_alu instid0(SALU_CYCLE_1) | instskip(NEXT) | instid1(SALU_CYCLE_1)
	s_and_b32 s0, s0, exec_lo
	s_or_b32 s16, s16, s0
.LBB122_13:
	v_cmp_ne_u32_e32 vcc_lo, 1, v1
	s_cbranch_vccnz .LBB122_200
; %bb.14:
	s_wait_loadcnt 0x8
	v_cmp_neq_f64_e32 vcc_lo, s[4:5], v[46:47]
	v_cmp_neq_f64_e64 s0, s[6:7], v[48:49]
	s_or_b32 s17, vcc_lo, s0
	s_cbranch_execnz .LBB122_16
.LBB122_15:
	s_wait_loadcnt 0x8
	v_cmp_eq_f64_e32 vcc_lo, s[4:5], v[46:47]
	v_cmp_eq_f64_e64 s0, s[6:7], v[48:49]
	s_and_not1_b32 s17, s17, exec_lo
	s_and_b32 s0, vcc_lo, s0
	s_delay_alu instid0(SALU_CYCLE_1) | instskip(NEXT) | instid1(SALU_CYCLE_1)
	s_and_b32 s0, s0, exec_lo
	s_or_b32 s17, s17, s0
.LBB122_16:
	v_cmp_ne_u32_e32 vcc_lo, 1, v1
	s_cbranch_vccnz .LBB122_201
; %bb.17:
	s_wait_loadcnt 0x9
	v_cmp_neq_f64_e32 vcc_lo, s[4:5], v[42:43]
	v_cmp_neq_f64_e64 s0, s[6:7], v[44:45]
	s_or_b32 s18, vcc_lo, s0
	s_cbranch_execnz .LBB122_19
.LBB122_18:
	s_wait_loadcnt 0x9
	v_cmp_eq_f64_e32 vcc_lo, s[4:5], v[42:43]
	v_cmp_eq_f64_e64 s0, s[6:7], v[44:45]
	s_and_not1_b32 s18, s18, exec_lo
	s_and_b32 s0, vcc_lo, s0
	s_delay_alu instid0(SALU_CYCLE_1) | instskip(NEXT) | instid1(SALU_CYCLE_1)
	s_and_b32 s0, s0, exec_lo
	s_or_b32 s18, s18, s0
.LBB122_19:
	v_cmp_ne_u32_e32 vcc_lo, 1, v1
	s_cbranch_vccnz .LBB122_202
; %bb.20:
	s_wait_loadcnt 0xa
	v_cmp_neq_f64_e32 vcc_lo, s[4:5], v[38:39]
	v_cmp_neq_f64_e64 s0, s[6:7], v[40:41]
	s_or_b32 s19, vcc_lo, s0
	s_cbranch_execnz .LBB122_22
.LBB122_21:
	s_wait_loadcnt 0xa
	v_cmp_eq_f64_e32 vcc_lo, s[4:5], v[38:39]
	v_cmp_eq_f64_e64 s0, s[6:7], v[40:41]
	s_and_not1_b32 s19, s19, exec_lo
	s_and_b32 s0, vcc_lo, s0
	s_delay_alu instid0(SALU_CYCLE_1) | instskip(NEXT) | instid1(SALU_CYCLE_1)
	s_and_b32 s0, s0, exec_lo
	s_or_b32 s19, s19, s0
.LBB122_22:
	v_cmp_ne_u32_e32 vcc_lo, 1, v1
	s_cbranch_vccnz .LBB122_203
; %bb.23:
	s_wait_loadcnt 0xb
	v_cmp_neq_f64_e32 vcc_lo, s[4:5], v[34:35]
	v_cmp_neq_f64_e64 s0, s[6:7], v[36:37]
	s_or_b32 s20, vcc_lo, s0
	s_cbranch_execnz .LBB122_25
.LBB122_24:
	s_wait_loadcnt 0xb
	v_cmp_eq_f64_e32 vcc_lo, s[4:5], v[34:35]
	v_cmp_eq_f64_e64 s0, s[6:7], v[36:37]
	s_and_not1_b32 s20, s20, exec_lo
	s_and_b32 s0, vcc_lo, s0
	s_delay_alu instid0(SALU_CYCLE_1) | instskip(NEXT) | instid1(SALU_CYCLE_1)
	s_and_b32 s0, s0, exec_lo
	s_or_b32 s20, s20, s0
.LBB122_25:
	v_cmp_ne_u32_e32 vcc_lo, 1, v1
	s_cbranch_vccnz .LBB122_204
; %bb.26:
	s_wait_loadcnt 0x4
	v_cmp_neq_f64_e32 vcc_lo, s[4:5], v[30:31]
	v_cmp_neq_f64_e64 s0, s[6:7], v[32:33]
	s_or_b32 s21, vcc_lo, s0
	s_cbranch_execnz .LBB122_28
.LBB122_27:
	s_wait_loadcnt 0x4
	v_cmp_eq_f64_e32 vcc_lo, s[4:5], v[30:31]
	v_cmp_eq_f64_e64 s0, s[6:7], v[32:33]
	s_and_not1_b32 s21, s21, exec_lo
	s_and_b32 s0, vcc_lo, s0
	s_delay_alu instid0(SALU_CYCLE_1) | instskip(NEXT) | instid1(SALU_CYCLE_1)
	s_and_b32 s0, s0, exec_lo
	s_or_b32 s21, s21, s0
.LBB122_28:
	v_cmp_ne_u32_e32 vcc_lo, 1, v1
	s_cbranch_vccnz .LBB122_205
; %bb.29:
	s_wait_loadcnt 0x5
	v_cmp_neq_f64_e32 vcc_lo, s[4:5], v[26:27]
	v_cmp_neq_f64_e64 s0, s[6:7], v[28:29]
	s_or_b32 s22, vcc_lo, s0
	s_cbranch_execnz .LBB122_31
.LBB122_30:
	s_wait_loadcnt 0x5
	v_cmp_eq_f64_e32 vcc_lo, s[4:5], v[26:27]
	v_cmp_eq_f64_e64 s0, s[6:7], v[28:29]
	s_and_not1_b32 s22, s22, exec_lo
	s_and_b32 s0, vcc_lo, s0
	s_delay_alu instid0(SALU_CYCLE_1) | instskip(NEXT) | instid1(SALU_CYCLE_1)
	s_and_b32 s0, s0, exec_lo
	s_or_b32 s22, s22, s0
.LBB122_31:
	v_cmp_ne_u32_e32 vcc_lo, 1, v1
	s_cbranch_vccnz .LBB122_206
; %bb.32:
	s_wait_loadcnt 0x6
	v_cmp_neq_f64_e32 vcc_lo, s[4:5], v[22:23]
	v_cmp_neq_f64_e64 s0, s[6:7], v[24:25]
	s_or_b32 s23, vcc_lo, s0
	s_cbranch_execnz .LBB122_34
.LBB122_33:
	s_wait_loadcnt 0x6
	v_cmp_eq_f64_e32 vcc_lo, s[4:5], v[22:23]
	v_cmp_eq_f64_e64 s0, s[6:7], v[24:25]
	s_and_not1_b32 s23, s23, exec_lo
	s_and_b32 s0, vcc_lo, s0
	s_delay_alu instid0(SALU_CYCLE_1) | instskip(NEXT) | instid1(SALU_CYCLE_1)
	s_and_b32 s0, s0, exec_lo
	s_or_b32 s23, s23, s0
.LBB122_34:
	v_cmp_ne_u32_e32 vcc_lo, 1, v1
	s_cbranch_vccnz .LBB122_207
; %bb.35:
	s_wait_loadcnt 0x7
	v_cmp_neq_f64_e32 vcc_lo, s[4:5], v[18:19]
	v_cmp_neq_f64_e64 s0, s[6:7], v[20:21]
	s_or_b32 s24, vcc_lo, s0
	s_cbranch_execnz .LBB122_37
.LBB122_36:
	s_wait_loadcnt 0x7
	v_cmp_eq_f64_e32 vcc_lo, s[4:5], v[18:19]
	v_cmp_eq_f64_e64 s0, s[6:7], v[20:21]
	s_and_not1_b32 s24, s24, exec_lo
	s_and_b32 s0, vcc_lo, s0
	s_delay_alu instid0(SALU_CYCLE_1) | instskip(NEXT) | instid1(SALU_CYCLE_1)
	s_and_b32 s0, s0, exec_lo
	s_or_b32 s24, s24, s0
.LBB122_37:
	v_cmp_ne_u32_e32 vcc_lo, 1, v1
	s_cbranch_vccnz .LBB122_208
; %bb.38:
	s_wait_loadcnt 0x0
	v_cmp_neq_f64_e32 vcc_lo, s[4:5], v[14:15]
	v_cmp_neq_f64_e64 s0, s[6:7], v[16:17]
	s_or_b32 s25, vcc_lo, s0
	s_cbranch_execnz .LBB122_40
.LBB122_39:
	s_wait_loadcnt 0x0
	v_cmp_eq_f64_e32 vcc_lo, s[4:5], v[14:15]
	v_cmp_eq_f64_e64 s0, s[6:7], v[16:17]
	s_and_not1_b32 s25, s25, exec_lo
	s_and_b32 s0, vcc_lo, s0
	s_delay_alu instid0(SALU_CYCLE_1) | instskip(NEXT) | instid1(SALU_CYCLE_1)
	s_and_b32 s0, s0, exec_lo
	s_or_b32 s25, s25, s0
.LBB122_40:
	v_cmp_ne_u32_e32 vcc_lo, 1, v1
	s_cbranch_vccnz .LBB122_209
; %bb.41:
	s_wait_loadcnt 0x1
	v_cmp_neq_f64_e32 vcc_lo, s[4:5], v[10:11]
	v_cmp_neq_f64_e64 s0, s[6:7], v[12:13]
	s_or_b32 s26, vcc_lo, s0
	s_cbranch_execnz .LBB122_43
.LBB122_42:
	s_wait_loadcnt 0x1
	v_cmp_eq_f64_e32 vcc_lo, s[4:5], v[10:11]
	v_cmp_eq_f64_e64 s0, s[6:7], v[12:13]
	s_and_not1_b32 s26, s26, exec_lo
	s_and_b32 s0, vcc_lo, s0
	s_delay_alu instid0(SALU_CYCLE_1) | instskip(NEXT) | instid1(SALU_CYCLE_1)
	s_and_b32 s0, s0, exec_lo
	s_or_b32 s26, s26, s0
.LBB122_43:
	v_cmp_ne_u32_e32 vcc_lo, 1, v1
	s_cbranch_vccnz .LBB122_210
; %bb.44:
	s_wait_loadcnt 0x2
	v_cmp_neq_f64_e32 vcc_lo, s[4:5], v[6:7]
	v_cmp_neq_f64_e64 s0, s[6:7], v[8:9]
	s_or_b32 s27, vcc_lo, s0
	s_cbranch_execnz .LBB122_46
.LBB122_45:
	s_wait_loadcnt 0x2
	v_cmp_eq_f64_e32 vcc_lo, s[4:5], v[6:7]
	v_cmp_eq_f64_e64 s0, s[6:7], v[8:9]
	s_and_not1_b32 s27, s27, exec_lo
	s_and_b32 s0, vcc_lo, s0
	s_delay_alu instid0(SALU_CYCLE_1) | instskip(NEXT) | instid1(SALU_CYCLE_1)
	s_and_b32 s0, s0, exec_lo
	s_or_b32 s27, s27, s0
.LBB122_46:
	v_cmp_ne_u32_e32 vcc_lo, 1, v1
	s_cbranch_vccnz .LBB122_211
; %bb.47:
	s_wait_loadcnt 0x3
	v_cmp_neq_f64_e32 vcc_lo, s[4:5], v[2:3]
	v_cmp_neq_f64_e64 s0, s[6:7], v[4:5]
	s_or_b32 s28, vcc_lo, s0
	s_cbranch_execnz .LBB122_49
.LBB122_48:
	s_wait_loadcnt 0x3
	v_cmp_eq_f64_e32 vcc_lo, s[4:5], v[2:3]
	v_cmp_eq_f64_e64 s0, s[6:7], v[4:5]
	s_and_not1_b32 s28, s28, exec_lo
	s_and_b32 s0, vcc_lo, s0
	s_delay_alu instid0(SALU_CYCLE_1) | instskip(NEXT) | instid1(SALU_CYCLE_1)
	s_and_b32 s0, s0, exec_lo
	s_or_b32 s28, s28, s0
.LBB122_49:
	v_cndmask_b32_e64 v1, 0, 0x100, s26
	s_wait_loadcnt 0x3
	v_cndmask_b32_e64 v2, 0, 1, s25
	v_cndmask_b32_e64 v3, 0, 0x100, s22
	;; [unrolled: 1-line block ×3, first 2 shown]
	s_wait_loadcnt 0x2
	v_cndmask_b32_e64 v6, 0, 0x100, s14
	v_cndmask_b32_e64 v7, 0, 1, s1
	v_or_b32_e32 v1, v1, v2
	s_wait_loadcnt 0x1
	v_cndmask_b32_e64 v10, 0, 0x1000000, s16
	v_or_b32_e32 v2, v3, v4
	v_cndmask_b32_e64 v3, 0, 0x100, s18
	v_cndmask_b32_e64 v4, 0, 1, s17
	v_or_b32_e32 v6, v6, v7
	v_cndmask_b32_e64 v7, 0, 0x10000, s15
	v_cndmask_b32_e64 v11, 0, 0x1000000, s20
	;; [unrolled: 1-line block ×3, first 2 shown]
	v_or_b32_e32 v3, v3, v4
	v_cndmask_b32_e64 v4, 0, 0x10000, s19
	v_cndmask_b32_e64 v9, 0, 0x1000000, s24
	;; [unrolled: 1-line block ×4, first 2 shown]
	v_or3_b32 v6, v6, v7, v10
	v_or3_b32 v3, v3, v4, v11
	;; [unrolled: 1-line block ×3, first 2 shown]
	s_add_nc_u64 s[14:15], s[8:9], s[2:3]
	v_or3_b32 v1, v1, v5, v12
	s_mov_b32 s0, 0
	s_clause 0x3
	global_store_b32 v0, v6, s[14:15] scale_offset
	global_store_b32 v0, v3, s[14:15] offset:1024 scale_offset
	global_store_b32 v0, v2, s[14:15] offset:2048 scale_offset
	;; [unrolled: 1-line block ×3, first 2 shown]
.LBB122_50:
	s_and_b32 vcc_lo, exec_lo, s0
	s_cbranch_vccz .LBB122_195
; %bb.51:
	v_mov_b64_e32 v[54:55], 0
	v_mov_b64_e32 v[62:63], 0
	;; [unrolled: 1-line block ×3, first 2 shown]
	v_cmp_gt_i32_e64 s0, s12, v0
	s_wait_xcnt 0x0
	v_dual_mov_b32 v67, v0 :: v_dual_bitop2_b32 v1, s2, v0 bitop3:0x54
	v_or_b32_e32 v66, 0x100, v0
	s_and_saveexec_b32 s1, s0
	s_cbranch_execz .LBB122_53
; %bb.52:
	global_load_b128 v[62:65], v1, s[10:11] scale_offset
	v_or_b32_e32 v67, 0x100, v0
.LBB122_53:
	s_wait_xcnt 0x0
	s_or_b32 exec_lo, exec_lo, s1
	v_mov_b64_e32 v[56:57], 0
	s_mov_b32 s1, exec_lo
	v_cmpx_gt_i32_e64 s12, v67
	s_cbranch_execz .LBB122_55
; %bb.54:
	v_add_nc_u32_e32 v2, s2, v67
	v_add_nc_u32_e32 v67, 0x100, v67
	global_load_b128 v[54:57], v2, s[10:11] scale_offset
.LBB122_55:
	s_wait_xcnt 0x0
	s_or_b32 exec_lo, exec_lo, s1
	v_mov_b64_e32 v[46:47], 0
	v_mov_b64_e32 v[58:59], 0
	v_mov_b64_e32 v[60:61], 0
	s_mov_b32 s1, exec_lo
	v_cmpx_gt_i32_e64 s12, v67
	s_cbranch_execz .LBB122_57
; %bb.56:
	v_add_nc_u32_e32 v2, s2, v67
	v_add_nc_u32_e32 v67, 0x100, v67
	global_load_b128 v[58:61], v2, s[10:11] scale_offset
.LBB122_57:
	s_wait_xcnt 0x0
	s_or_b32 exec_lo, exec_lo, s1
	v_mov_b64_e32 v[48:49], 0
	s_mov_b32 s1, exec_lo
	v_cmpx_gt_i32_e64 s12, v67
	s_cbranch_execz .LBB122_59
; %bb.58:
	v_add_nc_u32_e32 v2, s2, v67
	v_add_nc_u32_e32 v67, 0x100, v67
	global_load_b128 v[46:49], v2, s[10:11] scale_offset
.LBB122_59:
	s_wait_xcnt 0x0
	s_or_b32 exec_lo, exec_lo, s1
	v_mov_b64_e32 v[38:39], 0
	v_mov_b64_e32 v[50:51], 0
	v_mov_b64_e32 v[52:53], 0
	s_mov_b32 s1, exec_lo
	v_cmpx_gt_i32_e64 s12, v67
	s_cbranch_execz .LBB122_61
; %bb.60:
	v_add_nc_u32_e32 v2, s2, v67
	v_add_nc_u32_e32 v67, 0x100, v67
	global_load_b128 v[50:53], v2, s[10:11] scale_offset
.LBB122_61:
	;; [unrolled: 24-line block ×4, first 2 shown]
	s_wait_xcnt 0x0
	s_or_b32 exec_lo, exec_lo, s1
	v_mov_b64_e32 v[24:25], 0
	s_mov_b32 s1, exec_lo
	v_cmpx_gt_i32_e64 s12, v67
	s_cbranch_execz .LBB122_71
; %bb.70:
	v_add_nc_u32_e32 v2, s2, v67
	v_add_nc_u32_e32 v67, 0x100, v67
	global_load_b128 v[22:25], v2, s[10:11] scale_offset
.LBB122_71:
	s_wait_xcnt 0x0
	s_or_b32 exec_lo, exec_lo, s1
	s_wait_loadcnt 0x0
	v_mov_b64_e32 v[14:15], 0
	v_mov_b64_e32 v[26:27], 0
	;; [unrolled: 1-line block ×3, first 2 shown]
	s_mov_b32 s1, exec_lo
	v_cmpx_gt_i32_e64 s12, v67
	s_cbranch_execz .LBB122_73
; %bb.72:
	v_add_nc_u32_e32 v2, s2, v67
	v_add_nc_u32_e32 v67, 0x100, v67
	global_load_b128 v[26:29], v2, s[10:11] scale_offset
.LBB122_73:
	s_wait_xcnt 0x0
	s_or_b32 exec_lo, exec_lo, s1
	v_mov_b64_e32 v[16:17], 0
	s_mov_b32 s1, exec_lo
	v_cmpx_gt_i32_e64 s12, v67
	s_cbranch_execz .LBB122_75
; %bb.74:
	v_add_nc_u32_e32 v2, s2, v67
	v_add_nc_u32_e32 v67, 0x100, v67
	global_load_b128 v[14:17], v2, s[10:11] scale_offset
.LBB122_75:
	s_wait_xcnt 0x0
	s_or_b32 exec_lo, exec_lo, s1
	v_mov_b64_e32 v[6:7], 0
	v_mov_b64_e32 v[18:19], 0
	;; [unrolled: 1-line block ×3, first 2 shown]
	s_mov_b32 s1, exec_lo
	v_cmpx_gt_i32_e64 s12, v67
	s_cbranch_execz .LBB122_77
; %bb.76:
	v_add_nc_u32_e32 v2, s2, v67
	v_add_nc_u32_e32 v67, 0x100, v67
	global_load_b128 v[18:21], v2, s[10:11] scale_offset
.LBB122_77:
	s_wait_xcnt 0x0
	s_or_b32 exec_lo, exec_lo, s1
	v_mov_b64_e32 v[8:9], 0
	s_mov_b32 s1, exec_lo
	v_cmpx_gt_i32_e64 s12, v67
	s_cbranch_execz .LBB122_79
; %bb.78:
	v_add_nc_u32_e32 v2, s2, v67
	v_add_nc_u32_e32 v67, 0x100, v67
	global_load_b128 v[6:9], v2, s[10:11] scale_offset
.LBB122_79:
	s_wait_xcnt 0x0
	s_or_b32 exec_lo, exec_lo, s1
	v_mov_b64_e32 v[2:3], 0
	v_mov_b64_e32 v[10:11], 0
	v_mov_b64_e32 v[12:13], 0
	s_mov_b32 s1, exec_lo
	v_cmpx_gt_i32_e64 s12, v67
	s_cbranch_execz .LBB122_81
; %bb.80:
	v_add_nc_u32_e32 v4, s2, v67
	v_add_nc_u32_e32 v67, 0x100, v67
	global_load_b128 v[10:13], v4, s[10:11] scale_offset
.LBB122_81:
	s_wait_xcnt 0x0
	s_or_b32 exec_lo, exec_lo, s1
	v_mov_b64_e32 v[4:5], 0
	s_mov_b32 s1, exec_lo
	v_cmpx_gt_i32_e64 s12, v67
	s_cbranch_execz .LBB122_83
; %bb.82:
	v_add_nc_u32_e32 v2, s2, v67
	global_load_b128 v[2:5], v2, s[10:11] scale_offset
.LBB122_83:
	s_wait_xcnt 0x0
	s_or_b32 exec_lo, exec_lo, s1
	s_cmp_lg_u32 s13, 0
                                        ; implicit-def: $vgpr67
	s_cselect_b32 s3, -1, 0
	s_and_saveexec_b32 s10, s0
	s_cbranch_execz .LBB122_88
; %bb.84:
	s_and_b32 vcc_lo, exec_lo, s3
	s_cbranch_vccz .LBB122_212
; %bb.85:
	v_cmp_neq_f64_e32 vcc_lo, s[4:5], v[62:63]
	v_cmp_neq_f64_e64 s1, s[6:7], v[64:65]
	s_or_b32 s11, vcc_lo, s1
	s_cbranch_execnz .LBB122_87
.LBB122_86:
	v_cmp_eq_f64_e32 vcc_lo, s[4:5], v[62:63]
	v_cmp_eq_f64_e64 s1, s[6:7], v[64:65]
	s_and_not1_b32 s11, s11, exec_lo
	s_and_b32 s1, vcc_lo, s1
	s_delay_alu instid0(SALU_CYCLE_1) | instskip(NEXT) | instid1(SALU_CYCLE_1)
	s_and_b32 s1, s1, exec_lo
	s_or_b32 s11, s11, s1
.LBB122_87:
	s_delay_alu instid0(SALU_CYCLE_1)
	v_cndmask_b32_e64 v67, 0, 1, s11
.LBB122_88:
	s_or_b32 exec_lo, exec_lo, s10
	v_cndmask_b32_e64 v63, 0, 1, s3
	s_mov_b32 s10, exec_lo
                                        ; implicit-def: $vgpr62
	v_cmpx_gt_i32_e64 s12, v66
	s_cbranch_execz .LBB122_93
; %bb.89:
	s_and_not1_b32 vcc_lo, exec_lo, s3
	s_cbranch_vccnz .LBB122_213
; %bb.90:
	v_cmp_neq_f64_e32 vcc_lo, s[4:5], v[54:55]
	v_cmp_neq_f64_e64 s1, s[6:7], v[56:57]
	s_or_b32 s3, vcc_lo, s1
	s_cbranch_execnz .LBB122_92
.LBB122_91:
	v_cmp_eq_f64_e32 vcc_lo, s[4:5], v[54:55]
	v_cmp_eq_f64_e64 s1, s[6:7], v[56:57]
	s_and_not1_b32 s3, s3, exec_lo
	s_and_b32 s1, vcc_lo, s1
	s_delay_alu instid0(SALU_CYCLE_1) | instskip(NEXT) | instid1(SALU_CYCLE_1)
	s_and_b32 s1, s1, exec_lo
	s_or_b32 s3, s3, s1
.LBB122_92:
	s_delay_alu instid0(SALU_CYCLE_1)
	v_cndmask_b32_e64 v62, 0, 1, s3
.LBB122_93:
	s_or_b32 exec_lo, exec_lo, s10
	v_or_b32_e32 v54, 0x200, v0
	s_delay_alu instid0(VALU_DEP_1)
	v_cmp_gt_i32_e32 vcc_lo, s12, v54
                                        ; implicit-def: $vgpr54
	s_and_saveexec_b32 s3, vcc_lo
	s_cbranch_execz .LBB122_98
; %bb.94:
	v_cmp_ne_u32_e32 vcc_lo, 1, v63
	s_cbranch_vccnz .LBB122_214
; %bb.95:
	v_cmp_neq_f64_e32 vcc_lo, s[4:5], v[58:59]
	v_cmp_neq_f64_e64 s1, s[6:7], v[60:61]
	s_or_b32 s10, vcc_lo, s1
	s_cbranch_execnz .LBB122_97
.LBB122_96:
	v_cmp_eq_f64_e32 vcc_lo, s[4:5], v[58:59]
	v_cmp_eq_f64_e64 s1, s[6:7], v[60:61]
	s_and_not1_b32 s10, s10, exec_lo
	s_and_b32 s1, vcc_lo, s1
	s_delay_alu instid0(SALU_CYCLE_1) | instskip(NEXT) | instid1(SALU_CYCLE_1)
	s_and_b32 s1, s1, exec_lo
	s_or_b32 s10, s10, s1
.LBB122_97:
	s_delay_alu instid0(SALU_CYCLE_1)
	v_cndmask_b32_e64 v54, 0, 1, s10
.LBB122_98:
	s_or_b32 exec_lo, exec_lo, s3
	v_or_b32_e32 v55, 0x300, v0
	s_delay_alu instid0(VALU_DEP_1)
	v_cmp_gt_i32_e32 vcc_lo, s12, v55
                                        ; implicit-def: $vgpr55
	s_and_saveexec_b32 s3, vcc_lo
	s_cbranch_execz .LBB122_103
; %bb.99:
	v_cmp_ne_u32_e32 vcc_lo, 1, v63
	s_cbranch_vccnz .LBB122_215
; %bb.100:
	v_cmp_neq_f64_e32 vcc_lo, s[4:5], v[46:47]
	v_cmp_neq_f64_e64 s1, s[6:7], v[48:49]
	s_or_b32 s10, vcc_lo, s1
	s_cbranch_execnz .LBB122_102
.LBB122_101:
	v_cmp_eq_f64_e32 vcc_lo, s[4:5], v[46:47]
	v_cmp_eq_f64_e64 s1, s[6:7], v[48:49]
	s_and_not1_b32 s10, s10, exec_lo
	s_and_b32 s1, vcc_lo, s1
	s_delay_alu instid0(SALU_CYCLE_1) | instskip(NEXT) | instid1(SALU_CYCLE_1)
	s_and_b32 s1, s1, exec_lo
	s_or_b32 s10, s10, s1
.LBB122_102:
	s_delay_alu instid0(SALU_CYCLE_1)
	v_cndmask_b32_e64 v55, 0, 1, s10
.LBB122_103:
	s_or_b32 exec_lo, exec_lo, s3
	v_or_b32_e32 v46, 0x400, v0
	s_delay_alu instid0(VALU_DEP_1)
	v_cmp_gt_i32_e32 vcc_lo, s12, v46
                                        ; implicit-def: $vgpr46
	s_and_saveexec_b32 s3, vcc_lo
	s_cbranch_execz .LBB122_108
; %bb.104:
	v_cmp_ne_u32_e32 vcc_lo, 1, v63
	s_cbranch_vccnz .LBB122_216
; %bb.105:
	v_cmp_neq_f64_e32 vcc_lo, s[4:5], v[50:51]
	v_cmp_neq_f64_e64 s1, s[6:7], v[52:53]
	s_or_b32 s10, vcc_lo, s1
	s_cbranch_execnz .LBB122_107
.LBB122_106:
	v_cmp_eq_f64_e32 vcc_lo, s[4:5], v[50:51]
	v_cmp_eq_f64_e64 s1, s[6:7], v[52:53]
	s_and_not1_b32 s10, s10, exec_lo
	s_and_b32 s1, vcc_lo, s1
	s_delay_alu instid0(SALU_CYCLE_1) | instskip(NEXT) | instid1(SALU_CYCLE_1)
	s_and_b32 s1, s1, exec_lo
	s_or_b32 s10, s10, s1
.LBB122_107:
	s_delay_alu instid0(SALU_CYCLE_1)
	v_cndmask_b32_e64 v46, 0, 1, s10
.LBB122_108:
	s_or_b32 exec_lo, exec_lo, s3
	v_or_b32_e32 v47, 0x500, v0
	s_delay_alu instid0(VALU_DEP_1)
	v_cmp_gt_i32_e32 vcc_lo, s12, v47
                                        ; implicit-def: $vgpr47
	s_and_saveexec_b32 s3, vcc_lo
	s_cbranch_execz .LBB122_113
; %bb.109:
	v_cmp_ne_u32_e32 vcc_lo, 1, v63
	s_cbranch_vccnz .LBB122_217
; %bb.110:
	v_cmp_neq_f64_e32 vcc_lo, s[4:5], v[38:39]
	v_cmp_neq_f64_e64 s1, s[6:7], v[40:41]
	s_or_b32 s10, vcc_lo, s1
	s_cbranch_execnz .LBB122_112
.LBB122_111:
	v_cmp_eq_f64_e32 vcc_lo, s[4:5], v[38:39]
	v_cmp_eq_f64_e64 s1, s[6:7], v[40:41]
	s_and_not1_b32 s10, s10, exec_lo
	s_and_b32 s1, vcc_lo, s1
	s_delay_alu instid0(SALU_CYCLE_1) | instskip(NEXT) | instid1(SALU_CYCLE_1)
	s_and_b32 s1, s1, exec_lo
	s_or_b32 s10, s10, s1
.LBB122_112:
	s_delay_alu instid0(SALU_CYCLE_1)
	v_cndmask_b32_e64 v47, 0, 1, s10
.LBB122_113:
	s_or_b32 exec_lo, exec_lo, s3
	v_or_b32_e32 v38, 0x600, v0
	s_delay_alu instid0(VALU_DEP_1)
	v_cmp_gt_i32_e32 vcc_lo, s12, v38
                                        ; implicit-def: $vgpr38
	s_and_saveexec_b32 s3, vcc_lo
	s_cbranch_execz .LBB122_118
; %bb.114:
	v_cmp_ne_u32_e32 vcc_lo, 1, v63
	s_cbranch_vccnz .LBB122_218
; %bb.115:
	v_cmp_neq_f64_e32 vcc_lo, s[4:5], v[42:43]
	v_cmp_neq_f64_e64 s1, s[6:7], v[44:45]
	s_or_b32 s10, vcc_lo, s1
	s_cbranch_execnz .LBB122_117
.LBB122_116:
	v_cmp_eq_f64_e32 vcc_lo, s[4:5], v[42:43]
	v_cmp_eq_f64_e64 s1, s[6:7], v[44:45]
	s_and_not1_b32 s10, s10, exec_lo
	s_and_b32 s1, vcc_lo, s1
	s_delay_alu instid0(SALU_CYCLE_1) | instskip(NEXT) | instid1(SALU_CYCLE_1)
	s_and_b32 s1, s1, exec_lo
	s_or_b32 s10, s10, s1
.LBB122_117:
	s_delay_alu instid0(SALU_CYCLE_1)
	v_cndmask_b32_e64 v38, 0, 1, s10
.LBB122_118:
	s_or_b32 exec_lo, exec_lo, s3
	v_or_b32_e32 v39, 0x700, v0
	s_delay_alu instid0(VALU_DEP_1)
	v_cmp_gt_i32_e32 vcc_lo, s12, v39
                                        ; implicit-def: $vgpr39
	s_and_saveexec_b32 s3, vcc_lo
	s_cbranch_execz .LBB122_123
; %bb.119:
	v_cmp_ne_u32_e32 vcc_lo, 1, v63
	s_cbranch_vccnz .LBB122_219
; %bb.120:
	v_cmp_neq_f64_e32 vcc_lo, s[4:5], v[30:31]
	v_cmp_neq_f64_e64 s1, s[6:7], v[32:33]
	s_or_b32 s10, vcc_lo, s1
	s_cbranch_execnz .LBB122_122
.LBB122_121:
	v_cmp_eq_f64_e32 vcc_lo, s[4:5], v[30:31]
	v_cmp_eq_f64_e64 s1, s[6:7], v[32:33]
	s_and_not1_b32 s10, s10, exec_lo
	s_and_b32 s1, vcc_lo, s1
	s_delay_alu instid0(SALU_CYCLE_1) | instskip(NEXT) | instid1(SALU_CYCLE_1)
	s_and_b32 s1, s1, exec_lo
	s_or_b32 s10, s10, s1
.LBB122_122:
	s_delay_alu instid0(SALU_CYCLE_1)
	v_cndmask_b32_e64 v39, 0, 1, s10
.LBB122_123:
	s_or_b32 exec_lo, exec_lo, s3
	v_or_b32_e32 v30, 0x800, v0
	s_delay_alu instid0(VALU_DEP_1)
	v_cmp_gt_i32_e32 vcc_lo, s12, v30
                                        ; implicit-def: $vgpr30
	s_and_saveexec_b32 s3, vcc_lo
	s_cbranch_execz .LBB122_128
; %bb.124:
	v_cmp_ne_u32_e32 vcc_lo, 1, v63
	s_cbranch_vccnz .LBB122_220
; %bb.125:
	v_cmp_neq_f64_e32 vcc_lo, s[4:5], v[34:35]
	v_cmp_neq_f64_e64 s1, s[6:7], v[36:37]
	s_or_b32 s10, vcc_lo, s1
	s_cbranch_execnz .LBB122_127
.LBB122_126:
	v_cmp_eq_f64_e32 vcc_lo, s[4:5], v[34:35]
	v_cmp_eq_f64_e64 s1, s[6:7], v[36:37]
	s_and_not1_b32 s10, s10, exec_lo
	s_and_b32 s1, vcc_lo, s1
	s_delay_alu instid0(SALU_CYCLE_1) | instskip(NEXT) | instid1(SALU_CYCLE_1)
	s_and_b32 s1, s1, exec_lo
	s_or_b32 s10, s10, s1
.LBB122_127:
	s_delay_alu instid0(SALU_CYCLE_1)
	v_cndmask_b32_e64 v30, 0, 1, s10
.LBB122_128:
	s_or_b32 exec_lo, exec_lo, s3
	v_or_b32_e32 v31, 0x900, v0
	s_delay_alu instid0(VALU_DEP_1)
	v_cmp_gt_i32_e32 vcc_lo, s12, v31
                                        ; implicit-def: $vgpr31
	s_and_saveexec_b32 s3, vcc_lo
	s_cbranch_execz .LBB122_133
; %bb.129:
	v_cmp_ne_u32_e32 vcc_lo, 1, v63
	s_cbranch_vccnz .LBB122_221
; %bb.130:
	v_cmp_neq_f64_e32 vcc_lo, s[4:5], v[22:23]
	v_cmp_neq_f64_e64 s1, s[6:7], v[24:25]
	s_or_b32 s10, vcc_lo, s1
	s_cbranch_execnz .LBB122_132
.LBB122_131:
	v_cmp_eq_f64_e32 vcc_lo, s[4:5], v[22:23]
	v_cmp_eq_f64_e64 s1, s[6:7], v[24:25]
	s_and_not1_b32 s10, s10, exec_lo
	s_and_b32 s1, vcc_lo, s1
	s_delay_alu instid0(SALU_CYCLE_1) | instskip(NEXT) | instid1(SALU_CYCLE_1)
	s_and_b32 s1, s1, exec_lo
	s_or_b32 s10, s10, s1
.LBB122_132:
	s_delay_alu instid0(SALU_CYCLE_1)
	v_cndmask_b32_e64 v31, 0, 1, s10
.LBB122_133:
	s_or_b32 exec_lo, exec_lo, s3
	v_or_b32_e32 v22, 0xa00, v0
	s_delay_alu instid0(VALU_DEP_1)
	v_cmp_gt_i32_e32 vcc_lo, s12, v22
                                        ; implicit-def: $vgpr22
	s_and_saveexec_b32 s3, vcc_lo
	s_cbranch_execz .LBB122_138
; %bb.134:
	v_cmp_ne_u32_e32 vcc_lo, 1, v63
	s_cbranch_vccnz .LBB122_222
; %bb.135:
	s_wait_loadcnt 0x0
	v_cmp_neq_f64_e32 vcc_lo, s[4:5], v[26:27]
	v_cmp_neq_f64_e64 s1, s[6:7], v[28:29]
	s_or_b32 s10, vcc_lo, s1
	s_cbranch_execnz .LBB122_137
.LBB122_136:
	s_wait_loadcnt 0x0
	v_cmp_eq_f64_e32 vcc_lo, s[4:5], v[26:27]
	v_cmp_eq_f64_e64 s1, s[6:7], v[28:29]
	s_and_not1_b32 s10, s10, exec_lo
	s_and_b32 s1, vcc_lo, s1
	s_delay_alu instid0(SALU_CYCLE_1) | instskip(NEXT) | instid1(SALU_CYCLE_1)
	s_and_b32 s1, s1, exec_lo
	s_or_b32 s10, s10, s1
.LBB122_137:
	s_delay_alu instid0(SALU_CYCLE_1)
	v_cndmask_b32_e64 v22, 0, 1, s10
.LBB122_138:
	s_or_b32 exec_lo, exec_lo, s3
	v_or_b32_e32 v23, 0xb00, v0
	s_delay_alu instid0(VALU_DEP_1)
	v_cmp_gt_i32_e32 vcc_lo, s12, v23
                                        ; implicit-def: $vgpr23
	s_and_saveexec_b32 s3, vcc_lo
	s_cbranch_execz .LBB122_143
; %bb.139:
	v_cmp_ne_u32_e32 vcc_lo, 1, v63
	s_cbranch_vccnz .LBB122_223
; %bb.140:
	s_wait_loadcnt 0x0
	v_cmp_neq_f64_e32 vcc_lo, s[4:5], v[14:15]
	v_cmp_neq_f64_e64 s1, s[6:7], v[16:17]
	s_or_b32 s10, vcc_lo, s1
	s_cbranch_execnz .LBB122_142
.LBB122_141:
	s_wait_loadcnt 0x0
	v_cmp_eq_f64_e32 vcc_lo, s[4:5], v[14:15]
	v_cmp_eq_f64_e64 s1, s[6:7], v[16:17]
	s_and_not1_b32 s10, s10, exec_lo
	s_and_b32 s1, vcc_lo, s1
	s_delay_alu instid0(SALU_CYCLE_1) | instskip(NEXT) | instid1(SALU_CYCLE_1)
	s_and_b32 s1, s1, exec_lo
	s_or_b32 s10, s10, s1
.LBB122_142:
	s_delay_alu instid0(SALU_CYCLE_1)
	v_cndmask_b32_e64 v23, 0, 1, s10
.LBB122_143:
	s_or_b32 exec_lo, exec_lo, s3
	s_wait_loadcnt 0x0
	v_or_b32_e32 v14, 0xc00, v0
	s_delay_alu instid0(VALU_DEP_1)
	v_cmp_gt_i32_e32 vcc_lo, s12, v14
                                        ; implicit-def: $vgpr14
	s_and_saveexec_b32 s3, vcc_lo
	s_cbranch_execz .LBB122_148
; %bb.144:
	v_cmp_ne_u32_e32 vcc_lo, 1, v63
	s_cbranch_vccnz .LBB122_224
; %bb.145:
	v_cmp_neq_f64_e32 vcc_lo, s[4:5], v[18:19]
	v_cmp_neq_f64_e64 s1, s[6:7], v[20:21]
	s_or_b32 s10, vcc_lo, s1
	s_cbranch_execnz .LBB122_147
.LBB122_146:
	v_cmp_eq_f64_e32 vcc_lo, s[4:5], v[18:19]
	v_cmp_eq_f64_e64 s1, s[6:7], v[20:21]
	s_and_not1_b32 s10, s10, exec_lo
	s_and_b32 s1, vcc_lo, s1
	s_delay_alu instid0(SALU_CYCLE_1) | instskip(NEXT) | instid1(SALU_CYCLE_1)
	s_and_b32 s1, s1, exec_lo
	s_or_b32 s10, s10, s1
.LBB122_147:
	s_delay_alu instid0(SALU_CYCLE_1)
	v_cndmask_b32_e64 v14, 0, 1, s10
.LBB122_148:
	s_or_b32 exec_lo, exec_lo, s3
	v_or_b32_e32 v15, 0xd00, v0
	s_delay_alu instid0(VALU_DEP_1)
	v_cmp_gt_i32_e32 vcc_lo, s12, v15
                                        ; implicit-def: $vgpr15
	s_and_saveexec_b32 s3, vcc_lo
	s_cbranch_execz .LBB122_153
; %bb.149:
	v_cmp_ne_u32_e32 vcc_lo, 1, v63
	s_cbranch_vccnz .LBB122_225
; %bb.150:
	v_cmp_neq_f64_e32 vcc_lo, s[4:5], v[6:7]
	v_cmp_neq_f64_e64 s1, s[6:7], v[8:9]
	s_or_b32 s10, vcc_lo, s1
	s_cbranch_execnz .LBB122_152
.LBB122_151:
	v_cmp_eq_f64_e32 vcc_lo, s[4:5], v[6:7]
	v_cmp_eq_f64_e64 s1, s[6:7], v[8:9]
	s_and_not1_b32 s10, s10, exec_lo
	s_and_b32 s1, vcc_lo, s1
	s_delay_alu instid0(SALU_CYCLE_1) | instskip(NEXT) | instid1(SALU_CYCLE_1)
	s_and_b32 s1, s1, exec_lo
	s_or_b32 s10, s10, s1
.LBB122_152:
	s_delay_alu instid0(SALU_CYCLE_1)
	v_cndmask_b32_e64 v15, 0, 1, s10
.LBB122_153:
	s_or_b32 exec_lo, exec_lo, s3
	v_or_b32_e32 v6, 0xe00, v0
	s_delay_alu instid0(VALU_DEP_1)
	v_cmp_gt_i32_e32 vcc_lo, s12, v6
                                        ; implicit-def: $vgpr6
	s_and_saveexec_b32 s3, vcc_lo
	s_cbranch_execz .LBB122_158
; %bb.154:
	v_cmp_ne_u32_e32 vcc_lo, 1, v63
	s_cbranch_vccnz .LBB122_226
; %bb.155:
	v_cmp_neq_f64_e32 vcc_lo, s[4:5], v[10:11]
	v_cmp_neq_f64_e64 s1, s[6:7], v[12:13]
	s_or_b32 s10, vcc_lo, s1
	s_cbranch_execnz .LBB122_157
.LBB122_156:
	v_cmp_eq_f64_e32 vcc_lo, s[4:5], v[10:11]
	v_cmp_eq_f64_e64 s1, s[6:7], v[12:13]
	s_and_not1_b32 s10, s10, exec_lo
	s_and_b32 s1, vcc_lo, s1
	s_delay_alu instid0(SALU_CYCLE_1) | instskip(NEXT) | instid1(SALU_CYCLE_1)
	s_and_b32 s1, s1, exec_lo
	s_or_b32 s10, s10, s1
.LBB122_157:
	s_delay_alu instid0(SALU_CYCLE_1)
	v_cndmask_b32_e64 v6, 0, 1, s10
.LBB122_158:
	s_or_b32 exec_lo, exec_lo, s3
	v_or_b32_e32 v7, 0xf00, v0
	s_delay_alu instid0(VALU_DEP_1)
	v_cmp_gt_i32_e32 vcc_lo, s12, v7
                                        ; implicit-def: $vgpr7
	s_and_saveexec_b32 s3, vcc_lo
	s_cbranch_execz .LBB122_163
; %bb.159:
	v_cmp_ne_u32_e32 vcc_lo, 1, v63
	s_cbranch_vccnz .LBB122_227
; %bb.160:
	v_cmp_neq_f64_e32 vcc_lo, s[4:5], v[2:3]
	v_cmp_neq_f64_e64 s1, s[6:7], v[4:5]
	s_or_b32 s10, vcc_lo, s1
	s_cbranch_execnz .LBB122_162
.LBB122_161:
	v_cmp_eq_f64_e32 vcc_lo, s[4:5], v[2:3]
	v_cmp_eq_f64_e64 s1, s[6:7], v[4:5]
	s_and_not1_b32 s4, s10, exec_lo
	s_and_b32 s1, vcc_lo, s1
	s_delay_alu instid0(SALU_CYCLE_1) | instskip(NEXT) | instid1(SALU_CYCLE_1)
	s_and_b32 s1, s1, exec_lo
	s_or_b32 s10, s4, s1
.LBB122_162:
	s_delay_alu instid0(SALU_CYCLE_1)
	v_cndmask_b32_e64 v7, 0, 1, s10
.LBB122_163:
	s_or_b32 exec_lo, exec_lo, s3
	s_and_saveexec_b32 s1, s0
	s_delay_alu instid0(SALU_CYCLE_1)
	s_xor_b32 s0, exec_lo, s1
	s_cbranch_execz .LBB122_165
; %bb.164:
	v_mov_b32_e32 v0, v66
	global_store_b8 v1, v67, s[8:9]
.LBB122_165:
	s_wait_xcnt 0x0
	s_or_b32 exec_lo, exec_lo, s0
	s_delay_alu instid0(SALU_CYCLE_1)
	s_mov_b32 s0, exec_lo
	v_cmpx_gt_i32_e64 s12, v0
	s_cbranch_execnz .LBB122_181
; %bb.166:
	s_or_b32 exec_lo, exec_lo, s0
	s_delay_alu instid0(SALU_CYCLE_1)
	s_mov_b32 s0, exec_lo
	v_cmpx_gt_i32_e64 s12, v0
	s_cbranch_execnz .LBB122_182
.LBB122_167:
	s_or_b32 exec_lo, exec_lo, s0
	s_delay_alu instid0(SALU_CYCLE_1)
	s_mov_b32 s0, exec_lo
	v_cmpx_gt_i32_e64 s12, v0
	s_cbranch_execnz .LBB122_183
.LBB122_168:
	s_or_b32 exec_lo, exec_lo, s0
	s_delay_alu instid0(SALU_CYCLE_1)
	s_mov_b32 s0, exec_lo
	v_cmpx_gt_i32_e64 s12, v0
	s_cbranch_execnz .LBB122_184
.LBB122_169:
	s_or_b32 exec_lo, exec_lo, s0
	s_delay_alu instid0(SALU_CYCLE_1)
	s_mov_b32 s0, exec_lo
	v_cmpx_gt_i32_e64 s12, v0
	s_cbranch_execnz .LBB122_185
.LBB122_170:
	s_or_b32 exec_lo, exec_lo, s0
	s_delay_alu instid0(SALU_CYCLE_1)
	s_mov_b32 s0, exec_lo
	v_cmpx_gt_i32_e64 s12, v0
	s_cbranch_execnz .LBB122_186
.LBB122_171:
	s_or_b32 exec_lo, exec_lo, s0
	s_delay_alu instid0(SALU_CYCLE_1)
	s_mov_b32 s0, exec_lo
	v_cmpx_gt_i32_e64 s12, v0
	s_cbranch_execnz .LBB122_187
.LBB122_172:
	s_or_b32 exec_lo, exec_lo, s0
	s_delay_alu instid0(SALU_CYCLE_1)
	s_mov_b32 s0, exec_lo
	v_cmpx_gt_i32_e64 s12, v0
	s_cbranch_execnz .LBB122_188
.LBB122_173:
	s_or_b32 exec_lo, exec_lo, s0
	s_delay_alu instid0(SALU_CYCLE_1)
	s_mov_b32 s0, exec_lo
	v_cmpx_gt_i32_e64 s12, v0
	s_cbranch_execnz .LBB122_189
.LBB122_174:
	s_or_b32 exec_lo, exec_lo, s0
	s_delay_alu instid0(SALU_CYCLE_1)
	s_mov_b32 s0, exec_lo
	v_cmpx_gt_i32_e64 s12, v0
	s_cbranch_execnz .LBB122_190
.LBB122_175:
	s_or_b32 exec_lo, exec_lo, s0
	s_delay_alu instid0(SALU_CYCLE_1)
	s_mov_b32 s0, exec_lo
	v_cmpx_gt_i32_e64 s12, v0
	s_cbranch_execnz .LBB122_191
.LBB122_176:
	s_or_b32 exec_lo, exec_lo, s0
	s_delay_alu instid0(SALU_CYCLE_1)
	s_mov_b32 s0, exec_lo
	v_cmpx_gt_i32_e64 s12, v0
	s_cbranch_execnz .LBB122_192
.LBB122_177:
	s_or_b32 exec_lo, exec_lo, s0
	s_delay_alu instid0(SALU_CYCLE_1)
	s_mov_b32 s0, exec_lo
	v_cmpx_gt_i32_e64 s12, v0
	s_cbranch_execnz .LBB122_193
.LBB122_178:
	s_or_b32 exec_lo, exec_lo, s0
	s_delay_alu instid0(SALU_CYCLE_1)
	s_mov_b32 s0, exec_lo
	v_cmpx_gt_i32_e64 s12, v0
	s_cbranch_execnz .LBB122_194
.LBB122_179:
	s_or_b32 exec_lo, exec_lo, s0
	s_delay_alu instid0(SALU_CYCLE_1)
	s_mov_b32 s0, exec_lo
	v_cmpx_gt_i32_e64 s12, v0
	s_cbranch_execz .LBB122_195
.LBB122_180:
	v_add_nc_u32_e32 v0, s2, v0
	global_store_b8 v0, v7, s[8:9]
	s_sendmsg sendmsg(MSG_DEALLOC_VGPRS)
	s_endpgm
.LBB122_181:
	v_add_nc_u32_e32 v1, s2, v0
	v_add_nc_u32_e32 v0, 0x100, v0
	global_store_b8 v1, v62, s[8:9]
	s_wait_xcnt 0x0
	s_or_b32 exec_lo, exec_lo, s0
	s_delay_alu instid0(SALU_CYCLE_1)
	s_mov_b32 s0, exec_lo
	v_cmpx_gt_i32_e64 s12, v0
	s_cbranch_execz .LBB122_167
.LBB122_182:
	v_add_nc_u32_e32 v1, s2, v0
	v_add_nc_u32_e32 v0, 0x100, v0
	global_store_b8 v1, v54, s[8:9]
	s_wait_xcnt 0x0
	s_or_b32 exec_lo, exec_lo, s0
	s_delay_alu instid0(SALU_CYCLE_1)
	s_mov_b32 s0, exec_lo
	v_cmpx_gt_i32_e64 s12, v0
	s_cbranch_execz .LBB122_168
.LBB122_183:
	v_add_nc_u32_e32 v1, s2, v0
	v_add_nc_u32_e32 v0, 0x100, v0
	global_store_b8 v1, v55, s[8:9]
	s_wait_xcnt 0x0
	s_or_b32 exec_lo, exec_lo, s0
	s_delay_alu instid0(SALU_CYCLE_1)
	s_mov_b32 s0, exec_lo
	v_cmpx_gt_i32_e64 s12, v0
	s_cbranch_execz .LBB122_169
.LBB122_184:
	v_add_nc_u32_e32 v1, s2, v0
	v_add_nc_u32_e32 v0, 0x100, v0
	global_store_b8 v1, v46, s[8:9]
	s_wait_xcnt 0x0
	s_or_b32 exec_lo, exec_lo, s0
	s_delay_alu instid0(SALU_CYCLE_1)
	s_mov_b32 s0, exec_lo
	v_cmpx_gt_i32_e64 s12, v0
	s_cbranch_execz .LBB122_170
.LBB122_185:
	v_add_nc_u32_e32 v1, s2, v0
	v_add_nc_u32_e32 v0, 0x100, v0
	global_store_b8 v1, v47, s[8:9]
	s_wait_xcnt 0x0
	s_or_b32 exec_lo, exec_lo, s0
	s_delay_alu instid0(SALU_CYCLE_1)
	s_mov_b32 s0, exec_lo
	v_cmpx_gt_i32_e64 s12, v0
	s_cbranch_execz .LBB122_171
.LBB122_186:
	v_add_nc_u32_e32 v1, s2, v0
	v_add_nc_u32_e32 v0, 0x100, v0
	global_store_b8 v1, v38, s[8:9]
	s_wait_xcnt 0x0
	s_or_b32 exec_lo, exec_lo, s0
	s_delay_alu instid0(SALU_CYCLE_1)
	s_mov_b32 s0, exec_lo
	v_cmpx_gt_i32_e64 s12, v0
	s_cbranch_execz .LBB122_172
.LBB122_187:
	v_add_nc_u32_e32 v1, s2, v0
	v_add_nc_u32_e32 v0, 0x100, v0
	global_store_b8 v1, v39, s[8:9]
	s_wait_xcnt 0x0
	s_or_b32 exec_lo, exec_lo, s0
	s_delay_alu instid0(SALU_CYCLE_1)
	s_mov_b32 s0, exec_lo
	v_cmpx_gt_i32_e64 s12, v0
	s_cbranch_execz .LBB122_173
.LBB122_188:
	v_add_nc_u32_e32 v1, s2, v0
	v_add_nc_u32_e32 v0, 0x100, v0
	global_store_b8 v1, v30, s[8:9]
	s_wait_xcnt 0x0
	s_or_b32 exec_lo, exec_lo, s0
	s_delay_alu instid0(SALU_CYCLE_1)
	s_mov_b32 s0, exec_lo
	v_cmpx_gt_i32_e64 s12, v0
	s_cbranch_execz .LBB122_174
.LBB122_189:
	v_add_nc_u32_e32 v1, s2, v0
	v_add_nc_u32_e32 v0, 0x100, v0
	global_store_b8 v1, v31, s[8:9]
	s_wait_xcnt 0x0
	s_or_b32 exec_lo, exec_lo, s0
	s_delay_alu instid0(SALU_CYCLE_1)
	s_mov_b32 s0, exec_lo
	v_cmpx_gt_i32_e64 s12, v0
	s_cbranch_execz .LBB122_175
.LBB122_190:
	v_add_nc_u32_e32 v1, s2, v0
	v_add_nc_u32_e32 v0, 0x100, v0
	global_store_b8 v1, v22, s[8:9]
	s_wait_xcnt 0x0
	s_or_b32 exec_lo, exec_lo, s0
	s_delay_alu instid0(SALU_CYCLE_1)
	s_mov_b32 s0, exec_lo
	v_cmpx_gt_i32_e64 s12, v0
	s_cbranch_execz .LBB122_176
.LBB122_191:
	v_add_nc_u32_e32 v1, s2, v0
	v_add_nc_u32_e32 v0, 0x100, v0
	global_store_b8 v1, v23, s[8:9]
	s_wait_xcnt 0x0
	s_or_b32 exec_lo, exec_lo, s0
	s_delay_alu instid0(SALU_CYCLE_1)
	s_mov_b32 s0, exec_lo
	v_cmpx_gt_i32_e64 s12, v0
	s_cbranch_execz .LBB122_177
.LBB122_192:
	v_add_nc_u32_e32 v1, s2, v0
	v_add_nc_u32_e32 v0, 0x100, v0
	global_store_b8 v1, v14, s[8:9]
	s_wait_xcnt 0x0
	s_or_b32 exec_lo, exec_lo, s0
	s_delay_alu instid0(SALU_CYCLE_1)
	s_mov_b32 s0, exec_lo
	v_cmpx_gt_i32_e64 s12, v0
	s_cbranch_execz .LBB122_178
.LBB122_193:
	v_add_nc_u32_e32 v1, s2, v0
	v_add_nc_u32_e32 v0, 0x100, v0
	global_store_b8 v1, v15, s[8:9]
	s_wait_xcnt 0x0
	s_or_b32 exec_lo, exec_lo, s0
	s_delay_alu instid0(SALU_CYCLE_1)
	s_mov_b32 s0, exec_lo
	v_cmpx_gt_i32_e64 s12, v0
	s_cbranch_execz .LBB122_179
.LBB122_194:
	v_add_nc_u32_e32 v1, s2, v0
	v_add_nc_u32_e32 v0, 0x100, v0
	global_store_b8 v1, v6, s[8:9]
	s_wait_xcnt 0x0
	s_or_b32 exec_lo, exec_lo, s0
	s_delay_alu instid0(SALU_CYCLE_1)
	s_mov_b32 s0, exec_lo
	v_cmpx_gt_i32_e64 s12, v0
	s_cbranch_execnz .LBB122_180
.LBB122_195:
	s_sendmsg sendmsg(MSG_DEALLOC_VGPRS)
	s_endpgm
.LBB122_196:
	s_wait_xcnt 0x0
                                        ; implicit-def: $sgpr1
	s_branch .LBB122_3
.LBB122_197:
                                        ; implicit-def: $sgpr14
	s_branch .LBB122_6
.LBB122_198:
                                        ; implicit-def: $sgpr15
	s_branch .LBB122_9
.LBB122_199:
                                        ; implicit-def: $sgpr16
	s_branch .LBB122_12
.LBB122_200:
                                        ; implicit-def: $sgpr17
	s_branch .LBB122_15
.LBB122_201:
                                        ; implicit-def: $sgpr18
	s_branch .LBB122_18
.LBB122_202:
                                        ; implicit-def: $sgpr19
	s_branch .LBB122_21
.LBB122_203:
                                        ; implicit-def: $sgpr20
	s_branch .LBB122_24
.LBB122_204:
                                        ; implicit-def: $sgpr21
	s_branch .LBB122_27
.LBB122_205:
                                        ; implicit-def: $sgpr22
	s_branch .LBB122_30
.LBB122_206:
                                        ; implicit-def: $sgpr23
	s_branch .LBB122_33
.LBB122_207:
                                        ; implicit-def: $sgpr24
	s_branch .LBB122_36
.LBB122_208:
                                        ; implicit-def: $sgpr25
	s_branch .LBB122_39
.LBB122_209:
                                        ; implicit-def: $sgpr26
	s_branch .LBB122_42
.LBB122_210:
                                        ; implicit-def: $sgpr27
	s_branch .LBB122_45
.LBB122_211:
                                        ; implicit-def: $sgpr28
	s_branch .LBB122_48
.LBB122_212:
                                        ; implicit-def: $sgpr11
	s_branch .LBB122_86
.LBB122_213:
                                        ; implicit-def: $sgpr3
	s_branch .LBB122_91
.LBB122_214:
                                        ; implicit-def: $sgpr10
	s_branch .LBB122_96
.LBB122_215:
                                        ; implicit-def: $sgpr10
	s_branch .LBB122_101
.LBB122_216:
                                        ; implicit-def: $sgpr10
	s_branch .LBB122_106
.LBB122_217:
                                        ; implicit-def: $sgpr10
	s_branch .LBB122_111
.LBB122_218:
                                        ; implicit-def: $sgpr10
	s_branch .LBB122_116
.LBB122_219:
                                        ; implicit-def: $sgpr10
	s_branch .LBB122_121
.LBB122_220:
                                        ; implicit-def: $sgpr10
	s_branch .LBB122_126
.LBB122_221:
                                        ; implicit-def: $sgpr10
	s_branch .LBB122_131
.LBB122_222:
                                        ; implicit-def: $sgpr10
	s_branch .LBB122_136
.LBB122_223:
                                        ; implicit-def: $sgpr10
	s_branch .LBB122_141
.LBB122_224:
                                        ; implicit-def: $sgpr10
	s_branch .LBB122_146
.LBB122_225:
                                        ; implicit-def: $sgpr10
	s_branch .LBB122_151
.LBB122_226:
                                        ; implicit-def: $sgpr10
	s_branch .LBB122_156
.LBB122_227:
                                        ; implicit-def: $sgpr10
	s_branch .LBB122_161
	.section	.rodata,"a",@progbits
	.p2align	6, 0x0
	.amdhsa_kernel _ZN2at6native29vectorized_elementwise_kernelILi4ENS0_13AUnaryFunctorIN3c107complexIdEES5_bNS0_12_GLOBAL__N_116CompareEqFunctorIS5_EEEESt5arrayIPcLm2EEEEviT0_T1_
		.amdhsa_group_segment_fixed_size 0
		.amdhsa_private_segment_fixed_size 0
		.amdhsa_kernarg_size 64
		.amdhsa_user_sgpr_count 2
		.amdhsa_user_sgpr_dispatch_ptr 0
		.amdhsa_user_sgpr_queue_ptr 0
		.amdhsa_user_sgpr_kernarg_segment_ptr 1
		.amdhsa_user_sgpr_dispatch_id 0
		.amdhsa_user_sgpr_kernarg_preload_length 0
		.amdhsa_user_sgpr_kernarg_preload_offset 0
		.amdhsa_user_sgpr_private_segment_size 0
		.amdhsa_wavefront_size32 1
		.amdhsa_uses_dynamic_stack 0
		.amdhsa_enable_private_segment 0
		.amdhsa_system_sgpr_workgroup_id_x 1
		.amdhsa_system_sgpr_workgroup_id_y 0
		.amdhsa_system_sgpr_workgroup_id_z 0
		.amdhsa_system_sgpr_workgroup_info 0
		.amdhsa_system_vgpr_workitem_id 0
		.amdhsa_next_free_vgpr 68
		.amdhsa_next_free_sgpr 29
		.amdhsa_named_barrier_count 0
		.amdhsa_reserve_vcc 1
		.amdhsa_float_round_mode_32 0
		.amdhsa_float_round_mode_16_64 0
		.amdhsa_float_denorm_mode_32 3
		.amdhsa_float_denorm_mode_16_64 3
		.amdhsa_fp16_overflow 0
		.amdhsa_memory_ordered 1
		.amdhsa_forward_progress 1
		.amdhsa_inst_pref_size 44
		.amdhsa_round_robin_scheduling 0
		.amdhsa_exception_fp_ieee_invalid_op 0
		.amdhsa_exception_fp_denorm_src 0
		.amdhsa_exception_fp_ieee_div_zero 0
		.amdhsa_exception_fp_ieee_overflow 0
		.amdhsa_exception_fp_ieee_underflow 0
		.amdhsa_exception_fp_ieee_inexact 0
		.amdhsa_exception_int_div_zero 0
	.end_amdhsa_kernel
	.section	.text._ZN2at6native29vectorized_elementwise_kernelILi4ENS0_13AUnaryFunctorIN3c107complexIdEES5_bNS0_12_GLOBAL__N_116CompareEqFunctorIS5_EEEESt5arrayIPcLm2EEEEviT0_T1_,"axG",@progbits,_ZN2at6native29vectorized_elementwise_kernelILi4ENS0_13AUnaryFunctorIN3c107complexIdEES5_bNS0_12_GLOBAL__N_116CompareEqFunctorIS5_EEEESt5arrayIPcLm2EEEEviT0_T1_,comdat
.Lfunc_end122:
	.size	_ZN2at6native29vectorized_elementwise_kernelILi4ENS0_13AUnaryFunctorIN3c107complexIdEES5_bNS0_12_GLOBAL__N_116CompareEqFunctorIS5_EEEESt5arrayIPcLm2EEEEviT0_T1_, .Lfunc_end122-_ZN2at6native29vectorized_elementwise_kernelILi4ENS0_13AUnaryFunctorIN3c107complexIdEES5_bNS0_12_GLOBAL__N_116CompareEqFunctorIS5_EEEESt5arrayIPcLm2EEEEviT0_T1_
                                        ; -- End function
	.set _ZN2at6native29vectorized_elementwise_kernelILi4ENS0_13AUnaryFunctorIN3c107complexIdEES5_bNS0_12_GLOBAL__N_116CompareEqFunctorIS5_EEEESt5arrayIPcLm2EEEEviT0_T1_.num_vgpr, 68
	.set _ZN2at6native29vectorized_elementwise_kernelILi4ENS0_13AUnaryFunctorIN3c107complexIdEES5_bNS0_12_GLOBAL__N_116CompareEqFunctorIS5_EEEESt5arrayIPcLm2EEEEviT0_T1_.num_agpr, 0
	.set _ZN2at6native29vectorized_elementwise_kernelILi4ENS0_13AUnaryFunctorIN3c107complexIdEES5_bNS0_12_GLOBAL__N_116CompareEqFunctorIS5_EEEESt5arrayIPcLm2EEEEviT0_T1_.numbered_sgpr, 29
	.set _ZN2at6native29vectorized_elementwise_kernelILi4ENS0_13AUnaryFunctorIN3c107complexIdEES5_bNS0_12_GLOBAL__N_116CompareEqFunctorIS5_EEEESt5arrayIPcLm2EEEEviT0_T1_.num_named_barrier, 0
	.set _ZN2at6native29vectorized_elementwise_kernelILi4ENS0_13AUnaryFunctorIN3c107complexIdEES5_bNS0_12_GLOBAL__N_116CompareEqFunctorIS5_EEEESt5arrayIPcLm2EEEEviT0_T1_.private_seg_size, 0
	.set _ZN2at6native29vectorized_elementwise_kernelILi4ENS0_13AUnaryFunctorIN3c107complexIdEES5_bNS0_12_GLOBAL__N_116CompareEqFunctorIS5_EEEESt5arrayIPcLm2EEEEviT0_T1_.uses_vcc, 1
	.set _ZN2at6native29vectorized_elementwise_kernelILi4ENS0_13AUnaryFunctorIN3c107complexIdEES5_bNS0_12_GLOBAL__N_116CompareEqFunctorIS5_EEEESt5arrayIPcLm2EEEEviT0_T1_.uses_flat_scratch, 0
	.set _ZN2at6native29vectorized_elementwise_kernelILi4ENS0_13AUnaryFunctorIN3c107complexIdEES5_bNS0_12_GLOBAL__N_116CompareEqFunctorIS5_EEEESt5arrayIPcLm2EEEEviT0_T1_.has_dyn_sized_stack, 0
	.set _ZN2at6native29vectorized_elementwise_kernelILi4ENS0_13AUnaryFunctorIN3c107complexIdEES5_bNS0_12_GLOBAL__N_116CompareEqFunctorIS5_EEEESt5arrayIPcLm2EEEEviT0_T1_.has_recursion, 0
	.set _ZN2at6native29vectorized_elementwise_kernelILi4ENS0_13AUnaryFunctorIN3c107complexIdEES5_bNS0_12_GLOBAL__N_116CompareEqFunctorIS5_EEEESt5arrayIPcLm2EEEEviT0_T1_.has_indirect_call, 0
	.section	.AMDGPU.csdata,"",@progbits
; Kernel info:
; codeLenInByte = 5540
; TotalNumSgprs: 31
; NumVgprs: 68
; ScratchSize: 0
; MemoryBound: 1
; FloatMode: 240
; IeeeMode: 1
; LDSByteSize: 0 bytes/workgroup (compile time only)
; SGPRBlocks: 0
; VGPRBlocks: 4
; NumSGPRsForWavesPerEU: 31
; NumVGPRsForWavesPerEU: 68
; NamedBarCnt: 0
; Occupancy: 12
; WaveLimiterHint : 1
; COMPUTE_PGM_RSRC2:SCRATCH_EN: 0
; COMPUTE_PGM_RSRC2:USER_SGPR: 2
; COMPUTE_PGM_RSRC2:TRAP_HANDLER: 0
; COMPUTE_PGM_RSRC2:TGID_X_EN: 1
; COMPUTE_PGM_RSRC2:TGID_Y_EN: 0
; COMPUTE_PGM_RSRC2:TGID_Z_EN: 0
; COMPUTE_PGM_RSRC2:TIDIG_COMP_CNT: 0
	.section	.text._ZN2at6native29vectorized_elementwise_kernelILi2ENS0_13AUnaryFunctorIN3c107complexIdEES5_bNS0_12_GLOBAL__N_116CompareEqFunctorIS5_EEEESt5arrayIPcLm2EEEEviT0_T1_,"axG",@progbits,_ZN2at6native29vectorized_elementwise_kernelILi2ENS0_13AUnaryFunctorIN3c107complexIdEES5_bNS0_12_GLOBAL__N_116CompareEqFunctorIS5_EEEESt5arrayIPcLm2EEEEviT0_T1_,comdat
	.globl	_ZN2at6native29vectorized_elementwise_kernelILi2ENS0_13AUnaryFunctorIN3c107complexIdEES5_bNS0_12_GLOBAL__N_116CompareEqFunctorIS5_EEEESt5arrayIPcLm2EEEEviT0_T1_ ; -- Begin function _ZN2at6native29vectorized_elementwise_kernelILi2ENS0_13AUnaryFunctorIN3c107complexIdEES5_bNS0_12_GLOBAL__N_116CompareEqFunctorIS5_EEEESt5arrayIPcLm2EEEEviT0_T1_
	.p2align	8
	.type	_ZN2at6native29vectorized_elementwise_kernelILi2ENS0_13AUnaryFunctorIN3c107complexIdEES5_bNS0_12_GLOBAL__N_116CompareEqFunctorIS5_EEEESt5arrayIPcLm2EEEEviT0_T1_,@function
_ZN2at6native29vectorized_elementwise_kernelILi2ENS0_13AUnaryFunctorIN3c107complexIdEES5_bNS0_12_GLOBAL__N_116CompareEqFunctorIS5_EEEESt5arrayIPcLm2EEEEviT0_T1_: ; @_ZN2at6native29vectorized_elementwise_kernelILi2ENS0_13AUnaryFunctorIN3c107complexIdEES5_bNS0_12_GLOBAL__N_116CompareEqFunctorIS5_EEEESt5arrayIPcLm2EEEEviT0_T1_
; %bb.0:
	s_clause 0x2
	s_load_b32 s3, s[0:1], 0x0
	s_load_b32 s13, s[0:1], 0x10
	s_load_b256 s[4:11], s[0:1], 0x20
	s_wait_xcnt 0x0
	s_bfe_u32 s0, ttmp6, 0x4000c
	s_and_b32 s1, ttmp6, 15
	s_add_co_i32 s0, s0, 1
	s_getreg_b32 s2, hwreg(HW_REG_IB_STS2, 6, 4)
	s_mul_i32 s0, ttmp9, s0
	s_delay_alu instid0(SALU_CYCLE_1) | instskip(SKIP_2) | instid1(SALU_CYCLE_1)
	s_add_co_i32 s1, s1, s0
	s_cmp_eq_u32 s2, 0
	s_cselect_b32 s0, ttmp9, s1
	s_lshl_b32 s2, s0, 12
	s_mov_b32 s0, -1
	s_wait_kmcnt 0x0
	s_sub_co_i32 s12, s3, s2
	s_delay_alu instid0(SALU_CYCLE_1)
	s_cmp_gt_i32 s12, 0xfff
	s_cbranch_scc0 .LBB123_50
; %bb.1:
	s_ashr_i32 s3, s2, 31
	v_lshlrev_b32_e32 v1, 5, v0
	s_lshl_b64 s[0:1], s[2:3], 4
	s_cmp_lg_u32 s13, 0
	s_add_nc_u64 s[0:1], s[10:11], s[0:1]
	s_cselect_b32 s14, -1, 0
	s_clause 0xf
	global_load_b128 v[58:61], v1, s[0:1] offset:16
	global_load_b128 v[62:65], v1, s[0:1]
	global_load_b128 v[50:53], v1, s[0:1] offset:8208
	global_load_b128 v[54:57], v1, s[0:1] offset:8192
	;; [unrolled: 1-line block ×14, first 2 shown]
	s_and_b32 vcc_lo, exec_lo, s14
	s_cbranch_vccz .LBB123_196
; %bb.2:
	s_wait_loadcnt 0xe
	v_cmp_neq_f64_e32 vcc_lo, s[4:5], v[62:63]
	s_wait_xcnt 0x0
	v_cmp_neq_f64_e64 s0, s[6:7], v[64:65]
	s_or_b32 s1, vcc_lo, s0
	s_cbranch_execnz .LBB123_4
.LBB123_3:
	s_wait_loadcnt 0xe
	v_cmp_eq_f64_e32 vcc_lo, s[4:5], v[62:63]
	v_cmp_eq_f64_e64 s0, s[6:7], v[64:65]
	s_and_not1_b32 s1, s1, exec_lo
	s_and_b32 s0, vcc_lo, s0
	s_delay_alu instid0(SALU_CYCLE_1) | instskip(NEXT) | instid1(SALU_CYCLE_1)
	s_and_b32 s0, s0, exec_lo
	s_or_b32 s1, s1, s0
.LBB123_4:
	v_cndmask_b32_e64 v1, 0, 1, s14
	s_and_not1_b32 vcc_lo, exec_lo, s14
	s_cbranch_vccnz .LBB123_197
; %bb.5:
	s_wait_loadcnt 0xf
	v_cmp_neq_f64_e32 vcc_lo, s[4:5], v[58:59]
	v_cmp_neq_f64_e64 s0, s[6:7], v[60:61]
	s_or_b32 s14, vcc_lo, s0
	s_cbranch_execnz .LBB123_7
.LBB123_6:
	s_wait_loadcnt 0xf
	v_cmp_eq_f64_e32 vcc_lo, s[4:5], v[58:59]
	v_cmp_eq_f64_e64 s0, s[6:7], v[60:61]
	s_and_not1_b32 s14, s14, exec_lo
	s_and_b32 s0, vcc_lo, s0
	s_delay_alu instid0(SALU_CYCLE_1) | instskip(NEXT) | instid1(SALU_CYCLE_1)
	s_and_b32 s0, s0, exec_lo
	s_or_b32 s14, s14, s0
.LBB123_7:
	v_cmp_ne_u32_e32 vcc_lo, 1, v1
	s_cbranch_vccnz .LBB123_198
; %bb.8:
	s_wait_loadcnt 0xc
	v_cmp_neq_f64_e32 vcc_lo, s[4:5], v[54:55]
	v_cmp_neq_f64_e64 s0, s[6:7], v[56:57]
	s_or_b32 s15, vcc_lo, s0
	s_cbranch_execnz .LBB123_10
.LBB123_9:
	s_wait_loadcnt 0xc
	v_cmp_eq_f64_e32 vcc_lo, s[4:5], v[54:55]
	v_cmp_eq_f64_e64 s0, s[6:7], v[56:57]
	s_and_not1_b32 s15, s15, exec_lo
	s_and_b32 s0, vcc_lo, s0
	s_delay_alu instid0(SALU_CYCLE_1) | instskip(NEXT) | instid1(SALU_CYCLE_1)
	s_and_b32 s0, s0, exec_lo
	s_or_b32 s15, s15, s0
.LBB123_10:
	v_cmp_ne_u32_e32 vcc_lo, 1, v1
	s_cbranch_vccnz .LBB123_199
; %bb.11:
	s_wait_loadcnt 0xd
	v_cmp_neq_f64_e32 vcc_lo, s[4:5], v[50:51]
	v_cmp_neq_f64_e64 s0, s[6:7], v[52:53]
	s_or_b32 s16, vcc_lo, s0
	s_cbranch_execnz .LBB123_13
.LBB123_12:
	s_wait_loadcnt 0xd
	v_cmp_eq_f64_e32 vcc_lo, s[4:5], v[50:51]
	v_cmp_eq_f64_e64 s0, s[6:7], v[52:53]
	s_and_not1_b32 s16, s16, exec_lo
	s_and_b32 s0, vcc_lo, s0
	s_delay_alu instid0(SALU_CYCLE_1) | instskip(NEXT) | instid1(SALU_CYCLE_1)
	s_and_b32 s0, s0, exec_lo
	s_or_b32 s16, s16, s0
.LBB123_13:
	v_cmp_ne_u32_e32 vcc_lo, 1, v1
	s_cbranch_vccnz .LBB123_200
; %bb.14:
	s_wait_loadcnt 0xa
	v_cmp_neq_f64_e32 vcc_lo, s[4:5], v[46:47]
	v_cmp_neq_f64_e64 s0, s[6:7], v[48:49]
	s_or_b32 s17, vcc_lo, s0
	s_cbranch_execnz .LBB123_16
.LBB123_15:
	s_wait_loadcnt 0xa
	v_cmp_eq_f64_e32 vcc_lo, s[4:5], v[46:47]
	v_cmp_eq_f64_e64 s0, s[6:7], v[48:49]
	s_and_not1_b32 s17, s17, exec_lo
	s_and_b32 s0, vcc_lo, s0
	s_delay_alu instid0(SALU_CYCLE_1) | instskip(NEXT) | instid1(SALU_CYCLE_1)
	s_and_b32 s0, s0, exec_lo
	s_or_b32 s17, s17, s0
.LBB123_16:
	v_cmp_ne_u32_e32 vcc_lo, 1, v1
	s_cbranch_vccnz .LBB123_201
; %bb.17:
	s_wait_loadcnt 0xb
	v_cmp_neq_f64_e32 vcc_lo, s[4:5], v[42:43]
	v_cmp_neq_f64_e64 s0, s[6:7], v[44:45]
	s_or_b32 s18, vcc_lo, s0
	s_cbranch_execnz .LBB123_19
.LBB123_18:
	s_wait_loadcnt 0xb
	v_cmp_eq_f64_e32 vcc_lo, s[4:5], v[42:43]
	v_cmp_eq_f64_e64 s0, s[6:7], v[44:45]
	s_and_not1_b32 s18, s18, exec_lo
	s_and_b32 s0, vcc_lo, s0
	s_delay_alu instid0(SALU_CYCLE_1) | instskip(NEXT) | instid1(SALU_CYCLE_1)
	s_and_b32 s0, s0, exec_lo
	s_or_b32 s18, s18, s0
.LBB123_19:
	v_cmp_ne_u32_e32 vcc_lo, 1, v1
	s_cbranch_vccnz .LBB123_202
; %bb.20:
	s_wait_loadcnt 0x8
	v_cmp_neq_f64_e32 vcc_lo, s[4:5], v[38:39]
	v_cmp_neq_f64_e64 s0, s[6:7], v[40:41]
	s_or_b32 s19, vcc_lo, s0
	s_cbranch_execnz .LBB123_22
.LBB123_21:
	s_wait_loadcnt 0x8
	v_cmp_eq_f64_e32 vcc_lo, s[4:5], v[38:39]
	v_cmp_eq_f64_e64 s0, s[6:7], v[40:41]
	s_and_not1_b32 s19, s19, exec_lo
	s_and_b32 s0, vcc_lo, s0
	s_delay_alu instid0(SALU_CYCLE_1) | instskip(NEXT) | instid1(SALU_CYCLE_1)
	s_and_b32 s0, s0, exec_lo
	s_or_b32 s19, s19, s0
.LBB123_22:
	v_cmp_ne_u32_e32 vcc_lo, 1, v1
	s_cbranch_vccnz .LBB123_203
; %bb.23:
	s_wait_loadcnt 0x9
	v_cmp_neq_f64_e32 vcc_lo, s[4:5], v[34:35]
	v_cmp_neq_f64_e64 s0, s[6:7], v[36:37]
	s_or_b32 s20, vcc_lo, s0
	s_cbranch_execnz .LBB123_25
.LBB123_24:
	s_wait_loadcnt 0x9
	v_cmp_eq_f64_e32 vcc_lo, s[4:5], v[34:35]
	v_cmp_eq_f64_e64 s0, s[6:7], v[36:37]
	s_and_not1_b32 s20, s20, exec_lo
	s_and_b32 s0, vcc_lo, s0
	s_delay_alu instid0(SALU_CYCLE_1) | instskip(NEXT) | instid1(SALU_CYCLE_1)
	s_and_b32 s0, s0, exec_lo
	s_or_b32 s20, s20, s0
.LBB123_25:
	v_cmp_ne_u32_e32 vcc_lo, 1, v1
	s_cbranch_vccnz .LBB123_204
; %bb.26:
	s_wait_loadcnt 0x6
	v_cmp_neq_f64_e32 vcc_lo, s[4:5], v[30:31]
	v_cmp_neq_f64_e64 s0, s[6:7], v[32:33]
	s_or_b32 s21, vcc_lo, s0
	s_cbranch_execnz .LBB123_28
.LBB123_27:
	s_wait_loadcnt 0x6
	v_cmp_eq_f64_e32 vcc_lo, s[4:5], v[30:31]
	v_cmp_eq_f64_e64 s0, s[6:7], v[32:33]
	s_and_not1_b32 s21, s21, exec_lo
	s_and_b32 s0, vcc_lo, s0
	s_delay_alu instid0(SALU_CYCLE_1) | instskip(NEXT) | instid1(SALU_CYCLE_1)
	s_and_b32 s0, s0, exec_lo
	s_or_b32 s21, s21, s0
.LBB123_28:
	v_cmp_ne_u32_e32 vcc_lo, 1, v1
	s_cbranch_vccnz .LBB123_205
; %bb.29:
	s_wait_loadcnt 0x7
	v_cmp_neq_f64_e32 vcc_lo, s[4:5], v[26:27]
	v_cmp_neq_f64_e64 s0, s[6:7], v[28:29]
	s_or_b32 s22, vcc_lo, s0
	s_cbranch_execnz .LBB123_31
.LBB123_30:
	s_wait_loadcnt 0x7
	v_cmp_eq_f64_e32 vcc_lo, s[4:5], v[26:27]
	v_cmp_eq_f64_e64 s0, s[6:7], v[28:29]
	s_and_not1_b32 s22, s22, exec_lo
	s_and_b32 s0, vcc_lo, s0
	s_delay_alu instid0(SALU_CYCLE_1) | instskip(NEXT) | instid1(SALU_CYCLE_1)
	s_and_b32 s0, s0, exec_lo
	s_or_b32 s22, s22, s0
.LBB123_31:
	v_cmp_ne_u32_e32 vcc_lo, 1, v1
	s_cbranch_vccnz .LBB123_206
; %bb.32:
	s_wait_loadcnt 0x4
	v_cmp_neq_f64_e32 vcc_lo, s[4:5], v[22:23]
	v_cmp_neq_f64_e64 s0, s[6:7], v[24:25]
	s_or_b32 s23, vcc_lo, s0
	s_cbranch_execnz .LBB123_34
.LBB123_33:
	s_wait_loadcnt 0x4
	v_cmp_eq_f64_e32 vcc_lo, s[4:5], v[22:23]
	v_cmp_eq_f64_e64 s0, s[6:7], v[24:25]
	s_and_not1_b32 s23, s23, exec_lo
	s_and_b32 s0, vcc_lo, s0
	s_delay_alu instid0(SALU_CYCLE_1) | instskip(NEXT) | instid1(SALU_CYCLE_1)
	s_and_b32 s0, s0, exec_lo
	s_or_b32 s23, s23, s0
.LBB123_34:
	v_cmp_ne_u32_e32 vcc_lo, 1, v1
	s_cbranch_vccnz .LBB123_207
; %bb.35:
	s_wait_loadcnt 0x5
	v_cmp_neq_f64_e32 vcc_lo, s[4:5], v[18:19]
	v_cmp_neq_f64_e64 s0, s[6:7], v[20:21]
	s_or_b32 s24, vcc_lo, s0
	s_cbranch_execnz .LBB123_37
.LBB123_36:
	s_wait_loadcnt 0x5
	v_cmp_eq_f64_e32 vcc_lo, s[4:5], v[18:19]
	v_cmp_eq_f64_e64 s0, s[6:7], v[20:21]
	s_and_not1_b32 s24, s24, exec_lo
	s_and_b32 s0, vcc_lo, s0
	s_delay_alu instid0(SALU_CYCLE_1) | instskip(NEXT) | instid1(SALU_CYCLE_1)
	s_and_b32 s0, s0, exec_lo
	s_or_b32 s24, s24, s0
.LBB123_37:
	v_cmp_ne_u32_e32 vcc_lo, 1, v1
	s_cbranch_vccnz .LBB123_208
; %bb.38:
	s_wait_loadcnt 0x2
	v_cmp_neq_f64_e32 vcc_lo, s[4:5], v[14:15]
	v_cmp_neq_f64_e64 s0, s[6:7], v[16:17]
	s_or_b32 s25, vcc_lo, s0
	s_cbranch_execnz .LBB123_40
.LBB123_39:
	s_wait_loadcnt 0x2
	v_cmp_eq_f64_e32 vcc_lo, s[4:5], v[14:15]
	v_cmp_eq_f64_e64 s0, s[6:7], v[16:17]
	s_and_not1_b32 s25, s25, exec_lo
	s_and_b32 s0, vcc_lo, s0
	s_delay_alu instid0(SALU_CYCLE_1) | instskip(NEXT) | instid1(SALU_CYCLE_1)
	s_and_b32 s0, s0, exec_lo
	s_or_b32 s25, s25, s0
.LBB123_40:
	v_cmp_ne_u32_e32 vcc_lo, 1, v1
	s_cbranch_vccnz .LBB123_209
; %bb.41:
	s_wait_loadcnt 0x3
	v_cmp_neq_f64_e32 vcc_lo, s[4:5], v[10:11]
	v_cmp_neq_f64_e64 s0, s[6:7], v[12:13]
	s_or_b32 s26, vcc_lo, s0
	s_cbranch_execnz .LBB123_43
.LBB123_42:
	s_wait_loadcnt 0x3
	v_cmp_eq_f64_e32 vcc_lo, s[4:5], v[10:11]
	v_cmp_eq_f64_e64 s0, s[6:7], v[12:13]
	s_and_not1_b32 s26, s26, exec_lo
	s_and_b32 s0, vcc_lo, s0
	s_delay_alu instid0(SALU_CYCLE_1) | instskip(NEXT) | instid1(SALU_CYCLE_1)
	s_and_b32 s0, s0, exec_lo
	s_or_b32 s26, s26, s0
.LBB123_43:
	v_cmp_ne_u32_e32 vcc_lo, 1, v1
	s_cbranch_vccnz .LBB123_210
; %bb.44:
	s_wait_loadcnt 0x0
	v_cmp_neq_f64_e32 vcc_lo, s[4:5], v[6:7]
	v_cmp_neq_f64_e64 s0, s[6:7], v[8:9]
	s_or_b32 s27, vcc_lo, s0
	s_cbranch_execnz .LBB123_46
.LBB123_45:
	s_wait_loadcnt 0x0
	v_cmp_eq_f64_e32 vcc_lo, s[4:5], v[6:7]
	v_cmp_eq_f64_e64 s0, s[6:7], v[8:9]
	s_and_not1_b32 s27, s27, exec_lo
	s_and_b32 s0, vcc_lo, s0
	s_delay_alu instid0(SALU_CYCLE_1) | instskip(NEXT) | instid1(SALU_CYCLE_1)
	s_and_b32 s0, s0, exec_lo
	s_or_b32 s27, s27, s0
.LBB123_46:
	v_cmp_ne_u32_e32 vcc_lo, 1, v1
	s_cbranch_vccnz .LBB123_211
; %bb.47:
	s_wait_loadcnt 0x1
	v_cmp_neq_f64_e32 vcc_lo, s[4:5], v[2:3]
	v_cmp_neq_f64_e64 s0, s[6:7], v[4:5]
	s_or_b32 s28, vcc_lo, s0
	s_cbranch_execnz .LBB123_49
.LBB123_48:
	s_wait_loadcnt 0x1
	v_cmp_eq_f64_e32 vcc_lo, s[4:5], v[2:3]
	v_cmp_eq_f64_e64 s0, s[6:7], v[4:5]
	s_and_not1_b32 s28, s28, exec_lo
	s_and_b32 s0, vcc_lo, s0
	s_delay_alu instid0(SALU_CYCLE_1) | instskip(NEXT) | instid1(SALU_CYCLE_1)
	s_and_b32 s0, s0, exec_lo
	s_or_b32 s28, s28, s0
.LBB123_49:
	v_cndmask_b32_e64 v1, 0, 1, s25
	s_wait_loadcnt 0x1
	v_cndmask_b32_e64 v2, 0, 0x100, s26
	v_cndmask_b32_e64 v3, 0, 1, s23
	;; [unrolled: 1-line block ×4, first 2 shown]
	s_wait_loadcnt 0x0
	v_cndmask_b32_e64 v6, 0, 0x100, s22
	v_or_b32_e32 v1, v2, v1
	v_cndmask_b32_e64 v9, 0, 1, s1
	v_or_b32_e32 v2, v4, v3
	;; [unrolled: 2-line block ×3, first 2 shown]
	v_cndmask_b32_e64 v5, 0, 0x100, s20
	v_cndmask_b32_e64 v10, 0, 0x100, s14
	;; [unrolled: 1-line block ×7, first 2 shown]
	v_or_b32_e32 v4, v5, v4
	v_cndmask_b32_e64 v5, 0, 0x100, s28
	v_or_b32_e32 v9, v10, v9
	v_or_b32_e32 v8, v11, v8
	;; [unrolled: 1-line block ×3, first 2 shown]
	s_mov_b32 s0, 0
	s_add_nc_u64 s[14:15], s[8:9], s[2:3]
	v_or_b32_e32 v5, v5, v7
	s_clause 0x7
	global_store_b16 v0, v9, s[14:15] scale_offset
	global_store_b16 v0, v8, s[14:15] offset:512 scale_offset
	global_store_b16 v0, v6, s[14:15] offset:1024 scale_offset
	;; [unrolled: 1-line block ×7, first 2 shown]
.LBB123_50:
	s_and_b32 vcc_lo, exec_lo, s0
	s_cbranch_vccz .LBB123_195
; %bb.51:
	v_mov_b64_e32 v[54:55], 0
	v_mov_b64_e32 v[62:63], 0
	;; [unrolled: 1-line block ×3, first 2 shown]
	v_cmp_gt_i32_e64 s0, s12, v0
	s_wait_xcnt 0x1
	v_dual_mov_b32 v67, v0 :: v_dual_bitop2_b32 v1, s2, v0 bitop3:0x54
	v_or_b32_e32 v66, 0x100, v0
	s_wait_xcnt 0x0
	s_and_saveexec_b32 s1, s0
	s_cbranch_execz .LBB123_53
; %bb.52:
	global_load_b128 v[62:65], v1, s[10:11] scale_offset
	v_or_b32_e32 v67, 0x100, v0
.LBB123_53:
	s_wait_xcnt 0x0
	s_or_b32 exec_lo, exec_lo, s1
	v_mov_b64_e32 v[56:57], 0
	s_mov_b32 s1, exec_lo
	v_cmpx_gt_i32_e64 s12, v67
	s_cbranch_execz .LBB123_55
; %bb.54:
	v_add_nc_u32_e32 v2, s2, v67
	v_add_nc_u32_e32 v67, 0x100, v67
	global_load_b128 v[54:57], v2, s[10:11] scale_offset
.LBB123_55:
	s_wait_xcnt 0x0
	s_or_b32 exec_lo, exec_lo, s1
	v_mov_b64_e32 v[46:47], 0
	v_mov_b64_e32 v[58:59], 0
	v_mov_b64_e32 v[60:61], 0
	s_mov_b32 s1, exec_lo
	v_cmpx_gt_i32_e64 s12, v67
	s_cbranch_execz .LBB123_57
; %bb.56:
	v_add_nc_u32_e32 v2, s2, v67
	v_add_nc_u32_e32 v67, 0x100, v67
	global_load_b128 v[58:61], v2, s[10:11] scale_offset
.LBB123_57:
	s_wait_xcnt 0x0
	s_or_b32 exec_lo, exec_lo, s1
	v_mov_b64_e32 v[48:49], 0
	s_mov_b32 s1, exec_lo
	v_cmpx_gt_i32_e64 s12, v67
	s_cbranch_execz .LBB123_59
; %bb.58:
	v_add_nc_u32_e32 v2, s2, v67
	v_add_nc_u32_e32 v67, 0x100, v67
	global_load_b128 v[46:49], v2, s[10:11] scale_offset
.LBB123_59:
	s_wait_xcnt 0x0
	s_or_b32 exec_lo, exec_lo, s1
	v_mov_b64_e32 v[38:39], 0
	v_mov_b64_e32 v[50:51], 0
	v_mov_b64_e32 v[52:53], 0
	s_mov_b32 s1, exec_lo
	v_cmpx_gt_i32_e64 s12, v67
	s_cbranch_execz .LBB123_61
; %bb.60:
	v_add_nc_u32_e32 v2, s2, v67
	v_add_nc_u32_e32 v67, 0x100, v67
	global_load_b128 v[50:53], v2, s[10:11] scale_offset
.LBB123_61:
	;; [unrolled: 24-line block ×7, first 2 shown]
	s_wait_xcnt 0x0
	s_or_b32 exec_lo, exec_lo, s1
	v_mov_b64_e32 v[4:5], 0
	s_mov_b32 s1, exec_lo
	v_cmpx_gt_i32_e64 s12, v67
	s_cbranch_execz .LBB123_83
; %bb.82:
	v_add_nc_u32_e32 v2, s2, v67
	global_load_b128 v[2:5], v2, s[10:11] scale_offset
.LBB123_83:
	s_wait_xcnt 0x0
	s_or_b32 exec_lo, exec_lo, s1
	s_cmp_lg_u32 s13, 0
                                        ; implicit-def: $vgpr67
	s_cselect_b32 s3, -1, 0
	s_and_saveexec_b32 s10, s0
	s_cbranch_execz .LBB123_88
; %bb.84:
	s_and_b32 vcc_lo, exec_lo, s3
	s_cbranch_vccz .LBB123_212
; %bb.85:
	s_wait_loadcnt 0x0
	v_cmp_neq_f64_e32 vcc_lo, s[4:5], v[62:63]
	v_cmp_neq_f64_e64 s1, s[6:7], v[64:65]
	s_or_b32 s11, vcc_lo, s1
	s_cbranch_execnz .LBB123_87
.LBB123_86:
	s_wait_loadcnt 0x0
	v_cmp_eq_f64_e32 vcc_lo, s[4:5], v[62:63]
	v_cmp_eq_f64_e64 s1, s[6:7], v[64:65]
	s_and_not1_b32 s11, s11, exec_lo
	s_and_b32 s1, vcc_lo, s1
	s_delay_alu instid0(SALU_CYCLE_1) | instskip(NEXT) | instid1(SALU_CYCLE_1)
	s_and_b32 s1, s1, exec_lo
	s_or_b32 s11, s11, s1
.LBB123_87:
	s_delay_alu instid0(SALU_CYCLE_1)
	v_cndmask_b32_e64 v67, 0, 1, s11
.LBB123_88:
	s_or_b32 exec_lo, exec_lo, s10
	s_wait_loadcnt 0x0
	v_cndmask_b32_e64 v63, 0, 1, s3
	s_mov_b32 s10, exec_lo
                                        ; implicit-def: $vgpr62
	v_cmpx_gt_i32_e64 s12, v66
	s_cbranch_execz .LBB123_93
; %bb.89:
	s_and_not1_b32 vcc_lo, exec_lo, s3
	s_cbranch_vccnz .LBB123_213
; %bb.90:
	v_cmp_neq_f64_e32 vcc_lo, s[4:5], v[54:55]
	v_cmp_neq_f64_e64 s1, s[6:7], v[56:57]
	s_or_b32 s3, vcc_lo, s1
	s_cbranch_execnz .LBB123_92
.LBB123_91:
	v_cmp_eq_f64_e32 vcc_lo, s[4:5], v[54:55]
	v_cmp_eq_f64_e64 s1, s[6:7], v[56:57]
	s_and_not1_b32 s3, s3, exec_lo
	s_and_b32 s1, vcc_lo, s1
	s_delay_alu instid0(SALU_CYCLE_1) | instskip(NEXT) | instid1(SALU_CYCLE_1)
	s_and_b32 s1, s1, exec_lo
	s_or_b32 s3, s3, s1
.LBB123_92:
	s_delay_alu instid0(SALU_CYCLE_1)
	v_cndmask_b32_e64 v62, 0, 1, s3
.LBB123_93:
	s_or_b32 exec_lo, exec_lo, s10
	v_or_b32_e32 v54, 0x200, v0
	s_delay_alu instid0(VALU_DEP_1)
	v_cmp_gt_i32_e32 vcc_lo, s12, v54
                                        ; implicit-def: $vgpr54
	s_and_saveexec_b32 s3, vcc_lo
	s_cbranch_execz .LBB123_98
; %bb.94:
	v_cmp_ne_u32_e32 vcc_lo, 1, v63
	s_cbranch_vccnz .LBB123_214
; %bb.95:
	v_cmp_neq_f64_e32 vcc_lo, s[4:5], v[58:59]
	v_cmp_neq_f64_e64 s1, s[6:7], v[60:61]
	s_or_b32 s10, vcc_lo, s1
	s_cbranch_execnz .LBB123_97
.LBB123_96:
	v_cmp_eq_f64_e32 vcc_lo, s[4:5], v[58:59]
	v_cmp_eq_f64_e64 s1, s[6:7], v[60:61]
	s_and_not1_b32 s10, s10, exec_lo
	s_and_b32 s1, vcc_lo, s1
	s_delay_alu instid0(SALU_CYCLE_1) | instskip(NEXT) | instid1(SALU_CYCLE_1)
	s_and_b32 s1, s1, exec_lo
	s_or_b32 s10, s10, s1
.LBB123_97:
	s_delay_alu instid0(SALU_CYCLE_1)
	v_cndmask_b32_e64 v54, 0, 1, s10
.LBB123_98:
	s_or_b32 exec_lo, exec_lo, s3
	v_or_b32_e32 v55, 0x300, v0
	s_delay_alu instid0(VALU_DEP_1)
	v_cmp_gt_i32_e32 vcc_lo, s12, v55
                                        ; implicit-def: $vgpr55
	s_and_saveexec_b32 s3, vcc_lo
	s_cbranch_execz .LBB123_103
; %bb.99:
	v_cmp_ne_u32_e32 vcc_lo, 1, v63
	s_cbranch_vccnz .LBB123_215
; %bb.100:
	v_cmp_neq_f64_e32 vcc_lo, s[4:5], v[46:47]
	v_cmp_neq_f64_e64 s1, s[6:7], v[48:49]
	s_or_b32 s10, vcc_lo, s1
	s_cbranch_execnz .LBB123_102
.LBB123_101:
	v_cmp_eq_f64_e32 vcc_lo, s[4:5], v[46:47]
	v_cmp_eq_f64_e64 s1, s[6:7], v[48:49]
	s_and_not1_b32 s10, s10, exec_lo
	s_and_b32 s1, vcc_lo, s1
	s_delay_alu instid0(SALU_CYCLE_1) | instskip(NEXT) | instid1(SALU_CYCLE_1)
	s_and_b32 s1, s1, exec_lo
	s_or_b32 s10, s10, s1
.LBB123_102:
	s_delay_alu instid0(SALU_CYCLE_1)
	v_cndmask_b32_e64 v55, 0, 1, s10
.LBB123_103:
	s_or_b32 exec_lo, exec_lo, s3
	v_or_b32_e32 v46, 0x400, v0
	s_delay_alu instid0(VALU_DEP_1)
	v_cmp_gt_i32_e32 vcc_lo, s12, v46
                                        ; implicit-def: $vgpr46
	s_and_saveexec_b32 s3, vcc_lo
	s_cbranch_execz .LBB123_108
; %bb.104:
	v_cmp_ne_u32_e32 vcc_lo, 1, v63
	s_cbranch_vccnz .LBB123_216
; %bb.105:
	v_cmp_neq_f64_e32 vcc_lo, s[4:5], v[50:51]
	v_cmp_neq_f64_e64 s1, s[6:7], v[52:53]
	s_or_b32 s10, vcc_lo, s1
	s_cbranch_execnz .LBB123_107
.LBB123_106:
	v_cmp_eq_f64_e32 vcc_lo, s[4:5], v[50:51]
	v_cmp_eq_f64_e64 s1, s[6:7], v[52:53]
	s_and_not1_b32 s10, s10, exec_lo
	s_and_b32 s1, vcc_lo, s1
	s_delay_alu instid0(SALU_CYCLE_1) | instskip(NEXT) | instid1(SALU_CYCLE_1)
	s_and_b32 s1, s1, exec_lo
	s_or_b32 s10, s10, s1
.LBB123_107:
	s_delay_alu instid0(SALU_CYCLE_1)
	v_cndmask_b32_e64 v46, 0, 1, s10
.LBB123_108:
	s_or_b32 exec_lo, exec_lo, s3
	v_or_b32_e32 v47, 0x500, v0
	s_delay_alu instid0(VALU_DEP_1)
	v_cmp_gt_i32_e32 vcc_lo, s12, v47
                                        ; implicit-def: $vgpr47
	s_and_saveexec_b32 s3, vcc_lo
	s_cbranch_execz .LBB123_113
; %bb.109:
	v_cmp_ne_u32_e32 vcc_lo, 1, v63
	s_cbranch_vccnz .LBB123_217
; %bb.110:
	v_cmp_neq_f64_e32 vcc_lo, s[4:5], v[38:39]
	v_cmp_neq_f64_e64 s1, s[6:7], v[40:41]
	s_or_b32 s10, vcc_lo, s1
	s_cbranch_execnz .LBB123_112
.LBB123_111:
	v_cmp_eq_f64_e32 vcc_lo, s[4:5], v[38:39]
	v_cmp_eq_f64_e64 s1, s[6:7], v[40:41]
	s_and_not1_b32 s10, s10, exec_lo
	s_and_b32 s1, vcc_lo, s1
	s_delay_alu instid0(SALU_CYCLE_1) | instskip(NEXT) | instid1(SALU_CYCLE_1)
	s_and_b32 s1, s1, exec_lo
	s_or_b32 s10, s10, s1
.LBB123_112:
	s_delay_alu instid0(SALU_CYCLE_1)
	v_cndmask_b32_e64 v47, 0, 1, s10
.LBB123_113:
	s_or_b32 exec_lo, exec_lo, s3
	v_or_b32_e32 v38, 0x600, v0
	s_delay_alu instid0(VALU_DEP_1)
	v_cmp_gt_i32_e32 vcc_lo, s12, v38
                                        ; implicit-def: $vgpr38
	s_and_saveexec_b32 s3, vcc_lo
	s_cbranch_execz .LBB123_118
; %bb.114:
	v_cmp_ne_u32_e32 vcc_lo, 1, v63
	s_cbranch_vccnz .LBB123_218
; %bb.115:
	v_cmp_neq_f64_e32 vcc_lo, s[4:5], v[42:43]
	v_cmp_neq_f64_e64 s1, s[6:7], v[44:45]
	s_or_b32 s10, vcc_lo, s1
	s_cbranch_execnz .LBB123_117
.LBB123_116:
	v_cmp_eq_f64_e32 vcc_lo, s[4:5], v[42:43]
	v_cmp_eq_f64_e64 s1, s[6:7], v[44:45]
	s_and_not1_b32 s10, s10, exec_lo
	s_and_b32 s1, vcc_lo, s1
	s_delay_alu instid0(SALU_CYCLE_1) | instskip(NEXT) | instid1(SALU_CYCLE_1)
	s_and_b32 s1, s1, exec_lo
	s_or_b32 s10, s10, s1
.LBB123_117:
	s_delay_alu instid0(SALU_CYCLE_1)
	v_cndmask_b32_e64 v38, 0, 1, s10
.LBB123_118:
	s_or_b32 exec_lo, exec_lo, s3
	v_or_b32_e32 v39, 0x700, v0
	s_delay_alu instid0(VALU_DEP_1)
	v_cmp_gt_i32_e32 vcc_lo, s12, v39
                                        ; implicit-def: $vgpr39
	s_and_saveexec_b32 s3, vcc_lo
	s_cbranch_execz .LBB123_123
; %bb.119:
	v_cmp_ne_u32_e32 vcc_lo, 1, v63
	s_cbranch_vccnz .LBB123_219
; %bb.120:
	v_cmp_neq_f64_e32 vcc_lo, s[4:5], v[30:31]
	v_cmp_neq_f64_e64 s1, s[6:7], v[32:33]
	s_or_b32 s10, vcc_lo, s1
	s_cbranch_execnz .LBB123_122
.LBB123_121:
	v_cmp_eq_f64_e32 vcc_lo, s[4:5], v[30:31]
	v_cmp_eq_f64_e64 s1, s[6:7], v[32:33]
	s_and_not1_b32 s10, s10, exec_lo
	s_and_b32 s1, vcc_lo, s1
	s_delay_alu instid0(SALU_CYCLE_1) | instskip(NEXT) | instid1(SALU_CYCLE_1)
	s_and_b32 s1, s1, exec_lo
	s_or_b32 s10, s10, s1
.LBB123_122:
	s_delay_alu instid0(SALU_CYCLE_1)
	v_cndmask_b32_e64 v39, 0, 1, s10
.LBB123_123:
	s_or_b32 exec_lo, exec_lo, s3
	v_or_b32_e32 v30, 0x800, v0
	s_delay_alu instid0(VALU_DEP_1)
	v_cmp_gt_i32_e32 vcc_lo, s12, v30
                                        ; implicit-def: $vgpr30
	s_and_saveexec_b32 s3, vcc_lo
	s_cbranch_execz .LBB123_128
; %bb.124:
	v_cmp_ne_u32_e32 vcc_lo, 1, v63
	s_cbranch_vccnz .LBB123_220
; %bb.125:
	v_cmp_neq_f64_e32 vcc_lo, s[4:5], v[34:35]
	v_cmp_neq_f64_e64 s1, s[6:7], v[36:37]
	s_or_b32 s10, vcc_lo, s1
	s_cbranch_execnz .LBB123_127
.LBB123_126:
	v_cmp_eq_f64_e32 vcc_lo, s[4:5], v[34:35]
	v_cmp_eq_f64_e64 s1, s[6:7], v[36:37]
	s_and_not1_b32 s10, s10, exec_lo
	s_and_b32 s1, vcc_lo, s1
	s_delay_alu instid0(SALU_CYCLE_1) | instskip(NEXT) | instid1(SALU_CYCLE_1)
	s_and_b32 s1, s1, exec_lo
	s_or_b32 s10, s10, s1
.LBB123_127:
	s_delay_alu instid0(SALU_CYCLE_1)
	v_cndmask_b32_e64 v30, 0, 1, s10
.LBB123_128:
	s_or_b32 exec_lo, exec_lo, s3
	v_or_b32_e32 v31, 0x900, v0
	s_delay_alu instid0(VALU_DEP_1)
	v_cmp_gt_i32_e32 vcc_lo, s12, v31
                                        ; implicit-def: $vgpr31
	s_and_saveexec_b32 s3, vcc_lo
	s_cbranch_execz .LBB123_133
; %bb.129:
	v_cmp_ne_u32_e32 vcc_lo, 1, v63
	s_cbranch_vccnz .LBB123_221
; %bb.130:
	v_cmp_neq_f64_e32 vcc_lo, s[4:5], v[22:23]
	v_cmp_neq_f64_e64 s1, s[6:7], v[24:25]
	s_or_b32 s10, vcc_lo, s1
	s_cbranch_execnz .LBB123_132
.LBB123_131:
	v_cmp_eq_f64_e32 vcc_lo, s[4:5], v[22:23]
	v_cmp_eq_f64_e64 s1, s[6:7], v[24:25]
	s_and_not1_b32 s10, s10, exec_lo
	s_and_b32 s1, vcc_lo, s1
	s_delay_alu instid0(SALU_CYCLE_1) | instskip(NEXT) | instid1(SALU_CYCLE_1)
	s_and_b32 s1, s1, exec_lo
	s_or_b32 s10, s10, s1
.LBB123_132:
	s_delay_alu instid0(SALU_CYCLE_1)
	v_cndmask_b32_e64 v31, 0, 1, s10
.LBB123_133:
	s_or_b32 exec_lo, exec_lo, s3
	v_or_b32_e32 v22, 0xa00, v0
	s_delay_alu instid0(VALU_DEP_1)
	v_cmp_gt_i32_e32 vcc_lo, s12, v22
                                        ; implicit-def: $vgpr22
	s_and_saveexec_b32 s3, vcc_lo
	s_cbranch_execz .LBB123_138
; %bb.134:
	v_cmp_ne_u32_e32 vcc_lo, 1, v63
	s_cbranch_vccnz .LBB123_222
; %bb.135:
	v_cmp_neq_f64_e32 vcc_lo, s[4:5], v[26:27]
	v_cmp_neq_f64_e64 s1, s[6:7], v[28:29]
	s_or_b32 s10, vcc_lo, s1
	s_cbranch_execnz .LBB123_137
.LBB123_136:
	v_cmp_eq_f64_e32 vcc_lo, s[4:5], v[26:27]
	v_cmp_eq_f64_e64 s1, s[6:7], v[28:29]
	s_and_not1_b32 s10, s10, exec_lo
	s_and_b32 s1, vcc_lo, s1
	s_delay_alu instid0(SALU_CYCLE_1) | instskip(NEXT) | instid1(SALU_CYCLE_1)
	s_and_b32 s1, s1, exec_lo
	s_or_b32 s10, s10, s1
.LBB123_137:
	s_delay_alu instid0(SALU_CYCLE_1)
	v_cndmask_b32_e64 v22, 0, 1, s10
.LBB123_138:
	s_or_b32 exec_lo, exec_lo, s3
	v_or_b32_e32 v23, 0xb00, v0
	s_delay_alu instid0(VALU_DEP_1)
	v_cmp_gt_i32_e32 vcc_lo, s12, v23
                                        ; implicit-def: $vgpr23
	s_and_saveexec_b32 s3, vcc_lo
	s_cbranch_execz .LBB123_143
; %bb.139:
	v_cmp_ne_u32_e32 vcc_lo, 1, v63
	s_cbranch_vccnz .LBB123_223
; %bb.140:
	v_cmp_neq_f64_e32 vcc_lo, s[4:5], v[14:15]
	v_cmp_neq_f64_e64 s1, s[6:7], v[16:17]
	s_or_b32 s10, vcc_lo, s1
	s_cbranch_execnz .LBB123_142
.LBB123_141:
	v_cmp_eq_f64_e32 vcc_lo, s[4:5], v[14:15]
	v_cmp_eq_f64_e64 s1, s[6:7], v[16:17]
	s_and_not1_b32 s10, s10, exec_lo
	s_and_b32 s1, vcc_lo, s1
	s_delay_alu instid0(SALU_CYCLE_1) | instskip(NEXT) | instid1(SALU_CYCLE_1)
	s_and_b32 s1, s1, exec_lo
	s_or_b32 s10, s10, s1
.LBB123_142:
	s_delay_alu instid0(SALU_CYCLE_1)
	v_cndmask_b32_e64 v23, 0, 1, s10
.LBB123_143:
	s_or_b32 exec_lo, exec_lo, s3
	v_or_b32_e32 v14, 0xc00, v0
	s_delay_alu instid0(VALU_DEP_1)
	v_cmp_gt_i32_e32 vcc_lo, s12, v14
                                        ; implicit-def: $vgpr14
	s_and_saveexec_b32 s3, vcc_lo
	s_cbranch_execz .LBB123_148
; %bb.144:
	v_cmp_ne_u32_e32 vcc_lo, 1, v63
	s_cbranch_vccnz .LBB123_224
; %bb.145:
	v_cmp_neq_f64_e32 vcc_lo, s[4:5], v[18:19]
	v_cmp_neq_f64_e64 s1, s[6:7], v[20:21]
	s_or_b32 s10, vcc_lo, s1
	s_cbranch_execnz .LBB123_147
.LBB123_146:
	v_cmp_eq_f64_e32 vcc_lo, s[4:5], v[18:19]
	v_cmp_eq_f64_e64 s1, s[6:7], v[20:21]
	s_and_not1_b32 s10, s10, exec_lo
	s_and_b32 s1, vcc_lo, s1
	s_delay_alu instid0(SALU_CYCLE_1) | instskip(NEXT) | instid1(SALU_CYCLE_1)
	s_and_b32 s1, s1, exec_lo
	s_or_b32 s10, s10, s1
.LBB123_147:
	s_delay_alu instid0(SALU_CYCLE_1)
	v_cndmask_b32_e64 v14, 0, 1, s10
.LBB123_148:
	s_or_b32 exec_lo, exec_lo, s3
	v_or_b32_e32 v15, 0xd00, v0
	s_delay_alu instid0(VALU_DEP_1)
	v_cmp_gt_i32_e32 vcc_lo, s12, v15
                                        ; implicit-def: $vgpr15
	s_and_saveexec_b32 s3, vcc_lo
	s_cbranch_execz .LBB123_153
; %bb.149:
	v_cmp_ne_u32_e32 vcc_lo, 1, v63
	s_cbranch_vccnz .LBB123_225
; %bb.150:
	v_cmp_neq_f64_e32 vcc_lo, s[4:5], v[6:7]
	v_cmp_neq_f64_e64 s1, s[6:7], v[8:9]
	s_or_b32 s10, vcc_lo, s1
	s_cbranch_execnz .LBB123_152
.LBB123_151:
	v_cmp_eq_f64_e32 vcc_lo, s[4:5], v[6:7]
	v_cmp_eq_f64_e64 s1, s[6:7], v[8:9]
	s_and_not1_b32 s10, s10, exec_lo
	s_and_b32 s1, vcc_lo, s1
	s_delay_alu instid0(SALU_CYCLE_1) | instskip(NEXT) | instid1(SALU_CYCLE_1)
	s_and_b32 s1, s1, exec_lo
	s_or_b32 s10, s10, s1
.LBB123_152:
	s_delay_alu instid0(SALU_CYCLE_1)
	v_cndmask_b32_e64 v15, 0, 1, s10
.LBB123_153:
	s_or_b32 exec_lo, exec_lo, s3
	v_or_b32_e32 v6, 0xe00, v0
	s_delay_alu instid0(VALU_DEP_1)
	v_cmp_gt_i32_e32 vcc_lo, s12, v6
                                        ; implicit-def: $vgpr6
	s_and_saveexec_b32 s3, vcc_lo
	s_cbranch_execz .LBB123_158
; %bb.154:
	v_cmp_ne_u32_e32 vcc_lo, 1, v63
	s_cbranch_vccnz .LBB123_226
; %bb.155:
	v_cmp_neq_f64_e32 vcc_lo, s[4:5], v[10:11]
	v_cmp_neq_f64_e64 s1, s[6:7], v[12:13]
	s_or_b32 s10, vcc_lo, s1
	s_cbranch_execnz .LBB123_157
.LBB123_156:
	v_cmp_eq_f64_e32 vcc_lo, s[4:5], v[10:11]
	v_cmp_eq_f64_e64 s1, s[6:7], v[12:13]
	s_and_not1_b32 s10, s10, exec_lo
	s_and_b32 s1, vcc_lo, s1
	s_delay_alu instid0(SALU_CYCLE_1) | instskip(NEXT) | instid1(SALU_CYCLE_1)
	s_and_b32 s1, s1, exec_lo
	s_or_b32 s10, s10, s1
.LBB123_157:
	s_delay_alu instid0(SALU_CYCLE_1)
	v_cndmask_b32_e64 v6, 0, 1, s10
.LBB123_158:
	s_or_b32 exec_lo, exec_lo, s3
	v_or_b32_e32 v7, 0xf00, v0
	s_delay_alu instid0(VALU_DEP_1)
	v_cmp_gt_i32_e32 vcc_lo, s12, v7
                                        ; implicit-def: $vgpr7
	s_and_saveexec_b32 s3, vcc_lo
	s_cbranch_execz .LBB123_163
; %bb.159:
	v_cmp_ne_u32_e32 vcc_lo, 1, v63
	s_cbranch_vccnz .LBB123_227
; %bb.160:
	v_cmp_neq_f64_e32 vcc_lo, s[4:5], v[2:3]
	v_cmp_neq_f64_e64 s1, s[6:7], v[4:5]
	s_or_b32 s10, vcc_lo, s1
	s_cbranch_execnz .LBB123_162
.LBB123_161:
	v_cmp_eq_f64_e32 vcc_lo, s[4:5], v[2:3]
	v_cmp_eq_f64_e64 s1, s[6:7], v[4:5]
	s_and_not1_b32 s4, s10, exec_lo
	s_and_b32 s1, vcc_lo, s1
	s_delay_alu instid0(SALU_CYCLE_1) | instskip(NEXT) | instid1(SALU_CYCLE_1)
	s_and_b32 s1, s1, exec_lo
	s_or_b32 s10, s4, s1
.LBB123_162:
	s_delay_alu instid0(SALU_CYCLE_1)
	v_cndmask_b32_e64 v7, 0, 1, s10
.LBB123_163:
	s_or_b32 exec_lo, exec_lo, s3
	s_and_saveexec_b32 s1, s0
	s_delay_alu instid0(SALU_CYCLE_1)
	s_xor_b32 s0, exec_lo, s1
	s_cbranch_execz .LBB123_165
; %bb.164:
	v_mov_b32_e32 v0, v66
	global_store_b8 v1, v67, s[8:9]
.LBB123_165:
	s_wait_xcnt 0x0
	s_or_b32 exec_lo, exec_lo, s0
	s_delay_alu instid0(SALU_CYCLE_1)
	s_mov_b32 s0, exec_lo
	v_cmpx_gt_i32_e64 s12, v0
	s_cbranch_execnz .LBB123_181
; %bb.166:
	s_or_b32 exec_lo, exec_lo, s0
	s_delay_alu instid0(SALU_CYCLE_1)
	s_mov_b32 s0, exec_lo
	v_cmpx_gt_i32_e64 s12, v0
	s_cbranch_execnz .LBB123_182
.LBB123_167:
	s_or_b32 exec_lo, exec_lo, s0
	s_delay_alu instid0(SALU_CYCLE_1)
	s_mov_b32 s0, exec_lo
	v_cmpx_gt_i32_e64 s12, v0
	s_cbranch_execnz .LBB123_183
.LBB123_168:
	s_or_b32 exec_lo, exec_lo, s0
	s_delay_alu instid0(SALU_CYCLE_1)
	s_mov_b32 s0, exec_lo
	v_cmpx_gt_i32_e64 s12, v0
	s_cbranch_execnz .LBB123_184
.LBB123_169:
	s_or_b32 exec_lo, exec_lo, s0
	s_delay_alu instid0(SALU_CYCLE_1)
	s_mov_b32 s0, exec_lo
	v_cmpx_gt_i32_e64 s12, v0
	s_cbranch_execnz .LBB123_185
.LBB123_170:
	s_or_b32 exec_lo, exec_lo, s0
	s_delay_alu instid0(SALU_CYCLE_1)
	s_mov_b32 s0, exec_lo
	v_cmpx_gt_i32_e64 s12, v0
	s_cbranch_execnz .LBB123_186
.LBB123_171:
	s_or_b32 exec_lo, exec_lo, s0
	s_delay_alu instid0(SALU_CYCLE_1)
	s_mov_b32 s0, exec_lo
	v_cmpx_gt_i32_e64 s12, v0
	s_cbranch_execnz .LBB123_187
.LBB123_172:
	s_or_b32 exec_lo, exec_lo, s0
	s_delay_alu instid0(SALU_CYCLE_1)
	s_mov_b32 s0, exec_lo
	v_cmpx_gt_i32_e64 s12, v0
	s_cbranch_execnz .LBB123_188
.LBB123_173:
	s_or_b32 exec_lo, exec_lo, s0
	s_delay_alu instid0(SALU_CYCLE_1)
	s_mov_b32 s0, exec_lo
	v_cmpx_gt_i32_e64 s12, v0
	s_cbranch_execnz .LBB123_189
.LBB123_174:
	s_or_b32 exec_lo, exec_lo, s0
	s_delay_alu instid0(SALU_CYCLE_1)
	s_mov_b32 s0, exec_lo
	v_cmpx_gt_i32_e64 s12, v0
	s_cbranch_execnz .LBB123_190
.LBB123_175:
	s_or_b32 exec_lo, exec_lo, s0
	s_delay_alu instid0(SALU_CYCLE_1)
	s_mov_b32 s0, exec_lo
	v_cmpx_gt_i32_e64 s12, v0
	s_cbranch_execnz .LBB123_191
.LBB123_176:
	s_or_b32 exec_lo, exec_lo, s0
	s_delay_alu instid0(SALU_CYCLE_1)
	s_mov_b32 s0, exec_lo
	v_cmpx_gt_i32_e64 s12, v0
	s_cbranch_execnz .LBB123_192
.LBB123_177:
	s_or_b32 exec_lo, exec_lo, s0
	s_delay_alu instid0(SALU_CYCLE_1)
	s_mov_b32 s0, exec_lo
	v_cmpx_gt_i32_e64 s12, v0
	s_cbranch_execnz .LBB123_193
.LBB123_178:
	s_or_b32 exec_lo, exec_lo, s0
	s_delay_alu instid0(SALU_CYCLE_1)
	s_mov_b32 s0, exec_lo
	v_cmpx_gt_i32_e64 s12, v0
	s_cbranch_execnz .LBB123_194
.LBB123_179:
	s_or_b32 exec_lo, exec_lo, s0
	s_delay_alu instid0(SALU_CYCLE_1)
	s_mov_b32 s0, exec_lo
	v_cmpx_gt_i32_e64 s12, v0
	s_cbranch_execz .LBB123_195
.LBB123_180:
	v_add_nc_u32_e32 v0, s2, v0
	global_store_b8 v0, v7, s[8:9]
	s_sendmsg sendmsg(MSG_DEALLOC_VGPRS)
	s_endpgm
.LBB123_181:
	v_add_nc_u32_e32 v1, s2, v0
	v_add_nc_u32_e32 v0, 0x100, v0
	global_store_b8 v1, v62, s[8:9]
	s_wait_xcnt 0x0
	s_or_b32 exec_lo, exec_lo, s0
	s_delay_alu instid0(SALU_CYCLE_1)
	s_mov_b32 s0, exec_lo
	v_cmpx_gt_i32_e64 s12, v0
	s_cbranch_execz .LBB123_167
.LBB123_182:
	v_add_nc_u32_e32 v1, s2, v0
	v_add_nc_u32_e32 v0, 0x100, v0
	global_store_b8 v1, v54, s[8:9]
	s_wait_xcnt 0x0
	s_or_b32 exec_lo, exec_lo, s0
	s_delay_alu instid0(SALU_CYCLE_1)
	s_mov_b32 s0, exec_lo
	v_cmpx_gt_i32_e64 s12, v0
	s_cbranch_execz .LBB123_168
.LBB123_183:
	v_add_nc_u32_e32 v1, s2, v0
	v_add_nc_u32_e32 v0, 0x100, v0
	global_store_b8 v1, v55, s[8:9]
	s_wait_xcnt 0x0
	s_or_b32 exec_lo, exec_lo, s0
	s_delay_alu instid0(SALU_CYCLE_1)
	s_mov_b32 s0, exec_lo
	v_cmpx_gt_i32_e64 s12, v0
	s_cbranch_execz .LBB123_169
.LBB123_184:
	v_add_nc_u32_e32 v1, s2, v0
	v_add_nc_u32_e32 v0, 0x100, v0
	global_store_b8 v1, v46, s[8:9]
	s_wait_xcnt 0x0
	s_or_b32 exec_lo, exec_lo, s0
	s_delay_alu instid0(SALU_CYCLE_1)
	s_mov_b32 s0, exec_lo
	v_cmpx_gt_i32_e64 s12, v0
	s_cbranch_execz .LBB123_170
.LBB123_185:
	v_add_nc_u32_e32 v1, s2, v0
	v_add_nc_u32_e32 v0, 0x100, v0
	global_store_b8 v1, v47, s[8:9]
	s_wait_xcnt 0x0
	s_or_b32 exec_lo, exec_lo, s0
	s_delay_alu instid0(SALU_CYCLE_1)
	s_mov_b32 s0, exec_lo
	v_cmpx_gt_i32_e64 s12, v0
	s_cbranch_execz .LBB123_171
.LBB123_186:
	v_add_nc_u32_e32 v1, s2, v0
	v_add_nc_u32_e32 v0, 0x100, v0
	global_store_b8 v1, v38, s[8:9]
	s_wait_xcnt 0x0
	s_or_b32 exec_lo, exec_lo, s0
	s_delay_alu instid0(SALU_CYCLE_1)
	s_mov_b32 s0, exec_lo
	v_cmpx_gt_i32_e64 s12, v0
	s_cbranch_execz .LBB123_172
.LBB123_187:
	v_add_nc_u32_e32 v1, s2, v0
	v_add_nc_u32_e32 v0, 0x100, v0
	global_store_b8 v1, v39, s[8:9]
	s_wait_xcnt 0x0
	s_or_b32 exec_lo, exec_lo, s0
	s_delay_alu instid0(SALU_CYCLE_1)
	s_mov_b32 s0, exec_lo
	v_cmpx_gt_i32_e64 s12, v0
	s_cbranch_execz .LBB123_173
.LBB123_188:
	v_add_nc_u32_e32 v1, s2, v0
	v_add_nc_u32_e32 v0, 0x100, v0
	global_store_b8 v1, v30, s[8:9]
	s_wait_xcnt 0x0
	s_or_b32 exec_lo, exec_lo, s0
	s_delay_alu instid0(SALU_CYCLE_1)
	s_mov_b32 s0, exec_lo
	v_cmpx_gt_i32_e64 s12, v0
	s_cbranch_execz .LBB123_174
.LBB123_189:
	v_add_nc_u32_e32 v1, s2, v0
	v_add_nc_u32_e32 v0, 0x100, v0
	global_store_b8 v1, v31, s[8:9]
	s_wait_xcnt 0x0
	s_or_b32 exec_lo, exec_lo, s0
	s_delay_alu instid0(SALU_CYCLE_1)
	s_mov_b32 s0, exec_lo
	v_cmpx_gt_i32_e64 s12, v0
	s_cbranch_execz .LBB123_175
.LBB123_190:
	v_add_nc_u32_e32 v1, s2, v0
	v_add_nc_u32_e32 v0, 0x100, v0
	global_store_b8 v1, v22, s[8:9]
	s_wait_xcnt 0x0
	s_or_b32 exec_lo, exec_lo, s0
	s_delay_alu instid0(SALU_CYCLE_1)
	s_mov_b32 s0, exec_lo
	v_cmpx_gt_i32_e64 s12, v0
	s_cbranch_execz .LBB123_176
.LBB123_191:
	v_add_nc_u32_e32 v1, s2, v0
	v_add_nc_u32_e32 v0, 0x100, v0
	global_store_b8 v1, v23, s[8:9]
	s_wait_xcnt 0x0
	s_or_b32 exec_lo, exec_lo, s0
	s_delay_alu instid0(SALU_CYCLE_1)
	s_mov_b32 s0, exec_lo
	v_cmpx_gt_i32_e64 s12, v0
	s_cbranch_execz .LBB123_177
.LBB123_192:
	v_add_nc_u32_e32 v1, s2, v0
	v_add_nc_u32_e32 v0, 0x100, v0
	global_store_b8 v1, v14, s[8:9]
	s_wait_xcnt 0x0
	s_or_b32 exec_lo, exec_lo, s0
	s_delay_alu instid0(SALU_CYCLE_1)
	s_mov_b32 s0, exec_lo
	v_cmpx_gt_i32_e64 s12, v0
	s_cbranch_execz .LBB123_178
.LBB123_193:
	v_add_nc_u32_e32 v1, s2, v0
	v_add_nc_u32_e32 v0, 0x100, v0
	global_store_b8 v1, v15, s[8:9]
	s_wait_xcnt 0x0
	s_or_b32 exec_lo, exec_lo, s0
	s_delay_alu instid0(SALU_CYCLE_1)
	s_mov_b32 s0, exec_lo
	v_cmpx_gt_i32_e64 s12, v0
	s_cbranch_execz .LBB123_179
.LBB123_194:
	v_add_nc_u32_e32 v1, s2, v0
	v_add_nc_u32_e32 v0, 0x100, v0
	global_store_b8 v1, v6, s[8:9]
	s_wait_xcnt 0x0
	s_or_b32 exec_lo, exec_lo, s0
	s_delay_alu instid0(SALU_CYCLE_1)
	s_mov_b32 s0, exec_lo
	v_cmpx_gt_i32_e64 s12, v0
	s_cbranch_execnz .LBB123_180
.LBB123_195:
	s_sendmsg sendmsg(MSG_DEALLOC_VGPRS)
	s_endpgm
.LBB123_196:
	s_wait_xcnt 0x0
                                        ; implicit-def: $sgpr1
	s_branch .LBB123_3
.LBB123_197:
                                        ; implicit-def: $sgpr14
	s_branch .LBB123_6
.LBB123_198:
                                        ; implicit-def: $sgpr15
	s_branch .LBB123_9
.LBB123_199:
                                        ; implicit-def: $sgpr16
	s_branch .LBB123_12
.LBB123_200:
                                        ; implicit-def: $sgpr17
	s_branch .LBB123_15
.LBB123_201:
                                        ; implicit-def: $sgpr18
	s_branch .LBB123_18
.LBB123_202:
                                        ; implicit-def: $sgpr19
	s_branch .LBB123_21
.LBB123_203:
                                        ; implicit-def: $sgpr20
	s_branch .LBB123_24
.LBB123_204:
                                        ; implicit-def: $sgpr21
	s_branch .LBB123_27
.LBB123_205:
                                        ; implicit-def: $sgpr22
	s_branch .LBB123_30
.LBB123_206:
                                        ; implicit-def: $sgpr23
	s_branch .LBB123_33
.LBB123_207:
                                        ; implicit-def: $sgpr24
	s_branch .LBB123_36
.LBB123_208:
                                        ; implicit-def: $sgpr25
	s_branch .LBB123_39
.LBB123_209:
                                        ; implicit-def: $sgpr26
	s_branch .LBB123_42
.LBB123_210:
                                        ; implicit-def: $sgpr27
	s_branch .LBB123_45
.LBB123_211:
                                        ; implicit-def: $sgpr28
	s_branch .LBB123_48
.LBB123_212:
                                        ; implicit-def: $sgpr11
	s_branch .LBB123_86
.LBB123_213:
                                        ; implicit-def: $sgpr3
	s_branch .LBB123_91
.LBB123_214:
                                        ; implicit-def: $sgpr10
	s_branch .LBB123_96
.LBB123_215:
                                        ; implicit-def: $sgpr10
	s_branch .LBB123_101
.LBB123_216:
                                        ; implicit-def: $sgpr10
	s_branch .LBB123_106
.LBB123_217:
                                        ; implicit-def: $sgpr10
	s_branch .LBB123_111
.LBB123_218:
                                        ; implicit-def: $sgpr10
	s_branch .LBB123_116
.LBB123_219:
                                        ; implicit-def: $sgpr10
	s_branch .LBB123_121
.LBB123_220:
                                        ; implicit-def: $sgpr10
	s_branch .LBB123_126
.LBB123_221:
                                        ; implicit-def: $sgpr10
	s_branch .LBB123_131
.LBB123_222:
                                        ; implicit-def: $sgpr10
	s_branch .LBB123_136
.LBB123_223:
                                        ; implicit-def: $sgpr10
	s_branch .LBB123_141
.LBB123_224:
                                        ; implicit-def: $sgpr10
	s_branch .LBB123_146
.LBB123_225:
                                        ; implicit-def: $sgpr10
	s_branch .LBB123_151
.LBB123_226:
                                        ; implicit-def: $sgpr10
	s_branch .LBB123_156
.LBB123_227:
                                        ; implicit-def: $sgpr10
	s_branch .LBB123_161
	.section	.rodata,"a",@progbits
	.p2align	6, 0x0
	.amdhsa_kernel _ZN2at6native29vectorized_elementwise_kernelILi2ENS0_13AUnaryFunctorIN3c107complexIdEES5_bNS0_12_GLOBAL__N_116CompareEqFunctorIS5_EEEESt5arrayIPcLm2EEEEviT0_T1_
		.amdhsa_group_segment_fixed_size 0
		.amdhsa_private_segment_fixed_size 0
		.amdhsa_kernarg_size 64
		.amdhsa_user_sgpr_count 2
		.amdhsa_user_sgpr_dispatch_ptr 0
		.amdhsa_user_sgpr_queue_ptr 0
		.amdhsa_user_sgpr_kernarg_segment_ptr 1
		.amdhsa_user_sgpr_dispatch_id 0
		.amdhsa_user_sgpr_kernarg_preload_length 0
		.amdhsa_user_sgpr_kernarg_preload_offset 0
		.amdhsa_user_sgpr_private_segment_size 0
		.amdhsa_wavefront_size32 1
		.amdhsa_uses_dynamic_stack 0
		.amdhsa_enable_private_segment 0
		.amdhsa_system_sgpr_workgroup_id_x 1
		.amdhsa_system_sgpr_workgroup_id_y 0
		.amdhsa_system_sgpr_workgroup_id_z 0
		.amdhsa_system_sgpr_workgroup_info 0
		.amdhsa_system_vgpr_workitem_id 0
		.amdhsa_next_free_vgpr 68
		.amdhsa_next_free_sgpr 29
		.amdhsa_named_barrier_count 0
		.amdhsa_reserve_vcc 1
		.amdhsa_float_round_mode_32 0
		.amdhsa_float_round_mode_16_64 0
		.amdhsa_float_denorm_mode_32 3
		.amdhsa_float_denorm_mode_16_64 3
		.amdhsa_fp16_overflow 0
		.amdhsa_memory_ordered 1
		.amdhsa_forward_progress 1
		.amdhsa_inst_pref_size 44
		.amdhsa_round_robin_scheduling 0
		.amdhsa_exception_fp_ieee_invalid_op 0
		.amdhsa_exception_fp_denorm_src 0
		.amdhsa_exception_fp_ieee_div_zero 0
		.amdhsa_exception_fp_ieee_overflow 0
		.amdhsa_exception_fp_ieee_underflow 0
		.amdhsa_exception_fp_ieee_inexact 0
		.amdhsa_exception_int_div_zero 0
	.end_amdhsa_kernel
	.section	.text._ZN2at6native29vectorized_elementwise_kernelILi2ENS0_13AUnaryFunctorIN3c107complexIdEES5_bNS0_12_GLOBAL__N_116CompareEqFunctorIS5_EEEESt5arrayIPcLm2EEEEviT0_T1_,"axG",@progbits,_ZN2at6native29vectorized_elementwise_kernelILi2ENS0_13AUnaryFunctorIN3c107complexIdEES5_bNS0_12_GLOBAL__N_116CompareEqFunctorIS5_EEEESt5arrayIPcLm2EEEEviT0_T1_,comdat
.Lfunc_end123:
	.size	_ZN2at6native29vectorized_elementwise_kernelILi2ENS0_13AUnaryFunctorIN3c107complexIdEES5_bNS0_12_GLOBAL__N_116CompareEqFunctorIS5_EEEESt5arrayIPcLm2EEEEviT0_T1_, .Lfunc_end123-_ZN2at6native29vectorized_elementwise_kernelILi2ENS0_13AUnaryFunctorIN3c107complexIdEES5_bNS0_12_GLOBAL__N_116CompareEqFunctorIS5_EEEESt5arrayIPcLm2EEEEviT0_T1_
                                        ; -- End function
	.set _ZN2at6native29vectorized_elementwise_kernelILi2ENS0_13AUnaryFunctorIN3c107complexIdEES5_bNS0_12_GLOBAL__N_116CompareEqFunctorIS5_EEEESt5arrayIPcLm2EEEEviT0_T1_.num_vgpr, 68
	.set _ZN2at6native29vectorized_elementwise_kernelILi2ENS0_13AUnaryFunctorIN3c107complexIdEES5_bNS0_12_GLOBAL__N_116CompareEqFunctorIS5_EEEESt5arrayIPcLm2EEEEviT0_T1_.num_agpr, 0
	.set _ZN2at6native29vectorized_elementwise_kernelILi2ENS0_13AUnaryFunctorIN3c107complexIdEES5_bNS0_12_GLOBAL__N_116CompareEqFunctorIS5_EEEESt5arrayIPcLm2EEEEviT0_T1_.numbered_sgpr, 29
	.set _ZN2at6native29vectorized_elementwise_kernelILi2ENS0_13AUnaryFunctorIN3c107complexIdEES5_bNS0_12_GLOBAL__N_116CompareEqFunctorIS5_EEEESt5arrayIPcLm2EEEEviT0_T1_.num_named_barrier, 0
	.set _ZN2at6native29vectorized_elementwise_kernelILi2ENS0_13AUnaryFunctorIN3c107complexIdEES5_bNS0_12_GLOBAL__N_116CompareEqFunctorIS5_EEEESt5arrayIPcLm2EEEEviT0_T1_.private_seg_size, 0
	.set _ZN2at6native29vectorized_elementwise_kernelILi2ENS0_13AUnaryFunctorIN3c107complexIdEES5_bNS0_12_GLOBAL__N_116CompareEqFunctorIS5_EEEESt5arrayIPcLm2EEEEviT0_T1_.uses_vcc, 1
	.set _ZN2at6native29vectorized_elementwise_kernelILi2ENS0_13AUnaryFunctorIN3c107complexIdEES5_bNS0_12_GLOBAL__N_116CompareEqFunctorIS5_EEEESt5arrayIPcLm2EEEEviT0_T1_.uses_flat_scratch, 0
	.set _ZN2at6native29vectorized_elementwise_kernelILi2ENS0_13AUnaryFunctorIN3c107complexIdEES5_bNS0_12_GLOBAL__N_116CompareEqFunctorIS5_EEEESt5arrayIPcLm2EEEEviT0_T1_.has_dyn_sized_stack, 0
	.set _ZN2at6native29vectorized_elementwise_kernelILi2ENS0_13AUnaryFunctorIN3c107complexIdEES5_bNS0_12_GLOBAL__N_116CompareEqFunctorIS5_EEEESt5arrayIPcLm2EEEEviT0_T1_.has_recursion, 0
	.set _ZN2at6native29vectorized_elementwise_kernelILi2ENS0_13AUnaryFunctorIN3c107complexIdEES5_bNS0_12_GLOBAL__N_116CompareEqFunctorIS5_EEEESt5arrayIPcLm2EEEEviT0_T1_.has_indirect_call, 0
	.section	.AMDGPU.csdata,"",@progbits
; Kernel info:
; codeLenInByte = 5544
; TotalNumSgprs: 31
; NumVgprs: 68
; ScratchSize: 0
; MemoryBound: 0
; FloatMode: 240
; IeeeMode: 1
; LDSByteSize: 0 bytes/workgroup (compile time only)
; SGPRBlocks: 0
; VGPRBlocks: 4
; NumSGPRsForWavesPerEU: 31
; NumVGPRsForWavesPerEU: 68
; NamedBarCnt: 0
; Occupancy: 12
; WaveLimiterHint : 1
; COMPUTE_PGM_RSRC2:SCRATCH_EN: 0
; COMPUTE_PGM_RSRC2:USER_SGPR: 2
; COMPUTE_PGM_RSRC2:TRAP_HANDLER: 0
; COMPUTE_PGM_RSRC2:TGID_X_EN: 1
; COMPUTE_PGM_RSRC2:TGID_Y_EN: 0
; COMPUTE_PGM_RSRC2:TGID_Z_EN: 0
; COMPUTE_PGM_RSRC2:TIDIG_COMP_CNT: 0
	.section	.text._ZN2at6native27unrolled_elementwise_kernelINS0_13AUnaryFunctorIN3c107complexIdEES5_bNS0_12_GLOBAL__N_116CompareEqFunctorIS5_EEEESt5arrayIPcLm2EELi4E23TrivialOffsetCalculatorILi1EjESE_NS0_6memory15LoadWithoutCastENSF_16StoreWithoutCastEEEviT_T0_T2_T3_T4_T5_,"axG",@progbits,_ZN2at6native27unrolled_elementwise_kernelINS0_13AUnaryFunctorIN3c107complexIdEES5_bNS0_12_GLOBAL__N_116CompareEqFunctorIS5_EEEESt5arrayIPcLm2EELi4E23TrivialOffsetCalculatorILi1EjESE_NS0_6memory15LoadWithoutCastENSF_16StoreWithoutCastEEEviT_T0_T2_T3_T4_T5_,comdat
	.globl	_ZN2at6native27unrolled_elementwise_kernelINS0_13AUnaryFunctorIN3c107complexIdEES5_bNS0_12_GLOBAL__N_116CompareEqFunctorIS5_EEEESt5arrayIPcLm2EELi4E23TrivialOffsetCalculatorILi1EjESE_NS0_6memory15LoadWithoutCastENSF_16StoreWithoutCastEEEviT_T0_T2_T3_T4_T5_ ; -- Begin function _ZN2at6native27unrolled_elementwise_kernelINS0_13AUnaryFunctorIN3c107complexIdEES5_bNS0_12_GLOBAL__N_116CompareEqFunctorIS5_EEEESt5arrayIPcLm2EELi4E23TrivialOffsetCalculatorILi1EjESE_NS0_6memory15LoadWithoutCastENSF_16StoreWithoutCastEEEviT_T0_T2_T3_T4_T5_
	.p2align	8
	.type	_ZN2at6native27unrolled_elementwise_kernelINS0_13AUnaryFunctorIN3c107complexIdEES5_bNS0_12_GLOBAL__N_116CompareEqFunctorIS5_EEEESt5arrayIPcLm2EELi4E23TrivialOffsetCalculatorILi1EjESE_NS0_6memory15LoadWithoutCastENSF_16StoreWithoutCastEEEviT_T0_T2_T3_T4_T5_,@function
_ZN2at6native27unrolled_elementwise_kernelINS0_13AUnaryFunctorIN3c107complexIdEES5_bNS0_12_GLOBAL__N_116CompareEqFunctorIS5_EEEESt5arrayIPcLm2EELi4E23TrivialOffsetCalculatorILi1EjESE_NS0_6memory15LoadWithoutCastENSF_16StoreWithoutCastEEEviT_T0_T2_T3_T4_T5_: ; @_ZN2at6native27unrolled_elementwise_kernelINS0_13AUnaryFunctorIN3c107complexIdEES5_bNS0_12_GLOBAL__N_116CompareEqFunctorIS5_EEEESt5arrayIPcLm2EELi4E23TrivialOffsetCalculatorILi1EjESE_NS0_6memory15LoadWithoutCastENSF_16StoreWithoutCastEEEviT_T0_T2_T3_T4_T5_
; %bb.0:
	s_load_b32 s2, s[0:1], 0x0
	s_bfe_u32 s12, ttmp6, 0x4000c
	s_load_b256 s[4:11], s[0:1], 0x20
	s_add_co_i32 s12, s12, 1
	s_and_b32 s3, ttmp6, 15
	s_mul_i32 s12, ttmp9, s12
	s_getreg_b32 s13, hwreg(HW_REG_IB_STS2, 6, 4)
	s_add_co_i32 s3, s3, s12
	s_cmp_eq_u32 s13, 0
	v_mov_b64_e32 v[6:7], 0
	s_cselect_b32 s3, ttmp9, s3
	v_mov_b64_e32 v[14:15], 0
	s_lshl_b32 s3, s3, 10
	v_mov_b64_e32 v[16:17], 0
	v_or_b32_e32 v1, 0x100, v0
	v_dual_mov_b32 v19, v0 :: v_dual_bitop2_b32 v18, s3, v0 bitop3:0x54
	s_wait_kmcnt 0x0
	s_sub_co_i32 s12, s2, s3
	s_delay_alu instid0(SALU_CYCLE_1)
	v_cmp_gt_i32_e64 s2, s12, v0
	s_and_saveexec_b32 s13, s2
	s_cbranch_execz .LBB124_2
; %bb.1:
	global_load_b128 v[14:17], v18, s[10:11] scale_offset
	v_or_b32_e32 v19, 0x100, v0
.LBB124_2:
	s_wait_xcnt 0x0
	s_or_b32 exec_lo, exec_lo, s13
	v_mov_b64_e32 v[8:9], 0
	s_mov_b32 s13, exec_lo
	v_cmpx_gt_i32_e64 s12, v19
	s_cbranch_execz .LBB124_4
; %bb.3:
	v_add_nc_u32_e32 v2, s3, v19
	v_add_nc_u32_e32 v19, 0x100, v19
	global_load_b128 v[6:9], v2, s[10:11] scale_offset
.LBB124_4:
	s_wait_xcnt 0x0
	s_or_b32 exec_lo, exec_lo, s13
	v_mov_b64_e32 v[2:3], 0
	v_mov_b64_e32 v[10:11], 0
	;; [unrolled: 1-line block ×3, first 2 shown]
	s_mov_b32 s13, exec_lo
	v_cmpx_gt_i32_e64 s12, v19
	s_cbranch_execz .LBB124_6
; %bb.5:
	v_add_nc_u32_e32 v4, s3, v19
	v_add_nc_u32_e32 v19, 0x100, v19
	global_load_b128 v[10:13], v4, s[10:11] scale_offset
.LBB124_6:
	s_wait_xcnt 0x0
	s_or_b32 exec_lo, exec_lo, s13
	s_load_b32 s0, s[0:1], 0x10
	v_mov_b64_e32 v[4:5], 0
	s_wait_xcnt 0x0
	s_mov_b32 s1, exec_lo
	v_cmpx_gt_i32_e64 s12, v19
	s_cbranch_execz .LBB124_8
; %bb.7:
	v_add_nc_u32_e32 v2, s3, v19
	global_load_b128 v[2:5], v2, s[10:11] scale_offset
.LBB124_8:
	s_wait_xcnt 0x0
	s_or_b32 exec_lo, exec_lo, s1
	s_wait_kmcnt 0x0
	s_cmp_lg_u32 s0, 0
                                        ; implicit-def: $vgpr19
	s_cselect_b32 s1, -1, 0
	s_and_saveexec_b32 s10, s2
	s_cbranch_execz .LBB124_13
; %bb.9:
	s_and_b32 vcc_lo, exec_lo, s1
	s_cbranch_vccz .LBB124_37
; %bb.10:
	s_wait_loadcnt 0x0
	v_cmp_neq_f64_e32 vcc_lo, s[4:5], v[14:15]
	v_cmp_neq_f64_e64 s0, s[6:7], v[16:17]
	s_or_b32 s11, vcc_lo, s0
	s_cbranch_execnz .LBB124_12
.LBB124_11:
	s_wait_loadcnt 0x0
	v_cmp_eq_f64_e32 vcc_lo, s[4:5], v[14:15]
	v_cmp_eq_f64_e64 s0, s[6:7], v[16:17]
	s_and_not1_b32 s11, s11, exec_lo
	s_and_b32 s0, vcc_lo, s0
	s_delay_alu instid0(SALU_CYCLE_1) | instskip(NEXT) | instid1(SALU_CYCLE_1)
	s_and_b32 s0, s0, exec_lo
	s_or_b32 s11, s11, s0
.LBB124_12:
	s_delay_alu instid0(SALU_CYCLE_1)
	v_cndmask_b32_e64 v19, 0, 1, s11
.LBB124_13:
	s_or_b32 exec_lo, exec_lo, s10
	s_wait_loadcnt 0x0
	v_cndmask_b32_e64 v15, 0, 1, s1
	s_mov_b32 s10, exec_lo
                                        ; implicit-def: $vgpr14
	v_cmpx_gt_i32_e64 s12, v1
	s_cbranch_execz .LBB124_18
; %bb.14:
	s_and_not1_b32 vcc_lo, exec_lo, s1
	s_cbranch_vccnz .LBB124_38
; %bb.15:
	v_cmp_neq_f64_e32 vcc_lo, s[4:5], v[6:7]
	v_cmp_neq_f64_e64 s0, s[6:7], v[8:9]
	s_or_b32 s1, vcc_lo, s0
	s_cbranch_execnz .LBB124_17
.LBB124_16:
	v_cmp_eq_f64_e32 vcc_lo, s[4:5], v[6:7]
	v_cmp_eq_f64_e64 s0, s[6:7], v[8:9]
	s_and_not1_b32 s1, s1, exec_lo
	s_and_b32 s0, vcc_lo, s0
	s_delay_alu instid0(SALU_CYCLE_1) | instskip(NEXT) | instid1(SALU_CYCLE_1)
	s_and_b32 s0, s0, exec_lo
	s_or_b32 s1, s1, s0
.LBB124_17:
	s_delay_alu instid0(SALU_CYCLE_1)
	v_cndmask_b32_e64 v14, 0, 1, s1
.LBB124_18:
	s_or_b32 exec_lo, exec_lo, s10
	v_or_b32_e32 v6, 0x200, v0
	s_delay_alu instid0(VALU_DEP_1)
	v_cmp_gt_i32_e32 vcc_lo, s12, v6
                                        ; implicit-def: $vgpr6
	s_and_saveexec_b32 s1, vcc_lo
	s_cbranch_execz .LBB124_23
; %bb.19:
	v_cmp_ne_u32_e32 vcc_lo, 1, v15
	s_cbranch_vccnz .LBB124_39
; %bb.20:
	v_cmp_neq_f64_e32 vcc_lo, s[4:5], v[10:11]
	v_cmp_neq_f64_e64 s0, s[6:7], v[12:13]
	s_or_b32 s10, vcc_lo, s0
	s_cbranch_execnz .LBB124_22
.LBB124_21:
	v_cmp_eq_f64_e32 vcc_lo, s[4:5], v[10:11]
	v_cmp_eq_f64_e64 s0, s[6:7], v[12:13]
	s_and_not1_b32 s10, s10, exec_lo
	s_and_b32 s0, vcc_lo, s0
	s_delay_alu instid0(SALU_CYCLE_1) | instskip(NEXT) | instid1(SALU_CYCLE_1)
	s_and_b32 s0, s0, exec_lo
	s_or_b32 s10, s10, s0
.LBB124_22:
	s_delay_alu instid0(SALU_CYCLE_1)
	v_cndmask_b32_e64 v6, 0, 1, s10
.LBB124_23:
	s_or_b32 exec_lo, exec_lo, s1
	v_or_b32_e32 v7, 0x300, v0
	s_delay_alu instid0(VALU_DEP_1)
	v_cmp_gt_i32_e32 vcc_lo, s12, v7
                                        ; implicit-def: $vgpr7
	s_and_saveexec_b32 s1, vcc_lo
	s_cbranch_execz .LBB124_28
; %bb.24:
	v_cmp_ne_u32_e32 vcc_lo, 1, v15
	s_cbranch_vccnz .LBB124_40
; %bb.25:
	v_cmp_neq_f64_e32 vcc_lo, s[4:5], v[2:3]
	v_cmp_neq_f64_e64 s0, s[6:7], v[4:5]
	s_or_b32 s10, vcc_lo, s0
	s_cbranch_execnz .LBB124_27
.LBB124_26:
	v_cmp_eq_f64_e32 vcc_lo, s[4:5], v[2:3]
	v_cmp_eq_f64_e64 s0, s[6:7], v[4:5]
	s_and_not1_b32 s4, s10, exec_lo
	s_and_b32 s0, vcc_lo, s0
	s_delay_alu instid0(SALU_CYCLE_1) | instskip(NEXT) | instid1(SALU_CYCLE_1)
	s_and_b32 s0, s0, exec_lo
	s_or_b32 s10, s4, s0
.LBB124_27:
	s_delay_alu instid0(SALU_CYCLE_1)
	v_cndmask_b32_e64 v7, 0, 1, s10
.LBB124_28:
	s_or_b32 exec_lo, exec_lo, s1
	s_and_saveexec_b32 s0, s2
	s_delay_alu instid0(SALU_CYCLE_1)
	s_xor_b32 s0, exec_lo, s0
	s_cbranch_execz .LBB124_30
; %bb.29:
	v_mov_b32_e32 v0, v1
	global_store_b8 v18, v19, s[8:9]
.LBB124_30:
	s_wait_xcnt 0x0
	s_or_b32 exec_lo, exec_lo, s0
	s_delay_alu instid0(SALU_CYCLE_1)
	s_mov_b32 s0, exec_lo
	v_cmpx_gt_i32_e64 s12, v0
	s_cbranch_execnz .LBB124_34
; %bb.31:
	s_or_b32 exec_lo, exec_lo, s0
	s_delay_alu instid0(SALU_CYCLE_1)
	s_mov_b32 s0, exec_lo
	v_cmpx_gt_i32_e64 s12, v0
	s_cbranch_execnz .LBB124_35
.LBB124_32:
	s_or_b32 exec_lo, exec_lo, s0
	s_delay_alu instid0(SALU_CYCLE_1)
	s_mov_b32 s0, exec_lo
	v_cmpx_gt_i32_e64 s12, v0
	s_cbranch_execnz .LBB124_36
.LBB124_33:
	s_endpgm
.LBB124_34:
	v_add_nc_u32_e32 v1, 0x100, v0
	s_delay_alu instid0(VALU_DEP_1) | instskip(SKIP_3) | instid1(SALU_CYCLE_1)
	v_dual_add_nc_u32 v2, s3, v0 :: v_dual_mov_b32 v0, v1
	global_store_b8 v2, v14, s[8:9]
	s_wait_xcnt 0x0
	s_or_b32 exec_lo, exec_lo, s0
	s_mov_b32 s0, exec_lo
	v_cmpx_gt_i32_e64 s12, v0
	s_cbranch_execz .LBB124_32
.LBB124_35:
	v_add_nc_u32_e32 v1, 0x100, v0
	s_delay_alu instid0(VALU_DEP_1) | instskip(SKIP_3) | instid1(SALU_CYCLE_1)
	v_dual_add_nc_u32 v2, s3, v0 :: v_dual_mov_b32 v0, v1
	global_store_b8 v2, v6, s[8:9]
	s_wait_xcnt 0x0
	s_or_b32 exec_lo, exec_lo, s0
	s_mov_b32 s0, exec_lo
	v_cmpx_gt_i32_e64 s12, v0
	s_cbranch_execz .LBB124_33
.LBB124_36:
	v_add_nc_u32_e32 v0, s3, v0
	global_store_b8 v0, v7, s[8:9]
	s_endpgm
.LBB124_37:
                                        ; implicit-def: $sgpr11
	s_branch .LBB124_11
.LBB124_38:
                                        ; implicit-def: $sgpr1
	s_branch .LBB124_16
.LBB124_39:
                                        ; implicit-def: $sgpr10
	s_branch .LBB124_21
.LBB124_40:
                                        ; implicit-def: $sgpr10
	s_branch .LBB124_26
	.section	.rodata,"a",@progbits
	.p2align	6, 0x0
	.amdhsa_kernel _ZN2at6native27unrolled_elementwise_kernelINS0_13AUnaryFunctorIN3c107complexIdEES5_bNS0_12_GLOBAL__N_116CompareEqFunctorIS5_EEEESt5arrayIPcLm2EELi4E23TrivialOffsetCalculatorILi1EjESE_NS0_6memory15LoadWithoutCastENSF_16StoreWithoutCastEEEviT_T0_T2_T3_T4_T5_
		.amdhsa_group_segment_fixed_size 0
		.amdhsa_private_segment_fixed_size 0
		.amdhsa_kernarg_size 68
		.amdhsa_user_sgpr_count 2
		.amdhsa_user_sgpr_dispatch_ptr 0
		.amdhsa_user_sgpr_queue_ptr 0
		.amdhsa_user_sgpr_kernarg_segment_ptr 1
		.amdhsa_user_sgpr_dispatch_id 0
		.amdhsa_user_sgpr_kernarg_preload_length 0
		.amdhsa_user_sgpr_kernarg_preload_offset 0
		.amdhsa_user_sgpr_private_segment_size 0
		.amdhsa_wavefront_size32 1
		.amdhsa_uses_dynamic_stack 0
		.amdhsa_enable_private_segment 0
		.amdhsa_system_sgpr_workgroup_id_x 1
		.amdhsa_system_sgpr_workgroup_id_y 0
		.amdhsa_system_sgpr_workgroup_id_z 0
		.amdhsa_system_sgpr_workgroup_info 0
		.amdhsa_system_vgpr_workitem_id 0
		.amdhsa_next_free_vgpr 20
		.amdhsa_next_free_sgpr 14
		.amdhsa_named_barrier_count 0
		.amdhsa_reserve_vcc 1
		.amdhsa_float_round_mode_32 0
		.amdhsa_float_round_mode_16_64 0
		.amdhsa_float_denorm_mode_32 3
		.amdhsa_float_denorm_mode_16_64 3
		.amdhsa_fp16_overflow 0
		.amdhsa_memory_ordered 1
		.amdhsa_forward_progress 1
		.amdhsa_inst_pref_size 8
		.amdhsa_round_robin_scheduling 0
		.amdhsa_exception_fp_ieee_invalid_op 0
		.amdhsa_exception_fp_denorm_src 0
		.amdhsa_exception_fp_ieee_div_zero 0
		.amdhsa_exception_fp_ieee_overflow 0
		.amdhsa_exception_fp_ieee_underflow 0
		.amdhsa_exception_fp_ieee_inexact 0
		.amdhsa_exception_int_div_zero 0
	.end_amdhsa_kernel
	.section	.text._ZN2at6native27unrolled_elementwise_kernelINS0_13AUnaryFunctorIN3c107complexIdEES5_bNS0_12_GLOBAL__N_116CompareEqFunctorIS5_EEEESt5arrayIPcLm2EELi4E23TrivialOffsetCalculatorILi1EjESE_NS0_6memory15LoadWithoutCastENSF_16StoreWithoutCastEEEviT_T0_T2_T3_T4_T5_,"axG",@progbits,_ZN2at6native27unrolled_elementwise_kernelINS0_13AUnaryFunctorIN3c107complexIdEES5_bNS0_12_GLOBAL__N_116CompareEqFunctorIS5_EEEESt5arrayIPcLm2EELi4E23TrivialOffsetCalculatorILi1EjESE_NS0_6memory15LoadWithoutCastENSF_16StoreWithoutCastEEEviT_T0_T2_T3_T4_T5_,comdat
.Lfunc_end124:
	.size	_ZN2at6native27unrolled_elementwise_kernelINS0_13AUnaryFunctorIN3c107complexIdEES5_bNS0_12_GLOBAL__N_116CompareEqFunctorIS5_EEEESt5arrayIPcLm2EELi4E23TrivialOffsetCalculatorILi1EjESE_NS0_6memory15LoadWithoutCastENSF_16StoreWithoutCastEEEviT_T0_T2_T3_T4_T5_, .Lfunc_end124-_ZN2at6native27unrolled_elementwise_kernelINS0_13AUnaryFunctorIN3c107complexIdEES5_bNS0_12_GLOBAL__N_116CompareEqFunctorIS5_EEEESt5arrayIPcLm2EELi4E23TrivialOffsetCalculatorILi1EjESE_NS0_6memory15LoadWithoutCastENSF_16StoreWithoutCastEEEviT_T0_T2_T3_T4_T5_
                                        ; -- End function
	.set _ZN2at6native27unrolled_elementwise_kernelINS0_13AUnaryFunctorIN3c107complexIdEES5_bNS0_12_GLOBAL__N_116CompareEqFunctorIS5_EEEESt5arrayIPcLm2EELi4E23TrivialOffsetCalculatorILi1EjESE_NS0_6memory15LoadWithoutCastENSF_16StoreWithoutCastEEEviT_T0_T2_T3_T4_T5_.num_vgpr, 20
	.set _ZN2at6native27unrolled_elementwise_kernelINS0_13AUnaryFunctorIN3c107complexIdEES5_bNS0_12_GLOBAL__N_116CompareEqFunctorIS5_EEEESt5arrayIPcLm2EELi4E23TrivialOffsetCalculatorILi1EjESE_NS0_6memory15LoadWithoutCastENSF_16StoreWithoutCastEEEviT_T0_T2_T3_T4_T5_.num_agpr, 0
	.set _ZN2at6native27unrolled_elementwise_kernelINS0_13AUnaryFunctorIN3c107complexIdEES5_bNS0_12_GLOBAL__N_116CompareEqFunctorIS5_EEEESt5arrayIPcLm2EELi4E23TrivialOffsetCalculatorILi1EjESE_NS0_6memory15LoadWithoutCastENSF_16StoreWithoutCastEEEviT_T0_T2_T3_T4_T5_.numbered_sgpr, 14
	.set _ZN2at6native27unrolled_elementwise_kernelINS0_13AUnaryFunctorIN3c107complexIdEES5_bNS0_12_GLOBAL__N_116CompareEqFunctorIS5_EEEESt5arrayIPcLm2EELi4E23TrivialOffsetCalculatorILi1EjESE_NS0_6memory15LoadWithoutCastENSF_16StoreWithoutCastEEEviT_T0_T2_T3_T4_T5_.num_named_barrier, 0
	.set _ZN2at6native27unrolled_elementwise_kernelINS0_13AUnaryFunctorIN3c107complexIdEES5_bNS0_12_GLOBAL__N_116CompareEqFunctorIS5_EEEESt5arrayIPcLm2EELi4E23TrivialOffsetCalculatorILi1EjESE_NS0_6memory15LoadWithoutCastENSF_16StoreWithoutCastEEEviT_T0_T2_T3_T4_T5_.private_seg_size, 0
	.set _ZN2at6native27unrolled_elementwise_kernelINS0_13AUnaryFunctorIN3c107complexIdEES5_bNS0_12_GLOBAL__N_116CompareEqFunctorIS5_EEEESt5arrayIPcLm2EELi4E23TrivialOffsetCalculatorILi1EjESE_NS0_6memory15LoadWithoutCastENSF_16StoreWithoutCastEEEviT_T0_T2_T3_T4_T5_.uses_vcc, 1
	.set _ZN2at6native27unrolled_elementwise_kernelINS0_13AUnaryFunctorIN3c107complexIdEES5_bNS0_12_GLOBAL__N_116CompareEqFunctorIS5_EEEESt5arrayIPcLm2EELi4E23TrivialOffsetCalculatorILi1EjESE_NS0_6memory15LoadWithoutCastENSF_16StoreWithoutCastEEEviT_T0_T2_T3_T4_T5_.uses_flat_scratch, 0
	.set _ZN2at6native27unrolled_elementwise_kernelINS0_13AUnaryFunctorIN3c107complexIdEES5_bNS0_12_GLOBAL__N_116CompareEqFunctorIS5_EEEESt5arrayIPcLm2EELi4E23TrivialOffsetCalculatorILi1EjESE_NS0_6memory15LoadWithoutCastENSF_16StoreWithoutCastEEEviT_T0_T2_T3_T4_T5_.has_dyn_sized_stack, 0
	.set _ZN2at6native27unrolled_elementwise_kernelINS0_13AUnaryFunctorIN3c107complexIdEES5_bNS0_12_GLOBAL__N_116CompareEqFunctorIS5_EEEESt5arrayIPcLm2EELi4E23TrivialOffsetCalculatorILi1EjESE_NS0_6memory15LoadWithoutCastENSF_16StoreWithoutCastEEEviT_T0_T2_T3_T4_T5_.has_recursion, 0
	.set _ZN2at6native27unrolled_elementwise_kernelINS0_13AUnaryFunctorIN3c107complexIdEES5_bNS0_12_GLOBAL__N_116CompareEqFunctorIS5_EEEESt5arrayIPcLm2EELi4E23TrivialOffsetCalculatorILi1EjESE_NS0_6memory15LoadWithoutCastENSF_16StoreWithoutCastEEEviT_T0_T2_T3_T4_T5_.has_indirect_call, 0
	.section	.AMDGPU.csdata,"",@progbits
; Kernel info:
; codeLenInByte = 988
; TotalNumSgprs: 16
; NumVgprs: 20
; ScratchSize: 0
; MemoryBound: 0
; FloatMode: 240
; IeeeMode: 1
; LDSByteSize: 0 bytes/workgroup (compile time only)
; SGPRBlocks: 0
; VGPRBlocks: 1
; NumSGPRsForWavesPerEU: 16
; NumVGPRsForWavesPerEU: 20
; NamedBarCnt: 0
; Occupancy: 16
; WaveLimiterHint : 0
; COMPUTE_PGM_RSRC2:SCRATCH_EN: 0
; COMPUTE_PGM_RSRC2:USER_SGPR: 2
; COMPUTE_PGM_RSRC2:TRAP_HANDLER: 0
; COMPUTE_PGM_RSRC2:TGID_X_EN: 1
; COMPUTE_PGM_RSRC2:TGID_Y_EN: 0
; COMPUTE_PGM_RSRC2:TGID_Z_EN: 0
; COMPUTE_PGM_RSRC2:TIDIG_COMP_CNT: 0
	.section	.text._ZN2at6native32elementwise_kernel_manual_unrollILi128ELi8EZNS0_22gpu_kernel_impl_nocastINS0_13AUnaryFunctorIN3c107complexIdEES6_bNS0_12_GLOBAL__N_116CompareEqFunctorIS6_EEEEEEvRNS_18TensorIteratorBaseERKT_EUlibE_EEviT1_,"axG",@progbits,_ZN2at6native32elementwise_kernel_manual_unrollILi128ELi8EZNS0_22gpu_kernel_impl_nocastINS0_13AUnaryFunctorIN3c107complexIdEES6_bNS0_12_GLOBAL__N_116CompareEqFunctorIS6_EEEEEEvRNS_18TensorIteratorBaseERKT_EUlibE_EEviT1_,comdat
	.globl	_ZN2at6native32elementwise_kernel_manual_unrollILi128ELi8EZNS0_22gpu_kernel_impl_nocastINS0_13AUnaryFunctorIN3c107complexIdEES6_bNS0_12_GLOBAL__N_116CompareEqFunctorIS6_EEEEEEvRNS_18TensorIteratorBaseERKT_EUlibE_EEviT1_ ; -- Begin function _ZN2at6native32elementwise_kernel_manual_unrollILi128ELi8EZNS0_22gpu_kernel_impl_nocastINS0_13AUnaryFunctorIN3c107complexIdEES6_bNS0_12_GLOBAL__N_116CompareEqFunctorIS6_EEEEEEvRNS_18TensorIteratorBaseERKT_EUlibE_EEviT1_
	.p2align	8
	.type	_ZN2at6native32elementwise_kernel_manual_unrollILi128ELi8EZNS0_22gpu_kernel_impl_nocastINS0_13AUnaryFunctorIN3c107complexIdEES6_bNS0_12_GLOBAL__N_116CompareEqFunctorIS6_EEEEEEvRNS_18TensorIteratorBaseERKT_EUlibE_EEviT1_,@function
_ZN2at6native32elementwise_kernel_manual_unrollILi128ELi8EZNS0_22gpu_kernel_impl_nocastINS0_13AUnaryFunctorIN3c107complexIdEES6_bNS0_12_GLOBAL__N_116CompareEqFunctorIS6_EEEEEEvRNS_18TensorIteratorBaseERKT_EUlibE_EEviT1_: ; @_ZN2at6native32elementwise_kernel_manual_unrollILi128ELi8EZNS0_22gpu_kernel_impl_nocastINS0_13AUnaryFunctorIN3c107complexIdEES6_bNS0_12_GLOBAL__N_116CompareEqFunctorIS6_EEEEEEvRNS_18TensorIteratorBaseERKT_EUlibE_EEviT1_
; %bb.0:
	s_clause 0x1
	s_load_b32 s33, s[0:1], 0x10
	s_load_b32 s38, s[0:1], 0x0
	s_bfe_u32 s2, ttmp6, 0x4000c
	s_and_b32 s3, ttmp6, 15
	s_add_co_i32 s2, s2, 1
	s_getreg_b32 s4, hwreg(HW_REG_IB_STS2, 6, 4)
	s_mul_i32 s2, ttmp9, s2
	s_mov_b32 s21, 0
	s_add_co_i32 s3, s3, s2
	s_cmp_eq_u32 s4, 0
	s_cselect_b32 s2, ttmp9, s3
	s_delay_alu instid0(SALU_CYCLE_1) | instskip(SKIP_3) | instid1(VALU_DEP_1)
	v_lshl_or_b32 v4, s2, 10, v0
	s_add_nc_u64 s[2:3], s[0:1], 16
	s_wait_xcnt 0x0
	s_mov_b32 s0, exec_lo
	v_or_b32_e32 v0, 0x380, v4
	s_wait_kmcnt 0x0
	s_add_co_i32 s34, s33, -1
	s_delay_alu instid0(SALU_CYCLE_1)
	s_cmp_gt_u32 s34, 1
	s_cselect_b32 s35, -1, 0
	v_cmpx_le_i32_e64 s38, v0
	s_xor_b32 s36, exec_lo, s0
	s_cbranch_execz .LBB125_161
; %bb.1:
	s_clause 0x5
	s_load_b128 s[12:15], s[2:3], 0x4
	s_load_b64 s[0:1], s[2:3], 0x14
	s_load_b32 s23, s[2:3], 0x160
	s_load_b128 s[8:11], s[2:3], 0x170
	s_load_b128 s[16:19], s[2:3], 0xc4
	;; [unrolled: 1-line block ×3, first 2 shown]
	s_cmp_lg_u32 s33, 0
	s_add_nc_u64 s[24:25], s[2:3], 0xc4
	s_cselect_b32 s40, -1, 0
	s_min_u32 s39, s34, 15
	s_cmp_gt_u32 s33, 1
	s_mov_b32 s41, exec_lo
	s_cselect_b32 s37, -1, 0
	s_wait_kmcnt 0x0
	s_mov_b32 s20, s13
	s_mov_b32 s22, s0
	s_cmp_lg_u32 s23, 0
	s_mov_b32 s23, s21
	s_cselect_b32 s13, -1, 0
	v_cmpx_gt_i32_e64 s38, v4
	s_cbranch_execnz .LBB125_9
; %bb.2:
	s_or_b32 exec_lo, exec_lo, s41
	s_delay_alu instid0(SALU_CYCLE_1)
	s_mov_b32 s41, exec_lo
	v_cmpx_gt_i32_e64 s38, v4
	s_cbranch_execnz .LBB125_27
.LBB125_3:
	s_or_b32 exec_lo, exec_lo, s41
	s_delay_alu instid0(SALU_CYCLE_1)
	s_mov_b32 s41, exec_lo
	v_cmpx_gt_i32_e64 s38, v4
	s_cbranch_execnz .LBB125_46
.LBB125_4:
	s_or_b32 exec_lo, exec_lo, s41
	s_delay_alu instid0(SALU_CYCLE_1)
	s_mov_b32 s41, exec_lo
	v_cmpx_gt_i32_e64 s38, v4
	s_cbranch_execnz .LBB125_65
.LBB125_5:
	s_or_b32 exec_lo, exec_lo, s41
	s_delay_alu instid0(SALU_CYCLE_1)
	s_mov_b32 s41, exec_lo
	v_cmpx_gt_i32_e64 s38, v4
	s_cbranch_execnz .LBB125_84
.LBB125_6:
	s_or_b32 exec_lo, exec_lo, s41
	s_delay_alu instid0(SALU_CYCLE_1)
	s_mov_b32 s41, exec_lo
	v_cmpx_gt_i32_e64 s38, v4
	s_cbranch_execnz .LBB125_103
.LBB125_7:
	s_or_b32 exec_lo, exec_lo, s41
	s_delay_alu instid0(SALU_CYCLE_1)
	s_mov_b32 s41, exec_lo
	v_cmpx_gt_i32_e64 s38, v4
	s_cbranch_execnz .LBB125_122
.LBB125_8:
	s_or_b32 exec_lo, exec_lo, s41
	s_delay_alu instid0(SALU_CYCLE_1)
	s_mov_b32 s30, exec_lo
	v_cmpx_gt_i32_e64 s38, v4
	s_cbranch_execnz .LBB125_141
	s_branch .LBB125_160
.LBB125_9:
	s_and_not1_b32 vcc_lo, exec_lo, s35
	s_cbranch_vccnz .LBB125_14
; %bb.10:
	s_and_not1_b32 vcc_lo, exec_lo, s40
	s_cbranch_vccnz .LBB125_15
; %bb.11:
	s_add_co_i32 s0, s39, 1
	s_cmp_eq_u32 s34, 2
	s_cbranch_scc1 .LBB125_16
; %bb.12:
	v_dual_mov_b32 v6, 0 :: v_dual_mov_b32 v7, 0
	v_mov_b32_e32 v0, v4
	s_and_b32 s26, s0, 28
	s_mov_b32 s27, 0
	s_mov_b64 s[28:29], s[2:3]
	s_mov_b64 s[30:31], s[24:25]
.LBB125_13:                             ; =>This Inner Loop Header: Depth=1
	s_clause 0x1
	s_load_b256 s[44:51], s[28:29], 0x4
	s_load_b128 s[60:63], s[28:29], 0x24
	s_load_b256 s[52:59], s[30:31], 0x0
	s_add_co_i32 s27, s27, 4
	s_wait_xcnt 0x0
	s_add_nc_u64 s[28:29], s[28:29], 48
	s_cmp_lg_u32 s26, s27
	s_add_nc_u64 s[30:31], s[30:31], 32
	s_wait_kmcnt 0x0
	v_mul_hi_u32 v1, s45, v0
	s_delay_alu instid0(VALU_DEP_1) | instskip(NEXT) | instid1(VALU_DEP_1)
	v_add_nc_u32_e32 v1, v0, v1
	v_lshrrev_b32_e32 v1, s46, v1
	s_delay_alu instid0(VALU_DEP_1) | instskip(NEXT) | instid1(VALU_DEP_1)
	v_mul_hi_u32 v2, s48, v1
	v_add_nc_u32_e32 v2, v1, v2
	s_delay_alu instid0(VALU_DEP_1) | instskip(NEXT) | instid1(VALU_DEP_1)
	v_lshrrev_b32_e32 v2, s49, v2
	v_mul_hi_u32 v3, s51, v2
	s_delay_alu instid0(VALU_DEP_1) | instskip(SKIP_1) | instid1(VALU_DEP_1)
	v_add_nc_u32_e32 v3, v2, v3
	v_mul_lo_u32 v5, v1, s44
	v_sub_nc_u32_e32 v0, v0, v5
	v_mul_lo_u32 v5, v2, s47
	s_delay_alu instid0(VALU_DEP_4) | instskip(NEXT) | instid1(VALU_DEP_3)
	v_lshrrev_b32_e32 v3, s60, v3
	v_mad_u32 v7, v0, s53, v7
	v_mad_u32 v0, v0, s52, v6
	s_delay_alu instid0(VALU_DEP_4) | instskip(NEXT) | instid1(VALU_DEP_4)
	v_sub_nc_u32_e32 v1, v1, v5
	v_mul_hi_u32 v8, s62, v3
	v_mul_lo_u32 v5, v3, s50
	s_delay_alu instid0(VALU_DEP_3) | instskip(SKIP_1) | instid1(VALU_DEP_3)
	v_mad_u32 v7, v1, s55, v7
	v_mad_u32 v1, v1, s54, v0
	v_dual_add_nc_u32 v6, v3, v8 :: v_dual_sub_nc_u32 v2, v2, v5
	s_delay_alu instid0(VALU_DEP_1) | instskip(NEXT) | instid1(VALU_DEP_2)
	v_lshrrev_b32_e32 v0, s63, v6
	v_mad_u32 v6, v2, s57, v7
	s_delay_alu instid0(VALU_DEP_4) | instskip(NEXT) | instid1(VALU_DEP_3)
	v_mad_u32 v1, v2, s56, v1
	v_mul_lo_u32 v5, v0, s61
	s_delay_alu instid0(VALU_DEP_1) | instskip(NEXT) | instid1(VALU_DEP_1)
	v_sub_nc_u32_e32 v2, v3, v5
	v_mad_u32 v7, v2, s59, v6
	s_delay_alu instid0(VALU_DEP_4)
	v_mad_u32 v6, v2, s58, v1
	s_cbranch_scc1 .LBB125_13
	s_branch .LBB125_17
.LBB125_14:
                                        ; implicit-def: $vgpr7
	s_branch .LBB125_21
.LBB125_15:
	v_dual_mov_b32 v7, 0 :: v_dual_mov_b32 v6, 0
	s_branch .LBB125_20
.LBB125_16:
	v_mov_b64_e32 v[6:7], 0
	v_mov_b32_e32 v0, v4
	s_mov_b32 s26, 0
.LBB125_17:
	s_and_b32 s0, s0, 3
	s_mov_b32 s27, 0
	s_cmp_eq_u32 s0, 0
	s_cbranch_scc1 .LBB125_20
; %bb.18:
	s_lshl_b32 s28, s26, 3
	s_mov_b32 s29, s27
	s_mul_u64 s[30:31], s[26:27], 12
	s_add_nc_u64 s[28:29], s[2:3], s[28:29]
	s_delay_alu instid0(SALU_CYCLE_1)
	s_add_nc_u64 s[26:27], s[28:29], 0xc4
	s_add_nc_u64 s[28:29], s[2:3], s[30:31]
.LBB125_19:                             ; =>This Inner Loop Header: Depth=1
	s_load_b96 s[44:46], s[28:29], 0x4
	s_load_b64 s[30:31], s[26:27], 0x0
	s_add_co_i32 s0, s0, -1
	s_wait_xcnt 0x0
	s_add_nc_u64 s[28:29], s[28:29], 12
	s_cmp_lg_u32 s0, 0
	s_add_nc_u64 s[26:27], s[26:27], 8
	s_wait_kmcnt 0x0
	v_mul_hi_u32 v1, s45, v0
	s_delay_alu instid0(VALU_DEP_1) | instskip(NEXT) | instid1(VALU_DEP_1)
	v_add_nc_u32_e32 v1, v0, v1
	v_lshrrev_b32_e32 v1, s46, v1
	s_delay_alu instid0(VALU_DEP_1) | instskip(NEXT) | instid1(VALU_DEP_1)
	v_mul_lo_u32 v2, v1, s44
	v_sub_nc_u32_e32 v0, v0, v2
	s_delay_alu instid0(VALU_DEP_1)
	v_mad_u32 v7, v0, s31, v7
	v_mad_u32 v6, v0, s30, v6
	v_mov_b32_e32 v0, v1
	s_cbranch_scc1 .LBB125_19
.LBB125_20:
	s_cbranch_execnz .LBB125_23
.LBB125_21:
	v_mov_b32_e32 v5, 0
	s_and_not1_b32 vcc_lo, exec_lo, s37
	s_delay_alu instid0(VALU_DEP_1) | instskip(NEXT) | instid1(VALU_DEP_1)
	v_mul_u64_e32 v[0:1], s[20:21], v[4:5]
	v_add_nc_u32_e32 v0, v4, v1
	s_delay_alu instid0(VALU_DEP_1) | instskip(NEXT) | instid1(VALU_DEP_1)
	v_lshrrev_b32_e32 v0, s14, v0
	v_mul_lo_u32 v1, v0, s12
	s_delay_alu instid0(VALU_DEP_1) | instskip(NEXT) | instid1(VALU_DEP_1)
	v_sub_nc_u32_e32 v1, v4, v1
	v_mul_lo_u32 v7, v1, s17
	v_mul_lo_u32 v6, v1, s16
	s_cbranch_vccnz .LBB125_23
; %bb.22:
	v_mov_b32_e32 v1, v5
	s_delay_alu instid0(VALU_DEP_1) | instskip(NEXT) | instid1(VALU_DEP_1)
	v_mul_u64_e32 v[2:3], s[22:23], v[0:1]
	v_add_nc_u32_e32 v1, v0, v3
	s_delay_alu instid0(VALU_DEP_1) | instskip(NEXT) | instid1(VALU_DEP_1)
	v_lshrrev_b32_e32 v1, s1, v1
	v_mul_lo_u32 v1, v1, s15
	s_delay_alu instid0(VALU_DEP_1) | instskip(NEXT) | instid1(VALU_DEP_1)
	v_sub_nc_u32_e32 v0, v0, v1
	v_mad_u32 v6, v0, s18, v6
	v_mad_u32 v7, v0, s19, v7
.LBB125_23:
	global_load_b128 v[0:3], v7, s[6:7]
	s_and_b32 vcc_lo, exec_lo, s13
	s_cbranch_vccz .LBB125_33
; %bb.24:
	s_wait_loadcnt 0x0
	v_cmp_neq_f64_e32 vcc_lo, s[8:9], v[0:1]
	v_cmp_neq_f64_e64 s0, s[10:11], v[2:3]
	s_or_b32 s26, vcc_lo, s0
	s_cbranch_execnz .LBB125_26
.LBB125_25:
	s_wait_loadcnt 0x0
	v_cmp_eq_f64_e32 vcc_lo, s[8:9], v[0:1]
	v_cmp_eq_f64_e64 s0, s[10:11], v[2:3]
	s_and_not1_b32 s26, s26, exec_lo
	s_and_b32 s0, vcc_lo, s0
	s_delay_alu instid0(SALU_CYCLE_1) | instskip(NEXT) | instid1(SALU_CYCLE_1)
	s_and_b32 s0, s0, exec_lo
	s_or_b32 s26, s26, s0
.LBB125_26:
	s_wait_loadcnt 0x0
	v_cndmask_b32_e64 v0, 0, 1, s26
	v_add_nc_u32_e32 v4, 0x80, v4
	global_store_b8 v6, v0, s[4:5]
	s_wait_xcnt 0x0
	s_or_b32 exec_lo, exec_lo, s41
	s_delay_alu instid0(SALU_CYCLE_1)
	s_mov_b32 s41, exec_lo
	v_cmpx_gt_i32_e64 s38, v4
	s_cbranch_execz .LBB125_3
.LBB125_27:
	s_and_not1_b32 vcc_lo, exec_lo, s35
	s_cbranch_vccnz .LBB125_32
; %bb.28:
	s_and_not1_b32 vcc_lo, exec_lo, s40
	s_cbranch_vccnz .LBB125_34
; %bb.29:
	s_add_co_i32 s0, s39, 1
	s_cmp_eq_u32 s34, 2
	s_cbranch_scc1 .LBB125_35
; %bb.30:
	v_dual_mov_b32 v6, 0 :: v_dual_mov_b32 v7, 0
	v_mov_b32_e32 v0, v4
	s_and_b32 s26, s0, 28
	s_mov_b32 s27, 0
	s_mov_b64 s[28:29], s[2:3]
	s_mov_b64 s[30:31], s[24:25]
.LBB125_31:                             ; =>This Inner Loop Header: Depth=1
	s_clause 0x1
	s_load_b256 s[44:51], s[28:29], 0x4
	s_load_b128 s[60:63], s[28:29], 0x24
	s_load_b256 s[52:59], s[30:31], 0x0
	s_add_co_i32 s27, s27, 4
	s_wait_xcnt 0x0
	s_add_nc_u64 s[28:29], s[28:29], 48
	s_cmp_eq_u32 s26, s27
	s_add_nc_u64 s[30:31], s[30:31], 32
	s_wait_kmcnt 0x0
	v_mul_hi_u32 v1, s45, v0
	s_delay_alu instid0(VALU_DEP_1) | instskip(NEXT) | instid1(VALU_DEP_1)
	v_add_nc_u32_e32 v1, v0, v1
	v_lshrrev_b32_e32 v1, s46, v1
	s_delay_alu instid0(VALU_DEP_1) | instskip(NEXT) | instid1(VALU_DEP_1)
	v_mul_hi_u32 v2, s48, v1
	v_add_nc_u32_e32 v2, v1, v2
	s_delay_alu instid0(VALU_DEP_1) | instskip(NEXT) | instid1(VALU_DEP_1)
	v_lshrrev_b32_e32 v2, s49, v2
	v_mul_hi_u32 v3, s51, v2
	s_delay_alu instid0(VALU_DEP_1) | instskip(SKIP_1) | instid1(VALU_DEP_1)
	v_add_nc_u32_e32 v3, v2, v3
	v_mul_lo_u32 v5, v1, s44
	v_sub_nc_u32_e32 v0, v0, v5
	v_mul_lo_u32 v5, v2, s47
	s_delay_alu instid0(VALU_DEP_4) | instskip(NEXT) | instid1(VALU_DEP_3)
	v_lshrrev_b32_e32 v3, s60, v3
	v_mad_u32 v7, v0, s53, v7
	v_mad_u32 v0, v0, s52, v6
	s_delay_alu instid0(VALU_DEP_4) | instskip(NEXT) | instid1(VALU_DEP_4)
	v_sub_nc_u32_e32 v1, v1, v5
	v_mul_hi_u32 v8, s62, v3
	v_mul_lo_u32 v5, v3, s50
	s_delay_alu instid0(VALU_DEP_3) | instskip(SKIP_1) | instid1(VALU_DEP_3)
	v_mad_u32 v7, v1, s55, v7
	v_mad_u32 v1, v1, s54, v0
	v_dual_add_nc_u32 v6, v3, v8 :: v_dual_sub_nc_u32 v2, v2, v5
	s_delay_alu instid0(VALU_DEP_1) | instskip(NEXT) | instid1(VALU_DEP_2)
	v_lshrrev_b32_e32 v0, s63, v6
	v_mad_u32 v6, v2, s57, v7
	s_delay_alu instid0(VALU_DEP_4) | instskip(NEXT) | instid1(VALU_DEP_3)
	v_mad_u32 v1, v2, s56, v1
	v_mul_lo_u32 v5, v0, s61
	s_delay_alu instid0(VALU_DEP_1) | instskip(NEXT) | instid1(VALU_DEP_1)
	v_sub_nc_u32_e32 v2, v3, v5
	v_mad_u32 v7, v2, s59, v6
	s_delay_alu instid0(VALU_DEP_4)
	v_mad_u32 v6, v2, s58, v1
	s_cbranch_scc0 .LBB125_31
	s_branch .LBB125_36
.LBB125_32:
                                        ; implicit-def: $vgpr7
	s_branch .LBB125_40
.LBB125_33:
                                        ; implicit-def: $sgpr26
	s_branch .LBB125_25
.LBB125_34:
	v_dual_mov_b32 v7, 0 :: v_dual_mov_b32 v6, 0
	s_branch .LBB125_39
.LBB125_35:
	v_mov_b64_e32 v[6:7], 0
	v_mov_b32_e32 v0, v4
	s_mov_b32 s26, 0
.LBB125_36:
	s_and_b32 s0, s0, 3
	s_mov_b32 s27, 0
	s_cmp_eq_u32 s0, 0
	s_cbranch_scc1 .LBB125_39
; %bb.37:
	s_lshl_b32 s28, s26, 3
	s_mov_b32 s29, s27
	s_mul_u64 s[30:31], s[26:27], 12
	s_add_nc_u64 s[28:29], s[2:3], s[28:29]
	s_delay_alu instid0(SALU_CYCLE_1)
	s_add_nc_u64 s[26:27], s[28:29], 0xc4
	s_add_nc_u64 s[28:29], s[2:3], s[30:31]
.LBB125_38:                             ; =>This Inner Loop Header: Depth=1
	s_load_b96 s[44:46], s[28:29], 0x4
	s_load_b64 s[30:31], s[26:27], 0x0
	s_add_co_i32 s0, s0, -1
	s_wait_xcnt 0x0
	s_add_nc_u64 s[28:29], s[28:29], 12
	s_cmp_lg_u32 s0, 0
	s_add_nc_u64 s[26:27], s[26:27], 8
	s_wait_kmcnt 0x0
	v_mul_hi_u32 v1, s45, v0
	s_delay_alu instid0(VALU_DEP_1) | instskip(NEXT) | instid1(VALU_DEP_1)
	v_add_nc_u32_e32 v1, v0, v1
	v_lshrrev_b32_e32 v1, s46, v1
	s_delay_alu instid0(VALU_DEP_1) | instskip(NEXT) | instid1(VALU_DEP_1)
	v_mul_lo_u32 v2, v1, s44
	v_sub_nc_u32_e32 v0, v0, v2
	s_delay_alu instid0(VALU_DEP_1)
	v_mad_u32 v7, v0, s31, v7
	v_mad_u32 v6, v0, s30, v6
	v_mov_b32_e32 v0, v1
	s_cbranch_scc1 .LBB125_38
.LBB125_39:
	s_cbranch_execnz .LBB125_42
.LBB125_40:
	v_mov_b32_e32 v5, 0
	s_and_not1_b32 vcc_lo, exec_lo, s37
	s_delay_alu instid0(VALU_DEP_1) | instskip(NEXT) | instid1(VALU_DEP_1)
	v_mul_u64_e32 v[0:1], s[20:21], v[4:5]
	v_add_nc_u32_e32 v0, v4, v1
	s_delay_alu instid0(VALU_DEP_1) | instskip(NEXT) | instid1(VALU_DEP_1)
	v_lshrrev_b32_e32 v0, s14, v0
	v_mul_lo_u32 v1, v0, s12
	s_delay_alu instid0(VALU_DEP_1) | instskip(NEXT) | instid1(VALU_DEP_1)
	v_sub_nc_u32_e32 v1, v4, v1
	v_mul_lo_u32 v7, v1, s17
	v_mul_lo_u32 v6, v1, s16
	s_cbranch_vccnz .LBB125_42
; %bb.41:
	v_mov_b32_e32 v1, v5
	s_delay_alu instid0(VALU_DEP_1) | instskip(NEXT) | instid1(VALU_DEP_1)
	v_mul_u64_e32 v[2:3], s[22:23], v[0:1]
	v_add_nc_u32_e32 v1, v0, v3
	s_delay_alu instid0(VALU_DEP_1) | instskip(NEXT) | instid1(VALU_DEP_1)
	v_lshrrev_b32_e32 v1, s1, v1
	v_mul_lo_u32 v1, v1, s15
	s_delay_alu instid0(VALU_DEP_1) | instskip(NEXT) | instid1(VALU_DEP_1)
	v_sub_nc_u32_e32 v0, v0, v1
	v_mad_u32 v6, v0, s18, v6
	v_mad_u32 v7, v0, s19, v7
.LBB125_42:
	global_load_b128 v[0:3], v7, s[6:7]
	s_and_not1_b32 vcc_lo, exec_lo, s13
	s_cbranch_vccnz .LBB125_52
; %bb.43:
	s_wait_loadcnt 0x0
	v_cmp_neq_f64_e32 vcc_lo, s[8:9], v[0:1]
	v_cmp_neq_f64_e64 s0, s[10:11], v[2:3]
	s_or_b32 s26, vcc_lo, s0
	s_cbranch_execnz .LBB125_45
.LBB125_44:
	s_wait_loadcnt 0x0
	v_cmp_eq_f64_e32 vcc_lo, s[8:9], v[0:1]
	v_cmp_eq_f64_e64 s0, s[10:11], v[2:3]
	s_and_not1_b32 s26, s26, exec_lo
	s_and_b32 s0, vcc_lo, s0
	s_delay_alu instid0(SALU_CYCLE_1) | instskip(NEXT) | instid1(SALU_CYCLE_1)
	s_and_b32 s0, s0, exec_lo
	s_or_b32 s26, s26, s0
.LBB125_45:
	s_wait_loadcnt 0x0
	v_cndmask_b32_e64 v0, 0, 1, s26
	v_add_nc_u32_e32 v4, 0x80, v4
	global_store_b8 v6, v0, s[4:5]
	s_wait_xcnt 0x0
	s_or_b32 exec_lo, exec_lo, s41
	s_delay_alu instid0(SALU_CYCLE_1)
	s_mov_b32 s41, exec_lo
	v_cmpx_gt_i32_e64 s38, v4
	s_cbranch_execz .LBB125_4
.LBB125_46:
	s_and_not1_b32 vcc_lo, exec_lo, s35
	s_cbranch_vccnz .LBB125_51
; %bb.47:
	s_and_not1_b32 vcc_lo, exec_lo, s40
	s_cbranch_vccnz .LBB125_53
; %bb.48:
	s_add_co_i32 s0, s39, 1
	s_cmp_eq_u32 s34, 2
	s_cbranch_scc1 .LBB125_54
; %bb.49:
	v_dual_mov_b32 v6, 0 :: v_dual_mov_b32 v7, 0
	v_mov_b32_e32 v0, v4
	s_and_b32 s26, s0, 28
	s_mov_b32 s27, 0
	s_mov_b64 s[28:29], s[2:3]
	s_mov_b64 s[30:31], s[24:25]
.LBB125_50:                             ; =>This Inner Loop Header: Depth=1
	s_clause 0x1
	s_load_b256 s[44:51], s[28:29], 0x4
	s_load_b128 s[60:63], s[28:29], 0x24
	s_load_b256 s[52:59], s[30:31], 0x0
	s_add_co_i32 s27, s27, 4
	s_wait_xcnt 0x0
	s_add_nc_u64 s[28:29], s[28:29], 48
	s_cmp_eq_u32 s26, s27
	s_add_nc_u64 s[30:31], s[30:31], 32
	s_wait_kmcnt 0x0
	v_mul_hi_u32 v1, s45, v0
	s_delay_alu instid0(VALU_DEP_1) | instskip(NEXT) | instid1(VALU_DEP_1)
	v_add_nc_u32_e32 v1, v0, v1
	v_lshrrev_b32_e32 v1, s46, v1
	s_delay_alu instid0(VALU_DEP_1) | instskip(NEXT) | instid1(VALU_DEP_1)
	v_mul_hi_u32 v2, s48, v1
	v_add_nc_u32_e32 v2, v1, v2
	s_delay_alu instid0(VALU_DEP_1) | instskip(NEXT) | instid1(VALU_DEP_1)
	v_lshrrev_b32_e32 v2, s49, v2
	v_mul_hi_u32 v3, s51, v2
	s_delay_alu instid0(VALU_DEP_1) | instskip(SKIP_1) | instid1(VALU_DEP_1)
	v_add_nc_u32_e32 v3, v2, v3
	v_mul_lo_u32 v5, v1, s44
	v_sub_nc_u32_e32 v0, v0, v5
	v_mul_lo_u32 v5, v2, s47
	s_delay_alu instid0(VALU_DEP_4) | instskip(NEXT) | instid1(VALU_DEP_3)
	v_lshrrev_b32_e32 v3, s60, v3
	v_mad_u32 v7, v0, s53, v7
	v_mad_u32 v0, v0, s52, v6
	s_delay_alu instid0(VALU_DEP_4) | instskip(NEXT) | instid1(VALU_DEP_4)
	v_sub_nc_u32_e32 v1, v1, v5
	v_mul_hi_u32 v8, s62, v3
	v_mul_lo_u32 v5, v3, s50
	s_delay_alu instid0(VALU_DEP_3) | instskip(SKIP_1) | instid1(VALU_DEP_3)
	v_mad_u32 v7, v1, s55, v7
	v_mad_u32 v1, v1, s54, v0
	v_dual_add_nc_u32 v6, v3, v8 :: v_dual_sub_nc_u32 v2, v2, v5
	s_delay_alu instid0(VALU_DEP_1) | instskip(NEXT) | instid1(VALU_DEP_2)
	v_lshrrev_b32_e32 v0, s63, v6
	v_mad_u32 v6, v2, s57, v7
	s_delay_alu instid0(VALU_DEP_4) | instskip(NEXT) | instid1(VALU_DEP_3)
	v_mad_u32 v1, v2, s56, v1
	v_mul_lo_u32 v5, v0, s61
	s_delay_alu instid0(VALU_DEP_1) | instskip(NEXT) | instid1(VALU_DEP_1)
	v_sub_nc_u32_e32 v2, v3, v5
	v_mad_u32 v7, v2, s59, v6
	s_delay_alu instid0(VALU_DEP_4)
	v_mad_u32 v6, v2, s58, v1
	s_cbranch_scc0 .LBB125_50
	s_branch .LBB125_55
.LBB125_51:
                                        ; implicit-def: $vgpr7
	s_branch .LBB125_59
.LBB125_52:
                                        ; implicit-def: $sgpr26
	s_branch .LBB125_44
.LBB125_53:
	v_dual_mov_b32 v7, 0 :: v_dual_mov_b32 v6, 0
	s_branch .LBB125_58
.LBB125_54:
	v_mov_b64_e32 v[6:7], 0
	v_mov_b32_e32 v0, v4
	s_mov_b32 s26, 0
.LBB125_55:
	s_and_b32 s0, s0, 3
	s_mov_b32 s27, 0
	s_cmp_eq_u32 s0, 0
	s_cbranch_scc1 .LBB125_58
; %bb.56:
	s_lshl_b32 s28, s26, 3
	s_mov_b32 s29, s27
	s_mul_u64 s[30:31], s[26:27], 12
	s_add_nc_u64 s[28:29], s[2:3], s[28:29]
	s_delay_alu instid0(SALU_CYCLE_1)
	s_add_nc_u64 s[26:27], s[28:29], 0xc4
	s_add_nc_u64 s[28:29], s[2:3], s[30:31]
.LBB125_57:                             ; =>This Inner Loop Header: Depth=1
	s_load_b96 s[44:46], s[28:29], 0x4
	s_load_b64 s[30:31], s[26:27], 0x0
	s_add_co_i32 s0, s0, -1
	s_wait_xcnt 0x0
	s_add_nc_u64 s[28:29], s[28:29], 12
	s_cmp_lg_u32 s0, 0
	s_add_nc_u64 s[26:27], s[26:27], 8
	s_wait_kmcnt 0x0
	v_mul_hi_u32 v1, s45, v0
	s_delay_alu instid0(VALU_DEP_1) | instskip(NEXT) | instid1(VALU_DEP_1)
	v_add_nc_u32_e32 v1, v0, v1
	v_lshrrev_b32_e32 v1, s46, v1
	s_delay_alu instid0(VALU_DEP_1) | instskip(NEXT) | instid1(VALU_DEP_1)
	v_mul_lo_u32 v2, v1, s44
	v_sub_nc_u32_e32 v0, v0, v2
	s_delay_alu instid0(VALU_DEP_1)
	v_mad_u32 v7, v0, s31, v7
	v_mad_u32 v6, v0, s30, v6
	v_mov_b32_e32 v0, v1
	s_cbranch_scc1 .LBB125_57
.LBB125_58:
	s_cbranch_execnz .LBB125_61
.LBB125_59:
	v_mov_b32_e32 v5, 0
	s_and_not1_b32 vcc_lo, exec_lo, s37
	s_delay_alu instid0(VALU_DEP_1) | instskip(NEXT) | instid1(VALU_DEP_1)
	v_mul_u64_e32 v[0:1], s[20:21], v[4:5]
	v_add_nc_u32_e32 v0, v4, v1
	s_delay_alu instid0(VALU_DEP_1) | instskip(NEXT) | instid1(VALU_DEP_1)
	v_lshrrev_b32_e32 v0, s14, v0
	v_mul_lo_u32 v1, v0, s12
	s_delay_alu instid0(VALU_DEP_1) | instskip(NEXT) | instid1(VALU_DEP_1)
	v_sub_nc_u32_e32 v1, v4, v1
	v_mul_lo_u32 v7, v1, s17
	v_mul_lo_u32 v6, v1, s16
	s_cbranch_vccnz .LBB125_61
; %bb.60:
	v_mov_b32_e32 v1, v5
	s_delay_alu instid0(VALU_DEP_1) | instskip(NEXT) | instid1(VALU_DEP_1)
	v_mul_u64_e32 v[2:3], s[22:23], v[0:1]
	v_add_nc_u32_e32 v1, v0, v3
	s_delay_alu instid0(VALU_DEP_1) | instskip(NEXT) | instid1(VALU_DEP_1)
	v_lshrrev_b32_e32 v1, s1, v1
	v_mul_lo_u32 v1, v1, s15
	s_delay_alu instid0(VALU_DEP_1) | instskip(NEXT) | instid1(VALU_DEP_1)
	v_sub_nc_u32_e32 v0, v0, v1
	v_mad_u32 v6, v0, s18, v6
	v_mad_u32 v7, v0, s19, v7
.LBB125_61:
	global_load_b128 v[0:3], v7, s[6:7]
	s_and_not1_b32 vcc_lo, exec_lo, s13
	s_cbranch_vccnz .LBB125_71
; %bb.62:
	s_wait_loadcnt 0x0
	v_cmp_neq_f64_e32 vcc_lo, s[8:9], v[0:1]
	v_cmp_neq_f64_e64 s0, s[10:11], v[2:3]
	s_or_b32 s26, vcc_lo, s0
	s_cbranch_execnz .LBB125_64
.LBB125_63:
	s_wait_loadcnt 0x0
	v_cmp_eq_f64_e32 vcc_lo, s[8:9], v[0:1]
	v_cmp_eq_f64_e64 s0, s[10:11], v[2:3]
	s_and_not1_b32 s26, s26, exec_lo
	s_and_b32 s0, vcc_lo, s0
	s_delay_alu instid0(SALU_CYCLE_1) | instskip(NEXT) | instid1(SALU_CYCLE_1)
	s_and_b32 s0, s0, exec_lo
	s_or_b32 s26, s26, s0
.LBB125_64:
	s_wait_loadcnt 0x0
	v_cndmask_b32_e64 v0, 0, 1, s26
	v_add_nc_u32_e32 v4, 0x80, v4
	global_store_b8 v6, v0, s[4:5]
	s_wait_xcnt 0x0
	s_or_b32 exec_lo, exec_lo, s41
	s_delay_alu instid0(SALU_CYCLE_1)
	s_mov_b32 s41, exec_lo
	v_cmpx_gt_i32_e64 s38, v4
	s_cbranch_execz .LBB125_5
.LBB125_65:
	s_and_not1_b32 vcc_lo, exec_lo, s35
	s_cbranch_vccnz .LBB125_70
; %bb.66:
	s_and_not1_b32 vcc_lo, exec_lo, s40
	s_cbranch_vccnz .LBB125_72
; %bb.67:
	s_add_co_i32 s0, s39, 1
	s_cmp_eq_u32 s34, 2
	s_cbranch_scc1 .LBB125_73
; %bb.68:
	v_dual_mov_b32 v6, 0 :: v_dual_mov_b32 v7, 0
	v_mov_b32_e32 v0, v4
	s_and_b32 s26, s0, 28
	s_mov_b32 s27, 0
	s_mov_b64 s[28:29], s[2:3]
	s_mov_b64 s[30:31], s[24:25]
.LBB125_69:                             ; =>This Inner Loop Header: Depth=1
	s_clause 0x1
	s_load_b256 s[44:51], s[28:29], 0x4
	s_load_b128 s[60:63], s[28:29], 0x24
	s_load_b256 s[52:59], s[30:31], 0x0
	s_add_co_i32 s27, s27, 4
	s_wait_xcnt 0x0
	s_add_nc_u64 s[28:29], s[28:29], 48
	s_cmp_eq_u32 s26, s27
	s_add_nc_u64 s[30:31], s[30:31], 32
	s_wait_kmcnt 0x0
	v_mul_hi_u32 v1, s45, v0
	s_delay_alu instid0(VALU_DEP_1) | instskip(NEXT) | instid1(VALU_DEP_1)
	v_add_nc_u32_e32 v1, v0, v1
	v_lshrrev_b32_e32 v1, s46, v1
	s_delay_alu instid0(VALU_DEP_1) | instskip(NEXT) | instid1(VALU_DEP_1)
	v_mul_hi_u32 v2, s48, v1
	v_add_nc_u32_e32 v2, v1, v2
	s_delay_alu instid0(VALU_DEP_1) | instskip(NEXT) | instid1(VALU_DEP_1)
	v_lshrrev_b32_e32 v2, s49, v2
	v_mul_hi_u32 v3, s51, v2
	s_delay_alu instid0(VALU_DEP_1) | instskip(SKIP_1) | instid1(VALU_DEP_1)
	v_add_nc_u32_e32 v3, v2, v3
	v_mul_lo_u32 v5, v1, s44
	v_sub_nc_u32_e32 v0, v0, v5
	v_mul_lo_u32 v5, v2, s47
	s_delay_alu instid0(VALU_DEP_4) | instskip(NEXT) | instid1(VALU_DEP_3)
	v_lshrrev_b32_e32 v3, s60, v3
	v_mad_u32 v7, v0, s53, v7
	v_mad_u32 v0, v0, s52, v6
	s_delay_alu instid0(VALU_DEP_4) | instskip(NEXT) | instid1(VALU_DEP_4)
	v_sub_nc_u32_e32 v1, v1, v5
	v_mul_hi_u32 v8, s62, v3
	v_mul_lo_u32 v5, v3, s50
	s_delay_alu instid0(VALU_DEP_3) | instskip(SKIP_1) | instid1(VALU_DEP_3)
	v_mad_u32 v7, v1, s55, v7
	v_mad_u32 v1, v1, s54, v0
	v_dual_add_nc_u32 v6, v3, v8 :: v_dual_sub_nc_u32 v2, v2, v5
	s_delay_alu instid0(VALU_DEP_1) | instskip(NEXT) | instid1(VALU_DEP_2)
	v_lshrrev_b32_e32 v0, s63, v6
	v_mad_u32 v6, v2, s57, v7
	s_delay_alu instid0(VALU_DEP_4) | instskip(NEXT) | instid1(VALU_DEP_3)
	v_mad_u32 v1, v2, s56, v1
	v_mul_lo_u32 v5, v0, s61
	s_delay_alu instid0(VALU_DEP_1) | instskip(NEXT) | instid1(VALU_DEP_1)
	v_sub_nc_u32_e32 v2, v3, v5
	v_mad_u32 v7, v2, s59, v6
	s_delay_alu instid0(VALU_DEP_4)
	v_mad_u32 v6, v2, s58, v1
	s_cbranch_scc0 .LBB125_69
	s_branch .LBB125_74
.LBB125_70:
                                        ; implicit-def: $vgpr7
	s_branch .LBB125_78
.LBB125_71:
                                        ; implicit-def: $sgpr26
	s_branch .LBB125_63
.LBB125_72:
	v_dual_mov_b32 v7, 0 :: v_dual_mov_b32 v6, 0
	s_branch .LBB125_77
.LBB125_73:
	v_mov_b64_e32 v[6:7], 0
	v_mov_b32_e32 v0, v4
	s_mov_b32 s26, 0
.LBB125_74:
	s_and_b32 s0, s0, 3
	s_mov_b32 s27, 0
	s_cmp_eq_u32 s0, 0
	s_cbranch_scc1 .LBB125_77
; %bb.75:
	s_lshl_b32 s28, s26, 3
	s_mov_b32 s29, s27
	s_mul_u64 s[30:31], s[26:27], 12
	s_add_nc_u64 s[28:29], s[2:3], s[28:29]
	s_delay_alu instid0(SALU_CYCLE_1)
	s_add_nc_u64 s[26:27], s[28:29], 0xc4
	s_add_nc_u64 s[28:29], s[2:3], s[30:31]
.LBB125_76:                             ; =>This Inner Loop Header: Depth=1
	s_load_b96 s[44:46], s[28:29], 0x4
	s_load_b64 s[30:31], s[26:27], 0x0
	s_add_co_i32 s0, s0, -1
	s_wait_xcnt 0x0
	s_add_nc_u64 s[28:29], s[28:29], 12
	s_cmp_lg_u32 s0, 0
	s_add_nc_u64 s[26:27], s[26:27], 8
	s_wait_kmcnt 0x0
	v_mul_hi_u32 v1, s45, v0
	s_delay_alu instid0(VALU_DEP_1) | instskip(NEXT) | instid1(VALU_DEP_1)
	v_add_nc_u32_e32 v1, v0, v1
	v_lshrrev_b32_e32 v1, s46, v1
	s_delay_alu instid0(VALU_DEP_1) | instskip(NEXT) | instid1(VALU_DEP_1)
	v_mul_lo_u32 v2, v1, s44
	v_sub_nc_u32_e32 v0, v0, v2
	s_delay_alu instid0(VALU_DEP_1)
	v_mad_u32 v7, v0, s31, v7
	v_mad_u32 v6, v0, s30, v6
	v_mov_b32_e32 v0, v1
	s_cbranch_scc1 .LBB125_76
.LBB125_77:
	s_cbranch_execnz .LBB125_80
.LBB125_78:
	v_mov_b32_e32 v5, 0
	s_and_not1_b32 vcc_lo, exec_lo, s37
	s_delay_alu instid0(VALU_DEP_1) | instskip(NEXT) | instid1(VALU_DEP_1)
	v_mul_u64_e32 v[0:1], s[20:21], v[4:5]
	v_add_nc_u32_e32 v0, v4, v1
	s_delay_alu instid0(VALU_DEP_1) | instskip(NEXT) | instid1(VALU_DEP_1)
	v_lshrrev_b32_e32 v0, s14, v0
	v_mul_lo_u32 v1, v0, s12
	s_delay_alu instid0(VALU_DEP_1) | instskip(NEXT) | instid1(VALU_DEP_1)
	v_sub_nc_u32_e32 v1, v4, v1
	v_mul_lo_u32 v7, v1, s17
	v_mul_lo_u32 v6, v1, s16
	s_cbranch_vccnz .LBB125_80
; %bb.79:
	v_mov_b32_e32 v1, v5
	s_delay_alu instid0(VALU_DEP_1) | instskip(NEXT) | instid1(VALU_DEP_1)
	v_mul_u64_e32 v[2:3], s[22:23], v[0:1]
	v_add_nc_u32_e32 v1, v0, v3
	s_delay_alu instid0(VALU_DEP_1) | instskip(NEXT) | instid1(VALU_DEP_1)
	v_lshrrev_b32_e32 v1, s1, v1
	v_mul_lo_u32 v1, v1, s15
	s_delay_alu instid0(VALU_DEP_1) | instskip(NEXT) | instid1(VALU_DEP_1)
	v_sub_nc_u32_e32 v0, v0, v1
	v_mad_u32 v6, v0, s18, v6
	v_mad_u32 v7, v0, s19, v7
.LBB125_80:
	global_load_b128 v[0:3], v7, s[6:7]
	s_and_not1_b32 vcc_lo, exec_lo, s13
	s_cbranch_vccnz .LBB125_90
; %bb.81:
	s_wait_loadcnt 0x0
	v_cmp_neq_f64_e32 vcc_lo, s[8:9], v[0:1]
	v_cmp_neq_f64_e64 s0, s[10:11], v[2:3]
	s_or_b32 s26, vcc_lo, s0
	s_cbranch_execnz .LBB125_83
.LBB125_82:
	s_wait_loadcnt 0x0
	v_cmp_eq_f64_e32 vcc_lo, s[8:9], v[0:1]
	v_cmp_eq_f64_e64 s0, s[10:11], v[2:3]
	s_and_not1_b32 s26, s26, exec_lo
	s_and_b32 s0, vcc_lo, s0
	s_delay_alu instid0(SALU_CYCLE_1) | instskip(NEXT) | instid1(SALU_CYCLE_1)
	s_and_b32 s0, s0, exec_lo
	s_or_b32 s26, s26, s0
.LBB125_83:
	s_wait_loadcnt 0x0
	v_cndmask_b32_e64 v0, 0, 1, s26
	v_add_nc_u32_e32 v4, 0x80, v4
	global_store_b8 v6, v0, s[4:5]
	s_wait_xcnt 0x0
	s_or_b32 exec_lo, exec_lo, s41
	s_delay_alu instid0(SALU_CYCLE_1)
	s_mov_b32 s41, exec_lo
	v_cmpx_gt_i32_e64 s38, v4
	s_cbranch_execz .LBB125_6
.LBB125_84:
	s_and_not1_b32 vcc_lo, exec_lo, s35
	s_cbranch_vccnz .LBB125_89
; %bb.85:
	s_and_not1_b32 vcc_lo, exec_lo, s40
	s_cbranch_vccnz .LBB125_91
; %bb.86:
	s_add_co_i32 s0, s39, 1
	s_cmp_eq_u32 s34, 2
	s_cbranch_scc1 .LBB125_92
; %bb.87:
	v_dual_mov_b32 v6, 0 :: v_dual_mov_b32 v7, 0
	v_mov_b32_e32 v0, v4
	s_and_b32 s26, s0, 28
	s_mov_b32 s27, 0
	s_mov_b64 s[28:29], s[2:3]
	s_mov_b64 s[30:31], s[24:25]
.LBB125_88:                             ; =>This Inner Loop Header: Depth=1
	s_clause 0x1
	s_load_b256 s[44:51], s[28:29], 0x4
	s_load_b128 s[60:63], s[28:29], 0x24
	s_load_b256 s[52:59], s[30:31], 0x0
	s_add_co_i32 s27, s27, 4
	s_wait_xcnt 0x0
	s_add_nc_u64 s[28:29], s[28:29], 48
	s_cmp_eq_u32 s26, s27
	s_add_nc_u64 s[30:31], s[30:31], 32
	s_wait_kmcnt 0x0
	v_mul_hi_u32 v1, s45, v0
	s_delay_alu instid0(VALU_DEP_1) | instskip(NEXT) | instid1(VALU_DEP_1)
	v_add_nc_u32_e32 v1, v0, v1
	v_lshrrev_b32_e32 v1, s46, v1
	s_delay_alu instid0(VALU_DEP_1) | instskip(NEXT) | instid1(VALU_DEP_1)
	v_mul_hi_u32 v2, s48, v1
	v_add_nc_u32_e32 v2, v1, v2
	s_delay_alu instid0(VALU_DEP_1) | instskip(NEXT) | instid1(VALU_DEP_1)
	v_lshrrev_b32_e32 v2, s49, v2
	v_mul_hi_u32 v3, s51, v2
	s_delay_alu instid0(VALU_DEP_1) | instskip(SKIP_1) | instid1(VALU_DEP_1)
	v_add_nc_u32_e32 v3, v2, v3
	v_mul_lo_u32 v5, v1, s44
	v_sub_nc_u32_e32 v0, v0, v5
	v_mul_lo_u32 v5, v2, s47
	s_delay_alu instid0(VALU_DEP_4) | instskip(NEXT) | instid1(VALU_DEP_3)
	v_lshrrev_b32_e32 v3, s60, v3
	v_mad_u32 v7, v0, s53, v7
	v_mad_u32 v0, v0, s52, v6
	s_delay_alu instid0(VALU_DEP_4) | instskip(NEXT) | instid1(VALU_DEP_4)
	v_sub_nc_u32_e32 v1, v1, v5
	v_mul_hi_u32 v8, s62, v3
	v_mul_lo_u32 v5, v3, s50
	s_delay_alu instid0(VALU_DEP_3) | instskip(SKIP_1) | instid1(VALU_DEP_3)
	v_mad_u32 v7, v1, s55, v7
	v_mad_u32 v1, v1, s54, v0
	v_dual_add_nc_u32 v6, v3, v8 :: v_dual_sub_nc_u32 v2, v2, v5
	s_delay_alu instid0(VALU_DEP_1) | instskip(NEXT) | instid1(VALU_DEP_2)
	v_lshrrev_b32_e32 v0, s63, v6
	v_mad_u32 v6, v2, s57, v7
	s_delay_alu instid0(VALU_DEP_4) | instskip(NEXT) | instid1(VALU_DEP_3)
	v_mad_u32 v1, v2, s56, v1
	v_mul_lo_u32 v5, v0, s61
	s_delay_alu instid0(VALU_DEP_1) | instskip(NEXT) | instid1(VALU_DEP_1)
	v_sub_nc_u32_e32 v2, v3, v5
	v_mad_u32 v7, v2, s59, v6
	s_delay_alu instid0(VALU_DEP_4)
	v_mad_u32 v6, v2, s58, v1
	s_cbranch_scc0 .LBB125_88
	s_branch .LBB125_93
.LBB125_89:
                                        ; implicit-def: $vgpr7
	s_branch .LBB125_97
.LBB125_90:
                                        ; implicit-def: $sgpr26
	s_branch .LBB125_82
.LBB125_91:
	v_dual_mov_b32 v7, 0 :: v_dual_mov_b32 v6, 0
	s_branch .LBB125_96
.LBB125_92:
	v_mov_b64_e32 v[6:7], 0
	v_mov_b32_e32 v0, v4
	s_mov_b32 s26, 0
.LBB125_93:
	s_and_b32 s0, s0, 3
	s_mov_b32 s27, 0
	s_cmp_eq_u32 s0, 0
	s_cbranch_scc1 .LBB125_96
; %bb.94:
	s_lshl_b32 s28, s26, 3
	s_mov_b32 s29, s27
	s_mul_u64 s[30:31], s[26:27], 12
	s_add_nc_u64 s[28:29], s[2:3], s[28:29]
	s_delay_alu instid0(SALU_CYCLE_1)
	s_add_nc_u64 s[26:27], s[28:29], 0xc4
	s_add_nc_u64 s[28:29], s[2:3], s[30:31]
.LBB125_95:                             ; =>This Inner Loop Header: Depth=1
	s_load_b96 s[44:46], s[28:29], 0x4
	s_load_b64 s[30:31], s[26:27], 0x0
	s_add_co_i32 s0, s0, -1
	s_wait_xcnt 0x0
	s_add_nc_u64 s[28:29], s[28:29], 12
	s_cmp_lg_u32 s0, 0
	s_add_nc_u64 s[26:27], s[26:27], 8
	s_wait_kmcnt 0x0
	v_mul_hi_u32 v1, s45, v0
	s_delay_alu instid0(VALU_DEP_1) | instskip(NEXT) | instid1(VALU_DEP_1)
	v_add_nc_u32_e32 v1, v0, v1
	v_lshrrev_b32_e32 v1, s46, v1
	s_delay_alu instid0(VALU_DEP_1) | instskip(NEXT) | instid1(VALU_DEP_1)
	v_mul_lo_u32 v2, v1, s44
	v_sub_nc_u32_e32 v0, v0, v2
	s_delay_alu instid0(VALU_DEP_1)
	v_mad_u32 v7, v0, s31, v7
	v_mad_u32 v6, v0, s30, v6
	v_mov_b32_e32 v0, v1
	s_cbranch_scc1 .LBB125_95
.LBB125_96:
	s_cbranch_execnz .LBB125_99
.LBB125_97:
	v_mov_b32_e32 v5, 0
	s_and_not1_b32 vcc_lo, exec_lo, s37
	s_delay_alu instid0(VALU_DEP_1) | instskip(NEXT) | instid1(VALU_DEP_1)
	v_mul_u64_e32 v[0:1], s[20:21], v[4:5]
	v_add_nc_u32_e32 v0, v4, v1
	s_delay_alu instid0(VALU_DEP_1) | instskip(NEXT) | instid1(VALU_DEP_1)
	v_lshrrev_b32_e32 v0, s14, v0
	v_mul_lo_u32 v1, v0, s12
	s_delay_alu instid0(VALU_DEP_1) | instskip(NEXT) | instid1(VALU_DEP_1)
	v_sub_nc_u32_e32 v1, v4, v1
	v_mul_lo_u32 v7, v1, s17
	v_mul_lo_u32 v6, v1, s16
	s_cbranch_vccnz .LBB125_99
; %bb.98:
	v_mov_b32_e32 v1, v5
	s_delay_alu instid0(VALU_DEP_1) | instskip(NEXT) | instid1(VALU_DEP_1)
	v_mul_u64_e32 v[2:3], s[22:23], v[0:1]
	v_add_nc_u32_e32 v1, v0, v3
	s_delay_alu instid0(VALU_DEP_1) | instskip(NEXT) | instid1(VALU_DEP_1)
	v_lshrrev_b32_e32 v1, s1, v1
	v_mul_lo_u32 v1, v1, s15
	s_delay_alu instid0(VALU_DEP_1) | instskip(NEXT) | instid1(VALU_DEP_1)
	v_sub_nc_u32_e32 v0, v0, v1
	v_mad_u32 v6, v0, s18, v6
	v_mad_u32 v7, v0, s19, v7
.LBB125_99:
	global_load_b128 v[0:3], v7, s[6:7]
	s_and_not1_b32 vcc_lo, exec_lo, s13
	s_cbranch_vccnz .LBB125_109
; %bb.100:
	s_wait_loadcnt 0x0
	v_cmp_neq_f64_e32 vcc_lo, s[8:9], v[0:1]
	v_cmp_neq_f64_e64 s0, s[10:11], v[2:3]
	s_or_b32 s26, vcc_lo, s0
	s_cbranch_execnz .LBB125_102
.LBB125_101:
	s_wait_loadcnt 0x0
	v_cmp_eq_f64_e32 vcc_lo, s[8:9], v[0:1]
	v_cmp_eq_f64_e64 s0, s[10:11], v[2:3]
	s_and_not1_b32 s26, s26, exec_lo
	s_and_b32 s0, vcc_lo, s0
	s_delay_alu instid0(SALU_CYCLE_1) | instskip(NEXT) | instid1(SALU_CYCLE_1)
	s_and_b32 s0, s0, exec_lo
	s_or_b32 s26, s26, s0
.LBB125_102:
	s_wait_loadcnt 0x0
	v_cndmask_b32_e64 v0, 0, 1, s26
	v_add_nc_u32_e32 v4, 0x80, v4
	global_store_b8 v6, v0, s[4:5]
	s_wait_xcnt 0x0
	s_or_b32 exec_lo, exec_lo, s41
	s_delay_alu instid0(SALU_CYCLE_1)
	s_mov_b32 s41, exec_lo
	v_cmpx_gt_i32_e64 s38, v4
	s_cbranch_execz .LBB125_7
.LBB125_103:
	s_and_not1_b32 vcc_lo, exec_lo, s35
	s_cbranch_vccnz .LBB125_108
; %bb.104:
	s_and_not1_b32 vcc_lo, exec_lo, s40
	s_cbranch_vccnz .LBB125_110
; %bb.105:
	s_add_co_i32 s0, s39, 1
	s_cmp_eq_u32 s34, 2
	s_cbranch_scc1 .LBB125_111
; %bb.106:
	v_dual_mov_b32 v6, 0 :: v_dual_mov_b32 v7, 0
	v_mov_b32_e32 v0, v4
	s_and_b32 s26, s0, 28
	s_mov_b32 s27, 0
	s_mov_b64 s[28:29], s[2:3]
	s_mov_b64 s[30:31], s[24:25]
.LBB125_107:                            ; =>This Inner Loop Header: Depth=1
	s_clause 0x1
	s_load_b256 s[44:51], s[28:29], 0x4
	s_load_b128 s[60:63], s[28:29], 0x24
	s_load_b256 s[52:59], s[30:31], 0x0
	s_add_co_i32 s27, s27, 4
	s_wait_xcnt 0x0
	s_add_nc_u64 s[28:29], s[28:29], 48
	s_cmp_eq_u32 s26, s27
	s_add_nc_u64 s[30:31], s[30:31], 32
	s_wait_kmcnt 0x0
	v_mul_hi_u32 v1, s45, v0
	s_delay_alu instid0(VALU_DEP_1) | instskip(NEXT) | instid1(VALU_DEP_1)
	v_add_nc_u32_e32 v1, v0, v1
	v_lshrrev_b32_e32 v1, s46, v1
	s_delay_alu instid0(VALU_DEP_1) | instskip(NEXT) | instid1(VALU_DEP_1)
	v_mul_hi_u32 v2, s48, v1
	v_add_nc_u32_e32 v2, v1, v2
	s_delay_alu instid0(VALU_DEP_1) | instskip(NEXT) | instid1(VALU_DEP_1)
	v_lshrrev_b32_e32 v2, s49, v2
	v_mul_hi_u32 v3, s51, v2
	s_delay_alu instid0(VALU_DEP_1) | instskip(SKIP_1) | instid1(VALU_DEP_1)
	v_add_nc_u32_e32 v3, v2, v3
	v_mul_lo_u32 v5, v1, s44
	v_sub_nc_u32_e32 v0, v0, v5
	v_mul_lo_u32 v5, v2, s47
	s_delay_alu instid0(VALU_DEP_4) | instskip(NEXT) | instid1(VALU_DEP_3)
	v_lshrrev_b32_e32 v3, s60, v3
	v_mad_u32 v7, v0, s53, v7
	v_mad_u32 v0, v0, s52, v6
	s_delay_alu instid0(VALU_DEP_4) | instskip(NEXT) | instid1(VALU_DEP_4)
	v_sub_nc_u32_e32 v1, v1, v5
	v_mul_hi_u32 v8, s62, v3
	v_mul_lo_u32 v5, v3, s50
	s_delay_alu instid0(VALU_DEP_3) | instskip(SKIP_1) | instid1(VALU_DEP_3)
	v_mad_u32 v7, v1, s55, v7
	v_mad_u32 v1, v1, s54, v0
	v_dual_add_nc_u32 v6, v3, v8 :: v_dual_sub_nc_u32 v2, v2, v5
	s_delay_alu instid0(VALU_DEP_1) | instskip(NEXT) | instid1(VALU_DEP_2)
	v_lshrrev_b32_e32 v0, s63, v6
	v_mad_u32 v6, v2, s57, v7
	s_delay_alu instid0(VALU_DEP_4) | instskip(NEXT) | instid1(VALU_DEP_3)
	v_mad_u32 v1, v2, s56, v1
	v_mul_lo_u32 v5, v0, s61
	s_delay_alu instid0(VALU_DEP_1) | instskip(NEXT) | instid1(VALU_DEP_1)
	v_sub_nc_u32_e32 v2, v3, v5
	v_mad_u32 v7, v2, s59, v6
	s_delay_alu instid0(VALU_DEP_4)
	v_mad_u32 v6, v2, s58, v1
	s_cbranch_scc0 .LBB125_107
	s_branch .LBB125_112
.LBB125_108:
                                        ; implicit-def: $vgpr7
	s_branch .LBB125_116
.LBB125_109:
                                        ; implicit-def: $sgpr26
	s_branch .LBB125_101
.LBB125_110:
	v_dual_mov_b32 v7, 0 :: v_dual_mov_b32 v6, 0
	s_branch .LBB125_115
.LBB125_111:
	v_mov_b64_e32 v[6:7], 0
	v_mov_b32_e32 v0, v4
	s_mov_b32 s26, 0
.LBB125_112:
	s_and_b32 s0, s0, 3
	s_mov_b32 s27, 0
	s_cmp_eq_u32 s0, 0
	s_cbranch_scc1 .LBB125_115
; %bb.113:
	s_lshl_b32 s28, s26, 3
	s_mov_b32 s29, s27
	s_mul_u64 s[30:31], s[26:27], 12
	s_add_nc_u64 s[28:29], s[2:3], s[28:29]
	s_delay_alu instid0(SALU_CYCLE_1)
	s_add_nc_u64 s[26:27], s[28:29], 0xc4
	s_add_nc_u64 s[28:29], s[2:3], s[30:31]
.LBB125_114:                            ; =>This Inner Loop Header: Depth=1
	s_load_b96 s[44:46], s[28:29], 0x4
	s_load_b64 s[30:31], s[26:27], 0x0
	s_add_co_i32 s0, s0, -1
	s_wait_xcnt 0x0
	s_add_nc_u64 s[28:29], s[28:29], 12
	s_cmp_lg_u32 s0, 0
	s_add_nc_u64 s[26:27], s[26:27], 8
	s_wait_kmcnt 0x0
	v_mul_hi_u32 v1, s45, v0
	s_delay_alu instid0(VALU_DEP_1) | instskip(NEXT) | instid1(VALU_DEP_1)
	v_add_nc_u32_e32 v1, v0, v1
	v_lshrrev_b32_e32 v1, s46, v1
	s_delay_alu instid0(VALU_DEP_1) | instskip(NEXT) | instid1(VALU_DEP_1)
	v_mul_lo_u32 v2, v1, s44
	v_sub_nc_u32_e32 v0, v0, v2
	s_delay_alu instid0(VALU_DEP_1)
	v_mad_u32 v7, v0, s31, v7
	v_mad_u32 v6, v0, s30, v6
	v_mov_b32_e32 v0, v1
	s_cbranch_scc1 .LBB125_114
.LBB125_115:
	s_cbranch_execnz .LBB125_118
.LBB125_116:
	v_mov_b32_e32 v5, 0
	s_and_not1_b32 vcc_lo, exec_lo, s37
	s_delay_alu instid0(VALU_DEP_1) | instskip(NEXT) | instid1(VALU_DEP_1)
	v_mul_u64_e32 v[0:1], s[20:21], v[4:5]
	v_add_nc_u32_e32 v0, v4, v1
	s_delay_alu instid0(VALU_DEP_1) | instskip(NEXT) | instid1(VALU_DEP_1)
	v_lshrrev_b32_e32 v0, s14, v0
	v_mul_lo_u32 v1, v0, s12
	s_delay_alu instid0(VALU_DEP_1) | instskip(NEXT) | instid1(VALU_DEP_1)
	v_sub_nc_u32_e32 v1, v4, v1
	v_mul_lo_u32 v7, v1, s17
	v_mul_lo_u32 v6, v1, s16
	s_cbranch_vccnz .LBB125_118
; %bb.117:
	v_mov_b32_e32 v1, v5
	s_delay_alu instid0(VALU_DEP_1) | instskip(NEXT) | instid1(VALU_DEP_1)
	v_mul_u64_e32 v[2:3], s[22:23], v[0:1]
	v_add_nc_u32_e32 v1, v0, v3
	s_delay_alu instid0(VALU_DEP_1) | instskip(NEXT) | instid1(VALU_DEP_1)
	v_lshrrev_b32_e32 v1, s1, v1
	v_mul_lo_u32 v1, v1, s15
	s_delay_alu instid0(VALU_DEP_1) | instskip(NEXT) | instid1(VALU_DEP_1)
	v_sub_nc_u32_e32 v0, v0, v1
	v_mad_u32 v6, v0, s18, v6
	v_mad_u32 v7, v0, s19, v7
.LBB125_118:
	global_load_b128 v[0:3], v7, s[6:7]
	s_and_not1_b32 vcc_lo, exec_lo, s13
	s_cbranch_vccnz .LBB125_128
; %bb.119:
	s_wait_loadcnt 0x0
	v_cmp_neq_f64_e32 vcc_lo, s[8:9], v[0:1]
	v_cmp_neq_f64_e64 s0, s[10:11], v[2:3]
	s_or_b32 s26, vcc_lo, s0
	s_cbranch_execnz .LBB125_121
.LBB125_120:
	s_wait_loadcnt 0x0
	v_cmp_eq_f64_e32 vcc_lo, s[8:9], v[0:1]
	v_cmp_eq_f64_e64 s0, s[10:11], v[2:3]
	s_and_not1_b32 s26, s26, exec_lo
	s_and_b32 s0, vcc_lo, s0
	s_delay_alu instid0(SALU_CYCLE_1) | instskip(NEXT) | instid1(SALU_CYCLE_1)
	s_and_b32 s0, s0, exec_lo
	s_or_b32 s26, s26, s0
.LBB125_121:
	s_wait_loadcnt 0x0
	v_cndmask_b32_e64 v0, 0, 1, s26
	v_add_nc_u32_e32 v4, 0x80, v4
	global_store_b8 v6, v0, s[4:5]
	s_wait_xcnt 0x0
	s_or_b32 exec_lo, exec_lo, s41
	s_delay_alu instid0(SALU_CYCLE_1)
	s_mov_b32 s41, exec_lo
	v_cmpx_gt_i32_e64 s38, v4
	s_cbranch_execz .LBB125_8
.LBB125_122:
	s_and_not1_b32 vcc_lo, exec_lo, s35
	s_cbranch_vccnz .LBB125_127
; %bb.123:
	s_and_not1_b32 vcc_lo, exec_lo, s40
	s_cbranch_vccnz .LBB125_129
; %bb.124:
	s_add_co_i32 s0, s39, 1
	s_cmp_eq_u32 s34, 2
	s_cbranch_scc1 .LBB125_130
; %bb.125:
	v_dual_mov_b32 v6, 0 :: v_dual_mov_b32 v7, 0
	v_mov_b32_e32 v0, v4
	s_and_b32 s26, s0, 28
	s_mov_b32 s27, 0
	s_mov_b64 s[28:29], s[2:3]
	s_mov_b64 s[30:31], s[24:25]
.LBB125_126:                            ; =>This Inner Loop Header: Depth=1
	s_clause 0x1
	s_load_b256 s[44:51], s[28:29], 0x4
	s_load_b128 s[60:63], s[28:29], 0x24
	s_load_b256 s[52:59], s[30:31], 0x0
	s_add_co_i32 s27, s27, 4
	s_wait_xcnt 0x0
	s_add_nc_u64 s[28:29], s[28:29], 48
	s_cmp_eq_u32 s26, s27
	s_add_nc_u64 s[30:31], s[30:31], 32
	s_wait_kmcnt 0x0
	v_mul_hi_u32 v1, s45, v0
	s_delay_alu instid0(VALU_DEP_1) | instskip(NEXT) | instid1(VALU_DEP_1)
	v_add_nc_u32_e32 v1, v0, v1
	v_lshrrev_b32_e32 v1, s46, v1
	s_delay_alu instid0(VALU_DEP_1) | instskip(NEXT) | instid1(VALU_DEP_1)
	v_mul_hi_u32 v2, s48, v1
	v_add_nc_u32_e32 v2, v1, v2
	s_delay_alu instid0(VALU_DEP_1) | instskip(NEXT) | instid1(VALU_DEP_1)
	v_lshrrev_b32_e32 v2, s49, v2
	v_mul_hi_u32 v3, s51, v2
	s_delay_alu instid0(VALU_DEP_1) | instskip(SKIP_1) | instid1(VALU_DEP_1)
	v_add_nc_u32_e32 v3, v2, v3
	v_mul_lo_u32 v5, v1, s44
	v_sub_nc_u32_e32 v0, v0, v5
	v_mul_lo_u32 v5, v2, s47
	s_delay_alu instid0(VALU_DEP_4) | instskip(NEXT) | instid1(VALU_DEP_3)
	v_lshrrev_b32_e32 v3, s60, v3
	v_mad_u32 v7, v0, s53, v7
	v_mad_u32 v0, v0, s52, v6
	s_delay_alu instid0(VALU_DEP_4) | instskip(NEXT) | instid1(VALU_DEP_4)
	v_sub_nc_u32_e32 v1, v1, v5
	v_mul_hi_u32 v8, s62, v3
	v_mul_lo_u32 v5, v3, s50
	s_delay_alu instid0(VALU_DEP_3) | instskip(SKIP_1) | instid1(VALU_DEP_3)
	v_mad_u32 v7, v1, s55, v7
	v_mad_u32 v1, v1, s54, v0
	v_dual_add_nc_u32 v6, v3, v8 :: v_dual_sub_nc_u32 v2, v2, v5
	s_delay_alu instid0(VALU_DEP_1) | instskip(NEXT) | instid1(VALU_DEP_2)
	v_lshrrev_b32_e32 v0, s63, v6
	v_mad_u32 v6, v2, s57, v7
	s_delay_alu instid0(VALU_DEP_4) | instskip(NEXT) | instid1(VALU_DEP_3)
	v_mad_u32 v1, v2, s56, v1
	v_mul_lo_u32 v5, v0, s61
	s_delay_alu instid0(VALU_DEP_1) | instskip(NEXT) | instid1(VALU_DEP_1)
	v_sub_nc_u32_e32 v2, v3, v5
	v_mad_u32 v7, v2, s59, v6
	s_delay_alu instid0(VALU_DEP_4)
	v_mad_u32 v6, v2, s58, v1
	s_cbranch_scc0 .LBB125_126
	s_branch .LBB125_131
.LBB125_127:
                                        ; implicit-def: $vgpr7
	s_branch .LBB125_135
.LBB125_128:
                                        ; implicit-def: $sgpr26
	s_branch .LBB125_120
.LBB125_129:
	v_dual_mov_b32 v7, 0 :: v_dual_mov_b32 v6, 0
	s_branch .LBB125_134
.LBB125_130:
	v_mov_b64_e32 v[6:7], 0
	v_mov_b32_e32 v0, v4
	s_mov_b32 s26, 0
.LBB125_131:
	s_and_b32 s0, s0, 3
	s_mov_b32 s27, 0
	s_cmp_eq_u32 s0, 0
	s_cbranch_scc1 .LBB125_134
; %bb.132:
	s_lshl_b32 s28, s26, 3
	s_mov_b32 s29, s27
	s_mul_u64 s[30:31], s[26:27], 12
	s_add_nc_u64 s[28:29], s[2:3], s[28:29]
	s_delay_alu instid0(SALU_CYCLE_1)
	s_add_nc_u64 s[26:27], s[28:29], 0xc4
	s_add_nc_u64 s[28:29], s[2:3], s[30:31]
.LBB125_133:                            ; =>This Inner Loop Header: Depth=1
	s_load_b96 s[44:46], s[28:29], 0x4
	s_load_b64 s[30:31], s[26:27], 0x0
	s_add_co_i32 s0, s0, -1
	s_wait_xcnt 0x0
	s_add_nc_u64 s[28:29], s[28:29], 12
	s_cmp_lg_u32 s0, 0
	s_add_nc_u64 s[26:27], s[26:27], 8
	s_wait_kmcnt 0x0
	v_mul_hi_u32 v1, s45, v0
	s_delay_alu instid0(VALU_DEP_1) | instskip(NEXT) | instid1(VALU_DEP_1)
	v_add_nc_u32_e32 v1, v0, v1
	v_lshrrev_b32_e32 v1, s46, v1
	s_delay_alu instid0(VALU_DEP_1) | instskip(NEXT) | instid1(VALU_DEP_1)
	v_mul_lo_u32 v2, v1, s44
	v_sub_nc_u32_e32 v0, v0, v2
	s_delay_alu instid0(VALU_DEP_1)
	v_mad_u32 v7, v0, s31, v7
	v_mad_u32 v6, v0, s30, v6
	v_mov_b32_e32 v0, v1
	s_cbranch_scc1 .LBB125_133
.LBB125_134:
	s_cbranch_execnz .LBB125_137
.LBB125_135:
	v_mov_b32_e32 v5, 0
	s_and_not1_b32 vcc_lo, exec_lo, s37
	s_delay_alu instid0(VALU_DEP_1) | instskip(NEXT) | instid1(VALU_DEP_1)
	v_mul_u64_e32 v[0:1], s[20:21], v[4:5]
	v_add_nc_u32_e32 v0, v4, v1
	s_delay_alu instid0(VALU_DEP_1) | instskip(NEXT) | instid1(VALU_DEP_1)
	v_lshrrev_b32_e32 v0, s14, v0
	v_mul_lo_u32 v1, v0, s12
	s_delay_alu instid0(VALU_DEP_1) | instskip(NEXT) | instid1(VALU_DEP_1)
	v_sub_nc_u32_e32 v1, v4, v1
	v_mul_lo_u32 v7, v1, s17
	v_mul_lo_u32 v6, v1, s16
	s_cbranch_vccnz .LBB125_137
; %bb.136:
	v_mov_b32_e32 v1, v5
	s_delay_alu instid0(VALU_DEP_1) | instskip(NEXT) | instid1(VALU_DEP_1)
	v_mul_u64_e32 v[2:3], s[22:23], v[0:1]
	v_add_nc_u32_e32 v1, v0, v3
	s_delay_alu instid0(VALU_DEP_1) | instskip(NEXT) | instid1(VALU_DEP_1)
	v_lshrrev_b32_e32 v1, s1, v1
	v_mul_lo_u32 v1, v1, s15
	s_delay_alu instid0(VALU_DEP_1) | instskip(NEXT) | instid1(VALU_DEP_1)
	v_sub_nc_u32_e32 v0, v0, v1
	v_mad_u32 v6, v0, s18, v6
	v_mad_u32 v7, v0, s19, v7
.LBB125_137:
	global_load_b128 v[0:3], v7, s[6:7]
	s_and_not1_b32 vcc_lo, exec_lo, s13
	s_cbranch_vccnz .LBB125_147
; %bb.138:
	s_wait_loadcnt 0x0
	v_cmp_neq_f64_e32 vcc_lo, s[8:9], v[0:1]
	v_cmp_neq_f64_e64 s0, s[10:11], v[2:3]
	s_or_b32 s26, vcc_lo, s0
	s_cbranch_execnz .LBB125_140
.LBB125_139:
	s_wait_loadcnt 0x0
	v_cmp_eq_f64_e32 vcc_lo, s[8:9], v[0:1]
	v_cmp_eq_f64_e64 s0, s[10:11], v[2:3]
	s_and_not1_b32 s26, s26, exec_lo
	s_and_b32 s0, vcc_lo, s0
	s_delay_alu instid0(SALU_CYCLE_1) | instskip(NEXT) | instid1(SALU_CYCLE_1)
	s_and_b32 s0, s0, exec_lo
	s_or_b32 s26, s26, s0
.LBB125_140:
	s_wait_loadcnt 0x0
	v_cndmask_b32_e64 v0, 0, 1, s26
	v_add_nc_u32_e32 v4, 0x80, v4
	global_store_b8 v6, v0, s[4:5]
	s_wait_xcnt 0x0
	s_or_b32 exec_lo, exec_lo, s41
	s_delay_alu instid0(SALU_CYCLE_1)
	s_mov_b32 s30, exec_lo
	v_cmpx_gt_i32_e64 s38, v4
	s_cbranch_execz .LBB125_160
.LBB125_141:
	s_and_not1_b32 vcc_lo, exec_lo, s35
	s_cbranch_vccnz .LBB125_146
; %bb.142:
	s_and_not1_b32 vcc_lo, exec_lo, s40
	s_cbranch_vccnz .LBB125_148
; %bb.143:
	s_add_co_i32 s39, s39, 1
	s_cmp_eq_u32 s34, 2
	s_cbranch_scc1 .LBB125_149
; %bb.144:
	v_dual_mov_b32 v6, 0 :: v_dual_mov_b32 v7, 0
	v_mov_b32_e32 v0, v4
	s_and_b32 s26, s39, 28
	s_mov_b32 s0, 0
	s_mov_b64 s[28:29], s[2:3]
.LBB125_145:                            ; =>This Inner Loop Header: Depth=1
	s_clause 0x1
	s_load_b256 s[40:47], s[28:29], 0x4
	s_load_b128 s[56:59], s[28:29], 0x24
	s_load_b256 s[48:55], s[24:25], 0x0
	s_add_co_i32 s0, s0, 4
	s_wait_xcnt 0x0
	s_add_nc_u64 s[28:29], s[28:29], 48
	s_cmp_eq_u32 s26, s0
	s_add_nc_u64 s[24:25], s[24:25], 32
	s_wait_kmcnt 0x0
	v_mul_hi_u32 v1, s41, v0
	s_delay_alu instid0(VALU_DEP_1) | instskip(NEXT) | instid1(VALU_DEP_1)
	v_add_nc_u32_e32 v1, v0, v1
	v_lshrrev_b32_e32 v1, s42, v1
	s_delay_alu instid0(VALU_DEP_1) | instskip(NEXT) | instid1(VALU_DEP_1)
	v_mul_hi_u32 v2, s44, v1
	v_add_nc_u32_e32 v2, v1, v2
	s_delay_alu instid0(VALU_DEP_1) | instskip(NEXT) | instid1(VALU_DEP_1)
	v_lshrrev_b32_e32 v2, s45, v2
	v_mul_hi_u32 v3, s47, v2
	s_delay_alu instid0(VALU_DEP_1) | instskip(SKIP_1) | instid1(VALU_DEP_1)
	v_add_nc_u32_e32 v3, v2, v3
	v_mul_lo_u32 v5, v1, s40
	v_sub_nc_u32_e32 v0, v0, v5
	v_mul_lo_u32 v5, v2, s43
	s_delay_alu instid0(VALU_DEP_4) | instskip(NEXT) | instid1(VALU_DEP_3)
	v_lshrrev_b32_e32 v3, s56, v3
	v_mad_u32 v7, v0, s49, v7
	v_mad_u32 v0, v0, s48, v6
	s_delay_alu instid0(VALU_DEP_4) | instskip(NEXT) | instid1(VALU_DEP_4)
	v_sub_nc_u32_e32 v1, v1, v5
	v_mul_hi_u32 v8, s58, v3
	v_mul_lo_u32 v5, v3, s46
	s_delay_alu instid0(VALU_DEP_3) | instskip(SKIP_1) | instid1(VALU_DEP_3)
	v_mad_u32 v7, v1, s51, v7
	v_mad_u32 v1, v1, s50, v0
	v_dual_add_nc_u32 v6, v3, v8 :: v_dual_sub_nc_u32 v2, v2, v5
	s_delay_alu instid0(VALU_DEP_1) | instskip(NEXT) | instid1(VALU_DEP_2)
	v_lshrrev_b32_e32 v0, s59, v6
	v_mad_u32 v6, v2, s53, v7
	s_delay_alu instid0(VALU_DEP_4) | instskip(NEXT) | instid1(VALU_DEP_3)
	v_mad_u32 v1, v2, s52, v1
	v_mul_lo_u32 v5, v0, s57
	s_delay_alu instid0(VALU_DEP_1) | instskip(NEXT) | instid1(VALU_DEP_1)
	v_sub_nc_u32_e32 v2, v3, v5
	v_mad_u32 v7, v2, s55, v6
	s_delay_alu instid0(VALU_DEP_4)
	v_mad_u32 v6, v2, s54, v1
	s_cbranch_scc0 .LBB125_145
	s_branch .LBB125_150
.LBB125_146:
                                        ; implicit-def: $vgpr7
	s_branch .LBB125_154
.LBB125_147:
                                        ; implicit-def: $sgpr26
	s_branch .LBB125_139
.LBB125_148:
	v_dual_mov_b32 v7, 0 :: v_dual_mov_b32 v6, 0
	s_branch .LBB125_153
.LBB125_149:
	v_mov_b64_e32 v[6:7], 0
	v_mov_b32_e32 v0, v4
	s_mov_b32 s26, 0
.LBB125_150:
	s_and_b32 s0, s39, 3
	s_mov_b32 s27, 0
	s_cmp_eq_u32 s0, 0
	s_cbranch_scc1 .LBB125_153
; %bb.151:
	s_lshl_b32 s24, s26, 3
	s_mov_b32 s25, s27
	s_mul_u64 s[26:27], s[26:27], 12
	s_add_nc_u64 s[24:25], s[2:3], s[24:25]
	s_add_nc_u64 s[26:27], s[2:3], s[26:27]
	;; [unrolled: 1-line block ×3, first 2 shown]
.LBB125_152:                            ; =>This Inner Loop Header: Depth=1
	s_load_b96 s[40:42], s[26:27], 0x4
	s_load_b64 s[28:29], s[24:25], 0x0
	s_add_co_i32 s0, s0, -1
	s_wait_xcnt 0x0
	s_add_nc_u64 s[26:27], s[26:27], 12
	s_cmp_lg_u32 s0, 0
	s_add_nc_u64 s[24:25], s[24:25], 8
	s_wait_kmcnt 0x0
	v_mul_hi_u32 v1, s41, v0
	s_delay_alu instid0(VALU_DEP_1) | instskip(NEXT) | instid1(VALU_DEP_1)
	v_add_nc_u32_e32 v1, v0, v1
	v_lshrrev_b32_e32 v1, s42, v1
	s_delay_alu instid0(VALU_DEP_1) | instskip(NEXT) | instid1(VALU_DEP_1)
	v_mul_lo_u32 v2, v1, s40
	v_sub_nc_u32_e32 v0, v0, v2
	s_delay_alu instid0(VALU_DEP_1)
	v_mad_u32 v7, v0, s29, v7
	v_mad_u32 v6, v0, s28, v6
	v_mov_b32_e32 v0, v1
	s_cbranch_scc1 .LBB125_152
.LBB125_153:
	s_cbranch_execnz .LBB125_156
.LBB125_154:
	v_mov_b32_e32 v5, 0
	s_and_not1_b32 vcc_lo, exec_lo, s37
	s_delay_alu instid0(VALU_DEP_1) | instskip(NEXT) | instid1(VALU_DEP_1)
	v_mul_u64_e32 v[0:1], s[20:21], v[4:5]
	v_add_nc_u32_e32 v0, v4, v1
	s_delay_alu instid0(VALU_DEP_1) | instskip(NEXT) | instid1(VALU_DEP_1)
	v_lshrrev_b32_e32 v0, s14, v0
	v_mul_lo_u32 v1, v0, s12
	s_delay_alu instid0(VALU_DEP_1) | instskip(NEXT) | instid1(VALU_DEP_1)
	v_sub_nc_u32_e32 v1, v4, v1
	v_mul_lo_u32 v7, v1, s17
	v_mul_lo_u32 v6, v1, s16
	s_cbranch_vccnz .LBB125_156
; %bb.155:
	v_mov_b32_e32 v1, v5
	s_delay_alu instid0(VALU_DEP_1) | instskip(NEXT) | instid1(VALU_DEP_1)
	v_mul_u64_e32 v[2:3], s[22:23], v[0:1]
	v_add_nc_u32_e32 v1, v0, v3
	s_delay_alu instid0(VALU_DEP_1) | instskip(NEXT) | instid1(VALU_DEP_1)
	v_lshrrev_b32_e32 v1, s1, v1
	v_mul_lo_u32 v1, v1, s15
	s_delay_alu instid0(VALU_DEP_1) | instskip(NEXT) | instid1(VALU_DEP_1)
	v_sub_nc_u32_e32 v0, v0, v1
	v_mad_u32 v6, v0, s18, v6
	v_mad_u32 v7, v0, s19, v7
.LBB125_156:
	global_load_b128 v[0:3], v7, s[6:7]
	s_and_not1_b32 vcc_lo, exec_lo, s13
	s_cbranch_vccnz .LBB125_170
; %bb.157:
	s_wait_loadcnt 0x0
	v_cmp_neq_f64_e32 vcc_lo, s[8:9], v[0:1]
	v_cmp_neq_f64_e64 s0, s[10:11], v[2:3]
	s_or_b32 s1, vcc_lo, s0
	s_cbranch_execnz .LBB125_159
.LBB125_158:
	s_wait_loadcnt 0x0
	v_cmp_eq_f64_e32 vcc_lo, s[8:9], v[0:1]
	v_cmp_eq_f64_e64 s0, s[10:11], v[2:3]
	s_and_not1_b32 s1, s1, exec_lo
	s_and_b32 s0, vcc_lo, s0
	s_delay_alu instid0(SALU_CYCLE_1) | instskip(NEXT) | instid1(SALU_CYCLE_1)
	s_and_b32 s0, s0, exec_lo
	s_or_b32 s1, s1, s0
.LBB125_159:
	s_wait_loadcnt 0x0
	v_cndmask_b32_e64 v0, 0, 1, s1
	global_store_b8 v6, v0, s[4:5]
.LBB125_160:
	s_wait_xcnt 0x0
	s_or_b32 exec_lo, exec_lo, s30
                                        ; implicit-def: $vgpr0
                                        ; implicit-def: $vgpr4
.LBB125_161:
	s_and_not1_saveexec_b32 s0, s36
	s_cbranch_execz .LBB125_168
; %bb.162:
	v_cndmask_b32_e64 v1, 0, 1, s35
	s_and_not1_b32 vcc_lo, exec_lo, s35
	s_cbranch_vccnz .LBB125_169
; %bb.163:
	s_cmp_lg_u32 s33, 0
	s_mov_b32 s8, 0
	s_cbranch_scc0 .LBB125_171
; %bb.164:
	s_min_u32 s1, s34, 15
	s_delay_alu instid0(SALU_CYCLE_1)
	s_add_co_i32 s1, s1, 1
	s_cmp_eq_u32 s34, 2
	s_cbranch_scc1 .LBB125_172
; %bb.165:
	v_dual_mov_b32 v6, 0 :: v_dual_mov_b32 v7, 0
	v_mov_b32_e32 v2, v4
	s_and_b32 s0, s1, 28
	s_add_nc_u64 s[4:5], s[2:3], 0xc4
	s_mov_b32 s9, 0
	s_mov_b64 s[6:7], s[2:3]
.LBB125_166:                            ; =>This Inner Loop Header: Depth=1
	s_clause 0x1
	s_load_b256 s[12:19], s[6:7], 0x4
	s_load_b128 s[28:31], s[6:7], 0x24
	s_load_b256 s[20:27], s[4:5], 0x0
	s_add_co_i32 s9, s9, 4
	s_wait_xcnt 0x0
	s_add_nc_u64 s[6:7], s[6:7], 48
	s_cmp_lg_u32 s0, s9
	s_add_nc_u64 s[4:5], s[4:5], 32
	s_wait_kmcnt 0x0
	v_mul_hi_u32 v3, s13, v2
	s_delay_alu instid0(VALU_DEP_1) | instskip(NEXT) | instid1(VALU_DEP_1)
	v_add_nc_u32_e32 v3, v2, v3
	v_lshrrev_b32_e32 v3, s14, v3
	s_delay_alu instid0(VALU_DEP_1) | instskip(NEXT) | instid1(VALU_DEP_1)
	v_mul_hi_u32 v5, s16, v3
	v_add_nc_u32_e32 v5, v3, v5
	s_delay_alu instid0(VALU_DEP_1) | instskip(NEXT) | instid1(VALU_DEP_1)
	v_lshrrev_b32_e32 v5, s17, v5
	v_mul_hi_u32 v8, s19, v5
	s_delay_alu instid0(VALU_DEP_1) | instskip(SKIP_1) | instid1(VALU_DEP_2)
	v_add_nc_u32_e32 v8, v5, v8
	v_mul_lo_u32 v9, v3, s12
	v_lshrrev_b32_e32 v8, s28, v8
	s_delay_alu instid0(VALU_DEP_1) | instskip(NEXT) | instid1(VALU_DEP_3)
	v_mul_hi_u32 v10, s30, v8
	v_sub_nc_u32_e32 v2, v2, v9
	v_mul_lo_u32 v9, v5, s15
	s_delay_alu instid0(VALU_DEP_1) | instskip(NEXT) | instid1(VALU_DEP_3)
	v_sub_nc_u32_e32 v3, v3, v9
	v_mad_u32 v7, v2, s21, v7
	v_mad_u32 v2, v2, s20, v6
	v_mul_lo_u32 v6, v8, s18
	v_add_nc_u32_e32 v9, v8, v10
	s_delay_alu instid0(VALU_DEP_4) | instskip(NEXT) | instid1(VALU_DEP_4)
	v_mad_u32 v7, v3, s23, v7
	v_mad_u32 v3, v3, s22, v2
	s_delay_alu instid0(VALU_DEP_3) | instskip(NEXT) | instid1(VALU_DEP_1)
	v_dual_lshrrev_b32 v2, s31, v9 :: v_dual_sub_nc_u32 v5, v5, v6
	v_mul_lo_u32 v6, v2, s29
	s_delay_alu instid0(VALU_DEP_2) | instskip(NEXT) | instid1(VALU_DEP_4)
	v_mad_u32 v7, v5, s25, v7
	v_mad_u32 v3, v5, s24, v3
	s_delay_alu instid0(VALU_DEP_3) | instskip(NEXT) | instid1(VALU_DEP_1)
	v_sub_nc_u32_e32 v5, v8, v6
	v_mad_u32 v7, v5, s27, v7
	s_delay_alu instid0(VALU_DEP_3)
	v_mad_u32 v6, v5, s26, v3
	s_cbranch_scc1 .LBB125_166
; %bb.167:
	s_and_b32 s6, s1, 3
	s_mov_b32 s1, 0
	s_cmp_eq_u32 s6, 0
	s_cbranch_scc0 .LBB125_173
	s_branch .LBB125_175
.LBB125_168:
	s_endpgm
.LBB125_169:
	s_mov_b32 s8, -1
                                        ; implicit-def: $vgpr7
	s_branch .LBB125_175
.LBB125_170:
                                        ; implicit-def: $sgpr1
	s_branch .LBB125_158
.LBB125_171:
	v_dual_mov_b32 v7, 0 :: v_dual_mov_b32 v6, 0
	s_branch .LBB125_175
.LBB125_172:
	v_mov_b64_e32 v[6:7], 0
	v_mov_b32_e32 v2, v4
	s_mov_b32 s0, 0
	s_and_b32 s6, s1, 3
	s_mov_b32 s1, 0
	s_cmp_eq_u32 s6, 0
	s_cbranch_scc1 .LBB125_175
.LBB125_173:
	s_lshl_b32 s4, s0, 3
	s_mov_b32 s5, s1
	s_mul_u64 s[10:11], s[0:1], 12
	s_add_nc_u64 s[4:5], s[2:3], s[4:5]
	s_delay_alu instid0(SALU_CYCLE_1)
	s_add_nc_u64 s[0:1], s[4:5], 0xc4
	s_add_nc_u64 s[4:5], s[2:3], s[10:11]
.LBB125_174:                            ; =>This Inner Loop Header: Depth=1
	s_load_b96 s[12:14], s[4:5], 0x4
	s_load_b64 s[10:11], s[0:1], 0x0
	s_add_co_i32 s6, s6, -1
	s_wait_xcnt 0x0
	s_add_nc_u64 s[4:5], s[4:5], 12
	s_cmp_lg_u32 s6, 0
	s_add_nc_u64 s[0:1], s[0:1], 8
	s_wait_kmcnt 0x0
	v_mul_hi_u32 v3, s13, v2
	s_delay_alu instid0(VALU_DEP_1) | instskip(NEXT) | instid1(VALU_DEP_1)
	v_add_nc_u32_e32 v3, v2, v3
	v_lshrrev_b32_e32 v3, s14, v3
	s_delay_alu instid0(VALU_DEP_1) | instskip(NEXT) | instid1(VALU_DEP_1)
	v_mul_lo_u32 v5, v3, s12
	v_sub_nc_u32_e32 v2, v2, v5
	s_delay_alu instid0(VALU_DEP_1)
	v_mad_u32 v7, v2, s11, v7
	v_mad_u32 v6, v2, s10, v6
	v_mov_b32_e32 v2, v3
	s_cbranch_scc1 .LBB125_174
.LBB125_175:
	s_and_not1_b32 vcc_lo, exec_lo, s8
	s_cbranch_vccnz .LBB125_178
; %bb.176:
	s_clause 0x1
	s_load_b96 s[4:6], s[2:3], 0x4
	s_load_b64 s[0:1], s[2:3], 0xc4
	s_cmp_lt_u32 s33, 2
	s_wait_kmcnt 0x0
	v_mul_hi_u32 v2, s5, v4
	s_delay_alu instid0(VALU_DEP_1) | instskip(NEXT) | instid1(VALU_DEP_1)
	v_add_nc_u32_e32 v2, v4, v2
	v_lshrrev_b32_e32 v2, s6, v2
	s_delay_alu instid0(VALU_DEP_1) | instskip(NEXT) | instid1(VALU_DEP_1)
	v_mul_lo_u32 v3, v2, s4
	v_sub_nc_u32_e32 v3, v4, v3
	s_delay_alu instid0(VALU_DEP_1)
	v_mul_lo_u32 v7, v3, s1
	v_mul_lo_u32 v6, v3, s0
	s_cbranch_scc1 .LBB125_178
; %bb.177:
	s_clause 0x1
	s_load_b96 s[4:6], s[2:3], 0x10
	s_load_b64 s[0:1], s[2:3], 0xcc
	s_wait_kmcnt 0x0
	v_mul_hi_u32 v3, s5, v2
	s_delay_alu instid0(VALU_DEP_1) | instskip(NEXT) | instid1(VALU_DEP_1)
	v_add_nc_u32_e32 v3, v2, v3
	v_lshrrev_b32_e32 v3, s6, v3
	s_delay_alu instid0(VALU_DEP_1) | instskip(NEXT) | instid1(VALU_DEP_1)
	v_mul_lo_u32 v3, v3, s4
	v_sub_nc_u32_e32 v2, v2, v3
	s_delay_alu instid0(VALU_DEP_1)
	v_mad_u32 v6, v2, s0, v6
	v_mad_u32 v7, v2, s1, v7
.LBB125_178:
	v_cmp_ne_u32_e32 vcc_lo, 1, v1
	v_add_nc_u32_e32 v2, 0x80, v4
	s_cbranch_vccnz .LBB125_184
; %bb.179:
	s_cmp_lg_u32 s33, 0
	s_mov_b32 s8, 0
	s_cbranch_scc0 .LBB125_185
; %bb.180:
	s_min_u32 s1, s34, 15
	s_delay_alu instid0(SALU_CYCLE_1)
	s_add_co_i32 s1, s1, 1
	s_cmp_eq_u32 s34, 2
	s_cbranch_scc1 .LBB125_186
; %bb.181:
	v_dual_mov_b32 v8, 0 :: v_dual_mov_b32 v9, 0
	v_mov_b32_e32 v3, v2
	s_and_b32 s0, s1, 28
	s_add_nc_u64 s[4:5], s[2:3], 0xc4
	s_mov_b32 s9, 0
	s_mov_b64 s[6:7], s[2:3]
.LBB125_182:                            ; =>This Inner Loop Header: Depth=1
	s_clause 0x1
	s_load_b256 s[12:19], s[6:7], 0x4
	s_load_b128 s[28:31], s[6:7], 0x24
	s_load_b256 s[20:27], s[4:5], 0x0
	s_add_co_i32 s9, s9, 4
	s_wait_xcnt 0x0
	s_add_nc_u64 s[6:7], s[6:7], 48
	s_cmp_lg_u32 s0, s9
	s_add_nc_u64 s[4:5], s[4:5], 32
	s_wait_kmcnt 0x0
	v_mul_hi_u32 v5, s13, v3
	s_delay_alu instid0(VALU_DEP_1) | instskip(NEXT) | instid1(VALU_DEP_1)
	v_add_nc_u32_e32 v5, v3, v5
	v_lshrrev_b32_e32 v5, s14, v5
	s_delay_alu instid0(VALU_DEP_1) | instskip(NEXT) | instid1(VALU_DEP_1)
	v_mul_hi_u32 v10, s16, v5
	v_add_nc_u32_e32 v10, v5, v10
	s_delay_alu instid0(VALU_DEP_1) | instskip(NEXT) | instid1(VALU_DEP_1)
	v_lshrrev_b32_e32 v10, s17, v10
	v_mul_hi_u32 v11, s19, v10
	s_delay_alu instid0(VALU_DEP_1) | instskip(SKIP_1) | instid1(VALU_DEP_1)
	v_add_nc_u32_e32 v11, v10, v11
	v_mul_lo_u32 v12, v5, s12
	v_sub_nc_u32_e32 v3, v3, v12
	v_mul_lo_u32 v12, v10, s15
	s_delay_alu instid0(VALU_DEP_4) | instskip(NEXT) | instid1(VALU_DEP_3)
	v_lshrrev_b32_e32 v11, s28, v11
	v_mad_u32 v9, v3, s21, v9
	v_mad_u32 v3, v3, s20, v8
	s_delay_alu instid0(VALU_DEP_4) | instskip(NEXT) | instid1(VALU_DEP_4)
	v_sub_nc_u32_e32 v5, v5, v12
	v_mul_hi_u32 v13, s30, v11
	v_mul_lo_u32 v8, v11, s18
	s_delay_alu instid0(VALU_DEP_3) | instskip(SKIP_1) | instid1(VALU_DEP_3)
	v_mad_u32 v9, v5, s23, v9
	v_mad_u32 v5, v5, s22, v3
	v_dual_add_nc_u32 v12, v11, v13 :: v_dual_sub_nc_u32 v8, v10, v8
	s_delay_alu instid0(VALU_DEP_1) | instskip(NEXT) | instid1(VALU_DEP_2)
	v_lshrrev_b32_e32 v3, s31, v12
	v_mad_u32 v9, v8, s25, v9
	s_delay_alu instid0(VALU_DEP_4) | instskip(NEXT) | instid1(VALU_DEP_3)
	v_mad_u32 v5, v8, s24, v5
	v_mul_lo_u32 v10, v3, s29
	s_delay_alu instid0(VALU_DEP_1) | instskip(NEXT) | instid1(VALU_DEP_1)
	v_sub_nc_u32_e32 v8, v11, v10
	v_mad_u32 v9, v8, s27, v9
	s_delay_alu instid0(VALU_DEP_4)
	v_mad_u32 v8, v8, s26, v5
	s_cbranch_scc1 .LBB125_182
; %bb.183:
	s_and_b32 s6, s1, 3
	s_mov_b32 s1, 0
	s_cmp_eq_u32 s6, 0
	s_cbranch_scc0 .LBB125_187
	s_branch .LBB125_189
.LBB125_184:
	s_mov_b32 s8, -1
                                        ; implicit-def: $vgpr9
	s_branch .LBB125_189
.LBB125_185:
	v_dual_mov_b32 v9, 0 :: v_dual_mov_b32 v8, 0
	s_branch .LBB125_189
.LBB125_186:
	v_mov_b64_e32 v[8:9], 0
	v_mov_b32_e32 v3, v2
	s_mov_b32 s0, 0
	s_and_b32 s6, s1, 3
	s_mov_b32 s1, 0
	s_cmp_eq_u32 s6, 0
	s_cbranch_scc1 .LBB125_189
.LBB125_187:
	s_lshl_b32 s4, s0, 3
	s_mov_b32 s5, s1
	s_mul_u64 s[10:11], s[0:1], 12
	s_add_nc_u64 s[4:5], s[2:3], s[4:5]
	s_delay_alu instid0(SALU_CYCLE_1)
	s_add_nc_u64 s[0:1], s[4:5], 0xc4
	s_add_nc_u64 s[4:5], s[2:3], s[10:11]
.LBB125_188:                            ; =>This Inner Loop Header: Depth=1
	s_load_b96 s[12:14], s[4:5], 0x4
	s_load_b64 s[10:11], s[0:1], 0x0
	s_add_co_i32 s6, s6, -1
	s_wait_xcnt 0x0
	s_add_nc_u64 s[4:5], s[4:5], 12
	s_cmp_lg_u32 s6, 0
	s_add_nc_u64 s[0:1], s[0:1], 8
	s_wait_kmcnt 0x0
	v_mul_hi_u32 v5, s13, v3
	s_delay_alu instid0(VALU_DEP_1) | instskip(NEXT) | instid1(VALU_DEP_1)
	v_add_nc_u32_e32 v5, v3, v5
	v_lshrrev_b32_e32 v5, s14, v5
	s_delay_alu instid0(VALU_DEP_1) | instskip(NEXT) | instid1(VALU_DEP_1)
	v_mul_lo_u32 v10, v5, s12
	v_sub_nc_u32_e32 v3, v3, v10
	s_delay_alu instid0(VALU_DEP_1)
	v_mad_u32 v9, v3, s11, v9
	v_mad_u32 v8, v3, s10, v8
	v_mov_b32_e32 v3, v5
	s_cbranch_scc1 .LBB125_188
.LBB125_189:
	s_and_not1_b32 vcc_lo, exec_lo, s8
	s_cbranch_vccnz .LBB125_192
; %bb.190:
	s_clause 0x1
	s_load_b96 s[4:6], s[2:3], 0x4
	s_load_b64 s[0:1], s[2:3], 0xc4
	s_cmp_lt_u32 s33, 2
	s_wait_kmcnt 0x0
	v_mul_hi_u32 v3, s5, v2
	s_delay_alu instid0(VALU_DEP_1) | instskip(NEXT) | instid1(VALU_DEP_1)
	v_add_nc_u32_e32 v3, v2, v3
	v_lshrrev_b32_e32 v3, s6, v3
	s_delay_alu instid0(VALU_DEP_1) | instskip(NEXT) | instid1(VALU_DEP_1)
	v_mul_lo_u32 v5, v3, s4
	v_sub_nc_u32_e32 v2, v2, v5
	s_delay_alu instid0(VALU_DEP_1)
	v_mul_lo_u32 v9, v2, s1
	v_mul_lo_u32 v8, v2, s0
	s_cbranch_scc1 .LBB125_192
; %bb.191:
	s_clause 0x1
	s_load_b96 s[4:6], s[2:3], 0x10
	s_load_b64 s[0:1], s[2:3], 0xcc
	s_wait_kmcnt 0x0
	v_mul_hi_u32 v2, s5, v3
	s_delay_alu instid0(VALU_DEP_1) | instskip(NEXT) | instid1(VALU_DEP_1)
	v_add_nc_u32_e32 v2, v3, v2
	v_lshrrev_b32_e32 v2, s6, v2
	s_delay_alu instid0(VALU_DEP_1) | instskip(NEXT) | instid1(VALU_DEP_1)
	v_mul_lo_u32 v2, v2, s4
	v_sub_nc_u32_e32 v2, v3, v2
	s_delay_alu instid0(VALU_DEP_1)
	v_mad_u32 v8, v2, s0, v8
	v_mad_u32 v9, v2, s1, v9
.LBB125_192:
	v_cmp_ne_u32_e32 vcc_lo, 1, v1
	v_add_nc_u32_e32 v2, 0x100, v4
	s_cbranch_vccnz .LBB125_198
; %bb.193:
	s_cmp_lg_u32 s33, 0
	s_mov_b32 s8, 0
	s_cbranch_scc0 .LBB125_199
; %bb.194:
	s_min_u32 s1, s34, 15
	s_delay_alu instid0(SALU_CYCLE_1)
	s_add_co_i32 s1, s1, 1
	s_cmp_eq_u32 s34, 2
	s_cbranch_scc1 .LBB125_200
; %bb.195:
	v_dual_mov_b32 v10, 0 :: v_dual_mov_b32 v11, 0
	v_mov_b32_e32 v3, v2
	s_and_b32 s0, s1, 28
	s_add_nc_u64 s[4:5], s[2:3], 0xc4
	s_mov_b32 s9, 0
	s_mov_b64 s[6:7], s[2:3]
.LBB125_196:                            ; =>This Inner Loop Header: Depth=1
	s_clause 0x1
	s_load_b256 s[12:19], s[6:7], 0x4
	s_load_b128 s[28:31], s[6:7], 0x24
	s_load_b256 s[20:27], s[4:5], 0x0
	s_add_co_i32 s9, s9, 4
	s_wait_xcnt 0x0
	s_add_nc_u64 s[6:7], s[6:7], 48
	s_cmp_lg_u32 s0, s9
	s_add_nc_u64 s[4:5], s[4:5], 32
	s_wait_kmcnt 0x0
	v_mul_hi_u32 v5, s13, v3
	s_delay_alu instid0(VALU_DEP_1) | instskip(NEXT) | instid1(VALU_DEP_1)
	v_add_nc_u32_e32 v5, v3, v5
	v_lshrrev_b32_e32 v5, s14, v5
	s_delay_alu instid0(VALU_DEP_1) | instskip(NEXT) | instid1(VALU_DEP_1)
	v_mul_lo_u32 v14, v5, s12
	v_sub_nc_u32_e32 v3, v3, v14
	v_mul_hi_u32 v12, s16, v5
	s_delay_alu instid0(VALU_DEP_2) | instskip(SKIP_1) | instid1(VALU_DEP_3)
	v_mad_u32 v11, v3, s21, v11
	v_mad_u32 v3, v3, s20, v10
	v_add_nc_u32_e32 v12, v5, v12
	s_delay_alu instid0(VALU_DEP_1) | instskip(NEXT) | instid1(VALU_DEP_1)
	v_lshrrev_b32_e32 v12, s17, v12
	v_mul_hi_u32 v13, s19, v12
	v_mul_lo_u32 v14, v12, s15
	s_delay_alu instid0(VALU_DEP_1) | instskip(NEXT) | instid1(VALU_DEP_1)
	v_dual_add_nc_u32 v13, v12, v13 :: v_dual_sub_nc_u32 v5, v5, v14
	v_lshrrev_b32_e32 v13, s28, v13
	s_delay_alu instid0(VALU_DEP_2) | instskip(SKIP_1) | instid1(VALU_DEP_3)
	v_mad_u32 v11, v5, s23, v11
	v_mad_u32 v5, v5, s22, v3
	v_mul_hi_u32 v15, s30, v13
	v_mul_lo_u32 v10, v13, s18
	s_delay_alu instid0(VALU_DEP_1) | instskip(NEXT) | instid1(VALU_DEP_1)
	v_dual_add_nc_u32 v14, v13, v15 :: v_dual_sub_nc_u32 v10, v12, v10
	v_lshrrev_b32_e32 v3, s31, v14
	s_delay_alu instid0(VALU_DEP_2) | instskip(SKIP_1) | instid1(VALU_DEP_3)
	v_mad_u32 v11, v10, s25, v11
	v_mad_u32 v5, v10, s24, v5
	v_mul_lo_u32 v12, v3, s29
	s_delay_alu instid0(VALU_DEP_1) | instskip(NEXT) | instid1(VALU_DEP_1)
	v_sub_nc_u32_e32 v10, v13, v12
	v_mad_u32 v11, v10, s27, v11
	s_delay_alu instid0(VALU_DEP_4)
	v_mad_u32 v10, v10, s26, v5
	s_cbranch_scc1 .LBB125_196
; %bb.197:
	s_and_b32 s6, s1, 3
	s_mov_b32 s1, 0
	s_cmp_eq_u32 s6, 0
	s_cbranch_scc0 .LBB125_201
	s_branch .LBB125_203
.LBB125_198:
	s_mov_b32 s8, -1
                                        ; implicit-def: $vgpr11
	s_branch .LBB125_203
.LBB125_199:
	v_dual_mov_b32 v11, 0 :: v_dual_mov_b32 v10, 0
	s_branch .LBB125_203
.LBB125_200:
	v_mov_b64_e32 v[10:11], 0
	v_mov_b32_e32 v3, v2
	s_mov_b32 s0, 0
	s_and_b32 s6, s1, 3
	s_mov_b32 s1, 0
	s_cmp_eq_u32 s6, 0
	s_cbranch_scc1 .LBB125_203
.LBB125_201:
	s_lshl_b32 s4, s0, 3
	s_mov_b32 s5, s1
	s_mul_u64 s[10:11], s[0:1], 12
	s_add_nc_u64 s[4:5], s[2:3], s[4:5]
	s_delay_alu instid0(SALU_CYCLE_1)
	s_add_nc_u64 s[0:1], s[4:5], 0xc4
	s_add_nc_u64 s[4:5], s[2:3], s[10:11]
.LBB125_202:                            ; =>This Inner Loop Header: Depth=1
	s_load_b96 s[12:14], s[4:5], 0x4
	s_load_b64 s[10:11], s[0:1], 0x0
	s_add_co_i32 s6, s6, -1
	s_wait_xcnt 0x0
	s_add_nc_u64 s[4:5], s[4:5], 12
	s_cmp_lg_u32 s6, 0
	s_add_nc_u64 s[0:1], s[0:1], 8
	s_wait_kmcnt 0x0
	v_mul_hi_u32 v5, s13, v3
	s_delay_alu instid0(VALU_DEP_1) | instskip(NEXT) | instid1(VALU_DEP_1)
	v_add_nc_u32_e32 v5, v3, v5
	v_lshrrev_b32_e32 v5, s14, v5
	s_delay_alu instid0(VALU_DEP_1) | instskip(NEXT) | instid1(VALU_DEP_1)
	v_mul_lo_u32 v12, v5, s12
	v_sub_nc_u32_e32 v3, v3, v12
	s_delay_alu instid0(VALU_DEP_1)
	v_mad_u32 v11, v3, s11, v11
	v_mad_u32 v10, v3, s10, v10
	v_mov_b32_e32 v3, v5
	s_cbranch_scc1 .LBB125_202
.LBB125_203:
	s_and_not1_b32 vcc_lo, exec_lo, s8
	s_cbranch_vccnz .LBB125_206
; %bb.204:
	s_clause 0x1
	s_load_b96 s[4:6], s[2:3], 0x4
	s_load_b64 s[0:1], s[2:3], 0xc4
	s_cmp_lt_u32 s33, 2
	s_wait_kmcnt 0x0
	v_mul_hi_u32 v3, s5, v2
	s_delay_alu instid0(VALU_DEP_1) | instskip(NEXT) | instid1(VALU_DEP_1)
	v_add_nc_u32_e32 v3, v2, v3
	v_lshrrev_b32_e32 v3, s6, v3
	s_delay_alu instid0(VALU_DEP_1) | instskip(NEXT) | instid1(VALU_DEP_1)
	v_mul_lo_u32 v5, v3, s4
	v_sub_nc_u32_e32 v2, v2, v5
	s_delay_alu instid0(VALU_DEP_1)
	v_mul_lo_u32 v11, v2, s1
	v_mul_lo_u32 v10, v2, s0
	s_cbranch_scc1 .LBB125_206
; %bb.205:
	s_clause 0x1
	s_load_b96 s[4:6], s[2:3], 0x10
	s_load_b64 s[0:1], s[2:3], 0xcc
	s_wait_kmcnt 0x0
	v_mul_hi_u32 v2, s5, v3
	s_delay_alu instid0(VALU_DEP_1) | instskip(NEXT) | instid1(VALU_DEP_1)
	v_add_nc_u32_e32 v2, v3, v2
	v_lshrrev_b32_e32 v2, s6, v2
	s_delay_alu instid0(VALU_DEP_1) | instskip(NEXT) | instid1(VALU_DEP_1)
	v_mul_lo_u32 v2, v2, s4
	v_sub_nc_u32_e32 v2, v3, v2
	s_delay_alu instid0(VALU_DEP_1)
	v_mad_u32 v10, v2, s0, v10
	v_mad_u32 v11, v2, s1, v11
.LBB125_206:
	v_cmp_ne_u32_e32 vcc_lo, 1, v1
	v_add_nc_u32_e32 v2, 0x180, v4
	s_cbranch_vccnz .LBB125_212
; %bb.207:
	s_cmp_lg_u32 s33, 0
	s_mov_b32 s8, 0
	s_cbranch_scc0 .LBB125_213
; %bb.208:
	s_min_u32 s1, s34, 15
	s_delay_alu instid0(SALU_CYCLE_1)
	s_add_co_i32 s1, s1, 1
	s_cmp_eq_u32 s34, 2
	s_cbranch_scc1 .LBB125_214
; %bb.209:
	v_dual_mov_b32 v12, 0 :: v_dual_mov_b32 v13, 0
	v_mov_b32_e32 v3, v2
	s_and_b32 s0, s1, 28
	s_add_nc_u64 s[4:5], s[2:3], 0xc4
	s_mov_b32 s9, 0
	s_mov_b64 s[6:7], s[2:3]
.LBB125_210:                            ; =>This Inner Loop Header: Depth=1
	s_clause 0x1
	s_load_b256 s[12:19], s[6:7], 0x4
	s_load_b128 s[28:31], s[6:7], 0x24
	s_load_b256 s[20:27], s[4:5], 0x0
	s_add_co_i32 s9, s9, 4
	s_wait_xcnt 0x0
	s_add_nc_u64 s[6:7], s[6:7], 48
	s_cmp_lg_u32 s0, s9
	s_add_nc_u64 s[4:5], s[4:5], 32
	s_wait_kmcnt 0x0
	v_mul_hi_u32 v5, s13, v3
	s_delay_alu instid0(VALU_DEP_1) | instskip(NEXT) | instid1(VALU_DEP_1)
	v_add_nc_u32_e32 v5, v3, v5
	v_lshrrev_b32_e32 v5, s14, v5
	s_delay_alu instid0(VALU_DEP_1) | instskip(NEXT) | instid1(VALU_DEP_1)
	v_mul_hi_u32 v14, s16, v5
	v_add_nc_u32_e32 v14, v5, v14
	s_delay_alu instid0(VALU_DEP_1) | instskip(NEXT) | instid1(VALU_DEP_1)
	v_lshrrev_b32_e32 v14, s17, v14
	v_mul_hi_u32 v15, s19, v14
	s_delay_alu instid0(VALU_DEP_1) | instskip(SKIP_1) | instid1(VALU_DEP_1)
	v_add_nc_u32_e32 v15, v14, v15
	v_mul_lo_u32 v16, v5, s12
	v_sub_nc_u32_e32 v3, v3, v16
	v_mul_lo_u32 v16, v14, s15
	s_delay_alu instid0(VALU_DEP_4) | instskip(NEXT) | instid1(VALU_DEP_3)
	v_lshrrev_b32_e32 v15, s28, v15
	v_mad_u32 v13, v3, s21, v13
	v_mad_u32 v3, v3, s20, v12
	s_delay_alu instid0(VALU_DEP_4) | instskip(NEXT) | instid1(VALU_DEP_4)
	v_sub_nc_u32_e32 v5, v5, v16
	v_mul_hi_u32 v17, s30, v15
	v_mul_lo_u32 v12, v15, s18
	s_delay_alu instid0(VALU_DEP_3) | instskip(SKIP_1) | instid1(VALU_DEP_3)
	v_mad_u32 v13, v5, s23, v13
	v_mad_u32 v5, v5, s22, v3
	v_dual_add_nc_u32 v16, v15, v17 :: v_dual_sub_nc_u32 v12, v14, v12
	s_delay_alu instid0(VALU_DEP_1) | instskip(NEXT) | instid1(VALU_DEP_2)
	v_lshrrev_b32_e32 v3, s31, v16
	v_mad_u32 v13, v12, s25, v13
	s_delay_alu instid0(VALU_DEP_4) | instskip(NEXT) | instid1(VALU_DEP_3)
	v_mad_u32 v5, v12, s24, v5
	v_mul_lo_u32 v14, v3, s29
	s_delay_alu instid0(VALU_DEP_1) | instskip(NEXT) | instid1(VALU_DEP_1)
	v_sub_nc_u32_e32 v12, v15, v14
	v_mad_u32 v13, v12, s27, v13
	s_delay_alu instid0(VALU_DEP_4)
	v_mad_u32 v12, v12, s26, v5
	s_cbranch_scc1 .LBB125_210
; %bb.211:
	s_and_b32 s6, s1, 3
	s_mov_b32 s1, 0
	s_cmp_eq_u32 s6, 0
	s_cbranch_scc0 .LBB125_215
	s_branch .LBB125_217
.LBB125_212:
	s_mov_b32 s8, -1
                                        ; implicit-def: $vgpr13
	s_branch .LBB125_217
.LBB125_213:
	v_dual_mov_b32 v13, 0 :: v_dual_mov_b32 v12, 0
	s_branch .LBB125_217
.LBB125_214:
	v_mov_b64_e32 v[12:13], 0
	v_mov_b32_e32 v3, v2
	s_mov_b32 s0, 0
	s_and_b32 s6, s1, 3
	s_mov_b32 s1, 0
	s_cmp_eq_u32 s6, 0
	s_cbranch_scc1 .LBB125_217
.LBB125_215:
	s_lshl_b32 s4, s0, 3
	s_mov_b32 s5, s1
	s_mul_u64 s[10:11], s[0:1], 12
	s_add_nc_u64 s[4:5], s[2:3], s[4:5]
	s_delay_alu instid0(SALU_CYCLE_1)
	s_add_nc_u64 s[0:1], s[4:5], 0xc4
	s_add_nc_u64 s[4:5], s[2:3], s[10:11]
.LBB125_216:                            ; =>This Inner Loop Header: Depth=1
	s_load_b96 s[12:14], s[4:5], 0x4
	s_load_b64 s[10:11], s[0:1], 0x0
	s_add_co_i32 s6, s6, -1
	s_wait_xcnt 0x0
	s_add_nc_u64 s[4:5], s[4:5], 12
	s_cmp_lg_u32 s6, 0
	s_add_nc_u64 s[0:1], s[0:1], 8
	s_wait_kmcnt 0x0
	v_mul_hi_u32 v5, s13, v3
	s_delay_alu instid0(VALU_DEP_1) | instskip(NEXT) | instid1(VALU_DEP_1)
	v_add_nc_u32_e32 v5, v3, v5
	v_lshrrev_b32_e32 v5, s14, v5
	s_delay_alu instid0(VALU_DEP_1) | instskip(NEXT) | instid1(VALU_DEP_1)
	v_mul_lo_u32 v14, v5, s12
	v_sub_nc_u32_e32 v3, v3, v14
	s_delay_alu instid0(VALU_DEP_1)
	v_mad_u32 v13, v3, s11, v13
	v_mad_u32 v12, v3, s10, v12
	v_mov_b32_e32 v3, v5
	s_cbranch_scc1 .LBB125_216
.LBB125_217:
	s_and_not1_b32 vcc_lo, exec_lo, s8
	s_cbranch_vccnz .LBB125_220
; %bb.218:
	s_clause 0x1
	s_load_b96 s[4:6], s[2:3], 0x4
	s_load_b64 s[0:1], s[2:3], 0xc4
	s_cmp_lt_u32 s33, 2
	s_wait_kmcnt 0x0
	v_mul_hi_u32 v3, s5, v2
	s_delay_alu instid0(VALU_DEP_1) | instskip(NEXT) | instid1(VALU_DEP_1)
	v_add_nc_u32_e32 v3, v2, v3
	v_lshrrev_b32_e32 v3, s6, v3
	s_delay_alu instid0(VALU_DEP_1) | instskip(NEXT) | instid1(VALU_DEP_1)
	v_mul_lo_u32 v5, v3, s4
	v_sub_nc_u32_e32 v2, v2, v5
	s_delay_alu instid0(VALU_DEP_1)
	v_mul_lo_u32 v13, v2, s1
	v_mul_lo_u32 v12, v2, s0
	s_cbranch_scc1 .LBB125_220
; %bb.219:
	s_clause 0x1
	s_load_b96 s[4:6], s[2:3], 0x10
	s_load_b64 s[0:1], s[2:3], 0xcc
	s_wait_kmcnt 0x0
	v_mul_hi_u32 v2, s5, v3
	s_delay_alu instid0(VALU_DEP_1) | instskip(NEXT) | instid1(VALU_DEP_1)
	v_add_nc_u32_e32 v2, v3, v2
	v_lshrrev_b32_e32 v2, s6, v2
	s_delay_alu instid0(VALU_DEP_1) | instskip(NEXT) | instid1(VALU_DEP_1)
	v_mul_lo_u32 v2, v2, s4
	v_sub_nc_u32_e32 v2, v3, v2
	s_delay_alu instid0(VALU_DEP_1)
	v_mad_u32 v12, v2, s0, v12
	v_mad_u32 v13, v2, s1, v13
.LBB125_220:
	v_cmp_ne_u32_e32 vcc_lo, 1, v1
	v_add_nc_u32_e32 v2, 0x200, v4
	s_cbranch_vccnz .LBB125_226
; %bb.221:
	s_cmp_lg_u32 s33, 0
	s_mov_b32 s8, 0
	s_cbranch_scc0 .LBB125_227
; %bb.222:
	s_min_u32 s1, s34, 15
	s_delay_alu instid0(SALU_CYCLE_1)
	s_add_co_i32 s1, s1, 1
	s_cmp_eq_u32 s34, 2
	s_cbranch_scc1 .LBB125_228
; %bb.223:
	v_dual_mov_b32 v14, 0 :: v_dual_mov_b32 v15, 0
	v_mov_b32_e32 v3, v2
	s_and_b32 s0, s1, 28
	s_add_nc_u64 s[4:5], s[2:3], 0xc4
	s_mov_b32 s9, 0
	s_mov_b64 s[6:7], s[2:3]
.LBB125_224:                            ; =>This Inner Loop Header: Depth=1
	s_clause 0x1
	s_load_b256 s[12:19], s[6:7], 0x4
	s_load_b128 s[28:31], s[6:7], 0x24
	s_load_b256 s[20:27], s[4:5], 0x0
	s_add_co_i32 s9, s9, 4
	s_wait_xcnt 0x0
	s_add_nc_u64 s[6:7], s[6:7], 48
	s_cmp_lg_u32 s0, s9
	s_add_nc_u64 s[4:5], s[4:5], 32
	s_wait_kmcnt 0x0
	v_mul_hi_u32 v5, s13, v3
	s_delay_alu instid0(VALU_DEP_1) | instskip(NEXT) | instid1(VALU_DEP_1)
	v_add_nc_u32_e32 v5, v3, v5
	v_lshrrev_b32_e32 v5, s14, v5
	s_delay_alu instid0(VALU_DEP_1) | instskip(NEXT) | instid1(VALU_DEP_1)
	v_mul_lo_u32 v18, v5, s12
	v_sub_nc_u32_e32 v3, v3, v18
	v_mul_hi_u32 v16, s16, v5
	s_delay_alu instid0(VALU_DEP_2) | instskip(SKIP_1) | instid1(VALU_DEP_3)
	v_mad_u32 v15, v3, s21, v15
	v_mad_u32 v3, v3, s20, v14
	v_add_nc_u32_e32 v16, v5, v16
	s_delay_alu instid0(VALU_DEP_1) | instskip(NEXT) | instid1(VALU_DEP_1)
	v_lshrrev_b32_e32 v16, s17, v16
	v_mul_hi_u32 v17, s19, v16
	v_mul_lo_u32 v18, v16, s15
	s_delay_alu instid0(VALU_DEP_1) | instskip(NEXT) | instid1(VALU_DEP_1)
	v_dual_add_nc_u32 v17, v16, v17 :: v_dual_sub_nc_u32 v5, v5, v18
	v_lshrrev_b32_e32 v17, s28, v17
	s_delay_alu instid0(VALU_DEP_2) | instskip(SKIP_1) | instid1(VALU_DEP_3)
	v_mad_u32 v15, v5, s23, v15
	v_mad_u32 v5, v5, s22, v3
	v_mul_hi_u32 v19, s30, v17
	v_mul_lo_u32 v14, v17, s18
	s_delay_alu instid0(VALU_DEP_1) | instskip(NEXT) | instid1(VALU_DEP_1)
	v_dual_add_nc_u32 v18, v17, v19 :: v_dual_sub_nc_u32 v14, v16, v14
	v_lshrrev_b32_e32 v3, s31, v18
	s_delay_alu instid0(VALU_DEP_2) | instskip(SKIP_1) | instid1(VALU_DEP_3)
	v_mad_u32 v15, v14, s25, v15
	v_mad_u32 v5, v14, s24, v5
	v_mul_lo_u32 v16, v3, s29
	s_delay_alu instid0(VALU_DEP_1) | instskip(NEXT) | instid1(VALU_DEP_1)
	v_sub_nc_u32_e32 v14, v17, v16
	v_mad_u32 v15, v14, s27, v15
	s_delay_alu instid0(VALU_DEP_4)
	v_mad_u32 v14, v14, s26, v5
	s_cbranch_scc1 .LBB125_224
; %bb.225:
	s_and_b32 s6, s1, 3
	s_mov_b32 s1, 0
	s_cmp_eq_u32 s6, 0
	s_cbranch_scc0 .LBB125_229
	s_branch .LBB125_231
.LBB125_226:
	s_mov_b32 s8, -1
                                        ; implicit-def: $vgpr15
	s_branch .LBB125_231
.LBB125_227:
	v_dual_mov_b32 v15, 0 :: v_dual_mov_b32 v14, 0
	s_branch .LBB125_231
.LBB125_228:
	v_mov_b64_e32 v[14:15], 0
	v_mov_b32_e32 v3, v2
	s_mov_b32 s0, 0
	s_and_b32 s6, s1, 3
	s_mov_b32 s1, 0
	s_cmp_eq_u32 s6, 0
	s_cbranch_scc1 .LBB125_231
.LBB125_229:
	s_lshl_b32 s4, s0, 3
	s_mov_b32 s5, s1
	s_mul_u64 s[10:11], s[0:1], 12
	s_add_nc_u64 s[4:5], s[2:3], s[4:5]
	s_delay_alu instid0(SALU_CYCLE_1)
	s_add_nc_u64 s[0:1], s[4:5], 0xc4
	s_add_nc_u64 s[4:5], s[2:3], s[10:11]
.LBB125_230:                            ; =>This Inner Loop Header: Depth=1
	s_load_b96 s[12:14], s[4:5], 0x4
	s_load_b64 s[10:11], s[0:1], 0x0
	s_add_co_i32 s6, s6, -1
	s_wait_xcnt 0x0
	s_add_nc_u64 s[4:5], s[4:5], 12
	s_cmp_lg_u32 s6, 0
	s_add_nc_u64 s[0:1], s[0:1], 8
	s_wait_kmcnt 0x0
	v_mul_hi_u32 v5, s13, v3
	s_delay_alu instid0(VALU_DEP_1) | instskip(NEXT) | instid1(VALU_DEP_1)
	v_add_nc_u32_e32 v5, v3, v5
	v_lshrrev_b32_e32 v5, s14, v5
	s_delay_alu instid0(VALU_DEP_1) | instskip(NEXT) | instid1(VALU_DEP_1)
	v_mul_lo_u32 v16, v5, s12
	v_sub_nc_u32_e32 v3, v3, v16
	s_delay_alu instid0(VALU_DEP_1)
	v_mad_u32 v15, v3, s11, v15
	v_mad_u32 v14, v3, s10, v14
	v_mov_b32_e32 v3, v5
	s_cbranch_scc1 .LBB125_230
.LBB125_231:
	s_and_not1_b32 vcc_lo, exec_lo, s8
	s_cbranch_vccnz .LBB125_234
; %bb.232:
	s_clause 0x1
	s_load_b96 s[4:6], s[2:3], 0x4
	s_load_b64 s[0:1], s[2:3], 0xc4
	s_cmp_lt_u32 s33, 2
	s_wait_kmcnt 0x0
	v_mul_hi_u32 v3, s5, v2
	s_delay_alu instid0(VALU_DEP_1) | instskip(NEXT) | instid1(VALU_DEP_1)
	v_add_nc_u32_e32 v3, v2, v3
	v_lshrrev_b32_e32 v3, s6, v3
	s_delay_alu instid0(VALU_DEP_1) | instskip(NEXT) | instid1(VALU_DEP_1)
	v_mul_lo_u32 v5, v3, s4
	v_sub_nc_u32_e32 v2, v2, v5
	s_delay_alu instid0(VALU_DEP_1)
	v_mul_lo_u32 v15, v2, s1
	v_mul_lo_u32 v14, v2, s0
	s_cbranch_scc1 .LBB125_234
; %bb.233:
	s_clause 0x1
	s_load_b96 s[4:6], s[2:3], 0x10
	s_load_b64 s[0:1], s[2:3], 0xcc
	s_wait_kmcnt 0x0
	v_mul_hi_u32 v2, s5, v3
	s_delay_alu instid0(VALU_DEP_1) | instskip(NEXT) | instid1(VALU_DEP_1)
	v_add_nc_u32_e32 v2, v3, v2
	v_lshrrev_b32_e32 v2, s6, v2
	s_delay_alu instid0(VALU_DEP_1) | instskip(NEXT) | instid1(VALU_DEP_1)
	v_mul_lo_u32 v2, v2, s4
	v_sub_nc_u32_e32 v2, v3, v2
	s_delay_alu instid0(VALU_DEP_1)
	v_mad_u32 v14, v2, s0, v14
	v_mad_u32 v15, v2, s1, v15
.LBB125_234:
	v_cmp_ne_u32_e32 vcc_lo, 1, v1
	v_add_nc_u32_e32 v2, 0x280, v4
	s_cbranch_vccnz .LBB125_240
; %bb.235:
	s_cmp_lg_u32 s33, 0
	s_mov_b32 s8, 0
	s_cbranch_scc0 .LBB125_241
; %bb.236:
	s_min_u32 s1, s34, 15
	s_delay_alu instid0(SALU_CYCLE_1)
	s_add_co_i32 s1, s1, 1
	s_cmp_eq_u32 s34, 2
	s_cbranch_scc1 .LBB125_242
; %bb.237:
	v_dual_mov_b32 v16, 0 :: v_dual_mov_b32 v17, 0
	v_mov_b32_e32 v3, v2
	s_and_b32 s0, s1, 28
	s_add_nc_u64 s[4:5], s[2:3], 0xc4
	s_mov_b32 s9, 0
	s_mov_b64 s[6:7], s[2:3]
.LBB125_238:                            ; =>This Inner Loop Header: Depth=1
	s_clause 0x1
	s_load_b256 s[12:19], s[6:7], 0x4
	s_load_b128 s[28:31], s[6:7], 0x24
	s_load_b256 s[20:27], s[4:5], 0x0
	s_add_co_i32 s9, s9, 4
	s_wait_xcnt 0x0
	s_add_nc_u64 s[6:7], s[6:7], 48
	s_cmp_lg_u32 s0, s9
	s_add_nc_u64 s[4:5], s[4:5], 32
	s_wait_kmcnt 0x0
	v_mul_hi_u32 v5, s13, v3
	s_delay_alu instid0(VALU_DEP_1) | instskip(NEXT) | instid1(VALU_DEP_1)
	v_add_nc_u32_e32 v5, v3, v5
	v_lshrrev_b32_e32 v5, s14, v5
	s_delay_alu instid0(VALU_DEP_1) | instskip(NEXT) | instid1(VALU_DEP_1)
	v_mul_hi_u32 v18, s16, v5
	v_add_nc_u32_e32 v18, v5, v18
	s_delay_alu instid0(VALU_DEP_1) | instskip(NEXT) | instid1(VALU_DEP_1)
	v_lshrrev_b32_e32 v18, s17, v18
	v_mul_hi_u32 v19, s19, v18
	s_delay_alu instid0(VALU_DEP_1) | instskip(SKIP_1) | instid1(VALU_DEP_1)
	v_add_nc_u32_e32 v19, v18, v19
	v_mul_lo_u32 v20, v5, s12
	v_sub_nc_u32_e32 v3, v3, v20
	v_mul_lo_u32 v20, v18, s15
	s_delay_alu instid0(VALU_DEP_4) | instskip(NEXT) | instid1(VALU_DEP_3)
	v_lshrrev_b32_e32 v19, s28, v19
	v_mad_u32 v17, v3, s21, v17
	v_mad_u32 v3, v3, s20, v16
	s_delay_alu instid0(VALU_DEP_4) | instskip(NEXT) | instid1(VALU_DEP_4)
	v_sub_nc_u32_e32 v5, v5, v20
	v_mul_hi_u32 v21, s30, v19
	v_mul_lo_u32 v16, v19, s18
	s_delay_alu instid0(VALU_DEP_3) | instskip(SKIP_1) | instid1(VALU_DEP_3)
	v_mad_u32 v17, v5, s23, v17
	v_mad_u32 v5, v5, s22, v3
	v_dual_add_nc_u32 v20, v19, v21 :: v_dual_sub_nc_u32 v16, v18, v16
	s_delay_alu instid0(VALU_DEP_1) | instskip(NEXT) | instid1(VALU_DEP_2)
	v_lshrrev_b32_e32 v3, s31, v20
	v_mad_u32 v17, v16, s25, v17
	s_delay_alu instid0(VALU_DEP_4) | instskip(NEXT) | instid1(VALU_DEP_3)
	v_mad_u32 v5, v16, s24, v5
	v_mul_lo_u32 v18, v3, s29
	s_delay_alu instid0(VALU_DEP_1) | instskip(NEXT) | instid1(VALU_DEP_1)
	v_sub_nc_u32_e32 v16, v19, v18
	v_mad_u32 v17, v16, s27, v17
	s_delay_alu instid0(VALU_DEP_4)
	v_mad_u32 v16, v16, s26, v5
	s_cbranch_scc1 .LBB125_238
; %bb.239:
	s_and_b32 s6, s1, 3
	s_mov_b32 s1, 0
	s_cmp_eq_u32 s6, 0
	s_cbranch_scc0 .LBB125_243
	s_branch .LBB125_245
.LBB125_240:
	s_mov_b32 s8, -1
                                        ; implicit-def: $vgpr17
	s_branch .LBB125_245
.LBB125_241:
	v_dual_mov_b32 v17, 0 :: v_dual_mov_b32 v16, 0
	s_branch .LBB125_245
.LBB125_242:
	v_mov_b64_e32 v[16:17], 0
	v_mov_b32_e32 v3, v2
	s_mov_b32 s0, 0
	s_and_b32 s6, s1, 3
	s_mov_b32 s1, 0
	s_cmp_eq_u32 s6, 0
	s_cbranch_scc1 .LBB125_245
.LBB125_243:
	s_lshl_b32 s4, s0, 3
	s_mov_b32 s5, s1
	s_mul_u64 s[10:11], s[0:1], 12
	s_add_nc_u64 s[4:5], s[2:3], s[4:5]
	s_delay_alu instid0(SALU_CYCLE_1)
	s_add_nc_u64 s[0:1], s[4:5], 0xc4
	s_add_nc_u64 s[4:5], s[2:3], s[10:11]
.LBB125_244:                            ; =>This Inner Loop Header: Depth=1
	s_load_b96 s[12:14], s[4:5], 0x4
	s_load_b64 s[10:11], s[0:1], 0x0
	s_add_co_i32 s6, s6, -1
	s_wait_xcnt 0x0
	s_add_nc_u64 s[4:5], s[4:5], 12
	s_cmp_lg_u32 s6, 0
	s_add_nc_u64 s[0:1], s[0:1], 8
	s_wait_kmcnt 0x0
	v_mul_hi_u32 v5, s13, v3
	s_delay_alu instid0(VALU_DEP_1) | instskip(NEXT) | instid1(VALU_DEP_1)
	v_add_nc_u32_e32 v5, v3, v5
	v_lshrrev_b32_e32 v5, s14, v5
	s_delay_alu instid0(VALU_DEP_1) | instskip(NEXT) | instid1(VALU_DEP_1)
	v_mul_lo_u32 v18, v5, s12
	v_sub_nc_u32_e32 v3, v3, v18
	s_delay_alu instid0(VALU_DEP_1)
	v_mad_u32 v17, v3, s11, v17
	v_mad_u32 v16, v3, s10, v16
	v_mov_b32_e32 v3, v5
	s_cbranch_scc1 .LBB125_244
.LBB125_245:
	s_and_not1_b32 vcc_lo, exec_lo, s8
	s_cbranch_vccnz .LBB125_248
; %bb.246:
	s_clause 0x1
	s_load_b96 s[4:6], s[2:3], 0x4
	s_load_b64 s[0:1], s[2:3], 0xc4
	s_cmp_lt_u32 s33, 2
	s_wait_kmcnt 0x0
	v_mul_hi_u32 v3, s5, v2
	s_delay_alu instid0(VALU_DEP_1) | instskip(NEXT) | instid1(VALU_DEP_1)
	v_add_nc_u32_e32 v3, v2, v3
	v_lshrrev_b32_e32 v3, s6, v3
	s_delay_alu instid0(VALU_DEP_1) | instskip(NEXT) | instid1(VALU_DEP_1)
	v_mul_lo_u32 v5, v3, s4
	v_sub_nc_u32_e32 v2, v2, v5
	s_delay_alu instid0(VALU_DEP_1)
	v_mul_lo_u32 v17, v2, s1
	v_mul_lo_u32 v16, v2, s0
	s_cbranch_scc1 .LBB125_248
; %bb.247:
	s_clause 0x1
	s_load_b96 s[4:6], s[2:3], 0x10
	s_load_b64 s[0:1], s[2:3], 0xcc
	s_wait_kmcnt 0x0
	v_mul_hi_u32 v2, s5, v3
	s_delay_alu instid0(VALU_DEP_1) | instskip(NEXT) | instid1(VALU_DEP_1)
	v_add_nc_u32_e32 v2, v3, v2
	v_lshrrev_b32_e32 v2, s6, v2
	s_delay_alu instid0(VALU_DEP_1) | instskip(NEXT) | instid1(VALU_DEP_1)
	v_mul_lo_u32 v2, v2, s4
	v_sub_nc_u32_e32 v2, v3, v2
	s_delay_alu instid0(VALU_DEP_1)
	v_mad_u32 v16, v2, s0, v16
	v_mad_u32 v17, v2, s1, v17
.LBB125_248:
	v_cmp_ne_u32_e32 vcc_lo, 1, v1
	v_add_nc_u32_e32 v2, 0x300, v4
	s_cbranch_vccnz .LBB125_254
; %bb.249:
	s_cmp_lg_u32 s33, 0
	s_mov_b32 s8, 0
	s_cbranch_scc0 .LBB125_255
; %bb.250:
	s_min_u32 s1, s34, 15
	s_delay_alu instid0(SALU_CYCLE_1)
	s_add_co_i32 s1, s1, 1
	s_cmp_eq_u32 s34, 2
	s_cbranch_scc1 .LBB125_256
; %bb.251:
	v_dual_mov_b32 v4, 0 :: v_dual_mov_b32 v5, 0
	v_mov_b32_e32 v3, v2
	s_and_b32 s0, s1, 28
	s_add_nc_u64 s[4:5], s[2:3], 0xc4
	s_mov_b32 s9, 0
	s_mov_b64 s[6:7], s[2:3]
.LBB125_252:                            ; =>This Inner Loop Header: Depth=1
	s_clause 0x1
	s_load_b256 s[12:19], s[6:7], 0x4
	s_load_b128 s[28:31], s[6:7], 0x24
	s_load_b256 s[20:27], s[4:5], 0x0
	s_add_co_i32 s9, s9, 4
	s_wait_xcnt 0x0
	s_add_nc_u64 s[6:7], s[6:7], 48
	s_cmp_lg_u32 s0, s9
	s_add_nc_u64 s[4:5], s[4:5], 32
	s_wait_kmcnt 0x0
	v_mul_hi_u32 v18, s13, v3
	s_delay_alu instid0(VALU_DEP_1) | instskip(NEXT) | instid1(VALU_DEP_1)
	v_add_nc_u32_e32 v18, v3, v18
	v_lshrrev_b32_e32 v18, s14, v18
	s_delay_alu instid0(VALU_DEP_1) | instskip(NEXT) | instid1(VALU_DEP_1)
	v_mul_hi_u32 v19, s16, v18
	v_add_nc_u32_e32 v19, v18, v19
	s_delay_alu instid0(VALU_DEP_1) | instskip(NEXT) | instid1(VALU_DEP_1)
	v_lshrrev_b32_e32 v19, s17, v19
	v_mul_hi_u32 v20, s19, v19
	s_delay_alu instid0(VALU_DEP_1) | instskip(SKIP_1) | instid1(VALU_DEP_1)
	v_add_nc_u32_e32 v20, v19, v20
	v_mul_lo_u32 v21, v18, s12
	v_sub_nc_u32_e32 v3, v3, v21
	v_mul_lo_u32 v21, v19, s15
	s_delay_alu instid0(VALU_DEP_4) | instskip(NEXT) | instid1(VALU_DEP_3)
	v_lshrrev_b32_e32 v20, s28, v20
	v_mad_u32 v5, v3, s21, v5
	v_mad_u32 v3, v3, s20, v4
	s_delay_alu instid0(VALU_DEP_4) | instskip(NEXT) | instid1(VALU_DEP_4)
	v_sub_nc_u32_e32 v4, v18, v21
	v_mul_hi_u32 v22, s30, v20
	v_mul_lo_u32 v18, v20, s18
	s_delay_alu instid0(VALU_DEP_3) | instskip(SKIP_1) | instid1(VALU_DEP_4)
	v_mad_u32 v5, v4, s23, v5
	v_mad_u32 v4, v4, s22, v3
	v_add_nc_u32_e32 v21, v20, v22
	s_delay_alu instid0(VALU_DEP_1) | instskip(NEXT) | instid1(VALU_DEP_1)
	v_dual_sub_nc_u32 v18, v19, v18 :: v_dual_lshrrev_b32 v3, s31, v21
	v_mad_u32 v5, v18, s25, v5
	s_delay_alu instid0(VALU_DEP_4) | instskip(NEXT) | instid1(VALU_DEP_3)
	v_mad_u32 v4, v18, s24, v4
	v_mul_lo_u32 v19, v3, s29
	s_delay_alu instid0(VALU_DEP_1) | instskip(NEXT) | instid1(VALU_DEP_1)
	v_sub_nc_u32_e32 v18, v20, v19
	v_mad_u32 v5, v18, s27, v5
	s_delay_alu instid0(VALU_DEP_4)
	v_mad_u32 v4, v18, s26, v4
	s_cbranch_scc1 .LBB125_252
; %bb.253:
	s_and_b32 s6, s1, 3
	s_mov_b32 s1, 0
	s_cmp_eq_u32 s6, 0
	s_cbranch_scc0 .LBB125_257
	s_branch .LBB125_259
.LBB125_254:
	s_mov_b32 s8, -1
                                        ; implicit-def: $vgpr5
	s_branch .LBB125_259
.LBB125_255:
	v_dual_mov_b32 v5, 0 :: v_dual_mov_b32 v4, 0
	s_branch .LBB125_259
.LBB125_256:
	v_mov_b64_e32 v[4:5], 0
	v_mov_b32_e32 v3, v2
	s_mov_b32 s0, 0
	s_and_b32 s6, s1, 3
	s_mov_b32 s1, 0
	s_cmp_eq_u32 s6, 0
	s_cbranch_scc1 .LBB125_259
.LBB125_257:
	s_lshl_b32 s4, s0, 3
	s_mov_b32 s5, s1
	s_mul_u64 s[10:11], s[0:1], 12
	s_add_nc_u64 s[4:5], s[2:3], s[4:5]
	s_delay_alu instid0(SALU_CYCLE_1)
	s_add_nc_u64 s[0:1], s[4:5], 0xc4
	s_add_nc_u64 s[4:5], s[2:3], s[10:11]
.LBB125_258:                            ; =>This Inner Loop Header: Depth=1
	s_load_b96 s[12:14], s[4:5], 0x4
	s_load_b64 s[10:11], s[0:1], 0x0
	s_add_co_i32 s6, s6, -1
	s_wait_xcnt 0x0
	s_add_nc_u64 s[4:5], s[4:5], 12
	s_cmp_lg_u32 s6, 0
	s_add_nc_u64 s[0:1], s[0:1], 8
	s_wait_kmcnt 0x0
	v_mul_hi_u32 v18, s13, v3
	s_delay_alu instid0(VALU_DEP_1) | instskip(NEXT) | instid1(VALU_DEP_1)
	v_add_nc_u32_e32 v18, v3, v18
	v_lshrrev_b32_e32 v18, s14, v18
	s_delay_alu instid0(VALU_DEP_1) | instskip(NEXT) | instid1(VALU_DEP_1)
	v_mul_lo_u32 v19, v18, s12
	v_sub_nc_u32_e32 v3, v3, v19
	s_delay_alu instid0(VALU_DEP_1)
	v_mad_u32 v5, v3, s11, v5
	v_mad_u32 v4, v3, s10, v4
	v_mov_b32_e32 v3, v18
	s_cbranch_scc1 .LBB125_258
.LBB125_259:
	s_and_not1_b32 vcc_lo, exec_lo, s8
	s_cbranch_vccnz .LBB125_262
; %bb.260:
	s_clause 0x1
	s_load_b96 s[4:6], s[2:3], 0x4
	s_load_b64 s[0:1], s[2:3], 0xc4
	s_cmp_lt_u32 s33, 2
	s_wait_kmcnt 0x0
	v_mul_hi_u32 v3, s5, v2
	s_delay_alu instid0(VALU_DEP_1) | instskip(NEXT) | instid1(VALU_DEP_1)
	v_add_nc_u32_e32 v3, v2, v3
	v_lshrrev_b32_e32 v3, s6, v3
	s_delay_alu instid0(VALU_DEP_1) | instskip(NEXT) | instid1(VALU_DEP_1)
	v_mul_lo_u32 v4, v3, s4
	v_sub_nc_u32_e32 v2, v2, v4
	s_delay_alu instid0(VALU_DEP_1)
	v_mul_lo_u32 v5, v2, s1
	v_mul_lo_u32 v4, v2, s0
	s_cbranch_scc1 .LBB125_262
; %bb.261:
	s_clause 0x1
	s_load_b96 s[4:6], s[2:3], 0x10
	s_load_b64 s[0:1], s[2:3], 0xcc
	s_wait_kmcnt 0x0
	v_mul_hi_u32 v2, s5, v3
	s_delay_alu instid0(VALU_DEP_1) | instskip(NEXT) | instid1(VALU_DEP_1)
	v_add_nc_u32_e32 v2, v3, v2
	v_lshrrev_b32_e32 v2, s6, v2
	s_delay_alu instid0(VALU_DEP_1) | instskip(NEXT) | instid1(VALU_DEP_1)
	v_mul_lo_u32 v2, v2, s4
	v_sub_nc_u32_e32 v2, v3, v2
	s_delay_alu instid0(VALU_DEP_1)
	v_mad_u32 v4, v2, s0, v4
	v_mad_u32 v5, v2, s1, v5
.LBB125_262:
	v_cmp_ne_u32_e32 vcc_lo, 1, v1
	s_cbranch_vccnz .LBB125_268
; %bb.263:
	s_cmp_lg_u32 s33, 0
	s_mov_b32 s8, 0
	s_cbranch_scc0 .LBB125_269
; %bb.264:
	s_min_u32 s1, s34, 15
	s_delay_alu instid0(SALU_CYCLE_1)
	s_add_co_i32 s1, s1, 1
	s_cmp_eq_u32 s34, 2
	s_cbranch_scc1 .LBB125_270
; %bb.265:
	v_dual_mov_b32 v18, 0 :: v_dual_mov_b32 v19, 0
	v_mov_b32_e32 v1, v0
	s_and_b32 s0, s1, 28
	s_add_nc_u64 s[4:5], s[2:3], 0xc4
	s_mov_b32 s9, 0
	s_mov_b64 s[6:7], s[2:3]
.LBB125_266:                            ; =>This Inner Loop Header: Depth=1
	s_clause 0x1
	s_load_b256 s[12:19], s[6:7], 0x4
	s_load_b128 s[28:31], s[6:7], 0x24
	s_load_b256 s[20:27], s[4:5], 0x0
	s_add_co_i32 s9, s9, 4
	s_wait_xcnt 0x0
	s_add_nc_u64 s[6:7], s[6:7], 48
	s_cmp_lg_u32 s0, s9
	s_add_nc_u64 s[4:5], s[4:5], 32
	s_wait_kmcnt 0x0
	v_mul_hi_u32 v2, s13, v1
	s_delay_alu instid0(VALU_DEP_1) | instskip(NEXT) | instid1(VALU_DEP_1)
	v_add_nc_u32_e32 v2, v1, v2
	v_lshrrev_b32_e32 v2, s14, v2
	s_delay_alu instid0(VALU_DEP_1) | instskip(NEXT) | instid1(VALU_DEP_1)
	v_mul_hi_u32 v3, s16, v2
	v_add_nc_u32_e32 v3, v2, v3
	s_delay_alu instid0(VALU_DEP_1) | instskip(NEXT) | instid1(VALU_DEP_1)
	v_lshrrev_b32_e32 v3, s17, v3
	v_mul_hi_u32 v20, s19, v3
	s_delay_alu instid0(VALU_DEP_1) | instskip(SKIP_1) | instid1(VALU_DEP_1)
	v_add_nc_u32_e32 v20, v3, v20
	v_mul_lo_u32 v21, v2, s12
	v_sub_nc_u32_e32 v1, v1, v21
	v_mul_lo_u32 v21, v3, s15
	s_delay_alu instid0(VALU_DEP_4) | instskip(NEXT) | instid1(VALU_DEP_3)
	v_lshrrev_b32_e32 v20, s28, v20
	v_mad_u32 v19, v1, s21, v19
	v_mad_u32 v1, v1, s20, v18
	s_delay_alu instid0(VALU_DEP_4) | instskip(NEXT) | instid1(VALU_DEP_4)
	v_sub_nc_u32_e32 v2, v2, v21
	v_mul_hi_u32 v22, s30, v20
	v_mul_lo_u32 v18, v20, s18
	s_delay_alu instid0(VALU_DEP_3) | instskip(SKIP_1) | instid1(VALU_DEP_4)
	v_mad_u32 v19, v2, s23, v19
	v_mad_u32 v2, v2, s22, v1
	v_add_nc_u32_e32 v21, v20, v22
	s_delay_alu instid0(VALU_DEP_1) | instskip(NEXT) | instid1(VALU_DEP_1)
	v_dual_sub_nc_u32 v3, v3, v18 :: v_dual_lshrrev_b32 v1, s31, v21
	v_mad_u32 v19, v3, s25, v19
	s_delay_alu instid0(VALU_DEP_4) | instskip(NEXT) | instid1(VALU_DEP_3)
	v_mad_u32 v2, v3, s24, v2
	v_mul_lo_u32 v18, v1, s29
	s_delay_alu instid0(VALU_DEP_1) | instskip(NEXT) | instid1(VALU_DEP_1)
	v_sub_nc_u32_e32 v3, v20, v18
	v_mad_u32 v19, v3, s27, v19
	s_delay_alu instid0(VALU_DEP_4)
	v_mad_u32 v18, v3, s26, v2
	s_cbranch_scc1 .LBB125_266
; %bb.267:
	s_and_b32 s6, s1, 3
	s_mov_b32 s1, 0
	s_cmp_eq_u32 s6, 0
	s_cbranch_scc0 .LBB125_271
	s_branch .LBB125_273
.LBB125_268:
	s_mov_b32 s8, -1
                                        ; implicit-def: $vgpr19
	s_branch .LBB125_273
.LBB125_269:
	v_dual_mov_b32 v19, 0 :: v_dual_mov_b32 v18, 0
	s_branch .LBB125_273
.LBB125_270:
	v_mov_b64_e32 v[18:19], 0
	v_mov_b32_e32 v1, v0
	s_mov_b32 s0, 0
	s_and_b32 s6, s1, 3
	s_mov_b32 s1, 0
	s_cmp_eq_u32 s6, 0
	s_cbranch_scc1 .LBB125_273
.LBB125_271:
	s_lshl_b32 s4, s0, 3
	s_mov_b32 s5, s1
	s_mul_u64 s[10:11], s[0:1], 12
	s_add_nc_u64 s[4:5], s[2:3], s[4:5]
	s_delay_alu instid0(SALU_CYCLE_1)
	s_add_nc_u64 s[0:1], s[4:5], 0xc4
	s_add_nc_u64 s[4:5], s[2:3], s[10:11]
.LBB125_272:                            ; =>This Inner Loop Header: Depth=1
	s_load_b96 s[12:14], s[4:5], 0x4
	s_load_b64 s[10:11], s[0:1], 0x0
	s_add_co_i32 s6, s6, -1
	s_wait_xcnt 0x0
	s_add_nc_u64 s[4:5], s[4:5], 12
	s_cmp_lg_u32 s6, 0
	s_add_nc_u64 s[0:1], s[0:1], 8
	s_wait_kmcnt 0x0
	v_mul_hi_u32 v2, s13, v1
	s_delay_alu instid0(VALU_DEP_1) | instskip(NEXT) | instid1(VALU_DEP_1)
	v_add_nc_u32_e32 v2, v1, v2
	v_lshrrev_b32_e32 v2, s14, v2
	s_delay_alu instid0(VALU_DEP_1) | instskip(NEXT) | instid1(VALU_DEP_1)
	v_mul_lo_u32 v3, v2, s12
	v_sub_nc_u32_e32 v1, v1, v3
	s_delay_alu instid0(VALU_DEP_1)
	v_mad_u32 v19, v1, s11, v19
	v_mad_u32 v18, v1, s10, v18
	v_mov_b32_e32 v1, v2
	s_cbranch_scc1 .LBB125_272
.LBB125_273:
	s_and_not1_b32 vcc_lo, exec_lo, s8
	s_cbranch_vccnz .LBB125_276
; %bb.274:
	s_clause 0x1
	s_load_b96 s[4:6], s[2:3], 0x4
	s_load_b64 s[0:1], s[2:3], 0xc4
	s_cmp_lt_u32 s33, 2
	s_wait_kmcnt 0x0
	v_mul_hi_u32 v1, s5, v0
	s_delay_alu instid0(VALU_DEP_1) | instskip(NEXT) | instid1(VALU_DEP_1)
	v_add_nc_u32_e32 v1, v0, v1
	v_lshrrev_b32_e32 v1, s6, v1
	s_delay_alu instid0(VALU_DEP_1) | instskip(NEXT) | instid1(VALU_DEP_1)
	v_mul_lo_u32 v2, v1, s4
	v_sub_nc_u32_e32 v0, v0, v2
	s_delay_alu instid0(VALU_DEP_1)
	v_mul_lo_u32 v19, v0, s1
	v_mul_lo_u32 v18, v0, s0
	s_cbranch_scc1 .LBB125_276
; %bb.275:
	s_clause 0x1
	s_load_b96 s[4:6], s[2:3], 0x10
	s_load_b64 s[0:1], s[2:3], 0xcc
	s_wait_kmcnt 0x0
	v_mul_hi_u32 v0, s5, v1
	s_delay_alu instid0(VALU_DEP_1) | instskip(NEXT) | instid1(VALU_DEP_1)
	v_add_nc_u32_e32 v0, v1, v0
	v_lshrrev_b32_e32 v0, s6, v0
	s_delay_alu instid0(VALU_DEP_1) | instskip(NEXT) | instid1(VALU_DEP_1)
	v_mul_lo_u32 v0, v0, s4
	v_sub_nc_u32_e32 v0, v1, v0
	s_delay_alu instid0(VALU_DEP_1)
	v_mad_u32 v18, v0, s0, v18
	v_mad_u32 v19, v0, s1, v19
.LBB125_276:
	s_clause 0x2
	s_load_b128 s[4:7], s[2:3], 0x148
	s_load_b32 s0, s[2:3], 0x160
	s_load_b128 s[8:11], s[2:3], 0x170
	s_wait_xcnt 0x0
	s_mov_b32 s3, 0
	s_wait_kmcnt 0x0
	global_load_b128 v[0:3], v7, s[6:7]
	s_cmp_lg_u32 s0, 0
	s_cselect_b32 s2, -1, 0
	s_delay_alu instid0(SALU_CYCLE_1)
	s_and_b32 vcc_lo, exec_lo, s2
	s_cbranch_vccz .LBB125_301
; %bb.277:
	s_wait_loadcnt 0x0
	v_cmp_neq_f64_e32 vcc_lo, s[8:9], v[0:1]
	v_cmp_neq_f64_e64 s0, s[10:11], v[2:3]
	s_or_b32 s1, vcc_lo, s0
	s_and_not1_b32 vcc_lo, exec_lo, s3
	s_cbranch_vccnz .LBB125_279
.LBB125_278:
	s_wait_loadcnt 0x0
	v_cmp_eq_f64_e32 vcc_lo, s[8:9], v[0:1]
	v_cmp_eq_f64_e64 s0, s[10:11], v[2:3]
	s_and_not1_b32 s1, s1, exec_lo
	s_and_b32 s0, vcc_lo, s0
	s_delay_alu instid0(SALU_CYCLE_1) | instskip(NEXT) | instid1(SALU_CYCLE_1)
	s_and_b32 s0, s0, exec_lo
	s_or_b32 s1, s1, s0
.LBB125_279:
	s_wait_loadcnt 0x0
	global_load_b128 v[0:3], v9, s[6:7]
	s_and_b32 vcc_lo, exec_lo, s2
	s_cbranch_vccz .LBB125_302
; %bb.280:
	s_wait_loadcnt 0x0
	v_cmp_neq_f64_e32 vcc_lo, s[8:9], v[0:1]
	v_cmp_neq_f64_e64 s0, s[10:11], v[2:3]
	s_or_b32 s3, vcc_lo, s0
	s_cbranch_execnz .LBB125_282
.LBB125_281:
	s_wait_loadcnt 0x0
	v_cmp_eq_f64_e32 vcc_lo, s[8:9], v[0:1]
	v_cmp_eq_f64_e64 s0, s[10:11], v[2:3]
	s_and_not1_b32 s3, s3, exec_lo
	s_and_b32 s0, vcc_lo, s0
	s_delay_alu instid0(SALU_CYCLE_1) | instskip(NEXT) | instid1(SALU_CYCLE_1)
	s_and_b32 s0, s0, exec_lo
	s_or_b32 s3, s3, s0
.LBB125_282:
	s_wait_loadcnt 0x0
	global_load_b128 v[0:3], v11, s[6:7]
	s_and_b32 vcc_lo, exec_lo, s2
	s_cbranch_vccz .LBB125_303
; %bb.283:
	s_wait_loadcnt 0x0
	v_cmp_neq_f64_e32 vcc_lo, s[8:9], v[0:1]
	v_cmp_neq_f64_e64 s0, s[10:11], v[2:3]
	s_or_b32 s12, vcc_lo, s0
	s_cbranch_execnz .LBB125_285
.LBB125_284:
	s_wait_loadcnt 0x0
	v_cmp_eq_f64_e32 vcc_lo, s[8:9], v[0:1]
	v_cmp_eq_f64_e64 s0, s[10:11], v[2:3]
	s_and_not1_b32 s12, s12, exec_lo
	s_and_b32 s0, vcc_lo, s0
	s_delay_alu instid0(SALU_CYCLE_1) | instskip(NEXT) | instid1(SALU_CYCLE_1)
	s_and_b32 s0, s0, exec_lo
	s_or_b32 s12, s12, s0
.LBB125_285:
	s_wait_loadcnt 0x0
	global_load_b128 v[0:3], v13, s[6:7]
	s_and_b32 vcc_lo, exec_lo, s2
	s_cbranch_vccz .LBB125_304
; %bb.286:
	s_wait_loadcnt 0x0
	v_cmp_neq_f64_e32 vcc_lo, s[8:9], v[0:1]
	v_cmp_neq_f64_e64 s0, s[10:11], v[2:3]
	s_or_b32 s13, vcc_lo, s0
	s_cbranch_execnz .LBB125_288
.LBB125_287:
	s_wait_loadcnt 0x0
	v_cmp_eq_f64_e32 vcc_lo, s[8:9], v[0:1]
	v_cmp_eq_f64_e64 s0, s[10:11], v[2:3]
	s_and_not1_b32 s13, s13, exec_lo
	s_and_b32 s0, vcc_lo, s0
	s_delay_alu instid0(SALU_CYCLE_1) | instskip(NEXT) | instid1(SALU_CYCLE_1)
	s_and_b32 s0, s0, exec_lo
	s_or_b32 s13, s13, s0
.LBB125_288:
	s_wait_loadcnt 0x0
	global_load_b128 v[0:3], v15, s[6:7]
	s_and_b32 vcc_lo, exec_lo, s2
	s_cbranch_vccz .LBB125_305
; %bb.289:
	s_wait_loadcnt 0x0
	v_cmp_neq_f64_e32 vcc_lo, s[8:9], v[0:1]
	v_cmp_neq_f64_e64 s0, s[10:11], v[2:3]
	s_or_b32 s14, vcc_lo, s0
	s_cbranch_execnz .LBB125_291
.LBB125_290:
	s_wait_loadcnt 0x0
	v_cmp_eq_f64_e32 vcc_lo, s[8:9], v[0:1]
	v_cmp_eq_f64_e64 s0, s[10:11], v[2:3]
	s_and_not1_b32 s14, s14, exec_lo
	s_and_b32 s0, vcc_lo, s0
	s_delay_alu instid0(SALU_CYCLE_1) | instskip(NEXT) | instid1(SALU_CYCLE_1)
	s_and_b32 s0, s0, exec_lo
	s_or_b32 s14, s14, s0
.LBB125_291:
	s_wait_loadcnt 0x0
	global_load_b128 v[0:3], v17, s[6:7]
	s_and_b32 vcc_lo, exec_lo, s2
	s_cbranch_vccz .LBB125_306
; %bb.292:
	s_wait_loadcnt 0x0
	v_cmp_neq_f64_e32 vcc_lo, s[8:9], v[0:1]
	v_cmp_neq_f64_e64 s0, s[10:11], v[2:3]
	s_or_b32 s15, vcc_lo, s0
	s_cbranch_execnz .LBB125_294
.LBB125_293:
	s_wait_loadcnt 0x0
	v_cmp_eq_f64_e32 vcc_lo, s[8:9], v[0:1]
	v_cmp_eq_f64_e64 s0, s[10:11], v[2:3]
	s_and_not1_b32 s15, s15, exec_lo
	s_and_b32 s0, vcc_lo, s0
	s_delay_alu instid0(SALU_CYCLE_1) | instskip(NEXT) | instid1(SALU_CYCLE_1)
	s_and_b32 s0, s0, exec_lo
	s_or_b32 s15, s15, s0
.LBB125_294:
	s_wait_loadcnt 0x0
	global_load_b128 v[0:3], v5, s[6:7]
	s_and_b32 vcc_lo, exec_lo, s2
	s_cbranch_vccz .LBB125_307
; %bb.295:
	s_wait_loadcnt 0x0
	v_cmp_neq_f64_e32 vcc_lo, s[8:9], v[0:1]
	v_cmp_neq_f64_e64 s0, s[10:11], v[2:3]
	s_or_b32 s16, vcc_lo, s0
	s_cbranch_execnz .LBB125_297
.LBB125_296:
	s_wait_loadcnt 0x0
	v_cmp_eq_f64_e32 vcc_lo, s[8:9], v[0:1]
	v_cmp_eq_f64_e64 s0, s[10:11], v[2:3]
	s_and_not1_b32 s16, s16, exec_lo
	s_and_b32 s0, vcc_lo, s0
	s_delay_alu instid0(SALU_CYCLE_1) | instskip(NEXT) | instid1(SALU_CYCLE_1)
	s_and_b32 s0, s0, exec_lo
	s_or_b32 s16, s16, s0
.LBB125_297:
	s_wait_loadcnt 0x0
	global_load_b128 v[0:3], v19, s[6:7]
	s_and_b32 vcc_lo, exec_lo, s2
	s_cbranch_vccz .LBB125_308
; %bb.298:
	s_wait_loadcnt 0x0
	v_cmp_neq_f64_e32 vcc_lo, s[8:9], v[0:1]
	v_cmp_neq_f64_e64 s0, s[10:11], v[2:3]
	s_or_b32 s2, vcc_lo, s0
	s_cbranch_execnz .LBB125_300
.LBB125_299:
	s_wait_loadcnt 0x0
	v_cmp_eq_f64_e32 vcc_lo, s[8:9], v[0:1]
	v_cmp_eq_f64_e64 s0, s[10:11], v[2:3]
	s_and_not1_b32 s2, s2, exec_lo
	s_and_b32 s0, vcc_lo, s0
	s_delay_alu instid0(SALU_CYCLE_1) | instskip(NEXT) | instid1(SALU_CYCLE_1)
	s_and_b32 s0, s0, exec_lo
	s_or_b32 s2, s2, s0
.LBB125_300:
	s_wait_loadcnt 0x0
	v_cndmask_b32_e64 v3, 0, 1, s1
	s_wait_xcnt 0x1
	v_cndmask_b32_e64 v5, 0, 1, s3
	v_cndmask_b32_e64 v7, 0, 1, s12
	;; [unrolled: 1-line block ×7, first 2 shown]
	s_clause 0x7
	global_store_b8 v6, v3, s[4:5]
	global_store_b8 v8, v5, s[4:5]
	global_store_b8 v10, v7, s[4:5]
	global_store_b8 v12, v9, s[4:5]
	global_store_b8 v14, v2, s[4:5]
	global_store_b8 v16, v1, s[4:5]
	global_store_b8 v4, v0, s[4:5]
	global_store_b8 v18, v11, s[4:5]
	s_endpgm
.LBB125_301:
                                        ; implicit-def: $sgpr1
	s_branch .LBB125_278
.LBB125_302:
                                        ; implicit-def: $sgpr3
	s_branch .LBB125_281
.LBB125_303:
                                        ; implicit-def: $sgpr12
	s_branch .LBB125_284
.LBB125_304:
                                        ; implicit-def: $sgpr13
	s_branch .LBB125_287
.LBB125_305:
                                        ; implicit-def: $sgpr14
	s_branch .LBB125_290
.LBB125_306:
                                        ; implicit-def: $sgpr15
	s_branch .LBB125_293
.LBB125_307:
                                        ; implicit-def: $sgpr16
	s_branch .LBB125_296
.LBB125_308:
                                        ; implicit-def: $sgpr2
	s_branch .LBB125_299
	.section	.rodata,"a",@progbits
	.p2align	6, 0x0
	.amdhsa_kernel _ZN2at6native32elementwise_kernel_manual_unrollILi128ELi8EZNS0_22gpu_kernel_impl_nocastINS0_13AUnaryFunctorIN3c107complexIdEES6_bNS0_12_GLOBAL__N_116CompareEqFunctorIS6_EEEEEEvRNS_18TensorIteratorBaseERKT_EUlibE_EEviT1_
		.amdhsa_group_segment_fixed_size 0
		.amdhsa_private_segment_fixed_size 0
		.amdhsa_kernarg_size 400
		.amdhsa_user_sgpr_count 2
		.amdhsa_user_sgpr_dispatch_ptr 0
		.amdhsa_user_sgpr_queue_ptr 0
		.amdhsa_user_sgpr_kernarg_segment_ptr 1
		.amdhsa_user_sgpr_dispatch_id 0
		.amdhsa_user_sgpr_kernarg_preload_length 0
		.amdhsa_user_sgpr_kernarg_preload_offset 0
		.amdhsa_user_sgpr_private_segment_size 0
		.amdhsa_wavefront_size32 1
		.amdhsa_uses_dynamic_stack 0
		.amdhsa_enable_private_segment 0
		.amdhsa_system_sgpr_workgroup_id_x 1
		.amdhsa_system_sgpr_workgroup_id_y 0
		.amdhsa_system_sgpr_workgroup_id_z 0
		.amdhsa_system_sgpr_workgroup_info 0
		.amdhsa_system_vgpr_workitem_id 0
		.amdhsa_next_free_vgpr 23
		.amdhsa_next_free_sgpr 64
		.amdhsa_named_barrier_count 0
		.amdhsa_reserve_vcc 1
		.amdhsa_float_round_mode_32 0
		.amdhsa_float_round_mode_16_64 0
		.amdhsa_float_denorm_mode_32 3
		.amdhsa_float_denorm_mode_16_64 3
		.amdhsa_fp16_overflow 0
		.amdhsa_memory_ordered 1
		.amdhsa_forward_progress 1
		.amdhsa_inst_pref_size 106
		.amdhsa_round_robin_scheduling 0
		.amdhsa_exception_fp_ieee_invalid_op 0
		.amdhsa_exception_fp_denorm_src 0
		.amdhsa_exception_fp_ieee_div_zero 0
		.amdhsa_exception_fp_ieee_overflow 0
		.amdhsa_exception_fp_ieee_underflow 0
		.amdhsa_exception_fp_ieee_inexact 0
		.amdhsa_exception_int_div_zero 0
	.end_amdhsa_kernel
	.section	.text._ZN2at6native32elementwise_kernel_manual_unrollILi128ELi8EZNS0_22gpu_kernel_impl_nocastINS0_13AUnaryFunctorIN3c107complexIdEES6_bNS0_12_GLOBAL__N_116CompareEqFunctorIS6_EEEEEEvRNS_18TensorIteratorBaseERKT_EUlibE_EEviT1_,"axG",@progbits,_ZN2at6native32elementwise_kernel_manual_unrollILi128ELi8EZNS0_22gpu_kernel_impl_nocastINS0_13AUnaryFunctorIN3c107complexIdEES6_bNS0_12_GLOBAL__N_116CompareEqFunctorIS6_EEEEEEvRNS_18TensorIteratorBaseERKT_EUlibE_EEviT1_,comdat
.Lfunc_end125:
	.size	_ZN2at6native32elementwise_kernel_manual_unrollILi128ELi8EZNS0_22gpu_kernel_impl_nocastINS0_13AUnaryFunctorIN3c107complexIdEES6_bNS0_12_GLOBAL__N_116CompareEqFunctorIS6_EEEEEEvRNS_18TensorIteratorBaseERKT_EUlibE_EEviT1_, .Lfunc_end125-_ZN2at6native32elementwise_kernel_manual_unrollILi128ELi8EZNS0_22gpu_kernel_impl_nocastINS0_13AUnaryFunctorIN3c107complexIdEES6_bNS0_12_GLOBAL__N_116CompareEqFunctorIS6_EEEEEEvRNS_18TensorIteratorBaseERKT_EUlibE_EEviT1_
                                        ; -- End function
	.set _ZN2at6native32elementwise_kernel_manual_unrollILi128ELi8EZNS0_22gpu_kernel_impl_nocastINS0_13AUnaryFunctorIN3c107complexIdEES6_bNS0_12_GLOBAL__N_116CompareEqFunctorIS6_EEEEEEvRNS_18TensorIteratorBaseERKT_EUlibE_EEviT1_.num_vgpr, 23
	.set _ZN2at6native32elementwise_kernel_manual_unrollILi128ELi8EZNS0_22gpu_kernel_impl_nocastINS0_13AUnaryFunctorIN3c107complexIdEES6_bNS0_12_GLOBAL__N_116CompareEqFunctorIS6_EEEEEEvRNS_18TensorIteratorBaseERKT_EUlibE_EEviT1_.num_agpr, 0
	.set _ZN2at6native32elementwise_kernel_manual_unrollILi128ELi8EZNS0_22gpu_kernel_impl_nocastINS0_13AUnaryFunctorIN3c107complexIdEES6_bNS0_12_GLOBAL__N_116CompareEqFunctorIS6_EEEEEEvRNS_18TensorIteratorBaseERKT_EUlibE_EEviT1_.numbered_sgpr, 64
	.set _ZN2at6native32elementwise_kernel_manual_unrollILi128ELi8EZNS0_22gpu_kernel_impl_nocastINS0_13AUnaryFunctorIN3c107complexIdEES6_bNS0_12_GLOBAL__N_116CompareEqFunctorIS6_EEEEEEvRNS_18TensorIteratorBaseERKT_EUlibE_EEviT1_.num_named_barrier, 0
	.set _ZN2at6native32elementwise_kernel_manual_unrollILi128ELi8EZNS0_22gpu_kernel_impl_nocastINS0_13AUnaryFunctorIN3c107complexIdEES6_bNS0_12_GLOBAL__N_116CompareEqFunctorIS6_EEEEEEvRNS_18TensorIteratorBaseERKT_EUlibE_EEviT1_.private_seg_size, 0
	.set _ZN2at6native32elementwise_kernel_manual_unrollILi128ELi8EZNS0_22gpu_kernel_impl_nocastINS0_13AUnaryFunctorIN3c107complexIdEES6_bNS0_12_GLOBAL__N_116CompareEqFunctorIS6_EEEEEEvRNS_18TensorIteratorBaseERKT_EUlibE_EEviT1_.uses_vcc, 1
	.set _ZN2at6native32elementwise_kernel_manual_unrollILi128ELi8EZNS0_22gpu_kernel_impl_nocastINS0_13AUnaryFunctorIN3c107complexIdEES6_bNS0_12_GLOBAL__N_116CompareEqFunctorIS6_EEEEEEvRNS_18TensorIteratorBaseERKT_EUlibE_EEviT1_.uses_flat_scratch, 0
	.set _ZN2at6native32elementwise_kernel_manual_unrollILi128ELi8EZNS0_22gpu_kernel_impl_nocastINS0_13AUnaryFunctorIN3c107complexIdEES6_bNS0_12_GLOBAL__N_116CompareEqFunctorIS6_EEEEEEvRNS_18TensorIteratorBaseERKT_EUlibE_EEviT1_.has_dyn_sized_stack, 0
	.set _ZN2at6native32elementwise_kernel_manual_unrollILi128ELi8EZNS0_22gpu_kernel_impl_nocastINS0_13AUnaryFunctorIN3c107complexIdEES6_bNS0_12_GLOBAL__N_116CompareEqFunctorIS6_EEEEEEvRNS_18TensorIteratorBaseERKT_EUlibE_EEviT1_.has_recursion, 0
	.set _ZN2at6native32elementwise_kernel_manual_unrollILi128ELi8EZNS0_22gpu_kernel_impl_nocastINS0_13AUnaryFunctorIN3c107complexIdEES6_bNS0_12_GLOBAL__N_116CompareEqFunctorIS6_EEEEEEvRNS_18TensorIteratorBaseERKT_EUlibE_EEviT1_.has_indirect_call, 0
	.section	.AMDGPU.csdata,"",@progbits
; Kernel info:
; codeLenInByte = 13544
; TotalNumSgprs: 66
; NumVgprs: 23
; ScratchSize: 0
; MemoryBound: 0
; FloatMode: 240
; IeeeMode: 1
; LDSByteSize: 0 bytes/workgroup (compile time only)
; SGPRBlocks: 0
; VGPRBlocks: 1
; NumSGPRsForWavesPerEU: 66
; NumVGPRsForWavesPerEU: 23
; NamedBarCnt: 0
; Occupancy: 16
; WaveLimiterHint : 1
; COMPUTE_PGM_RSRC2:SCRATCH_EN: 0
; COMPUTE_PGM_RSRC2:USER_SGPR: 2
; COMPUTE_PGM_RSRC2:TRAP_HANDLER: 0
; COMPUTE_PGM_RSRC2:TGID_X_EN: 1
; COMPUTE_PGM_RSRC2:TGID_Y_EN: 0
; COMPUTE_PGM_RSRC2:TGID_Z_EN: 0
; COMPUTE_PGM_RSRC2:TIDIG_COMP_CNT: 0
	.section	.text._ZN2at6native32elementwise_kernel_manual_unrollILi128ELi4EZNS0_15gpu_kernel_implINS0_13AUnaryFunctorIN3c107complexIdEES6_bNS0_12_GLOBAL__N_116CompareEqFunctorIS6_EEEEEEvRNS_18TensorIteratorBaseERKT_EUlibE_EEviT1_,"axG",@progbits,_ZN2at6native32elementwise_kernel_manual_unrollILi128ELi4EZNS0_15gpu_kernel_implINS0_13AUnaryFunctorIN3c107complexIdEES6_bNS0_12_GLOBAL__N_116CompareEqFunctorIS6_EEEEEEvRNS_18TensorIteratorBaseERKT_EUlibE_EEviT1_,comdat
	.globl	_ZN2at6native32elementwise_kernel_manual_unrollILi128ELi4EZNS0_15gpu_kernel_implINS0_13AUnaryFunctorIN3c107complexIdEES6_bNS0_12_GLOBAL__N_116CompareEqFunctorIS6_EEEEEEvRNS_18TensorIteratorBaseERKT_EUlibE_EEviT1_ ; -- Begin function _ZN2at6native32elementwise_kernel_manual_unrollILi128ELi4EZNS0_15gpu_kernel_implINS0_13AUnaryFunctorIN3c107complexIdEES6_bNS0_12_GLOBAL__N_116CompareEqFunctorIS6_EEEEEEvRNS_18TensorIteratorBaseERKT_EUlibE_EEviT1_
	.p2align	8
	.type	_ZN2at6native32elementwise_kernel_manual_unrollILi128ELi4EZNS0_15gpu_kernel_implINS0_13AUnaryFunctorIN3c107complexIdEES6_bNS0_12_GLOBAL__N_116CompareEqFunctorIS6_EEEEEEvRNS_18TensorIteratorBaseERKT_EUlibE_EEviT1_,@function
_ZN2at6native32elementwise_kernel_manual_unrollILi128ELi4EZNS0_15gpu_kernel_implINS0_13AUnaryFunctorIN3c107complexIdEES6_bNS0_12_GLOBAL__N_116CompareEqFunctorIS6_EEEEEEvRNS_18TensorIteratorBaseERKT_EUlibE_EEviT1_: ; @_ZN2at6native32elementwise_kernel_manual_unrollILi128ELi4EZNS0_15gpu_kernel_implINS0_13AUnaryFunctorIN3c107complexIdEES6_bNS0_12_GLOBAL__N_116CompareEqFunctorIS6_EEEEEEvRNS_18TensorIteratorBaseERKT_EUlibE_EEviT1_
; %bb.0:
	s_clause 0x1
	s_load_b32 s12, s[0:1], 0x50
	s_load_b128 s[8:11], s[0:1], 0x40
	s_bfe_u32 s2, ttmp6, 0x4000c
	s_clause 0x1
	s_load_b32 s17, s[0:1], 0x0
	s_load_b128 s[4:7], s[0:1], 0x10
	s_add_co_i32 s14, s2, 1
	s_clause 0x1
	s_load_b64 s[2:3], s[0:1], 0x20
	s_load_b32 s13, s[0:1], 0x30
	s_and_b32 s15, ttmp6, 15
	s_wait_xcnt 0x0
	s_mul_i32 s0, ttmp9, s14
	s_getreg_b32 s16, hwreg(HW_REG_IB_STS2, 6, 4)
	s_add_co_i32 s15, s15, s0
	s_mov_b32 s1, 0
	s_wait_kmcnt 0x0
	s_bfe_u32 s14, s12, 0x80008
	s_cmp_eq_u32 s16, 0
	s_mov_b32 s16, 0
	s_cselect_b32 s0, ttmp9, s15
	s_delay_alu instid0(SALU_CYCLE_1) | instskip(SKIP_1) | instid1(VALU_DEP_1)
	v_lshl_or_b32 v8, s0, 9, v0
	s_mov_b32 s0, exec_lo
	v_or_b32_e32 v0, 0x180, v8
	s_delay_alu instid0(VALU_DEP_1)
	v_cmpx_le_i32_e64 s17, v0
	s_xor_b32 s15, exec_lo, s0
	s_cbranch_execz .LBB126_1067
; %bb.1:
	s_cmp_lg_u32 s13, 0
	s_mov_b32 s21, 0
	s_cselect_b32 s16, -1, 0
	s_mov_b32 s23, -1
	s_mov_b32 s19, 0
	s_mov_b32 s18, 0
	s_mov_b32 s20, exec_lo
	v_cmpx_gt_i32_e64 s17, v8
	s_cbranch_execz .LBB126_260
; %bb.2:
	v_mul_lo_u32 v0, v8, s3
	s_and_b32 s0, 0xffff, s14
	s_delay_alu instid0(SALU_CYCLE_1) | instskip(NEXT) | instid1(VALU_DEP_1)
	s_cmp_lt_i32 s0, 11
	v_ashrrev_i32_e32 v1, 31, v0
	s_delay_alu instid0(VALU_DEP_1)
	v_add_nc_u64_e32 v[4:5], s[6:7], v[0:1]
	s_cbranch_scc1 .LBB126_9
; %bb.3:
	s_cmp_gt_i32 s0, 25
	s_cbranch_scc0 .LBB126_21
; %bb.4:
	s_cmp_gt_i32 s0, 28
	s_cbranch_scc0 .LBB126_25
	;; [unrolled: 3-line block ×4, first 2 shown]
; %bb.7:
	s_cmp_eq_u32 s0, 46
	s_mov_b32 s22, 0
	s_cbranch_scc0 .LBB126_31
; %bb.8:
	global_load_b32 v0, v[4:5], off
	s_mov_b32 s18, -1
	s_wait_loadcnt 0x0
	v_lshlrev_b32_e32 v1, 16, v0
	v_and_b32_e32 v2, 0xffff0000, v0
	s_delay_alu instid0(VALU_DEP_2) | instskip(NEXT) | instid1(VALU_DEP_2)
	v_cvt_f64_f32_e32 v[0:1], v1
	v_cvt_f64_f32_e32 v[2:3], v2
	s_branch .LBB126_33
.LBB126_9:
                                        ; implicit-def: $vgpr2_vgpr3
	s_cbranch_execnz .LBB126_208
.LBB126_10:
	s_and_not1_b32 vcc_lo, exec_lo, s18
	s_cbranch_vccnz .LBB126_257
.LBB126_11:
	s_and_b32 vcc_lo, exec_lo, s16
	s_cbranch_vccz .LBB126_24
; %bb.12:
	s_wait_loadcnt 0x0
	s_delay_alu instid0(VALU_DEP_1) | instskip(NEXT) | instid1(VALU_DEP_2)
	v_cmp_neq_f64_e32 vcc_lo, s[8:9], v[0:1]
	v_cmp_neq_f64_e64 s0, s[10:11], v[2:3]
	s_or_b32 s18, vcc_lo, s0
	s_cbranch_execnz .LBB126_14
.LBB126_13:
	s_wait_loadcnt 0x0
	s_delay_alu instid0(VALU_DEP_1) | instskip(NEXT) | instid1(VALU_DEP_2)
	v_cmp_eq_f64_e32 vcc_lo, s[8:9], v[0:1]
	v_cmp_eq_f64_e64 s0, s[10:11], v[2:3]
	s_and_not1_b32 s18, s18, exec_lo
	s_and_b32 s0, vcc_lo, s0
	s_delay_alu instid0(SALU_CYCLE_1) | instskip(NEXT) | instid1(SALU_CYCLE_1)
	s_and_b32 s0, s0, exec_lo
	s_or_b32 s18, s18, s0
.LBB126_14:
	s_wait_loadcnt 0x0
	v_mul_lo_u32 v0, v8, s2
	s_and_b32 s22, s12, 0xff
	s_delay_alu instid0(SALU_CYCLE_1) | instskip(NEXT) | instid1(VALU_DEP_1)
	s_cmp_lt_i32 s22, 11
	v_ashrrev_i32_e32 v1, 31, v0
	s_delay_alu instid0(VALU_DEP_1)
	v_add_nc_u64_e32 v[0:1], s[4:5], v[0:1]
	s_cbranch_scc1 .LBB126_22
; %bb.15:
	s_and_b32 s23, 0xffff, s22
	s_delay_alu instid0(SALU_CYCLE_1)
	s_cmp_gt_i32 s23, 25
	s_cbranch_scc0 .LBB126_26
; %bb.16:
	s_cmp_gt_i32 s23, 28
	s_cbranch_scc0 .LBB126_28
; %bb.17:
	;; [unrolled: 3-line block ×4, first 2 shown]
	s_mov_b32 s25, 0
	s_mov_b32 s0, -1
	s_cmp_eq_u32 s23, 46
	s_mov_b32 s24, 0
	s_cbranch_scc0 .LBB126_37
; %bb.20:
	v_cndmask_b32_e64 v2, 0, 1.0, s18
	s_mov_b32 s24, -1
	s_mov_b32 s0, 0
	s_delay_alu instid0(VALU_DEP_1) | instskip(NEXT) | instid1(VALU_DEP_1)
	v_bfe_u32 v3, v2, 16, 1
	v_add3_u32 v2, v2, v3, 0x7fff
	s_delay_alu instid0(VALU_DEP_1)
	v_lshrrev_b32_e32 v2, 16, v2
	global_store_b32 v[0:1], v2, off
	s_branch .LBB126_37
.LBB126_21:
                                        ; implicit-def: $vgpr2_vgpr3
	s_cbranch_execnz .LBB126_173
	s_branch .LBB126_207
.LBB126_22:
	s_mov_b32 s0, 0
	s_mov_b32 s24, 0
	s_cbranch_execnz .LBB126_106
.LBB126_23:
	s_and_not1_b32 vcc_lo, exec_lo, s24
	s_cbranch_vccnz .LBB126_258
	s_branch .LBB126_144
.LBB126_24:
                                        ; implicit-def: $sgpr18
	s_branch .LBB126_13
.LBB126_25:
	s_mov_b32 s22, -1
                                        ; implicit-def: $vgpr2_vgpr3
	s_branch .LBB126_154
.LBB126_26:
	s_mov_b32 s25, -1
	s_mov_b32 s0, 0
	s_mov_b32 s24, 0
	s_branch .LBB126_64
.LBB126_27:
	s_mov_b32 s22, -1
                                        ; implicit-def: $vgpr2_vgpr3
	s_branch .LBB126_148
.LBB126_28:
	s_mov_b32 s25, -1
	s_mov_b32 s0, 0
	s_mov_b32 s24, 0
	s_branch .LBB126_47
.LBB126_29:
	s_mov_b32 s22, -1
	s_branch .LBB126_32
.LBB126_30:
	s_mov_b32 s25, -1
	s_mov_b32 s0, 0
	s_mov_b32 s24, 0
	s_branch .LBB126_43
.LBB126_31:
	s_mov_b32 s19, -1
.LBB126_32:
                                        ; implicit-def: $vgpr2_vgpr3
.LBB126_33:
	s_and_b32 vcc_lo, exec_lo, s22
	s_cbranch_vccz .LBB126_147
; %bb.34:
	s_cmp_eq_u32 s0, 44
	s_cbranch_scc0 .LBB126_145
; %bb.35:
	global_load_u8 v2, v[4:5], off
	s_mov_b32 s19, 0
	s_mov_b32 s18, -1
	s_wait_loadcnt 0x0
	v_cmp_ne_u32_e32 vcc_lo, 0xff, v2
	v_lshlrev_b32_e32 v0, 23, v2
	s_delay_alu instid0(VALU_DEP_1) | instskip(NEXT) | instid1(VALU_DEP_1)
	v_cvt_f64_f32_e32 v[0:1], v0
	v_cndmask_b32_e32 v0, 0x20000000, v0, vcc_lo
	s_delay_alu instid0(VALU_DEP_2) | instskip(SKIP_1) | instid1(VALU_DEP_2)
	v_cndmask_b32_e32 v1, 0x7ff80000, v1, vcc_lo
	v_cmp_ne_u32_e32 vcc_lo, 0, v2
	v_cndmask_b32_e32 v1, 0x38000000, v1, vcc_lo
	s_delay_alu instid0(VALU_DEP_4)
	v_cndmask_b32_e32 v0, 0, v0, vcc_lo
	s_branch .LBB126_146
.LBB126_36:
	s_mov_b32 s25, -1
	s_mov_b32 s0, 0
	s_mov_b32 s24, 0
.LBB126_37:
	s_and_b32 vcc_lo, exec_lo, s25
	s_cbranch_vccz .LBB126_42
; %bb.38:
	s_cmp_eq_u32 s23, 44
	s_mov_b32 s0, -1
	s_cbranch_scc0 .LBB126_42
; %bb.39:
	v_cndmask_b32_e64 v4, 0, 1.0, s18
	s_mov_b32 s24, exec_lo
	s_wait_xcnt 0x0
	s_delay_alu instid0(VALU_DEP_1) | instskip(NEXT) | instid1(VALU_DEP_1)
	v_dual_mov_b32 v3, 0xff :: v_dual_lshrrev_b32 v2, 23, v4
	v_cmpx_ne_u32_e32 0xff, v2
; %bb.40:
	v_and_b32_e32 v3, 0x400000, v4
	v_and_or_b32 v4, 0x3fffff, v4, v2
	s_delay_alu instid0(VALU_DEP_2) | instskip(NEXT) | instid1(VALU_DEP_2)
	v_cmp_ne_u32_e32 vcc_lo, 0, v3
	v_cmp_ne_u32_e64 s0, 0, v4
	s_and_b32 s0, vcc_lo, s0
	s_delay_alu instid0(SALU_CYCLE_1) | instskip(NEXT) | instid1(VALU_DEP_1)
	v_cndmask_b32_e64 v3, 0, 1, s0
	v_add_nc_u32_e32 v3, v2, v3
; %bb.41:
	s_or_b32 exec_lo, exec_lo, s24
	s_mov_b32 s24, -1
	s_mov_b32 s0, 0
	global_store_b8 v[0:1], v3, off
.LBB126_42:
	s_mov_b32 s25, 0
.LBB126_43:
	s_delay_alu instid0(SALU_CYCLE_1)
	s_and_b32 vcc_lo, exec_lo, s25
	s_cbranch_vccz .LBB126_46
; %bb.44:
	s_cmp_eq_u32 s23, 29
	s_mov_b32 s0, -1
	s_cbranch_scc0 .LBB126_46
; %bb.45:
	s_mov_b32 s0, 0
	s_wait_xcnt 0x0
	v_cndmask_b32_e64 v2, 0, 1, s18
	v_mov_b32_e32 v3, s0
	s_mov_b32 s24, -1
	s_mov_b32 s25, 0
	global_store_b64 v[0:1], v[2:3], off
	s_branch .LBB126_47
.LBB126_46:
	s_mov_b32 s25, 0
.LBB126_47:
	s_delay_alu instid0(SALU_CYCLE_1)
	s_and_b32 vcc_lo, exec_lo, s25
	s_cbranch_vccz .LBB126_63
; %bb.48:
	s_cmp_lt_i32 s23, 27
	s_mov_b32 s24, -1
	s_cbranch_scc1 .LBB126_54
; %bb.49:
	s_cmp_gt_i32 s23, 27
	s_cbranch_scc0 .LBB126_51
; %bb.50:
	s_wait_xcnt 0x0
	v_cndmask_b32_e64 v2, 0, 1, s18
	s_mov_b32 s24, 0
	global_store_b32 v[0:1], v2, off
.LBB126_51:
	s_and_not1_b32 vcc_lo, exec_lo, s24
	s_cbranch_vccnz .LBB126_53
; %bb.52:
	s_wait_xcnt 0x0
	v_cndmask_b32_e64 v2, 0, 1, s18
	global_store_b16 v[0:1], v2, off
.LBB126_53:
	s_mov_b32 s24, 0
.LBB126_54:
	s_delay_alu instid0(SALU_CYCLE_1)
	s_and_not1_b32 vcc_lo, exec_lo, s24
	s_cbranch_vccnz .LBB126_62
; %bb.55:
	s_wait_xcnt 0x0
	v_cndmask_b32_e64 v3, 0, 1.0, s18
	v_mov_b32_e32 v4, 0x80
	s_mov_b32 s24, exec_lo
	s_delay_alu instid0(VALU_DEP_2)
	v_cmpx_gt_u32_e32 0x43800000, v3
	s_cbranch_execz .LBB126_61
; %bb.56:
	s_mov_b32 s25, 0
	s_mov_b32 s26, exec_lo
                                        ; implicit-def: $vgpr2
	v_cmpx_lt_u32_e32 0x3bffffff, v3
	s_xor_b32 s26, exec_lo, s26
	s_cbranch_execz .LBB126_291
; %bb.57:
	v_bfe_u32 v2, v3, 20, 1
	s_mov_b32 s25, exec_lo
	s_delay_alu instid0(VALU_DEP_1) | instskip(NEXT) | instid1(VALU_DEP_1)
	v_add3_u32 v2, v3, v2, 0x487ffff
                                        ; implicit-def: $vgpr3
	v_lshrrev_b32_e32 v2, 20, v2
	s_and_not1_saveexec_b32 s26, s26
	s_cbranch_execnz .LBB126_292
.LBB126_58:
	s_or_b32 exec_lo, exec_lo, s26
	v_mov_b32_e32 v4, 0
	s_and_saveexec_b32 s26, s25
.LBB126_59:
	v_mov_b32_e32 v4, v2
.LBB126_60:
	s_or_b32 exec_lo, exec_lo, s26
.LBB126_61:
	s_delay_alu instid0(SALU_CYCLE_1)
	s_or_b32 exec_lo, exec_lo, s24
	global_store_b8 v[0:1], v4, off
.LBB126_62:
	s_mov_b32 s24, -1
.LBB126_63:
	s_mov_b32 s25, 0
.LBB126_64:
	s_delay_alu instid0(SALU_CYCLE_1)
	s_and_b32 vcc_lo, exec_lo, s25
	s_cbranch_vccz .LBB126_105
; %bb.65:
	s_cmp_gt_i32 s23, 22
	s_mov_b32 s25, -1
	s_cbranch_scc0 .LBB126_97
; %bb.66:
	s_cmp_lt_i32 s23, 24
	s_mov_b32 s24, -1
	s_cbranch_scc1 .LBB126_86
; %bb.67:
	s_cmp_gt_i32 s23, 24
	s_cbranch_scc0 .LBB126_75
; %bb.68:
	s_wait_xcnt 0x0
	v_cndmask_b32_e64 v3, 0, 1.0, s18
	v_mov_b32_e32 v4, 0x80
	s_mov_b32 s24, exec_lo
	s_delay_alu instid0(VALU_DEP_2)
	v_cmpx_gt_u32_e32 0x47800000, v3
	s_cbranch_execz .LBB126_74
; %bb.69:
	s_mov_b32 s25, 0
	s_mov_b32 s26, exec_lo
                                        ; implicit-def: $vgpr2
	v_cmpx_lt_u32_e32 0x37ffffff, v3
	s_xor_b32 s26, exec_lo, s26
	s_cbranch_execz .LBB126_295
; %bb.70:
	v_bfe_u32 v2, v3, 21, 1
	s_mov_b32 s25, exec_lo
	s_delay_alu instid0(VALU_DEP_1) | instskip(NEXT) | instid1(VALU_DEP_1)
	v_add3_u32 v2, v3, v2, 0x88fffff
                                        ; implicit-def: $vgpr3
	v_lshrrev_b32_e32 v2, 21, v2
	s_and_not1_saveexec_b32 s26, s26
	s_cbranch_execnz .LBB126_296
.LBB126_71:
	s_or_b32 exec_lo, exec_lo, s26
	v_mov_b32_e32 v4, 0
	s_and_saveexec_b32 s26, s25
.LBB126_72:
	v_mov_b32_e32 v4, v2
.LBB126_73:
	s_or_b32 exec_lo, exec_lo, s26
.LBB126_74:
	s_delay_alu instid0(SALU_CYCLE_1)
	s_or_b32 exec_lo, exec_lo, s24
	s_mov_b32 s24, 0
	global_store_b8 v[0:1], v4, off
.LBB126_75:
	s_and_b32 vcc_lo, exec_lo, s24
	s_cbranch_vccz .LBB126_85
; %bb.76:
	s_wait_xcnt 0x0
	v_cndmask_b32_e64 v3, 0, 1.0, s18
	s_mov_b32 s24, exec_lo
                                        ; implicit-def: $vgpr2
	s_delay_alu instid0(VALU_DEP_1)
	v_cmpx_gt_u32_e32 0x43f00000, v3
	s_xor_b32 s24, exec_lo, s24
	s_cbranch_execz .LBB126_82
; %bb.77:
	s_mov_b32 s25, exec_lo
                                        ; implicit-def: $vgpr2
	v_cmpx_lt_u32_e32 0x3c7fffff, v3
	s_xor_b32 s25, exec_lo, s25
; %bb.78:
	v_bfe_u32 v2, v3, 20, 1
	s_delay_alu instid0(VALU_DEP_1) | instskip(NEXT) | instid1(VALU_DEP_1)
	v_add3_u32 v2, v3, v2, 0x407ffff
	v_and_b32_e32 v3, 0xff00000, v2
	v_lshrrev_b32_e32 v2, 20, v2
	s_delay_alu instid0(VALU_DEP_2) | instskip(NEXT) | instid1(VALU_DEP_2)
	v_cmp_ne_u32_e32 vcc_lo, 0x7f00000, v3
                                        ; implicit-def: $vgpr3
	v_cndmask_b32_e32 v2, 0x7e, v2, vcc_lo
; %bb.79:
	s_and_not1_saveexec_b32 s25, s25
; %bb.80:
	v_add_f32_e32 v2, 0x46800000, v3
; %bb.81:
	s_or_b32 exec_lo, exec_lo, s25
                                        ; implicit-def: $vgpr3
.LBB126_82:
	s_and_not1_saveexec_b32 s24, s24
; %bb.83:
	v_mov_b32_e32 v2, 0x7f
	v_cmp_lt_u32_e32 vcc_lo, 0x7f800000, v3
	s_delay_alu instid0(VALU_DEP_2)
	v_cndmask_b32_e32 v2, 0x7e, v2, vcc_lo
; %bb.84:
	s_or_b32 exec_lo, exec_lo, s24
	global_store_b8 v[0:1], v2, off
.LBB126_85:
	s_mov_b32 s24, 0
.LBB126_86:
	s_delay_alu instid0(SALU_CYCLE_1)
	s_and_not1_b32 vcc_lo, exec_lo, s24
	s_cbranch_vccnz .LBB126_96
; %bb.87:
	s_wait_xcnt 0x0
	v_cndmask_b32_e64 v3, 0, 1.0, s18
	s_mov_b32 s24, exec_lo
                                        ; implicit-def: $vgpr2
	s_delay_alu instid0(VALU_DEP_1)
	v_cmpx_gt_u32_e32 0x47800000, v3
	s_xor_b32 s24, exec_lo, s24
	s_cbranch_execz .LBB126_93
; %bb.88:
	s_mov_b32 s25, exec_lo
                                        ; implicit-def: $vgpr2
	v_cmpx_lt_u32_e32 0x387fffff, v3
	s_xor_b32 s25, exec_lo, s25
; %bb.89:
	v_bfe_u32 v2, v3, 21, 1
	s_delay_alu instid0(VALU_DEP_1) | instskip(NEXT) | instid1(VALU_DEP_1)
	v_add3_u32 v2, v3, v2, 0x80fffff
                                        ; implicit-def: $vgpr3
	v_lshrrev_b32_e32 v2, 21, v2
; %bb.90:
	s_and_not1_saveexec_b32 s25, s25
; %bb.91:
	v_add_f32_e32 v2, 0x43000000, v3
; %bb.92:
	s_or_b32 exec_lo, exec_lo, s25
                                        ; implicit-def: $vgpr3
.LBB126_93:
	s_and_not1_saveexec_b32 s24, s24
; %bb.94:
	v_mov_b32_e32 v2, 0x7f
	v_cmp_lt_u32_e32 vcc_lo, 0x7f800000, v3
	s_delay_alu instid0(VALU_DEP_2)
	v_cndmask_b32_e32 v2, 0x7c, v2, vcc_lo
; %bb.95:
	s_or_b32 exec_lo, exec_lo, s24
	global_store_b8 v[0:1], v2, off
.LBB126_96:
	s_mov_b32 s25, 0
	s_mov_b32 s24, -1
.LBB126_97:
	s_and_not1_b32 vcc_lo, exec_lo, s25
	s_cbranch_vccnz .LBB126_105
; %bb.98:
	s_cmp_gt_i32 s23, 14
	s_mov_b32 s25, -1
	s_cbranch_scc0 .LBB126_102
; %bb.99:
	s_cmp_eq_u32 s23, 15
	s_mov_b32 s0, -1
	s_cbranch_scc0 .LBB126_101
; %bb.100:
	s_wait_xcnt 0x0
	v_cndmask_b32_e64 v2, 0, 1.0, s18
	s_mov_b32 s24, -1
	s_mov_b32 s0, 0
	s_delay_alu instid0(VALU_DEP_1) | instskip(NEXT) | instid1(VALU_DEP_1)
	v_bfe_u32 v3, v2, 16, 1
	v_add3_u32 v2, v2, v3, 0x7fff
	global_store_d16_hi_b16 v[0:1], v2, off
.LBB126_101:
	s_mov_b32 s25, 0
.LBB126_102:
	s_delay_alu instid0(SALU_CYCLE_1)
	s_and_b32 vcc_lo, exec_lo, s25
	s_cbranch_vccz .LBB126_105
; %bb.103:
	s_cmp_eq_u32 s23, 11
	s_mov_b32 s0, -1
	s_cbranch_scc0 .LBB126_105
; %bb.104:
	s_wait_xcnt 0x0
	v_cndmask_b32_e64 v2, 0, 1, s18
	s_mov_b32 s24, -1
	s_mov_b32 s0, 0
	global_store_b8 v[0:1], v2, off
.LBB126_105:
	s_branch .LBB126_23
.LBB126_106:
	s_and_b32 s22, 0xffff, s22
	s_mov_b32 s23, -1
	s_cmp_lt_i32 s22, 5
	s_cbranch_scc1 .LBB126_127
; %bb.107:
	s_cmp_lt_i32 s22, 8
	s_cbranch_scc1 .LBB126_117
; %bb.108:
	;; [unrolled: 3-line block ×3, first 2 shown]
	s_cmp_gt_i32 s22, 9
	s_cbranch_scc0 .LBB126_111
; %bb.110:
	s_wait_xcnt 0x0
	v_cndmask_b32_e64 v2, 0, 1, s18
	v_mov_b32_e32 v4, 0
	s_mov_b32 s23, 0
	s_delay_alu instid0(VALU_DEP_2) | instskip(NEXT) | instid1(VALU_DEP_2)
	v_cvt_f64_u32_e32 v[2:3], v2
	v_mov_b32_e32 v5, v4
	global_store_b128 v[0:1], v[2:5], off
.LBB126_111:
	s_and_not1_b32 vcc_lo, exec_lo, s23
	s_cbranch_vccnz .LBB126_113
; %bb.112:
	s_wait_xcnt 0x0
	v_cndmask_b32_e64 v2, 0, 1.0, s18
	v_mov_b32_e32 v3, 0
	global_store_b64 v[0:1], v[2:3], off
.LBB126_113:
	s_mov_b32 s23, 0
.LBB126_114:
	s_delay_alu instid0(SALU_CYCLE_1)
	s_and_not1_b32 vcc_lo, exec_lo, s23
	s_cbranch_vccnz .LBB126_116
; %bb.115:
	s_wait_xcnt 0x0
	v_cndmask_b32_e64 v2, 0, 1.0, s18
	s_delay_alu instid0(VALU_DEP_1) | instskip(NEXT) | instid1(VALU_DEP_1)
	v_cvt_f16_f32_e32 v2, v2
	v_and_b32_e32 v2, 0xffff, v2
	global_store_b32 v[0:1], v2, off
.LBB126_116:
	s_mov_b32 s23, 0
.LBB126_117:
	s_delay_alu instid0(SALU_CYCLE_1)
	s_and_not1_b32 vcc_lo, exec_lo, s23
	s_cbranch_vccnz .LBB126_126
; %bb.118:
	s_cmp_lt_i32 s22, 6
	s_mov_b32 s23, -1
	s_cbranch_scc1 .LBB126_124
; %bb.119:
	s_cmp_gt_i32 s22, 6
	s_cbranch_scc0 .LBB126_121
; %bb.120:
	s_wait_xcnt 0x0
	v_cndmask_b32_e64 v2, 0, 1, s18
	s_mov_b32 s23, 0
	s_delay_alu instid0(VALU_DEP_1)
	v_cvt_f64_u32_e32 v[2:3], v2
	global_store_b64 v[0:1], v[2:3], off
.LBB126_121:
	s_and_not1_b32 vcc_lo, exec_lo, s23
	s_cbranch_vccnz .LBB126_123
; %bb.122:
	s_wait_xcnt 0x0
	v_cndmask_b32_e64 v2, 0, 1.0, s18
	global_store_b32 v[0:1], v2, off
.LBB126_123:
	s_mov_b32 s23, 0
.LBB126_124:
	s_delay_alu instid0(SALU_CYCLE_1)
	s_and_not1_b32 vcc_lo, exec_lo, s23
	s_cbranch_vccnz .LBB126_126
; %bb.125:
	s_wait_xcnt 0x0
	v_cndmask_b32_e64 v2, 0, 1.0, s18
	s_delay_alu instid0(VALU_DEP_1)
	v_cvt_f16_f32_e32 v2, v2
	global_store_b16 v[0:1], v2, off
.LBB126_126:
	s_mov_b32 s23, 0
.LBB126_127:
	s_delay_alu instid0(SALU_CYCLE_1)
	s_and_not1_b32 vcc_lo, exec_lo, s23
	s_cbranch_vccnz .LBB126_143
; %bb.128:
	s_cmp_lt_i32 s22, 2
	s_mov_b32 s23, -1
	s_cbranch_scc1 .LBB126_138
; %bb.129:
	s_cmp_lt_i32 s22, 3
	s_cbranch_scc1 .LBB126_135
; %bb.130:
	s_cmp_gt_i32 s22, 3
	s_cbranch_scc0 .LBB126_132
; %bb.131:
	s_mov_b32 s23, 0
	s_wait_xcnt 0x0
	v_cndmask_b32_e64 v2, 0, 1, s18
	v_mov_b32_e32 v3, s23
	global_store_b64 v[0:1], v[2:3], off
.LBB126_132:
	s_and_not1_b32 vcc_lo, exec_lo, s23
	s_cbranch_vccnz .LBB126_134
; %bb.133:
	s_wait_xcnt 0x0
	v_cndmask_b32_e64 v2, 0, 1, s18
	global_store_b32 v[0:1], v2, off
.LBB126_134:
	s_mov_b32 s23, 0
.LBB126_135:
	s_delay_alu instid0(SALU_CYCLE_1)
	s_and_not1_b32 vcc_lo, exec_lo, s23
	s_cbranch_vccnz .LBB126_137
; %bb.136:
	s_wait_xcnt 0x0
	v_cndmask_b32_e64 v2, 0, 1, s18
	global_store_b16 v[0:1], v2, off
.LBB126_137:
	s_mov_b32 s23, 0
.LBB126_138:
	s_delay_alu instid0(SALU_CYCLE_1)
	s_and_not1_b32 vcc_lo, exec_lo, s23
	s_cbranch_vccnz .LBB126_143
; %bb.139:
	s_wait_xcnt 0x0
	v_cndmask_b32_e64 v2, 0, 1, s18
	s_cmp_gt_i32 s22, 0
	s_mov_b32 s18, -1
	s_cbranch_scc0 .LBB126_141
; %bb.140:
	s_mov_b32 s18, 0
	global_store_b8 v[0:1], v2, off
.LBB126_141:
	s_and_not1_b32 vcc_lo, exec_lo, s18
	s_cbranch_vccnz .LBB126_143
; %bb.142:
	global_store_b8 v[0:1], v2, off
.LBB126_143:
.LBB126_144:
	v_add_nc_u32_e32 v8, 0x80, v8
	s_mov_b32 s22, -1
	s_branch .LBB126_259
.LBB126_145:
	s_mov_b32 s19, -1
                                        ; implicit-def: $vgpr0_vgpr1
.LBB126_146:
	v_mov_b64_e32 v[2:3], 0
.LBB126_147:
	s_mov_b32 s22, 0
.LBB126_148:
	s_delay_alu instid0(SALU_CYCLE_1)
	s_and_b32 vcc_lo, exec_lo, s22
	s_cbranch_vccz .LBB126_153
; %bb.149:
	s_cmp_eq_u32 s0, 29
	s_cbranch_scc0 .LBB126_151
; %bb.150:
	global_load_b64 v[0:1], v[4:5], off
	s_mov_b32 s18, -1
	s_mov_b32 s19, 0
	s_wait_loadcnt 0x0
	v_cvt_f64_u32_e32 v[2:3], v1
	v_cvt_f64_u32_e32 v[0:1], v0
	s_delay_alu instid0(VALU_DEP_2) | instskip(NEXT) | instid1(VALU_DEP_1)
	v_ldexp_f64 v[2:3], v[2:3], 32
	v_add_f64_e32 v[0:1], v[2:3], v[0:1]
	s_branch .LBB126_152
.LBB126_151:
	s_mov_b32 s19, -1
                                        ; implicit-def: $vgpr0_vgpr1
.LBB126_152:
	v_mov_b64_e32 v[2:3], 0
.LBB126_153:
	s_mov_b32 s22, 0
.LBB126_154:
	s_delay_alu instid0(SALU_CYCLE_1)
	s_and_b32 vcc_lo, exec_lo, s22
	s_cbranch_vccz .LBB126_172
; %bb.155:
	s_cmp_lt_i32 s0, 27
	s_cbranch_scc1 .LBB126_158
; %bb.156:
	s_cmp_gt_i32 s0, 27
	s_cbranch_scc0 .LBB126_159
; %bb.157:
	global_load_b32 v0, v[4:5], off
	s_mov_b32 s18, 0
	s_wait_loadcnt 0x0
	v_cvt_f64_u32_e32 v[0:1], v0
	s_branch .LBB126_160
.LBB126_158:
	s_mov_b32 s18, -1
                                        ; implicit-def: $vgpr0_vgpr1
	s_branch .LBB126_163
.LBB126_159:
	s_mov_b32 s18, -1
                                        ; implicit-def: $vgpr0_vgpr1
.LBB126_160:
	s_delay_alu instid0(SALU_CYCLE_1)
	s_and_not1_b32 vcc_lo, exec_lo, s18
	s_cbranch_vccnz .LBB126_162
; %bb.161:
	global_load_u16 v0, v[4:5], off
	s_wait_loadcnt 0x0
	v_cvt_f64_u32_e32 v[0:1], v0
.LBB126_162:
	s_mov_b32 s18, 0
.LBB126_163:
	s_delay_alu instid0(SALU_CYCLE_1)
	s_and_not1_b32 vcc_lo, exec_lo, s18
	s_cbranch_vccnz .LBB126_171
; %bb.164:
	global_load_u8 v2, v[4:5], off
	s_mov_b32 s18, 0
	s_mov_b32 s22, exec_lo
	s_wait_loadcnt 0x0
	v_cmpx_lt_i16_e32 0x7f, v2
	s_xor_b32 s22, exec_lo, s22
	s_cbranch_execz .LBB126_184
; %bb.165:
	s_mov_b32 s18, -1
	s_mov_b32 s23, exec_lo
	v_cmpx_eq_u16_e32 0x80, v2
; %bb.166:
	s_xor_b32 s18, exec_lo, -1
; %bb.167:
	s_or_b32 exec_lo, exec_lo, s23
	s_delay_alu instid0(SALU_CYCLE_1)
	s_and_b32 s18, s18, exec_lo
	s_or_saveexec_b32 s22, s22
	v_mov_b64_e32 v[0:1], 0x7ff8000020000000
	s_xor_b32 exec_lo, exec_lo, s22
	s_cbranch_execnz .LBB126_185
.LBB126_168:
	s_or_b32 exec_lo, exec_lo, s22
	s_and_saveexec_b32 s22, s18
	s_cbranch_execz .LBB126_170
.LBB126_169:
	v_and_b32_e32 v0, 0xffff, v2
	s_delay_alu instid0(VALU_DEP_1) | instskip(SKIP_1) | instid1(VALU_DEP_2)
	v_and_b32_e32 v1, 7, v0
	v_bfe_u32 v7, v0, 3, 4
	v_clz_i32_u32_e32 v3, v1
	s_delay_alu instid0(VALU_DEP_2) | instskip(NEXT) | instid1(VALU_DEP_2)
	v_cmp_eq_u32_e32 vcc_lo, 0, v7
	v_min_u32_e32 v3, 32, v3
	s_delay_alu instid0(VALU_DEP_1) | instskip(NEXT) | instid1(VALU_DEP_1)
	v_subrev_nc_u32_e32 v6, 28, v3
	v_dual_lshlrev_b32 v0, v6, v0 :: v_dual_sub_nc_u32 v3, 29, v3
	s_delay_alu instid0(VALU_DEP_1) | instskip(NEXT) | instid1(VALU_DEP_1)
	v_dual_lshlrev_b32 v2, 24, v2 :: v_dual_bitop2_b32 v0, 7, v0 bitop3:0x40
	v_dual_cndmask_b32 v3, v7, v3 :: v_dual_cndmask_b32 v0, v1, v0
	s_delay_alu instid0(VALU_DEP_2) | instskip(NEXT) | instid1(VALU_DEP_2)
	v_and_b32_e32 v1, 0x80000000, v2
	v_lshl_add_u32 v2, v3, 23, 0x3b800000
	s_delay_alu instid0(VALU_DEP_3) | instskip(NEXT) | instid1(VALU_DEP_1)
	v_lshlrev_b32_e32 v0, 20, v0
	v_or3_b32 v0, v1, v2, v0
	s_delay_alu instid0(VALU_DEP_1)
	v_cvt_f64_f32_e32 v[0:1], v0
.LBB126_170:
	s_or_b32 exec_lo, exec_lo, s22
.LBB126_171:
	v_mov_b64_e32 v[2:3], 0
	s_mov_b32 s18, -1
.LBB126_172:
	s_branch .LBB126_207
.LBB126_173:
	s_cmp_gt_i32 s0, 22
	s_cbranch_scc0 .LBB126_183
; %bb.174:
	s_cmp_lt_i32 s0, 24
	s_cbranch_scc1 .LBB126_186
; %bb.175:
	s_cmp_gt_i32 s0, 24
	s_cbranch_scc0 .LBB126_187
; %bb.176:
	global_load_u8 v2, v[4:5], off
	s_mov_b32 s18, 0
	s_mov_b32 s22, exec_lo
	s_wait_loadcnt 0x0
	v_cmpx_lt_i16_e32 0x7f, v2
	s_xor_b32 s22, exec_lo, s22
	s_cbranch_execz .LBB126_198
; %bb.177:
	s_mov_b32 s18, -1
	s_mov_b32 s23, exec_lo
	v_cmpx_eq_u16_e32 0x80, v2
; %bb.178:
	s_xor_b32 s18, exec_lo, -1
; %bb.179:
	s_or_b32 exec_lo, exec_lo, s23
	s_delay_alu instid0(SALU_CYCLE_1)
	s_and_b32 s18, s18, exec_lo
	s_or_saveexec_b32 s22, s22
	v_mov_b64_e32 v[0:1], 0x7ff8000020000000
	s_xor_b32 exec_lo, exec_lo, s22
	s_cbranch_execnz .LBB126_199
.LBB126_180:
	s_or_b32 exec_lo, exec_lo, s22
	s_and_saveexec_b32 s22, s18
	s_cbranch_execz .LBB126_182
.LBB126_181:
	v_and_b32_e32 v0, 0xffff, v2
	s_delay_alu instid0(VALU_DEP_1) | instskip(SKIP_1) | instid1(VALU_DEP_2)
	v_and_b32_e32 v1, 3, v0
	v_bfe_u32 v7, v0, 2, 5
	v_clz_i32_u32_e32 v3, v1
	s_delay_alu instid0(VALU_DEP_2) | instskip(NEXT) | instid1(VALU_DEP_2)
	v_cmp_eq_u32_e32 vcc_lo, 0, v7
	v_min_u32_e32 v3, 32, v3
	s_delay_alu instid0(VALU_DEP_1) | instskip(NEXT) | instid1(VALU_DEP_1)
	v_subrev_nc_u32_e32 v6, 29, v3
	v_dual_lshlrev_b32 v0, v6, v0 :: v_dual_sub_nc_u32 v3, 30, v3
	s_delay_alu instid0(VALU_DEP_1) | instskip(NEXT) | instid1(VALU_DEP_1)
	v_dual_lshlrev_b32 v2, 24, v2 :: v_dual_bitop2_b32 v0, 3, v0 bitop3:0x40
	v_dual_cndmask_b32 v3, v7, v3 :: v_dual_cndmask_b32 v0, v1, v0
	s_delay_alu instid0(VALU_DEP_2) | instskip(NEXT) | instid1(VALU_DEP_2)
	v_and_b32_e32 v1, 0x80000000, v2
	v_lshl_add_u32 v2, v3, 23, 0x37800000
	s_delay_alu instid0(VALU_DEP_3) | instskip(NEXT) | instid1(VALU_DEP_1)
	v_lshlrev_b32_e32 v0, 21, v0
	v_or3_b32 v0, v1, v2, v0
	s_delay_alu instid0(VALU_DEP_1)
	v_cvt_f64_f32_e32 v[0:1], v0
.LBB126_182:
	s_or_b32 exec_lo, exec_lo, s22
	s_mov_b32 s18, 0
	s_branch .LBB126_188
.LBB126_183:
                                        ; implicit-def: $vgpr0_vgpr1
	s_branch .LBB126_194
.LBB126_184:
	s_or_saveexec_b32 s22, s22
	v_mov_b64_e32 v[0:1], 0x7ff8000020000000
	s_xor_b32 exec_lo, exec_lo, s22
	s_cbranch_execz .LBB126_168
.LBB126_185:
	v_cmp_ne_u16_e32 vcc_lo, 0, v2
	v_mov_b64_e32 v[0:1], 0
	s_and_not1_b32 s18, s18, exec_lo
	s_and_b32 s23, vcc_lo, exec_lo
	s_delay_alu instid0(SALU_CYCLE_1)
	s_or_b32 s18, s18, s23
	s_or_b32 exec_lo, exec_lo, s22
	s_and_saveexec_b32 s22, s18
	s_cbranch_execnz .LBB126_169
	s_branch .LBB126_170
.LBB126_186:
	s_mov_b32 s18, -1
                                        ; implicit-def: $vgpr0_vgpr1
	s_branch .LBB126_191
.LBB126_187:
	s_mov_b32 s18, -1
                                        ; implicit-def: $vgpr0_vgpr1
.LBB126_188:
	s_delay_alu instid0(SALU_CYCLE_1)
	s_and_b32 vcc_lo, exec_lo, s18
	s_cbranch_vccz .LBB126_190
; %bb.189:
	global_load_u8 v0, v[4:5], off
	s_wait_loadcnt 0x0
	v_lshlrev_b32_e32 v0, 24, v0
	s_delay_alu instid0(VALU_DEP_1) | instskip(NEXT) | instid1(VALU_DEP_1)
	v_and_b32_e32 v1, 0x7f000000, v0
	v_clz_i32_u32_e32 v2, v1
	v_cmp_ne_u32_e32 vcc_lo, 0, v1
	v_add_nc_u32_e32 v6, 0x1000000, v1
	s_delay_alu instid0(VALU_DEP_3) | instskip(NEXT) | instid1(VALU_DEP_1)
	v_min_u32_e32 v2, 32, v2
	v_sub_nc_u32_e64 v2, v2, 4 clamp
	s_delay_alu instid0(VALU_DEP_1) | instskip(NEXT) | instid1(VALU_DEP_1)
	v_dual_lshlrev_b32 v3, v2, v1 :: v_dual_lshlrev_b32 v2, 23, v2
	v_lshrrev_b32_e32 v3, 4, v3
	s_delay_alu instid0(VALU_DEP_1) | instskip(SKIP_1) | instid1(VALU_DEP_2)
	v_sub_nc_u32_e32 v2, v3, v2
	v_ashrrev_i32_e32 v3, 8, v6
	v_add_nc_u32_e32 v2, 0x3c000000, v2
	s_delay_alu instid0(VALU_DEP_1) | instskip(NEXT) | instid1(VALU_DEP_1)
	v_and_or_b32 v2, 0x7f800000, v3, v2
	v_cndmask_b32_e32 v1, 0, v2, vcc_lo
	s_delay_alu instid0(VALU_DEP_1) | instskip(NEXT) | instid1(VALU_DEP_1)
	v_and_or_b32 v0, 0x80000000, v0, v1
	v_cvt_f64_f32_e32 v[0:1], v0
.LBB126_190:
	s_mov_b32 s18, 0
.LBB126_191:
	s_delay_alu instid0(SALU_CYCLE_1)
	s_and_not1_b32 vcc_lo, exec_lo, s18
	s_cbranch_vccnz .LBB126_193
; %bb.192:
	global_load_u8 v0, v[4:5], off
	s_wait_loadcnt 0x0
	v_lshlrev_b32_e32 v1, 25, v0
	v_lshlrev_b16 v0, 8, v0
	s_delay_alu instid0(VALU_DEP_1) | instskip(SKIP_1) | instid1(VALU_DEP_2)
	v_and_or_b32 v3, 0x7f00, v0, 0.5
	v_bfe_i32 v0, v0, 0, 16
	v_dual_add_f32 v3, -0.5, v3 :: v_dual_lshrrev_b32 v2, 4, v1
	v_cmp_gt_u32_e32 vcc_lo, 0x8000000, v1
	s_delay_alu instid0(VALU_DEP_2) | instskip(NEXT) | instid1(VALU_DEP_1)
	v_or_b32_e32 v2, 0x70000000, v2
	v_mul_f32_e32 v2, 0x7800000, v2
	s_delay_alu instid0(VALU_DEP_1) | instskip(NEXT) | instid1(VALU_DEP_1)
	v_cndmask_b32_e32 v1, v2, v3, vcc_lo
	v_and_or_b32 v0, 0x80000000, v0, v1
	s_delay_alu instid0(VALU_DEP_1)
	v_cvt_f64_f32_e32 v[0:1], v0
.LBB126_193:
	s_mov_b32 s18, -1
	s_cbranch_execnz .LBB126_206
.LBB126_194:
	s_cmp_gt_i32 s0, 14
	s_cbranch_scc0 .LBB126_197
; %bb.195:
	s_cmp_eq_u32 s0, 15
	s_cbranch_scc0 .LBB126_200
; %bb.196:
	global_load_u16 v0, v[4:5], off
	s_mov_b32 s18, -1
	s_mov_b32 s19, 0
	s_wait_loadcnt 0x0
	v_lshlrev_b32_e32 v0, 16, v0
	s_delay_alu instid0(VALU_DEP_1)
	v_cvt_f64_f32_e32 v[0:1], v0
	s_branch .LBB126_201
.LBB126_197:
	s_mov_b32 s22, -1
                                        ; implicit-def: $vgpr0_vgpr1
	s_branch .LBB126_202
.LBB126_198:
	s_or_saveexec_b32 s22, s22
	v_mov_b64_e32 v[0:1], 0x7ff8000020000000
	s_xor_b32 exec_lo, exec_lo, s22
	s_cbranch_execz .LBB126_180
.LBB126_199:
	v_cmp_ne_u16_e32 vcc_lo, 0, v2
	v_mov_b64_e32 v[0:1], 0
	s_and_not1_b32 s18, s18, exec_lo
	s_and_b32 s23, vcc_lo, exec_lo
	s_delay_alu instid0(SALU_CYCLE_1)
	s_or_b32 s18, s18, s23
	s_or_b32 exec_lo, exec_lo, s22
	s_and_saveexec_b32 s22, s18
	s_cbranch_execnz .LBB126_181
	s_branch .LBB126_182
.LBB126_200:
	s_mov_b32 s19, -1
                                        ; implicit-def: $vgpr0_vgpr1
.LBB126_201:
	s_mov_b32 s22, 0
.LBB126_202:
	s_delay_alu instid0(SALU_CYCLE_1)
	s_and_b32 vcc_lo, exec_lo, s22
	s_cbranch_vccz .LBB126_206
; %bb.203:
	s_cmp_eq_u32 s0, 11
	s_cbranch_scc0 .LBB126_205
; %bb.204:
	global_load_u8 v0, v[4:5], off
	s_mov_b32 s19, 0
	s_mov_b32 s18, -1
	v_mov_b64_e32 v[2:3], 0
	s_wait_loadcnt 0x0
	v_cmp_ne_u16_e32 vcc_lo, 0, v0
	v_mov_b32_e32 v0, 0
	v_cndmask_b32_e64 v1, 0, 0x3ff00000, vcc_lo
	s_branch .LBB126_207
.LBB126_205:
	s_mov_b32 s19, -1
                                        ; implicit-def: $vgpr0_vgpr1
.LBB126_206:
	v_mov_b64_e32 v[2:3], 0
.LBB126_207:
	s_branch .LBB126_10
.LBB126_208:
	s_cmp_lt_i32 s0, 5
	s_cbranch_scc1 .LBB126_213
; %bb.209:
	s_cmp_lt_i32 s0, 8
	s_cbranch_scc1 .LBB126_214
; %bb.210:
	;; [unrolled: 3-line block ×3, first 2 shown]
	s_cmp_gt_i32 s0, 9
	s_cbranch_scc0 .LBB126_216
; %bb.212:
	global_load_b128 v[0:3], v[4:5], off
	s_mov_b32 s18, 0
	s_branch .LBB126_217
.LBB126_213:
                                        ; implicit-def: $vgpr2_vgpr3
	s_branch .LBB126_236
.LBB126_214:
	s_mov_b32 s18, -1
                                        ; implicit-def: $vgpr2_vgpr3
	s_branch .LBB126_223
.LBB126_215:
	s_mov_b32 s18, -1
                                        ; implicit-def: $vgpr2_vgpr3
	s_branch .LBB126_220
.LBB126_216:
	s_mov_b32 s18, -1
                                        ; implicit-def: $vgpr2_vgpr3
.LBB126_217:
	s_delay_alu instid0(SALU_CYCLE_1)
	s_and_not1_b32 vcc_lo, exec_lo, s18
	s_cbranch_vccnz .LBB126_219
; %bb.218:
	s_wait_loadcnt 0x0
	global_load_b64 v[2:3], v[4:5], off
	s_wait_loadcnt 0x0
	v_cvt_f64_f32_e32 v[0:1], v2
	v_cvt_f64_f32_e32 v[2:3], v3
.LBB126_219:
	s_mov_b32 s18, 0
.LBB126_220:
	s_delay_alu instid0(SALU_CYCLE_1)
	s_and_not1_b32 vcc_lo, exec_lo, s18
	s_cbranch_vccnz .LBB126_222
; %bb.221:
	s_wait_loadcnt 0x0
	global_load_b32 v0, v[4:5], off
	s_wait_loadcnt 0x0
	v_lshrrev_b32_e32 v1, 16, v0
	v_cvt_f32_f16_e32 v0, v0
	s_delay_alu instid0(VALU_DEP_2) | instskip(NEXT) | instid1(VALU_DEP_2)
	v_cvt_f32_f16_e32 v2, v1
	v_cvt_f64_f32_e32 v[0:1], v0
	s_delay_alu instid0(VALU_DEP_2)
	v_cvt_f64_f32_e32 v[2:3], v2
.LBB126_222:
	s_mov_b32 s18, 0
.LBB126_223:
	s_delay_alu instid0(SALU_CYCLE_1)
	s_and_not1_b32 vcc_lo, exec_lo, s18
	s_cbranch_vccnz .LBB126_235
; %bb.224:
	s_cmp_lt_i32 s0, 6
	s_cbranch_scc1 .LBB126_227
; %bb.225:
	s_cmp_gt_i32 s0, 6
	s_cbranch_scc0 .LBB126_228
; %bb.226:
	s_wait_loadcnt 0x0
	global_load_b64 v[0:1], v[4:5], off
	s_mov_b32 s18, 0
	s_branch .LBB126_229
.LBB126_227:
	s_mov_b32 s18, -1
                                        ; implicit-def: $vgpr0_vgpr1
	s_branch .LBB126_232
.LBB126_228:
	s_mov_b32 s18, -1
                                        ; implicit-def: $vgpr0_vgpr1
.LBB126_229:
	s_delay_alu instid0(SALU_CYCLE_1)
	s_and_not1_b32 vcc_lo, exec_lo, s18
	s_cbranch_vccnz .LBB126_231
; %bb.230:
	s_wait_loadcnt 0x0
	global_load_b32 v0, v[4:5], off
	s_wait_loadcnt 0x0
	v_cvt_f64_f32_e32 v[0:1], v0
.LBB126_231:
	s_mov_b32 s18, 0
.LBB126_232:
	s_delay_alu instid0(SALU_CYCLE_1)
	s_and_not1_b32 vcc_lo, exec_lo, s18
	s_cbranch_vccnz .LBB126_234
; %bb.233:
	s_wait_loadcnt 0x0
	global_load_u16 v0, v[4:5], off
	s_wait_loadcnt 0x0
	v_cvt_f32_f16_e32 v0, v0
	s_delay_alu instid0(VALU_DEP_1)
	v_cvt_f64_f32_e32 v[0:1], v0
.LBB126_234:
	s_wait_loadcnt 0x0
	v_mov_b64_e32 v[2:3], 0
.LBB126_235:
	s_cbranch_execnz .LBB126_256
.LBB126_236:
	s_cmp_lt_i32 s0, 2
	s_cbranch_scc1 .LBB126_240
; %bb.237:
	s_cmp_lt_i32 s0, 3
	s_cbranch_scc1 .LBB126_241
; %bb.238:
	s_cmp_gt_i32 s0, 3
	s_cbranch_scc0 .LBB126_242
; %bb.239:
	s_wait_loadcnt 0x0
	global_load_b64 v[0:1], v[4:5], off
	s_mov_b32 s18, 0
	s_wait_loadcnt 0x0
	v_cvt_f64_i32_e32 v[2:3], v1
	v_cvt_f64_u32_e32 v[0:1], v0
	s_delay_alu instid0(VALU_DEP_2) | instskip(NEXT) | instid1(VALU_DEP_1)
	v_ldexp_f64 v[2:3], v[2:3], 32
	v_add_f64_e32 v[0:1], v[2:3], v[0:1]
	s_branch .LBB126_243
.LBB126_240:
	s_mov_b32 s18, -1
                                        ; implicit-def: $vgpr0_vgpr1
	s_branch .LBB126_249
.LBB126_241:
	s_mov_b32 s18, -1
                                        ; implicit-def: $vgpr0_vgpr1
	s_branch .LBB126_246
.LBB126_242:
	s_mov_b32 s18, -1
                                        ; implicit-def: $vgpr0_vgpr1
.LBB126_243:
	s_delay_alu instid0(SALU_CYCLE_1)
	s_and_not1_b32 vcc_lo, exec_lo, s18
	s_cbranch_vccnz .LBB126_245
; %bb.244:
	s_wait_loadcnt 0x0
	global_load_b32 v0, v[4:5], off
	s_wait_loadcnt 0x0
	v_cvt_f64_i32_e32 v[0:1], v0
.LBB126_245:
	s_mov_b32 s18, 0
.LBB126_246:
	s_delay_alu instid0(SALU_CYCLE_1)
	s_and_not1_b32 vcc_lo, exec_lo, s18
	s_cbranch_vccnz .LBB126_248
; %bb.247:
	s_wait_loadcnt 0x0
	global_load_i16 v0, v[4:5], off
	s_wait_loadcnt 0x0
	v_cvt_f64_i32_e32 v[0:1], v0
.LBB126_248:
	s_mov_b32 s18, 0
.LBB126_249:
	s_delay_alu instid0(SALU_CYCLE_1)
	s_and_not1_b32 vcc_lo, exec_lo, s18
	s_cbranch_vccnz .LBB126_255
; %bb.250:
	s_cmp_gt_i32 s0, 0
	s_mov_b32 s0, 0
	s_cbranch_scc0 .LBB126_252
; %bb.251:
	s_wait_loadcnt 0x0
	global_load_i8 v0, v[4:5], off
	s_wait_loadcnt 0x0
	v_cvt_f64_i32_e32 v[0:1], v0
	s_branch .LBB126_253
.LBB126_252:
	s_mov_b32 s0, -1
                                        ; implicit-def: $vgpr0_vgpr1
.LBB126_253:
	s_delay_alu instid0(SALU_CYCLE_1)
	s_and_not1_b32 vcc_lo, exec_lo, s0
	s_cbranch_vccnz .LBB126_255
; %bb.254:
	s_wait_loadcnt 0x0
	global_load_u8 v0, v[4:5], off
	s_wait_loadcnt 0x0
	v_cvt_f64_u32_e32 v[0:1], v0
.LBB126_255:
	s_wait_loadcnt 0x0
	v_mov_b64_e32 v[2:3], 0
.LBB126_256:
	s_branch .LBB126_11
.LBB126_257:
	s_mov_b32 s0, 0
.LBB126_258:
	s_mov_b32 s22, 0
                                        ; implicit-def: $vgpr8
.LBB126_259:
	s_and_b32 s18, s0, exec_lo
	s_and_b32 s19, s19, exec_lo
	s_or_not1_b32 s23, s22, exec_lo
.LBB126_260:
	s_wait_xcnt 0x0
	s_or_b32 exec_lo, exec_lo, s20
	s_mov_b32 s22, 0
	s_mov_b32 s0, 0
                                        ; implicit-def: $vgpr4_vgpr5
                                        ; implicit-def: $vgpr2_vgpr3
	s_and_saveexec_b32 s20, s23
	s_cbranch_execz .LBB126_269
; %bb.261:
	s_mov_b32 s0, -1
	s_mov_b32 s21, s19
	s_mov_b32 s22, s18
	s_mov_b32 s23, exec_lo
	v_cmpx_gt_i32_e64 s17, v8
	s_cbranch_execz .LBB126_532
; %bb.262:
	s_wait_loadcnt 0x0
	v_mul_lo_u32 v0, v8, s3
	s_and_b32 s0, 0xffff, s14
	s_delay_alu instid0(SALU_CYCLE_1) | instskip(NEXT) | instid1(VALU_DEP_1)
	s_cmp_lt_i32 s0, 11
	v_ashrrev_i32_e32 v1, 31, v0
	s_delay_alu instid0(VALU_DEP_1)
	v_add_nc_u64_e32 v[4:5], s[6:7], v[0:1]
	s_cbranch_scc1 .LBB126_272
; %bb.263:
	s_cmp_gt_i32 s0, 25
	s_cbranch_scc0 .LBB126_284
; %bb.264:
	s_cmp_gt_i32 s0, 28
	s_cbranch_scc0 .LBB126_287
	;; [unrolled: 3-line block ×4, first 2 shown]
; %bb.267:
	s_cmp_eq_u32 s0, 46
	s_mov_b32 s24, 0
	s_cbranch_scc0 .LBB126_297
; %bb.268:
	global_load_b32 v0, v[4:5], off
	s_mov_b32 s22, -1
	s_mov_b32 s21, 0
	s_wait_loadcnt 0x0
	v_lshlrev_b32_e32 v1, 16, v0
	v_and_b32_e32 v2, 0xffff0000, v0
	s_delay_alu instid0(VALU_DEP_2) | instskip(NEXT) | instid1(VALU_DEP_2)
	v_cvt_f64_f32_e32 v[0:1], v1
	v_cvt_f64_f32_e32 v[2:3], v2
	s_branch .LBB126_299
.LBB126_269:
	s_or_b32 exec_lo, exec_lo, s20
	s_mov_b32 s17, 0
	s_and_saveexec_b32 s20, s19
	s_cbranch_execnz .LBB126_893
.LBB126_270:
	s_or_b32 exec_lo, exec_lo, s20
	s_and_saveexec_b32 s19, s21
	s_delay_alu instid0(SALU_CYCLE_1)
	s_xor_b32 s19, exec_lo, s19
	s_cbranch_execz .LBB126_894
.LBB126_271:
	s_wait_loadcnt 0x0
	global_load_u8 v0, v[4:5], off
	v_mov_b64_e32 v[2:3], 0
	s_or_b32 s0, s0, exec_lo
	s_wait_loadcnt 0x0
	v_cmp_ne_u16_e32 vcc_lo, 0, v0
	v_mov_b32_e32 v0, 0
	v_cndmask_b32_e64 v1, 0, 0x3ff00000, vcc_lo
	s_wait_xcnt 0x0
	s_or_b32 exec_lo, exec_lo, s19
	s_and_saveexec_b32 s19, s22
	s_cbranch_execz .LBB126_942
	s_branch .LBB126_895
.LBB126_272:
	s_mov_b32 s22, 0
	s_mov_b32 s21, s19
                                        ; implicit-def: $vgpr2_vgpr3
	s_cbranch_execnz .LBB126_479
.LBB126_273:
	s_and_not1_b32 vcc_lo, exec_lo, s22
	s_cbranch_vccnz .LBB126_529
.LBB126_274:
	s_and_not1_b32 vcc_lo, exec_lo, s16
	s_cbranch_vccnz .LBB126_286
; %bb.275:
	s_wait_loadcnt 0x0
	s_delay_alu instid0(VALU_DEP_1) | instskip(NEXT) | instid1(VALU_DEP_2)
	v_cmp_neq_f64_e32 vcc_lo, s[8:9], v[0:1]
	v_cmp_neq_f64_e64 s0, s[10:11], v[2:3]
	s_or_b32 s22, vcc_lo, s0
	s_cbranch_execnz .LBB126_277
.LBB126_276:
	s_wait_loadcnt 0x0
	s_delay_alu instid0(VALU_DEP_1) | instskip(NEXT) | instid1(VALU_DEP_2)
	v_cmp_eq_f64_e32 vcc_lo, s[8:9], v[0:1]
	v_cmp_eq_f64_e64 s0, s[10:11], v[2:3]
	s_and_not1_b32 s22, s22, exec_lo
	s_and_b32 s0, vcc_lo, s0
	s_delay_alu instid0(SALU_CYCLE_1) | instskip(NEXT) | instid1(SALU_CYCLE_1)
	s_and_b32 s0, s0, exec_lo
	s_or_b32 s22, s22, s0
.LBB126_277:
	s_wait_loadcnt 0x0
	v_mul_lo_u32 v0, v8, s2
	s_and_b32 s24, s12, 0xff
	s_delay_alu instid0(SALU_CYCLE_1) | instskip(NEXT) | instid1(VALU_DEP_1)
	s_cmp_lt_i32 s24, 11
	v_ashrrev_i32_e32 v1, 31, v0
	s_delay_alu instid0(VALU_DEP_1)
	v_add_nc_u64_e32 v[0:1], s[4:5], v[0:1]
	s_cbranch_scc1 .LBB126_285
; %bb.278:
	s_and_b32 s25, 0xffff, s24
	s_delay_alu instid0(SALU_CYCLE_1)
	s_cmp_gt_i32 s25, 25
	s_cbranch_scc0 .LBB126_288
; %bb.279:
	s_cmp_gt_i32 s25, 28
	s_cbranch_scc0 .LBB126_290
; %bb.280:
	;; [unrolled: 3-line block ×4, first 2 shown]
	s_mov_b32 s27, 0
	s_mov_b32 s0, -1
	s_cmp_eq_u32 s25, 46
	s_mov_b32 s26, 0
	s_cbranch_scc0 .LBB126_303
; %bb.283:
	v_cndmask_b32_e64 v2, 0, 1.0, s22
	s_mov_b32 s26, -1
	s_mov_b32 s0, 0
	s_delay_alu instid0(VALU_DEP_1) | instskip(NEXT) | instid1(VALU_DEP_1)
	v_bfe_u32 v3, v2, 16, 1
	v_add3_u32 v2, v2, v3, 0x7fff
	s_delay_alu instid0(VALU_DEP_1)
	v_lshrrev_b32_e32 v2, 16, v2
	global_store_b32 v[0:1], v2, off
	s_branch .LBB126_303
.LBB126_284:
	s_mov_b32 s24, -1
	s_mov_b32 s22, 0
	s_mov_b32 s21, s19
                                        ; implicit-def: $vgpr2_vgpr3
	s_branch .LBB126_442
.LBB126_285:
	s_mov_b32 s25, -1
	s_mov_b32 s26, 0
	s_mov_b32 s0, s18
	s_branch .LBB126_372
.LBB126_286:
                                        ; implicit-def: $sgpr22
	s_branch .LBB126_276
.LBB126_287:
	s_mov_b32 s24, -1
	s_mov_b32 s22, 0
	s_mov_b32 s21, s19
                                        ; implicit-def: $vgpr2_vgpr3
	s_branch .LBB126_423
.LBB126_288:
	s_mov_b32 s27, -1
	s_mov_b32 s26, 0
	s_mov_b32 s0, s18
	s_branch .LBB126_330
.LBB126_289:
	s_mov_b32 s24, -1
	s_mov_b32 s22, 0
	s_mov_b32 s21, s19
                                        ; implicit-def: $vgpr2_vgpr3
	s_branch .LBB126_417
.LBB126_290:
	s_mov_b32 s27, -1
	s_mov_b32 s26, 0
	s_mov_b32 s0, s18
	s_branch .LBB126_313
.LBB126_291:
	s_and_not1_saveexec_b32 s26, s26
	s_cbranch_execz .LBB126_58
.LBB126_292:
	v_add_f32_e32 v2, 0x46000000, v3
	s_and_not1_b32 s25, s25, exec_lo
	s_delay_alu instid0(VALU_DEP_1) | instskip(NEXT) | instid1(VALU_DEP_1)
	v_and_b32_e32 v2, 0xff, v2
	v_cmp_ne_u32_e32 vcc_lo, 0, v2
	s_and_b32 s27, vcc_lo, exec_lo
	s_delay_alu instid0(SALU_CYCLE_1)
	s_or_b32 s25, s25, s27
	s_or_b32 exec_lo, exec_lo, s26
	v_mov_b32_e32 v4, 0
	s_and_saveexec_b32 s26, s25
	s_cbranch_execnz .LBB126_59
	s_branch .LBB126_60
.LBB126_293:
	s_mov_b32 s24, -1
	s_mov_b32 s22, 0
	s_mov_b32 s21, s19
	s_branch .LBB126_298
.LBB126_294:
	s_mov_b32 s27, -1
	s_mov_b32 s26, 0
	s_mov_b32 s0, s18
	s_branch .LBB126_309
.LBB126_295:
	s_and_not1_saveexec_b32 s26, s26
	s_cbranch_execz .LBB126_71
.LBB126_296:
	v_add_f32_e32 v2, 0x42800000, v3
	s_and_not1_b32 s25, s25, exec_lo
	s_delay_alu instid0(VALU_DEP_1) | instskip(NEXT) | instid1(VALU_DEP_1)
	v_and_b32_e32 v2, 0xff, v2
	v_cmp_ne_u32_e32 vcc_lo, 0, v2
	s_and_b32 s27, vcc_lo, exec_lo
	s_delay_alu instid0(SALU_CYCLE_1)
	s_or_b32 s25, s25, s27
	s_or_b32 exec_lo, exec_lo, s26
	v_mov_b32_e32 v4, 0
	s_and_saveexec_b32 s26, s25
	s_cbranch_execnz .LBB126_72
	s_branch .LBB126_73
.LBB126_297:
	s_mov_b32 s21, -1
	s_mov_b32 s22, 0
.LBB126_298:
                                        ; implicit-def: $vgpr2_vgpr3
.LBB126_299:
	s_and_b32 vcc_lo, exec_lo, s24
	s_cbranch_vccz .LBB126_416
; %bb.300:
	s_cmp_eq_u32 s0, 44
	s_cbranch_scc0 .LBB126_414
; %bb.301:
	global_load_u8 v2, v[4:5], off
	s_mov_b32 s21, 0
	s_mov_b32 s22, -1
	s_wait_loadcnt 0x0
	v_cmp_ne_u32_e32 vcc_lo, 0xff, v2
	v_lshlrev_b32_e32 v0, 23, v2
	s_delay_alu instid0(VALU_DEP_1) | instskip(NEXT) | instid1(VALU_DEP_1)
	v_cvt_f64_f32_e32 v[0:1], v0
	v_cndmask_b32_e32 v0, 0x20000000, v0, vcc_lo
	s_delay_alu instid0(VALU_DEP_2) | instskip(SKIP_1) | instid1(VALU_DEP_2)
	v_cndmask_b32_e32 v1, 0x7ff80000, v1, vcc_lo
	v_cmp_ne_u32_e32 vcc_lo, 0, v2
	v_cndmask_b32_e32 v1, 0x38000000, v1, vcc_lo
	s_delay_alu instid0(VALU_DEP_4)
	v_cndmask_b32_e32 v0, 0, v0, vcc_lo
	s_branch .LBB126_415
.LBB126_302:
	s_mov_b32 s27, -1
	s_mov_b32 s26, 0
	s_mov_b32 s0, s18
.LBB126_303:
	s_and_b32 vcc_lo, exec_lo, s27
	s_cbranch_vccz .LBB126_308
; %bb.304:
	s_cmp_eq_u32 s25, 44
	s_mov_b32 s0, -1
	s_cbranch_scc0 .LBB126_308
; %bb.305:
	s_wait_xcnt 0x0
	v_cndmask_b32_e64 v4, 0, 1.0, s22
	s_mov_b32 s26, exec_lo
	s_delay_alu instid0(VALU_DEP_1) | instskip(NEXT) | instid1(VALU_DEP_1)
	v_dual_mov_b32 v3, 0xff :: v_dual_lshrrev_b32 v2, 23, v4
	v_cmpx_ne_u32_e32 0xff, v2
; %bb.306:
	v_and_b32_e32 v3, 0x400000, v4
	v_and_or_b32 v4, 0x3fffff, v4, v2
	s_delay_alu instid0(VALU_DEP_2) | instskip(NEXT) | instid1(VALU_DEP_2)
	v_cmp_ne_u32_e32 vcc_lo, 0, v3
	v_cmp_ne_u32_e64 s0, 0, v4
	s_and_b32 s0, vcc_lo, s0
	s_delay_alu instid0(SALU_CYCLE_1) | instskip(NEXT) | instid1(VALU_DEP_1)
	v_cndmask_b32_e64 v3, 0, 1, s0
	v_add_nc_u32_e32 v3, v2, v3
; %bb.307:
	s_or_b32 exec_lo, exec_lo, s26
	s_mov_b32 s26, -1
	s_mov_b32 s0, 0
	global_store_b8 v[0:1], v3, off
.LBB126_308:
	s_mov_b32 s27, 0
.LBB126_309:
	s_delay_alu instid0(SALU_CYCLE_1)
	s_and_b32 vcc_lo, exec_lo, s27
	s_cbranch_vccz .LBB126_312
; %bb.310:
	s_cmp_eq_u32 s25, 29
	s_mov_b32 s0, -1
	s_cbranch_scc0 .LBB126_312
; %bb.311:
	s_mov_b32 s0, 0
	s_wait_xcnt 0x0
	v_cndmask_b32_e64 v2, 0, 1, s22
	v_mov_b32_e32 v3, s0
	s_mov_b32 s26, -1
	s_mov_b32 s27, 0
	global_store_b64 v[0:1], v[2:3], off
	s_branch .LBB126_313
.LBB126_312:
	s_mov_b32 s27, 0
.LBB126_313:
	s_delay_alu instid0(SALU_CYCLE_1)
	s_and_b32 vcc_lo, exec_lo, s27
	s_cbranch_vccz .LBB126_329
; %bb.314:
	s_cmp_lt_i32 s25, 27
	s_mov_b32 s26, -1
	s_cbranch_scc1 .LBB126_320
; %bb.315:
	s_cmp_gt_i32 s25, 27
	s_cbranch_scc0 .LBB126_317
; %bb.316:
	s_wait_xcnt 0x0
	v_cndmask_b32_e64 v2, 0, 1, s22
	s_mov_b32 s26, 0
	global_store_b32 v[0:1], v2, off
.LBB126_317:
	s_and_not1_b32 vcc_lo, exec_lo, s26
	s_cbranch_vccnz .LBB126_319
; %bb.318:
	s_wait_xcnt 0x0
	v_cndmask_b32_e64 v2, 0, 1, s22
	global_store_b16 v[0:1], v2, off
.LBB126_319:
	s_mov_b32 s26, 0
.LBB126_320:
	s_delay_alu instid0(SALU_CYCLE_1)
	s_and_not1_b32 vcc_lo, exec_lo, s26
	s_cbranch_vccnz .LBB126_328
; %bb.321:
	s_wait_xcnt 0x0
	v_cndmask_b32_e64 v3, 0, 1.0, s22
	v_mov_b32_e32 v4, 0x80
	s_mov_b32 s26, exec_lo
	s_delay_alu instid0(VALU_DEP_2)
	v_cmpx_gt_u32_e32 0x43800000, v3
	s_cbranch_execz .LBB126_327
; %bb.322:
	s_mov_b32 s27, 0
	s_mov_b32 s28, exec_lo
                                        ; implicit-def: $vgpr2
	v_cmpx_lt_u32_e32 0x3bffffff, v3
	s_xor_b32 s28, exec_lo, s28
	s_cbranch_execz .LBB126_545
; %bb.323:
	v_bfe_u32 v2, v3, 20, 1
	s_mov_b32 s27, exec_lo
	s_delay_alu instid0(VALU_DEP_1) | instskip(NEXT) | instid1(VALU_DEP_1)
	v_add3_u32 v2, v3, v2, 0x487ffff
                                        ; implicit-def: $vgpr3
	v_lshrrev_b32_e32 v2, 20, v2
	s_and_not1_saveexec_b32 s28, s28
	s_cbranch_execnz .LBB126_546
.LBB126_324:
	s_or_b32 exec_lo, exec_lo, s28
	v_mov_b32_e32 v4, 0
	s_and_saveexec_b32 s28, s27
.LBB126_325:
	v_mov_b32_e32 v4, v2
.LBB126_326:
	s_or_b32 exec_lo, exec_lo, s28
.LBB126_327:
	s_delay_alu instid0(SALU_CYCLE_1)
	s_or_b32 exec_lo, exec_lo, s26
	global_store_b8 v[0:1], v4, off
.LBB126_328:
	s_mov_b32 s26, -1
.LBB126_329:
	s_mov_b32 s27, 0
.LBB126_330:
	s_delay_alu instid0(SALU_CYCLE_1)
	s_and_b32 vcc_lo, exec_lo, s27
	s_cbranch_vccz .LBB126_371
; %bb.331:
	s_cmp_gt_i32 s25, 22
	s_mov_b32 s27, -1
	s_cbranch_scc0 .LBB126_363
; %bb.332:
	s_cmp_lt_i32 s25, 24
	s_mov_b32 s26, -1
	s_cbranch_scc1 .LBB126_352
; %bb.333:
	s_cmp_gt_i32 s25, 24
	s_cbranch_scc0 .LBB126_341
; %bb.334:
	s_wait_xcnt 0x0
	v_cndmask_b32_e64 v3, 0, 1.0, s22
	v_mov_b32_e32 v4, 0x80
	s_mov_b32 s26, exec_lo
	s_delay_alu instid0(VALU_DEP_2)
	v_cmpx_gt_u32_e32 0x47800000, v3
	s_cbranch_execz .LBB126_340
; %bb.335:
	s_mov_b32 s27, 0
	s_mov_b32 s28, exec_lo
                                        ; implicit-def: $vgpr2
	v_cmpx_lt_u32_e32 0x37ffffff, v3
	s_xor_b32 s28, exec_lo, s28
	s_cbranch_execz .LBB126_548
; %bb.336:
	v_bfe_u32 v2, v3, 21, 1
	s_mov_b32 s27, exec_lo
	s_delay_alu instid0(VALU_DEP_1) | instskip(NEXT) | instid1(VALU_DEP_1)
	v_add3_u32 v2, v3, v2, 0x88fffff
                                        ; implicit-def: $vgpr3
	v_lshrrev_b32_e32 v2, 21, v2
	s_and_not1_saveexec_b32 s28, s28
	s_cbranch_execnz .LBB126_549
.LBB126_337:
	s_or_b32 exec_lo, exec_lo, s28
	v_mov_b32_e32 v4, 0
	s_and_saveexec_b32 s28, s27
.LBB126_338:
	v_mov_b32_e32 v4, v2
.LBB126_339:
	s_or_b32 exec_lo, exec_lo, s28
.LBB126_340:
	s_delay_alu instid0(SALU_CYCLE_1)
	s_or_b32 exec_lo, exec_lo, s26
	s_mov_b32 s26, 0
	global_store_b8 v[0:1], v4, off
.LBB126_341:
	s_and_b32 vcc_lo, exec_lo, s26
	s_cbranch_vccz .LBB126_351
; %bb.342:
	s_wait_xcnt 0x0
	v_cndmask_b32_e64 v3, 0, 1.0, s22
	s_mov_b32 s26, exec_lo
                                        ; implicit-def: $vgpr2
	s_delay_alu instid0(VALU_DEP_1)
	v_cmpx_gt_u32_e32 0x43f00000, v3
	s_xor_b32 s26, exec_lo, s26
	s_cbranch_execz .LBB126_348
; %bb.343:
	s_mov_b32 s27, exec_lo
                                        ; implicit-def: $vgpr2
	v_cmpx_lt_u32_e32 0x3c7fffff, v3
	s_xor_b32 s27, exec_lo, s27
; %bb.344:
	v_bfe_u32 v2, v3, 20, 1
	s_delay_alu instid0(VALU_DEP_1) | instskip(NEXT) | instid1(VALU_DEP_1)
	v_add3_u32 v2, v3, v2, 0x407ffff
	v_and_b32_e32 v3, 0xff00000, v2
	v_lshrrev_b32_e32 v2, 20, v2
	s_delay_alu instid0(VALU_DEP_2) | instskip(NEXT) | instid1(VALU_DEP_2)
	v_cmp_ne_u32_e32 vcc_lo, 0x7f00000, v3
                                        ; implicit-def: $vgpr3
	v_cndmask_b32_e32 v2, 0x7e, v2, vcc_lo
; %bb.345:
	s_and_not1_saveexec_b32 s27, s27
; %bb.346:
	v_add_f32_e32 v2, 0x46800000, v3
; %bb.347:
	s_or_b32 exec_lo, exec_lo, s27
                                        ; implicit-def: $vgpr3
.LBB126_348:
	s_and_not1_saveexec_b32 s26, s26
; %bb.349:
	v_mov_b32_e32 v2, 0x7f
	v_cmp_lt_u32_e32 vcc_lo, 0x7f800000, v3
	s_delay_alu instid0(VALU_DEP_2)
	v_cndmask_b32_e32 v2, 0x7e, v2, vcc_lo
; %bb.350:
	s_or_b32 exec_lo, exec_lo, s26
	global_store_b8 v[0:1], v2, off
.LBB126_351:
	s_mov_b32 s26, 0
.LBB126_352:
	s_delay_alu instid0(SALU_CYCLE_1)
	s_and_not1_b32 vcc_lo, exec_lo, s26
	s_cbranch_vccnz .LBB126_362
; %bb.353:
	s_wait_xcnt 0x0
	v_cndmask_b32_e64 v3, 0, 1.0, s22
	s_mov_b32 s26, exec_lo
                                        ; implicit-def: $vgpr2
	s_delay_alu instid0(VALU_DEP_1)
	v_cmpx_gt_u32_e32 0x47800000, v3
	s_xor_b32 s26, exec_lo, s26
	s_cbranch_execz .LBB126_359
; %bb.354:
	s_mov_b32 s27, exec_lo
                                        ; implicit-def: $vgpr2
	v_cmpx_lt_u32_e32 0x387fffff, v3
	s_xor_b32 s27, exec_lo, s27
; %bb.355:
	v_bfe_u32 v2, v3, 21, 1
	s_delay_alu instid0(VALU_DEP_1) | instskip(NEXT) | instid1(VALU_DEP_1)
	v_add3_u32 v2, v3, v2, 0x80fffff
                                        ; implicit-def: $vgpr3
	v_lshrrev_b32_e32 v2, 21, v2
; %bb.356:
	s_and_not1_saveexec_b32 s27, s27
; %bb.357:
	v_add_f32_e32 v2, 0x43000000, v3
; %bb.358:
	s_or_b32 exec_lo, exec_lo, s27
                                        ; implicit-def: $vgpr3
.LBB126_359:
	s_and_not1_saveexec_b32 s26, s26
; %bb.360:
	v_mov_b32_e32 v2, 0x7f
	v_cmp_lt_u32_e32 vcc_lo, 0x7f800000, v3
	s_delay_alu instid0(VALU_DEP_2)
	v_cndmask_b32_e32 v2, 0x7c, v2, vcc_lo
; %bb.361:
	s_or_b32 exec_lo, exec_lo, s26
	global_store_b8 v[0:1], v2, off
.LBB126_362:
	s_mov_b32 s27, 0
	s_mov_b32 s26, -1
.LBB126_363:
	s_and_not1_b32 vcc_lo, exec_lo, s27
	s_cbranch_vccnz .LBB126_371
; %bb.364:
	s_cmp_gt_i32 s25, 14
	s_mov_b32 s27, -1
	s_cbranch_scc0 .LBB126_368
; %bb.365:
	s_cmp_eq_u32 s25, 15
	s_mov_b32 s0, -1
	s_cbranch_scc0 .LBB126_367
; %bb.366:
	s_wait_xcnt 0x0
	v_cndmask_b32_e64 v2, 0, 1.0, s22
	s_mov_b32 s26, -1
	s_mov_b32 s0, 0
	s_delay_alu instid0(VALU_DEP_1) | instskip(NEXT) | instid1(VALU_DEP_1)
	v_bfe_u32 v3, v2, 16, 1
	v_add3_u32 v2, v2, v3, 0x7fff
	global_store_d16_hi_b16 v[0:1], v2, off
.LBB126_367:
	s_mov_b32 s27, 0
.LBB126_368:
	s_delay_alu instid0(SALU_CYCLE_1)
	s_and_b32 vcc_lo, exec_lo, s27
	s_cbranch_vccz .LBB126_371
; %bb.369:
	s_cmp_eq_u32 s25, 11
	s_mov_b32 s0, -1
	s_cbranch_scc0 .LBB126_371
; %bb.370:
	s_wait_xcnt 0x0
	v_cndmask_b32_e64 v2, 0, 1, s22
	s_mov_b32 s26, -1
	s_mov_b32 s0, 0
	global_store_b8 v[0:1], v2, off
.LBB126_371:
	s_mov_b32 s25, 0
.LBB126_372:
	s_delay_alu instid0(SALU_CYCLE_1)
	s_and_b32 vcc_lo, exec_lo, s25
	s_cbranch_vccz .LBB126_411
; %bb.373:
	s_and_b32 s24, 0xffff, s24
	s_mov_b32 s25, -1
	s_cmp_lt_i32 s24, 5
	s_cbranch_scc1 .LBB126_394
; %bb.374:
	s_cmp_lt_i32 s24, 8
	s_cbranch_scc1 .LBB126_384
; %bb.375:
	;; [unrolled: 3-line block ×3, first 2 shown]
	s_cmp_gt_i32 s24, 9
	s_cbranch_scc0 .LBB126_378
; %bb.377:
	s_wait_xcnt 0x0
	v_cndmask_b32_e64 v2, 0, 1, s22
	v_mov_b32_e32 v4, 0
	s_mov_b32 s25, 0
	s_delay_alu instid0(VALU_DEP_2) | instskip(NEXT) | instid1(VALU_DEP_2)
	v_cvt_f64_u32_e32 v[2:3], v2
	v_mov_b32_e32 v5, v4
	global_store_b128 v[0:1], v[2:5], off
.LBB126_378:
	s_and_not1_b32 vcc_lo, exec_lo, s25
	s_cbranch_vccnz .LBB126_380
; %bb.379:
	s_wait_xcnt 0x0
	v_cndmask_b32_e64 v2, 0, 1.0, s22
	v_mov_b32_e32 v3, 0
	global_store_b64 v[0:1], v[2:3], off
.LBB126_380:
	s_mov_b32 s25, 0
.LBB126_381:
	s_delay_alu instid0(SALU_CYCLE_1)
	s_and_not1_b32 vcc_lo, exec_lo, s25
	s_cbranch_vccnz .LBB126_383
; %bb.382:
	s_wait_xcnt 0x0
	v_cndmask_b32_e64 v2, 0, 1.0, s22
	s_delay_alu instid0(VALU_DEP_1) | instskip(NEXT) | instid1(VALU_DEP_1)
	v_cvt_f16_f32_e32 v2, v2
	v_and_b32_e32 v2, 0xffff, v2
	global_store_b32 v[0:1], v2, off
.LBB126_383:
	s_mov_b32 s25, 0
.LBB126_384:
	s_delay_alu instid0(SALU_CYCLE_1)
	s_and_not1_b32 vcc_lo, exec_lo, s25
	s_cbranch_vccnz .LBB126_393
; %bb.385:
	s_cmp_lt_i32 s24, 6
	s_mov_b32 s25, -1
	s_cbranch_scc1 .LBB126_391
; %bb.386:
	s_cmp_gt_i32 s24, 6
	s_cbranch_scc0 .LBB126_388
; %bb.387:
	s_wait_xcnt 0x0
	v_cndmask_b32_e64 v2, 0, 1, s22
	s_mov_b32 s25, 0
	s_delay_alu instid0(VALU_DEP_1)
	v_cvt_f64_u32_e32 v[2:3], v2
	global_store_b64 v[0:1], v[2:3], off
.LBB126_388:
	s_and_not1_b32 vcc_lo, exec_lo, s25
	s_cbranch_vccnz .LBB126_390
; %bb.389:
	s_wait_xcnt 0x0
	v_cndmask_b32_e64 v2, 0, 1.0, s22
	global_store_b32 v[0:1], v2, off
.LBB126_390:
	s_mov_b32 s25, 0
.LBB126_391:
	s_delay_alu instid0(SALU_CYCLE_1)
	s_and_not1_b32 vcc_lo, exec_lo, s25
	s_cbranch_vccnz .LBB126_393
; %bb.392:
	s_wait_xcnt 0x0
	v_cndmask_b32_e64 v2, 0, 1.0, s22
	s_delay_alu instid0(VALU_DEP_1)
	v_cvt_f16_f32_e32 v2, v2
	global_store_b16 v[0:1], v2, off
.LBB126_393:
	s_mov_b32 s25, 0
.LBB126_394:
	s_delay_alu instid0(SALU_CYCLE_1)
	s_and_not1_b32 vcc_lo, exec_lo, s25
	s_cbranch_vccnz .LBB126_410
; %bb.395:
	s_cmp_lt_i32 s24, 2
	s_mov_b32 s25, -1
	s_cbranch_scc1 .LBB126_405
; %bb.396:
	s_cmp_lt_i32 s24, 3
	s_cbranch_scc1 .LBB126_402
; %bb.397:
	s_cmp_gt_i32 s24, 3
	s_cbranch_scc0 .LBB126_399
; %bb.398:
	s_mov_b32 s25, 0
	s_wait_xcnt 0x0
	v_cndmask_b32_e64 v2, 0, 1, s22
	v_mov_b32_e32 v3, s25
	global_store_b64 v[0:1], v[2:3], off
.LBB126_399:
	s_and_not1_b32 vcc_lo, exec_lo, s25
	s_cbranch_vccnz .LBB126_401
; %bb.400:
	s_wait_xcnt 0x0
	v_cndmask_b32_e64 v2, 0, 1, s22
	global_store_b32 v[0:1], v2, off
.LBB126_401:
	s_mov_b32 s25, 0
.LBB126_402:
	s_delay_alu instid0(SALU_CYCLE_1)
	s_and_not1_b32 vcc_lo, exec_lo, s25
	s_cbranch_vccnz .LBB126_404
; %bb.403:
	s_wait_xcnt 0x0
	v_cndmask_b32_e64 v2, 0, 1, s22
	global_store_b16 v[0:1], v2, off
.LBB126_404:
	s_mov_b32 s25, 0
.LBB126_405:
	s_delay_alu instid0(SALU_CYCLE_1)
	s_and_not1_b32 vcc_lo, exec_lo, s25
	s_cbranch_vccnz .LBB126_410
; %bb.406:
	s_wait_xcnt 0x0
	v_cndmask_b32_e64 v2, 0, 1, s22
	s_cmp_gt_i32 s24, 0
	s_mov_b32 s22, -1
	s_cbranch_scc0 .LBB126_408
; %bb.407:
	s_mov_b32 s22, 0
	global_store_b8 v[0:1], v2, off
.LBB126_408:
	s_and_not1_b32 vcc_lo, exec_lo, s22
	s_cbranch_vccnz .LBB126_410
; %bb.409:
	global_store_b8 v[0:1], v2, off
.LBB126_410:
	s_mov_b32 s26, -1
.LBB126_411:
	s_delay_alu instid0(SALU_CYCLE_1)
	s_and_not1_b32 vcc_lo, exec_lo, s26
	s_cbranch_vccnz .LBB126_413
; %bb.412:
	v_add_nc_u32_e32 v8, 0x80, v8
	s_mov_b32 s24, -1
	s_branch .LBB126_531
.LBB126_413:
	s_mov_b32 s24, 0
	s_branch .LBB126_530
.LBB126_414:
	s_mov_b32 s21, -1
                                        ; implicit-def: $vgpr0_vgpr1
.LBB126_415:
	v_mov_b64_e32 v[2:3], 0
.LBB126_416:
	s_mov_b32 s24, 0
.LBB126_417:
	s_delay_alu instid0(SALU_CYCLE_1)
	s_and_b32 vcc_lo, exec_lo, s24
	s_cbranch_vccz .LBB126_422
; %bb.418:
	s_cmp_eq_u32 s0, 29
	s_cbranch_scc0 .LBB126_420
; %bb.419:
	global_load_b64 v[0:1], v[4:5], off
	s_mov_b32 s22, -1
	s_mov_b32 s21, 0
	s_wait_loadcnt 0x0
	v_cvt_f64_u32_e32 v[2:3], v1
	v_cvt_f64_u32_e32 v[0:1], v0
	s_delay_alu instid0(VALU_DEP_2) | instskip(NEXT) | instid1(VALU_DEP_1)
	v_ldexp_f64 v[2:3], v[2:3], 32
	v_add_f64_e32 v[0:1], v[2:3], v[0:1]
	s_branch .LBB126_421
.LBB126_420:
	s_mov_b32 s21, -1
                                        ; implicit-def: $vgpr0_vgpr1
.LBB126_421:
	v_mov_b64_e32 v[2:3], 0
.LBB126_422:
	s_mov_b32 s24, 0
.LBB126_423:
	s_delay_alu instid0(SALU_CYCLE_1)
	s_and_b32 vcc_lo, exec_lo, s24
	s_cbranch_vccz .LBB126_441
; %bb.424:
	s_cmp_lt_i32 s0, 27
	s_cbranch_scc1 .LBB126_427
; %bb.425:
	s_cmp_gt_i32 s0, 27
	s_cbranch_scc0 .LBB126_428
; %bb.426:
	global_load_b32 v0, v[4:5], off
	s_mov_b32 s22, 0
	s_wait_loadcnt 0x0
	v_cvt_f64_u32_e32 v[0:1], v0
	s_branch .LBB126_429
.LBB126_427:
	s_mov_b32 s22, -1
                                        ; implicit-def: $vgpr0_vgpr1
	s_branch .LBB126_432
.LBB126_428:
	s_mov_b32 s22, -1
                                        ; implicit-def: $vgpr0_vgpr1
.LBB126_429:
	s_delay_alu instid0(SALU_CYCLE_1)
	s_and_not1_b32 vcc_lo, exec_lo, s22
	s_cbranch_vccnz .LBB126_431
; %bb.430:
	global_load_u16 v0, v[4:5], off
	s_wait_loadcnt 0x0
	v_cvt_f64_u32_e32 v[0:1], v0
.LBB126_431:
	s_mov_b32 s22, 0
.LBB126_432:
	s_delay_alu instid0(SALU_CYCLE_1)
	s_and_not1_b32 vcc_lo, exec_lo, s22
	s_cbranch_vccnz .LBB126_440
; %bb.433:
	global_load_u8 v2, v[4:5], off
	s_mov_b32 s22, 0
	s_mov_b32 s24, exec_lo
	s_wait_loadcnt 0x0
	v_cmpx_lt_i16_e32 0x7f, v2
	s_xor_b32 s24, exec_lo, s24
	s_cbranch_execz .LBB126_454
; %bb.434:
	s_mov_b32 s22, -1
	s_mov_b32 s25, exec_lo
	v_cmpx_eq_u16_e32 0x80, v2
; %bb.435:
	s_xor_b32 s22, exec_lo, -1
; %bb.436:
	s_or_b32 exec_lo, exec_lo, s25
	s_delay_alu instid0(SALU_CYCLE_1)
	s_and_b32 s22, s22, exec_lo
	s_or_saveexec_b32 s24, s24
	v_mov_b64_e32 v[0:1], 0x7ff8000020000000
	s_xor_b32 exec_lo, exec_lo, s24
	s_cbranch_execnz .LBB126_455
.LBB126_437:
	s_or_b32 exec_lo, exec_lo, s24
	s_and_saveexec_b32 s24, s22
	s_cbranch_execz .LBB126_439
.LBB126_438:
	v_and_b32_e32 v0, 0xffff, v2
	s_delay_alu instid0(VALU_DEP_1) | instskip(SKIP_1) | instid1(VALU_DEP_2)
	v_and_b32_e32 v1, 7, v0
	v_bfe_u32 v7, v0, 3, 4
	v_clz_i32_u32_e32 v3, v1
	s_delay_alu instid0(VALU_DEP_2) | instskip(NEXT) | instid1(VALU_DEP_2)
	v_cmp_eq_u32_e32 vcc_lo, 0, v7
	v_min_u32_e32 v3, 32, v3
	s_delay_alu instid0(VALU_DEP_1) | instskip(NEXT) | instid1(VALU_DEP_1)
	v_subrev_nc_u32_e32 v6, 28, v3
	v_dual_lshlrev_b32 v0, v6, v0 :: v_dual_sub_nc_u32 v3, 29, v3
	s_delay_alu instid0(VALU_DEP_1) | instskip(NEXT) | instid1(VALU_DEP_1)
	v_dual_lshlrev_b32 v2, 24, v2 :: v_dual_bitop2_b32 v0, 7, v0 bitop3:0x40
	v_dual_cndmask_b32 v3, v7, v3 :: v_dual_cndmask_b32 v0, v1, v0
	s_delay_alu instid0(VALU_DEP_2) | instskip(NEXT) | instid1(VALU_DEP_2)
	v_and_b32_e32 v1, 0x80000000, v2
	v_lshl_add_u32 v2, v3, 23, 0x3b800000
	s_delay_alu instid0(VALU_DEP_3) | instskip(NEXT) | instid1(VALU_DEP_1)
	v_lshlrev_b32_e32 v0, 20, v0
	v_or3_b32 v0, v1, v2, v0
	s_delay_alu instid0(VALU_DEP_1)
	v_cvt_f64_f32_e32 v[0:1], v0
.LBB126_439:
	s_or_b32 exec_lo, exec_lo, s24
.LBB126_440:
	v_mov_b64_e32 v[2:3], 0
	s_mov_b32 s22, -1
.LBB126_441:
	s_mov_b32 s24, 0
.LBB126_442:
	s_delay_alu instid0(SALU_CYCLE_1)
	s_and_b32 vcc_lo, exec_lo, s24
	s_cbranch_vccz .LBB126_478
; %bb.443:
	s_cmp_gt_i32 s0, 22
	s_cbranch_scc0 .LBB126_453
; %bb.444:
	s_cmp_lt_i32 s0, 24
	s_cbranch_scc1 .LBB126_456
; %bb.445:
	s_cmp_gt_i32 s0, 24
	s_cbranch_scc0 .LBB126_457
; %bb.446:
	global_load_u8 v2, v[4:5], off
	s_mov_b32 s22, 0
	s_mov_b32 s24, exec_lo
	s_wait_loadcnt 0x0
	v_cmpx_lt_i16_e32 0x7f, v2
	s_xor_b32 s24, exec_lo, s24
	s_cbranch_execz .LBB126_469
; %bb.447:
	s_mov_b32 s22, -1
	s_mov_b32 s25, exec_lo
	v_cmpx_eq_u16_e32 0x80, v2
; %bb.448:
	s_xor_b32 s22, exec_lo, -1
; %bb.449:
	s_or_b32 exec_lo, exec_lo, s25
	s_delay_alu instid0(SALU_CYCLE_1)
	s_and_b32 s22, s22, exec_lo
	s_or_saveexec_b32 s24, s24
	v_mov_b64_e32 v[0:1], 0x7ff8000020000000
	s_xor_b32 exec_lo, exec_lo, s24
	s_cbranch_execnz .LBB126_470
.LBB126_450:
	s_or_b32 exec_lo, exec_lo, s24
	s_and_saveexec_b32 s24, s22
	s_cbranch_execz .LBB126_452
.LBB126_451:
	v_and_b32_e32 v0, 0xffff, v2
	s_delay_alu instid0(VALU_DEP_1) | instskip(SKIP_1) | instid1(VALU_DEP_2)
	v_and_b32_e32 v1, 3, v0
	v_bfe_u32 v7, v0, 2, 5
	v_clz_i32_u32_e32 v3, v1
	s_delay_alu instid0(VALU_DEP_2) | instskip(NEXT) | instid1(VALU_DEP_2)
	v_cmp_eq_u32_e32 vcc_lo, 0, v7
	v_min_u32_e32 v3, 32, v3
	s_delay_alu instid0(VALU_DEP_1) | instskip(NEXT) | instid1(VALU_DEP_1)
	v_subrev_nc_u32_e32 v6, 29, v3
	v_dual_lshlrev_b32 v0, v6, v0 :: v_dual_sub_nc_u32 v3, 30, v3
	s_delay_alu instid0(VALU_DEP_1) | instskip(NEXT) | instid1(VALU_DEP_1)
	v_dual_lshlrev_b32 v2, 24, v2 :: v_dual_bitop2_b32 v0, 3, v0 bitop3:0x40
	v_dual_cndmask_b32 v3, v7, v3 :: v_dual_cndmask_b32 v0, v1, v0
	s_delay_alu instid0(VALU_DEP_2) | instskip(NEXT) | instid1(VALU_DEP_2)
	v_and_b32_e32 v1, 0x80000000, v2
	v_lshl_add_u32 v2, v3, 23, 0x37800000
	s_delay_alu instid0(VALU_DEP_3) | instskip(NEXT) | instid1(VALU_DEP_1)
	v_lshlrev_b32_e32 v0, 21, v0
	v_or3_b32 v0, v1, v2, v0
	s_delay_alu instid0(VALU_DEP_1)
	v_cvt_f64_f32_e32 v[0:1], v0
.LBB126_452:
	s_or_b32 exec_lo, exec_lo, s24
	s_mov_b32 s22, 0
	s_branch .LBB126_458
.LBB126_453:
	s_mov_b32 s24, -1
                                        ; implicit-def: $vgpr0_vgpr1
	s_branch .LBB126_464
.LBB126_454:
	s_or_saveexec_b32 s24, s24
	v_mov_b64_e32 v[0:1], 0x7ff8000020000000
	s_xor_b32 exec_lo, exec_lo, s24
	s_cbranch_execz .LBB126_437
.LBB126_455:
	v_cmp_ne_u16_e32 vcc_lo, 0, v2
	v_mov_b64_e32 v[0:1], 0
	s_and_not1_b32 s22, s22, exec_lo
	s_and_b32 s25, vcc_lo, exec_lo
	s_delay_alu instid0(SALU_CYCLE_1)
	s_or_b32 s22, s22, s25
	s_or_b32 exec_lo, exec_lo, s24
	s_and_saveexec_b32 s24, s22
	s_cbranch_execnz .LBB126_438
	s_branch .LBB126_439
.LBB126_456:
	s_mov_b32 s22, -1
                                        ; implicit-def: $vgpr0_vgpr1
	s_branch .LBB126_461
.LBB126_457:
	s_mov_b32 s22, -1
                                        ; implicit-def: $vgpr0_vgpr1
.LBB126_458:
	s_delay_alu instid0(SALU_CYCLE_1)
	s_and_b32 vcc_lo, exec_lo, s22
	s_cbranch_vccz .LBB126_460
; %bb.459:
	global_load_u8 v0, v[4:5], off
	s_wait_loadcnt 0x0
	v_lshlrev_b32_e32 v0, 24, v0
	s_delay_alu instid0(VALU_DEP_1) | instskip(NEXT) | instid1(VALU_DEP_1)
	v_and_b32_e32 v1, 0x7f000000, v0
	v_clz_i32_u32_e32 v2, v1
	v_cmp_ne_u32_e32 vcc_lo, 0, v1
	v_add_nc_u32_e32 v6, 0x1000000, v1
	s_delay_alu instid0(VALU_DEP_3) | instskip(NEXT) | instid1(VALU_DEP_1)
	v_min_u32_e32 v2, 32, v2
	v_sub_nc_u32_e64 v2, v2, 4 clamp
	s_delay_alu instid0(VALU_DEP_1) | instskip(NEXT) | instid1(VALU_DEP_1)
	v_dual_lshlrev_b32 v3, v2, v1 :: v_dual_lshlrev_b32 v2, 23, v2
	v_lshrrev_b32_e32 v3, 4, v3
	s_delay_alu instid0(VALU_DEP_1) | instskip(SKIP_1) | instid1(VALU_DEP_2)
	v_sub_nc_u32_e32 v2, v3, v2
	v_ashrrev_i32_e32 v3, 8, v6
	v_add_nc_u32_e32 v2, 0x3c000000, v2
	s_delay_alu instid0(VALU_DEP_1) | instskip(NEXT) | instid1(VALU_DEP_1)
	v_and_or_b32 v2, 0x7f800000, v3, v2
	v_cndmask_b32_e32 v1, 0, v2, vcc_lo
	s_delay_alu instid0(VALU_DEP_1) | instskip(NEXT) | instid1(VALU_DEP_1)
	v_and_or_b32 v0, 0x80000000, v0, v1
	v_cvt_f64_f32_e32 v[0:1], v0
.LBB126_460:
	s_mov_b32 s22, 0
.LBB126_461:
	s_delay_alu instid0(SALU_CYCLE_1)
	s_and_not1_b32 vcc_lo, exec_lo, s22
	s_cbranch_vccnz .LBB126_463
; %bb.462:
	global_load_u8 v0, v[4:5], off
	s_wait_loadcnt 0x0
	v_lshlrev_b32_e32 v1, 25, v0
	v_lshlrev_b16 v0, 8, v0
	s_delay_alu instid0(VALU_DEP_1) | instskip(SKIP_1) | instid1(VALU_DEP_2)
	v_and_or_b32 v3, 0x7f00, v0, 0.5
	v_bfe_i32 v0, v0, 0, 16
	v_dual_add_f32 v3, -0.5, v3 :: v_dual_lshrrev_b32 v2, 4, v1
	v_cmp_gt_u32_e32 vcc_lo, 0x8000000, v1
	s_delay_alu instid0(VALU_DEP_2) | instskip(NEXT) | instid1(VALU_DEP_1)
	v_or_b32_e32 v2, 0x70000000, v2
	v_mul_f32_e32 v2, 0x7800000, v2
	s_delay_alu instid0(VALU_DEP_1) | instskip(NEXT) | instid1(VALU_DEP_1)
	v_cndmask_b32_e32 v1, v2, v3, vcc_lo
	v_and_or_b32 v0, 0x80000000, v0, v1
	s_delay_alu instid0(VALU_DEP_1)
	v_cvt_f64_f32_e32 v[0:1], v0
.LBB126_463:
	s_mov_b32 s24, 0
	s_mov_b32 s22, -1
.LBB126_464:
	s_and_not1_b32 vcc_lo, exec_lo, s24
	s_cbranch_vccnz .LBB126_477
; %bb.465:
	s_cmp_gt_i32 s0, 14
	s_cbranch_scc0 .LBB126_468
; %bb.466:
	s_cmp_eq_u32 s0, 15
	s_cbranch_scc0 .LBB126_471
; %bb.467:
	global_load_u16 v0, v[4:5], off
	s_mov_b32 s22, -1
	s_mov_b32 s21, 0
	s_wait_loadcnt 0x0
	v_lshlrev_b32_e32 v0, 16, v0
	s_delay_alu instid0(VALU_DEP_1)
	v_cvt_f64_f32_e32 v[0:1], v0
	s_branch .LBB126_472
.LBB126_468:
	s_mov_b32 s24, -1
                                        ; implicit-def: $vgpr0_vgpr1
	s_branch .LBB126_473
.LBB126_469:
	s_or_saveexec_b32 s24, s24
	v_mov_b64_e32 v[0:1], 0x7ff8000020000000
	s_xor_b32 exec_lo, exec_lo, s24
	s_cbranch_execz .LBB126_450
.LBB126_470:
	v_cmp_ne_u16_e32 vcc_lo, 0, v2
	v_mov_b64_e32 v[0:1], 0
	s_and_not1_b32 s22, s22, exec_lo
	s_and_b32 s25, vcc_lo, exec_lo
	s_delay_alu instid0(SALU_CYCLE_1)
	s_or_b32 s22, s22, s25
	s_or_b32 exec_lo, exec_lo, s24
	s_and_saveexec_b32 s24, s22
	s_cbranch_execnz .LBB126_451
	s_branch .LBB126_452
.LBB126_471:
	s_mov_b32 s21, -1
                                        ; implicit-def: $vgpr0_vgpr1
.LBB126_472:
	s_mov_b32 s24, 0
.LBB126_473:
	s_delay_alu instid0(SALU_CYCLE_1)
	s_and_b32 vcc_lo, exec_lo, s24
	s_cbranch_vccz .LBB126_477
; %bb.474:
	s_cmp_eq_u32 s0, 11
	s_cbranch_scc0 .LBB126_476
; %bb.475:
	global_load_u8 v0, v[4:5], off
	s_mov_b32 s21, 0
	s_mov_b32 s22, -1
	v_mov_b64_e32 v[2:3], 0
	s_wait_loadcnt 0x0
	v_cmp_ne_u16_e32 vcc_lo, 0, v0
	v_mov_b32_e32 v0, 0
	v_cndmask_b32_e64 v1, 0, 0x3ff00000, vcc_lo
	s_branch .LBB126_478
.LBB126_476:
	s_mov_b32 s21, -1
                                        ; implicit-def: $vgpr0_vgpr1
.LBB126_477:
	v_mov_b64_e32 v[2:3], 0
.LBB126_478:
	s_branch .LBB126_273
.LBB126_479:
	s_cmp_lt_i32 s0, 5
	s_cbranch_scc1 .LBB126_484
; %bb.480:
	s_cmp_lt_i32 s0, 8
	s_cbranch_scc1 .LBB126_485
; %bb.481:
	;; [unrolled: 3-line block ×3, first 2 shown]
	s_cmp_gt_i32 s0, 9
	s_cbranch_scc0 .LBB126_487
; %bb.483:
	global_load_b128 v[0:3], v[4:5], off
	s_mov_b32 s22, 0
	s_branch .LBB126_488
.LBB126_484:
	s_mov_b32 s22, -1
                                        ; implicit-def: $vgpr2_vgpr3
	s_branch .LBB126_507
.LBB126_485:
	s_mov_b32 s22, -1
                                        ; implicit-def: $vgpr2_vgpr3
	s_branch .LBB126_494
.LBB126_486:
	s_mov_b32 s22, -1
                                        ; implicit-def: $vgpr2_vgpr3
	s_branch .LBB126_491
.LBB126_487:
	s_mov_b32 s22, -1
                                        ; implicit-def: $vgpr2_vgpr3
.LBB126_488:
	s_delay_alu instid0(SALU_CYCLE_1)
	s_and_not1_b32 vcc_lo, exec_lo, s22
	s_cbranch_vccnz .LBB126_490
; %bb.489:
	s_wait_loadcnt 0x0
	global_load_b64 v[2:3], v[4:5], off
	s_wait_loadcnt 0x0
	v_cvt_f64_f32_e32 v[0:1], v2
	v_cvt_f64_f32_e32 v[2:3], v3
.LBB126_490:
	s_mov_b32 s22, 0
.LBB126_491:
	s_delay_alu instid0(SALU_CYCLE_1)
	s_and_not1_b32 vcc_lo, exec_lo, s22
	s_cbranch_vccnz .LBB126_493
; %bb.492:
	s_wait_loadcnt 0x0
	global_load_b32 v0, v[4:5], off
	s_wait_loadcnt 0x0
	v_lshrrev_b32_e32 v1, 16, v0
	v_cvt_f32_f16_e32 v0, v0
	s_delay_alu instid0(VALU_DEP_2) | instskip(NEXT) | instid1(VALU_DEP_2)
	v_cvt_f32_f16_e32 v2, v1
	v_cvt_f64_f32_e32 v[0:1], v0
	s_delay_alu instid0(VALU_DEP_2)
	v_cvt_f64_f32_e32 v[2:3], v2
.LBB126_493:
	s_mov_b32 s22, 0
.LBB126_494:
	s_delay_alu instid0(SALU_CYCLE_1)
	s_and_not1_b32 vcc_lo, exec_lo, s22
	s_cbranch_vccnz .LBB126_506
; %bb.495:
	s_cmp_lt_i32 s0, 6
	s_cbranch_scc1 .LBB126_498
; %bb.496:
	s_cmp_gt_i32 s0, 6
	s_cbranch_scc0 .LBB126_499
; %bb.497:
	s_wait_loadcnt 0x0
	global_load_b64 v[0:1], v[4:5], off
	s_mov_b32 s22, 0
	s_branch .LBB126_500
.LBB126_498:
	s_mov_b32 s22, -1
                                        ; implicit-def: $vgpr0_vgpr1
	s_branch .LBB126_503
.LBB126_499:
	s_mov_b32 s22, -1
                                        ; implicit-def: $vgpr0_vgpr1
.LBB126_500:
	s_delay_alu instid0(SALU_CYCLE_1)
	s_and_not1_b32 vcc_lo, exec_lo, s22
	s_cbranch_vccnz .LBB126_502
; %bb.501:
	s_wait_loadcnt 0x0
	global_load_b32 v0, v[4:5], off
	s_wait_loadcnt 0x0
	v_cvt_f64_f32_e32 v[0:1], v0
.LBB126_502:
	s_mov_b32 s22, 0
.LBB126_503:
	s_delay_alu instid0(SALU_CYCLE_1)
	s_and_not1_b32 vcc_lo, exec_lo, s22
	s_cbranch_vccnz .LBB126_505
; %bb.504:
	s_wait_loadcnt 0x0
	global_load_u16 v0, v[4:5], off
	s_wait_loadcnt 0x0
	v_cvt_f32_f16_e32 v0, v0
	s_delay_alu instid0(VALU_DEP_1)
	v_cvt_f64_f32_e32 v[0:1], v0
.LBB126_505:
	s_wait_loadcnt 0x0
	v_mov_b64_e32 v[2:3], 0
.LBB126_506:
	s_mov_b32 s22, 0
.LBB126_507:
	s_delay_alu instid0(SALU_CYCLE_1)
	s_and_not1_b32 vcc_lo, exec_lo, s22
	s_cbranch_vccnz .LBB126_528
; %bb.508:
	s_cmp_lt_i32 s0, 2
	s_cbranch_scc1 .LBB126_512
; %bb.509:
	s_cmp_lt_i32 s0, 3
	s_cbranch_scc1 .LBB126_513
; %bb.510:
	s_cmp_gt_i32 s0, 3
	s_cbranch_scc0 .LBB126_514
; %bb.511:
	s_wait_loadcnt 0x0
	global_load_b64 v[0:1], v[4:5], off
	s_mov_b32 s22, 0
	s_wait_loadcnt 0x0
	v_cvt_f64_i32_e32 v[2:3], v1
	v_cvt_f64_u32_e32 v[0:1], v0
	s_delay_alu instid0(VALU_DEP_2) | instskip(NEXT) | instid1(VALU_DEP_1)
	v_ldexp_f64 v[2:3], v[2:3], 32
	v_add_f64_e32 v[0:1], v[2:3], v[0:1]
	s_branch .LBB126_515
.LBB126_512:
	s_mov_b32 s22, -1
                                        ; implicit-def: $vgpr0_vgpr1
	s_branch .LBB126_521
.LBB126_513:
	s_mov_b32 s22, -1
                                        ; implicit-def: $vgpr0_vgpr1
	s_branch .LBB126_518
.LBB126_514:
	s_mov_b32 s22, -1
                                        ; implicit-def: $vgpr0_vgpr1
.LBB126_515:
	s_delay_alu instid0(SALU_CYCLE_1)
	s_and_not1_b32 vcc_lo, exec_lo, s22
	s_cbranch_vccnz .LBB126_517
; %bb.516:
	s_wait_loadcnt 0x0
	global_load_b32 v0, v[4:5], off
	s_wait_loadcnt 0x0
	v_cvt_f64_i32_e32 v[0:1], v0
.LBB126_517:
	s_mov_b32 s22, 0
.LBB126_518:
	s_delay_alu instid0(SALU_CYCLE_1)
	s_and_not1_b32 vcc_lo, exec_lo, s22
	s_cbranch_vccnz .LBB126_520
; %bb.519:
	s_wait_loadcnt 0x0
	global_load_i16 v0, v[4:5], off
	s_wait_loadcnt 0x0
	v_cvt_f64_i32_e32 v[0:1], v0
.LBB126_520:
	s_mov_b32 s22, 0
.LBB126_521:
	s_delay_alu instid0(SALU_CYCLE_1)
	s_and_not1_b32 vcc_lo, exec_lo, s22
	s_cbranch_vccnz .LBB126_527
; %bb.522:
	s_cmp_gt_i32 s0, 0
	s_mov_b32 s0, 0
	s_cbranch_scc0 .LBB126_524
; %bb.523:
	s_wait_loadcnt 0x0
	global_load_i8 v0, v[4:5], off
	s_wait_loadcnt 0x0
	v_cvt_f64_i32_e32 v[0:1], v0
	s_branch .LBB126_525
.LBB126_524:
	s_mov_b32 s0, -1
                                        ; implicit-def: $vgpr0_vgpr1
.LBB126_525:
	s_delay_alu instid0(SALU_CYCLE_1)
	s_and_not1_b32 vcc_lo, exec_lo, s0
	s_cbranch_vccnz .LBB126_527
; %bb.526:
	s_wait_loadcnt 0x0
	global_load_u8 v0, v[4:5], off
	s_wait_loadcnt 0x0
	v_cvt_f64_u32_e32 v[0:1], v0
.LBB126_527:
	s_wait_loadcnt 0x0
	v_mov_b64_e32 v[2:3], 0
.LBB126_528:
	s_branch .LBB126_274
.LBB126_529:
	s_mov_b32 s24, 0
	s_mov_b32 s0, s18
.LBB126_530:
                                        ; implicit-def: $vgpr8
.LBB126_531:
	s_and_not1_b32 s22, s18, exec_lo
	s_and_b32 s0, s0, exec_lo
	s_and_not1_b32 s25, s19, exec_lo
	s_and_b32 s21, s21, exec_lo
	s_or_b32 s22, s22, s0
	s_or_b32 s21, s25, s21
	s_or_not1_b32 s0, s24, exec_lo
.LBB126_532:
	s_wait_xcnt 0x0
	s_or_b32 exec_lo, exec_lo, s23
	s_mov_b32 s24, 0
	s_mov_b32 s25, 0
	;; [unrolled: 1-line block ×3, first 2 shown]
                                        ; implicit-def: $vgpr4_vgpr5
                                        ; implicit-def: $vgpr2_vgpr3
	s_and_saveexec_b32 s23, s0
	s_cbranch_execz .LBB126_892
; %bb.533:
	s_mov_b32 s26, -1
	s_mov_b32 s0, s21
	s_mov_b32 s25, s22
	s_mov_b32 s24, exec_lo
	v_cmpx_gt_i32_e64 s17, v8
	s_cbranch_execz .LBB126_803
; %bb.534:
	s_wait_loadcnt 0x0
	v_mul_lo_u32 v0, v8, s3
	s_and_b32 s0, 0xffff, s14
	s_delay_alu instid0(SALU_CYCLE_1) | instskip(NEXT) | instid1(VALU_DEP_1)
	s_cmp_lt_i32 s0, 11
	v_ashrrev_i32_e32 v1, 31, v0
	s_delay_alu instid0(VALU_DEP_1)
	v_add_nc_u64_e32 v[4:5], s[6:7], v[0:1]
	s_cbranch_scc1 .LBB126_541
; %bb.535:
	s_cmp_gt_i32 s0, 25
	s_cbranch_scc0 .LBB126_542
; %bb.536:
	s_cmp_gt_i32 s0, 28
	s_cbranch_scc0 .LBB126_543
; %bb.537:
	s_cmp_gt_i32 s0, 43
	s_cbranch_scc0 .LBB126_544
; %bb.538:
	s_cmp_gt_i32 s0, 45
	s_cbranch_scc0 .LBB126_547
; %bb.539:
	s_cmp_eq_u32 s0, 46
	s_mov_b32 s27, 0
	s_cbranch_scc0 .LBB126_550
; %bb.540:
	global_load_b32 v0, v[4:5], off
	s_mov_b32 s25, 0
	s_wait_loadcnt 0x0
	v_lshlrev_b32_e32 v1, 16, v0
	v_and_b32_e32 v2, 0xffff0000, v0
	s_delay_alu instid0(VALU_DEP_2) | instskip(NEXT) | instid1(VALU_DEP_2)
	v_cvt_f64_f32_e32 v[0:1], v1
	v_cvt_f64_f32_e32 v[2:3], v2
	s_branch .LBB126_552
.LBB126_541:
	s_mov_b32 s27, -1
	s_mov_b32 s26, 0
	s_mov_b32 s25, s21
                                        ; implicit-def: $vgpr2_vgpr3
	s_branch .LBB126_620
.LBB126_542:
	s_mov_b32 s27, -1
	s_mov_b32 s26, 0
	s_mov_b32 s25, s21
                                        ; implicit-def: $vgpr2_vgpr3
	s_branch .LBB126_583
.LBB126_543:
	s_mov_b32 s27, -1
	s_mov_b32 s26, 0
	s_mov_b32 s25, s21
                                        ; implicit-def: $vgpr2_vgpr3
	s_branch .LBB126_564
.LBB126_544:
	s_mov_b32 s27, -1
	s_mov_b32 s26, 0
	s_mov_b32 s25, s21
                                        ; implicit-def: $vgpr2_vgpr3
	s_branch .LBB126_558
.LBB126_545:
	s_and_not1_saveexec_b32 s28, s28
	s_cbranch_execz .LBB126_324
.LBB126_546:
	v_add_f32_e32 v2, 0x46000000, v3
	s_and_not1_b32 s27, s27, exec_lo
	s_delay_alu instid0(VALU_DEP_1) | instskip(NEXT) | instid1(VALU_DEP_1)
	v_and_b32_e32 v2, 0xff, v2
	v_cmp_ne_u32_e32 vcc_lo, 0, v2
	s_and_b32 s29, vcc_lo, exec_lo
	s_delay_alu instid0(SALU_CYCLE_1)
	s_or_b32 s27, s27, s29
	s_or_b32 exec_lo, exec_lo, s28
	v_mov_b32_e32 v4, 0
	s_and_saveexec_b32 s28, s27
	s_cbranch_execnz .LBB126_325
	s_branch .LBB126_326
.LBB126_547:
	s_mov_b32 s27, -1
	s_mov_b32 s26, 0
	s_mov_b32 s25, s21
	s_branch .LBB126_551
.LBB126_548:
	s_and_not1_saveexec_b32 s28, s28
	s_cbranch_execz .LBB126_337
.LBB126_549:
	v_add_f32_e32 v2, 0x42800000, v3
	s_and_not1_b32 s27, s27, exec_lo
	s_delay_alu instid0(VALU_DEP_1) | instskip(NEXT) | instid1(VALU_DEP_1)
	v_and_b32_e32 v2, 0xff, v2
	v_cmp_ne_u32_e32 vcc_lo, 0, v2
	s_and_b32 s29, vcc_lo, exec_lo
	s_delay_alu instid0(SALU_CYCLE_1)
	s_or_b32 s27, s27, s29
	s_or_b32 exec_lo, exec_lo, s28
	v_mov_b32_e32 v4, 0
	s_and_saveexec_b32 s28, s27
	s_cbranch_execnz .LBB126_338
	s_branch .LBB126_339
.LBB126_550:
	s_mov_b32 s25, -1
	s_mov_b32 s26, 0
.LBB126_551:
                                        ; implicit-def: $vgpr2_vgpr3
.LBB126_552:
	s_and_b32 vcc_lo, exec_lo, s27
	s_cbranch_vccz .LBB126_557
; %bb.553:
	s_cmp_eq_u32 s0, 44
	s_cbranch_scc0 .LBB126_555
; %bb.554:
	global_load_u8 v2, v[4:5], off
	s_mov_b32 s25, 0
	s_mov_b32 s26, -1
	s_wait_loadcnt 0x0
	v_cmp_ne_u32_e32 vcc_lo, 0xff, v2
	v_lshlrev_b32_e32 v0, 23, v2
	s_delay_alu instid0(VALU_DEP_1) | instskip(NEXT) | instid1(VALU_DEP_1)
	v_cvt_f64_f32_e32 v[0:1], v0
	v_cndmask_b32_e32 v0, 0x20000000, v0, vcc_lo
	s_delay_alu instid0(VALU_DEP_2) | instskip(SKIP_1) | instid1(VALU_DEP_2)
	v_cndmask_b32_e32 v1, 0x7ff80000, v1, vcc_lo
	v_cmp_ne_u32_e32 vcc_lo, 0, v2
	v_cndmask_b32_e32 v1, 0x38000000, v1, vcc_lo
	s_delay_alu instid0(VALU_DEP_4)
	v_cndmask_b32_e32 v0, 0, v0, vcc_lo
	s_branch .LBB126_556
.LBB126_555:
	s_mov_b32 s25, -1
                                        ; implicit-def: $vgpr0_vgpr1
.LBB126_556:
	v_mov_b64_e32 v[2:3], 0
.LBB126_557:
	s_mov_b32 s27, 0
.LBB126_558:
	s_delay_alu instid0(SALU_CYCLE_1)
	s_and_b32 vcc_lo, exec_lo, s27
	s_cbranch_vccz .LBB126_563
; %bb.559:
	s_cmp_eq_u32 s0, 29
	s_cbranch_scc0 .LBB126_561
; %bb.560:
	global_load_b64 v[0:1], v[4:5], off
	s_mov_b32 s26, -1
	s_mov_b32 s25, 0
	s_wait_loadcnt 0x0
	v_cvt_f64_u32_e32 v[2:3], v1
	v_cvt_f64_u32_e32 v[0:1], v0
	s_delay_alu instid0(VALU_DEP_2) | instskip(NEXT) | instid1(VALU_DEP_1)
	v_ldexp_f64 v[2:3], v[2:3], 32
	v_add_f64_e32 v[0:1], v[2:3], v[0:1]
	s_branch .LBB126_562
.LBB126_561:
	s_mov_b32 s25, -1
                                        ; implicit-def: $vgpr0_vgpr1
.LBB126_562:
	v_mov_b64_e32 v[2:3], 0
.LBB126_563:
	s_mov_b32 s27, 0
.LBB126_564:
	s_delay_alu instid0(SALU_CYCLE_1)
	s_and_b32 vcc_lo, exec_lo, s27
	s_cbranch_vccz .LBB126_582
; %bb.565:
	s_cmp_lt_i32 s0, 27
	s_cbranch_scc1 .LBB126_568
; %bb.566:
	s_cmp_gt_i32 s0, 27
	s_cbranch_scc0 .LBB126_569
; %bb.567:
	global_load_b32 v0, v[4:5], off
	s_mov_b32 s26, 0
	s_wait_loadcnt 0x0
	v_cvt_f64_u32_e32 v[0:1], v0
	s_branch .LBB126_570
.LBB126_568:
	s_mov_b32 s26, -1
                                        ; implicit-def: $vgpr0_vgpr1
	s_branch .LBB126_573
.LBB126_569:
	s_mov_b32 s26, -1
                                        ; implicit-def: $vgpr0_vgpr1
.LBB126_570:
	s_delay_alu instid0(SALU_CYCLE_1)
	s_and_not1_b32 vcc_lo, exec_lo, s26
	s_cbranch_vccnz .LBB126_572
; %bb.571:
	global_load_u16 v0, v[4:5], off
	s_wait_loadcnt 0x0
	v_cvt_f64_u32_e32 v[0:1], v0
.LBB126_572:
	s_mov_b32 s26, 0
.LBB126_573:
	s_delay_alu instid0(SALU_CYCLE_1)
	s_and_not1_b32 vcc_lo, exec_lo, s26
	s_cbranch_vccnz .LBB126_581
; %bb.574:
	global_load_u8 v2, v[4:5], off
	s_mov_b32 s26, 0
	s_mov_b32 s27, exec_lo
	s_wait_loadcnt 0x0
	v_cmpx_lt_i16_e32 0x7f, v2
	s_xor_b32 s27, exec_lo, s27
	s_cbranch_execz .LBB126_595
; %bb.575:
	s_mov_b32 s26, -1
	s_mov_b32 s28, exec_lo
	v_cmpx_eq_u16_e32 0x80, v2
; %bb.576:
	s_xor_b32 s26, exec_lo, -1
; %bb.577:
	s_or_b32 exec_lo, exec_lo, s28
	s_delay_alu instid0(SALU_CYCLE_1)
	s_and_b32 s26, s26, exec_lo
	s_or_saveexec_b32 s27, s27
	v_mov_b64_e32 v[0:1], 0x7ff8000020000000
	s_xor_b32 exec_lo, exec_lo, s27
	s_cbranch_execnz .LBB126_596
.LBB126_578:
	s_or_b32 exec_lo, exec_lo, s27
	s_and_saveexec_b32 s27, s26
	s_cbranch_execz .LBB126_580
.LBB126_579:
	v_and_b32_e32 v0, 0xffff, v2
	s_delay_alu instid0(VALU_DEP_1) | instskip(SKIP_1) | instid1(VALU_DEP_2)
	v_and_b32_e32 v1, 7, v0
	v_bfe_u32 v7, v0, 3, 4
	v_clz_i32_u32_e32 v3, v1
	s_delay_alu instid0(VALU_DEP_2) | instskip(NEXT) | instid1(VALU_DEP_2)
	v_cmp_eq_u32_e32 vcc_lo, 0, v7
	v_min_u32_e32 v3, 32, v3
	s_delay_alu instid0(VALU_DEP_1) | instskip(NEXT) | instid1(VALU_DEP_1)
	v_subrev_nc_u32_e32 v6, 28, v3
	v_dual_lshlrev_b32 v0, v6, v0 :: v_dual_sub_nc_u32 v3, 29, v3
	s_delay_alu instid0(VALU_DEP_1) | instskip(NEXT) | instid1(VALU_DEP_1)
	v_dual_lshlrev_b32 v2, 24, v2 :: v_dual_bitop2_b32 v0, 7, v0 bitop3:0x40
	v_dual_cndmask_b32 v3, v7, v3 :: v_dual_cndmask_b32 v0, v1, v0
	s_delay_alu instid0(VALU_DEP_2) | instskip(NEXT) | instid1(VALU_DEP_2)
	v_and_b32_e32 v1, 0x80000000, v2
	v_lshl_add_u32 v2, v3, 23, 0x3b800000
	s_delay_alu instid0(VALU_DEP_3) | instskip(NEXT) | instid1(VALU_DEP_1)
	v_lshlrev_b32_e32 v0, 20, v0
	v_or3_b32 v0, v1, v2, v0
	s_delay_alu instid0(VALU_DEP_1)
	v_cvt_f64_f32_e32 v[0:1], v0
.LBB126_580:
	s_or_b32 exec_lo, exec_lo, s27
.LBB126_581:
	v_mov_b64_e32 v[2:3], 0
	s_mov_b32 s26, -1
.LBB126_582:
	s_mov_b32 s27, 0
.LBB126_583:
	s_delay_alu instid0(SALU_CYCLE_1)
	s_and_b32 vcc_lo, exec_lo, s27
	s_cbranch_vccz .LBB126_619
; %bb.584:
	s_cmp_gt_i32 s0, 22
	s_cbranch_scc0 .LBB126_594
; %bb.585:
	s_cmp_lt_i32 s0, 24
	s_cbranch_scc1 .LBB126_597
; %bb.586:
	s_cmp_gt_i32 s0, 24
	s_cbranch_scc0 .LBB126_598
; %bb.587:
	global_load_u8 v2, v[4:5], off
	s_mov_b32 s26, 0
	s_mov_b32 s27, exec_lo
	s_wait_loadcnt 0x0
	v_cmpx_lt_i16_e32 0x7f, v2
	s_xor_b32 s27, exec_lo, s27
	s_cbranch_execz .LBB126_610
; %bb.588:
	s_mov_b32 s26, -1
	s_mov_b32 s28, exec_lo
	v_cmpx_eq_u16_e32 0x80, v2
; %bb.589:
	s_xor_b32 s26, exec_lo, -1
; %bb.590:
	s_or_b32 exec_lo, exec_lo, s28
	s_delay_alu instid0(SALU_CYCLE_1)
	s_and_b32 s26, s26, exec_lo
	s_or_saveexec_b32 s27, s27
	v_mov_b64_e32 v[0:1], 0x7ff8000020000000
	s_xor_b32 exec_lo, exec_lo, s27
	s_cbranch_execnz .LBB126_611
.LBB126_591:
	s_or_b32 exec_lo, exec_lo, s27
	s_and_saveexec_b32 s27, s26
	s_cbranch_execz .LBB126_593
.LBB126_592:
	v_and_b32_e32 v0, 0xffff, v2
	s_delay_alu instid0(VALU_DEP_1) | instskip(SKIP_1) | instid1(VALU_DEP_2)
	v_and_b32_e32 v1, 3, v0
	v_bfe_u32 v7, v0, 2, 5
	v_clz_i32_u32_e32 v3, v1
	s_delay_alu instid0(VALU_DEP_2) | instskip(NEXT) | instid1(VALU_DEP_2)
	v_cmp_eq_u32_e32 vcc_lo, 0, v7
	v_min_u32_e32 v3, 32, v3
	s_delay_alu instid0(VALU_DEP_1) | instskip(NEXT) | instid1(VALU_DEP_1)
	v_subrev_nc_u32_e32 v6, 29, v3
	v_dual_lshlrev_b32 v0, v6, v0 :: v_dual_sub_nc_u32 v3, 30, v3
	s_delay_alu instid0(VALU_DEP_1) | instskip(NEXT) | instid1(VALU_DEP_1)
	v_dual_lshlrev_b32 v2, 24, v2 :: v_dual_bitop2_b32 v0, 3, v0 bitop3:0x40
	v_dual_cndmask_b32 v3, v7, v3 :: v_dual_cndmask_b32 v0, v1, v0
	s_delay_alu instid0(VALU_DEP_2) | instskip(NEXT) | instid1(VALU_DEP_2)
	v_and_b32_e32 v1, 0x80000000, v2
	v_lshl_add_u32 v2, v3, 23, 0x37800000
	s_delay_alu instid0(VALU_DEP_3) | instskip(NEXT) | instid1(VALU_DEP_1)
	v_lshlrev_b32_e32 v0, 21, v0
	v_or3_b32 v0, v1, v2, v0
	s_delay_alu instid0(VALU_DEP_1)
	v_cvt_f64_f32_e32 v[0:1], v0
.LBB126_593:
	s_or_b32 exec_lo, exec_lo, s27
	s_mov_b32 s26, 0
	s_branch .LBB126_599
.LBB126_594:
	s_mov_b32 s27, -1
                                        ; implicit-def: $vgpr0_vgpr1
	s_branch .LBB126_605
.LBB126_595:
	s_or_saveexec_b32 s27, s27
	v_mov_b64_e32 v[0:1], 0x7ff8000020000000
	s_xor_b32 exec_lo, exec_lo, s27
	s_cbranch_execz .LBB126_578
.LBB126_596:
	v_cmp_ne_u16_e32 vcc_lo, 0, v2
	v_mov_b64_e32 v[0:1], 0
	s_and_not1_b32 s26, s26, exec_lo
	s_and_b32 s28, vcc_lo, exec_lo
	s_delay_alu instid0(SALU_CYCLE_1)
	s_or_b32 s26, s26, s28
	s_or_b32 exec_lo, exec_lo, s27
	s_and_saveexec_b32 s27, s26
	s_cbranch_execnz .LBB126_579
	s_branch .LBB126_580
.LBB126_597:
	s_mov_b32 s26, -1
                                        ; implicit-def: $vgpr0_vgpr1
	s_branch .LBB126_602
.LBB126_598:
	s_mov_b32 s26, -1
                                        ; implicit-def: $vgpr0_vgpr1
.LBB126_599:
	s_delay_alu instid0(SALU_CYCLE_1)
	s_and_b32 vcc_lo, exec_lo, s26
	s_cbranch_vccz .LBB126_601
; %bb.600:
	global_load_u8 v0, v[4:5], off
	s_wait_loadcnt 0x0
	v_lshlrev_b32_e32 v0, 24, v0
	s_delay_alu instid0(VALU_DEP_1) | instskip(NEXT) | instid1(VALU_DEP_1)
	v_and_b32_e32 v1, 0x7f000000, v0
	v_clz_i32_u32_e32 v2, v1
	v_cmp_ne_u32_e32 vcc_lo, 0, v1
	v_add_nc_u32_e32 v6, 0x1000000, v1
	s_delay_alu instid0(VALU_DEP_3) | instskip(NEXT) | instid1(VALU_DEP_1)
	v_min_u32_e32 v2, 32, v2
	v_sub_nc_u32_e64 v2, v2, 4 clamp
	s_delay_alu instid0(VALU_DEP_1) | instskip(NEXT) | instid1(VALU_DEP_1)
	v_dual_lshlrev_b32 v3, v2, v1 :: v_dual_lshlrev_b32 v2, 23, v2
	v_lshrrev_b32_e32 v3, 4, v3
	s_delay_alu instid0(VALU_DEP_1) | instskip(SKIP_1) | instid1(VALU_DEP_2)
	v_sub_nc_u32_e32 v2, v3, v2
	v_ashrrev_i32_e32 v3, 8, v6
	v_add_nc_u32_e32 v2, 0x3c000000, v2
	s_delay_alu instid0(VALU_DEP_1) | instskip(NEXT) | instid1(VALU_DEP_1)
	v_and_or_b32 v2, 0x7f800000, v3, v2
	v_cndmask_b32_e32 v1, 0, v2, vcc_lo
	s_delay_alu instid0(VALU_DEP_1) | instskip(NEXT) | instid1(VALU_DEP_1)
	v_and_or_b32 v0, 0x80000000, v0, v1
	v_cvt_f64_f32_e32 v[0:1], v0
.LBB126_601:
	s_mov_b32 s26, 0
.LBB126_602:
	s_delay_alu instid0(SALU_CYCLE_1)
	s_and_not1_b32 vcc_lo, exec_lo, s26
	s_cbranch_vccnz .LBB126_604
; %bb.603:
	global_load_u8 v0, v[4:5], off
	s_wait_loadcnt 0x0
	v_lshlrev_b32_e32 v1, 25, v0
	v_lshlrev_b16 v0, 8, v0
	s_delay_alu instid0(VALU_DEP_1) | instskip(SKIP_1) | instid1(VALU_DEP_2)
	v_and_or_b32 v3, 0x7f00, v0, 0.5
	v_bfe_i32 v0, v0, 0, 16
	v_dual_add_f32 v3, -0.5, v3 :: v_dual_lshrrev_b32 v2, 4, v1
	v_cmp_gt_u32_e32 vcc_lo, 0x8000000, v1
	s_delay_alu instid0(VALU_DEP_2) | instskip(NEXT) | instid1(VALU_DEP_1)
	v_or_b32_e32 v2, 0x70000000, v2
	v_mul_f32_e32 v2, 0x7800000, v2
	s_delay_alu instid0(VALU_DEP_1) | instskip(NEXT) | instid1(VALU_DEP_1)
	v_cndmask_b32_e32 v1, v2, v3, vcc_lo
	v_and_or_b32 v0, 0x80000000, v0, v1
	s_delay_alu instid0(VALU_DEP_1)
	v_cvt_f64_f32_e32 v[0:1], v0
.LBB126_604:
	s_mov_b32 s27, 0
	s_mov_b32 s26, -1
.LBB126_605:
	s_and_not1_b32 vcc_lo, exec_lo, s27
	s_cbranch_vccnz .LBB126_618
; %bb.606:
	s_cmp_gt_i32 s0, 14
	s_cbranch_scc0 .LBB126_609
; %bb.607:
	s_cmp_eq_u32 s0, 15
	s_cbranch_scc0 .LBB126_612
; %bb.608:
	global_load_u16 v0, v[4:5], off
	s_mov_b32 s26, -1
	s_mov_b32 s25, 0
	s_wait_loadcnt 0x0
	v_lshlrev_b32_e32 v0, 16, v0
	s_delay_alu instid0(VALU_DEP_1)
	v_cvt_f64_f32_e32 v[0:1], v0
	s_branch .LBB126_613
.LBB126_609:
	s_mov_b32 s27, -1
                                        ; implicit-def: $vgpr0_vgpr1
	s_branch .LBB126_614
.LBB126_610:
	s_or_saveexec_b32 s27, s27
	v_mov_b64_e32 v[0:1], 0x7ff8000020000000
	s_xor_b32 exec_lo, exec_lo, s27
	s_cbranch_execz .LBB126_591
.LBB126_611:
	v_cmp_ne_u16_e32 vcc_lo, 0, v2
	v_mov_b64_e32 v[0:1], 0
	s_and_not1_b32 s26, s26, exec_lo
	s_and_b32 s28, vcc_lo, exec_lo
	s_delay_alu instid0(SALU_CYCLE_1)
	s_or_b32 s26, s26, s28
	s_or_b32 exec_lo, exec_lo, s27
	s_and_saveexec_b32 s27, s26
	s_cbranch_execnz .LBB126_592
	s_branch .LBB126_593
.LBB126_612:
	s_mov_b32 s25, -1
                                        ; implicit-def: $vgpr0_vgpr1
.LBB126_613:
	s_mov_b32 s27, 0
.LBB126_614:
	s_delay_alu instid0(SALU_CYCLE_1)
	s_and_b32 vcc_lo, exec_lo, s27
	s_cbranch_vccz .LBB126_618
; %bb.615:
	s_cmp_eq_u32 s0, 11
	s_cbranch_scc0 .LBB126_617
; %bb.616:
	global_load_u8 v0, v[4:5], off
	s_mov_b32 s25, 0
	s_mov_b32 s26, -1
	v_mov_b64_e32 v[2:3], 0
	s_wait_loadcnt 0x0
	v_cmp_ne_u16_e32 vcc_lo, 0, v0
	v_mov_b32_e32 v0, 0
	v_cndmask_b32_e64 v1, 0, 0x3ff00000, vcc_lo
	s_branch .LBB126_619
.LBB126_617:
	s_mov_b32 s25, -1
                                        ; implicit-def: $vgpr0_vgpr1
.LBB126_618:
	v_mov_b64_e32 v[2:3], 0
.LBB126_619:
	s_mov_b32 s27, 0
.LBB126_620:
	s_delay_alu instid0(SALU_CYCLE_1)
	s_and_b32 vcc_lo, exec_lo, s27
	s_cbranch_vccz .LBB126_671
; %bb.621:
	s_cmp_lt_i32 s0, 5
	s_cbranch_scc1 .LBB126_626
; %bb.622:
	s_cmp_lt_i32 s0, 8
	s_cbranch_scc1 .LBB126_627
	;; [unrolled: 3-line block ×3, first 2 shown]
; %bb.624:
	s_cmp_gt_i32 s0, 9
	s_cbranch_scc0 .LBB126_629
; %bb.625:
	global_load_b128 v[0:3], v[4:5], off
	s_mov_b32 s26, 0
	s_branch .LBB126_630
.LBB126_626:
	s_mov_b32 s26, -1
                                        ; implicit-def: $vgpr2_vgpr3
	s_branch .LBB126_649
.LBB126_627:
	s_mov_b32 s26, -1
                                        ; implicit-def: $vgpr2_vgpr3
	s_branch .LBB126_636
.LBB126_628:
	s_mov_b32 s26, -1
                                        ; implicit-def: $vgpr2_vgpr3
	s_branch .LBB126_633
.LBB126_629:
	s_mov_b32 s26, -1
                                        ; implicit-def: $vgpr2_vgpr3
.LBB126_630:
	s_delay_alu instid0(SALU_CYCLE_1)
	s_and_not1_b32 vcc_lo, exec_lo, s26
	s_cbranch_vccnz .LBB126_632
; %bb.631:
	s_wait_loadcnt 0x0
	global_load_b64 v[2:3], v[4:5], off
	s_wait_loadcnt 0x0
	v_cvt_f64_f32_e32 v[0:1], v2
	v_cvt_f64_f32_e32 v[2:3], v3
.LBB126_632:
	s_mov_b32 s26, 0
.LBB126_633:
	s_delay_alu instid0(SALU_CYCLE_1)
	s_and_not1_b32 vcc_lo, exec_lo, s26
	s_cbranch_vccnz .LBB126_635
; %bb.634:
	s_wait_loadcnt 0x0
	global_load_b32 v0, v[4:5], off
	s_wait_loadcnt 0x0
	v_lshrrev_b32_e32 v1, 16, v0
	v_cvt_f32_f16_e32 v0, v0
	s_delay_alu instid0(VALU_DEP_2) | instskip(NEXT) | instid1(VALU_DEP_2)
	v_cvt_f32_f16_e32 v2, v1
	v_cvt_f64_f32_e32 v[0:1], v0
	s_delay_alu instid0(VALU_DEP_2)
	v_cvt_f64_f32_e32 v[2:3], v2
.LBB126_635:
	s_mov_b32 s26, 0
.LBB126_636:
	s_delay_alu instid0(SALU_CYCLE_1)
	s_and_not1_b32 vcc_lo, exec_lo, s26
	s_cbranch_vccnz .LBB126_648
; %bb.637:
	s_cmp_lt_i32 s0, 6
	s_cbranch_scc1 .LBB126_640
; %bb.638:
	s_cmp_gt_i32 s0, 6
	s_cbranch_scc0 .LBB126_641
; %bb.639:
	s_wait_loadcnt 0x0
	global_load_b64 v[0:1], v[4:5], off
	s_mov_b32 s26, 0
	s_branch .LBB126_642
.LBB126_640:
	s_mov_b32 s26, -1
                                        ; implicit-def: $vgpr0_vgpr1
	s_branch .LBB126_645
.LBB126_641:
	s_mov_b32 s26, -1
                                        ; implicit-def: $vgpr0_vgpr1
.LBB126_642:
	s_delay_alu instid0(SALU_CYCLE_1)
	s_and_not1_b32 vcc_lo, exec_lo, s26
	s_cbranch_vccnz .LBB126_644
; %bb.643:
	s_wait_loadcnt 0x0
	global_load_b32 v0, v[4:5], off
	s_wait_loadcnt 0x0
	v_cvt_f64_f32_e32 v[0:1], v0
.LBB126_644:
	s_mov_b32 s26, 0
.LBB126_645:
	s_delay_alu instid0(SALU_CYCLE_1)
	s_and_not1_b32 vcc_lo, exec_lo, s26
	s_cbranch_vccnz .LBB126_647
; %bb.646:
	s_wait_loadcnt 0x0
	global_load_u16 v0, v[4:5], off
	s_wait_loadcnt 0x0
	v_cvt_f32_f16_e32 v0, v0
	s_delay_alu instid0(VALU_DEP_1)
	v_cvt_f64_f32_e32 v[0:1], v0
.LBB126_647:
	s_wait_loadcnt 0x0
	v_mov_b64_e32 v[2:3], 0
.LBB126_648:
	s_mov_b32 s26, 0
.LBB126_649:
	s_delay_alu instid0(SALU_CYCLE_1)
	s_and_not1_b32 vcc_lo, exec_lo, s26
	s_cbranch_vccnz .LBB126_670
; %bb.650:
	s_cmp_lt_i32 s0, 2
	s_cbranch_scc1 .LBB126_654
; %bb.651:
	s_cmp_lt_i32 s0, 3
	s_cbranch_scc1 .LBB126_655
; %bb.652:
	s_cmp_gt_i32 s0, 3
	s_cbranch_scc0 .LBB126_656
; %bb.653:
	s_wait_loadcnt 0x0
	global_load_b64 v[0:1], v[4:5], off
	s_mov_b32 s26, 0
	s_wait_loadcnt 0x0
	v_cvt_f64_i32_e32 v[2:3], v1
	v_cvt_f64_u32_e32 v[0:1], v0
	s_delay_alu instid0(VALU_DEP_2) | instskip(NEXT) | instid1(VALU_DEP_1)
	v_ldexp_f64 v[2:3], v[2:3], 32
	v_add_f64_e32 v[0:1], v[2:3], v[0:1]
	s_branch .LBB126_657
.LBB126_654:
	s_mov_b32 s26, -1
                                        ; implicit-def: $vgpr0_vgpr1
	s_branch .LBB126_663
.LBB126_655:
	s_mov_b32 s26, -1
                                        ; implicit-def: $vgpr0_vgpr1
	s_branch .LBB126_660
.LBB126_656:
	s_mov_b32 s26, -1
                                        ; implicit-def: $vgpr0_vgpr1
.LBB126_657:
	s_delay_alu instid0(SALU_CYCLE_1)
	s_and_not1_b32 vcc_lo, exec_lo, s26
	s_cbranch_vccnz .LBB126_659
; %bb.658:
	s_wait_loadcnt 0x0
	global_load_b32 v0, v[4:5], off
	s_wait_loadcnt 0x0
	v_cvt_f64_i32_e32 v[0:1], v0
.LBB126_659:
	s_mov_b32 s26, 0
.LBB126_660:
	s_delay_alu instid0(SALU_CYCLE_1)
	s_and_not1_b32 vcc_lo, exec_lo, s26
	s_cbranch_vccnz .LBB126_662
; %bb.661:
	s_wait_loadcnt 0x0
	global_load_i16 v0, v[4:5], off
	s_wait_loadcnt 0x0
	v_cvt_f64_i32_e32 v[0:1], v0
.LBB126_662:
	s_mov_b32 s26, 0
.LBB126_663:
	s_delay_alu instid0(SALU_CYCLE_1)
	s_and_not1_b32 vcc_lo, exec_lo, s26
	s_cbranch_vccnz .LBB126_669
; %bb.664:
	s_cmp_gt_i32 s0, 0
	s_mov_b32 s0, 0
	s_cbranch_scc0 .LBB126_666
; %bb.665:
	s_wait_loadcnt 0x0
	global_load_i8 v0, v[4:5], off
	s_wait_loadcnt 0x0
	v_cvt_f64_i32_e32 v[0:1], v0
	s_branch .LBB126_667
.LBB126_666:
	s_mov_b32 s0, -1
                                        ; implicit-def: $vgpr0_vgpr1
.LBB126_667:
	s_delay_alu instid0(SALU_CYCLE_1)
	s_and_not1_b32 vcc_lo, exec_lo, s0
	s_cbranch_vccnz .LBB126_669
; %bb.668:
	s_wait_loadcnt 0x0
	global_load_u8 v0, v[4:5], off
	s_wait_loadcnt 0x0
	v_cvt_f64_u32_e32 v[0:1], v0
.LBB126_669:
	s_wait_loadcnt 0x0
	v_mov_b64_e32 v[2:3], 0
.LBB126_670:
	s_mov_b32 s26, -1
.LBB126_671:
	s_delay_alu instid0(SALU_CYCLE_1)
	s_and_not1_b32 vcc_lo, exec_lo, s26
	s_cbranch_vccnz .LBB126_674
; %bb.672:
	s_and_not1_b32 vcc_lo, exec_lo, s16
	s_cbranch_vccnz .LBB126_675
; %bb.673:
	s_wait_loadcnt 0x0
	s_delay_alu instid0(VALU_DEP_1) | instskip(NEXT) | instid1(VALU_DEP_2)
	v_cmp_neq_f64_e32 vcc_lo, s[8:9], v[0:1]
	v_cmp_neq_f64_e64 s0, s[10:11], v[2:3]
	s_or_b32 s26, vcc_lo, s0
	s_mov_b32 s0, 0
	s_branch .LBB126_676
.LBB126_674:
	s_mov_b32 s26, 0
	s_mov_b32 s0, s22
	s_branch .LBB126_801
.LBB126_675:
	s_mov_b32 s0, -1
                                        ; implicit-def: $sgpr26
.LBB126_676:
	s_delay_alu instid0(SALU_CYCLE_1)
	s_and_not1_b32 vcc_lo, exec_lo, s0
	s_cbranch_vccnz .LBB126_678
; %bb.677:
	s_wait_loadcnt 0x0
	s_delay_alu instid0(VALU_DEP_1) | instskip(NEXT) | instid1(VALU_DEP_2)
	v_cmp_eq_f64_e32 vcc_lo, s[8:9], v[0:1]
	v_cmp_eq_f64_e64 s0, s[10:11], v[2:3]
	s_and_not1_b32 s26, s26, exec_lo
	s_and_b32 s0, vcc_lo, s0
	s_delay_alu instid0(SALU_CYCLE_1) | instskip(NEXT) | instid1(SALU_CYCLE_1)
	s_and_b32 s0, s0, exec_lo
	s_or_b32 s26, s26, s0
.LBB126_678:
	s_wait_loadcnt 0x0
	v_mul_lo_u32 v0, v8, s2
	s_and_b32 s27, s12, 0xff
	s_delay_alu instid0(SALU_CYCLE_1) | instskip(NEXT) | instid1(VALU_DEP_1)
	s_cmp_lt_i32 s27, 11
	v_ashrrev_i32_e32 v1, 31, v0
	s_delay_alu instid0(VALU_DEP_1)
	v_add_nc_u64_e32 v[0:1], s[4:5], v[0:1]
	s_cbranch_scc1 .LBB126_685
; %bb.679:
	s_and_b32 s28, 0xffff, s27
	s_delay_alu instid0(SALU_CYCLE_1)
	s_cmp_gt_i32 s28, 25
	s_cbranch_scc0 .LBB126_686
; %bb.680:
	s_cmp_gt_i32 s28, 28
	s_cbranch_scc0 .LBB126_687
; %bb.681:
	;; [unrolled: 3-line block ×4, first 2 shown]
	s_mov_b32 s30, 0
	s_mov_b32 s0, -1
	s_cmp_eq_u32 s28, 46
	s_mov_b32 s29, 0
	s_cbranch_scc0 .LBB126_690
; %bb.684:
	v_cndmask_b32_e64 v2, 0, 1.0, s26
	s_mov_b32 s29, -1
	s_mov_b32 s0, 0
	s_delay_alu instid0(VALU_DEP_1) | instskip(NEXT) | instid1(VALU_DEP_1)
	v_bfe_u32 v3, v2, 16, 1
	v_add3_u32 v2, v2, v3, 0x7fff
	s_delay_alu instid0(VALU_DEP_1)
	v_lshrrev_b32_e32 v2, 16, v2
	global_store_b32 v[0:1], v2, off
	s_branch .LBB126_690
.LBB126_685:
	s_mov_b32 s28, -1
	s_mov_b32 s29, 0
	s_mov_b32 s0, s22
	s_branch .LBB126_759
.LBB126_686:
	s_mov_b32 s30, -1
	s_mov_b32 s29, 0
	s_mov_b32 s0, s22
	s_branch .LBB126_717
.LBB126_687:
	s_mov_b32 s30, -1
	s_mov_b32 s29, 0
	s_mov_b32 s0, s22
	s_branch .LBB126_700
.LBB126_688:
	s_mov_b32 s30, -1
	s_mov_b32 s29, 0
	s_mov_b32 s0, s22
	s_branch .LBB126_696
.LBB126_689:
	s_mov_b32 s30, -1
	s_mov_b32 s29, 0
	s_mov_b32 s0, s22
.LBB126_690:
	s_and_b32 vcc_lo, exec_lo, s30
	s_cbranch_vccz .LBB126_695
; %bb.691:
	s_cmp_eq_u32 s28, 44
	s_mov_b32 s0, -1
	s_cbranch_scc0 .LBB126_695
; %bb.692:
	s_wait_xcnt 0x0
	v_cndmask_b32_e64 v4, 0, 1.0, s26
	s_mov_b32 s29, exec_lo
	s_delay_alu instid0(VALU_DEP_1) | instskip(NEXT) | instid1(VALU_DEP_1)
	v_dual_mov_b32 v3, 0xff :: v_dual_lshrrev_b32 v2, 23, v4
	v_cmpx_ne_u32_e32 0xff, v2
; %bb.693:
	v_and_b32_e32 v3, 0x400000, v4
	v_and_or_b32 v4, 0x3fffff, v4, v2
	s_delay_alu instid0(VALU_DEP_2) | instskip(NEXT) | instid1(VALU_DEP_2)
	v_cmp_ne_u32_e32 vcc_lo, 0, v3
	v_cmp_ne_u32_e64 s0, 0, v4
	s_and_b32 s0, vcc_lo, s0
	s_delay_alu instid0(SALU_CYCLE_1) | instskip(NEXT) | instid1(VALU_DEP_1)
	v_cndmask_b32_e64 v3, 0, 1, s0
	v_add_nc_u32_e32 v3, v2, v3
; %bb.694:
	s_or_b32 exec_lo, exec_lo, s29
	s_mov_b32 s29, -1
	s_mov_b32 s0, 0
	global_store_b8 v[0:1], v3, off
.LBB126_695:
	s_mov_b32 s30, 0
.LBB126_696:
	s_delay_alu instid0(SALU_CYCLE_1)
	s_and_b32 vcc_lo, exec_lo, s30
	s_cbranch_vccz .LBB126_699
; %bb.697:
	s_cmp_eq_u32 s28, 29
	s_mov_b32 s0, -1
	s_cbranch_scc0 .LBB126_699
; %bb.698:
	s_mov_b32 s0, 0
	s_wait_xcnt 0x0
	v_cndmask_b32_e64 v2, 0, 1, s26
	v_mov_b32_e32 v3, s0
	s_mov_b32 s29, -1
	s_mov_b32 s30, 0
	global_store_b64 v[0:1], v[2:3], off
	s_branch .LBB126_700
.LBB126_699:
	s_mov_b32 s30, 0
.LBB126_700:
	s_delay_alu instid0(SALU_CYCLE_1)
	s_and_b32 vcc_lo, exec_lo, s30
	s_cbranch_vccz .LBB126_716
; %bb.701:
	s_cmp_lt_i32 s28, 27
	s_mov_b32 s29, -1
	s_cbranch_scc1 .LBB126_707
; %bb.702:
	s_cmp_gt_i32 s28, 27
	s_cbranch_scc0 .LBB126_704
; %bb.703:
	s_wait_xcnt 0x0
	v_cndmask_b32_e64 v2, 0, 1, s26
	s_mov_b32 s29, 0
	global_store_b32 v[0:1], v2, off
.LBB126_704:
	s_and_not1_b32 vcc_lo, exec_lo, s29
	s_cbranch_vccnz .LBB126_706
; %bb.705:
	s_wait_xcnt 0x0
	v_cndmask_b32_e64 v2, 0, 1, s26
	global_store_b16 v[0:1], v2, off
.LBB126_706:
	s_mov_b32 s29, 0
.LBB126_707:
	s_delay_alu instid0(SALU_CYCLE_1)
	s_and_not1_b32 vcc_lo, exec_lo, s29
	s_cbranch_vccnz .LBB126_715
; %bb.708:
	s_wait_xcnt 0x0
	v_cndmask_b32_e64 v3, 0, 1.0, s26
	v_mov_b32_e32 v4, 0x80
	s_mov_b32 s29, exec_lo
	s_delay_alu instid0(VALU_DEP_2)
	v_cmpx_gt_u32_e32 0x43800000, v3
	s_cbranch_execz .LBB126_714
; %bb.709:
	s_mov_b32 s30, 0
	s_mov_b32 s31, exec_lo
                                        ; implicit-def: $vgpr2
	v_cmpx_lt_u32_e32 0x3bffffff, v3
	s_xor_b32 s31, exec_lo, s31
	s_cbranch_execz .LBB126_816
; %bb.710:
	v_bfe_u32 v2, v3, 20, 1
	s_mov_b32 s30, exec_lo
	s_delay_alu instid0(VALU_DEP_1) | instskip(NEXT) | instid1(VALU_DEP_1)
	v_add3_u32 v2, v3, v2, 0x487ffff
                                        ; implicit-def: $vgpr3
	v_lshrrev_b32_e32 v2, 20, v2
	s_and_not1_saveexec_b32 s31, s31
	s_cbranch_execnz .LBB126_817
.LBB126_711:
	s_or_b32 exec_lo, exec_lo, s31
	v_mov_b32_e32 v4, 0
	s_and_saveexec_b32 s31, s30
.LBB126_712:
	v_mov_b32_e32 v4, v2
.LBB126_713:
	s_or_b32 exec_lo, exec_lo, s31
.LBB126_714:
	s_delay_alu instid0(SALU_CYCLE_1)
	s_or_b32 exec_lo, exec_lo, s29
	global_store_b8 v[0:1], v4, off
.LBB126_715:
	s_mov_b32 s29, -1
.LBB126_716:
	s_mov_b32 s30, 0
.LBB126_717:
	s_delay_alu instid0(SALU_CYCLE_1)
	s_and_b32 vcc_lo, exec_lo, s30
	s_cbranch_vccz .LBB126_758
; %bb.718:
	s_cmp_gt_i32 s28, 22
	s_mov_b32 s30, -1
	s_cbranch_scc0 .LBB126_750
; %bb.719:
	s_cmp_lt_i32 s28, 24
	s_mov_b32 s29, -1
	s_cbranch_scc1 .LBB126_739
; %bb.720:
	s_cmp_gt_i32 s28, 24
	s_cbranch_scc0 .LBB126_728
; %bb.721:
	s_wait_xcnt 0x0
	v_cndmask_b32_e64 v3, 0, 1.0, s26
	v_mov_b32_e32 v4, 0x80
	s_mov_b32 s29, exec_lo
	s_delay_alu instid0(VALU_DEP_2)
	v_cmpx_gt_u32_e32 0x47800000, v3
	s_cbranch_execz .LBB126_727
; %bb.722:
	s_mov_b32 s30, 0
	s_mov_b32 s31, exec_lo
                                        ; implicit-def: $vgpr2
	v_cmpx_lt_u32_e32 0x37ffffff, v3
	s_xor_b32 s31, exec_lo, s31
	s_cbranch_execz .LBB126_819
; %bb.723:
	v_bfe_u32 v2, v3, 21, 1
	s_mov_b32 s30, exec_lo
	s_delay_alu instid0(VALU_DEP_1) | instskip(NEXT) | instid1(VALU_DEP_1)
	v_add3_u32 v2, v3, v2, 0x88fffff
                                        ; implicit-def: $vgpr3
	v_lshrrev_b32_e32 v2, 21, v2
	s_and_not1_saveexec_b32 s31, s31
	s_cbranch_execnz .LBB126_820
.LBB126_724:
	s_or_b32 exec_lo, exec_lo, s31
	v_mov_b32_e32 v4, 0
	s_and_saveexec_b32 s31, s30
.LBB126_725:
	v_mov_b32_e32 v4, v2
.LBB126_726:
	s_or_b32 exec_lo, exec_lo, s31
.LBB126_727:
	s_delay_alu instid0(SALU_CYCLE_1)
	s_or_b32 exec_lo, exec_lo, s29
	s_mov_b32 s29, 0
	global_store_b8 v[0:1], v4, off
.LBB126_728:
	s_and_b32 vcc_lo, exec_lo, s29
	s_cbranch_vccz .LBB126_738
; %bb.729:
	s_wait_xcnt 0x0
	v_cndmask_b32_e64 v3, 0, 1.0, s26
	s_mov_b32 s29, exec_lo
                                        ; implicit-def: $vgpr2
	s_delay_alu instid0(VALU_DEP_1)
	v_cmpx_gt_u32_e32 0x43f00000, v3
	s_xor_b32 s29, exec_lo, s29
	s_cbranch_execz .LBB126_735
; %bb.730:
	s_mov_b32 s30, exec_lo
                                        ; implicit-def: $vgpr2
	v_cmpx_lt_u32_e32 0x3c7fffff, v3
	s_xor_b32 s30, exec_lo, s30
; %bb.731:
	v_bfe_u32 v2, v3, 20, 1
	s_delay_alu instid0(VALU_DEP_1) | instskip(NEXT) | instid1(VALU_DEP_1)
	v_add3_u32 v2, v3, v2, 0x407ffff
	v_and_b32_e32 v3, 0xff00000, v2
	v_lshrrev_b32_e32 v2, 20, v2
	s_delay_alu instid0(VALU_DEP_2) | instskip(NEXT) | instid1(VALU_DEP_2)
	v_cmp_ne_u32_e32 vcc_lo, 0x7f00000, v3
                                        ; implicit-def: $vgpr3
	v_cndmask_b32_e32 v2, 0x7e, v2, vcc_lo
; %bb.732:
	s_and_not1_saveexec_b32 s30, s30
; %bb.733:
	v_add_f32_e32 v2, 0x46800000, v3
; %bb.734:
	s_or_b32 exec_lo, exec_lo, s30
                                        ; implicit-def: $vgpr3
.LBB126_735:
	s_and_not1_saveexec_b32 s29, s29
; %bb.736:
	v_mov_b32_e32 v2, 0x7f
	v_cmp_lt_u32_e32 vcc_lo, 0x7f800000, v3
	s_delay_alu instid0(VALU_DEP_2)
	v_cndmask_b32_e32 v2, 0x7e, v2, vcc_lo
; %bb.737:
	s_or_b32 exec_lo, exec_lo, s29
	global_store_b8 v[0:1], v2, off
.LBB126_738:
	s_mov_b32 s29, 0
.LBB126_739:
	s_delay_alu instid0(SALU_CYCLE_1)
	s_and_not1_b32 vcc_lo, exec_lo, s29
	s_cbranch_vccnz .LBB126_749
; %bb.740:
	s_wait_xcnt 0x0
	v_cndmask_b32_e64 v3, 0, 1.0, s26
	s_mov_b32 s29, exec_lo
                                        ; implicit-def: $vgpr2
	s_delay_alu instid0(VALU_DEP_1)
	v_cmpx_gt_u32_e32 0x47800000, v3
	s_xor_b32 s29, exec_lo, s29
	s_cbranch_execz .LBB126_746
; %bb.741:
	s_mov_b32 s30, exec_lo
                                        ; implicit-def: $vgpr2
	v_cmpx_lt_u32_e32 0x387fffff, v3
	s_xor_b32 s30, exec_lo, s30
; %bb.742:
	v_bfe_u32 v2, v3, 21, 1
	s_delay_alu instid0(VALU_DEP_1) | instskip(NEXT) | instid1(VALU_DEP_1)
	v_add3_u32 v2, v3, v2, 0x80fffff
                                        ; implicit-def: $vgpr3
	v_lshrrev_b32_e32 v2, 21, v2
; %bb.743:
	s_and_not1_saveexec_b32 s30, s30
; %bb.744:
	v_add_f32_e32 v2, 0x43000000, v3
; %bb.745:
	s_or_b32 exec_lo, exec_lo, s30
                                        ; implicit-def: $vgpr3
.LBB126_746:
	s_and_not1_saveexec_b32 s29, s29
; %bb.747:
	v_mov_b32_e32 v2, 0x7f
	v_cmp_lt_u32_e32 vcc_lo, 0x7f800000, v3
	s_delay_alu instid0(VALU_DEP_2)
	v_cndmask_b32_e32 v2, 0x7c, v2, vcc_lo
; %bb.748:
	s_or_b32 exec_lo, exec_lo, s29
	global_store_b8 v[0:1], v2, off
.LBB126_749:
	s_mov_b32 s30, 0
	s_mov_b32 s29, -1
.LBB126_750:
	s_and_not1_b32 vcc_lo, exec_lo, s30
	s_cbranch_vccnz .LBB126_758
; %bb.751:
	s_cmp_gt_i32 s28, 14
	s_mov_b32 s30, -1
	s_cbranch_scc0 .LBB126_755
; %bb.752:
	s_cmp_eq_u32 s28, 15
	s_mov_b32 s0, -1
	s_cbranch_scc0 .LBB126_754
; %bb.753:
	s_wait_xcnt 0x0
	v_cndmask_b32_e64 v2, 0, 1.0, s26
	s_mov_b32 s29, -1
	s_mov_b32 s0, 0
	s_delay_alu instid0(VALU_DEP_1) | instskip(NEXT) | instid1(VALU_DEP_1)
	v_bfe_u32 v3, v2, 16, 1
	v_add3_u32 v2, v2, v3, 0x7fff
	global_store_d16_hi_b16 v[0:1], v2, off
.LBB126_754:
	s_mov_b32 s30, 0
.LBB126_755:
	s_delay_alu instid0(SALU_CYCLE_1)
	s_and_b32 vcc_lo, exec_lo, s30
	s_cbranch_vccz .LBB126_758
; %bb.756:
	s_cmp_eq_u32 s28, 11
	s_mov_b32 s0, -1
	s_cbranch_scc0 .LBB126_758
; %bb.757:
	s_wait_xcnt 0x0
	v_cndmask_b32_e64 v2, 0, 1, s26
	s_mov_b32 s29, -1
	s_mov_b32 s0, 0
	global_store_b8 v[0:1], v2, off
.LBB126_758:
	s_mov_b32 s28, 0
.LBB126_759:
	s_delay_alu instid0(SALU_CYCLE_1)
	s_and_b32 vcc_lo, exec_lo, s28
	s_cbranch_vccz .LBB126_798
; %bb.760:
	s_and_b32 s27, 0xffff, s27
	s_mov_b32 s28, -1
	s_cmp_lt_i32 s27, 5
	s_cbranch_scc1 .LBB126_781
; %bb.761:
	s_cmp_lt_i32 s27, 8
	s_cbranch_scc1 .LBB126_771
; %bb.762:
	;; [unrolled: 3-line block ×3, first 2 shown]
	s_cmp_gt_i32 s27, 9
	s_cbranch_scc0 .LBB126_765
; %bb.764:
	s_wait_xcnt 0x0
	v_cndmask_b32_e64 v2, 0, 1, s26
	v_mov_b32_e32 v4, 0
	s_mov_b32 s28, 0
	s_delay_alu instid0(VALU_DEP_2) | instskip(NEXT) | instid1(VALU_DEP_2)
	v_cvt_f64_u32_e32 v[2:3], v2
	v_mov_b32_e32 v5, v4
	global_store_b128 v[0:1], v[2:5], off
.LBB126_765:
	s_and_not1_b32 vcc_lo, exec_lo, s28
	s_cbranch_vccnz .LBB126_767
; %bb.766:
	s_wait_xcnt 0x0
	v_cndmask_b32_e64 v2, 0, 1.0, s26
	v_mov_b32_e32 v3, 0
	global_store_b64 v[0:1], v[2:3], off
.LBB126_767:
	s_mov_b32 s28, 0
.LBB126_768:
	s_delay_alu instid0(SALU_CYCLE_1)
	s_and_not1_b32 vcc_lo, exec_lo, s28
	s_cbranch_vccnz .LBB126_770
; %bb.769:
	s_wait_xcnt 0x0
	v_cndmask_b32_e64 v2, 0, 1.0, s26
	s_delay_alu instid0(VALU_DEP_1) | instskip(NEXT) | instid1(VALU_DEP_1)
	v_cvt_f16_f32_e32 v2, v2
	v_and_b32_e32 v2, 0xffff, v2
	global_store_b32 v[0:1], v2, off
.LBB126_770:
	s_mov_b32 s28, 0
.LBB126_771:
	s_delay_alu instid0(SALU_CYCLE_1)
	s_and_not1_b32 vcc_lo, exec_lo, s28
	s_cbranch_vccnz .LBB126_780
; %bb.772:
	s_cmp_lt_i32 s27, 6
	s_mov_b32 s28, -1
	s_cbranch_scc1 .LBB126_778
; %bb.773:
	s_cmp_gt_i32 s27, 6
	s_cbranch_scc0 .LBB126_775
; %bb.774:
	s_wait_xcnt 0x0
	v_cndmask_b32_e64 v2, 0, 1, s26
	s_mov_b32 s28, 0
	s_delay_alu instid0(VALU_DEP_1)
	v_cvt_f64_u32_e32 v[2:3], v2
	global_store_b64 v[0:1], v[2:3], off
.LBB126_775:
	s_and_not1_b32 vcc_lo, exec_lo, s28
	s_cbranch_vccnz .LBB126_777
; %bb.776:
	s_wait_xcnt 0x0
	v_cndmask_b32_e64 v2, 0, 1.0, s26
	global_store_b32 v[0:1], v2, off
.LBB126_777:
	s_mov_b32 s28, 0
.LBB126_778:
	s_delay_alu instid0(SALU_CYCLE_1)
	s_and_not1_b32 vcc_lo, exec_lo, s28
	s_cbranch_vccnz .LBB126_780
; %bb.779:
	s_wait_xcnt 0x0
	v_cndmask_b32_e64 v2, 0, 1.0, s26
	s_delay_alu instid0(VALU_DEP_1)
	v_cvt_f16_f32_e32 v2, v2
	global_store_b16 v[0:1], v2, off
.LBB126_780:
	s_mov_b32 s28, 0
.LBB126_781:
	s_delay_alu instid0(SALU_CYCLE_1)
	s_and_not1_b32 vcc_lo, exec_lo, s28
	s_cbranch_vccnz .LBB126_797
; %bb.782:
	s_cmp_lt_i32 s27, 2
	s_mov_b32 s28, -1
	s_cbranch_scc1 .LBB126_792
; %bb.783:
	s_cmp_lt_i32 s27, 3
	s_cbranch_scc1 .LBB126_789
; %bb.784:
	s_cmp_gt_i32 s27, 3
	s_cbranch_scc0 .LBB126_786
; %bb.785:
	s_mov_b32 s28, 0
	s_wait_xcnt 0x0
	v_cndmask_b32_e64 v2, 0, 1, s26
	v_mov_b32_e32 v3, s28
	global_store_b64 v[0:1], v[2:3], off
.LBB126_786:
	s_and_not1_b32 vcc_lo, exec_lo, s28
	s_cbranch_vccnz .LBB126_788
; %bb.787:
	s_wait_xcnt 0x0
	v_cndmask_b32_e64 v2, 0, 1, s26
	global_store_b32 v[0:1], v2, off
.LBB126_788:
	s_mov_b32 s28, 0
.LBB126_789:
	s_delay_alu instid0(SALU_CYCLE_1)
	s_and_not1_b32 vcc_lo, exec_lo, s28
	s_cbranch_vccnz .LBB126_791
; %bb.790:
	s_wait_xcnt 0x0
	v_cndmask_b32_e64 v2, 0, 1, s26
	global_store_b16 v[0:1], v2, off
.LBB126_791:
	s_mov_b32 s28, 0
.LBB126_792:
	s_delay_alu instid0(SALU_CYCLE_1)
	s_and_not1_b32 vcc_lo, exec_lo, s28
	s_cbranch_vccnz .LBB126_797
; %bb.793:
	s_wait_xcnt 0x0
	v_cndmask_b32_e64 v2, 0, 1, s26
	s_cmp_gt_i32 s27, 0
	s_mov_b32 s26, -1
	s_cbranch_scc0 .LBB126_795
; %bb.794:
	s_mov_b32 s26, 0
	global_store_b8 v[0:1], v2, off
.LBB126_795:
	s_and_not1_b32 vcc_lo, exec_lo, s26
	s_cbranch_vccnz .LBB126_797
; %bb.796:
	global_store_b8 v[0:1], v2, off
.LBB126_797:
	s_mov_b32 s29, -1
.LBB126_798:
	s_delay_alu instid0(SALU_CYCLE_1)
	s_and_not1_b32 vcc_lo, exec_lo, s29
	s_cbranch_vccnz .LBB126_800
; %bb.799:
	v_add_nc_u32_e32 v8, 0x80, v8
	s_mov_b32 s26, -1
	s_branch .LBB126_802
.LBB126_800:
	s_mov_b32 s26, 0
.LBB126_801:
                                        ; implicit-def: $vgpr8
.LBB126_802:
	s_and_not1_b32 s27, s22, exec_lo
	s_and_b32 s0, s0, exec_lo
	s_and_not1_b32 s28, s21, exec_lo
	s_and_b32 s29, s25, exec_lo
	s_or_b32 s25, s27, s0
	s_or_b32 s0, s28, s29
	s_or_not1_b32 s26, s26, exec_lo
.LBB126_803:
	s_wait_xcnt 0x0
	s_or_b32 exec_lo, exec_lo, s24
	s_mov_b32 s27, 0
	s_mov_b32 s28, 0
	;; [unrolled: 1-line block ×3, first 2 shown]
                                        ; implicit-def: $vgpr4_vgpr5
                                        ; implicit-def: $vgpr2_vgpr3
	s_and_saveexec_b32 s24, s26
	s_cbranch_execz .LBB126_891
; %bb.804:
	v_cmp_gt_i32_e32 vcc_lo, s17, v8
	s_mov_b32 s26, 0
	s_mov_b32 s27, s0
	;; [unrolled: 1-line block ×3, first 2 shown]
                                        ; implicit-def: $vgpr4_vgpr5
                                        ; implicit-def: $vgpr2_vgpr3
	s_and_saveexec_b32 s17, vcc_lo
	s_cbranch_execz .LBB126_890
; %bb.805:
	s_wait_loadcnt 0x0
	v_mul_lo_u32 v0, v8, s3
	s_and_b32 s26, 0xffff, s14
	s_delay_alu instid0(SALU_CYCLE_1) | instskip(NEXT) | instid1(VALU_DEP_1)
	s_cmp_lt_i32 s26, 11
	v_ashrrev_i32_e32 v1, 31, v0
	s_delay_alu instid0(VALU_DEP_1)
	v_add_nc_u64_e32 v[4:5], s[6:7], v[0:1]
	s_cbranch_scc1 .LBB126_812
; %bb.806:
	s_cmp_gt_i32 s26, 25
	s_cbranch_scc0 .LBB126_813
; %bb.807:
	s_cmp_gt_i32 s26, 28
	s_cbranch_scc0 .LBB126_814
	;; [unrolled: 3-line block ×4, first 2 shown]
; %bb.810:
	s_cmp_eq_u32 s26, 46
	s_cbranch_scc0 .LBB126_821
; %bb.811:
	global_load_b32 v0, v[4:5], off
	s_mov_b32 s27, 0
	s_mov_b32 s29, -1
	s_wait_loadcnt 0x0
	v_lshlrev_b32_e32 v1, 16, v0
	v_and_b32_e32 v2, 0xffff0000, v0
	s_delay_alu instid0(VALU_DEP_2) | instskip(NEXT) | instid1(VALU_DEP_2)
	v_cvt_f64_f32_e32 v[0:1], v1
	v_cvt_f64_f32_e32 v[2:3], v2
	s_branch .LBB126_823
.LBB126_812:
	s_mov_b32 s26, -1
	s_mov_b32 s27, s0
                                        ; implicit-def: $vgpr2_vgpr3
	s_branch .LBB126_889
.LBB126_813:
	s_mov_b32 s30, -1
	s_mov_b32 s27, s0
                                        ; implicit-def: $vgpr2_vgpr3
	s_branch .LBB126_854
.LBB126_814:
	s_mov_b32 s30, -1
	s_mov_b32 s27, s0
                                        ; implicit-def: $vgpr2_vgpr3
	s_branch .LBB126_835
.LBB126_815:
	s_mov_b32 s30, -1
	s_mov_b32 s27, s0
                                        ; implicit-def: $vgpr2_vgpr3
	s_branch .LBB126_829
.LBB126_816:
	s_and_not1_saveexec_b32 s31, s31
	s_cbranch_execz .LBB126_711
.LBB126_817:
	v_add_f32_e32 v2, 0x46000000, v3
	s_and_not1_b32 s30, s30, exec_lo
	s_delay_alu instid0(VALU_DEP_1) | instskip(NEXT) | instid1(VALU_DEP_1)
	v_and_b32_e32 v2, 0xff, v2
	v_cmp_ne_u32_e32 vcc_lo, 0, v2
	s_and_b32 s33, vcc_lo, exec_lo
	s_delay_alu instid0(SALU_CYCLE_1)
	s_or_b32 s30, s30, s33
	s_or_b32 exec_lo, exec_lo, s31
	v_mov_b32_e32 v4, 0
	s_and_saveexec_b32 s31, s30
	s_cbranch_execnz .LBB126_712
	s_branch .LBB126_713
.LBB126_818:
	s_mov_b32 s30, -1
	s_mov_b32 s27, s0
	s_branch .LBB126_822
.LBB126_819:
	s_and_not1_saveexec_b32 s31, s31
	s_cbranch_execz .LBB126_724
.LBB126_820:
	v_add_f32_e32 v2, 0x42800000, v3
	s_and_not1_b32 s30, s30, exec_lo
	s_delay_alu instid0(VALU_DEP_1) | instskip(NEXT) | instid1(VALU_DEP_1)
	v_and_b32_e32 v2, 0xff, v2
	v_cmp_ne_u32_e32 vcc_lo, 0, v2
	s_and_b32 s33, vcc_lo, exec_lo
	s_delay_alu instid0(SALU_CYCLE_1)
	s_or_b32 s30, s30, s33
	s_or_b32 exec_lo, exec_lo, s31
	v_mov_b32_e32 v4, 0
	s_and_saveexec_b32 s31, s30
	s_cbranch_execnz .LBB126_725
	s_branch .LBB126_726
.LBB126_821:
	s_mov_b32 s27, -1
.LBB126_822:
                                        ; implicit-def: $vgpr2_vgpr3
.LBB126_823:
	s_and_b32 vcc_lo, exec_lo, s30
	s_cbranch_vccz .LBB126_828
; %bb.824:
	s_cmp_eq_u32 s26, 44
	s_cbranch_scc0 .LBB126_826
; %bb.825:
	global_load_u8 v2, v[4:5], off
	s_mov_b32 s27, 0
	s_mov_b32 s29, -1
	s_wait_loadcnt 0x0
	v_cmp_ne_u32_e32 vcc_lo, 0xff, v2
	v_lshlrev_b32_e32 v0, 23, v2
	s_delay_alu instid0(VALU_DEP_1) | instskip(NEXT) | instid1(VALU_DEP_1)
	v_cvt_f64_f32_e32 v[0:1], v0
	v_cndmask_b32_e32 v0, 0x20000000, v0, vcc_lo
	s_delay_alu instid0(VALU_DEP_2) | instskip(SKIP_1) | instid1(VALU_DEP_2)
	v_cndmask_b32_e32 v1, 0x7ff80000, v1, vcc_lo
	v_cmp_ne_u32_e32 vcc_lo, 0, v2
	v_cndmask_b32_e32 v1, 0x38000000, v1, vcc_lo
	s_delay_alu instid0(VALU_DEP_4)
	v_cndmask_b32_e32 v0, 0, v0, vcc_lo
	s_branch .LBB126_827
.LBB126_826:
	s_mov_b32 s27, -1
                                        ; implicit-def: $vgpr0_vgpr1
.LBB126_827:
	v_mov_b64_e32 v[2:3], 0
.LBB126_828:
	s_mov_b32 s30, 0
.LBB126_829:
	s_delay_alu instid0(SALU_CYCLE_1)
	s_and_b32 vcc_lo, exec_lo, s30
	s_cbranch_vccz .LBB126_834
; %bb.830:
	s_cmp_eq_u32 s26, 29
	s_cbranch_scc0 .LBB126_832
; %bb.831:
	global_load_b64 v[0:1], v[4:5], off
	s_mov_b32 s27, 0
	s_mov_b32 s29, -1
	s_wait_loadcnt 0x0
	v_cvt_f64_u32_e32 v[2:3], v1
	v_cvt_f64_u32_e32 v[0:1], v0
	s_delay_alu instid0(VALU_DEP_2) | instskip(NEXT) | instid1(VALU_DEP_1)
	v_ldexp_f64 v[2:3], v[2:3], 32
	v_add_f64_e32 v[0:1], v[2:3], v[0:1]
	s_branch .LBB126_833
.LBB126_832:
	s_mov_b32 s27, -1
                                        ; implicit-def: $vgpr0_vgpr1
.LBB126_833:
	v_mov_b64_e32 v[2:3], 0
.LBB126_834:
	s_mov_b32 s30, 0
.LBB126_835:
	s_delay_alu instid0(SALU_CYCLE_1)
	s_and_b32 vcc_lo, exec_lo, s30
	s_cbranch_vccz .LBB126_853
; %bb.836:
	s_cmp_lt_i32 s26, 27
	s_cbranch_scc1 .LBB126_839
; %bb.837:
	s_cmp_gt_i32 s26, 27
	s_cbranch_scc0 .LBB126_840
; %bb.838:
	global_load_b32 v0, v[4:5], off
	s_mov_b32 s29, 0
	s_wait_loadcnt 0x0
	v_cvt_f64_u32_e32 v[0:1], v0
	s_branch .LBB126_841
.LBB126_839:
	s_mov_b32 s29, -1
                                        ; implicit-def: $vgpr0_vgpr1
	s_branch .LBB126_844
.LBB126_840:
	s_mov_b32 s29, -1
                                        ; implicit-def: $vgpr0_vgpr1
.LBB126_841:
	s_delay_alu instid0(SALU_CYCLE_1)
	s_and_not1_b32 vcc_lo, exec_lo, s29
	s_cbranch_vccnz .LBB126_843
; %bb.842:
	global_load_u16 v0, v[4:5], off
	s_wait_loadcnt 0x0
	v_cvt_f64_u32_e32 v[0:1], v0
.LBB126_843:
	s_mov_b32 s29, 0
.LBB126_844:
	s_delay_alu instid0(SALU_CYCLE_1)
	s_and_not1_b32 vcc_lo, exec_lo, s29
	s_cbranch_vccnz .LBB126_852
; %bb.845:
	global_load_u8 v2, v[4:5], off
	s_mov_b32 s29, 0
	s_mov_b32 s30, exec_lo
	s_wait_loadcnt 0x0
	v_cmpx_lt_i16_e32 0x7f, v2
	s_xor_b32 s30, exec_lo, s30
	s_cbranch_execz .LBB126_866
; %bb.846:
	s_mov_b32 s29, -1
	s_mov_b32 s31, exec_lo
	v_cmpx_eq_u16_e32 0x80, v2
; %bb.847:
	s_xor_b32 s29, exec_lo, -1
; %bb.848:
	s_or_b32 exec_lo, exec_lo, s31
	s_delay_alu instid0(SALU_CYCLE_1)
	s_and_b32 s29, s29, exec_lo
	s_or_saveexec_b32 s30, s30
	v_mov_b64_e32 v[0:1], 0x7ff8000020000000
	s_xor_b32 exec_lo, exec_lo, s30
	s_cbranch_execnz .LBB126_867
.LBB126_849:
	s_or_b32 exec_lo, exec_lo, s30
	s_and_saveexec_b32 s30, s29
	s_cbranch_execz .LBB126_851
.LBB126_850:
	v_and_b32_e32 v0, 0xffff, v2
	s_delay_alu instid0(VALU_DEP_1) | instskip(SKIP_1) | instid1(VALU_DEP_2)
	v_and_b32_e32 v1, 7, v0
	v_bfe_u32 v7, v0, 3, 4
	v_clz_i32_u32_e32 v3, v1
	s_delay_alu instid0(VALU_DEP_2) | instskip(NEXT) | instid1(VALU_DEP_2)
	v_cmp_eq_u32_e32 vcc_lo, 0, v7
	v_min_u32_e32 v3, 32, v3
	s_delay_alu instid0(VALU_DEP_1) | instskip(NEXT) | instid1(VALU_DEP_1)
	v_subrev_nc_u32_e32 v6, 28, v3
	v_dual_lshlrev_b32 v0, v6, v0 :: v_dual_sub_nc_u32 v3, 29, v3
	s_delay_alu instid0(VALU_DEP_1) | instskip(NEXT) | instid1(VALU_DEP_1)
	v_dual_lshlrev_b32 v2, 24, v2 :: v_dual_bitop2_b32 v0, 7, v0 bitop3:0x40
	v_dual_cndmask_b32 v3, v7, v3 :: v_dual_cndmask_b32 v0, v1, v0
	s_delay_alu instid0(VALU_DEP_2) | instskip(NEXT) | instid1(VALU_DEP_2)
	v_and_b32_e32 v1, 0x80000000, v2
	v_lshl_add_u32 v2, v3, 23, 0x3b800000
	s_delay_alu instid0(VALU_DEP_3) | instskip(NEXT) | instid1(VALU_DEP_1)
	v_lshlrev_b32_e32 v0, 20, v0
	v_or3_b32 v0, v1, v2, v0
	s_delay_alu instid0(VALU_DEP_1)
	v_cvt_f64_f32_e32 v[0:1], v0
.LBB126_851:
	s_or_b32 exec_lo, exec_lo, s30
.LBB126_852:
	v_mov_b64_e32 v[2:3], 0
	s_mov_b32 s29, -1
.LBB126_853:
	s_mov_b32 s30, 0
.LBB126_854:
	s_delay_alu instid0(SALU_CYCLE_1)
	s_and_b32 vcc_lo, exec_lo, s30
	s_cbranch_vccz .LBB126_888
; %bb.855:
	s_cmp_gt_i32 s26, 22
	s_cbranch_scc0 .LBB126_865
; %bb.856:
	s_cmp_lt_i32 s26, 24
	s_cbranch_scc1 .LBB126_868
; %bb.857:
	s_cmp_gt_i32 s26, 24
	s_cbranch_scc0 .LBB126_869
; %bb.858:
	global_load_u8 v2, v[4:5], off
	s_mov_b32 s29, exec_lo
	s_wait_loadcnt 0x0
	v_cmpx_lt_i16_e32 0x7f, v2
	s_xor_b32 s29, exec_lo, s29
	s_cbranch_execz .LBB126_881
; %bb.859:
	s_mov_b32 s28, -1
	s_mov_b32 s30, exec_lo
	v_cmpx_eq_u16_e32 0x80, v2
; %bb.860:
	s_xor_b32 s28, exec_lo, -1
; %bb.861:
	s_or_b32 exec_lo, exec_lo, s30
	s_delay_alu instid0(SALU_CYCLE_1)
	s_and_b32 s28, s28, exec_lo
	s_or_saveexec_b32 s29, s29
	v_mov_b64_e32 v[0:1], 0x7ff8000020000000
	s_xor_b32 exec_lo, exec_lo, s29
	s_cbranch_execnz .LBB126_882
.LBB126_862:
	s_or_b32 exec_lo, exec_lo, s29
	s_and_saveexec_b32 s29, s28
	s_cbranch_execz .LBB126_864
.LBB126_863:
	v_and_b32_e32 v0, 0xffff, v2
	s_delay_alu instid0(VALU_DEP_1) | instskip(SKIP_1) | instid1(VALU_DEP_2)
	v_and_b32_e32 v1, 3, v0
	v_bfe_u32 v7, v0, 2, 5
	v_clz_i32_u32_e32 v3, v1
	s_delay_alu instid0(VALU_DEP_2) | instskip(NEXT) | instid1(VALU_DEP_2)
	v_cmp_eq_u32_e32 vcc_lo, 0, v7
	v_min_u32_e32 v3, 32, v3
	s_delay_alu instid0(VALU_DEP_1) | instskip(NEXT) | instid1(VALU_DEP_1)
	v_subrev_nc_u32_e32 v6, 29, v3
	v_dual_lshlrev_b32 v0, v6, v0 :: v_dual_sub_nc_u32 v3, 30, v3
	s_delay_alu instid0(VALU_DEP_1) | instskip(NEXT) | instid1(VALU_DEP_1)
	v_dual_lshlrev_b32 v2, 24, v2 :: v_dual_bitop2_b32 v0, 3, v0 bitop3:0x40
	v_dual_cndmask_b32 v3, v7, v3 :: v_dual_cndmask_b32 v0, v1, v0
	s_delay_alu instid0(VALU_DEP_2) | instskip(NEXT) | instid1(VALU_DEP_2)
	v_and_b32_e32 v1, 0x80000000, v2
	v_lshl_add_u32 v2, v3, 23, 0x37800000
	s_delay_alu instid0(VALU_DEP_3) | instskip(NEXT) | instid1(VALU_DEP_1)
	v_lshlrev_b32_e32 v0, 21, v0
	v_or3_b32 v0, v1, v2, v0
	s_delay_alu instid0(VALU_DEP_1)
	v_cvt_f64_f32_e32 v[0:1], v0
.LBB126_864:
	s_or_b32 exec_lo, exec_lo, s29
	s_mov_b32 s28, 0
	s_branch .LBB126_870
.LBB126_865:
	s_mov_b32 s28, -1
                                        ; implicit-def: $vgpr0_vgpr1
	s_branch .LBB126_876
.LBB126_866:
	s_or_saveexec_b32 s30, s30
	v_mov_b64_e32 v[0:1], 0x7ff8000020000000
	s_xor_b32 exec_lo, exec_lo, s30
	s_cbranch_execz .LBB126_849
.LBB126_867:
	v_cmp_ne_u16_e32 vcc_lo, 0, v2
	v_mov_b64_e32 v[0:1], 0
	s_and_not1_b32 s29, s29, exec_lo
	s_and_b32 s31, vcc_lo, exec_lo
	s_delay_alu instid0(SALU_CYCLE_1)
	s_or_b32 s29, s29, s31
	s_or_b32 exec_lo, exec_lo, s30
	s_and_saveexec_b32 s30, s29
	s_cbranch_execnz .LBB126_850
	s_branch .LBB126_851
.LBB126_868:
	s_mov_b32 s28, -1
                                        ; implicit-def: $vgpr0_vgpr1
	s_branch .LBB126_873
.LBB126_869:
	s_mov_b32 s28, -1
                                        ; implicit-def: $vgpr0_vgpr1
.LBB126_870:
	s_delay_alu instid0(SALU_CYCLE_1)
	s_and_b32 vcc_lo, exec_lo, s28
	s_cbranch_vccz .LBB126_872
; %bb.871:
	global_load_u8 v0, v[4:5], off
	s_wait_loadcnt 0x0
	v_lshlrev_b32_e32 v0, 24, v0
	s_delay_alu instid0(VALU_DEP_1) | instskip(NEXT) | instid1(VALU_DEP_1)
	v_and_b32_e32 v1, 0x7f000000, v0
	v_clz_i32_u32_e32 v2, v1
	v_cmp_ne_u32_e32 vcc_lo, 0, v1
	v_add_nc_u32_e32 v6, 0x1000000, v1
	s_delay_alu instid0(VALU_DEP_3) | instskip(NEXT) | instid1(VALU_DEP_1)
	v_min_u32_e32 v2, 32, v2
	v_sub_nc_u32_e64 v2, v2, 4 clamp
	s_delay_alu instid0(VALU_DEP_1) | instskip(NEXT) | instid1(VALU_DEP_1)
	v_dual_lshlrev_b32 v3, v2, v1 :: v_dual_lshlrev_b32 v2, 23, v2
	v_lshrrev_b32_e32 v3, 4, v3
	s_delay_alu instid0(VALU_DEP_1) | instskip(SKIP_1) | instid1(VALU_DEP_2)
	v_sub_nc_u32_e32 v2, v3, v2
	v_ashrrev_i32_e32 v3, 8, v6
	v_add_nc_u32_e32 v2, 0x3c000000, v2
	s_delay_alu instid0(VALU_DEP_1) | instskip(NEXT) | instid1(VALU_DEP_1)
	v_and_or_b32 v2, 0x7f800000, v3, v2
	v_cndmask_b32_e32 v1, 0, v2, vcc_lo
	s_delay_alu instid0(VALU_DEP_1) | instskip(NEXT) | instid1(VALU_DEP_1)
	v_and_or_b32 v0, 0x80000000, v0, v1
	v_cvt_f64_f32_e32 v[0:1], v0
.LBB126_872:
	s_mov_b32 s28, 0
.LBB126_873:
	s_delay_alu instid0(SALU_CYCLE_1)
	s_and_not1_b32 vcc_lo, exec_lo, s28
	s_cbranch_vccnz .LBB126_875
; %bb.874:
	global_load_u8 v0, v[4:5], off
	s_wait_loadcnt 0x0
	v_lshlrev_b32_e32 v1, 25, v0
	v_lshlrev_b16 v0, 8, v0
	s_delay_alu instid0(VALU_DEP_1) | instskip(SKIP_1) | instid1(VALU_DEP_2)
	v_and_or_b32 v3, 0x7f00, v0, 0.5
	v_bfe_i32 v0, v0, 0, 16
	v_dual_add_f32 v3, -0.5, v3 :: v_dual_lshrrev_b32 v2, 4, v1
	v_cmp_gt_u32_e32 vcc_lo, 0x8000000, v1
	s_delay_alu instid0(VALU_DEP_2) | instskip(NEXT) | instid1(VALU_DEP_1)
	v_or_b32_e32 v2, 0x70000000, v2
	v_mul_f32_e32 v2, 0x7800000, v2
	s_delay_alu instid0(VALU_DEP_1) | instskip(NEXT) | instid1(VALU_DEP_1)
	v_cndmask_b32_e32 v1, v2, v3, vcc_lo
	v_and_or_b32 v0, 0x80000000, v0, v1
	s_delay_alu instid0(VALU_DEP_1)
	v_cvt_f64_f32_e32 v[0:1], v0
.LBB126_875:
	s_mov_b32 s28, 0
	s_mov_b32 s29, -1
.LBB126_876:
	s_and_not1_b32 vcc_lo, exec_lo, s28
	s_mov_b32 s28, 0
	s_cbranch_vccnz .LBB126_887
; %bb.877:
	s_cmp_gt_i32 s26, 14
	s_cbranch_scc0 .LBB126_880
; %bb.878:
	s_cmp_eq_u32 s26, 15
	s_cbranch_scc0 .LBB126_883
; %bb.879:
	global_load_u16 v0, v[4:5], off
	s_mov_b32 s27, 0
	s_mov_b32 s29, -1
	s_wait_loadcnt 0x0
	v_lshlrev_b32_e32 v0, 16, v0
	s_delay_alu instid0(VALU_DEP_1)
	v_cvt_f64_f32_e32 v[0:1], v0
	s_branch .LBB126_885
.LBB126_880:
	s_mov_b32 s28, -1
	s_branch .LBB126_884
.LBB126_881:
	s_or_saveexec_b32 s29, s29
	v_mov_b64_e32 v[0:1], 0x7ff8000020000000
	s_xor_b32 exec_lo, exec_lo, s29
	s_cbranch_execz .LBB126_862
.LBB126_882:
	v_cmp_ne_u16_e32 vcc_lo, 0, v2
	v_mov_b64_e32 v[0:1], 0
	s_and_not1_b32 s28, s28, exec_lo
	s_and_b32 s30, vcc_lo, exec_lo
	s_delay_alu instid0(SALU_CYCLE_1)
	s_or_b32 s28, s28, s30
	s_or_b32 exec_lo, exec_lo, s29
	s_and_saveexec_b32 s29, s28
	s_cbranch_execnz .LBB126_863
	s_branch .LBB126_864
.LBB126_883:
	s_mov_b32 s27, -1
.LBB126_884:
                                        ; implicit-def: $vgpr0_vgpr1
.LBB126_885:
	s_and_b32 vcc_lo, exec_lo, s28
	s_mov_b32 s28, 0
	s_cbranch_vccz .LBB126_887
; %bb.886:
	s_cmp_lg_u32 s26, 11
	s_mov_b32 s28, -1
	s_cselect_b32 s26, -1, 0
	s_and_not1_b32 s27, s27, exec_lo
	s_and_b32 s26, s26, exec_lo
	s_delay_alu instid0(SALU_CYCLE_1)
	s_or_b32 s27, s27, s26
.LBB126_887:
	v_mov_b64_e32 v[2:3], 0
.LBB126_888:
	s_mov_b32 s26, 0
.LBB126_889:
	s_and_not1_b32 s31, s0, exec_lo
	s_and_b32 s27, s27, exec_lo
	s_and_b32 s29, s29, exec_lo
	;; [unrolled: 1-line block ×4, first 2 shown]
	s_or_b32 s27, s31, s27
.LBB126_890:
	s_wait_xcnt 0x0
	s_or_b32 exec_lo, exec_lo, s17
	s_delay_alu instid0(SALU_CYCLE_1)
	s_and_not1_b32 s0, s0, exec_lo
	s_and_b32 s17, s27, exec_lo
	s_and_b32 s29, s29, exec_lo
	;; [unrolled: 1-line block ×4, first 2 shown]
	s_or_b32 s0, s0, s17
.LBB126_891:
	s_or_b32 exec_lo, exec_lo, s24
	s_delay_alu instid0(SALU_CYCLE_1)
	s_and_not1_b32 s17, s22, exec_lo
	s_and_b32 s22, s25, exec_lo
	s_and_b32 s0, s0, exec_lo
	s_or_b32 s22, s17, s22
	s_and_not1_b32 s17, s21, exec_lo
	s_and_b32 s26, s29, exec_lo
	s_and_b32 s25, s28, exec_lo
	;; [unrolled: 1-line block ×3, first 2 shown]
	s_or_b32 s21, s17, s0
.LBB126_892:
	s_or_b32 exec_lo, exec_lo, s23
	s_delay_alu instid0(SALU_CYCLE_1)
	s_and_not1_b32 s0, s18, exec_lo
	s_and_b32 s17, s22, exec_lo
	s_and_b32 s22, s25, exec_lo
	s_or_b32 s18, s0, s17
	s_and_not1_b32 s17, s19, exec_lo
	s_and_b32 s19, s21, exec_lo
	s_and_b32 s0, s26, exec_lo
	;; [unrolled: 1-line block ×3, first 2 shown]
	s_or_b32 s19, s17, s19
	s_or_b32 exec_lo, exec_lo, s20
	s_mov_b32 s17, 0
	s_and_saveexec_b32 s20, s19
	s_cbranch_execz .LBB126_270
.LBB126_893:
	s_mov_b32 s17, exec_lo
	s_and_not1_b32 s21, s21, exec_lo
	s_trap 2
	s_or_b32 exec_lo, exec_lo, s20
	s_and_saveexec_b32 s19, s21
	s_delay_alu instid0(SALU_CYCLE_1)
	s_xor_b32 s19, exec_lo, s19
	s_cbranch_execnz .LBB126_271
.LBB126_894:
	s_or_b32 exec_lo, exec_lo, s19
	s_and_saveexec_b32 s19, s22
	s_cbranch_execz .LBB126_942
.LBB126_895:
	s_sext_i32_i16 s20, s14
	s_delay_alu instid0(SALU_CYCLE_1)
	s_cmp_lt_i32 s20, 5
	s_cbranch_scc1 .LBB126_900
; %bb.896:
	s_cmp_lt_i32 s20, 8
	s_cbranch_scc1 .LBB126_901
; %bb.897:
	s_cmp_lt_i32 s20, 9
	s_cbranch_scc1 .LBB126_902
; %bb.898:
	s_cmp_gt_i32 s20, 9
	s_cbranch_scc0 .LBB126_903
; %bb.899:
	s_wait_loadcnt 0x0
	global_load_b128 v[0:3], v[4:5], off
	s_mov_b32 s20, 0
	s_branch .LBB126_904
.LBB126_900:
                                        ; implicit-def: $vgpr2_vgpr3
	s_branch .LBB126_922
.LBB126_901:
                                        ; implicit-def: $vgpr2_vgpr3
	s_branch .LBB126_910
.LBB126_902:
	s_mov_b32 s20, -1
                                        ; implicit-def: $vgpr2_vgpr3
	s_branch .LBB126_907
.LBB126_903:
	s_mov_b32 s20, -1
                                        ; implicit-def: $vgpr2_vgpr3
.LBB126_904:
	s_delay_alu instid0(SALU_CYCLE_1)
	s_and_not1_b32 vcc_lo, exec_lo, s20
	s_cbranch_vccnz .LBB126_906
; %bb.905:
	s_wait_loadcnt 0x0
	global_load_b64 v[2:3], v[4:5], off
	s_wait_loadcnt 0x0
	v_cvt_f64_f32_e32 v[0:1], v2
	v_cvt_f64_f32_e32 v[2:3], v3
.LBB126_906:
	s_mov_b32 s20, 0
.LBB126_907:
	s_delay_alu instid0(SALU_CYCLE_1)
	s_and_not1_b32 vcc_lo, exec_lo, s20
	s_cbranch_vccnz .LBB126_909
; %bb.908:
	s_wait_loadcnt 0x0
	global_load_b32 v0, v[4:5], off
	s_wait_loadcnt 0x0
	v_lshrrev_b32_e32 v1, 16, v0
	v_cvt_f32_f16_e32 v0, v0
	s_delay_alu instid0(VALU_DEP_2) | instskip(NEXT) | instid1(VALU_DEP_2)
	v_cvt_f32_f16_e32 v2, v1
	v_cvt_f64_f32_e32 v[0:1], v0
	s_delay_alu instid0(VALU_DEP_2)
	v_cvt_f64_f32_e32 v[2:3], v2
.LBB126_909:
	s_cbranch_execnz .LBB126_921
.LBB126_910:
	s_sext_i32_i16 s20, s14
	s_delay_alu instid0(SALU_CYCLE_1)
	s_cmp_lt_i32 s20, 6
	s_cbranch_scc1 .LBB126_913
; %bb.911:
	s_cmp_gt_i32 s20, 6
	s_cbranch_scc0 .LBB126_914
; %bb.912:
	s_wait_loadcnt 0x0
	global_load_b64 v[0:1], v[4:5], off
	s_mov_b32 s20, 0
	s_branch .LBB126_915
.LBB126_913:
	s_mov_b32 s20, -1
                                        ; implicit-def: $vgpr0_vgpr1
	s_branch .LBB126_918
.LBB126_914:
	s_mov_b32 s20, -1
                                        ; implicit-def: $vgpr0_vgpr1
.LBB126_915:
	s_delay_alu instid0(SALU_CYCLE_1)
	s_and_not1_b32 vcc_lo, exec_lo, s20
	s_cbranch_vccnz .LBB126_917
; %bb.916:
	s_wait_loadcnt 0x0
	global_load_b32 v0, v[4:5], off
	s_wait_loadcnt 0x0
	v_cvt_f64_f32_e32 v[0:1], v0
.LBB126_917:
	s_mov_b32 s20, 0
.LBB126_918:
	s_delay_alu instid0(SALU_CYCLE_1)
	s_and_not1_b32 vcc_lo, exec_lo, s20
	s_cbranch_vccnz .LBB126_920
; %bb.919:
	s_wait_loadcnt 0x0
	global_load_u16 v0, v[4:5], off
	s_wait_loadcnt 0x0
	v_cvt_f32_f16_e32 v0, v0
	s_delay_alu instid0(VALU_DEP_1)
	v_cvt_f64_f32_e32 v[0:1], v0
.LBB126_920:
	s_wait_loadcnt 0x0
	v_mov_b64_e32 v[2:3], 0
.LBB126_921:
	s_cbranch_execnz .LBB126_941
.LBB126_922:
	s_sext_i32_i16 s20, s14
	s_delay_alu instid0(SALU_CYCLE_1)
	s_cmp_lt_i32 s20, 2
	s_cbranch_scc1 .LBB126_926
; %bb.923:
	s_cmp_lt_i32 s20, 3
	s_cbranch_scc1 .LBB126_927
; %bb.924:
	s_cmp_gt_i32 s20, 3
	s_cbranch_scc0 .LBB126_928
; %bb.925:
	s_wait_loadcnt 0x0
	global_load_b64 v[0:1], v[4:5], off
	s_mov_b32 s20, 0
	s_wait_loadcnt 0x0
	v_cvt_f64_i32_e32 v[2:3], v1
	v_cvt_f64_u32_e32 v[0:1], v0
	s_delay_alu instid0(VALU_DEP_2) | instskip(NEXT) | instid1(VALU_DEP_1)
	v_ldexp_f64 v[2:3], v[2:3], 32
	v_add_f64_e32 v[0:1], v[2:3], v[0:1]
	s_branch .LBB126_929
.LBB126_926:
                                        ; implicit-def: $vgpr0_vgpr1
	s_branch .LBB126_935
.LBB126_927:
	s_mov_b32 s20, -1
                                        ; implicit-def: $vgpr0_vgpr1
	s_branch .LBB126_932
.LBB126_928:
	s_mov_b32 s20, -1
                                        ; implicit-def: $vgpr0_vgpr1
.LBB126_929:
	s_delay_alu instid0(SALU_CYCLE_1)
	s_and_not1_b32 vcc_lo, exec_lo, s20
	s_cbranch_vccnz .LBB126_931
; %bb.930:
	s_wait_loadcnt 0x0
	global_load_b32 v0, v[4:5], off
	s_wait_loadcnt 0x0
	v_cvt_f64_i32_e32 v[0:1], v0
.LBB126_931:
	s_mov_b32 s20, 0
.LBB126_932:
	s_delay_alu instid0(SALU_CYCLE_1)
	s_and_not1_b32 vcc_lo, exec_lo, s20
	s_cbranch_vccnz .LBB126_934
; %bb.933:
	s_wait_loadcnt 0x0
	global_load_i16 v0, v[4:5], off
	s_wait_loadcnt 0x0
	v_cvt_f64_i32_e32 v[0:1], v0
.LBB126_934:
	s_cbranch_execnz .LBB126_940
.LBB126_935:
	s_sext_i32_i16 s20, s14
	s_delay_alu instid0(SALU_CYCLE_1)
	s_cmp_gt_i32 s20, 0
	s_mov_b32 s20, 0
	s_cbranch_scc0 .LBB126_937
; %bb.936:
	s_wait_loadcnt 0x0
	global_load_i8 v0, v[4:5], off
	s_wait_loadcnt 0x0
	v_cvt_f64_i32_e32 v[0:1], v0
	s_branch .LBB126_938
.LBB126_937:
	s_mov_b32 s20, -1
                                        ; implicit-def: $vgpr0_vgpr1
.LBB126_938:
	s_delay_alu instid0(SALU_CYCLE_1)
	s_and_not1_b32 vcc_lo, exec_lo, s20
	s_cbranch_vccnz .LBB126_940
; %bb.939:
	s_wait_loadcnt 0x0
	global_load_u8 v0, v[4:5], off
	s_wait_loadcnt 0x0
	v_cvt_f64_u32_e32 v[0:1], v0
.LBB126_940:
	s_wait_loadcnt 0x0
	v_mov_b64_e32 v[2:3], 0
.LBB126_941:
	s_or_b32 s0, s0, exec_lo
.LBB126_942:
	s_wait_xcnt 0x0
	s_or_b32 exec_lo, exec_lo, s19
	s_mov_b32 s23, 0
	s_mov_b32 s22, 0
                                        ; implicit-def: $sgpr19
                                        ; implicit-def: $sgpr20
                                        ; implicit-def: $vgpr4_vgpr5
	s_and_saveexec_b32 s21, s0
	s_cbranch_execz .LBB126_953
; %bb.943:
	s_and_not1_b32 vcc_lo, exec_lo, s16
	s_cbranch_vccnz .LBB126_957
; %bb.944:
	s_wait_loadcnt 0x0
	s_delay_alu instid0(VALU_DEP_1) | instskip(NEXT) | instid1(VALU_DEP_2)
	v_cmp_neq_f64_e32 vcc_lo, s[8:9], v[0:1]
	v_cmp_neq_f64_e64 s0, s[10:11], v[2:3]
	s_or_b32 s19, vcc_lo, s0
	s_cbranch_execnz .LBB126_946
.LBB126_945:
	s_wait_loadcnt 0x0
	s_delay_alu instid0(VALU_DEP_1) | instskip(NEXT) | instid1(VALU_DEP_2)
	v_cmp_eq_f64_e32 vcc_lo, s[8:9], v[0:1]
	v_cmp_eq_f64_e64 s0, s[10:11], v[2:3]
	s_and_not1_b32 s16, s19, exec_lo
	s_and_b32 s0, vcc_lo, s0
	s_delay_alu instid0(SALU_CYCLE_1) | instskip(NEXT) | instid1(SALU_CYCLE_1)
	s_and_b32 s0, s0, exec_lo
	s_or_b32 s19, s16, s0
.LBB126_946:
	s_wait_loadcnt 0x0
	v_mul_lo_u32 v0, v8, s2
	s_and_b32 s20, s12, 0xff
	s_delay_alu instid0(SALU_CYCLE_1) | instskip(NEXT) | instid1(VALU_DEP_1)
	s_cmp_lt_i32 s20, 11
	v_ashrrev_i32_e32 v1, 31, v0
	s_delay_alu instid0(VALU_DEP_1)
	v_add_nc_u64_e32 v[4:5], s[4:5], v[0:1]
	s_cbranch_scc1 .LBB126_956
; %bb.947:
	s_and_b32 s16, 0xffff, s20
	s_mov_b32 s22, -1
	s_cmp_gt_i32 s16, 25
	s_mov_b32 s0, s18
	s_cbranch_scc0 .LBB126_985
; %bb.948:
	s_cmp_gt_i32 s16, 28
	s_mov_b32 s0, s18
	s_cbranch_scc0 .LBB126_969
; %bb.949:
	;; [unrolled: 4-line block ×4, first 2 shown]
	s_cmp_eq_u32 s16, 46
	s_mov_b32 s0, -1
	s_cbranch_scc0 .LBB126_958
; %bb.952:
	v_cndmask_b32_e64 v0, 0, 1.0, s19
	s_mov_b32 s0, 0
	s_mov_b32 s22, 0
	s_delay_alu instid0(VALU_DEP_1) | instskip(NEXT) | instid1(VALU_DEP_1)
	v_bfe_u32 v1, v0, 16, 1
	v_add3_u32 v0, v0, v1, 0x7fff
	s_delay_alu instid0(VALU_DEP_1)
	v_lshrrev_b32_e32 v0, 16, v0
	global_store_b32 v[4:5], v0, off
	s_branch .LBB126_959
.LBB126_953:
	s_or_b32 exec_lo, exec_lo, s21
	s_and_saveexec_b32 s0, s18
	s_cbranch_execnz .LBB126_1027
.LBB126_954:
	s_or_b32 exec_lo, exec_lo, s0
	s_and_saveexec_b32 s0, s23
	s_delay_alu instid0(SALU_CYCLE_1)
	s_xor_b32 s0, exec_lo, s0
	s_cbranch_execz .LBB126_1028
.LBB126_955:
	s_wait_loadcnt 0x0
	v_cndmask_b32_e64 v0, 0, 1, s19
	global_store_b8 v[4:5], v0, off
	s_wait_xcnt 0x0
	s_or_b32 exec_lo, exec_lo, s0
	s_and_saveexec_b32 s0, s22
	s_delay_alu instid0(SALU_CYCLE_1)
	s_xor_b32 s0, exec_lo, s0
	s_cbranch_execz .LBB126_1066
	s_branch .LBB126_1029
.LBB126_956:
	s_mov_b32 s22, -1
	s_mov_b32 s0, s18
	s_branch .LBB126_1026
.LBB126_957:
                                        ; implicit-def: $sgpr19
	s_branch .LBB126_945
.LBB126_958:
	s_mov_b32 s22, 0
.LBB126_959:
	s_delay_alu instid0(SALU_CYCLE_1)
	s_and_b32 vcc_lo, exec_lo, s22
	s_cbranch_vccz .LBB126_964
; %bb.960:
	s_cmp_eq_u32 s16, 44
	s_mov_b32 s0, -1
	s_cbranch_scc0 .LBB126_964
; %bb.961:
	v_cndmask_b32_e64 v2, 0, 1.0, s19
	s_mov_b32 s22, exec_lo
	s_wait_xcnt 0x0
	s_delay_alu instid0(VALU_DEP_1) | instskip(NEXT) | instid1(VALU_DEP_1)
	v_dual_mov_b32 v1, 0xff :: v_dual_lshrrev_b32 v0, 23, v2
	v_cmpx_ne_u32_e32 0xff, v0
; %bb.962:
	v_and_b32_e32 v1, 0x400000, v2
	v_and_or_b32 v2, 0x3fffff, v2, v0
	s_delay_alu instid0(VALU_DEP_2) | instskip(NEXT) | instid1(VALU_DEP_2)
	v_cmp_ne_u32_e32 vcc_lo, 0, v1
	v_cmp_ne_u32_e64 s0, 0, v2
	s_and_b32 s0, vcc_lo, s0
	s_delay_alu instid0(SALU_CYCLE_1) | instskip(NEXT) | instid1(VALU_DEP_1)
	v_cndmask_b32_e64 v1, 0, 1, s0
	v_add_nc_u32_e32 v1, v0, v1
; %bb.963:
	s_or_b32 exec_lo, exec_lo, s22
	s_mov_b32 s0, 0
	global_store_b8 v[4:5], v1, off
.LBB126_964:
	s_mov_b32 s22, 0
.LBB126_965:
	s_delay_alu instid0(SALU_CYCLE_1)
	s_and_b32 vcc_lo, exec_lo, s22
	s_cbranch_vccz .LBB126_968
; %bb.966:
	s_cmp_eq_u32 s16, 29
	s_mov_b32 s0, -1
	s_cbranch_scc0 .LBB126_968
; %bb.967:
	s_mov_b32 s0, 0
	s_wait_xcnt 0x0
	v_cndmask_b32_e64 v0, 0, 1, s19
	v_mov_b32_e32 v1, s0
	s_mov_b32 s22, 0
	global_store_b64 v[4:5], v[0:1], off
	s_branch .LBB126_969
.LBB126_968:
	s_mov_b32 s22, 0
.LBB126_969:
	s_delay_alu instid0(SALU_CYCLE_1)
	s_and_b32 vcc_lo, exec_lo, s22
	s_cbranch_vccz .LBB126_984
; %bb.970:
	s_cmp_lt_i32 s16, 27
	s_mov_b32 s22, -1
	s_cbranch_scc1 .LBB126_976
; %bb.971:
	s_wait_xcnt 0x0
	v_cndmask_b32_e64 v0, 0, 1, s19
	s_cmp_gt_i32 s16, 27
	s_cbranch_scc0 .LBB126_973
; %bb.972:
	s_mov_b32 s22, 0
	global_store_b32 v[4:5], v0, off
.LBB126_973:
	s_and_not1_b32 vcc_lo, exec_lo, s22
	s_cbranch_vccnz .LBB126_975
; %bb.974:
	global_store_b16 v[4:5], v0, off
.LBB126_975:
	s_mov_b32 s22, 0
.LBB126_976:
	s_delay_alu instid0(SALU_CYCLE_1)
	s_and_not1_b32 vcc_lo, exec_lo, s22
	s_cbranch_vccnz .LBB126_984
; %bb.977:
	s_wait_xcnt 0x0
	v_cndmask_b32_e64 v1, 0, 1.0, s19
	v_mov_b32_e32 v2, 0x80
	s_mov_b32 s22, exec_lo
	s_delay_alu instid0(VALU_DEP_2)
	v_cmpx_gt_u32_e32 0x43800000, v1
	s_cbranch_execz .LBB126_983
; %bb.978:
	s_mov_b32 s24, exec_lo
                                        ; implicit-def: $vgpr0
	v_cmpx_lt_u32_e32 0x3bffffff, v1
	s_xor_b32 s24, exec_lo, s24
	s_cbranch_execz .LBB126_1081
; %bb.979:
	v_bfe_u32 v0, v1, 20, 1
	s_mov_b32 s23, exec_lo
	s_delay_alu instid0(VALU_DEP_1) | instskip(NEXT) | instid1(VALU_DEP_1)
	v_add3_u32 v0, v1, v0, 0x487ffff
                                        ; implicit-def: $vgpr1
	v_lshrrev_b32_e32 v0, 20, v0
	s_and_not1_saveexec_b32 s24, s24
	s_cbranch_execnz .LBB126_1082
.LBB126_980:
	s_or_b32 exec_lo, exec_lo, s24
	v_mov_b32_e32 v2, 0
	s_and_saveexec_b32 s24, s23
.LBB126_981:
	v_mov_b32_e32 v2, v0
.LBB126_982:
	s_or_b32 exec_lo, exec_lo, s24
.LBB126_983:
	s_delay_alu instid0(SALU_CYCLE_1)
	s_or_b32 exec_lo, exec_lo, s22
	global_store_b8 v[4:5], v2, off
.LBB126_984:
	s_mov_b32 s22, 0
.LBB126_985:
	s_delay_alu instid0(SALU_CYCLE_1)
	s_and_b32 vcc_lo, exec_lo, s22
	s_mov_b32 s22, 0
	s_cbranch_vccz .LBB126_1025
; %bb.986:
	s_cmp_gt_i32 s16, 22
	s_mov_b32 s23, -1
	s_cbranch_scc0 .LBB126_1018
; %bb.987:
	s_cmp_lt_i32 s16, 24
	s_cbranch_scc1 .LBB126_1007
; %bb.988:
	s_cmp_gt_i32 s16, 24
	s_cbranch_scc0 .LBB126_996
; %bb.989:
	s_wait_xcnt 0x0
	v_cndmask_b32_e64 v1, 0, 1.0, s19
	v_mov_b32_e32 v2, 0x80
	s_mov_b32 s23, exec_lo
	s_delay_alu instid0(VALU_DEP_2)
	v_cmpx_gt_u32_e32 0x47800000, v1
	s_cbranch_execz .LBB126_995
; %bb.990:
	s_mov_b32 s24, 0
	s_mov_b32 s25, exec_lo
                                        ; implicit-def: $vgpr0
	v_cmpx_lt_u32_e32 0x37ffffff, v1
	s_xor_b32 s25, exec_lo, s25
	s_cbranch_execz .LBB126_1216
; %bb.991:
	v_bfe_u32 v0, v1, 21, 1
	s_mov_b32 s24, exec_lo
	s_delay_alu instid0(VALU_DEP_1) | instskip(NEXT) | instid1(VALU_DEP_1)
	v_add3_u32 v0, v1, v0, 0x88fffff
                                        ; implicit-def: $vgpr1
	v_lshrrev_b32_e32 v0, 21, v0
	s_and_not1_saveexec_b32 s25, s25
	s_cbranch_execnz .LBB126_1217
.LBB126_992:
	s_or_b32 exec_lo, exec_lo, s25
	v_mov_b32_e32 v2, 0
	s_and_saveexec_b32 s25, s24
.LBB126_993:
	v_mov_b32_e32 v2, v0
.LBB126_994:
	s_or_b32 exec_lo, exec_lo, s25
.LBB126_995:
	s_delay_alu instid0(SALU_CYCLE_1)
	s_or_b32 exec_lo, exec_lo, s23
	s_mov_b32 s23, 0
	global_store_b8 v[4:5], v2, off
.LBB126_996:
	s_and_b32 vcc_lo, exec_lo, s23
	s_cbranch_vccz .LBB126_1006
; %bb.997:
	s_wait_xcnt 0x0
	v_cndmask_b32_e64 v1, 0, 1.0, s19
	s_mov_b32 s23, exec_lo
                                        ; implicit-def: $vgpr0
	s_delay_alu instid0(VALU_DEP_1)
	v_cmpx_gt_u32_e32 0x43f00000, v1
	s_xor_b32 s23, exec_lo, s23
	s_cbranch_execz .LBB126_1003
; %bb.998:
	s_mov_b32 s24, exec_lo
                                        ; implicit-def: $vgpr0
	v_cmpx_lt_u32_e32 0x3c7fffff, v1
	s_xor_b32 s24, exec_lo, s24
; %bb.999:
	v_bfe_u32 v0, v1, 20, 1
	s_delay_alu instid0(VALU_DEP_1) | instskip(NEXT) | instid1(VALU_DEP_1)
	v_add3_u32 v0, v1, v0, 0x407ffff
	v_and_b32_e32 v1, 0xff00000, v0
	v_lshrrev_b32_e32 v0, 20, v0
	s_delay_alu instid0(VALU_DEP_2) | instskip(NEXT) | instid1(VALU_DEP_2)
	v_cmp_ne_u32_e32 vcc_lo, 0x7f00000, v1
                                        ; implicit-def: $vgpr1
	v_cndmask_b32_e32 v0, 0x7e, v0, vcc_lo
; %bb.1000:
	s_and_not1_saveexec_b32 s24, s24
; %bb.1001:
	v_add_f32_e32 v0, 0x46800000, v1
; %bb.1002:
	s_or_b32 exec_lo, exec_lo, s24
                                        ; implicit-def: $vgpr1
.LBB126_1003:
	s_and_not1_saveexec_b32 s23, s23
; %bb.1004:
	v_mov_b32_e32 v0, 0x7f
	v_cmp_lt_u32_e32 vcc_lo, 0x7f800000, v1
	s_delay_alu instid0(VALU_DEP_2)
	v_cndmask_b32_e32 v0, 0x7e, v0, vcc_lo
; %bb.1005:
	s_or_b32 exec_lo, exec_lo, s23
	global_store_b8 v[4:5], v0, off
.LBB126_1006:
	s_mov_b32 s23, 0
.LBB126_1007:
	s_delay_alu instid0(SALU_CYCLE_1)
	s_and_not1_b32 vcc_lo, exec_lo, s23
	s_cbranch_vccnz .LBB126_1017
; %bb.1008:
	s_wait_xcnt 0x0
	v_cndmask_b32_e64 v1, 0, 1.0, s19
	s_mov_b32 s23, exec_lo
                                        ; implicit-def: $vgpr0
	s_delay_alu instid0(VALU_DEP_1)
	v_cmpx_gt_u32_e32 0x47800000, v1
	s_xor_b32 s23, exec_lo, s23
	s_cbranch_execz .LBB126_1014
; %bb.1009:
	s_mov_b32 s24, exec_lo
                                        ; implicit-def: $vgpr0
	v_cmpx_lt_u32_e32 0x387fffff, v1
	s_xor_b32 s24, exec_lo, s24
; %bb.1010:
	v_bfe_u32 v0, v1, 21, 1
	s_delay_alu instid0(VALU_DEP_1) | instskip(NEXT) | instid1(VALU_DEP_1)
	v_add3_u32 v0, v1, v0, 0x80fffff
                                        ; implicit-def: $vgpr1
	v_lshrrev_b32_e32 v0, 21, v0
; %bb.1011:
	s_and_not1_saveexec_b32 s24, s24
; %bb.1012:
	v_add_f32_e32 v0, 0x43000000, v1
; %bb.1013:
	s_or_b32 exec_lo, exec_lo, s24
                                        ; implicit-def: $vgpr1
.LBB126_1014:
	s_and_not1_saveexec_b32 s23, s23
; %bb.1015:
	v_mov_b32_e32 v0, 0x7f
	v_cmp_lt_u32_e32 vcc_lo, 0x7f800000, v1
	s_delay_alu instid0(VALU_DEP_2)
	v_cndmask_b32_e32 v0, 0x7c, v0, vcc_lo
; %bb.1016:
	s_or_b32 exec_lo, exec_lo, s23
	global_store_b8 v[4:5], v0, off
.LBB126_1017:
	s_mov_b32 s23, 0
.LBB126_1018:
	s_delay_alu instid0(SALU_CYCLE_1)
	s_and_not1_b32 vcc_lo, exec_lo, s23
	s_mov_b32 s23, 0
	s_cbranch_vccnz .LBB126_1026
; %bb.1019:
	s_cmp_gt_i32 s16, 14
	s_mov_b32 s23, -1
	s_cbranch_scc0 .LBB126_1023
; %bb.1020:
	s_cmp_eq_u32 s16, 15
	s_mov_b32 s0, -1
	s_cbranch_scc0 .LBB126_1022
; %bb.1021:
	s_wait_xcnt 0x0
	v_cndmask_b32_e64 v0, 0, 1.0, s19
	s_mov_b32 s0, 0
	s_delay_alu instid0(VALU_DEP_1) | instskip(NEXT) | instid1(VALU_DEP_1)
	v_bfe_u32 v1, v0, 16, 1
	v_add3_u32 v0, v0, v1, 0x7fff
	global_store_d16_hi_b16 v[4:5], v0, off
.LBB126_1022:
	s_mov_b32 s23, 0
.LBB126_1023:
	s_delay_alu instid0(SALU_CYCLE_1)
	s_and_b32 vcc_lo, exec_lo, s23
	s_mov_b32 s23, 0
	s_cbranch_vccz .LBB126_1026
; %bb.1024:
	s_cmp_lg_u32 s16, 11
	s_mov_b32 s23, -1
	s_cselect_b32 s16, -1, 0
	s_and_not1_b32 s0, s0, exec_lo
	s_and_b32 s16, s16, exec_lo
	s_delay_alu instid0(SALU_CYCLE_1)
	s_or_b32 s0, s0, s16
	s_branch .LBB126_1026
.LBB126_1025:
	s_mov_b32 s23, 0
.LBB126_1026:
	s_and_not1_b32 s16, s18, exec_lo
	s_and_b32 s0, s0, exec_lo
	s_and_b32 s22, s22, exec_lo
	;; [unrolled: 1-line block ×3, first 2 shown]
	s_or_b32 s18, s16, s0
	s_wait_xcnt 0x0
	s_or_b32 exec_lo, exec_lo, s21
	s_and_saveexec_b32 s0, s18
	s_cbranch_execz .LBB126_954
.LBB126_1027:
	s_or_b32 s17, s17, exec_lo
	s_and_not1_b32 s23, s23, exec_lo
	s_trap 2
	s_or_b32 exec_lo, exec_lo, s0
	s_and_saveexec_b32 s0, s23
	s_delay_alu instid0(SALU_CYCLE_1)
	s_xor_b32 s0, exec_lo, s0
	s_cbranch_execnz .LBB126_955
.LBB126_1028:
	s_or_b32 exec_lo, exec_lo, s0
	s_and_saveexec_b32 s0, s22
	s_delay_alu instid0(SALU_CYCLE_1)
	s_xor_b32 s0, exec_lo, s0
	s_cbranch_execz .LBB126_1066
.LBB126_1029:
	s_sext_i32_i16 s18, s20
	s_mov_b32 s16, -1
	s_cmp_lt_i32 s18, 5
	s_cbranch_scc1 .LBB126_1050
; %bb.1030:
	s_cmp_lt_i32 s18, 8
	s_cbranch_scc1 .LBB126_1040
; %bb.1031:
	;; [unrolled: 3-line block ×3, first 2 shown]
	s_cmp_gt_i32 s18, 9
	s_cbranch_scc0 .LBB126_1034
; %bb.1033:
	s_wait_loadcnt 0x0
	v_cndmask_b32_e64 v0, 0, 1, s19
	v_mov_b32_e32 v2, 0
	s_mov_b32 s16, 0
	s_delay_alu instid0(VALU_DEP_2) | instskip(NEXT) | instid1(VALU_DEP_2)
	v_cvt_f64_u32_e32 v[0:1], v0
	v_mov_b32_e32 v3, v2
	global_store_b128 v[4:5], v[0:3], off
.LBB126_1034:
	s_and_not1_b32 vcc_lo, exec_lo, s16
	s_cbranch_vccnz .LBB126_1036
; %bb.1035:
	s_wait_loadcnt 0x0
	v_cndmask_b32_e64 v0, 0, 1.0, s19
	v_mov_b32_e32 v1, 0
	global_store_b64 v[4:5], v[0:1], off
.LBB126_1036:
	s_mov_b32 s16, 0
.LBB126_1037:
	s_delay_alu instid0(SALU_CYCLE_1)
	s_and_not1_b32 vcc_lo, exec_lo, s16
	s_cbranch_vccnz .LBB126_1039
; %bb.1038:
	s_wait_loadcnt 0x0
	v_cndmask_b32_e64 v0, 0, 1.0, s19
	s_delay_alu instid0(VALU_DEP_1) | instskip(NEXT) | instid1(VALU_DEP_1)
	v_cvt_f16_f32_e32 v0, v0
	v_and_b32_e32 v0, 0xffff, v0
	global_store_b32 v[4:5], v0, off
.LBB126_1039:
	s_mov_b32 s16, 0
.LBB126_1040:
	s_delay_alu instid0(SALU_CYCLE_1)
	s_and_not1_b32 vcc_lo, exec_lo, s16
	s_cbranch_vccnz .LBB126_1049
; %bb.1041:
	s_sext_i32_i16 s18, s20
	s_mov_b32 s16, -1
	s_cmp_lt_i32 s18, 6
	s_cbranch_scc1 .LBB126_1047
; %bb.1042:
	s_cmp_gt_i32 s18, 6
	s_cbranch_scc0 .LBB126_1044
; %bb.1043:
	s_wait_loadcnt 0x0
	v_cndmask_b32_e64 v0, 0, 1, s19
	s_mov_b32 s16, 0
	s_delay_alu instid0(VALU_DEP_1)
	v_cvt_f64_u32_e32 v[0:1], v0
	global_store_b64 v[4:5], v[0:1], off
.LBB126_1044:
	s_and_not1_b32 vcc_lo, exec_lo, s16
	s_cbranch_vccnz .LBB126_1046
; %bb.1045:
	s_wait_loadcnt 0x0
	v_cndmask_b32_e64 v0, 0, 1.0, s19
	global_store_b32 v[4:5], v0, off
.LBB126_1046:
	s_mov_b32 s16, 0
.LBB126_1047:
	s_delay_alu instid0(SALU_CYCLE_1)
	s_and_not1_b32 vcc_lo, exec_lo, s16
	s_cbranch_vccnz .LBB126_1049
; %bb.1048:
	s_wait_loadcnt 0x0
	v_cndmask_b32_e64 v0, 0, 1.0, s19
	s_delay_alu instid0(VALU_DEP_1)
	v_cvt_f16_f32_e32 v0, v0
	global_store_b16 v[4:5], v0, off
.LBB126_1049:
	s_mov_b32 s16, 0
.LBB126_1050:
	s_delay_alu instid0(SALU_CYCLE_1)
	s_and_not1_b32 vcc_lo, exec_lo, s16
	s_cbranch_vccnz .LBB126_1066
; %bb.1051:
	s_sext_i32_i16 s18, s20
	s_mov_b32 s16, -1
	s_cmp_lt_i32 s18, 2
	s_cbranch_scc1 .LBB126_1061
; %bb.1052:
	s_cmp_lt_i32 s18, 3
	s_cbranch_scc1 .LBB126_1058
; %bb.1053:
	s_cmp_gt_i32 s18, 3
	s_cbranch_scc0 .LBB126_1055
; %bb.1054:
	s_mov_b32 s16, 0
	s_wait_loadcnt 0x0
	v_cndmask_b32_e64 v0, 0, 1, s19
	v_mov_b32_e32 v1, s16
	global_store_b64 v[4:5], v[0:1], off
.LBB126_1055:
	s_and_not1_b32 vcc_lo, exec_lo, s16
	s_cbranch_vccnz .LBB126_1057
; %bb.1056:
	s_wait_loadcnt 0x0
	v_cndmask_b32_e64 v0, 0, 1, s19
	global_store_b32 v[4:5], v0, off
.LBB126_1057:
	s_mov_b32 s16, 0
.LBB126_1058:
	s_delay_alu instid0(SALU_CYCLE_1)
	s_and_not1_b32 vcc_lo, exec_lo, s16
	s_cbranch_vccnz .LBB126_1060
; %bb.1059:
	s_wait_loadcnt 0x0
	v_cndmask_b32_e64 v0, 0, 1, s19
	global_store_b16 v[4:5], v0, off
.LBB126_1060:
	s_mov_b32 s16, 0
.LBB126_1061:
	s_delay_alu instid0(SALU_CYCLE_1)
	s_and_not1_b32 vcc_lo, exec_lo, s16
	s_cbranch_vccnz .LBB126_1066
; %bb.1062:
	s_wait_loadcnt 0x0
	v_cndmask_b32_e64 v0, 0, 1, s19
	s_sext_i32_i16 s16, s20
	s_delay_alu instid0(SALU_CYCLE_1)
	s_cmp_gt_i32 s16, 0
	s_mov_b32 s16, -1
	s_cbranch_scc0 .LBB126_1064
; %bb.1063:
	s_mov_b32 s16, 0
	global_store_b8 v[4:5], v0, off
.LBB126_1064:
	s_and_not1_b32 vcc_lo, exec_lo, s16
	s_cbranch_vccnz .LBB126_1066
; %bb.1065:
	global_store_b8 v[4:5], v0, off
.LBB126_1066:
	s_wait_xcnt 0x0
	s_or_b32 exec_lo, exec_lo, s0
	s_delay_alu instid0(SALU_CYCLE_1)
	s_and_b32 s16, s17, exec_lo
                                        ; implicit-def: $vgpr8
.LBB126_1067:
	s_or_saveexec_b32 s15, s15
	s_mov_b32 s0, 0
                                        ; implicit-def: $sgpr17
                                        ; implicit-def: $sgpr19
                                        ; implicit-def: $vgpr0_vgpr1
	s_xor_b32 exec_lo, exec_lo, s15
	s_cbranch_execz .LBB126_1621
; %bb.1068:
	v_mul_lo_u32 v4, s3, v8
	s_and_b32 s14, 0xffff, s14
	s_delay_alu instid0(SALU_CYCLE_1) | instskip(NEXT) | instid1(VALU_DEP_1)
	s_cmp_lt_i32 s14, 11
	v_ashrrev_i32_e32 v5, 31, v4
	s_delay_alu instid0(VALU_DEP_1)
	v_add_nc_u64_e32 v[6:7], s[6:7], v[4:5]
	s_cbranch_scc1 .LBB126_1075
; %bb.1069:
	s_cmp_gt_i32 s14, 25
	s_mov_b32 s17, 0
	s_cbranch_scc0 .LBB126_1077
; %bb.1070:
	s_cmp_gt_i32 s14, 28
	s_cbranch_scc0 .LBB126_1078
; %bb.1071:
	s_cmp_gt_i32 s14, 43
	;; [unrolled: 3-line block ×3, first 2 shown]
	s_cbranch_scc0 .LBB126_1080
; %bb.1073:
	s_cmp_eq_u32 s14, 46
	s_cbranch_scc0 .LBB126_1083
; %bb.1074:
	s_wait_loadcnt 0x0
	global_load_b32 v0, v[6:7], off
	s_mov_b32 s18, -1
	s_wait_loadcnt 0x0
	v_lshlrev_b32_e32 v1, 16, v0
	v_and_b32_e32 v2, 0xffff0000, v0
	s_delay_alu instid0(VALU_DEP_2) | instskip(NEXT) | instid1(VALU_DEP_2)
	v_cvt_f64_f32_e32 v[0:1], v1
	v_cvt_f64_f32_e32 v[2:3], v2
	s_branch .LBB126_1085
.LBB126_1075:
	s_mov_b32 s18, 0
	s_mov_b32 s1, s16
                                        ; implicit-def: $vgpr2_vgpr3
	s_cbranch_execnz .LBB126_1151
.LBB126_1076:
	s_and_not1_b32 vcc_lo, exec_lo, s18
	s_cbranch_vccz .LBB126_1198
	s_branch .LBB126_1618
.LBB126_1077:
	s_mov_b32 s18, 0
                                        ; implicit-def: $vgpr2_vgpr3
	s_cbranch_execnz .LBB126_1115
	s_branch .LBB126_1147
.LBB126_1078:
	s_mov_b32 s18, 0
                                        ; implicit-def: $vgpr2_vgpr3
	s_cbranch_execnz .LBB126_1097
	s_branch .LBB126_1114
.LBB126_1079:
	s_mov_b32 s1, -1
	s_mov_b32 s18, 0
                                        ; implicit-def: $vgpr2_vgpr3
	s_branch .LBB126_1091
.LBB126_1080:
	s_mov_b32 s1, -1
	s_branch .LBB126_1084
.LBB126_1081:
	s_and_not1_saveexec_b32 s24, s24
	s_cbranch_execz .LBB126_980
.LBB126_1082:
	v_add_f32_e32 v0, 0x46000000, v1
	s_and_not1_b32 s23, s23, exec_lo
	s_delay_alu instid0(VALU_DEP_1) | instskip(NEXT) | instid1(VALU_DEP_1)
	v_and_b32_e32 v0, 0xff, v0
	v_cmp_ne_u32_e32 vcc_lo, 0, v0
	s_and_b32 s25, vcc_lo, exec_lo
	s_delay_alu instid0(SALU_CYCLE_1)
	s_or_b32 s23, s23, s25
	s_or_b32 exec_lo, exec_lo, s24
	v_mov_b32_e32 v2, 0
	s_and_saveexec_b32 s24, s23
	s_cbranch_execnz .LBB126_981
	s_branch .LBB126_982
.LBB126_1083:
	s_mov_b32 s0, -1
.LBB126_1084:
	s_mov_b32 s18, 0
                                        ; implicit-def: $vgpr2_vgpr3
.LBB126_1085:
	s_and_b32 vcc_lo, exec_lo, s1
	s_cbranch_vccz .LBB126_1090
; %bb.1086:
	s_cmp_eq_u32 s14, 44
	s_cbranch_scc0 .LBB126_1088
; %bb.1087:
	s_wait_loadcnt 0x0
	global_load_u8 v2, v[6:7], off
	s_mov_b32 s0, 0
	s_mov_b32 s18, -1
	s_wait_loadcnt 0x0
	v_cmp_ne_u32_e32 vcc_lo, 0xff, v2
	v_lshlrev_b32_e32 v0, 23, v2
	s_delay_alu instid0(VALU_DEP_1) | instskip(NEXT) | instid1(VALU_DEP_1)
	v_cvt_f64_f32_e32 v[0:1], v0
	v_cndmask_b32_e32 v0, 0x20000000, v0, vcc_lo
	s_delay_alu instid0(VALU_DEP_2) | instskip(SKIP_1) | instid1(VALU_DEP_2)
	v_cndmask_b32_e32 v1, 0x7ff80000, v1, vcc_lo
	v_cmp_ne_u32_e32 vcc_lo, 0, v2
	v_cndmask_b32_e32 v1, 0x38000000, v1, vcc_lo
	s_delay_alu instid0(VALU_DEP_4)
	v_cndmask_b32_e32 v0, 0, v0, vcc_lo
	s_branch .LBB126_1089
.LBB126_1088:
	s_mov_b32 s0, -1
                                        ; implicit-def: $vgpr0_vgpr1
.LBB126_1089:
	s_wait_loadcnt 0x0
	v_mov_b64_e32 v[2:3], 0
.LBB126_1090:
	s_mov_b32 s1, 0
.LBB126_1091:
	s_delay_alu instid0(SALU_CYCLE_1)
	s_and_b32 vcc_lo, exec_lo, s1
	s_cbranch_vccz .LBB126_1096
; %bb.1092:
	s_cmp_eq_u32 s14, 29
	s_cbranch_scc0 .LBB126_1094
; %bb.1093:
	s_wait_loadcnt 0x0
	global_load_b64 v[0:1], v[6:7], off
	s_mov_b32 s0, 0
	s_mov_b32 s18, -1
	s_wait_loadcnt 0x0
	v_cvt_f64_u32_e32 v[2:3], v1
	v_cvt_f64_u32_e32 v[0:1], v0
	s_delay_alu instid0(VALU_DEP_2) | instskip(NEXT) | instid1(VALU_DEP_1)
	v_ldexp_f64 v[2:3], v[2:3], 32
	v_add_f64_e32 v[0:1], v[2:3], v[0:1]
	s_branch .LBB126_1095
.LBB126_1094:
	s_mov_b32 s0, -1
                                        ; implicit-def: $vgpr0_vgpr1
.LBB126_1095:
	s_wait_loadcnt 0x0
	v_mov_b64_e32 v[2:3], 0
.LBB126_1096:
	s_branch .LBB126_1114
.LBB126_1097:
	s_cmp_lt_i32 s14, 27
	s_cbranch_scc1 .LBB126_1100
; %bb.1098:
	s_cmp_gt_i32 s14, 27
	s_cbranch_scc0 .LBB126_1101
; %bb.1099:
	s_wait_loadcnt 0x0
	global_load_b32 v0, v[6:7], off
	s_mov_b32 s1, 0
	s_wait_loadcnt 0x0
	v_cvt_f64_u32_e32 v[0:1], v0
	s_branch .LBB126_1102
.LBB126_1100:
	s_mov_b32 s1, -1
                                        ; implicit-def: $vgpr0_vgpr1
	s_branch .LBB126_1105
.LBB126_1101:
	s_mov_b32 s1, -1
                                        ; implicit-def: $vgpr0_vgpr1
.LBB126_1102:
	s_delay_alu instid0(SALU_CYCLE_1)
	s_and_not1_b32 vcc_lo, exec_lo, s1
	s_cbranch_vccnz .LBB126_1104
; %bb.1103:
	s_wait_loadcnt 0x0
	global_load_u16 v0, v[6:7], off
	s_wait_loadcnt 0x0
	v_cvt_f64_u32_e32 v[0:1], v0
.LBB126_1104:
	s_mov_b32 s1, 0
.LBB126_1105:
	s_delay_alu instid0(SALU_CYCLE_1)
	s_and_not1_b32 vcc_lo, exec_lo, s1
	s_cbranch_vccnz .LBB126_1113
; %bb.1106:
	s_wait_loadcnt 0x0
	global_load_u8 v2, v[6:7], off
	s_mov_b32 s1, 0
	s_mov_b32 s18, exec_lo
	s_wait_loadcnt 0x0
	v_cmpx_lt_i16_e32 0x7f, v2
	s_xor_b32 s18, exec_lo, s18
	s_cbranch_execz .LBB126_1126
; %bb.1107:
	s_mov_b32 s1, -1
	s_mov_b32 s19, exec_lo
	v_cmpx_eq_u16_e32 0x80, v2
; %bb.1108:
	s_xor_b32 s1, exec_lo, -1
; %bb.1109:
	s_or_b32 exec_lo, exec_lo, s19
	s_delay_alu instid0(SALU_CYCLE_1)
	s_and_b32 s1, s1, exec_lo
	s_or_saveexec_b32 s18, s18
	v_mov_b64_e32 v[0:1], 0x7ff8000020000000
	s_xor_b32 exec_lo, exec_lo, s18
	s_cbranch_execnz .LBB126_1127
.LBB126_1110:
	s_or_b32 exec_lo, exec_lo, s18
	s_and_saveexec_b32 s18, s1
	s_cbranch_execz .LBB126_1112
.LBB126_1111:
	v_and_b32_e32 v0, 0xffff, v2
	s_delay_alu instid0(VALU_DEP_1) | instskip(SKIP_1) | instid1(VALU_DEP_2)
	v_and_b32_e32 v1, 7, v0
	v_bfe_u32 v9, v0, 3, 4
	v_clz_i32_u32_e32 v3, v1
	s_delay_alu instid0(VALU_DEP_2) | instskip(NEXT) | instid1(VALU_DEP_2)
	v_cmp_eq_u32_e32 vcc_lo, 0, v9
	v_min_u32_e32 v3, 32, v3
	s_delay_alu instid0(VALU_DEP_1) | instskip(NEXT) | instid1(VALU_DEP_1)
	v_subrev_nc_u32_e32 v5, 28, v3
	v_dual_lshlrev_b32 v0, v5, v0 :: v_dual_sub_nc_u32 v3, 29, v3
	s_delay_alu instid0(VALU_DEP_1) | instskip(NEXT) | instid1(VALU_DEP_2)
	v_dual_lshlrev_b32 v2, 24, v2 :: v_dual_bitop2_b32 v0, 7, v0 bitop3:0x40
	v_cndmask_b32_e32 v3, v9, v3, vcc_lo
	s_delay_alu instid0(VALU_DEP_2) | instskip(NEXT) | instid1(VALU_DEP_3)
	v_cndmask_b32_e32 v0, v1, v0, vcc_lo
	v_and_b32_e32 v1, 0x80000000, v2
	s_delay_alu instid0(VALU_DEP_3) | instskip(NEXT) | instid1(VALU_DEP_3)
	v_lshl_add_u32 v2, v3, 23, 0x3b800000
	v_lshlrev_b32_e32 v0, 20, v0
	s_delay_alu instid0(VALU_DEP_1) | instskip(NEXT) | instid1(VALU_DEP_1)
	v_or3_b32 v0, v1, v2, v0
	v_cvt_f64_f32_e32 v[0:1], v0
.LBB126_1112:
	s_or_b32 exec_lo, exec_lo, s18
.LBB126_1113:
	s_wait_loadcnt 0x0
	v_mov_b64_e32 v[2:3], 0
	s_mov_b32 s18, -1
.LBB126_1114:
	s_branch .LBB126_1147
.LBB126_1115:
	s_cmp_gt_i32 s14, 22
	s_cbranch_scc0 .LBB126_1125
; %bb.1116:
	s_cmp_lt_i32 s14, 24
	s_cbranch_scc1 .LBB126_1128
; %bb.1117:
	s_cmp_gt_i32 s14, 24
	s_cbranch_scc0 .LBB126_1129
; %bb.1118:
	s_wait_loadcnt 0x0
	global_load_u8 v2, v[6:7], off
	s_mov_b32 s1, 0
	s_mov_b32 s17, exec_lo
	s_wait_loadcnt 0x0
	v_cmpx_lt_i16_e32 0x7f, v2
	s_xor_b32 s17, exec_lo, s17
	s_cbranch_execz .LBB126_1140
; %bb.1119:
	s_mov_b32 s1, -1
	s_mov_b32 s18, exec_lo
	v_cmpx_eq_u16_e32 0x80, v2
; %bb.1120:
	s_xor_b32 s1, exec_lo, -1
; %bb.1121:
	s_or_b32 exec_lo, exec_lo, s18
	s_delay_alu instid0(SALU_CYCLE_1)
	s_and_b32 s1, s1, exec_lo
	s_or_saveexec_b32 s17, s17
	v_mov_b64_e32 v[0:1], 0x7ff8000020000000
	s_xor_b32 exec_lo, exec_lo, s17
	s_cbranch_execnz .LBB126_1141
.LBB126_1122:
	s_or_b32 exec_lo, exec_lo, s17
	s_and_saveexec_b32 s17, s1
	s_cbranch_execz .LBB126_1124
.LBB126_1123:
	v_and_b32_e32 v0, 0xffff, v2
	s_delay_alu instid0(VALU_DEP_1) | instskip(SKIP_1) | instid1(VALU_DEP_2)
	v_and_b32_e32 v1, 3, v0
	v_bfe_u32 v9, v0, 2, 5
	v_clz_i32_u32_e32 v3, v1
	s_delay_alu instid0(VALU_DEP_2) | instskip(NEXT) | instid1(VALU_DEP_2)
	v_cmp_eq_u32_e32 vcc_lo, 0, v9
	v_min_u32_e32 v3, 32, v3
	s_delay_alu instid0(VALU_DEP_1) | instskip(NEXT) | instid1(VALU_DEP_1)
	v_subrev_nc_u32_e32 v5, 29, v3
	v_dual_lshlrev_b32 v0, v5, v0 :: v_dual_sub_nc_u32 v3, 30, v3
	s_delay_alu instid0(VALU_DEP_1) | instskip(NEXT) | instid1(VALU_DEP_2)
	v_dual_lshlrev_b32 v2, 24, v2 :: v_dual_bitop2_b32 v0, 3, v0 bitop3:0x40
	v_cndmask_b32_e32 v3, v9, v3, vcc_lo
	s_delay_alu instid0(VALU_DEP_2) | instskip(NEXT) | instid1(VALU_DEP_3)
	v_cndmask_b32_e32 v0, v1, v0, vcc_lo
	v_and_b32_e32 v1, 0x80000000, v2
	s_delay_alu instid0(VALU_DEP_3) | instskip(NEXT) | instid1(VALU_DEP_3)
	v_lshl_add_u32 v2, v3, 23, 0x37800000
	v_lshlrev_b32_e32 v0, 21, v0
	s_delay_alu instid0(VALU_DEP_1) | instskip(NEXT) | instid1(VALU_DEP_1)
	v_or3_b32 v0, v1, v2, v0
	v_cvt_f64_f32_e32 v[0:1], v0
.LBB126_1124:
	s_or_b32 exec_lo, exec_lo, s17
	s_mov_b32 s1, 0
	s_branch .LBB126_1130
.LBB126_1125:
                                        ; implicit-def: $vgpr0_vgpr1
	s_mov_b32 s17, 0
	s_branch .LBB126_1136
.LBB126_1126:
	s_or_saveexec_b32 s18, s18
	v_mov_b64_e32 v[0:1], 0x7ff8000020000000
	s_xor_b32 exec_lo, exec_lo, s18
	s_cbranch_execz .LBB126_1110
.LBB126_1127:
	v_cmp_ne_u16_e32 vcc_lo, 0, v2
	v_mov_b64_e32 v[0:1], 0
	s_and_not1_b32 s1, s1, exec_lo
	s_and_b32 s19, vcc_lo, exec_lo
	s_delay_alu instid0(SALU_CYCLE_1)
	s_or_b32 s1, s1, s19
	s_or_b32 exec_lo, exec_lo, s18
	s_and_saveexec_b32 s18, s1
	s_cbranch_execnz .LBB126_1111
	s_branch .LBB126_1112
.LBB126_1128:
	s_mov_b32 s1, -1
                                        ; implicit-def: $vgpr0_vgpr1
	s_branch .LBB126_1133
.LBB126_1129:
	s_mov_b32 s1, -1
                                        ; implicit-def: $vgpr0_vgpr1
.LBB126_1130:
	s_delay_alu instid0(SALU_CYCLE_1)
	s_and_b32 vcc_lo, exec_lo, s1
	s_cbranch_vccz .LBB126_1132
; %bb.1131:
	s_wait_loadcnt 0x0
	global_load_u8 v0, v[6:7], off
	s_wait_loadcnt 0x0
	v_lshlrev_b32_e32 v0, 24, v0
	s_delay_alu instid0(VALU_DEP_1) | instskip(NEXT) | instid1(VALU_DEP_1)
	v_and_b32_e32 v1, 0x7f000000, v0
	v_clz_i32_u32_e32 v2, v1
	v_add_nc_u32_e32 v5, 0x1000000, v1
	v_cmp_ne_u32_e32 vcc_lo, 0, v1
	s_delay_alu instid0(VALU_DEP_3) | instskip(NEXT) | instid1(VALU_DEP_1)
	v_min_u32_e32 v2, 32, v2
	v_sub_nc_u32_e64 v2, v2, 4 clamp
	s_delay_alu instid0(VALU_DEP_1) | instskip(NEXT) | instid1(VALU_DEP_1)
	v_dual_lshlrev_b32 v3, v2, v1 :: v_dual_lshlrev_b32 v2, 23, v2
	v_lshrrev_b32_e32 v3, 4, v3
	s_delay_alu instid0(VALU_DEP_1) | instskip(NEXT) | instid1(VALU_DEP_1)
	v_dual_sub_nc_u32 v2, v3, v2 :: v_dual_ashrrev_i32 v3, 8, v5
	v_add_nc_u32_e32 v2, 0x3c000000, v2
	s_delay_alu instid0(VALU_DEP_1) | instskip(NEXT) | instid1(VALU_DEP_1)
	v_and_or_b32 v2, 0x7f800000, v3, v2
	v_cndmask_b32_e32 v1, 0, v2, vcc_lo
	s_delay_alu instid0(VALU_DEP_1) | instskip(NEXT) | instid1(VALU_DEP_1)
	v_and_or_b32 v0, 0x80000000, v0, v1
	v_cvt_f64_f32_e32 v[0:1], v0
.LBB126_1132:
	s_mov_b32 s1, 0
.LBB126_1133:
	s_delay_alu instid0(SALU_CYCLE_1)
	s_and_not1_b32 vcc_lo, exec_lo, s1
	s_cbranch_vccnz .LBB126_1135
; %bb.1134:
	s_wait_loadcnt 0x0
	global_load_u8 v0, v[6:7], off
	s_wait_loadcnt 0x0
	v_lshlrev_b32_e32 v1, 25, v0
	v_lshlrev_b16 v0, 8, v0
	s_delay_alu instid0(VALU_DEP_1) | instskip(SKIP_1) | instid1(VALU_DEP_2)
	v_and_or_b32 v3, 0x7f00, v0, 0.5
	v_bfe_i32 v0, v0, 0, 16
	v_dual_add_f32 v3, -0.5, v3 :: v_dual_lshrrev_b32 v2, 4, v1
	v_cmp_gt_u32_e32 vcc_lo, 0x8000000, v1
	s_delay_alu instid0(VALU_DEP_2) | instskip(NEXT) | instid1(VALU_DEP_1)
	v_or_b32_e32 v2, 0x70000000, v2
	v_mul_f32_e32 v2, 0x7800000, v2
	s_delay_alu instid0(VALU_DEP_1) | instskip(NEXT) | instid1(VALU_DEP_1)
	v_cndmask_b32_e32 v1, v2, v3, vcc_lo
	v_and_or_b32 v0, 0x80000000, v0, v1
	s_delay_alu instid0(VALU_DEP_1)
	v_cvt_f64_f32_e32 v[0:1], v0
.LBB126_1135:
	s_mov_b32 s18, -1
	s_mov_b32 s17, 0
	s_cbranch_execnz .LBB126_1146
.LBB126_1136:
	s_cmp_gt_i32 s14, 14
	s_cbranch_scc0 .LBB126_1139
; %bb.1137:
	s_cmp_eq_u32 s14, 15
	s_cbranch_scc0 .LBB126_1142
; %bb.1138:
	s_wait_loadcnt 0x0
	global_load_u16 v0, v[6:7], off
	s_mov_b32 s0, 0
	s_mov_b32 s18, -1
	s_wait_loadcnt 0x0
	v_lshlrev_b32_e32 v0, 16, v0
	s_delay_alu instid0(VALU_DEP_1)
	v_cvt_f64_f32_e32 v[0:1], v0
	s_branch .LBB126_1143
.LBB126_1139:
	s_mov_b32 s1, -1
                                        ; implicit-def: $vgpr0_vgpr1
	s_branch .LBB126_1144
.LBB126_1140:
	s_or_saveexec_b32 s17, s17
	v_mov_b64_e32 v[0:1], 0x7ff8000020000000
	s_xor_b32 exec_lo, exec_lo, s17
	s_cbranch_execz .LBB126_1122
.LBB126_1141:
	v_cmp_ne_u16_e32 vcc_lo, 0, v2
	v_mov_b64_e32 v[0:1], 0
	s_and_not1_b32 s1, s1, exec_lo
	s_and_b32 s18, vcc_lo, exec_lo
	s_delay_alu instid0(SALU_CYCLE_1)
	s_or_b32 s1, s1, s18
	s_or_b32 exec_lo, exec_lo, s17
	s_and_saveexec_b32 s17, s1
	s_cbranch_execnz .LBB126_1123
	s_branch .LBB126_1124
.LBB126_1142:
	s_mov_b32 s0, -1
                                        ; implicit-def: $vgpr0_vgpr1
.LBB126_1143:
	s_mov_b32 s1, 0
.LBB126_1144:
	s_delay_alu instid0(SALU_CYCLE_1)
	s_and_b32 vcc_lo, exec_lo, s1
	s_cbranch_vccz .LBB126_1146
; %bb.1145:
	s_cmp_lg_u32 s14, 11
	s_mov_b32 s17, -1
	s_cselect_b32 s0, -1, 0
.LBB126_1146:
	s_wait_loadcnt 0x0
	v_mov_b64_e32 v[2:3], 0
.LBB126_1147:
	s_and_b32 vcc_lo, exec_lo, s0
	s_mov_b32 s1, s16
	s_cbranch_vccnz .LBB126_1214
; %bb.1148:
	s_and_not1_b32 vcc_lo, exec_lo, s17
	s_cbranch_vccnz .LBB126_1150
.LBB126_1149:
	s_wait_loadcnt 0x0
	global_load_u8 v0, v[6:7], off
	v_mov_b64_e32 v[2:3], 0
	s_mov_b32 s18, -1
	s_wait_loadcnt 0x0
	v_cmp_ne_u16_e32 vcc_lo, 0, v0
	v_mov_b32_e32 v0, 0
	v_cndmask_b32_e64 v1, 0, 0x3ff00000, vcc_lo
.LBB126_1150:
	s_branch .LBB126_1076
.LBB126_1151:
	s_cmp_lt_i32 s14, 5
	s_cbranch_scc1 .LBB126_1156
; %bb.1152:
	s_cmp_lt_i32 s14, 8
	s_cbranch_scc1 .LBB126_1158
; %bb.1153:
	;; [unrolled: 3-line block ×3, first 2 shown]
	s_cmp_gt_i32 s14, 9
	s_cbranch_scc0 .LBB126_1160
; %bb.1155:
	s_wait_loadcnt 0x0
	global_load_b128 v[0:3], v[6:7], off
	s_mov_b32 s0, 0
	s_branch .LBB126_1161
.LBB126_1156:
                                        ; implicit-def: $vgpr2_vgpr3
	s_branch .LBB126_1179
.LBB126_1157:
	s_branch .LBB126_1198
.LBB126_1158:
                                        ; implicit-def: $vgpr2_vgpr3
	s_branch .LBB126_1167
.LBB126_1159:
	s_mov_b32 s0, -1
                                        ; implicit-def: $vgpr2_vgpr3
	s_branch .LBB126_1164
.LBB126_1160:
	s_mov_b32 s0, -1
                                        ; implicit-def: $vgpr2_vgpr3
.LBB126_1161:
	s_delay_alu instid0(SALU_CYCLE_1)
	s_and_not1_b32 vcc_lo, exec_lo, s0
	s_cbranch_vccnz .LBB126_1163
; %bb.1162:
	s_wait_loadcnt 0x0
	global_load_b64 v[2:3], v[6:7], off
	s_wait_loadcnt 0x0
	v_cvt_f64_f32_e32 v[0:1], v2
	v_cvt_f64_f32_e32 v[2:3], v3
.LBB126_1163:
	s_mov_b32 s0, 0
.LBB126_1164:
	s_delay_alu instid0(SALU_CYCLE_1)
	s_and_not1_b32 vcc_lo, exec_lo, s0
	s_cbranch_vccnz .LBB126_1166
; %bb.1165:
	s_wait_loadcnt 0x0
	global_load_b32 v0, v[6:7], off
	s_wait_loadcnt 0x0
	v_lshrrev_b32_e32 v1, 16, v0
	v_cvt_f32_f16_e32 v0, v0
	s_delay_alu instid0(VALU_DEP_2) | instskip(NEXT) | instid1(VALU_DEP_2)
	v_cvt_f32_f16_e32 v2, v1
	v_cvt_f64_f32_e32 v[0:1], v0
	s_delay_alu instid0(VALU_DEP_2)
	v_cvt_f64_f32_e32 v[2:3], v2
.LBB126_1166:
	s_cbranch_execnz .LBB126_1178
.LBB126_1167:
	s_cmp_lt_i32 s14, 6
	s_cbranch_scc1 .LBB126_1170
; %bb.1168:
	s_cmp_gt_i32 s14, 6
	s_cbranch_scc0 .LBB126_1171
; %bb.1169:
	s_wait_loadcnt 0x0
	global_load_b64 v[0:1], v[6:7], off
	s_mov_b32 s0, 0
	s_branch .LBB126_1172
.LBB126_1170:
	s_mov_b32 s0, -1
                                        ; implicit-def: $vgpr0_vgpr1
	s_branch .LBB126_1175
.LBB126_1171:
	s_mov_b32 s0, -1
                                        ; implicit-def: $vgpr0_vgpr1
.LBB126_1172:
	s_delay_alu instid0(SALU_CYCLE_1)
	s_and_not1_b32 vcc_lo, exec_lo, s0
	s_cbranch_vccnz .LBB126_1174
; %bb.1173:
	s_wait_loadcnt 0x0
	global_load_b32 v0, v[6:7], off
	s_wait_loadcnt 0x0
	v_cvt_f64_f32_e32 v[0:1], v0
.LBB126_1174:
	s_mov_b32 s0, 0
.LBB126_1175:
	s_delay_alu instid0(SALU_CYCLE_1)
	s_and_not1_b32 vcc_lo, exec_lo, s0
	s_cbranch_vccnz .LBB126_1177
; %bb.1176:
	s_wait_loadcnt 0x0
	global_load_u16 v0, v[6:7], off
	s_wait_loadcnt 0x0
	v_cvt_f32_f16_e32 v0, v0
	s_delay_alu instid0(VALU_DEP_1)
	v_cvt_f64_f32_e32 v[0:1], v0
.LBB126_1177:
	s_wait_loadcnt 0x0
	v_mov_b64_e32 v[2:3], 0
.LBB126_1178:
	s_cbranch_execnz .LBB126_1157
.LBB126_1179:
	s_cmp_lt_i32 s14, 2
	s_cbranch_scc1 .LBB126_1183
; %bb.1180:
	s_cmp_lt_i32 s14, 3
	s_cbranch_scc1 .LBB126_1184
; %bb.1181:
	s_cmp_gt_i32 s14, 3
	s_cbranch_scc0 .LBB126_1185
; %bb.1182:
	s_wait_loadcnt 0x0
	global_load_b64 v[0:1], v[6:7], off
	s_mov_b32 s0, 0
	s_wait_loadcnt 0x0
	v_cvt_f64_i32_e32 v[2:3], v1
	v_cvt_f64_u32_e32 v[0:1], v0
	s_delay_alu instid0(VALU_DEP_2) | instskip(NEXT) | instid1(VALU_DEP_1)
	v_ldexp_f64 v[2:3], v[2:3], 32
	v_add_f64_e32 v[0:1], v[2:3], v[0:1]
	s_branch .LBB126_1186
.LBB126_1183:
                                        ; implicit-def: $vgpr0_vgpr1
	s_branch .LBB126_1192
.LBB126_1184:
	s_mov_b32 s0, -1
                                        ; implicit-def: $vgpr0_vgpr1
	s_branch .LBB126_1189
.LBB126_1185:
	s_mov_b32 s0, -1
                                        ; implicit-def: $vgpr0_vgpr1
.LBB126_1186:
	s_delay_alu instid0(SALU_CYCLE_1)
	s_and_not1_b32 vcc_lo, exec_lo, s0
	s_cbranch_vccnz .LBB126_1188
; %bb.1187:
	s_wait_loadcnt 0x0
	global_load_b32 v0, v[6:7], off
	s_wait_loadcnt 0x0
	v_cvt_f64_i32_e32 v[0:1], v0
.LBB126_1188:
	s_mov_b32 s0, 0
.LBB126_1189:
	s_delay_alu instid0(SALU_CYCLE_1)
	s_and_not1_b32 vcc_lo, exec_lo, s0
	s_cbranch_vccnz .LBB126_1191
; %bb.1190:
	s_wait_loadcnt 0x0
	global_load_i16 v0, v[6:7], off
	s_wait_loadcnt 0x0
	v_cvt_f64_i32_e32 v[0:1], v0
.LBB126_1191:
	s_cbranch_execnz .LBB126_1197
.LBB126_1192:
	s_cmp_gt_i32 s14, 0
	s_mov_b32 s0, 0
	s_cbranch_scc0 .LBB126_1194
; %bb.1193:
	s_wait_loadcnt 0x0
	global_load_i8 v0, v[6:7], off
	s_wait_loadcnt 0x0
	v_cvt_f64_i32_e32 v[0:1], v0
	s_branch .LBB126_1195
.LBB126_1194:
	s_mov_b32 s0, -1
                                        ; implicit-def: $vgpr0_vgpr1
.LBB126_1195:
	s_delay_alu instid0(SALU_CYCLE_1)
	s_and_not1_b32 vcc_lo, exec_lo, s0
	s_cbranch_vccnz .LBB126_1197
; %bb.1196:
	s_wait_loadcnt 0x0
	global_load_u8 v0, v[6:7], off
	s_wait_loadcnt 0x0
	v_cvt_f64_u32_e32 v[0:1], v0
.LBB126_1197:
	s_wait_loadcnt 0x0
	v_mov_b64_e32 v[2:3], 0
.LBB126_1198:
	s_cmp_lg_u32 s13, 0
	s_mov_b32 s18, 0
	s_cselect_b32 s17, -1, 0
	s_delay_alu instid0(SALU_CYCLE_1)
	s_and_b32 vcc_lo, exec_lo, s17
	s_cbranch_vccz .LBB126_1210
; %bb.1199:
	s_wait_loadcnt 0x0
	s_delay_alu instid0(VALU_DEP_1) | instskip(NEXT) | instid1(VALU_DEP_2)
	v_cmp_neq_f64_e32 vcc_lo, s[8:9], v[0:1]
	v_cmp_neq_f64_e64 s0, s[10:11], v[2:3]
	s_or_b32 s13, vcc_lo, s0
	s_and_not1_b32 vcc_lo, exec_lo, s18
	s_cbranch_vccnz .LBB126_1201
.LBB126_1200:
	s_wait_loadcnt 0x0
	s_delay_alu instid0(VALU_DEP_1) | instskip(NEXT) | instid1(VALU_DEP_2)
	v_cmp_eq_f64_e32 vcc_lo, s[8:9], v[0:1]
	v_cmp_eq_f64_e64 s0, s[10:11], v[2:3]
	s_and_not1_b32 s13, s13, exec_lo
	s_and_b32 s0, vcc_lo, s0
	s_delay_alu instid0(SALU_CYCLE_1) | instskip(NEXT) | instid1(SALU_CYCLE_1)
	s_and_b32 s0, s0, exec_lo
	s_or_b32 s13, s13, s0
.LBB126_1201:
	s_lshl_b32 s19, s3, 7
	s_cmp_lt_i32 s14, 11
	v_add_nc_u32_e32 v4, s19, v4
	s_delay_alu instid0(VALU_DEP_1) | instskip(SKIP_1) | instid1(VALU_DEP_1)
	v_ashrrev_i32_e32 v5, 31, v4
	s_wait_xcnt 0x0
	v_add_nc_u64_e32 v[6:7], s[6:7], v[4:5]
	s_cbranch_scc1 .LBB126_1208
; %bb.1202:
	s_cmp_gt_i32 s14, 25
	s_mov_b32 s3, 0
	s_cbranch_scc0 .LBB126_1211
; %bb.1203:
	s_cmp_gt_i32 s14, 28
	s_cbranch_scc0 .LBB126_1212
; %bb.1204:
	s_cmp_gt_i32 s14, 43
	;; [unrolled: 3-line block ×3, first 2 shown]
	s_cbranch_scc0 .LBB126_1215
; %bb.1206:
	s_cmp_eq_u32 s14, 46
	s_mov_b32 s20, 0
	s_cbranch_scc0 .LBB126_1218
; %bb.1207:
	s_wait_loadcnt 0x0
	global_load_b32 v0, v[6:7], off
	s_mov_b32 s0, 0
	s_mov_b32 s18, -1
	s_wait_loadcnt 0x0
	v_lshlrev_b32_e32 v1, 16, v0
	v_and_b32_e32 v2, 0xffff0000, v0
	s_delay_alu instid0(VALU_DEP_2) | instskip(NEXT) | instid1(VALU_DEP_2)
	v_cvt_f64_f32_e32 v[0:1], v1
	v_cvt_f64_f32_e32 v[2:3], v2
	s_branch .LBB126_1220
.LBB126_1208:
	s_mov_b32 s18, 0
                                        ; implicit-def: $vgpr2_vgpr3
	s_cbranch_execnz .LBB126_1288
.LBB126_1209:
	s_and_not1_b32 vcc_lo, exec_lo, s18
	s_cbranch_vccnz .LBB126_1618
	s_branch .LBB126_1337
.LBB126_1210:
                                        ; implicit-def: $sgpr13
	s_branch .LBB126_1200
.LBB126_1211:
	s_mov_b32 s18, 0
	s_mov_b32 s0, 0
                                        ; implicit-def: $vgpr2_vgpr3
	s_cbranch_execnz .LBB126_1251
	s_branch .LBB126_1284
.LBB126_1212:
	s_mov_b32 s20, -1
	s_mov_b32 s18, 0
	s_mov_b32 s0, 0
                                        ; implicit-def: $vgpr2_vgpr3
	s_branch .LBB126_1232
.LBB126_1213:
	s_mov_b32 s20, -1
	s_mov_b32 s18, 0
	s_mov_b32 s0, 0
                                        ; implicit-def: $vgpr2_vgpr3
	s_branch .LBB126_1226
.LBB126_1214:
	s_or_b32 s1, s16, exec_lo
	s_trap 2
	s_cbranch_execz .LBB126_1149
	s_branch .LBB126_1150
.LBB126_1215:
	s_mov_b32 s20, -1
	s_mov_b32 s18, 0
	s_mov_b32 s0, 0
	s_branch .LBB126_1219
.LBB126_1216:
	s_and_not1_saveexec_b32 s25, s25
	s_cbranch_execz .LBB126_992
.LBB126_1217:
	v_add_f32_e32 v0, 0x42800000, v1
	s_and_not1_b32 s24, s24, exec_lo
	s_delay_alu instid0(VALU_DEP_1) | instskip(NEXT) | instid1(VALU_DEP_1)
	v_and_b32_e32 v0, 0xff, v0
	v_cmp_ne_u32_e32 vcc_lo, 0, v0
	s_and_b32 s26, vcc_lo, exec_lo
	s_delay_alu instid0(SALU_CYCLE_1)
	s_or_b32 s24, s24, s26
	s_or_b32 exec_lo, exec_lo, s25
	v_mov_b32_e32 v2, 0
	s_and_saveexec_b32 s25, s24
	s_cbranch_execnz .LBB126_993
	s_branch .LBB126_994
.LBB126_1218:
	s_mov_b32 s0, -1
	s_mov_b32 s18, 0
.LBB126_1219:
                                        ; implicit-def: $vgpr2_vgpr3
.LBB126_1220:
	s_and_b32 vcc_lo, exec_lo, s20
	s_cbranch_vccz .LBB126_1225
; %bb.1221:
	s_cmp_eq_u32 s14, 44
	s_cbranch_scc0 .LBB126_1223
; %bb.1222:
	s_wait_loadcnt 0x0
	global_load_u8 v2, v[6:7], off
	s_mov_b32 s0, 0
	s_mov_b32 s18, -1
	s_wait_loadcnt 0x0
	v_cmp_ne_u32_e32 vcc_lo, 0xff, v2
	v_lshlrev_b32_e32 v0, 23, v2
	s_delay_alu instid0(VALU_DEP_1) | instskip(NEXT) | instid1(VALU_DEP_1)
	v_cvt_f64_f32_e32 v[0:1], v0
	v_cndmask_b32_e32 v0, 0x20000000, v0, vcc_lo
	s_delay_alu instid0(VALU_DEP_2) | instskip(SKIP_1) | instid1(VALU_DEP_2)
	v_cndmask_b32_e32 v1, 0x7ff80000, v1, vcc_lo
	v_cmp_ne_u32_e32 vcc_lo, 0, v2
	v_cndmask_b32_e32 v1, 0x38000000, v1, vcc_lo
	s_delay_alu instid0(VALU_DEP_4)
	v_cndmask_b32_e32 v0, 0, v0, vcc_lo
	s_branch .LBB126_1224
.LBB126_1223:
	s_mov_b32 s0, -1
                                        ; implicit-def: $vgpr0_vgpr1
.LBB126_1224:
	s_wait_loadcnt 0x0
	v_mov_b64_e32 v[2:3], 0
.LBB126_1225:
	s_mov_b32 s20, 0
.LBB126_1226:
	s_delay_alu instid0(SALU_CYCLE_1)
	s_and_b32 vcc_lo, exec_lo, s20
	s_cbranch_vccz .LBB126_1231
; %bb.1227:
	s_cmp_eq_u32 s14, 29
	s_cbranch_scc0 .LBB126_1229
; %bb.1228:
	s_wait_loadcnt 0x0
	global_load_b64 v[0:1], v[6:7], off
	s_mov_b32 s0, 0
	s_mov_b32 s18, -1
	s_wait_loadcnt 0x0
	v_cvt_f64_u32_e32 v[2:3], v1
	v_cvt_f64_u32_e32 v[0:1], v0
	s_delay_alu instid0(VALU_DEP_2) | instskip(NEXT) | instid1(VALU_DEP_1)
	v_ldexp_f64 v[2:3], v[2:3], 32
	v_add_f64_e32 v[0:1], v[2:3], v[0:1]
	s_branch .LBB126_1230
.LBB126_1229:
	s_mov_b32 s0, -1
                                        ; implicit-def: $vgpr0_vgpr1
.LBB126_1230:
	s_wait_loadcnt 0x0
	v_mov_b64_e32 v[2:3], 0
.LBB126_1231:
	s_mov_b32 s20, 0
.LBB126_1232:
	s_delay_alu instid0(SALU_CYCLE_1)
	s_and_b32 vcc_lo, exec_lo, s20
	s_cbranch_vccz .LBB126_1250
; %bb.1233:
	s_cmp_lt_i32 s14, 27
	s_cbranch_scc1 .LBB126_1236
; %bb.1234:
	s_cmp_gt_i32 s14, 27
	s_cbranch_scc0 .LBB126_1237
; %bb.1235:
	s_wait_loadcnt 0x0
	global_load_b32 v0, v[6:7], off
	s_mov_b32 s18, 0
	s_wait_loadcnt 0x0
	v_cvt_f64_u32_e32 v[0:1], v0
	s_branch .LBB126_1238
.LBB126_1236:
	s_mov_b32 s18, -1
                                        ; implicit-def: $vgpr0_vgpr1
	s_branch .LBB126_1241
.LBB126_1237:
	s_mov_b32 s18, -1
                                        ; implicit-def: $vgpr0_vgpr1
.LBB126_1238:
	s_delay_alu instid0(SALU_CYCLE_1)
	s_and_not1_b32 vcc_lo, exec_lo, s18
	s_cbranch_vccnz .LBB126_1240
; %bb.1239:
	s_wait_loadcnt 0x0
	global_load_u16 v0, v[6:7], off
	s_wait_loadcnt 0x0
	v_cvt_f64_u32_e32 v[0:1], v0
.LBB126_1240:
	s_mov_b32 s18, 0
.LBB126_1241:
	s_delay_alu instid0(SALU_CYCLE_1)
	s_and_not1_b32 vcc_lo, exec_lo, s18
	s_cbranch_vccnz .LBB126_1249
; %bb.1242:
	s_wait_loadcnt 0x0
	global_load_u8 v2, v[6:7], off
	s_mov_b32 s18, 0
	s_mov_b32 s20, exec_lo
	s_wait_loadcnt 0x0
	v_cmpx_lt_i16_e32 0x7f, v2
	s_xor_b32 s20, exec_lo, s20
	s_cbranch_execz .LBB126_1262
; %bb.1243:
	s_mov_b32 s18, -1
	s_mov_b32 s21, exec_lo
	v_cmpx_eq_u16_e32 0x80, v2
; %bb.1244:
	s_xor_b32 s18, exec_lo, -1
; %bb.1245:
	s_or_b32 exec_lo, exec_lo, s21
	s_delay_alu instid0(SALU_CYCLE_1)
	s_and_b32 s18, s18, exec_lo
	s_or_saveexec_b32 s20, s20
	v_mov_b64_e32 v[0:1], 0x7ff8000020000000
	s_xor_b32 exec_lo, exec_lo, s20
	s_cbranch_execnz .LBB126_1263
.LBB126_1246:
	s_or_b32 exec_lo, exec_lo, s20
	s_and_saveexec_b32 s20, s18
	s_cbranch_execz .LBB126_1248
.LBB126_1247:
	v_and_b32_e32 v0, 0xffff, v2
	s_delay_alu instid0(VALU_DEP_1) | instskip(SKIP_1) | instid1(VALU_DEP_2)
	v_and_b32_e32 v1, 7, v0
	v_bfe_u32 v9, v0, 3, 4
	v_clz_i32_u32_e32 v3, v1
	s_delay_alu instid0(VALU_DEP_2) | instskip(NEXT) | instid1(VALU_DEP_2)
	v_cmp_eq_u32_e32 vcc_lo, 0, v9
	v_min_u32_e32 v3, 32, v3
	s_delay_alu instid0(VALU_DEP_1) | instskip(NEXT) | instid1(VALU_DEP_1)
	v_subrev_nc_u32_e32 v5, 28, v3
	v_dual_lshlrev_b32 v0, v5, v0 :: v_dual_sub_nc_u32 v3, 29, v3
	s_delay_alu instid0(VALU_DEP_1) | instskip(NEXT) | instid1(VALU_DEP_2)
	v_dual_lshlrev_b32 v2, 24, v2 :: v_dual_bitop2_b32 v0, 7, v0 bitop3:0x40
	v_cndmask_b32_e32 v3, v9, v3, vcc_lo
	s_delay_alu instid0(VALU_DEP_2) | instskip(NEXT) | instid1(VALU_DEP_3)
	v_cndmask_b32_e32 v0, v1, v0, vcc_lo
	v_and_b32_e32 v1, 0x80000000, v2
	s_delay_alu instid0(VALU_DEP_3) | instskip(NEXT) | instid1(VALU_DEP_3)
	v_lshl_add_u32 v2, v3, 23, 0x3b800000
	v_lshlrev_b32_e32 v0, 20, v0
	s_delay_alu instid0(VALU_DEP_1) | instskip(NEXT) | instid1(VALU_DEP_1)
	v_or3_b32 v0, v1, v2, v0
	v_cvt_f64_f32_e32 v[0:1], v0
.LBB126_1248:
	s_or_b32 exec_lo, exec_lo, s20
.LBB126_1249:
	s_wait_loadcnt 0x0
	v_mov_b64_e32 v[2:3], 0
	s_mov_b32 s18, -1
.LBB126_1250:
	s_branch .LBB126_1284
.LBB126_1251:
	s_cmp_gt_i32 s14, 22
	s_cbranch_scc0 .LBB126_1261
; %bb.1252:
	s_cmp_lt_i32 s14, 24
	s_cbranch_scc1 .LBB126_1264
; %bb.1253:
	s_cmp_gt_i32 s14, 24
	s_cbranch_scc0 .LBB126_1265
; %bb.1254:
	s_wait_loadcnt 0x0
	global_load_u8 v2, v[6:7], off
	s_mov_b32 s18, exec_lo
	s_wait_loadcnt 0x0
	v_cmpx_lt_i16_e32 0x7f, v2
	s_xor_b32 s18, exec_lo, s18
	s_cbranch_execz .LBB126_1277
; %bb.1255:
	s_mov_b32 s3, -1
	s_mov_b32 s20, exec_lo
	v_cmpx_eq_u16_e32 0x80, v2
; %bb.1256:
	s_xor_b32 s3, exec_lo, -1
; %bb.1257:
	s_or_b32 exec_lo, exec_lo, s20
	s_delay_alu instid0(SALU_CYCLE_1)
	s_and_b32 s3, s3, exec_lo
	s_or_saveexec_b32 s18, s18
	v_mov_b64_e32 v[0:1], 0x7ff8000020000000
	s_xor_b32 exec_lo, exec_lo, s18
	s_cbranch_execnz .LBB126_1278
.LBB126_1258:
	s_or_b32 exec_lo, exec_lo, s18
	s_and_saveexec_b32 s18, s3
	s_cbranch_execz .LBB126_1260
.LBB126_1259:
	v_and_b32_e32 v0, 0xffff, v2
	s_delay_alu instid0(VALU_DEP_1) | instskip(SKIP_1) | instid1(VALU_DEP_2)
	v_and_b32_e32 v1, 3, v0
	v_bfe_u32 v9, v0, 2, 5
	v_clz_i32_u32_e32 v3, v1
	s_delay_alu instid0(VALU_DEP_2) | instskip(NEXT) | instid1(VALU_DEP_2)
	v_cmp_eq_u32_e32 vcc_lo, 0, v9
	v_min_u32_e32 v3, 32, v3
	s_delay_alu instid0(VALU_DEP_1) | instskip(NEXT) | instid1(VALU_DEP_1)
	v_subrev_nc_u32_e32 v5, 29, v3
	v_dual_lshlrev_b32 v0, v5, v0 :: v_dual_sub_nc_u32 v3, 30, v3
	s_delay_alu instid0(VALU_DEP_1) | instskip(NEXT) | instid1(VALU_DEP_2)
	v_dual_lshlrev_b32 v2, 24, v2 :: v_dual_bitop2_b32 v0, 3, v0 bitop3:0x40
	v_cndmask_b32_e32 v3, v9, v3, vcc_lo
	s_delay_alu instid0(VALU_DEP_2) | instskip(NEXT) | instid1(VALU_DEP_3)
	v_cndmask_b32_e32 v0, v1, v0, vcc_lo
	v_and_b32_e32 v1, 0x80000000, v2
	s_delay_alu instid0(VALU_DEP_3) | instskip(NEXT) | instid1(VALU_DEP_3)
	v_lshl_add_u32 v2, v3, 23, 0x37800000
	v_lshlrev_b32_e32 v0, 21, v0
	s_delay_alu instid0(VALU_DEP_1) | instskip(NEXT) | instid1(VALU_DEP_1)
	v_or3_b32 v0, v1, v2, v0
	v_cvt_f64_f32_e32 v[0:1], v0
.LBB126_1260:
	s_or_b32 exec_lo, exec_lo, s18
	s_mov_b32 s3, 0
	s_branch .LBB126_1266
.LBB126_1261:
	s_mov_b32 s3, -1
                                        ; implicit-def: $vgpr0_vgpr1
	s_branch .LBB126_1272
.LBB126_1262:
	s_or_saveexec_b32 s20, s20
	v_mov_b64_e32 v[0:1], 0x7ff8000020000000
	s_xor_b32 exec_lo, exec_lo, s20
	s_cbranch_execz .LBB126_1246
.LBB126_1263:
	v_cmp_ne_u16_e32 vcc_lo, 0, v2
	v_mov_b64_e32 v[0:1], 0
	s_and_not1_b32 s18, s18, exec_lo
	s_and_b32 s21, vcc_lo, exec_lo
	s_delay_alu instid0(SALU_CYCLE_1)
	s_or_b32 s18, s18, s21
	s_or_b32 exec_lo, exec_lo, s20
	s_and_saveexec_b32 s20, s18
	s_cbranch_execnz .LBB126_1247
	s_branch .LBB126_1248
.LBB126_1264:
	s_mov_b32 s3, -1
                                        ; implicit-def: $vgpr0_vgpr1
	s_branch .LBB126_1269
.LBB126_1265:
	s_mov_b32 s3, -1
                                        ; implicit-def: $vgpr0_vgpr1
.LBB126_1266:
	s_delay_alu instid0(SALU_CYCLE_1)
	s_and_b32 vcc_lo, exec_lo, s3
	s_cbranch_vccz .LBB126_1268
; %bb.1267:
	s_wait_loadcnt 0x0
	global_load_u8 v0, v[6:7], off
	s_wait_loadcnt 0x0
	v_lshlrev_b32_e32 v0, 24, v0
	s_delay_alu instid0(VALU_DEP_1) | instskip(NEXT) | instid1(VALU_DEP_1)
	v_and_b32_e32 v1, 0x7f000000, v0
	v_clz_i32_u32_e32 v2, v1
	v_add_nc_u32_e32 v5, 0x1000000, v1
	v_cmp_ne_u32_e32 vcc_lo, 0, v1
	s_delay_alu instid0(VALU_DEP_3) | instskip(NEXT) | instid1(VALU_DEP_1)
	v_min_u32_e32 v2, 32, v2
	v_sub_nc_u32_e64 v2, v2, 4 clamp
	s_delay_alu instid0(VALU_DEP_1) | instskip(NEXT) | instid1(VALU_DEP_1)
	v_dual_lshlrev_b32 v3, v2, v1 :: v_dual_lshlrev_b32 v2, 23, v2
	v_lshrrev_b32_e32 v3, 4, v3
	s_delay_alu instid0(VALU_DEP_1) | instskip(NEXT) | instid1(VALU_DEP_1)
	v_dual_sub_nc_u32 v2, v3, v2 :: v_dual_ashrrev_i32 v3, 8, v5
	v_add_nc_u32_e32 v2, 0x3c000000, v2
	s_delay_alu instid0(VALU_DEP_1) | instskip(NEXT) | instid1(VALU_DEP_1)
	v_and_or_b32 v2, 0x7f800000, v3, v2
	v_cndmask_b32_e32 v1, 0, v2, vcc_lo
	s_delay_alu instid0(VALU_DEP_1) | instskip(NEXT) | instid1(VALU_DEP_1)
	v_and_or_b32 v0, 0x80000000, v0, v1
	v_cvt_f64_f32_e32 v[0:1], v0
.LBB126_1268:
	s_mov_b32 s3, 0
.LBB126_1269:
	s_delay_alu instid0(SALU_CYCLE_1)
	s_and_not1_b32 vcc_lo, exec_lo, s3
	s_cbranch_vccnz .LBB126_1271
; %bb.1270:
	s_wait_loadcnt 0x0
	global_load_u8 v0, v[6:7], off
	s_wait_loadcnt 0x0
	v_lshlrev_b32_e32 v1, 25, v0
	v_lshlrev_b16 v0, 8, v0
	s_delay_alu instid0(VALU_DEP_1) | instskip(SKIP_1) | instid1(VALU_DEP_2)
	v_and_or_b32 v3, 0x7f00, v0, 0.5
	v_bfe_i32 v0, v0, 0, 16
	v_dual_add_f32 v3, -0.5, v3 :: v_dual_lshrrev_b32 v2, 4, v1
	v_cmp_gt_u32_e32 vcc_lo, 0x8000000, v1
	s_delay_alu instid0(VALU_DEP_2) | instskip(NEXT) | instid1(VALU_DEP_1)
	v_or_b32_e32 v2, 0x70000000, v2
	v_mul_f32_e32 v2, 0x7800000, v2
	s_delay_alu instid0(VALU_DEP_1) | instskip(NEXT) | instid1(VALU_DEP_1)
	v_cndmask_b32_e32 v1, v2, v3, vcc_lo
	v_and_or_b32 v0, 0x80000000, v0, v1
	s_delay_alu instid0(VALU_DEP_1)
	v_cvt_f64_f32_e32 v[0:1], v0
.LBB126_1271:
	s_mov_b32 s3, 0
	s_mov_b32 s18, -1
.LBB126_1272:
	s_and_not1_b32 vcc_lo, exec_lo, s3
	s_mov_b32 s3, 0
	s_cbranch_vccnz .LBB126_1283
; %bb.1273:
	s_cmp_gt_i32 s14, 14
	s_cbranch_scc0 .LBB126_1276
; %bb.1274:
	s_cmp_eq_u32 s14, 15
	s_cbranch_scc0 .LBB126_1279
; %bb.1275:
	s_wait_loadcnt 0x0
	global_load_u16 v0, v[6:7], off
	s_mov_b32 s0, 0
	s_mov_b32 s18, -1
	s_wait_loadcnt 0x0
	v_lshlrev_b32_e32 v0, 16, v0
	s_delay_alu instid0(VALU_DEP_1)
	v_cvt_f64_f32_e32 v[0:1], v0
	s_branch .LBB126_1281
.LBB126_1276:
	s_mov_b32 s3, -1
	s_branch .LBB126_1280
.LBB126_1277:
	s_or_saveexec_b32 s18, s18
	v_mov_b64_e32 v[0:1], 0x7ff8000020000000
	s_xor_b32 exec_lo, exec_lo, s18
	s_cbranch_execz .LBB126_1258
.LBB126_1278:
	v_cmp_ne_u16_e32 vcc_lo, 0, v2
	v_mov_b64_e32 v[0:1], 0
	s_and_not1_b32 s3, s3, exec_lo
	s_and_b32 s20, vcc_lo, exec_lo
	s_delay_alu instid0(SALU_CYCLE_1)
	s_or_b32 s3, s3, s20
	s_or_b32 exec_lo, exec_lo, s18
	s_and_saveexec_b32 s18, s3
	s_cbranch_execnz .LBB126_1259
	s_branch .LBB126_1260
.LBB126_1279:
	s_mov_b32 s0, -1
.LBB126_1280:
                                        ; implicit-def: $vgpr0_vgpr1
.LBB126_1281:
	s_and_b32 vcc_lo, exec_lo, s3
	s_mov_b32 s3, 0
	s_cbranch_vccz .LBB126_1283
; %bb.1282:
	s_cmp_lg_u32 s14, 11
	s_mov_b32 s3, -1
	s_cselect_b32 s0, -1, 0
.LBB126_1283:
	s_wait_loadcnt 0x0
	v_mov_b64_e32 v[2:3], 0
.LBB126_1284:
	s_and_b32 vcc_lo, exec_lo, s0
	s_cbranch_vccnz .LBB126_1365
; %bb.1285:
	s_and_not1_b32 vcc_lo, exec_lo, s3
	s_cbranch_vccnz .LBB126_1287
.LBB126_1286:
	s_wait_loadcnt 0x0
	global_load_u8 v0, v[6:7], off
	v_mov_b64_e32 v[2:3], 0
	s_mov_b32 s18, -1
	s_wait_loadcnt 0x0
	v_cmp_ne_u16_e32 vcc_lo, 0, v0
	v_mov_b32_e32 v0, 0
	v_cndmask_b32_e64 v1, 0, 0x3ff00000, vcc_lo
.LBB126_1287:
	s_branch .LBB126_1209
.LBB126_1288:
	s_cmp_lt_i32 s14, 5
	s_cbranch_scc1 .LBB126_1293
; %bb.1289:
	s_cmp_lt_i32 s14, 8
	s_cbranch_scc1 .LBB126_1295
; %bb.1290:
	;; [unrolled: 3-line block ×3, first 2 shown]
	s_cmp_gt_i32 s14, 9
	s_cbranch_scc0 .LBB126_1297
; %bb.1292:
	s_wait_loadcnt 0x0
	global_load_b128 v[0:3], v[6:7], off
	s_mov_b32 s0, 0
	s_branch .LBB126_1298
.LBB126_1293:
                                        ; implicit-def: $vgpr2_vgpr3
	s_branch .LBB126_1317
.LBB126_1294:
	s_branch .LBB126_1337
.LBB126_1295:
	s_mov_b32 s0, -1
                                        ; implicit-def: $vgpr2_vgpr3
	s_branch .LBB126_1304
.LBB126_1296:
	s_mov_b32 s0, -1
                                        ; implicit-def: $vgpr2_vgpr3
	s_branch .LBB126_1301
.LBB126_1297:
	s_mov_b32 s0, -1
                                        ; implicit-def: $vgpr2_vgpr3
.LBB126_1298:
	s_delay_alu instid0(SALU_CYCLE_1)
	s_and_not1_b32 vcc_lo, exec_lo, s0
	s_cbranch_vccnz .LBB126_1300
; %bb.1299:
	s_wait_loadcnt 0x0
	global_load_b64 v[2:3], v[6:7], off
	s_wait_loadcnt 0x0
	v_cvt_f64_f32_e32 v[0:1], v2
	v_cvt_f64_f32_e32 v[2:3], v3
.LBB126_1300:
	s_mov_b32 s0, 0
.LBB126_1301:
	s_delay_alu instid0(SALU_CYCLE_1)
	s_and_not1_b32 vcc_lo, exec_lo, s0
	s_cbranch_vccnz .LBB126_1303
; %bb.1302:
	s_wait_loadcnt 0x0
	global_load_b32 v0, v[6:7], off
	s_wait_loadcnt 0x0
	v_lshrrev_b32_e32 v1, 16, v0
	v_cvt_f32_f16_e32 v0, v0
	s_delay_alu instid0(VALU_DEP_2) | instskip(NEXT) | instid1(VALU_DEP_2)
	v_cvt_f32_f16_e32 v2, v1
	v_cvt_f64_f32_e32 v[0:1], v0
	s_delay_alu instid0(VALU_DEP_2)
	v_cvt_f64_f32_e32 v[2:3], v2
.LBB126_1303:
	s_mov_b32 s0, 0
.LBB126_1304:
	s_delay_alu instid0(SALU_CYCLE_1)
	s_and_not1_b32 vcc_lo, exec_lo, s0
	s_cbranch_vccnz .LBB126_1316
; %bb.1305:
	s_cmp_lt_i32 s14, 6
	s_cbranch_scc1 .LBB126_1308
; %bb.1306:
	s_cmp_gt_i32 s14, 6
	s_cbranch_scc0 .LBB126_1309
; %bb.1307:
	s_wait_loadcnt 0x0
	global_load_b64 v[0:1], v[6:7], off
	s_mov_b32 s0, 0
	s_branch .LBB126_1310
.LBB126_1308:
	s_mov_b32 s0, -1
                                        ; implicit-def: $vgpr0_vgpr1
	s_branch .LBB126_1313
.LBB126_1309:
	s_mov_b32 s0, -1
                                        ; implicit-def: $vgpr0_vgpr1
.LBB126_1310:
	s_delay_alu instid0(SALU_CYCLE_1)
	s_and_not1_b32 vcc_lo, exec_lo, s0
	s_cbranch_vccnz .LBB126_1312
; %bb.1311:
	s_wait_loadcnt 0x0
	global_load_b32 v0, v[6:7], off
	s_wait_loadcnt 0x0
	v_cvt_f64_f32_e32 v[0:1], v0
.LBB126_1312:
	s_mov_b32 s0, 0
.LBB126_1313:
	s_delay_alu instid0(SALU_CYCLE_1)
	s_and_not1_b32 vcc_lo, exec_lo, s0
	s_cbranch_vccnz .LBB126_1315
; %bb.1314:
	s_wait_loadcnt 0x0
	global_load_u16 v0, v[6:7], off
	s_wait_loadcnt 0x0
	v_cvt_f32_f16_e32 v0, v0
	s_delay_alu instid0(VALU_DEP_1)
	v_cvt_f64_f32_e32 v[0:1], v0
.LBB126_1315:
	s_wait_loadcnt 0x0
	v_mov_b64_e32 v[2:3], 0
.LBB126_1316:
	s_cbranch_execnz .LBB126_1294
.LBB126_1317:
	s_cmp_lt_i32 s14, 2
	s_cbranch_scc1 .LBB126_1321
; %bb.1318:
	s_cmp_lt_i32 s14, 3
	s_cbranch_scc1 .LBB126_1322
; %bb.1319:
	s_cmp_gt_i32 s14, 3
	s_cbranch_scc0 .LBB126_1323
; %bb.1320:
	s_wait_loadcnt 0x0
	global_load_b64 v[0:1], v[6:7], off
	s_mov_b32 s0, 0
	s_wait_loadcnt 0x0
	v_cvt_f64_i32_e32 v[2:3], v1
	v_cvt_f64_u32_e32 v[0:1], v0
	s_delay_alu instid0(VALU_DEP_2) | instskip(NEXT) | instid1(VALU_DEP_1)
	v_ldexp_f64 v[2:3], v[2:3], 32
	v_add_f64_e32 v[0:1], v[2:3], v[0:1]
	s_branch .LBB126_1324
.LBB126_1321:
	s_mov_b32 s0, -1
                                        ; implicit-def: $vgpr0_vgpr1
	s_branch .LBB126_1330
.LBB126_1322:
	s_mov_b32 s0, -1
                                        ; implicit-def: $vgpr0_vgpr1
	s_branch .LBB126_1327
.LBB126_1323:
	s_mov_b32 s0, -1
                                        ; implicit-def: $vgpr0_vgpr1
.LBB126_1324:
	s_delay_alu instid0(SALU_CYCLE_1)
	s_and_not1_b32 vcc_lo, exec_lo, s0
	s_cbranch_vccnz .LBB126_1326
; %bb.1325:
	s_wait_loadcnt 0x0
	global_load_b32 v0, v[6:7], off
	s_wait_loadcnt 0x0
	v_cvt_f64_i32_e32 v[0:1], v0
.LBB126_1326:
	s_mov_b32 s0, 0
.LBB126_1327:
	s_delay_alu instid0(SALU_CYCLE_1)
	s_and_not1_b32 vcc_lo, exec_lo, s0
	s_cbranch_vccnz .LBB126_1329
; %bb.1328:
	s_wait_loadcnt 0x0
	global_load_i16 v0, v[6:7], off
	s_wait_loadcnt 0x0
	v_cvt_f64_i32_e32 v[0:1], v0
.LBB126_1329:
	s_mov_b32 s0, 0
.LBB126_1330:
	s_delay_alu instid0(SALU_CYCLE_1)
	s_and_not1_b32 vcc_lo, exec_lo, s0
	s_cbranch_vccnz .LBB126_1336
; %bb.1331:
	s_cmp_gt_i32 s14, 0
	s_mov_b32 s0, 0
	s_cbranch_scc0 .LBB126_1333
; %bb.1332:
	s_wait_loadcnt 0x0
	global_load_i8 v0, v[6:7], off
	s_wait_loadcnt 0x0
	v_cvt_f64_i32_e32 v[0:1], v0
	s_branch .LBB126_1334
.LBB126_1333:
	s_mov_b32 s0, -1
                                        ; implicit-def: $vgpr0_vgpr1
.LBB126_1334:
	s_delay_alu instid0(SALU_CYCLE_1)
	s_and_not1_b32 vcc_lo, exec_lo, s0
	s_cbranch_vccnz .LBB126_1336
; %bb.1335:
	s_wait_loadcnt 0x0
	global_load_u8 v0, v[6:7], off
	s_wait_loadcnt 0x0
	v_cvt_f64_u32_e32 v[0:1], v0
.LBB126_1336:
	s_wait_loadcnt 0x0
	v_mov_b64_e32 v[2:3], 0
.LBB126_1337:
	s_and_b32 vcc_lo, exec_lo, s17
	s_cbranch_vccz .LBB126_1349
; %bb.1338:
	s_wait_loadcnt 0x0
	s_delay_alu instid0(VALU_DEP_1) | instskip(NEXT) | instid1(VALU_DEP_2)
	v_cmp_neq_f64_e32 vcc_lo, s[8:9], v[0:1]
	v_cmp_neq_f64_e64 s0, s[10:11], v[2:3]
	s_or_b32 s3, vcc_lo, s0
	s_cbranch_execnz .LBB126_1340
.LBB126_1339:
	s_wait_loadcnt 0x0
	s_delay_alu instid0(VALU_DEP_1) | instskip(NEXT) | instid1(VALU_DEP_2)
	v_cmp_eq_f64_e32 vcc_lo, s[8:9], v[0:1]
	v_cmp_eq_f64_e64 s0, s[10:11], v[2:3]
	s_and_not1_b32 s3, s3, exec_lo
	s_and_b32 s0, vcc_lo, s0
	s_delay_alu instid0(SALU_CYCLE_1) | instskip(NEXT) | instid1(SALU_CYCLE_1)
	s_and_b32 s0, s0, exec_lo
	s_or_b32 s3, s3, s0
.LBB126_1340:
	v_add_nc_u32_e32 v4, s19, v4
	s_cmp_lt_i32 s14, 11
	s_delay_alu instid0(VALU_DEP_1) | instskip(SKIP_1) | instid1(VALU_DEP_1)
	v_ashrrev_i32_e32 v5, 31, v4
	s_wait_xcnt 0x0
	v_add_nc_u64_e32 v[6:7], s[6:7], v[4:5]
	s_cbranch_scc1 .LBB126_1347
; %bb.1341:
	s_cmp_gt_i32 s14, 25
	s_mov_b32 s18, 0
	s_cbranch_scc0 .LBB126_1350
; %bb.1342:
	s_cmp_gt_i32 s14, 28
	s_cbranch_scc0 .LBB126_1361
; %bb.1343:
	s_cmp_gt_i32 s14, 43
	;; [unrolled: 3-line block ×3, first 2 shown]
	s_cbranch_scc0 .LBB126_1366
; %bb.1345:
	s_cmp_eq_u32 s14, 46
	s_mov_b32 s21, 0
	s_cbranch_scc0 .LBB126_1424
; %bb.1346:
	s_wait_loadcnt 0x0
	global_load_b32 v0, v[6:7], off
	s_mov_b32 s0, 0
	s_mov_b32 s20, -1
	s_wait_loadcnt 0x0
	v_lshlrev_b32_e32 v1, 16, v0
	v_and_b32_e32 v2, 0xffff0000, v0
	s_delay_alu instid0(VALU_DEP_2) | instskip(NEXT) | instid1(VALU_DEP_2)
	v_cvt_f64_f32_e32 v[0:1], v1
	v_cvt_f64_f32_e32 v[2:3], v2
	s_branch .LBB126_1426
.LBB126_1347:
	s_mov_b32 s20, 0
                                        ; implicit-def: $vgpr2_vgpr3
	s_cbranch_execnz .LBB126_1355
.LBB126_1348:
	s_and_not1_b32 vcc_lo, exec_lo, s20
	s_cbranch_vccnz .LBB126_1618
	s_branch .LBB126_1409
.LBB126_1349:
                                        ; implicit-def: $sgpr3
	s_branch .LBB126_1339
.LBB126_1350:
	s_mov_b32 s20, 0
	s_mov_b32 s0, 0
                                        ; implicit-def: $vgpr2_vgpr3
	s_cbranch_execnz .LBB126_1458
.LBB126_1351:
	s_and_b32 vcc_lo, exec_lo, s0
	s_cbranch_vccnz .LBB126_1491
.LBB126_1352:
	s_and_not1_b32 vcc_lo, exec_lo, s18
	s_cbranch_vccnz .LBB126_1354
.LBB126_1353:
	s_wait_loadcnt 0x0
	global_load_u8 v0, v[6:7], off
	v_mov_b64_e32 v[2:3], 0
	s_mov_b32 s20, -1
	s_wait_loadcnt 0x0
	v_cmp_ne_u16_e32 vcc_lo, 0, v0
	v_mov_b32_e32 v0, 0
	v_cndmask_b32_e64 v1, 0, 0x3ff00000, vcc_lo
.LBB126_1354:
	s_branch .LBB126_1348
.LBB126_1355:
	s_cmp_lt_i32 s14, 5
	s_cbranch_scc1 .LBB126_1360
; %bb.1356:
	s_cmp_lt_i32 s14, 8
	s_cbranch_scc1 .LBB126_1362
; %bb.1357:
	;; [unrolled: 3-line block ×3, first 2 shown]
	s_cmp_gt_i32 s14, 9
	s_cbranch_scc0 .LBB126_1367
; %bb.1359:
	s_wait_loadcnt 0x0
	global_load_b128 v[0:3], v[6:7], off
	s_mov_b32 s0, 0
	s_branch .LBB126_1368
.LBB126_1360:
	s_mov_b32 s0, -1
                                        ; implicit-def: $vgpr2_vgpr3
	s_branch .LBB126_1387
.LBB126_1361:
	s_mov_b32 s21, -1
	s_mov_b32 s20, 0
	s_mov_b32 s0, 0
                                        ; implicit-def: $vgpr2_vgpr3
	s_branch .LBB126_1439
.LBB126_1362:
	s_mov_b32 s0, -1
                                        ; implicit-def: $vgpr2_vgpr3
	s_branch .LBB126_1374
.LBB126_1363:
	s_mov_b32 s21, -1
	s_mov_b32 s20, 0
	s_mov_b32 s0, 0
                                        ; implicit-def: $vgpr2_vgpr3
	s_branch .LBB126_1433
.LBB126_1364:
	s_mov_b32 s0, -1
                                        ; implicit-def: $vgpr2_vgpr3
	s_branch .LBB126_1371
.LBB126_1365:
	s_or_b32 s1, s1, exec_lo
	s_trap 2
	s_cbranch_execz .LBB126_1286
	s_branch .LBB126_1287
.LBB126_1366:
	s_mov_b32 s21, -1
	s_mov_b32 s20, 0
	s_mov_b32 s0, 0
	s_branch .LBB126_1425
.LBB126_1367:
	s_mov_b32 s0, -1
                                        ; implicit-def: $vgpr2_vgpr3
.LBB126_1368:
	s_delay_alu instid0(SALU_CYCLE_1)
	s_and_not1_b32 vcc_lo, exec_lo, s0
	s_cbranch_vccnz .LBB126_1370
; %bb.1369:
	s_wait_loadcnt 0x0
	global_load_b64 v[2:3], v[6:7], off
	s_wait_loadcnt 0x0
	v_cvt_f64_f32_e32 v[0:1], v2
	v_cvt_f64_f32_e32 v[2:3], v3
.LBB126_1370:
	s_mov_b32 s0, 0
.LBB126_1371:
	s_delay_alu instid0(SALU_CYCLE_1)
	s_and_not1_b32 vcc_lo, exec_lo, s0
	s_cbranch_vccnz .LBB126_1373
; %bb.1372:
	s_wait_loadcnt 0x0
	global_load_b32 v0, v[6:7], off
	s_wait_loadcnt 0x0
	v_lshrrev_b32_e32 v1, 16, v0
	v_cvt_f32_f16_e32 v0, v0
	s_delay_alu instid0(VALU_DEP_2) | instskip(NEXT) | instid1(VALU_DEP_2)
	v_cvt_f32_f16_e32 v2, v1
	v_cvt_f64_f32_e32 v[0:1], v0
	s_delay_alu instid0(VALU_DEP_2)
	v_cvt_f64_f32_e32 v[2:3], v2
.LBB126_1373:
	s_mov_b32 s0, 0
.LBB126_1374:
	s_delay_alu instid0(SALU_CYCLE_1)
	s_and_not1_b32 vcc_lo, exec_lo, s0
	s_cbranch_vccnz .LBB126_1386
; %bb.1375:
	s_cmp_lt_i32 s14, 6
	s_cbranch_scc1 .LBB126_1378
; %bb.1376:
	s_cmp_gt_i32 s14, 6
	s_cbranch_scc0 .LBB126_1379
; %bb.1377:
	s_wait_loadcnt 0x0
	global_load_b64 v[0:1], v[6:7], off
	s_mov_b32 s0, 0
	s_branch .LBB126_1380
.LBB126_1378:
	s_mov_b32 s0, -1
                                        ; implicit-def: $vgpr0_vgpr1
	s_branch .LBB126_1383
.LBB126_1379:
	s_mov_b32 s0, -1
                                        ; implicit-def: $vgpr0_vgpr1
.LBB126_1380:
	s_delay_alu instid0(SALU_CYCLE_1)
	s_and_not1_b32 vcc_lo, exec_lo, s0
	s_cbranch_vccnz .LBB126_1382
; %bb.1381:
	s_wait_loadcnt 0x0
	global_load_b32 v0, v[6:7], off
	s_wait_loadcnt 0x0
	v_cvt_f64_f32_e32 v[0:1], v0
.LBB126_1382:
	s_mov_b32 s0, 0
.LBB126_1383:
	s_delay_alu instid0(SALU_CYCLE_1)
	s_and_not1_b32 vcc_lo, exec_lo, s0
	s_cbranch_vccnz .LBB126_1385
; %bb.1384:
	s_wait_loadcnt 0x0
	global_load_u16 v0, v[6:7], off
	s_wait_loadcnt 0x0
	v_cvt_f32_f16_e32 v0, v0
	s_delay_alu instid0(VALU_DEP_1)
	v_cvt_f64_f32_e32 v[0:1], v0
.LBB126_1385:
	s_wait_loadcnt 0x0
	v_mov_b64_e32 v[2:3], 0
.LBB126_1386:
	s_mov_b32 s0, 0
.LBB126_1387:
	s_delay_alu instid0(SALU_CYCLE_1)
	s_and_not1_b32 vcc_lo, exec_lo, s0
	s_cbranch_vccnz .LBB126_1408
; %bb.1388:
	s_cmp_lt_i32 s14, 2
	s_cbranch_scc1 .LBB126_1392
; %bb.1389:
	s_cmp_lt_i32 s14, 3
	s_cbranch_scc1 .LBB126_1393
; %bb.1390:
	s_cmp_gt_i32 s14, 3
	s_cbranch_scc0 .LBB126_1394
; %bb.1391:
	s_wait_loadcnt 0x0
	global_load_b64 v[0:1], v[6:7], off
	s_mov_b32 s0, 0
	s_wait_loadcnt 0x0
	v_cvt_f64_i32_e32 v[2:3], v1
	v_cvt_f64_u32_e32 v[0:1], v0
	s_delay_alu instid0(VALU_DEP_2) | instskip(NEXT) | instid1(VALU_DEP_1)
	v_ldexp_f64 v[2:3], v[2:3], 32
	v_add_f64_e32 v[0:1], v[2:3], v[0:1]
	s_branch .LBB126_1395
.LBB126_1392:
	s_mov_b32 s0, -1
                                        ; implicit-def: $vgpr0_vgpr1
	s_branch .LBB126_1401
.LBB126_1393:
	s_mov_b32 s0, -1
                                        ; implicit-def: $vgpr0_vgpr1
	s_branch .LBB126_1398
.LBB126_1394:
	s_mov_b32 s0, -1
                                        ; implicit-def: $vgpr0_vgpr1
.LBB126_1395:
	s_delay_alu instid0(SALU_CYCLE_1)
	s_and_not1_b32 vcc_lo, exec_lo, s0
	s_cbranch_vccnz .LBB126_1397
; %bb.1396:
	s_wait_loadcnt 0x0
	global_load_b32 v0, v[6:7], off
	s_wait_loadcnt 0x0
	v_cvt_f64_i32_e32 v[0:1], v0
.LBB126_1397:
	s_mov_b32 s0, 0
.LBB126_1398:
	s_delay_alu instid0(SALU_CYCLE_1)
	s_and_not1_b32 vcc_lo, exec_lo, s0
	s_cbranch_vccnz .LBB126_1400
; %bb.1399:
	s_wait_loadcnt 0x0
	global_load_i16 v0, v[6:7], off
	s_wait_loadcnt 0x0
	v_cvt_f64_i32_e32 v[0:1], v0
.LBB126_1400:
	s_mov_b32 s0, 0
.LBB126_1401:
	s_delay_alu instid0(SALU_CYCLE_1)
	s_and_not1_b32 vcc_lo, exec_lo, s0
	s_cbranch_vccnz .LBB126_1407
; %bb.1402:
	s_cmp_gt_i32 s14, 0
	s_mov_b32 s0, 0
	s_cbranch_scc0 .LBB126_1404
; %bb.1403:
	s_wait_loadcnt 0x0
	global_load_i8 v0, v[6:7], off
	s_wait_loadcnt 0x0
	v_cvt_f64_i32_e32 v[0:1], v0
	s_branch .LBB126_1405
.LBB126_1404:
	s_mov_b32 s0, -1
                                        ; implicit-def: $vgpr0_vgpr1
.LBB126_1405:
	s_delay_alu instid0(SALU_CYCLE_1)
	s_and_not1_b32 vcc_lo, exec_lo, s0
	s_cbranch_vccnz .LBB126_1407
; %bb.1406:
	s_wait_loadcnt 0x0
	global_load_u8 v0, v[6:7], off
	s_wait_loadcnt 0x0
	v_cvt_f64_u32_e32 v[0:1], v0
.LBB126_1407:
	s_wait_loadcnt 0x0
	v_mov_b64_e32 v[2:3], 0
.LBB126_1408:
.LBB126_1409:
	s_and_b32 vcc_lo, exec_lo, s17
	s_cbranch_vccz .LBB126_1420
; %bb.1410:
	s_wait_loadcnt 0x0
	s_delay_alu instid0(VALU_DEP_1) | instskip(NEXT) | instid1(VALU_DEP_2)
	v_cmp_neq_f64_e32 vcc_lo, s[8:9], v[0:1]
	v_cmp_neq_f64_e64 s0, s[10:11], v[2:3]
	s_or_b32 s18, vcc_lo, s0
	s_cbranch_execnz .LBB126_1412
.LBB126_1411:
	s_wait_loadcnt 0x0
	s_delay_alu instid0(VALU_DEP_1) | instskip(NEXT) | instid1(VALU_DEP_2)
	v_cmp_eq_f64_e32 vcc_lo, s[8:9], v[0:1]
	v_cmp_eq_f64_e64 s0, s[10:11], v[2:3]
	s_and_not1_b32 s18, s18, exec_lo
	s_and_b32 s0, vcc_lo, s0
	s_delay_alu instid0(SALU_CYCLE_1) | instskip(NEXT) | instid1(SALU_CYCLE_1)
	s_and_b32 s0, s0, exec_lo
	s_or_b32 s18, s18, s0
.LBB126_1412:
	s_wait_loadcnt 0x0
	v_add_nc_u32_e32 v0, s19, v4
	s_cmp_lt_i32 s14, 11
	s_delay_alu instid0(VALU_DEP_1) | instskip(NEXT) | instid1(VALU_DEP_1)
	v_ashrrev_i32_e32 v1, 31, v0
	v_add_nc_u64_e32 v[4:5], s[6:7], v[0:1]
	s_cbranch_scc1 .LBB126_1419
; %bb.1413:
	s_cmp_gt_i32 s14, 25
	s_mov_b32 s6, 0
	s_cbranch_scc0 .LBB126_1421
; %bb.1414:
	s_cmp_gt_i32 s14, 28
	s_cbranch_scc0 .LBB126_1422
; %bb.1415:
	s_cmp_gt_i32 s14, 43
	;; [unrolled: 3-line block ×3, first 2 shown]
	s_cbranch_scc0 .LBB126_1429
; %bb.1417:
	s_cmp_eq_u32 s14, 46
	s_mov_b32 s19, 0
	s_cbranch_scc0 .LBB126_1492
; %bb.1418:
	global_load_b32 v0, v[4:5], off
	s_mov_b32 s0, 0
	s_mov_b32 s7, -1
	s_wait_loadcnt 0x0
	v_lshlrev_b32_e32 v1, 16, v0
	v_and_b32_e32 v2, 0xffff0000, v0
	s_delay_alu instid0(VALU_DEP_2) | instskip(NEXT) | instid1(VALU_DEP_2)
	v_cvt_f64_f32_e32 v[0:1], v1
	v_cvt_f64_f32_e32 v[2:3], v2
	s_branch .LBB126_1494
.LBB126_1419:
	s_mov_b32 s0, -1
	s_mov_b32 s7, 0
                                        ; implicit-def: $vgpr2_vgpr3
	s_branch .LBB126_1540
.LBB126_1420:
                                        ; implicit-def: $sgpr18
	s_branch .LBB126_1411
.LBB126_1421:
	s_mov_b32 s19, -1
	s_mov_b32 s7, 0
	s_mov_b32 s0, 0
                                        ; implicit-def: $vgpr2_vgpr3
	s_branch .LBB126_1525
.LBB126_1422:
	s_mov_b32 s19, -1
	s_mov_b32 s7, 0
	s_mov_b32 s0, 0
                                        ; implicit-def: $vgpr2_vgpr3
	s_branch .LBB126_1506
.LBB126_1423:
	s_mov_b32 s19, -1
	s_mov_b32 s7, 0
	s_mov_b32 s0, 0
                                        ; implicit-def: $vgpr2_vgpr3
	s_branch .LBB126_1500
.LBB126_1424:
	s_mov_b32 s0, -1
	s_mov_b32 s20, 0
.LBB126_1425:
                                        ; implicit-def: $vgpr2_vgpr3
.LBB126_1426:
	s_and_b32 vcc_lo, exec_lo, s21
	s_cbranch_vccz .LBB126_1432
; %bb.1427:
	s_cmp_eq_u32 s14, 44
	s_cbranch_scc0 .LBB126_1430
; %bb.1428:
	s_wait_loadcnt 0x0
	global_load_u8 v2, v[6:7], off
	s_mov_b32 s0, 0
	s_mov_b32 s20, -1
	s_wait_loadcnt 0x0
	v_cmp_ne_u32_e32 vcc_lo, 0xff, v2
	v_lshlrev_b32_e32 v0, 23, v2
	s_delay_alu instid0(VALU_DEP_1) | instskip(NEXT) | instid1(VALU_DEP_1)
	v_cvt_f64_f32_e32 v[0:1], v0
	v_cndmask_b32_e32 v0, 0x20000000, v0, vcc_lo
	s_delay_alu instid0(VALU_DEP_2) | instskip(SKIP_1) | instid1(VALU_DEP_2)
	v_cndmask_b32_e32 v1, 0x7ff80000, v1, vcc_lo
	v_cmp_ne_u32_e32 vcc_lo, 0, v2
	v_cndmask_b32_e32 v1, 0x38000000, v1, vcc_lo
	s_delay_alu instid0(VALU_DEP_4)
	v_cndmask_b32_e32 v0, 0, v0, vcc_lo
	s_branch .LBB126_1431
.LBB126_1429:
	s_mov_b32 s19, -1
	s_mov_b32 s7, 0
	s_mov_b32 s0, 0
	s_branch .LBB126_1493
.LBB126_1430:
	s_mov_b32 s0, -1
                                        ; implicit-def: $vgpr0_vgpr1
.LBB126_1431:
	s_wait_loadcnt 0x0
	v_mov_b64_e32 v[2:3], 0
.LBB126_1432:
	s_mov_b32 s21, 0
.LBB126_1433:
	s_delay_alu instid0(SALU_CYCLE_1)
	s_and_b32 vcc_lo, exec_lo, s21
	s_cbranch_vccz .LBB126_1438
; %bb.1434:
	s_cmp_eq_u32 s14, 29
	s_cbranch_scc0 .LBB126_1436
; %bb.1435:
	s_wait_loadcnt 0x0
	global_load_b64 v[0:1], v[6:7], off
	s_mov_b32 s0, 0
	s_mov_b32 s20, -1
	s_wait_loadcnt 0x0
	v_cvt_f64_u32_e32 v[2:3], v1
	v_cvt_f64_u32_e32 v[0:1], v0
	s_delay_alu instid0(VALU_DEP_2) | instskip(NEXT) | instid1(VALU_DEP_1)
	v_ldexp_f64 v[2:3], v[2:3], 32
	v_add_f64_e32 v[0:1], v[2:3], v[0:1]
	s_branch .LBB126_1437
.LBB126_1436:
	s_mov_b32 s0, -1
                                        ; implicit-def: $vgpr0_vgpr1
.LBB126_1437:
	s_wait_loadcnt 0x0
	v_mov_b64_e32 v[2:3], 0
.LBB126_1438:
	s_mov_b32 s21, 0
.LBB126_1439:
	s_delay_alu instid0(SALU_CYCLE_1)
	s_and_b32 vcc_lo, exec_lo, s21
	s_cbranch_vccz .LBB126_1457
; %bb.1440:
	s_cmp_lt_i32 s14, 27
	s_cbranch_scc1 .LBB126_1443
; %bb.1441:
	s_cmp_gt_i32 s14, 27
	s_cbranch_scc0 .LBB126_1444
; %bb.1442:
	s_wait_loadcnt 0x0
	global_load_b32 v0, v[6:7], off
	s_mov_b32 s20, 0
	s_wait_loadcnt 0x0
	v_cvt_f64_u32_e32 v[0:1], v0
	s_branch .LBB126_1445
.LBB126_1443:
	s_mov_b32 s20, -1
                                        ; implicit-def: $vgpr0_vgpr1
	s_branch .LBB126_1448
.LBB126_1444:
	s_mov_b32 s20, -1
                                        ; implicit-def: $vgpr0_vgpr1
.LBB126_1445:
	s_delay_alu instid0(SALU_CYCLE_1)
	s_and_not1_b32 vcc_lo, exec_lo, s20
	s_cbranch_vccnz .LBB126_1447
; %bb.1446:
	s_wait_loadcnt 0x0
	global_load_u16 v0, v[6:7], off
	s_wait_loadcnt 0x0
	v_cvt_f64_u32_e32 v[0:1], v0
.LBB126_1447:
	s_mov_b32 s20, 0
.LBB126_1448:
	s_delay_alu instid0(SALU_CYCLE_1)
	s_and_not1_b32 vcc_lo, exec_lo, s20
	s_cbranch_vccnz .LBB126_1456
; %bb.1449:
	s_wait_loadcnt 0x0
	global_load_u8 v2, v[6:7], off
	s_mov_b32 s20, 0
	s_mov_b32 s21, exec_lo
	s_wait_loadcnt 0x0
	v_cmpx_lt_i16_e32 0x7f, v2
	s_xor_b32 s21, exec_lo, s21
	s_cbranch_execz .LBB126_1469
; %bb.1450:
	s_mov_b32 s20, -1
	s_mov_b32 s22, exec_lo
	v_cmpx_eq_u16_e32 0x80, v2
; %bb.1451:
	s_xor_b32 s20, exec_lo, -1
; %bb.1452:
	s_or_b32 exec_lo, exec_lo, s22
	s_delay_alu instid0(SALU_CYCLE_1)
	s_and_b32 s20, s20, exec_lo
	s_or_saveexec_b32 s21, s21
	v_mov_b64_e32 v[0:1], 0x7ff8000020000000
	s_xor_b32 exec_lo, exec_lo, s21
	s_cbranch_execnz .LBB126_1470
.LBB126_1453:
	s_or_b32 exec_lo, exec_lo, s21
	s_and_saveexec_b32 s21, s20
	s_cbranch_execz .LBB126_1455
.LBB126_1454:
	v_and_b32_e32 v0, 0xffff, v2
	s_delay_alu instid0(VALU_DEP_1) | instskip(SKIP_1) | instid1(VALU_DEP_2)
	v_and_b32_e32 v1, 7, v0
	v_bfe_u32 v9, v0, 3, 4
	v_clz_i32_u32_e32 v3, v1
	s_delay_alu instid0(VALU_DEP_2) | instskip(NEXT) | instid1(VALU_DEP_2)
	v_cmp_eq_u32_e32 vcc_lo, 0, v9
	v_min_u32_e32 v3, 32, v3
	s_delay_alu instid0(VALU_DEP_1) | instskip(NEXT) | instid1(VALU_DEP_1)
	v_subrev_nc_u32_e32 v5, 28, v3
	v_dual_lshlrev_b32 v0, v5, v0 :: v_dual_sub_nc_u32 v3, 29, v3
	s_delay_alu instid0(VALU_DEP_1) | instskip(NEXT) | instid1(VALU_DEP_2)
	v_dual_lshlrev_b32 v2, 24, v2 :: v_dual_bitop2_b32 v0, 7, v0 bitop3:0x40
	v_cndmask_b32_e32 v3, v9, v3, vcc_lo
	s_delay_alu instid0(VALU_DEP_2) | instskip(NEXT) | instid1(VALU_DEP_3)
	v_cndmask_b32_e32 v0, v1, v0, vcc_lo
	v_and_b32_e32 v1, 0x80000000, v2
	s_delay_alu instid0(VALU_DEP_3) | instskip(NEXT) | instid1(VALU_DEP_3)
	v_lshl_add_u32 v2, v3, 23, 0x3b800000
	v_lshlrev_b32_e32 v0, 20, v0
	s_delay_alu instid0(VALU_DEP_1) | instskip(NEXT) | instid1(VALU_DEP_1)
	v_or3_b32 v0, v1, v2, v0
	v_cvt_f64_f32_e32 v[0:1], v0
.LBB126_1455:
	s_or_b32 exec_lo, exec_lo, s21
.LBB126_1456:
	s_wait_loadcnt 0x0
	v_mov_b64_e32 v[2:3], 0
	s_mov_b32 s20, -1
.LBB126_1457:
	s_branch .LBB126_1351
.LBB126_1458:
	s_cmp_gt_i32 s14, 22
	s_cbranch_scc0 .LBB126_1468
; %bb.1459:
	s_cmp_lt_i32 s14, 24
	s_cbranch_scc1 .LBB126_1471
; %bb.1460:
	s_cmp_gt_i32 s14, 24
	s_cbranch_scc0 .LBB126_1472
; %bb.1461:
	s_wait_loadcnt 0x0
	global_load_u8 v2, v[6:7], off
	s_mov_b32 s20, exec_lo
	s_wait_loadcnt 0x0
	v_cmpx_lt_i16_e32 0x7f, v2
	s_xor_b32 s20, exec_lo, s20
	s_cbranch_execz .LBB126_1484
; %bb.1462:
	s_mov_b32 s18, -1
	s_mov_b32 s21, exec_lo
	v_cmpx_eq_u16_e32 0x80, v2
; %bb.1463:
	s_xor_b32 s18, exec_lo, -1
; %bb.1464:
	s_or_b32 exec_lo, exec_lo, s21
	s_delay_alu instid0(SALU_CYCLE_1)
	s_and_b32 s18, s18, exec_lo
	s_or_saveexec_b32 s20, s20
	v_mov_b64_e32 v[0:1], 0x7ff8000020000000
	s_xor_b32 exec_lo, exec_lo, s20
	s_cbranch_execnz .LBB126_1485
.LBB126_1465:
	s_or_b32 exec_lo, exec_lo, s20
	s_and_saveexec_b32 s20, s18
	s_cbranch_execz .LBB126_1467
.LBB126_1466:
	v_and_b32_e32 v0, 0xffff, v2
	s_delay_alu instid0(VALU_DEP_1) | instskip(SKIP_1) | instid1(VALU_DEP_2)
	v_and_b32_e32 v1, 3, v0
	v_bfe_u32 v9, v0, 2, 5
	v_clz_i32_u32_e32 v3, v1
	s_delay_alu instid0(VALU_DEP_2) | instskip(NEXT) | instid1(VALU_DEP_2)
	v_cmp_eq_u32_e32 vcc_lo, 0, v9
	v_min_u32_e32 v3, 32, v3
	s_delay_alu instid0(VALU_DEP_1) | instskip(NEXT) | instid1(VALU_DEP_1)
	v_subrev_nc_u32_e32 v5, 29, v3
	v_dual_lshlrev_b32 v0, v5, v0 :: v_dual_sub_nc_u32 v3, 30, v3
	s_delay_alu instid0(VALU_DEP_1) | instskip(NEXT) | instid1(VALU_DEP_2)
	v_dual_lshlrev_b32 v2, 24, v2 :: v_dual_bitop2_b32 v0, 3, v0 bitop3:0x40
	v_cndmask_b32_e32 v3, v9, v3, vcc_lo
	s_delay_alu instid0(VALU_DEP_2) | instskip(NEXT) | instid1(VALU_DEP_3)
	v_cndmask_b32_e32 v0, v1, v0, vcc_lo
	v_and_b32_e32 v1, 0x80000000, v2
	s_delay_alu instid0(VALU_DEP_3) | instskip(NEXT) | instid1(VALU_DEP_3)
	v_lshl_add_u32 v2, v3, 23, 0x37800000
	v_lshlrev_b32_e32 v0, 21, v0
	s_delay_alu instid0(VALU_DEP_1) | instskip(NEXT) | instid1(VALU_DEP_1)
	v_or3_b32 v0, v1, v2, v0
	v_cvt_f64_f32_e32 v[0:1], v0
.LBB126_1467:
	s_or_b32 exec_lo, exec_lo, s20
	s_mov_b32 s18, 0
	s_branch .LBB126_1473
.LBB126_1468:
	s_mov_b32 s18, -1
                                        ; implicit-def: $vgpr0_vgpr1
	s_branch .LBB126_1479
.LBB126_1469:
	s_or_saveexec_b32 s21, s21
	v_mov_b64_e32 v[0:1], 0x7ff8000020000000
	s_xor_b32 exec_lo, exec_lo, s21
	s_cbranch_execz .LBB126_1453
.LBB126_1470:
	v_cmp_ne_u16_e32 vcc_lo, 0, v2
	v_mov_b64_e32 v[0:1], 0
	s_and_not1_b32 s20, s20, exec_lo
	s_and_b32 s22, vcc_lo, exec_lo
	s_delay_alu instid0(SALU_CYCLE_1)
	s_or_b32 s20, s20, s22
	s_or_b32 exec_lo, exec_lo, s21
	s_and_saveexec_b32 s21, s20
	s_cbranch_execnz .LBB126_1454
	s_branch .LBB126_1455
.LBB126_1471:
	s_mov_b32 s18, -1
                                        ; implicit-def: $vgpr0_vgpr1
	s_branch .LBB126_1476
.LBB126_1472:
	s_mov_b32 s18, -1
                                        ; implicit-def: $vgpr0_vgpr1
.LBB126_1473:
	s_delay_alu instid0(SALU_CYCLE_1)
	s_and_b32 vcc_lo, exec_lo, s18
	s_cbranch_vccz .LBB126_1475
; %bb.1474:
	s_wait_loadcnt 0x0
	global_load_u8 v0, v[6:7], off
	s_wait_loadcnt 0x0
	v_lshlrev_b32_e32 v0, 24, v0
	s_delay_alu instid0(VALU_DEP_1) | instskip(NEXT) | instid1(VALU_DEP_1)
	v_and_b32_e32 v1, 0x7f000000, v0
	v_clz_i32_u32_e32 v2, v1
	v_add_nc_u32_e32 v5, 0x1000000, v1
	v_cmp_ne_u32_e32 vcc_lo, 0, v1
	s_delay_alu instid0(VALU_DEP_3) | instskip(NEXT) | instid1(VALU_DEP_1)
	v_min_u32_e32 v2, 32, v2
	v_sub_nc_u32_e64 v2, v2, 4 clamp
	s_delay_alu instid0(VALU_DEP_1) | instskip(NEXT) | instid1(VALU_DEP_1)
	v_dual_lshlrev_b32 v3, v2, v1 :: v_dual_lshlrev_b32 v2, 23, v2
	v_lshrrev_b32_e32 v3, 4, v3
	s_delay_alu instid0(VALU_DEP_1) | instskip(NEXT) | instid1(VALU_DEP_1)
	v_dual_sub_nc_u32 v2, v3, v2 :: v_dual_ashrrev_i32 v3, 8, v5
	v_add_nc_u32_e32 v2, 0x3c000000, v2
	s_delay_alu instid0(VALU_DEP_1) | instskip(NEXT) | instid1(VALU_DEP_1)
	v_and_or_b32 v2, 0x7f800000, v3, v2
	v_cndmask_b32_e32 v1, 0, v2, vcc_lo
	s_delay_alu instid0(VALU_DEP_1) | instskip(NEXT) | instid1(VALU_DEP_1)
	v_and_or_b32 v0, 0x80000000, v0, v1
	v_cvt_f64_f32_e32 v[0:1], v0
.LBB126_1475:
	s_mov_b32 s18, 0
.LBB126_1476:
	s_delay_alu instid0(SALU_CYCLE_1)
	s_and_not1_b32 vcc_lo, exec_lo, s18
	s_cbranch_vccnz .LBB126_1478
; %bb.1477:
	s_wait_loadcnt 0x0
	global_load_u8 v0, v[6:7], off
	s_wait_loadcnt 0x0
	v_lshlrev_b32_e32 v1, 25, v0
	v_lshlrev_b16 v0, 8, v0
	s_delay_alu instid0(VALU_DEP_1) | instskip(SKIP_1) | instid1(VALU_DEP_2)
	v_and_or_b32 v3, 0x7f00, v0, 0.5
	v_bfe_i32 v0, v0, 0, 16
	v_dual_add_f32 v3, -0.5, v3 :: v_dual_lshrrev_b32 v2, 4, v1
	v_cmp_gt_u32_e32 vcc_lo, 0x8000000, v1
	s_delay_alu instid0(VALU_DEP_2) | instskip(NEXT) | instid1(VALU_DEP_1)
	v_or_b32_e32 v2, 0x70000000, v2
	v_mul_f32_e32 v2, 0x7800000, v2
	s_delay_alu instid0(VALU_DEP_1) | instskip(NEXT) | instid1(VALU_DEP_1)
	v_cndmask_b32_e32 v1, v2, v3, vcc_lo
	v_and_or_b32 v0, 0x80000000, v0, v1
	s_delay_alu instid0(VALU_DEP_1)
	v_cvt_f64_f32_e32 v[0:1], v0
.LBB126_1478:
	s_mov_b32 s18, 0
	s_mov_b32 s20, -1
.LBB126_1479:
	s_and_not1_b32 vcc_lo, exec_lo, s18
	s_mov_b32 s18, 0
	s_cbranch_vccnz .LBB126_1490
; %bb.1480:
	s_cmp_gt_i32 s14, 14
	s_cbranch_scc0 .LBB126_1483
; %bb.1481:
	s_cmp_eq_u32 s14, 15
	s_cbranch_scc0 .LBB126_1486
; %bb.1482:
	s_wait_loadcnt 0x0
	global_load_u16 v0, v[6:7], off
	s_mov_b32 s0, 0
	s_mov_b32 s20, -1
	s_wait_loadcnt 0x0
	v_lshlrev_b32_e32 v0, 16, v0
	s_delay_alu instid0(VALU_DEP_1)
	v_cvt_f64_f32_e32 v[0:1], v0
	s_branch .LBB126_1488
.LBB126_1483:
	s_mov_b32 s18, -1
	s_branch .LBB126_1487
.LBB126_1484:
	s_or_saveexec_b32 s20, s20
	v_mov_b64_e32 v[0:1], 0x7ff8000020000000
	s_xor_b32 exec_lo, exec_lo, s20
	s_cbranch_execz .LBB126_1465
.LBB126_1485:
	v_cmp_ne_u16_e32 vcc_lo, 0, v2
	v_mov_b64_e32 v[0:1], 0
	s_and_not1_b32 s18, s18, exec_lo
	s_and_b32 s21, vcc_lo, exec_lo
	s_delay_alu instid0(SALU_CYCLE_1)
	s_or_b32 s18, s18, s21
	s_or_b32 exec_lo, exec_lo, s20
	s_and_saveexec_b32 s20, s18
	s_cbranch_execnz .LBB126_1466
	s_branch .LBB126_1467
.LBB126_1486:
	s_mov_b32 s0, -1
.LBB126_1487:
                                        ; implicit-def: $vgpr0_vgpr1
.LBB126_1488:
	s_and_b32 vcc_lo, exec_lo, s18
	s_mov_b32 s18, 0
	s_cbranch_vccz .LBB126_1490
; %bb.1489:
	s_cmp_lg_u32 s14, 11
	s_mov_b32 s18, -1
	s_cselect_b32 s0, -1, 0
.LBB126_1490:
	s_wait_loadcnt 0x0
	v_mov_b64_e32 v[2:3], 0
	s_and_b32 vcc_lo, exec_lo, s0
	s_cbranch_vccz .LBB126_1352
.LBB126_1491:
	s_or_b32 s1, s1, exec_lo
	s_trap 2
	s_cbranch_execz .LBB126_1353
	s_branch .LBB126_1354
.LBB126_1492:
	s_mov_b32 s0, -1
	s_mov_b32 s7, 0
.LBB126_1493:
                                        ; implicit-def: $vgpr2_vgpr3
.LBB126_1494:
	s_and_b32 vcc_lo, exec_lo, s19
	s_cbranch_vccz .LBB126_1499
; %bb.1495:
	s_cmp_eq_u32 s14, 44
	s_cbranch_scc0 .LBB126_1497
; %bb.1496:
	global_load_u8 v2, v[4:5], off
	s_mov_b32 s0, 0
	s_mov_b32 s7, -1
	s_wait_loadcnt 0x0
	v_cmp_ne_u32_e32 vcc_lo, 0xff, v2
	v_lshlrev_b32_e32 v0, 23, v2
	s_delay_alu instid0(VALU_DEP_1) | instskip(NEXT) | instid1(VALU_DEP_1)
	v_cvt_f64_f32_e32 v[0:1], v0
	v_cndmask_b32_e32 v0, 0x20000000, v0, vcc_lo
	s_delay_alu instid0(VALU_DEP_2) | instskip(SKIP_1) | instid1(VALU_DEP_2)
	v_cndmask_b32_e32 v1, 0x7ff80000, v1, vcc_lo
	v_cmp_ne_u32_e32 vcc_lo, 0, v2
	v_cndmask_b32_e32 v1, 0x38000000, v1, vcc_lo
	s_delay_alu instid0(VALU_DEP_4)
	v_cndmask_b32_e32 v0, 0, v0, vcc_lo
	s_branch .LBB126_1498
.LBB126_1497:
	s_mov_b32 s0, -1
                                        ; implicit-def: $vgpr0_vgpr1
.LBB126_1498:
	v_mov_b64_e32 v[2:3], 0
.LBB126_1499:
	s_mov_b32 s19, 0
.LBB126_1500:
	s_delay_alu instid0(SALU_CYCLE_1)
	s_and_b32 vcc_lo, exec_lo, s19
	s_cbranch_vccz .LBB126_1505
; %bb.1501:
	s_cmp_eq_u32 s14, 29
	s_cbranch_scc0 .LBB126_1503
; %bb.1502:
	global_load_b64 v[0:1], v[4:5], off
	s_mov_b32 s0, 0
	s_mov_b32 s7, -1
	s_wait_loadcnt 0x0
	v_cvt_f64_u32_e32 v[2:3], v1
	v_cvt_f64_u32_e32 v[0:1], v0
	s_delay_alu instid0(VALU_DEP_2) | instskip(NEXT) | instid1(VALU_DEP_1)
	v_ldexp_f64 v[2:3], v[2:3], 32
	v_add_f64_e32 v[0:1], v[2:3], v[0:1]
	s_branch .LBB126_1504
.LBB126_1503:
	s_mov_b32 s0, -1
                                        ; implicit-def: $vgpr0_vgpr1
.LBB126_1504:
	v_mov_b64_e32 v[2:3], 0
.LBB126_1505:
	s_mov_b32 s19, 0
.LBB126_1506:
	s_delay_alu instid0(SALU_CYCLE_1)
	s_and_b32 vcc_lo, exec_lo, s19
	s_cbranch_vccz .LBB126_1524
; %bb.1507:
	s_cmp_lt_i32 s14, 27
	s_cbranch_scc1 .LBB126_1510
; %bb.1508:
	s_cmp_gt_i32 s14, 27
	s_cbranch_scc0 .LBB126_1511
; %bb.1509:
	global_load_b32 v0, v[4:5], off
	s_mov_b32 s7, 0
	s_wait_loadcnt 0x0
	v_cvt_f64_u32_e32 v[0:1], v0
	s_branch .LBB126_1512
.LBB126_1510:
	s_mov_b32 s7, -1
                                        ; implicit-def: $vgpr0_vgpr1
	s_branch .LBB126_1515
.LBB126_1511:
	s_mov_b32 s7, -1
                                        ; implicit-def: $vgpr0_vgpr1
.LBB126_1512:
	s_delay_alu instid0(SALU_CYCLE_1)
	s_and_not1_b32 vcc_lo, exec_lo, s7
	s_cbranch_vccnz .LBB126_1514
; %bb.1513:
	global_load_u16 v0, v[4:5], off
	s_wait_loadcnt 0x0
	v_cvt_f64_u32_e32 v[0:1], v0
.LBB126_1514:
	s_mov_b32 s7, 0
.LBB126_1515:
	s_delay_alu instid0(SALU_CYCLE_1)
	s_and_not1_b32 vcc_lo, exec_lo, s7
	s_cbranch_vccnz .LBB126_1523
; %bb.1516:
	global_load_u8 v2, v[4:5], off
	s_mov_b32 s7, 0
	s_mov_b32 s19, exec_lo
	s_wait_loadcnt 0x0
	v_cmpx_lt_i16_e32 0x7f, v2
	s_xor_b32 s19, exec_lo, s19
	s_cbranch_execz .LBB126_1549
; %bb.1517:
	s_mov_b32 s7, -1
	s_mov_b32 s20, exec_lo
	v_cmpx_eq_u16_e32 0x80, v2
; %bb.1518:
	s_xor_b32 s7, exec_lo, -1
; %bb.1519:
	s_or_b32 exec_lo, exec_lo, s20
	s_delay_alu instid0(SALU_CYCLE_1)
	s_and_b32 s7, s7, exec_lo
	s_or_saveexec_b32 s19, s19
	v_mov_b64_e32 v[0:1], 0x7ff8000020000000
	s_xor_b32 exec_lo, exec_lo, s19
	s_cbranch_execnz .LBB126_1550
.LBB126_1520:
	s_or_b32 exec_lo, exec_lo, s19
	s_and_saveexec_b32 s19, s7
	s_cbranch_execz .LBB126_1522
.LBB126_1521:
	v_and_b32_e32 v0, 0xffff, v2
	s_delay_alu instid0(VALU_DEP_1) | instskip(SKIP_1) | instid1(VALU_DEP_2)
	v_and_b32_e32 v1, 7, v0
	v_bfe_u32 v7, v0, 3, 4
	v_clz_i32_u32_e32 v3, v1
	s_delay_alu instid0(VALU_DEP_2) | instskip(NEXT) | instid1(VALU_DEP_2)
	v_cmp_eq_u32_e32 vcc_lo, 0, v7
	v_min_u32_e32 v3, 32, v3
	s_delay_alu instid0(VALU_DEP_1) | instskip(NEXT) | instid1(VALU_DEP_1)
	v_subrev_nc_u32_e32 v6, 28, v3
	v_dual_lshlrev_b32 v0, v6, v0 :: v_dual_sub_nc_u32 v3, 29, v3
	s_delay_alu instid0(VALU_DEP_1) | instskip(NEXT) | instid1(VALU_DEP_1)
	v_dual_lshlrev_b32 v2, 24, v2 :: v_dual_bitop2_b32 v0, 7, v0 bitop3:0x40
	v_dual_cndmask_b32 v3, v7, v3 :: v_dual_cndmask_b32 v0, v1, v0
	s_delay_alu instid0(VALU_DEP_2) | instskip(NEXT) | instid1(VALU_DEP_2)
	v_and_b32_e32 v1, 0x80000000, v2
	v_lshl_add_u32 v2, v3, 23, 0x3b800000
	s_delay_alu instid0(VALU_DEP_3) | instskip(NEXT) | instid1(VALU_DEP_1)
	v_lshlrev_b32_e32 v0, 20, v0
	v_or3_b32 v0, v1, v2, v0
	s_delay_alu instid0(VALU_DEP_1)
	v_cvt_f64_f32_e32 v[0:1], v0
.LBB126_1522:
	s_or_b32 exec_lo, exec_lo, s19
.LBB126_1523:
	v_mov_b64_e32 v[2:3], 0
	s_mov_b32 s7, -1
.LBB126_1524:
	s_mov_b32 s19, 0
.LBB126_1525:
	s_delay_alu instid0(SALU_CYCLE_1)
	s_and_b32 vcc_lo, exec_lo, s19
	s_cbranch_vccz .LBB126_1536
; %bb.1526:
	s_cmp_gt_i32 s14, 22
	s_cbranch_scc0 .LBB126_1547
; %bb.1527:
	s_cmp_lt_i32 s14, 24
	s_cbranch_scc1 .LBB126_1551
; %bb.1528:
	s_cmp_gt_i32 s14, 24
	s_cbranch_scc0 .LBB126_1553
; %bb.1529:
	global_load_u8 v2, v[4:5], off
	s_mov_b32 s7, exec_lo
	s_wait_loadcnt 0x0
	v_cmpx_lt_i16_e32 0x7f, v2
	s_xor_b32 s7, exec_lo, s7
	s_cbranch_execz .LBB126_1565
; %bb.1530:
	s_mov_b32 s6, -1
	s_mov_b32 s19, exec_lo
	v_cmpx_eq_u16_e32 0x80, v2
; %bb.1531:
	s_xor_b32 s6, exec_lo, -1
; %bb.1532:
	s_or_b32 exec_lo, exec_lo, s19
	s_delay_alu instid0(SALU_CYCLE_1)
	s_and_b32 s6, s6, exec_lo
	s_or_saveexec_b32 s7, s7
	v_mov_b64_e32 v[0:1], 0x7ff8000020000000
	s_xor_b32 exec_lo, exec_lo, s7
	s_cbranch_execnz .LBB126_1566
.LBB126_1533:
	s_or_b32 exec_lo, exec_lo, s7
	s_and_saveexec_b32 s7, s6
	s_cbranch_execz .LBB126_1535
.LBB126_1534:
	v_and_b32_e32 v0, 0xffff, v2
	s_delay_alu instid0(VALU_DEP_1) | instskip(SKIP_1) | instid1(VALU_DEP_2)
	v_and_b32_e32 v1, 3, v0
	v_bfe_u32 v7, v0, 2, 5
	v_clz_i32_u32_e32 v3, v1
	s_delay_alu instid0(VALU_DEP_2) | instskip(NEXT) | instid1(VALU_DEP_2)
	v_cmp_eq_u32_e32 vcc_lo, 0, v7
	v_min_u32_e32 v3, 32, v3
	s_delay_alu instid0(VALU_DEP_1) | instskip(NEXT) | instid1(VALU_DEP_1)
	v_subrev_nc_u32_e32 v6, 29, v3
	v_dual_lshlrev_b32 v0, v6, v0 :: v_dual_sub_nc_u32 v3, 30, v3
	s_delay_alu instid0(VALU_DEP_1) | instskip(NEXT) | instid1(VALU_DEP_1)
	v_dual_lshlrev_b32 v2, 24, v2 :: v_dual_bitop2_b32 v0, 3, v0 bitop3:0x40
	v_dual_cndmask_b32 v3, v7, v3 :: v_dual_cndmask_b32 v0, v1, v0
	s_delay_alu instid0(VALU_DEP_2) | instskip(NEXT) | instid1(VALU_DEP_2)
	v_and_b32_e32 v1, 0x80000000, v2
	v_lshl_add_u32 v2, v3, 23, 0x37800000
	s_delay_alu instid0(VALU_DEP_3) | instskip(NEXT) | instid1(VALU_DEP_1)
	v_lshlrev_b32_e32 v0, 21, v0
	v_or3_b32 v0, v1, v2, v0
	s_delay_alu instid0(VALU_DEP_1)
	v_cvt_f64_f32_e32 v[0:1], v0
.LBB126_1535:
	s_or_b32 exec_lo, exec_lo, s7
	s_mov_b32 s6, 0
	s_branch .LBB126_1554
.LBB126_1536:
	s_and_b32 vcc_lo, exec_lo, s0
	s_cbranch_vccnz .LBB126_1584
.LBB126_1537:
	s_and_not1_b32 vcc_lo, exec_lo, s6
	s_cbranch_vccnz .LBB126_1539
.LBB126_1538:
	global_load_u8 v0, v[4:5], off
	v_mov_b64_e32 v[2:3], 0
	s_mov_b32 s7, -1
	s_wait_loadcnt 0x0
	v_cmp_ne_u16_e32 vcc_lo, 0, v0
	v_mov_b32_e32 v0, 0
	v_cndmask_b32_e64 v1, 0, 0x3ff00000, vcc_lo
.LBB126_1539:
	s_mov_b32 s0, 0
.LBB126_1540:
	s_delay_alu instid0(SALU_CYCLE_1)
	s_and_b32 vcc_lo, exec_lo, s0
	s_cbranch_vccz .LBB126_1615
; %bb.1541:
	s_cmp_lt_i32 s14, 5
	s_cbranch_scc1 .LBB126_1546
; %bb.1542:
	s_cmp_lt_i32 s14, 8
	s_cbranch_scc1 .LBB126_1548
; %bb.1543:
	s_cmp_lt_i32 s14, 9
	s_cbranch_scc1 .LBB126_1552
; %bb.1544:
	s_cmp_gt_i32 s14, 9
	s_cbranch_scc0 .LBB126_1567
; %bb.1545:
	global_load_b128 v[0:3], v[4:5], off
	s_mov_b32 s0, 0
	s_branch .LBB126_1568
.LBB126_1546:
	s_mov_b32 s0, -1
                                        ; implicit-def: $vgpr2_vgpr3
	s_branch .LBB126_1593
.LBB126_1547:
	s_mov_b32 s6, -1
                                        ; implicit-def: $vgpr0_vgpr1
	s_branch .LBB126_1560
.LBB126_1548:
	s_mov_b32 s0, -1
                                        ; implicit-def: $vgpr2_vgpr3
	s_branch .LBB126_1574
.LBB126_1549:
	s_or_saveexec_b32 s19, s19
	v_mov_b64_e32 v[0:1], 0x7ff8000020000000
	s_xor_b32 exec_lo, exec_lo, s19
	s_cbranch_execz .LBB126_1520
.LBB126_1550:
	v_cmp_ne_u16_e32 vcc_lo, 0, v2
	v_mov_b64_e32 v[0:1], 0
	s_and_not1_b32 s7, s7, exec_lo
	s_and_b32 s20, vcc_lo, exec_lo
	s_delay_alu instid0(SALU_CYCLE_1)
	s_or_b32 s7, s7, s20
	s_or_b32 exec_lo, exec_lo, s19
	s_and_saveexec_b32 s19, s7
	s_cbranch_execnz .LBB126_1521
	s_branch .LBB126_1522
.LBB126_1551:
	s_mov_b32 s6, -1
                                        ; implicit-def: $vgpr0_vgpr1
	s_branch .LBB126_1557
.LBB126_1552:
	s_mov_b32 s0, -1
                                        ; implicit-def: $vgpr2_vgpr3
	s_branch .LBB126_1571
.LBB126_1553:
	s_mov_b32 s6, -1
                                        ; implicit-def: $vgpr0_vgpr1
.LBB126_1554:
	s_delay_alu instid0(SALU_CYCLE_1)
	s_and_b32 vcc_lo, exec_lo, s6
	s_cbranch_vccz .LBB126_1556
; %bb.1555:
	global_load_u8 v0, v[4:5], off
	s_wait_loadcnt 0x0
	v_lshlrev_b32_e32 v0, 24, v0
	s_delay_alu instid0(VALU_DEP_1) | instskip(NEXT) | instid1(VALU_DEP_1)
	v_and_b32_e32 v1, 0x7f000000, v0
	v_clz_i32_u32_e32 v2, v1
	v_cmp_ne_u32_e32 vcc_lo, 0, v1
	s_wait_xcnt 0x1
	v_add_nc_u32_e32 v6, 0x1000000, v1
	s_delay_alu instid0(VALU_DEP_3) | instskip(NEXT) | instid1(VALU_DEP_1)
	v_min_u32_e32 v2, 32, v2
	v_sub_nc_u32_e64 v2, v2, 4 clamp
	s_delay_alu instid0(VALU_DEP_1) | instskip(NEXT) | instid1(VALU_DEP_1)
	v_dual_lshlrev_b32 v3, v2, v1 :: v_dual_lshlrev_b32 v2, 23, v2
	v_lshrrev_b32_e32 v3, 4, v3
	s_delay_alu instid0(VALU_DEP_1) | instskip(SKIP_1) | instid1(VALU_DEP_2)
	v_sub_nc_u32_e32 v2, v3, v2
	v_ashrrev_i32_e32 v3, 8, v6
	v_add_nc_u32_e32 v2, 0x3c000000, v2
	s_delay_alu instid0(VALU_DEP_1) | instskip(NEXT) | instid1(VALU_DEP_1)
	v_and_or_b32 v2, 0x7f800000, v3, v2
	v_cndmask_b32_e32 v1, 0, v2, vcc_lo
	s_delay_alu instid0(VALU_DEP_1) | instskip(NEXT) | instid1(VALU_DEP_1)
	v_and_or_b32 v0, 0x80000000, v0, v1
	v_cvt_f64_f32_e32 v[0:1], v0
.LBB126_1556:
	s_mov_b32 s6, 0
.LBB126_1557:
	s_delay_alu instid0(SALU_CYCLE_1)
	s_and_not1_b32 vcc_lo, exec_lo, s6
	s_cbranch_vccnz .LBB126_1559
; %bb.1558:
	global_load_u8 v0, v[4:5], off
	s_wait_loadcnt 0x0
	v_lshlrev_b32_e32 v1, 25, v0
	v_lshlrev_b16 v0, 8, v0
	s_delay_alu instid0(VALU_DEP_1) | instskip(SKIP_1) | instid1(VALU_DEP_2)
	v_and_or_b32 v3, 0x7f00, v0, 0.5
	v_bfe_i32 v0, v0, 0, 16
	v_dual_add_f32 v3, -0.5, v3 :: v_dual_lshrrev_b32 v2, 4, v1
	v_cmp_gt_u32_e32 vcc_lo, 0x8000000, v1
	s_delay_alu instid0(VALU_DEP_2) | instskip(NEXT) | instid1(VALU_DEP_1)
	v_or_b32_e32 v2, 0x70000000, v2
	v_mul_f32_e32 v2, 0x7800000, v2
	s_delay_alu instid0(VALU_DEP_1) | instskip(NEXT) | instid1(VALU_DEP_1)
	v_cndmask_b32_e32 v1, v2, v3, vcc_lo
	v_and_or_b32 v0, 0x80000000, v0, v1
	s_delay_alu instid0(VALU_DEP_1)
	v_cvt_f64_f32_e32 v[0:1], v0
.LBB126_1559:
	s_mov_b32 s6, 0
	s_mov_b32 s7, -1
.LBB126_1560:
	s_and_not1_b32 vcc_lo, exec_lo, s6
	s_mov_b32 s6, 0
	s_cbranch_vccnz .LBB126_1583
; %bb.1561:
	s_cmp_gt_i32 s14, 14
	s_cbranch_scc0 .LBB126_1564
; %bb.1562:
	s_cmp_eq_u32 s14, 15
	s_cbranch_scc0 .LBB126_1579
; %bb.1563:
	global_load_u16 v0, v[4:5], off
	s_mov_b32 s0, 0
	s_mov_b32 s7, -1
	s_wait_loadcnt 0x0
	v_lshlrev_b32_e32 v0, 16, v0
	s_delay_alu instid0(VALU_DEP_1)
	v_cvt_f64_f32_e32 v[0:1], v0
	s_branch .LBB126_1581
.LBB126_1564:
	s_mov_b32 s6, -1
	s_branch .LBB126_1580
.LBB126_1565:
	s_or_saveexec_b32 s7, s7
	v_mov_b64_e32 v[0:1], 0x7ff8000020000000
	s_xor_b32 exec_lo, exec_lo, s7
	s_cbranch_execz .LBB126_1533
.LBB126_1566:
	v_cmp_ne_u16_e32 vcc_lo, 0, v2
	v_mov_b64_e32 v[0:1], 0
	s_and_not1_b32 s6, s6, exec_lo
	s_and_b32 s19, vcc_lo, exec_lo
	s_delay_alu instid0(SALU_CYCLE_1)
	s_or_b32 s6, s6, s19
	s_or_b32 exec_lo, exec_lo, s7
	s_and_saveexec_b32 s7, s6
	s_cbranch_execnz .LBB126_1534
	s_branch .LBB126_1535
.LBB126_1567:
	s_mov_b32 s0, -1
                                        ; implicit-def: $vgpr2_vgpr3
.LBB126_1568:
	s_delay_alu instid0(SALU_CYCLE_1)
	s_and_not1_b32 vcc_lo, exec_lo, s0
	s_cbranch_vccnz .LBB126_1570
; %bb.1569:
	s_wait_loadcnt 0x0
	global_load_b64 v[2:3], v[4:5], off
	s_wait_loadcnt 0x0
	v_cvt_f64_f32_e32 v[0:1], v2
	v_cvt_f64_f32_e32 v[2:3], v3
.LBB126_1570:
	s_mov_b32 s0, 0
.LBB126_1571:
	s_delay_alu instid0(SALU_CYCLE_1)
	s_and_not1_b32 vcc_lo, exec_lo, s0
	s_cbranch_vccnz .LBB126_1573
; %bb.1572:
	s_wait_loadcnt 0x0
	global_load_b32 v0, v[4:5], off
	s_wait_loadcnt 0x0
	v_lshrrev_b32_e32 v1, 16, v0
	v_cvt_f32_f16_e32 v0, v0
	s_delay_alu instid0(VALU_DEP_2) | instskip(NEXT) | instid1(VALU_DEP_2)
	v_cvt_f32_f16_e32 v2, v1
	v_cvt_f64_f32_e32 v[0:1], v0
	s_delay_alu instid0(VALU_DEP_2)
	v_cvt_f64_f32_e32 v[2:3], v2
.LBB126_1573:
	s_mov_b32 s0, 0
.LBB126_1574:
	s_delay_alu instid0(SALU_CYCLE_1)
	s_and_not1_b32 vcc_lo, exec_lo, s0
	s_cbranch_vccnz .LBB126_1592
; %bb.1575:
	s_cmp_lt_i32 s14, 6
	s_cbranch_scc1 .LBB126_1578
; %bb.1576:
	s_cmp_gt_i32 s14, 6
	s_cbranch_scc0 .LBB126_1585
; %bb.1577:
	s_wait_loadcnt 0x0
	global_load_b64 v[0:1], v[4:5], off
	s_mov_b32 s0, 0
	s_branch .LBB126_1586
.LBB126_1578:
	s_mov_b32 s0, -1
                                        ; implicit-def: $vgpr0_vgpr1
	s_branch .LBB126_1589
.LBB126_1579:
	s_mov_b32 s0, -1
.LBB126_1580:
                                        ; implicit-def: $vgpr0_vgpr1
.LBB126_1581:
	s_and_b32 vcc_lo, exec_lo, s6
	s_mov_b32 s6, 0
	s_cbranch_vccz .LBB126_1583
; %bb.1582:
	s_cmp_lg_u32 s14, 11
	s_mov_b32 s6, -1
	s_cselect_b32 s0, -1, 0
.LBB126_1583:
	v_mov_b64_e32 v[2:3], 0
	s_and_b32 vcc_lo, exec_lo, s0
	s_cbranch_vccz .LBB126_1537
.LBB126_1584:
	s_or_b32 s1, s1, exec_lo
	s_trap 2
	s_cbranch_execz .LBB126_1538
	s_branch .LBB126_1539
.LBB126_1585:
	s_mov_b32 s0, -1
                                        ; implicit-def: $vgpr0_vgpr1
.LBB126_1586:
	s_delay_alu instid0(SALU_CYCLE_1)
	s_and_not1_b32 vcc_lo, exec_lo, s0
	s_cbranch_vccnz .LBB126_1588
; %bb.1587:
	s_wait_loadcnt 0x0
	global_load_b32 v0, v[4:5], off
	s_wait_loadcnt 0x0
	v_cvt_f64_f32_e32 v[0:1], v0
.LBB126_1588:
	s_mov_b32 s0, 0
.LBB126_1589:
	s_delay_alu instid0(SALU_CYCLE_1)
	s_and_not1_b32 vcc_lo, exec_lo, s0
	s_cbranch_vccnz .LBB126_1591
; %bb.1590:
	s_wait_loadcnt 0x0
	global_load_u16 v0, v[4:5], off
	s_wait_loadcnt 0x0
	v_cvt_f32_f16_e32 v0, v0
	s_delay_alu instid0(VALU_DEP_1)
	v_cvt_f64_f32_e32 v[0:1], v0
.LBB126_1591:
	s_wait_loadcnt 0x0
	v_mov_b64_e32 v[2:3], 0
.LBB126_1592:
	s_mov_b32 s0, 0
.LBB126_1593:
	s_delay_alu instid0(SALU_CYCLE_1)
	s_and_not1_b32 vcc_lo, exec_lo, s0
	s_cbranch_vccnz .LBB126_1614
; %bb.1594:
	s_cmp_lt_i32 s14, 2
	s_cbranch_scc1 .LBB126_1598
; %bb.1595:
	s_cmp_lt_i32 s14, 3
	s_cbranch_scc1 .LBB126_1599
; %bb.1596:
	s_cmp_gt_i32 s14, 3
	s_cbranch_scc0 .LBB126_1600
; %bb.1597:
	s_wait_loadcnt 0x0
	global_load_b64 v[0:1], v[4:5], off
	s_mov_b32 s0, 0
	s_wait_loadcnt 0x0
	v_cvt_f64_i32_e32 v[2:3], v1
	v_cvt_f64_u32_e32 v[0:1], v0
	s_delay_alu instid0(VALU_DEP_2) | instskip(NEXT) | instid1(VALU_DEP_1)
	v_ldexp_f64 v[2:3], v[2:3], 32
	v_add_f64_e32 v[0:1], v[2:3], v[0:1]
	s_branch .LBB126_1601
.LBB126_1598:
	s_mov_b32 s0, -1
                                        ; implicit-def: $vgpr0_vgpr1
	s_branch .LBB126_1607
.LBB126_1599:
	s_mov_b32 s0, -1
                                        ; implicit-def: $vgpr0_vgpr1
	s_branch .LBB126_1604
.LBB126_1600:
	s_mov_b32 s0, -1
                                        ; implicit-def: $vgpr0_vgpr1
.LBB126_1601:
	s_delay_alu instid0(SALU_CYCLE_1)
	s_and_not1_b32 vcc_lo, exec_lo, s0
	s_cbranch_vccnz .LBB126_1603
; %bb.1602:
	s_wait_loadcnt 0x0
	global_load_b32 v0, v[4:5], off
	s_wait_loadcnt 0x0
	v_cvt_f64_i32_e32 v[0:1], v0
.LBB126_1603:
	s_mov_b32 s0, 0
.LBB126_1604:
	s_delay_alu instid0(SALU_CYCLE_1)
	s_and_not1_b32 vcc_lo, exec_lo, s0
	s_cbranch_vccnz .LBB126_1606
; %bb.1605:
	s_wait_loadcnt 0x0
	global_load_i16 v0, v[4:5], off
	s_wait_loadcnt 0x0
	v_cvt_f64_i32_e32 v[0:1], v0
.LBB126_1606:
	s_mov_b32 s0, 0
.LBB126_1607:
	s_delay_alu instid0(SALU_CYCLE_1)
	s_and_not1_b32 vcc_lo, exec_lo, s0
	s_cbranch_vccnz .LBB126_1613
; %bb.1608:
	s_cmp_gt_i32 s14, 0
	s_mov_b32 s0, 0
	s_cbranch_scc0 .LBB126_1610
; %bb.1609:
	s_wait_loadcnt 0x0
	global_load_i8 v0, v[4:5], off
	s_wait_loadcnt 0x0
	v_cvt_f64_i32_e32 v[0:1], v0
	s_branch .LBB126_1611
.LBB126_1610:
	s_mov_b32 s0, -1
                                        ; implicit-def: $vgpr0_vgpr1
.LBB126_1611:
	s_delay_alu instid0(SALU_CYCLE_1)
	s_and_not1_b32 vcc_lo, exec_lo, s0
	s_cbranch_vccnz .LBB126_1613
; %bb.1612:
	s_wait_loadcnt 0x0
	global_load_u8 v0, v[4:5], off
	s_wait_loadcnt 0x0
	v_cvt_f64_u32_e32 v[0:1], v0
.LBB126_1613:
	s_wait_loadcnt 0x0
	v_mov_b64_e32 v[2:3], 0
.LBB126_1614:
	s_mov_b32 s7, -1
.LBB126_1615:
	s_delay_alu instid0(SALU_CYCLE_1)
	s_and_not1_b32 vcc_lo, exec_lo, s7
	s_cbranch_vccnz .LBB126_1618
; %bb.1616:
	s_and_b32 vcc_lo, exec_lo, s17
	s_cbranch_vccz .LBB126_1664
; %bb.1617:
	s_wait_loadcnt 0x0
	s_delay_alu instid0(VALU_DEP_1) | instskip(NEXT) | instid1(VALU_DEP_2)
	v_cmp_neq_f64_e32 vcc_lo, s[8:9], v[0:1]
	v_cmp_neq_f64_e64 s0, s[10:11], v[2:3]
	s_or_b32 s17, vcc_lo, s0
	s_mov_b32 s0, 0
	s_branch .LBB126_1665
.LBB126_1618:
	s_mov_b32 s0, 0
	s_mov_b32 s3, 0
                                        ; implicit-def: $sgpr17
.LBB126_1619:
                                        ; implicit-def: $sgpr19
                                        ; implicit-def: $vgpr0_vgpr1
.LBB126_1620:
	s_and_not1_b32 s2, s16, exec_lo
	s_and_b32 s4, s1, exec_lo
	s_and_b32 s0, s0, exec_lo
	;; [unrolled: 1-line block ×3, first 2 shown]
	s_or_b32 s16, s2, s4
.LBB126_1621:
	s_wait_xcnt 0x0
	s_or_b32 exec_lo, exec_lo, s15
	s_and_saveexec_b32 s2, s16
	s_cbranch_execz .LBB126_1624
; %bb.1622:
	; divergent unreachable
	s_or_b32 exec_lo, exec_lo, s2
	s_and_saveexec_b32 s2, s1
	s_delay_alu instid0(SALU_CYCLE_1)
	s_xor_b32 s1, exec_lo, s2
	s_cbranch_execnz .LBB126_1625
.LBB126_1623:
	s_or_b32 exec_lo, exec_lo, s1
	s_and_saveexec_b32 s1, s0
	s_cbranch_execnz .LBB126_1626
	s_branch .LBB126_1663
.LBB126_1624:
	s_or_b32 exec_lo, exec_lo, s2
	s_and_saveexec_b32 s2, s1
	s_delay_alu instid0(SALU_CYCLE_1)
	s_xor_b32 s1, exec_lo, s2
	s_cbranch_execz .LBB126_1623
.LBB126_1625:
	s_wait_loadcnt 0x0
	v_cndmask_b32_e64 v2, 0, 1, s17
	global_store_b8 v[0:1], v2, off
	s_wait_xcnt 0x0
	s_or_b32 exec_lo, exec_lo, s1
	s_and_saveexec_b32 s1, s0
	s_cbranch_execz .LBB126_1663
.LBB126_1626:
	s_sext_i32_i16 s1, s19
	s_mov_b32 s0, -1
	s_cmp_lt_i32 s1, 5
	s_cbranch_scc1 .LBB126_1647
; %bb.1627:
	s_cmp_lt_i32 s1, 8
	s_cbranch_scc1 .LBB126_1637
; %bb.1628:
	;; [unrolled: 3-line block ×3, first 2 shown]
	s_cmp_gt_i32 s1, 9
	s_cbranch_scc0 .LBB126_1631
; %bb.1630:
	s_wait_loadcnt 0x0
	v_cndmask_b32_e64 v2, 0, 1, s17
	v_mov_b32_e32 v4, 0
	s_mov_b32 s0, 0
	s_delay_alu instid0(VALU_DEP_2) | instskip(NEXT) | instid1(VALU_DEP_2)
	v_cvt_f64_u32_e32 v[2:3], v2
	v_mov_b32_e32 v5, v4
	global_store_b128 v[0:1], v[2:5], off
.LBB126_1631:
	s_and_not1_b32 vcc_lo, exec_lo, s0
	s_cbranch_vccnz .LBB126_1633
; %bb.1632:
	s_wait_loadcnt 0x0
	v_cndmask_b32_e64 v2, 0, 1.0, s17
	v_mov_b32_e32 v3, 0
	global_store_b64 v[0:1], v[2:3], off
.LBB126_1633:
	s_mov_b32 s0, 0
.LBB126_1634:
	s_delay_alu instid0(SALU_CYCLE_1)
	s_and_not1_b32 vcc_lo, exec_lo, s0
	s_cbranch_vccnz .LBB126_1636
; %bb.1635:
	s_wait_loadcnt 0x0
	v_cndmask_b32_e64 v2, 0, 1.0, s17
	s_delay_alu instid0(VALU_DEP_1) | instskip(NEXT) | instid1(VALU_DEP_1)
	v_cvt_f16_f32_e32 v2, v2
	v_and_b32_e32 v2, 0xffff, v2
	global_store_b32 v[0:1], v2, off
.LBB126_1636:
	s_mov_b32 s0, 0
.LBB126_1637:
	s_delay_alu instid0(SALU_CYCLE_1)
	s_and_not1_b32 vcc_lo, exec_lo, s0
	s_cbranch_vccnz .LBB126_1646
; %bb.1638:
	s_sext_i32_i16 s1, s19
	s_mov_b32 s0, -1
	s_cmp_lt_i32 s1, 6
	s_cbranch_scc1 .LBB126_1644
; %bb.1639:
	s_cmp_gt_i32 s1, 6
	s_cbranch_scc0 .LBB126_1641
; %bb.1640:
	s_wait_loadcnt 0x0
	v_cndmask_b32_e64 v2, 0, 1, s17
	s_mov_b32 s0, 0
	s_delay_alu instid0(VALU_DEP_1)
	v_cvt_f64_u32_e32 v[2:3], v2
	global_store_b64 v[0:1], v[2:3], off
.LBB126_1641:
	s_and_not1_b32 vcc_lo, exec_lo, s0
	s_cbranch_vccnz .LBB126_1643
; %bb.1642:
	s_wait_loadcnt 0x0
	v_cndmask_b32_e64 v2, 0, 1.0, s17
	global_store_b32 v[0:1], v2, off
.LBB126_1643:
	s_mov_b32 s0, 0
.LBB126_1644:
	s_delay_alu instid0(SALU_CYCLE_1)
	s_and_not1_b32 vcc_lo, exec_lo, s0
	s_cbranch_vccnz .LBB126_1646
; %bb.1645:
	s_wait_loadcnt 0x0
	v_cndmask_b32_e64 v2, 0, 1.0, s17
	s_delay_alu instid0(VALU_DEP_1)
	v_cvt_f16_f32_e32 v2, v2
	global_store_b16 v[0:1], v2, off
.LBB126_1646:
	s_mov_b32 s0, 0
.LBB126_1647:
	s_delay_alu instid0(SALU_CYCLE_1)
	s_and_not1_b32 vcc_lo, exec_lo, s0
	s_cbranch_vccnz .LBB126_1663
; %bb.1648:
	s_sext_i32_i16 s1, s19
	s_mov_b32 s0, -1
	s_cmp_lt_i32 s1, 2
	s_cbranch_scc1 .LBB126_1658
; %bb.1649:
	s_cmp_lt_i32 s1, 3
	s_cbranch_scc1 .LBB126_1655
; %bb.1650:
	s_cmp_gt_i32 s1, 3
	s_cbranch_scc0 .LBB126_1652
; %bb.1651:
	s_mov_b32 s0, 0
	s_wait_loadcnt 0x0
	v_cndmask_b32_e64 v2, 0, 1, s17
	v_mov_b32_e32 v3, s0
	global_store_b64 v[0:1], v[2:3], off
.LBB126_1652:
	s_and_not1_b32 vcc_lo, exec_lo, s0
	s_cbranch_vccnz .LBB126_1654
; %bb.1653:
	s_wait_loadcnt 0x0
	v_cndmask_b32_e64 v2, 0, 1, s17
	global_store_b32 v[0:1], v2, off
.LBB126_1654:
	s_mov_b32 s0, 0
.LBB126_1655:
	s_delay_alu instid0(SALU_CYCLE_1)
	s_and_not1_b32 vcc_lo, exec_lo, s0
	s_cbranch_vccnz .LBB126_1657
; %bb.1656:
	s_wait_loadcnt 0x0
	v_cndmask_b32_e64 v2, 0, 1, s17
	global_store_b16 v[0:1], v2, off
.LBB126_1657:
	s_mov_b32 s0, 0
.LBB126_1658:
	s_delay_alu instid0(SALU_CYCLE_1)
	s_and_not1_b32 vcc_lo, exec_lo, s0
	s_cbranch_vccnz .LBB126_1663
; %bb.1659:
	s_wait_loadcnt 0x0
	v_cndmask_b32_e64 v2, 0, 1, s17
	s_sext_i32_i16 s0, s19
	s_delay_alu instid0(SALU_CYCLE_1)
	s_cmp_gt_i32 s0, 0
	s_mov_b32 s0, -1
	s_cbranch_scc0 .LBB126_1661
; %bb.1660:
	s_mov_b32 s0, 0
	global_store_b8 v[0:1], v2, off
.LBB126_1661:
	s_and_not1_b32 vcc_lo, exec_lo, s0
	s_cbranch_vccnz .LBB126_1663
; %bb.1662:
	global_store_b8 v[0:1], v2, off
	s_endpgm
.LBB126_1663:
	s_endpgm
.LBB126_1664:
	s_mov_b32 s0, -1
                                        ; implicit-def: $sgpr17
.LBB126_1665:
	s_delay_alu instid0(SALU_CYCLE_1)
	s_and_not1_b32 vcc_lo, exec_lo, s0
	s_cbranch_vccnz .LBB126_1667
; %bb.1666:
	s_wait_loadcnt 0x0
	s_delay_alu instid0(VALU_DEP_1) | instskip(NEXT) | instid1(VALU_DEP_2)
	v_cmp_eq_f64_e32 vcc_lo, s[8:9], v[0:1]
	v_cmp_eq_f64_e64 s0, s[10:11], v[2:3]
	s_and_not1_b32 s6, s17, exec_lo
	s_and_b32 s0, vcc_lo, s0
	s_delay_alu instid0(SALU_CYCLE_1) | instskip(NEXT) | instid1(SALU_CYCLE_1)
	s_and_b32 s0, s0, exec_lo
	s_or_b32 s17, s6, s0
.LBB126_1667:
	s_wait_loadcnt 0x0
	v_mul_lo_u32 v0, s2, v8
	s_and_b32 s19, s12, 0xff
	s_delay_alu instid0(SALU_CYCLE_1) | instskip(NEXT) | instid1(VALU_DEP_1)
	s_cmp_lt_i32 s19, 11
	v_ashrrev_i32_e32 v1, 31, v0
	s_delay_alu instid0(VALU_DEP_1)
	v_add_nc_u64_e32 v[2:3], s[4:5], v[0:1]
	s_cbranch_scc1 .LBB126_1745
; %bb.1668:
	s_and_b32 s6, 0xffff, s19
	s_mov_b32 s9, -1
	s_mov_b32 s7, 0
	s_cmp_gt_i32 s6, 25
	s_mov_b32 s8, 0
	s_mov_b32 s0, 0
	s_cbranch_scc0 .LBB126_1701
; %bb.1669:
	s_cmp_gt_i32 s6, 28
	s_cbranch_scc0 .LBB126_1684
; %bb.1670:
	s_cmp_gt_i32 s6, 43
	;; [unrolled: 3-line block ×3, first 2 shown]
	s_cbranch_scc0 .LBB126_1674
; %bb.1672:
	s_mov_b32 s0, -1
	s_mov_b32 s9, 0
	s_cmp_eq_u32 s6, 46
	s_cbranch_scc0 .LBB126_1674
; %bb.1673:
	v_cndmask_b32_e64 v1, 0, 1.0, s13
	s_mov_b32 s0, 0
	s_mov_b32 s8, -1
	s_wait_xcnt 0x0
	s_delay_alu instid0(VALU_DEP_1) | instskip(NEXT) | instid1(VALU_DEP_1)
	v_bfe_u32 v4, v1, 16, 1
	v_add3_u32 v1, v1, v4, 0x7fff
	s_delay_alu instid0(VALU_DEP_1)
	v_lshrrev_b32_e32 v1, 16, v1
	global_store_b32 v[2:3], v1, off
.LBB126_1674:
	s_and_b32 vcc_lo, exec_lo, s9
	s_cbranch_vccz .LBB126_1679
; %bb.1675:
	s_cmp_eq_u32 s6, 44
	s_mov_b32 s0, -1
	s_cbranch_scc0 .LBB126_1679
; %bb.1676:
	s_wait_xcnt 0x0
	v_cndmask_b32_e64 v5, 0, 1.0, s13
	s_mov_b32 s8, exec_lo
	s_delay_alu instid0(VALU_DEP_1) | instskip(NEXT) | instid1(VALU_DEP_1)
	v_dual_mov_b32 v4, 0xff :: v_dual_lshrrev_b32 v1, 23, v5
	v_cmpx_ne_u32_e32 0xff, v1
; %bb.1677:
	v_and_b32_e32 v4, 0x400000, v5
	v_and_or_b32 v5, 0x3fffff, v5, v1
	s_delay_alu instid0(VALU_DEP_2) | instskip(NEXT) | instid1(VALU_DEP_2)
	v_cmp_ne_u32_e32 vcc_lo, 0, v4
	v_cmp_ne_u32_e64 s0, 0, v5
	s_and_b32 s0, vcc_lo, s0
	s_delay_alu instid0(SALU_CYCLE_1) | instskip(NEXT) | instid1(VALU_DEP_1)
	v_cndmask_b32_e64 v4, 0, 1, s0
	v_add_nc_u32_e32 v4, v1, v4
; %bb.1678:
	s_or_b32 exec_lo, exec_lo, s8
	s_mov_b32 s0, 0
	s_mov_b32 s8, -1
	global_store_b8 v[2:3], v4, off
.LBB126_1679:
	s_mov_b32 s9, 0
.LBB126_1680:
	s_delay_alu instid0(SALU_CYCLE_1)
	s_and_b32 vcc_lo, exec_lo, s9
	s_cbranch_vccz .LBB126_1683
; %bb.1681:
	s_cmp_eq_u32 s6, 29
	s_mov_b32 s0, -1
	s_cbranch_scc0 .LBB126_1683
; %bb.1682:
	s_mov_b32 s0, 0
	s_wait_xcnt 0x0
	v_cndmask_b32_e64 v4, 0, 1, s13
	v_mov_b32_e32 v5, s0
	s_mov_b32 s8, -1
	global_store_b64 v[2:3], v[4:5], off
.LBB126_1683:
	s_mov_b32 s9, 0
.LBB126_1684:
	s_delay_alu instid0(SALU_CYCLE_1)
	s_and_b32 vcc_lo, exec_lo, s9
	s_cbranch_vccz .LBB126_1700
; %bb.1685:
	s_cmp_lt_i32 s6, 27
	s_mov_b32 s8, -1
	s_cbranch_scc1 .LBB126_1691
; %bb.1686:
	s_cmp_gt_i32 s6, 27
	s_cbranch_scc0 .LBB126_1688
; %bb.1687:
	s_wait_xcnt 0x0
	v_cndmask_b32_e64 v1, 0, 1, s13
	s_mov_b32 s8, 0
	global_store_b32 v[2:3], v1, off
.LBB126_1688:
	s_and_not1_b32 vcc_lo, exec_lo, s8
	s_cbranch_vccnz .LBB126_1690
; %bb.1689:
	s_wait_xcnt 0x0
	v_cndmask_b32_e64 v1, 0, 1, s13
	global_store_b16 v[2:3], v1, off
.LBB126_1690:
	s_mov_b32 s8, 0
.LBB126_1691:
	s_delay_alu instid0(SALU_CYCLE_1)
	s_and_not1_b32 vcc_lo, exec_lo, s8
	s_cbranch_vccnz .LBB126_1699
; %bb.1692:
	s_wait_xcnt 0x0
	v_cndmask_b32_e64 v4, 0, 1.0, s13
	v_mov_b32_e32 v5, 0x80
	s_mov_b32 s8, exec_lo
	s_delay_alu instid0(VALU_DEP_2)
	v_cmpx_gt_u32_e32 0x43800000, v4
	s_cbranch_execz .LBB126_1698
; %bb.1693:
	s_mov_b32 s9, 0
	s_mov_b32 s10, exec_lo
                                        ; implicit-def: $vgpr1
	v_cmpx_lt_u32_e32 0x3bffffff, v4
	s_xor_b32 s10, exec_lo, s10
	s_cbranch_execz .LBB126_2102
; %bb.1694:
	v_bfe_u32 v1, v4, 20, 1
	s_mov_b32 s9, exec_lo
	s_delay_alu instid0(VALU_DEP_1) | instskip(NEXT) | instid1(VALU_DEP_1)
	v_add3_u32 v1, v4, v1, 0x487ffff
                                        ; implicit-def: $vgpr4
	v_lshrrev_b32_e32 v1, 20, v1
	s_and_not1_saveexec_b32 s10, s10
	s_cbranch_execnz .LBB126_2103
.LBB126_1695:
	s_or_b32 exec_lo, exec_lo, s10
	v_mov_b32_e32 v5, 0
	s_and_saveexec_b32 s10, s9
.LBB126_1696:
	v_mov_b32_e32 v5, v1
.LBB126_1697:
	s_or_b32 exec_lo, exec_lo, s10
.LBB126_1698:
	s_delay_alu instid0(SALU_CYCLE_1)
	s_or_b32 exec_lo, exec_lo, s8
	global_store_b8 v[2:3], v5, off
.LBB126_1699:
	s_mov_b32 s8, -1
.LBB126_1700:
	s_mov_b32 s9, 0
.LBB126_1701:
	s_delay_alu instid0(SALU_CYCLE_1)
	s_and_b32 vcc_lo, exec_lo, s9
	s_cbranch_vccz .LBB126_1741
; %bb.1702:
	s_cmp_gt_i32 s6, 22
	s_mov_b32 s7, -1
	s_cbranch_scc0 .LBB126_1734
; %bb.1703:
	s_cmp_lt_i32 s6, 24
	s_cbranch_scc1 .LBB126_1723
; %bb.1704:
	s_cmp_gt_i32 s6, 24
	s_cbranch_scc0 .LBB126_1712
; %bb.1705:
	s_wait_xcnt 0x0
	v_cndmask_b32_e64 v4, 0, 1.0, s13
	v_mov_b32_e32 v5, 0x80
	s_mov_b32 s7, exec_lo
	s_delay_alu instid0(VALU_DEP_2)
	v_cmpx_gt_u32_e32 0x47800000, v4
	s_cbranch_execz .LBB126_1711
; %bb.1706:
	s_mov_b32 s8, 0
	s_mov_b32 s9, exec_lo
                                        ; implicit-def: $vgpr1
	v_cmpx_lt_u32_e32 0x37ffffff, v4
	s_xor_b32 s9, exec_lo, s9
	s_cbranch_execz .LBB126_2105
; %bb.1707:
	v_bfe_u32 v1, v4, 21, 1
	s_mov_b32 s8, exec_lo
	s_delay_alu instid0(VALU_DEP_1) | instskip(NEXT) | instid1(VALU_DEP_1)
	v_add3_u32 v1, v4, v1, 0x88fffff
                                        ; implicit-def: $vgpr4
	v_lshrrev_b32_e32 v1, 21, v1
	s_and_not1_saveexec_b32 s9, s9
	s_cbranch_execnz .LBB126_2106
.LBB126_1708:
	s_or_b32 exec_lo, exec_lo, s9
	v_mov_b32_e32 v5, 0
	s_and_saveexec_b32 s9, s8
.LBB126_1709:
	v_mov_b32_e32 v5, v1
.LBB126_1710:
	s_or_b32 exec_lo, exec_lo, s9
.LBB126_1711:
	s_delay_alu instid0(SALU_CYCLE_1)
	s_or_b32 exec_lo, exec_lo, s7
	s_mov_b32 s7, 0
	global_store_b8 v[2:3], v5, off
.LBB126_1712:
	s_and_b32 vcc_lo, exec_lo, s7
	s_cbranch_vccz .LBB126_1722
; %bb.1713:
	s_wait_xcnt 0x0
	v_cndmask_b32_e64 v4, 0, 1.0, s13
	s_mov_b32 s7, exec_lo
                                        ; implicit-def: $vgpr1
	s_delay_alu instid0(VALU_DEP_1)
	v_cmpx_gt_u32_e32 0x43f00000, v4
	s_xor_b32 s7, exec_lo, s7
	s_cbranch_execz .LBB126_1719
; %bb.1714:
	s_mov_b32 s8, exec_lo
                                        ; implicit-def: $vgpr1
	v_cmpx_lt_u32_e32 0x3c7fffff, v4
	s_xor_b32 s8, exec_lo, s8
; %bb.1715:
	v_bfe_u32 v1, v4, 20, 1
	s_delay_alu instid0(VALU_DEP_1) | instskip(NEXT) | instid1(VALU_DEP_1)
	v_add3_u32 v1, v4, v1, 0x407ffff
	v_and_b32_e32 v4, 0xff00000, v1
	v_lshrrev_b32_e32 v1, 20, v1
	s_delay_alu instid0(VALU_DEP_2) | instskip(NEXT) | instid1(VALU_DEP_2)
	v_cmp_ne_u32_e32 vcc_lo, 0x7f00000, v4
                                        ; implicit-def: $vgpr4
	v_cndmask_b32_e32 v1, 0x7e, v1, vcc_lo
; %bb.1716:
	s_and_not1_saveexec_b32 s8, s8
; %bb.1717:
	v_add_f32_e32 v1, 0x46800000, v4
; %bb.1718:
	s_or_b32 exec_lo, exec_lo, s8
                                        ; implicit-def: $vgpr4
.LBB126_1719:
	s_and_not1_saveexec_b32 s7, s7
; %bb.1720:
	v_mov_b32_e32 v1, 0x7f
	v_cmp_lt_u32_e32 vcc_lo, 0x7f800000, v4
	s_delay_alu instid0(VALU_DEP_2)
	v_cndmask_b32_e32 v1, 0x7e, v1, vcc_lo
; %bb.1721:
	s_or_b32 exec_lo, exec_lo, s7
	global_store_b8 v[2:3], v1, off
.LBB126_1722:
	s_mov_b32 s7, 0
.LBB126_1723:
	s_delay_alu instid0(SALU_CYCLE_1)
	s_and_not1_b32 vcc_lo, exec_lo, s7
	s_cbranch_vccnz .LBB126_1733
; %bb.1724:
	s_wait_xcnt 0x0
	v_cndmask_b32_e64 v4, 0, 1.0, s13
	s_mov_b32 s7, exec_lo
                                        ; implicit-def: $vgpr1
	s_delay_alu instid0(VALU_DEP_1)
	v_cmpx_gt_u32_e32 0x47800000, v4
	s_xor_b32 s7, exec_lo, s7
	s_cbranch_execz .LBB126_1730
; %bb.1725:
	s_mov_b32 s8, exec_lo
                                        ; implicit-def: $vgpr1
	v_cmpx_lt_u32_e32 0x387fffff, v4
	s_xor_b32 s8, exec_lo, s8
; %bb.1726:
	v_bfe_u32 v1, v4, 21, 1
	s_delay_alu instid0(VALU_DEP_1) | instskip(NEXT) | instid1(VALU_DEP_1)
	v_add3_u32 v1, v4, v1, 0x80fffff
                                        ; implicit-def: $vgpr4
	v_lshrrev_b32_e32 v1, 21, v1
; %bb.1727:
	s_and_not1_saveexec_b32 s8, s8
; %bb.1728:
	v_add_f32_e32 v1, 0x43000000, v4
; %bb.1729:
	s_or_b32 exec_lo, exec_lo, s8
                                        ; implicit-def: $vgpr4
.LBB126_1730:
	s_and_not1_saveexec_b32 s7, s7
; %bb.1731:
	v_mov_b32_e32 v1, 0x7f
	v_cmp_lt_u32_e32 vcc_lo, 0x7f800000, v4
	s_delay_alu instid0(VALU_DEP_2)
	v_cndmask_b32_e32 v1, 0x7c, v1, vcc_lo
; %bb.1732:
	s_or_b32 exec_lo, exec_lo, s7
	global_store_b8 v[2:3], v1, off
.LBB126_1733:
	s_mov_b32 s7, 0
	s_mov_b32 s8, -1
.LBB126_1734:
	s_and_not1_b32 vcc_lo, exec_lo, s7
	s_mov_b32 s7, 0
	s_cbranch_vccnz .LBB126_1741
; %bb.1735:
	s_cmp_gt_i32 s6, 14
	s_mov_b32 s7, -1
	s_cbranch_scc0 .LBB126_1739
; %bb.1736:
	s_cmp_eq_u32 s6, 15
	s_mov_b32 s0, -1
	s_cbranch_scc0 .LBB126_1738
; %bb.1737:
	s_wait_xcnt 0x0
	v_cndmask_b32_e64 v1, 0, 1.0, s13
	s_mov_b32 s0, 0
	s_mov_b32 s8, -1
	s_delay_alu instid0(VALU_DEP_1) | instskip(NEXT) | instid1(VALU_DEP_1)
	v_bfe_u32 v4, v1, 16, 1
	v_add3_u32 v1, v1, v4, 0x7fff
	global_store_d16_hi_b16 v[2:3], v1, off
.LBB126_1738:
	s_mov_b32 s7, 0
.LBB126_1739:
	s_delay_alu instid0(SALU_CYCLE_1)
	s_and_b32 vcc_lo, exec_lo, s7
	s_mov_b32 s7, 0
	s_cbranch_vccz .LBB126_1741
; %bb.1740:
	s_cmp_lg_u32 s6, 11
	s_mov_b32 s7, -1
	s_cselect_b32 s0, -1, 0
.LBB126_1741:
	s_delay_alu instid0(SALU_CYCLE_1)
	s_and_b32 vcc_lo, exec_lo, s0
	s_cbranch_vccnz .LBB126_2104
; %bb.1742:
	s_and_not1_b32 vcc_lo, exec_lo, s7
	s_cbranch_vccnz .LBB126_1744
.LBB126_1743:
	s_wait_xcnt 0x0
	v_cndmask_b32_e64 v1, 0, 1, s13
	s_mov_b32 s8, -1
	global_store_b8 v[2:3], v1, off
.LBB126_1744:
	s_mov_b32 s0, 0
	s_branch .LBB126_1746
.LBB126_1745:
	s_mov_b32 s0, -1
	s_mov_b32 s8, 0
.LBB126_1746:
	s_and_b32 vcc_lo, exec_lo, s0
	s_cbranch_vccz .LBB126_1785
; %bb.1747:
	s_and_b32 s0, 0xffff, s19
	s_mov_b32 s6, -1
	s_cmp_lt_i32 s0, 5
	s_cbranch_scc1 .LBB126_1768
; %bb.1748:
	s_cmp_lt_i32 s0, 8
	s_cbranch_scc1 .LBB126_1758
; %bb.1749:
	;; [unrolled: 3-line block ×3, first 2 shown]
	s_cmp_gt_i32 s0, 9
	s_cbranch_scc0 .LBB126_1752
; %bb.1751:
	s_wait_xcnt 0x0
	v_cndmask_b32_e64 v1, 0, 1, s13
	v_mov_b32_e32 v6, 0
	s_mov_b32 s6, 0
	s_delay_alu instid0(VALU_DEP_2) | instskip(NEXT) | instid1(VALU_DEP_2)
	v_cvt_f64_u32_e32 v[4:5], v1
	v_mov_b32_e32 v7, v6
	global_store_b128 v[2:3], v[4:7], off
.LBB126_1752:
	s_and_not1_b32 vcc_lo, exec_lo, s6
	s_cbranch_vccnz .LBB126_1754
; %bb.1753:
	s_wait_xcnt 0x0
	v_cndmask_b32_e64 v4, 0, 1.0, s13
	v_mov_b32_e32 v5, 0
	global_store_b64 v[2:3], v[4:5], off
.LBB126_1754:
	s_mov_b32 s6, 0
.LBB126_1755:
	s_delay_alu instid0(SALU_CYCLE_1)
	s_and_not1_b32 vcc_lo, exec_lo, s6
	s_cbranch_vccnz .LBB126_1757
; %bb.1756:
	s_wait_xcnt 0x0
	v_cndmask_b32_e64 v1, 0, 1.0, s13
	s_delay_alu instid0(VALU_DEP_1) | instskip(NEXT) | instid1(VALU_DEP_1)
	v_cvt_f16_f32_e32 v1, v1
	v_and_b32_e32 v1, 0xffff, v1
	global_store_b32 v[2:3], v1, off
.LBB126_1757:
	s_mov_b32 s6, 0
.LBB126_1758:
	s_delay_alu instid0(SALU_CYCLE_1)
	s_and_not1_b32 vcc_lo, exec_lo, s6
	s_cbranch_vccnz .LBB126_1767
; %bb.1759:
	s_cmp_lt_i32 s0, 6
	s_mov_b32 s6, -1
	s_cbranch_scc1 .LBB126_1765
; %bb.1760:
	s_cmp_gt_i32 s0, 6
	s_cbranch_scc0 .LBB126_1762
; %bb.1761:
	s_wait_xcnt 0x0
	v_cndmask_b32_e64 v1, 0, 1, s13
	s_mov_b32 s6, 0
	s_delay_alu instid0(VALU_DEP_1)
	v_cvt_f64_u32_e32 v[4:5], v1
	global_store_b64 v[2:3], v[4:5], off
.LBB126_1762:
	s_and_not1_b32 vcc_lo, exec_lo, s6
	s_cbranch_vccnz .LBB126_1764
; %bb.1763:
	s_wait_xcnt 0x0
	v_cndmask_b32_e64 v1, 0, 1.0, s13
	global_store_b32 v[2:3], v1, off
.LBB126_1764:
	s_mov_b32 s6, 0
.LBB126_1765:
	s_delay_alu instid0(SALU_CYCLE_1)
	s_and_not1_b32 vcc_lo, exec_lo, s6
	s_cbranch_vccnz .LBB126_1767
; %bb.1766:
	s_wait_xcnt 0x0
	v_cndmask_b32_e64 v1, 0, 1.0, s13
	s_delay_alu instid0(VALU_DEP_1)
	v_cvt_f16_f32_e32 v1, v1
	global_store_b16 v[2:3], v1, off
.LBB126_1767:
	s_mov_b32 s6, 0
.LBB126_1768:
	s_delay_alu instid0(SALU_CYCLE_1)
	s_and_not1_b32 vcc_lo, exec_lo, s6
	s_cbranch_vccnz .LBB126_1784
; %bb.1769:
	s_cmp_lt_i32 s0, 2
	s_mov_b32 s6, -1
	s_cbranch_scc1 .LBB126_1779
; %bb.1770:
	s_cmp_lt_i32 s0, 3
	s_cbranch_scc1 .LBB126_1776
; %bb.1771:
	s_cmp_gt_i32 s0, 3
	s_cbranch_scc0 .LBB126_1773
; %bb.1772:
	s_mov_b32 s6, 0
	s_wait_xcnt 0x0
	v_cndmask_b32_e64 v4, 0, 1, s13
	v_mov_b32_e32 v5, s6
	global_store_b64 v[2:3], v[4:5], off
.LBB126_1773:
	s_and_not1_b32 vcc_lo, exec_lo, s6
	s_cbranch_vccnz .LBB126_1775
; %bb.1774:
	s_wait_xcnt 0x0
	v_cndmask_b32_e64 v1, 0, 1, s13
	global_store_b32 v[2:3], v1, off
.LBB126_1775:
	s_mov_b32 s6, 0
.LBB126_1776:
	s_delay_alu instid0(SALU_CYCLE_1)
	s_and_not1_b32 vcc_lo, exec_lo, s6
	s_cbranch_vccnz .LBB126_1778
; %bb.1777:
	s_wait_xcnt 0x0
	v_cndmask_b32_e64 v1, 0, 1, s13
	global_store_b16 v[2:3], v1, off
.LBB126_1778:
	s_mov_b32 s6, 0
.LBB126_1779:
	s_delay_alu instid0(SALU_CYCLE_1)
	s_and_not1_b32 vcc_lo, exec_lo, s6
	s_cbranch_vccnz .LBB126_1784
; %bb.1780:
	s_wait_xcnt 0x0
	v_cndmask_b32_e64 v1, 0, 1, s13
	s_cmp_gt_i32 s0, 0
	s_mov_b32 s0, -1
	s_cbranch_scc0 .LBB126_1782
; %bb.1781:
	s_mov_b32 s0, 0
	global_store_b8 v[2:3], v1, off
.LBB126_1782:
	s_and_not1_b32 vcc_lo, exec_lo, s0
	s_cbranch_vccnz .LBB126_1784
; %bb.1783:
	global_store_b8 v[2:3], v1, off
.LBB126_1784:
	s_mov_b32 s8, -1
.LBB126_1785:
	s_delay_alu instid0(SALU_CYCLE_1)
	s_and_not1_b32 vcc_lo, exec_lo, s8
	s_cbranch_vccnz .LBB126_2100
; %bb.1786:
	s_lshl_b32 s2, s2, 7
	s_cmp_lt_i32 s19, 11
	v_add_nc_u32_e32 v0, s2, v0
	s_wait_xcnt 0x0
	s_delay_alu instid0(VALU_DEP_1) | instskip(NEXT) | instid1(VALU_DEP_1)
	v_ashrrev_i32_e32 v1, 31, v0
	v_add_nc_u64_e32 v[2:3], s[4:5], v[0:1]
	s_cbranch_scc1 .LBB126_1864
; %bb.1787:
	s_and_b32 s6, 0xffff, s19
	s_mov_b32 s9, -1
	s_mov_b32 s7, 0
	s_cmp_gt_i32 s6, 25
	s_mov_b32 s8, 0
	s_mov_b32 s0, 0
	s_cbranch_scc0 .LBB126_1820
; %bb.1788:
	s_cmp_gt_i32 s6, 28
	s_cbranch_scc0 .LBB126_1803
; %bb.1789:
	s_cmp_gt_i32 s6, 43
	;; [unrolled: 3-line block ×3, first 2 shown]
	s_cbranch_scc0 .LBB126_1793
; %bb.1791:
	s_mov_b32 s0, -1
	s_mov_b32 s9, 0
	s_cmp_eq_u32 s6, 46
	s_cbranch_scc0 .LBB126_1793
; %bb.1792:
	v_cndmask_b32_e64 v1, 0, 1.0, s3
	s_mov_b32 s0, 0
	s_mov_b32 s8, -1
	s_delay_alu instid0(VALU_DEP_1) | instskip(NEXT) | instid1(VALU_DEP_1)
	v_bfe_u32 v4, v1, 16, 1
	v_add3_u32 v1, v1, v4, 0x7fff
	s_delay_alu instid0(VALU_DEP_1)
	v_lshrrev_b32_e32 v1, 16, v1
	global_store_b32 v[2:3], v1, off
.LBB126_1793:
	s_and_b32 vcc_lo, exec_lo, s9
	s_cbranch_vccz .LBB126_1798
; %bb.1794:
	s_cmp_eq_u32 s6, 44
	s_mov_b32 s0, -1
	s_cbranch_scc0 .LBB126_1798
; %bb.1795:
	v_cndmask_b32_e64 v5, 0, 1.0, s3
	s_mov_b32 s8, exec_lo
	s_wait_xcnt 0x0
	s_delay_alu instid0(VALU_DEP_1) | instskip(NEXT) | instid1(VALU_DEP_1)
	v_dual_mov_b32 v4, 0xff :: v_dual_lshrrev_b32 v1, 23, v5
	v_cmpx_ne_u32_e32 0xff, v1
; %bb.1796:
	v_and_b32_e32 v4, 0x400000, v5
	v_and_or_b32 v5, 0x3fffff, v5, v1
	s_delay_alu instid0(VALU_DEP_2) | instskip(NEXT) | instid1(VALU_DEP_2)
	v_cmp_ne_u32_e32 vcc_lo, 0, v4
	v_cmp_ne_u32_e64 s0, 0, v5
	s_and_b32 s0, vcc_lo, s0
	s_delay_alu instid0(SALU_CYCLE_1) | instskip(NEXT) | instid1(VALU_DEP_1)
	v_cndmask_b32_e64 v4, 0, 1, s0
	v_add_nc_u32_e32 v4, v1, v4
; %bb.1797:
	s_or_b32 exec_lo, exec_lo, s8
	s_mov_b32 s0, 0
	s_mov_b32 s8, -1
	global_store_b8 v[2:3], v4, off
.LBB126_1798:
	s_mov_b32 s9, 0
.LBB126_1799:
	s_delay_alu instid0(SALU_CYCLE_1)
	s_and_b32 vcc_lo, exec_lo, s9
	s_cbranch_vccz .LBB126_1802
; %bb.1800:
	s_cmp_eq_u32 s6, 29
	s_mov_b32 s0, -1
	s_cbranch_scc0 .LBB126_1802
; %bb.1801:
	s_mov_b32 s0, 0
	s_wait_xcnt 0x0
	v_cndmask_b32_e64 v4, 0, 1, s3
	v_mov_b32_e32 v5, s0
	s_mov_b32 s8, -1
	global_store_b64 v[2:3], v[4:5], off
.LBB126_1802:
	s_mov_b32 s9, 0
.LBB126_1803:
	s_delay_alu instid0(SALU_CYCLE_1)
	s_and_b32 vcc_lo, exec_lo, s9
	s_cbranch_vccz .LBB126_1819
; %bb.1804:
	s_cmp_lt_i32 s6, 27
	s_mov_b32 s8, -1
	s_cbranch_scc1 .LBB126_1810
; %bb.1805:
	s_cmp_gt_i32 s6, 27
	s_cbranch_scc0 .LBB126_1807
; %bb.1806:
	s_wait_xcnt 0x0
	v_cndmask_b32_e64 v1, 0, 1, s3
	s_mov_b32 s8, 0
	global_store_b32 v[2:3], v1, off
.LBB126_1807:
	s_and_not1_b32 vcc_lo, exec_lo, s8
	s_cbranch_vccnz .LBB126_1809
; %bb.1808:
	s_wait_xcnt 0x0
	v_cndmask_b32_e64 v1, 0, 1, s3
	global_store_b16 v[2:3], v1, off
.LBB126_1809:
	s_mov_b32 s8, 0
.LBB126_1810:
	s_delay_alu instid0(SALU_CYCLE_1)
	s_and_not1_b32 vcc_lo, exec_lo, s8
	s_cbranch_vccnz .LBB126_1818
; %bb.1811:
	s_wait_xcnt 0x0
	v_cndmask_b32_e64 v4, 0, 1.0, s3
	v_mov_b32_e32 v5, 0x80
	s_mov_b32 s8, exec_lo
	s_delay_alu instid0(VALU_DEP_2)
	v_cmpx_gt_u32_e32 0x43800000, v4
	s_cbranch_execz .LBB126_1817
; %bb.1812:
	s_mov_b32 s9, 0
	s_mov_b32 s10, exec_lo
                                        ; implicit-def: $vgpr1
	v_cmpx_lt_u32_e32 0x3bffffff, v4
	s_xor_b32 s10, exec_lo, s10
	s_cbranch_execz .LBB126_2107
; %bb.1813:
	v_bfe_u32 v1, v4, 20, 1
	s_mov_b32 s9, exec_lo
	s_delay_alu instid0(VALU_DEP_1) | instskip(NEXT) | instid1(VALU_DEP_1)
	v_add3_u32 v1, v4, v1, 0x487ffff
                                        ; implicit-def: $vgpr4
	v_lshrrev_b32_e32 v1, 20, v1
	s_and_not1_saveexec_b32 s10, s10
	s_cbranch_execnz .LBB126_2108
.LBB126_1814:
	s_or_b32 exec_lo, exec_lo, s10
	v_mov_b32_e32 v5, 0
	s_and_saveexec_b32 s10, s9
.LBB126_1815:
	v_mov_b32_e32 v5, v1
.LBB126_1816:
	s_or_b32 exec_lo, exec_lo, s10
.LBB126_1817:
	s_delay_alu instid0(SALU_CYCLE_1)
	s_or_b32 exec_lo, exec_lo, s8
	global_store_b8 v[2:3], v5, off
.LBB126_1818:
	s_mov_b32 s8, -1
.LBB126_1819:
	s_mov_b32 s9, 0
.LBB126_1820:
	s_delay_alu instid0(SALU_CYCLE_1)
	s_and_b32 vcc_lo, exec_lo, s9
	s_cbranch_vccz .LBB126_1860
; %bb.1821:
	s_cmp_gt_i32 s6, 22
	s_mov_b32 s7, -1
	s_cbranch_scc0 .LBB126_1853
; %bb.1822:
	s_cmp_lt_i32 s6, 24
	s_cbranch_scc1 .LBB126_1842
; %bb.1823:
	s_cmp_gt_i32 s6, 24
	s_cbranch_scc0 .LBB126_1831
; %bb.1824:
	s_wait_xcnt 0x0
	v_cndmask_b32_e64 v4, 0, 1.0, s3
	v_mov_b32_e32 v5, 0x80
	s_mov_b32 s7, exec_lo
	s_delay_alu instid0(VALU_DEP_2)
	v_cmpx_gt_u32_e32 0x47800000, v4
	s_cbranch_execz .LBB126_1830
; %bb.1825:
	s_mov_b32 s8, 0
	s_mov_b32 s9, exec_lo
                                        ; implicit-def: $vgpr1
	v_cmpx_lt_u32_e32 0x37ffffff, v4
	s_xor_b32 s9, exec_lo, s9
	s_cbranch_execz .LBB126_2110
; %bb.1826:
	v_bfe_u32 v1, v4, 21, 1
	s_mov_b32 s8, exec_lo
	s_delay_alu instid0(VALU_DEP_1) | instskip(NEXT) | instid1(VALU_DEP_1)
	v_add3_u32 v1, v4, v1, 0x88fffff
                                        ; implicit-def: $vgpr4
	v_lshrrev_b32_e32 v1, 21, v1
	s_and_not1_saveexec_b32 s9, s9
	s_cbranch_execnz .LBB126_2111
.LBB126_1827:
	s_or_b32 exec_lo, exec_lo, s9
	v_mov_b32_e32 v5, 0
	s_and_saveexec_b32 s9, s8
.LBB126_1828:
	v_mov_b32_e32 v5, v1
.LBB126_1829:
	s_or_b32 exec_lo, exec_lo, s9
.LBB126_1830:
	s_delay_alu instid0(SALU_CYCLE_1)
	s_or_b32 exec_lo, exec_lo, s7
	s_mov_b32 s7, 0
	global_store_b8 v[2:3], v5, off
.LBB126_1831:
	s_and_b32 vcc_lo, exec_lo, s7
	s_cbranch_vccz .LBB126_1841
; %bb.1832:
	s_wait_xcnt 0x0
	v_cndmask_b32_e64 v4, 0, 1.0, s3
	s_mov_b32 s7, exec_lo
                                        ; implicit-def: $vgpr1
	s_delay_alu instid0(VALU_DEP_1)
	v_cmpx_gt_u32_e32 0x43f00000, v4
	s_xor_b32 s7, exec_lo, s7
	s_cbranch_execz .LBB126_1838
; %bb.1833:
	s_mov_b32 s8, exec_lo
                                        ; implicit-def: $vgpr1
	v_cmpx_lt_u32_e32 0x3c7fffff, v4
	s_xor_b32 s8, exec_lo, s8
; %bb.1834:
	v_bfe_u32 v1, v4, 20, 1
	s_delay_alu instid0(VALU_DEP_1) | instskip(NEXT) | instid1(VALU_DEP_1)
	v_add3_u32 v1, v4, v1, 0x407ffff
	v_and_b32_e32 v4, 0xff00000, v1
	v_lshrrev_b32_e32 v1, 20, v1
	s_delay_alu instid0(VALU_DEP_2) | instskip(NEXT) | instid1(VALU_DEP_2)
	v_cmp_ne_u32_e32 vcc_lo, 0x7f00000, v4
                                        ; implicit-def: $vgpr4
	v_cndmask_b32_e32 v1, 0x7e, v1, vcc_lo
; %bb.1835:
	s_and_not1_saveexec_b32 s8, s8
; %bb.1836:
	v_add_f32_e32 v1, 0x46800000, v4
; %bb.1837:
	s_or_b32 exec_lo, exec_lo, s8
                                        ; implicit-def: $vgpr4
.LBB126_1838:
	s_and_not1_saveexec_b32 s7, s7
; %bb.1839:
	v_mov_b32_e32 v1, 0x7f
	v_cmp_lt_u32_e32 vcc_lo, 0x7f800000, v4
	s_delay_alu instid0(VALU_DEP_2)
	v_cndmask_b32_e32 v1, 0x7e, v1, vcc_lo
; %bb.1840:
	s_or_b32 exec_lo, exec_lo, s7
	global_store_b8 v[2:3], v1, off
.LBB126_1841:
	s_mov_b32 s7, 0
.LBB126_1842:
	s_delay_alu instid0(SALU_CYCLE_1)
	s_and_not1_b32 vcc_lo, exec_lo, s7
	s_cbranch_vccnz .LBB126_1852
; %bb.1843:
	s_wait_xcnt 0x0
	v_cndmask_b32_e64 v4, 0, 1.0, s3
	s_mov_b32 s7, exec_lo
                                        ; implicit-def: $vgpr1
	s_delay_alu instid0(VALU_DEP_1)
	v_cmpx_gt_u32_e32 0x47800000, v4
	s_xor_b32 s7, exec_lo, s7
	s_cbranch_execz .LBB126_1849
; %bb.1844:
	s_mov_b32 s8, exec_lo
                                        ; implicit-def: $vgpr1
	v_cmpx_lt_u32_e32 0x387fffff, v4
	s_xor_b32 s8, exec_lo, s8
; %bb.1845:
	v_bfe_u32 v1, v4, 21, 1
	s_delay_alu instid0(VALU_DEP_1) | instskip(NEXT) | instid1(VALU_DEP_1)
	v_add3_u32 v1, v4, v1, 0x80fffff
                                        ; implicit-def: $vgpr4
	v_lshrrev_b32_e32 v1, 21, v1
; %bb.1846:
	s_and_not1_saveexec_b32 s8, s8
; %bb.1847:
	v_add_f32_e32 v1, 0x43000000, v4
; %bb.1848:
	s_or_b32 exec_lo, exec_lo, s8
                                        ; implicit-def: $vgpr4
.LBB126_1849:
	s_and_not1_saveexec_b32 s7, s7
; %bb.1850:
	v_mov_b32_e32 v1, 0x7f
	v_cmp_lt_u32_e32 vcc_lo, 0x7f800000, v4
	s_delay_alu instid0(VALU_DEP_2)
	v_cndmask_b32_e32 v1, 0x7c, v1, vcc_lo
; %bb.1851:
	s_or_b32 exec_lo, exec_lo, s7
	global_store_b8 v[2:3], v1, off
.LBB126_1852:
	s_mov_b32 s7, 0
	s_mov_b32 s8, -1
.LBB126_1853:
	s_and_not1_b32 vcc_lo, exec_lo, s7
	s_mov_b32 s7, 0
	s_cbranch_vccnz .LBB126_1860
; %bb.1854:
	s_cmp_gt_i32 s6, 14
	s_mov_b32 s7, -1
	s_cbranch_scc0 .LBB126_1858
; %bb.1855:
	s_cmp_eq_u32 s6, 15
	s_mov_b32 s0, -1
	s_cbranch_scc0 .LBB126_1857
; %bb.1856:
	s_wait_xcnt 0x0
	v_cndmask_b32_e64 v1, 0, 1.0, s3
	s_mov_b32 s0, 0
	s_mov_b32 s8, -1
	s_delay_alu instid0(VALU_DEP_1) | instskip(NEXT) | instid1(VALU_DEP_1)
	v_bfe_u32 v4, v1, 16, 1
	v_add3_u32 v1, v1, v4, 0x7fff
	global_store_d16_hi_b16 v[2:3], v1, off
.LBB126_1857:
	s_mov_b32 s7, 0
.LBB126_1858:
	s_delay_alu instid0(SALU_CYCLE_1)
	s_and_b32 vcc_lo, exec_lo, s7
	s_mov_b32 s7, 0
	s_cbranch_vccz .LBB126_1860
; %bb.1859:
	s_cmp_lg_u32 s6, 11
	s_mov_b32 s7, -1
	s_cselect_b32 s0, -1, 0
.LBB126_1860:
	s_delay_alu instid0(SALU_CYCLE_1)
	s_and_b32 vcc_lo, exec_lo, s0
	s_cbranch_vccnz .LBB126_2109
; %bb.1861:
	s_and_not1_b32 vcc_lo, exec_lo, s7
	s_cbranch_vccnz .LBB126_1863
.LBB126_1862:
	s_wait_xcnt 0x0
	v_cndmask_b32_e64 v1, 0, 1, s3
	s_mov_b32 s8, -1
	global_store_b8 v[2:3], v1, off
.LBB126_1863:
	s_mov_b32 s0, 0
	s_branch .LBB126_1865
.LBB126_1864:
	s_mov_b32 s0, -1
	s_mov_b32 s8, 0
.LBB126_1865:
	s_and_b32 vcc_lo, exec_lo, s0
	s_cbranch_vccz .LBB126_1904
; %bb.1866:
	s_and_b32 s0, 0xffff, s19
	s_mov_b32 s6, -1
	s_cmp_lt_i32 s0, 5
	s_cbranch_scc1 .LBB126_1887
; %bb.1867:
	s_cmp_lt_i32 s0, 8
	s_cbranch_scc1 .LBB126_1877
; %bb.1868:
	;; [unrolled: 3-line block ×3, first 2 shown]
	s_cmp_gt_i32 s0, 9
	s_cbranch_scc0 .LBB126_1871
; %bb.1870:
	s_wait_xcnt 0x0
	v_cndmask_b32_e64 v1, 0, 1, s3
	v_mov_b32_e32 v6, 0
	s_mov_b32 s6, 0
	s_delay_alu instid0(VALU_DEP_2) | instskip(NEXT) | instid1(VALU_DEP_2)
	v_cvt_f64_u32_e32 v[4:5], v1
	v_mov_b32_e32 v7, v6
	global_store_b128 v[2:3], v[4:7], off
.LBB126_1871:
	s_and_not1_b32 vcc_lo, exec_lo, s6
	s_cbranch_vccnz .LBB126_1873
; %bb.1872:
	s_wait_xcnt 0x0
	v_cndmask_b32_e64 v4, 0, 1.0, s3
	v_mov_b32_e32 v5, 0
	global_store_b64 v[2:3], v[4:5], off
.LBB126_1873:
	s_mov_b32 s6, 0
.LBB126_1874:
	s_delay_alu instid0(SALU_CYCLE_1)
	s_and_not1_b32 vcc_lo, exec_lo, s6
	s_cbranch_vccnz .LBB126_1876
; %bb.1875:
	s_wait_xcnt 0x0
	v_cndmask_b32_e64 v1, 0, 1.0, s3
	s_delay_alu instid0(VALU_DEP_1) | instskip(NEXT) | instid1(VALU_DEP_1)
	v_cvt_f16_f32_e32 v1, v1
	v_and_b32_e32 v1, 0xffff, v1
	global_store_b32 v[2:3], v1, off
.LBB126_1876:
	s_mov_b32 s6, 0
.LBB126_1877:
	s_delay_alu instid0(SALU_CYCLE_1)
	s_and_not1_b32 vcc_lo, exec_lo, s6
	s_cbranch_vccnz .LBB126_1886
; %bb.1878:
	s_cmp_lt_i32 s0, 6
	s_mov_b32 s6, -1
	s_cbranch_scc1 .LBB126_1884
; %bb.1879:
	s_cmp_gt_i32 s0, 6
	s_cbranch_scc0 .LBB126_1881
; %bb.1880:
	s_wait_xcnt 0x0
	v_cndmask_b32_e64 v1, 0, 1, s3
	s_mov_b32 s6, 0
	s_delay_alu instid0(VALU_DEP_1)
	v_cvt_f64_u32_e32 v[4:5], v1
	global_store_b64 v[2:3], v[4:5], off
.LBB126_1881:
	s_and_not1_b32 vcc_lo, exec_lo, s6
	s_cbranch_vccnz .LBB126_1883
; %bb.1882:
	s_wait_xcnt 0x0
	v_cndmask_b32_e64 v1, 0, 1.0, s3
	global_store_b32 v[2:3], v1, off
.LBB126_1883:
	s_mov_b32 s6, 0
.LBB126_1884:
	s_delay_alu instid0(SALU_CYCLE_1)
	s_and_not1_b32 vcc_lo, exec_lo, s6
	s_cbranch_vccnz .LBB126_1886
; %bb.1885:
	s_wait_xcnt 0x0
	v_cndmask_b32_e64 v1, 0, 1.0, s3
	s_delay_alu instid0(VALU_DEP_1)
	v_cvt_f16_f32_e32 v1, v1
	global_store_b16 v[2:3], v1, off
.LBB126_1886:
	s_mov_b32 s6, 0
.LBB126_1887:
	s_delay_alu instid0(SALU_CYCLE_1)
	s_and_not1_b32 vcc_lo, exec_lo, s6
	s_cbranch_vccnz .LBB126_1903
; %bb.1888:
	s_cmp_lt_i32 s0, 2
	s_mov_b32 s6, -1
	s_cbranch_scc1 .LBB126_1898
; %bb.1889:
	s_cmp_lt_i32 s0, 3
	s_cbranch_scc1 .LBB126_1895
; %bb.1890:
	s_cmp_gt_i32 s0, 3
	s_cbranch_scc0 .LBB126_1892
; %bb.1891:
	s_mov_b32 s6, 0
	s_wait_xcnt 0x0
	v_cndmask_b32_e64 v4, 0, 1, s3
	v_mov_b32_e32 v5, s6
	global_store_b64 v[2:3], v[4:5], off
.LBB126_1892:
	s_and_not1_b32 vcc_lo, exec_lo, s6
	s_cbranch_vccnz .LBB126_1894
; %bb.1893:
	s_wait_xcnt 0x0
	v_cndmask_b32_e64 v1, 0, 1, s3
	global_store_b32 v[2:3], v1, off
.LBB126_1894:
	s_mov_b32 s6, 0
.LBB126_1895:
	s_delay_alu instid0(SALU_CYCLE_1)
	s_and_not1_b32 vcc_lo, exec_lo, s6
	s_cbranch_vccnz .LBB126_1897
; %bb.1896:
	s_wait_xcnt 0x0
	v_cndmask_b32_e64 v1, 0, 1, s3
	global_store_b16 v[2:3], v1, off
.LBB126_1897:
	s_mov_b32 s6, 0
.LBB126_1898:
	s_delay_alu instid0(SALU_CYCLE_1)
	s_and_not1_b32 vcc_lo, exec_lo, s6
	s_cbranch_vccnz .LBB126_1903
; %bb.1899:
	s_wait_xcnt 0x0
	v_cndmask_b32_e64 v1, 0, 1, s3
	s_cmp_gt_i32 s0, 0
	s_mov_b32 s0, -1
	s_cbranch_scc0 .LBB126_1901
; %bb.1900:
	s_mov_b32 s0, 0
	global_store_b8 v[2:3], v1, off
.LBB126_1901:
	s_and_not1_b32 vcc_lo, exec_lo, s0
	s_cbranch_vccnz .LBB126_1903
; %bb.1902:
	global_store_b8 v[2:3], v1, off
.LBB126_1903:
	s_mov_b32 s8, -1
.LBB126_1904:
	s_delay_alu instid0(SALU_CYCLE_1)
	s_and_not1_b32 vcc_lo, exec_lo, s8
	s_cbranch_vccnz .LBB126_2100
; %bb.1905:
	v_add_nc_u32_e32 v0, s2, v0
	s_cmp_lt_i32 s19, 11
	s_wait_xcnt 0x0
	s_delay_alu instid0(VALU_DEP_1) | instskip(NEXT) | instid1(VALU_DEP_1)
	v_ashrrev_i32_e32 v1, 31, v0
	v_add_nc_u64_e32 v[2:3], s[4:5], v[0:1]
	s_cbranch_scc1 .LBB126_1983
; %bb.1906:
	s_and_b32 s3, 0xffff, s19
	s_mov_b32 s8, -1
	s_mov_b32 s6, 0
	s_cmp_gt_i32 s3, 25
	s_mov_b32 s7, 0
	s_mov_b32 s0, 0
	s_cbranch_scc0 .LBB126_1939
; %bb.1907:
	s_cmp_gt_i32 s3, 28
	s_cbranch_scc0 .LBB126_1922
; %bb.1908:
	s_cmp_gt_i32 s3, 43
	;; [unrolled: 3-line block ×3, first 2 shown]
	s_cbranch_scc0 .LBB126_1912
; %bb.1910:
	s_mov_b32 s0, -1
	s_mov_b32 s8, 0
	s_cmp_eq_u32 s3, 46
	s_cbranch_scc0 .LBB126_1912
; %bb.1911:
	v_cndmask_b32_e64 v1, 0, 1.0, s18
	s_mov_b32 s0, 0
	s_mov_b32 s7, -1
	s_delay_alu instid0(VALU_DEP_1) | instskip(NEXT) | instid1(VALU_DEP_1)
	v_bfe_u32 v4, v1, 16, 1
	v_add3_u32 v1, v1, v4, 0x7fff
	s_delay_alu instid0(VALU_DEP_1)
	v_lshrrev_b32_e32 v1, 16, v1
	global_store_b32 v[2:3], v1, off
.LBB126_1912:
	s_and_b32 vcc_lo, exec_lo, s8
	s_cbranch_vccz .LBB126_1917
; %bb.1913:
	s_cmp_eq_u32 s3, 44
	s_mov_b32 s0, -1
	s_cbranch_scc0 .LBB126_1917
; %bb.1914:
	v_cndmask_b32_e64 v5, 0, 1.0, s18
	s_mov_b32 s7, exec_lo
	s_wait_xcnt 0x0
	s_delay_alu instid0(VALU_DEP_1) | instskip(NEXT) | instid1(VALU_DEP_1)
	v_dual_mov_b32 v4, 0xff :: v_dual_lshrrev_b32 v1, 23, v5
	v_cmpx_ne_u32_e32 0xff, v1
; %bb.1915:
	v_and_b32_e32 v4, 0x400000, v5
	v_and_or_b32 v5, 0x3fffff, v5, v1
	s_delay_alu instid0(VALU_DEP_2) | instskip(NEXT) | instid1(VALU_DEP_2)
	v_cmp_ne_u32_e32 vcc_lo, 0, v4
	v_cmp_ne_u32_e64 s0, 0, v5
	s_and_b32 s0, vcc_lo, s0
	s_delay_alu instid0(SALU_CYCLE_1) | instskip(NEXT) | instid1(VALU_DEP_1)
	v_cndmask_b32_e64 v4, 0, 1, s0
	v_add_nc_u32_e32 v4, v1, v4
; %bb.1916:
	s_or_b32 exec_lo, exec_lo, s7
	s_mov_b32 s0, 0
	s_mov_b32 s7, -1
	global_store_b8 v[2:3], v4, off
.LBB126_1917:
	s_mov_b32 s8, 0
.LBB126_1918:
	s_delay_alu instid0(SALU_CYCLE_1)
	s_and_b32 vcc_lo, exec_lo, s8
	s_cbranch_vccz .LBB126_1921
; %bb.1919:
	s_cmp_eq_u32 s3, 29
	s_mov_b32 s0, -1
	s_cbranch_scc0 .LBB126_1921
; %bb.1920:
	s_mov_b32 s0, 0
	s_wait_xcnt 0x0
	v_cndmask_b32_e64 v4, 0, 1, s18
	v_mov_b32_e32 v5, s0
	s_mov_b32 s7, -1
	global_store_b64 v[2:3], v[4:5], off
.LBB126_1921:
	s_mov_b32 s8, 0
.LBB126_1922:
	s_delay_alu instid0(SALU_CYCLE_1)
	s_and_b32 vcc_lo, exec_lo, s8
	s_cbranch_vccz .LBB126_1938
; %bb.1923:
	s_cmp_lt_i32 s3, 27
	s_mov_b32 s7, -1
	s_cbranch_scc1 .LBB126_1929
; %bb.1924:
	s_cmp_gt_i32 s3, 27
	s_cbranch_scc0 .LBB126_1926
; %bb.1925:
	s_wait_xcnt 0x0
	v_cndmask_b32_e64 v1, 0, 1, s18
	s_mov_b32 s7, 0
	global_store_b32 v[2:3], v1, off
.LBB126_1926:
	s_and_not1_b32 vcc_lo, exec_lo, s7
	s_cbranch_vccnz .LBB126_1928
; %bb.1927:
	s_wait_xcnt 0x0
	v_cndmask_b32_e64 v1, 0, 1, s18
	global_store_b16 v[2:3], v1, off
.LBB126_1928:
	s_mov_b32 s7, 0
.LBB126_1929:
	s_delay_alu instid0(SALU_CYCLE_1)
	s_and_not1_b32 vcc_lo, exec_lo, s7
	s_cbranch_vccnz .LBB126_1937
; %bb.1930:
	s_wait_xcnt 0x0
	v_cndmask_b32_e64 v4, 0, 1.0, s18
	v_mov_b32_e32 v5, 0x80
	s_mov_b32 s7, exec_lo
	s_delay_alu instid0(VALU_DEP_2)
	v_cmpx_gt_u32_e32 0x43800000, v4
	s_cbranch_execz .LBB126_1936
; %bb.1931:
	s_mov_b32 s8, 0
	s_mov_b32 s9, exec_lo
                                        ; implicit-def: $vgpr1
	v_cmpx_lt_u32_e32 0x3bffffff, v4
	s_xor_b32 s9, exec_lo, s9
	s_cbranch_execz .LBB126_2112
; %bb.1932:
	v_bfe_u32 v1, v4, 20, 1
	s_mov_b32 s8, exec_lo
	s_delay_alu instid0(VALU_DEP_1) | instskip(NEXT) | instid1(VALU_DEP_1)
	v_add3_u32 v1, v4, v1, 0x487ffff
                                        ; implicit-def: $vgpr4
	v_lshrrev_b32_e32 v1, 20, v1
	s_and_not1_saveexec_b32 s9, s9
	s_cbranch_execnz .LBB126_2113
.LBB126_1933:
	s_or_b32 exec_lo, exec_lo, s9
	v_mov_b32_e32 v5, 0
	s_and_saveexec_b32 s9, s8
.LBB126_1934:
	v_mov_b32_e32 v5, v1
.LBB126_1935:
	s_or_b32 exec_lo, exec_lo, s9
.LBB126_1936:
	s_delay_alu instid0(SALU_CYCLE_1)
	s_or_b32 exec_lo, exec_lo, s7
	global_store_b8 v[2:3], v5, off
.LBB126_1937:
	s_mov_b32 s7, -1
.LBB126_1938:
	s_mov_b32 s8, 0
.LBB126_1939:
	s_delay_alu instid0(SALU_CYCLE_1)
	s_and_b32 vcc_lo, exec_lo, s8
	s_cbranch_vccz .LBB126_1979
; %bb.1940:
	s_cmp_gt_i32 s3, 22
	s_mov_b32 s6, -1
	s_cbranch_scc0 .LBB126_1972
; %bb.1941:
	s_cmp_lt_i32 s3, 24
	s_cbranch_scc1 .LBB126_1961
; %bb.1942:
	s_cmp_gt_i32 s3, 24
	s_cbranch_scc0 .LBB126_1950
; %bb.1943:
	s_wait_xcnt 0x0
	v_cndmask_b32_e64 v4, 0, 1.0, s18
	v_mov_b32_e32 v5, 0x80
	s_mov_b32 s6, exec_lo
	s_delay_alu instid0(VALU_DEP_2)
	v_cmpx_gt_u32_e32 0x47800000, v4
	s_cbranch_execz .LBB126_1949
; %bb.1944:
	s_mov_b32 s7, 0
	s_mov_b32 s8, exec_lo
                                        ; implicit-def: $vgpr1
	v_cmpx_lt_u32_e32 0x37ffffff, v4
	s_xor_b32 s8, exec_lo, s8
	s_cbranch_execz .LBB126_2115
; %bb.1945:
	v_bfe_u32 v1, v4, 21, 1
	s_mov_b32 s7, exec_lo
	s_delay_alu instid0(VALU_DEP_1) | instskip(NEXT) | instid1(VALU_DEP_1)
	v_add3_u32 v1, v4, v1, 0x88fffff
                                        ; implicit-def: $vgpr4
	v_lshrrev_b32_e32 v1, 21, v1
	s_and_not1_saveexec_b32 s8, s8
	s_cbranch_execnz .LBB126_2116
.LBB126_1946:
	s_or_b32 exec_lo, exec_lo, s8
	v_mov_b32_e32 v5, 0
	s_and_saveexec_b32 s8, s7
.LBB126_1947:
	v_mov_b32_e32 v5, v1
.LBB126_1948:
	s_or_b32 exec_lo, exec_lo, s8
.LBB126_1949:
	s_delay_alu instid0(SALU_CYCLE_1)
	s_or_b32 exec_lo, exec_lo, s6
	s_mov_b32 s6, 0
	global_store_b8 v[2:3], v5, off
.LBB126_1950:
	s_and_b32 vcc_lo, exec_lo, s6
	s_cbranch_vccz .LBB126_1960
; %bb.1951:
	s_wait_xcnt 0x0
	v_cndmask_b32_e64 v4, 0, 1.0, s18
	s_mov_b32 s6, exec_lo
                                        ; implicit-def: $vgpr1
	s_delay_alu instid0(VALU_DEP_1)
	v_cmpx_gt_u32_e32 0x43f00000, v4
	s_xor_b32 s6, exec_lo, s6
	s_cbranch_execz .LBB126_1957
; %bb.1952:
	s_mov_b32 s7, exec_lo
                                        ; implicit-def: $vgpr1
	v_cmpx_lt_u32_e32 0x3c7fffff, v4
	s_xor_b32 s7, exec_lo, s7
; %bb.1953:
	v_bfe_u32 v1, v4, 20, 1
	s_delay_alu instid0(VALU_DEP_1) | instskip(NEXT) | instid1(VALU_DEP_1)
	v_add3_u32 v1, v4, v1, 0x407ffff
	v_and_b32_e32 v4, 0xff00000, v1
	v_lshrrev_b32_e32 v1, 20, v1
	s_delay_alu instid0(VALU_DEP_2) | instskip(NEXT) | instid1(VALU_DEP_2)
	v_cmp_ne_u32_e32 vcc_lo, 0x7f00000, v4
                                        ; implicit-def: $vgpr4
	v_cndmask_b32_e32 v1, 0x7e, v1, vcc_lo
; %bb.1954:
	s_and_not1_saveexec_b32 s7, s7
; %bb.1955:
	v_add_f32_e32 v1, 0x46800000, v4
; %bb.1956:
	s_or_b32 exec_lo, exec_lo, s7
                                        ; implicit-def: $vgpr4
.LBB126_1957:
	s_and_not1_saveexec_b32 s6, s6
; %bb.1958:
	v_mov_b32_e32 v1, 0x7f
	v_cmp_lt_u32_e32 vcc_lo, 0x7f800000, v4
	s_delay_alu instid0(VALU_DEP_2)
	v_cndmask_b32_e32 v1, 0x7e, v1, vcc_lo
; %bb.1959:
	s_or_b32 exec_lo, exec_lo, s6
	global_store_b8 v[2:3], v1, off
.LBB126_1960:
	s_mov_b32 s6, 0
.LBB126_1961:
	s_delay_alu instid0(SALU_CYCLE_1)
	s_and_not1_b32 vcc_lo, exec_lo, s6
	s_cbranch_vccnz .LBB126_1971
; %bb.1962:
	s_wait_xcnt 0x0
	v_cndmask_b32_e64 v4, 0, 1.0, s18
	s_mov_b32 s6, exec_lo
                                        ; implicit-def: $vgpr1
	s_delay_alu instid0(VALU_DEP_1)
	v_cmpx_gt_u32_e32 0x47800000, v4
	s_xor_b32 s6, exec_lo, s6
	s_cbranch_execz .LBB126_1968
; %bb.1963:
	s_mov_b32 s7, exec_lo
                                        ; implicit-def: $vgpr1
	v_cmpx_lt_u32_e32 0x387fffff, v4
	s_xor_b32 s7, exec_lo, s7
; %bb.1964:
	v_bfe_u32 v1, v4, 21, 1
	s_delay_alu instid0(VALU_DEP_1) | instskip(NEXT) | instid1(VALU_DEP_1)
	v_add3_u32 v1, v4, v1, 0x80fffff
                                        ; implicit-def: $vgpr4
	v_lshrrev_b32_e32 v1, 21, v1
; %bb.1965:
	s_and_not1_saveexec_b32 s7, s7
; %bb.1966:
	v_add_f32_e32 v1, 0x43000000, v4
; %bb.1967:
	s_or_b32 exec_lo, exec_lo, s7
                                        ; implicit-def: $vgpr4
.LBB126_1968:
	s_and_not1_saveexec_b32 s6, s6
; %bb.1969:
	v_mov_b32_e32 v1, 0x7f
	v_cmp_lt_u32_e32 vcc_lo, 0x7f800000, v4
	s_delay_alu instid0(VALU_DEP_2)
	v_cndmask_b32_e32 v1, 0x7c, v1, vcc_lo
; %bb.1970:
	s_or_b32 exec_lo, exec_lo, s6
	global_store_b8 v[2:3], v1, off
.LBB126_1971:
	s_mov_b32 s6, 0
	s_mov_b32 s7, -1
.LBB126_1972:
	s_and_not1_b32 vcc_lo, exec_lo, s6
	s_mov_b32 s6, 0
	s_cbranch_vccnz .LBB126_1979
; %bb.1973:
	s_cmp_gt_i32 s3, 14
	s_mov_b32 s6, -1
	s_cbranch_scc0 .LBB126_1977
; %bb.1974:
	s_cmp_eq_u32 s3, 15
	s_mov_b32 s0, -1
	s_cbranch_scc0 .LBB126_1976
; %bb.1975:
	s_wait_xcnt 0x0
	v_cndmask_b32_e64 v1, 0, 1.0, s18
	s_mov_b32 s0, 0
	s_mov_b32 s7, -1
	s_delay_alu instid0(VALU_DEP_1) | instskip(NEXT) | instid1(VALU_DEP_1)
	v_bfe_u32 v4, v1, 16, 1
	v_add3_u32 v1, v1, v4, 0x7fff
	global_store_d16_hi_b16 v[2:3], v1, off
.LBB126_1976:
	s_mov_b32 s6, 0
.LBB126_1977:
	s_delay_alu instid0(SALU_CYCLE_1)
	s_and_b32 vcc_lo, exec_lo, s6
	s_mov_b32 s6, 0
	s_cbranch_vccz .LBB126_1979
; %bb.1978:
	s_cmp_lg_u32 s3, 11
	s_mov_b32 s6, -1
	s_cselect_b32 s0, -1, 0
.LBB126_1979:
	s_delay_alu instid0(SALU_CYCLE_1)
	s_and_b32 vcc_lo, exec_lo, s0
	s_cbranch_vccnz .LBB126_2114
; %bb.1980:
	s_and_not1_b32 vcc_lo, exec_lo, s6
	s_cbranch_vccnz .LBB126_1982
.LBB126_1981:
	s_wait_xcnt 0x0
	v_cndmask_b32_e64 v1, 0, 1, s18
	s_mov_b32 s7, -1
	global_store_b8 v[2:3], v1, off
.LBB126_1982:
	s_mov_b32 s0, 0
	s_branch .LBB126_1984
.LBB126_1983:
	s_mov_b32 s0, -1
	s_mov_b32 s7, 0
.LBB126_1984:
	s_and_b32 vcc_lo, exec_lo, s0
	s_cbranch_vccz .LBB126_2023
; %bb.1985:
	s_and_b32 s0, 0xffff, s19
	s_mov_b32 s3, -1
	s_cmp_lt_i32 s0, 5
	s_cbranch_scc1 .LBB126_2006
; %bb.1986:
	s_cmp_lt_i32 s0, 8
	s_cbranch_scc1 .LBB126_1996
; %bb.1987:
	;; [unrolled: 3-line block ×3, first 2 shown]
	s_cmp_gt_i32 s0, 9
	s_cbranch_scc0 .LBB126_1990
; %bb.1989:
	s_wait_xcnt 0x0
	v_cndmask_b32_e64 v1, 0, 1, s18
	v_mov_b32_e32 v6, 0
	s_mov_b32 s3, 0
	s_delay_alu instid0(VALU_DEP_2) | instskip(NEXT) | instid1(VALU_DEP_2)
	v_cvt_f64_u32_e32 v[4:5], v1
	v_mov_b32_e32 v7, v6
	global_store_b128 v[2:3], v[4:7], off
.LBB126_1990:
	s_and_not1_b32 vcc_lo, exec_lo, s3
	s_cbranch_vccnz .LBB126_1992
; %bb.1991:
	s_wait_xcnt 0x0
	v_cndmask_b32_e64 v4, 0, 1.0, s18
	v_mov_b32_e32 v5, 0
	global_store_b64 v[2:3], v[4:5], off
.LBB126_1992:
	s_mov_b32 s3, 0
.LBB126_1993:
	s_delay_alu instid0(SALU_CYCLE_1)
	s_and_not1_b32 vcc_lo, exec_lo, s3
	s_cbranch_vccnz .LBB126_1995
; %bb.1994:
	s_wait_xcnt 0x0
	v_cndmask_b32_e64 v1, 0, 1.0, s18
	s_delay_alu instid0(VALU_DEP_1) | instskip(NEXT) | instid1(VALU_DEP_1)
	v_cvt_f16_f32_e32 v1, v1
	v_and_b32_e32 v1, 0xffff, v1
	global_store_b32 v[2:3], v1, off
.LBB126_1995:
	s_mov_b32 s3, 0
.LBB126_1996:
	s_delay_alu instid0(SALU_CYCLE_1)
	s_and_not1_b32 vcc_lo, exec_lo, s3
	s_cbranch_vccnz .LBB126_2005
; %bb.1997:
	s_cmp_lt_i32 s0, 6
	s_mov_b32 s3, -1
	s_cbranch_scc1 .LBB126_2003
; %bb.1998:
	s_cmp_gt_i32 s0, 6
	s_cbranch_scc0 .LBB126_2000
; %bb.1999:
	s_wait_xcnt 0x0
	v_cndmask_b32_e64 v1, 0, 1, s18
	s_mov_b32 s3, 0
	s_delay_alu instid0(VALU_DEP_1)
	v_cvt_f64_u32_e32 v[4:5], v1
	global_store_b64 v[2:3], v[4:5], off
.LBB126_2000:
	s_and_not1_b32 vcc_lo, exec_lo, s3
	s_cbranch_vccnz .LBB126_2002
; %bb.2001:
	s_wait_xcnt 0x0
	v_cndmask_b32_e64 v1, 0, 1.0, s18
	global_store_b32 v[2:3], v1, off
.LBB126_2002:
	s_mov_b32 s3, 0
.LBB126_2003:
	s_delay_alu instid0(SALU_CYCLE_1)
	s_and_not1_b32 vcc_lo, exec_lo, s3
	s_cbranch_vccnz .LBB126_2005
; %bb.2004:
	s_wait_xcnt 0x0
	v_cndmask_b32_e64 v1, 0, 1.0, s18
	s_delay_alu instid0(VALU_DEP_1)
	v_cvt_f16_f32_e32 v1, v1
	global_store_b16 v[2:3], v1, off
.LBB126_2005:
	s_mov_b32 s3, 0
.LBB126_2006:
	s_delay_alu instid0(SALU_CYCLE_1)
	s_and_not1_b32 vcc_lo, exec_lo, s3
	s_cbranch_vccnz .LBB126_2022
; %bb.2007:
	s_cmp_lt_i32 s0, 2
	s_mov_b32 s3, -1
	s_cbranch_scc1 .LBB126_2017
; %bb.2008:
	s_cmp_lt_i32 s0, 3
	s_cbranch_scc1 .LBB126_2014
; %bb.2009:
	s_cmp_gt_i32 s0, 3
	s_cbranch_scc0 .LBB126_2011
; %bb.2010:
	s_mov_b32 s3, 0
	s_wait_xcnt 0x0
	v_cndmask_b32_e64 v4, 0, 1, s18
	v_mov_b32_e32 v5, s3
	global_store_b64 v[2:3], v[4:5], off
.LBB126_2011:
	s_and_not1_b32 vcc_lo, exec_lo, s3
	s_cbranch_vccnz .LBB126_2013
; %bb.2012:
	s_wait_xcnt 0x0
	v_cndmask_b32_e64 v1, 0, 1, s18
	global_store_b32 v[2:3], v1, off
.LBB126_2013:
	s_mov_b32 s3, 0
.LBB126_2014:
	s_delay_alu instid0(SALU_CYCLE_1)
	s_and_not1_b32 vcc_lo, exec_lo, s3
	s_cbranch_vccnz .LBB126_2016
; %bb.2015:
	s_wait_xcnt 0x0
	v_cndmask_b32_e64 v1, 0, 1, s18
	global_store_b16 v[2:3], v1, off
.LBB126_2016:
	s_mov_b32 s3, 0
.LBB126_2017:
	s_delay_alu instid0(SALU_CYCLE_1)
	s_and_not1_b32 vcc_lo, exec_lo, s3
	s_cbranch_vccnz .LBB126_2022
; %bb.2018:
	s_wait_xcnt 0x0
	v_cndmask_b32_e64 v1, 0, 1, s18
	s_cmp_gt_i32 s0, 0
	s_mov_b32 s0, -1
	s_cbranch_scc0 .LBB126_2020
; %bb.2019:
	s_mov_b32 s0, 0
	global_store_b8 v[2:3], v1, off
.LBB126_2020:
	s_and_not1_b32 vcc_lo, exec_lo, s0
	s_cbranch_vccnz .LBB126_2022
; %bb.2021:
	global_store_b8 v[2:3], v1, off
.LBB126_2022:
	s_mov_b32 s7, -1
.LBB126_2023:
	s_delay_alu instid0(SALU_CYCLE_1)
	s_and_not1_b32 vcc_lo, exec_lo, s7
	s_cbranch_vccnz .LBB126_2100
; %bb.2024:
	v_add_nc_u32_e32 v0, s2, v0
	s_cmp_lt_i32 s19, 11
	s_wait_xcnt 0x0
	s_delay_alu instid0(VALU_DEP_1) | instskip(NEXT) | instid1(VALU_DEP_1)
	v_ashrrev_i32_e32 v1, 31, v0
	v_add_nc_u64_e32 v[0:1], s[4:5], v[0:1]
	s_cbranch_scc1 .LBB126_2101
; %bb.2025:
	s_and_b32 s2, 0xffff, s19
	s_mov_b32 s4, -1
	s_mov_b32 s3, 0
	s_cmp_gt_i32 s2, 25
	s_mov_b32 s0, 0
	s_cbranch_scc0 .LBB126_2058
; %bb.2026:
	s_cmp_gt_i32 s2, 28
	s_cbranch_scc0 .LBB126_2042
; %bb.2027:
	s_cmp_gt_i32 s2, 43
	;; [unrolled: 3-line block ×3, first 2 shown]
	s_cbranch_scc0 .LBB126_2032
; %bb.2029:
	s_cmp_eq_u32 s2, 46
	s_mov_b32 s0, -1
	s_cbranch_scc0 .LBB126_2031
; %bb.2030:
	v_cndmask_b32_e64 v2, 0, 1.0, s17
	s_mov_b32 s0, 0
	s_delay_alu instid0(VALU_DEP_1) | instskip(NEXT) | instid1(VALU_DEP_1)
	v_bfe_u32 v3, v2, 16, 1
	v_add3_u32 v2, v2, v3, 0x7fff
	s_delay_alu instid0(VALU_DEP_1)
	v_lshrrev_b32_e32 v2, 16, v2
	global_store_b32 v[0:1], v2, off
.LBB126_2031:
	s_mov_b32 s4, 0
.LBB126_2032:
	s_delay_alu instid0(SALU_CYCLE_1)
	s_and_b32 vcc_lo, exec_lo, s4
	s_cbranch_vccz .LBB126_2037
; %bb.2033:
	s_cmp_eq_u32 s2, 44
	s_mov_b32 s0, -1
	s_cbranch_scc0 .LBB126_2037
; %bb.2034:
	v_cndmask_b32_e64 v4, 0, 1.0, s17
	s_mov_b32 s4, exec_lo
	s_wait_xcnt 0x0
	s_delay_alu instid0(VALU_DEP_1) | instskip(NEXT) | instid1(VALU_DEP_1)
	v_dual_mov_b32 v3, 0xff :: v_dual_lshrrev_b32 v2, 23, v4
	v_cmpx_ne_u32_e32 0xff, v2
; %bb.2035:
	v_and_b32_e32 v3, 0x400000, v4
	v_and_or_b32 v4, 0x3fffff, v4, v2
	s_delay_alu instid0(VALU_DEP_2) | instskip(NEXT) | instid1(VALU_DEP_2)
	v_cmp_ne_u32_e32 vcc_lo, 0, v3
	v_cmp_ne_u32_e64 s0, 0, v4
	s_and_b32 s0, vcc_lo, s0
	s_delay_alu instid0(SALU_CYCLE_1) | instskip(NEXT) | instid1(VALU_DEP_1)
	v_cndmask_b32_e64 v3, 0, 1, s0
	v_add_nc_u32_e32 v3, v2, v3
; %bb.2036:
	s_or_b32 exec_lo, exec_lo, s4
	s_mov_b32 s0, 0
	global_store_b8 v[0:1], v3, off
.LBB126_2037:
	s_mov_b32 s4, 0
.LBB126_2038:
	s_delay_alu instid0(SALU_CYCLE_1)
	s_and_b32 vcc_lo, exec_lo, s4
	s_cbranch_vccz .LBB126_2041
; %bb.2039:
	s_cmp_eq_u32 s2, 29
	s_mov_b32 s0, -1
	s_cbranch_scc0 .LBB126_2041
; %bb.2040:
	s_mov_b32 s0, 0
	s_wait_xcnt 0x0
	v_cndmask_b32_e64 v2, 0, 1, s17
	v_mov_b32_e32 v3, s0
	global_store_b64 v[0:1], v[2:3], off
.LBB126_2041:
	s_mov_b32 s4, 0
.LBB126_2042:
	s_delay_alu instid0(SALU_CYCLE_1)
	s_and_b32 vcc_lo, exec_lo, s4
	s_cbranch_vccz .LBB126_2057
; %bb.2043:
	s_cmp_lt_i32 s2, 27
	s_mov_b32 s4, -1
	s_cbranch_scc1 .LBB126_2049
; %bb.2044:
	s_wait_xcnt 0x0
	v_cndmask_b32_e64 v2, 0, 1, s17
	s_cmp_gt_i32 s2, 27
	s_cbranch_scc0 .LBB126_2046
; %bb.2045:
	s_mov_b32 s4, 0
	global_store_b32 v[0:1], v2, off
.LBB126_2046:
	s_and_not1_b32 vcc_lo, exec_lo, s4
	s_cbranch_vccnz .LBB126_2048
; %bb.2047:
	global_store_b16 v[0:1], v2, off
.LBB126_2048:
	s_mov_b32 s4, 0
.LBB126_2049:
	s_delay_alu instid0(SALU_CYCLE_1)
	s_and_not1_b32 vcc_lo, exec_lo, s4
	s_cbranch_vccnz .LBB126_2057
; %bb.2050:
	s_wait_xcnt 0x0
	v_cndmask_b32_e64 v3, 0, 1.0, s17
	v_mov_b32_e32 v4, 0x80
	s_mov_b32 s4, exec_lo
	s_delay_alu instid0(VALU_DEP_2)
	v_cmpx_gt_u32_e32 0x43800000, v3
	s_cbranch_execz .LBB126_2056
; %bb.2051:
	s_mov_b32 s5, 0
	s_mov_b32 s6, exec_lo
                                        ; implicit-def: $vgpr2
	v_cmpx_lt_u32_e32 0x3bffffff, v3
	s_xor_b32 s6, exec_lo, s6
	s_cbranch_execz .LBB126_2117
; %bb.2052:
	v_bfe_u32 v2, v3, 20, 1
	s_mov_b32 s5, exec_lo
	s_delay_alu instid0(VALU_DEP_1) | instskip(NEXT) | instid1(VALU_DEP_1)
	v_add3_u32 v2, v3, v2, 0x487ffff
                                        ; implicit-def: $vgpr3
	v_lshrrev_b32_e32 v2, 20, v2
	s_and_not1_saveexec_b32 s6, s6
	s_cbranch_execnz .LBB126_2118
.LBB126_2053:
	s_or_b32 exec_lo, exec_lo, s6
	v_mov_b32_e32 v4, 0
	s_and_saveexec_b32 s6, s5
.LBB126_2054:
	v_mov_b32_e32 v4, v2
.LBB126_2055:
	s_or_b32 exec_lo, exec_lo, s6
.LBB126_2056:
	s_delay_alu instid0(SALU_CYCLE_1)
	s_or_b32 exec_lo, exec_lo, s4
	global_store_b8 v[0:1], v4, off
.LBB126_2057:
	s_mov_b32 s4, 0
.LBB126_2058:
	s_delay_alu instid0(SALU_CYCLE_1)
	s_and_b32 vcc_lo, exec_lo, s4
	s_cbranch_vccz .LBB126_2098
; %bb.2059:
	s_cmp_gt_i32 s2, 22
	s_mov_b32 s3, -1
	s_cbranch_scc0 .LBB126_2091
; %bb.2060:
	s_cmp_lt_i32 s2, 24
	s_cbranch_scc1 .LBB126_2080
; %bb.2061:
	s_cmp_gt_i32 s2, 24
	s_cbranch_scc0 .LBB126_2069
; %bb.2062:
	s_wait_xcnt 0x0
	v_cndmask_b32_e64 v3, 0, 1.0, s17
	v_mov_b32_e32 v4, 0x80
	s_mov_b32 s3, exec_lo
	s_delay_alu instid0(VALU_DEP_2)
	v_cmpx_gt_u32_e32 0x47800000, v3
	s_cbranch_execz .LBB126_2068
; %bb.2063:
	s_mov_b32 s4, 0
	s_mov_b32 s5, exec_lo
                                        ; implicit-def: $vgpr2
	v_cmpx_lt_u32_e32 0x37ffffff, v3
	s_xor_b32 s5, exec_lo, s5
	s_cbranch_execz .LBB126_2120
; %bb.2064:
	v_bfe_u32 v2, v3, 21, 1
	s_mov_b32 s4, exec_lo
	s_delay_alu instid0(VALU_DEP_1) | instskip(NEXT) | instid1(VALU_DEP_1)
	v_add3_u32 v2, v3, v2, 0x88fffff
                                        ; implicit-def: $vgpr3
	v_lshrrev_b32_e32 v2, 21, v2
	s_and_not1_saveexec_b32 s5, s5
	s_cbranch_execnz .LBB126_2121
.LBB126_2065:
	s_or_b32 exec_lo, exec_lo, s5
	v_mov_b32_e32 v4, 0
	s_and_saveexec_b32 s5, s4
.LBB126_2066:
	v_mov_b32_e32 v4, v2
.LBB126_2067:
	s_or_b32 exec_lo, exec_lo, s5
.LBB126_2068:
	s_delay_alu instid0(SALU_CYCLE_1)
	s_or_b32 exec_lo, exec_lo, s3
	s_mov_b32 s3, 0
	global_store_b8 v[0:1], v4, off
.LBB126_2069:
	s_and_b32 vcc_lo, exec_lo, s3
	s_cbranch_vccz .LBB126_2079
; %bb.2070:
	s_wait_xcnt 0x0
	v_cndmask_b32_e64 v3, 0, 1.0, s17
	s_mov_b32 s3, exec_lo
                                        ; implicit-def: $vgpr2
	s_delay_alu instid0(VALU_DEP_1)
	v_cmpx_gt_u32_e32 0x43f00000, v3
	s_xor_b32 s3, exec_lo, s3
	s_cbranch_execz .LBB126_2076
; %bb.2071:
	s_mov_b32 s4, exec_lo
                                        ; implicit-def: $vgpr2
	v_cmpx_lt_u32_e32 0x3c7fffff, v3
	s_xor_b32 s4, exec_lo, s4
; %bb.2072:
	v_bfe_u32 v2, v3, 20, 1
	s_delay_alu instid0(VALU_DEP_1) | instskip(NEXT) | instid1(VALU_DEP_1)
	v_add3_u32 v2, v3, v2, 0x407ffff
	v_and_b32_e32 v3, 0xff00000, v2
	v_lshrrev_b32_e32 v2, 20, v2
	s_delay_alu instid0(VALU_DEP_2) | instskip(NEXT) | instid1(VALU_DEP_2)
	v_cmp_ne_u32_e32 vcc_lo, 0x7f00000, v3
                                        ; implicit-def: $vgpr3
	v_cndmask_b32_e32 v2, 0x7e, v2, vcc_lo
; %bb.2073:
	s_and_not1_saveexec_b32 s4, s4
; %bb.2074:
	v_add_f32_e32 v2, 0x46800000, v3
; %bb.2075:
	s_or_b32 exec_lo, exec_lo, s4
                                        ; implicit-def: $vgpr3
.LBB126_2076:
	s_and_not1_saveexec_b32 s3, s3
; %bb.2077:
	v_mov_b32_e32 v2, 0x7f
	v_cmp_lt_u32_e32 vcc_lo, 0x7f800000, v3
	s_delay_alu instid0(VALU_DEP_2)
	v_cndmask_b32_e32 v2, 0x7e, v2, vcc_lo
; %bb.2078:
	s_or_b32 exec_lo, exec_lo, s3
	global_store_b8 v[0:1], v2, off
.LBB126_2079:
	s_mov_b32 s3, 0
.LBB126_2080:
	s_delay_alu instid0(SALU_CYCLE_1)
	s_and_not1_b32 vcc_lo, exec_lo, s3
	s_cbranch_vccnz .LBB126_2090
; %bb.2081:
	s_wait_xcnt 0x0
	v_cndmask_b32_e64 v3, 0, 1.0, s17
	s_mov_b32 s3, exec_lo
                                        ; implicit-def: $vgpr2
	s_delay_alu instid0(VALU_DEP_1)
	v_cmpx_gt_u32_e32 0x47800000, v3
	s_xor_b32 s3, exec_lo, s3
	s_cbranch_execz .LBB126_2087
; %bb.2082:
	s_mov_b32 s4, exec_lo
                                        ; implicit-def: $vgpr2
	v_cmpx_lt_u32_e32 0x387fffff, v3
	s_xor_b32 s4, exec_lo, s4
; %bb.2083:
	v_bfe_u32 v2, v3, 21, 1
	s_delay_alu instid0(VALU_DEP_1) | instskip(NEXT) | instid1(VALU_DEP_1)
	v_add3_u32 v2, v3, v2, 0x80fffff
                                        ; implicit-def: $vgpr3
	v_lshrrev_b32_e32 v2, 21, v2
; %bb.2084:
	s_and_not1_saveexec_b32 s4, s4
; %bb.2085:
	v_add_f32_e32 v2, 0x43000000, v3
; %bb.2086:
	s_or_b32 exec_lo, exec_lo, s4
                                        ; implicit-def: $vgpr3
.LBB126_2087:
	s_and_not1_saveexec_b32 s3, s3
; %bb.2088:
	v_mov_b32_e32 v2, 0x7f
	v_cmp_lt_u32_e32 vcc_lo, 0x7f800000, v3
	s_delay_alu instid0(VALU_DEP_2)
	v_cndmask_b32_e32 v2, 0x7c, v2, vcc_lo
; %bb.2089:
	s_or_b32 exec_lo, exec_lo, s3
	global_store_b8 v[0:1], v2, off
.LBB126_2090:
	s_mov_b32 s3, 0
.LBB126_2091:
	s_delay_alu instid0(SALU_CYCLE_1)
	s_and_not1_b32 vcc_lo, exec_lo, s3
	s_mov_b32 s3, 0
	s_cbranch_vccnz .LBB126_2098
; %bb.2092:
	s_cmp_gt_i32 s2, 14
	s_mov_b32 s3, -1
	s_cbranch_scc0 .LBB126_2096
; %bb.2093:
	s_cmp_eq_u32 s2, 15
	s_mov_b32 s0, -1
	s_cbranch_scc0 .LBB126_2095
; %bb.2094:
	s_wait_xcnt 0x0
	v_cndmask_b32_e64 v2, 0, 1.0, s17
	s_mov_b32 s0, 0
	s_delay_alu instid0(VALU_DEP_1) | instskip(NEXT) | instid1(VALU_DEP_1)
	v_bfe_u32 v3, v2, 16, 1
	v_add3_u32 v2, v2, v3, 0x7fff
	global_store_d16_hi_b16 v[0:1], v2, off
.LBB126_2095:
	s_mov_b32 s3, 0
.LBB126_2096:
	s_delay_alu instid0(SALU_CYCLE_1)
	s_and_b32 vcc_lo, exec_lo, s3
	s_mov_b32 s3, 0
	s_cbranch_vccz .LBB126_2098
; %bb.2097:
	s_cmp_lg_u32 s2, 11
	s_mov_b32 s3, -1
	s_cselect_b32 s0, -1, 0
.LBB126_2098:
	s_delay_alu instid0(SALU_CYCLE_1)
	s_and_b32 vcc_lo, exec_lo, s0
	s_cbranch_vccnz .LBB126_2119
.LBB126_2099:
	s_mov_b32 s0, 0
	s_branch .LBB126_1620
.LBB126_2100:
	s_mov_b32 s0, 0
	s_mov_b32 s3, 0
	s_branch .LBB126_1619
.LBB126_2101:
	s_mov_b32 s3, 0
	s_mov_b32 s0, -1
	s_branch .LBB126_1620
.LBB126_2102:
	s_and_not1_saveexec_b32 s10, s10
	s_cbranch_execz .LBB126_1695
.LBB126_2103:
	v_add_f32_e32 v1, 0x46000000, v4
	s_and_not1_b32 s9, s9, exec_lo
	s_delay_alu instid0(VALU_DEP_1) | instskip(NEXT) | instid1(VALU_DEP_1)
	v_and_b32_e32 v1, 0xff, v1
	v_cmp_ne_u32_e32 vcc_lo, 0, v1
	s_and_b32 s11, vcc_lo, exec_lo
	s_delay_alu instid0(SALU_CYCLE_1)
	s_or_b32 s9, s9, s11
	s_or_b32 exec_lo, exec_lo, s10
	v_mov_b32_e32 v5, 0
	s_and_saveexec_b32 s10, s9
	s_cbranch_execnz .LBB126_1696
	s_branch .LBB126_1697
.LBB126_2104:
	s_or_b32 s1, s1, exec_lo
	s_trap 2
	s_cbranch_execz .LBB126_1743
	s_branch .LBB126_1744
.LBB126_2105:
	s_and_not1_saveexec_b32 s9, s9
	s_cbranch_execz .LBB126_1708
.LBB126_2106:
	v_add_f32_e32 v1, 0x42800000, v4
	s_and_not1_b32 s8, s8, exec_lo
	s_delay_alu instid0(VALU_DEP_1) | instskip(NEXT) | instid1(VALU_DEP_1)
	v_and_b32_e32 v1, 0xff, v1
	v_cmp_ne_u32_e32 vcc_lo, 0, v1
	s_and_b32 s10, vcc_lo, exec_lo
	s_delay_alu instid0(SALU_CYCLE_1)
	s_or_b32 s8, s8, s10
	s_or_b32 exec_lo, exec_lo, s9
	v_mov_b32_e32 v5, 0
	s_and_saveexec_b32 s9, s8
	s_cbranch_execnz .LBB126_1709
	s_branch .LBB126_1710
.LBB126_2107:
	s_and_not1_saveexec_b32 s10, s10
	s_cbranch_execz .LBB126_1814
.LBB126_2108:
	v_add_f32_e32 v1, 0x46000000, v4
	s_and_not1_b32 s9, s9, exec_lo
	s_delay_alu instid0(VALU_DEP_1) | instskip(NEXT) | instid1(VALU_DEP_1)
	v_and_b32_e32 v1, 0xff, v1
	v_cmp_ne_u32_e32 vcc_lo, 0, v1
	s_and_b32 s11, vcc_lo, exec_lo
	s_delay_alu instid0(SALU_CYCLE_1)
	s_or_b32 s9, s9, s11
	s_or_b32 exec_lo, exec_lo, s10
	v_mov_b32_e32 v5, 0
	s_and_saveexec_b32 s10, s9
	s_cbranch_execnz .LBB126_1815
	s_branch .LBB126_1816
.LBB126_2109:
	s_or_b32 s1, s1, exec_lo
	s_trap 2
	s_cbranch_execz .LBB126_1862
	s_branch .LBB126_1863
.LBB126_2110:
	s_and_not1_saveexec_b32 s9, s9
	s_cbranch_execz .LBB126_1827
.LBB126_2111:
	v_add_f32_e32 v1, 0x42800000, v4
	s_and_not1_b32 s8, s8, exec_lo
	s_delay_alu instid0(VALU_DEP_1) | instskip(NEXT) | instid1(VALU_DEP_1)
	v_and_b32_e32 v1, 0xff, v1
	v_cmp_ne_u32_e32 vcc_lo, 0, v1
	s_and_b32 s10, vcc_lo, exec_lo
	s_delay_alu instid0(SALU_CYCLE_1)
	s_or_b32 s8, s8, s10
	s_or_b32 exec_lo, exec_lo, s9
	v_mov_b32_e32 v5, 0
	s_and_saveexec_b32 s9, s8
	s_cbranch_execnz .LBB126_1828
	s_branch .LBB126_1829
.LBB126_2112:
	s_and_not1_saveexec_b32 s9, s9
	s_cbranch_execz .LBB126_1933
.LBB126_2113:
	v_add_f32_e32 v1, 0x46000000, v4
	s_and_not1_b32 s8, s8, exec_lo
	s_delay_alu instid0(VALU_DEP_1) | instskip(NEXT) | instid1(VALU_DEP_1)
	v_and_b32_e32 v1, 0xff, v1
	v_cmp_ne_u32_e32 vcc_lo, 0, v1
	s_and_b32 s10, vcc_lo, exec_lo
	s_delay_alu instid0(SALU_CYCLE_1)
	s_or_b32 s8, s8, s10
	s_or_b32 exec_lo, exec_lo, s9
	v_mov_b32_e32 v5, 0
	s_and_saveexec_b32 s9, s8
	s_cbranch_execnz .LBB126_1934
	s_branch .LBB126_1935
.LBB126_2114:
	s_or_b32 s1, s1, exec_lo
	s_trap 2
	s_cbranch_execz .LBB126_1981
	s_branch .LBB126_1982
.LBB126_2115:
	s_and_not1_saveexec_b32 s8, s8
	s_cbranch_execz .LBB126_1946
.LBB126_2116:
	v_add_f32_e32 v1, 0x42800000, v4
	s_and_not1_b32 s7, s7, exec_lo
	s_delay_alu instid0(VALU_DEP_1) | instskip(NEXT) | instid1(VALU_DEP_1)
	v_and_b32_e32 v1, 0xff, v1
	v_cmp_ne_u32_e32 vcc_lo, 0, v1
	s_and_b32 s9, vcc_lo, exec_lo
	s_delay_alu instid0(SALU_CYCLE_1)
	s_or_b32 s7, s7, s9
	s_or_b32 exec_lo, exec_lo, s8
	v_mov_b32_e32 v5, 0
	s_and_saveexec_b32 s8, s7
	s_cbranch_execnz .LBB126_1947
	s_branch .LBB126_1948
.LBB126_2117:
	s_and_not1_saveexec_b32 s6, s6
	s_cbranch_execz .LBB126_2053
.LBB126_2118:
	v_add_f32_e32 v2, 0x46000000, v3
	s_and_not1_b32 s5, s5, exec_lo
	s_delay_alu instid0(VALU_DEP_1) | instskip(NEXT) | instid1(VALU_DEP_1)
	v_and_b32_e32 v2, 0xff, v2
	v_cmp_ne_u32_e32 vcc_lo, 0, v2
	s_and_b32 s7, vcc_lo, exec_lo
	s_delay_alu instid0(SALU_CYCLE_1)
	s_or_b32 s5, s5, s7
	s_or_b32 exec_lo, exec_lo, s6
	v_mov_b32_e32 v4, 0
	s_and_saveexec_b32 s6, s5
	s_cbranch_execnz .LBB126_2054
	s_branch .LBB126_2055
.LBB126_2119:
	s_mov_b32 s3, 0
	s_or_b32 s1, s1, exec_lo
	s_trap 2
	s_branch .LBB126_2099
.LBB126_2120:
	s_and_not1_saveexec_b32 s5, s5
	s_cbranch_execz .LBB126_2065
.LBB126_2121:
	v_add_f32_e32 v2, 0x42800000, v3
	s_and_not1_b32 s4, s4, exec_lo
	s_delay_alu instid0(VALU_DEP_1) | instskip(NEXT) | instid1(VALU_DEP_1)
	v_and_b32_e32 v2, 0xff, v2
	v_cmp_ne_u32_e32 vcc_lo, 0, v2
	s_and_b32 s6, vcc_lo, exec_lo
	s_delay_alu instid0(SALU_CYCLE_1)
	s_or_b32 s4, s4, s6
	s_or_b32 exec_lo, exec_lo, s5
	v_mov_b32_e32 v4, 0
	s_and_saveexec_b32 s5, s4
	s_cbranch_execnz .LBB126_2066
	s_branch .LBB126_2067
	.section	.rodata,"a",@progbits
	.p2align	6, 0x0
	.amdhsa_kernel _ZN2at6native32elementwise_kernel_manual_unrollILi128ELi4EZNS0_15gpu_kernel_implINS0_13AUnaryFunctorIN3c107complexIdEES6_bNS0_12_GLOBAL__N_116CompareEqFunctorIS6_EEEEEEvRNS_18TensorIteratorBaseERKT_EUlibE_EEviT1_
		.amdhsa_group_segment_fixed_size 0
		.amdhsa_private_segment_fixed_size 0
		.amdhsa_kernarg_size 96
		.amdhsa_user_sgpr_count 2
		.amdhsa_user_sgpr_dispatch_ptr 0
		.amdhsa_user_sgpr_queue_ptr 0
		.amdhsa_user_sgpr_kernarg_segment_ptr 1
		.amdhsa_user_sgpr_dispatch_id 0
		.amdhsa_user_sgpr_kernarg_preload_length 0
		.amdhsa_user_sgpr_kernarg_preload_offset 0
		.amdhsa_user_sgpr_private_segment_size 0
		.amdhsa_wavefront_size32 1
		.amdhsa_uses_dynamic_stack 0
		.amdhsa_enable_private_segment 0
		.amdhsa_system_sgpr_workgroup_id_x 1
		.amdhsa_system_sgpr_workgroup_id_y 0
		.amdhsa_system_sgpr_workgroup_id_z 0
		.amdhsa_system_sgpr_workgroup_info 0
		.amdhsa_system_vgpr_workitem_id 0
		.amdhsa_next_free_vgpr 10
		.amdhsa_next_free_sgpr 34
		.amdhsa_named_barrier_count 0
		.amdhsa_reserve_vcc 1
		.amdhsa_float_round_mode_32 0
		.amdhsa_float_round_mode_16_64 0
		.amdhsa_float_denorm_mode_32 3
		.amdhsa_float_denorm_mode_16_64 3
		.amdhsa_fp16_overflow 0
		.amdhsa_memory_ordered 1
		.amdhsa_forward_progress 1
		.amdhsa_inst_pref_size 255
		.amdhsa_round_robin_scheduling 0
		.amdhsa_exception_fp_ieee_invalid_op 0
		.amdhsa_exception_fp_denorm_src 0
		.amdhsa_exception_fp_ieee_div_zero 0
		.amdhsa_exception_fp_ieee_overflow 0
		.amdhsa_exception_fp_ieee_underflow 0
		.amdhsa_exception_fp_ieee_inexact 0
		.amdhsa_exception_int_div_zero 0
	.end_amdhsa_kernel
	.section	.text._ZN2at6native32elementwise_kernel_manual_unrollILi128ELi4EZNS0_15gpu_kernel_implINS0_13AUnaryFunctorIN3c107complexIdEES6_bNS0_12_GLOBAL__N_116CompareEqFunctorIS6_EEEEEEvRNS_18TensorIteratorBaseERKT_EUlibE_EEviT1_,"axG",@progbits,_ZN2at6native32elementwise_kernel_manual_unrollILi128ELi4EZNS0_15gpu_kernel_implINS0_13AUnaryFunctorIN3c107complexIdEES6_bNS0_12_GLOBAL__N_116CompareEqFunctorIS6_EEEEEEvRNS_18TensorIteratorBaseERKT_EUlibE_EEviT1_,comdat
.Lfunc_end126:
	.size	_ZN2at6native32elementwise_kernel_manual_unrollILi128ELi4EZNS0_15gpu_kernel_implINS0_13AUnaryFunctorIN3c107complexIdEES6_bNS0_12_GLOBAL__N_116CompareEqFunctorIS6_EEEEEEvRNS_18TensorIteratorBaseERKT_EUlibE_EEviT1_, .Lfunc_end126-_ZN2at6native32elementwise_kernel_manual_unrollILi128ELi4EZNS0_15gpu_kernel_implINS0_13AUnaryFunctorIN3c107complexIdEES6_bNS0_12_GLOBAL__N_116CompareEqFunctorIS6_EEEEEEvRNS_18TensorIteratorBaseERKT_EUlibE_EEviT1_
                                        ; -- End function
	.set _ZN2at6native32elementwise_kernel_manual_unrollILi128ELi4EZNS0_15gpu_kernel_implINS0_13AUnaryFunctorIN3c107complexIdEES6_bNS0_12_GLOBAL__N_116CompareEqFunctorIS6_EEEEEEvRNS_18TensorIteratorBaseERKT_EUlibE_EEviT1_.num_vgpr, 10
	.set _ZN2at6native32elementwise_kernel_manual_unrollILi128ELi4EZNS0_15gpu_kernel_implINS0_13AUnaryFunctorIN3c107complexIdEES6_bNS0_12_GLOBAL__N_116CompareEqFunctorIS6_EEEEEEvRNS_18TensorIteratorBaseERKT_EUlibE_EEviT1_.num_agpr, 0
	.set _ZN2at6native32elementwise_kernel_manual_unrollILi128ELi4EZNS0_15gpu_kernel_implINS0_13AUnaryFunctorIN3c107complexIdEES6_bNS0_12_GLOBAL__N_116CompareEqFunctorIS6_EEEEEEvRNS_18TensorIteratorBaseERKT_EUlibE_EEviT1_.numbered_sgpr, 34
	.set _ZN2at6native32elementwise_kernel_manual_unrollILi128ELi4EZNS0_15gpu_kernel_implINS0_13AUnaryFunctorIN3c107complexIdEES6_bNS0_12_GLOBAL__N_116CompareEqFunctorIS6_EEEEEEvRNS_18TensorIteratorBaseERKT_EUlibE_EEviT1_.num_named_barrier, 0
	.set _ZN2at6native32elementwise_kernel_manual_unrollILi128ELi4EZNS0_15gpu_kernel_implINS0_13AUnaryFunctorIN3c107complexIdEES6_bNS0_12_GLOBAL__N_116CompareEqFunctorIS6_EEEEEEvRNS_18TensorIteratorBaseERKT_EUlibE_EEviT1_.private_seg_size, 0
	.set _ZN2at6native32elementwise_kernel_manual_unrollILi128ELi4EZNS0_15gpu_kernel_implINS0_13AUnaryFunctorIN3c107complexIdEES6_bNS0_12_GLOBAL__N_116CompareEqFunctorIS6_EEEEEEvRNS_18TensorIteratorBaseERKT_EUlibE_EEviT1_.uses_vcc, 1
	.set _ZN2at6native32elementwise_kernel_manual_unrollILi128ELi4EZNS0_15gpu_kernel_implINS0_13AUnaryFunctorIN3c107complexIdEES6_bNS0_12_GLOBAL__N_116CompareEqFunctorIS6_EEEEEEvRNS_18TensorIteratorBaseERKT_EUlibE_EEviT1_.uses_flat_scratch, 0
	.set _ZN2at6native32elementwise_kernel_manual_unrollILi128ELi4EZNS0_15gpu_kernel_implINS0_13AUnaryFunctorIN3c107complexIdEES6_bNS0_12_GLOBAL__N_116CompareEqFunctorIS6_EEEEEEvRNS_18TensorIteratorBaseERKT_EUlibE_EEviT1_.has_dyn_sized_stack, 0
	.set _ZN2at6native32elementwise_kernel_manual_unrollILi128ELi4EZNS0_15gpu_kernel_implINS0_13AUnaryFunctorIN3c107complexIdEES6_bNS0_12_GLOBAL__N_116CompareEqFunctorIS6_EEEEEEvRNS_18TensorIteratorBaseERKT_EUlibE_EEviT1_.has_recursion, 0
	.set _ZN2at6native32elementwise_kernel_manual_unrollILi128ELi4EZNS0_15gpu_kernel_implINS0_13AUnaryFunctorIN3c107complexIdEES6_bNS0_12_GLOBAL__N_116CompareEqFunctorIS6_EEEEEEvRNS_18TensorIteratorBaseERKT_EUlibE_EEviT1_.has_indirect_call, 0
	.section	.AMDGPU.csdata,"",@progbits
; Kernel info:
; codeLenInByte = 37328
; TotalNumSgprs: 36
; NumVgprs: 10
; ScratchSize: 0
; MemoryBound: 1
; FloatMode: 240
; IeeeMode: 1
; LDSByteSize: 0 bytes/workgroup (compile time only)
; SGPRBlocks: 0
; VGPRBlocks: 0
; NumSGPRsForWavesPerEU: 36
; NumVGPRsForWavesPerEU: 10
; NamedBarCnt: 0
; Occupancy: 16
; WaveLimiterHint : 0
; COMPUTE_PGM_RSRC2:SCRATCH_EN: 0
; COMPUTE_PGM_RSRC2:USER_SGPR: 2
; COMPUTE_PGM_RSRC2:TRAP_HANDLER: 0
; COMPUTE_PGM_RSRC2:TGID_X_EN: 1
; COMPUTE_PGM_RSRC2:TGID_Y_EN: 0
; COMPUTE_PGM_RSRC2:TGID_Z_EN: 0
; COMPUTE_PGM_RSRC2:TIDIG_COMP_CNT: 0
	.section	.text._ZN2at6native32elementwise_kernel_manual_unrollILi128ELi4EZNS0_15gpu_kernel_implINS0_13AUnaryFunctorIN3c107complexIdEES6_bNS0_12_GLOBAL__N_116CompareEqFunctorIS6_EEEEEEvRNS_18TensorIteratorBaseERKT_EUlibE0_EEviT1_,"axG",@progbits,_ZN2at6native32elementwise_kernel_manual_unrollILi128ELi4EZNS0_15gpu_kernel_implINS0_13AUnaryFunctorIN3c107complexIdEES6_bNS0_12_GLOBAL__N_116CompareEqFunctorIS6_EEEEEEvRNS_18TensorIteratorBaseERKT_EUlibE0_EEviT1_,comdat
	.globl	_ZN2at6native32elementwise_kernel_manual_unrollILi128ELi4EZNS0_15gpu_kernel_implINS0_13AUnaryFunctorIN3c107complexIdEES6_bNS0_12_GLOBAL__N_116CompareEqFunctorIS6_EEEEEEvRNS_18TensorIteratorBaseERKT_EUlibE0_EEviT1_ ; -- Begin function _ZN2at6native32elementwise_kernel_manual_unrollILi128ELi4EZNS0_15gpu_kernel_implINS0_13AUnaryFunctorIN3c107complexIdEES6_bNS0_12_GLOBAL__N_116CompareEqFunctorIS6_EEEEEEvRNS_18TensorIteratorBaseERKT_EUlibE0_EEviT1_
	.p2align	8
	.type	_ZN2at6native32elementwise_kernel_manual_unrollILi128ELi4EZNS0_15gpu_kernel_implINS0_13AUnaryFunctorIN3c107complexIdEES6_bNS0_12_GLOBAL__N_116CompareEqFunctorIS6_EEEEEEvRNS_18TensorIteratorBaseERKT_EUlibE0_EEviT1_,@function
_ZN2at6native32elementwise_kernel_manual_unrollILi128ELi4EZNS0_15gpu_kernel_implINS0_13AUnaryFunctorIN3c107complexIdEES6_bNS0_12_GLOBAL__N_116CompareEqFunctorIS6_EEEEEEvRNS_18TensorIteratorBaseERKT_EUlibE0_EEviT1_: ; @_ZN2at6native32elementwise_kernel_manual_unrollILi128ELi4EZNS0_15gpu_kernel_implINS0_13AUnaryFunctorIN3c107complexIdEES6_bNS0_12_GLOBAL__N_116CompareEqFunctorIS6_EEEEEEvRNS_18TensorIteratorBaseERKT_EUlibE0_EEviT1_
; %bb.0:
	s_clause 0x1
	s_load_b32 s33, s[0:1], 0x10
	s_load_b32 s41, s[0:1], 0x0
	s_bfe_u32 s2, ttmp6, 0x4000c
	s_and_b32 s3, ttmp6, 15
	s_add_co_i32 s2, s2, 1
	s_getreg_b32 s4, hwreg(HW_REG_IB_STS2, 6, 4)
	s_mul_i32 s2, ttmp9, s2
	s_mov_b32 s35, 0
	s_add_co_i32 s3, s3, s2
	s_cmp_eq_u32 s4, 0
	s_mov_b32 s27, -1
	s_cselect_b32 s2, ttmp9, s3
	s_mov_b32 s12, 0
	v_lshl_or_b32 v4, s2, 9, v0
	s_add_nc_u64 s[2:3], s[0:1], 16
	s_wait_xcnt 0x0
	s_mov_b32 s0, exec_lo
	s_delay_alu instid0(VALU_DEP_1) | instskip(SKIP_2) | instid1(SALU_CYCLE_1)
	v_or_b32_e32 v2, 0x180, v4
	s_wait_kmcnt 0x0
	s_add_co_i32 s34, s33, -1
	s_cmp_gt_u32 s34, 1
	s_cselect_b32 s36, -1, 0
	v_cmpx_le_i32_e64 s41, v2
	s_xor_b32 s37, exec_lo, s0
	s_cbranch_execz .LBB127_1132
; %bb.1:
	s_clause 0x6
	s_load_b128 s[12:15], s[2:3], 0x4
	s_load_b32 s38, s[2:3], 0x180
	s_load_b32 s22, s[2:3], 0x160
	s_load_b64 s[0:1], s[2:3], 0x14
	s_load_b128 s[8:11], s[2:3], 0x170
	s_load_b128 s[16:19], s[2:3], 0xc4
	;; [unrolled: 1-line block ×3, first 2 shown]
	s_cmp_lg_u32 s33, 0
	s_mov_b32 s21, 0
	s_cselect_b32 s43, -1, 0
	s_min_u32 s42, s34, 15
	s_cmp_gt_u32 s33, 1
	s_add_nc_u64 s[24:25], s[2:3], 0xc4
	s_cselect_b32 s40, -1, 0
	s_mov_b32 s23, s21
	s_mov_b32 s45, s21
	;; [unrolled: 1-line block ×3, first 2 shown]
	s_mov_b32 s46, exec_lo
	s_wait_kmcnt 0x0
	s_mov_b32 s20, s13
	s_bfe_u32 s39, s38, 0x80008
	s_cmp_lg_u32 s22, 0
	s_mov_b32 s22, s0
	s_cselect_b32 s13, -1, 0
	v_cmpx_gt_i32_e64 s41, v4
	s_cbranch_execz .LBB127_275
; %bb.2:
	s_and_not1_b32 vcc_lo, exec_lo, s36
	s_cbranch_vccnz .LBB127_8
; %bb.3:
	s_and_not1_b32 vcc_lo, exec_lo, s43
	s_cbranch_vccnz .LBB127_9
; %bb.4:
	s_add_co_i32 s0, s42, 1
	s_cmp_eq_u32 s34, 2
	s_cbranch_scc1 .LBB127_10
; %bb.5:
	v_dual_mov_b32 v6, 0 :: v_dual_mov_b32 v0, 0
	v_mov_b32_e32 v1, v4
	s_and_b32 s26, s0, 28
	s_mov_b32 s27, 0
	s_mov_b64 s[28:29], s[2:3]
	s_mov_b64 s[30:31], s[24:25]
.LBB127_6:                              ; =>This Inner Loop Header: Depth=1
	s_clause 0x1
	s_load_b256 s[48:55], s[28:29], 0x4
	s_load_b128 s[64:67], s[28:29], 0x24
	s_load_b256 s[56:63], s[30:31], 0x0
	s_add_co_i32 s27, s27, 4
	s_wait_xcnt 0x0
	s_add_nc_u64 s[28:29], s[28:29], 48
	s_cmp_lg_u32 s26, s27
	s_add_nc_u64 s[30:31], s[30:31], 32
	s_wait_kmcnt 0x0
	v_mul_hi_u32 v2, s49, v1
	s_delay_alu instid0(VALU_DEP_1) | instskip(NEXT) | instid1(VALU_DEP_1)
	v_add_nc_u32_e32 v2, v1, v2
	v_lshrrev_b32_e32 v2, s50, v2
	s_delay_alu instid0(VALU_DEP_1) | instskip(NEXT) | instid1(VALU_DEP_1)
	v_mul_hi_u32 v3, s52, v2
	v_add_nc_u32_e32 v3, v2, v3
	s_delay_alu instid0(VALU_DEP_1) | instskip(NEXT) | instid1(VALU_DEP_1)
	v_lshrrev_b32_e32 v3, s53, v3
	v_mul_hi_u32 v5, s55, v3
	s_delay_alu instid0(VALU_DEP_1) | instskip(SKIP_1) | instid1(VALU_DEP_2)
	v_add_nc_u32_e32 v5, v3, v5
	v_mul_lo_u32 v7, v2, s48
	v_lshrrev_b32_e32 v5, s64, v5
	s_delay_alu instid0(VALU_DEP_1) | instskip(NEXT) | instid1(VALU_DEP_3)
	v_mul_hi_u32 v8, s66, v5
	v_sub_nc_u32_e32 v1, v1, v7
	v_mul_lo_u32 v7, v3, s51
	s_delay_alu instid0(VALU_DEP_1) | instskip(NEXT) | instid1(VALU_DEP_3)
	v_sub_nc_u32_e32 v2, v2, v7
	v_mad_u32 v0, v1, s57, v0
	v_mad_u32 v1, v1, s56, v6
	v_mul_lo_u32 v6, v5, s54
	v_add_nc_u32_e32 v7, v5, v8
	s_delay_alu instid0(VALU_DEP_4) | instskip(NEXT) | instid1(VALU_DEP_4)
	v_mad_u32 v0, v2, s59, v0
	v_mad_u32 v2, v2, s58, v1
	s_delay_alu instid0(VALU_DEP_3) | instskip(NEXT) | instid1(VALU_DEP_1)
	v_dual_sub_nc_u32 v3, v3, v6 :: v_dual_lshrrev_b32 v1, s67, v7
	v_mul_lo_u32 v6, v1, s65
	s_delay_alu instid0(VALU_DEP_2) | instskip(NEXT) | instid1(VALU_DEP_4)
	v_mad_u32 v0, v3, s61, v0
	v_mad_u32 v2, v3, s60, v2
	s_delay_alu instid0(VALU_DEP_3) | instskip(NEXT) | instid1(VALU_DEP_1)
	v_sub_nc_u32_e32 v3, v5, v6
	v_mad_u32 v0, v3, s63, v0
	s_delay_alu instid0(VALU_DEP_3)
	v_mad_u32 v6, v3, s62, v2
	s_cbranch_scc1 .LBB127_6
; %bb.7:
	s_delay_alu instid0(VALU_DEP_2)
	v_mov_b32_e32 v7, v0
	s_and_b32 s0, s0, 3
	s_mov_b32 s27, 0
	s_cmp_eq_u32 s0, 0
	s_cbranch_scc0 .LBB127_11
	s_branch .LBB127_14
.LBB127_8:
                                        ; implicit-def: $vgpr0
                                        ; implicit-def: $vgpr6
	s_branch .LBB127_15
.LBB127_9:
	v_dual_mov_b32 v0, 0 :: v_dual_mov_b32 v6, 0
	s_branch .LBB127_14
.LBB127_10:
	v_mov_b64_e32 v[6:7], 0
	v_mov_b32_e32 v1, v4
	s_mov_b32 s26, 0
                                        ; implicit-def: $vgpr0
	s_and_b32 s0, s0, 3
	s_mov_b32 s27, 0
	s_cmp_eq_u32 s0, 0
	s_cbranch_scc1 .LBB127_14
.LBB127_11:
	s_lshl_b32 s28, s26, 3
	s_mov_b32 s29, s27
	s_mul_u64 s[30:31], s[26:27], 12
	s_add_nc_u64 s[28:29], s[2:3], s[28:29]
	s_delay_alu instid0(SALU_CYCLE_1)
	s_add_nc_u64 s[26:27], s[28:29], 0xc4
	s_add_nc_u64 s[28:29], s[2:3], s[30:31]
.LBB127_12:                             ; =>This Inner Loop Header: Depth=1
	s_load_b96 s[48:50], s[28:29], 0x4
	s_load_b64 s[30:31], s[26:27], 0x0
	s_add_co_i32 s0, s0, -1
	s_wait_xcnt 0x0
	s_add_nc_u64 s[28:29], s[28:29], 12
	s_cmp_lg_u32 s0, 0
	s_add_nc_u64 s[26:27], s[26:27], 8
	s_wait_kmcnt 0x0
	v_mul_hi_u32 v0, s49, v1
	s_delay_alu instid0(VALU_DEP_1) | instskip(NEXT) | instid1(VALU_DEP_1)
	v_add_nc_u32_e32 v0, v1, v0
	v_lshrrev_b32_e32 v0, s50, v0
	s_delay_alu instid0(VALU_DEP_1) | instskip(NEXT) | instid1(VALU_DEP_1)
	v_mul_lo_u32 v2, v0, s48
	v_sub_nc_u32_e32 v1, v1, v2
	s_delay_alu instid0(VALU_DEP_1)
	v_mad_u32 v7, v1, s31, v7
	v_mad_u32 v6, v1, s30, v6
	v_mov_b32_e32 v1, v0
	s_cbranch_scc1 .LBB127_12
; %bb.13:
	s_delay_alu instid0(VALU_DEP_3)
	v_mov_b32_e32 v0, v7
.LBB127_14:
	s_cbranch_execnz .LBB127_17
.LBB127_15:
	v_mov_b32_e32 v5, 0
	s_and_not1_b32 vcc_lo, exec_lo, s40
	s_delay_alu instid0(VALU_DEP_1) | instskip(NEXT) | instid1(VALU_DEP_1)
	v_mul_u64_e32 v[0:1], s[20:21], v[4:5]
	v_add_nc_u32_e32 v0, v4, v1
	s_delay_alu instid0(VALU_DEP_1) | instskip(NEXT) | instid1(VALU_DEP_1)
	v_lshrrev_b32_e32 v2, s14, v0
	v_mul_lo_u32 v0, v2, s12
	s_delay_alu instid0(VALU_DEP_1) | instskip(NEXT) | instid1(VALU_DEP_1)
	v_sub_nc_u32_e32 v1, v4, v0
	v_mul_lo_u32 v0, v1, s17
	v_mul_lo_u32 v6, v1, s16
	s_cbranch_vccnz .LBB127_17
; %bb.16:
	v_mov_b32_e32 v3, v5
	s_delay_alu instid0(VALU_DEP_1) | instskip(NEXT) | instid1(VALU_DEP_1)
	v_mul_u64_e32 v[8:9], s[22:23], v[2:3]
	v_add_nc_u32_e32 v1, v2, v9
	s_delay_alu instid0(VALU_DEP_1) | instskip(NEXT) | instid1(VALU_DEP_1)
	v_lshrrev_b32_e32 v1, s1, v1
	v_mul_lo_u32 v1, v1, s15
	s_delay_alu instid0(VALU_DEP_1) | instskip(NEXT) | instid1(VALU_DEP_1)
	v_sub_nc_u32_e32 v1, v2, v1
	v_mad_u32 v6, v1, s18, v6
	v_mad_u32 v0, v1, s19, v0
.LBB127_17:
	v_mov_b32_e32 v1, 0
	s_and_b32 s0, 0xffff, s39
	s_delay_alu instid0(SALU_CYCLE_1) | instskip(NEXT) | instid1(VALU_DEP_1)
	s_cmp_lt_i32 s0, 11
	v_add_nc_u64_e32 v[8:9], s[6:7], v[0:1]
	s_cbranch_scc1 .LBB127_24
; %bb.18:
	s_cmp_gt_i32 s0, 25
	s_cbranch_scc0 .LBB127_36
; %bb.19:
	s_cmp_gt_i32 s0, 28
	s_cbranch_scc0 .LBB127_40
	;; [unrolled: 3-line block ×4, first 2 shown]
; %bb.22:
	s_cmp_eq_u32 s0, 46
	s_mov_b32 s28, 0
	s_cbranch_scc0 .LBB127_46
; %bb.23:
	global_load_b32 v0, v[8:9], off
	s_mov_b32 s27, -1
	s_mov_b32 s26, 0
	s_wait_loadcnt 0x0
	v_lshlrev_b32_e32 v1, 16, v0
	v_and_b32_e32 v2, 0xffff0000, v0
	s_delay_alu instid0(VALU_DEP_2) | instskip(NEXT) | instid1(VALU_DEP_2)
	v_cvt_f64_f32_e32 v[0:1], v1
	v_cvt_f64_f32_e32 v[2:3], v2
	s_branch .LBB127_48
.LBB127_24:
	s_mov_b32 s26, 0
	s_mov_b32 s27, 0
                                        ; implicit-def: $vgpr2_vgpr3
	s_cbranch_execnz .LBB127_223
.LBB127_25:
	s_and_not1_b32 vcc_lo, exec_lo, s27
	s_cbranch_vccnz .LBB127_272
.LBB127_26:
	s_and_b32 vcc_lo, exec_lo, s13
	s_cbranch_vccz .LBB127_39
; %bb.27:
	s_wait_loadcnt 0x0
	s_delay_alu instid0(VALU_DEP_1) | instskip(NEXT) | instid1(VALU_DEP_2)
	v_cmp_neq_f64_e32 vcc_lo, s[8:9], v[0:1]
	v_cmp_neq_f64_e64 s0, s[10:11], v[2:3]
	s_or_b32 s27, vcc_lo, s0
	s_cbranch_execnz .LBB127_29
.LBB127_28:
	s_wait_loadcnt 0x0
	s_delay_alu instid0(VALU_DEP_1) | instskip(NEXT) | instid1(VALU_DEP_2)
	v_cmp_eq_f64_e32 vcc_lo, s[8:9], v[0:1]
	v_cmp_eq_f64_e64 s0, s[10:11], v[2:3]
	s_and_not1_b32 s27, s27, exec_lo
	s_and_b32 s0, vcc_lo, s0
	s_delay_alu instid0(SALU_CYCLE_1) | instskip(NEXT) | instid1(SALU_CYCLE_1)
	s_and_b32 s0, s0, exec_lo
	s_or_b32 s27, s27, s0
.LBB127_29:
	v_mov_b32_e32 v7, 0
	s_and_b32 s28, s38, 0xff
	s_delay_alu instid0(SALU_CYCLE_1) | instskip(SKIP_1) | instid1(VALU_DEP_1)
	s_cmp_lt_i32 s28, 11
	s_wait_loadcnt 0x0
	v_add_nc_u64_e32 v[0:1], s[4:5], v[6:7]
	s_cbranch_scc1 .LBB127_37
; %bb.30:
	s_and_b32 s29, 0xffff, s28
	s_delay_alu instid0(SALU_CYCLE_1)
	s_cmp_gt_i32 s29, 25
	s_cbranch_scc0 .LBB127_41
; %bb.31:
	s_cmp_gt_i32 s29, 28
	s_cbranch_scc0 .LBB127_43
; %bb.32:
	;; [unrolled: 3-line block ×4, first 2 shown]
	s_mov_b32 s31, 0
	s_mov_b32 s0, -1
	s_cmp_eq_u32 s29, 46
	s_mov_b32 s30, 0
	s_cbranch_scc0 .LBB127_52
; %bb.35:
	v_cndmask_b32_e64 v2, 0, 1.0, s27
	s_mov_b32 s30, -1
	s_mov_b32 s0, 0
	s_delay_alu instid0(VALU_DEP_1) | instskip(NEXT) | instid1(VALU_DEP_1)
	v_bfe_u32 v3, v2, 16, 1
	v_add3_u32 v2, v2, v3, 0x7fff
	s_delay_alu instid0(VALU_DEP_1)
	v_lshrrev_b32_e32 v2, 16, v2
	global_store_b32 v[0:1], v2, off
	s_branch .LBB127_52
.LBB127_36:
	s_mov_b32 s26, 0
	s_mov_b32 s27, 0
                                        ; implicit-def: $vgpr2_vgpr3
	s_cbranch_execnz .LBB127_188
	s_branch .LBB127_222
.LBB127_37:
	s_mov_b32 s0, 0
	s_mov_b32 s30, 0
	s_cbranch_execnz .LBB127_121
.LBB127_38:
	s_and_not1_b32 vcc_lo, exec_lo, s30
	s_cbranch_vccz .LBB127_159
	s_branch .LBB127_273
.LBB127_39:
                                        ; implicit-def: $sgpr27
	s_branch .LBB127_28
.LBB127_40:
	s_mov_b32 s28, -1
	s_mov_b32 s26, 0
	s_mov_b32 s27, 0
                                        ; implicit-def: $vgpr2_vgpr3
	s_branch .LBB127_169
.LBB127_41:
	s_mov_b32 s31, -1
	s_mov_b32 s0, 0
	s_mov_b32 s30, 0
	s_branch .LBB127_79
.LBB127_42:
	s_mov_b32 s28, -1
	s_mov_b32 s26, 0
	s_mov_b32 s27, 0
                                        ; implicit-def: $vgpr2_vgpr3
	s_branch .LBB127_163
.LBB127_43:
	s_mov_b32 s31, -1
	s_mov_b32 s0, 0
	s_mov_b32 s30, 0
	s_branch .LBB127_62
.LBB127_44:
	s_mov_b32 s28, -1
	s_mov_b32 s26, 0
	s_branch .LBB127_47
.LBB127_45:
	s_mov_b32 s31, -1
	s_mov_b32 s0, 0
	s_mov_b32 s30, 0
	s_branch .LBB127_58
.LBB127_46:
	s_mov_b32 s26, -1
.LBB127_47:
	s_mov_b32 s27, 0
                                        ; implicit-def: $vgpr2_vgpr3
.LBB127_48:
	s_and_b32 vcc_lo, exec_lo, s28
	s_cbranch_vccz .LBB127_162
; %bb.49:
	s_cmp_eq_u32 s0, 44
	s_cbranch_scc0 .LBB127_160
; %bb.50:
	global_load_u8 v2, v[8:9], off
	s_mov_b32 s26, 0
	s_mov_b32 s27, -1
	s_wait_loadcnt 0x0
	v_cmp_ne_u32_e32 vcc_lo, 0xff, v2
	v_lshlrev_b32_e32 v0, 23, v2
	s_delay_alu instid0(VALU_DEP_1) | instskip(NEXT) | instid1(VALU_DEP_1)
	v_cvt_f64_f32_e32 v[0:1], v0
	v_cndmask_b32_e32 v0, 0x20000000, v0, vcc_lo
	s_delay_alu instid0(VALU_DEP_2) | instskip(SKIP_1) | instid1(VALU_DEP_2)
	v_cndmask_b32_e32 v1, 0x7ff80000, v1, vcc_lo
	v_cmp_ne_u32_e32 vcc_lo, 0, v2
	v_cndmask_b32_e32 v1, 0x38000000, v1, vcc_lo
	s_delay_alu instid0(VALU_DEP_4)
	v_cndmask_b32_e32 v0, 0, v0, vcc_lo
	s_branch .LBB127_161
.LBB127_51:
	s_mov_b32 s31, -1
	s_mov_b32 s0, 0
	s_mov_b32 s30, 0
.LBB127_52:
	s_and_b32 vcc_lo, exec_lo, s31
	s_cbranch_vccz .LBB127_57
; %bb.53:
	s_cmp_eq_u32 s29, 44
	s_mov_b32 s0, -1
	s_cbranch_scc0 .LBB127_57
; %bb.54:
	v_cndmask_b32_e64 v5, 0, 1.0, s27
	s_mov_b32 s30, exec_lo
	s_wait_xcnt 0x0
	s_delay_alu instid0(VALU_DEP_1) | instskip(NEXT) | instid1(VALU_DEP_1)
	v_dual_mov_b32 v3, 0xff :: v_dual_lshrrev_b32 v2, 23, v5
	v_cmpx_ne_u32_e32 0xff, v2
; %bb.55:
	v_and_b32_e32 v3, 0x400000, v5
	v_and_or_b32 v5, 0x3fffff, v5, v2
	s_delay_alu instid0(VALU_DEP_2) | instskip(NEXT) | instid1(VALU_DEP_2)
	v_cmp_ne_u32_e32 vcc_lo, 0, v3
	v_cmp_ne_u32_e64 s0, 0, v5
	s_and_b32 s0, vcc_lo, s0
	s_delay_alu instid0(SALU_CYCLE_1) | instskip(NEXT) | instid1(VALU_DEP_1)
	v_cndmask_b32_e64 v3, 0, 1, s0
	v_add_nc_u32_e32 v3, v2, v3
; %bb.56:
	s_or_b32 exec_lo, exec_lo, s30
	s_mov_b32 s30, -1
	s_mov_b32 s0, 0
	global_store_b8 v[0:1], v3, off
.LBB127_57:
	s_mov_b32 s31, 0
.LBB127_58:
	s_delay_alu instid0(SALU_CYCLE_1)
	s_and_b32 vcc_lo, exec_lo, s31
	s_cbranch_vccz .LBB127_61
; %bb.59:
	s_cmp_eq_u32 s29, 29
	s_mov_b32 s0, -1
	s_cbranch_scc0 .LBB127_61
; %bb.60:
	s_mov_b32 s0, 0
	s_wait_xcnt 0x0
	v_cndmask_b32_e64 v2, 0, 1, s27
	v_mov_b32_e32 v3, s0
	s_mov_b32 s30, -1
	s_mov_b32 s31, 0
	global_store_b64 v[0:1], v[2:3], off
	s_branch .LBB127_62
.LBB127_61:
	s_mov_b32 s31, 0
.LBB127_62:
	s_delay_alu instid0(SALU_CYCLE_1)
	s_and_b32 vcc_lo, exec_lo, s31
	s_cbranch_vccz .LBB127_78
; %bb.63:
	s_cmp_lt_i32 s29, 27
	s_mov_b32 s30, -1
	s_cbranch_scc1 .LBB127_69
; %bb.64:
	s_cmp_gt_i32 s29, 27
	s_cbranch_scc0 .LBB127_66
; %bb.65:
	s_wait_xcnt 0x0
	v_cndmask_b32_e64 v2, 0, 1, s27
	s_mov_b32 s30, 0
	global_store_b32 v[0:1], v2, off
.LBB127_66:
	s_and_not1_b32 vcc_lo, exec_lo, s30
	s_cbranch_vccnz .LBB127_68
; %bb.67:
	s_wait_xcnt 0x0
	v_cndmask_b32_e64 v2, 0, 1, s27
	global_store_b16 v[0:1], v2, off
.LBB127_68:
	s_mov_b32 s30, 0
.LBB127_69:
	s_delay_alu instid0(SALU_CYCLE_1)
	s_and_not1_b32 vcc_lo, exec_lo, s30
	s_cbranch_vccnz .LBB127_77
; %bb.70:
	s_wait_xcnt 0x0
	v_cndmask_b32_e64 v3, 0, 1.0, s27
	v_mov_b32_e32 v5, 0x80
	s_mov_b32 s30, exec_lo
	s_delay_alu instid0(VALU_DEP_2)
	v_cmpx_gt_u32_e32 0x43800000, v3
	s_cbranch_execz .LBB127_76
; %bb.71:
	s_mov_b32 s31, 0
	s_mov_b32 s44, exec_lo
                                        ; implicit-def: $vgpr2
	v_cmpx_lt_u32_e32 0x3bffffff, v3
	s_xor_b32 s44, exec_lo, s44
	s_cbranch_execz .LBB127_322
; %bb.72:
	v_bfe_u32 v2, v3, 20, 1
	s_mov_b32 s31, exec_lo
	s_delay_alu instid0(VALU_DEP_1) | instskip(NEXT) | instid1(VALU_DEP_1)
	v_add3_u32 v2, v3, v2, 0x487ffff
                                        ; implicit-def: $vgpr3
	v_lshrrev_b32_e32 v2, 20, v2
	s_and_not1_saveexec_b32 s44, s44
	s_cbranch_execnz .LBB127_323
.LBB127_73:
	s_or_b32 exec_lo, exec_lo, s44
	v_mov_b32_e32 v5, 0
	s_and_saveexec_b32 s44, s31
.LBB127_74:
	v_mov_b32_e32 v5, v2
.LBB127_75:
	s_or_b32 exec_lo, exec_lo, s44
.LBB127_76:
	s_delay_alu instid0(SALU_CYCLE_1)
	s_or_b32 exec_lo, exec_lo, s30
	global_store_b8 v[0:1], v5, off
.LBB127_77:
	s_mov_b32 s30, -1
.LBB127_78:
	s_mov_b32 s31, 0
.LBB127_79:
	s_delay_alu instid0(SALU_CYCLE_1)
	s_and_b32 vcc_lo, exec_lo, s31
	s_cbranch_vccz .LBB127_120
; %bb.80:
	s_cmp_gt_i32 s29, 22
	s_mov_b32 s31, -1
	s_cbranch_scc0 .LBB127_112
; %bb.81:
	s_cmp_lt_i32 s29, 24
	s_mov_b32 s30, -1
	s_cbranch_scc1 .LBB127_101
; %bb.82:
	s_cmp_gt_i32 s29, 24
	s_cbranch_scc0 .LBB127_90
; %bb.83:
	s_wait_xcnt 0x0
	v_cndmask_b32_e64 v3, 0, 1.0, s27
	v_mov_b32_e32 v5, 0x80
	s_mov_b32 s30, exec_lo
	s_delay_alu instid0(VALU_DEP_2)
	v_cmpx_gt_u32_e32 0x47800000, v3
	s_cbranch_execz .LBB127_89
; %bb.84:
	s_mov_b32 s31, 0
	s_mov_b32 s44, exec_lo
                                        ; implicit-def: $vgpr2
	v_cmpx_lt_u32_e32 0x37ffffff, v3
	s_xor_b32 s44, exec_lo, s44
	s_cbranch_execz .LBB127_326
; %bb.85:
	v_bfe_u32 v2, v3, 21, 1
	s_mov_b32 s31, exec_lo
	s_delay_alu instid0(VALU_DEP_1) | instskip(NEXT) | instid1(VALU_DEP_1)
	v_add3_u32 v2, v3, v2, 0x88fffff
                                        ; implicit-def: $vgpr3
	v_lshrrev_b32_e32 v2, 21, v2
	s_and_not1_saveexec_b32 s44, s44
	s_cbranch_execnz .LBB127_327
.LBB127_86:
	s_or_b32 exec_lo, exec_lo, s44
	v_mov_b32_e32 v5, 0
	s_and_saveexec_b32 s44, s31
.LBB127_87:
	v_mov_b32_e32 v5, v2
.LBB127_88:
	s_or_b32 exec_lo, exec_lo, s44
.LBB127_89:
	s_delay_alu instid0(SALU_CYCLE_1)
	s_or_b32 exec_lo, exec_lo, s30
	s_mov_b32 s30, 0
	global_store_b8 v[0:1], v5, off
.LBB127_90:
	s_and_b32 vcc_lo, exec_lo, s30
	s_cbranch_vccz .LBB127_100
; %bb.91:
	s_wait_xcnt 0x0
	v_cndmask_b32_e64 v3, 0, 1.0, s27
	s_mov_b32 s30, exec_lo
                                        ; implicit-def: $vgpr2
	s_delay_alu instid0(VALU_DEP_1)
	v_cmpx_gt_u32_e32 0x43f00000, v3
	s_xor_b32 s30, exec_lo, s30
	s_cbranch_execz .LBB127_97
; %bb.92:
	s_mov_b32 s31, exec_lo
                                        ; implicit-def: $vgpr2
	v_cmpx_lt_u32_e32 0x3c7fffff, v3
	s_xor_b32 s31, exec_lo, s31
; %bb.93:
	v_bfe_u32 v2, v3, 20, 1
	s_delay_alu instid0(VALU_DEP_1) | instskip(NEXT) | instid1(VALU_DEP_1)
	v_add3_u32 v2, v3, v2, 0x407ffff
	v_and_b32_e32 v3, 0xff00000, v2
	v_lshrrev_b32_e32 v2, 20, v2
	s_delay_alu instid0(VALU_DEP_2) | instskip(NEXT) | instid1(VALU_DEP_2)
	v_cmp_ne_u32_e32 vcc_lo, 0x7f00000, v3
                                        ; implicit-def: $vgpr3
	v_cndmask_b32_e32 v2, 0x7e, v2, vcc_lo
; %bb.94:
	s_and_not1_saveexec_b32 s31, s31
; %bb.95:
	v_add_f32_e32 v2, 0x46800000, v3
; %bb.96:
	s_or_b32 exec_lo, exec_lo, s31
                                        ; implicit-def: $vgpr3
.LBB127_97:
	s_and_not1_saveexec_b32 s30, s30
; %bb.98:
	v_mov_b32_e32 v2, 0x7f
	v_cmp_lt_u32_e32 vcc_lo, 0x7f800000, v3
	s_delay_alu instid0(VALU_DEP_2)
	v_cndmask_b32_e32 v2, 0x7e, v2, vcc_lo
; %bb.99:
	s_or_b32 exec_lo, exec_lo, s30
	global_store_b8 v[0:1], v2, off
.LBB127_100:
	s_mov_b32 s30, 0
.LBB127_101:
	s_delay_alu instid0(SALU_CYCLE_1)
	s_and_not1_b32 vcc_lo, exec_lo, s30
	s_cbranch_vccnz .LBB127_111
; %bb.102:
	s_wait_xcnt 0x0
	v_cndmask_b32_e64 v3, 0, 1.0, s27
	s_mov_b32 s30, exec_lo
                                        ; implicit-def: $vgpr2
	s_delay_alu instid0(VALU_DEP_1)
	v_cmpx_gt_u32_e32 0x47800000, v3
	s_xor_b32 s30, exec_lo, s30
	s_cbranch_execz .LBB127_108
; %bb.103:
	s_mov_b32 s31, exec_lo
                                        ; implicit-def: $vgpr2
	v_cmpx_lt_u32_e32 0x387fffff, v3
	s_xor_b32 s31, exec_lo, s31
; %bb.104:
	v_bfe_u32 v2, v3, 21, 1
	s_delay_alu instid0(VALU_DEP_1) | instskip(NEXT) | instid1(VALU_DEP_1)
	v_add3_u32 v2, v3, v2, 0x80fffff
                                        ; implicit-def: $vgpr3
	v_lshrrev_b32_e32 v2, 21, v2
; %bb.105:
	s_and_not1_saveexec_b32 s31, s31
; %bb.106:
	v_add_f32_e32 v2, 0x43000000, v3
; %bb.107:
	s_or_b32 exec_lo, exec_lo, s31
                                        ; implicit-def: $vgpr3
.LBB127_108:
	s_and_not1_saveexec_b32 s30, s30
; %bb.109:
	v_mov_b32_e32 v2, 0x7f
	v_cmp_lt_u32_e32 vcc_lo, 0x7f800000, v3
	s_delay_alu instid0(VALU_DEP_2)
	v_cndmask_b32_e32 v2, 0x7c, v2, vcc_lo
; %bb.110:
	s_or_b32 exec_lo, exec_lo, s30
	global_store_b8 v[0:1], v2, off
.LBB127_111:
	s_mov_b32 s31, 0
	s_mov_b32 s30, -1
.LBB127_112:
	s_and_not1_b32 vcc_lo, exec_lo, s31
	s_cbranch_vccnz .LBB127_120
; %bb.113:
	s_cmp_gt_i32 s29, 14
	s_mov_b32 s31, -1
	s_cbranch_scc0 .LBB127_117
; %bb.114:
	s_cmp_eq_u32 s29, 15
	s_mov_b32 s0, -1
	s_cbranch_scc0 .LBB127_116
; %bb.115:
	s_wait_xcnt 0x0
	v_cndmask_b32_e64 v2, 0, 1.0, s27
	s_mov_b32 s30, -1
	s_mov_b32 s0, 0
	s_delay_alu instid0(VALU_DEP_1) | instskip(NEXT) | instid1(VALU_DEP_1)
	v_bfe_u32 v3, v2, 16, 1
	v_add3_u32 v2, v2, v3, 0x7fff
	global_store_d16_hi_b16 v[0:1], v2, off
.LBB127_116:
	s_mov_b32 s31, 0
.LBB127_117:
	s_delay_alu instid0(SALU_CYCLE_1)
	s_and_b32 vcc_lo, exec_lo, s31
	s_cbranch_vccz .LBB127_120
; %bb.118:
	s_cmp_eq_u32 s29, 11
	s_mov_b32 s0, -1
	s_cbranch_scc0 .LBB127_120
; %bb.119:
	s_wait_xcnt 0x0
	v_cndmask_b32_e64 v2, 0, 1, s27
	s_mov_b32 s30, -1
	s_mov_b32 s0, 0
	global_store_b8 v[0:1], v2, off
.LBB127_120:
	s_branch .LBB127_38
.LBB127_121:
	s_and_b32 s28, 0xffff, s28
	s_mov_b32 s29, -1
	s_cmp_lt_i32 s28, 5
	s_cbranch_scc1 .LBB127_142
; %bb.122:
	s_cmp_lt_i32 s28, 8
	s_cbranch_scc1 .LBB127_132
; %bb.123:
	;; [unrolled: 3-line block ×3, first 2 shown]
	s_cmp_gt_i32 s28, 9
	s_cbranch_scc0 .LBB127_126
; %bb.125:
	s_wait_xcnt 0x0
	v_cndmask_b32_e64 v2, 0, 1, s27
	v_mov_b32_e32 v8, 0
	s_mov_b32 s29, 0
	s_delay_alu instid0(VALU_DEP_2) | instskip(NEXT) | instid1(VALU_DEP_2)
	v_cvt_f64_u32_e32 v[6:7], v2
	v_mov_b32_e32 v9, v8
	global_store_b128 v[0:1], v[6:9], off
.LBB127_126:
	s_and_not1_b32 vcc_lo, exec_lo, s29
	s_cbranch_vccnz .LBB127_128
; %bb.127:
	s_wait_xcnt 0x0
	v_cndmask_b32_e64 v2, 0, 1.0, s27
	v_mov_b32_e32 v3, 0
	global_store_b64 v[0:1], v[2:3], off
.LBB127_128:
	s_mov_b32 s29, 0
.LBB127_129:
	s_delay_alu instid0(SALU_CYCLE_1)
	s_and_not1_b32 vcc_lo, exec_lo, s29
	s_cbranch_vccnz .LBB127_131
; %bb.130:
	s_wait_xcnt 0x0
	v_cndmask_b32_e64 v2, 0, 1.0, s27
	s_delay_alu instid0(VALU_DEP_1) | instskip(NEXT) | instid1(VALU_DEP_1)
	v_cvt_f16_f32_e32 v2, v2
	v_and_b32_e32 v2, 0xffff, v2
	global_store_b32 v[0:1], v2, off
.LBB127_131:
	s_mov_b32 s29, 0
.LBB127_132:
	s_delay_alu instid0(SALU_CYCLE_1)
	s_and_not1_b32 vcc_lo, exec_lo, s29
	s_cbranch_vccnz .LBB127_141
; %bb.133:
	s_cmp_lt_i32 s28, 6
	s_mov_b32 s29, -1
	s_cbranch_scc1 .LBB127_139
; %bb.134:
	s_cmp_gt_i32 s28, 6
	s_cbranch_scc0 .LBB127_136
; %bb.135:
	s_wait_xcnt 0x0
	v_cndmask_b32_e64 v2, 0, 1, s27
	s_mov_b32 s29, 0
	s_delay_alu instid0(VALU_DEP_1)
	v_cvt_f64_u32_e32 v[2:3], v2
	global_store_b64 v[0:1], v[2:3], off
.LBB127_136:
	s_and_not1_b32 vcc_lo, exec_lo, s29
	s_cbranch_vccnz .LBB127_138
; %bb.137:
	s_wait_xcnt 0x0
	v_cndmask_b32_e64 v2, 0, 1.0, s27
	global_store_b32 v[0:1], v2, off
.LBB127_138:
	s_mov_b32 s29, 0
.LBB127_139:
	s_delay_alu instid0(SALU_CYCLE_1)
	s_and_not1_b32 vcc_lo, exec_lo, s29
	s_cbranch_vccnz .LBB127_141
; %bb.140:
	s_wait_xcnt 0x0
	v_cndmask_b32_e64 v2, 0, 1.0, s27
	s_delay_alu instid0(VALU_DEP_1)
	v_cvt_f16_f32_e32 v2, v2
	global_store_b16 v[0:1], v2, off
.LBB127_141:
	s_mov_b32 s29, 0
.LBB127_142:
	s_delay_alu instid0(SALU_CYCLE_1)
	s_and_not1_b32 vcc_lo, exec_lo, s29
	s_cbranch_vccnz .LBB127_158
; %bb.143:
	s_cmp_lt_i32 s28, 2
	s_mov_b32 s29, -1
	s_cbranch_scc1 .LBB127_153
; %bb.144:
	s_cmp_lt_i32 s28, 3
	s_cbranch_scc1 .LBB127_150
; %bb.145:
	s_cmp_gt_i32 s28, 3
	s_cbranch_scc0 .LBB127_147
; %bb.146:
	s_mov_b32 s29, 0
	s_wait_xcnt 0x0
	v_cndmask_b32_e64 v2, 0, 1, s27
	v_mov_b32_e32 v3, s29
	global_store_b64 v[0:1], v[2:3], off
.LBB127_147:
	s_and_not1_b32 vcc_lo, exec_lo, s29
	s_cbranch_vccnz .LBB127_149
; %bb.148:
	s_wait_xcnt 0x0
	v_cndmask_b32_e64 v2, 0, 1, s27
	global_store_b32 v[0:1], v2, off
.LBB127_149:
	s_mov_b32 s29, 0
.LBB127_150:
	s_delay_alu instid0(SALU_CYCLE_1)
	s_and_not1_b32 vcc_lo, exec_lo, s29
	s_cbranch_vccnz .LBB127_152
; %bb.151:
	s_wait_xcnt 0x0
	v_cndmask_b32_e64 v2, 0, 1, s27
	global_store_b16 v[0:1], v2, off
.LBB127_152:
	s_mov_b32 s29, 0
.LBB127_153:
	s_delay_alu instid0(SALU_CYCLE_1)
	s_and_not1_b32 vcc_lo, exec_lo, s29
	s_cbranch_vccnz .LBB127_158
; %bb.154:
	s_cmp_gt_i32 s28, 0
	s_mov_b32 s28, -1
	s_cbranch_scc0 .LBB127_156
; %bb.155:
	s_wait_xcnt 0x0
	v_cndmask_b32_e64 v2, 0, 1, s27
	s_mov_b32 s28, 0
	global_store_b8 v[0:1], v2, off
.LBB127_156:
	s_and_not1_b32 vcc_lo, exec_lo, s28
	s_cbranch_vccnz .LBB127_158
; %bb.157:
	s_wait_xcnt 0x0
	v_cndmask_b32_e64 v2, 0, 1, s27
	global_store_b8 v[0:1], v2, off
.LBB127_158:
.LBB127_159:
	v_add_nc_u32_e32 v4, 0x80, v4
	s_mov_b32 s27, -1
	s_branch .LBB127_274
.LBB127_160:
	s_mov_b32 s26, -1
                                        ; implicit-def: $vgpr0_vgpr1
.LBB127_161:
	v_mov_b64_e32 v[2:3], 0
.LBB127_162:
	s_mov_b32 s28, 0
.LBB127_163:
	s_delay_alu instid0(SALU_CYCLE_1)
	s_and_b32 vcc_lo, exec_lo, s28
	s_cbranch_vccz .LBB127_168
; %bb.164:
	s_cmp_eq_u32 s0, 29
	s_cbranch_scc0 .LBB127_166
; %bb.165:
	global_load_b64 v[0:1], v[8:9], off
	s_mov_b32 s27, -1
	s_mov_b32 s26, 0
	s_wait_loadcnt 0x0
	v_cvt_f64_u32_e32 v[2:3], v1
	v_cvt_f64_u32_e32 v[0:1], v0
	s_delay_alu instid0(VALU_DEP_2) | instskip(NEXT) | instid1(VALU_DEP_1)
	v_ldexp_f64 v[2:3], v[2:3], 32
	v_add_f64_e32 v[0:1], v[2:3], v[0:1]
	s_branch .LBB127_167
.LBB127_166:
	s_mov_b32 s26, -1
                                        ; implicit-def: $vgpr0_vgpr1
.LBB127_167:
	v_mov_b64_e32 v[2:3], 0
.LBB127_168:
	s_mov_b32 s28, 0
.LBB127_169:
	s_delay_alu instid0(SALU_CYCLE_1)
	s_and_b32 vcc_lo, exec_lo, s28
	s_cbranch_vccz .LBB127_187
; %bb.170:
	s_cmp_lt_i32 s0, 27
	s_cbranch_scc1 .LBB127_173
; %bb.171:
	s_cmp_gt_i32 s0, 27
	s_cbranch_scc0 .LBB127_174
; %bb.172:
	global_load_b32 v0, v[8:9], off
	s_mov_b32 s27, 0
	s_wait_loadcnt 0x0
	v_cvt_f64_u32_e32 v[0:1], v0
	s_branch .LBB127_175
.LBB127_173:
	s_mov_b32 s27, -1
                                        ; implicit-def: $vgpr0_vgpr1
	s_branch .LBB127_178
.LBB127_174:
	s_mov_b32 s27, -1
                                        ; implicit-def: $vgpr0_vgpr1
.LBB127_175:
	s_delay_alu instid0(SALU_CYCLE_1)
	s_and_not1_b32 vcc_lo, exec_lo, s27
	s_cbranch_vccnz .LBB127_177
; %bb.176:
	global_load_u16 v0, v[8:9], off
	s_wait_loadcnt 0x0
	v_cvt_f64_u32_e32 v[0:1], v0
.LBB127_177:
	s_mov_b32 s27, 0
.LBB127_178:
	s_delay_alu instid0(SALU_CYCLE_1)
	s_and_not1_b32 vcc_lo, exec_lo, s27
	s_cbranch_vccnz .LBB127_186
; %bb.179:
	global_load_u8 v2, v[8:9], off
	s_mov_b32 s27, 0
	s_mov_b32 s28, exec_lo
	s_wait_loadcnt 0x0
	v_cmpx_lt_i16_e32 0x7f, v2
	s_xor_b32 s28, exec_lo, s28
	s_cbranch_execz .LBB127_199
; %bb.180:
	s_mov_b32 s27, -1
	s_mov_b32 s29, exec_lo
	v_cmpx_eq_u16_e32 0x80, v2
; %bb.181:
	s_xor_b32 s27, exec_lo, -1
; %bb.182:
	s_or_b32 exec_lo, exec_lo, s29
	s_delay_alu instid0(SALU_CYCLE_1)
	s_and_b32 s27, s27, exec_lo
	s_or_saveexec_b32 s28, s28
	v_mov_b64_e32 v[0:1], 0x7ff8000020000000
	s_xor_b32 exec_lo, exec_lo, s28
	s_cbranch_execnz .LBB127_200
.LBB127_183:
	s_or_b32 exec_lo, exec_lo, s28
	s_and_saveexec_b32 s28, s27
	s_cbranch_execz .LBB127_185
.LBB127_184:
	v_and_b32_e32 v0, 0xffff, v2
	s_delay_alu instid0(VALU_DEP_1) | instskip(SKIP_1) | instid1(VALU_DEP_2)
	v_and_b32_e32 v1, 7, v0
	v_bfe_u32 v7, v0, 3, 4
	v_clz_i32_u32_e32 v3, v1
	s_delay_alu instid0(VALU_DEP_2) | instskip(NEXT) | instid1(VALU_DEP_2)
	v_cmp_eq_u32_e32 vcc_lo, 0, v7
	v_min_u32_e32 v3, 32, v3
	s_delay_alu instid0(VALU_DEP_1) | instskip(NEXT) | instid1(VALU_DEP_1)
	v_subrev_nc_u32_e32 v5, 28, v3
	v_dual_lshlrev_b32 v0, v5, v0 :: v_dual_sub_nc_u32 v3, 29, v3
	s_delay_alu instid0(VALU_DEP_1) | instskip(NEXT) | instid1(VALU_DEP_1)
	v_dual_lshlrev_b32 v2, 24, v2 :: v_dual_bitop2_b32 v0, 7, v0 bitop3:0x40
	v_dual_cndmask_b32 v3, v7, v3 :: v_dual_cndmask_b32 v0, v1, v0
	s_delay_alu instid0(VALU_DEP_2) | instskip(NEXT) | instid1(VALU_DEP_2)
	v_and_b32_e32 v1, 0x80000000, v2
	v_lshl_add_u32 v2, v3, 23, 0x3b800000
	s_delay_alu instid0(VALU_DEP_3) | instskip(NEXT) | instid1(VALU_DEP_1)
	v_lshlrev_b32_e32 v0, 20, v0
	v_or3_b32 v0, v1, v2, v0
	s_delay_alu instid0(VALU_DEP_1)
	v_cvt_f64_f32_e32 v[0:1], v0
.LBB127_185:
	s_or_b32 exec_lo, exec_lo, s28
.LBB127_186:
	v_mov_b64_e32 v[2:3], 0
	s_mov_b32 s27, -1
.LBB127_187:
	s_branch .LBB127_222
.LBB127_188:
	s_cmp_gt_i32 s0, 22
	s_cbranch_scc0 .LBB127_198
; %bb.189:
	s_cmp_lt_i32 s0, 24
	s_cbranch_scc1 .LBB127_201
; %bb.190:
	s_cmp_gt_i32 s0, 24
	s_cbranch_scc0 .LBB127_202
; %bb.191:
	global_load_u8 v2, v[8:9], off
	s_mov_b32 s27, 0
	s_mov_b32 s28, exec_lo
	s_wait_loadcnt 0x0
	v_cmpx_lt_i16_e32 0x7f, v2
	s_xor_b32 s28, exec_lo, s28
	s_cbranch_execz .LBB127_213
; %bb.192:
	s_mov_b32 s27, -1
	s_mov_b32 s29, exec_lo
	v_cmpx_eq_u16_e32 0x80, v2
; %bb.193:
	s_xor_b32 s27, exec_lo, -1
; %bb.194:
	s_or_b32 exec_lo, exec_lo, s29
	s_delay_alu instid0(SALU_CYCLE_1)
	s_and_b32 s27, s27, exec_lo
	s_or_saveexec_b32 s28, s28
	v_mov_b64_e32 v[0:1], 0x7ff8000020000000
	s_xor_b32 exec_lo, exec_lo, s28
	s_cbranch_execnz .LBB127_214
.LBB127_195:
	s_or_b32 exec_lo, exec_lo, s28
	s_and_saveexec_b32 s28, s27
	s_cbranch_execz .LBB127_197
.LBB127_196:
	v_and_b32_e32 v0, 0xffff, v2
	s_delay_alu instid0(VALU_DEP_1) | instskip(SKIP_1) | instid1(VALU_DEP_2)
	v_and_b32_e32 v1, 3, v0
	v_bfe_u32 v7, v0, 2, 5
	v_clz_i32_u32_e32 v3, v1
	s_delay_alu instid0(VALU_DEP_2) | instskip(NEXT) | instid1(VALU_DEP_2)
	v_cmp_eq_u32_e32 vcc_lo, 0, v7
	v_min_u32_e32 v3, 32, v3
	s_delay_alu instid0(VALU_DEP_1) | instskip(NEXT) | instid1(VALU_DEP_1)
	v_subrev_nc_u32_e32 v5, 29, v3
	v_dual_lshlrev_b32 v0, v5, v0 :: v_dual_sub_nc_u32 v3, 30, v3
	s_delay_alu instid0(VALU_DEP_1) | instskip(NEXT) | instid1(VALU_DEP_1)
	v_dual_lshlrev_b32 v2, 24, v2 :: v_dual_bitop2_b32 v0, 3, v0 bitop3:0x40
	v_dual_cndmask_b32 v3, v7, v3 :: v_dual_cndmask_b32 v0, v1, v0
	s_delay_alu instid0(VALU_DEP_2) | instskip(NEXT) | instid1(VALU_DEP_2)
	v_and_b32_e32 v1, 0x80000000, v2
	v_lshl_add_u32 v2, v3, 23, 0x37800000
	s_delay_alu instid0(VALU_DEP_3) | instskip(NEXT) | instid1(VALU_DEP_1)
	v_lshlrev_b32_e32 v0, 21, v0
	v_or3_b32 v0, v1, v2, v0
	s_delay_alu instid0(VALU_DEP_1)
	v_cvt_f64_f32_e32 v[0:1], v0
.LBB127_197:
	s_or_b32 exec_lo, exec_lo, s28
	s_mov_b32 s27, 0
	s_branch .LBB127_203
.LBB127_198:
                                        ; implicit-def: $vgpr0_vgpr1
	s_branch .LBB127_209
.LBB127_199:
	s_or_saveexec_b32 s28, s28
	v_mov_b64_e32 v[0:1], 0x7ff8000020000000
	s_xor_b32 exec_lo, exec_lo, s28
	s_cbranch_execz .LBB127_183
.LBB127_200:
	v_cmp_ne_u16_e32 vcc_lo, 0, v2
	v_mov_b64_e32 v[0:1], 0
	s_and_not1_b32 s27, s27, exec_lo
	s_and_b32 s29, vcc_lo, exec_lo
	s_delay_alu instid0(SALU_CYCLE_1)
	s_or_b32 s27, s27, s29
	s_or_b32 exec_lo, exec_lo, s28
	s_and_saveexec_b32 s28, s27
	s_cbranch_execnz .LBB127_184
	s_branch .LBB127_185
.LBB127_201:
	s_mov_b32 s27, -1
                                        ; implicit-def: $vgpr0_vgpr1
	s_branch .LBB127_206
.LBB127_202:
	s_mov_b32 s27, -1
                                        ; implicit-def: $vgpr0_vgpr1
.LBB127_203:
	s_delay_alu instid0(SALU_CYCLE_1)
	s_and_b32 vcc_lo, exec_lo, s27
	s_cbranch_vccz .LBB127_205
; %bb.204:
	global_load_u8 v0, v[8:9], off
	s_wait_loadcnt 0x0
	v_lshlrev_b32_e32 v0, 24, v0
	s_delay_alu instid0(VALU_DEP_1) | instskip(NEXT) | instid1(VALU_DEP_1)
	v_and_b32_e32 v1, 0x7f000000, v0
	v_clz_i32_u32_e32 v2, v1
	v_add_nc_u32_e32 v5, 0x1000000, v1
	v_cmp_ne_u32_e32 vcc_lo, 0, v1
	s_delay_alu instid0(VALU_DEP_3) | instskip(NEXT) | instid1(VALU_DEP_1)
	v_min_u32_e32 v2, 32, v2
	v_sub_nc_u32_e64 v2, v2, 4 clamp
	s_delay_alu instid0(VALU_DEP_1) | instskip(NEXT) | instid1(VALU_DEP_1)
	v_dual_lshlrev_b32 v3, v2, v1 :: v_dual_lshlrev_b32 v2, 23, v2
	v_lshrrev_b32_e32 v3, 4, v3
	s_delay_alu instid0(VALU_DEP_1) | instskip(NEXT) | instid1(VALU_DEP_1)
	v_dual_sub_nc_u32 v2, v3, v2 :: v_dual_ashrrev_i32 v3, 8, v5
	v_add_nc_u32_e32 v2, 0x3c000000, v2
	s_delay_alu instid0(VALU_DEP_1) | instskip(NEXT) | instid1(VALU_DEP_1)
	v_and_or_b32 v2, 0x7f800000, v3, v2
	v_cndmask_b32_e32 v1, 0, v2, vcc_lo
	s_delay_alu instid0(VALU_DEP_1) | instskip(NEXT) | instid1(VALU_DEP_1)
	v_and_or_b32 v0, 0x80000000, v0, v1
	v_cvt_f64_f32_e32 v[0:1], v0
.LBB127_205:
	s_mov_b32 s27, 0
.LBB127_206:
	s_delay_alu instid0(SALU_CYCLE_1)
	s_and_not1_b32 vcc_lo, exec_lo, s27
	s_cbranch_vccnz .LBB127_208
; %bb.207:
	global_load_u8 v0, v[8:9], off
	s_wait_loadcnt 0x0
	v_lshlrev_b32_e32 v1, 25, v0
	v_lshlrev_b16 v0, 8, v0
	s_delay_alu instid0(VALU_DEP_1) | instskip(SKIP_1) | instid1(VALU_DEP_2)
	v_and_or_b32 v3, 0x7f00, v0, 0.5
	v_bfe_i32 v0, v0, 0, 16
	v_dual_add_f32 v3, -0.5, v3 :: v_dual_lshrrev_b32 v2, 4, v1
	v_cmp_gt_u32_e32 vcc_lo, 0x8000000, v1
	s_delay_alu instid0(VALU_DEP_2) | instskip(NEXT) | instid1(VALU_DEP_1)
	v_or_b32_e32 v2, 0x70000000, v2
	v_mul_f32_e32 v2, 0x7800000, v2
	s_delay_alu instid0(VALU_DEP_1) | instskip(NEXT) | instid1(VALU_DEP_1)
	v_cndmask_b32_e32 v1, v2, v3, vcc_lo
	v_and_or_b32 v0, 0x80000000, v0, v1
	s_delay_alu instid0(VALU_DEP_1)
	v_cvt_f64_f32_e32 v[0:1], v0
.LBB127_208:
	s_mov_b32 s27, -1
	s_cbranch_execnz .LBB127_221
.LBB127_209:
	s_cmp_gt_i32 s0, 14
	s_cbranch_scc0 .LBB127_212
; %bb.210:
	s_cmp_eq_u32 s0, 15
	s_cbranch_scc0 .LBB127_215
; %bb.211:
	global_load_u16 v0, v[8:9], off
	s_mov_b32 s27, -1
	s_mov_b32 s26, 0
	s_wait_loadcnt 0x0
	v_lshlrev_b32_e32 v0, 16, v0
	s_delay_alu instid0(VALU_DEP_1)
	v_cvt_f64_f32_e32 v[0:1], v0
	s_branch .LBB127_216
.LBB127_212:
	s_mov_b32 s28, -1
                                        ; implicit-def: $vgpr0_vgpr1
	s_branch .LBB127_217
.LBB127_213:
	s_or_saveexec_b32 s28, s28
	v_mov_b64_e32 v[0:1], 0x7ff8000020000000
	s_xor_b32 exec_lo, exec_lo, s28
	s_cbranch_execz .LBB127_195
.LBB127_214:
	v_cmp_ne_u16_e32 vcc_lo, 0, v2
	v_mov_b64_e32 v[0:1], 0
	s_and_not1_b32 s27, s27, exec_lo
	s_and_b32 s29, vcc_lo, exec_lo
	s_delay_alu instid0(SALU_CYCLE_1)
	s_or_b32 s27, s27, s29
	s_or_b32 exec_lo, exec_lo, s28
	s_and_saveexec_b32 s28, s27
	s_cbranch_execnz .LBB127_196
	s_branch .LBB127_197
.LBB127_215:
	s_mov_b32 s26, -1
                                        ; implicit-def: $vgpr0_vgpr1
.LBB127_216:
	s_mov_b32 s28, 0
.LBB127_217:
	s_delay_alu instid0(SALU_CYCLE_1)
	s_and_b32 vcc_lo, exec_lo, s28
	s_cbranch_vccz .LBB127_221
; %bb.218:
	s_cmp_eq_u32 s0, 11
	s_cbranch_scc0 .LBB127_220
; %bb.219:
	global_load_u8 v0, v[8:9], off
	s_mov_b32 s26, 0
	s_mov_b32 s27, -1
	v_mov_b64_e32 v[2:3], 0
	s_wait_loadcnt 0x0
	v_cmp_ne_u16_e32 vcc_lo, 0, v0
	v_mov_b32_e32 v0, 0
	v_cndmask_b32_e64 v1, 0, 0x3ff00000, vcc_lo
	s_branch .LBB127_222
.LBB127_220:
	s_mov_b32 s26, -1
                                        ; implicit-def: $vgpr0_vgpr1
.LBB127_221:
	v_mov_b64_e32 v[2:3], 0
.LBB127_222:
	s_branch .LBB127_25
.LBB127_223:
	s_cmp_lt_i32 s0, 5
	s_cbranch_scc1 .LBB127_228
; %bb.224:
	s_cmp_lt_i32 s0, 8
	s_cbranch_scc1 .LBB127_229
; %bb.225:
	;; [unrolled: 3-line block ×3, first 2 shown]
	s_cmp_gt_i32 s0, 9
	s_cbranch_scc0 .LBB127_231
; %bb.227:
	global_load_b128 v[0:3], v[8:9], off
	s_mov_b32 s27, 0
	s_branch .LBB127_232
.LBB127_228:
                                        ; implicit-def: $vgpr2_vgpr3
	s_branch .LBB127_251
.LBB127_229:
	s_mov_b32 s27, -1
                                        ; implicit-def: $vgpr2_vgpr3
	s_branch .LBB127_238
.LBB127_230:
	s_mov_b32 s27, -1
                                        ; implicit-def: $vgpr2_vgpr3
	s_branch .LBB127_235
.LBB127_231:
	s_mov_b32 s27, -1
                                        ; implicit-def: $vgpr2_vgpr3
.LBB127_232:
	s_delay_alu instid0(SALU_CYCLE_1)
	s_and_not1_b32 vcc_lo, exec_lo, s27
	s_cbranch_vccnz .LBB127_234
; %bb.233:
	s_wait_loadcnt 0x0
	global_load_b64 v[2:3], v[8:9], off
	s_wait_loadcnt 0x0
	v_cvt_f64_f32_e32 v[0:1], v2
	v_cvt_f64_f32_e32 v[2:3], v3
.LBB127_234:
	s_mov_b32 s27, 0
.LBB127_235:
	s_delay_alu instid0(SALU_CYCLE_1)
	s_and_not1_b32 vcc_lo, exec_lo, s27
	s_cbranch_vccnz .LBB127_237
; %bb.236:
	s_wait_loadcnt 0x0
	global_load_b32 v0, v[8:9], off
	s_wait_loadcnt 0x0
	v_lshrrev_b32_e32 v1, 16, v0
	v_cvt_f32_f16_e32 v0, v0
	s_delay_alu instid0(VALU_DEP_2) | instskip(NEXT) | instid1(VALU_DEP_2)
	v_cvt_f32_f16_e32 v2, v1
	v_cvt_f64_f32_e32 v[0:1], v0
	s_delay_alu instid0(VALU_DEP_2)
	v_cvt_f64_f32_e32 v[2:3], v2
.LBB127_237:
	s_mov_b32 s27, 0
.LBB127_238:
	s_delay_alu instid0(SALU_CYCLE_1)
	s_and_not1_b32 vcc_lo, exec_lo, s27
	s_cbranch_vccnz .LBB127_250
; %bb.239:
	s_cmp_lt_i32 s0, 6
	s_cbranch_scc1 .LBB127_242
; %bb.240:
	s_cmp_gt_i32 s0, 6
	s_cbranch_scc0 .LBB127_243
; %bb.241:
	s_wait_loadcnt 0x0
	global_load_b64 v[0:1], v[8:9], off
	s_mov_b32 s27, 0
	s_branch .LBB127_244
.LBB127_242:
	s_mov_b32 s27, -1
                                        ; implicit-def: $vgpr0_vgpr1
	s_branch .LBB127_247
.LBB127_243:
	s_mov_b32 s27, -1
                                        ; implicit-def: $vgpr0_vgpr1
.LBB127_244:
	s_delay_alu instid0(SALU_CYCLE_1)
	s_and_not1_b32 vcc_lo, exec_lo, s27
	s_cbranch_vccnz .LBB127_246
; %bb.245:
	s_wait_loadcnt 0x0
	global_load_b32 v0, v[8:9], off
	s_wait_loadcnt 0x0
	v_cvt_f64_f32_e32 v[0:1], v0
.LBB127_246:
	s_mov_b32 s27, 0
.LBB127_247:
	s_delay_alu instid0(SALU_CYCLE_1)
	s_and_not1_b32 vcc_lo, exec_lo, s27
	s_cbranch_vccnz .LBB127_249
; %bb.248:
	s_wait_loadcnt 0x0
	global_load_u16 v0, v[8:9], off
	s_wait_loadcnt 0x0
	v_cvt_f32_f16_e32 v0, v0
	s_delay_alu instid0(VALU_DEP_1)
	v_cvt_f64_f32_e32 v[0:1], v0
.LBB127_249:
	s_wait_loadcnt 0x0
	v_mov_b64_e32 v[2:3], 0
.LBB127_250:
	s_cbranch_execnz .LBB127_271
.LBB127_251:
	s_cmp_lt_i32 s0, 2
	s_cbranch_scc1 .LBB127_255
; %bb.252:
	s_cmp_lt_i32 s0, 3
	s_cbranch_scc1 .LBB127_256
; %bb.253:
	s_cmp_gt_i32 s0, 3
	s_cbranch_scc0 .LBB127_257
; %bb.254:
	s_wait_loadcnt 0x0
	global_load_b64 v[0:1], v[8:9], off
	s_mov_b32 s27, 0
	s_wait_loadcnt 0x0
	v_cvt_f64_i32_e32 v[2:3], v1
	v_cvt_f64_u32_e32 v[0:1], v0
	s_delay_alu instid0(VALU_DEP_2) | instskip(NEXT) | instid1(VALU_DEP_1)
	v_ldexp_f64 v[2:3], v[2:3], 32
	v_add_f64_e32 v[0:1], v[2:3], v[0:1]
	s_branch .LBB127_258
.LBB127_255:
	s_mov_b32 s27, -1
                                        ; implicit-def: $vgpr0_vgpr1
	s_branch .LBB127_264
.LBB127_256:
	s_mov_b32 s27, -1
                                        ; implicit-def: $vgpr0_vgpr1
	s_branch .LBB127_261
.LBB127_257:
	s_mov_b32 s27, -1
                                        ; implicit-def: $vgpr0_vgpr1
.LBB127_258:
	s_delay_alu instid0(SALU_CYCLE_1)
	s_and_not1_b32 vcc_lo, exec_lo, s27
	s_cbranch_vccnz .LBB127_260
; %bb.259:
	s_wait_loadcnt 0x0
	global_load_b32 v0, v[8:9], off
	s_wait_loadcnt 0x0
	v_cvt_f64_i32_e32 v[0:1], v0
.LBB127_260:
	s_mov_b32 s27, 0
.LBB127_261:
	s_delay_alu instid0(SALU_CYCLE_1)
	s_and_not1_b32 vcc_lo, exec_lo, s27
	s_cbranch_vccnz .LBB127_263
; %bb.262:
	s_wait_loadcnt 0x0
	global_load_i16 v0, v[8:9], off
	s_wait_loadcnt 0x0
	v_cvt_f64_i32_e32 v[0:1], v0
.LBB127_263:
	s_mov_b32 s27, 0
.LBB127_264:
	s_delay_alu instid0(SALU_CYCLE_1)
	s_and_not1_b32 vcc_lo, exec_lo, s27
	s_cbranch_vccnz .LBB127_270
; %bb.265:
	s_cmp_gt_i32 s0, 0
	s_mov_b32 s0, 0
	s_cbranch_scc0 .LBB127_267
; %bb.266:
	s_wait_loadcnt 0x0
	global_load_i8 v0, v[8:9], off
	s_wait_loadcnt 0x0
	v_cvt_f64_i32_e32 v[0:1], v0
	s_branch .LBB127_268
.LBB127_267:
	s_mov_b32 s0, -1
                                        ; implicit-def: $vgpr0_vgpr1
.LBB127_268:
	s_delay_alu instid0(SALU_CYCLE_1)
	s_and_not1_b32 vcc_lo, exec_lo, s0
	s_cbranch_vccnz .LBB127_270
; %bb.269:
	s_wait_loadcnt 0x0
	global_load_u8 v0, v[8:9], off
	s_wait_loadcnt 0x0
	v_cvt_f64_u32_e32 v[0:1], v0
.LBB127_270:
	s_wait_loadcnt 0x0
	v_mov_b64_e32 v[2:3], 0
.LBB127_271:
	s_branch .LBB127_26
.LBB127_272:
	s_mov_b32 s0, 0
.LBB127_273:
	s_mov_b32 s27, 0
                                        ; implicit-def: $vgpr4
.LBB127_274:
	s_and_b32 s44, s0, exec_lo
	s_and_b32 s45, s26, exec_lo
	s_or_not1_b32 s27, s27, exec_lo
.LBB127_275:
	s_wait_xcnt 0x0
	s_or_b32 exec_lo, exec_lo, s46
	s_mov_b32 s26, 0
	s_mov_b32 s0, 0
                                        ; implicit-def: $vgpr8_vgpr9
                                        ; implicit-def: $vgpr6
                                        ; implicit-def: $vgpr2_vgpr3
	s_and_saveexec_b32 s46, s27
	s_cbranch_execz .LBB127_283
; %bb.276:
	s_mov_b32 s0, -1
	s_mov_b32 s47, s45
	s_mov_b32 s48, s44
	s_mov_b32 s49, exec_lo
	v_cmpx_gt_i32_e64 s41, v4
	s_cbranch_execz .LBB127_563
; %bb.277:
	s_and_not1_b32 vcc_lo, exec_lo, s36
	s_cbranch_vccnz .LBB127_286
; %bb.278:
	s_and_not1_b32 vcc_lo, exec_lo, s43
	s_cbranch_vccnz .LBB127_287
; %bb.279:
	s_add_co_i32 s0, s42, 1
	s_cmp_eq_u32 s34, 2
	s_cbranch_scc1 .LBB127_288
; %bb.280:
	s_wait_loadcnt 0x0
	v_dual_mov_b32 v6, 0 :: v_dual_mov_b32 v0, 0
	v_mov_b32_e32 v1, v4
	s_and_b32 s26, s0, 28
	s_mov_b32 s27, 0
	s_mov_b64 s[28:29], s[2:3]
	s_mov_b64 s[30:31], s[24:25]
.LBB127_281:                            ; =>This Inner Loop Header: Depth=1
	s_clause 0x1
	s_load_b256 s[52:59], s[28:29], 0x4
	s_load_b128 s[68:71], s[28:29], 0x24
	s_load_b256 s[60:67], s[30:31], 0x0
	s_add_co_i32 s27, s27, 4
	s_wait_xcnt 0x0
	s_add_nc_u64 s[28:29], s[28:29], 48
	s_cmp_eq_u32 s26, s27
	s_add_nc_u64 s[30:31], s[30:31], 32
	s_wait_kmcnt 0x0
	v_mul_hi_u32 v2, s53, v1
	s_delay_alu instid0(VALU_DEP_1) | instskip(NEXT) | instid1(VALU_DEP_1)
	v_add_nc_u32_e32 v2, v1, v2
	v_lshrrev_b32_e32 v2, s54, v2
	s_delay_alu instid0(VALU_DEP_1) | instskip(NEXT) | instid1(VALU_DEP_1)
	v_mul_hi_u32 v3, s56, v2
	v_add_nc_u32_e32 v3, v2, v3
	s_delay_alu instid0(VALU_DEP_1) | instskip(NEXT) | instid1(VALU_DEP_1)
	v_lshrrev_b32_e32 v3, s57, v3
	v_mul_hi_u32 v5, s59, v3
	s_delay_alu instid0(VALU_DEP_1) | instskip(SKIP_1) | instid1(VALU_DEP_2)
	v_add_nc_u32_e32 v5, v3, v5
	v_mul_lo_u32 v7, v2, s52
	v_lshrrev_b32_e32 v5, s68, v5
	s_delay_alu instid0(VALU_DEP_1) | instskip(NEXT) | instid1(VALU_DEP_3)
	v_mul_hi_u32 v8, s70, v5
	v_sub_nc_u32_e32 v1, v1, v7
	v_mul_lo_u32 v7, v3, s55
	s_delay_alu instid0(VALU_DEP_1) | instskip(NEXT) | instid1(VALU_DEP_3)
	v_sub_nc_u32_e32 v2, v2, v7
	v_mad_u32 v0, v1, s61, v0
	v_mad_u32 v1, v1, s60, v6
	v_mul_lo_u32 v6, v5, s58
	v_add_nc_u32_e32 v7, v5, v8
	s_delay_alu instid0(VALU_DEP_4) | instskip(NEXT) | instid1(VALU_DEP_4)
	v_mad_u32 v0, v2, s63, v0
	v_mad_u32 v2, v2, s62, v1
	s_delay_alu instid0(VALU_DEP_3) | instskip(NEXT) | instid1(VALU_DEP_1)
	v_dual_sub_nc_u32 v3, v3, v6 :: v_dual_lshrrev_b32 v1, s71, v7
	v_mul_lo_u32 v6, v1, s69
	s_delay_alu instid0(VALU_DEP_2) | instskip(NEXT) | instid1(VALU_DEP_4)
	v_mad_u32 v0, v3, s65, v0
	v_mad_u32 v2, v3, s64, v2
	s_delay_alu instid0(VALU_DEP_3) | instskip(NEXT) | instid1(VALU_DEP_1)
	v_sub_nc_u32_e32 v3, v5, v6
	v_mad_u32 v0, v3, s67, v0
	s_delay_alu instid0(VALU_DEP_3)
	v_mad_u32 v6, v3, s66, v2
	s_cbranch_scc0 .LBB127_281
; %bb.282:
	s_delay_alu instid0(VALU_DEP_2)
	v_mov_b32_e32 v7, v0
	s_branch .LBB127_289
.LBB127_283:
	s_or_b32 exec_lo, exec_lo, s46
	s_mov_b32 s1, 0
	s_and_saveexec_b32 s6, s45
	s_cbranch_execnz .LBB127_958
.LBB127_284:
	s_or_b32 exec_lo, exec_lo, s6
	s_and_saveexec_b32 s6, s21
	s_delay_alu instid0(SALU_CYCLE_1)
	s_xor_b32 s6, exec_lo, s6
	s_cbranch_execz .LBB127_959
.LBB127_285:
	s_wait_loadcnt 0x0
	global_load_u8 v0, v[8:9], off
	v_mov_b64_e32 v[2:3], 0
	s_or_b32 s0, s0, exec_lo
	s_wait_loadcnt 0x0
	v_cmp_ne_u16_e32 vcc_lo, 0, v0
	v_mov_b32_e32 v0, 0
	v_cndmask_b32_e64 v1, 0, 0x3ff00000, vcc_lo
	s_wait_xcnt 0x0
	s_or_b32 exec_lo, exec_lo, s6
	s_and_saveexec_b32 s6, s26
	s_cbranch_execz .LBB127_1007
	s_branch .LBB127_960
.LBB127_286:
                                        ; implicit-def: $vgpr0
                                        ; implicit-def: $vgpr6
	s_and_not1_b32 vcc_lo, exec_lo, s0
	s_cbranch_vccnz .LBB127_296
	s_branch .LBB127_294
.LBB127_287:
	s_wait_loadcnt 0x0
	v_dual_mov_b32 v0, 0 :: v_dual_mov_b32 v6, 0
	s_branch .LBB127_293
.LBB127_288:
	v_mov_b64_e32 v[6:7], 0
	s_wait_loadcnt 0x0
	v_mov_b32_e32 v1, v4
                                        ; implicit-def: $vgpr0
.LBB127_289:
	s_and_b32 s0, s0, 3
	s_mov_b32 s27, 0
	s_cmp_eq_u32 s0, 0
	s_cbranch_scc1 .LBB127_293
; %bb.290:
	s_lshl_b32 s28, s26, 3
	s_mov_b32 s29, s27
	s_mul_u64 s[30:31], s[26:27], 12
	s_add_nc_u64 s[28:29], s[2:3], s[28:29]
	s_delay_alu instid0(SALU_CYCLE_1)
	s_add_nc_u64 s[26:27], s[28:29], 0xc4
	s_add_nc_u64 s[28:29], s[2:3], s[30:31]
.LBB127_291:                            ; =>This Inner Loop Header: Depth=1
	s_load_b96 s[52:54], s[28:29], 0x4
	s_load_b64 s[30:31], s[26:27], 0x0
	s_add_co_i32 s0, s0, -1
	s_wait_xcnt 0x0
	s_add_nc_u64 s[28:29], s[28:29], 12
	s_cmp_lg_u32 s0, 0
	s_add_nc_u64 s[26:27], s[26:27], 8
	s_wait_kmcnt 0x0
	v_mul_hi_u32 v0, s53, v1
	s_delay_alu instid0(VALU_DEP_1) | instskip(NEXT) | instid1(VALU_DEP_1)
	v_add_nc_u32_e32 v0, v1, v0
	v_lshrrev_b32_e32 v0, s54, v0
	s_delay_alu instid0(VALU_DEP_1) | instskip(NEXT) | instid1(VALU_DEP_1)
	v_mul_lo_u32 v2, v0, s52
	v_sub_nc_u32_e32 v1, v1, v2
	s_delay_alu instid0(VALU_DEP_1)
	v_mad_u32 v7, v1, s31, v7
	v_mad_u32 v6, v1, s30, v6
	v_mov_b32_e32 v1, v0
	s_cbranch_scc1 .LBB127_291
; %bb.292:
	s_delay_alu instid0(VALU_DEP_3)
	v_mov_b32_e32 v0, v7
.LBB127_293:
	s_cbranch_execnz .LBB127_296
.LBB127_294:
	v_mov_b32_e32 v5, 0
	s_and_not1_b32 vcc_lo, exec_lo, s40
	s_wait_loadcnt 0x0
	s_delay_alu instid0(VALU_DEP_1) | instskip(NEXT) | instid1(VALU_DEP_1)
	v_mul_u64_e32 v[0:1], s[20:21], v[4:5]
	v_add_nc_u32_e32 v0, v4, v1
	s_delay_alu instid0(VALU_DEP_1) | instskip(NEXT) | instid1(VALU_DEP_1)
	v_lshrrev_b32_e32 v2, s14, v0
	v_mul_lo_u32 v0, v2, s12
	s_delay_alu instid0(VALU_DEP_1) | instskip(NEXT) | instid1(VALU_DEP_1)
	v_sub_nc_u32_e32 v1, v4, v0
	v_mul_lo_u32 v0, v1, s17
	v_mul_lo_u32 v6, v1, s16
	s_cbranch_vccnz .LBB127_296
; %bb.295:
	v_mov_b32_e32 v3, v5
	s_delay_alu instid0(VALU_DEP_1) | instskip(NEXT) | instid1(VALU_DEP_1)
	v_mul_u64_e32 v[8:9], s[22:23], v[2:3]
	v_add_nc_u32_e32 v1, v2, v9
	s_delay_alu instid0(VALU_DEP_1) | instskip(NEXT) | instid1(VALU_DEP_1)
	v_lshrrev_b32_e32 v1, s1, v1
	v_mul_lo_u32 v1, v1, s15
	s_delay_alu instid0(VALU_DEP_1) | instskip(NEXT) | instid1(VALU_DEP_1)
	v_sub_nc_u32_e32 v1, v2, v1
	v_mad_u32 v6, v1, s18, v6
	v_mad_u32 v0, v1, s19, v0
.LBB127_296:
	s_wait_loadcnt 0x0
	v_mov_b32_e32 v1, 0
	s_and_b32 s0, 0xffff, s39
	s_delay_alu instid0(SALU_CYCLE_1) | instskip(NEXT) | instid1(VALU_DEP_1)
	s_cmp_lt_i32 s0, 11
	v_add_nc_u64_e32 v[8:9], s[6:7], v[0:1]
	s_cbranch_scc1 .LBB127_303
; %bb.297:
	s_cmp_gt_i32 s0, 25
	s_cbranch_scc0 .LBB127_315
; %bb.298:
	s_cmp_gt_i32 s0, 28
	s_cbranch_scc0 .LBB127_318
	;; [unrolled: 3-line block ×4, first 2 shown]
; %bb.301:
	s_cmp_eq_u32 s0, 46
	s_mov_b32 s28, 0
	s_cbranch_scc0 .LBB127_328
; %bb.302:
	global_load_b32 v0, v[8:9], off
	s_mov_b32 s27, -1
	s_mov_b32 s26, 0
	s_wait_loadcnt 0x0
	v_lshlrev_b32_e32 v1, 16, v0
	v_and_b32_e32 v2, 0xffff0000, v0
	s_delay_alu instid0(VALU_DEP_2) | instskip(NEXT) | instid1(VALU_DEP_2)
	v_cvt_f64_f32_e32 v[0:1], v1
	v_cvt_f64_f32_e32 v[2:3], v2
	s_branch .LBB127_330
.LBB127_303:
	s_mov_b32 s27, 0
	s_mov_b32 s26, s45
                                        ; implicit-def: $vgpr2_vgpr3
	s_cbranch_execnz .LBB127_510
.LBB127_304:
	s_and_not1_b32 vcc_lo, exec_lo, s27
	s_cbranch_vccnz .LBB127_560
.LBB127_305:
	s_and_not1_b32 vcc_lo, exec_lo, s13
	s_cbranch_vccnz .LBB127_317
; %bb.306:
	s_wait_loadcnt 0x0
	s_delay_alu instid0(VALU_DEP_1) | instskip(NEXT) | instid1(VALU_DEP_2)
	v_cmp_neq_f64_e32 vcc_lo, s[8:9], v[0:1]
	v_cmp_neq_f64_e64 s0, s[10:11], v[2:3]
	s_or_b32 s27, vcc_lo, s0
	s_cbranch_execnz .LBB127_308
.LBB127_307:
	s_wait_loadcnt 0x0
	s_delay_alu instid0(VALU_DEP_1) | instskip(NEXT) | instid1(VALU_DEP_2)
	v_cmp_eq_f64_e32 vcc_lo, s[8:9], v[0:1]
	v_cmp_eq_f64_e64 s0, s[10:11], v[2:3]
	s_and_not1_b32 s27, s27, exec_lo
	s_and_b32 s0, vcc_lo, s0
	s_delay_alu instid0(SALU_CYCLE_1) | instskip(NEXT) | instid1(SALU_CYCLE_1)
	s_and_b32 s0, s0, exec_lo
	s_or_b32 s27, s27, s0
.LBB127_308:
	v_mov_b32_e32 v7, 0
	s_and_b32 s28, s38, 0xff
	s_delay_alu instid0(SALU_CYCLE_1) | instskip(SKIP_1) | instid1(VALU_DEP_1)
	s_cmp_lt_i32 s28, 11
	s_wait_loadcnt 0x0
	v_add_nc_u64_e32 v[0:1], s[4:5], v[6:7]
	s_cbranch_scc1 .LBB127_316
; %bb.309:
	s_and_b32 s29, 0xffff, s28
	s_delay_alu instid0(SALU_CYCLE_1)
	s_cmp_gt_i32 s29, 25
	s_cbranch_scc0 .LBB127_319
; %bb.310:
	s_cmp_gt_i32 s29, 28
	s_cbranch_scc0 .LBB127_321
; %bb.311:
	;; [unrolled: 3-line block ×4, first 2 shown]
	s_mov_b32 s31, 0
	s_mov_b32 s0, -1
	s_cmp_eq_u32 s29, 46
	s_mov_b32 s30, 0
	s_cbranch_scc0 .LBB127_334
; %bb.314:
	v_cndmask_b32_e64 v2, 0, 1.0, s27
	s_mov_b32 s30, -1
	s_mov_b32 s0, 0
	s_delay_alu instid0(VALU_DEP_1) | instskip(NEXT) | instid1(VALU_DEP_1)
	v_bfe_u32 v3, v2, 16, 1
	v_add3_u32 v2, v2, v3, 0x7fff
	s_delay_alu instid0(VALU_DEP_1)
	v_lshrrev_b32_e32 v2, 16, v2
	global_store_b32 v[0:1], v2, off
	s_branch .LBB127_334
.LBB127_315:
	s_mov_b32 s28, -1
	s_mov_b32 s27, 0
	s_mov_b32 s26, s45
                                        ; implicit-def: $vgpr2_vgpr3
	s_branch .LBB127_473
.LBB127_316:
	s_mov_b32 s29, -1
	s_mov_b32 s30, 0
	s_mov_b32 s0, s44
	s_branch .LBB127_403
.LBB127_317:
                                        ; implicit-def: $sgpr27
	s_branch .LBB127_307
.LBB127_318:
	s_mov_b32 s28, -1
	s_mov_b32 s27, 0
	s_mov_b32 s26, s45
                                        ; implicit-def: $vgpr2_vgpr3
	s_branch .LBB127_454
.LBB127_319:
	s_mov_b32 s31, -1
	s_mov_b32 s30, 0
	s_mov_b32 s0, s44
	s_branch .LBB127_361
.LBB127_320:
	s_mov_b32 s28, -1
	s_mov_b32 s27, 0
	s_mov_b32 s26, s45
                                        ; implicit-def: $vgpr2_vgpr3
	s_branch .LBB127_448
.LBB127_321:
	s_mov_b32 s31, -1
	s_mov_b32 s30, 0
	s_mov_b32 s0, s44
	s_branch .LBB127_344
.LBB127_322:
	s_and_not1_saveexec_b32 s44, s44
	s_cbranch_execz .LBB127_73
.LBB127_323:
	v_add_f32_e32 v2, 0x46000000, v3
	s_and_not1_b32 s31, s31, exec_lo
	s_delay_alu instid0(VALU_DEP_1) | instskip(NEXT) | instid1(VALU_DEP_1)
	v_and_b32_e32 v2, 0xff, v2
	v_cmp_ne_u32_e32 vcc_lo, 0, v2
	s_and_b32 s45, vcc_lo, exec_lo
	s_delay_alu instid0(SALU_CYCLE_1)
	s_or_b32 s31, s31, s45
	s_or_b32 exec_lo, exec_lo, s44
	v_mov_b32_e32 v5, 0
	s_and_saveexec_b32 s44, s31
	s_cbranch_execnz .LBB127_74
	s_branch .LBB127_75
.LBB127_324:
	s_mov_b32 s28, -1
	s_mov_b32 s27, 0
	s_mov_b32 s26, s45
	s_branch .LBB127_329
.LBB127_325:
	s_mov_b32 s31, -1
	s_mov_b32 s30, 0
	s_mov_b32 s0, s44
	s_branch .LBB127_340
.LBB127_326:
	s_and_not1_saveexec_b32 s44, s44
	s_cbranch_execz .LBB127_86
.LBB127_327:
	v_add_f32_e32 v2, 0x42800000, v3
	s_and_not1_b32 s31, s31, exec_lo
	s_delay_alu instid0(VALU_DEP_1) | instskip(NEXT) | instid1(VALU_DEP_1)
	v_and_b32_e32 v2, 0xff, v2
	v_cmp_ne_u32_e32 vcc_lo, 0, v2
	s_and_b32 s45, vcc_lo, exec_lo
	s_delay_alu instid0(SALU_CYCLE_1)
	s_or_b32 s31, s31, s45
	s_or_b32 exec_lo, exec_lo, s44
	v_mov_b32_e32 v5, 0
	s_and_saveexec_b32 s44, s31
	s_cbranch_execnz .LBB127_87
	s_branch .LBB127_88
.LBB127_328:
	s_mov_b32 s26, -1
	s_mov_b32 s27, 0
.LBB127_329:
                                        ; implicit-def: $vgpr2_vgpr3
.LBB127_330:
	s_and_b32 vcc_lo, exec_lo, s28
	s_cbranch_vccz .LBB127_447
; %bb.331:
	s_cmp_eq_u32 s0, 44
	s_cbranch_scc0 .LBB127_445
; %bb.332:
	global_load_u8 v2, v[8:9], off
	s_mov_b32 s26, 0
	s_mov_b32 s27, -1
	s_wait_loadcnt 0x0
	v_cmp_ne_u32_e32 vcc_lo, 0xff, v2
	v_lshlrev_b32_e32 v0, 23, v2
	s_delay_alu instid0(VALU_DEP_1) | instskip(NEXT) | instid1(VALU_DEP_1)
	v_cvt_f64_f32_e32 v[0:1], v0
	v_cndmask_b32_e32 v0, 0x20000000, v0, vcc_lo
	s_delay_alu instid0(VALU_DEP_2) | instskip(SKIP_1) | instid1(VALU_DEP_2)
	v_cndmask_b32_e32 v1, 0x7ff80000, v1, vcc_lo
	v_cmp_ne_u32_e32 vcc_lo, 0, v2
	v_cndmask_b32_e32 v1, 0x38000000, v1, vcc_lo
	s_delay_alu instid0(VALU_DEP_4)
	v_cndmask_b32_e32 v0, 0, v0, vcc_lo
	s_branch .LBB127_446
.LBB127_333:
	s_mov_b32 s31, -1
	s_mov_b32 s30, 0
	s_mov_b32 s0, s44
.LBB127_334:
	s_and_b32 vcc_lo, exec_lo, s31
	s_cbranch_vccz .LBB127_339
; %bb.335:
	s_cmp_eq_u32 s29, 44
	s_mov_b32 s0, -1
	s_cbranch_scc0 .LBB127_339
; %bb.336:
	v_cndmask_b32_e64 v5, 0, 1.0, s27
	s_mov_b32 s30, exec_lo
	s_wait_xcnt 0x0
	s_delay_alu instid0(VALU_DEP_1) | instskip(NEXT) | instid1(VALU_DEP_1)
	v_dual_mov_b32 v3, 0xff :: v_dual_lshrrev_b32 v2, 23, v5
	v_cmpx_ne_u32_e32 0xff, v2
; %bb.337:
	v_and_b32_e32 v3, 0x400000, v5
	v_and_or_b32 v5, 0x3fffff, v5, v2
	s_delay_alu instid0(VALU_DEP_2) | instskip(NEXT) | instid1(VALU_DEP_2)
	v_cmp_ne_u32_e32 vcc_lo, 0, v3
	v_cmp_ne_u32_e64 s0, 0, v5
	s_and_b32 s0, vcc_lo, s0
	s_delay_alu instid0(SALU_CYCLE_1) | instskip(NEXT) | instid1(VALU_DEP_1)
	v_cndmask_b32_e64 v3, 0, 1, s0
	v_add_nc_u32_e32 v3, v2, v3
; %bb.338:
	s_or_b32 exec_lo, exec_lo, s30
	s_mov_b32 s30, -1
	s_mov_b32 s0, 0
	global_store_b8 v[0:1], v3, off
.LBB127_339:
	s_mov_b32 s31, 0
.LBB127_340:
	s_delay_alu instid0(SALU_CYCLE_1)
	s_and_b32 vcc_lo, exec_lo, s31
	s_cbranch_vccz .LBB127_343
; %bb.341:
	s_cmp_eq_u32 s29, 29
	s_mov_b32 s0, -1
	s_cbranch_scc0 .LBB127_343
; %bb.342:
	s_mov_b32 s0, 0
	s_wait_xcnt 0x0
	v_cndmask_b32_e64 v2, 0, 1, s27
	v_mov_b32_e32 v3, s0
	s_mov_b32 s30, -1
	s_mov_b32 s31, 0
	global_store_b64 v[0:1], v[2:3], off
	s_branch .LBB127_344
.LBB127_343:
	s_mov_b32 s31, 0
.LBB127_344:
	s_delay_alu instid0(SALU_CYCLE_1)
	s_and_b32 vcc_lo, exec_lo, s31
	s_cbranch_vccz .LBB127_360
; %bb.345:
	s_cmp_lt_i32 s29, 27
	s_mov_b32 s30, -1
	s_cbranch_scc1 .LBB127_351
; %bb.346:
	s_cmp_gt_i32 s29, 27
	s_cbranch_scc0 .LBB127_348
; %bb.347:
	s_wait_xcnt 0x0
	v_cndmask_b32_e64 v2, 0, 1, s27
	s_mov_b32 s30, 0
	global_store_b32 v[0:1], v2, off
.LBB127_348:
	s_and_not1_b32 vcc_lo, exec_lo, s30
	s_cbranch_vccnz .LBB127_350
; %bb.349:
	s_wait_xcnt 0x0
	v_cndmask_b32_e64 v2, 0, 1, s27
	global_store_b16 v[0:1], v2, off
.LBB127_350:
	s_mov_b32 s30, 0
.LBB127_351:
	s_delay_alu instid0(SALU_CYCLE_1)
	s_and_not1_b32 vcc_lo, exec_lo, s30
	s_cbranch_vccnz .LBB127_359
; %bb.352:
	s_wait_xcnt 0x0
	v_cndmask_b32_e64 v3, 0, 1.0, s27
	v_mov_b32_e32 v5, 0x80
	s_mov_b32 s30, exec_lo
	s_delay_alu instid0(VALU_DEP_2)
	v_cmpx_gt_u32_e32 0x43800000, v3
	s_cbranch_execz .LBB127_358
; %bb.353:
	s_mov_b32 s31, 0
	s_mov_b32 s47, exec_lo
                                        ; implicit-def: $vgpr2
	v_cmpx_lt_u32_e32 0x3bffffff, v3
	s_xor_b32 s47, exec_lo, s47
	s_cbranch_execz .LBB127_593
; %bb.354:
	v_bfe_u32 v2, v3, 20, 1
	s_mov_b32 s31, exec_lo
	s_delay_alu instid0(VALU_DEP_1) | instskip(NEXT) | instid1(VALU_DEP_1)
	v_add3_u32 v2, v3, v2, 0x487ffff
                                        ; implicit-def: $vgpr3
	v_lshrrev_b32_e32 v2, 20, v2
	s_and_not1_saveexec_b32 s47, s47
	s_cbranch_execnz .LBB127_594
.LBB127_355:
	s_or_b32 exec_lo, exec_lo, s47
	v_mov_b32_e32 v5, 0
	s_and_saveexec_b32 s47, s31
.LBB127_356:
	v_mov_b32_e32 v5, v2
.LBB127_357:
	s_or_b32 exec_lo, exec_lo, s47
.LBB127_358:
	s_delay_alu instid0(SALU_CYCLE_1)
	s_or_b32 exec_lo, exec_lo, s30
	global_store_b8 v[0:1], v5, off
.LBB127_359:
	s_mov_b32 s30, -1
.LBB127_360:
	s_mov_b32 s31, 0
.LBB127_361:
	s_delay_alu instid0(SALU_CYCLE_1)
	s_and_b32 vcc_lo, exec_lo, s31
	s_cbranch_vccz .LBB127_402
; %bb.362:
	s_cmp_gt_i32 s29, 22
	s_mov_b32 s31, -1
	s_cbranch_scc0 .LBB127_394
; %bb.363:
	s_cmp_lt_i32 s29, 24
	s_mov_b32 s30, -1
	s_cbranch_scc1 .LBB127_383
; %bb.364:
	s_cmp_gt_i32 s29, 24
	s_cbranch_scc0 .LBB127_372
; %bb.365:
	s_wait_xcnt 0x0
	v_cndmask_b32_e64 v3, 0, 1.0, s27
	v_mov_b32_e32 v5, 0x80
	s_mov_b32 s30, exec_lo
	s_delay_alu instid0(VALU_DEP_2)
	v_cmpx_gt_u32_e32 0x47800000, v3
	s_cbranch_execz .LBB127_371
; %bb.366:
	s_mov_b32 s31, 0
	s_mov_b32 s47, exec_lo
                                        ; implicit-def: $vgpr2
	v_cmpx_lt_u32_e32 0x37ffffff, v3
	s_xor_b32 s47, exec_lo, s47
	s_cbranch_execz .LBB127_596
; %bb.367:
	v_bfe_u32 v2, v3, 21, 1
	s_mov_b32 s31, exec_lo
	s_delay_alu instid0(VALU_DEP_1) | instskip(NEXT) | instid1(VALU_DEP_1)
	v_add3_u32 v2, v3, v2, 0x88fffff
                                        ; implicit-def: $vgpr3
	v_lshrrev_b32_e32 v2, 21, v2
	s_and_not1_saveexec_b32 s47, s47
	s_cbranch_execnz .LBB127_597
.LBB127_368:
	s_or_b32 exec_lo, exec_lo, s47
	v_mov_b32_e32 v5, 0
	s_and_saveexec_b32 s47, s31
.LBB127_369:
	v_mov_b32_e32 v5, v2
.LBB127_370:
	s_or_b32 exec_lo, exec_lo, s47
.LBB127_371:
	s_delay_alu instid0(SALU_CYCLE_1)
	s_or_b32 exec_lo, exec_lo, s30
	s_mov_b32 s30, 0
	global_store_b8 v[0:1], v5, off
.LBB127_372:
	s_and_b32 vcc_lo, exec_lo, s30
	s_cbranch_vccz .LBB127_382
; %bb.373:
	s_wait_xcnt 0x0
	v_cndmask_b32_e64 v3, 0, 1.0, s27
	s_mov_b32 s30, exec_lo
                                        ; implicit-def: $vgpr2
	s_delay_alu instid0(VALU_DEP_1)
	v_cmpx_gt_u32_e32 0x43f00000, v3
	s_xor_b32 s30, exec_lo, s30
	s_cbranch_execz .LBB127_379
; %bb.374:
	s_mov_b32 s31, exec_lo
                                        ; implicit-def: $vgpr2
	v_cmpx_lt_u32_e32 0x3c7fffff, v3
	s_xor_b32 s31, exec_lo, s31
; %bb.375:
	v_bfe_u32 v2, v3, 20, 1
	s_delay_alu instid0(VALU_DEP_1) | instskip(NEXT) | instid1(VALU_DEP_1)
	v_add3_u32 v2, v3, v2, 0x407ffff
	v_and_b32_e32 v3, 0xff00000, v2
	v_lshrrev_b32_e32 v2, 20, v2
	s_delay_alu instid0(VALU_DEP_2) | instskip(NEXT) | instid1(VALU_DEP_2)
	v_cmp_ne_u32_e32 vcc_lo, 0x7f00000, v3
                                        ; implicit-def: $vgpr3
	v_cndmask_b32_e32 v2, 0x7e, v2, vcc_lo
; %bb.376:
	s_and_not1_saveexec_b32 s31, s31
; %bb.377:
	v_add_f32_e32 v2, 0x46800000, v3
; %bb.378:
	s_or_b32 exec_lo, exec_lo, s31
                                        ; implicit-def: $vgpr3
.LBB127_379:
	s_and_not1_saveexec_b32 s30, s30
; %bb.380:
	v_mov_b32_e32 v2, 0x7f
	v_cmp_lt_u32_e32 vcc_lo, 0x7f800000, v3
	s_delay_alu instid0(VALU_DEP_2)
	v_cndmask_b32_e32 v2, 0x7e, v2, vcc_lo
; %bb.381:
	s_or_b32 exec_lo, exec_lo, s30
	global_store_b8 v[0:1], v2, off
.LBB127_382:
	s_mov_b32 s30, 0
.LBB127_383:
	s_delay_alu instid0(SALU_CYCLE_1)
	s_and_not1_b32 vcc_lo, exec_lo, s30
	s_cbranch_vccnz .LBB127_393
; %bb.384:
	s_wait_xcnt 0x0
	v_cndmask_b32_e64 v3, 0, 1.0, s27
	s_mov_b32 s30, exec_lo
                                        ; implicit-def: $vgpr2
	s_delay_alu instid0(VALU_DEP_1)
	v_cmpx_gt_u32_e32 0x47800000, v3
	s_xor_b32 s30, exec_lo, s30
	s_cbranch_execz .LBB127_390
; %bb.385:
	s_mov_b32 s31, exec_lo
                                        ; implicit-def: $vgpr2
	v_cmpx_lt_u32_e32 0x387fffff, v3
	s_xor_b32 s31, exec_lo, s31
; %bb.386:
	v_bfe_u32 v2, v3, 21, 1
	s_delay_alu instid0(VALU_DEP_1) | instskip(NEXT) | instid1(VALU_DEP_1)
	v_add3_u32 v2, v3, v2, 0x80fffff
                                        ; implicit-def: $vgpr3
	v_lshrrev_b32_e32 v2, 21, v2
; %bb.387:
	s_and_not1_saveexec_b32 s31, s31
; %bb.388:
	v_add_f32_e32 v2, 0x43000000, v3
; %bb.389:
	s_or_b32 exec_lo, exec_lo, s31
                                        ; implicit-def: $vgpr3
.LBB127_390:
	s_and_not1_saveexec_b32 s30, s30
; %bb.391:
	v_mov_b32_e32 v2, 0x7f
	v_cmp_lt_u32_e32 vcc_lo, 0x7f800000, v3
	s_delay_alu instid0(VALU_DEP_2)
	v_cndmask_b32_e32 v2, 0x7c, v2, vcc_lo
; %bb.392:
	s_or_b32 exec_lo, exec_lo, s30
	global_store_b8 v[0:1], v2, off
.LBB127_393:
	s_mov_b32 s31, 0
	s_mov_b32 s30, -1
.LBB127_394:
	s_and_not1_b32 vcc_lo, exec_lo, s31
	s_cbranch_vccnz .LBB127_402
; %bb.395:
	s_cmp_gt_i32 s29, 14
	s_mov_b32 s31, -1
	s_cbranch_scc0 .LBB127_399
; %bb.396:
	s_cmp_eq_u32 s29, 15
	s_mov_b32 s0, -1
	s_cbranch_scc0 .LBB127_398
; %bb.397:
	s_wait_xcnt 0x0
	v_cndmask_b32_e64 v2, 0, 1.0, s27
	s_mov_b32 s30, -1
	s_mov_b32 s0, 0
	s_delay_alu instid0(VALU_DEP_1) | instskip(NEXT) | instid1(VALU_DEP_1)
	v_bfe_u32 v3, v2, 16, 1
	v_add3_u32 v2, v2, v3, 0x7fff
	global_store_d16_hi_b16 v[0:1], v2, off
.LBB127_398:
	s_mov_b32 s31, 0
.LBB127_399:
	s_delay_alu instid0(SALU_CYCLE_1)
	s_and_b32 vcc_lo, exec_lo, s31
	s_cbranch_vccz .LBB127_402
; %bb.400:
	s_cmp_eq_u32 s29, 11
	s_mov_b32 s0, -1
	s_cbranch_scc0 .LBB127_402
; %bb.401:
	s_wait_xcnt 0x0
	v_cndmask_b32_e64 v2, 0, 1, s27
	s_mov_b32 s30, -1
	s_mov_b32 s0, 0
	global_store_b8 v[0:1], v2, off
.LBB127_402:
	s_mov_b32 s29, 0
.LBB127_403:
	s_delay_alu instid0(SALU_CYCLE_1)
	s_and_b32 vcc_lo, exec_lo, s29
	s_cbranch_vccz .LBB127_442
; %bb.404:
	s_and_b32 s28, 0xffff, s28
	s_mov_b32 s29, -1
	s_cmp_lt_i32 s28, 5
	s_cbranch_scc1 .LBB127_425
; %bb.405:
	s_cmp_lt_i32 s28, 8
	s_cbranch_scc1 .LBB127_415
; %bb.406:
	;; [unrolled: 3-line block ×3, first 2 shown]
	s_cmp_gt_i32 s28, 9
	s_cbranch_scc0 .LBB127_409
; %bb.408:
	s_wait_xcnt 0x0
	v_cndmask_b32_e64 v2, 0, 1, s27
	v_mov_b32_e32 v8, 0
	s_mov_b32 s29, 0
	s_delay_alu instid0(VALU_DEP_2) | instskip(NEXT) | instid1(VALU_DEP_2)
	v_cvt_f64_u32_e32 v[6:7], v2
	v_mov_b32_e32 v9, v8
	global_store_b128 v[0:1], v[6:9], off
.LBB127_409:
	s_and_not1_b32 vcc_lo, exec_lo, s29
	s_cbranch_vccnz .LBB127_411
; %bb.410:
	s_wait_xcnt 0x0
	v_cndmask_b32_e64 v2, 0, 1.0, s27
	v_mov_b32_e32 v3, 0
	global_store_b64 v[0:1], v[2:3], off
.LBB127_411:
	s_mov_b32 s29, 0
.LBB127_412:
	s_delay_alu instid0(SALU_CYCLE_1)
	s_and_not1_b32 vcc_lo, exec_lo, s29
	s_cbranch_vccnz .LBB127_414
; %bb.413:
	s_wait_xcnt 0x0
	v_cndmask_b32_e64 v2, 0, 1.0, s27
	s_delay_alu instid0(VALU_DEP_1) | instskip(NEXT) | instid1(VALU_DEP_1)
	v_cvt_f16_f32_e32 v2, v2
	v_and_b32_e32 v2, 0xffff, v2
	global_store_b32 v[0:1], v2, off
.LBB127_414:
	s_mov_b32 s29, 0
.LBB127_415:
	s_delay_alu instid0(SALU_CYCLE_1)
	s_and_not1_b32 vcc_lo, exec_lo, s29
	s_cbranch_vccnz .LBB127_424
; %bb.416:
	s_cmp_lt_i32 s28, 6
	s_mov_b32 s29, -1
	s_cbranch_scc1 .LBB127_422
; %bb.417:
	s_cmp_gt_i32 s28, 6
	s_cbranch_scc0 .LBB127_419
; %bb.418:
	s_wait_xcnt 0x0
	v_cndmask_b32_e64 v2, 0, 1, s27
	s_mov_b32 s29, 0
	s_delay_alu instid0(VALU_DEP_1)
	v_cvt_f64_u32_e32 v[2:3], v2
	global_store_b64 v[0:1], v[2:3], off
.LBB127_419:
	s_and_not1_b32 vcc_lo, exec_lo, s29
	s_cbranch_vccnz .LBB127_421
; %bb.420:
	s_wait_xcnt 0x0
	v_cndmask_b32_e64 v2, 0, 1.0, s27
	global_store_b32 v[0:1], v2, off
.LBB127_421:
	s_mov_b32 s29, 0
.LBB127_422:
	s_delay_alu instid0(SALU_CYCLE_1)
	s_and_not1_b32 vcc_lo, exec_lo, s29
	s_cbranch_vccnz .LBB127_424
; %bb.423:
	s_wait_xcnt 0x0
	v_cndmask_b32_e64 v2, 0, 1.0, s27
	s_delay_alu instid0(VALU_DEP_1)
	v_cvt_f16_f32_e32 v2, v2
	global_store_b16 v[0:1], v2, off
.LBB127_424:
	s_mov_b32 s29, 0
.LBB127_425:
	s_delay_alu instid0(SALU_CYCLE_1)
	s_and_not1_b32 vcc_lo, exec_lo, s29
	s_cbranch_vccnz .LBB127_441
; %bb.426:
	s_cmp_lt_i32 s28, 2
	s_mov_b32 s29, -1
	s_cbranch_scc1 .LBB127_436
; %bb.427:
	s_cmp_lt_i32 s28, 3
	s_cbranch_scc1 .LBB127_433
; %bb.428:
	s_cmp_gt_i32 s28, 3
	s_cbranch_scc0 .LBB127_430
; %bb.429:
	s_mov_b32 s29, 0
	s_wait_xcnt 0x0
	v_cndmask_b32_e64 v2, 0, 1, s27
	v_mov_b32_e32 v3, s29
	global_store_b64 v[0:1], v[2:3], off
.LBB127_430:
	s_and_not1_b32 vcc_lo, exec_lo, s29
	s_cbranch_vccnz .LBB127_432
; %bb.431:
	s_wait_xcnt 0x0
	v_cndmask_b32_e64 v2, 0, 1, s27
	global_store_b32 v[0:1], v2, off
.LBB127_432:
	s_mov_b32 s29, 0
.LBB127_433:
	s_delay_alu instid0(SALU_CYCLE_1)
	s_and_not1_b32 vcc_lo, exec_lo, s29
	s_cbranch_vccnz .LBB127_435
; %bb.434:
	s_wait_xcnt 0x0
	v_cndmask_b32_e64 v2, 0, 1, s27
	global_store_b16 v[0:1], v2, off
.LBB127_435:
	s_mov_b32 s29, 0
.LBB127_436:
	s_delay_alu instid0(SALU_CYCLE_1)
	s_and_not1_b32 vcc_lo, exec_lo, s29
	s_cbranch_vccnz .LBB127_441
; %bb.437:
	s_wait_xcnt 0x0
	v_cndmask_b32_e64 v2, 0, 1, s27
	s_cmp_gt_i32 s28, 0
	s_mov_b32 s27, -1
	s_cbranch_scc0 .LBB127_439
; %bb.438:
	s_mov_b32 s27, 0
	global_store_b8 v[0:1], v2, off
.LBB127_439:
	s_and_not1_b32 vcc_lo, exec_lo, s27
	s_cbranch_vccnz .LBB127_441
; %bb.440:
	global_store_b8 v[0:1], v2, off
.LBB127_441:
	s_mov_b32 s30, -1
.LBB127_442:
	s_delay_alu instid0(SALU_CYCLE_1)
	s_and_not1_b32 vcc_lo, exec_lo, s30
	s_cbranch_vccnz .LBB127_444
; %bb.443:
	v_add_nc_u32_e32 v4, 0x80, v4
	s_mov_b32 s27, -1
	s_branch .LBB127_562
.LBB127_444:
	s_mov_b32 s27, 0
	s_branch .LBB127_561
.LBB127_445:
	s_mov_b32 s26, -1
                                        ; implicit-def: $vgpr0_vgpr1
.LBB127_446:
	v_mov_b64_e32 v[2:3], 0
.LBB127_447:
	s_mov_b32 s28, 0
.LBB127_448:
	s_delay_alu instid0(SALU_CYCLE_1)
	s_and_b32 vcc_lo, exec_lo, s28
	s_cbranch_vccz .LBB127_453
; %bb.449:
	s_cmp_eq_u32 s0, 29
	s_cbranch_scc0 .LBB127_451
; %bb.450:
	global_load_b64 v[0:1], v[8:9], off
	s_mov_b32 s27, -1
	s_mov_b32 s26, 0
	s_wait_loadcnt 0x0
	v_cvt_f64_u32_e32 v[2:3], v1
	v_cvt_f64_u32_e32 v[0:1], v0
	s_delay_alu instid0(VALU_DEP_2) | instskip(NEXT) | instid1(VALU_DEP_1)
	v_ldexp_f64 v[2:3], v[2:3], 32
	v_add_f64_e32 v[0:1], v[2:3], v[0:1]
	s_branch .LBB127_452
.LBB127_451:
	s_mov_b32 s26, -1
                                        ; implicit-def: $vgpr0_vgpr1
.LBB127_452:
	v_mov_b64_e32 v[2:3], 0
.LBB127_453:
	s_mov_b32 s28, 0
.LBB127_454:
	s_delay_alu instid0(SALU_CYCLE_1)
	s_and_b32 vcc_lo, exec_lo, s28
	s_cbranch_vccz .LBB127_472
; %bb.455:
	s_cmp_lt_i32 s0, 27
	s_cbranch_scc1 .LBB127_458
; %bb.456:
	s_cmp_gt_i32 s0, 27
	s_cbranch_scc0 .LBB127_459
; %bb.457:
	global_load_b32 v0, v[8:9], off
	s_mov_b32 s27, 0
	s_wait_loadcnt 0x0
	v_cvt_f64_u32_e32 v[0:1], v0
	s_branch .LBB127_460
.LBB127_458:
	s_mov_b32 s27, -1
                                        ; implicit-def: $vgpr0_vgpr1
	s_branch .LBB127_463
.LBB127_459:
	s_mov_b32 s27, -1
                                        ; implicit-def: $vgpr0_vgpr1
.LBB127_460:
	s_delay_alu instid0(SALU_CYCLE_1)
	s_and_not1_b32 vcc_lo, exec_lo, s27
	s_cbranch_vccnz .LBB127_462
; %bb.461:
	global_load_u16 v0, v[8:9], off
	s_wait_loadcnt 0x0
	v_cvt_f64_u32_e32 v[0:1], v0
.LBB127_462:
	s_mov_b32 s27, 0
.LBB127_463:
	s_delay_alu instid0(SALU_CYCLE_1)
	s_and_not1_b32 vcc_lo, exec_lo, s27
	s_cbranch_vccnz .LBB127_471
; %bb.464:
	global_load_u8 v2, v[8:9], off
	s_mov_b32 s27, 0
	s_mov_b32 s28, exec_lo
	s_wait_loadcnt 0x0
	v_cmpx_lt_i16_e32 0x7f, v2
	s_xor_b32 s28, exec_lo, s28
	s_cbranch_execz .LBB127_485
; %bb.465:
	s_mov_b32 s27, -1
	s_mov_b32 s29, exec_lo
	v_cmpx_eq_u16_e32 0x80, v2
; %bb.466:
	s_xor_b32 s27, exec_lo, -1
; %bb.467:
	s_or_b32 exec_lo, exec_lo, s29
	s_delay_alu instid0(SALU_CYCLE_1)
	s_and_b32 s27, s27, exec_lo
	s_or_saveexec_b32 s28, s28
	v_mov_b64_e32 v[0:1], 0x7ff8000020000000
	s_xor_b32 exec_lo, exec_lo, s28
	s_cbranch_execnz .LBB127_486
.LBB127_468:
	s_or_b32 exec_lo, exec_lo, s28
	s_and_saveexec_b32 s28, s27
	s_cbranch_execz .LBB127_470
.LBB127_469:
	v_and_b32_e32 v0, 0xffff, v2
	s_delay_alu instid0(VALU_DEP_1) | instskip(SKIP_1) | instid1(VALU_DEP_2)
	v_and_b32_e32 v1, 7, v0
	v_bfe_u32 v7, v0, 3, 4
	v_clz_i32_u32_e32 v3, v1
	s_delay_alu instid0(VALU_DEP_2) | instskip(NEXT) | instid1(VALU_DEP_2)
	v_cmp_eq_u32_e32 vcc_lo, 0, v7
	v_min_u32_e32 v3, 32, v3
	s_delay_alu instid0(VALU_DEP_1) | instskip(NEXT) | instid1(VALU_DEP_1)
	v_subrev_nc_u32_e32 v5, 28, v3
	v_dual_lshlrev_b32 v0, v5, v0 :: v_dual_sub_nc_u32 v3, 29, v3
	s_delay_alu instid0(VALU_DEP_1) | instskip(NEXT) | instid1(VALU_DEP_1)
	v_dual_lshlrev_b32 v2, 24, v2 :: v_dual_bitop2_b32 v0, 7, v0 bitop3:0x40
	v_dual_cndmask_b32 v3, v7, v3 :: v_dual_cndmask_b32 v0, v1, v0
	s_delay_alu instid0(VALU_DEP_2) | instskip(NEXT) | instid1(VALU_DEP_2)
	v_and_b32_e32 v1, 0x80000000, v2
	v_lshl_add_u32 v2, v3, 23, 0x3b800000
	s_delay_alu instid0(VALU_DEP_3) | instskip(NEXT) | instid1(VALU_DEP_1)
	v_lshlrev_b32_e32 v0, 20, v0
	v_or3_b32 v0, v1, v2, v0
	s_delay_alu instid0(VALU_DEP_1)
	v_cvt_f64_f32_e32 v[0:1], v0
.LBB127_470:
	s_or_b32 exec_lo, exec_lo, s28
.LBB127_471:
	v_mov_b64_e32 v[2:3], 0
	s_mov_b32 s27, -1
.LBB127_472:
	s_mov_b32 s28, 0
.LBB127_473:
	s_delay_alu instid0(SALU_CYCLE_1)
	s_and_b32 vcc_lo, exec_lo, s28
	s_cbranch_vccz .LBB127_509
; %bb.474:
	s_cmp_gt_i32 s0, 22
	s_cbranch_scc0 .LBB127_484
; %bb.475:
	s_cmp_lt_i32 s0, 24
	s_cbranch_scc1 .LBB127_487
; %bb.476:
	s_cmp_gt_i32 s0, 24
	s_cbranch_scc0 .LBB127_488
; %bb.477:
	global_load_u8 v2, v[8:9], off
	s_mov_b32 s27, 0
	s_mov_b32 s28, exec_lo
	s_wait_loadcnt 0x0
	v_cmpx_lt_i16_e32 0x7f, v2
	s_xor_b32 s28, exec_lo, s28
	s_cbranch_execz .LBB127_500
; %bb.478:
	s_mov_b32 s27, -1
	s_mov_b32 s29, exec_lo
	v_cmpx_eq_u16_e32 0x80, v2
; %bb.479:
	s_xor_b32 s27, exec_lo, -1
; %bb.480:
	s_or_b32 exec_lo, exec_lo, s29
	s_delay_alu instid0(SALU_CYCLE_1)
	s_and_b32 s27, s27, exec_lo
	s_or_saveexec_b32 s28, s28
	v_mov_b64_e32 v[0:1], 0x7ff8000020000000
	s_xor_b32 exec_lo, exec_lo, s28
	s_cbranch_execnz .LBB127_501
.LBB127_481:
	s_or_b32 exec_lo, exec_lo, s28
	s_and_saveexec_b32 s28, s27
	s_cbranch_execz .LBB127_483
.LBB127_482:
	v_and_b32_e32 v0, 0xffff, v2
	s_delay_alu instid0(VALU_DEP_1) | instskip(SKIP_1) | instid1(VALU_DEP_2)
	v_and_b32_e32 v1, 3, v0
	v_bfe_u32 v7, v0, 2, 5
	v_clz_i32_u32_e32 v3, v1
	s_delay_alu instid0(VALU_DEP_2) | instskip(NEXT) | instid1(VALU_DEP_2)
	v_cmp_eq_u32_e32 vcc_lo, 0, v7
	v_min_u32_e32 v3, 32, v3
	s_delay_alu instid0(VALU_DEP_1) | instskip(NEXT) | instid1(VALU_DEP_1)
	v_subrev_nc_u32_e32 v5, 29, v3
	v_dual_lshlrev_b32 v0, v5, v0 :: v_dual_sub_nc_u32 v3, 30, v3
	s_delay_alu instid0(VALU_DEP_1) | instskip(NEXT) | instid1(VALU_DEP_1)
	v_dual_lshlrev_b32 v2, 24, v2 :: v_dual_bitop2_b32 v0, 3, v0 bitop3:0x40
	v_dual_cndmask_b32 v3, v7, v3 :: v_dual_cndmask_b32 v0, v1, v0
	s_delay_alu instid0(VALU_DEP_2) | instskip(NEXT) | instid1(VALU_DEP_2)
	v_and_b32_e32 v1, 0x80000000, v2
	v_lshl_add_u32 v2, v3, 23, 0x37800000
	s_delay_alu instid0(VALU_DEP_3) | instskip(NEXT) | instid1(VALU_DEP_1)
	v_lshlrev_b32_e32 v0, 21, v0
	v_or3_b32 v0, v1, v2, v0
	s_delay_alu instid0(VALU_DEP_1)
	v_cvt_f64_f32_e32 v[0:1], v0
.LBB127_483:
	s_or_b32 exec_lo, exec_lo, s28
	s_mov_b32 s27, 0
	s_branch .LBB127_489
.LBB127_484:
	s_mov_b32 s28, -1
                                        ; implicit-def: $vgpr0_vgpr1
	s_branch .LBB127_495
.LBB127_485:
	s_or_saveexec_b32 s28, s28
	v_mov_b64_e32 v[0:1], 0x7ff8000020000000
	s_xor_b32 exec_lo, exec_lo, s28
	s_cbranch_execz .LBB127_468
.LBB127_486:
	v_cmp_ne_u16_e32 vcc_lo, 0, v2
	v_mov_b64_e32 v[0:1], 0
	s_and_not1_b32 s27, s27, exec_lo
	s_and_b32 s29, vcc_lo, exec_lo
	s_delay_alu instid0(SALU_CYCLE_1)
	s_or_b32 s27, s27, s29
	s_or_b32 exec_lo, exec_lo, s28
	s_and_saveexec_b32 s28, s27
	s_cbranch_execnz .LBB127_469
	s_branch .LBB127_470
.LBB127_487:
	s_mov_b32 s27, -1
                                        ; implicit-def: $vgpr0_vgpr1
	s_branch .LBB127_492
.LBB127_488:
	s_mov_b32 s27, -1
                                        ; implicit-def: $vgpr0_vgpr1
.LBB127_489:
	s_delay_alu instid0(SALU_CYCLE_1)
	s_and_b32 vcc_lo, exec_lo, s27
	s_cbranch_vccz .LBB127_491
; %bb.490:
	global_load_u8 v0, v[8:9], off
	s_wait_loadcnt 0x0
	v_lshlrev_b32_e32 v0, 24, v0
	s_delay_alu instid0(VALU_DEP_1) | instskip(NEXT) | instid1(VALU_DEP_1)
	v_and_b32_e32 v1, 0x7f000000, v0
	v_clz_i32_u32_e32 v2, v1
	v_add_nc_u32_e32 v5, 0x1000000, v1
	v_cmp_ne_u32_e32 vcc_lo, 0, v1
	s_delay_alu instid0(VALU_DEP_3) | instskip(NEXT) | instid1(VALU_DEP_1)
	v_min_u32_e32 v2, 32, v2
	v_sub_nc_u32_e64 v2, v2, 4 clamp
	s_delay_alu instid0(VALU_DEP_1) | instskip(NEXT) | instid1(VALU_DEP_1)
	v_dual_lshlrev_b32 v3, v2, v1 :: v_dual_lshlrev_b32 v2, 23, v2
	v_lshrrev_b32_e32 v3, 4, v3
	s_delay_alu instid0(VALU_DEP_1) | instskip(NEXT) | instid1(VALU_DEP_1)
	v_dual_sub_nc_u32 v2, v3, v2 :: v_dual_ashrrev_i32 v3, 8, v5
	v_add_nc_u32_e32 v2, 0x3c000000, v2
	s_delay_alu instid0(VALU_DEP_1) | instskip(NEXT) | instid1(VALU_DEP_1)
	v_and_or_b32 v2, 0x7f800000, v3, v2
	v_cndmask_b32_e32 v1, 0, v2, vcc_lo
	s_delay_alu instid0(VALU_DEP_1) | instskip(NEXT) | instid1(VALU_DEP_1)
	v_and_or_b32 v0, 0x80000000, v0, v1
	v_cvt_f64_f32_e32 v[0:1], v0
.LBB127_491:
	s_mov_b32 s27, 0
.LBB127_492:
	s_delay_alu instid0(SALU_CYCLE_1)
	s_and_not1_b32 vcc_lo, exec_lo, s27
	s_cbranch_vccnz .LBB127_494
; %bb.493:
	global_load_u8 v0, v[8:9], off
	s_wait_loadcnt 0x0
	v_lshlrev_b32_e32 v1, 25, v0
	v_lshlrev_b16 v0, 8, v0
	s_delay_alu instid0(VALU_DEP_1) | instskip(SKIP_1) | instid1(VALU_DEP_2)
	v_and_or_b32 v3, 0x7f00, v0, 0.5
	v_bfe_i32 v0, v0, 0, 16
	v_dual_add_f32 v3, -0.5, v3 :: v_dual_lshrrev_b32 v2, 4, v1
	v_cmp_gt_u32_e32 vcc_lo, 0x8000000, v1
	s_delay_alu instid0(VALU_DEP_2) | instskip(NEXT) | instid1(VALU_DEP_1)
	v_or_b32_e32 v2, 0x70000000, v2
	v_mul_f32_e32 v2, 0x7800000, v2
	s_delay_alu instid0(VALU_DEP_1) | instskip(NEXT) | instid1(VALU_DEP_1)
	v_cndmask_b32_e32 v1, v2, v3, vcc_lo
	v_and_or_b32 v0, 0x80000000, v0, v1
	s_delay_alu instid0(VALU_DEP_1)
	v_cvt_f64_f32_e32 v[0:1], v0
.LBB127_494:
	s_mov_b32 s28, 0
	s_mov_b32 s27, -1
.LBB127_495:
	s_and_not1_b32 vcc_lo, exec_lo, s28
	s_cbranch_vccnz .LBB127_508
; %bb.496:
	s_cmp_gt_i32 s0, 14
	s_cbranch_scc0 .LBB127_499
; %bb.497:
	s_cmp_eq_u32 s0, 15
	s_cbranch_scc0 .LBB127_502
; %bb.498:
	global_load_u16 v0, v[8:9], off
	s_mov_b32 s27, -1
	s_mov_b32 s26, 0
	s_wait_loadcnt 0x0
	v_lshlrev_b32_e32 v0, 16, v0
	s_delay_alu instid0(VALU_DEP_1)
	v_cvt_f64_f32_e32 v[0:1], v0
	s_branch .LBB127_503
.LBB127_499:
	s_mov_b32 s28, -1
                                        ; implicit-def: $vgpr0_vgpr1
	s_branch .LBB127_504
.LBB127_500:
	s_or_saveexec_b32 s28, s28
	v_mov_b64_e32 v[0:1], 0x7ff8000020000000
	s_xor_b32 exec_lo, exec_lo, s28
	s_cbranch_execz .LBB127_481
.LBB127_501:
	v_cmp_ne_u16_e32 vcc_lo, 0, v2
	v_mov_b64_e32 v[0:1], 0
	s_and_not1_b32 s27, s27, exec_lo
	s_and_b32 s29, vcc_lo, exec_lo
	s_delay_alu instid0(SALU_CYCLE_1)
	s_or_b32 s27, s27, s29
	s_or_b32 exec_lo, exec_lo, s28
	s_and_saveexec_b32 s28, s27
	s_cbranch_execnz .LBB127_482
	s_branch .LBB127_483
.LBB127_502:
	s_mov_b32 s26, -1
                                        ; implicit-def: $vgpr0_vgpr1
.LBB127_503:
	s_mov_b32 s28, 0
.LBB127_504:
	s_delay_alu instid0(SALU_CYCLE_1)
	s_and_b32 vcc_lo, exec_lo, s28
	s_cbranch_vccz .LBB127_508
; %bb.505:
	s_cmp_eq_u32 s0, 11
	s_cbranch_scc0 .LBB127_507
; %bb.506:
	global_load_u8 v0, v[8:9], off
	s_mov_b32 s26, 0
	s_mov_b32 s27, -1
	v_mov_b64_e32 v[2:3], 0
	s_wait_loadcnt 0x0
	v_cmp_ne_u16_e32 vcc_lo, 0, v0
	v_mov_b32_e32 v0, 0
	v_cndmask_b32_e64 v1, 0, 0x3ff00000, vcc_lo
	s_branch .LBB127_509
.LBB127_507:
	s_mov_b32 s26, -1
                                        ; implicit-def: $vgpr0_vgpr1
.LBB127_508:
	v_mov_b64_e32 v[2:3], 0
.LBB127_509:
	s_branch .LBB127_304
.LBB127_510:
	s_cmp_lt_i32 s0, 5
	s_cbranch_scc1 .LBB127_515
; %bb.511:
	s_cmp_lt_i32 s0, 8
	s_cbranch_scc1 .LBB127_516
; %bb.512:
	s_cmp_lt_i32 s0, 9
	s_cbranch_scc1 .LBB127_517
; %bb.513:
	s_cmp_gt_i32 s0, 9
	s_cbranch_scc0 .LBB127_518
; %bb.514:
	global_load_b128 v[0:3], v[8:9], off
	s_mov_b32 s27, 0
	s_branch .LBB127_519
.LBB127_515:
	s_mov_b32 s27, -1
                                        ; implicit-def: $vgpr2_vgpr3
	s_branch .LBB127_538
.LBB127_516:
	s_mov_b32 s27, -1
                                        ; implicit-def: $vgpr2_vgpr3
	s_branch .LBB127_525
.LBB127_517:
	s_mov_b32 s27, -1
                                        ; implicit-def: $vgpr2_vgpr3
	s_branch .LBB127_522
.LBB127_518:
	s_mov_b32 s27, -1
                                        ; implicit-def: $vgpr2_vgpr3
.LBB127_519:
	s_delay_alu instid0(SALU_CYCLE_1)
	s_and_not1_b32 vcc_lo, exec_lo, s27
	s_cbranch_vccnz .LBB127_521
; %bb.520:
	s_wait_loadcnt 0x0
	global_load_b64 v[2:3], v[8:9], off
	s_wait_loadcnt 0x0
	v_cvt_f64_f32_e32 v[0:1], v2
	v_cvt_f64_f32_e32 v[2:3], v3
.LBB127_521:
	s_mov_b32 s27, 0
.LBB127_522:
	s_delay_alu instid0(SALU_CYCLE_1)
	s_and_not1_b32 vcc_lo, exec_lo, s27
	s_cbranch_vccnz .LBB127_524
; %bb.523:
	s_wait_loadcnt 0x0
	global_load_b32 v0, v[8:9], off
	s_wait_loadcnt 0x0
	v_lshrrev_b32_e32 v1, 16, v0
	v_cvt_f32_f16_e32 v0, v0
	s_delay_alu instid0(VALU_DEP_2) | instskip(NEXT) | instid1(VALU_DEP_2)
	v_cvt_f32_f16_e32 v2, v1
	v_cvt_f64_f32_e32 v[0:1], v0
	s_delay_alu instid0(VALU_DEP_2)
	v_cvt_f64_f32_e32 v[2:3], v2
.LBB127_524:
	s_mov_b32 s27, 0
.LBB127_525:
	s_delay_alu instid0(SALU_CYCLE_1)
	s_and_not1_b32 vcc_lo, exec_lo, s27
	s_cbranch_vccnz .LBB127_537
; %bb.526:
	s_cmp_lt_i32 s0, 6
	s_cbranch_scc1 .LBB127_529
; %bb.527:
	s_cmp_gt_i32 s0, 6
	s_cbranch_scc0 .LBB127_530
; %bb.528:
	s_wait_loadcnt 0x0
	global_load_b64 v[0:1], v[8:9], off
	s_mov_b32 s27, 0
	s_branch .LBB127_531
.LBB127_529:
	s_mov_b32 s27, -1
                                        ; implicit-def: $vgpr0_vgpr1
	s_branch .LBB127_534
.LBB127_530:
	s_mov_b32 s27, -1
                                        ; implicit-def: $vgpr0_vgpr1
.LBB127_531:
	s_delay_alu instid0(SALU_CYCLE_1)
	s_and_not1_b32 vcc_lo, exec_lo, s27
	s_cbranch_vccnz .LBB127_533
; %bb.532:
	s_wait_loadcnt 0x0
	global_load_b32 v0, v[8:9], off
	s_wait_loadcnt 0x0
	v_cvt_f64_f32_e32 v[0:1], v0
.LBB127_533:
	s_mov_b32 s27, 0
.LBB127_534:
	s_delay_alu instid0(SALU_CYCLE_1)
	s_and_not1_b32 vcc_lo, exec_lo, s27
	s_cbranch_vccnz .LBB127_536
; %bb.535:
	s_wait_loadcnt 0x0
	global_load_u16 v0, v[8:9], off
	s_wait_loadcnt 0x0
	v_cvt_f32_f16_e32 v0, v0
	s_delay_alu instid0(VALU_DEP_1)
	v_cvt_f64_f32_e32 v[0:1], v0
.LBB127_536:
	s_wait_loadcnt 0x0
	v_mov_b64_e32 v[2:3], 0
.LBB127_537:
	s_mov_b32 s27, 0
.LBB127_538:
	s_delay_alu instid0(SALU_CYCLE_1)
	s_and_not1_b32 vcc_lo, exec_lo, s27
	s_cbranch_vccnz .LBB127_559
; %bb.539:
	s_cmp_lt_i32 s0, 2
	s_cbranch_scc1 .LBB127_543
; %bb.540:
	s_cmp_lt_i32 s0, 3
	s_cbranch_scc1 .LBB127_544
; %bb.541:
	s_cmp_gt_i32 s0, 3
	s_cbranch_scc0 .LBB127_545
; %bb.542:
	s_wait_loadcnt 0x0
	global_load_b64 v[0:1], v[8:9], off
	s_mov_b32 s27, 0
	s_wait_loadcnt 0x0
	v_cvt_f64_i32_e32 v[2:3], v1
	v_cvt_f64_u32_e32 v[0:1], v0
	s_delay_alu instid0(VALU_DEP_2) | instskip(NEXT) | instid1(VALU_DEP_1)
	v_ldexp_f64 v[2:3], v[2:3], 32
	v_add_f64_e32 v[0:1], v[2:3], v[0:1]
	s_branch .LBB127_546
.LBB127_543:
	s_mov_b32 s27, -1
                                        ; implicit-def: $vgpr0_vgpr1
	s_branch .LBB127_552
.LBB127_544:
	s_mov_b32 s27, -1
                                        ; implicit-def: $vgpr0_vgpr1
	s_branch .LBB127_549
.LBB127_545:
	s_mov_b32 s27, -1
                                        ; implicit-def: $vgpr0_vgpr1
.LBB127_546:
	s_delay_alu instid0(SALU_CYCLE_1)
	s_and_not1_b32 vcc_lo, exec_lo, s27
	s_cbranch_vccnz .LBB127_548
; %bb.547:
	s_wait_loadcnt 0x0
	global_load_b32 v0, v[8:9], off
	s_wait_loadcnt 0x0
	v_cvt_f64_i32_e32 v[0:1], v0
.LBB127_548:
	s_mov_b32 s27, 0
.LBB127_549:
	s_delay_alu instid0(SALU_CYCLE_1)
	s_and_not1_b32 vcc_lo, exec_lo, s27
	s_cbranch_vccnz .LBB127_551
; %bb.550:
	s_wait_loadcnt 0x0
	global_load_i16 v0, v[8:9], off
	s_wait_loadcnt 0x0
	v_cvt_f64_i32_e32 v[0:1], v0
.LBB127_551:
	s_mov_b32 s27, 0
.LBB127_552:
	s_delay_alu instid0(SALU_CYCLE_1)
	s_and_not1_b32 vcc_lo, exec_lo, s27
	s_cbranch_vccnz .LBB127_558
; %bb.553:
	s_cmp_gt_i32 s0, 0
	s_mov_b32 s0, 0
	s_cbranch_scc0 .LBB127_555
; %bb.554:
	s_wait_loadcnt 0x0
	global_load_i8 v0, v[8:9], off
	s_wait_loadcnt 0x0
	v_cvt_f64_i32_e32 v[0:1], v0
	s_branch .LBB127_556
.LBB127_555:
	s_mov_b32 s0, -1
                                        ; implicit-def: $vgpr0_vgpr1
.LBB127_556:
	s_delay_alu instid0(SALU_CYCLE_1)
	s_and_not1_b32 vcc_lo, exec_lo, s0
	s_cbranch_vccnz .LBB127_558
; %bb.557:
	s_wait_loadcnt 0x0
	global_load_u8 v0, v[8:9], off
	s_wait_loadcnt 0x0
	v_cvt_f64_u32_e32 v[0:1], v0
.LBB127_558:
	s_wait_loadcnt 0x0
	v_mov_b64_e32 v[2:3], 0
.LBB127_559:
	s_branch .LBB127_305
.LBB127_560:
	s_mov_b32 s27, 0
	s_mov_b32 s0, s44
.LBB127_561:
                                        ; implicit-def: $vgpr4
.LBB127_562:
	s_and_not1_b32 s28, s44, exec_lo
	s_and_b32 s0, s0, exec_lo
	s_and_not1_b32 s29, s45, exec_lo
	s_and_b32 s26, s26, exec_lo
	s_or_b32 s48, s28, s0
	s_or_b32 s47, s29, s26
	s_or_not1_b32 s0, s27, exec_lo
.LBB127_563:
	s_wait_xcnt 0x0
	s_or_b32 exec_lo, exec_lo, s49
	s_mov_b32 s27, 0
	s_mov_b32 s26, 0
	;; [unrolled: 1-line block ×3, first 2 shown]
                                        ; implicit-def: $vgpr8_vgpr9
                                        ; implicit-def: $vgpr6
                                        ; implicit-def: $vgpr2_vgpr3
	s_and_saveexec_b32 s49, s0
	s_cbranch_execz .LBB127_957
; %bb.564:
	s_mov_b32 s29, -1
	s_mov_b32 s0, s47
	s_mov_b32 s30, s48
	s_mov_b32 s50, exec_lo
	v_cmpx_gt_i32_e64 s41, v4
	s_cbranch_execz .LBB127_851
; %bb.565:
	s_and_not1_b32 vcc_lo, exec_lo, s36
	s_cbranch_vccnz .LBB127_571
; %bb.566:
	s_and_not1_b32 vcc_lo, exec_lo, s43
	s_cbranch_vccnz .LBB127_572
; %bb.567:
	s_add_co_i32 s0, s42, 1
	s_cmp_eq_u32 s34, 2
	s_cbranch_scc1 .LBB127_573
; %bb.568:
	s_wait_loadcnt 0x0
	v_dual_mov_b32 v6, 0 :: v_dual_mov_b32 v0, 0
	v_mov_b32_e32 v1, v4
	s_and_b32 s26, s0, 28
	s_mov_b64 s[28:29], s[2:3]
	s_mov_b64 s[30:31], s[24:25]
.LBB127_569:                            ; =>This Inner Loop Header: Depth=1
	s_clause 0x1
	s_load_b256 s[52:59], s[28:29], 0x4
	s_load_b128 s[68:71], s[28:29], 0x24
	s_load_b256 s[60:67], s[30:31], 0x0
	s_add_co_i32 s27, s27, 4
	s_wait_xcnt 0x0
	s_add_nc_u64 s[28:29], s[28:29], 48
	s_cmp_eq_u32 s26, s27
	s_add_nc_u64 s[30:31], s[30:31], 32
	s_wait_kmcnt 0x0
	v_mul_hi_u32 v2, s53, v1
	s_delay_alu instid0(VALU_DEP_1) | instskip(NEXT) | instid1(VALU_DEP_1)
	v_add_nc_u32_e32 v2, v1, v2
	v_lshrrev_b32_e32 v2, s54, v2
	s_delay_alu instid0(VALU_DEP_1) | instskip(NEXT) | instid1(VALU_DEP_1)
	v_mul_hi_u32 v3, s56, v2
	v_add_nc_u32_e32 v3, v2, v3
	s_delay_alu instid0(VALU_DEP_1) | instskip(NEXT) | instid1(VALU_DEP_1)
	v_lshrrev_b32_e32 v3, s57, v3
	v_mul_hi_u32 v5, s59, v3
	s_delay_alu instid0(VALU_DEP_1) | instskip(SKIP_1) | instid1(VALU_DEP_2)
	v_add_nc_u32_e32 v5, v3, v5
	v_mul_lo_u32 v7, v2, s52
	v_lshrrev_b32_e32 v5, s68, v5
	s_delay_alu instid0(VALU_DEP_1) | instskip(NEXT) | instid1(VALU_DEP_3)
	v_mul_hi_u32 v8, s70, v5
	v_sub_nc_u32_e32 v1, v1, v7
	v_mul_lo_u32 v7, v3, s55
	s_delay_alu instid0(VALU_DEP_1) | instskip(NEXT) | instid1(VALU_DEP_3)
	v_sub_nc_u32_e32 v2, v2, v7
	v_mad_u32 v0, v1, s61, v0
	v_mad_u32 v1, v1, s60, v6
	v_mul_lo_u32 v6, v5, s58
	v_add_nc_u32_e32 v7, v5, v8
	s_delay_alu instid0(VALU_DEP_4) | instskip(NEXT) | instid1(VALU_DEP_4)
	v_mad_u32 v0, v2, s63, v0
	v_mad_u32 v2, v2, s62, v1
	s_delay_alu instid0(VALU_DEP_3) | instskip(NEXT) | instid1(VALU_DEP_1)
	v_dual_sub_nc_u32 v3, v3, v6 :: v_dual_lshrrev_b32 v1, s71, v7
	v_mul_lo_u32 v6, v1, s69
	s_delay_alu instid0(VALU_DEP_2) | instskip(NEXT) | instid1(VALU_DEP_4)
	v_mad_u32 v0, v3, s65, v0
	v_mad_u32 v2, v3, s64, v2
	s_delay_alu instid0(VALU_DEP_3) | instskip(NEXT) | instid1(VALU_DEP_1)
	v_sub_nc_u32_e32 v3, v5, v6
	v_mad_u32 v0, v3, s67, v0
	s_delay_alu instid0(VALU_DEP_3)
	v_mad_u32 v6, v3, s66, v2
	s_cbranch_scc0 .LBB127_569
; %bb.570:
	s_delay_alu instid0(VALU_DEP_2)
	v_mov_b32_e32 v7, v0
	s_branch .LBB127_574
.LBB127_571:
	s_mov_b32 s0, -1
                                        ; implicit-def: $vgpr0
                                        ; implicit-def: $vgpr6
	s_branch .LBB127_579
.LBB127_572:
	s_wait_loadcnt 0x0
	v_dual_mov_b32 v0, 0 :: v_dual_mov_b32 v6, 0
	s_branch .LBB127_578
.LBB127_573:
	v_mov_b64_e32 v[6:7], 0
	s_wait_loadcnt 0x0
	v_mov_b32_e32 v1, v4
                                        ; implicit-def: $vgpr0
.LBB127_574:
	s_and_b32 s0, s0, 3
	s_mov_b32 s27, 0
	s_cmp_eq_u32 s0, 0
	s_cbranch_scc1 .LBB127_578
; %bb.575:
	s_lshl_b32 s28, s26, 3
	s_mov_b32 s29, s27
	s_mul_u64 s[30:31], s[26:27], 12
	s_add_nc_u64 s[28:29], s[2:3], s[28:29]
	s_delay_alu instid0(SALU_CYCLE_1)
	s_add_nc_u64 s[26:27], s[28:29], 0xc4
	s_add_nc_u64 s[28:29], s[2:3], s[30:31]
.LBB127_576:                            ; =>This Inner Loop Header: Depth=1
	s_load_b96 s[52:54], s[28:29], 0x4
	s_load_b64 s[30:31], s[26:27], 0x0
	s_add_co_i32 s0, s0, -1
	s_wait_xcnt 0x0
	s_add_nc_u64 s[28:29], s[28:29], 12
	s_cmp_lg_u32 s0, 0
	s_add_nc_u64 s[26:27], s[26:27], 8
	s_wait_kmcnt 0x0
	v_mul_hi_u32 v0, s53, v1
	s_delay_alu instid0(VALU_DEP_1) | instskip(NEXT) | instid1(VALU_DEP_1)
	v_add_nc_u32_e32 v0, v1, v0
	v_lshrrev_b32_e32 v0, s54, v0
	s_delay_alu instid0(VALU_DEP_1) | instskip(NEXT) | instid1(VALU_DEP_1)
	v_mul_lo_u32 v2, v0, s52
	v_sub_nc_u32_e32 v1, v1, v2
	s_delay_alu instid0(VALU_DEP_1)
	v_mad_u32 v7, v1, s31, v7
	v_mad_u32 v6, v1, s30, v6
	v_mov_b32_e32 v1, v0
	s_cbranch_scc1 .LBB127_576
; %bb.577:
	s_delay_alu instid0(VALU_DEP_3)
	v_mov_b32_e32 v0, v7
.LBB127_578:
	s_mov_b32 s0, 0
.LBB127_579:
	s_delay_alu instid0(SALU_CYCLE_1)
	s_and_not1_b32 vcc_lo, exec_lo, s0
	s_cbranch_vccnz .LBB127_582
; %bb.580:
	v_mov_b32_e32 v5, 0
	s_and_not1_b32 vcc_lo, exec_lo, s40
	s_wait_loadcnt 0x0
	s_delay_alu instid0(VALU_DEP_1) | instskip(NEXT) | instid1(VALU_DEP_1)
	v_mul_u64_e32 v[0:1], s[20:21], v[4:5]
	v_add_nc_u32_e32 v0, v4, v1
	s_delay_alu instid0(VALU_DEP_1) | instskip(NEXT) | instid1(VALU_DEP_1)
	v_lshrrev_b32_e32 v2, s14, v0
	v_mul_lo_u32 v0, v2, s12
	s_delay_alu instid0(VALU_DEP_1) | instskip(NEXT) | instid1(VALU_DEP_1)
	v_sub_nc_u32_e32 v1, v4, v0
	v_mul_lo_u32 v0, v1, s17
	v_mul_lo_u32 v6, v1, s16
	s_cbranch_vccnz .LBB127_582
; %bb.581:
	v_mov_b32_e32 v3, v5
	s_delay_alu instid0(VALU_DEP_1) | instskip(NEXT) | instid1(VALU_DEP_1)
	v_mul_u64_e32 v[8:9], s[22:23], v[2:3]
	v_add_nc_u32_e32 v1, v2, v9
	s_delay_alu instid0(VALU_DEP_1) | instskip(NEXT) | instid1(VALU_DEP_1)
	v_lshrrev_b32_e32 v1, s1, v1
	v_mul_lo_u32 v1, v1, s15
	s_delay_alu instid0(VALU_DEP_1) | instskip(NEXT) | instid1(VALU_DEP_1)
	v_sub_nc_u32_e32 v1, v2, v1
	v_mad_u32 v6, v1, s18, v6
	v_mad_u32 v0, v1, s19, v0
.LBB127_582:
	s_wait_loadcnt 0x0
	v_mov_b32_e32 v1, 0
	s_and_b32 s0, 0xffff, s39
	s_delay_alu instid0(SALU_CYCLE_1) | instskip(NEXT) | instid1(VALU_DEP_1)
	s_cmp_lt_i32 s0, 11
	v_add_nc_u64_e32 v[8:9], s[6:7], v[0:1]
	s_cbranch_scc1 .LBB127_589
; %bb.583:
	s_cmp_gt_i32 s0, 25
	s_cbranch_scc0 .LBB127_590
; %bb.584:
	s_cmp_gt_i32 s0, 28
	s_cbranch_scc0 .LBB127_591
	;; [unrolled: 3-line block ×4, first 2 shown]
; %bb.587:
	s_cmp_eq_u32 s0, 46
	s_mov_b32 s28, 0
	s_cbranch_scc0 .LBB127_598
; %bb.588:
	global_load_b32 v0, v[8:9], off
	s_mov_b32 s27, -1
	s_mov_b32 s26, 0
	s_wait_loadcnt 0x0
	v_lshlrev_b32_e32 v1, 16, v0
	v_and_b32_e32 v2, 0xffff0000, v0
	s_delay_alu instid0(VALU_DEP_2) | instskip(NEXT) | instid1(VALU_DEP_2)
	v_cvt_f64_f32_e32 v[0:1], v1
	v_cvt_f64_f32_e32 v[2:3], v2
	s_branch .LBB127_600
.LBB127_589:
	s_mov_b32 s28, -1
	s_mov_b32 s27, 0
	s_mov_b32 s26, s47
                                        ; implicit-def: $vgpr2_vgpr3
	s_branch .LBB127_668
.LBB127_590:
	s_mov_b32 s28, -1
	s_mov_b32 s27, 0
	s_mov_b32 s26, s47
                                        ; implicit-def: $vgpr2_vgpr3
	s_branch .LBB127_631
.LBB127_591:
	s_mov_b32 s28, -1
	s_mov_b32 s27, 0
	s_mov_b32 s26, s47
                                        ; implicit-def: $vgpr2_vgpr3
	s_branch .LBB127_612
.LBB127_592:
	s_mov_b32 s28, -1
	s_mov_b32 s27, 0
	s_mov_b32 s26, s47
                                        ; implicit-def: $vgpr2_vgpr3
	s_branch .LBB127_606
.LBB127_593:
	s_and_not1_saveexec_b32 s47, s47
	s_cbranch_execz .LBB127_355
.LBB127_594:
	v_add_f32_e32 v2, 0x46000000, v3
	s_and_not1_b32 s31, s31, exec_lo
	s_delay_alu instid0(VALU_DEP_1) | instskip(NEXT) | instid1(VALU_DEP_1)
	v_and_b32_e32 v2, 0xff, v2
	v_cmp_ne_u32_e32 vcc_lo, 0, v2
	s_and_b32 s48, vcc_lo, exec_lo
	s_delay_alu instid0(SALU_CYCLE_1)
	s_or_b32 s31, s31, s48
	s_or_b32 exec_lo, exec_lo, s47
	v_mov_b32_e32 v5, 0
	s_and_saveexec_b32 s47, s31
	s_cbranch_execnz .LBB127_356
	s_branch .LBB127_357
.LBB127_595:
	s_mov_b32 s28, -1
	s_mov_b32 s27, 0
	s_mov_b32 s26, s47
	s_branch .LBB127_599
.LBB127_596:
	s_and_not1_saveexec_b32 s47, s47
	s_cbranch_execz .LBB127_368
.LBB127_597:
	v_add_f32_e32 v2, 0x42800000, v3
	s_and_not1_b32 s31, s31, exec_lo
	s_delay_alu instid0(VALU_DEP_1) | instskip(NEXT) | instid1(VALU_DEP_1)
	v_and_b32_e32 v2, 0xff, v2
	v_cmp_ne_u32_e32 vcc_lo, 0, v2
	s_and_b32 s48, vcc_lo, exec_lo
	s_delay_alu instid0(SALU_CYCLE_1)
	s_or_b32 s31, s31, s48
	s_or_b32 exec_lo, exec_lo, s47
	v_mov_b32_e32 v5, 0
	s_and_saveexec_b32 s47, s31
	s_cbranch_execnz .LBB127_369
	s_branch .LBB127_370
.LBB127_598:
	s_mov_b32 s26, -1
	s_mov_b32 s27, 0
.LBB127_599:
                                        ; implicit-def: $vgpr2_vgpr3
.LBB127_600:
	s_and_b32 vcc_lo, exec_lo, s28
	s_cbranch_vccz .LBB127_605
; %bb.601:
	s_cmp_eq_u32 s0, 44
	s_cbranch_scc0 .LBB127_603
; %bb.602:
	global_load_u8 v2, v[8:9], off
	s_mov_b32 s26, 0
	s_mov_b32 s27, -1
	s_wait_loadcnt 0x0
	v_cmp_ne_u32_e32 vcc_lo, 0xff, v2
	v_lshlrev_b32_e32 v0, 23, v2
	s_delay_alu instid0(VALU_DEP_1) | instskip(NEXT) | instid1(VALU_DEP_1)
	v_cvt_f64_f32_e32 v[0:1], v0
	v_cndmask_b32_e32 v0, 0x20000000, v0, vcc_lo
	s_delay_alu instid0(VALU_DEP_2) | instskip(SKIP_1) | instid1(VALU_DEP_2)
	v_cndmask_b32_e32 v1, 0x7ff80000, v1, vcc_lo
	v_cmp_ne_u32_e32 vcc_lo, 0, v2
	v_cndmask_b32_e32 v1, 0x38000000, v1, vcc_lo
	s_delay_alu instid0(VALU_DEP_4)
	v_cndmask_b32_e32 v0, 0, v0, vcc_lo
	s_branch .LBB127_604
.LBB127_603:
	s_mov_b32 s26, -1
                                        ; implicit-def: $vgpr0_vgpr1
.LBB127_604:
	v_mov_b64_e32 v[2:3], 0
.LBB127_605:
	s_mov_b32 s28, 0
.LBB127_606:
	s_delay_alu instid0(SALU_CYCLE_1)
	s_and_b32 vcc_lo, exec_lo, s28
	s_cbranch_vccz .LBB127_611
; %bb.607:
	s_cmp_eq_u32 s0, 29
	s_cbranch_scc0 .LBB127_609
; %bb.608:
	global_load_b64 v[0:1], v[8:9], off
	s_mov_b32 s27, -1
	s_mov_b32 s26, 0
	s_wait_loadcnt 0x0
	v_cvt_f64_u32_e32 v[2:3], v1
	v_cvt_f64_u32_e32 v[0:1], v0
	s_delay_alu instid0(VALU_DEP_2) | instskip(NEXT) | instid1(VALU_DEP_1)
	v_ldexp_f64 v[2:3], v[2:3], 32
	v_add_f64_e32 v[0:1], v[2:3], v[0:1]
	s_branch .LBB127_610
.LBB127_609:
	s_mov_b32 s26, -1
                                        ; implicit-def: $vgpr0_vgpr1
.LBB127_610:
	v_mov_b64_e32 v[2:3], 0
.LBB127_611:
	s_mov_b32 s28, 0
.LBB127_612:
	s_delay_alu instid0(SALU_CYCLE_1)
	s_and_b32 vcc_lo, exec_lo, s28
	s_cbranch_vccz .LBB127_630
; %bb.613:
	s_cmp_lt_i32 s0, 27
	s_cbranch_scc1 .LBB127_616
; %bb.614:
	s_cmp_gt_i32 s0, 27
	s_cbranch_scc0 .LBB127_617
; %bb.615:
	global_load_b32 v0, v[8:9], off
	s_mov_b32 s27, 0
	s_wait_loadcnt 0x0
	v_cvt_f64_u32_e32 v[0:1], v0
	s_branch .LBB127_618
.LBB127_616:
	s_mov_b32 s27, -1
                                        ; implicit-def: $vgpr0_vgpr1
	s_branch .LBB127_621
.LBB127_617:
	s_mov_b32 s27, -1
                                        ; implicit-def: $vgpr0_vgpr1
.LBB127_618:
	s_delay_alu instid0(SALU_CYCLE_1)
	s_and_not1_b32 vcc_lo, exec_lo, s27
	s_cbranch_vccnz .LBB127_620
; %bb.619:
	global_load_u16 v0, v[8:9], off
	s_wait_loadcnt 0x0
	v_cvt_f64_u32_e32 v[0:1], v0
.LBB127_620:
	s_mov_b32 s27, 0
.LBB127_621:
	s_delay_alu instid0(SALU_CYCLE_1)
	s_and_not1_b32 vcc_lo, exec_lo, s27
	s_cbranch_vccnz .LBB127_629
; %bb.622:
	global_load_u8 v2, v[8:9], off
	s_mov_b32 s27, 0
	s_mov_b32 s28, exec_lo
	s_wait_loadcnt 0x0
	v_cmpx_lt_i16_e32 0x7f, v2
	s_xor_b32 s28, exec_lo, s28
	s_cbranch_execz .LBB127_643
; %bb.623:
	s_mov_b32 s27, -1
	s_mov_b32 s29, exec_lo
	v_cmpx_eq_u16_e32 0x80, v2
; %bb.624:
	s_xor_b32 s27, exec_lo, -1
; %bb.625:
	s_or_b32 exec_lo, exec_lo, s29
	s_delay_alu instid0(SALU_CYCLE_1)
	s_and_b32 s27, s27, exec_lo
	s_or_saveexec_b32 s28, s28
	v_mov_b64_e32 v[0:1], 0x7ff8000020000000
	s_xor_b32 exec_lo, exec_lo, s28
	s_cbranch_execnz .LBB127_644
.LBB127_626:
	s_or_b32 exec_lo, exec_lo, s28
	s_and_saveexec_b32 s28, s27
	s_cbranch_execz .LBB127_628
.LBB127_627:
	v_and_b32_e32 v0, 0xffff, v2
	s_delay_alu instid0(VALU_DEP_1) | instskip(SKIP_1) | instid1(VALU_DEP_2)
	v_and_b32_e32 v1, 7, v0
	v_bfe_u32 v7, v0, 3, 4
	v_clz_i32_u32_e32 v3, v1
	s_delay_alu instid0(VALU_DEP_2) | instskip(NEXT) | instid1(VALU_DEP_2)
	v_cmp_eq_u32_e32 vcc_lo, 0, v7
	v_min_u32_e32 v3, 32, v3
	s_delay_alu instid0(VALU_DEP_1) | instskip(NEXT) | instid1(VALU_DEP_1)
	v_subrev_nc_u32_e32 v5, 28, v3
	v_dual_lshlrev_b32 v0, v5, v0 :: v_dual_sub_nc_u32 v3, 29, v3
	s_delay_alu instid0(VALU_DEP_1) | instskip(NEXT) | instid1(VALU_DEP_1)
	v_dual_lshlrev_b32 v2, 24, v2 :: v_dual_bitop2_b32 v0, 7, v0 bitop3:0x40
	v_dual_cndmask_b32 v3, v7, v3 :: v_dual_cndmask_b32 v0, v1, v0
	s_delay_alu instid0(VALU_DEP_2) | instskip(NEXT) | instid1(VALU_DEP_2)
	v_and_b32_e32 v1, 0x80000000, v2
	v_lshl_add_u32 v2, v3, 23, 0x3b800000
	s_delay_alu instid0(VALU_DEP_3) | instskip(NEXT) | instid1(VALU_DEP_1)
	v_lshlrev_b32_e32 v0, 20, v0
	v_or3_b32 v0, v1, v2, v0
	s_delay_alu instid0(VALU_DEP_1)
	v_cvt_f64_f32_e32 v[0:1], v0
.LBB127_628:
	s_or_b32 exec_lo, exec_lo, s28
.LBB127_629:
	v_mov_b64_e32 v[2:3], 0
	s_mov_b32 s27, -1
.LBB127_630:
	s_mov_b32 s28, 0
.LBB127_631:
	s_delay_alu instid0(SALU_CYCLE_1)
	s_and_b32 vcc_lo, exec_lo, s28
	s_cbranch_vccz .LBB127_667
; %bb.632:
	s_cmp_gt_i32 s0, 22
	s_cbranch_scc0 .LBB127_642
; %bb.633:
	s_cmp_lt_i32 s0, 24
	s_cbranch_scc1 .LBB127_645
; %bb.634:
	s_cmp_gt_i32 s0, 24
	s_cbranch_scc0 .LBB127_646
; %bb.635:
	global_load_u8 v2, v[8:9], off
	s_mov_b32 s27, 0
	s_mov_b32 s28, exec_lo
	s_wait_loadcnt 0x0
	v_cmpx_lt_i16_e32 0x7f, v2
	s_xor_b32 s28, exec_lo, s28
	s_cbranch_execz .LBB127_658
; %bb.636:
	s_mov_b32 s27, -1
	s_mov_b32 s29, exec_lo
	v_cmpx_eq_u16_e32 0x80, v2
; %bb.637:
	s_xor_b32 s27, exec_lo, -1
; %bb.638:
	s_or_b32 exec_lo, exec_lo, s29
	s_delay_alu instid0(SALU_CYCLE_1)
	s_and_b32 s27, s27, exec_lo
	s_or_saveexec_b32 s28, s28
	v_mov_b64_e32 v[0:1], 0x7ff8000020000000
	s_xor_b32 exec_lo, exec_lo, s28
	s_cbranch_execnz .LBB127_659
.LBB127_639:
	s_or_b32 exec_lo, exec_lo, s28
	s_and_saveexec_b32 s28, s27
	s_cbranch_execz .LBB127_641
.LBB127_640:
	v_and_b32_e32 v0, 0xffff, v2
	s_delay_alu instid0(VALU_DEP_1) | instskip(SKIP_1) | instid1(VALU_DEP_2)
	v_and_b32_e32 v1, 3, v0
	v_bfe_u32 v7, v0, 2, 5
	v_clz_i32_u32_e32 v3, v1
	s_delay_alu instid0(VALU_DEP_2) | instskip(NEXT) | instid1(VALU_DEP_2)
	v_cmp_eq_u32_e32 vcc_lo, 0, v7
	v_min_u32_e32 v3, 32, v3
	s_delay_alu instid0(VALU_DEP_1) | instskip(NEXT) | instid1(VALU_DEP_1)
	v_subrev_nc_u32_e32 v5, 29, v3
	v_dual_lshlrev_b32 v0, v5, v0 :: v_dual_sub_nc_u32 v3, 30, v3
	s_delay_alu instid0(VALU_DEP_1) | instskip(NEXT) | instid1(VALU_DEP_1)
	v_dual_lshlrev_b32 v2, 24, v2 :: v_dual_bitop2_b32 v0, 3, v0 bitop3:0x40
	v_dual_cndmask_b32 v3, v7, v3 :: v_dual_cndmask_b32 v0, v1, v0
	s_delay_alu instid0(VALU_DEP_2) | instskip(NEXT) | instid1(VALU_DEP_2)
	v_and_b32_e32 v1, 0x80000000, v2
	v_lshl_add_u32 v2, v3, 23, 0x37800000
	s_delay_alu instid0(VALU_DEP_3) | instskip(NEXT) | instid1(VALU_DEP_1)
	v_lshlrev_b32_e32 v0, 21, v0
	v_or3_b32 v0, v1, v2, v0
	s_delay_alu instid0(VALU_DEP_1)
	v_cvt_f64_f32_e32 v[0:1], v0
.LBB127_641:
	s_or_b32 exec_lo, exec_lo, s28
	s_mov_b32 s27, 0
	s_branch .LBB127_647
.LBB127_642:
	s_mov_b32 s28, -1
                                        ; implicit-def: $vgpr0_vgpr1
	s_branch .LBB127_653
.LBB127_643:
	s_or_saveexec_b32 s28, s28
	v_mov_b64_e32 v[0:1], 0x7ff8000020000000
	s_xor_b32 exec_lo, exec_lo, s28
	s_cbranch_execz .LBB127_626
.LBB127_644:
	v_cmp_ne_u16_e32 vcc_lo, 0, v2
	v_mov_b64_e32 v[0:1], 0
	s_and_not1_b32 s27, s27, exec_lo
	s_and_b32 s29, vcc_lo, exec_lo
	s_delay_alu instid0(SALU_CYCLE_1)
	s_or_b32 s27, s27, s29
	s_or_b32 exec_lo, exec_lo, s28
	s_and_saveexec_b32 s28, s27
	s_cbranch_execnz .LBB127_627
	s_branch .LBB127_628
.LBB127_645:
	s_mov_b32 s27, -1
                                        ; implicit-def: $vgpr0_vgpr1
	s_branch .LBB127_650
.LBB127_646:
	s_mov_b32 s27, -1
                                        ; implicit-def: $vgpr0_vgpr1
.LBB127_647:
	s_delay_alu instid0(SALU_CYCLE_1)
	s_and_b32 vcc_lo, exec_lo, s27
	s_cbranch_vccz .LBB127_649
; %bb.648:
	global_load_u8 v0, v[8:9], off
	s_wait_loadcnt 0x0
	v_lshlrev_b32_e32 v0, 24, v0
	s_delay_alu instid0(VALU_DEP_1) | instskip(NEXT) | instid1(VALU_DEP_1)
	v_and_b32_e32 v1, 0x7f000000, v0
	v_clz_i32_u32_e32 v2, v1
	v_add_nc_u32_e32 v5, 0x1000000, v1
	v_cmp_ne_u32_e32 vcc_lo, 0, v1
	s_delay_alu instid0(VALU_DEP_3) | instskip(NEXT) | instid1(VALU_DEP_1)
	v_min_u32_e32 v2, 32, v2
	v_sub_nc_u32_e64 v2, v2, 4 clamp
	s_delay_alu instid0(VALU_DEP_1) | instskip(NEXT) | instid1(VALU_DEP_1)
	v_dual_lshlrev_b32 v3, v2, v1 :: v_dual_lshlrev_b32 v2, 23, v2
	v_lshrrev_b32_e32 v3, 4, v3
	s_delay_alu instid0(VALU_DEP_1) | instskip(NEXT) | instid1(VALU_DEP_1)
	v_dual_sub_nc_u32 v2, v3, v2 :: v_dual_ashrrev_i32 v3, 8, v5
	v_add_nc_u32_e32 v2, 0x3c000000, v2
	s_delay_alu instid0(VALU_DEP_1) | instskip(NEXT) | instid1(VALU_DEP_1)
	v_and_or_b32 v2, 0x7f800000, v3, v2
	v_cndmask_b32_e32 v1, 0, v2, vcc_lo
	s_delay_alu instid0(VALU_DEP_1) | instskip(NEXT) | instid1(VALU_DEP_1)
	v_and_or_b32 v0, 0x80000000, v0, v1
	v_cvt_f64_f32_e32 v[0:1], v0
.LBB127_649:
	s_mov_b32 s27, 0
.LBB127_650:
	s_delay_alu instid0(SALU_CYCLE_1)
	s_and_not1_b32 vcc_lo, exec_lo, s27
	s_cbranch_vccnz .LBB127_652
; %bb.651:
	global_load_u8 v0, v[8:9], off
	s_wait_loadcnt 0x0
	v_lshlrev_b32_e32 v1, 25, v0
	v_lshlrev_b16 v0, 8, v0
	s_delay_alu instid0(VALU_DEP_1) | instskip(SKIP_1) | instid1(VALU_DEP_2)
	v_and_or_b32 v3, 0x7f00, v0, 0.5
	v_bfe_i32 v0, v0, 0, 16
	v_dual_add_f32 v3, -0.5, v3 :: v_dual_lshrrev_b32 v2, 4, v1
	v_cmp_gt_u32_e32 vcc_lo, 0x8000000, v1
	s_delay_alu instid0(VALU_DEP_2) | instskip(NEXT) | instid1(VALU_DEP_1)
	v_or_b32_e32 v2, 0x70000000, v2
	v_mul_f32_e32 v2, 0x7800000, v2
	s_delay_alu instid0(VALU_DEP_1) | instskip(NEXT) | instid1(VALU_DEP_1)
	v_cndmask_b32_e32 v1, v2, v3, vcc_lo
	v_and_or_b32 v0, 0x80000000, v0, v1
	s_delay_alu instid0(VALU_DEP_1)
	v_cvt_f64_f32_e32 v[0:1], v0
.LBB127_652:
	s_mov_b32 s28, 0
	s_mov_b32 s27, -1
.LBB127_653:
	s_and_not1_b32 vcc_lo, exec_lo, s28
	s_cbranch_vccnz .LBB127_666
; %bb.654:
	s_cmp_gt_i32 s0, 14
	s_cbranch_scc0 .LBB127_657
; %bb.655:
	s_cmp_eq_u32 s0, 15
	s_cbranch_scc0 .LBB127_660
; %bb.656:
	global_load_u16 v0, v[8:9], off
	s_mov_b32 s27, -1
	s_mov_b32 s26, 0
	s_wait_loadcnt 0x0
	v_lshlrev_b32_e32 v0, 16, v0
	s_delay_alu instid0(VALU_DEP_1)
	v_cvt_f64_f32_e32 v[0:1], v0
	s_branch .LBB127_661
.LBB127_657:
	s_mov_b32 s28, -1
                                        ; implicit-def: $vgpr0_vgpr1
	s_branch .LBB127_662
.LBB127_658:
	s_or_saveexec_b32 s28, s28
	v_mov_b64_e32 v[0:1], 0x7ff8000020000000
	s_xor_b32 exec_lo, exec_lo, s28
	s_cbranch_execz .LBB127_639
.LBB127_659:
	v_cmp_ne_u16_e32 vcc_lo, 0, v2
	v_mov_b64_e32 v[0:1], 0
	s_and_not1_b32 s27, s27, exec_lo
	s_and_b32 s29, vcc_lo, exec_lo
	s_delay_alu instid0(SALU_CYCLE_1)
	s_or_b32 s27, s27, s29
	s_or_b32 exec_lo, exec_lo, s28
	s_and_saveexec_b32 s28, s27
	s_cbranch_execnz .LBB127_640
	s_branch .LBB127_641
.LBB127_660:
	s_mov_b32 s26, -1
                                        ; implicit-def: $vgpr0_vgpr1
.LBB127_661:
	s_mov_b32 s28, 0
.LBB127_662:
	s_delay_alu instid0(SALU_CYCLE_1)
	s_and_b32 vcc_lo, exec_lo, s28
	s_cbranch_vccz .LBB127_666
; %bb.663:
	s_cmp_eq_u32 s0, 11
	s_cbranch_scc0 .LBB127_665
; %bb.664:
	global_load_u8 v0, v[8:9], off
	s_mov_b32 s26, 0
	s_mov_b32 s27, -1
	v_mov_b64_e32 v[2:3], 0
	s_wait_loadcnt 0x0
	v_cmp_ne_u16_e32 vcc_lo, 0, v0
	v_mov_b32_e32 v0, 0
	v_cndmask_b32_e64 v1, 0, 0x3ff00000, vcc_lo
	s_branch .LBB127_667
.LBB127_665:
	s_mov_b32 s26, -1
                                        ; implicit-def: $vgpr0_vgpr1
.LBB127_666:
	v_mov_b64_e32 v[2:3], 0
.LBB127_667:
	s_mov_b32 s28, 0
.LBB127_668:
	s_delay_alu instid0(SALU_CYCLE_1)
	s_and_b32 vcc_lo, exec_lo, s28
	s_cbranch_vccz .LBB127_719
; %bb.669:
	s_cmp_lt_i32 s0, 5
	s_cbranch_scc1 .LBB127_674
; %bb.670:
	s_cmp_lt_i32 s0, 8
	s_cbranch_scc1 .LBB127_675
	;; [unrolled: 3-line block ×3, first 2 shown]
; %bb.672:
	s_cmp_gt_i32 s0, 9
	s_cbranch_scc0 .LBB127_677
; %bb.673:
	global_load_b128 v[0:3], v[8:9], off
	s_mov_b32 s27, 0
	s_branch .LBB127_678
.LBB127_674:
	s_mov_b32 s27, -1
                                        ; implicit-def: $vgpr2_vgpr3
	s_branch .LBB127_697
.LBB127_675:
	s_mov_b32 s27, -1
                                        ; implicit-def: $vgpr2_vgpr3
	s_branch .LBB127_684
.LBB127_676:
	s_mov_b32 s27, -1
                                        ; implicit-def: $vgpr2_vgpr3
	s_branch .LBB127_681
.LBB127_677:
	s_mov_b32 s27, -1
                                        ; implicit-def: $vgpr2_vgpr3
.LBB127_678:
	s_delay_alu instid0(SALU_CYCLE_1)
	s_and_not1_b32 vcc_lo, exec_lo, s27
	s_cbranch_vccnz .LBB127_680
; %bb.679:
	s_wait_loadcnt 0x0
	global_load_b64 v[2:3], v[8:9], off
	s_wait_loadcnt 0x0
	v_cvt_f64_f32_e32 v[0:1], v2
	v_cvt_f64_f32_e32 v[2:3], v3
.LBB127_680:
	s_mov_b32 s27, 0
.LBB127_681:
	s_delay_alu instid0(SALU_CYCLE_1)
	s_and_not1_b32 vcc_lo, exec_lo, s27
	s_cbranch_vccnz .LBB127_683
; %bb.682:
	s_wait_loadcnt 0x0
	global_load_b32 v0, v[8:9], off
	s_wait_loadcnt 0x0
	v_lshrrev_b32_e32 v1, 16, v0
	v_cvt_f32_f16_e32 v0, v0
	s_delay_alu instid0(VALU_DEP_2) | instskip(NEXT) | instid1(VALU_DEP_2)
	v_cvt_f32_f16_e32 v2, v1
	v_cvt_f64_f32_e32 v[0:1], v0
	s_delay_alu instid0(VALU_DEP_2)
	v_cvt_f64_f32_e32 v[2:3], v2
.LBB127_683:
	s_mov_b32 s27, 0
.LBB127_684:
	s_delay_alu instid0(SALU_CYCLE_1)
	s_and_not1_b32 vcc_lo, exec_lo, s27
	s_cbranch_vccnz .LBB127_696
; %bb.685:
	s_cmp_lt_i32 s0, 6
	s_cbranch_scc1 .LBB127_688
; %bb.686:
	s_cmp_gt_i32 s0, 6
	s_cbranch_scc0 .LBB127_689
; %bb.687:
	s_wait_loadcnt 0x0
	global_load_b64 v[0:1], v[8:9], off
	s_mov_b32 s27, 0
	s_branch .LBB127_690
.LBB127_688:
	s_mov_b32 s27, -1
                                        ; implicit-def: $vgpr0_vgpr1
	s_branch .LBB127_693
.LBB127_689:
	s_mov_b32 s27, -1
                                        ; implicit-def: $vgpr0_vgpr1
.LBB127_690:
	s_delay_alu instid0(SALU_CYCLE_1)
	s_and_not1_b32 vcc_lo, exec_lo, s27
	s_cbranch_vccnz .LBB127_692
; %bb.691:
	s_wait_loadcnt 0x0
	global_load_b32 v0, v[8:9], off
	s_wait_loadcnt 0x0
	v_cvt_f64_f32_e32 v[0:1], v0
.LBB127_692:
	s_mov_b32 s27, 0
.LBB127_693:
	s_delay_alu instid0(SALU_CYCLE_1)
	s_and_not1_b32 vcc_lo, exec_lo, s27
	s_cbranch_vccnz .LBB127_695
; %bb.694:
	s_wait_loadcnt 0x0
	global_load_u16 v0, v[8:9], off
	s_wait_loadcnt 0x0
	v_cvt_f32_f16_e32 v0, v0
	s_delay_alu instid0(VALU_DEP_1)
	v_cvt_f64_f32_e32 v[0:1], v0
.LBB127_695:
	s_wait_loadcnt 0x0
	v_mov_b64_e32 v[2:3], 0
.LBB127_696:
	s_mov_b32 s27, 0
.LBB127_697:
	s_delay_alu instid0(SALU_CYCLE_1)
	s_and_not1_b32 vcc_lo, exec_lo, s27
	s_cbranch_vccnz .LBB127_718
; %bb.698:
	s_cmp_lt_i32 s0, 2
	s_cbranch_scc1 .LBB127_702
; %bb.699:
	s_cmp_lt_i32 s0, 3
	s_cbranch_scc1 .LBB127_703
; %bb.700:
	s_cmp_gt_i32 s0, 3
	s_cbranch_scc0 .LBB127_704
; %bb.701:
	s_wait_loadcnt 0x0
	global_load_b64 v[0:1], v[8:9], off
	s_mov_b32 s27, 0
	s_wait_loadcnt 0x0
	v_cvt_f64_i32_e32 v[2:3], v1
	v_cvt_f64_u32_e32 v[0:1], v0
	s_delay_alu instid0(VALU_DEP_2) | instskip(NEXT) | instid1(VALU_DEP_1)
	v_ldexp_f64 v[2:3], v[2:3], 32
	v_add_f64_e32 v[0:1], v[2:3], v[0:1]
	s_branch .LBB127_705
.LBB127_702:
	s_mov_b32 s27, -1
                                        ; implicit-def: $vgpr0_vgpr1
	s_branch .LBB127_711
.LBB127_703:
	s_mov_b32 s27, -1
                                        ; implicit-def: $vgpr0_vgpr1
	s_branch .LBB127_708
.LBB127_704:
	s_mov_b32 s27, -1
                                        ; implicit-def: $vgpr0_vgpr1
.LBB127_705:
	s_delay_alu instid0(SALU_CYCLE_1)
	s_and_not1_b32 vcc_lo, exec_lo, s27
	s_cbranch_vccnz .LBB127_707
; %bb.706:
	s_wait_loadcnt 0x0
	global_load_b32 v0, v[8:9], off
	s_wait_loadcnt 0x0
	v_cvt_f64_i32_e32 v[0:1], v0
.LBB127_707:
	s_mov_b32 s27, 0
.LBB127_708:
	s_delay_alu instid0(SALU_CYCLE_1)
	s_and_not1_b32 vcc_lo, exec_lo, s27
	s_cbranch_vccnz .LBB127_710
; %bb.709:
	s_wait_loadcnt 0x0
	global_load_i16 v0, v[8:9], off
	s_wait_loadcnt 0x0
	v_cvt_f64_i32_e32 v[0:1], v0
.LBB127_710:
	s_mov_b32 s27, 0
.LBB127_711:
	s_delay_alu instid0(SALU_CYCLE_1)
	s_and_not1_b32 vcc_lo, exec_lo, s27
	s_cbranch_vccnz .LBB127_717
; %bb.712:
	s_cmp_gt_i32 s0, 0
	s_mov_b32 s0, 0
	s_cbranch_scc0 .LBB127_714
; %bb.713:
	s_wait_loadcnt 0x0
	global_load_i8 v0, v[8:9], off
	s_wait_loadcnt 0x0
	v_cvt_f64_i32_e32 v[0:1], v0
	s_branch .LBB127_715
.LBB127_714:
	s_mov_b32 s0, -1
                                        ; implicit-def: $vgpr0_vgpr1
.LBB127_715:
	s_delay_alu instid0(SALU_CYCLE_1)
	s_and_not1_b32 vcc_lo, exec_lo, s0
	s_cbranch_vccnz .LBB127_717
; %bb.716:
	s_wait_loadcnt 0x0
	global_load_u8 v0, v[8:9], off
	s_wait_loadcnt 0x0
	v_cvt_f64_u32_e32 v[0:1], v0
.LBB127_717:
	s_wait_loadcnt 0x0
	v_mov_b64_e32 v[2:3], 0
.LBB127_718:
	s_mov_b32 s27, -1
.LBB127_719:
	s_delay_alu instid0(SALU_CYCLE_1)
	s_and_not1_b32 vcc_lo, exec_lo, s27
	s_cbranch_vccnz .LBB127_722
; %bb.720:
	s_and_not1_b32 vcc_lo, exec_lo, s13
	s_cbranch_vccnz .LBB127_723
; %bb.721:
	s_wait_loadcnt 0x0
	s_delay_alu instid0(VALU_DEP_1) | instskip(NEXT) | instid1(VALU_DEP_2)
	v_cmp_neq_f64_e32 vcc_lo, s[8:9], v[0:1]
	v_cmp_neq_f64_e64 s0, s[10:11], v[2:3]
	s_or_b32 s27, vcc_lo, s0
	s_mov_b32 s0, 0
	s_branch .LBB127_724
.LBB127_722:
	s_mov_b32 s27, 0
	s_mov_b32 s0, s48
	s_branch .LBB127_849
.LBB127_723:
	s_mov_b32 s0, -1
                                        ; implicit-def: $sgpr27
.LBB127_724:
	s_delay_alu instid0(SALU_CYCLE_1)
	s_and_not1_b32 vcc_lo, exec_lo, s0
	s_cbranch_vccnz .LBB127_726
; %bb.725:
	s_wait_loadcnt 0x0
	s_delay_alu instid0(VALU_DEP_1) | instskip(NEXT) | instid1(VALU_DEP_2)
	v_cmp_eq_f64_e32 vcc_lo, s[8:9], v[0:1]
	v_cmp_eq_f64_e64 s0, s[10:11], v[2:3]
	s_and_not1_b32 s27, s27, exec_lo
	s_and_b32 s0, vcc_lo, s0
	s_delay_alu instid0(SALU_CYCLE_1) | instskip(NEXT) | instid1(SALU_CYCLE_1)
	s_and_b32 s0, s0, exec_lo
	s_or_b32 s27, s27, s0
.LBB127_726:
	v_mov_b32_e32 v7, 0
	s_and_b32 s28, s38, 0xff
	s_delay_alu instid0(SALU_CYCLE_1) | instskip(SKIP_1) | instid1(VALU_DEP_1)
	s_cmp_lt_i32 s28, 11
	s_wait_loadcnt 0x0
	v_add_nc_u64_e32 v[0:1], s[4:5], v[6:7]
	s_cbranch_scc1 .LBB127_733
; %bb.727:
	s_and_b32 s29, 0xffff, s28
	s_delay_alu instid0(SALU_CYCLE_1)
	s_cmp_gt_i32 s29, 25
	s_cbranch_scc0 .LBB127_734
; %bb.728:
	s_cmp_gt_i32 s29, 28
	s_cbranch_scc0 .LBB127_735
; %bb.729:
	;; [unrolled: 3-line block ×4, first 2 shown]
	s_mov_b32 s31, 0
	s_mov_b32 s0, -1
	s_cmp_eq_u32 s29, 46
	s_mov_b32 s30, 0
	s_cbranch_scc0 .LBB127_738
; %bb.732:
	v_cndmask_b32_e64 v2, 0, 1.0, s27
	s_mov_b32 s30, -1
	s_mov_b32 s0, 0
	s_delay_alu instid0(VALU_DEP_1) | instskip(NEXT) | instid1(VALU_DEP_1)
	v_bfe_u32 v3, v2, 16, 1
	v_add3_u32 v2, v2, v3, 0x7fff
	s_delay_alu instid0(VALU_DEP_1)
	v_lshrrev_b32_e32 v2, 16, v2
	global_store_b32 v[0:1], v2, off
	s_branch .LBB127_738
.LBB127_733:
	s_mov_b32 s29, -1
	s_mov_b32 s30, 0
	s_mov_b32 s0, s48
	s_branch .LBB127_807
.LBB127_734:
	s_mov_b32 s31, -1
	s_mov_b32 s30, 0
	s_mov_b32 s0, s48
	s_branch .LBB127_765
.LBB127_735:
	s_mov_b32 s31, -1
	s_mov_b32 s30, 0
	s_mov_b32 s0, s48
	s_branch .LBB127_748
.LBB127_736:
	s_mov_b32 s31, -1
	s_mov_b32 s30, 0
	s_mov_b32 s0, s48
	s_branch .LBB127_744
.LBB127_737:
	s_mov_b32 s31, -1
	s_mov_b32 s30, 0
	s_mov_b32 s0, s48
.LBB127_738:
	s_and_b32 vcc_lo, exec_lo, s31
	s_cbranch_vccz .LBB127_743
; %bb.739:
	s_cmp_eq_u32 s29, 44
	s_mov_b32 s0, -1
	s_cbranch_scc0 .LBB127_743
; %bb.740:
	v_cndmask_b32_e64 v5, 0, 1.0, s27
	s_mov_b32 s30, exec_lo
	s_wait_xcnt 0x0
	s_delay_alu instid0(VALU_DEP_1) | instskip(NEXT) | instid1(VALU_DEP_1)
	v_dual_mov_b32 v3, 0xff :: v_dual_lshrrev_b32 v2, 23, v5
	v_cmpx_ne_u32_e32 0xff, v2
; %bb.741:
	v_and_b32_e32 v3, 0x400000, v5
	v_and_or_b32 v5, 0x3fffff, v5, v2
	s_delay_alu instid0(VALU_DEP_2) | instskip(NEXT) | instid1(VALU_DEP_2)
	v_cmp_ne_u32_e32 vcc_lo, 0, v3
	v_cmp_ne_u32_e64 s0, 0, v5
	s_and_b32 s0, vcc_lo, s0
	s_delay_alu instid0(SALU_CYCLE_1) | instskip(NEXT) | instid1(VALU_DEP_1)
	v_cndmask_b32_e64 v3, 0, 1, s0
	v_add_nc_u32_e32 v3, v2, v3
; %bb.742:
	s_or_b32 exec_lo, exec_lo, s30
	s_mov_b32 s30, -1
	s_mov_b32 s0, 0
	global_store_b8 v[0:1], v3, off
.LBB127_743:
	s_mov_b32 s31, 0
.LBB127_744:
	s_delay_alu instid0(SALU_CYCLE_1)
	s_and_b32 vcc_lo, exec_lo, s31
	s_cbranch_vccz .LBB127_747
; %bb.745:
	s_cmp_eq_u32 s29, 29
	s_mov_b32 s0, -1
	s_cbranch_scc0 .LBB127_747
; %bb.746:
	s_mov_b32 s0, 0
	s_wait_xcnt 0x0
	v_cndmask_b32_e64 v2, 0, 1, s27
	v_mov_b32_e32 v3, s0
	s_mov_b32 s30, -1
	s_mov_b32 s31, 0
	global_store_b64 v[0:1], v[2:3], off
	s_branch .LBB127_748
.LBB127_747:
	s_mov_b32 s31, 0
.LBB127_748:
	s_delay_alu instid0(SALU_CYCLE_1)
	s_and_b32 vcc_lo, exec_lo, s31
	s_cbranch_vccz .LBB127_764
; %bb.749:
	s_cmp_lt_i32 s29, 27
	s_mov_b32 s30, -1
	s_cbranch_scc1 .LBB127_755
; %bb.750:
	s_cmp_gt_i32 s29, 27
	s_cbranch_scc0 .LBB127_752
; %bb.751:
	s_wait_xcnt 0x0
	v_cndmask_b32_e64 v2, 0, 1, s27
	s_mov_b32 s30, 0
	global_store_b32 v[0:1], v2, off
.LBB127_752:
	s_and_not1_b32 vcc_lo, exec_lo, s30
	s_cbranch_vccnz .LBB127_754
; %bb.753:
	s_wait_xcnt 0x0
	v_cndmask_b32_e64 v2, 0, 1, s27
	global_store_b16 v[0:1], v2, off
.LBB127_754:
	s_mov_b32 s30, 0
.LBB127_755:
	s_delay_alu instid0(SALU_CYCLE_1)
	s_and_not1_b32 vcc_lo, exec_lo, s30
	s_cbranch_vccnz .LBB127_763
; %bb.756:
	s_wait_xcnt 0x0
	v_cndmask_b32_e64 v3, 0, 1.0, s27
	v_mov_b32_e32 v5, 0x80
	s_mov_b32 s30, exec_lo
	s_delay_alu instid0(VALU_DEP_2)
	v_cmpx_gt_u32_e32 0x43800000, v3
	s_cbranch_execz .LBB127_762
; %bb.757:
	s_mov_b32 s31, 0
	s_mov_b32 s51, exec_lo
                                        ; implicit-def: $vgpr2
	v_cmpx_lt_u32_e32 0x3bffffff, v3
	s_xor_b32 s51, exec_lo, s51
	s_cbranch_execz .LBB127_881
; %bb.758:
	v_bfe_u32 v2, v3, 20, 1
	s_mov_b32 s31, exec_lo
	s_delay_alu instid0(VALU_DEP_1) | instskip(NEXT) | instid1(VALU_DEP_1)
	v_add3_u32 v2, v3, v2, 0x487ffff
                                        ; implicit-def: $vgpr3
	v_lshrrev_b32_e32 v2, 20, v2
	s_and_not1_saveexec_b32 s51, s51
	s_cbranch_execnz .LBB127_882
.LBB127_759:
	s_or_b32 exec_lo, exec_lo, s51
	v_mov_b32_e32 v5, 0
	s_and_saveexec_b32 s51, s31
.LBB127_760:
	v_mov_b32_e32 v5, v2
.LBB127_761:
	s_or_b32 exec_lo, exec_lo, s51
.LBB127_762:
	s_delay_alu instid0(SALU_CYCLE_1)
	s_or_b32 exec_lo, exec_lo, s30
	global_store_b8 v[0:1], v5, off
.LBB127_763:
	s_mov_b32 s30, -1
.LBB127_764:
	s_mov_b32 s31, 0
.LBB127_765:
	s_delay_alu instid0(SALU_CYCLE_1)
	s_and_b32 vcc_lo, exec_lo, s31
	s_cbranch_vccz .LBB127_806
; %bb.766:
	s_cmp_gt_i32 s29, 22
	s_mov_b32 s31, -1
	s_cbranch_scc0 .LBB127_798
; %bb.767:
	s_cmp_lt_i32 s29, 24
	s_mov_b32 s30, -1
	s_cbranch_scc1 .LBB127_787
; %bb.768:
	s_cmp_gt_i32 s29, 24
	s_cbranch_scc0 .LBB127_776
; %bb.769:
	s_wait_xcnt 0x0
	v_cndmask_b32_e64 v3, 0, 1.0, s27
	v_mov_b32_e32 v5, 0x80
	s_mov_b32 s30, exec_lo
	s_delay_alu instid0(VALU_DEP_2)
	v_cmpx_gt_u32_e32 0x47800000, v3
	s_cbranch_execz .LBB127_775
; %bb.770:
	s_mov_b32 s31, 0
	s_mov_b32 s51, exec_lo
                                        ; implicit-def: $vgpr2
	v_cmpx_lt_u32_e32 0x37ffffff, v3
	s_xor_b32 s51, exec_lo, s51
	s_cbranch_execz .LBB127_884
; %bb.771:
	v_bfe_u32 v2, v3, 21, 1
	s_mov_b32 s31, exec_lo
	s_delay_alu instid0(VALU_DEP_1) | instskip(NEXT) | instid1(VALU_DEP_1)
	v_add3_u32 v2, v3, v2, 0x88fffff
                                        ; implicit-def: $vgpr3
	v_lshrrev_b32_e32 v2, 21, v2
	s_and_not1_saveexec_b32 s51, s51
	s_cbranch_execnz .LBB127_885
.LBB127_772:
	s_or_b32 exec_lo, exec_lo, s51
	v_mov_b32_e32 v5, 0
	s_and_saveexec_b32 s51, s31
.LBB127_773:
	v_mov_b32_e32 v5, v2
.LBB127_774:
	s_or_b32 exec_lo, exec_lo, s51
.LBB127_775:
	s_delay_alu instid0(SALU_CYCLE_1)
	s_or_b32 exec_lo, exec_lo, s30
	s_mov_b32 s30, 0
	global_store_b8 v[0:1], v5, off
.LBB127_776:
	s_and_b32 vcc_lo, exec_lo, s30
	s_cbranch_vccz .LBB127_786
; %bb.777:
	s_wait_xcnt 0x0
	v_cndmask_b32_e64 v3, 0, 1.0, s27
	s_mov_b32 s30, exec_lo
                                        ; implicit-def: $vgpr2
	s_delay_alu instid0(VALU_DEP_1)
	v_cmpx_gt_u32_e32 0x43f00000, v3
	s_xor_b32 s30, exec_lo, s30
	s_cbranch_execz .LBB127_783
; %bb.778:
	s_mov_b32 s31, exec_lo
                                        ; implicit-def: $vgpr2
	v_cmpx_lt_u32_e32 0x3c7fffff, v3
	s_xor_b32 s31, exec_lo, s31
; %bb.779:
	v_bfe_u32 v2, v3, 20, 1
	s_delay_alu instid0(VALU_DEP_1) | instskip(NEXT) | instid1(VALU_DEP_1)
	v_add3_u32 v2, v3, v2, 0x407ffff
	v_and_b32_e32 v3, 0xff00000, v2
	v_lshrrev_b32_e32 v2, 20, v2
	s_delay_alu instid0(VALU_DEP_2) | instskip(NEXT) | instid1(VALU_DEP_2)
	v_cmp_ne_u32_e32 vcc_lo, 0x7f00000, v3
                                        ; implicit-def: $vgpr3
	v_cndmask_b32_e32 v2, 0x7e, v2, vcc_lo
; %bb.780:
	s_and_not1_saveexec_b32 s31, s31
; %bb.781:
	v_add_f32_e32 v2, 0x46800000, v3
; %bb.782:
	s_or_b32 exec_lo, exec_lo, s31
                                        ; implicit-def: $vgpr3
.LBB127_783:
	s_and_not1_saveexec_b32 s30, s30
; %bb.784:
	v_mov_b32_e32 v2, 0x7f
	v_cmp_lt_u32_e32 vcc_lo, 0x7f800000, v3
	s_delay_alu instid0(VALU_DEP_2)
	v_cndmask_b32_e32 v2, 0x7e, v2, vcc_lo
; %bb.785:
	s_or_b32 exec_lo, exec_lo, s30
	global_store_b8 v[0:1], v2, off
.LBB127_786:
	s_mov_b32 s30, 0
.LBB127_787:
	s_delay_alu instid0(SALU_CYCLE_1)
	s_and_not1_b32 vcc_lo, exec_lo, s30
	s_cbranch_vccnz .LBB127_797
; %bb.788:
	s_wait_xcnt 0x0
	v_cndmask_b32_e64 v3, 0, 1.0, s27
	s_mov_b32 s30, exec_lo
                                        ; implicit-def: $vgpr2
	s_delay_alu instid0(VALU_DEP_1)
	v_cmpx_gt_u32_e32 0x47800000, v3
	s_xor_b32 s30, exec_lo, s30
	s_cbranch_execz .LBB127_794
; %bb.789:
	s_mov_b32 s31, exec_lo
                                        ; implicit-def: $vgpr2
	v_cmpx_lt_u32_e32 0x387fffff, v3
	s_xor_b32 s31, exec_lo, s31
; %bb.790:
	v_bfe_u32 v2, v3, 21, 1
	s_delay_alu instid0(VALU_DEP_1) | instskip(NEXT) | instid1(VALU_DEP_1)
	v_add3_u32 v2, v3, v2, 0x80fffff
                                        ; implicit-def: $vgpr3
	v_lshrrev_b32_e32 v2, 21, v2
; %bb.791:
	s_and_not1_saveexec_b32 s31, s31
; %bb.792:
	v_add_f32_e32 v2, 0x43000000, v3
; %bb.793:
	s_or_b32 exec_lo, exec_lo, s31
                                        ; implicit-def: $vgpr3
.LBB127_794:
	s_and_not1_saveexec_b32 s30, s30
; %bb.795:
	v_mov_b32_e32 v2, 0x7f
	v_cmp_lt_u32_e32 vcc_lo, 0x7f800000, v3
	s_delay_alu instid0(VALU_DEP_2)
	v_cndmask_b32_e32 v2, 0x7c, v2, vcc_lo
; %bb.796:
	s_or_b32 exec_lo, exec_lo, s30
	global_store_b8 v[0:1], v2, off
.LBB127_797:
	s_mov_b32 s31, 0
	s_mov_b32 s30, -1
.LBB127_798:
	s_and_not1_b32 vcc_lo, exec_lo, s31
	s_cbranch_vccnz .LBB127_806
; %bb.799:
	s_cmp_gt_i32 s29, 14
	s_mov_b32 s31, -1
	s_cbranch_scc0 .LBB127_803
; %bb.800:
	s_cmp_eq_u32 s29, 15
	s_mov_b32 s0, -1
	s_cbranch_scc0 .LBB127_802
; %bb.801:
	s_wait_xcnt 0x0
	v_cndmask_b32_e64 v2, 0, 1.0, s27
	s_mov_b32 s30, -1
	s_mov_b32 s0, 0
	s_delay_alu instid0(VALU_DEP_1) | instskip(NEXT) | instid1(VALU_DEP_1)
	v_bfe_u32 v3, v2, 16, 1
	v_add3_u32 v2, v2, v3, 0x7fff
	global_store_d16_hi_b16 v[0:1], v2, off
.LBB127_802:
	s_mov_b32 s31, 0
.LBB127_803:
	s_delay_alu instid0(SALU_CYCLE_1)
	s_and_b32 vcc_lo, exec_lo, s31
	s_cbranch_vccz .LBB127_806
; %bb.804:
	s_cmp_eq_u32 s29, 11
	s_mov_b32 s0, -1
	s_cbranch_scc0 .LBB127_806
; %bb.805:
	s_wait_xcnt 0x0
	v_cndmask_b32_e64 v2, 0, 1, s27
	s_mov_b32 s30, -1
	s_mov_b32 s0, 0
	global_store_b8 v[0:1], v2, off
.LBB127_806:
	s_mov_b32 s29, 0
.LBB127_807:
	s_delay_alu instid0(SALU_CYCLE_1)
	s_and_b32 vcc_lo, exec_lo, s29
	s_cbranch_vccz .LBB127_846
; %bb.808:
	s_and_b32 s28, 0xffff, s28
	s_mov_b32 s29, -1
	s_cmp_lt_i32 s28, 5
	s_cbranch_scc1 .LBB127_829
; %bb.809:
	s_cmp_lt_i32 s28, 8
	s_cbranch_scc1 .LBB127_819
; %bb.810:
	;; [unrolled: 3-line block ×3, first 2 shown]
	s_cmp_gt_i32 s28, 9
	s_cbranch_scc0 .LBB127_813
; %bb.812:
	s_wait_xcnt 0x0
	v_cndmask_b32_e64 v2, 0, 1, s27
	v_mov_b32_e32 v8, 0
	s_mov_b32 s29, 0
	s_delay_alu instid0(VALU_DEP_2) | instskip(NEXT) | instid1(VALU_DEP_2)
	v_cvt_f64_u32_e32 v[6:7], v2
	v_mov_b32_e32 v9, v8
	global_store_b128 v[0:1], v[6:9], off
.LBB127_813:
	s_and_not1_b32 vcc_lo, exec_lo, s29
	s_cbranch_vccnz .LBB127_815
; %bb.814:
	s_wait_xcnt 0x0
	v_cndmask_b32_e64 v2, 0, 1.0, s27
	v_mov_b32_e32 v3, 0
	global_store_b64 v[0:1], v[2:3], off
.LBB127_815:
	s_mov_b32 s29, 0
.LBB127_816:
	s_delay_alu instid0(SALU_CYCLE_1)
	s_and_not1_b32 vcc_lo, exec_lo, s29
	s_cbranch_vccnz .LBB127_818
; %bb.817:
	s_wait_xcnt 0x0
	v_cndmask_b32_e64 v2, 0, 1.0, s27
	s_delay_alu instid0(VALU_DEP_1) | instskip(NEXT) | instid1(VALU_DEP_1)
	v_cvt_f16_f32_e32 v2, v2
	v_and_b32_e32 v2, 0xffff, v2
	global_store_b32 v[0:1], v2, off
.LBB127_818:
	s_mov_b32 s29, 0
.LBB127_819:
	s_delay_alu instid0(SALU_CYCLE_1)
	s_and_not1_b32 vcc_lo, exec_lo, s29
	s_cbranch_vccnz .LBB127_828
; %bb.820:
	s_cmp_lt_i32 s28, 6
	s_mov_b32 s29, -1
	s_cbranch_scc1 .LBB127_826
; %bb.821:
	s_cmp_gt_i32 s28, 6
	s_cbranch_scc0 .LBB127_823
; %bb.822:
	s_wait_xcnt 0x0
	v_cndmask_b32_e64 v2, 0, 1, s27
	s_mov_b32 s29, 0
	s_delay_alu instid0(VALU_DEP_1)
	v_cvt_f64_u32_e32 v[2:3], v2
	global_store_b64 v[0:1], v[2:3], off
.LBB127_823:
	s_and_not1_b32 vcc_lo, exec_lo, s29
	s_cbranch_vccnz .LBB127_825
; %bb.824:
	s_wait_xcnt 0x0
	v_cndmask_b32_e64 v2, 0, 1.0, s27
	global_store_b32 v[0:1], v2, off
.LBB127_825:
	s_mov_b32 s29, 0
.LBB127_826:
	s_delay_alu instid0(SALU_CYCLE_1)
	s_and_not1_b32 vcc_lo, exec_lo, s29
	s_cbranch_vccnz .LBB127_828
; %bb.827:
	s_wait_xcnt 0x0
	v_cndmask_b32_e64 v2, 0, 1.0, s27
	s_delay_alu instid0(VALU_DEP_1)
	v_cvt_f16_f32_e32 v2, v2
	global_store_b16 v[0:1], v2, off
.LBB127_828:
	s_mov_b32 s29, 0
.LBB127_829:
	s_delay_alu instid0(SALU_CYCLE_1)
	s_and_not1_b32 vcc_lo, exec_lo, s29
	s_cbranch_vccnz .LBB127_845
; %bb.830:
	s_cmp_lt_i32 s28, 2
	s_mov_b32 s29, -1
	s_cbranch_scc1 .LBB127_840
; %bb.831:
	s_cmp_lt_i32 s28, 3
	s_cbranch_scc1 .LBB127_837
; %bb.832:
	s_cmp_gt_i32 s28, 3
	s_cbranch_scc0 .LBB127_834
; %bb.833:
	s_mov_b32 s29, 0
	s_wait_xcnt 0x0
	v_cndmask_b32_e64 v2, 0, 1, s27
	v_mov_b32_e32 v3, s29
	global_store_b64 v[0:1], v[2:3], off
.LBB127_834:
	s_and_not1_b32 vcc_lo, exec_lo, s29
	s_cbranch_vccnz .LBB127_836
; %bb.835:
	s_wait_xcnt 0x0
	v_cndmask_b32_e64 v2, 0, 1, s27
	global_store_b32 v[0:1], v2, off
.LBB127_836:
	s_mov_b32 s29, 0
.LBB127_837:
	s_delay_alu instid0(SALU_CYCLE_1)
	s_and_not1_b32 vcc_lo, exec_lo, s29
	s_cbranch_vccnz .LBB127_839
; %bb.838:
	s_wait_xcnt 0x0
	v_cndmask_b32_e64 v2, 0, 1, s27
	global_store_b16 v[0:1], v2, off
.LBB127_839:
	s_mov_b32 s29, 0
.LBB127_840:
	s_delay_alu instid0(SALU_CYCLE_1)
	s_and_not1_b32 vcc_lo, exec_lo, s29
	s_cbranch_vccnz .LBB127_845
; %bb.841:
	s_wait_xcnt 0x0
	v_cndmask_b32_e64 v2, 0, 1, s27
	s_cmp_gt_i32 s28, 0
	s_mov_b32 s27, -1
	s_cbranch_scc0 .LBB127_843
; %bb.842:
	s_mov_b32 s27, 0
	global_store_b8 v[0:1], v2, off
.LBB127_843:
	s_and_not1_b32 vcc_lo, exec_lo, s27
	s_cbranch_vccnz .LBB127_845
; %bb.844:
	global_store_b8 v[0:1], v2, off
.LBB127_845:
	s_mov_b32 s30, -1
.LBB127_846:
	s_delay_alu instid0(SALU_CYCLE_1)
	s_and_not1_b32 vcc_lo, exec_lo, s30
	s_cbranch_vccnz .LBB127_848
; %bb.847:
	v_add_nc_u32_e32 v4, 0x80, v4
	s_mov_b32 s27, -1
	s_branch .LBB127_850
.LBB127_848:
	s_mov_b32 s27, 0
.LBB127_849:
                                        ; implicit-def: $vgpr4
.LBB127_850:
	s_and_not1_b32 s28, s48, exec_lo
	s_and_b32 s0, s0, exec_lo
	s_and_not1_b32 s29, s47, exec_lo
	s_and_b32 s26, s26, exec_lo
	s_or_b32 s30, s28, s0
	s_or_b32 s0, s29, s26
	s_or_not1_b32 s29, s27, exec_lo
.LBB127_851:
	s_wait_xcnt 0x0
	s_or_b32 exec_lo, exec_lo, s50
	s_mov_b32 s27, 0
	s_mov_b32 s26, 0
	;; [unrolled: 1-line block ×3, first 2 shown]
                                        ; implicit-def: $vgpr8_vgpr9
                                        ; implicit-def: $vgpr6
                                        ; implicit-def: $vgpr2_vgpr3
	s_and_saveexec_b32 s31, s29
	s_cbranch_execz .LBB127_956
; %bb.852:
	v_cmp_gt_i32_e32 vcc_lo, s41, v4
	s_mov_b32 s29, s0
                                        ; implicit-def: $vgpr8_vgpr9
                                        ; implicit-def: $vgpr6
                                        ; implicit-def: $vgpr2_vgpr3
	s_and_saveexec_b32 s41, vcc_lo
	s_cbranch_execz .LBB127_955
; %bb.853:
	s_and_not1_b32 vcc_lo, exec_lo, s36
	s_cbranch_vccnz .LBB127_859
; %bb.854:
	s_and_not1_b32 vcc_lo, exec_lo, s43
	s_cbranch_vccnz .LBB127_860
; %bb.855:
	s_add_co_i32 s42, s42, 1
	s_cmp_eq_u32 s34, 2
	s_cbranch_scc1 .LBB127_861
; %bb.856:
	s_wait_loadcnt 0x0
	v_dual_mov_b32 v6, 0 :: v_dual_mov_b32 v0, 0
	v_mov_b32_e32 v1, v4
	s_and_b32 s26, s42, 28
	s_mov_b64 s[28:29], s[2:3]
.LBB127_857:                            ; =>This Inner Loop Header: Depth=1
	s_clause 0x1
	s_load_b256 s[52:59], s[28:29], 0x4
	s_load_b128 s[68:71], s[28:29], 0x24
	s_load_b256 s[60:67], s[24:25], 0x0
	s_add_co_i32 s27, s27, 4
	s_wait_xcnt 0x0
	s_add_nc_u64 s[28:29], s[28:29], 48
	s_cmp_eq_u32 s26, s27
	s_add_nc_u64 s[24:25], s[24:25], 32
	s_wait_kmcnt 0x0
	v_mul_hi_u32 v2, s53, v1
	s_delay_alu instid0(VALU_DEP_1) | instskip(NEXT) | instid1(VALU_DEP_1)
	v_add_nc_u32_e32 v2, v1, v2
	v_lshrrev_b32_e32 v2, s54, v2
	s_delay_alu instid0(VALU_DEP_1) | instskip(NEXT) | instid1(VALU_DEP_1)
	v_mul_hi_u32 v3, s56, v2
	v_add_nc_u32_e32 v3, v2, v3
	s_delay_alu instid0(VALU_DEP_1) | instskip(NEXT) | instid1(VALU_DEP_1)
	v_lshrrev_b32_e32 v3, s57, v3
	v_mul_hi_u32 v5, s59, v3
	s_delay_alu instid0(VALU_DEP_1) | instskip(SKIP_1) | instid1(VALU_DEP_2)
	v_add_nc_u32_e32 v5, v3, v5
	v_mul_lo_u32 v7, v2, s52
	v_lshrrev_b32_e32 v5, s68, v5
	s_delay_alu instid0(VALU_DEP_1) | instskip(NEXT) | instid1(VALU_DEP_3)
	v_mul_hi_u32 v8, s70, v5
	v_sub_nc_u32_e32 v1, v1, v7
	v_mul_lo_u32 v7, v3, s55
	s_delay_alu instid0(VALU_DEP_1) | instskip(NEXT) | instid1(VALU_DEP_3)
	v_sub_nc_u32_e32 v2, v2, v7
	v_mad_u32 v0, v1, s61, v0
	v_mad_u32 v1, v1, s60, v6
	v_mul_lo_u32 v6, v5, s58
	v_add_nc_u32_e32 v7, v5, v8
	s_delay_alu instid0(VALU_DEP_4) | instskip(NEXT) | instid1(VALU_DEP_4)
	v_mad_u32 v0, v2, s63, v0
	v_mad_u32 v2, v2, s62, v1
	s_delay_alu instid0(VALU_DEP_3) | instskip(NEXT) | instid1(VALU_DEP_1)
	v_dual_sub_nc_u32 v3, v3, v6 :: v_dual_lshrrev_b32 v1, s71, v7
	v_mul_lo_u32 v6, v1, s69
	s_delay_alu instid0(VALU_DEP_2) | instskip(NEXT) | instid1(VALU_DEP_4)
	v_mad_u32 v0, v3, s65, v0
	v_mad_u32 v2, v3, s64, v2
	s_delay_alu instid0(VALU_DEP_3) | instskip(NEXT) | instid1(VALU_DEP_1)
	v_sub_nc_u32_e32 v3, v5, v6
	v_mad_u32 v0, v3, s67, v0
	s_delay_alu instid0(VALU_DEP_3)
	v_mad_u32 v6, v3, s66, v2
	s_cbranch_scc0 .LBB127_857
; %bb.858:
	s_delay_alu instid0(VALU_DEP_2)
	v_mov_b32_e32 v7, v0
	s_branch .LBB127_862
.LBB127_859:
	s_mov_b32 s24, -1
                                        ; implicit-def: $vgpr0
                                        ; implicit-def: $vgpr6
	s_branch .LBB127_867
.LBB127_860:
	s_wait_loadcnt 0x0
	v_dual_mov_b32 v0, 0 :: v_dual_mov_b32 v6, 0
	s_branch .LBB127_866
.LBB127_861:
	v_mov_b64_e32 v[6:7], 0
	s_wait_loadcnt 0x0
	v_mov_b32_e32 v1, v4
                                        ; implicit-def: $vgpr0
.LBB127_862:
	s_and_b32 s28, s42, 3
	s_mov_b32 s27, 0
	s_cmp_eq_u32 s28, 0
	s_cbranch_scc1 .LBB127_866
; %bb.863:
	s_lshl_b32 s24, s26, 3
	s_mov_b32 s25, s27
	s_mul_u64 s[26:27], s[26:27], 12
	s_add_nc_u64 s[24:25], s[2:3], s[24:25]
	s_add_nc_u64 s[26:27], s[2:3], s[26:27]
	;; [unrolled: 1-line block ×3, first 2 shown]
.LBB127_864:                            ; =>This Inner Loop Header: Depth=1
	s_load_b96 s[52:54], s[26:27], 0x4
	s_load_b64 s[42:43], s[24:25], 0x0
	s_add_co_i32 s28, s28, -1
	s_wait_xcnt 0x0
	s_add_nc_u64 s[26:27], s[26:27], 12
	s_cmp_lg_u32 s28, 0
	s_add_nc_u64 s[24:25], s[24:25], 8
	s_wait_kmcnt 0x0
	v_mul_hi_u32 v0, s53, v1
	s_delay_alu instid0(VALU_DEP_1) | instskip(NEXT) | instid1(VALU_DEP_1)
	v_add_nc_u32_e32 v0, v1, v0
	v_lshrrev_b32_e32 v0, s54, v0
	s_delay_alu instid0(VALU_DEP_1) | instskip(NEXT) | instid1(VALU_DEP_1)
	v_mul_lo_u32 v2, v0, s52
	v_sub_nc_u32_e32 v1, v1, v2
	s_delay_alu instid0(VALU_DEP_1)
	v_mad_u32 v7, v1, s43, v7
	v_mad_u32 v6, v1, s42, v6
	v_mov_b32_e32 v1, v0
	s_cbranch_scc1 .LBB127_864
; %bb.865:
	s_delay_alu instid0(VALU_DEP_3)
	v_mov_b32_e32 v0, v7
.LBB127_866:
	s_mov_b32 s24, 0
.LBB127_867:
	s_delay_alu instid0(SALU_CYCLE_1)
	s_and_not1_b32 vcc_lo, exec_lo, s24
	s_cbranch_vccnz .LBB127_870
; %bb.868:
	v_mov_b32_e32 v5, 0
	s_and_not1_b32 vcc_lo, exec_lo, s40
	s_wait_loadcnt 0x0
	s_delay_alu instid0(VALU_DEP_1) | instskip(NEXT) | instid1(VALU_DEP_1)
	v_mul_u64_e32 v[0:1], s[20:21], v[4:5]
	v_add_nc_u32_e32 v0, v4, v1
	s_delay_alu instid0(VALU_DEP_1) | instskip(NEXT) | instid1(VALU_DEP_1)
	v_lshrrev_b32_e32 v2, s14, v0
	v_mul_lo_u32 v0, v2, s12
	s_delay_alu instid0(VALU_DEP_1) | instskip(NEXT) | instid1(VALU_DEP_1)
	v_sub_nc_u32_e32 v1, v4, v0
	v_mul_lo_u32 v0, v1, s17
	v_mul_lo_u32 v6, v1, s16
	s_cbranch_vccnz .LBB127_870
; %bb.869:
	v_mov_b32_e32 v3, v5
	s_delay_alu instid0(VALU_DEP_1) | instskip(NEXT) | instid1(VALU_DEP_1)
	v_mul_u64_e32 v[4:5], s[22:23], v[2:3]
	v_add_nc_u32_e32 v1, v2, v5
	s_delay_alu instid0(VALU_DEP_1) | instskip(NEXT) | instid1(VALU_DEP_1)
	v_lshrrev_b32_e32 v1, s1, v1
	v_mul_lo_u32 v1, v1, s15
	s_delay_alu instid0(VALU_DEP_1) | instskip(NEXT) | instid1(VALU_DEP_1)
	v_sub_nc_u32_e32 v1, v2, v1
	v_mad_u32 v6, v1, s18, v6
	v_mad_u32 v0, v1, s19, v0
.LBB127_870:
	s_wait_loadcnt 0x0
	v_mov_b32_e32 v1, 0
	s_and_b32 s1, 0xffff, s39
	s_delay_alu instid0(SALU_CYCLE_1) | instskip(NEXT) | instid1(VALU_DEP_1)
	s_cmp_lt_i32 s1, 11
	v_add_nc_u64_e32 v[8:9], s[6:7], v[0:1]
	s_cbranch_scc1 .LBB127_877
; %bb.871:
	s_cmp_gt_i32 s1, 25
	s_mov_b32 s7, 0
	s_cbranch_scc0 .LBB127_878
; %bb.872:
	s_cmp_gt_i32 s1, 28
	s_cbranch_scc0 .LBB127_879
; %bb.873:
	s_cmp_gt_i32 s1, 43
	;; [unrolled: 3-line block ×3, first 2 shown]
	s_cbranch_scc0 .LBB127_883
; %bb.875:
	s_cmp_eq_u32 s1, 46
	s_mov_b32 s14, 0
	s_cbranch_scc0 .LBB127_886
; %bb.876:
	global_load_b32 v0, v[8:9], off
	s_mov_b32 s6, 0
	s_mov_b32 s12, -1
	s_wait_loadcnt 0x0
	v_lshlrev_b32_e32 v1, 16, v0
	v_and_b32_e32 v2, 0xffff0000, v0
	s_delay_alu instid0(VALU_DEP_2) | instskip(NEXT) | instid1(VALU_DEP_2)
	v_cvt_f64_f32_e32 v[0:1], v1
	v_cvt_f64_f32_e32 v[2:3], v2
	s_branch .LBB127_888
.LBB127_877:
	s_mov_b32 s1, -1
	s_mov_b32 s12, 0
	s_mov_b32 s7, 0
	;; [unrolled: 1-line block ×3, first 2 shown]
                                        ; implicit-def: $vgpr2_vgpr3
	s_branch .LBB127_954
.LBB127_878:
	s_mov_b32 s14, -1
	s_mov_b32 s12, 0
	s_mov_b32 s6, s0
                                        ; implicit-def: $vgpr2_vgpr3
	s_branch .LBB127_919
.LBB127_879:
	s_mov_b32 s14, -1
	s_mov_b32 s12, 0
	s_mov_b32 s6, s0
                                        ; implicit-def: $vgpr2_vgpr3
	s_branch .LBB127_900
.LBB127_880:
	s_mov_b32 s14, -1
	s_mov_b32 s12, 0
	s_mov_b32 s6, s0
                                        ; implicit-def: $vgpr2_vgpr3
	s_branch .LBB127_894
.LBB127_881:
	s_and_not1_saveexec_b32 s51, s51
	s_cbranch_execz .LBB127_759
.LBB127_882:
	v_add_f32_e32 v2, 0x46000000, v3
	s_and_not1_b32 s31, s31, exec_lo
	s_delay_alu instid0(VALU_DEP_1) | instskip(NEXT) | instid1(VALU_DEP_1)
	v_and_b32_e32 v2, 0xff, v2
	v_cmp_ne_u32_e32 vcc_lo, 0, v2
	s_and_b32 s52, vcc_lo, exec_lo
	s_delay_alu instid0(SALU_CYCLE_1)
	s_or_b32 s31, s31, s52
	s_or_b32 exec_lo, exec_lo, s51
	v_mov_b32_e32 v5, 0
	s_and_saveexec_b32 s51, s31
	s_cbranch_execnz .LBB127_760
	s_branch .LBB127_761
.LBB127_883:
	s_mov_b32 s14, -1
	s_mov_b32 s12, 0
	s_mov_b32 s6, s0
	s_branch .LBB127_887
.LBB127_884:
	s_and_not1_saveexec_b32 s51, s51
	s_cbranch_execz .LBB127_772
.LBB127_885:
	v_add_f32_e32 v2, 0x42800000, v3
	s_and_not1_b32 s31, s31, exec_lo
	s_delay_alu instid0(VALU_DEP_1) | instskip(NEXT) | instid1(VALU_DEP_1)
	v_and_b32_e32 v2, 0xff, v2
	v_cmp_ne_u32_e32 vcc_lo, 0, v2
	s_and_b32 s52, vcc_lo, exec_lo
	s_delay_alu instid0(SALU_CYCLE_1)
	s_or_b32 s31, s31, s52
	s_or_b32 exec_lo, exec_lo, s51
	v_mov_b32_e32 v5, 0
	s_and_saveexec_b32 s51, s31
	s_cbranch_execnz .LBB127_773
	s_branch .LBB127_774
.LBB127_886:
	s_mov_b32 s6, -1
	s_mov_b32 s12, 0
.LBB127_887:
                                        ; implicit-def: $vgpr2_vgpr3
.LBB127_888:
	s_and_b32 vcc_lo, exec_lo, s14
	s_cbranch_vccz .LBB127_893
; %bb.889:
	s_cmp_eq_u32 s1, 44
	s_cbranch_scc0 .LBB127_891
; %bb.890:
	global_load_u8 v2, v[8:9], off
	s_mov_b32 s6, 0
	s_mov_b32 s12, -1
	s_wait_loadcnt 0x0
	v_cmp_ne_u32_e32 vcc_lo, 0xff, v2
	v_lshlrev_b32_e32 v0, 23, v2
	s_delay_alu instid0(VALU_DEP_1) | instskip(NEXT) | instid1(VALU_DEP_1)
	v_cvt_f64_f32_e32 v[0:1], v0
	v_cndmask_b32_e32 v0, 0x20000000, v0, vcc_lo
	s_delay_alu instid0(VALU_DEP_2) | instskip(SKIP_1) | instid1(VALU_DEP_2)
	v_cndmask_b32_e32 v1, 0x7ff80000, v1, vcc_lo
	v_cmp_ne_u32_e32 vcc_lo, 0, v2
	v_cndmask_b32_e32 v1, 0x38000000, v1, vcc_lo
	s_delay_alu instid0(VALU_DEP_4)
	v_cndmask_b32_e32 v0, 0, v0, vcc_lo
	s_branch .LBB127_892
.LBB127_891:
	s_mov_b32 s6, -1
                                        ; implicit-def: $vgpr0_vgpr1
.LBB127_892:
	v_mov_b64_e32 v[2:3], 0
.LBB127_893:
	s_mov_b32 s14, 0
.LBB127_894:
	s_delay_alu instid0(SALU_CYCLE_1)
	s_and_b32 vcc_lo, exec_lo, s14
	s_cbranch_vccz .LBB127_899
; %bb.895:
	s_cmp_eq_u32 s1, 29
	s_cbranch_scc0 .LBB127_897
; %bb.896:
	global_load_b64 v[0:1], v[8:9], off
	s_mov_b32 s6, 0
	s_mov_b32 s12, -1
	s_wait_loadcnt 0x0
	v_cvt_f64_u32_e32 v[2:3], v1
	v_cvt_f64_u32_e32 v[0:1], v0
	s_delay_alu instid0(VALU_DEP_2) | instskip(NEXT) | instid1(VALU_DEP_1)
	v_ldexp_f64 v[2:3], v[2:3], 32
	v_add_f64_e32 v[0:1], v[2:3], v[0:1]
	s_branch .LBB127_898
.LBB127_897:
	s_mov_b32 s6, -1
                                        ; implicit-def: $vgpr0_vgpr1
.LBB127_898:
	v_mov_b64_e32 v[2:3], 0
.LBB127_899:
	s_mov_b32 s14, 0
.LBB127_900:
	s_delay_alu instid0(SALU_CYCLE_1)
	s_and_b32 vcc_lo, exec_lo, s14
	s_cbranch_vccz .LBB127_918
; %bb.901:
	s_cmp_lt_i32 s1, 27
	s_cbranch_scc1 .LBB127_904
; %bb.902:
	s_cmp_gt_i32 s1, 27
	s_cbranch_scc0 .LBB127_905
; %bb.903:
	global_load_b32 v0, v[8:9], off
	s_mov_b32 s12, 0
	s_wait_loadcnt 0x0
	v_cvt_f64_u32_e32 v[0:1], v0
	s_branch .LBB127_906
.LBB127_904:
	s_mov_b32 s12, -1
                                        ; implicit-def: $vgpr0_vgpr1
	s_branch .LBB127_909
.LBB127_905:
	s_mov_b32 s12, -1
                                        ; implicit-def: $vgpr0_vgpr1
.LBB127_906:
	s_delay_alu instid0(SALU_CYCLE_1)
	s_and_not1_b32 vcc_lo, exec_lo, s12
	s_cbranch_vccnz .LBB127_908
; %bb.907:
	global_load_u16 v0, v[8:9], off
	s_wait_loadcnt 0x0
	v_cvt_f64_u32_e32 v[0:1], v0
.LBB127_908:
	s_mov_b32 s12, 0
.LBB127_909:
	s_delay_alu instid0(SALU_CYCLE_1)
	s_and_not1_b32 vcc_lo, exec_lo, s12
	s_cbranch_vccnz .LBB127_917
; %bb.910:
	global_load_u8 v2, v[8:9], off
	s_mov_b32 s12, 0
	s_mov_b32 s14, exec_lo
	s_wait_loadcnt 0x0
	v_cmpx_lt_i16_e32 0x7f, v2
	s_xor_b32 s14, exec_lo, s14
	s_cbranch_execz .LBB127_931
; %bb.911:
	s_mov_b32 s12, -1
	s_mov_b32 s15, exec_lo
	v_cmpx_eq_u16_e32 0x80, v2
; %bb.912:
	s_xor_b32 s12, exec_lo, -1
; %bb.913:
	s_or_b32 exec_lo, exec_lo, s15
	s_delay_alu instid0(SALU_CYCLE_1)
	s_and_b32 s12, s12, exec_lo
	s_or_saveexec_b32 s14, s14
	v_mov_b64_e32 v[0:1], 0x7ff8000020000000
	s_xor_b32 exec_lo, exec_lo, s14
	s_cbranch_execnz .LBB127_932
.LBB127_914:
	s_or_b32 exec_lo, exec_lo, s14
	s_and_saveexec_b32 s14, s12
	s_cbranch_execz .LBB127_916
.LBB127_915:
	v_and_b32_e32 v0, 0xffff, v2
	s_delay_alu instid0(VALU_DEP_1) | instskip(SKIP_1) | instid1(VALU_DEP_2)
	v_and_b32_e32 v1, 7, v0
	v_bfe_u32 v5, v0, 3, 4
	v_clz_i32_u32_e32 v3, v1
	s_delay_alu instid0(VALU_DEP_2) | instskip(NEXT) | instid1(VALU_DEP_2)
	v_cmp_eq_u32_e32 vcc_lo, 0, v5
	v_min_u32_e32 v3, 32, v3
	s_delay_alu instid0(VALU_DEP_1) | instskip(NEXT) | instid1(VALU_DEP_1)
	v_subrev_nc_u32_e32 v4, 28, v3
	v_dual_lshlrev_b32 v0, v4, v0 :: v_dual_sub_nc_u32 v3, 29, v3
	s_delay_alu instid0(VALU_DEP_1) | instskip(NEXT) | instid1(VALU_DEP_2)
	v_dual_lshlrev_b32 v2, 24, v2 :: v_dual_bitop2_b32 v0, 7, v0 bitop3:0x40
	v_cndmask_b32_e32 v3, v5, v3, vcc_lo
	s_delay_alu instid0(VALU_DEP_2) | instskip(NEXT) | instid1(VALU_DEP_3)
	v_cndmask_b32_e32 v0, v1, v0, vcc_lo
	v_and_b32_e32 v1, 0x80000000, v2
	s_delay_alu instid0(VALU_DEP_3) | instskip(NEXT) | instid1(VALU_DEP_3)
	v_lshl_add_u32 v2, v3, 23, 0x3b800000
	v_lshlrev_b32_e32 v0, 20, v0
	s_delay_alu instid0(VALU_DEP_1) | instskip(NEXT) | instid1(VALU_DEP_1)
	v_or3_b32 v0, v1, v2, v0
	v_cvt_f64_f32_e32 v[0:1], v0
.LBB127_916:
	s_or_b32 exec_lo, exec_lo, s14
.LBB127_917:
	v_mov_b64_e32 v[2:3], 0
	s_mov_b32 s12, -1
.LBB127_918:
	s_mov_b32 s14, 0
.LBB127_919:
	s_delay_alu instid0(SALU_CYCLE_1)
	s_and_b32 vcc_lo, exec_lo, s14
	s_cbranch_vccz .LBB127_953
; %bb.920:
	s_cmp_gt_i32 s1, 22
	s_cbranch_scc0 .LBB127_930
; %bb.921:
	s_cmp_lt_i32 s1, 24
	s_cbranch_scc1 .LBB127_933
; %bb.922:
	s_cmp_gt_i32 s1, 24
	s_cbranch_scc0 .LBB127_934
; %bb.923:
	global_load_u8 v2, v[8:9], off
	s_mov_b32 s12, exec_lo
	s_wait_loadcnt 0x0
	v_cmpx_lt_i16_e32 0x7f, v2
	s_xor_b32 s12, exec_lo, s12
	s_cbranch_execz .LBB127_946
; %bb.924:
	s_mov_b32 s7, -1
	s_mov_b32 s14, exec_lo
	v_cmpx_eq_u16_e32 0x80, v2
; %bb.925:
	s_xor_b32 s7, exec_lo, -1
; %bb.926:
	s_or_b32 exec_lo, exec_lo, s14
	s_delay_alu instid0(SALU_CYCLE_1)
	s_and_b32 s7, s7, exec_lo
	s_or_saveexec_b32 s12, s12
	v_mov_b64_e32 v[0:1], 0x7ff8000020000000
	s_xor_b32 exec_lo, exec_lo, s12
	s_cbranch_execnz .LBB127_947
.LBB127_927:
	s_or_b32 exec_lo, exec_lo, s12
	s_and_saveexec_b32 s12, s7
	s_cbranch_execz .LBB127_929
.LBB127_928:
	v_and_b32_e32 v0, 0xffff, v2
	s_delay_alu instid0(VALU_DEP_1) | instskip(SKIP_1) | instid1(VALU_DEP_2)
	v_and_b32_e32 v1, 3, v0
	v_bfe_u32 v5, v0, 2, 5
	v_clz_i32_u32_e32 v3, v1
	s_delay_alu instid0(VALU_DEP_2) | instskip(NEXT) | instid1(VALU_DEP_2)
	v_cmp_eq_u32_e32 vcc_lo, 0, v5
	v_min_u32_e32 v3, 32, v3
	s_delay_alu instid0(VALU_DEP_1) | instskip(NEXT) | instid1(VALU_DEP_1)
	v_subrev_nc_u32_e32 v4, 29, v3
	v_dual_lshlrev_b32 v0, v4, v0 :: v_dual_sub_nc_u32 v3, 30, v3
	s_delay_alu instid0(VALU_DEP_1) | instskip(NEXT) | instid1(VALU_DEP_2)
	v_dual_lshlrev_b32 v2, 24, v2 :: v_dual_bitop2_b32 v0, 3, v0 bitop3:0x40
	v_cndmask_b32_e32 v3, v5, v3, vcc_lo
	s_delay_alu instid0(VALU_DEP_2) | instskip(NEXT) | instid1(VALU_DEP_3)
	v_cndmask_b32_e32 v0, v1, v0, vcc_lo
	v_and_b32_e32 v1, 0x80000000, v2
	s_delay_alu instid0(VALU_DEP_3) | instskip(NEXT) | instid1(VALU_DEP_3)
	v_lshl_add_u32 v2, v3, 23, 0x37800000
	v_lshlrev_b32_e32 v0, 21, v0
	s_delay_alu instid0(VALU_DEP_1) | instskip(NEXT) | instid1(VALU_DEP_1)
	v_or3_b32 v0, v1, v2, v0
	v_cvt_f64_f32_e32 v[0:1], v0
.LBB127_929:
	s_or_b32 exec_lo, exec_lo, s12
	s_mov_b32 s7, 0
	s_branch .LBB127_935
.LBB127_930:
	s_mov_b32 s7, -1
                                        ; implicit-def: $vgpr0_vgpr1
	s_branch .LBB127_941
.LBB127_931:
	s_or_saveexec_b32 s14, s14
	v_mov_b64_e32 v[0:1], 0x7ff8000020000000
	s_xor_b32 exec_lo, exec_lo, s14
	s_cbranch_execz .LBB127_914
.LBB127_932:
	v_cmp_ne_u16_e32 vcc_lo, 0, v2
	v_mov_b64_e32 v[0:1], 0
	s_and_not1_b32 s12, s12, exec_lo
	s_and_b32 s15, vcc_lo, exec_lo
	s_delay_alu instid0(SALU_CYCLE_1)
	s_or_b32 s12, s12, s15
	s_or_b32 exec_lo, exec_lo, s14
	s_and_saveexec_b32 s14, s12
	s_cbranch_execnz .LBB127_915
	s_branch .LBB127_916
.LBB127_933:
	s_mov_b32 s7, -1
                                        ; implicit-def: $vgpr0_vgpr1
	s_branch .LBB127_938
.LBB127_934:
	s_mov_b32 s7, -1
                                        ; implicit-def: $vgpr0_vgpr1
.LBB127_935:
	s_delay_alu instid0(SALU_CYCLE_1)
	s_and_b32 vcc_lo, exec_lo, s7
	s_cbranch_vccz .LBB127_937
; %bb.936:
	global_load_u8 v0, v[8:9], off
	s_wait_loadcnt 0x0
	v_lshlrev_b32_e32 v0, 24, v0
	s_delay_alu instid0(VALU_DEP_1) | instskip(NEXT) | instid1(VALU_DEP_1)
	v_and_b32_e32 v1, 0x7f000000, v0
	v_clz_i32_u32_e32 v2, v1
	v_cmp_ne_u32_e32 vcc_lo, 0, v1
	v_add_nc_u32_e32 v4, 0x1000000, v1
	s_delay_alu instid0(VALU_DEP_3) | instskip(NEXT) | instid1(VALU_DEP_1)
	v_min_u32_e32 v2, 32, v2
	v_sub_nc_u32_e64 v2, v2, 4 clamp
	s_delay_alu instid0(VALU_DEP_1) | instskip(NEXT) | instid1(VALU_DEP_1)
	v_dual_lshlrev_b32 v3, v2, v1 :: v_dual_lshlrev_b32 v2, 23, v2
	v_lshrrev_b32_e32 v3, 4, v3
	s_delay_alu instid0(VALU_DEP_1) | instskip(NEXT) | instid1(VALU_DEP_1)
	v_dual_sub_nc_u32 v2, v3, v2 :: v_dual_ashrrev_i32 v3, 8, v4
	v_add_nc_u32_e32 v2, 0x3c000000, v2
	s_delay_alu instid0(VALU_DEP_1) | instskip(NEXT) | instid1(VALU_DEP_1)
	v_and_or_b32 v2, 0x7f800000, v3, v2
	v_cndmask_b32_e32 v1, 0, v2, vcc_lo
	s_delay_alu instid0(VALU_DEP_1) | instskip(NEXT) | instid1(VALU_DEP_1)
	v_and_or_b32 v0, 0x80000000, v0, v1
	v_cvt_f64_f32_e32 v[0:1], v0
.LBB127_937:
	s_mov_b32 s7, 0
.LBB127_938:
	s_delay_alu instid0(SALU_CYCLE_1)
	s_and_not1_b32 vcc_lo, exec_lo, s7
	s_cbranch_vccnz .LBB127_940
; %bb.939:
	global_load_u8 v0, v[8:9], off
	s_wait_loadcnt 0x0
	v_lshlrev_b32_e32 v1, 25, v0
	v_lshlrev_b16 v0, 8, v0
	s_delay_alu instid0(VALU_DEP_1) | instskip(SKIP_1) | instid1(VALU_DEP_2)
	v_and_or_b32 v3, 0x7f00, v0, 0.5
	v_bfe_i32 v0, v0, 0, 16
	v_dual_add_f32 v3, -0.5, v3 :: v_dual_lshrrev_b32 v2, 4, v1
	v_cmp_gt_u32_e32 vcc_lo, 0x8000000, v1
	s_delay_alu instid0(VALU_DEP_2) | instskip(NEXT) | instid1(VALU_DEP_1)
	v_or_b32_e32 v2, 0x70000000, v2
	v_mul_f32_e32 v2, 0x7800000, v2
	s_delay_alu instid0(VALU_DEP_1) | instskip(NEXT) | instid1(VALU_DEP_1)
	v_cndmask_b32_e32 v1, v2, v3, vcc_lo
	v_and_or_b32 v0, 0x80000000, v0, v1
	s_delay_alu instid0(VALU_DEP_1)
	v_cvt_f64_f32_e32 v[0:1], v0
.LBB127_940:
	s_mov_b32 s7, 0
	s_mov_b32 s12, -1
.LBB127_941:
	s_and_not1_b32 vcc_lo, exec_lo, s7
	s_mov_b32 s7, 0
	s_cbranch_vccnz .LBB127_952
; %bb.942:
	s_cmp_gt_i32 s1, 14
	s_cbranch_scc0 .LBB127_945
; %bb.943:
	s_cmp_eq_u32 s1, 15
	s_cbranch_scc0 .LBB127_948
; %bb.944:
	global_load_u16 v0, v[8:9], off
	s_mov_b32 s6, 0
	s_mov_b32 s12, -1
	s_wait_loadcnt 0x0
	v_lshlrev_b32_e32 v0, 16, v0
	s_delay_alu instid0(VALU_DEP_1)
	v_cvt_f64_f32_e32 v[0:1], v0
	s_branch .LBB127_950
.LBB127_945:
	s_mov_b32 s7, -1
	s_branch .LBB127_949
.LBB127_946:
	s_or_saveexec_b32 s12, s12
	v_mov_b64_e32 v[0:1], 0x7ff8000020000000
	s_xor_b32 exec_lo, exec_lo, s12
	s_cbranch_execz .LBB127_927
.LBB127_947:
	v_cmp_ne_u16_e32 vcc_lo, 0, v2
	v_mov_b64_e32 v[0:1], 0
	s_and_not1_b32 s7, s7, exec_lo
	s_and_b32 s14, vcc_lo, exec_lo
	s_delay_alu instid0(SALU_CYCLE_1)
	s_or_b32 s7, s7, s14
	s_or_b32 exec_lo, exec_lo, s12
	s_and_saveexec_b32 s12, s7
	s_cbranch_execnz .LBB127_928
	s_branch .LBB127_929
.LBB127_948:
	s_mov_b32 s6, -1
.LBB127_949:
                                        ; implicit-def: $vgpr0_vgpr1
.LBB127_950:
	s_and_b32 vcc_lo, exec_lo, s7
	s_mov_b32 s7, 0
	s_cbranch_vccz .LBB127_952
; %bb.951:
	s_cmp_lg_u32 s1, 11
	s_mov_b32 s7, -1
	s_cselect_b32 s1, -1, 0
	s_and_not1_b32 s6, s6, exec_lo
	s_and_b32 s1, s1, exec_lo
	s_delay_alu instid0(SALU_CYCLE_1)
	s_or_b32 s6, s6, s1
.LBB127_952:
	v_mov_b64_e32 v[2:3], 0
.LBB127_953:
	s_mov_b32 s1, 0
.LBB127_954:
	s_delay_alu instid0(SALU_CYCLE_1)
	s_and_b32 s26, s1, exec_lo
	s_and_not1_b32 s1, s0, exec_lo
	s_and_b32 s6, s6, exec_lo
	s_and_b32 s28, s12, exec_lo
	s_and_b32 s27, s7, exec_lo
	s_or_b32 s29, s1, s6
.LBB127_955:
	s_wait_xcnt 0x0
	s_or_b32 exec_lo, exec_lo, s41
	s_delay_alu instid0(SALU_CYCLE_1)
	s_and_not1_b32 s0, s0, exec_lo
	s_and_b32 s1, s29, exec_lo
	s_and_b32 s28, s28, exec_lo
	;; [unrolled: 1-line block ×4, first 2 shown]
	s_or_b32 s0, s0, s1
.LBB127_956:
	s_or_b32 exec_lo, exec_lo, s31
	s_delay_alu instid0(SALU_CYCLE_1)
	s_and_not1_b32 s1, s48, exec_lo
	s_and_b32 s6, s30, exec_lo
	s_and_b32 s0, s0, exec_lo
	s_or_b32 s48, s1, s6
	s_and_not1_b32 s1, s47, exec_lo
	s_and_b32 s28, s28, exec_lo
	s_and_b32 s26, s26, exec_lo
	;; [unrolled: 1-line block ×3, first 2 shown]
	s_or_b32 s47, s1, s0
.LBB127_957:
	s_or_b32 exec_lo, exec_lo, s49
	s_delay_alu instid0(SALU_CYCLE_1)
	s_and_not1_b32 s0, s44, exec_lo
	s_and_b32 s1, s48, exec_lo
	s_and_b32 s6, s47, exec_lo
	s_or_b32 s44, s0, s1
	s_and_not1_b32 s1, s45, exec_lo
	s_and_b32 s0, s28, exec_lo
	s_and_b32 s26, s26, exec_lo
	;; [unrolled: 1-line block ×3, first 2 shown]
	s_or_b32 s45, s1, s6
	s_or_b32 exec_lo, exec_lo, s46
	s_mov_b32 s1, 0
	s_and_saveexec_b32 s6, s45
	s_cbranch_execz .LBB127_284
.LBB127_958:
	s_mov_b32 s1, exec_lo
	s_and_not1_b32 s21, s21, exec_lo
	s_trap 2
	s_or_b32 exec_lo, exec_lo, s6
	s_and_saveexec_b32 s6, s21
	s_delay_alu instid0(SALU_CYCLE_1)
	s_xor_b32 s6, exec_lo, s6
	s_cbranch_execnz .LBB127_285
.LBB127_959:
	s_or_b32 exec_lo, exec_lo, s6
	s_and_saveexec_b32 s6, s26
	s_cbranch_execz .LBB127_1007
.LBB127_960:
	s_sext_i32_i16 s7, s39
	s_delay_alu instid0(SALU_CYCLE_1)
	s_cmp_lt_i32 s7, 5
	s_cbranch_scc1 .LBB127_965
; %bb.961:
	s_cmp_lt_i32 s7, 8
	s_cbranch_scc1 .LBB127_966
; %bb.962:
	;; [unrolled: 3-line block ×3, first 2 shown]
	s_cmp_gt_i32 s7, 9
	s_cbranch_scc0 .LBB127_968
; %bb.964:
	s_wait_loadcnt 0x0
	global_load_b128 v[0:3], v[8:9], off
	s_mov_b32 s7, 0
	s_branch .LBB127_969
.LBB127_965:
                                        ; implicit-def: $vgpr2_vgpr3
	s_branch .LBB127_987
.LBB127_966:
                                        ; implicit-def: $vgpr2_vgpr3
	s_branch .LBB127_975
.LBB127_967:
	s_mov_b32 s7, -1
                                        ; implicit-def: $vgpr2_vgpr3
	s_branch .LBB127_972
.LBB127_968:
	s_mov_b32 s7, -1
                                        ; implicit-def: $vgpr2_vgpr3
.LBB127_969:
	s_delay_alu instid0(SALU_CYCLE_1)
	s_and_not1_b32 vcc_lo, exec_lo, s7
	s_cbranch_vccnz .LBB127_971
; %bb.970:
	s_wait_loadcnt 0x0
	global_load_b64 v[2:3], v[8:9], off
	s_wait_loadcnt 0x0
	v_cvt_f64_f32_e32 v[0:1], v2
	v_cvt_f64_f32_e32 v[2:3], v3
.LBB127_971:
	s_mov_b32 s7, 0
.LBB127_972:
	s_delay_alu instid0(SALU_CYCLE_1)
	s_and_not1_b32 vcc_lo, exec_lo, s7
	s_cbranch_vccnz .LBB127_974
; %bb.973:
	s_wait_loadcnt 0x0
	global_load_b32 v0, v[8:9], off
	s_wait_loadcnt 0x0
	v_lshrrev_b32_e32 v1, 16, v0
	v_cvt_f32_f16_e32 v0, v0
	s_delay_alu instid0(VALU_DEP_2) | instskip(NEXT) | instid1(VALU_DEP_2)
	v_cvt_f32_f16_e32 v2, v1
	v_cvt_f64_f32_e32 v[0:1], v0
	s_delay_alu instid0(VALU_DEP_2)
	v_cvt_f64_f32_e32 v[2:3], v2
.LBB127_974:
	s_cbranch_execnz .LBB127_986
.LBB127_975:
	s_sext_i32_i16 s7, s39
	s_delay_alu instid0(SALU_CYCLE_1)
	s_cmp_lt_i32 s7, 6
	s_cbranch_scc1 .LBB127_978
; %bb.976:
	s_cmp_gt_i32 s7, 6
	s_cbranch_scc0 .LBB127_979
; %bb.977:
	s_wait_loadcnt 0x0
	global_load_b64 v[0:1], v[8:9], off
	s_mov_b32 s7, 0
	s_branch .LBB127_980
.LBB127_978:
	s_mov_b32 s7, -1
                                        ; implicit-def: $vgpr0_vgpr1
	s_branch .LBB127_983
.LBB127_979:
	s_mov_b32 s7, -1
                                        ; implicit-def: $vgpr0_vgpr1
.LBB127_980:
	s_delay_alu instid0(SALU_CYCLE_1)
	s_and_not1_b32 vcc_lo, exec_lo, s7
	s_cbranch_vccnz .LBB127_982
; %bb.981:
	s_wait_loadcnt 0x0
	global_load_b32 v0, v[8:9], off
	s_wait_loadcnt 0x0
	v_cvt_f64_f32_e32 v[0:1], v0
.LBB127_982:
	s_mov_b32 s7, 0
.LBB127_983:
	s_delay_alu instid0(SALU_CYCLE_1)
	s_and_not1_b32 vcc_lo, exec_lo, s7
	s_cbranch_vccnz .LBB127_985
; %bb.984:
	s_wait_loadcnt 0x0
	global_load_u16 v0, v[8:9], off
	s_wait_loadcnt 0x0
	v_cvt_f32_f16_e32 v0, v0
	s_delay_alu instid0(VALU_DEP_1)
	v_cvt_f64_f32_e32 v[0:1], v0
.LBB127_985:
	s_wait_loadcnt 0x0
	v_mov_b64_e32 v[2:3], 0
.LBB127_986:
	s_cbranch_execnz .LBB127_1006
.LBB127_987:
	s_sext_i32_i16 s7, s39
	s_delay_alu instid0(SALU_CYCLE_1)
	s_cmp_lt_i32 s7, 2
	s_cbranch_scc1 .LBB127_991
; %bb.988:
	s_cmp_lt_i32 s7, 3
	s_cbranch_scc1 .LBB127_992
; %bb.989:
	s_cmp_gt_i32 s7, 3
	s_cbranch_scc0 .LBB127_993
; %bb.990:
	s_wait_loadcnt 0x0
	global_load_b64 v[0:1], v[8:9], off
	s_mov_b32 s7, 0
	s_wait_loadcnt 0x0
	v_cvt_f64_i32_e32 v[2:3], v1
	v_cvt_f64_u32_e32 v[0:1], v0
	s_delay_alu instid0(VALU_DEP_2) | instskip(NEXT) | instid1(VALU_DEP_1)
	v_ldexp_f64 v[2:3], v[2:3], 32
	v_add_f64_e32 v[0:1], v[2:3], v[0:1]
	s_branch .LBB127_994
.LBB127_991:
                                        ; implicit-def: $vgpr0_vgpr1
	s_branch .LBB127_1000
.LBB127_992:
	s_mov_b32 s7, -1
                                        ; implicit-def: $vgpr0_vgpr1
	s_branch .LBB127_997
.LBB127_993:
	s_mov_b32 s7, -1
                                        ; implicit-def: $vgpr0_vgpr1
.LBB127_994:
	s_delay_alu instid0(SALU_CYCLE_1)
	s_and_not1_b32 vcc_lo, exec_lo, s7
	s_cbranch_vccnz .LBB127_996
; %bb.995:
	s_wait_loadcnt 0x0
	global_load_b32 v0, v[8:9], off
	s_wait_loadcnt 0x0
	v_cvt_f64_i32_e32 v[0:1], v0
.LBB127_996:
	s_mov_b32 s7, 0
.LBB127_997:
	s_delay_alu instid0(SALU_CYCLE_1)
	s_and_not1_b32 vcc_lo, exec_lo, s7
	s_cbranch_vccnz .LBB127_999
; %bb.998:
	s_wait_loadcnt 0x0
	global_load_i16 v0, v[8:9], off
	s_wait_loadcnt 0x0
	v_cvt_f64_i32_e32 v[0:1], v0
.LBB127_999:
	s_cbranch_execnz .LBB127_1005
.LBB127_1000:
	s_sext_i32_i16 s7, s39
	s_delay_alu instid0(SALU_CYCLE_1)
	s_cmp_gt_i32 s7, 0
	s_mov_b32 s7, 0
	s_cbranch_scc0 .LBB127_1002
; %bb.1001:
	s_wait_loadcnt 0x0
	global_load_i8 v0, v[8:9], off
	s_wait_loadcnt 0x0
	v_cvt_f64_i32_e32 v[0:1], v0
	s_branch .LBB127_1003
.LBB127_1002:
	s_mov_b32 s7, -1
                                        ; implicit-def: $vgpr0_vgpr1
.LBB127_1003:
	s_delay_alu instid0(SALU_CYCLE_1)
	s_and_not1_b32 vcc_lo, exec_lo, s7
	s_cbranch_vccnz .LBB127_1005
; %bb.1004:
	s_wait_loadcnt 0x0
	global_load_u8 v0, v[8:9], off
	s_wait_loadcnt 0x0
	v_cvt_f64_u32_e32 v[0:1], v0
.LBB127_1005:
	s_wait_loadcnt 0x0
	v_mov_b64_e32 v[2:3], 0
.LBB127_1006:
	s_or_b32 s0, s0, exec_lo
.LBB127_1007:
	s_wait_xcnt 0x0
	s_or_b32 exec_lo, exec_lo, s6
	s_mov_b32 s15, 0
	s_mov_b32 s14, 0
                                        ; implicit-def: $sgpr6
                                        ; implicit-def: $sgpr7
                                        ; implicit-def: $vgpr4_vgpr5
	s_and_saveexec_b32 s12, s0
	s_cbranch_execz .LBB127_1018
; %bb.1008:
	s_and_not1_b32 vcc_lo, exec_lo, s13
	s_cbranch_vccnz .LBB127_1022
; %bb.1009:
	s_wait_loadcnt 0x0
	s_delay_alu instid0(VALU_DEP_1) | instskip(NEXT) | instid1(VALU_DEP_2)
	v_cmp_neq_f64_e32 vcc_lo, s[8:9], v[0:1]
	v_cmp_neq_f64_e64 s0, s[10:11], v[2:3]
	s_or_b32 s6, vcc_lo, s0
	s_cbranch_execnz .LBB127_1011
.LBB127_1010:
	s_wait_loadcnt 0x0
	s_delay_alu instid0(VALU_DEP_1) | instskip(NEXT) | instid1(VALU_DEP_2)
	v_cmp_eq_f64_e32 vcc_lo, s[8:9], v[0:1]
	v_cmp_eq_f64_e64 s0, s[10:11], v[2:3]
	s_and_not1_b32 s6, s6, exec_lo
	s_and_b32 s0, vcc_lo, s0
	s_delay_alu instid0(SALU_CYCLE_1) | instskip(NEXT) | instid1(SALU_CYCLE_1)
	s_and_b32 s0, s0, exec_lo
	s_or_b32 s6, s6, s0
.LBB127_1011:
	v_mov_b32_e32 v7, 0
	s_and_b32 s7, s38, 0xff
	s_delay_alu instid0(SALU_CYCLE_1) | instskip(NEXT) | instid1(VALU_DEP_1)
	s_cmp_lt_i32 s7, 11
	v_add_nc_u64_e32 v[4:5], s[4:5], v[6:7]
	s_cbranch_scc1 .LBB127_1021
; %bb.1012:
	s_and_b32 s4, 0xffff, s7
	s_mov_b32 s5, -1
	s_cmp_gt_i32 s4, 25
	s_mov_b32 s0, s44
	s_cbranch_scc0 .LBB127_1050
; %bb.1013:
	s_cmp_gt_i32 s4, 28
	s_mov_b32 s0, s44
	s_cbranch_scc0 .LBB127_1034
; %bb.1014:
	;; [unrolled: 4-line block ×4, first 2 shown]
	s_cmp_eq_u32 s4, 46
	s_mov_b32 s0, -1
	s_cbranch_scc0 .LBB127_1023
; %bb.1017:
	s_wait_loadcnt 0x0
	v_cndmask_b32_e64 v0, 0, 1.0, s6
	s_mov_b32 s0, 0
	s_mov_b32 s5, 0
	s_delay_alu instid0(VALU_DEP_1) | instskip(NEXT) | instid1(VALU_DEP_1)
	v_bfe_u32 v1, v0, 16, 1
	v_add3_u32 v0, v0, v1, 0x7fff
	s_delay_alu instid0(VALU_DEP_1)
	v_lshrrev_b32_e32 v0, 16, v0
	global_store_b32 v[4:5], v0, off
	s_branch .LBB127_1024
.LBB127_1018:
	s_or_b32 exec_lo, exec_lo, s12
	s_and_saveexec_b32 s0, s44
	s_cbranch_execnz .LBB127_1092
.LBB127_1019:
	s_or_b32 exec_lo, exec_lo, s0
	s_and_saveexec_b32 s0, s15
	s_delay_alu instid0(SALU_CYCLE_1)
	s_xor_b32 s0, exec_lo, s0
	s_cbranch_execz .LBB127_1093
.LBB127_1020:
	s_wait_loadcnt 0x0
	v_cndmask_b32_e64 v0, 0, 1, s6
	global_store_b8 v[4:5], v0, off
	s_wait_xcnt 0x0
	s_or_b32 exec_lo, exec_lo, s0
	s_and_saveexec_b32 s0, s14
	s_delay_alu instid0(SALU_CYCLE_1)
	s_xor_b32 s0, exec_lo, s0
	s_cbranch_execz .LBB127_1131
	s_branch .LBB127_1094
.LBB127_1021:
	s_mov_b32 s8, 0
	s_mov_b32 s5, -1
	s_mov_b32 s0, s44
	s_branch .LBB127_1091
.LBB127_1022:
                                        ; implicit-def: $sgpr6
	s_branch .LBB127_1010
.LBB127_1023:
	s_mov_b32 s5, 0
.LBB127_1024:
	s_delay_alu instid0(SALU_CYCLE_1)
	s_and_b32 vcc_lo, exec_lo, s5
	s_cbranch_vccz .LBB127_1029
; %bb.1025:
	s_cmp_eq_u32 s4, 44
	s_mov_b32 s0, -1
	s_cbranch_scc0 .LBB127_1029
; %bb.1026:
	s_wait_loadcnt 0x0
	v_cndmask_b32_e64 v2, 0, 1.0, s6
	s_mov_b32 s5, exec_lo
	s_wait_xcnt 0x0
	s_delay_alu instid0(VALU_DEP_1) | instskip(NEXT) | instid1(VALU_DEP_1)
	v_dual_mov_b32 v1, 0xff :: v_dual_lshrrev_b32 v0, 23, v2
	v_cmpx_ne_u32_e32 0xff, v0
; %bb.1027:
	v_and_b32_e32 v1, 0x400000, v2
	v_and_or_b32 v2, 0x3fffff, v2, v0
	s_delay_alu instid0(VALU_DEP_2) | instskip(NEXT) | instid1(VALU_DEP_2)
	v_cmp_ne_u32_e32 vcc_lo, 0, v1
	v_cmp_ne_u32_e64 s0, 0, v2
	s_and_b32 s0, vcc_lo, s0
	s_delay_alu instid0(SALU_CYCLE_1) | instskip(NEXT) | instid1(VALU_DEP_1)
	v_cndmask_b32_e64 v1, 0, 1, s0
	v_add_nc_u32_e32 v1, v0, v1
; %bb.1028:
	s_or_b32 exec_lo, exec_lo, s5
	s_mov_b32 s0, 0
	global_store_b8 v[4:5], v1, off
.LBB127_1029:
	s_mov_b32 s5, 0
.LBB127_1030:
	s_delay_alu instid0(SALU_CYCLE_1)
	s_and_b32 vcc_lo, exec_lo, s5
	s_cbranch_vccz .LBB127_1033
; %bb.1031:
	s_cmp_eq_u32 s4, 29
	s_mov_b32 s0, -1
	s_cbranch_scc0 .LBB127_1033
; %bb.1032:
	s_mov_b32 s0, 0
	s_wait_loadcnt 0x0
	v_cndmask_b32_e64 v0, 0, 1, s6
	v_mov_b32_e32 v1, s0
	s_mov_b32 s5, 0
	global_store_b64 v[4:5], v[0:1], off
	s_branch .LBB127_1034
.LBB127_1033:
	s_mov_b32 s5, 0
.LBB127_1034:
	s_delay_alu instid0(SALU_CYCLE_1)
	s_and_b32 vcc_lo, exec_lo, s5
	s_cbranch_vccz .LBB127_1049
; %bb.1035:
	s_cmp_lt_i32 s4, 27
	s_mov_b32 s5, -1
	s_cbranch_scc1 .LBB127_1041
; %bb.1036:
	s_cmp_gt_i32 s4, 27
	s_cbranch_scc0 .LBB127_1038
; %bb.1037:
	s_wait_loadcnt 0x0
	v_cndmask_b32_e64 v0, 0, 1, s6
	s_mov_b32 s5, 0
	global_store_b32 v[4:5], v0, off
.LBB127_1038:
	s_and_not1_b32 vcc_lo, exec_lo, s5
	s_cbranch_vccnz .LBB127_1040
; %bb.1039:
	s_wait_loadcnt 0x0
	v_cndmask_b32_e64 v0, 0, 1, s6
	global_store_b16 v[4:5], v0, off
.LBB127_1040:
	s_mov_b32 s5, 0
.LBB127_1041:
	s_delay_alu instid0(SALU_CYCLE_1)
	s_and_not1_b32 vcc_lo, exec_lo, s5
	s_cbranch_vccnz .LBB127_1049
; %bb.1042:
	s_wait_loadcnt 0x0
	v_cndmask_b32_e64 v1, 0, 1.0, s6
	v_mov_b32_e32 v2, 0x80
	s_mov_b32 s5, exec_lo
	s_delay_alu instid0(VALU_DEP_2)
	v_cmpx_gt_u32_e32 0x43800000, v1
	s_cbranch_execz .LBB127_1048
; %bb.1043:
	s_mov_b32 s8, 0
	s_mov_b32 s9, exec_lo
                                        ; implicit-def: $vgpr0
	v_cmpx_lt_u32_e32 0x3bffffff, v1
	s_xor_b32 s9, exec_lo, s9
	s_cbranch_execz .LBB127_1206
; %bb.1044:
	v_bfe_u32 v0, v1, 20, 1
	s_mov_b32 s8, exec_lo
	s_delay_alu instid0(VALU_DEP_1) | instskip(NEXT) | instid1(VALU_DEP_1)
	v_add3_u32 v0, v1, v0, 0x487ffff
                                        ; implicit-def: $vgpr1
	v_lshrrev_b32_e32 v0, 20, v0
	s_and_not1_saveexec_b32 s9, s9
	s_cbranch_execnz .LBB127_1207
.LBB127_1045:
	s_or_b32 exec_lo, exec_lo, s9
	v_mov_b32_e32 v2, 0
	s_and_saveexec_b32 s9, s8
.LBB127_1046:
	v_mov_b32_e32 v2, v0
.LBB127_1047:
	s_or_b32 exec_lo, exec_lo, s9
.LBB127_1048:
	s_delay_alu instid0(SALU_CYCLE_1)
	s_or_b32 exec_lo, exec_lo, s5
	global_store_b8 v[4:5], v2, off
.LBB127_1049:
	s_mov_b32 s5, 0
.LBB127_1050:
	s_delay_alu instid0(SALU_CYCLE_1)
	s_and_b32 vcc_lo, exec_lo, s5
	s_mov_b32 s5, 0
	s_cbranch_vccz .LBB127_1090
; %bb.1051:
	s_cmp_gt_i32 s4, 22
	s_mov_b32 s8, -1
	s_cbranch_scc0 .LBB127_1083
; %bb.1052:
	s_cmp_lt_i32 s4, 24
	s_cbranch_scc1 .LBB127_1072
; %bb.1053:
	s_cmp_gt_i32 s4, 24
	s_cbranch_scc0 .LBB127_1061
; %bb.1054:
	s_wait_loadcnt 0x0
	v_cndmask_b32_e64 v1, 0, 1.0, s6
	v_mov_b32_e32 v2, 0x80
	s_mov_b32 s8, exec_lo
	s_delay_alu instid0(VALU_DEP_2)
	v_cmpx_gt_u32_e32 0x47800000, v1
	s_cbranch_execz .LBB127_1060
; %bb.1055:
	s_mov_b32 s9, 0
	s_mov_b32 s10, exec_lo
                                        ; implicit-def: $vgpr0
	v_cmpx_lt_u32_e32 0x37ffffff, v1
	s_xor_b32 s10, exec_lo, s10
	s_cbranch_execz .LBB127_1341
; %bb.1056:
	v_bfe_u32 v0, v1, 21, 1
	s_mov_b32 s9, exec_lo
	s_delay_alu instid0(VALU_DEP_1) | instskip(NEXT) | instid1(VALU_DEP_1)
	v_add3_u32 v0, v1, v0, 0x88fffff
                                        ; implicit-def: $vgpr1
	v_lshrrev_b32_e32 v0, 21, v0
	s_and_not1_saveexec_b32 s10, s10
	s_cbranch_execnz .LBB127_1342
.LBB127_1057:
	s_or_b32 exec_lo, exec_lo, s10
	v_mov_b32_e32 v2, 0
	s_and_saveexec_b32 s10, s9
.LBB127_1058:
	v_mov_b32_e32 v2, v0
.LBB127_1059:
	s_or_b32 exec_lo, exec_lo, s10
.LBB127_1060:
	s_delay_alu instid0(SALU_CYCLE_1)
	s_or_b32 exec_lo, exec_lo, s8
	s_mov_b32 s8, 0
	global_store_b8 v[4:5], v2, off
.LBB127_1061:
	s_and_b32 vcc_lo, exec_lo, s8
	s_cbranch_vccz .LBB127_1071
; %bb.1062:
	s_wait_loadcnt 0x0
	v_cndmask_b32_e64 v1, 0, 1.0, s6
	s_mov_b32 s8, exec_lo
                                        ; implicit-def: $vgpr0
	s_delay_alu instid0(VALU_DEP_1)
	v_cmpx_gt_u32_e32 0x43f00000, v1
	s_xor_b32 s8, exec_lo, s8
	s_cbranch_execz .LBB127_1068
; %bb.1063:
	s_mov_b32 s9, exec_lo
                                        ; implicit-def: $vgpr0
	v_cmpx_lt_u32_e32 0x3c7fffff, v1
	s_xor_b32 s9, exec_lo, s9
; %bb.1064:
	v_bfe_u32 v0, v1, 20, 1
	s_delay_alu instid0(VALU_DEP_1) | instskip(NEXT) | instid1(VALU_DEP_1)
	v_add3_u32 v0, v1, v0, 0x407ffff
	v_and_b32_e32 v1, 0xff00000, v0
	v_lshrrev_b32_e32 v0, 20, v0
	s_delay_alu instid0(VALU_DEP_2) | instskip(NEXT) | instid1(VALU_DEP_2)
	v_cmp_ne_u32_e32 vcc_lo, 0x7f00000, v1
                                        ; implicit-def: $vgpr1
	v_cndmask_b32_e32 v0, 0x7e, v0, vcc_lo
; %bb.1065:
	s_and_not1_saveexec_b32 s9, s9
; %bb.1066:
	v_add_f32_e32 v0, 0x46800000, v1
; %bb.1067:
	s_or_b32 exec_lo, exec_lo, s9
                                        ; implicit-def: $vgpr1
.LBB127_1068:
	s_and_not1_saveexec_b32 s8, s8
; %bb.1069:
	v_mov_b32_e32 v0, 0x7f
	v_cmp_lt_u32_e32 vcc_lo, 0x7f800000, v1
	s_delay_alu instid0(VALU_DEP_2)
	v_cndmask_b32_e32 v0, 0x7e, v0, vcc_lo
; %bb.1070:
	s_or_b32 exec_lo, exec_lo, s8
	global_store_b8 v[4:5], v0, off
.LBB127_1071:
	s_mov_b32 s8, 0
.LBB127_1072:
	s_delay_alu instid0(SALU_CYCLE_1)
	s_and_not1_b32 vcc_lo, exec_lo, s8
	s_cbranch_vccnz .LBB127_1082
; %bb.1073:
	s_wait_loadcnt 0x0
	v_cndmask_b32_e64 v1, 0, 1.0, s6
	s_mov_b32 s8, exec_lo
                                        ; implicit-def: $vgpr0
	s_delay_alu instid0(VALU_DEP_1)
	v_cmpx_gt_u32_e32 0x47800000, v1
	s_xor_b32 s8, exec_lo, s8
	s_cbranch_execz .LBB127_1079
; %bb.1074:
	s_mov_b32 s9, exec_lo
                                        ; implicit-def: $vgpr0
	v_cmpx_lt_u32_e32 0x387fffff, v1
	s_xor_b32 s9, exec_lo, s9
; %bb.1075:
	v_bfe_u32 v0, v1, 21, 1
	s_delay_alu instid0(VALU_DEP_1) | instskip(NEXT) | instid1(VALU_DEP_1)
	v_add3_u32 v0, v1, v0, 0x80fffff
                                        ; implicit-def: $vgpr1
	v_lshrrev_b32_e32 v0, 21, v0
; %bb.1076:
	s_and_not1_saveexec_b32 s9, s9
; %bb.1077:
	v_add_f32_e32 v0, 0x43000000, v1
; %bb.1078:
	s_or_b32 exec_lo, exec_lo, s9
                                        ; implicit-def: $vgpr1
.LBB127_1079:
	s_and_not1_saveexec_b32 s8, s8
; %bb.1080:
	v_mov_b32_e32 v0, 0x7f
	v_cmp_lt_u32_e32 vcc_lo, 0x7f800000, v1
	s_delay_alu instid0(VALU_DEP_2)
	v_cndmask_b32_e32 v0, 0x7c, v0, vcc_lo
; %bb.1081:
	s_or_b32 exec_lo, exec_lo, s8
	global_store_b8 v[4:5], v0, off
.LBB127_1082:
	s_mov_b32 s8, 0
.LBB127_1083:
	s_delay_alu instid0(SALU_CYCLE_1)
	s_and_not1_b32 vcc_lo, exec_lo, s8
	s_mov_b32 s8, 0
	s_cbranch_vccnz .LBB127_1091
; %bb.1084:
	s_cmp_gt_i32 s4, 14
	s_mov_b32 s8, -1
	s_cbranch_scc0 .LBB127_1088
; %bb.1085:
	s_cmp_eq_u32 s4, 15
	s_mov_b32 s0, -1
	s_cbranch_scc0 .LBB127_1087
; %bb.1086:
	s_wait_loadcnt 0x0
	v_cndmask_b32_e64 v0, 0, 1.0, s6
	s_mov_b32 s0, 0
	s_delay_alu instid0(VALU_DEP_1) | instskip(NEXT) | instid1(VALU_DEP_1)
	v_bfe_u32 v1, v0, 16, 1
	v_add3_u32 v0, v0, v1, 0x7fff
	global_store_d16_hi_b16 v[4:5], v0, off
.LBB127_1087:
	s_mov_b32 s8, 0
.LBB127_1088:
	s_delay_alu instid0(SALU_CYCLE_1)
	s_and_b32 vcc_lo, exec_lo, s8
	s_mov_b32 s8, 0
	s_cbranch_vccz .LBB127_1091
; %bb.1089:
	s_cmp_lg_u32 s4, 11
	s_mov_b32 s8, -1
	s_cselect_b32 s4, -1, 0
	s_and_not1_b32 s0, s0, exec_lo
	s_and_b32 s4, s4, exec_lo
	s_delay_alu instid0(SALU_CYCLE_1)
	s_or_b32 s0, s0, s4
	s_branch .LBB127_1091
.LBB127_1090:
	s_mov_b32 s8, 0
.LBB127_1091:
	s_and_not1_b32 s4, s44, exec_lo
	s_and_b32 s0, s0, exec_lo
	s_and_b32 s14, s5, exec_lo
	;; [unrolled: 1-line block ×3, first 2 shown]
	s_or_b32 s44, s4, s0
	s_wait_xcnt 0x0
	s_or_b32 exec_lo, exec_lo, s12
	s_and_saveexec_b32 s0, s44
	s_cbranch_execz .LBB127_1019
.LBB127_1092:
	s_or_b32 s1, s1, exec_lo
	s_and_not1_b32 s15, s15, exec_lo
	s_trap 2
	s_or_b32 exec_lo, exec_lo, s0
	s_and_saveexec_b32 s0, s15
	s_delay_alu instid0(SALU_CYCLE_1)
	s_xor_b32 s0, exec_lo, s0
	s_cbranch_execnz .LBB127_1020
.LBB127_1093:
	s_or_b32 exec_lo, exec_lo, s0
	s_and_saveexec_b32 s0, s14
	s_delay_alu instid0(SALU_CYCLE_1)
	s_xor_b32 s0, exec_lo, s0
	s_cbranch_execz .LBB127_1131
.LBB127_1094:
	s_sext_i32_i16 s5, s7
	s_mov_b32 s4, -1
	s_cmp_lt_i32 s5, 5
	s_cbranch_scc1 .LBB127_1115
; %bb.1095:
	s_cmp_lt_i32 s5, 8
	s_cbranch_scc1 .LBB127_1105
; %bb.1096:
	s_cmp_lt_i32 s5, 9
	s_cbranch_scc1 .LBB127_1102
; %bb.1097:
	s_cmp_gt_i32 s5, 9
	s_cbranch_scc0 .LBB127_1099
; %bb.1098:
	s_wait_loadcnt 0x0
	v_cndmask_b32_e64 v0, 0, 1, s6
	v_mov_b32_e32 v2, 0
	s_mov_b32 s4, 0
	s_delay_alu instid0(VALU_DEP_2) | instskip(NEXT) | instid1(VALU_DEP_2)
	v_cvt_f64_u32_e32 v[0:1], v0
	v_mov_b32_e32 v3, v2
	global_store_b128 v[4:5], v[0:3], off
.LBB127_1099:
	s_and_not1_b32 vcc_lo, exec_lo, s4
	s_cbranch_vccnz .LBB127_1101
; %bb.1100:
	s_wait_loadcnt 0x0
	v_cndmask_b32_e64 v0, 0, 1.0, s6
	v_mov_b32_e32 v1, 0
	global_store_b64 v[4:5], v[0:1], off
.LBB127_1101:
	s_mov_b32 s4, 0
.LBB127_1102:
	s_delay_alu instid0(SALU_CYCLE_1)
	s_and_not1_b32 vcc_lo, exec_lo, s4
	s_cbranch_vccnz .LBB127_1104
; %bb.1103:
	s_wait_loadcnt 0x0
	v_cndmask_b32_e64 v0, 0, 1.0, s6
	s_delay_alu instid0(VALU_DEP_1) | instskip(NEXT) | instid1(VALU_DEP_1)
	v_cvt_f16_f32_e32 v0, v0
	v_and_b32_e32 v0, 0xffff, v0
	global_store_b32 v[4:5], v0, off
.LBB127_1104:
	s_mov_b32 s4, 0
.LBB127_1105:
	s_delay_alu instid0(SALU_CYCLE_1)
	s_and_not1_b32 vcc_lo, exec_lo, s4
	s_cbranch_vccnz .LBB127_1114
; %bb.1106:
	s_sext_i32_i16 s5, s7
	s_mov_b32 s4, -1
	s_cmp_lt_i32 s5, 6
	s_cbranch_scc1 .LBB127_1112
; %bb.1107:
	s_cmp_gt_i32 s5, 6
	s_cbranch_scc0 .LBB127_1109
; %bb.1108:
	s_wait_loadcnt 0x0
	v_cndmask_b32_e64 v0, 0, 1, s6
	s_mov_b32 s4, 0
	s_delay_alu instid0(VALU_DEP_1)
	v_cvt_f64_u32_e32 v[0:1], v0
	global_store_b64 v[4:5], v[0:1], off
.LBB127_1109:
	s_and_not1_b32 vcc_lo, exec_lo, s4
	s_cbranch_vccnz .LBB127_1111
; %bb.1110:
	s_wait_loadcnt 0x0
	v_cndmask_b32_e64 v0, 0, 1.0, s6
	global_store_b32 v[4:5], v0, off
.LBB127_1111:
	s_mov_b32 s4, 0
.LBB127_1112:
	s_delay_alu instid0(SALU_CYCLE_1)
	s_and_not1_b32 vcc_lo, exec_lo, s4
	s_cbranch_vccnz .LBB127_1114
; %bb.1113:
	s_wait_loadcnt 0x0
	v_cndmask_b32_e64 v0, 0, 1.0, s6
	s_delay_alu instid0(VALU_DEP_1)
	v_cvt_f16_f32_e32 v0, v0
	global_store_b16 v[4:5], v0, off
.LBB127_1114:
	s_mov_b32 s4, 0
.LBB127_1115:
	s_delay_alu instid0(SALU_CYCLE_1)
	s_and_not1_b32 vcc_lo, exec_lo, s4
	s_cbranch_vccnz .LBB127_1131
; %bb.1116:
	s_sext_i32_i16 s5, s7
	s_mov_b32 s4, -1
	s_cmp_lt_i32 s5, 2
	s_cbranch_scc1 .LBB127_1126
; %bb.1117:
	s_cmp_lt_i32 s5, 3
	s_cbranch_scc1 .LBB127_1123
; %bb.1118:
	s_cmp_gt_i32 s5, 3
	s_cbranch_scc0 .LBB127_1120
; %bb.1119:
	s_mov_b32 s4, 0
	s_wait_loadcnt 0x0
	v_cndmask_b32_e64 v0, 0, 1, s6
	v_mov_b32_e32 v1, s4
	global_store_b64 v[4:5], v[0:1], off
.LBB127_1120:
	s_and_not1_b32 vcc_lo, exec_lo, s4
	s_cbranch_vccnz .LBB127_1122
; %bb.1121:
	s_wait_loadcnt 0x0
	v_cndmask_b32_e64 v0, 0, 1, s6
	global_store_b32 v[4:5], v0, off
.LBB127_1122:
	s_mov_b32 s4, 0
.LBB127_1123:
	s_delay_alu instid0(SALU_CYCLE_1)
	s_and_not1_b32 vcc_lo, exec_lo, s4
	s_cbranch_vccnz .LBB127_1125
; %bb.1124:
	s_wait_loadcnt 0x0
	v_cndmask_b32_e64 v0, 0, 1, s6
	global_store_b16 v[4:5], v0, off
.LBB127_1125:
	s_mov_b32 s4, 0
.LBB127_1126:
	s_delay_alu instid0(SALU_CYCLE_1)
	s_and_not1_b32 vcc_lo, exec_lo, s4
	s_cbranch_vccnz .LBB127_1131
; %bb.1127:
	s_sext_i32_i16 s4, s7
	s_delay_alu instid0(SALU_CYCLE_1)
	s_cmp_gt_i32 s4, 0
	s_mov_b32 s4, -1
	s_cbranch_scc0 .LBB127_1129
; %bb.1128:
	s_wait_loadcnt 0x0
	v_cndmask_b32_e64 v0, 0, 1, s6
	s_mov_b32 s4, 0
	global_store_b8 v[4:5], v0, off
.LBB127_1129:
	s_and_not1_b32 vcc_lo, exec_lo, s4
	s_cbranch_vccnz .LBB127_1131
; %bb.1130:
	s_wait_loadcnt 0x0
	v_cndmask_b32_e64 v0, 0, 1, s6
	global_store_b8 v[4:5], v0, off
.LBB127_1131:
	s_wait_xcnt 0x0
	s_or_b32 exec_lo, exec_lo, s0
	s_delay_alu instid0(SALU_CYCLE_1)
	s_and_b32 s12, s1, exec_lo
                                        ; implicit-def: $vgpr2
                                        ; implicit-def: $vgpr4
.LBB127_1132:
	s_or_saveexec_b32 s13, s37
	s_mov_b32 s0, 0
                                        ; implicit-def: $sgpr6
                                        ; implicit-def: $vgpr0_vgpr1
                                        ; implicit-def: $sgpr7
	s_xor_b32 exec_lo, exec_lo, s13
	s_cbranch_execz .LBB127_1746
; %bb.1133:
	s_wait_loadcnt 0x0
	v_cndmask_b32_e64 v1, 0, 1, s36
	s_and_not1_b32 vcc_lo, exec_lo, s36
	s_cbranch_vccnz .LBB127_1139
; %bb.1134:
	s_cmp_lg_u32 s33, 0
	s_mov_b32 s8, 0
	s_cbranch_scc0 .LBB127_1140
; %bb.1135:
	s_min_u32 s1, s34, 15
	s_delay_alu instid0(SALU_CYCLE_1)
	s_add_co_i32 s1, s1, 1
	s_cmp_eq_u32 s34, 2
	s_cbranch_scc1 .LBB127_1141
; %bb.1136:
	v_dual_mov_b32 v10, 0 :: v_dual_mov_b32 v0, 0
	v_mov_b32_e32 v3, v4
	s_and_b32 s0, s1, 28
	s_add_nc_u64 s[4:5], s[2:3], 0xc4
	s_mov_b32 s9, 0
	s_mov_b64 s[6:7], s[2:3]
.LBB127_1137:                           ; =>This Inner Loop Header: Depth=1
	s_clause 0x1
	s_load_b256 s[16:23], s[6:7], 0x4
	s_load_b128 s[36:39], s[6:7], 0x24
	s_load_b256 s[24:31], s[4:5], 0x0
	s_add_co_i32 s9, s9, 4
	s_wait_xcnt 0x0
	s_add_nc_u64 s[6:7], s[6:7], 48
	s_cmp_lg_u32 s0, s9
	s_add_nc_u64 s[4:5], s[4:5], 32
	s_wait_kmcnt 0x0
	v_mul_hi_u32 v5, s17, v3
	s_delay_alu instid0(VALU_DEP_1) | instskip(NEXT) | instid1(VALU_DEP_1)
	v_add_nc_u32_e32 v5, v3, v5
	v_lshrrev_b32_e32 v5, s18, v5
	s_delay_alu instid0(VALU_DEP_1) | instskip(NEXT) | instid1(VALU_DEP_1)
	v_mul_hi_u32 v6, s20, v5
	v_add_nc_u32_e32 v6, v5, v6
	s_delay_alu instid0(VALU_DEP_1) | instskip(NEXT) | instid1(VALU_DEP_1)
	v_lshrrev_b32_e32 v6, s21, v6
	v_mul_hi_u32 v7, s23, v6
	s_delay_alu instid0(VALU_DEP_1) | instskip(SKIP_1) | instid1(VALU_DEP_1)
	v_add_nc_u32_e32 v7, v6, v7
	v_mul_lo_u32 v8, v5, s16
	v_sub_nc_u32_e32 v3, v3, v8
	v_mul_lo_u32 v8, v6, s19
	s_delay_alu instid0(VALU_DEP_4) | instskip(NEXT) | instid1(VALU_DEP_3)
	v_lshrrev_b32_e32 v7, s36, v7
	v_mad_u32 v0, v3, s25, v0
	v_mad_u32 v3, v3, s24, v10
	s_delay_alu instid0(VALU_DEP_4) | instskip(NEXT) | instid1(VALU_DEP_4)
	v_sub_nc_u32_e32 v5, v5, v8
	v_mul_hi_u32 v9, s38, v7
	v_mul_lo_u32 v8, v7, s22
	s_delay_alu instid0(VALU_DEP_3) | instskip(SKIP_1) | instid1(VALU_DEP_3)
	v_mad_u32 v0, v5, s27, v0
	v_mad_u32 v5, v5, s26, v3
	v_dual_add_nc_u32 v9, v7, v9 :: v_dual_sub_nc_u32 v6, v6, v8
	s_delay_alu instid0(VALU_DEP_1) | instskip(NEXT) | instid1(VALU_DEP_2)
	v_lshrrev_b32_e32 v3, s39, v9
	v_mad_u32 v0, v6, s29, v0
	s_delay_alu instid0(VALU_DEP_4) | instskip(NEXT) | instid1(VALU_DEP_3)
	v_mad_u32 v5, v6, s28, v5
	v_mul_lo_u32 v8, v3, s37
	s_delay_alu instid0(VALU_DEP_1) | instskip(NEXT) | instid1(VALU_DEP_1)
	v_sub_nc_u32_e32 v6, v7, v8
	v_mad_u32 v0, v6, s31, v0
	s_delay_alu instid0(VALU_DEP_4)
	v_mad_u32 v10, v6, s30, v5
	s_cbranch_scc1 .LBB127_1137
; %bb.1138:
	s_delay_alu instid0(VALU_DEP_2)
	v_mov_b32_e32 v11, v0
	s_and_b32 s6, s1, 3
	s_mov_b32 s1, 0
	s_cmp_eq_u32 s6, 0
	s_cbranch_scc0 .LBB127_1142
	s_branch .LBB127_1145
.LBB127_1139:
	s_mov_b32 s8, -1
                                        ; implicit-def: $vgpr0
                                        ; implicit-def: $vgpr10
	s_branch .LBB127_1145
.LBB127_1140:
	v_dual_mov_b32 v0, 0 :: v_dual_mov_b32 v10, 0
	s_branch .LBB127_1145
.LBB127_1141:
	v_mov_b64_e32 v[10:11], 0
	v_mov_b32_e32 v3, v4
                                        ; implicit-def: $vgpr0
	s_and_b32 s6, s1, 3
	s_mov_b32 s1, 0
	s_cmp_eq_u32 s6, 0
	s_cbranch_scc1 .LBB127_1145
.LBB127_1142:
	s_lshl_b32 s4, s0, 3
	s_mov_b32 s5, s1
	s_mul_u64 s[10:11], s[0:1], 12
	s_add_nc_u64 s[4:5], s[2:3], s[4:5]
	s_delay_alu instid0(SALU_CYCLE_1)
	s_add_nc_u64 s[0:1], s[4:5], 0xc4
	s_add_nc_u64 s[4:5], s[2:3], s[10:11]
.LBB127_1143:                           ; =>This Inner Loop Header: Depth=1
	s_load_b96 s[16:18], s[4:5], 0x4
	s_load_b64 s[10:11], s[0:1], 0x0
	s_add_co_i32 s6, s6, -1
	s_wait_xcnt 0x0
	s_add_nc_u64 s[4:5], s[4:5], 12
	s_cmp_lg_u32 s6, 0
	s_add_nc_u64 s[0:1], s[0:1], 8
	s_wait_kmcnt 0x0
	v_mul_hi_u32 v0, s17, v3
	s_delay_alu instid0(VALU_DEP_1) | instskip(NEXT) | instid1(VALU_DEP_1)
	v_add_nc_u32_e32 v0, v3, v0
	v_lshrrev_b32_e32 v0, s18, v0
	s_delay_alu instid0(VALU_DEP_1) | instskip(NEXT) | instid1(VALU_DEP_1)
	v_mul_lo_u32 v5, v0, s16
	v_sub_nc_u32_e32 v3, v3, v5
	s_delay_alu instid0(VALU_DEP_1)
	v_mad_u32 v11, v3, s11, v11
	v_mad_u32 v10, v3, s10, v10
	v_mov_b32_e32 v3, v0
	s_cbranch_scc1 .LBB127_1143
; %bb.1144:
	s_delay_alu instid0(VALU_DEP_3)
	v_mov_b32_e32 v0, v11
.LBB127_1145:
	s_and_not1_b32 vcc_lo, exec_lo, s8
	s_cbranch_vccnz .LBB127_1148
; %bb.1146:
	s_clause 0x1
	s_load_b96 s[4:6], s[2:3], 0x4
	s_load_b64 s[0:1], s[2:3], 0xc4
	s_cmp_lt_u32 s33, 2
	s_wait_kmcnt 0x0
	v_mul_hi_u32 v0, s5, v4
	s_delay_alu instid0(VALU_DEP_1) | instskip(NEXT) | instid1(VALU_DEP_1)
	v_add_nc_u32_e32 v0, v4, v0
	v_lshrrev_b32_e32 v3, s6, v0
	s_delay_alu instid0(VALU_DEP_1) | instskip(NEXT) | instid1(VALU_DEP_1)
	v_mul_lo_u32 v0, v3, s4
	v_sub_nc_u32_e32 v5, v4, v0
	s_delay_alu instid0(VALU_DEP_1)
	v_mul_lo_u32 v0, v5, s1
	v_mul_lo_u32 v10, v5, s0
	s_cbranch_scc1 .LBB127_1148
; %bb.1147:
	s_clause 0x1
	s_load_b96 s[4:6], s[2:3], 0x10
	s_load_b64 s[0:1], s[2:3], 0xcc
	s_wait_kmcnt 0x0
	v_mul_hi_u32 v5, s5, v3
	s_delay_alu instid0(VALU_DEP_1) | instskip(NEXT) | instid1(VALU_DEP_1)
	v_add_nc_u32_e32 v5, v3, v5
	v_lshrrev_b32_e32 v5, s6, v5
	s_delay_alu instid0(VALU_DEP_1) | instskip(NEXT) | instid1(VALU_DEP_1)
	v_mul_lo_u32 v5, v5, s4
	v_sub_nc_u32_e32 v3, v3, v5
	s_delay_alu instid0(VALU_DEP_1)
	v_mad_u32 v10, v3, s0, v10
	v_mad_u32 v0, v3, s1, v0
.LBB127_1148:
	v_cmp_ne_u32_e32 vcc_lo, 1, v1
	v_add_nc_u32_e32 v3, 0x80, v4
	s_cbranch_vccnz .LBB127_1154
; %bb.1149:
	s_cmp_lg_u32 s33, 0
	s_mov_b32 s8, 0
	s_cbranch_scc0 .LBB127_1155
; %bb.1150:
	s_min_u32 s1, s34, 15
	s_delay_alu instid0(SALU_CYCLE_1)
	s_add_co_i32 s1, s1, 1
	s_cmp_eq_u32 s34, 2
	s_cbranch_scc1 .LBB127_1156
; %bb.1151:
	v_dual_mov_b32 v8, 0 :: v_dual_mov_b32 v16, 0
	v_mov_b32_e32 v5, v3
	s_and_b32 s0, s1, 28
	s_add_nc_u64 s[4:5], s[2:3], 0xc4
	s_mov_b32 s9, 0
	s_mov_b64 s[6:7], s[2:3]
.LBB127_1152:                           ; =>This Inner Loop Header: Depth=1
	s_clause 0x1
	s_load_b256 s[16:23], s[6:7], 0x4
	s_load_b128 s[36:39], s[6:7], 0x24
	s_load_b256 s[24:31], s[4:5], 0x0
	s_add_co_i32 s9, s9, 4
	s_wait_xcnt 0x0
	s_add_nc_u64 s[6:7], s[6:7], 48
	s_cmp_lg_u32 s0, s9
	s_add_nc_u64 s[4:5], s[4:5], 32
	s_wait_kmcnt 0x0
	v_mul_hi_u32 v6, s17, v5
	s_delay_alu instid0(VALU_DEP_1) | instskip(NEXT) | instid1(VALU_DEP_1)
	v_add_nc_u32_e32 v6, v5, v6
	v_lshrrev_b32_e32 v6, s18, v6
	s_delay_alu instid0(VALU_DEP_1) | instskip(NEXT) | instid1(VALU_DEP_1)
	v_mul_hi_u32 v7, s20, v6
	v_add_nc_u32_e32 v7, v6, v7
	s_delay_alu instid0(VALU_DEP_1) | instskip(NEXT) | instid1(VALU_DEP_1)
	v_lshrrev_b32_e32 v7, s21, v7
	v_mul_hi_u32 v9, s23, v7
	s_delay_alu instid0(VALU_DEP_1) | instskip(SKIP_1) | instid1(VALU_DEP_2)
	v_add_nc_u32_e32 v9, v7, v9
	v_mul_lo_u32 v11, v6, s16
	v_lshrrev_b32_e32 v9, s36, v9
	s_delay_alu instid0(VALU_DEP_1) | instskip(NEXT) | instid1(VALU_DEP_3)
	v_mul_hi_u32 v12, s38, v9
	v_sub_nc_u32_e32 v5, v5, v11
	v_mul_lo_u32 v11, v7, s19
	s_delay_alu instid0(VALU_DEP_1) | instskip(NEXT) | instid1(VALU_DEP_3)
	v_sub_nc_u32_e32 v6, v6, v11
	v_mad_u32 v13, v5, s25, v16
	v_mad_u32 v5, v5, s24, v8
	v_mul_lo_u32 v8, v9, s22
	v_add_nc_u32_e32 v11, v9, v12
	s_delay_alu instid0(VALU_DEP_4) | instskip(NEXT) | instid1(VALU_DEP_4)
	v_mad_u32 v12, v6, s27, v13
	v_mad_u32 v6, v6, s26, v5
	s_delay_alu instid0(VALU_DEP_3) | instskip(NEXT) | instid1(VALU_DEP_1)
	v_dual_lshrrev_b32 v5, s39, v11 :: v_dual_sub_nc_u32 v7, v7, v8
	v_mul_lo_u32 v8, v5, s37
	s_delay_alu instid0(VALU_DEP_2) | instskip(NEXT) | instid1(VALU_DEP_4)
	v_mad_u32 v11, v7, s29, v12
	v_mad_u32 v6, v7, s28, v6
	s_delay_alu instid0(VALU_DEP_3) | instskip(NEXT) | instid1(VALU_DEP_1)
	v_sub_nc_u32_e32 v7, v9, v8
	v_mad_u32 v16, v7, s31, v11
	s_delay_alu instid0(VALU_DEP_3)
	v_mad_u32 v8, v7, s30, v6
	s_cbranch_scc1 .LBB127_1152
; %bb.1153:
	s_delay_alu instid0(VALU_DEP_2)
	v_mov_b32_e32 v9, v16
	s_and_b32 s6, s1, 3
	s_mov_b32 s1, 0
	s_cmp_eq_u32 s6, 0
	s_cbranch_scc0 .LBB127_1157
	s_branch .LBB127_1160
.LBB127_1154:
	s_mov_b32 s8, -1
                                        ; implicit-def: $vgpr16
                                        ; implicit-def: $vgpr8
	s_branch .LBB127_1160
.LBB127_1155:
	v_dual_mov_b32 v16, 0 :: v_dual_mov_b32 v8, 0
	s_branch .LBB127_1160
.LBB127_1156:
	v_mov_b64_e32 v[8:9], 0
	v_mov_b32_e32 v5, v3
	s_mov_b32 s0, 0
                                        ; implicit-def: $vgpr16
	s_and_b32 s6, s1, 3
	s_mov_b32 s1, 0
	s_cmp_eq_u32 s6, 0
	s_cbranch_scc1 .LBB127_1160
.LBB127_1157:
	s_lshl_b32 s4, s0, 3
	s_mov_b32 s5, s1
	s_mul_u64 s[10:11], s[0:1], 12
	s_add_nc_u64 s[4:5], s[2:3], s[4:5]
	s_delay_alu instid0(SALU_CYCLE_1)
	s_add_nc_u64 s[0:1], s[4:5], 0xc4
	s_add_nc_u64 s[4:5], s[2:3], s[10:11]
.LBB127_1158:                           ; =>This Inner Loop Header: Depth=1
	s_load_b96 s[16:18], s[4:5], 0x4
	s_load_b64 s[10:11], s[0:1], 0x0
	s_add_co_i32 s6, s6, -1
	s_wait_xcnt 0x0
	s_add_nc_u64 s[4:5], s[4:5], 12
	s_cmp_lg_u32 s6, 0
	s_add_nc_u64 s[0:1], s[0:1], 8
	s_wait_kmcnt 0x0
	v_mul_hi_u32 v6, s17, v5
	s_delay_alu instid0(VALU_DEP_1) | instskip(NEXT) | instid1(VALU_DEP_1)
	v_add_nc_u32_e32 v6, v5, v6
	v_lshrrev_b32_e32 v6, s18, v6
	s_delay_alu instid0(VALU_DEP_1) | instskip(NEXT) | instid1(VALU_DEP_1)
	v_mul_lo_u32 v7, v6, s16
	v_sub_nc_u32_e32 v5, v5, v7
	s_delay_alu instid0(VALU_DEP_1)
	v_mad_u32 v9, v5, s11, v9
	v_mad_u32 v8, v5, s10, v8
	v_mov_b32_e32 v5, v6
	s_cbranch_scc1 .LBB127_1158
; %bb.1159:
	s_delay_alu instid0(VALU_DEP_3)
	v_mov_b32_e32 v16, v9
.LBB127_1160:
	s_and_not1_b32 vcc_lo, exec_lo, s8
	s_cbranch_vccnz .LBB127_1163
; %bb.1161:
	s_clause 0x1
	s_load_b96 s[4:6], s[2:3], 0x4
	s_load_b64 s[0:1], s[2:3], 0xc4
	s_cmp_lt_u32 s33, 2
	s_wait_kmcnt 0x0
	v_mul_hi_u32 v5, s5, v3
	s_delay_alu instid0(VALU_DEP_1) | instskip(NEXT) | instid1(VALU_DEP_1)
	v_add_nc_u32_e32 v5, v3, v5
	v_lshrrev_b32_e32 v5, s6, v5
	s_delay_alu instid0(VALU_DEP_1) | instskip(NEXT) | instid1(VALU_DEP_1)
	v_mul_lo_u32 v6, v5, s4
	v_sub_nc_u32_e32 v3, v3, v6
	s_delay_alu instid0(VALU_DEP_1)
	v_mul_lo_u32 v16, v3, s1
	v_mul_lo_u32 v8, v3, s0
	s_cbranch_scc1 .LBB127_1163
; %bb.1162:
	s_clause 0x1
	s_load_b96 s[4:6], s[2:3], 0x10
	s_load_b64 s[0:1], s[2:3], 0xcc
	s_wait_kmcnt 0x0
	v_mul_hi_u32 v3, s5, v5
	s_delay_alu instid0(VALU_DEP_1) | instskip(NEXT) | instid1(VALU_DEP_1)
	v_add_nc_u32_e32 v3, v5, v3
	v_lshrrev_b32_e32 v3, s6, v3
	s_delay_alu instid0(VALU_DEP_1) | instskip(NEXT) | instid1(VALU_DEP_1)
	v_mul_lo_u32 v3, v3, s4
	v_sub_nc_u32_e32 v3, v5, v3
	s_delay_alu instid0(VALU_DEP_1)
	v_mad_u32 v8, v3, s0, v8
	v_mad_u32 v16, v3, s1, v16
.LBB127_1163:
	v_cmp_ne_u32_e32 vcc_lo, 1, v1
	v_add_nc_u32_e32 v3, 0x100, v4
	s_cbranch_vccnz .LBB127_1169
; %bb.1164:
	s_cmp_lg_u32 s33, 0
	s_mov_b32 s8, 0
	s_cbranch_scc0 .LBB127_1170
; %bb.1165:
	s_min_u32 s1, s34, 15
	s_delay_alu instid0(SALU_CYCLE_1)
	s_add_co_i32 s1, s1, 1
	s_cmp_eq_u32 s34, 2
	s_cbranch_scc1 .LBB127_1171
; %bb.1166:
	v_dual_mov_b32 v6, 0 :: v_dual_mov_b32 v14, 0
	v_mov_b32_e32 v4, v3
	s_and_b32 s0, s1, 28
	s_add_nc_u64 s[4:5], s[2:3], 0xc4
	s_mov_b32 s9, 0
	s_mov_b64 s[6:7], s[2:3]
.LBB127_1167:                           ; =>This Inner Loop Header: Depth=1
	s_clause 0x1
	s_load_b256 s[16:23], s[6:7], 0x4
	s_load_b128 s[36:39], s[6:7], 0x24
	s_load_b256 s[24:31], s[4:5], 0x0
	s_add_co_i32 s9, s9, 4
	s_wait_xcnt 0x0
	s_add_nc_u64 s[6:7], s[6:7], 48
	s_cmp_lg_u32 s0, s9
	s_add_nc_u64 s[4:5], s[4:5], 32
	s_wait_kmcnt 0x0
	v_mul_hi_u32 v5, s17, v4
	s_delay_alu instid0(VALU_DEP_1) | instskip(NEXT) | instid1(VALU_DEP_1)
	v_add_nc_u32_e32 v5, v4, v5
	v_lshrrev_b32_e32 v5, s18, v5
	s_delay_alu instid0(VALU_DEP_1) | instskip(NEXT) | instid1(VALU_DEP_1)
	v_mul_lo_u32 v11, v5, s16
	v_sub_nc_u32_e32 v4, v4, v11
	v_mul_hi_u32 v7, s20, v5
	s_delay_alu instid0(VALU_DEP_2) | instskip(SKIP_1) | instid1(VALU_DEP_3)
	v_mad_u32 v13, v4, s25, v14
	v_mad_u32 v4, v4, s24, v6
	v_add_nc_u32_e32 v7, v5, v7
	s_delay_alu instid0(VALU_DEP_1) | instskip(NEXT) | instid1(VALU_DEP_1)
	v_lshrrev_b32_e32 v7, s21, v7
	v_mul_hi_u32 v9, s23, v7
	v_mul_lo_u32 v11, v7, s19
	s_delay_alu instid0(VALU_DEP_1) | instskip(NEXT) | instid1(VALU_DEP_1)
	v_dual_add_nc_u32 v9, v7, v9 :: v_dual_sub_nc_u32 v5, v5, v11
	v_lshrrev_b32_e32 v9, s36, v9
	s_delay_alu instid0(VALU_DEP_1) | instskip(SKIP_1) | instid1(VALU_DEP_1)
	v_mul_hi_u32 v12, s38, v9
	v_mul_lo_u32 v6, v9, s22
	v_dual_add_nc_u32 v11, v9, v12 :: v_dual_sub_nc_u32 v6, v7, v6
	v_mad_u32 v12, v5, s27, v13
	v_mad_u32 v5, v5, s26, v4
	s_delay_alu instid0(VALU_DEP_3) | instskip(NEXT) | instid1(VALU_DEP_1)
	v_lshrrev_b32_e32 v4, s39, v11
	v_mul_lo_u32 v7, v4, s37
	s_delay_alu instid0(VALU_DEP_4) | instskip(NEXT) | instid1(VALU_DEP_4)
	v_mad_u32 v11, v6, s29, v12
	v_mad_u32 v5, v6, s28, v5
	s_delay_alu instid0(VALU_DEP_3) | instskip(NEXT) | instid1(VALU_DEP_1)
	v_sub_nc_u32_e32 v6, v9, v7
	v_mad_u32 v14, v6, s31, v11
	s_delay_alu instid0(VALU_DEP_3)
	v_mad_u32 v6, v6, s30, v5
	s_cbranch_scc1 .LBB127_1167
; %bb.1168:
	s_delay_alu instid0(VALU_DEP_2)
	v_mov_b32_e32 v7, v14
	s_and_b32 s6, s1, 3
	s_mov_b32 s1, 0
	s_cmp_eq_u32 s6, 0
	s_cbranch_scc0 .LBB127_1172
	s_branch .LBB127_1175
.LBB127_1169:
	s_mov_b32 s8, -1
                                        ; implicit-def: $vgpr14
                                        ; implicit-def: $vgpr6
	s_branch .LBB127_1175
.LBB127_1170:
	v_dual_mov_b32 v14, 0 :: v_dual_mov_b32 v6, 0
	s_branch .LBB127_1175
.LBB127_1171:
	v_mov_b64_e32 v[6:7], 0
	v_mov_b32_e32 v4, v3
	s_mov_b32 s0, 0
                                        ; implicit-def: $vgpr14
	s_and_b32 s6, s1, 3
	s_mov_b32 s1, 0
	s_cmp_eq_u32 s6, 0
	s_cbranch_scc1 .LBB127_1175
.LBB127_1172:
	s_lshl_b32 s4, s0, 3
	s_mov_b32 s5, s1
	s_mul_u64 s[10:11], s[0:1], 12
	s_add_nc_u64 s[4:5], s[2:3], s[4:5]
	s_delay_alu instid0(SALU_CYCLE_1)
	s_add_nc_u64 s[0:1], s[4:5], 0xc4
	s_add_nc_u64 s[4:5], s[2:3], s[10:11]
.LBB127_1173:                           ; =>This Inner Loop Header: Depth=1
	s_load_b96 s[16:18], s[4:5], 0x4
	s_load_b64 s[10:11], s[0:1], 0x0
	s_add_co_i32 s6, s6, -1
	s_wait_xcnt 0x0
	s_add_nc_u64 s[4:5], s[4:5], 12
	s_cmp_lg_u32 s6, 0
	s_add_nc_u64 s[0:1], s[0:1], 8
	s_wait_kmcnt 0x0
	v_mul_hi_u32 v5, s17, v4
	s_delay_alu instid0(VALU_DEP_1) | instskip(NEXT) | instid1(VALU_DEP_1)
	v_add_nc_u32_e32 v5, v4, v5
	v_lshrrev_b32_e32 v5, s18, v5
	s_delay_alu instid0(VALU_DEP_1) | instskip(NEXT) | instid1(VALU_DEP_1)
	v_mul_lo_u32 v9, v5, s16
	v_sub_nc_u32_e32 v4, v4, v9
	s_delay_alu instid0(VALU_DEP_1)
	v_mad_u32 v7, v4, s11, v7
	v_mad_u32 v6, v4, s10, v6
	v_mov_b32_e32 v4, v5
	s_cbranch_scc1 .LBB127_1173
; %bb.1174:
	s_delay_alu instid0(VALU_DEP_3)
	v_mov_b32_e32 v14, v7
.LBB127_1175:
	s_and_not1_b32 vcc_lo, exec_lo, s8
	s_cbranch_vccnz .LBB127_1178
; %bb.1176:
	s_clause 0x1
	s_load_b96 s[4:6], s[2:3], 0x4
	s_load_b64 s[0:1], s[2:3], 0xc4
	s_cmp_lt_u32 s33, 2
	s_wait_kmcnt 0x0
	v_mul_hi_u32 v4, s5, v3
	s_delay_alu instid0(VALU_DEP_1) | instskip(NEXT) | instid1(VALU_DEP_1)
	v_add_nc_u32_e32 v4, v3, v4
	v_lshrrev_b32_e32 v4, s6, v4
	s_delay_alu instid0(VALU_DEP_1) | instskip(NEXT) | instid1(VALU_DEP_1)
	v_mul_lo_u32 v5, v4, s4
	v_sub_nc_u32_e32 v3, v3, v5
	s_delay_alu instid0(VALU_DEP_1)
	v_mul_lo_u32 v14, v3, s1
	v_mul_lo_u32 v6, v3, s0
	s_cbranch_scc1 .LBB127_1178
; %bb.1177:
	s_clause 0x1
	s_load_b96 s[4:6], s[2:3], 0x10
	s_load_b64 s[0:1], s[2:3], 0xcc
	s_wait_kmcnt 0x0
	v_mul_hi_u32 v3, s5, v4
	s_delay_alu instid0(VALU_DEP_1) | instskip(NEXT) | instid1(VALU_DEP_1)
	v_add_nc_u32_e32 v3, v4, v3
	v_lshrrev_b32_e32 v3, s6, v3
	s_delay_alu instid0(VALU_DEP_1) | instskip(NEXT) | instid1(VALU_DEP_1)
	v_mul_lo_u32 v3, v3, s4
	v_sub_nc_u32_e32 v3, v4, v3
	s_delay_alu instid0(VALU_DEP_1)
	v_mad_u32 v6, v3, s0, v6
	v_mad_u32 v14, v3, s1, v14
.LBB127_1178:
	v_cmp_ne_u32_e32 vcc_lo, 1, v1
	s_cbranch_vccnz .LBB127_1184
; %bb.1179:
	s_cmp_lg_u32 s33, 0
	s_mov_b32 s8, 0
	s_cbranch_scc0 .LBB127_1185
; %bb.1180:
	s_min_u32 s1, s34, 15
	s_delay_alu instid0(SALU_CYCLE_1)
	s_add_co_i32 s1, s1, 1
	s_cmp_eq_u32 s34, 2
	s_cbranch_scc1 .LBB127_1186
; %bb.1181:
	v_dual_mov_b32 v4, 0 :: v_dual_mov_b32 v12, 0
	v_mov_b32_e32 v1, v2
	s_and_b32 s0, s1, 28
	s_add_nc_u64 s[4:5], s[2:3], 0xc4
	s_mov_b32 s9, 0
	s_mov_b64 s[6:7], s[2:3]
.LBB127_1182:                           ; =>This Inner Loop Header: Depth=1
	s_clause 0x1
	s_load_b256 s[16:23], s[6:7], 0x4
	s_load_b128 s[36:39], s[6:7], 0x24
	s_load_b256 s[24:31], s[4:5], 0x0
	s_add_co_i32 s9, s9, 4
	s_wait_xcnt 0x0
	s_add_nc_u64 s[6:7], s[6:7], 48
	s_cmp_lg_u32 s0, s9
	s_add_nc_u64 s[4:5], s[4:5], 32
	s_wait_kmcnt 0x0
	v_mul_hi_u32 v3, s17, v1
	s_delay_alu instid0(VALU_DEP_1) | instskip(NEXT) | instid1(VALU_DEP_1)
	v_add_nc_u32_e32 v3, v1, v3
	v_lshrrev_b32_e32 v3, s18, v3
	s_delay_alu instid0(VALU_DEP_1) | instskip(NEXT) | instid1(VALU_DEP_1)
	v_mul_lo_u32 v9, v3, s16
	v_sub_nc_u32_e32 v1, v1, v9
	v_mul_hi_u32 v5, s20, v3
	s_delay_alu instid0(VALU_DEP_2) | instskip(SKIP_1) | instid1(VALU_DEP_3)
	v_mad_u32 v12, v1, s25, v12
	v_mad_u32 v1, v1, s24, v4
	v_add_nc_u32_e32 v5, v3, v5
	s_delay_alu instid0(VALU_DEP_1) | instskip(NEXT) | instid1(VALU_DEP_1)
	v_lshrrev_b32_e32 v5, s21, v5
	v_mul_hi_u32 v7, s23, v5
	v_mul_lo_u32 v9, v5, s19
	s_delay_alu instid0(VALU_DEP_1) | instskip(NEXT) | instid1(VALU_DEP_1)
	v_dual_add_nc_u32 v7, v5, v7 :: v_dual_sub_nc_u32 v3, v3, v9
	v_lshrrev_b32_e32 v7, s36, v7
	s_delay_alu instid0(VALU_DEP_1) | instskip(SKIP_1) | instid1(VALU_DEP_1)
	v_mul_hi_u32 v11, s38, v7
	v_mul_lo_u32 v4, v7, s22
	v_dual_add_nc_u32 v9, v7, v11 :: v_dual_sub_nc_u32 v4, v5, v4
	v_mad_u32 v11, v3, s27, v12
	v_mad_u32 v3, v3, s26, v1
	s_delay_alu instid0(VALU_DEP_3) | instskip(NEXT) | instid1(VALU_DEP_1)
	v_lshrrev_b32_e32 v1, s39, v9
	v_mul_lo_u32 v5, v1, s37
	s_delay_alu instid0(VALU_DEP_4) | instskip(NEXT) | instid1(VALU_DEP_4)
	v_mad_u32 v9, v4, s29, v11
	v_mad_u32 v3, v4, s28, v3
	s_delay_alu instid0(VALU_DEP_3) | instskip(NEXT) | instid1(VALU_DEP_1)
	v_sub_nc_u32_e32 v4, v7, v5
	v_mad_u32 v12, v4, s31, v9
	s_delay_alu instid0(VALU_DEP_3)
	v_mad_u32 v4, v4, s30, v3
	s_cbranch_scc1 .LBB127_1182
; %bb.1183:
	s_delay_alu instid0(VALU_DEP_2)
	v_mov_b32_e32 v5, v12
	s_and_b32 s6, s1, 3
	s_mov_b32 s1, 0
	s_cmp_eq_u32 s6, 0
	s_cbranch_scc0 .LBB127_1187
	s_branch .LBB127_1190
.LBB127_1184:
	s_mov_b32 s8, -1
                                        ; implicit-def: $vgpr12
                                        ; implicit-def: $vgpr4
	s_branch .LBB127_1190
.LBB127_1185:
	v_dual_mov_b32 v12, 0 :: v_dual_mov_b32 v4, 0
	s_branch .LBB127_1190
.LBB127_1186:
	v_mov_b64_e32 v[4:5], 0
	v_mov_b32_e32 v1, v2
	s_mov_b32 s0, 0
                                        ; implicit-def: $vgpr12
	s_and_b32 s6, s1, 3
	s_mov_b32 s1, 0
	s_cmp_eq_u32 s6, 0
	s_cbranch_scc1 .LBB127_1190
.LBB127_1187:
	s_lshl_b32 s4, s0, 3
	s_mov_b32 s5, s1
	s_mul_u64 s[10:11], s[0:1], 12
	s_add_nc_u64 s[4:5], s[2:3], s[4:5]
	s_delay_alu instid0(SALU_CYCLE_1)
	s_add_nc_u64 s[0:1], s[4:5], 0xc4
	s_add_nc_u64 s[4:5], s[2:3], s[10:11]
.LBB127_1188:                           ; =>This Inner Loop Header: Depth=1
	s_load_b96 s[16:18], s[4:5], 0x4
	s_load_b64 s[10:11], s[0:1], 0x0
	s_add_co_i32 s6, s6, -1
	s_wait_xcnt 0x0
	s_add_nc_u64 s[4:5], s[4:5], 12
	s_cmp_lg_u32 s6, 0
	s_add_nc_u64 s[0:1], s[0:1], 8
	s_wait_kmcnt 0x0
	v_mul_hi_u32 v3, s17, v1
	s_delay_alu instid0(VALU_DEP_1) | instskip(NEXT) | instid1(VALU_DEP_1)
	v_add_nc_u32_e32 v3, v1, v3
	v_lshrrev_b32_e32 v3, s18, v3
	s_delay_alu instid0(VALU_DEP_1) | instskip(NEXT) | instid1(VALU_DEP_1)
	v_mul_lo_u32 v7, v3, s16
	v_sub_nc_u32_e32 v1, v1, v7
	s_delay_alu instid0(VALU_DEP_1)
	v_mad_u32 v5, v1, s11, v5
	v_mad_u32 v4, v1, s10, v4
	v_mov_b32_e32 v1, v3
	s_cbranch_scc1 .LBB127_1188
; %bb.1189:
	s_delay_alu instid0(VALU_DEP_3)
	v_mov_b32_e32 v12, v5
.LBB127_1190:
	s_and_not1_b32 vcc_lo, exec_lo, s8
	s_cbranch_vccnz .LBB127_1193
; %bb.1191:
	s_clause 0x1
	s_load_b96 s[4:6], s[2:3], 0x4
	s_load_b64 s[0:1], s[2:3], 0xc4
	s_cmp_lt_u32 s33, 2
	s_wait_kmcnt 0x0
	v_mul_hi_u32 v1, s5, v2
	s_delay_alu instid0(VALU_DEP_1) | instskip(NEXT) | instid1(VALU_DEP_1)
	v_add_nc_u32_e32 v1, v2, v1
	v_lshrrev_b32_e32 v1, s6, v1
	s_delay_alu instid0(VALU_DEP_1) | instskip(NEXT) | instid1(VALU_DEP_1)
	v_mul_lo_u32 v3, v1, s4
	v_sub_nc_u32_e32 v2, v2, v3
	s_delay_alu instid0(VALU_DEP_1)
	v_mul_lo_u32 v12, v2, s1
	v_mul_lo_u32 v4, v2, s0
	s_cbranch_scc1 .LBB127_1193
; %bb.1192:
	s_clause 0x1
	s_load_b96 s[4:6], s[2:3], 0x10
	s_load_b64 s[0:1], s[2:3], 0xcc
	s_wait_kmcnt 0x0
	v_mul_hi_u32 v2, s5, v1
	s_delay_alu instid0(VALU_DEP_1) | instskip(NEXT) | instid1(VALU_DEP_1)
	v_add_nc_u32_e32 v2, v1, v2
	v_lshrrev_b32_e32 v2, s6, v2
	s_delay_alu instid0(VALU_DEP_1) | instskip(NEXT) | instid1(VALU_DEP_1)
	v_mul_lo_u32 v2, v2, s4
	v_sub_nc_u32_e32 v1, v1, v2
	s_delay_alu instid0(VALU_DEP_1)
	v_mad_u32 v4, v1, s0, v4
	v_mad_u32 v12, v1, s1, v12
.LBB127_1193:
	v_mov_b32_e32 v1, 0
	s_load_b128 s[4:7], s[2:3], 0x148
	global_load_u8 v2, v1, s[2:3] offset:385
	s_wait_kmcnt 0x0
	v_add_nc_u64_e32 v[18:19], s[6:7], v[0:1]
	s_wait_loadcnt 0x0
	v_and_b32_e32 v3, 0xffff, v2
	v_readfirstlane_b32 s15, v2
	s_delay_alu instid0(VALU_DEP_2)
	v_cmp_gt_i32_e32 vcc_lo, 11, v3
	s_cbranch_vccnz .LBB127_1200
; %bb.1194:
	s_and_b32 s0, 0xffff, s15
	s_mov_b32 s8, 0
	s_cmp_gt_i32 s0, 25
	s_cbranch_scc0 .LBB127_1202
; %bb.1195:
	s_cmp_gt_i32 s0, 28
	s_cbranch_scc0 .LBB127_1203
; %bb.1196:
	;; [unrolled: 3-line block ×4, first 2 shown]
	s_cmp_eq_u32 s0, 46
	s_mov_b32 s10, 0
	s_cbranch_scc0 .LBB127_1208
; %bb.1199:
	global_load_b32 v0, v[18:19], off
	s_mov_b32 s1, 0
	s_mov_b32 s9, -1
	s_wait_loadcnt 0x0
	s_wait_xcnt 0x1
	v_lshlrev_b32_e32 v1, 16, v0
	v_and_b32_e32 v2, 0xffff0000, v0
	s_delay_alu instid0(VALU_DEP_2) | instskip(NEXT) | instid1(VALU_DEP_2)
	v_cvt_f64_f32_e32 v[0:1], v1
	v_cvt_f64_f32_e32 v[2:3], v2
	s_branch .LBB127_1210
.LBB127_1200:
	s_mov_b32 s9, 0
	s_mov_b32 s1, s12
                                        ; implicit-def: $vgpr2_vgpr3
	s_cbranch_execnz .LBB127_1276
.LBB127_1201:
	s_and_not1_b32 vcc_lo, exec_lo, s9
	s_cbranch_vccz .LBB127_1323
	s_branch .LBB127_1743
.LBB127_1202:
	s_mov_b32 s9, 0
	s_mov_b32 s1, 0
                                        ; implicit-def: $vgpr2_vgpr3
	s_cbranch_execnz .LBB127_1240
	s_branch .LBB127_1272
.LBB127_1203:
	s_mov_b32 s9, 0
	s_mov_b32 s1, 0
                                        ; implicit-def: $vgpr2_vgpr3
	s_cbranch_execnz .LBB127_1222
	s_branch .LBB127_1239
.LBB127_1204:
	s_mov_b32 s10, -1
	s_mov_b32 s9, 0
	s_mov_b32 s1, 0
                                        ; implicit-def: $vgpr2_vgpr3
	s_branch .LBB127_1216
.LBB127_1205:
	s_mov_b32 s10, -1
	s_mov_b32 s9, 0
	s_mov_b32 s1, 0
	s_branch .LBB127_1209
.LBB127_1206:
	s_and_not1_saveexec_b32 s9, s9
	s_cbranch_execz .LBB127_1045
.LBB127_1207:
	v_add_f32_e32 v0, 0x46000000, v1
	s_and_not1_b32 s8, s8, exec_lo
	s_delay_alu instid0(VALU_DEP_1) | instskip(NEXT) | instid1(VALU_DEP_1)
	v_and_b32_e32 v0, 0xff, v0
	v_cmp_ne_u32_e32 vcc_lo, 0, v0
	s_and_b32 s10, vcc_lo, exec_lo
	s_delay_alu instid0(SALU_CYCLE_1)
	s_or_b32 s8, s8, s10
	s_or_b32 exec_lo, exec_lo, s9
	v_mov_b32_e32 v2, 0
	s_and_saveexec_b32 s9, s8
	s_cbranch_execnz .LBB127_1046
	s_branch .LBB127_1047
.LBB127_1208:
	s_mov_b32 s1, -1
	s_mov_b32 s9, 0
.LBB127_1209:
                                        ; implicit-def: $vgpr2_vgpr3
.LBB127_1210:
	s_and_b32 vcc_lo, exec_lo, s10
	s_cbranch_vccz .LBB127_1215
; %bb.1211:
	s_cmp_eq_u32 s0, 44
	s_cbranch_scc0 .LBB127_1213
; %bb.1212:
	global_load_u8 v2, v[18:19], off
	s_mov_b32 s1, 0
	s_mov_b32 s9, -1
	s_wait_loadcnt 0x0
	v_cmp_ne_u32_e32 vcc_lo, 0xff, v2
	v_lshlrev_b32_e32 v0, 23, v2
	s_wait_xcnt 0x1
	s_delay_alu instid0(VALU_DEP_1) | instskip(NEXT) | instid1(VALU_DEP_1)
	v_cvt_f64_f32_e32 v[0:1], v0
	v_cndmask_b32_e32 v0, 0x20000000, v0, vcc_lo
	s_delay_alu instid0(VALU_DEP_2) | instskip(SKIP_1) | instid1(VALU_DEP_2)
	v_cndmask_b32_e32 v1, 0x7ff80000, v1, vcc_lo
	v_cmp_ne_u32_e32 vcc_lo, 0, v2
	v_cndmask_b32_e32 v1, 0x38000000, v1, vcc_lo
	s_delay_alu instid0(VALU_DEP_4)
	v_cndmask_b32_e32 v0, 0, v0, vcc_lo
	s_branch .LBB127_1214
.LBB127_1213:
	s_mov_b32 s1, -1
                                        ; implicit-def: $vgpr0_vgpr1
.LBB127_1214:
	v_mov_b64_e32 v[2:3], 0
.LBB127_1215:
	s_mov_b32 s10, 0
.LBB127_1216:
	s_delay_alu instid0(SALU_CYCLE_1)
	s_and_b32 vcc_lo, exec_lo, s10
	s_cbranch_vccz .LBB127_1221
; %bb.1217:
	s_cmp_eq_u32 s0, 29
	s_cbranch_scc0 .LBB127_1219
; %bb.1218:
	global_load_b64 v[0:1], v[18:19], off
	s_mov_b32 s1, 0
	s_mov_b32 s9, -1
	s_wait_loadcnt 0x0
	v_cvt_f64_u32_e32 v[2:3], v1
	v_cvt_f64_u32_e32 v[0:1], v0
	s_delay_alu instid0(VALU_DEP_2) | instskip(NEXT) | instid1(VALU_DEP_1)
	v_ldexp_f64 v[2:3], v[2:3], 32
	v_add_f64_e32 v[0:1], v[2:3], v[0:1]
	s_branch .LBB127_1220
.LBB127_1219:
	s_mov_b32 s1, -1
                                        ; implicit-def: $vgpr0_vgpr1
.LBB127_1220:
	v_mov_b64_e32 v[2:3], 0
.LBB127_1221:
	s_branch .LBB127_1239
.LBB127_1222:
	s_cmp_lt_i32 s0, 27
	s_cbranch_scc1 .LBB127_1225
; %bb.1223:
	s_cmp_gt_i32 s0, 27
	s_cbranch_scc0 .LBB127_1226
; %bb.1224:
	global_load_b32 v0, v[18:19], off
	s_mov_b32 s9, 0
	s_wait_loadcnt 0x0
	s_wait_xcnt 0x1
	v_cvt_f64_u32_e32 v[0:1], v0
	s_branch .LBB127_1227
.LBB127_1225:
	s_mov_b32 s9, -1
                                        ; implicit-def: $vgpr0_vgpr1
	s_branch .LBB127_1230
.LBB127_1226:
	s_mov_b32 s9, -1
                                        ; implicit-def: $vgpr0_vgpr1
.LBB127_1227:
	s_delay_alu instid0(SALU_CYCLE_1)
	s_and_not1_b32 vcc_lo, exec_lo, s9
	s_cbranch_vccnz .LBB127_1229
; %bb.1228:
	global_load_u16 v0, v[18:19], off
	s_wait_loadcnt 0x0
	s_wait_xcnt 0x1
	v_cvt_f64_u32_e32 v[0:1], v0
.LBB127_1229:
	s_mov_b32 s9, 0
.LBB127_1230:
	s_delay_alu instid0(SALU_CYCLE_1)
	s_and_not1_b32 vcc_lo, exec_lo, s9
	s_cbranch_vccnz .LBB127_1238
; %bb.1231:
	global_load_u8 v2, v[18:19], off
	s_mov_b32 s9, 0
	s_mov_b32 s10, exec_lo
	s_wait_loadcnt 0x0
	v_cmpx_lt_i16_e32 0x7f, v2
	s_xor_b32 s10, exec_lo, s10
	s_cbranch_execz .LBB127_1251
; %bb.1232:
	s_mov_b32 s9, -1
	s_mov_b32 s11, exec_lo
	v_cmpx_eq_u16_e32 0x80, v2
; %bb.1233:
	s_xor_b32 s9, exec_lo, -1
; %bb.1234:
	s_or_b32 exec_lo, exec_lo, s11
	s_delay_alu instid0(SALU_CYCLE_1)
	s_and_b32 s9, s9, exec_lo
	s_or_saveexec_b32 s10, s10
	v_mov_b64_e32 v[0:1], 0x7ff8000020000000
	s_xor_b32 exec_lo, exec_lo, s10
	s_cbranch_execnz .LBB127_1252
.LBB127_1235:
	s_or_b32 exec_lo, exec_lo, s10
	s_and_saveexec_b32 s10, s9
	s_cbranch_execz .LBB127_1237
.LBB127_1236:
	v_and_b32_e32 v0, 0xffff, v2
	s_delay_alu instid0(VALU_DEP_1) | instskip(SKIP_1) | instid1(VALU_DEP_2)
	v_and_b32_e32 v1, 7, v0
	v_bfe_u32 v7, v0, 3, 4
	v_clz_i32_u32_e32 v3, v1
	s_delay_alu instid0(VALU_DEP_2) | instskip(NEXT) | instid1(VALU_DEP_2)
	v_cmp_eq_u32_e32 vcc_lo, 0, v7
	v_min_u32_e32 v3, 32, v3
	s_delay_alu instid0(VALU_DEP_1) | instskip(NEXT) | instid1(VALU_DEP_1)
	v_subrev_nc_u32_e32 v5, 28, v3
	v_dual_lshlrev_b32 v0, v5, v0 :: v_dual_sub_nc_u32 v3, 29, v3
	s_delay_alu instid0(VALU_DEP_1) | instskip(NEXT) | instid1(VALU_DEP_1)
	v_dual_lshlrev_b32 v2, 24, v2 :: v_dual_bitop2_b32 v0, 7, v0 bitop3:0x40
	v_dual_cndmask_b32 v3, v7, v3 :: v_dual_cndmask_b32 v0, v1, v0
	s_delay_alu instid0(VALU_DEP_2) | instskip(NEXT) | instid1(VALU_DEP_2)
	v_and_b32_e32 v1, 0x80000000, v2
	v_lshl_add_u32 v2, v3, 23, 0x3b800000
	s_delay_alu instid0(VALU_DEP_3) | instskip(NEXT) | instid1(VALU_DEP_1)
	v_lshlrev_b32_e32 v0, 20, v0
	v_or3_b32 v0, v1, v2, v0
	s_delay_alu instid0(VALU_DEP_1)
	v_cvt_f64_f32_e32 v[0:1], v0
.LBB127_1237:
	s_or_b32 exec_lo, exec_lo, s10
.LBB127_1238:
	v_mov_b64_e32 v[2:3], 0
	s_mov_b32 s9, -1
.LBB127_1239:
	s_branch .LBB127_1272
.LBB127_1240:
	s_cmp_gt_i32 s0, 22
	s_cbranch_scc0 .LBB127_1250
; %bb.1241:
	s_cmp_lt_i32 s0, 24
	s_cbranch_scc1 .LBB127_1253
; %bb.1242:
	s_cmp_gt_i32 s0, 24
	s_cbranch_scc0 .LBB127_1254
; %bb.1243:
	global_load_u8 v2, v[18:19], off
	s_mov_b32 s9, exec_lo
	s_wait_loadcnt 0x0
	v_cmpx_lt_i16_e32 0x7f, v2
	s_xor_b32 s9, exec_lo, s9
	s_cbranch_execz .LBB127_1265
; %bb.1244:
	s_mov_b32 s8, -1
	s_mov_b32 s10, exec_lo
	v_cmpx_eq_u16_e32 0x80, v2
; %bb.1245:
	s_xor_b32 s8, exec_lo, -1
; %bb.1246:
	s_or_b32 exec_lo, exec_lo, s10
	s_delay_alu instid0(SALU_CYCLE_1)
	s_and_b32 s8, s8, exec_lo
	s_or_saveexec_b32 s9, s9
	v_mov_b64_e32 v[0:1], 0x7ff8000020000000
	s_xor_b32 exec_lo, exec_lo, s9
	s_cbranch_execnz .LBB127_1266
.LBB127_1247:
	s_or_b32 exec_lo, exec_lo, s9
	s_and_saveexec_b32 s9, s8
	s_cbranch_execz .LBB127_1249
.LBB127_1248:
	v_and_b32_e32 v0, 0xffff, v2
	s_delay_alu instid0(VALU_DEP_1) | instskip(SKIP_1) | instid1(VALU_DEP_2)
	v_and_b32_e32 v1, 3, v0
	v_bfe_u32 v7, v0, 2, 5
	v_clz_i32_u32_e32 v3, v1
	s_delay_alu instid0(VALU_DEP_2) | instskip(NEXT) | instid1(VALU_DEP_2)
	v_cmp_eq_u32_e32 vcc_lo, 0, v7
	v_min_u32_e32 v3, 32, v3
	s_delay_alu instid0(VALU_DEP_1) | instskip(NEXT) | instid1(VALU_DEP_1)
	v_subrev_nc_u32_e32 v5, 29, v3
	v_dual_lshlrev_b32 v0, v5, v0 :: v_dual_sub_nc_u32 v3, 30, v3
	s_delay_alu instid0(VALU_DEP_1) | instskip(NEXT) | instid1(VALU_DEP_1)
	v_dual_lshlrev_b32 v2, 24, v2 :: v_dual_bitop2_b32 v0, 3, v0 bitop3:0x40
	v_dual_cndmask_b32 v3, v7, v3 :: v_dual_cndmask_b32 v0, v1, v0
	s_delay_alu instid0(VALU_DEP_2) | instskip(NEXT) | instid1(VALU_DEP_2)
	v_and_b32_e32 v1, 0x80000000, v2
	v_lshl_add_u32 v2, v3, 23, 0x37800000
	s_delay_alu instid0(VALU_DEP_3) | instskip(NEXT) | instid1(VALU_DEP_1)
	v_lshlrev_b32_e32 v0, 21, v0
	v_or3_b32 v0, v1, v2, v0
	s_delay_alu instid0(VALU_DEP_1)
	v_cvt_f64_f32_e32 v[0:1], v0
.LBB127_1249:
	s_or_b32 exec_lo, exec_lo, s9
	s_mov_b32 s8, 0
	s_branch .LBB127_1255
.LBB127_1250:
                                        ; implicit-def: $vgpr0_vgpr1
	s_mov_b32 s8, 0
	s_branch .LBB127_1261
.LBB127_1251:
	s_or_saveexec_b32 s10, s10
	v_mov_b64_e32 v[0:1], 0x7ff8000020000000
	s_xor_b32 exec_lo, exec_lo, s10
	s_cbranch_execz .LBB127_1235
.LBB127_1252:
	v_cmp_ne_u16_e32 vcc_lo, 0, v2
	v_mov_b64_e32 v[0:1], 0
	s_and_not1_b32 s9, s9, exec_lo
	s_and_b32 s11, vcc_lo, exec_lo
	s_delay_alu instid0(SALU_CYCLE_1)
	s_or_b32 s9, s9, s11
	s_or_b32 exec_lo, exec_lo, s10
	s_and_saveexec_b32 s10, s9
	s_cbranch_execnz .LBB127_1236
	s_branch .LBB127_1237
.LBB127_1253:
	s_mov_b32 s8, -1
                                        ; implicit-def: $vgpr0_vgpr1
	s_branch .LBB127_1258
.LBB127_1254:
	s_mov_b32 s8, -1
                                        ; implicit-def: $vgpr0_vgpr1
.LBB127_1255:
	s_delay_alu instid0(SALU_CYCLE_1)
	s_and_b32 vcc_lo, exec_lo, s8
	s_cbranch_vccz .LBB127_1257
; %bb.1256:
	global_load_u8 v0, v[18:19], off
	s_wait_loadcnt 0x0
	v_lshlrev_b32_e32 v0, 24, v0
	s_wait_xcnt 0x1
	s_delay_alu instid0(VALU_DEP_1) | instskip(NEXT) | instid1(VALU_DEP_1)
	v_and_b32_e32 v1, 0x7f000000, v0
	v_clz_i32_u32_e32 v2, v1
	v_add_nc_u32_e32 v5, 0x1000000, v1
	v_cmp_ne_u32_e32 vcc_lo, 0, v1
	s_delay_alu instid0(VALU_DEP_3) | instskip(NEXT) | instid1(VALU_DEP_1)
	v_min_u32_e32 v2, 32, v2
	v_sub_nc_u32_e64 v2, v2, 4 clamp
	s_delay_alu instid0(VALU_DEP_1) | instskip(NEXT) | instid1(VALU_DEP_1)
	v_dual_lshlrev_b32 v3, v2, v1 :: v_dual_lshlrev_b32 v2, 23, v2
	v_lshrrev_b32_e32 v3, 4, v3
	s_delay_alu instid0(VALU_DEP_1) | instskip(NEXT) | instid1(VALU_DEP_1)
	v_dual_sub_nc_u32 v2, v3, v2 :: v_dual_ashrrev_i32 v3, 8, v5
	v_add_nc_u32_e32 v2, 0x3c000000, v2
	s_delay_alu instid0(VALU_DEP_1) | instskip(NEXT) | instid1(VALU_DEP_1)
	v_and_or_b32 v2, 0x7f800000, v3, v2
	v_cndmask_b32_e32 v1, 0, v2, vcc_lo
	s_delay_alu instid0(VALU_DEP_1) | instskip(NEXT) | instid1(VALU_DEP_1)
	v_and_or_b32 v0, 0x80000000, v0, v1
	v_cvt_f64_f32_e32 v[0:1], v0
.LBB127_1257:
	s_mov_b32 s8, 0
.LBB127_1258:
	s_delay_alu instid0(SALU_CYCLE_1)
	s_and_not1_b32 vcc_lo, exec_lo, s8
	s_cbranch_vccnz .LBB127_1260
; %bb.1259:
	global_load_u8 v0, v[18:19], off
	s_wait_loadcnt 0x0
	s_wait_xcnt 0x1
	v_lshlrev_b32_e32 v1, 25, v0
	v_lshlrev_b16 v0, 8, v0
	s_delay_alu instid0(VALU_DEP_1) | instskip(SKIP_1) | instid1(VALU_DEP_2)
	v_and_or_b32 v3, 0x7f00, v0, 0.5
	v_bfe_i32 v0, v0, 0, 16
	v_dual_add_f32 v3, -0.5, v3 :: v_dual_lshrrev_b32 v2, 4, v1
	v_cmp_gt_u32_e32 vcc_lo, 0x8000000, v1
	s_delay_alu instid0(VALU_DEP_2) | instskip(NEXT) | instid1(VALU_DEP_1)
	v_or_b32_e32 v2, 0x70000000, v2
	v_mul_f32_e32 v2, 0x7800000, v2
	s_delay_alu instid0(VALU_DEP_1) | instskip(NEXT) | instid1(VALU_DEP_1)
	v_cndmask_b32_e32 v1, v2, v3, vcc_lo
	v_and_or_b32 v0, 0x80000000, v0, v1
	s_delay_alu instid0(VALU_DEP_1)
	v_cvt_f64_f32_e32 v[0:1], v0
.LBB127_1260:
	s_mov_b32 s9, -1
	s_mov_b32 s8, 0
	s_cbranch_execnz .LBB127_1271
.LBB127_1261:
	s_cmp_gt_i32 s0, 14
	s_cbranch_scc0 .LBB127_1264
; %bb.1262:
	s_cmp_eq_u32 s0, 15
	s_cbranch_scc0 .LBB127_1267
; %bb.1263:
	global_load_u16 v0, v[18:19], off
	s_mov_b32 s1, 0
	s_mov_b32 s9, -1
	s_wait_loadcnt 0x0
	v_lshlrev_b32_e32 v0, 16, v0
	s_wait_xcnt 0x1
	s_delay_alu instid0(VALU_DEP_1)
	v_cvt_f64_f32_e32 v[0:1], v0
	s_branch .LBB127_1269
.LBB127_1264:
	s_mov_b32 s8, -1
	s_branch .LBB127_1268
.LBB127_1265:
	s_or_saveexec_b32 s9, s9
	v_mov_b64_e32 v[0:1], 0x7ff8000020000000
	s_xor_b32 exec_lo, exec_lo, s9
	s_cbranch_execz .LBB127_1247
.LBB127_1266:
	v_cmp_ne_u16_e32 vcc_lo, 0, v2
	v_mov_b64_e32 v[0:1], 0
	s_and_not1_b32 s8, s8, exec_lo
	s_and_b32 s10, vcc_lo, exec_lo
	s_delay_alu instid0(SALU_CYCLE_1)
	s_or_b32 s8, s8, s10
	s_or_b32 exec_lo, exec_lo, s9
	s_and_saveexec_b32 s9, s8
	s_cbranch_execnz .LBB127_1248
	s_branch .LBB127_1249
.LBB127_1267:
	s_mov_b32 s1, -1
.LBB127_1268:
                                        ; implicit-def: $vgpr0_vgpr1
.LBB127_1269:
	s_and_b32 vcc_lo, exec_lo, s8
	s_mov_b32 s8, 0
	s_cbranch_vccz .LBB127_1271
; %bb.1270:
	s_cmp_lg_u32 s0, 11
	s_mov_b32 s8, -1
	s_cselect_b32 s1, -1, 0
.LBB127_1271:
	v_mov_b64_e32 v[2:3], 0
.LBB127_1272:
	s_and_b32 vcc_lo, exec_lo, s1
	s_mov_b32 s1, s12
	s_cbranch_vccnz .LBB127_1339
; %bb.1273:
	s_and_not1_b32 vcc_lo, exec_lo, s8
	s_cbranch_vccnz .LBB127_1275
.LBB127_1274:
	global_load_u8 v0, v[18:19], off
	v_mov_b64_e32 v[2:3], 0
	s_mov_b32 s9, -1
	s_wait_loadcnt 0x0
	v_cmp_ne_u16_e32 vcc_lo, 0, v0
	v_mov_b32_e32 v0, 0
	s_wait_xcnt 0x1
	v_cndmask_b32_e64 v1, 0, 0x3ff00000, vcc_lo
.LBB127_1275:
	s_branch .LBB127_1201
.LBB127_1276:
	s_and_b32 s0, 0xffff, s15
	s_delay_alu instid0(SALU_CYCLE_1)
	s_cmp_lt_i32 s0, 5
	s_cbranch_scc1 .LBB127_1281
; %bb.1277:
	s_cmp_lt_i32 s0, 8
	s_cbranch_scc1 .LBB127_1283
; %bb.1278:
	;; [unrolled: 3-line block ×3, first 2 shown]
	s_cmp_gt_i32 s0, 9
	s_cbranch_scc0 .LBB127_1285
; %bb.1280:
	global_load_b128 v[0:3], v[18:19], off
	s_mov_b32 s8, 0
	s_branch .LBB127_1286
.LBB127_1281:
                                        ; implicit-def: $vgpr2_vgpr3
	s_branch .LBB127_1304
.LBB127_1282:
	s_branch .LBB127_1323
.LBB127_1283:
                                        ; implicit-def: $vgpr2_vgpr3
	s_branch .LBB127_1292
.LBB127_1284:
	s_mov_b32 s8, -1
                                        ; implicit-def: $vgpr2_vgpr3
	s_branch .LBB127_1289
.LBB127_1285:
	s_mov_b32 s8, -1
                                        ; implicit-def: $vgpr2_vgpr3
.LBB127_1286:
	s_delay_alu instid0(SALU_CYCLE_1)
	s_and_not1_b32 vcc_lo, exec_lo, s8
	s_cbranch_vccnz .LBB127_1288
; %bb.1287:
	s_wait_loadcnt 0x0
	global_load_b64 v[2:3], v[18:19], off
	s_wait_loadcnt 0x0
	s_wait_xcnt 0x1
	v_cvt_f64_f32_e32 v[0:1], v2
	v_cvt_f64_f32_e32 v[2:3], v3
.LBB127_1288:
	s_mov_b32 s8, 0
.LBB127_1289:
	s_delay_alu instid0(SALU_CYCLE_1)
	s_and_not1_b32 vcc_lo, exec_lo, s8
	s_cbranch_vccnz .LBB127_1291
; %bb.1290:
	s_wait_loadcnt 0x0
	global_load_b32 v0, v[18:19], off
	s_wait_loadcnt 0x0
	s_wait_xcnt 0x1
	v_lshrrev_b32_e32 v1, 16, v0
	v_cvt_f32_f16_e32 v0, v0
	s_delay_alu instid0(VALU_DEP_2) | instskip(NEXT) | instid1(VALU_DEP_2)
	v_cvt_f32_f16_e32 v2, v1
	v_cvt_f64_f32_e32 v[0:1], v0
	s_delay_alu instid0(VALU_DEP_2)
	v_cvt_f64_f32_e32 v[2:3], v2
.LBB127_1291:
	s_cbranch_execnz .LBB127_1303
.LBB127_1292:
	s_cmp_lt_i32 s0, 6
	s_cbranch_scc1 .LBB127_1295
; %bb.1293:
	s_cmp_gt_i32 s0, 6
	s_cbranch_scc0 .LBB127_1296
; %bb.1294:
	s_wait_loadcnt 0x0
	global_load_b64 v[0:1], v[18:19], off
	s_mov_b32 s8, 0
	s_branch .LBB127_1297
.LBB127_1295:
	s_mov_b32 s8, -1
                                        ; implicit-def: $vgpr0_vgpr1
	s_branch .LBB127_1300
.LBB127_1296:
	s_mov_b32 s8, -1
                                        ; implicit-def: $vgpr0_vgpr1
.LBB127_1297:
	s_delay_alu instid0(SALU_CYCLE_1)
	s_and_not1_b32 vcc_lo, exec_lo, s8
	s_cbranch_vccnz .LBB127_1299
; %bb.1298:
	s_wait_loadcnt 0x0
	global_load_b32 v0, v[18:19], off
	s_wait_loadcnt 0x0
	s_wait_xcnt 0x1
	v_cvt_f64_f32_e32 v[0:1], v0
.LBB127_1299:
	s_mov_b32 s8, 0
.LBB127_1300:
	s_delay_alu instid0(SALU_CYCLE_1)
	s_and_not1_b32 vcc_lo, exec_lo, s8
	s_cbranch_vccnz .LBB127_1302
; %bb.1301:
	s_wait_loadcnt 0x0
	global_load_u16 v0, v[18:19], off
	s_wait_loadcnt 0x0
	v_cvt_f32_f16_e32 v0, v0
	s_wait_xcnt 0x1
	s_delay_alu instid0(VALU_DEP_1)
	v_cvt_f64_f32_e32 v[0:1], v0
.LBB127_1302:
	s_wait_loadcnt 0x0
	v_mov_b64_e32 v[2:3], 0
.LBB127_1303:
	s_cbranch_execnz .LBB127_1282
.LBB127_1304:
	s_cmp_lt_i32 s0, 2
	s_cbranch_scc1 .LBB127_1308
; %bb.1305:
	s_cmp_lt_i32 s0, 3
	s_cbranch_scc1 .LBB127_1309
; %bb.1306:
	s_cmp_gt_i32 s0, 3
	s_cbranch_scc0 .LBB127_1310
; %bb.1307:
	s_wait_loadcnt 0x0
	global_load_b64 v[0:1], v[18:19], off
	s_mov_b32 s8, 0
	s_wait_loadcnt 0x0
	v_cvt_f64_i32_e32 v[2:3], v1
	v_cvt_f64_u32_e32 v[0:1], v0
	s_delay_alu instid0(VALU_DEP_2) | instskip(NEXT) | instid1(VALU_DEP_1)
	v_ldexp_f64 v[2:3], v[2:3], 32
	v_add_f64_e32 v[0:1], v[2:3], v[0:1]
	s_branch .LBB127_1311
.LBB127_1308:
                                        ; implicit-def: $vgpr0_vgpr1
	s_branch .LBB127_1317
.LBB127_1309:
	s_mov_b32 s8, -1
                                        ; implicit-def: $vgpr0_vgpr1
	s_branch .LBB127_1314
.LBB127_1310:
	s_mov_b32 s8, -1
                                        ; implicit-def: $vgpr0_vgpr1
.LBB127_1311:
	s_delay_alu instid0(SALU_CYCLE_1)
	s_and_not1_b32 vcc_lo, exec_lo, s8
	s_cbranch_vccnz .LBB127_1313
; %bb.1312:
	s_wait_loadcnt 0x0
	global_load_b32 v0, v[18:19], off
	s_wait_loadcnt 0x0
	s_wait_xcnt 0x1
	v_cvt_f64_i32_e32 v[0:1], v0
.LBB127_1313:
	s_mov_b32 s8, 0
.LBB127_1314:
	s_delay_alu instid0(SALU_CYCLE_1)
	s_and_not1_b32 vcc_lo, exec_lo, s8
	s_cbranch_vccnz .LBB127_1316
; %bb.1315:
	s_wait_loadcnt 0x0
	global_load_i16 v0, v[18:19], off
	s_wait_loadcnt 0x0
	s_wait_xcnt 0x1
	v_cvt_f64_i32_e32 v[0:1], v0
.LBB127_1316:
	s_cbranch_execnz .LBB127_1322
.LBB127_1317:
	s_cmp_gt_i32 s0, 0
	s_mov_b32 s0, 0
	s_cbranch_scc0 .LBB127_1319
; %bb.1318:
	s_wait_loadcnt 0x0
	global_load_i8 v0, v[18:19], off
	s_wait_loadcnt 0x0
	s_wait_xcnt 0x1
	v_cvt_f64_i32_e32 v[0:1], v0
	s_branch .LBB127_1320
.LBB127_1319:
	s_mov_b32 s0, -1
                                        ; implicit-def: $vgpr0_vgpr1
.LBB127_1320:
	s_delay_alu instid0(SALU_CYCLE_1)
	s_and_not1_b32 vcc_lo, exec_lo, s0
	s_cbranch_vccnz .LBB127_1322
; %bb.1321:
	s_wait_loadcnt 0x0
	global_load_u8 v0, v[18:19], off
	s_wait_loadcnt 0x0
	s_wait_xcnt 0x1
	v_cvt_f64_u32_e32 v[0:1], v0
.LBB127_1322:
	s_wait_loadcnt 0x0
	v_mov_b64_e32 v[2:3], 0
.LBB127_1323:
	s_clause 0x1
	s_load_b32 s0, s[2:3], 0x160
	s_load_b128 s[8:11], s[2:3], 0x170
	s_mov_b32 s16, 0
	s_wait_kmcnt 0x0
	s_cmp_lg_u32 s0, 0
	s_cselect_b32 s17, -1, 0
	s_delay_alu instid0(SALU_CYCLE_1)
	s_and_b32 vcc_lo, exec_lo, s17
	s_cbranch_vccz .LBB127_1335
; %bb.1324:
	s_wait_loadcnt 0x0
	s_delay_alu instid0(VALU_DEP_1) | instskip(NEXT) | instid1(VALU_DEP_2)
	v_cmp_neq_f64_e32 vcc_lo, s[8:9], v[0:1]
	v_cmp_neq_f64_e64 s0, s[10:11], v[2:3]
	s_or_b32 s14, vcc_lo, s0
	s_and_not1_b32 vcc_lo, exec_lo, s16
	s_cbranch_vccnz .LBB127_1326
.LBB127_1325:
	s_wait_loadcnt 0x0
	s_delay_alu instid0(VALU_DEP_1) | instskip(NEXT) | instid1(VALU_DEP_2)
	v_cmp_eq_f64_e32 vcc_lo, s[8:9], v[0:1]
	v_cmp_eq_f64_e64 s0, s[10:11], v[2:3]
	s_and_not1_b32 s14, s14, exec_lo
	s_and_b32 s0, vcc_lo, s0
	s_delay_alu instid0(SALU_CYCLE_1) | instskip(NEXT) | instid1(SALU_CYCLE_1)
	s_and_b32 s0, s0, exec_lo
	s_or_b32 s14, s14, s0
.LBB127_1326:
	v_mov_b32_e32 v17, 0
	s_and_b32 s18, 0xffff, s15
	s_delay_alu instid0(SALU_CYCLE_1) | instskip(NEXT) | instid1(VALU_DEP_1)
	s_cmp_lt_i32 s18, 11
	v_add_nc_u64_e32 v[16:17], s[6:7], v[16:17]
	s_cbranch_scc1 .LBB127_1333
; %bb.1327:
	s_cmp_gt_i32 s18, 25
	s_mov_b32 s15, 0
	s_cbranch_scc0 .LBB127_1336
; %bb.1328:
	s_cmp_gt_i32 s18, 28
	s_cbranch_scc0 .LBB127_1337
; %bb.1329:
	s_cmp_gt_i32 s18, 43
	;; [unrolled: 3-line block ×3, first 2 shown]
	s_cbranch_scc0 .LBB127_1340
; %bb.1331:
	s_cmp_eq_u32 s18, 46
	s_mov_b32 s19, 0
	s_cbranch_scc0 .LBB127_1343
; %bb.1332:
	s_wait_loadcnt 0x0
	global_load_b32 v0, v[16:17], off
	s_mov_b32 s0, 0
	s_mov_b32 s16, -1
	s_wait_loadcnt 0x0
	v_lshlrev_b32_e32 v1, 16, v0
	v_and_b32_e32 v2, 0xffff0000, v0
	s_delay_alu instid0(VALU_DEP_2) | instskip(NEXT) | instid1(VALU_DEP_2)
	v_cvt_f64_f32_e32 v[0:1], v1
	v_cvt_f64_f32_e32 v[2:3], v2
	s_branch .LBB127_1345
.LBB127_1333:
	s_mov_b32 s16, 0
                                        ; implicit-def: $vgpr2_vgpr3
	s_cbranch_execnz .LBB127_1413
.LBB127_1334:
	s_and_not1_b32 vcc_lo, exec_lo, s16
	s_cbranch_vccnz .LBB127_1743
	s_branch .LBB127_1462
.LBB127_1335:
                                        ; implicit-def: $sgpr14
	s_branch .LBB127_1325
.LBB127_1336:
	s_mov_b32 s16, 0
	s_mov_b32 s0, 0
                                        ; implicit-def: $vgpr2_vgpr3
	s_cbranch_execnz .LBB127_1376
	s_branch .LBB127_1409
.LBB127_1337:
	s_mov_b32 s19, -1
	s_mov_b32 s16, 0
	s_mov_b32 s0, 0
                                        ; implicit-def: $vgpr2_vgpr3
	s_branch .LBB127_1357
.LBB127_1338:
	s_mov_b32 s19, -1
	s_mov_b32 s16, 0
	s_mov_b32 s0, 0
                                        ; implicit-def: $vgpr2_vgpr3
	s_branch .LBB127_1351
.LBB127_1339:
	s_or_b32 s1, s12, exec_lo
	s_trap 2
	s_cbranch_execz .LBB127_1274
	s_branch .LBB127_1275
.LBB127_1340:
	s_mov_b32 s19, -1
	s_mov_b32 s16, 0
	s_mov_b32 s0, 0
	s_branch .LBB127_1344
.LBB127_1341:
	s_and_not1_saveexec_b32 s10, s10
	s_cbranch_execz .LBB127_1057
.LBB127_1342:
	v_add_f32_e32 v0, 0x42800000, v1
	s_and_not1_b32 s9, s9, exec_lo
	s_delay_alu instid0(VALU_DEP_1) | instskip(NEXT) | instid1(VALU_DEP_1)
	v_and_b32_e32 v0, 0xff, v0
	v_cmp_ne_u32_e32 vcc_lo, 0, v0
	s_and_b32 s11, vcc_lo, exec_lo
	s_delay_alu instid0(SALU_CYCLE_1)
	s_or_b32 s9, s9, s11
	s_or_b32 exec_lo, exec_lo, s10
	v_mov_b32_e32 v2, 0
	s_and_saveexec_b32 s10, s9
	s_cbranch_execnz .LBB127_1058
	s_branch .LBB127_1059
.LBB127_1343:
	s_mov_b32 s0, -1
	s_mov_b32 s16, 0
.LBB127_1344:
                                        ; implicit-def: $vgpr2_vgpr3
.LBB127_1345:
	s_and_b32 vcc_lo, exec_lo, s19
	s_cbranch_vccz .LBB127_1350
; %bb.1346:
	s_cmp_eq_u32 s18, 44
	s_cbranch_scc0 .LBB127_1348
; %bb.1347:
	s_wait_loadcnt 0x0
	global_load_u8 v2, v[16:17], off
	s_mov_b32 s0, 0
	s_mov_b32 s16, -1
	s_wait_loadcnt 0x0
	v_cmp_ne_u32_e32 vcc_lo, 0xff, v2
	v_lshlrev_b32_e32 v0, 23, v2
	s_delay_alu instid0(VALU_DEP_1) | instskip(NEXT) | instid1(VALU_DEP_1)
	v_cvt_f64_f32_e32 v[0:1], v0
	v_cndmask_b32_e32 v0, 0x20000000, v0, vcc_lo
	s_delay_alu instid0(VALU_DEP_2) | instskip(SKIP_1) | instid1(VALU_DEP_2)
	v_cndmask_b32_e32 v1, 0x7ff80000, v1, vcc_lo
	v_cmp_ne_u32_e32 vcc_lo, 0, v2
	v_cndmask_b32_e32 v1, 0x38000000, v1, vcc_lo
	s_delay_alu instid0(VALU_DEP_4)
	v_cndmask_b32_e32 v0, 0, v0, vcc_lo
	s_branch .LBB127_1349
.LBB127_1348:
	s_mov_b32 s0, -1
                                        ; implicit-def: $vgpr0_vgpr1
.LBB127_1349:
	s_wait_loadcnt 0x0
	v_mov_b64_e32 v[2:3], 0
.LBB127_1350:
	s_mov_b32 s19, 0
.LBB127_1351:
	s_delay_alu instid0(SALU_CYCLE_1)
	s_and_b32 vcc_lo, exec_lo, s19
	s_cbranch_vccz .LBB127_1356
; %bb.1352:
	s_cmp_eq_u32 s18, 29
	s_cbranch_scc0 .LBB127_1354
; %bb.1353:
	s_wait_loadcnt 0x0
	global_load_b64 v[0:1], v[16:17], off
	s_mov_b32 s0, 0
	s_mov_b32 s16, -1
	s_wait_loadcnt 0x0
	v_cvt_f64_u32_e32 v[2:3], v1
	v_cvt_f64_u32_e32 v[0:1], v0
	s_delay_alu instid0(VALU_DEP_2) | instskip(NEXT) | instid1(VALU_DEP_1)
	v_ldexp_f64 v[2:3], v[2:3], 32
	v_add_f64_e32 v[0:1], v[2:3], v[0:1]
	s_branch .LBB127_1355
.LBB127_1354:
	s_mov_b32 s0, -1
                                        ; implicit-def: $vgpr0_vgpr1
.LBB127_1355:
	s_wait_loadcnt 0x0
	v_mov_b64_e32 v[2:3], 0
.LBB127_1356:
	s_mov_b32 s19, 0
.LBB127_1357:
	s_delay_alu instid0(SALU_CYCLE_1)
	s_and_b32 vcc_lo, exec_lo, s19
	s_cbranch_vccz .LBB127_1375
; %bb.1358:
	s_cmp_lt_i32 s18, 27
	s_cbranch_scc1 .LBB127_1361
; %bb.1359:
	s_cmp_gt_i32 s18, 27
	s_cbranch_scc0 .LBB127_1362
; %bb.1360:
	s_wait_loadcnt 0x0
	global_load_b32 v0, v[16:17], off
	s_mov_b32 s16, 0
	s_wait_loadcnt 0x0
	v_cvt_f64_u32_e32 v[0:1], v0
	s_branch .LBB127_1363
.LBB127_1361:
	s_mov_b32 s16, -1
                                        ; implicit-def: $vgpr0_vgpr1
	s_branch .LBB127_1366
.LBB127_1362:
	s_mov_b32 s16, -1
                                        ; implicit-def: $vgpr0_vgpr1
.LBB127_1363:
	s_delay_alu instid0(SALU_CYCLE_1)
	s_and_not1_b32 vcc_lo, exec_lo, s16
	s_cbranch_vccnz .LBB127_1365
; %bb.1364:
	s_wait_loadcnt 0x0
	global_load_u16 v0, v[16:17], off
	s_wait_loadcnt 0x0
	v_cvt_f64_u32_e32 v[0:1], v0
.LBB127_1365:
	s_mov_b32 s16, 0
.LBB127_1366:
	s_delay_alu instid0(SALU_CYCLE_1)
	s_and_not1_b32 vcc_lo, exec_lo, s16
	s_cbranch_vccnz .LBB127_1374
; %bb.1367:
	s_wait_loadcnt 0x0
	global_load_u8 v2, v[16:17], off
	s_mov_b32 s16, 0
	s_mov_b32 s19, exec_lo
	s_wait_loadcnt 0x0
	v_cmpx_lt_i16_e32 0x7f, v2
	s_xor_b32 s19, exec_lo, s19
	s_cbranch_execz .LBB127_1387
; %bb.1368:
	s_mov_b32 s16, -1
	s_mov_b32 s20, exec_lo
	v_cmpx_eq_u16_e32 0x80, v2
; %bb.1369:
	s_xor_b32 s16, exec_lo, -1
; %bb.1370:
	s_or_b32 exec_lo, exec_lo, s20
	s_delay_alu instid0(SALU_CYCLE_1)
	s_and_b32 s16, s16, exec_lo
	s_or_saveexec_b32 s19, s19
	v_mov_b64_e32 v[0:1], 0x7ff8000020000000
	s_xor_b32 exec_lo, exec_lo, s19
	s_cbranch_execnz .LBB127_1388
.LBB127_1371:
	s_or_b32 exec_lo, exec_lo, s19
	s_and_saveexec_b32 s19, s16
	s_cbranch_execz .LBB127_1373
.LBB127_1372:
	v_and_b32_e32 v0, 0xffff, v2
	s_delay_alu instid0(VALU_DEP_1) | instskip(SKIP_1) | instid1(VALU_DEP_2)
	v_and_b32_e32 v1, 7, v0
	v_bfe_u32 v7, v0, 3, 4
	v_clz_i32_u32_e32 v3, v1
	s_delay_alu instid0(VALU_DEP_2) | instskip(NEXT) | instid1(VALU_DEP_2)
	v_cmp_eq_u32_e32 vcc_lo, 0, v7
	v_min_u32_e32 v3, 32, v3
	s_delay_alu instid0(VALU_DEP_1) | instskip(NEXT) | instid1(VALU_DEP_1)
	v_subrev_nc_u32_e32 v5, 28, v3
	v_dual_lshlrev_b32 v0, v5, v0 :: v_dual_sub_nc_u32 v3, 29, v3
	s_delay_alu instid0(VALU_DEP_1) | instskip(NEXT) | instid1(VALU_DEP_1)
	v_dual_lshlrev_b32 v2, 24, v2 :: v_dual_bitop2_b32 v0, 7, v0 bitop3:0x40
	v_dual_cndmask_b32 v3, v7, v3 :: v_dual_cndmask_b32 v0, v1, v0
	s_delay_alu instid0(VALU_DEP_2) | instskip(NEXT) | instid1(VALU_DEP_2)
	v_and_b32_e32 v1, 0x80000000, v2
	v_lshl_add_u32 v2, v3, 23, 0x3b800000
	s_delay_alu instid0(VALU_DEP_3) | instskip(NEXT) | instid1(VALU_DEP_1)
	v_lshlrev_b32_e32 v0, 20, v0
	v_or3_b32 v0, v1, v2, v0
	s_delay_alu instid0(VALU_DEP_1)
	v_cvt_f64_f32_e32 v[0:1], v0
.LBB127_1373:
	s_or_b32 exec_lo, exec_lo, s19
.LBB127_1374:
	s_wait_loadcnt 0x0
	v_mov_b64_e32 v[2:3], 0
	s_mov_b32 s16, -1
.LBB127_1375:
	s_branch .LBB127_1409
.LBB127_1376:
	s_cmp_gt_i32 s18, 22
	s_cbranch_scc0 .LBB127_1386
; %bb.1377:
	s_cmp_lt_i32 s18, 24
	s_cbranch_scc1 .LBB127_1389
; %bb.1378:
	s_cmp_gt_i32 s18, 24
	s_cbranch_scc0 .LBB127_1390
; %bb.1379:
	s_wait_loadcnt 0x0
	global_load_u8 v2, v[16:17], off
	s_mov_b32 s16, exec_lo
	s_wait_loadcnt 0x0
	v_cmpx_lt_i16_e32 0x7f, v2
	s_xor_b32 s16, exec_lo, s16
	s_cbranch_execz .LBB127_1402
; %bb.1380:
	s_mov_b32 s15, -1
	s_mov_b32 s19, exec_lo
	v_cmpx_eq_u16_e32 0x80, v2
; %bb.1381:
	s_xor_b32 s15, exec_lo, -1
; %bb.1382:
	s_or_b32 exec_lo, exec_lo, s19
	s_delay_alu instid0(SALU_CYCLE_1)
	s_and_b32 s15, s15, exec_lo
	s_or_saveexec_b32 s16, s16
	v_mov_b64_e32 v[0:1], 0x7ff8000020000000
	s_xor_b32 exec_lo, exec_lo, s16
	s_cbranch_execnz .LBB127_1403
.LBB127_1383:
	s_or_b32 exec_lo, exec_lo, s16
	s_and_saveexec_b32 s16, s15
	s_cbranch_execz .LBB127_1385
.LBB127_1384:
	v_and_b32_e32 v0, 0xffff, v2
	s_delay_alu instid0(VALU_DEP_1) | instskip(SKIP_1) | instid1(VALU_DEP_2)
	v_and_b32_e32 v1, 3, v0
	v_bfe_u32 v7, v0, 2, 5
	v_clz_i32_u32_e32 v3, v1
	s_delay_alu instid0(VALU_DEP_2) | instskip(NEXT) | instid1(VALU_DEP_2)
	v_cmp_eq_u32_e32 vcc_lo, 0, v7
	v_min_u32_e32 v3, 32, v3
	s_delay_alu instid0(VALU_DEP_1) | instskip(NEXT) | instid1(VALU_DEP_1)
	v_subrev_nc_u32_e32 v5, 29, v3
	v_dual_lshlrev_b32 v0, v5, v0 :: v_dual_sub_nc_u32 v3, 30, v3
	s_delay_alu instid0(VALU_DEP_1) | instskip(NEXT) | instid1(VALU_DEP_1)
	v_dual_lshlrev_b32 v2, 24, v2 :: v_dual_bitop2_b32 v0, 3, v0 bitop3:0x40
	v_dual_cndmask_b32 v3, v7, v3 :: v_dual_cndmask_b32 v0, v1, v0
	s_delay_alu instid0(VALU_DEP_2) | instskip(NEXT) | instid1(VALU_DEP_2)
	v_and_b32_e32 v1, 0x80000000, v2
	v_lshl_add_u32 v2, v3, 23, 0x37800000
	s_delay_alu instid0(VALU_DEP_3) | instskip(NEXT) | instid1(VALU_DEP_1)
	v_lshlrev_b32_e32 v0, 21, v0
	v_or3_b32 v0, v1, v2, v0
	s_delay_alu instid0(VALU_DEP_1)
	v_cvt_f64_f32_e32 v[0:1], v0
.LBB127_1385:
	s_or_b32 exec_lo, exec_lo, s16
	s_mov_b32 s15, 0
	s_branch .LBB127_1391
.LBB127_1386:
	s_mov_b32 s15, -1
                                        ; implicit-def: $vgpr0_vgpr1
	s_branch .LBB127_1397
.LBB127_1387:
	s_or_saveexec_b32 s19, s19
	v_mov_b64_e32 v[0:1], 0x7ff8000020000000
	s_xor_b32 exec_lo, exec_lo, s19
	s_cbranch_execz .LBB127_1371
.LBB127_1388:
	v_cmp_ne_u16_e32 vcc_lo, 0, v2
	v_mov_b64_e32 v[0:1], 0
	s_and_not1_b32 s16, s16, exec_lo
	s_and_b32 s20, vcc_lo, exec_lo
	s_delay_alu instid0(SALU_CYCLE_1)
	s_or_b32 s16, s16, s20
	s_or_b32 exec_lo, exec_lo, s19
	s_and_saveexec_b32 s19, s16
	s_cbranch_execnz .LBB127_1372
	s_branch .LBB127_1373
.LBB127_1389:
	s_mov_b32 s15, -1
                                        ; implicit-def: $vgpr0_vgpr1
	s_branch .LBB127_1394
.LBB127_1390:
	s_mov_b32 s15, -1
                                        ; implicit-def: $vgpr0_vgpr1
.LBB127_1391:
	s_delay_alu instid0(SALU_CYCLE_1)
	s_and_b32 vcc_lo, exec_lo, s15
	s_cbranch_vccz .LBB127_1393
; %bb.1392:
	s_wait_loadcnt 0x0
	global_load_u8 v0, v[16:17], off
	s_wait_loadcnt 0x0
	v_lshlrev_b32_e32 v0, 24, v0
	s_delay_alu instid0(VALU_DEP_1) | instskip(NEXT) | instid1(VALU_DEP_1)
	v_and_b32_e32 v1, 0x7f000000, v0
	v_clz_i32_u32_e32 v2, v1
	v_add_nc_u32_e32 v5, 0x1000000, v1
	v_cmp_ne_u32_e32 vcc_lo, 0, v1
	s_delay_alu instid0(VALU_DEP_3) | instskip(NEXT) | instid1(VALU_DEP_1)
	v_min_u32_e32 v2, 32, v2
	v_sub_nc_u32_e64 v2, v2, 4 clamp
	s_delay_alu instid0(VALU_DEP_1) | instskip(NEXT) | instid1(VALU_DEP_1)
	v_dual_lshlrev_b32 v3, v2, v1 :: v_dual_lshlrev_b32 v2, 23, v2
	v_lshrrev_b32_e32 v3, 4, v3
	s_delay_alu instid0(VALU_DEP_1) | instskip(NEXT) | instid1(VALU_DEP_1)
	v_dual_sub_nc_u32 v2, v3, v2 :: v_dual_ashrrev_i32 v3, 8, v5
	v_add_nc_u32_e32 v2, 0x3c000000, v2
	s_delay_alu instid0(VALU_DEP_1) | instskip(NEXT) | instid1(VALU_DEP_1)
	v_and_or_b32 v2, 0x7f800000, v3, v2
	v_cndmask_b32_e32 v1, 0, v2, vcc_lo
	s_delay_alu instid0(VALU_DEP_1) | instskip(NEXT) | instid1(VALU_DEP_1)
	v_and_or_b32 v0, 0x80000000, v0, v1
	v_cvt_f64_f32_e32 v[0:1], v0
.LBB127_1393:
	s_mov_b32 s15, 0
.LBB127_1394:
	s_delay_alu instid0(SALU_CYCLE_1)
	s_and_not1_b32 vcc_lo, exec_lo, s15
	s_cbranch_vccnz .LBB127_1396
; %bb.1395:
	s_wait_loadcnt 0x0
	global_load_u8 v0, v[16:17], off
	s_wait_loadcnt 0x0
	v_lshlrev_b32_e32 v1, 25, v0
	v_lshlrev_b16 v0, 8, v0
	s_delay_alu instid0(VALU_DEP_1) | instskip(SKIP_1) | instid1(VALU_DEP_2)
	v_and_or_b32 v3, 0x7f00, v0, 0.5
	v_bfe_i32 v0, v0, 0, 16
	v_dual_add_f32 v3, -0.5, v3 :: v_dual_lshrrev_b32 v2, 4, v1
	v_cmp_gt_u32_e32 vcc_lo, 0x8000000, v1
	s_delay_alu instid0(VALU_DEP_2) | instskip(NEXT) | instid1(VALU_DEP_1)
	v_or_b32_e32 v2, 0x70000000, v2
	v_mul_f32_e32 v2, 0x7800000, v2
	s_delay_alu instid0(VALU_DEP_1) | instskip(NEXT) | instid1(VALU_DEP_1)
	v_cndmask_b32_e32 v1, v2, v3, vcc_lo
	v_and_or_b32 v0, 0x80000000, v0, v1
	s_delay_alu instid0(VALU_DEP_1)
	v_cvt_f64_f32_e32 v[0:1], v0
.LBB127_1396:
	s_mov_b32 s15, 0
	s_mov_b32 s16, -1
.LBB127_1397:
	s_and_not1_b32 vcc_lo, exec_lo, s15
	s_mov_b32 s15, 0
	s_cbranch_vccnz .LBB127_1408
; %bb.1398:
	s_cmp_gt_i32 s18, 14
	s_cbranch_scc0 .LBB127_1401
; %bb.1399:
	s_cmp_eq_u32 s18, 15
	s_cbranch_scc0 .LBB127_1404
; %bb.1400:
	s_wait_loadcnt 0x0
	global_load_u16 v0, v[16:17], off
	s_mov_b32 s0, 0
	s_mov_b32 s16, -1
	s_wait_loadcnt 0x0
	v_lshlrev_b32_e32 v0, 16, v0
	s_delay_alu instid0(VALU_DEP_1)
	v_cvt_f64_f32_e32 v[0:1], v0
	s_branch .LBB127_1406
.LBB127_1401:
	s_mov_b32 s15, -1
	s_branch .LBB127_1405
.LBB127_1402:
	s_or_saveexec_b32 s16, s16
	v_mov_b64_e32 v[0:1], 0x7ff8000020000000
	s_xor_b32 exec_lo, exec_lo, s16
	s_cbranch_execz .LBB127_1383
.LBB127_1403:
	v_cmp_ne_u16_e32 vcc_lo, 0, v2
	v_mov_b64_e32 v[0:1], 0
	s_and_not1_b32 s15, s15, exec_lo
	s_and_b32 s19, vcc_lo, exec_lo
	s_delay_alu instid0(SALU_CYCLE_1)
	s_or_b32 s15, s15, s19
	s_or_b32 exec_lo, exec_lo, s16
	s_and_saveexec_b32 s16, s15
	s_cbranch_execnz .LBB127_1384
	s_branch .LBB127_1385
.LBB127_1404:
	s_mov_b32 s0, -1
.LBB127_1405:
                                        ; implicit-def: $vgpr0_vgpr1
.LBB127_1406:
	s_and_b32 vcc_lo, exec_lo, s15
	s_mov_b32 s15, 0
	s_cbranch_vccz .LBB127_1408
; %bb.1407:
	s_cmp_lg_u32 s18, 11
	s_mov_b32 s15, -1
	s_cselect_b32 s0, -1, 0
.LBB127_1408:
	s_wait_loadcnt 0x0
	v_mov_b64_e32 v[2:3], 0
.LBB127_1409:
	s_and_b32 vcc_lo, exec_lo, s0
	s_cbranch_vccnz .LBB127_1490
; %bb.1410:
	s_and_not1_b32 vcc_lo, exec_lo, s15
	s_cbranch_vccnz .LBB127_1412
.LBB127_1411:
	s_wait_loadcnt 0x0
	global_load_u8 v0, v[16:17], off
	v_mov_b64_e32 v[2:3], 0
	s_mov_b32 s16, -1
	s_wait_loadcnt 0x0
	v_cmp_ne_u16_e32 vcc_lo, 0, v0
	v_mov_b32_e32 v0, 0
	v_cndmask_b32_e64 v1, 0, 0x3ff00000, vcc_lo
.LBB127_1412:
	s_branch .LBB127_1334
.LBB127_1413:
	s_cmp_lt_i32 s18, 5
	s_cbranch_scc1 .LBB127_1418
; %bb.1414:
	s_cmp_lt_i32 s18, 8
	s_cbranch_scc1 .LBB127_1420
; %bb.1415:
	s_cmp_lt_i32 s18, 9
	s_cbranch_scc1 .LBB127_1421
; %bb.1416:
	s_cmp_gt_i32 s18, 9
	s_cbranch_scc0 .LBB127_1422
; %bb.1417:
	s_wait_loadcnt 0x0
	global_load_b128 v[0:3], v[16:17], off
	s_mov_b32 s0, 0
	s_branch .LBB127_1423
.LBB127_1418:
                                        ; implicit-def: $vgpr2_vgpr3
	s_branch .LBB127_1442
.LBB127_1419:
	s_branch .LBB127_1462
.LBB127_1420:
	s_mov_b32 s0, -1
                                        ; implicit-def: $vgpr2_vgpr3
	s_branch .LBB127_1429
.LBB127_1421:
	s_mov_b32 s0, -1
                                        ; implicit-def: $vgpr2_vgpr3
	s_branch .LBB127_1426
.LBB127_1422:
	s_mov_b32 s0, -1
                                        ; implicit-def: $vgpr2_vgpr3
.LBB127_1423:
	s_delay_alu instid0(SALU_CYCLE_1)
	s_and_not1_b32 vcc_lo, exec_lo, s0
	s_cbranch_vccnz .LBB127_1425
; %bb.1424:
	s_wait_loadcnt 0x0
	global_load_b64 v[2:3], v[16:17], off
	s_wait_loadcnt 0x0
	v_cvt_f64_f32_e32 v[0:1], v2
	v_cvt_f64_f32_e32 v[2:3], v3
.LBB127_1425:
	s_mov_b32 s0, 0
.LBB127_1426:
	s_delay_alu instid0(SALU_CYCLE_1)
	s_and_not1_b32 vcc_lo, exec_lo, s0
	s_cbranch_vccnz .LBB127_1428
; %bb.1427:
	s_wait_loadcnt 0x0
	global_load_b32 v0, v[16:17], off
	s_wait_loadcnt 0x0
	v_lshrrev_b32_e32 v1, 16, v0
	v_cvt_f32_f16_e32 v0, v0
	s_delay_alu instid0(VALU_DEP_2) | instskip(NEXT) | instid1(VALU_DEP_2)
	v_cvt_f32_f16_e32 v2, v1
	v_cvt_f64_f32_e32 v[0:1], v0
	s_delay_alu instid0(VALU_DEP_2)
	v_cvt_f64_f32_e32 v[2:3], v2
.LBB127_1428:
	s_mov_b32 s0, 0
.LBB127_1429:
	s_delay_alu instid0(SALU_CYCLE_1)
	s_and_not1_b32 vcc_lo, exec_lo, s0
	s_cbranch_vccnz .LBB127_1441
; %bb.1430:
	s_cmp_lt_i32 s18, 6
	s_cbranch_scc1 .LBB127_1433
; %bb.1431:
	s_cmp_gt_i32 s18, 6
	s_cbranch_scc0 .LBB127_1434
; %bb.1432:
	s_wait_loadcnt 0x0
	global_load_b64 v[0:1], v[16:17], off
	s_mov_b32 s0, 0
	s_branch .LBB127_1435
.LBB127_1433:
	s_mov_b32 s0, -1
                                        ; implicit-def: $vgpr0_vgpr1
	s_branch .LBB127_1438
.LBB127_1434:
	s_mov_b32 s0, -1
                                        ; implicit-def: $vgpr0_vgpr1
.LBB127_1435:
	s_delay_alu instid0(SALU_CYCLE_1)
	s_and_not1_b32 vcc_lo, exec_lo, s0
	s_cbranch_vccnz .LBB127_1437
; %bb.1436:
	s_wait_loadcnt 0x0
	global_load_b32 v0, v[16:17], off
	s_wait_loadcnt 0x0
	v_cvt_f64_f32_e32 v[0:1], v0
.LBB127_1437:
	s_mov_b32 s0, 0
.LBB127_1438:
	s_delay_alu instid0(SALU_CYCLE_1)
	s_and_not1_b32 vcc_lo, exec_lo, s0
	s_cbranch_vccnz .LBB127_1440
; %bb.1439:
	s_wait_loadcnt 0x0
	global_load_u16 v0, v[16:17], off
	s_wait_loadcnt 0x0
	v_cvt_f32_f16_e32 v0, v0
	s_delay_alu instid0(VALU_DEP_1)
	v_cvt_f64_f32_e32 v[0:1], v0
.LBB127_1440:
	s_wait_loadcnt 0x0
	v_mov_b64_e32 v[2:3], 0
.LBB127_1441:
	s_cbranch_execnz .LBB127_1419
.LBB127_1442:
	s_cmp_lt_i32 s18, 2
	s_cbranch_scc1 .LBB127_1446
; %bb.1443:
	s_cmp_lt_i32 s18, 3
	s_cbranch_scc1 .LBB127_1447
; %bb.1444:
	s_cmp_gt_i32 s18, 3
	s_cbranch_scc0 .LBB127_1448
; %bb.1445:
	s_wait_loadcnt 0x0
	global_load_b64 v[0:1], v[16:17], off
	s_mov_b32 s0, 0
	s_wait_loadcnt 0x0
	v_cvt_f64_i32_e32 v[2:3], v1
	v_cvt_f64_u32_e32 v[0:1], v0
	s_delay_alu instid0(VALU_DEP_2) | instskip(NEXT) | instid1(VALU_DEP_1)
	v_ldexp_f64 v[2:3], v[2:3], 32
	v_add_f64_e32 v[0:1], v[2:3], v[0:1]
	s_branch .LBB127_1449
.LBB127_1446:
	s_mov_b32 s0, -1
                                        ; implicit-def: $vgpr0_vgpr1
	s_branch .LBB127_1455
.LBB127_1447:
	s_mov_b32 s0, -1
                                        ; implicit-def: $vgpr0_vgpr1
	s_branch .LBB127_1452
.LBB127_1448:
	s_mov_b32 s0, -1
                                        ; implicit-def: $vgpr0_vgpr1
.LBB127_1449:
	s_delay_alu instid0(SALU_CYCLE_1)
	s_and_not1_b32 vcc_lo, exec_lo, s0
	s_cbranch_vccnz .LBB127_1451
; %bb.1450:
	s_wait_loadcnt 0x0
	global_load_b32 v0, v[16:17], off
	s_wait_loadcnt 0x0
	v_cvt_f64_i32_e32 v[0:1], v0
.LBB127_1451:
	s_mov_b32 s0, 0
.LBB127_1452:
	s_delay_alu instid0(SALU_CYCLE_1)
	s_and_not1_b32 vcc_lo, exec_lo, s0
	s_cbranch_vccnz .LBB127_1454
; %bb.1453:
	s_wait_loadcnt 0x0
	global_load_i16 v0, v[16:17], off
	s_wait_loadcnt 0x0
	v_cvt_f64_i32_e32 v[0:1], v0
.LBB127_1454:
	s_mov_b32 s0, 0
.LBB127_1455:
	s_delay_alu instid0(SALU_CYCLE_1)
	s_and_not1_b32 vcc_lo, exec_lo, s0
	s_cbranch_vccnz .LBB127_1461
; %bb.1456:
	s_cmp_gt_i32 s18, 0
	s_mov_b32 s0, 0
	s_cbranch_scc0 .LBB127_1458
; %bb.1457:
	s_wait_loadcnt 0x0
	global_load_i8 v0, v[16:17], off
	s_wait_loadcnt 0x0
	v_cvt_f64_i32_e32 v[0:1], v0
	s_branch .LBB127_1459
.LBB127_1458:
	s_mov_b32 s0, -1
                                        ; implicit-def: $vgpr0_vgpr1
.LBB127_1459:
	s_delay_alu instid0(SALU_CYCLE_1)
	s_and_not1_b32 vcc_lo, exec_lo, s0
	s_cbranch_vccnz .LBB127_1461
; %bb.1460:
	s_wait_loadcnt 0x0
	global_load_u8 v0, v[16:17], off
	s_wait_loadcnt 0x0
	v_cvt_f64_u32_e32 v[0:1], v0
.LBB127_1461:
	s_wait_loadcnt 0x0
	v_mov_b64_e32 v[2:3], 0
.LBB127_1462:
	s_and_b32 vcc_lo, exec_lo, s17
	s_cbranch_vccz .LBB127_1474
; %bb.1463:
	s_wait_loadcnt 0x0
	s_delay_alu instid0(VALU_DEP_1) | instskip(NEXT) | instid1(VALU_DEP_2)
	v_cmp_neq_f64_e32 vcc_lo, s[8:9], v[0:1]
	v_cmp_neq_f64_e64 s0, s[10:11], v[2:3]
	s_or_b32 s15, vcc_lo, s0
	s_cbranch_execnz .LBB127_1465
.LBB127_1464:
	s_wait_loadcnt 0x0
	s_delay_alu instid0(VALU_DEP_1) | instskip(NEXT) | instid1(VALU_DEP_2)
	v_cmp_eq_f64_e32 vcc_lo, s[8:9], v[0:1]
	v_cmp_eq_f64_e64 s0, s[10:11], v[2:3]
	s_and_not1_b32 s15, s15, exec_lo
	s_and_b32 s0, vcc_lo, s0
	s_delay_alu instid0(SALU_CYCLE_1) | instskip(NEXT) | instid1(SALU_CYCLE_1)
	s_and_b32 s0, s0, exec_lo
	s_or_b32 s15, s15, s0
.LBB127_1465:
	v_mov_b32_e32 v15, 0
	s_cmp_lt_i32 s18, 11
	s_delay_alu instid0(VALU_DEP_1)
	v_add_nc_u64_e32 v[14:15], s[6:7], v[14:15]
	s_cbranch_scc1 .LBB127_1472
; %bb.1466:
	s_cmp_gt_i32 s18, 25
	s_mov_b32 s16, 0
	s_cbranch_scc0 .LBB127_1475
; %bb.1467:
	s_cmp_gt_i32 s18, 28
	s_cbranch_scc0 .LBB127_1486
; %bb.1468:
	s_cmp_gt_i32 s18, 43
	;; [unrolled: 3-line block ×3, first 2 shown]
	s_cbranch_scc0 .LBB127_1491
; %bb.1470:
	s_cmp_eq_u32 s18, 46
	s_mov_b32 s20, 0
	s_cbranch_scc0 .LBB127_1549
; %bb.1471:
	s_wait_loadcnt 0x0
	global_load_b32 v0, v[14:15], off
	s_mov_b32 s0, 0
	s_mov_b32 s19, -1
	s_wait_loadcnt 0x0
	v_lshlrev_b32_e32 v1, 16, v0
	v_and_b32_e32 v2, 0xffff0000, v0
	s_delay_alu instid0(VALU_DEP_2) | instskip(NEXT) | instid1(VALU_DEP_2)
	v_cvt_f64_f32_e32 v[0:1], v1
	v_cvt_f64_f32_e32 v[2:3], v2
	s_branch .LBB127_1551
.LBB127_1472:
	s_mov_b32 s19, 0
                                        ; implicit-def: $vgpr2_vgpr3
	s_cbranch_execnz .LBB127_1480
.LBB127_1473:
	s_and_not1_b32 vcc_lo, exec_lo, s19
	s_cbranch_vccnz .LBB127_1743
	s_branch .LBB127_1534
.LBB127_1474:
                                        ; implicit-def: $sgpr15
	s_branch .LBB127_1464
.LBB127_1475:
	s_mov_b32 s19, 0
	s_mov_b32 s0, 0
                                        ; implicit-def: $vgpr2_vgpr3
	s_cbranch_execnz .LBB127_1583
.LBB127_1476:
	s_and_b32 vcc_lo, exec_lo, s0
	s_cbranch_vccnz .LBB127_1616
.LBB127_1477:
	s_and_not1_b32 vcc_lo, exec_lo, s16
	s_cbranch_vccnz .LBB127_1479
.LBB127_1478:
	s_wait_loadcnt 0x0
	global_load_u8 v0, v[14:15], off
	v_mov_b64_e32 v[2:3], 0
	s_mov_b32 s19, -1
	s_wait_loadcnt 0x0
	v_cmp_ne_u16_e32 vcc_lo, 0, v0
	v_mov_b32_e32 v0, 0
	v_cndmask_b32_e64 v1, 0, 0x3ff00000, vcc_lo
.LBB127_1479:
	s_branch .LBB127_1473
.LBB127_1480:
	s_cmp_lt_i32 s18, 5
	s_cbranch_scc1 .LBB127_1485
; %bb.1481:
	s_cmp_lt_i32 s18, 8
	s_cbranch_scc1 .LBB127_1487
; %bb.1482:
	;; [unrolled: 3-line block ×3, first 2 shown]
	s_cmp_gt_i32 s18, 9
	s_cbranch_scc0 .LBB127_1492
; %bb.1484:
	s_wait_loadcnt 0x0
	global_load_b128 v[0:3], v[14:15], off
	s_mov_b32 s0, 0
	s_branch .LBB127_1493
.LBB127_1485:
	s_mov_b32 s0, -1
                                        ; implicit-def: $vgpr2_vgpr3
	s_branch .LBB127_1512
.LBB127_1486:
	s_mov_b32 s20, -1
	s_mov_b32 s19, 0
	s_mov_b32 s0, 0
                                        ; implicit-def: $vgpr2_vgpr3
	s_branch .LBB127_1564
.LBB127_1487:
	s_mov_b32 s0, -1
                                        ; implicit-def: $vgpr2_vgpr3
	s_branch .LBB127_1499
.LBB127_1488:
	s_mov_b32 s20, -1
	s_mov_b32 s19, 0
	s_mov_b32 s0, 0
                                        ; implicit-def: $vgpr2_vgpr3
	s_branch .LBB127_1558
.LBB127_1489:
	s_mov_b32 s0, -1
                                        ; implicit-def: $vgpr2_vgpr3
	s_branch .LBB127_1496
.LBB127_1490:
	s_or_b32 s1, s1, exec_lo
	s_trap 2
	s_cbranch_execz .LBB127_1411
	s_branch .LBB127_1412
.LBB127_1491:
	s_mov_b32 s20, -1
	s_mov_b32 s19, 0
	s_mov_b32 s0, 0
	s_branch .LBB127_1550
.LBB127_1492:
	s_mov_b32 s0, -1
                                        ; implicit-def: $vgpr2_vgpr3
.LBB127_1493:
	s_delay_alu instid0(SALU_CYCLE_1)
	s_and_not1_b32 vcc_lo, exec_lo, s0
	s_cbranch_vccnz .LBB127_1495
; %bb.1494:
	s_wait_loadcnt 0x0
	global_load_b64 v[2:3], v[14:15], off
	s_wait_loadcnt 0x0
	v_cvt_f64_f32_e32 v[0:1], v2
	v_cvt_f64_f32_e32 v[2:3], v3
.LBB127_1495:
	s_mov_b32 s0, 0
.LBB127_1496:
	s_delay_alu instid0(SALU_CYCLE_1)
	s_and_not1_b32 vcc_lo, exec_lo, s0
	s_cbranch_vccnz .LBB127_1498
; %bb.1497:
	s_wait_loadcnt 0x0
	global_load_b32 v0, v[14:15], off
	s_wait_loadcnt 0x0
	v_lshrrev_b32_e32 v1, 16, v0
	v_cvt_f32_f16_e32 v0, v0
	s_delay_alu instid0(VALU_DEP_2) | instskip(NEXT) | instid1(VALU_DEP_2)
	v_cvt_f32_f16_e32 v2, v1
	v_cvt_f64_f32_e32 v[0:1], v0
	s_delay_alu instid0(VALU_DEP_2)
	v_cvt_f64_f32_e32 v[2:3], v2
.LBB127_1498:
	s_mov_b32 s0, 0
.LBB127_1499:
	s_delay_alu instid0(SALU_CYCLE_1)
	s_and_not1_b32 vcc_lo, exec_lo, s0
	s_cbranch_vccnz .LBB127_1511
; %bb.1500:
	s_cmp_lt_i32 s18, 6
	s_cbranch_scc1 .LBB127_1503
; %bb.1501:
	s_cmp_gt_i32 s18, 6
	s_cbranch_scc0 .LBB127_1504
; %bb.1502:
	s_wait_loadcnt 0x0
	global_load_b64 v[0:1], v[14:15], off
	s_mov_b32 s0, 0
	s_branch .LBB127_1505
.LBB127_1503:
	s_mov_b32 s0, -1
                                        ; implicit-def: $vgpr0_vgpr1
	s_branch .LBB127_1508
.LBB127_1504:
	s_mov_b32 s0, -1
                                        ; implicit-def: $vgpr0_vgpr1
.LBB127_1505:
	s_delay_alu instid0(SALU_CYCLE_1)
	s_and_not1_b32 vcc_lo, exec_lo, s0
	s_cbranch_vccnz .LBB127_1507
; %bb.1506:
	s_wait_loadcnt 0x0
	global_load_b32 v0, v[14:15], off
	s_wait_loadcnt 0x0
	v_cvt_f64_f32_e32 v[0:1], v0
.LBB127_1507:
	s_mov_b32 s0, 0
.LBB127_1508:
	s_delay_alu instid0(SALU_CYCLE_1)
	s_and_not1_b32 vcc_lo, exec_lo, s0
	s_cbranch_vccnz .LBB127_1510
; %bb.1509:
	s_wait_loadcnt 0x0
	global_load_u16 v0, v[14:15], off
	s_wait_loadcnt 0x0
	v_cvt_f32_f16_e32 v0, v0
	s_delay_alu instid0(VALU_DEP_1)
	v_cvt_f64_f32_e32 v[0:1], v0
.LBB127_1510:
	s_wait_loadcnt 0x0
	v_mov_b64_e32 v[2:3], 0
.LBB127_1511:
	s_mov_b32 s0, 0
.LBB127_1512:
	s_delay_alu instid0(SALU_CYCLE_1)
	s_and_not1_b32 vcc_lo, exec_lo, s0
	s_cbranch_vccnz .LBB127_1533
; %bb.1513:
	s_cmp_lt_i32 s18, 2
	s_cbranch_scc1 .LBB127_1517
; %bb.1514:
	s_cmp_lt_i32 s18, 3
	s_cbranch_scc1 .LBB127_1518
; %bb.1515:
	s_cmp_gt_i32 s18, 3
	s_cbranch_scc0 .LBB127_1519
; %bb.1516:
	s_wait_loadcnt 0x0
	global_load_b64 v[0:1], v[14:15], off
	s_mov_b32 s0, 0
	s_wait_loadcnt 0x0
	v_cvt_f64_i32_e32 v[2:3], v1
	v_cvt_f64_u32_e32 v[0:1], v0
	s_delay_alu instid0(VALU_DEP_2) | instskip(NEXT) | instid1(VALU_DEP_1)
	v_ldexp_f64 v[2:3], v[2:3], 32
	v_add_f64_e32 v[0:1], v[2:3], v[0:1]
	s_branch .LBB127_1520
.LBB127_1517:
	s_mov_b32 s0, -1
                                        ; implicit-def: $vgpr0_vgpr1
	s_branch .LBB127_1526
.LBB127_1518:
	s_mov_b32 s0, -1
                                        ; implicit-def: $vgpr0_vgpr1
	s_branch .LBB127_1523
.LBB127_1519:
	s_mov_b32 s0, -1
                                        ; implicit-def: $vgpr0_vgpr1
.LBB127_1520:
	s_delay_alu instid0(SALU_CYCLE_1)
	s_and_not1_b32 vcc_lo, exec_lo, s0
	s_cbranch_vccnz .LBB127_1522
; %bb.1521:
	s_wait_loadcnt 0x0
	global_load_b32 v0, v[14:15], off
	s_wait_loadcnt 0x0
	v_cvt_f64_i32_e32 v[0:1], v0
.LBB127_1522:
	s_mov_b32 s0, 0
.LBB127_1523:
	s_delay_alu instid0(SALU_CYCLE_1)
	s_and_not1_b32 vcc_lo, exec_lo, s0
	s_cbranch_vccnz .LBB127_1525
; %bb.1524:
	s_wait_loadcnt 0x0
	global_load_i16 v0, v[14:15], off
	s_wait_loadcnt 0x0
	v_cvt_f64_i32_e32 v[0:1], v0
.LBB127_1525:
	s_mov_b32 s0, 0
.LBB127_1526:
	s_delay_alu instid0(SALU_CYCLE_1)
	s_and_not1_b32 vcc_lo, exec_lo, s0
	s_cbranch_vccnz .LBB127_1532
; %bb.1527:
	s_cmp_gt_i32 s18, 0
	s_mov_b32 s0, 0
	s_cbranch_scc0 .LBB127_1529
; %bb.1528:
	s_wait_loadcnt 0x0
	global_load_i8 v0, v[14:15], off
	s_wait_loadcnt 0x0
	v_cvt_f64_i32_e32 v[0:1], v0
	s_branch .LBB127_1530
.LBB127_1529:
	s_mov_b32 s0, -1
                                        ; implicit-def: $vgpr0_vgpr1
.LBB127_1530:
	s_delay_alu instid0(SALU_CYCLE_1)
	s_and_not1_b32 vcc_lo, exec_lo, s0
	s_cbranch_vccnz .LBB127_1532
; %bb.1531:
	s_wait_loadcnt 0x0
	global_load_u8 v0, v[14:15], off
	s_wait_loadcnt 0x0
	v_cvt_f64_u32_e32 v[0:1], v0
.LBB127_1532:
	s_wait_loadcnt 0x0
	v_mov_b64_e32 v[2:3], 0
.LBB127_1533:
.LBB127_1534:
	s_and_b32 vcc_lo, exec_lo, s17
	s_cbranch_vccz .LBB127_1545
; %bb.1535:
	s_wait_loadcnt 0x0
	s_delay_alu instid0(VALU_DEP_1) | instskip(NEXT) | instid1(VALU_DEP_2)
	v_cmp_neq_f64_e32 vcc_lo, s[8:9], v[0:1]
	v_cmp_neq_f64_e64 s0, s[10:11], v[2:3]
	s_or_b32 s16, vcc_lo, s0
	s_cbranch_execnz .LBB127_1537
.LBB127_1536:
	s_wait_loadcnt 0x0
	s_delay_alu instid0(VALU_DEP_1) | instskip(NEXT) | instid1(VALU_DEP_2)
	v_cmp_eq_f64_e32 vcc_lo, s[8:9], v[0:1]
	v_cmp_eq_f64_e64 s0, s[10:11], v[2:3]
	s_and_not1_b32 s16, s16, exec_lo
	s_and_b32 s0, vcc_lo, s0
	s_delay_alu instid0(SALU_CYCLE_1) | instskip(NEXT) | instid1(SALU_CYCLE_1)
	s_and_b32 s0, s0, exec_lo
	s_or_b32 s16, s16, s0
.LBB127_1537:
	v_mov_b32_e32 v13, 0
	s_cmp_lt_i32 s18, 11
	s_delay_alu instid0(VALU_DEP_1)
	v_add_nc_u64_e32 v[12:13], s[6:7], v[12:13]
	s_cbranch_scc1 .LBB127_1544
; %bb.1538:
	s_cmp_gt_i32 s18, 25
	s_mov_b32 s6, 0
	s_cbranch_scc0 .LBB127_1546
; %bb.1539:
	s_cmp_gt_i32 s18, 28
	s_cbranch_scc0 .LBB127_1547
; %bb.1540:
	s_cmp_gt_i32 s18, 43
	;; [unrolled: 3-line block ×3, first 2 shown]
	s_cbranch_scc0 .LBB127_1554
; %bb.1542:
	s_cmp_eq_u32 s18, 46
	s_mov_b32 s19, 0
	s_cbranch_scc0 .LBB127_1617
; %bb.1543:
	s_wait_loadcnt 0x0
	global_load_b32 v0, v[12:13], off
	s_mov_b32 s0, 0
	s_mov_b32 s7, -1
	s_wait_loadcnt 0x0
	v_lshlrev_b32_e32 v1, 16, v0
	v_and_b32_e32 v2, 0xffff0000, v0
	s_delay_alu instid0(VALU_DEP_2) | instskip(NEXT) | instid1(VALU_DEP_2)
	v_cvt_f64_f32_e32 v[0:1], v1
	v_cvt_f64_f32_e32 v[2:3], v2
	s_branch .LBB127_1619
.LBB127_1544:
	s_mov_b32 s0, -1
	s_mov_b32 s7, 0
                                        ; implicit-def: $vgpr2_vgpr3
	s_branch .LBB127_1665
.LBB127_1545:
                                        ; implicit-def: $sgpr16
	s_branch .LBB127_1536
.LBB127_1546:
	s_mov_b32 s19, -1
	s_mov_b32 s7, 0
	s_mov_b32 s0, 0
                                        ; implicit-def: $vgpr2_vgpr3
	s_branch .LBB127_1650
.LBB127_1547:
	s_mov_b32 s19, -1
	s_mov_b32 s7, 0
	s_mov_b32 s0, 0
                                        ; implicit-def: $vgpr2_vgpr3
	s_branch .LBB127_1631
.LBB127_1548:
	s_mov_b32 s19, -1
	s_mov_b32 s7, 0
	s_mov_b32 s0, 0
                                        ; implicit-def: $vgpr2_vgpr3
	s_branch .LBB127_1625
.LBB127_1549:
	s_mov_b32 s0, -1
	s_mov_b32 s19, 0
.LBB127_1550:
                                        ; implicit-def: $vgpr2_vgpr3
.LBB127_1551:
	s_and_b32 vcc_lo, exec_lo, s20
	s_cbranch_vccz .LBB127_1557
; %bb.1552:
	s_cmp_eq_u32 s18, 44
	s_cbranch_scc0 .LBB127_1555
; %bb.1553:
	s_wait_loadcnt 0x0
	global_load_u8 v2, v[14:15], off
	s_mov_b32 s0, 0
	s_mov_b32 s19, -1
	s_wait_loadcnt 0x0
	v_cmp_ne_u32_e32 vcc_lo, 0xff, v2
	v_lshlrev_b32_e32 v0, 23, v2
	s_delay_alu instid0(VALU_DEP_1) | instskip(NEXT) | instid1(VALU_DEP_1)
	v_cvt_f64_f32_e32 v[0:1], v0
	v_cndmask_b32_e32 v0, 0x20000000, v0, vcc_lo
	s_delay_alu instid0(VALU_DEP_2) | instskip(SKIP_1) | instid1(VALU_DEP_2)
	v_cndmask_b32_e32 v1, 0x7ff80000, v1, vcc_lo
	v_cmp_ne_u32_e32 vcc_lo, 0, v2
	v_cndmask_b32_e32 v1, 0x38000000, v1, vcc_lo
	s_delay_alu instid0(VALU_DEP_4)
	v_cndmask_b32_e32 v0, 0, v0, vcc_lo
	s_branch .LBB127_1556
.LBB127_1554:
	s_mov_b32 s19, -1
	s_mov_b32 s7, 0
	s_mov_b32 s0, 0
	s_branch .LBB127_1618
.LBB127_1555:
	s_mov_b32 s0, -1
                                        ; implicit-def: $vgpr0_vgpr1
.LBB127_1556:
	s_wait_loadcnt 0x0
	v_mov_b64_e32 v[2:3], 0
.LBB127_1557:
	s_mov_b32 s20, 0
.LBB127_1558:
	s_delay_alu instid0(SALU_CYCLE_1)
	s_and_b32 vcc_lo, exec_lo, s20
	s_cbranch_vccz .LBB127_1563
; %bb.1559:
	s_cmp_eq_u32 s18, 29
	s_cbranch_scc0 .LBB127_1561
; %bb.1560:
	s_wait_loadcnt 0x0
	global_load_b64 v[0:1], v[14:15], off
	s_mov_b32 s0, 0
	s_mov_b32 s19, -1
	s_wait_loadcnt 0x0
	v_cvt_f64_u32_e32 v[2:3], v1
	v_cvt_f64_u32_e32 v[0:1], v0
	s_delay_alu instid0(VALU_DEP_2) | instskip(NEXT) | instid1(VALU_DEP_1)
	v_ldexp_f64 v[2:3], v[2:3], 32
	v_add_f64_e32 v[0:1], v[2:3], v[0:1]
	s_branch .LBB127_1562
.LBB127_1561:
	s_mov_b32 s0, -1
                                        ; implicit-def: $vgpr0_vgpr1
.LBB127_1562:
	s_wait_loadcnt 0x0
	v_mov_b64_e32 v[2:3], 0
.LBB127_1563:
	s_mov_b32 s20, 0
.LBB127_1564:
	s_delay_alu instid0(SALU_CYCLE_1)
	s_and_b32 vcc_lo, exec_lo, s20
	s_cbranch_vccz .LBB127_1582
; %bb.1565:
	s_cmp_lt_i32 s18, 27
	s_cbranch_scc1 .LBB127_1568
; %bb.1566:
	s_cmp_gt_i32 s18, 27
	s_cbranch_scc0 .LBB127_1569
; %bb.1567:
	s_wait_loadcnt 0x0
	global_load_b32 v0, v[14:15], off
	s_mov_b32 s19, 0
	s_wait_loadcnt 0x0
	v_cvt_f64_u32_e32 v[0:1], v0
	s_branch .LBB127_1570
.LBB127_1568:
	s_mov_b32 s19, -1
                                        ; implicit-def: $vgpr0_vgpr1
	s_branch .LBB127_1573
.LBB127_1569:
	s_mov_b32 s19, -1
                                        ; implicit-def: $vgpr0_vgpr1
.LBB127_1570:
	s_delay_alu instid0(SALU_CYCLE_1)
	s_and_not1_b32 vcc_lo, exec_lo, s19
	s_cbranch_vccnz .LBB127_1572
; %bb.1571:
	s_wait_loadcnt 0x0
	global_load_u16 v0, v[14:15], off
	s_wait_loadcnt 0x0
	v_cvt_f64_u32_e32 v[0:1], v0
.LBB127_1572:
	s_mov_b32 s19, 0
.LBB127_1573:
	s_delay_alu instid0(SALU_CYCLE_1)
	s_and_not1_b32 vcc_lo, exec_lo, s19
	s_cbranch_vccnz .LBB127_1581
; %bb.1574:
	s_wait_loadcnt 0x0
	global_load_u8 v2, v[14:15], off
	s_mov_b32 s19, 0
	s_mov_b32 s20, exec_lo
	s_wait_loadcnt 0x0
	v_cmpx_lt_i16_e32 0x7f, v2
	s_xor_b32 s20, exec_lo, s20
	s_cbranch_execz .LBB127_1594
; %bb.1575:
	s_mov_b32 s19, -1
	s_mov_b32 s21, exec_lo
	v_cmpx_eq_u16_e32 0x80, v2
; %bb.1576:
	s_xor_b32 s19, exec_lo, -1
; %bb.1577:
	s_or_b32 exec_lo, exec_lo, s21
	s_delay_alu instid0(SALU_CYCLE_1)
	s_and_b32 s19, s19, exec_lo
	s_or_saveexec_b32 s20, s20
	v_mov_b64_e32 v[0:1], 0x7ff8000020000000
	s_xor_b32 exec_lo, exec_lo, s20
	s_cbranch_execnz .LBB127_1595
.LBB127_1578:
	s_or_b32 exec_lo, exec_lo, s20
	s_and_saveexec_b32 s20, s19
	s_cbranch_execz .LBB127_1580
.LBB127_1579:
	v_and_b32_e32 v0, 0xffff, v2
	s_delay_alu instid0(VALU_DEP_1) | instskip(SKIP_1) | instid1(VALU_DEP_2)
	v_and_b32_e32 v1, 7, v0
	v_bfe_u32 v7, v0, 3, 4
	v_clz_i32_u32_e32 v3, v1
	s_delay_alu instid0(VALU_DEP_2) | instskip(NEXT) | instid1(VALU_DEP_2)
	v_cmp_eq_u32_e32 vcc_lo, 0, v7
	v_min_u32_e32 v3, 32, v3
	s_delay_alu instid0(VALU_DEP_1) | instskip(NEXT) | instid1(VALU_DEP_1)
	v_subrev_nc_u32_e32 v5, 28, v3
	v_dual_lshlrev_b32 v0, v5, v0 :: v_dual_sub_nc_u32 v3, 29, v3
	s_delay_alu instid0(VALU_DEP_1) | instskip(NEXT) | instid1(VALU_DEP_1)
	v_dual_lshlrev_b32 v2, 24, v2 :: v_dual_bitop2_b32 v0, 7, v0 bitop3:0x40
	v_dual_cndmask_b32 v3, v7, v3 :: v_dual_cndmask_b32 v0, v1, v0
	s_delay_alu instid0(VALU_DEP_2) | instskip(NEXT) | instid1(VALU_DEP_2)
	v_and_b32_e32 v1, 0x80000000, v2
	v_lshl_add_u32 v2, v3, 23, 0x3b800000
	s_delay_alu instid0(VALU_DEP_3) | instskip(NEXT) | instid1(VALU_DEP_1)
	v_lshlrev_b32_e32 v0, 20, v0
	v_or3_b32 v0, v1, v2, v0
	s_delay_alu instid0(VALU_DEP_1)
	v_cvt_f64_f32_e32 v[0:1], v0
.LBB127_1580:
	s_or_b32 exec_lo, exec_lo, s20
.LBB127_1581:
	s_wait_loadcnt 0x0
	v_mov_b64_e32 v[2:3], 0
	s_mov_b32 s19, -1
.LBB127_1582:
	s_branch .LBB127_1476
.LBB127_1583:
	s_cmp_gt_i32 s18, 22
	s_cbranch_scc0 .LBB127_1593
; %bb.1584:
	s_cmp_lt_i32 s18, 24
	s_cbranch_scc1 .LBB127_1596
; %bb.1585:
	s_cmp_gt_i32 s18, 24
	s_cbranch_scc0 .LBB127_1597
; %bb.1586:
	s_wait_loadcnt 0x0
	global_load_u8 v2, v[14:15], off
	s_mov_b32 s19, exec_lo
	s_wait_loadcnt 0x0
	v_cmpx_lt_i16_e32 0x7f, v2
	s_xor_b32 s19, exec_lo, s19
	s_cbranch_execz .LBB127_1609
; %bb.1587:
	s_mov_b32 s16, -1
	s_mov_b32 s20, exec_lo
	v_cmpx_eq_u16_e32 0x80, v2
; %bb.1588:
	s_xor_b32 s16, exec_lo, -1
; %bb.1589:
	s_or_b32 exec_lo, exec_lo, s20
	s_delay_alu instid0(SALU_CYCLE_1)
	s_and_b32 s16, s16, exec_lo
	s_or_saveexec_b32 s19, s19
	v_mov_b64_e32 v[0:1], 0x7ff8000020000000
	s_xor_b32 exec_lo, exec_lo, s19
	s_cbranch_execnz .LBB127_1610
.LBB127_1590:
	s_or_b32 exec_lo, exec_lo, s19
	s_and_saveexec_b32 s19, s16
	s_cbranch_execz .LBB127_1592
.LBB127_1591:
	v_and_b32_e32 v0, 0xffff, v2
	s_delay_alu instid0(VALU_DEP_1) | instskip(SKIP_1) | instid1(VALU_DEP_2)
	v_and_b32_e32 v1, 3, v0
	v_bfe_u32 v7, v0, 2, 5
	v_clz_i32_u32_e32 v3, v1
	s_delay_alu instid0(VALU_DEP_2) | instskip(NEXT) | instid1(VALU_DEP_2)
	v_cmp_eq_u32_e32 vcc_lo, 0, v7
	v_min_u32_e32 v3, 32, v3
	s_delay_alu instid0(VALU_DEP_1) | instskip(NEXT) | instid1(VALU_DEP_1)
	v_subrev_nc_u32_e32 v5, 29, v3
	v_dual_lshlrev_b32 v0, v5, v0 :: v_dual_sub_nc_u32 v3, 30, v3
	s_delay_alu instid0(VALU_DEP_1) | instskip(NEXT) | instid1(VALU_DEP_1)
	v_dual_lshlrev_b32 v2, 24, v2 :: v_dual_bitop2_b32 v0, 3, v0 bitop3:0x40
	v_dual_cndmask_b32 v3, v7, v3 :: v_dual_cndmask_b32 v0, v1, v0
	s_delay_alu instid0(VALU_DEP_2) | instskip(NEXT) | instid1(VALU_DEP_2)
	v_and_b32_e32 v1, 0x80000000, v2
	v_lshl_add_u32 v2, v3, 23, 0x37800000
	s_delay_alu instid0(VALU_DEP_3) | instskip(NEXT) | instid1(VALU_DEP_1)
	v_lshlrev_b32_e32 v0, 21, v0
	v_or3_b32 v0, v1, v2, v0
	s_delay_alu instid0(VALU_DEP_1)
	v_cvt_f64_f32_e32 v[0:1], v0
.LBB127_1592:
	s_or_b32 exec_lo, exec_lo, s19
	s_mov_b32 s16, 0
	s_branch .LBB127_1598
.LBB127_1593:
	s_mov_b32 s16, -1
                                        ; implicit-def: $vgpr0_vgpr1
	s_branch .LBB127_1604
.LBB127_1594:
	s_or_saveexec_b32 s20, s20
	v_mov_b64_e32 v[0:1], 0x7ff8000020000000
	s_xor_b32 exec_lo, exec_lo, s20
	s_cbranch_execz .LBB127_1578
.LBB127_1595:
	v_cmp_ne_u16_e32 vcc_lo, 0, v2
	v_mov_b64_e32 v[0:1], 0
	s_and_not1_b32 s19, s19, exec_lo
	s_and_b32 s21, vcc_lo, exec_lo
	s_delay_alu instid0(SALU_CYCLE_1)
	s_or_b32 s19, s19, s21
	s_or_b32 exec_lo, exec_lo, s20
	s_and_saveexec_b32 s20, s19
	s_cbranch_execnz .LBB127_1579
	s_branch .LBB127_1580
.LBB127_1596:
	s_mov_b32 s16, -1
                                        ; implicit-def: $vgpr0_vgpr1
	s_branch .LBB127_1601
.LBB127_1597:
	s_mov_b32 s16, -1
                                        ; implicit-def: $vgpr0_vgpr1
.LBB127_1598:
	s_delay_alu instid0(SALU_CYCLE_1)
	s_and_b32 vcc_lo, exec_lo, s16
	s_cbranch_vccz .LBB127_1600
; %bb.1599:
	s_wait_loadcnt 0x0
	global_load_u8 v0, v[14:15], off
	s_wait_loadcnt 0x0
	v_lshlrev_b32_e32 v0, 24, v0
	s_delay_alu instid0(VALU_DEP_1) | instskip(NEXT) | instid1(VALU_DEP_1)
	v_and_b32_e32 v1, 0x7f000000, v0
	v_clz_i32_u32_e32 v2, v1
	v_add_nc_u32_e32 v5, 0x1000000, v1
	v_cmp_ne_u32_e32 vcc_lo, 0, v1
	s_delay_alu instid0(VALU_DEP_3) | instskip(NEXT) | instid1(VALU_DEP_1)
	v_min_u32_e32 v2, 32, v2
	v_sub_nc_u32_e64 v2, v2, 4 clamp
	s_delay_alu instid0(VALU_DEP_1) | instskip(NEXT) | instid1(VALU_DEP_1)
	v_dual_lshlrev_b32 v3, v2, v1 :: v_dual_lshlrev_b32 v2, 23, v2
	v_lshrrev_b32_e32 v3, 4, v3
	s_delay_alu instid0(VALU_DEP_1) | instskip(NEXT) | instid1(VALU_DEP_1)
	v_dual_sub_nc_u32 v2, v3, v2 :: v_dual_ashrrev_i32 v3, 8, v5
	v_add_nc_u32_e32 v2, 0x3c000000, v2
	s_delay_alu instid0(VALU_DEP_1) | instskip(NEXT) | instid1(VALU_DEP_1)
	v_and_or_b32 v2, 0x7f800000, v3, v2
	v_cndmask_b32_e32 v1, 0, v2, vcc_lo
	s_delay_alu instid0(VALU_DEP_1) | instskip(NEXT) | instid1(VALU_DEP_1)
	v_and_or_b32 v0, 0x80000000, v0, v1
	v_cvt_f64_f32_e32 v[0:1], v0
.LBB127_1600:
	s_mov_b32 s16, 0
.LBB127_1601:
	s_delay_alu instid0(SALU_CYCLE_1)
	s_and_not1_b32 vcc_lo, exec_lo, s16
	s_cbranch_vccnz .LBB127_1603
; %bb.1602:
	s_wait_loadcnt 0x0
	global_load_u8 v0, v[14:15], off
	s_wait_loadcnt 0x0
	v_lshlrev_b32_e32 v1, 25, v0
	v_lshlrev_b16 v0, 8, v0
	s_delay_alu instid0(VALU_DEP_1) | instskip(SKIP_1) | instid1(VALU_DEP_2)
	v_and_or_b32 v3, 0x7f00, v0, 0.5
	v_bfe_i32 v0, v0, 0, 16
	v_dual_add_f32 v3, -0.5, v3 :: v_dual_lshrrev_b32 v2, 4, v1
	v_cmp_gt_u32_e32 vcc_lo, 0x8000000, v1
	s_delay_alu instid0(VALU_DEP_2) | instskip(NEXT) | instid1(VALU_DEP_1)
	v_or_b32_e32 v2, 0x70000000, v2
	v_mul_f32_e32 v2, 0x7800000, v2
	s_delay_alu instid0(VALU_DEP_1) | instskip(NEXT) | instid1(VALU_DEP_1)
	v_cndmask_b32_e32 v1, v2, v3, vcc_lo
	v_and_or_b32 v0, 0x80000000, v0, v1
	s_delay_alu instid0(VALU_DEP_1)
	v_cvt_f64_f32_e32 v[0:1], v0
.LBB127_1603:
	s_mov_b32 s16, 0
	s_mov_b32 s19, -1
.LBB127_1604:
	s_and_not1_b32 vcc_lo, exec_lo, s16
	s_mov_b32 s16, 0
	s_cbranch_vccnz .LBB127_1615
; %bb.1605:
	s_cmp_gt_i32 s18, 14
	s_cbranch_scc0 .LBB127_1608
; %bb.1606:
	s_cmp_eq_u32 s18, 15
	s_cbranch_scc0 .LBB127_1611
; %bb.1607:
	s_wait_loadcnt 0x0
	global_load_u16 v0, v[14:15], off
	s_mov_b32 s0, 0
	s_mov_b32 s19, -1
	s_wait_loadcnt 0x0
	v_lshlrev_b32_e32 v0, 16, v0
	s_delay_alu instid0(VALU_DEP_1)
	v_cvt_f64_f32_e32 v[0:1], v0
	s_branch .LBB127_1613
.LBB127_1608:
	s_mov_b32 s16, -1
	s_branch .LBB127_1612
.LBB127_1609:
	s_or_saveexec_b32 s19, s19
	v_mov_b64_e32 v[0:1], 0x7ff8000020000000
	s_xor_b32 exec_lo, exec_lo, s19
	s_cbranch_execz .LBB127_1590
.LBB127_1610:
	v_cmp_ne_u16_e32 vcc_lo, 0, v2
	v_mov_b64_e32 v[0:1], 0
	s_and_not1_b32 s16, s16, exec_lo
	s_and_b32 s20, vcc_lo, exec_lo
	s_delay_alu instid0(SALU_CYCLE_1)
	s_or_b32 s16, s16, s20
	s_or_b32 exec_lo, exec_lo, s19
	s_and_saveexec_b32 s19, s16
	s_cbranch_execnz .LBB127_1591
	s_branch .LBB127_1592
.LBB127_1611:
	s_mov_b32 s0, -1
.LBB127_1612:
                                        ; implicit-def: $vgpr0_vgpr1
.LBB127_1613:
	s_and_b32 vcc_lo, exec_lo, s16
	s_mov_b32 s16, 0
	s_cbranch_vccz .LBB127_1615
; %bb.1614:
	s_cmp_lg_u32 s18, 11
	s_mov_b32 s16, -1
	s_cselect_b32 s0, -1, 0
.LBB127_1615:
	s_wait_loadcnt 0x0
	v_mov_b64_e32 v[2:3], 0
	s_and_b32 vcc_lo, exec_lo, s0
	s_cbranch_vccz .LBB127_1477
.LBB127_1616:
	s_or_b32 s1, s1, exec_lo
	s_trap 2
	s_cbranch_execz .LBB127_1478
	s_branch .LBB127_1479
.LBB127_1617:
	s_mov_b32 s0, -1
	s_mov_b32 s7, 0
.LBB127_1618:
                                        ; implicit-def: $vgpr2_vgpr3
.LBB127_1619:
	s_and_b32 vcc_lo, exec_lo, s19
	s_cbranch_vccz .LBB127_1624
; %bb.1620:
	s_cmp_eq_u32 s18, 44
	s_cbranch_scc0 .LBB127_1622
; %bb.1621:
	s_wait_loadcnt 0x0
	global_load_u8 v2, v[12:13], off
	s_mov_b32 s0, 0
	s_mov_b32 s7, -1
	s_wait_loadcnt 0x0
	v_cmp_ne_u32_e32 vcc_lo, 0xff, v2
	v_lshlrev_b32_e32 v0, 23, v2
	s_delay_alu instid0(VALU_DEP_1) | instskip(NEXT) | instid1(VALU_DEP_1)
	v_cvt_f64_f32_e32 v[0:1], v0
	v_cndmask_b32_e32 v0, 0x20000000, v0, vcc_lo
	s_delay_alu instid0(VALU_DEP_2) | instskip(SKIP_1) | instid1(VALU_DEP_2)
	v_cndmask_b32_e32 v1, 0x7ff80000, v1, vcc_lo
	v_cmp_ne_u32_e32 vcc_lo, 0, v2
	v_cndmask_b32_e32 v1, 0x38000000, v1, vcc_lo
	s_delay_alu instid0(VALU_DEP_4)
	v_cndmask_b32_e32 v0, 0, v0, vcc_lo
	s_branch .LBB127_1623
.LBB127_1622:
	s_mov_b32 s0, -1
                                        ; implicit-def: $vgpr0_vgpr1
.LBB127_1623:
	s_wait_loadcnt 0x0
	v_mov_b64_e32 v[2:3], 0
.LBB127_1624:
	s_mov_b32 s19, 0
.LBB127_1625:
	s_delay_alu instid0(SALU_CYCLE_1)
	s_and_b32 vcc_lo, exec_lo, s19
	s_cbranch_vccz .LBB127_1630
; %bb.1626:
	s_cmp_eq_u32 s18, 29
	s_cbranch_scc0 .LBB127_1628
; %bb.1627:
	s_wait_loadcnt 0x0
	global_load_b64 v[0:1], v[12:13], off
	s_mov_b32 s0, 0
	s_mov_b32 s7, -1
	s_wait_loadcnt 0x0
	v_cvt_f64_u32_e32 v[2:3], v1
	v_cvt_f64_u32_e32 v[0:1], v0
	s_delay_alu instid0(VALU_DEP_2) | instskip(NEXT) | instid1(VALU_DEP_1)
	v_ldexp_f64 v[2:3], v[2:3], 32
	v_add_f64_e32 v[0:1], v[2:3], v[0:1]
	s_branch .LBB127_1629
.LBB127_1628:
	s_mov_b32 s0, -1
                                        ; implicit-def: $vgpr0_vgpr1
.LBB127_1629:
	s_wait_loadcnt 0x0
	v_mov_b64_e32 v[2:3], 0
.LBB127_1630:
	s_mov_b32 s19, 0
.LBB127_1631:
	s_delay_alu instid0(SALU_CYCLE_1)
	s_and_b32 vcc_lo, exec_lo, s19
	s_cbranch_vccz .LBB127_1649
; %bb.1632:
	s_cmp_lt_i32 s18, 27
	s_cbranch_scc1 .LBB127_1635
; %bb.1633:
	s_cmp_gt_i32 s18, 27
	s_cbranch_scc0 .LBB127_1636
; %bb.1634:
	s_wait_loadcnt 0x0
	global_load_b32 v0, v[12:13], off
	s_mov_b32 s7, 0
	s_wait_loadcnt 0x0
	v_cvt_f64_u32_e32 v[0:1], v0
	s_branch .LBB127_1637
.LBB127_1635:
	s_mov_b32 s7, -1
                                        ; implicit-def: $vgpr0_vgpr1
	s_branch .LBB127_1640
.LBB127_1636:
	s_mov_b32 s7, -1
                                        ; implicit-def: $vgpr0_vgpr1
.LBB127_1637:
	s_delay_alu instid0(SALU_CYCLE_1)
	s_and_not1_b32 vcc_lo, exec_lo, s7
	s_cbranch_vccnz .LBB127_1639
; %bb.1638:
	s_wait_loadcnt 0x0
	global_load_u16 v0, v[12:13], off
	s_wait_loadcnt 0x0
	v_cvt_f64_u32_e32 v[0:1], v0
.LBB127_1639:
	s_mov_b32 s7, 0
.LBB127_1640:
	s_delay_alu instid0(SALU_CYCLE_1)
	s_and_not1_b32 vcc_lo, exec_lo, s7
	s_cbranch_vccnz .LBB127_1648
; %bb.1641:
	s_wait_loadcnt 0x0
	global_load_u8 v2, v[12:13], off
	s_mov_b32 s7, 0
	s_mov_b32 s19, exec_lo
	s_wait_loadcnt 0x0
	v_cmpx_lt_i16_e32 0x7f, v2
	s_xor_b32 s19, exec_lo, s19
	s_cbranch_execz .LBB127_1674
; %bb.1642:
	s_mov_b32 s7, -1
	s_mov_b32 s20, exec_lo
	v_cmpx_eq_u16_e32 0x80, v2
; %bb.1643:
	s_xor_b32 s7, exec_lo, -1
; %bb.1644:
	s_or_b32 exec_lo, exec_lo, s20
	s_delay_alu instid0(SALU_CYCLE_1)
	s_and_b32 s7, s7, exec_lo
	s_or_saveexec_b32 s19, s19
	v_mov_b64_e32 v[0:1], 0x7ff8000020000000
	s_xor_b32 exec_lo, exec_lo, s19
	s_cbranch_execnz .LBB127_1675
.LBB127_1645:
	s_or_b32 exec_lo, exec_lo, s19
	s_and_saveexec_b32 s19, s7
	s_cbranch_execz .LBB127_1647
.LBB127_1646:
	v_and_b32_e32 v0, 0xffff, v2
	s_delay_alu instid0(VALU_DEP_1) | instskip(SKIP_1) | instid1(VALU_DEP_2)
	v_and_b32_e32 v1, 7, v0
	v_bfe_u32 v7, v0, 3, 4
	v_clz_i32_u32_e32 v3, v1
	s_delay_alu instid0(VALU_DEP_2) | instskip(NEXT) | instid1(VALU_DEP_2)
	v_cmp_eq_u32_e32 vcc_lo, 0, v7
	v_min_u32_e32 v3, 32, v3
	s_delay_alu instid0(VALU_DEP_1) | instskip(NEXT) | instid1(VALU_DEP_1)
	v_subrev_nc_u32_e32 v5, 28, v3
	v_dual_lshlrev_b32 v0, v5, v0 :: v_dual_sub_nc_u32 v3, 29, v3
	s_delay_alu instid0(VALU_DEP_1) | instskip(NEXT) | instid1(VALU_DEP_1)
	v_dual_lshlrev_b32 v2, 24, v2 :: v_dual_bitop2_b32 v0, 7, v0 bitop3:0x40
	v_dual_cndmask_b32 v3, v7, v3 :: v_dual_cndmask_b32 v0, v1, v0
	s_delay_alu instid0(VALU_DEP_2) | instskip(NEXT) | instid1(VALU_DEP_2)
	v_and_b32_e32 v1, 0x80000000, v2
	v_lshl_add_u32 v2, v3, 23, 0x3b800000
	s_delay_alu instid0(VALU_DEP_3) | instskip(NEXT) | instid1(VALU_DEP_1)
	v_lshlrev_b32_e32 v0, 20, v0
	v_or3_b32 v0, v1, v2, v0
	s_delay_alu instid0(VALU_DEP_1)
	v_cvt_f64_f32_e32 v[0:1], v0
.LBB127_1647:
	s_or_b32 exec_lo, exec_lo, s19
.LBB127_1648:
	s_wait_loadcnt 0x0
	v_mov_b64_e32 v[2:3], 0
	s_mov_b32 s7, -1
.LBB127_1649:
	s_mov_b32 s19, 0
.LBB127_1650:
	s_delay_alu instid0(SALU_CYCLE_1)
	s_and_b32 vcc_lo, exec_lo, s19
	s_cbranch_vccz .LBB127_1661
; %bb.1651:
	s_cmp_gt_i32 s18, 22
	s_cbranch_scc0 .LBB127_1672
; %bb.1652:
	s_cmp_lt_i32 s18, 24
	s_cbranch_scc1 .LBB127_1676
; %bb.1653:
	s_cmp_gt_i32 s18, 24
	s_cbranch_scc0 .LBB127_1678
; %bb.1654:
	s_wait_loadcnt 0x0
	global_load_u8 v2, v[12:13], off
	s_mov_b32 s7, exec_lo
	s_wait_loadcnt 0x0
	v_cmpx_lt_i16_e32 0x7f, v2
	s_xor_b32 s7, exec_lo, s7
	s_cbranch_execz .LBB127_1690
; %bb.1655:
	s_mov_b32 s6, -1
	s_mov_b32 s19, exec_lo
	v_cmpx_eq_u16_e32 0x80, v2
; %bb.1656:
	s_xor_b32 s6, exec_lo, -1
; %bb.1657:
	s_or_b32 exec_lo, exec_lo, s19
	s_delay_alu instid0(SALU_CYCLE_1)
	s_and_b32 s6, s6, exec_lo
	s_or_saveexec_b32 s7, s7
	v_mov_b64_e32 v[0:1], 0x7ff8000020000000
	s_xor_b32 exec_lo, exec_lo, s7
	s_cbranch_execnz .LBB127_1691
.LBB127_1658:
	s_or_b32 exec_lo, exec_lo, s7
	s_and_saveexec_b32 s7, s6
	s_cbranch_execz .LBB127_1660
.LBB127_1659:
	v_and_b32_e32 v0, 0xffff, v2
	s_delay_alu instid0(VALU_DEP_1) | instskip(SKIP_1) | instid1(VALU_DEP_2)
	v_and_b32_e32 v1, 3, v0
	v_bfe_u32 v7, v0, 2, 5
	v_clz_i32_u32_e32 v3, v1
	s_delay_alu instid0(VALU_DEP_2) | instskip(NEXT) | instid1(VALU_DEP_2)
	v_cmp_eq_u32_e32 vcc_lo, 0, v7
	v_min_u32_e32 v3, 32, v3
	s_delay_alu instid0(VALU_DEP_1) | instskip(NEXT) | instid1(VALU_DEP_1)
	v_subrev_nc_u32_e32 v5, 29, v3
	v_dual_lshlrev_b32 v0, v5, v0 :: v_dual_sub_nc_u32 v3, 30, v3
	s_delay_alu instid0(VALU_DEP_1) | instskip(NEXT) | instid1(VALU_DEP_1)
	v_dual_lshlrev_b32 v2, 24, v2 :: v_dual_bitop2_b32 v0, 3, v0 bitop3:0x40
	v_dual_cndmask_b32 v3, v7, v3 :: v_dual_cndmask_b32 v0, v1, v0
	s_delay_alu instid0(VALU_DEP_2) | instskip(NEXT) | instid1(VALU_DEP_2)
	v_and_b32_e32 v1, 0x80000000, v2
	v_lshl_add_u32 v2, v3, 23, 0x37800000
	s_delay_alu instid0(VALU_DEP_3) | instskip(NEXT) | instid1(VALU_DEP_1)
	v_lshlrev_b32_e32 v0, 21, v0
	v_or3_b32 v0, v1, v2, v0
	s_delay_alu instid0(VALU_DEP_1)
	v_cvt_f64_f32_e32 v[0:1], v0
.LBB127_1660:
	s_or_b32 exec_lo, exec_lo, s7
	s_mov_b32 s6, 0
	s_branch .LBB127_1679
.LBB127_1661:
	s_and_b32 vcc_lo, exec_lo, s0
	s_cbranch_vccnz .LBB127_1709
.LBB127_1662:
	s_and_not1_b32 vcc_lo, exec_lo, s6
	s_cbranch_vccnz .LBB127_1664
.LBB127_1663:
	s_wait_loadcnt 0x0
	global_load_u8 v0, v[12:13], off
	v_mov_b64_e32 v[2:3], 0
	s_mov_b32 s7, -1
	s_wait_loadcnt 0x0
	v_cmp_ne_u16_e32 vcc_lo, 0, v0
	v_mov_b32_e32 v0, 0
	v_cndmask_b32_e64 v1, 0, 0x3ff00000, vcc_lo
.LBB127_1664:
	s_mov_b32 s0, 0
.LBB127_1665:
	s_delay_alu instid0(SALU_CYCLE_1)
	s_and_b32 vcc_lo, exec_lo, s0
	s_cbranch_vccz .LBB127_1740
; %bb.1666:
	s_cmp_lt_i32 s18, 5
	s_cbranch_scc1 .LBB127_1671
; %bb.1667:
	s_cmp_lt_i32 s18, 8
	s_cbranch_scc1 .LBB127_1673
	;; [unrolled: 3-line block ×3, first 2 shown]
; %bb.1669:
	s_cmp_gt_i32 s18, 9
	s_cbranch_scc0 .LBB127_1692
; %bb.1670:
	s_wait_loadcnt 0x0
	global_load_b128 v[0:3], v[12:13], off
	s_mov_b32 s0, 0
	s_branch .LBB127_1693
.LBB127_1671:
	s_mov_b32 s0, -1
                                        ; implicit-def: $vgpr2_vgpr3
	s_branch .LBB127_1718
.LBB127_1672:
	s_mov_b32 s6, -1
                                        ; implicit-def: $vgpr0_vgpr1
	s_branch .LBB127_1685
.LBB127_1673:
	s_mov_b32 s0, -1
                                        ; implicit-def: $vgpr2_vgpr3
	s_branch .LBB127_1699
.LBB127_1674:
	s_or_saveexec_b32 s19, s19
	v_mov_b64_e32 v[0:1], 0x7ff8000020000000
	s_xor_b32 exec_lo, exec_lo, s19
	s_cbranch_execz .LBB127_1645
.LBB127_1675:
	v_cmp_ne_u16_e32 vcc_lo, 0, v2
	v_mov_b64_e32 v[0:1], 0
	s_and_not1_b32 s7, s7, exec_lo
	s_and_b32 s20, vcc_lo, exec_lo
	s_delay_alu instid0(SALU_CYCLE_1)
	s_or_b32 s7, s7, s20
	s_or_b32 exec_lo, exec_lo, s19
	s_and_saveexec_b32 s19, s7
	s_cbranch_execnz .LBB127_1646
	s_branch .LBB127_1647
.LBB127_1676:
	s_mov_b32 s6, -1
                                        ; implicit-def: $vgpr0_vgpr1
	s_branch .LBB127_1682
.LBB127_1677:
	s_mov_b32 s0, -1
                                        ; implicit-def: $vgpr2_vgpr3
	s_branch .LBB127_1696
.LBB127_1678:
	s_mov_b32 s6, -1
                                        ; implicit-def: $vgpr0_vgpr1
.LBB127_1679:
	s_delay_alu instid0(SALU_CYCLE_1)
	s_and_b32 vcc_lo, exec_lo, s6
	s_cbranch_vccz .LBB127_1681
; %bb.1680:
	s_wait_loadcnt 0x0
	global_load_u8 v0, v[12:13], off
	s_wait_loadcnt 0x0
	v_lshlrev_b32_e32 v0, 24, v0
	s_delay_alu instid0(VALU_DEP_1) | instskip(NEXT) | instid1(VALU_DEP_1)
	v_and_b32_e32 v1, 0x7f000000, v0
	v_clz_i32_u32_e32 v2, v1
	v_add_nc_u32_e32 v5, 0x1000000, v1
	v_cmp_ne_u32_e32 vcc_lo, 0, v1
	s_delay_alu instid0(VALU_DEP_3) | instskip(NEXT) | instid1(VALU_DEP_1)
	v_min_u32_e32 v2, 32, v2
	v_sub_nc_u32_e64 v2, v2, 4 clamp
	s_delay_alu instid0(VALU_DEP_1) | instskip(NEXT) | instid1(VALU_DEP_1)
	v_dual_lshlrev_b32 v3, v2, v1 :: v_dual_lshlrev_b32 v2, 23, v2
	v_lshrrev_b32_e32 v3, 4, v3
	s_delay_alu instid0(VALU_DEP_1) | instskip(NEXT) | instid1(VALU_DEP_1)
	v_dual_sub_nc_u32 v2, v3, v2 :: v_dual_ashrrev_i32 v3, 8, v5
	v_add_nc_u32_e32 v2, 0x3c000000, v2
	s_delay_alu instid0(VALU_DEP_1) | instskip(NEXT) | instid1(VALU_DEP_1)
	v_and_or_b32 v2, 0x7f800000, v3, v2
	v_cndmask_b32_e32 v1, 0, v2, vcc_lo
	s_delay_alu instid0(VALU_DEP_1) | instskip(NEXT) | instid1(VALU_DEP_1)
	v_and_or_b32 v0, 0x80000000, v0, v1
	v_cvt_f64_f32_e32 v[0:1], v0
.LBB127_1681:
	s_mov_b32 s6, 0
.LBB127_1682:
	s_delay_alu instid0(SALU_CYCLE_1)
	s_and_not1_b32 vcc_lo, exec_lo, s6
	s_cbranch_vccnz .LBB127_1684
; %bb.1683:
	s_wait_loadcnt 0x0
	global_load_u8 v0, v[12:13], off
	s_wait_loadcnt 0x0
	v_lshlrev_b32_e32 v1, 25, v0
	v_lshlrev_b16 v0, 8, v0
	s_delay_alu instid0(VALU_DEP_1) | instskip(SKIP_1) | instid1(VALU_DEP_2)
	v_and_or_b32 v3, 0x7f00, v0, 0.5
	v_bfe_i32 v0, v0, 0, 16
	v_dual_add_f32 v3, -0.5, v3 :: v_dual_lshrrev_b32 v2, 4, v1
	v_cmp_gt_u32_e32 vcc_lo, 0x8000000, v1
	s_delay_alu instid0(VALU_DEP_2) | instskip(NEXT) | instid1(VALU_DEP_1)
	v_or_b32_e32 v2, 0x70000000, v2
	v_mul_f32_e32 v2, 0x7800000, v2
	s_delay_alu instid0(VALU_DEP_1) | instskip(NEXT) | instid1(VALU_DEP_1)
	v_cndmask_b32_e32 v1, v2, v3, vcc_lo
	v_and_or_b32 v0, 0x80000000, v0, v1
	s_delay_alu instid0(VALU_DEP_1)
	v_cvt_f64_f32_e32 v[0:1], v0
.LBB127_1684:
	s_mov_b32 s6, 0
	s_mov_b32 s7, -1
.LBB127_1685:
	s_and_not1_b32 vcc_lo, exec_lo, s6
	s_mov_b32 s6, 0
	s_cbranch_vccnz .LBB127_1708
; %bb.1686:
	s_cmp_gt_i32 s18, 14
	s_cbranch_scc0 .LBB127_1689
; %bb.1687:
	s_cmp_eq_u32 s18, 15
	s_cbranch_scc0 .LBB127_1704
; %bb.1688:
	s_wait_loadcnt 0x0
	global_load_u16 v0, v[12:13], off
	s_mov_b32 s0, 0
	s_mov_b32 s7, -1
	s_wait_loadcnt 0x0
	v_lshlrev_b32_e32 v0, 16, v0
	s_delay_alu instid0(VALU_DEP_1)
	v_cvt_f64_f32_e32 v[0:1], v0
	s_branch .LBB127_1706
.LBB127_1689:
	s_mov_b32 s6, -1
	s_branch .LBB127_1705
.LBB127_1690:
	s_or_saveexec_b32 s7, s7
	v_mov_b64_e32 v[0:1], 0x7ff8000020000000
	s_xor_b32 exec_lo, exec_lo, s7
	s_cbranch_execz .LBB127_1658
.LBB127_1691:
	v_cmp_ne_u16_e32 vcc_lo, 0, v2
	v_mov_b64_e32 v[0:1], 0
	s_and_not1_b32 s6, s6, exec_lo
	s_and_b32 s19, vcc_lo, exec_lo
	s_delay_alu instid0(SALU_CYCLE_1)
	s_or_b32 s6, s6, s19
	s_or_b32 exec_lo, exec_lo, s7
	s_and_saveexec_b32 s7, s6
	s_cbranch_execnz .LBB127_1659
	s_branch .LBB127_1660
.LBB127_1692:
	s_mov_b32 s0, -1
                                        ; implicit-def: $vgpr2_vgpr3
.LBB127_1693:
	s_delay_alu instid0(SALU_CYCLE_1)
	s_and_not1_b32 vcc_lo, exec_lo, s0
	s_cbranch_vccnz .LBB127_1695
; %bb.1694:
	s_wait_loadcnt 0x0
	global_load_b64 v[2:3], v[12:13], off
	s_wait_loadcnt 0x0
	v_cvt_f64_f32_e32 v[0:1], v2
	v_cvt_f64_f32_e32 v[2:3], v3
.LBB127_1695:
	s_mov_b32 s0, 0
.LBB127_1696:
	s_delay_alu instid0(SALU_CYCLE_1)
	s_and_not1_b32 vcc_lo, exec_lo, s0
	s_cbranch_vccnz .LBB127_1698
; %bb.1697:
	s_wait_loadcnt 0x0
	global_load_b32 v0, v[12:13], off
	s_wait_loadcnt 0x0
	v_lshrrev_b32_e32 v1, 16, v0
	v_cvt_f32_f16_e32 v0, v0
	s_delay_alu instid0(VALU_DEP_2) | instskip(NEXT) | instid1(VALU_DEP_2)
	v_cvt_f32_f16_e32 v2, v1
	v_cvt_f64_f32_e32 v[0:1], v0
	s_delay_alu instid0(VALU_DEP_2)
	v_cvt_f64_f32_e32 v[2:3], v2
.LBB127_1698:
	s_mov_b32 s0, 0
.LBB127_1699:
	s_delay_alu instid0(SALU_CYCLE_1)
	s_and_not1_b32 vcc_lo, exec_lo, s0
	s_cbranch_vccnz .LBB127_1717
; %bb.1700:
	s_cmp_lt_i32 s18, 6
	s_cbranch_scc1 .LBB127_1703
; %bb.1701:
	s_cmp_gt_i32 s18, 6
	s_cbranch_scc0 .LBB127_1710
; %bb.1702:
	s_wait_loadcnt 0x0
	global_load_b64 v[0:1], v[12:13], off
	s_mov_b32 s0, 0
	s_branch .LBB127_1711
.LBB127_1703:
	s_mov_b32 s0, -1
                                        ; implicit-def: $vgpr0_vgpr1
	s_branch .LBB127_1714
.LBB127_1704:
	s_mov_b32 s0, -1
.LBB127_1705:
                                        ; implicit-def: $vgpr0_vgpr1
.LBB127_1706:
	s_and_b32 vcc_lo, exec_lo, s6
	s_mov_b32 s6, 0
	s_cbranch_vccz .LBB127_1708
; %bb.1707:
	s_cmp_lg_u32 s18, 11
	s_mov_b32 s6, -1
	s_cselect_b32 s0, -1, 0
.LBB127_1708:
	s_wait_loadcnt 0x0
	v_mov_b64_e32 v[2:3], 0
	s_and_b32 vcc_lo, exec_lo, s0
	s_cbranch_vccz .LBB127_1662
.LBB127_1709:
	s_or_b32 s1, s1, exec_lo
	s_trap 2
	s_cbranch_execz .LBB127_1663
	s_branch .LBB127_1664
.LBB127_1710:
	s_mov_b32 s0, -1
                                        ; implicit-def: $vgpr0_vgpr1
.LBB127_1711:
	s_delay_alu instid0(SALU_CYCLE_1)
	s_and_not1_b32 vcc_lo, exec_lo, s0
	s_cbranch_vccnz .LBB127_1713
; %bb.1712:
	s_wait_loadcnt 0x0
	global_load_b32 v0, v[12:13], off
	s_wait_loadcnt 0x0
	v_cvt_f64_f32_e32 v[0:1], v0
.LBB127_1713:
	s_mov_b32 s0, 0
.LBB127_1714:
	s_delay_alu instid0(SALU_CYCLE_1)
	s_and_not1_b32 vcc_lo, exec_lo, s0
	s_cbranch_vccnz .LBB127_1716
; %bb.1715:
	s_wait_loadcnt 0x0
	global_load_u16 v0, v[12:13], off
	s_wait_loadcnt 0x0
	v_cvt_f32_f16_e32 v0, v0
	s_delay_alu instid0(VALU_DEP_1)
	v_cvt_f64_f32_e32 v[0:1], v0
.LBB127_1716:
	s_wait_loadcnt 0x0
	v_mov_b64_e32 v[2:3], 0
.LBB127_1717:
	s_mov_b32 s0, 0
.LBB127_1718:
	s_delay_alu instid0(SALU_CYCLE_1)
	s_and_not1_b32 vcc_lo, exec_lo, s0
	s_cbranch_vccnz .LBB127_1739
; %bb.1719:
	s_cmp_lt_i32 s18, 2
	s_cbranch_scc1 .LBB127_1723
; %bb.1720:
	s_cmp_lt_i32 s18, 3
	s_cbranch_scc1 .LBB127_1724
; %bb.1721:
	s_cmp_gt_i32 s18, 3
	s_cbranch_scc0 .LBB127_1725
; %bb.1722:
	s_wait_loadcnt 0x0
	global_load_b64 v[0:1], v[12:13], off
	s_mov_b32 s0, 0
	s_wait_loadcnt 0x0
	v_cvt_f64_i32_e32 v[2:3], v1
	v_cvt_f64_u32_e32 v[0:1], v0
	s_delay_alu instid0(VALU_DEP_2) | instskip(NEXT) | instid1(VALU_DEP_1)
	v_ldexp_f64 v[2:3], v[2:3], 32
	v_add_f64_e32 v[0:1], v[2:3], v[0:1]
	s_branch .LBB127_1726
.LBB127_1723:
	s_mov_b32 s0, -1
                                        ; implicit-def: $vgpr0_vgpr1
	s_branch .LBB127_1732
.LBB127_1724:
	s_mov_b32 s0, -1
                                        ; implicit-def: $vgpr0_vgpr1
	s_branch .LBB127_1729
.LBB127_1725:
	s_mov_b32 s0, -1
                                        ; implicit-def: $vgpr0_vgpr1
.LBB127_1726:
	s_delay_alu instid0(SALU_CYCLE_1)
	s_and_not1_b32 vcc_lo, exec_lo, s0
	s_cbranch_vccnz .LBB127_1728
; %bb.1727:
	s_wait_loadcnt 0x0
	global_load_b32 v0, v[12:13], off
	s_wait_loadcnt 0x0
	v_cvt_f64_i32_e32 v[0:1], v0
.LBB127_1728:
	s_mov_b32 s0, 0
.LBB127_1729:
	s_delay_alu instid0(SALU_CYCLE_1)
	s_and_not1_b32 vcc_lo, exec_lo, s0
	s_cbranch_vccnz .LBB127_1731
; %bb.1730:
	s_wait_loadcnt 0x0
	global_load_i16 v0, v[12:13], off
	s_wait_loadcnt 0x0
	v_cvt_f64_i32_e32 v[0:1], v0
.LBB127_1731:
	s_mov_b32 s0, 0
.LBB127_1732:
	s_delay_alu instid0(SALU_CYCLE_1)
	s_and_not1_b32 vcc_lo, exec_lo, s0
	s_cbranch_vccnz .LBB127_1738
; %bb.1733:
	s_cmp_gt_i32 s18, 0
	s_mov_b32 s0, 0
	s_cbranch_scc0 .LBB127_1735
; %bb.1734:
	s_wait_loadcnt 0x0
	global_load_i8 v0, v[12:13], off
	s_wait_loadcnt 0x0
	v_cvt_f64_i32_e32 v[0:1], v0
	s_branch .LBB127_1736
.LBB127_1735:
	s_mov_b32 s0, -1
                                        ; implicit-def: $vgpr0_vgpr1
.LBB127_1736:
	s_delay_alu instid0(SALU_CYCLE_1)
	s_and_not1_b32 vcc_lo, exec_lo, s0
	s_cbranch_vccnz .LBB127_1738
; %bb.1737:
	s_wait_loadcnt 0x0
	global_load_u8 v0, v[12:13], off
	s_wait_loadcnt 0x0
	v_cvt_f64_u32_e32 v[0:1], v0
.LBB127_1738:
	s_wait_loadcnt 0x0
	v_mov_b64_e32 v[2:3], 0
.LBB127_1739:
	s_mov_b32 s7, -1
.LBB127_1740:
	s_delay_alu instid0(SALU_CYCLE_1)
	s_and_not1_b32 vcc_lo, exec_lo, s7
	s_cbranch_vccnz .LBB127_1743
; %bb.1741:
	s_and_b32 vcc_lo, exec_lo, s17
	s_cbranch_vccz .LBB127_1789
; %bb.1742:
	s_wait_loadcnt 0x0
	s_delay_alu instid0(VALU_DEP_1) | instskip(NEXT) | instid1(VALU_DEP_2)
	v_cmp_neq_f64_e32 vcc_lo, s[8:9], v[0:1]
	v_cmp_neq_f64_e64 s0, s[10:11], v[2:3]
	s_or_b32 s6, vcc_lo, s0
	s_mov_b32 s0, 0
	s_branch .LBB127_1790
.LBB127_1743:
	s_mov_b32 s0, 0
	s_wait_xcnt 0x0
	s_mov_b32 s3, 0
                                        ; implicit-def: $sgpr6
.LBB127_1744:
                                        ; implicit-def: $vgpr0_vgpr1
                                        ; implicit-def: $sgpr7
.LBB127_1745:
	s_and_not1_b32 s2, s12, exec_lo
	s_and_b32 s1, s1, exec_lo
	s_and_b32 s0, s0, exec_lo
	;; [unrolled: 1-line block ×3, first 2 shown]
	s_or_b32 s12, s2, s1
.LBB127_1746:
	s_wait_xcnt 0x0
	s_or_b32 exec_lo, exec_lo, s13
	s_and_saveexec_b32 s1, s12
	s_cbranch_execz .LBB127_1749
; %bb.1747:
	; divergent unreachable
	s_or_b32 exec_lo, exec_lo, s1
	s_and_saveexec_b32 s1, s35
	s_delay_alu instid0(SALU_CYCLE_1)
	s_xor_b32 s1, exec_lo, s1
	s_cbranch_execnz .LBB127_1750
.LBB127_1748:
	s_or_b32 exec_lo, exec_lo, s1
	s_and_saveexec_b32 s1, s0
	s_cbranch_execnz .LBB127_1751
	s_branch .LBB127_1788
.LBB127_1749:
	s_or_b32 exec_lo, exec_lo, s1
	s_and_saveexec_b32 s1, s35
	s_delay_alu instid0(SALU_CYCLE_1)
	s_xor_b32 s1, exec_lo, s1
	s_cbranch_execz .LBB127_1748
.LBB127_1750:
	s_wait_loadcnt 0x0
	v_cndmask_b32_e64 v2, 0, 1, s6
	global_store_b8 v[0:1], v2, off
	s_wait_xcnt 0x0
	s_or_b32 exec_lo, exec_lo, s1
	s_and_saveexec_b32 s1, s0
	s_cbranch_execz .LBB127_1788
.LBB127_1751:
	s_sext_i32_i16 s1, s7
	s_mov_b32 s0, -1
	s_cmp_lt_i32 s1, 5
	s_cbranch_scc1 .LBB127_1772
; %bb.1752:
	s_cmp_lt_i32 s1, 8
	s_cbranch_scc1 .LBB127_1762
; %bb.1753:
	;; [unrolled: 3-line block ×3, first 2 shown]
	s_cmp_gt_i32 s1, 9
	s_cbranch_scc0 .LBB127_1756
; %bb.1755:
	s_wait_loadcnt 0x0
	v_cndmask_b32_e64 v2, 0, 1, s6
	v_mov_b32_e32 v4, 0
	s_mov_b32 s0, 0
	s_delay_alu instid0(VALU_DEP_2) | instskip(NEXT) | instid1(VALU_DEP_2)
	v_cvt_f64_u32_e32 v[2:3], v2
	v_mov_b32_e32 v5, v4
	global_store_b128 v[0:1], v[2:5], off
.LBB127_1756:
	s_and_not1_b32 vcc_lo, exec_lo, s0
	s_cbranch_vccnz .LBB127_1758
; %bb.1757:
	s_wait_loadcnt 0x0
	v_cndmask_b32_e64 v2, 0, 1.0, s6
	v_mov_b32_e32 v3, 0
	global_store_b64 v[0:1], v[2:3], off
.LBB127_1758:
	s_mov_b32 s0, 0
.LBB127_1759:
	s_delay_alu instid0(SALU_CYCLE_1)
	s_and_not1_b32 vcc_lo, exec_lo, s0
	s_cbranch_vccnz .LBB127_1761
; %bb.1760:
	s_wait_loadcnt 0x0
	v_cndmask_b32_e64 v2, 0, 1.0, s6
	s_delay_alu instid0(VALU_DEP_1) | instskip(NEXT) | instid1(VALU_DEP_1)
	v_cvt_f16_f32_e32 v2, v2
	v_and_b32_e32 v2, 0xffff, v2
	global_store_b32 v[0:1], v2, off
.LBB127_1761:
	s_mov_b32 s0, 0
.LBB127_1762:
	s_delay_alu instid0(SALU_CYCLE_1)
	s_and_not1_b32 vcc_lo, exec_lo, s0
	s_cbranch_vccnz .LBB127_1771
; %bb.1763:
	s_sext_i32_i16 s1, s7
	s_mov_b32 s0, -1
	s_cmp_lt_i32 s1, 6
	s_cbranch_scc1 .LBB127_1769
; %bb.1764:
	s_cmp_gt_i32 s1, 6
	s_cbranch_scc0 .LBB127_1766
; %bb.1765:
	s_wait_loadcnt 0x0
	v_cndmask_b32_e64 v2, 0, 1, s6
	s_mov_b32 s0, 0
	s_delay_alu instid0(VALU_DEP_1)
	v_cvt_f64_u32_e32 v[2:3], v2
	global_store_b64 v[0:1], v[2:3], off
.LBB127_1766:
	s_and_not1_b32 vcc_lo, exec_lo, s0
	s_cbranch_vccnz .LBB127_1768
; %bb.1767:
	s_wait_loadcnt 0x0
	v_cndmask_b32_e64 v2, 0, 1.0, s6
	global_store_b32 v[0:1], v2, off
.LBB127_1768:
	s_mov_b32 s0, 0
.LBB127_1769:
	s_delay_alu instid0(SALU_CYCLE_1)
	s_and_not1_b32 vcc_lo, exec_lo, s0
	s_cbranch_vccnz .LBB127_1771
; %bb.1770:
	s_wait_loadcnt 0x0
	v_cndmask_b32_e64 v2, 0, 1.0, s6
	s_delay_alu instid0(VALU_DEP_1)
	v_cvt_f16_f32_e32 v2, v2
	global_store_b16 v[0:1], v2, off
.LBB127_1771:
	s_mov_b32 s0, 0
.LBB127_1772:
	s_delay_alu instid0(SALU_CYCLE_1)
	s_and_not1_b32 vcc_lo, exec_lo, s0
	s_cbranch_vccnz .LBB127_1788
; %bb.1773:
	s_sext_i32_i16 s1, s7
	s_mov_b32 s0, -1
	s_cmp_lt_i32 s1, 2
	s_cbranch_scc1 .LBB127_1783
; %bb.1774:
	s_cmp_lt_i32 s1, 3
	s_cbranch_scc1 .LBB127_1780
; %bb.1775:
	s_cmp_gt_i32 s1, 3
	s_cbranch_scc0 .LBB127_1777
; %bb.1776:
	s_mov_b32 s0, 0
	s_wait_loadcnt 0x0
	v_cndmask_b32_e64 v2, 0, 1, s6
	v_mov_b32_e32 v3, s0
	global_store_b64 v[0:1], v[2:3], off
.LBB127_1777:
	s_and_not1_b32 vcc_lo, exec_lo, s0
	s_cbranch_vccnz .LBB127_1779
; %bb.1778:
	s_wait_loadcnt 0x0
	v_cndmask_b32_e64 v2, 0, 1, s6
	global_store_b32 v[0:1], v2, off
.LBB127_1779:
	s_mov_b32 s0, 0
.LBB127_1780:
	s_delay_alu instid0(SALU_CYCLE_1)
	s_and_not1_b32 vcc_lo, exec_lo, s0
	s_cbranch_vccnz .LBB127_1782
; %bb.1781:
	s_wait_loadcnt 0x0
	v_cndmask_b32_e64 v2, 0, 1, s6
	global_store_b16 v[0:1], v2, off
.LBB127_1782:
	s_mov_b32 s0, 0
.LBB127_1783:
	s_delay_alu instid0(SALU_CYCLE_1)
	s_and_not1_b32 vcc_lo, exec_lo, s0
	s_cbranch_vccnz .LBB127_1788
; %bb.1784:
	s_sext_i32_i16 s0, s7
	s_delay_alu instid0(SALU_CYCLE_1)
	s_cmp_gt_i32 s0, 0
	s_mov_b32 s0, -1
	s_cbranch_scc0 .LBB127_1786
; %bb.1785:
	s_wait_loadcnt 0x0
	v_cndmask_b32_e64 v2, 0, 1, s6
	s_mov_b32 s0, 0
	global_store_b8 v[0:1], v2, off
.LBB127_1786:
	s_and_not1_b32 vcc_lo, exec_lo, s0
	s_cbranch_vccnz .LBB127_1788
; %bb.1787:
	s_wait_loadcnt 0x0
	v_cndmask_b32_e64 v2, 0, 1, s6
	global_store_b8 v[0:1], v2, off
	s_endpgm
.LBB127_1788:
	s_endpgm
.LBB127_1789:
	s_mov_b32 s0, -1
                                        ; implicit-def: $sgpr6
.LBB127_1790:
	s_delay_alu instid0(SALU_CYCLE_1)
	s_and_not1_b32 vcc_lo, exec_lo, s0
	s_cbranch_vccnz .LBB127_1792
; %bb.1791:
	s_wait_loadcnt 0x0
	s_delay_alu instid0(VALU_DEP_1) | instskip(NEXT) | instid1(VALU_DEP_2)
	v_cmp_eq_f64_e32 vcc_lo, s[8:9], v[0:1]
	v_cmp_eq_f64_e64 s0, s[10:11], v[2:3]
	s_and_not1_b32 s6, s6, exec_lo
	s_and_b32 s0, vcc_lo, s0
	s_delay_alu instid0(SALU_CYCLE_1) | instskip(NEXT) | instid1(SALU_CYCLE_1)
	s_and_b32 s0, s0, exec_lo
	s_or_b32 s6, s6, s0
.LBB127_1792:
	s_load_b32 s0, s[2:3], 0x180
	v_mov_b32_e32 v11, 0
	s_wait_loadcnt 0x0
	s_delay_alu instid0(VALU_DEP_1) | instskip(SKIP_2) | instid1(SALU_CYCLE_1)
	v_add_nc_u64_e32 v[0:1], s[4:5], v[10:11]
	s_wait_kmcnt 0x0
	s_and_b32 s7, s0, 0xff
	s_cmp_lt_i32 s7, 11
	s_cbranch_scc1 .LBB127_1870
; %bb.1793:
	s_and_b32 s2, 0xffff, s7
	s_mov_b32 s9, -1
	s_mov_b32 s3, 0
	s_cmp_gt_i32 s2, 25
	s_mov_b32 s8, 0
	s_mov_b32 s0, 0
	s_cbranch_scc0 .LBB127_1826
; %bb.1794:
	s_cmp_gt_i32 s2, 28
	s_cbranch_scc0 .LBB127_1809
; %bb.1795:
	s_cmp_gt_i32 s2, 43
	;; [unrolled: 3-line block ×3, first 2 shown]
	s_cbranch_scc0 .LBB127_1799
; %bb.1797:
	s_mov_b32 s0, -1
	s_mov_b32 s9, 0
	s_cmp_eq_u32 s2, 46
	s_cbranch_scc0 .LBB127_1799
; %bb.1798:
	v_cndmask_b32_e64 v2, 0, 1.0, s14
	s_mov_b32 s0, 0
	s_mov_b32 s8, -1
	s_delay_alu instid0(VALU_DEP_1) | instskip(NEXT) | instid1(VALU_DEP_1)
	v_bfe_u32 v3, v2, 16, 1
	v_add3_u32 v2, v2, v3, 0x7fff
	s_delay_alu instid0(VALU_DEP_1)
	v_lshrrev_b32_e32 v2, 16, v2
	global_store_b32 v[0:1], v2, off
.LBB127_1799:
	s_and_b32 vcc_lo, exec_lo, s9
	s_cbranch_vccz .LBB127_1804
; %bb.1800:
	s_cmp_eq_u32 s2, 44
	s_mov_b32 s0, -1
	s_cbranch_scc0 .LBB127_1804
; %bb.1801:
	v_cndmask_b32_e64 v5, 0, 1.0, s14
	s_mov_b32 s8, exec_lo
	s_wait_xcnt 0x0
	s_delay_alu instid0(VALU_DEP_1) | instskip(NEXT) | instid1(VALU_DEP_1)
	v_dual_mov_b32 v3, 0xff :: v_dual_lshrrev_b32 v2, 23, v5
	v_cmpx_ne_u32_e32 0xff, v2
; %bb.1802:
	v_and_b32_e32 v3, 0x400000, v5
	v_and_or_b32 v5, 0x3fffff, v5, v2
	s_delay_alu instid0(VALU_DEP_2) | instskip(NEXT) | instid1(VALU_DEP_2)
	v_cmp_ne_u32_e32 vcc_lo, 0, v3
	v_cmp_ne_u32_e64 s0, 0, v5
	s_and_b32 s0, vcc_lo, s0
	s_delay_alu instid0(SALU_CYCLE_1) | instskip(NEXT) | instid1(VALU_DEP_1)
	v_cndmask_b32_e64 v3, 0, 1, s0
	v_add_nc_u32_e32 v3, v2, v3
; %bb.1803:
	s_or_b32 exec_lo, exec_lo, s8
	s_mov_b32 s0, 0
	s_mov_b32 s8, -1
	global_store_b8 v[0:1], v3, off
.LBB127_1804:
	s_mov_b32 s9, 0
.LBB127_1805:
	s_delay_alu instid0(SALU_CYCLE_1)
	s_and_b32 vcc_lo, exec_lo, s9
	s_cbranch_vccz .LBB127_1808
; %bb.1806:
	s_cmp_eq_u32 s2, 29
	s_mov_b32 s0, -1
	s_cbranch_scc0 .LBB127_1808
; %bb.1807:
	s_mov_b32 s0, 0
	s_wait_xcnt 0x0
	v_cndmask_b32_e64 v2, 0, 1, s14
	v_mov_b32_e32 v3, s0
	s_mov_b32 s8, -1
	global_store_b64 v[0:1], v[2:3], off
.LBB127_1808:
	s_mov_b32 s9, 0
.LBB127_1809:
	s_delay_alu instid0(SALU_CYCLE_1)
	s_and_b32 vcc_lo, exec_lo, s9
	s_cbranch_vccz .LBB127_1825
; %bb.1810:
	s_cmp_lt_i32 s2, 27
	s_mov_b32 s8, -1
	s_cbranch_scc1 .LBB127_1816
; %bb.1811:
	s_cmp_gt_i32 s2, 27
	s_cbranch_scc0 .LBB127_1813
; %bb.1812:
	s_wait_xcnt 0x0
	v_cndmask_b32_e64 v2, 0, 1, s14
	s_mov_b32 s8, 0
	global_store_b32 v[0:1], v2, off
.LBB127_1813:
	s_and_not1_b32 vcc_lo, exec_lo, s8
	s_cbranch_vccnz .LBB127_1815
; %bb.1814:
	s_wait_xcnt 0x0
	v_cndmask_b32_e64 v2, 0, 1, s14
	global_store_b16 v[0:1], v2, off
.LBB127_1815:
	s_mov_b32 s8, 0
.LBB127_1816:
	s_delay_alu instid0(SALU_CYCLE_1)
	s_and_not1_b32 vcc_lo, exec_lo, s8
	s_cbranch_vccnz .LBB127_1824
; %bb.1817:
	s_wait_xcnt 0x0
	v_cndmask_b32_e64 v3, 0, 1.0, s14
	v_mov_b32_e32 v5, 0x80
	s_mov_b32 s8, exec_lo
	s_delay_alu instid0(VALU_DEP_2)
	v_cmpx_gt_u32_e32 0x43800000, v3
	s_cbranch_execz .LBB127_1823
; %bb.1818:
	s_mov_b32 s9, 0
	s_mov_b32 s10, exec_lo
                                        ; implicit-def: $vgpr2
	v_cmpx_lt_u32_e32 0x3bffffff, v3
	s_xor_b32 s10, exec_lo, s10
	s_cbranch_execz .LBB127_2227
; %bb.1819:
	v_bfe_u32 v2, v3, 20, 1
	s_mov_b32 s9, exec_lo
	s_delay_alu instid0(VALU_DEP_1) | instskip(NEXT) | instid1(VALU_DEP_1)
	v_add3_u32 v2, v3, v2, 0x487ffff
                                        ; implicit-def: $vgpr3
	v_lshrrev_b32_e32 v2, 20, v2
	s_and_not1_saveexec_b32 s10, s10
	s_cbranch_execnz .LBB127_2228
.LBB127_1820:
	s_or_b32 exec_lo, exec_lo, s10
	v_mov_b32_e32 v5, 0
	s_and_saveexec_b32 s10, s9
.LBB127_1821:
	v_mov_b32_e32 v5, v2
.LBB127_1822:
	s_or_b32 exec_lo, exec_lo, s10
.LBB127_1823:
	s_delay_alu instid0(SALU_CYCLE_1)
	s_or_b32 exec_lo, exec_lo, s8
	global_store_b8 v[0:1], v5, off
.LBB127_1824:
	s_mov_b32 s8, -1
.LBB127_1825:
	s_mov_b32 s9, 0
.LBB127_1826:
	s_delay_alu instid0(SALU_CYCLE_1)
	s_and_b32 vcc_lo, exec_lo, s9
	s_cbranch_vccz .LBB127_1866
; %bb.1827:
	s_cmp_gt_i32 s2, 22
	s_mov_b32 s3, -1
	s_cbranch_scc0 .LBB127_1859
; %bb.1828:
	s_cmp_lt_i32 s2, 24
	s_cbranch_scc1 .LBB127_1848
; %bb.1829:
	s_cmp_gt_i32 s2, 24
	s_cbranch_scc0 .LBB127_1837
; %bb.1830:
	s_wait_xcnt 0x0
	v_cndmask_b32_e64 v3, 0, 1.0, s14
	v_mov_b32_e32 v5, 0x80
	s_mov_b32 s3, exec_lo
	s_delay_alu instid0(VALU_DEP_2)
	v_cmpx_gt_u32_e32 0x47800000, v3
	s_cbranch_execz .LBB127_1836
; %bb.1831:
	s_mov_b32 s8, 0
	s_mov_b32 s9, exec_lo
                                        ; implicit-def: $vgpr2
	v_cmpx_lt_u32_e32 0x37ffffff, v3
	s_xor_b32 s9, exec_lo, s9
	s_cbranch_execz .LBB127_2230
; %bb.1832:
	v_bfe_u32 v2, v3, 21, 1
	s_mov_b32 s8, exec_lo
	s_delay_alu instid0(VALU_DEP_1) | instskip(NEXT) | instid1(VALU_DEP_1)
	v_add3_u32 v2, v3, v2, 0x88fffff
                                        ; implicit-def: $vgpr3
	v_lshrrev_b32_e32 v2, 21, v2
	s_and_not1_saveexec_b32 s9, s9
	s_cbranch_execnz .LBB127_2231
.LBB127_1833:
	s_or_b32 exec_lo, exec_lo, s9
	v_mov_b32_e32 v5, 0
	s_and_saveexec_b32 s9, s8
.LBB127_1834:
	v_mov_b32_e32 v5, v2
.LBB127_1835:
	s_or_b32 exec_lo, exec_lo, s9
.LBB127_1836:
	s_delay_alu instid0(SALU_CYCLE_1)
	s_or_b32 exec_lo, exec_lo, s3
	s_mov_b32 s3, 0
	global_store_b8 v[0:1], v5, off
.LBB127_1837:
	s_and_b32 vcc_lo, exec_lo, s3
	s_cbranch_vccz .LBB127_1847
; %bb.1838:
	s_wait_xcnt 0x0
	v_cndmask_b32_e64 v3, 0, 1.0, s14
	s_mov_b32 s3, exec_lo
                                        ; implicit-def: $vgpr2
	s_delay_alu instid0(VALU_DEP_1)
	v_cmpx_gt_u32_e32 0x43f00000, v3
	s_xor_b32 s3, exec_lo, s3
	s_cbranch_execz .LBB127_1844
; %bb.1839:
	s_mov_b32 s8, exec_lo
                                        ; implicit-def: $vgpr2
	v_cmpx_lt_u32_e32 0x3c7fffff, v3
	s_xor_b32 s8, exec_lo, s8
; %bb.1840:
	v_bfe_u32 v2, v3, 20, 1
	s_delay_alu instid0(VALU_DEP_1) | instskip(NEXT) | instid1(VALU_DEP_1)
	v_add3_u32 v2, v3, v2, 0x407ffff
	v_and_b32_e32 v3, 0xff00000, v2
	v_lshrrev_b32_e32 v2, 20, v2
	s_delay_alu instid0(VALU_DEP_2) | instskip(NEXT) | instid1(VALU_DEP_2)
	v_cmp_ne_u32_e32 vcc_lo, 0x7f00000, v3
                                        ; implicit-def: $vgpr3
	v_cndmask_b32_e32 v2, 0x7e, v2, vcc_lo
; %bb.1841:
	s_and_not1_saveexec_b32 s8, s8
; %bb.1842:
	v_add_f32_e32 v2, 0x46800000, v3
; %bb.1843:
	s_or_b32 exec_lo, exec_lo, s8
                                        ; implicit-def: $vgpr3
.LBB127_1844:
	s_and_not1_saveexec_b32 s3, s3
; %bb.1845:
	v_mov_b32_e32 v2, 0x7f
	v_cmp_lt_u32_e32 vcc_lo, 0x7f800000, v3
	s_delay_alu instid0(VALU_DEP_2)
	v_cndmask_b32_e32 v2, 0x7e, v2, vcc_lo
; %bb.1846:
	s_or_b32 exec_lo, exec_lo, s3
	global_store_b8 v[0:1], v2, off
.LBB127_1847:
	s_mov_b32 s3, 0
.LBB127_1848:
	s_delay_alu instid0(SALU_CYCLE_1)
	s_and_not1_b32 vcc_lo, exec_lo, s3
	s_cbranch_vccnz .LBB127_1858
; %bb.1849:
	s_wait_xcnt 0x0
	v_cndmask_b32_e64 v3, 0, 1.0, s14
	s_mov_b32 s3, exec_lo
                                        ; implicit-def: $vgpr2
	s_delay_alu instid0(VALU_DEP_1)
	v_cmpx_gt_u32_e32 0x47800000, v3
	s_xor_b32 s3, exec_lo, s3
	s_cbranch_execz .LBB127_1855
; %bb.1850:
	s_mov_b32 s8, exec_lo
                                        ; implicit-def: $vgpr2
	v_cmpx_lt_u32_e32 0x387fffff, v3
	s_xor_b32 s8, exec_lo, s8
; %bb.1851:
	v_bfe_u32 v2, v3, 21, 1
	s_delay_alu instid0(VALU_DEP_1) | instskip(NEXT) | instid1(VALU_DEP_1)
	v_add3_u32 v2, v3, v2, 0x80fffff
                                        ; implicit-def: $vgpr3
	v_lshrrev_b32_e32 v2, 21, v2
; %bb.1852:
	s_and_not1_saveexec_b32 s8, s8
; %bb.1853:
	v_add_f32_e32 v2, 0x43000000, v3
; %bb.1854:
	s_or_b32 exec_lo, exec_lo, s8
                                        ; implicit-def: $vgpr3
.LBB127_1855:
	s_and_not1_saveexec_b32 s3, s3
; %bb.1856:
	v_mov_b32_e32 v2, 0x7f
	v_cmp_lt_u32_e32 vcc_lo, 0x7f800000, v3
	s_delay_alu instid0(VALU_DEP_2)
	v_cndmask_b32_e32 v2, 0x7c, v2, vcc_lo
; %bb.1857:
	s_or_b32 exec_lo, exec_lo, s3
	global_store_b8 v[0:1], v2, off
.LBB127_1858:
	s_mov_b32 s3, 0
	s_mov_b32 s8, -1
.LBB127_1859:
	s_and_not1_b32 vcc_lo, exec_lo, s3
	s_mov_b32 s3, 0
	s_cbranch_vccnz .LBB127_1866
; %bb.1860:
	s_cmp_gt_i32 s2, 14
	s_mov_b32 s3, -1
	s_cbranch_scc0 .LBB127_1864
; %bb.1861:
	s_cmp_eq_u32 s2, 15
	s_mov_b32 s0, -1
	s_cbranch_scc0 .LBB127_1863
; %bb.1862:
	s_wait_xcnt 0x0
	v_cndmask_b32_e64 v2, 0, 1.0, s14
	s_mov_b32 s0, 0
	s_mov_b32 s8, -1
	s_delay_alu instid0(VALU_DEP_1) | instskip(NEXT) | instid1(VALU_DEP_1)
	v_bfe_u32 v3, v2, 16, 1
	v_add3_u32 v2, v2, v3, 0x7fff
	global_store_d16_hi_b16 v[0:1], v2, off
.LBB127_1863:
	s_mov_b32 s3, 0
.LBB127_1864:
	s_delay_alu instid0(SALU_CYCLE_1)
	s_and_b32 vcc_lo, exec_lo, s3
	s_mov_b32 s3, 0
	s_cbranch_vccz .LBB127_1866
; %bb.1865:
	s_cmp_lg_u32 s2, 11
	s_mov_b32 s3, -1
	s_cselect_b32 s0, -1, 0
.LBB127_1866:
	s_delay_alu instid0(SALU_CYCLE_1)
	s_and_b32 vcc_lo, exec_lo, s0
	s_cbranch_vccnz .LBB127_2229
; %bb.1867:
	s_and_not1_b32 vcc_lo, exec_lo, s3
	s_cbranch_vccnz .LBB127_1869
.LBB127_1868:
	s_wait_xcnt 0x0
	v_cndmask_b32_e64 v2, 0, 1, s14
	s_mov_b32 s8, -1
	global_store_b8 v[0:1], v2, off
.LBB127_1869:
	s_mov_b32 s0, 0
	s_branch .LBB127_1871
.LBB127_1870:
	s_mov_b32 s0, -1
	s_mov_b32 s8, 0
.LBB127_1871:
	s_and_b32 vcc_lo, exec_lo, s0
	s_cbranch_vccz .LBB127_1910
; %bb.1872:
	s_and_b32 s0, 0xffff, s7
	s_mov_b32 s2, -1
	s_cmp_lt_i32 s0, 5
	s_cbranch_scc1 .LBB127_1893
; %bb.1873:
	s_cmp_lt_i32 s0, 8
	s_cbranch_scc1 .LBB127_1883
; %bb.1874:
	s_cmp_lt_i32 s0, 9
	s_cbranch_scc1 .LBB127_1880
; %bb.1875:
	s_cmp_gt_i32 s0, 9
	s_cbranch_scc0 .LBB127_1877
; %bb.1876:
	s_wait_xcnt 0x0
	v_cndmask_b32_e64 v2, 0, 1, s14
	v_mov_b32_e32 v12, 0
	s_mov_b32 s2, 0
	s_delay_alu instid0(VALU_DEP_2) | instskip(NEXT) | instid1(VALU_DEP_2)
	v_cvt_f64_u32_e32 v[10:11], v2
	v_mov_b32_e32 v13, v12
	global_store_b128 v[0:1], v[10:13], off
.LBB127_1877:
	s_and_not1_b32 vcc_lo, exec_lo, s2
	s_cbranch_vccnz .LBB127_1879
; %bb.1878:
	s_wait_xcnt 0x0
	v_cndmask_b32_e64 v2, 0, 1.0, s14
	v_mov_b32_e32 v3, 0
	global_store_b64 v[0:1], v[2:3], off
.LBB127_1879:
	s_mov_b32 s2, 0
.LBB127_1880:
	s_delay_alu instid0(SALU_CYCLE_1)
	s_and_not1_b32 vcc_lo, exec_lo, s2
	s_cbranch_vccnz .LBB127_1882
; %bb.1881:
	s_wait_xcnt 0x0
	v_cndmask_b32_e64 v2, 0, 1.0, s14
	s_delay_alu instid0(VALU_DEP_1) | instskip(NEXT) | instid1(VALU_DEP_1)
	v_cvt_f16_f32_e32 v2, v2
	v_and_b32_e32 v2, 0xffff, v2
	global_store_b32 v[0:1], v2, off
.LBB127_1882:
	s_mov_b32 s2, 0
.LBB127_1883:
	s_delay_alu instid0(SALU_CYCLE_1)
	s_and_not1_b32 vcc_lo, exec_lo, s2
	s_cbranch_vccnz .LBB127_1892
; %bb.1884:
	s_cmp_lt_i32 s0, 6
	s_mov_b32 s2, -1
	s_cbranch_scc1 .LBB127_1890
; %bb.1885:
	s_cmp_gt_i32 s0, 6
	s_cbranch_scc0 .LBB127_1887
; %bb.1886:
	s_wait_xcnt 0x0
	v_cndmask_b32_e64 v2, 0, 1, s14
	s_mov_b32 s2, 0
	s_delay_alu instid0(VALU_DEP_1)
	v_cvt_f64_u32_e32 v[2:3], v2
	global_store_b64 v[0:1], v[2:3], off
.LBB127_1887:
	s_and_not1_b32 vcc_lo, exec_lo, s2
	s_cbranch_vccnz .LBB127_1889
; %bb.1888:
	s_wait_xcnt 0x0
	v_cndmask_b32_e64 v2, 0, 1.0, s14
	global_store_b32 v[0:1], v2, off
.LBB127_1889:
	s_mov_b32 s2, 0
.LBB127_1890:
	s_delay_alu instid0(SALU_CYCLE_1)
	s_and_not1_b32 vcc_lo, exec_lo, s2
	s_cbranch_vccnz .LBB127_1892
; %bb.1891:
	s_wait_xcnt 0x0
	v_cndmask_b32_e64 v2, 0, 1.0, s14
	s_delay_alu instid0(VALU_DEP_1)
	v_cvt_f16_f32_e32 v2, v2
	global_store_b16 v[0:1], v2, off
.LBB127_1892:
	s_mov_b32 s2, 0
.LBB127_1893:
	s_delay_alu instid0(SALU_CYCLE_1)
	s_and_not1_b32 vcc_lo, exec_lo, s2
	s_cbranch_vccnz .LBB127_1909
; %bb.1894:
	s_cmp_lt_i32 s0, 2
	s_mov_b32 s2, -1
	s_cbranch_scc1 .LBB127_1904
; %bb.1895:
	s_cmp_lt_i32 s0, 3
	s_cbranch_scc1 .LBB127_1901
; %bb.1896:
	s_cmp_gt_i32 s0, 3
	s_cbranch_scc0 .LBB127_1898
; %bb.1897:
	s_mov_b32 s2, 0
	s_wait_xcnt 0x0
	v_cndmask_b32_e64 v2, 0, 1, s14
	v_mov_b32_e32 v3, s2
	global_store_b64 v[0:1], v[2:3], off
.LBB127_1898:
	s_and_not1_b32 vcc_lo, exec_lo, s2
	s_cbranch_vccnz .LBB127_1900
; %bb.1899:
	s_wait_xcnt 0x0
	v_cndmask_b32_e64 v2, 0, 1, s14
	global_store_b32 v[0:1], v2, off
.LBB127_1900:
	s_mov_b32 s2, 0
.LBB127_1901:
	s_delay_alu instid0(SALU_CYCLE_1)
	s_and_not1_b32 vcc_lo, exec_lo, s2
	s_cbranch_vccnz .LBB127_1903
; %bb.1902:
	s_wait_xcnt 0x0
	v_cndmask_b32_e64 v2, 0, 1, s14
	global_store_b16 v[0:1], v2, off
.LBB127_1903:
	s_mov_b32 s2, 0
.LBB127_1904:
	s_delay_alu instid0(SALU_CYCLE_1)
	s_and_not1_b32 vcc_lo, exec_lo, s2
	s_cbranch_vccnz .LBB127_1909
; %bb.1905:
	s_wait_xcnt 0x0
	v_cndmask_b32_e64 v2, 0, 1, s14
	s_cmp_gt_i32 s0, 0
	s_mov_b32 s0, -1
	s_cbranch_scc0 .LBB127_1907
; %bb.1906:
	s_mov_b32 s0, 0
	global_store_b8 v[0:1], v2, off
.LBB127_1907:
	s_and_not1_b32 vcc_lo, exec_lo, s0
	s_cbranch_vccnz .LBB127_1909
; %bb.1908:
	global_store_b8 v[0:1], v2, off
.LBB127_1909:
	s_mov_b32 s8, -1
.LBB127_1910:
	s_delay_alu instid0(SALU_CYCLE_1)
	s_and_not1_b32 vcc_lo, exec_lo, s8
	s_cbranch_vccnz .LBB127_2225
; %bb.1911:
	v_mov_b32_e32 v9, 0
	s_and_b32 s2, 0xffff, s7
	s_delay_alu instid0(SALU_CYCLE_1) | instskip(SKIP_1) | instid1(VALU_DEP_1)
	s_cmp_lt_i32 s2, 11
	s_wait_xcnt 0x0
	v_add_nc_u64_e32 v[0:1], s[4:5], v[8:9]
	s_cbranch_scc1 .LBB127_1989
; %bb.1912:
	s_mov_b32 s9, -1
	s_mov_b32 s3, 0
	s_cmp_gt_i32 s2, 25
	s_mov_b32 s8, 0
	s_mov_b32 s0, 0
	s_cbranch_scc0 .LBB127_1945
; %bb.1913:
	s_cmp_gt_i32 s2, 28
	s_cbranch_scc0 .LBB127_1928
; %bb.1914:
	s_cmp_gt_i32 s2, 43
	;; [unrolled: 3-line block ×3, first 2 shown]
	s_cbranch_scc0 .LBB127_1918
; %bb.1916:
	s_mov_b32 s0, -1
	s_mov_b32 s9, 0
	s_cmp_eq_u32 s2, 46
	s_cbranch_scc0 .LBB127_1918
; %bb.1917:
	v_cndmask_b32_e64 v2, 0, 1.0, s15
	s_mov_b32 s0, 0
	s_mov_b32 s8, -1
	s_delay_alu instid0(VALU_DEP_1) | instskip(NEXT) | instid1(VALU_DEP_1)
	v_bfe_u32 v3, v2, 16, 1
	v_add3_u32 v2, v2, v3, 0x7fff
	s_delay_alu instid0(VALU_DEP_1)
	v_lshrrev_b32_e32 v2, 16, v2
	global_store_b32 v[0:1], v2, off
.LBB127_1918:
	s_and_b32 vcc_lo, exec_lo, s9
	s_cbranch_vccz .LBB127_1923
; %bb.1919:
	s_cmp_eq_u32 s2, 44
	s_mov_b32 s0, -1
	s_cbranch_scc0 .LBB127_1923
; %bb.1920:
	v_cndmask_b32_e64 v5, 0, 1.0, s15
	s_mov_b32 s8, exec_lo
	s_wait_xcnt 0x0
	s_delay_alu instid0(VALU_DEP_1) | instskip(NEXT) | instid1(VALU_DEP_1)
	v_dual_mov_b32 v3, 0xff :: v_dual_lshrrev_b32 v2, 23, v5
	v_cmpx_ne_u32_e32 0xff, v2
; %bb.1921:
	v_and_b32_e32 v3, 0x400000, v5
	v_and_or_b32 v5, 0x3fffff, v5, v2
	s_delay_alu instid0(VALU_DEP_2) | instskip(NEXT) | instid1(VALU_DEP_2)
	v_cmp_ne_u32_e32 vcc_lo, 0, v3
	v_cmp_ne_u32_e64 s0, 0, v5
	s_and_b32 s0, vcc_lo, s0
	s_delay_alu instid0(SALU_CYCLE_1) | instskip(NEXT) | instid1(VALU_DEP_1)
	v_cndmask_b32_e64 v3, 0, 1, s0
	v_add_nc_u32_e32 v3, v2, v3
; %bb.1922:
	s_or_b32 exec_lo, exec_lo, s8
	s_mov_b32 s0, 0
	s_mov_b32 s8, -1
	global_store_b8 v[0:1], v3, off
.LBB127_1923:
	s_mov_b32 s9, 0
.LBB127_1924:
	s_delay_alu instid0(SALU_CYCLE_1)
	s_and_b32 vcc_lo, exec_lo, s9
	s_cbranch_vccz .LBB127_1927
; %bb.1925:
	s_cmp_eq_u32 s2, 29
	s_mov_b32 s0, -1
	s_cbranch_scc0 .LBB127_1927
; %bb.1926:
	s_mov_b32 s0, 0
	s_wait_xcnt 0x0
	v_cndmask_b32_e64 v2, 0, 1, s15
	v_mov_b32_e32 v3, s0
	s_mov_b32 s8, -1
	global_store_b64 v[0:1], v[2:3], off
.LBB127_1927:
	s_mov_b32 s9, 0
.LBB127_1928:
	s_delay_alu instid0(SALU_CYCLE_1)
	s_and_b32 vcc_lo, exec_lo, s9
	s_cbranch_vccz .LBB127_1944
; %bb.1929:
	s_cmp_lt_i32 s2, 27
	s_mov_b32 s8, -1
	s_cbranch_scc1 .LBB127_1935
; %bb.1930:
	s_cmp_gt_i32 s2, 27
	s_cbranch_scc0 .LBB127_1932
; %bb.1931:
	s_wait_xcnt 0x0
	v_cndmask_b32_e64 v2, 0, 1, s15
	s_mov_b32 s8, 0
	global_store_b32 v[0:1], v2, off
.LBB127_1932:
	s_and_not1_b32 vcc_lo, exec_lo, s8
	s_cbranch_vccnz .LBB127_1934
; %bb.1933:
	s_wait_xcnt 0x0
	v_cndmask_b32_e64 v2, 0, 1, s15
	global_store_b16 v[0:1], v2, off
.LBB127_1934:
	s_mov_b32 s8, 0
.LBB127_1935:
	s_delay_alu instid0(SALU_CYCLE_1)
	s_and_not1_b32 vcc_lo, exec_lo, s8
	s_cbranch_vccnz .LBB127_1943
; %bb.1936:
	s_wait_xcnt 0x0
	v_cndmask_b32_e64 v3, 0, 1.0, s15
	v_mov_b32_e32 v5, 0x80
	s_mov_b32 s8, exec_lo
	s_delay_alu instid0(VALU_DEP_2)
	v_cmpx_gt_u32_e32 0x43800000, v3
	s_cbranch_execz .LBB127_1942
; %bb.1937:
	s_mov_b32 s9, 0
	s_mov_b32 s10, exec_lo
                                        ; implicit-def: $vgpr2
	v_cmpx_lt_u32_e32 0x3bffffff, v3
	s_xor_b32 s10, exec_lo, s10
	s_cbranch_execz .LBB127_2232
; %bb.1938:
	v_bfe_u32 v2, v3, 20, 1
	s_mov_b32 s9, exec_lo
	s_delay_alu instid0(VALU_DEP_1) | instskip(NEXT) | instid1(VALU_DEP_1)
	v_add3_u32 v2, v3, v2, 0x487ffff
                                        ; implicit-def: $vgpr3
	v_lshrrev_b32_e32 v2, 20, v2
	s_and_not1_saveexec_b32 s10, s10
	s_cbranch_execnz .LBB127_2233
.LBB127_1939:
	s_or_b32 exec_lo, exec_lo, s10
	v_mov_b32_e32 v5, 0
	s_and_saveexec_b32 s10, s9
.LBB127_1940:
	v_mov_b32_e32 v5, v2
.LBB127_1941:
	s_or_b32 exec_lo, exec_lo, s10
.LBB127_1942:
	s_delay_alu instid0(SALU_CYCLE_1)
	s_or_b32 exec_lo, exec_lo, s8
	global_store_b8 v[0:1], v5, off
.LBB127_1943:
	s_mov_b32 s8, -1
.LBB127_1944:
	s_mov_b32 s9, 0
.LBB127_1945:
	s_delay_alu instid0(SALU_CYCLE_1)
	s_and_b32 vcc_lo, exec_lo, s9
	s_cbranch_vccz .LBB127_1985
; %bb.1946:
	s_cmp_gt_i32 s2, 22
	s_mov_b32 s3, -1
	s_cbranch_scc0 .LBB127_1978
; %bb.1947:
	s_cmp_lt_i32 s2, 24
	s_cbranch_scc1 .LBB127_1967
; %bb.1948:
	s_cmp_gt_i32 s2, 24
	s_cbranch_scc0 .LBB127_1956
; %bb.1949:
	s_wait_xcnt 0x0
	v_cndmask_b32_e64 v3, 0, 1.0, s15
	v_mov_b32_e32 v5, 0x80
	s_mov_b32 s3, exec_lo
	s_delay_alu instid0(VALU_DEP_2)
	v_cmpx_gt_u32_e32 0x47800000, v3
	s_cbranch_execz .LBB127_1955
; %bb.1950:
	s_mov_b32 s8, 0
	s_mov_b32 s9, exec_lo
                                        ; implicit-def: $vgpr2
	v_cmpx_lt_u32_e32 0x37ffffff, v3
	s_xor_b32 s9, exec_lo, s9
	s_cbranch_execz .LBB127_2235
; %bb.1951:
	v_bfe_u32 v2, v3, 21, 1
	s_mov_b32 s8, exec_lo
	s_delay_alu instid0(VALU_DEP_1) | instskip(NEXT) | instid1(VALU_DEP_1)
	v_add3_u32 v2, v3, v2, 0x88fffff
                                        ; implicit-def: $vgpr3
	v_lshrrev_b32_e32 v2, 21, v2
	s_and_not1_saveexec_b32 s9, s9
	s_cbranch_execnz .LBB127_2236
.LBB127_1952:
	s_or_b32 exec_lo, exec_lo, s9
	v_mov_b32_e32 v5, 0
	s_and_saveexec_b32 s9, s8
.LBB127_1953:
	v_mov_b32_e32 v5, v2
.LBB127_1954:
	s_or_b32 exec_lo, exec_lo, s9
.LBB127_1955:
	s_delay_alu instid0(SALU_CYCLE_1)
	s_or_b32 exec_lo, exec_lo, s3
	s_mov_b32 s3, 0
	global_store_b8 v[0:1], v5, off
.LBB127_1956:
	s_and_b32 vcc_lo, exec_lo, s3
	s_cbranch_vccz .LBB127_1966
; %bb.1957:
	s_wait_xcnt 0x0
	v_cndmask_b32_e64 v3, 0, 1.0, s15
	s_mov_b32 s3, exec_lo
                                        ; implicit-def: $vgpr2
	s_delay_alu instid0(VALU_DEP_1)
	v_cmpx_gt_u32_e32 0x43f00000, v3
	s_xor_b32 s3, exec_lo, s3
	s_cbranch_execz .LBB127_1963
; %bb.1958:
	s_mov_b32 s8, exec_lo
                                        ; implicit-def: $vgpr2
	v_cmpx_lt_u32_e32 0x3c7fffff, v3
	s_xor_b32 s8, exec_lo, s8
; %bb.1959:
	v_bfe_u32 v2, v3, 20, 1
	s_delay_alu instid0(VALU_DEP_1) | instskip(NEXT) | instid1(VALU_DEP_1)
	v_add3_u32 v2, v3, v2, 0x407ffff
	v_and_b32_e32 v3, 0xff00000, v2
	v_lshrrev_b32_e32 v2, 20, v2
	s_delay_alu instid0(VALU_DEP_2) | instskip(NEXT) | instid1(VALU_DEP_2)
	v_cmp_ne_u32_e32 vcc_lo, 0x7f00000, v3
                                        ; implicit-def: $vgpr3
	v_cndmask_b32_e32 v2, 0x7e, v2, vcc_lo
; %bb.1960:
	s_and_not1_saveexec_b32 s8, s8
; %bb.1961:
	v_add_f32_e32 v2, 0x46800000, v3
; %bb.1962:
	s_or_b32 exec_lo, exec_lo, s8
                                        ; implicit-def: $vgpr3
.LBB127_1963:
	s_and_not1_saveexec_b32 s3, s3
; %bb.1964:
	v_mov_b32_e32 v2, 0x7f
	v_cmp_lt_u32_e32 vcc_lo, 0x7f800000, v3
	s_delay_alu instid0(VALU_DEP_2)
	v_cndmask_b32_e32 v2, 0x7e, v2, vcc_lo
; %bb.1965:
	s_or_b32 exec_lo, exec_lo, s3
	global_store_b8 v[0:1], v2, off
.LBB127_1966:
	s_mov_b32 s3, 0
.LBB127_1967:
	s_delay_alu instid0(SALU_CYCLE_1)
	s_and_not1_b32 vcc_lo, exec_lo, s3
	s_cbranch_vccnz .LBB127_1977
; %bb.1968:
	s_wait_xcnt 0x0
	v_cndmask_b32_e64 v3, 0, 1.0, s15
	s_mov_b32 s3, exec_lo
                                        ; implicit-def: $vgpr2
	s_delay_alu instid0(VALU_DEP_1)
	v_cmpx_gt_u32_e32 0x47800000, v3
	s_xor_b32 s3, exec_lo, s3
	s_cbranch_execz .LBB127_1974
; %bb.1969:
	s_mov_b32 s8, exec_lo
                                        ; implicit-def: $vgpr2
	v_cmpx_lt_u32_e32 0x387fffff, v3
	s_xor_b32 s8, exec_lo, s8
; %bb.1970:
	v_bfe_u32 v2, v3, 21, 1
	s_delay_alu instid0(VALU_DEP_1) | instskip(NEXT) | instid1(VALU_DEP_1)
	v_add3_u32 v2, v3, v2, 0x80fffff
                                        ; implicit-def: $vgpr3
	v_lshrrev_b32_e32 v2, 21, v2
; %bb.1971:
	s_and_not1_saveexec_b32 s8, s8
; %bb.1972:
	v_add_f32_e32 v2, 0x43000000, v3
; %bb.1973:
	s_or_b32 exec_lo, exec_lo, s8
                                        ; implicit-def: $vgpr3
.LBB127_1974:
	s_and_not1_saveexec_b32 s3, s3
; %bb.1975:
	v_mov_b32_e32 v2, 0x7f
	v_cmp_lt_u32_e32 vcc_lo, 0x7f800000, v3
	s_delay_alu instid0(VALU_DEP_2)
	v_cndmask_b32_e32 v2, 0x7c, v2, vcc_lo
; %bb.1976:
	s_or_b32 exec_lo, exec_lo, s3
	global_store_b8 v[0:1], v2, off
.LBB127_1977:
	s_mov_b32 s3, 0
	s_mov_b32 s8, -1
.LBB127_1978:
	s_and_not1_b32 vcc_lo, exec_lo, s3
	s_mov_b32 s3, 0
	s_cbranch_vccnz .LBB127_1985
; %bb.1979:
	s_cmp_gt_i32 s2, 14
	s_mov_b32 s3, -1
	s_cbranch_scc0 .LBB127_1983
; %bb.1980:
	s_cmp_eq_u32 s2, 15
	s_mov_b32 s0, -1
	s_cbranch_scc0 .LBB127_1982
; %bb.1981:
	s_wait_xcnt 0x0
	v_cndmask_b32_e64 v2, 0, 1.0, s15
	s_mov_b32 s0, 0
	s_mov_b32 s8, -1
	s_delay_alu instid0(VALU_DEP_1) | instskip(NEXT) | instid1(VALU_DEP_1)
	v_bfe_u32 v3, v2, 16, 1
	v_add3_u32 v2, v2, v3, 0x7fff
	global_store_d16_hi_b16 v[0:1], v2, off
.LBB127_1982:
	s_mov_b32 s3, 0
.LBB127_1983:
	s_delay_alu instid0(SALU_CYCLE_1)
	s_and_b32 vcc_lo, exec_lo, s3
	s_mov_b32 s3, 0
	s_cbranch_vccz .LBB127_1985
; %bb.1984:
	s_cmp_lg_u32 s2, 11
	s_mov_b32 s3, -1
	s_cselect_b32 s0, -1, 0
.LBB127_1985:
	s_delay_alu instid0(SALU_CYCLE_1)
	s_and_b32 vcc_lo, exec_lo, s0
	s_cbranch_vccnz .LBB127_2234
; %bb.1986:
	s_and_not1_b32 vcc_lo, exec_lo, s3
	s_cbranch_vccnz .LBB127_1988
.LBB127_1987:
	s_wait_xcnt 0x0
	v_cndmask_b32_e64 v2, 0, 1, s15
	s_mov_b32 s8, -1
	global_store_b8 v[0:1], v2, off
.LBB127_1988:
	s_mov_b32 s0, 0
	s_branch .LBB127_1990
.LBB127_1989:
	s_mov_b32 s0, -1
	s_mov_b32 s8, 0
.LBB127_1990:
	s_and_b32 vcc_lo, exec_lo, s0
	s_cbranch_vccz .LBB127_2029
; %bb.1991:
	s_cmp_lt_i32 s2, 5
	s_mov_b32 s0, -1
	s_cbranch_scc1 .LBB127_2012
; %bb.1992:
	s_cmp_lt_i32 s2, 8
	s_cbranch_scc1 .LBB127_2002
; %bb.1993:
	s_cmp_lt_i32 s2, 9
	s_cbranch_scc1 .LBB127_1999
; %bb.1994:
	s_cmp_gt_i32 s2, 9
	s_cbranch_scc0 .LBB127_1996
; %bb.1995:
	s_wait_xcnt 0x0
	v_cndmask_b32_e64 v2, 0, 1, s15
	v_mov_b32_e32 v10, 0
	s_mov_b32 s0, 0
	s_delay_alu instid0(VALU_DEP_2) | instskip(NEXT) | instid1(VALU_DEP_2)
	v_cvt_f64_u32_e32 v[8:9], v2
	v_mov_b32_e32 v11, v10
	global_store_b128 v[0:1], v[8:11], off
.LBB127_1996:
	s_and_not1_b32 vcc_lo, exec_lo, s0
	s_cbranch_vccnz .LBB127_1998
; %bb.1997:
	s_wait_xcnt 0x0
	v_cndmask_b32_e64 v2, 0, 1.0, s15
	v_mov_b32_e32 v3, 0
	global_store_b64 v[0:1], v[2:3], off
.LBB127_1998:
	s_mov_b32 s0, 0
.LBB127_1999:
	s_delay_alu instid0(SALU_CYCLE_1)
	s_and_not1_b32 vcc_lo, exec_lo, s0
	s_cbranch_vccnz .LBB127_2001
; %bb.2000:
	s_wait_xcnt 0x0
	v_cndmask_b32_e64 v2, 0, 1.0, s15
	s_delay_alu instid0(VALU_DEP_1) | instskip(NEXT) | instid1(VALU_DEP_1)
	v_cvt_f16_f32_e32 v2, v2
	v_and_b32_e32 v2, 0xffff, v2
	global_store_b32 v[0:1], v2, off
.LBB127_2001:
	s_mov_b32 s0, 0
.LBB127_2002:
	s_delay_alu instid0(SALU_CYCLE_1)
	s_and_not1_b32 vcc_lo, exec_lo, s0
	s_cbranch_vccnz .LBB127_2011
; %bb.2003:
	s_cmp_lt_i32 s2, 6
	s_mov_b32 s0, -1
	s_cbranch_scc1 .LBB127_2009
; %bb.2004:
	s_cmp_gt_i32 s2, 6
	s_cbranch_scc0 .LBB127_2006
; %bb.2005:
	s_wait_xcnt 0x0
	v_cndmask_b32_e64 v2, 0, 1, s15
	s_mov_b32 s0, 0
	s_delay_alu instid0(VALU_DEP_1)
	v_cvt_f64_u32_e32 v[2:3], v2
	global_store_b64 v[0:1], v[2:3], off
.LBB127_2006:
	s_and_not1_b32 vcc_lo, exec_lo, s0
	s_cbranch_vccnz .LBB127_2008
; %bb.2007:
	s_wait_xcnt 0x0
	v_cndmask_b32_e64 v2, 0, 1.0, s15
	global_store_b32 v[0:1], v2, off
.LBB127_2008:
	s_mov_b32 s0, 0
.LBB127_2009:
	s_delay_alu instid0(SALU_CYCLE_1)
	s_and_not1_b32 vcc_lo, exec_lo, s0
	s_cbranch_vccnz .LBB127_2011
; %bb.2010:
	s_wait_xcnt 0x0
	v_cndmask_b32_e64 v2, 0, 1.0, s15
	s_delay_alu instid0(VALU_DEP_1)
	v_cvt_f16_f32_e32 v2, v2
	global_store_b16 v[0:1], v2, off
.LBB127_2011:
	s_mov_b32 s0, 0
.LBB127_2012:
	s_delay_alu instid0(SALU_CYCLE_1)
	s_and_not1_b32 vcc_lo, exec_lo, s0
	s_cbranch_vccnz .LBB127_2028
; %bb.2013:
	s_cmp_lt_i32 s2, 2
	s_mov_b32 s0, -1
	s_cbranch_scc1 .LBB127_2023
; %bb.2014:
	s_cmp_lt_i32 s2, 3
	s_cbranch_scc1 .LBB127_2020
; %bb.2015:
	s_cmp_gt_i32 s2, 3
	s_cbranch_scc0 .LBB127_2017
; %bb.2016:
	s_mov_b32 s0, 0
	s_wait_xcnt 0x0
	v_cndmask_b32_e64 v2, 0, 1, s15
	v_mov_b32_e32 v3, s0
	global_store_b64 v[0:1], v[2:3], off
.LBB127_2017:
	s_and_not1_b32 vcc_lo, exec_lo, s0
	s_cbranch_vccnz .LBB127_2019
; %bb.2018:
	s_wait_xcnt 0x0
	v_cndmask_b32_e64 v2, 0, 1, s15
	global_store_b32 v[0:1], v2, off
.LBB127_2019:
	s_mov_b32 s0, 0
.LBB127_2020:
	s_delay_alu instid0(SALU_CYCLE_1)
	s_and_not1_b32 vcc_lo, exec_lo, s0
	s_cbranch_vccnz .LBB127_2022
; %bb.2021:
	s_wait_xcnt 0x0
	v_cndmask_b32_e64 v2, 0, 1, s15
	global_store_b16 v[0:1], v2, off
.LBB127_2022:
	s_mov_b32 s0, 0
.LBB127_2023:
	s_delay_alu instid0(SALU_CYCLE_1)
	s_and_not1_b32 vcc_lo, exec_lo, s0
	s_cbranch_vccnz .LBB127_2028
; %bb.2024:
	s_wait_xcnt 0x0
	v_cndmask_b32_e64 v2, 0, 1, s15
	s_cmp_gt_i32 s2, 0
	s_mov_b32 s0, -1
	s_cbranch_scc0 .LBB127_2026
; %bb.2025:
	s_mov_b32 s0, 0
	global_store_b8 v[0:1], v2, off
.LBB127_2026:
	s_and_not1_b32 vcc_lo, exec_lo, s0
	s_cbranch_vccnz .LBB127_2028
; %bb.2027:
	global_store_b8 v[0:1], v2, off
.LBB127_2028:
	s_mov_b32 s8, -1
.LBB127_2029:
	s_delay_alu instid0(SALU_CYCLE_1)
	s_and_not1_b32 vcc_lo, exec_lo, s8
	s_cbranch_vccnz .LBB127_2225
; %bb.2030:
	v_mov_b32_e32 v7, 0
	s_cmp_lt_i32 s2, 11
	s_wait_xcnt 0x0
	s_delay_alu instid0(VALU_DEP_1)
	v_add_nc_u64_e32 v[0:1], s[4:5], v[6:7]
	s_cbranch_scc1 .LBB127_2108
; %bb.2031:
	s_mov_b32 s9, -1
	s_mov_b32 s3, 0
	s_cmp_gt_i32 s2, 25
	s_mov_b32 s8, 0
	s_mov_b32 s0, 0
	s_cbranch_scc0 .LBB127_2064
; %bb.2032:
	s_cmp_gt_i32 s2, 28
	s_cbranch_scc0 .LBB127_2047
; %bb.2033:
	s_cmp_gt_i32 s2, 43
	;; [unrolled: 3-line block ×3, first 2 shown]
	s_cbranch_scc0 .LBB127_2037
; %bb.2035:
	s_mov_b32 s0, -1
	s_mov_b32 s9, 0
	s_cmp_eq_u32 s2, 46
	s_cbranch_scc0 .LBB127_2037
; %bb.2036:
	v_cndmask_b32_e64 v2, 0, 1.0, s16
	s_mov_b32 s0, 0
	s_mov_b32 s8, -1
	s_delay_alu instid0(VALU_DEP_1) | instskip(NEXT) | instid1(VALU_DEP_1)
	v_bfe_u32 v3, v2, 16, 1
	v_add3_u32 v2, v2, v3, 0x7fff
	s_delay_alu instid0(VALU_DEP_1)
	v_lshrrev_b32_e32 v2, 16, v2
	global_store_b32 v[0:1], v2, off
.LBB127_2037:
	s_and_b32 vcc_lo, exec_lo, s9
	s_cbranch_vccz .LBB127_2042
; %bb.2038:
	s_cmp_eq_u32 s2, 44
	s_mov_b32 s0, -1
	s_cbranch_scc0 .LBB127_2042
; %bb.2039:
	v_cndmask_b32_e64 v5, 0, 1.0, s16
	s_mov_b32 s8, exec_lo
	s_wait_xcnt 0x0
	s_delay_alu instid0(VALU_DEP_1) | instskip(NEXT) | instid1(VALU_DEP_1)
	v_dual_mov_b32 v3, 0xff :: v_dual_lshrrev_b32 v2, 23, v5
	v_cmpx_ne_u32_e32 0xff, v2
; %bb.2040:
	v_and_b32_e32 v3, 0x400000, v5
	v_and_or_b32 v5, 0x3fffff, v5, v2
	s_delay_alu instid0(VALU_DEP_2) | instskip(NEXT) | instid1(VALU_DEP_2)
	v_cmp_ne_u32_e32 vcc_lo, 0, v3
	v_cmp_ne_u32_e64 s0, 0, v5
	s_and_b32 s0, vcc_lo, s0
	s_delay_alu instid0(SALU_CYCLE_1) | instskip(NEXT) | instid1(VALU_DEP_1)
	v_cndmask_b32_e64 v3, 0, 1, s0
	v_add_nc_u32_e32 v3, v2, v3
; %bb.2041:
	s_or_b32 exec_lo, exec_lo, s8
	s_mov_b32 s0, 0
	s_mov_b32 s8, -1
	global_store_b8 v[0:1], v3, off
.LBB127_2042:
	s_mov_b32 s9, 0
.LBB127_2043:
	s_delay_alu instid0(SALU_CYCLE_1)
	s_and_b32 vcc_lo, exec_lo, s9
	s_cbranch_vccz .LBB127_2046
; %bb.2044:
	s_cmp_eq_u32 s2, 29
	s_mov_b32 s0, -1
	s_cbranch_scc0 .LBB127_2046
; %bb.2045:
	s_mov_b32 s0, 0
	s_wait_xcnt 0x0
	v_cndmask_b32_e64 v2, 0, 1, s16
	v_mov_b32_e32 v3, s0
	s_mov_b32 s8, -1
	global_store_b64 v[0:1], v[2:3], off
.LBB127_2046:
	s_mov_b32 s9, 0
.LBB127_2047:
	s_delay_alu instid0(SALU_CYCLE_1)
	s_and_b32 vcc_lo, exec_lo, s9
	s_cbranch_vccz .LBB127_2063
; %bb.2048:
	s_cmp_lt_i32 s2, 27
	s_mov_b32 s8, -1
	s_cbranch_scc1 .LBB127_2054
; %bb.2049:
	s_cmp_gt_i32 s2, 27
	s_cbranch_scc0 .LBB127_2051
; %bb.2050:
	s_wait_xcnt 0x0
	v_cndmask_b32_e64 v2, 0, 1, s16
	s_mov_b32 s8, 0
	global_store_b32 v[0:1], v2, off
.LBB127_2051:
	s_and_not1_b32 vcc_lo, exec_lo, s8
	s_cbranch_vccnz .LBB127_2053
; %bb.2052:
	s_wait_xcnt 0x0
	v_cndmask_b32_e64 v2, 0, 1, s16
	global_store_b16 v[0:1], v2, off
.LBB127_2053:
	s_mov_b32 s8, 0
.LBB127_2054:
	s_delay_alu instid0(SALU_CYCLE_1)
	s_and_not1_b32 vcc_lo, exec_lo, s8
	s_cbranch_vccnz .LBB127_2062
; %bb.2055:
	s_wait_xcnt 0x0
	v_cndmask_b32_e64 v3, 0, 1.0, s16
	v_mov_b32_e32 v5, 0x80
	s_mov_b32 s8, exec_lo
	s_delay_alu instid0(VALU_DEP_2)
	v_cmpx_gt_u32_e32 0x43800000, v3
	s_cbranch_execz .LBB127_2061
; %bb.2056:
	s_mov_b32 s9, 0
	s_mov_b32 s10, exec_lo
                                        ; implicit-def: $vgpr2
	v_cmpx_lt_u32_e32 0x3bffffff, v3
	s_xor_b32 s10, exec_lo, s10
	s_cbranch_execz .LBB127_2237
; %bb.2057:
	v_bfe_u32 v2, v3, 20, 1
	s_mov_b32 s9, exec_lo
	s_delay_alu instid0(VALU_DEP_1) | instskip(NEXT) | instid1(VALU_DEP_1)
	v_add3_u32 v2, v3, v2, 0x487ffff
                                        ; implicit-def: $vgpr3
	v_lshrrev_b32_e32 v2, 20, v2
	s_and_not1_saveexec_b32 s10, s10
	s_cbranch_execnz .LBB127_2238
.LBB127_2058:
	s_or_b32 exec_lo, exec_lo, s10
	v_mov_b32_e32 v5, 0
	s_and_saveexec_b32 s10, s9
.LBB127_2059:
	v_mov_b32_e32 v5, v2
.LBB127_2060:
	s_or_b32 exec_lo, exec_lo, s10
.LBB127_2061:
	s_delay_alu instid0(SALU_CYCLE_1)
	s_or_b32 exec_lo, exec_lo, s8
	global_store_b8 v[0:1], v5, off
.LBB127_2062:
	s_mov_b32 s8, -1
.LBB127_2063:
	s_mov_b32 s9, 0
.LBB127_2064:
	s_delay_alu instid0(SALU_CYCLE_1)
	s_and_b32 vcc_lo, exec_lo, s9
	s_cbranch_vccz .LBB127_2104
; %bb.2065:
	s_cmp_gt_i32 s2, 22
	s_mov_b32 s3, -1
	s_cbranch_scc0 .LBB127_2097
; %bb.2066:
	s_cmp_lt_i32 s2, 24
	s_cbranch_scc1 .LBB127_2086
; %bb.2067:
	s_cmp_gt_i32 s2, 24
	s_cbranch_scc0 .LBB127_2075
; %bb.2068:
	s_wait_xcnt 0x0
	v_cndmask_b32_e64 v3, 0, 1.0, s16
	v_mov_b32_e32 v5, 0x80
	s_mov_b32 s3, exec_lo
	s_delay_alu instid0(VALU_DEP_2)
	v_cmpx_gt_u32_e32 0x47800000, v3
	s_cbranch_execz .LBB127_2074
; %bb.2069:
	s_mov_b32 s8, 0
	s_mov_b32 s9, exec_lo
                                        ; implicit-def: $vgpr2
	v_cmpx_lt_u32_e32 0x37ffffff, v3
	s_xor_b32 s9, exec_lo, s9
	s_cbranch_execz .LBB127_2240
; %bb.2070:
	v_bfe_u32 v2, v3, 21, 1
	s_mov_b32 s8, exec_lo
	s_delay_alu instid0(VALU_DEP_1) | instskip(NEXT) | instid1(VALU_DEP_1)
	v_add3_u32 v2, v3, v2, 0x88fffff
                                        ; implicit-def: $vgpr3
	v_lshrrev_b32_e32 v2, 21, v2
	s_and_not1_saveexec_b32 s9, s9
	s_cbranch_execnz .LBB127_2241
.LBB127_2071:
	s_or_b32 exec_lo, exec_lo, s9
	v_mov_b32_e32 v5, 0
	s_and_saveexec_b32 s9, s8
.LBB127_2072:
	v_mov_b32_e32 v5, v2
.LBB127_2073:
	s_or_b32 exec_lo, exec_lo, s9
.LBB127_2074:
	s_delay_alu instid0(SALU_CYCLE_1)
	s_or_b32 exec_lo, exec_lo, s3
	s_mov_b32 s3, 0
	global_store_b8 v[0:1], v5, off
.LBB127_2075:
	s_and_b32 vcc_lo, exec_lo, s3
	s_cbranch_vccz .LBB127_2085
; %bb.2076:
	s_wait_xcnt 0x0
	v_cndmask_b32_e64 v3, 0, 1.0, s16
	s_mov_b32 s3, exec_lo
                                        ; implicit-def: $vgpr2
	s_delay_alu instid0(VALU_DEP_1)
	v_cmpx_gt_u32_e32 0x43f00000, v3
	s_xor_b32 s3, exec_lo, s3
	s_cbranch_execz .LBB127_2082
; %bb.2077:
	s_mov_b32 s8, exec_lo
                                        ; implicit-def: $vgpr2
	v_cmpx_lt_u32_e32 0x3c7fffff, v3
	s_xor_b32 s8, exec_lo, s8
; %bb.2078:
	v_bfe_u32 v2, v3, 20, 1
	s_delay_alu instid0(VALU_DEP_1) | instskip(NEXT) | instid1(VALU_DEP_1)
	v_add3_u32 v2, v3, v2, 0x407ffff
	v_and_b32_e32 v3, 0xff00000, v2
	v_lshrrev_b32_e32 v2, 20, v2
	s_delay_alu instid0(VALU_DEP_2) | instskip(NEXT) | instid1(VALU_DEP_2)
	v_cmp_ne_u32_e32 vcc_lo, 0x7f00000, v3
                                        ; implicit-def: $vgpr3
	v_cndmask_b32_e32 v2, 0x7e, v2, vcc_lo
; %bb.2079:
	s_and_not1_saveexec_b32 s8, s8
; %bb.2080:
	v_add_f32_e32 v2, 0x46800000, v3
; %bb.2081:
	s_or_b32 exec_lo, exec_lo, s8
                                        ; implicit-def: $vgpr3
.LBB127_2082:
	s_and_not1_saveexec_b32 s3, s3
; %bb.2083:
	v_mov_b32_e32 v2, 0x7f
	v_cmp_lt_u32_e32 vcc_lo, 0x7f800000, v3
	s_delay_alu instid0(VALU_DEP_2)
	v_cndmask_b32_e32 v2, 0x7e, v2, vcc_lo
; %bb.2084:
	s_or_b32 exec_lo, exec_lo, s3
	global_store_b8 v[0:1], v2, off
.LBB127_2085:
	s_mov_b32 s3, 0
.LBB127_2086:
	s_delay_alu instid0(SALU_CYCLE_1)
	s_and_not1_b32 vcc_lo, exec_lo, s3
	s_cbranch_vccnz .LBB127_2096
; %bb.2087:
	s_wait_xcnt 0x0
	v_cndmask_b32_e64 v3, 0, 1.0, s16
	s_mov_b32 s3, exec_lo
                                        ; implicit-def: $vgpr2
	s_delay_alu instid0(VALU_DEP_1)
	v_cmpx_gt_u32_e32 0x47800000, v3
	s_xor_b32 s3, exec_lo, s3
	s_cbranch_execz .LBB127_2093
; %bb.2088:
	s_mov_b32 s8, exec_lo
                                        ; implicit-def: $vgpr2
	v_cmpx_lt_u32_e32 0x387fffff, v3
	s_xor_b32 s8, exec_lo, s8
; %bb.2089:
	v_bfe_u32 v2, v3, 21, 1
	s_delay_alu instid0(VALU_DEP_1) | instskip(NEXT) | instid1(VALU_DEP_1)
	v_add3_u32 v2, v3, v2, 0x80fffff
                                        ; implicit-def: $vgpr3
	v_lshrrev_b32_e32 v2, 21, v2
; %bb.2090:
	s_and_not1_saveexec_b32 s8, s8
; %bb.2091:
	v_add_f32_e32 v2, 0x43000000, v3
; %bb.2092:
	s_or_b32 exec_lo, exec_lo, s8
                                        ; implicit-def: $vgpr3
.LBB127_2093:
	s_and_not1_saveexec_b32 s3, s3
; %bb.2094:
	v_mov_b32_e32 v2, 0x7f
	v_cmp_lt_u32_e32 vcc_lo, 0x7f800000, v3
	s_delay_alu instid0(VALU_DEP_2)
	v_cndmask_b32_e32 v2, 0x7c, v2, vcc_lo
; %bb.2095:
	s_or_b32 exec_lo, exec_lo, s3
	global_store_b8 v[0:1], v2, off
.LBB127_2096:
	s_mov_b32 s3, 0
	s_mov_b32 s8, -1
.LBB127_2097:
	s_and_not1_b32 vcc_lo, exec_lo, s3
	s_mov_b32 s3, 0
	s_cbranch_vccnz .LBB127_2104
; %bb.2098:
	s_cmp_gt_i32 s2, 14
	s_mov_b32 s3, -1
	s_cbranch_scc0 .LBB127_2102
; %bb.2099:
	s_cmp_eq_u32 s2, 15
	s_mov_b32 s0, -1
	s_cbranch_scc0 .LBB127_2101
; %bb.2100:
	s_wait_xcnt 0x0
	v_cndmask_b32_e64 v2, 0, 1.0, s16
	s_mov_b32 s0, 0
	s_mov_b32 s8, -1
	s_delay_alu instid0(VALU_DEP_1) | instskip(NEXT) | instid1(VALU_DEP_1)
	v_bfe_u32 v3, v2, 16, 1
	v_add3_u32 v2, v2, v3, 0x7fff
	global_store_d16_hi_b16 v[0:1], v2, off
.LBB127_2101:
	s_mov_b32 s3, 0
.LBB127_2102:
	s_delay_alu instid0(SALU_CYCLE_1)
	s_and_b32 vcc_lo, exec_lo, s3
	s_mov_b32 s3, 0
	s_cbranch_vccz .LBB127_2104
; %bb.2103:
	s_cmp_lg_u32 s2, 11
	s_mov_b32 s3, -1
	s_cselect_b32 s0, -1, 0
.LBB127_2104:
	s_delay_alu instid0(SALU_CYCLE_1)
	s_and_b32 vcc_lo, exec_lo, s0
	s_cbranch_vccnz .LBB127_2239
; %bb.2105:
	s_and_not1_b32 vcc_lo, exec_lo, s3
	s_cbranch_vccnz .LBB127_2107
.LBB127_2106:
	s_wait_xcnt 0x0
	v_cndmask_b32_e64 v2, 0, 1, s16
	s_mov_b32 s8, -1
	global_store_b8 v[0:1], v2, off
.LBB127_2107:
	s_mov_b32 s0, 0
	s_branch .LBB127_2109
.LBB127_2108:
	s_mov_b32 s0, -1
	s_mov_b32 s8, 0
.LBB127_2109:
	s_and_b32 vcc_lo, exec_lo, s0
	s_cbranch_vccz .LBB127_2148
; %bb.2110:
	s_cmp_lt_i32 s2, 5
	s_mov_b32 s0, -1
	s_cbranch_scc1 .LBB127_2131
; %bb.2111:
	s_cmp_lt_i32 s2, 8
	s_cbranch_scc1 .LBB127_2121
; %bb.2112:
	s_cmp_lt_i32 s2, 9
	s_cbranch_scc1 .LBB127_2118
; %bb.2113:
	s_cmp_gt_i32 s2, 9
	s_cbranch_scc0 .LBB127_2115
; %bb.2114:
	s_wait_xcnt 0x0
	v_cndmask_b32_e64 v2, 0, 1, s16
	v_mov_b32_e32 v8, 0
	s_mov_b32 s0, 0
	s_delay_alu instid0(VALU_DEP_2) | instskip(NEXT) | instid1(VALU_DEP_2)
	v_cvt_f64_u32_e32 v[6:7], v2
	v_mov_b32_e32 v9, v8
	global_store_b128 v[0:1], v[6:9], off
.LBB127_2115:
	s_and_not1_b32 vcc_lo, exec_lo, s0
	s_cbranch_vccnz .LBB127_2117
; %bb.2116:
	s_wait_xcnt 0x0
	v_cndmask_b32_e64 v2, 0, 1.0, s16
	v_mov_b32_e32 v3, 0
	global_store_b64 v[0:1], v[2:3], off
.LBB127_2117:
	s_mov_b32 s0, 0
.LBB127_2118:
	s_delay_alu instid0(SALU_CYCLE_1)
	s_and_not1_b32 vcc_lo, exec_lo, s0
	s_cbranch_vccnz .LBB127_2120
; %bb.2119:
	s_wait_xcnt 0x0
	v_cndmask_b32_e64 v2, 0, 1.0, s16
	s_delay_alu instid0(VALU_DEP_1) | instskip(NEXT) | instid1(VALU_DEP_1)
	v_cvt_f16_f32_e32 v2, v2
	v_and_b32_e32 v2, 0xffff, v2
	global_store_b32 v[0:1], v2, off
.LBB127_2120:
	s_mov_b32 s0, 0
.LBB127_2121:
	s_delay_alu instid0(SALU_CYCLE_1)
	s_and_not1_b32 vcc_lo, exec_lo, s0
	s_cbranch_vccnz .LBB127_2130
; %bb.2122:
	s_cmp_lt_i32 s2, 6
	s_mov_b32 s0, -1
	s_cbranch_scc1 .LBB127_2128
; %bb.2123:
	s_cmp_gt_i32 s2, 6
	s_cbranch_scc0 .LBB127_2125
; %bb.2124:
	s_wait_xcnt 0x0
	v_cndmask_b32_e64 v2, 0, 1, s16
	s_mov_b32 s0, 0
	s_delay_alu instid0(VALU_DEP_1)
	v_cvt_f64_u32_e32 v[2:3], v2
	global_store_b64 v[0:1], v[2:3], off
.LBB127_2125:
	s_and_not1_b32 vcc_lo, exec_lo, s0
	s_cbranch_vccnz .LBB127_2127
; %bb.2126:
	s_wait_xcnt 0x0
	v_cndmask_b32_e64 v2, 0, 1.0, s16
	global_store_b32 v[0:1], v2, off
.LBB127_2127:
	s_mov_b32 s0, 0
.LBB127_2128:
	s_delay_alu instid0(SALU_CYCLE_1)
	s_and_not1_b32 vcc_lo, exec_lo, s0
	s_cbranch_vccnz .LBB127_2130
; %bb.2129:
	s_wait_xcnt 0x0
	v_cndmask_b32_e64 v2, 0, 1.0, s16
	s_delay_alu instid0(VALU_DEP_1)
	v_cvt_f16_f32_e32 v2, v2
	global_store_b16 v[0:1], v2, off
.LBB127_2130:
	s_mov_b32 s0, 0
.LBB127_2131:
	s_delay_alu instid0(SALU_CYCLE_1)
	s_and_not1_b32 vcc_lo, exec_lo, s0
	s_cbranch_vccnz .LBB127_2147
; %bb.2132:
	s_cmp_lt_i32 s2, 2
	s_mov_b32 s0, -1
	s_cbranch_scc1 .LBB127_2142
; %bb.2133:
	s_cmp_lt_i32 s2, 3
	s_cbranch_scc1 .LBB127_2139
; %bb.2134:
	s_cmp_gt_i32 s2, 3
	s_cbranch_scc0 .LBB127_2136
; %bb.2135:
	s_mov_b32 s0, 0
	s_wait_xcnt 0x0
	v_cndmask_b32_e64 v2, 0, 1, s16
	v_mov_b32_e32 v3, s0
	global_store_b64 v[0:1], v[2:3], off
.LBB127_2136:
	s_and_not1_b32 vcc_lo, exec_lo, s0
	s_cbranch_vccnz .LBB127_2138
; %bb.2137:
	s_wait_xcnt 0x0
	v_cndmask_b32_e64 v2, 0, 1, s16
	global_store_b32 v[0:1], v2, off
.LBB127_2138:
	s_mov_b32 s0, 0
.LBB127_2139:
	s_delay_alu instid0(SALU_CYCLE_1)
	s_and_not1_b32 vcc_lo, exec_lo, s0
	s_cbranch_vccnz .LBB127_2141
; %bb.2140:
	s_wait_xcnt 0x0
	v_cndmask_b32_e64 v2, 0, 1, s16
	global_store_b16 v[0:1], v2, off
.LBB127_2141:
	s_mov_b32 s0, 0
.LBB127_2142:
	s_delay_alu instid0(SALU_CYCLE_1)
	s_and_not1_b32 vcc_lo, exec_lo, s0
	s_cbranch_vccnz .LBB127_2147
; %bb.2143:
	s_cmp_gt_i32 s2, 0
	s_mov_b32 s0, -1
	s_cbranch_scc0 .LBB127_2145
; %bb.2144:
	s_wait_xcnt 0x0
	v_cndmask_b32_e64 v2, 0, 1, s16
	s_mov_b32 s0, 0
	global_store_b8 v[0:1], v2, off
.LBB127_2145:
	s_and_not1_b32 vcc_lo, exec_lo, s0
	s_cbranch_vccnz .LBB127_2147
; %bb.2146:
	s_wait_xcnt 0x0
	v_cndmask_b32_e64 v2, 0, 1, s16
	global_store_b8 v[0:1], v2, off
.LBB127_2147:
	s_mov_b32 s8, -1
.LBB127_2148:
	s_delay_alu instid0(SALU_CYCLE_1)
	s_and_not1_b32 vcc_lo, exec_lo, s8
	s_cbranch_vccnz .LBB127_2225
; %bb.2149:
	s_wait_xcnt 0x0
	v_mov_b32_e32 v5, 0
	s_cmp_lt_i32 s2, 11
	s_delay_alu instid0(VALU_DEP_1)
	v_add_nc_u64_e32 v[0:1], s[4:5], v[4:5]
	s_cbranch_scc1 .LBB127_2226
; %bb.2150:
	s_mov_b32 s4, -1
	s_mov_b32 s3, 0
	s_cmp_gt_i32 s2, 25
	s_mov_b32 s0, 0
	s_cbranch_scc0 .LBB127_2183
; %bb.2151:
	s_cmp_gt_i32 s2, 28
	s_cbranch_scc0 .LBB127_2167
; %bb.2152:
	s_cmp_gt_i32 s2, 43
	s_cbranch_scc0 .LBB127_2163
; %bb.2153:
	s_cmp_gt_i32 s2, 45
	s_cbranch_scc0 .LBB127_2157
; %bb.2154:
	s_cmp_eq_u32 s2, 46
	s_mov_b32 s0, -1
	s_cbranch_scc0 .LBB127_2156
; %bb.2155:
	v_cndmask_b32_e64 v2, 0, 1.0, s6
	s_mov_b32 s0, 0
	s_delay_alu instid0(VALU_DEP_1) | instskip(NEXT) | instid1(VALU_DEP_1)
	v_bfe_u32 v3, v2, 16, 1
	v_add3_u32 v2, v2, v3, 0x7fff
	s_delay_alu instid0(VALU_DEP_1)
	v_lshrrev_b32_e32 v2, 16, v2
	global_store_b32 v[0:1], v2, off
.LBB127_2156:
	s_mov_b32 s4, 0
.LBB127_2157:
	s_delay_alu instid0(SALU_CYCLE_1)
	s_and_b32 vcc_lo, exec_lo, s4
	s_cbranch_vccz .LBB127_2162
; %bb.2158:
	s_cmp_eq_u32 s2, 44
	s_mov_b32 s0, -1
	s_cbranch_scc0 .LBB127_2162
; %bb.2159:
	v_cndmask_b32_e64 v4, 0, 1.0, s6
	s_mov_b32 s4, exec_lo
	s_wait_xcnt 0x0
	s_delay_alu instid0(VALU_DEP_1) | instskip(NEXT) | instid1(VALU_DEP_1)
	v_dual_mov_b32 v3, 0xff :: v_dual_lshrrev_b32 v2, 23, v4
	v_cmpx_ne_u32_e32 0xff, v2
; %bb.2160:
	v_and_b32_e32 v3, 0x400000, v4
	v_and_or_b32 v4, 0x3fffff, v4, v2
	s_delay_alu instid0(VALU_DEP_2) | instskip(NEXT) | instid1(VALU_DEP_2)
	v_cmp_ne_u32_e32 vcc_lo, 0, v3
	v_cmp_ne_u32_e64 s0, 0, v4
	s_and_b32 s0, vcc_lo, s0
	s_delay_alu instid0(SALU_CYCLE_1) | instskip(NEXT) | instid1(VALU_DEP_1)
	v_cndmask_b32_e64 v3, 0, 1, s0
	v_add_nc_u32_e32 v3, v2, v3
; %bb.2161:
	s_or_b32 exec_lo, exec_lo, s4
	s_mov_b32 s0, 0
	global_store_b8 v[0:1], v3, off
.LBB127_2162:
	s_mov_b32 s4, 0
.LBB127_2163:
	s_delay_alu instid0(SALU_CYCLE_1)
	s_and_b32 vcc_lo, exec_lo, s4
	s_cbranch_vccz .LBB127_2166
; %bb.2164:
	s_cmp_eq_u32 s2, 29
	s_mov_b32 s0, -1
	s_cbranch_scc0 .LBB127_2166
; %bb.2165:
	s_mov_b32 s0, 0
	s_wait_xcnt 0x0
	v_cndmask_b32_e64 v2, 0, 1, s6
	v_mov_b32_e32 v3, s0
	global_store_b64 v[0:1], v[2:3], off
.LBB127_2166:
	s_mov_b32 s4, 0
.LBB127_2167:
	s_delay_alu instid0(SALU_CYCLE_1)
	s_and_b32 vcc_lo, exec_lo, s4
	s_cbranch_vccz .LBB127_2182
; %bb.2168:
	s_cmp_lt_i32 s2, 27
	s_mov_b32 s4, -1
	s_cbranch_scc1 .LBB127_2174
; %bb.2169:
	s_cmp_gt_i32 s2, 27
	s_cbranch_scc0 .LBB127_2171
; %bb.2170:
	s_wait_xcnt 0x0
	v_cndmask_b32_e64 v2, 0, 1, s6
	s_mov_b32 s4, 0
	global_store_b32 v[0:1], v2, off
.LBB127_2171:
	s_and_not1_b32 vcc_lo, exec_lo, s4
	s_cbranch_vccnz .LBB127_2173
; %bb.2172:
	s_wait_xcnt 0x0
	v_cndmask_b32_e64 v2, 0, 1, s6
	global_store_b16 v[0:1], v2, off
.LBB127_2173:
	s_mov_b32 s4, 0
.LBB127_2174:
	s_delay_alu instid0(SALU_CYCLE_1)
	s_and_not1_b32 vcc_lo, exec_lo, s4
	s_cbranch_vccnz .LBB127_2182
; %bb.2175:
	s_wait_xcnt 0x0
	v_cndmask_b32_e64 v3, 0, 1.0, s6
	v_mov_b32_e32 v4, 0x80
	s_mov_b32 s4, exec_lo
	s_delay_alu instid0(VALU_DEP_2)
	v_cmpx_gt_u32_e32 0x43800000, v3
	s_cbranch_execz .LBB127_2181
; %bb.2176:
	s_mov_b32 s5, 0
	s_mov_b32 s8, exec_lo
                                        ; implicit-def: $vgpr2
	v_cmpx_lt_u32_e32 0x3bffffff, v3
	s_xor_b32 s8, exec_lo, s8
	s_cbranch_execz .LBB127_2242
; %bb.2177:
	v_bfe_u32 v2, v3, 20, 1
	s_mov_b32 s5, exec_lo
	s_delay_alu instid0(VALU_DEP_1) | instskip(NEXT) | instid1(VALU_DEP_1)
	v_add3_u32 v2, v3, v2, 0x487ffff
                                        ; implicit-def: $vgpr3
	v_lshrrev_b32_e32 v2, 20, v2
	s_and_not1_saveexec_b32 s8, s8
	s_cbranch_execnz .LBB127_2243
.LBB127_2178:
	s_or_b32 exec_lo, exec_lo, s8
	v_mov_b32_e32 v4, 0
	s_and_saveexec_b32 s8, s5
.LBB127_2179:
	v_mov_b32_e32 v4, v2
.LBB127_2180:
	s_or_b32 exec_lo, exec_lo, s8
.LBB127_2181:
	s_delay_alu instid0(SALU_CYCLE_1)
	s_or_b32 exec_lo, exec_lo, s4
	global_store_b8 v[0:1], v4, off
.LBB127_2182:
	s_mov_b32 s4, 0
.LBB127_2183:
	s_delay_alu instid0(SALU_CYCLE_1)
	s_and_b32 vcc_lo, exec_lo, s4
	s_cbranch_vccz .LBB127_2223
; %bb.2184:
	s_cmp_gt_i32 s2, 22
	s_mov_b32 s3, -1
	s_cbranch_scc0 .LBB127_2216
; %bb.2185:
	s_cmp_lt_i32 s2, 24
	s_cbranch_scc1 .LBB127_2205
; %bb.2186:
	s_cmp_gt_i32 s2, 24
	s_cbranch_scc0 .LBB127_2194
; %bb.2187:
	s_wait_xcnt 0x0
	v_cndmask_b32_e64 v3, 0, 1.0, s6
	v_mov_b32_e32 v4, 0x80
	s_mov_b32 s3, exec_lo
	s_delay_alu instid0(VALU_DEP_2)
	v_cmpx_gt_u32_e32 0x47800000, v3
	s_cbranch_execz .LBB127_2193
; %bb.2188:
	s_mov_b32 s4, 0
	s_mov_b32 s5, exec_lo
                                        ; implicit-def: $vgpr2
	v_cmpx_lt_u32_e32 0x37ffffff, v3
	s_xor_b32 s5, exec_lo, s5
	s_cbranch_execz .LBB127_2245
; %bb.2189:
	v_bfe_u32 v2, v3, 21, 1
	s_mov_b32 s4, exec_lo
	s_delay_alu instid0(VALU_DEP_1) | instskip(NEXT) | instid1(VALU_DEP_1)
	v_add3_u32 v2, v3, v2, 0x88fffff
                                        ; implicit-def: $vgpr3
	v_lshrrev_b32_e32 v2, 21, v2
	s_and_not1_saveexec_b32 s5, s5
	s_cbranch_execnz .LBB127_2246
.LBB127_2190:
	s_or_b32 exec_lo, exec_lo, s5
	v_mov_b32_e32 v4, 0
	s_and_saveexec_b32 s5, s4
.LBB127_2191:
	v_mov_b32_e32 v4, v2
.LBB127_2192:
	s_or_b32 exec_lo, exec_lo, s5
.LBB127_2193:
	s_delay_alu instid0(SALU_CYCLE_1)
	s_or_b32 exec_lo, exec_lo, s3
	s_mov_b32 s3, 0
	global_store_b8 v[0:1], v4, off
.LBB127_2194:
	s_and_b32 vcc_lo, exec_lo, s3
	s_cbranch_vccz .LBB127_2204
; %bb.2195:
	s_wait_xcnt 0x0
	v_cndmask_b32_e64 v3, 0, 1.0, s6
	s_mov_b32 s3, exec_lo
                                        ; implicit-def: $vgpr2
	s_delay_alu instid0(VALU_DEP_1)
	v_cmpx_gt_u32_e32 0x43f00000, v3
	s_xor_b32 s3, exec_lo, s3
	s_cbranch_execz .LBB127_2201
; %bb.2196:
	s_mov_b32 s4, exec_lo
                                        ; implicit-def: $vgpr2
	v_cmpx_lt_u32_e32 0x3c7fffff, v3
	s_xor_b32 s4, exec_lo, s4
; %bb.2197:
	v_bfe_u32 v2, v3, 20, 1
	s_delay_alu instid0(VALU_DEP_1) | instskip(NEXT) | instid1(VALU_DEP_1)
	v_add3_u32 v2, v3, v2, 0x407ffff
	v_and_b32_e32 v3, 0xff00000, v2
	v_lshrrev_b32_e32 v2, 20, v2
	s_delay_alu instid0(VALU_DEP_2) | instskip(NEXT) | instid1(VALU_DEP_2)
	v_cmp_ne_u32_e32 vcc_lo, 0x7f00000, v3
                                        ; implicit-def: $vgpr3
	v_cndmask_b32_e32 v2, 0x7e, v2, vcc_lo
; %bb.2198:
	s_and_not1_saveexec_b32 s4, s4
; %bb.2199:
	v_add_f32_e32 v2, 0x46800000, v3
; %bb.2200:
	s_or_b32 exec_lo, exec_lo, s4
                                        ; implicit-def: $vgpr3
.LBB127_2201:
	s_and_not1_saveexec_b32 s3, s3
; %bb.2202:
	v_mov_b32_e32 v2, 0x7f
	v_cmp_lt_u32_e32 vcc_lo, 0x7f800000, v3
	s_delay_alu instid0(VALU_DEP_2)
	v_cndmask_b32_e32 v2, 0x7e, v2, vcc_lo
; %bb.2203:
	s_or_b32 exec_lo, exec_lo, s3
	global_store_b8 v[0:1], v2, off
.LBB127_2204:
	s_mov_b32 s3, 0
.LBB127_2205:
	s_delay_alu instid0(SALU_CYCLE_1)
	s_and_not1_b32 vcc_lo, exec_lo, s3
	s_cbranch_vccnz .LBB127_2215
; %bb.2206:
	s_wait_xcnt 0x0
	v_cndmask_b32_e64 v3, 0, 1.0, s6
	s_mov_b32 s3, exec_lo
                                        ; implicit-def: $vgpr2
	s_delay_alu instid0(VALU_DEP_1)
	v_cmpx_gt_u32_e32 0x47800000, v3
	s_xor_b32 s3, exec_lo, s3
	s_cbranch_execz .LBB127_2212
; %bb.2207:
	s_mov_b32 s4, exec_lo
                                        ; implicit-def: $vgpr2
	v_cmpx_lt_u32_e32 0x387fffff, v3
	s_xor_b32 s4, exec_lo, s4
; %bb.2208:
	v_bfe_u32 v2, v3, 21, 1
	s_delay_alu instid0(VALU_DEP_1) | instskip(NEXT) | instid1(VALU_DEP_1)
	v_add3_u32 v2, v3, v2, 0x80fffff
                                        ; implicit-def: $vgpr3
	v_lshrrev_b32_e32 v2, 21, v2
; %bb.2209:
	s_and_not1_saveexec_b32 s4, s4
; %bb.2210:
	v_add_f32_e32 v2, 0x43000000, v3
; %bb.2211:
	s_or_b32 exec_lo, exec_lo, s4
                                        ; implicit-def: $vgpr3
.LBB127_2212:
	s_and_not1_saveexec_b32 s3, s3
; %bb.2213:
	v_mov_b32_e32 v2, 0x7f
	v_cmp_lt_u32_e32 vcc_lo, 0x7f800000, v3
	s_delay_alu instid0(VALU_DEP_2)
	v_cndmask_b32_e32 v2, 0x7c, v2, vcc_lo
; %bb.2214:
	s_or_b32 exec_lo, exec_lo, s3
	global_store_b8 v[0:1], v2, off
.LBB127_2215:
	s_mov_b32 s3, 0
.LBB127_2216:
	s_delay_alu instid0(SALU_CYCLE_1)
	s_and_not1_b32 vcc_lo, exec_lo, s3
	s_mov_b32 s3, 0
	s_cbranch_vccnz .LBB127_2223
; %bb.2217:
	s_cmp_gt_i32 s2, 14
	s_mov_b32 s3, -1
	s_cbranch_scc0 .LBB127_2221
; %bb.2218:
	s_cmp_eq_u32 s2, 15
	s_mov_b32 s0, -1
	s_cbranch_scc0 .LBB127_2220
; %bb.2219:
	s_wait_xcnt 0x0
	v_cndmask_b32_e64 v2, 0, 1.0, s6
	s_mov_b32 s0, 0
	s_delay_alu instid0(VALU_DEP_1) | instskip(NEXT) | instid1(VALU_DEP_1)
	v_bfe_u32 v3, v2, 16, 1
	v_add3_u32 v2, v2, v3, 0x7fff
	global_store_d16_hi_b16 v[0:1], v2, off
.LBB127_2220:
	s_mov_b32 s3, 0
.LBB127_2221:
	s_delay_alu instid0(SALU_CYCLE_1)
	s_and_b32 vcc_lo, exec_lo, s3
	s_mov_b32 s3, 0
	s_cbranch_vccz .LBB127_2223
; %bb.2222:
	s_cmp_lg_u32 s2, 11
	s_mov_b32 s3, -1
	s_cselect_b32 s0, -1, 0
.LBB127_2223:
	s_delay_alu instid0(SALU_CYCLE_1)
	s_and_b32 vcc_lo, exec_lo, s0
	s_cbranch_vccnz .LBB127_2244
.LBB127_2224:
	s_mov_b32 s0, 0
	s_branch .LBB127_1745
.LBB127_2225:
	s_mov_b32 s0, 0
	s_mov_b32 s3, 0
	s_branch .LBB127_1744
.LBB127_2226:
	s_mov_b32 s3, 0
	s_mov_b32 s0, -1
	s_branch .LBB127_1745
.LBB127_2227:
	s_and_not1_saveexec_b32 s10, s10
	s_cbranch_execz .LBB127_1820
.LBB127_2228:
	v_add_f32_e32 v2, 0x46000000, v3
	s_and_not1_b32 s9, s9, exec_lo
	s_delay_alu instid0(VALU_DEP_1) | instskip(NEXT) | instid1(VALU_DEP_1)
	v_and_b32_e32 v2, 0xff, v2
	v_cmp_ne_u32_e32 vcc_lo, 0, v2
	s_and_b32 s11, vcc_lo, exec_lo
	s_delay_alu instid0(SALU_CYCLE_1)
	s_or_b32 s9, s9, s11
	s_or_b32 exec_lo, exec_lo, s10
	v_mov_b32_e32 v5, 0
	s_and_saveexec_b32 s10, s9
	s_cbranch_execnz .LBB127_1821
	s_branch .LBB127_1822
.LBB127_2229:
	s_or_b32 s1, s1, exec_lo
	s_trap 2
	s_cbranch_execz .LBB127_1868
	s_branch .LBB127_1869
.LBB127_2230:
	s_and_not1_saveexec_b32 s9, s9
	s_cbranch_execz .LBB127_1833
.LBB127_2231:
	v_add_f32_e32 v2, 0x42800000, v3
	s_and_not1_b32 s8, s8, exec_lo
	s_delay_alu instid0(VALU_DEP_1) | instskip(NEXT) | instid1(VALU_DEP_1)
	v_and_b32_e32 v2, 0xff, v2
	v_cmp_ne_u32_e32 vcc_lo, 0, v2
	s_and_b32 s10, vcc_lo, exec_lo
	s_delay_alu instid0(SALU_CYCLE_1)
	s_or_b32 s8, s8, s10
	s_or_b32 exec_lo, exec_lo, s9
	v_mov_b32_e32 v5, 0
	s_and_saveexec_b32 s9, s8
	s_cbranch_execnz .LBB127_1834
	s_branch .LBB127_1835
.LBB127_2232:
	s_and_not1_saveexec_b32 s10, s10
	s_cbranch_execz .LBB127_1939
.LBB127_2233:
	v_add_f32_e32 v2, 0x46000000, v3
	s_and_not1_b32 s9, s9, exec_lo
	s_delay_alu instid0(VALU_DEP_1) | instskip(NEXT) | instid1(VALU_DEP_1)
	v_and_b32_e32 v2, 0xff, v2
	v_cmp_ne_u32_e32 vcc_lo, 0, v2
	s_and_b32 s11, vcc_lo, exec_lo
	s_delay_alu instid0(SALU_CYCLE_1)
	s_or_b32 s9, s9, s11
	s_or_b32 exec_lo, exec_lo, s10
	v_mov_b32_e32 v5, 0
	s_and_saveexec_b32 s10, s9
	s_cbranch_execnz .LBB127_1940
	s_branch .LBB127_1941
.LBB127_2234:
	s_or_b32 s1, s1, exec_lo
	s_trap 2
	s_cbranch_execz .LBB127_1987
	s_branch .LBB127_1988
.LBB127_2235:
	s_and_not1_saveexec_b32 s9, s9
	s_cbranch_execz .LBB127_1952
.LBB127_2236:
	v_add_f32_e32 v2, 0x42800000, v3
	s_and_not1_b32 s8, s8, exec_lo
	s_delay_alu instid0(VALU_DEP_1) | instskip(NEXT) | instid1(VALU_DEP_1)
	v_and_b32_e32 v2, 0xff, v2
	v_cmp_ne_u32_e32 vcc_lo, 0, v2
	s_and_b32 s10, vcc_lo, exec_lo
	s_delay_alu instid0(SALU_CYCLE_1)
	s_or_b32 s8, s8, s10
	s_or_b32 exec_lo, exec_lo, s9
	v_mov_b32_e32 v5, 0
	s_and_saveexec_b32 s9, s8
	s_cbranch_execnz .LBB127_1953
	s_branch .LBB127_1954
.LBB127_2237:
	s_and_not1_saveexec_b32 s10, s10
	s_cbranch_execz .LBB127_2058
.LBB127_2238:
	v_add_f32_e32 v2, 0x46000000, v3
	s_and_not1_b32 s9, s9, exec_lo
	s_delay_alu instid0(VALU_DEP_1) | instskip(NEXT) | instid1(VALU_DEP_1)
	v_and_b32_e32 v2, 0xff, v2
	v_cmp_ne_u32_e32 vcc_lo, 0, v2
	s_and_b32 s11, vcc_lo, exec_lo
	s_delay_alu instid0(SALU_CYCLE_1)
	s_or_b32 s9, s9, s11
	s_or_b32 exec_lo, exec_lo, s10
	v_mov_b32_e32 v5, 0
	s_and_saveexec_b32 s10, s9
	s_cbranch_execnz .LBB127_2059
	s_branch .LBB127_2060
.LBB127_2239:
	s_or_b32 s1, s1, exec_lo
	s_trap 2
	s_cbranch_execz .LBB127_2106
	s_branch .LBB127_2107
.LBB127_2240:
	s_and_not1_saveexec_b32 s9, s9
	s_cbranch_execz .LBB127_2071
.LBB127_2241:
	v_add_f32_e32 v2, 0x42800000, v3
	s_and_not1_b32 s8, s8, exec_lo
	s_delay_alu instid0(VALU_DEP_1) | instskip(NEXT) | instid1(VALU_DEP_1)
	v_and_b32_e32 v2, 0xff, v2
	v_cmp_ne_u32_e32 vcc_lo, 0, v2
	s_and_b32 s10, vcc_lo, exec_lo
	s_delay_alu instid0(SALU_CYCLE_1)
	s_or_b32 s8, s8, s10
	s_or_b32 exec_lo, exec_lo, s9
	v_mov_b32_e32 v5, 0
	s_and_saveexec_b32 s9, s8
	s_cbranch_execnz .LBB127_2072
	s_branch .LBB127_2073
.LBB127_2242:
	s_and_not1_saveexec_b32 s8, s8
	s_cbranch_execz .LBB127_2178
.LBB127_2243:
	v_add_f32_e32 v2, 0x46000000, v3
	s_and_not1_b32 s5, s5, exec_lo
	s_delay_alu instid0(VALU_DEP_1) | instskip(NEXT) | instid1(VALU_DEP_1)
	v_and_b32_e32 v2, 0xff, v2
	v_cmp_ne_u32_e32 vcc_lo, 0, v2
	s_and_b32 s9, vcc_lo, exec_lo
	s_delay_alu instid0(SALU_CYCLE_1)
	s_or_b32 s5, s5, s9
	s_or_b32 exec_lo, exec_lo, s8
	v_mov_b32_e32 v4, 0
	s_and_saveexec_b32 s8, s5
	s_cbranch_execnz .LBB127_2179
	s_branch .LBB127_2180
.LBB127_2244:
	s_mov_b32 s3, 0
	s_or_b32 s1, s1, exec_lo
	s_trap 2
	s_branch .LBB127_2224
.LBB127_2245:
	s_and_not1_saveexec_b32 s5, s5
	s_cbranch_execz .LBB127_2190
.LBB127_2246:
	v_add_f32_e32 v2, 0x42800000, v3
	s_and_not1_b32 s4, s4, exec_lo
	s_delay_alu instid0(VALU_DEP_1) | instskip(NEXT) | instid1(VALU_DEP_1)
	v_and_b32_e32 v2, 0xff, v2
	v_cmp_ne_u32_e32 vcc_lo, 0, v2
	s_and_b32 s8, vcc_lo, exec_lo
	s_delay_alu instid0(SALU_CYCLE_1)
	s_or_b32 s4, s4, s8
	s_or_b32 exec_lo, exec_lo, s5
	v_mov_b32_e32 v4, 0
	s_and_saveexec_b32 s5, s4
	s_cbranch_execnz .LBB127_2191
	s_branch .LBB127_2192
	.section	.rodata,"a",@progbits
	.p2align	6, 0x0
	.amdhsa_kernel _ZN2at6native32elementwise_kernel_manual_unrollILi128ELi4EZNS0_15gpu_kernel_implINS0_13AUnaryFunctorIN3c107complexIdEES6_bNS0_12_GLOBAL__N_116CompareEqFunctorIS6_EEEEEEvRNS_18TensorIteratorBaseERKT_EUlibE0_EEviT1_
		.amdhsa_group_segment_fixed_size 0
		.amdhsa_private_segment_fixed_size 0
		.amdhsa_kernarg_size 416
		.amdhsa_user_sgpr_count 2
		.amdhsa_user_sgpr_dispatch_ptr 0
		.amdhsa_user_sgpr_queue_ptr 0
		.amdhsa_user_sgpr_kernarg_segment_ptr 1
		.amdhsa_user_sgpr_dispatch_id 0
		.amdhsa_user_sgpr_kernarg_preload_length 0
		.amdhsa_user_sgpr_kernarg_preload_offset 0
		.amdhsa_user_sgpr_private_segment_size 0
		.amdhsa_wavefront_size32 1
		.amdhsa_uses_dynamic_stack 0
		.amdhsa_enable_private_segment 0
		.amdhsa_system_sgpr_workgroup_id_x 1
		.amdhsa_system_sgpr_workgroup_id_y 0
		.amdhsa_system_sgpr_workgroup_id_z 0
		.amdhsa_system_sgpr_workgroup_info 0
		.amdhsa_system_vgpr_workitem_id 0
		.amdhsa_next_free_vgpr 20
		.amdhsa_next_free_sgpr 72
		.amdhsa_named_barrier_count 0
		.amdhsa_reserve_vcc 1
		.amdhsa_float_round_mode_32 0
		.amdhsa_float_round_mode_16_64 0
		.amdhsa_float_denorm_mode_32 3
		.amdhsa_float_denorm_mode_16_64 3
		.amdhsa_fp16_overflow 0
		.amdhsa_memory_ordered 1
		.amdhsa_forward_progress 1
		.amdhsa_inst_pref_size 255
		.amdhsa_round_robin_scheduling 0
		.amdhsa_exception_fp_ieee_invalid_op 0
		.amdhsa_exception_fp_denorm_src 0
		.amdhsa_exception_fp_ieee_div_zero 0
		.amdhsa_exception_fp_ieee_overflow 0
		.amdhsa_exception_fp_ieee_underflow 0
		.amdhsa_exception_fp_ieee_inexact 0
		.amdhsa_exception_int_div_zero 0
	.end_amdhsa_kernel
	.section	.text._ZN2at6native32elementwise_kernel_manual_unrollILi128ELi4EZNS0_15gpu_kernel_implINS0_13AUnaryFunctorIN3c107complexIdEES6_bNS0_12_GLOBAL__N_116CompareEqFunctorIS6_EEEEEEvRNS_18TensorIteratorBaseERKT_EUlibE0_EEviT1_,"axG",@progbits,_ZN2at6native32elementwise_kernel_manual_unrollILi128ELi4EZNS0_15gpu_kernel_implINS0_13AUnaryFunctorIN3c107complexIdEES6_bNS0_12_GLOBAL__N_116CompareEqFunctorIS6_EEEEEEvRNS_18TensorIteratorBaseERKT_EUlibE0_EEviT1_,comdat
.Lfunc_end127:
	.size	_ZN2at6native32elementwise_kernel_manual_unrollILi128ELi4EZNS0_15gpu_kernel_implINS0_13AUnaryFunctorIN3c107complexIdEES6_bNS0_12_GLOBAL__N_116CompareEqFunctorIS6_EEEEEEvRNS_18TensorIteratorBaseERKT_EUlibE0_EEviT1_, .Lfunc_end127-_ZN2at6native32elementwise_kernel_manual_unrollILi128ELi4EZNS0_15gpu_kernel_implINS0_13AUnaryFunctorIN3c107complexIdEES6_bNS0_12_GLOBAL__N_116CompareEqFunctorIS6_EEEEEEvRNS_18TensorIteratorBaseERKT_EUlibE0_EEviT1_
                                        ; -- End function
	.set _ZN2at6native32elementwise_kernel_manual_unrollILi128ELi4EZNS0_15gpu_kernel_implINS0_13AUnaryFunctorIN3c107complexIdEES6_bNS0_12_GLOBAL__N_116CompareEqFunctorIS6_EEEEEEvRNS_18TensorIteratorBaseERKT_EUlibE0_EEviT1_.num_vgpr, 20
	.set _ZN2at6native32elementwise_kernel_manual_unrollILi128ELi4EZNS0_15gpu_kernel_implINS0_13AUnaryFunctorIN3c107complexIdEES6_bNS0_12_GLOBAL__N_116CompareEqFunctorIS6_EEEEEEvRNS_18TensorIteratorBaseERKT_EUlibE0_EEviT1_.num_agpr, 0
	.set _ZN2at6native32elementwise_kernel_manual_unrollILi128ELi4EZNS0_15gpu_kernel_implINS0_13AUnaryFunctorIN3c107complexIdEES6_bNS0_12_GLOBAL__N_116CompareEqFunctorIS6_EEEEEEvRNS_18TensorIteratorBaseERKT_EUlibE0_EEviT1_.numbered_sgpr, 72
	.set _ZN2at6native32elementwise_kernel_manual_unrollILi128ELi4EZNS0_15gpu_kernel_implINS0_13AUnaryFunctorIN3c107complexIdEES6_bNS0_12_GLOBAL__N_116CompareEqFunctorIS6_EEEEEEvRNS_18TensorIteratorBaseERKT_EUlibE0_EEviT1_.num_named_barrier, 0
	.set _ZN2at6native32elementwise_kernel_manual_unrollILi128ELi4EZNS0_15gpu_kernel_implINS0_13AUnaryFunctorIN3c107complexIdEES6_bNS0_12_GLOBAL__N_116CompareEqFunctorIS6_EEEEEEvRNS_18TensorIteratorBaseERKT_EUlibE0_EEviT1_.private_seg_size, 0
	.set _ZN2at6native32elementwise_kernel_manual_unrollILi128ELi4EZNS0_15gpu_kernel_implINS0_13AUnaryFunctorIN3c107complexIdEES6_bNS0_12_GLOBAL__N_116CompareEqFunctorIS6_EEEEEEvRNS_18TensorIteratorBaseERKT_EUlibE0_EEviT1_.uses_vcc, 1
	.set _ZN2at6native32elementwise_kernel_manual_unrollILi128ELi4EZNS0_15gpu_kernel_implINS0_13AUnaryFunctorIN3c107complexIdEES6_bNS0_12_GLOBAL__N_116CompareEqFunctorIS6_EEEEEEvRNS_18TensorIteratorBaseERKT_EUlibE0_EEviT1_.uses_flat_scratch, 0
	.set _ZN2at6native32elementwise_kernel_manual_unrollILi128ELi4EZNS0_15gpu_kernel_implINS0_13AUnaryFunctorIN3c107complexIdEES6_bNS0_12_GLOBAL__N_116CompareEqFunctorIS6_EEEEEEvRNS_18TensorIteratorBaseERKT_EUlibE0_EEviT1_.has_dyn_sized_stack, 0
	.set _ZN2at6native32elementwise_kernel_manual_unrollILi128ELi4EZNS0_15gpu_kernel_implINS0_13AUnaryFunctorIN3c107complexIdEES6_bNS0_12_GLOBAL__N_116CompareEqFunctorIS6_EEEEEEvRNS_18TensorIteratorBaseERKT_EUlibE0_EEviT1_.has_recursion, 0
	.set _ZN2at6native32elementwise_kernel_manual_unrollILi128ELi4EZNS0_15gpu_kernel_implINS0_13AUnaryFunctorIN3c107complexIdEES6_bNS0_12_GLOBAL__N_116CompareEqFunctorIS6_EEEEEEvRNS_18TensorIteratorBaseERKT_EUlibE0_EEviT1_.has_indirect_call, 0
	.section	.AMDGPU.csdata,"",@progbits
; Kernel info:
; codeLenInByte = 43364
; TotalNumSgprs: 74
; NumVgprs: 20
; ScratchSize: 0
; MemoryBound: 1
; FloatMode: 240
; IeeeMode: 1
; LDSByteSize: 0 bytes/workgroup (compile time only)
; SGPRBlocks: 0
; VGPRBlocks: 1
; NumSGPRsForWavesPerEU: 74
; NumVGPRsForWavesPerEU: 20
; NamedBarCnt: 0
; Occupancy: 16
; WaveLimiterHint : 1
; COMPUTE_PGM_RSRC2:SCRATCH_EN: 0
; COMPUTE_PGM_RSRC2:USER_SGPR: 2
; COMPUTE_PGM_RSRC2:TRAP_HANDLER: 0
; COMPUTE_PGM_RSRC2:TGID_X_EN: 1
; COMPUTE_PGM_RSRC2:TGID_Y_EN: 0
; COMPUTE_PGM_RSRC2:TGID_Z_EN: 0
; COMPUTE_PGM_RSRC2:TIDIG_COMP_CNT: 0
	.section	.text._ZN2at6native29vectorized_elementwise_kernelILi16ENS0_13BinaryFunctorIN3c107complexIfEES5_bNS0_12_GLOBAL__N_116CompareEqFunctorIS5_EEEESt5arrayIPcLm3EEEEviT0_T1_,"axG",@progbits,_ZN2at6native29vectorized_elementwise_kernelILi16ENS0_13BinaryFunctorIN3c107complexIfEES5_bNS0_12_GLOBAL__N_116CompareEqFunctorIS5_EEEESt5arrayIPcLm3EEEEviT0_T1_,comdat
	.globl	_ZN2at6native29vectorized_elementwise_kernelILi16ENS0_13BinaryFunctorIN3c107complexIfEES5_bNS0_12_GLOBAL__N_116CompareEqFunctorIS5_EEEESt5arrayIPcLm3EEEEviT0_T1_ ; -- Begin function _ZN2at6native29vectorized_elementwise_kernelILi16ENS0_13BinaryFunctorIN3c107complexIfEES5_bNS0_12_GLOBAL__N_116CompareEqFunctorIS5_EEEESt5arrayIPcLm3EEEEviT0_T1_
	.p2align	8
	.type	_ZN2at6native29vectorized_elementwise_kernelILi16ENS0_13BinaryFunctorIN3c107complexIfEES5_bNS0_12_GLOBAL__N_116CompareEqFunctorIS5_EEEESt5arrayIPcLm3EEEEviT0_T1_,@function
_ZN2at6native29vectorized_elementwise_kernelILi16ENS0_13BinaryFunctorIN3c107complexIfEES5_bNS0_12_GLOBAL__N_116CompareEqFunctorIS5_EEEESt5arrayIPcLm3EEEEviT0_T1_: ; @_ZN2at6native29vectorized_elementwise_kernelILi16ENS0_13BinaryFunctorIN3c107complexIfEES5_bNS0_12_GLOBAL__N_116CompareEqFunctorIS5_EEEESt5arrayIPcLm3EEEEviT0_T1_
; %bb.0:
	s_clause 0x2
	s_load_b64 s[8:9], s[0:1], 0x0
	s_load_b128 s[4:7], s[0:1], 0x8
	s_load_b64 s[10:11], s[0:1], 0x18
	s_wait_xcnt 0x0
	s_bfe_u32 s0, ttmp6, 0x4000c
	s_and_b32 s1, ttmp6, 15
	s_add_co_i32 s0, s0, 1
	s_getreg_b32 s2, hwreg(HW_REG_IB_STS2, 6, 4)
	s_mul_i32 s0, ttmp9, s0
	s_delay_alu instid0(SALU_CYCLE_1) | instskip(SKIP_2) | instid1(SALU_CYCLE_1)
	s_add_co_i32 s1, s1, s0
	s_cmp_eq_u32 s2, 0
	s_cselect_b32 s0, ttmp9, s1
	s_lshl_b32 s2, s0, 12
	s_mov_b32 s0, -1
	s_wait_kmcnt 0x0
	s_sub_co_i32 s8, s8, s2
	s_delay_alu instid0(SALU_CYCLE_1)
	s_cmp_gt_i32 s8, 0xfff
	s_cbranch_scc0 .LBB128_50
; %bb.1:
	s_ashr_i32 s3, s2, 31
	v_lshlrev_b32_e32 v1, 7, v0
	s_lshl_b64 s[0:1], s[2:3], 3
	s_cmp_lg_u32 s9, 0
	s_add_nc_u64 s[12:13], s[6:7], s[0:1]
	s_add_nc_u64 s[0:1], s[10:11], s[0:1]
	s_clause 0xf
	global_load_b128 v[34:37], v1, s[12:13] offset:48
	global_load_b128 v[42:45], v1, s[12:13] offset:32
	;; [unrolled: 1-line block ×3, first 2 shown]
	global_load_b128 v[58:61], v1, s[12:13]
	global_load_b128 v[2:5], v1, s[12:13] offset:112
	global_load_b128 v[10:13], v1, s[12:13] offset:96
	global_load_b128 v[18:21], v1, s[12:13] offset:80
	global_load_b128 v[26:29], v1, s[12:13] offset:64
	global_load_b128 v[38:41], v1, s[0:1] offset:48
	global_load_b128 v[46:49], v1, s[0:1] offset:32
	global_load_b128 v[54:57], v1, s[0:1] offset:16
	global_load_b128 v[62:65], v1, s[0:1]
	global_load_b128 v[6:9], v1, s[0:1] offset:112
	global_load_b128 v[14:17], v1, s[0:1] offset:96
	;; [unrolled: 1-line block ×4, first 2 shown]
	s_wait_xcnt 0x8
	s_cselect_b32 s12, -1, 0
	s_delay_alu instid0(SALU_CYCLE_1)
	s_and_b32 vcc_lo, exec_lo, s12
	s_cbranch_vccz .LBB128_196
; %bb.2:
	s_wait_loadcnt 0x4
	v_cmp_neq_f32_e32 vcc_lo, v58, v62
	s_wait_xcnt 0x0
	v_cmp_neq_f32_e64 s0, v59, v63
	s_or_b32 s1, vcc_lo, s0
	s_cbranch_execnz .LBB128_4
.LBB128_3:
	s_wait_loadcnt 0x4
	v_cmp_eq_f32_e32 vcc_lo, v58, v62
	v_cmp_eq_f32_e64 s0, v59, v63
	s_and_not1_b32 s1, s1, exec_lo
	s_and_b32 s0, vcc_lo, s0
	s_delay_alu instid0(SALU_CYCLE_1) | instskip(NEXT) | instid1(SALU_CYCLE_1)
	s_and_b32 s0, s0, exec_lo
	s_or_b32 s1, s1, s0
.LBB128_4:
	v_cndmask_b32_e64 v1, 0, 1, s12
	s_and_not1_b32 vcc_lo, exec_lo, s12
	s_cbranch_vccnz .LBB128_197
; %bb.5:
	s_wait_loadcnt 0x4
	v_cmp_neq_f32_e32 vcc_lo, v60, v64
	v_cmp_neq_f32_e64 s0, v61, v65
	s_or_b32 s12, vcc_lo, s0
	s_cbranch_execnz .LBB128_7
.LBB128_6:
	s_wait_loadcnt 0x4
	v_cmp_eq_f32_e32 vcc_lo, v60, v64
	v_cmp_eq_f32_e64 s0, v61, v65
	s_and_not1_b32 s12, s12, exec_lo
	s_and_b32 s0, vcc_lo, s0
	s_delay_alu instid0(SALU_CYCLE_1) | instskip(NEXT) | instid1(SALU_CYCLE_1)
	s_and_b32 s0, s0, exec_lo
	s_or_b32 s12, s12, s0
.LBB128_7:
	v_cmp_ne_u32_e32 vcc_lo, 1, v1
	s_cbranch_vccnz .LBB128_198
; %bb.8:
	s_wait_loadcnt 0x5
	v_cmp_neq_f32_e32 vcc_lo, v50, v54
	v_cmp_neq_f32_e64 s0, v51, v55
	s_or_b32 s13, vcc_lo, s0
	s_cbranch_execnz .LBB128_10
.LBB128_9:
	s_wait_loadcnt 0x5
	v_cmp_eq_f32_e32 vcc_lo, v50, v54
	v_cmp_eq_f32_e64 s0, v51, v55
	s_and_not1_b32 s13, s13, exec_lo
	s_and_b32 s0, vcc_lo, s0
	s_delay_alu instid0(SALU_CYCLE_1) | instskip(NEXT) | instid1(SALU_CYCLE_1)
	s_and_b32 s0, s0, exec_lo
	s_or_b32 s13, s13, s0
.LBB128_10:
	v_cmp_ne_u32_e32 vcc_lo, 1, v1
	s_cbranch_vccnz .LBB128_199
; %bb.11:
	s_wait_loadcnt 0x5
	v_cmp_neq_f32_e32 vcc_lo, v52, v56
	v_cmp_neq_f32_e64 s0, v53, v57
	s_or_b32 s14, vcc_lo, s0
	s_cbranch_execnz .LBB128_13
.LBB128_12:
	s_wait_loadcnt 0x5
	v_cmp_eq_f32_e32 vcc_lo, v52, v56
	v_cmp_eq_f32_e64 s0, v53, v57
	s_and_not1_b32 s14, s14, exec_lo
	s_and_b32 s0, vcc_lo, s0
	s_delay_alu instid0(SALU_CYCLE_1) | instskip(NEXT) | instid1(SALU_CYCLE_1)
	s_and_b32 s0, s0, exec_lo
	s_or_b32 s14, s14, s0
.LBB128_13:
	v_cmp_ne_u32_e32 vcc_lo, 1, v1
	s_cbranch_vccnz .LBB128_200
; %bb.14:
	s_wait_loadcnt 0x6
	v_cmp_neq_f32_e32 vcc_lo, v42, v46
	v_cmp_neq_f32_e64 s0, v43, v47
	s_or_b32 s15, vcc_lo, s0
	s_cbranch_execnz .LBB128_16
.LBB128_15:
	s_wait_loadcnt 0x6
	v_cmp_eq_f32_e32 vcc_lo, v42, v46
	v_cmp_eq_f32_e64 s0, v43, v47
	s_and_not1_b32 s15, s15, exec_lo
	s_and_b32 s0, vcc_lo, s0
	s_delay_alu instid0(SALU_CYCLE_1) | instskip(NEXT) | instid1(SALU_CYCLE_1)
	s_and_b32 s0, s0, exec_lo
	s_or_b32 s15, s15, s0
.LBB128_16:
	v_cmp_ne_u32_e32 vcc_lo, 1, v1
	s_cbranch_vccnz .LBB128_201
; %bb.17:
	s_wait_loadcnt 0x6
	v_cmp_neq_f32_e32 vcc_lo, v44, v48
	v_cmp_neq_f32_e64 s0, v45, v49
	s_or_b32 s16, vcc_lo, s0
	s_cbranch_execnz .LBB128_19
.LBB128_18:
	s_wait_loadcnt 0x6
	v_cmp_eq_f32_e32 vcc_lo, v44, v48
	v_cmp_eq_f32_e64 s0, v45, v49
	s_and_not1_b32 s16, s16, exec_lo
	s_and_b32 s0, vcc_lo, s0
	s_delay_alu instid0(SALU_CYCLE_1) | instskip(NEXT) | instid1(SALU_CYCLE_1)
	s_and_b32 s0, s0, exec_lo
	s_or_b32 s16, s16, s0
.LBB128_19:
	v_cmp_ne_u32_e32 vcc_lo, 1, v1
	s_cbranch_vccnz .LBB128_202
; %bb.20:
	s_wait_loadcnt 0x7
	v_cmp_neq_f32_e32 vcc_lo, v34, v38
	v_cmp_neq_f32_e64 s0, v35, v39
	s_or_b32 s17, vcc_lo, s0
	s_cbranch_execnz .LBB128_22
.LBB128_21:
	s_wait_loadcnt 0x7
	v_cmp_eq_f32_e32 vcc_lo, v34, v38
	v_cmp_eq_f32_e64 s0, v35, v39
	s_and_not1_b32 s17, s17, exec_lo
	s_and_b32 s0, vcc_lo, s0
	s_delay_alu instid0(SALU_CYCLE_1) | instskip(NEXT) | instid1(SALU_CYCLE_1)
	s_and_b32 s0, s0, exec_lo
	s_or_b32 s17, s17, s0
.LBB128_22:
	v_cmp_ne_u32_e32 vcc_lo, 1, v1
	s_cbranch_vccnz .LBB128_203
; %bb.23:
	s_wait_loadcnt 0x7
	v_cmp_neq_f32_e32 vcc_lo, v36, v40
	v_cmp_neq_f32_e64 s0, v37, v41
	s_or_b32 s19, vcc_lo, s0
	s_cbranch_execnz .LBB128_25
.LBB128_24:
	s_wait_loadcnt 0x7
	v_cmp_eq_f32_e32 vcc_lo, v36, v40
	v_cmp_eq_f32_e64 s0, v37, v41
	s_and_not1_b32 s18, s19, exec_lo
	s_and_b32 s0, vcc_lo, s0
	s_delay_alu instid0(SALU_CYCLE_1) | instskip(NEXT) | instid1(SALU_CYCLE_1)
	s_and_b32 s0, s0, exec_lo
	s_or_b32 s19, s18, s0
.LBB128_25:
	v_cmp_ne_u32_e32 vcc_lo, 1, v1
	s_cbranch_vccnz .LBB128_204
; %bb.26:
	s_wait_loadcnt 0x0
	v_cmp_neq_f32_e32 vcc_lo, v26, v30
	v_cmp_neq_f32_e64 s0, v27, v31
	s_or_b32 s18, vcc_lo, s0
	s_cbranch_execnz .LBB128_28
.LBB128_27:
	s_wait_loadcnt 0x0
	v_cmp_eq_f32_e32 vcc_lo, v26, v30
	v_cmp_eq_f32_e64 s0, v27, v31
	s_and_not1_b32 s18, s18, exec_lo
	s_and_b32 s0, vcc_lo, s0
	s_delay_alu instid0(SALU_CYCLE_1) | instskip(NEXT) | instid1(SALU_CYCLE_1)
	s_and_b32 s0, s0, exec_lo
	s_or_b32 s18, s18, s0
.LBB128_28:
	v_cmp_ne_u32_e32 vcc_lo, 1, v1
	s_cbranch_vccnz .LBB128_205
; %bb.29:
	s_wait_loadcnt 0x0
	v_cmp_neq_f32_e32 vcc_lo, v28, v32
	v_cmp_neq_f32_e64 s0, v29, v33
	s_or_b32 s20, vcc_lo, s0
	s_cbranch_execnz .LBB128_31
.LBB128_30:
	s_wait_loadcnt 0x0
	v_cmp_eq_f32_e32 vcc_lo, v28, v32
	v_cmp_eq_f32_e64 s0, v29, v33
	s_and_not1_b32 s20, s20, exec_lo
	s_and_b32 s0, vcc_lo, s0
	s_delay_alu instid0(SALU_CYCLE_1) | instskip(NEXT) | instid1(SALU_CYCLE_1)
	s_and_b32 s0, s0, exec_lo
	s_or_b32 s20, s20, s0
.LBB128_31:
	v_cmp_ne_u32_e32 vcc_lo, 1, v1
	s_cbranch_vccnz .LBB128_206
; %bb.32:
	s_wait_loadcnt 0x1
	v_cmp_neq_f32_e32 vcc_lo, v18, v22
	v_cmp_neq_f32_e64 s0, v19, v23
	s_or_b32 s21, vcc_lo, s0
	s_cbranch_execnz .LBB128_34
.LBB128_33:
	s_wait_loadcnt 0x1
	v_cmp_eq_f32_e32 vcc_lo, v18, v22
	v_cmp_eq_f32_e64 s0, v19, v23
	s_and_not1_b32 s21, s21, exec_lo
	s_and_b32 s0, vcc_lo, s0
	s_delay_alu instid0(SALU_CYCLE_1) | instskip(NEXT) | instid1(SALU_CYCLE_1)
	s_and_b32 s0, s0, exec_lo
	s_or_b32 s21, s21, s0
.LBB128_34:
	v_cmp_ne_u32_e32 vcc_lo, 1, v1
	s_cbranch_vccnz .LBB128_207
; %bb.35:
	s_wait_loadcnt 0x1
	v_cmp_neq_f32_e32 vcc_lo, v20, v24
	v_cmp_neq_f32_e64 s0, v21, v25
	s_or_b32 s22, vcc_lo, s0
	s_cbranch_execnz .LBB128_37
.LBB128_36:
	s_wait_loadcnt 0x1
	v_cmp_eq_f32_e32 vcc_lo, v20, v24
	v_cmp_eq_f32_e64 s0, v21, v25
	s_and_not1_b32 s22, s22, exec_lo
	s_and_b32 s0, vcc_lo, s0
	s_delay_alu instid0(SALU_CYCLE_1) | instskip(NEXT) | instid1(SALU_CYCLE_1)
	s_and_b32 s0, s0, exec_lo
	s_or_b32 s22, s22, s0
.LBB128_37:
	v_cmp_ne_u32_e32 vcc_lo, 1, v1
	s_cbranch_vccnz .LBB128_208
; %bb.38:
	s_wait_loadcnt 0x2
	v_cmp_neq_f32_e32 vcc_lo, v10, v14
	v_cmp_neq_f32_e64 s0, v11, v15
	s_or_b32 s23, vcc_lo, s0
	s_cbranch_execnz .LBB128_40
.LBB128_39:
	s_wait_loadcnt 0x2
	v_cmp_eq_f32_e32 vcc_lo, v10, v14
	v_cmp_eq_f32_e64 s0, v11, v15
	s_and_not1_b32 s23, s23, exec_lo
	s_and_b32 s0, vcc_lo, s0
	s_delay_alu instid0(SALU_CYCLE_1) | instskip(NEXT) | instid1(SALU_CYCLE_1)
	s_and_b32 s0, s0, exec_lo
	s_or_b32 s23, s23, s0
.LBB128_40:
	v_cmp_ne_u32_e32 vcc_lo, 1, v1
	s_cbranch_vccnz .LBB128_209
; %bb.41:
	s_wait_loadcnt 0x2
	v_cmp_neq_f32_e32 vcc_lo, v12, v16
	v_cmp_neq_f32_e64 s0, v13, v17
	s_or_b32 s24, vcc_lo, s0
	s_cbranch_execnz .LBB128_43
.LBB128_42:
	s_wait_loadcnt 0x2
	v_cmp_eq_f32_e32 vcc_lo, v12, v16
	v_cmp_eq_f32_e64 s0, v13, v17
	s_and_not1_b32 s24, s24, exec_lo
	s_and_b32 s0, vcc_lo, s0
	s_delay_alu instid0(SALU_CYCLE_1) | instskip(NEXT) | instid1(SALU_CYCLE_1)
	s_and_b32 s0, s0, exec_lo
	s_or_b32 s24, s24, s0
.LBB128_43:
	v_cmp_ne_u32_e32 vcc_lo, 1, v1
	s_cbranch_vccnz .LBB128_210
; %bb.44:
	s_wait_loadcnt 0x3
	v_cmp_neq_f32_e32 vcc_lo, v2, v6
	v_cmp_neq_f32_e64 s0, v3, v7
	s_or_b32 s25, vcc_lo, s0
	s_cbranch_execnz .LBB128_46
.LBB128_45:
	s_wait_loadcnt 0x3
	v_cmp_eq_f32_e32 vcc_lo, v2, v6
	v_cmp_eq_f32_e64 s0, v3, v7
	s_and_not1_b32 s25, s25, exec_lo
	s_and_b32 s0, vcc_lo, s0
	s_delay_alu instid0(SALU_CYCLE_1) | instskip(NEXT) | instid1(SALU_CYCLE_1)
	s_and_b32 s0, s0, exec_lo
	s_or_b32 s25, s25, s0
.LBB128_46:
	v_cmp_ne_u32_e32 vcc_lo, 1, v1
	s_cbranch_vccnz .LBB128_211
; %bb.47:
	s_wait_loadcnt 0x3
	v_cmp_neq_f32_e32 vcc_lo, v4, v8
	v_cmp_neq_f32_e64 s0, v5, v9
	s_or_b32 s26, vcc_lo, s0
	s_cbranch_execnz .LBB128_49
.LBB128_48:
	s_wait_loadcnt 0x3
	v_cmp_eq_f32_e32 vcc_lo, v4, v8
	v_cmp_eq_f32_e64 s0, v5, v9
	s_and_not1_b32 s26, s26, exec_lo
	s_and_b32 s0, vcc_lo, s0
	s_delay_alu instid0(SALU_CYCLE_1) | instskip(NEXT) | instid1(SALU_CYCLE_1)
	s_and_b32 s0, s0, exec_lo
	s_or_b32 s26, s26, s0
.LBB128_49:
	v_cndmask_b32_e64 v1, 0, 1, s16
	s_wait_loadcnt 0xb
	v_cndmask_b32_e64 v2, 0, 1, s19
	v_cndmask_b32_e64 v4, 0, 1, s12
	;; [unrolled: 1-line block ×4, first 2 shown]
	v_lshlrev_b16 v1, 8, v1
	v_lshlrev_b16 v2, 8, v2
	s_wait_loadcnt 0x3
	v_cndmask_b32_e64 v6, 0, 1, s1
	v_lshlrev_b16 v4, 8, v4
	v_cndmask_b32_e64 v7, 0, 1, s26
	v_cndmask_b32_e64 v8, 0, 1, s20
	v_or_b32_e32 v2, v5, v2
	v_or_b32_e32 v1, v3, v1
	v_or_b32_e32 v3, v6, v4
	v_cndmask_b32_e64 v4, 0, 1, s14
	v_cndmask_b32_e64 v5, 0, 1, s24
	;; [unrolled: 1-line block ×4, first 2 shown]
	v_and_b32_e32 v6, 0xffff, v3
	v_lshlrev_b16 v3, 8, v4
	v_cndmask_b32_e64 v4, 0, 1, s13
	v_lshlrev_b16 v5, 8, v5
	v_lshlrev_b16 v7, 8, v7
	v_cndmask_b32_e64 v11, 0, 1, s25
	v_lshlrev_b16 v8, 8, v8
	v_cndmask_b32_e64 v12, 0, 1, s18
	;; [unrolled: 2-line block ×3, first 2 shown]
	v_or_b32_e32 v3, v4, v3
	v_or_b32_e32 v4, v9, v5
	;; [unrolled: 1-line block ×5, first 2 shown]
	s_add_nc_u64 s[12:13], s[4:5], s[2:3]
	v_and_b32_e32 v4, 0xffff, v4
	v_lshlrev_b32_e32 v5, 16, v5
	v_and_b32_e32 v7, 0xffff, v7
	v_dual_lshlrev_b32 v8, 16, v8 :: v_dual_lshlrev_b32 v9, 16, v3
	v_lshlrev_b32_e32 v2, 16, v2
	v_and_b32_e32 v1, 0xffff, v1
	v_or_b32_e32 v5, v4, v5
	s_delay_alu instid0(VALU_DEP_4) | instskip(SKIP_1) | instid1(VALU_DEP_3)
	v_or_b32_e32 v4, v7, v8
	s_mov_b32 s0, 0
	v_or_b32_e32 v3, v1, v2
	v_or_b32_e32 v2, v6, v9
	global_store_b128 v0, v[2:5], s[12:13] scale_offset
.LBB128_50:
	s_and_b32 vcc_lo, exec_lo, s0
	s_cbranch_vccz .LBB128_195
; %bb.51:
	v_cmp_gt_i32_e64 s0, s8, v0
	v_dual_mov_b32 v52, 0 :: v_dual_bitop2_b32 v1, s2, v0 bitop3:0x54
	v_or_b32_e32 v66, 0x100, v0
	v_dual_mov_b32 v67, v0 :: v_dual_mov_b32 v62, 0
	v_dual_mov_b32 v63, 0 :: v_dual_mov_b32 v64, 0
	v_mov_b32_e32 v65, 0
	s_wait_xcnt 0x0
	s_and_saveexec_b32 s1, s0
	s_cbranch_execz .LBB128_53
; %bb.52:
	s_clause 0x1
	global_load_b64 v[62:63], v1, s[6:7] scale_offset
	global_load_b64 v[64:65], v1, s[10:11] scale_offset
	v_or_b32_e32 v67, 0x100, v0
.LBB128_53:
	s_wait_xcnt 0x0
	s_or_b32 exec_lo, exec_lo, s1
	v_dual_mov_b32 v53, 0 :: v_dual_mov_b32 v60, 0
	v_mov_b32_e32 v61, 0
	s_mov_b32 s1, exec_lo
	v_cmpx_gt_i32_e64 s8, v67
	s_cbranch_execz .LBB128_55
; %bb.54:
	v_add_nc_u32_e32 v2, s2, v67
	v_add_nc_u32_e32 v67, 0x100, v67
	s_clause 0x1
	global_load_b64 v[52:53], v2, s[6:7] scale_offset
	global_load_b64 v[60:61], v2, s[10:11] scale_offset
.LBB128_55:
	s_wait_xcnt 0x0
	s_or_b32 exec_lo, exec_lo, s1
	v_dual_mov_b32 v44, 0 :: v_dual_mov_b32 v56, 0
	v_dual_mov_b32 v57, 0 :: v_dual_mov_b32 v58, 0
	v_mov_b32_e32 v59, 0
	s_mov_b32 s1, exec_lo
	v_cmpx_gt_i32_e64 s8, v67
	s_cbranch_execz .LBB128_57
; %bb.56:
	v_add_nc_u32_e32 v2, s2, v67
	v_add_nc_u32_e32 v67, 0x100, v67
	s_clause 0x1
	global_load_b64 v[56:57], v2, s[6:7] scale_offset
	global_load_b64 v[58:59], v2, s[10:11] scale_offset
.LBB128_57:
	s_wait_xcnt 0x0
	s_or_b32 exec_lo, exec_lo, s1
	v_dual_mov_b32 v45, 0 :: v_dual_mov_b32 v54, 0
	v_mov_b32_e32 v55, 0
	s_mov_b32 s1, exec_lo
	v_cmpx_gt_i32_e64 s8, v67
	s_cbranch_execz .LBB128_59
; %bb.58:
	v_add_nc_u32_e32 v2, s2, v67
	v_add_nc_u32_e32 v67, 0x100, v67
	s_clause 0x1
	global_load_b64 v[44:45], v2, s[6:7] scale_offset
	global_load_b64 v[54:55], v2, s[10:11] scale_offset
.LBB128_59:
	s_wait_xcnt 0x0
	s_or_b32 exec_lo, exec_lo, s1
	v_dual_mov_b32 v36, 0 :: v_dual_mov_b32 v48, 0
	v_dual_mov_b32 v49, 0 :: v_dual_mov_b32 v50, 0
	v_mov_b32_e32 v51, 0
	s_mov_b32 s1, exec_lo
	v_cmpx_gt_i32_e64 s8, v67
	s_cbranch_execz .LBB128_61
; %bb.60:
	v_add_nc_u32_e32 v2, s2, v67
	v_add_nc_u32_e32 v67, 0x100, v67
	s_clause 0x1
	global_load_b64 v[48:49], v2, s[6:7] scale_offset
	global_load_b64 v[50:51], v2, s[10:11] scale_offset
.LBB128_61:
	;; [unrolled: 29-line block ×3, first 2 shown]
	s_wait_xcnt 0x0
	s_or_b32 exec_lo, exec_lo, s1
	v_dual_mov_b32 v29, 0 :: v_dual_mov_b32 v38, 0
	v_mov_b32_e32 v39, 0
	s_mov_b32 s1, exec_lo
	v_cmpx_gt_i32_e64 s8, v67
	s_cbranch_execz .LBB128_67
; %bb.66:
	v_add_nc_u32_e32 v2, s2, v67
	v_add_nc_u32_e32 v67, 0x100, v67
	s_clause 0x1
	global_load_b64 v[28:29], v2, s[6:7] scale_offset
	global_load_b64 v[38:39], v2, s[10:11] scale_offset
.LBB128_67:
	s_wait_xcnt 0x0
	s_or_b32 exec_lo, exec_lo, s1
	s_wait_loadcnt 0x0
	v_dual_mov_b32 v20, 0 :: v_dual_mov_b32 v32, 0
	v_dual_mov_b32 v33, 0 :: v_dual_mov_b32 v34, 0
	v_mov_b32_e32 v35, 0
	s_mov_b32 s1, exec_lo
	v_cmpx_gt_i32_e64 s8, v67
	s_cbranch_execz .LBB128_69
; %bb.68:
	v_add_nc_u32_e32 v2, s2, v67
	v_add_nc_u32_e32 v67, 0x100, v67
	s_clause 0x1
	global_load_b64 v[32:33], v2, s[6:7] scale_offset
	global_load_b64 v[34:35], v2, s[10:11] scale_offset
.LBB128_69:
	s_wait_xcnt 0x0
	s_or_b32 exec_lo, exec_lo, s1
	v_dual_mov_b32 v21, 0 :: v_dual_mov_b32 v30, 0
	v_mov_b32_e32 v31, 0
	s_mov_b32 s1, exec_lo
	v_cmpx_gt_i32_e64 s8, v67
	s_cbranch_execz .LBB128_71
; %bb.70:
	v_add_nc_u32_e32 v2, s2, v67
	v_add_nc_u32_e32 v67, 0x100, v67
	s_clause 0x1
	global_load_b64 v[20:21], v2, s[6:7] scale_offset
	global_load_b64 v[30:31], v2, s[10:11] scale_offset
.LBB128_71:
	s_wait_xcnt 0x0
	s_or_b32 exec_lo, exec_lo, s1
	v_dual_mov_b32 v12, 0 :: v_dual_mov_b32 v24, 0
	v_dual_mov_b32 v25, 0 :: v_dual_mov_b32 v26, 0
	v_mov_b32_e32 v27, 0
	s_mov_b32 s1, exec_lo
	v_cmpx_gt_i32_e64 s8, v67
	s_cbranch_execz .LBB128_73
; %bb.72:
	v_add_nc_u32_e32 v2, s2, v67
	v_add_nc_u32_e32 v67, 0x100, v67
	s_clause 0x1
	global_load_b64 v[24:25], v2, s[6:7] scale_offset
	global_load_b64 v[26:27], v2, s[10:11] scale_offset
.LBB128_73:
	s_wait_xcnt 0x0
	s_or_b32 exec_lo, exec_lo, s1
	v_dual_mov_b32 v13, 0 :: v_dual_mov_b32 v22, 0
	v_mov_b32_e32 v23, 0
	s_mov_b32 s1, exec_lo
	v_cmpx_gt_i32_e64 s8, v67
	s_cbranch_execz .LBB128_75
; %bb.74:
	v_add_nc_u32_e32 v2, s2, v67
	v_add_nc_u32_e32 v67, 0x100, v67
	s_clause 0x1
	global_load_b64 v[12:13], v2, s[6:7] scale_offset
	global_load_b64 v[22:23], v2, s[10:11] scale_offset
.LBB128_75:
	s_wait_xcnt 0x0
	s_or_b32 exec_lo, exec_lo, s1
	;; [unrolled: 29-line block ×3, first 2 shown]
	v_dual_mov_b32 v2, 0 :: v_dual_mov_b32 v8, 0
	v_dual_mov_b32 v9, 0 :: v_dual_mov_b32 v10, 0
	v_mov_b32_e32 v11, 0
	s_mov_b32 s1, exec_lo
	v_cmpx_gt_i32_e64 s8, v67
	s_cbranch_execz .LBB128_81
; %bb.80:
	v_add_nc_u32_e32 v3, s2, v67
	v_add_nc_u32_e32 v67, 0x100, v67
	s_clause 0x1
	global_load_b64 v[8:9], v3, s[6:7] scale_offset
	global_load_b64 v[10:11], v3, s[10:11] scale_offset
.LBB128_81:
	s_wait_xcnt 0x0
	s_or_b32 exec_lo, exec_lo, s1
	v_dual_mov_b32 v3, 0 :: v_dual_mov_b32 v6, 0
	v_mov_b32_e32 v7, 0
	s_mov_b32 s1, exec_lo
	v_cmpx_gt_i32_e64 s8, v67
	s_cbranch_execz .LBB128_83
; %bb.82:
	v_add_nc_u32_e32 v67, s2, v67
	s_clause 0x1
	global_load_b64 v[2:3], v67, s[6:7] scale_offset
	global_load_b64 v[6:7], v67, s[10:11] scale_offset
.LBB128_83:
	s_wait_xcnt 0x0
	s_or_b32 exec_lo, exec_lo, s1
	s_cmp_lg_u32 s9, 0
                                        ; implicit-def: $vgpr67
	s_cselect_b32 s3, -1, 0
	s_and_saveexec_b32 s6, s0
	s_cbranch_execz .LBB128_88
; %bb.84:
	s_and_b32 vcc_lo, exec_lo, s3
	s_cbranch_vccz .LBB128_212
; %bb.85:
	v_cmp_neq_f32_e32 vcc_lo, v62, v64
	v_cmp_neq_f32_e64 s1, v63, v65
	s_or_b32 s7, vcc_lo, s1
	s_cbranch_execnz .LBB128_87
.LBB128_86:
	v_cmp_eq_f32_e32 vcc_lo, v62, v64
	v_cmp_eq_f32_e64 s1, v63, v65
	s_and_not1_b32 s7, s7, exec_lo
	s_and_b32 s1, vcc_lo, s1
	s_delay_alu instid0(SALU_CYCLE_1) | instskip(NEXT) | instid1(SALU_CYCLE_1)
	s_and_b32 s1, s1, exec_lo
	s_or_b32 s7, s7, s1
.LBB128_87:
	s_delay_alu instid0(SALU_CYCLE_1)
	v_cndmask_b32_e64 v67, 0, 1, s7
.LBB128_88:
	s_or_b32 exec_lo, exec_lo, s6
	v_cndmask_b32_e64 v63, 0, 1, s3
	s_mov_b32 s6, exec_lo
                                        ; implicit-def: $vgpr62
	v_cmpx_gt_i32_e64 s8, v66
	s_cbranch_execz .LBB128_93
; %bb.89:
	s_and_not1_b32 vcc_lo, exec_lo, s3
	s_cbranch_vccnz .LBB128_213
; %bb.90:
	v_cmp_neq_f32_e32 vcc_lo, v52, v60
	v_cmp_neq_f32_e64 s1, v53, v61
	s_or_b32 s3, vcc_lo, s1
	s_cbranch_execnz .LBB128_92
.LBB128_91:
	v_cmp_eq_f32_e32 vcc_lo, v52, v60
	v_cmp_eq_f32_e64 s1, v53, v61
	s_and_not1_b32 s3, s3, exec_lo
	s_and_b32 s1, vcc_lo, s1
	s_delay_alu instid0(SALU_CYCLE_1) | instskip(NEXT) | instid1(SALU_CYCLE_1)
	s_and_b32 s1, s1, exec_lo
	s_or_b32 s3, s3, s1
.LBB128_92:
	s_delay_alu instid0(SALU_CYCLE_1)
	v_cndmask_b32_e64 v62, 0, 1, s3
.LBB128_93:
	s_or_b32 exec_lo, exec_lo, s6
	v_or_b32_e32 v52, 0x200, v0
	s_delay_alu instid0(VALU_DEP_1)
	v_cmp_gt_i32_e32 vcc_lo, s8, v52
                                        ; implicit-def: $vgpr52
	s_and_saveexec_b32 s3, vcc_lo
	s_cbranch_execz .LBB128_98
; %bb.94:
	v_cmp_ne_u32_e32 vcc_lo, 1, v63
	s_cbranch_vccnz .LBB128_214
; %bb.95:
	v_cmp_neq_f32_e32 vcc_lo, v56, v58
	v_cmp_neq_f32_e64 s1, v57, v59
	s_or_b32 s6, vcc_lo, s1
	s_cbranch_execnz .LBB128_97
.LBB128_96:
	v_cmp_eq_f32_e32 vcc_lo, v56, v58
	v_cmp_eq_f32_e64 s1, v57, v59
	s_and_not1_b32 s6, s6, exec_lo
	s_and_b32 s1, vcc_lo, s1
	s_delay_alu instid0(SALU_CYCLE_1) | instskip(NEXT) | instid1(SALU_CYCLE_1)
	s_and_b32 s1, s1, exec_lo
	s_or_b32 s6, s6, s1
.LBB128_97:
	s_delay_alu instid0(SALU_CYCLE_1)
	v_cndmask_b32_e64 v52, 0, 1, s6
.LBB128_98:
	s_or_b32 exec_lo, exec_lo, s3
	v_or_b32_e32 v53, 0x300, v0
	s_delay_alu instid0(VALU_DEP_1)
	v_cmp_gt_i32_e32 vcc_lo, s8, v53
                                        ; implicit-def: $vgpr53
	s_and_saveexec_b32 s3, vcc_lo
	s_cbranch_execz .LBB128_103
; %bb.99:
	v_cmp_ne_u32_e32 vcc_lo, 1, v63
	s_cbranch_vccnz .LBB128_215
; %bb.100:
	v_cmp_neq_f32_e32 vcc_lo, v44, v54
	v_cmp_neq_f32_e64 s1, v45, v55
	s_or_b32 s6, vcc_lo, s1
	s_cbranch_execnz .LBB128_102
.LBB128_101:
	v_cmp_eq_f32_e32 vcc_lo, v44, v54
	v_cmp_eq_f32_e64 s1, v45, v55
	s_and_not1_b32 s6, s6, exec_lo
	s_and_b32 s1, vcc_lo, s1
	s_delay_alu instid0(SALU_CYCLE_1) | instskip(NEXT) | instid1(SALU_CYCLE_1)
	s_and_b32 s1, s1, exec_lo
	s_or_b32 s6, s6, s1
.LBB128_102:
	s_delay_alu instid0(SALU_CYCLE_1)
	v_cndmask_b32_e64 v53, 0, 1, s6
.LBB128_103:
	s_or_b32 exec_lo, exec_lo, s3
	v_or_b32_e32 v44, 0x400, v0
	s_delay_alu instid0(VALU_DEP_1)
	v_cmp_gt_i32_e32 vcc_lo, s8, v44
                                        ; implicit-def: $vgpr44
	s_and_saveexec_b32 s3, vcc_lo
	s_cbranch_execz .LBB128_108
; %bb.104:
	v_cmp_ne_u32_e32 vcc_lo, 1, v63
	s_cbranch_vccnz .LBB128_216
; %bb.105:
	v_cmp_neq_f32_e32 vcc_lo, v48, v50
	v_cmp_neq_f32_e64 s1, v49, v51
	s_or_b32 s6, vcc_lo, s1
	s_cbranch_execnz .LBB128_107
.LBB128_106:
	v_cmp_eq_f32_e32 vcc_lo, v48, v50
	v_cmp_eq_f32_e64 s1, v49, v51
	s_and_not1_b32 s6, s6, exec_lo
	s_and_b32 s1, vcc_lo, s1
	s_delay_alu instid0(SALU_CYCLE_1) | instskip(NEXT) | instid1(SALU_CYCLE_1)
	s_and_b32 s1, s1, exec_lo
	s_or_b32 s6, s6, s1
.LBB128_107:
	s_delay_alu instid0(SALU_CYCLE_1)
	v_cndmask_b32_e64 v44, 0, 1, s6
.LBB128_108:
	s_or_b32 exec_lo, exec_lo, s3
	v_or_b32_e32 v45, 0x500, v0
	s_delay_alu instid0(VALU_DEP_1)
	v_cmp_gt_i32_e32 vcc_lo, s8, v45
                                        ; implicit-def: $vgpr45
	s_and_saveexec_b32 s3, vcc_lo
	s_cbranch_execz .LBB128_113
; %bb.109:
	v_cmp_ne_u32_e32 vcc_lo, 1, v63
	s_cbranch_vccnz .LBB128_217
; %bb.110:
	v_cmp_neq_f32_e32 vcc_lo, v36, v46
	v_cmp_neq_f32_e64 s1, v37, v47
	s_or_b32 s6, vcc_lo, s1
	s_cbranch_execnz .LBB128_112
.LBB128_111:
	v_cmp_eq_f32_e32 vcc_lo, v36, v46
	v_cmp_eq_f32_e64 s1, v37, v47
	s_and_not1_b32 s6, s6, exec_lo
	s_and_b32 s1, vcc_lo, s1
	s_delay_alu instid0(SALU_CYCLE_1) | instskip(NEXT) | instid1(SALU_CYCLE_1)
	s_and_b32 s1, s1, exec_lo
	s_or_b32 s6, s6, s1
.LBB128_112:
	s_delay_alu instid0(SALU_CYCLE_1)
	v_cndmask_b32_e64 v45, 0, 1, s6
.LBB128_113:
	s_or_b32 exec_lo, exec_lo, s3
	v_or_b32_e32 v36, 0x600, v0
	s_delay_alu instid0(VALU_DEP_1)
	v_cmp_gt_i32_e32 vcc_lo, s8, v36
                                        ; implicit-def: $vgpr36
	s_and_saveexec_b32 s3, vcc_lo
	s_cbranch_execz .LBB128_118
; %bb.114:
	v_cmp_ne_u32_e32 vcc_lo, 1, v63
	s_cbranch_vccnz .LBB128_218
; %bb.115:
	v_cmp_neq_f32_e32 vcc_lo, v40, v42
	v_cmp_neq_f32_e64 s1, v41, v43
	s_or_b32 s6, vcc_lo, s1
	s_cbranch_execnz .LBB128_117
.LBB128_116:
	v_cmp_eq_f32_e32 vcc_lo, v40, v42
	v_cmp_eq_f32_e64 s1, v41, v43
	s_and_not1_b32 s6, s6, exec_lo
	s_and_b32 s1, vcc_lo, s1
	s_delay_alu instid0(SALU_CYCLE_1) | instskip(NEXT) | instid1(SALU_CYCLE_1)
	s_and_b32 s1, s1, exec_lo
	s_or_b32 s6, s6, s1
.LBB128_117:
	s_delay_alu instid0(SALU_CYCLE_1)
	v_cndmask_b32_e64 v36, 0, 1, s6
.LBB128_118:
	s_or_b32 exec_lo, exec_lo, s3
	v_or_b32_e32 v37, 0x700, v0
	s_delay_alu instid0(VALU_DEP_1)
	v_cmp_gt_i32_e32 vcc_lo, s8, v37
                                        ; implicit-def: $vgpr37
	s_and_saveexec_b32 s3, vcc_lo
	s_cbranch_execz .LBB128_123
; %bb.119:
	v_cmp_ne_u32_e32 vcc_lo, 1, v63
	s_cbranch_vccnz .LBB128_219
; %bb.120:
	v_cmp_neq_f32_e32 vcc_lo, v28, v38
	v_cmp_neq_f32_e64 s1, v29, v39
	s_or_b32 s6, vcc_lo, s1
	s_cbranch_execnz .LBB128_122
.LBB128_121:
	v_cmp_eq_f32_e32 vcc_lo, v28, v38
	v_cmp_eq_f32_e64 s1, v29, v39
	s_and_not1_b32 s6, s6, exec_lo
	s_and_b32 s1, vcc_lo, s1
	s_delay_alu instid0(SALU_CYCLE_1) | instskip(NEXT) | instid1(SALU_CYCLE_1)
	s_and_b32 s1, s1, exec_lo
	s_or_b32 s6, s6, s1
.LBB128_122:
	s_delay_alu instid0(SALU_CYCLE_1)
	v_cndmask_b32_e64 v37, 0, 1, s6
.LBB128_123:
	s_or_b32 exec_lo, exec_lo, s3
	v_or_b32_e32 v28, 0x800, v0
	s_delay_alu instid0(VALU_DEP_1)
	v_cmp_gt_i32_e32 vcc_lo, s8, v28
                                        ; implicit-def: $vgpr28
	s_and_saveexec_b32 s3, vcc_lo
	s_cbranch_execz .LBB128_128
; %bb.124:
	v_cmp_ne_u32_e32 vcc_lo, 1, v63
	s_cbranch_vccnz .LBB128_220
; %bb.125:
	s_wait_loadcnt 0x0
	v_cmp_neq_f32_e32 vcc_lo, v32, v34
	v_cmp_neq_f32_e64 s1, v33, v35
	s_or_b32 s6, vcc_lo, s1
	s_cbranch_execnz .LBB128_127
.LBB128_126:
	s_wait_loadcnt 0x0
	v_cmp_eq_f32_e32 vcc_lo, v32, v34
	v_cmp_eq_f32_e64 s1, v33, v35
	s_and_not1_b32 s6, s6, exec_lo
	s_and_b32 s1, vcc_lo, s1
	s_delay_alu instid0(SALU_CYCLE_1) | instskip(NEXT) | instid1(SALU_CYCLE_1)
	s_and_b32 s1, s1, exec_lo
	s_or_b32 s6, s6, s1
.LBB128_127:
	s_delay_alu instid0(SALU_CYCLE_1)
	v_cndmask_b32_e64 v28, 0, 1, s6
.LBB128_128:
	s_or_b32 exec_lo, exec_lo, s3
	v_or_b32_e32 v29, 0x900, v0
	s_delay_alu instid0(VALU_DEP_1)
	v_cmp_gt_i32_e32 vcc_lo, s8, v29
                                        ; implicit-def: $vgpr29
	s_and_saveexec_b32 s3, vcc_lo
	s_cbranch_execz .LBB128_133
; %bb.129:
	v_cmp_ne_u32_e32 vcc_lo, 1, v63
	s_cbranch_vccnz .LBB128_221
; %bb.130:
	s_wait_loadcnt 0x0
	v_cmp_neq_f32_e32 vcc_lo, v20, v30
	v_cmp_neq_f32_e64 s1, v21, v31
	s_or_b32 s6, vcc_lo, s1
	s_cbranch_execnz .LBB128_132
.LBB128_131:
	s_wait_loadcnt 0x0
	v_cmp_eq_f32_e32 vcc_lo, v20, v30
	v_cmp_eq_f32_e64 s1, v21, v31
	s_and_not1_b32 s6, s6, exec_lo
	s_and_b32 s1, vcc_lo, s1
	s_delay_alu instid0(SALU_CYCLE_1) | instskip(NEXT) | instid1(SALU_CYCLE_1)
	s_and_b32 s1, s1, exec_lo
	s_or_b32 s6, s6, s1
.LBB128_132:
	s_delay_alu instid0(SALU_CYCLE_1)
	v_cndmask_b32_e64 v29, 0, 1, s6
.LBB128_133:
	s_or_b32 exec_lo, exec_lo, s3
	s_wait_loadcnt 0x1
	v_or_b32_e32 v20, 0xa00, v0
	s_delay_alu instid0(VALU_DEP_1)
	v_cmp_gt_i32_e32 vcc_lo, s8, v20
                                        ; implicit-def: $vgpr20
	s_and_saveexec_b32 s3, vcc_lo
	s_cbranch_execz .LBB128_138
; %bb.134:
	v_cmp_ne_u32_e32 vcc_lo, 1, v63
	s_cbranch_vccnz .LBB128_222
; %bb.135:
	s_wait_loadcnt 0x0
	v_cmp_neq_f32_e32 vcc_lo, v24, v26
	v_cmp_neq_f32_e64 s1, v25, v27
	s_or_b32 s6, vcc_lo, s1
	s_cbranch_execnz .LBB128_137
.LBB128_136:
	s_wait_loadcnt 0x0
	v_cmp_eq_f32_e32 vcc_lo, v24, v26
	v_cmp_eq_f32_e64 s1, v25, v27
	s_and_not1_b32 s6, s6, exec_lo
	s_and_b32 s1, vcc_lo, s1
	s_delay_alu instid0(SALU_CYCLE_1) | instskip(NEXT) | instid1(SALU_CYCLE_1)
	s_and_b32 s1, s1, exec_lo
	s_or_b32 s6, s6, s1
.LBB128_137:
	s_delay_alu instid0(SALU_CYCLE_1)
	v_cndmask_b32_e64 v20, 0, 1, s6
.LBB128_138:
	s_or_b32 exec_lo, exec_lo, s3
	v_or_b32_e32 v21, 0xb00, v0
	s_delay_alu instid0(VALU_DEP_1)
	v_cmp_gt_i32_e32 vcc_lo, s8, v21
                                        ; implicit-def: $vgpr21
	s_and_saveexec_b32 s3, vcc_lo
	s_cbranch_execz .LBB128_143
; %bb.139:
	v_cmp_ne_u32_e32 vcc_lo, 1, v63
	s_cbranch_vccnz .LBB128_223
; %bb.140:
	s_wait_loadcnt 0x0
	v_cmp_neq_f32_e32 vcc_lo, v12, v22
	v_cmp_neq_f32_e64 s1, v13, v23
	s_or_b32 s6, vcc_lo, s1
	s_cbranch_execnz .LBB128_142
.LBB128_141:
	s_wait_loadcnt 0x0
	v_cmp_eq_f32_e32 vcc_lo, v12, v22
	v_cmp_eq_f32_e64 s1, v13, v23
	s_and_not1_b32 s6, s6, exec_lo
	s_and_b32 s1, vcc_lo, s1
	s_delay_alu instid0(SALU_CYCLE_1) | instskip(NEXT) | instid1(SALU_CYCLE_1)
	s_and_b32 s1, s1, exec_lo
	s_or_b32 s6, s6, s1
.LBB128_142:
	s_delay_alu instid0(SALU_CYCLE_1)
	v_cndmask_b32_e64 v21, 0, 1, s6
.LBB128_143:
	s_or_b32 exec_lo, exec_lo, s3
	v_or_b32_e32 v12, 0xc00, v0
	s_delay_alu instid0(VALU_DEP_1)
	v_cmp_gt_i32_e32 vcc_lo, s8, v12
                                        ; implicit-def: $vgpr12
	s_and_saveexec_b32 s3, vcc_lo
	s_cbranch_execz .LBB128_148
; %bb.144:
	v_cmp_ne_u32_e32 vcc_lo, 1, v63
	s_cbranch_vccnz .LBB128_224
; %bb.145:
	s_wait_loadcnt 0x0
	v_cmp_neq_f32_e32 vcc_lo, v16, v18
	v_cmp_neq_f32_e64 s1, v17, v19
	s_or_b32 s6, vcc_lo, s1
	s_cbranch_execnz .LBB128_147
.LBB128_146:
	s_wait_loadcnt 0x0
	v_cmp_eq_f32_e32 vcc_lo, v16, v18
	v_cmp_eq_f32_e64 s1, v17, v19
	s_and_not1_b32 s6, s6, exec_lo
	s_and_b32 s1, vcc_lo, s1
	s_delay_alu instid0(SALU_CYCLE_1) | instskip(NEXT) | instid1(SALU_CYCLE_1)
	s_and_b32 s1, s1, exec_lo
	s_or_b32 s6, s6, s1
.LBB128_147:
	s_delay_alu instid0(SALU_CYCLE_1)
	v_cndmask_b32_e64 v12, 0, 1, s6
.LBB128_148:
	s_or_b32 exec_lo, exec_lo, s3
	v_or_b32_e32 v13, 0xd00, v0
	s_delay_alu instid0(VALU_DEP_1)
	v_cmp_gt_i32_e32 vcc_lo, s8, v13
                                        ; implicit-def: $vgpr13
	s_and_saveexec_b32 s3, vcc_lo
	s_cbranch_execz .LBB128_153
; %bb.149:
	v_cmp_ne_u32_e32 vcc_lo, 1, v63
	s_cbranch_vccnz .LBB128_225
; %bb.150:
	s_wait_loadcnt 0x0
	v_cmp_neq_f32_e32 vcc_lo, v4, v14
	v_cmp_neq_f32_e64 s1, v5, v15
	s_or_b32 s6, vcc_lo, s1
	s_cbranch_execnz .LBB128_152
.LBB128_151:
	s_wait_loadcnt 0x0
	v_cmp_eq_f32_e32 vcc_lo, v4, v14
	v_cmp_eq_f32_e64 s1, v5, v15
	s_and_not1_b32 s6, s6, exec_lo
	s_and_b32 s1, vcc_lo, s1
	s_delay_alu instid0(SALU_CYCLE_1) | instskip(NEXT) | instid1(SALU_CYCLE_1)
	s_and_b32 s1, s1, exec_lo
	s_or_b32 s6, s6, s1
.LBB128_152:
	s_delay_alu instid0(SALU_CYCLE_1)
	v_cndmask_b32_e64 v13, 0, 1, s6
.LBB128_153:
	s_or_b32 exec_lo, exec_lo, s3
	v_or_b32_e32 v4, 0xe00, v0
	s_delay_alu instid0(VALU_DEP_1)
	v_cmp_gt_i32_e32 vcc_lo, s8, v4
                                        ; implicit-def: $vgpr4
	s_and_saveexec_b32 s3, vcc_lo
	s_cbranch_execz .LBB128_158
; %bb.154:
	v_cmp_ne_u32_e32 vcc_lo, 1, v63
	s_cbranch_vccnz .LBB128_226
; %bb.155:
	s_wait_loadcnt 0x0
	v_cmp_neq_f32_e32 vcc_lo, v8, v10
	v_cmp_neq_f32_e64 s1, v9, v11
	s_or_b32 s6, vcc_lo, s1
	s_cbranch_execnz .LBB128_157
.LBB128_156:
	s_wait_loadcnt 0x0
	v_cmp_eq_f32_e32 vcc_lo, v8, v10
	v_cmp_eq_f32_e64 s1, v9, v11
	s_and_not1_b32 s6, s6, exec_lo
	s_and_b32 s1, vcc_lo, s1
	s_delay_alu instid0(SALU_CYCLE_1) | instskip(NEXT) | instid1(SALU_CYCLE_1)
	s_and_b32 s1, s1, exec_lo
	s_or_b32 s6, s6, s1
.LBB128_157:
	s_delay_alu instid0(SALU_CYCLE_1)
	v_cndmask_b32_e64 v4, 0, 1, s6
.LBB128_158:
	s_or_b32 exec_lo, exec_lo, s3
	v_or_b32_e32 v5, 0xf00, v0
	s_delay_alu instid0(VALU_DEP_1)
	v_cmp_gt_i32_e32 vcc_lo, s8, v5
                                        ; implicit-def: $vgpr5
	s_and_saveexec_b32 s3, vcc_lo
	s_cbranch_execz .LBB128_163
; %bb.159:
	v_cmp_ne_u32_e32 vcc_lo, 1, v63
	s_cbranch_vccnz .LBB128_227
; %bb.160:
	s_wait_loadcnt 0x0
	v_cmp_neq_f32_e32 vcc_lo, v2, v6
	v_cmp_neq_f32_e64 s1, v3, v7
	s_or_b32 s6, vcc_lo, s1
	s_cbranch_execnz .LBB128_162
.LBB128_161:
	s_wait_loadcnt 0x0
	v_cmp_eq_f32_e32 vcc_lo, v2, v6
	v_cmp_eq_f32_e64 s1, v3, v7
	s_and_not1_b32 s6, s6, exec_lo
	s_and_b32 s1, vcc_lo, s1
	s_delay_alu instid0(SALU_CYCLE_1) | instskip(NEXT) | instid1(SALU_CYCLE_1)
	s_and_b32 s1, s1, exec_lo
	s_or_b32 s6, s6, s1
.LBB128_162:
	s_delay_alu instid0(SALU_CYCLE_1)
	v_cndmask_b32_e64 v5, 0, 1, s6
.LBB128_163:
	s_or_b32 exec_lo, exec_lo, s3
	s_and_saveexec_b32 s1, s0
	s_delay_alu instid0(SALU_CYCLE_1)
	s_xor_b32 s0, exec_lo, s1
	s_cbranch_execz .LBB128_165
; %bb.164:
	v_mov_b32_e32 v0, v66
	global_store_b8 v1, v67, s[4:5]
.LBB128_165:
	s_wait_xcnt 0x0
	s_or_b32 exec_lo, exec_lo, s0
	s_delay_alu instid0(SALU_CYCLE_1)
	s_mov_b32 s0, exec_lo
	v_cmpx_gt_i32_e64 s8, v0
	s_cbranch_execnz .LBB128_181
; %bb.166:
	s_or_b32 exec_lo, exec_lo, s0
	s_delay_alu instid0(SALU_CYCLE_1)
	s_mov_b32 s0, exec_lo
	v_cmpx_gt_i32_e64 s8, v0
	s_cbranch_execnz .LBB128_182
.LBB128_167:
	s_or_b32 exec_lo, exec_lo, s0
	s_delay_alu instid0(SALU_CYCLE_1)
	s_mov_b32 s0, exec_lo
	v_cmpx_gt_i32_e64 s8, v0
	s_cbranch_execnz .LBB128_183
.LBB128_168:
	s_or_b32 exec_lo, exec_lo, s0
	s_delay_alu instid0(SALU_CYCLE_1)
	s_mov_b32 s0, exec_lo
	v_cmpx_gt_i32_e64 s8, v0
	s_cbranch_execnz .LBB128_184
.LBB128_169:
	s_or_b32 exec_lo, exec_lo, s0
	s_delay_alu instid0(SALU_CYCLE_1)
	s_mov_b32 s0, exec_lo
	v_cmpx_gt_i32_e64 s8, v0
	s_cbranch_execnz .LBB128_185
.LBB128_170:
	s_or_b32 exec_lo, exec_lo, s0
	s_delay_alu instid0(SALU_CYCLE_1)
	s_mov_b32 s0, exec_lo
	v_cmpx_gt_i32_e64 s8, v0
	s_cbranch_execnz .LBB128_186
.LBB128_171:
	s_or_b32 exec_lo, exec_lo, s0
	s_delay_alu instid0(SALU_CYCLE_1)
	s_mov_b32 s0, exec_lo
	v_cmpx_gt_i32_e64 s8, v0
	s_cbranch_execnz .LBB128_187
.LBB128_172:
	s_or_b32 exec_lo, exec_lo, s0
	s_delay_alu instid0(SALU_CYCLE_1)
	s_mov_b32 s0, exec_lo
	v_cmpx_gt_i32_e64 s8, v0
	s_cbranch_execnz .LBB128_188
.LBB128_173:
	s_or_b32 exec_lo, exec_lo, s0
	s_delay_alu instid0(SALU_CYCLE_1)
	s_mov_b32 s0, exec_lo
	v_cmpx_gt_i32_e64 s8, v0
	s_cbranch_execnz .LBB128_189
.LBB128_174:
	s_or_b32 exec_lo, exec_lo, s0
	s_delay_alu instid0(SALU_CYCLE_1)
	s_mov_b32 s0, exec_lo
	v_cmpx_gt_i32_e64 s8, v0
	s_cbranch_execnz .LBB128_190
.LBB128_175:
	s_or_b32 exec_lo, exec_lo, s0
	s_delay_alu instid0(SALU_CYCLE_1)
	s_mov_b32 s0, exec_lo
	v_cmpx_gt_i32_e64 s8, v0
	s_cbranch_execnz .LBB128_191
.LBB128_176:
	s_or_b32 exec_lo, exec_lo, s0
	s_delay_alu instid0(SALU_CYCLE_1)
	s_mov_b32 s0, exec_lo
	v_cmpx_gt_i32_e64 s8, v0
	s_cbranch_execnz .LBB128_192
.LBB128_177:
	s_or_b32 exec_lo, exec_lo, s0
	s_delay_alu instid0(SALU_CYCLE_1)
	s_mov_b32 s0, exec_lo
	v_cmpx_gt_i32_e64 s8, v0
	s_cbranch_execnz .LBB128_193
.LBB128_178:
	s_or_b32 exec_lo, exec_lo, s0
	s_delay_alu instid0(SALU_CYCLE_1)
	s_mov_b32 s0, exec_lo
	v_cmpx_gt_i32_e64 s8, v0
	s_cbranch_execnz .LBB128_194
.LBB128_179:
	s_or_b32 exec_lo, exec_lo, s0
	s_delay_alu instid0(SALU_CYCLE_1)
	s_mov_b32 s0, exec_lo
	v_cmpx_gt_i32_e64 s8, v0
	s_cbranch_execz .LBB128_195
.LBB128_180:
	v_add_nc_u32_e32 v0, s2, v0
	global_store_b8 v0, v5, s[4:5]
	s_sendmsg sendmsg(MSG_DEALLOC_VGPRS)
	s_endpgm
.LBB128_181:
	v_add_nc_u32_e32 v1, s2, v0
	v_add_nc_u32_e32 v0, 0x100, v0
	global_store_b8 v1, v62, s[4:5]
	s_wait_xcnt 0x0
	s_or_b32 exec_lo, exec_lo, s0
	s_delay_alu instid0(SALU_CYCLE_1)
	s_mov_b32 s0, exec_lo
	v_cmpx_gt_i32_e64 s8, v0
	s_cbranch_execz .LBB128_167
.LBB128_182:
	v_add_nc_u32_e32 v1, s2, v0
	v_add_nc_u32_e32 v0, 0x100, v0
	global_store_b8 v1, v52, s[4:5]
	s_wait_xcnt 0x0
	s_or_b32 exec_lo, exec_lo, s0
	s_delay_alu instid0(SALU_CYCLE_1)
	s_mov_b32 s0, exec_lo
	v_cmpx_gt_i32_e64 s8, v0
	s_cbranch_execz .LBB128_168
.LBB128_183:
	v_add_nc_u32_e32 v1, s2, v0
	v_add_nc_u32_e32 v0, 0x100, v0
	global_store_b8 v1, v53, s[4:5]
	s_wait_xcnt 0x0
	s_or_b32 exec_lo, exec_lo, s0
	s_delay_alu instid0(SALU_CYCLE_1)
	s_mov_b32 s0, exec_lo
	v_cmpx_gt_i32_e64 s8, v0
	s_cbranch_execz .LBB128_169
.LBB128_184:
	v_add_nc_u32_e32 v1, s2, v0
	v_add_nc_u32_e32 v0, 0x100, v0
	global_store_b8 v1, v44, s[4:5]
	s_wait_xcnt 0x0
	s_or_b32 exec_lo, exec_lo, s0
	s_delay_alu instid0(SALU_CYCLE_1)
	s_mov_b32 s0, exec_lo
	v_cmpx_gt_i32_e64 s8, v0
	s_cbranch_execz .LBB128_170
.LBB128_185:
	v_add_nc_u32_e32 v1, s2, v0
	v_add_nc_u32_e32 v0, 0x100, v0
	global_store_b8 v1, v45, s[4:5]
	s_wait_xcnt 0x0
	s_or_b32 exec_lo, exec_lo, s0
	s_delay_alu instid0(SALU_CYCLE_1)
	s_mov_b32 s0, exec_lo
	v_cmpx_gt_i32_e64 s8, v0
	s_cbranch_execz .LBB128_171
.LBB128_186:
	v_add_nc_u32_e32 v1, s2, v0
	v_add_nc_u32_e32 v0, 0x100, v0
	global_store_b8 v1, v36, s[4:5]
	s_wait_xcnt 0x0
	s_or_b32 exec_lo, exec_lo, s0
	s_delay_alu instid0(SALU_CYCLE_1)
	s_mov_b32 s0, exec_lo
	v_cmpx_gt_i32_e64 s8, v0
	s_cbranch_execz .LBB128_172
.LBB128_187:
	v_add_nc_u32_e32 v1, s2, v0
	v_add_nc_u32_e32 v0, 0x100, v0
	global_store_b8 v1, v37, s[4:5]
	s_wait_xcnt 0x0
	s_or_b32 exec_lo, exec_lo, s0
	s_delay_alu instid0(SALU_CYCLE_1)
	s_mov_b32 s0, exec_lo
	v_cmpx_gt_i32_e64 s8, v0
	s_cbranch_execz .LBB128_173
.LBB128_188:
	v_add_nc_u32_e32 v1, s2, v0
	v_add_nc_u32_e32 v0, 0x100, v0
	global_store_b8 v1, v28, s[4:5]
	s_wait_xcnt 0x0
	s_or_b32 exec_lo, exec_lo, s0
	s_delay_alu instid0(SALU_CYCLE_1)
	s_mov_b32 s0, exec_lo
	v_cmpx_gt_i32_e64 s8, v0
	s_cbranch_execz .LBB128_174
.LBB128_189:
	v_add_nc_u32_e32 v1, s2, v0
	v_add_nc_u32_e32 v0, 0x100, v0
	global_store_b8 v1, v29, s[4:5]
	s_wait_xcnt 0x0
	s_or_b32 exec_lo, exec_lo, s0
	s_delay_alu instid0(SALU_CYCLE_1)
	s_mov_b32 s0, exec_lo
	v_cmpx_gt_i32_e64 s8, v0
	s_cbranch_execz .LBB128_175
.LBB128_190:
	v_add_nc_u32_e32 v1, s2, v0
	v_add_nc_u32_e32 v0, 0x100, v0
	global_store_b8 v1, v20, s[4:5]
	s_wait_xcnt 0x0
	s_or_b32 exec_lo, exec_lo, s0
	s_delay_alu instid0(SALU_CYCLE_1)
	s_mov_b32 s0, exec_lo
	v_cmpx_gt_i32_e64 s8, v0
	s_cbranch_execz .LBB128_176
.LBB128_191:
	v_add_nc_u32_e32 v1, s2, v0
	v_add_nc_u32_e32 v0, 0x100, v0
	global_store_b8 v1, v21, s[4:5]
	s_wait_xcnt 0x0
	s_or_b32 exec_lo, exec_lo, s0
	s_delay_alu instid0(SALU_CYCLE_1)
	s_mov_b32 s0, exec_lo
	v_cmpx_gt_i32_e64 s8, v0
	s_cbranch_execz .LBB128_177
.LBB128_192:
	v_add_nc_u32_e32 v1, s2, v0
	v_add_nc_u32_e32 v0, 0x100, v0
	global_store_b8 v1, v12, s[4:5]
	s_wait_xcnt 0x0
	s_or_b32 exec_lo, exec_lo, s0
	s_delay_alu instid0(SALU_CYCLE_1)
	s_mov_b32 s0, exec_lo
	v_cmpx_gt_i32_e64 s8, v0
	s_cbranch_execz .LBB128_178
.LBB128_193:
	v_add_nc_u32_e32 v1, s2, v0
	v_add_nc_u32_e32 v0, 0x100, v0
	global_store_b8 v1, v13, s[4:5]
	s_wait_xcnt 0x0
	s_or_b32 exec_lo, exec_lo, s0
	s_delay_alu instid0(SALU_CYCLE_1)
	s_mov_b32 s0, exec_lo
	v_cmpx_gt_i32_e64 s8, v0
	s_cbranch_execz .LBB128_179
.LBB128_194:
	v_add_nc_u32_e32 v1, s2, v0
	v_add_nc_u32_e32 v0, 0x100, v0
	global_store_b8 v1, v4, s[4:5]
	s_wait_xcnt 0x0
	s_or_b32 exec_lo, exec_lo, s0
	s_delay_alu instid0(SALU_CYCLE_1)
	s_mov_b32 s0, exec_lo
	v_cmpx_gt_i32_e64 s8, v0
	s_cbranch_execnz .LBB128_180
.LBB128_195:
	s_sendmsg sendmsg(MSG_DEALLOC_VGPRS)
	s_endpgm
.LBB128_196:
	s_wait_xcnt 0x0
                                        ; implicit-def: $sgpr1
	s_branch .LBB128_3
.LBB128_197:
                                        ; implicit-def: $sgpr12
	s_branch .LBB128_6
.LBB128_198:
                                        ; implicit-def: $sgpr13
	s_branch .LBB128_9
.LBB128_199:
                                        ; implicit-def: $sgpr14
	s_branch .LBB128_12
.LBB128_200:
                                        ; implicit-def: $sgpr15
	s_branch .LBB128_15
.LBB128_201:
                                        ; implicit-def: $sgpr16
	s_branch .LBB128_18
.LBB128_202:
                                        ; implicit-def: $sgpr17
	s_branch .LBB128_21
.LBB128_203:
                                        ; implicit-def: $sgpr19
	s_branch .LBB128_24
.LBB128_204:
                                        ; implicit-def: $sgpr18
	s_branch .LBB128_27
.LBB128_205:
                                        ; implicit-def: $sgpr20
	s_branch .LBB128_30
.LBB128_206:
                                        ; implicit-def: $sgpr21
	s_branch .LBB128_33
.LBB128_207:
                                        ; implicit-def: $sgpr22
	s_branch .LBB128_36
.LBB128_208:
                                        ; implicit-def: $sgpr23
	s_branch .LBB128_39
.LBB128_209:
                                        ; implicit-def: $sgpr24
	s_branch .LBB128_42
.LBB128_210:
                                        ; implicit-def: $sgpr25
	s_branch .LBB128_45
.LBB128_211:
                                        ; implicit-def: $sgpr26
	s_branch .LBB128_48
.LBB128_212:
                                        ; implicit-def: $sgpr7
	s_branch .LBB128_86
.LBB128_213:
                                        ; implicit-def: $sgpr3
	s_branch .LBB128_91
.LBB128_214:
                                        ; implicit-def: $sgpr6
	s_branch .LBB128_96
.LBB128_215:
                                        ; implicit-def: $sgpr6
	s_branch .LBB128_101
.LBB128_216:
                                        ; implicit-def: $sgpr6
	s_branch .LBB128_106
.LBB128_217:
                                        ; implicit-def: $sgpr6
	s_branch .LBB128_111
.LBB128_218:
                                        ; implicit-def: $sgpr6
	s_branch .LBB128_116
.LBB128_219:
                                        ; implicit-def: $sgpr6
	s_branch .LBB128_121
.LBB128_220:
                                        ; implicit-def: $sgpr6
	s_branch .LBB128_126
.LBB128_221:
                                        ; implicit-def: $sgpr6
	s_branch .LBB128_131
.LBB128_222:
                                        ; implicit-def: $sgpr6
	s_branch .LBB128_136
.LBB128_223:
                                        ; implicit-def: $sgpr6
	s_branch .LBB128_141
.LBB128_224:
                                        ; implicit-def: $sgpr6
	s_branch .LBB128_146
.LBB128_225:
                                        ; implicit-def: $sgpr6
	s_branch .LBB128_151
.LBB128_226:
                                        ; implicit-def: $sgpr6
	s_branch .LBB128_156
.LBB128_227:
                                        ; implicit-def: $sgpr6
	s_branch .LBB128_161
	.section	.rodata,"a",@progbits
	.p2align	6, 0x0
	.amdhsa_kernel _ZN2at6native29vectorized_elementwise_kernelILi16ENS0_13BinaryFunctorIN3c107complexIfEES5_bNS0_12_GLOBAL__N_116CompareEqFunctorIS5_EEEESt5arrayIPcLm3EEEEviT0_T1_
		.amdhsa_group_segment_fixed_size 0
		.amdhsa_private_segment_fixed_size 0
		.amdhsa_kernarg_size 32
		.amdhsa_user_sgpr_count 2
		.amdhsa_user_sgpr_dispatch_ptr 0
		.amdhsa_user_sgpr_queue_ptr 0
		.amdhsa_user_sgpr_kernarg_segment_ptr 1
		.amdhsa_user_sgpr_dispatch_id 0
		.amdhsa_user_sgpr_kernarg_preload_length 0
		.amdhsa_user_sgpr_kernarg_preload_offset 0
		.amdhsa_user_sgpr_private_segment_size 0
		.amdhsa_wavefront_size32 1
		.amdhsa_uses_dynamic_stack 0
		.amdhsa_enable_private_segment 0
		.amdhsa_system_sgpr_workgroup_id_x 1
		.amdhsa_system_sgpr_workgroup_id_y 0
		.amdhsa_system_sgpr_workgroup_id_z 0
		.amdhsa_system_sgpr_workgroup_info 0
		.amdhsa_system_vgpr_workitem_id 0
		.amdhsa_next_free_vgpr 68
		.amdhsa_next_free_sgpr 27
		.amdhsa_named_barrier_count 0
		.amdhsa_reserve_vcc 1
		.amdhsa_float_round_mode_32 0
		.amdhsa_float_round_mode_16_64 0
		.amdhsa_float_denorm_mode_32 3
		.amdhsa_float_denorm_mode_16_64 3
		.amdhsa_fp16_overflow 0
		.amdhsa_memory_ordered 1
		.amdhsa_forward_progress 1
		.amdhsa_inst_pref_size 48
		.amdhsa_round_robin_scheduling 0
		.amdhsa_exception_fp_ieee_invalid_op 0
		.amdhsa_exception_fp_denorm_src 0
		.amdhsa_exception_fp_ieee_div_zero 0
		.amdhsa_exception_fp_ieee_overflow 0
		.amdhsa_exception_fp_ieee_underflow 0
		.amdhsa_exception_fp_ieee_inexact 0
		.amdhsa_exception_int_div_zero 0
	.end_amdhsa_kernel
	.section	.text._ZN2at6native29vectorized_elementwise_kernelILi16ENS0_13BinaryFunctorIN3c107complexIfEES5_bNS0_12_GLOBAL__N_116CompareEqFunctorIS5_EEEESt5arrayIPcLm3EEEEviT0_T1_,"axG",@progbits,_ZN2at6native29vectorized_elementwise_kernelILi16ENS0_13BinaryFunctorIN3c107complexIfEES5_bNS0_12_GLOBAL__N_116CompareEqFunctorIS5_EEEESt5arrayIPcLm3EEEEviT0_T1_,comdat
.Lfunc_end128:
	.size	_ZN2at6native29vectorized_elementwise_kernelILi16ENS0_13BinaryFunctorIN3c107complexIfEES5_bNS0_12_GLOBAL__N_116CompareEqFunctorIS5_EEEESt5arrayIPcLm3EEEEviT0_T1_, .Lfunc_end128-_ZN2at6native29vectorized_elementwise_kernelILi16ENS0_13BinaryFunctorIN3c107complexIfEES5_bNS0_12_GLOBAL__N_116CompareEqFunctorIS5_EEEESt5arrayIPcLm3EEEEviT0_T1_
                                        ; -- End function
	.set _ZN2at6native29vectorized_elementwise_kernelILi16ENS0_13BinaryFunctorIN3c107complexIfEES5_bNS0_12_GLOBAL__N_116CompareEqFunctorIS5_EEEESt5arrayIPcLm3EEEEviT0_T1_.num_vgpr, 68
	.set _ZN2at6native29vectorized_elementwise_kernelILi16ENS0_13BinaryFunctorIN3c107complexIfEES5_bNS0_12_GLOBAL__N_116CompareEqFunctorIS5_EEEESt5arrayIPcLm3EEEEviT0_T1_.num_agpr, 0
	.set _ZN2at6native29vectorized_elementwise_kernelILi16ENS0_13BinaryFunctorIN3c107complexIfEES5_bNS0_12_GLOBAL__N_116CompareEqFunctorIS5_EEEESt5arrayIPcLm3EEEEviT0_T1_.numbered_sgpr, 27
	.set _ZN2at6native29vectorized_elementwise_kernelILi16ENS0_13BinaryFunctorIN3c107complexIfEES5_bNS0_12_GLOBAL__N_116CompareEqFunctorIS5_EEEESt5arrayIPcLm3EEEEviT0_T1_.num_named_barrier, 0
	.set _ZN2at6native29vectorized_elementwise_kernelILi16ENS0_13BinaryFunctorIN3c107complexIfEES5_bNS0_12_GLOBAL__N_116CompareEqFunctorIS5_EEEESt5arrayIPcLm3EEEEviT0_T1_.private_seg_size, 0
	.set _ZN2at6native29vectorized_elementwise_kernelILi16ENS0_13BinaryFunctorIN3c107complexIfEES5_bNS0_12_GLOBAL__N_116CompareEqFunctorIS5_EEEESt5arrayIPcLm3EEEEviT0_T1_.uses_vcc, 1
	.set _ZN2at6native29vectorized_elementwise_kernelILi16ENS0_13BinaryFunctorIN3c107complexIfEES5_bNS0_12_GLOBAL__N_116CompareEqFunctorIS5_EEEESt5arrayIPcLm3EEEEviT0_T1_.uses_flat_scratch, 0
	.set _ZN2at6native29vectorized_elementwise_kernelILi16ENS0_13BinaryFunctorIN3c107complexIfEES5_bNS0_12_GLOBAL__N_116CompareEqFunctorIS5_EEEESt5arrayIPcLm3EEEEviT0_T1_.has_dyn_sized_stack, 0
	.set _ZN2at6native29vectorized_elementwise_kernelILi16ENS0_13BinaryFunctorIN3c107complexIfEES5_bNS0_12_GLOBAL__N_116CompareEqFunctorIS5_EEEESt5arrayIPcLm3EEEEviT0_T1_.has_recursion, 0
	.set _ZN2at6native29vectorized_elementwise_kernelILi16ENS0_13BinaryFunctorIN3c107complexIfEES5_bNS0_12_GLOBAL__N_116CompareEqFunctorIS5_EEEESt5arrayIPcLm3EEEEviT0_T1_.has_indirect_call, 0
	.section	.AMDGPU.csdata,"",@progbits
; Kernel info:
; codeLenInByte = 6040
; TotalNumSgprs: 29
; NumVgprs: 68
; ScratchSize: 0
; MemoryBound: 1
; FloatMode: 240
; IeeeMode: 1
; LDSByteSize: 0 bytes/workgroup (compile time only)
; SGPRBlocks: 0
; VGPRBlocks: 4
; NumSGPRsForWavesPerEU: 29
; NumVGPRsForWavesPerEU: 68
; NamedBarCnt: 0
; Occupancy: 12
; WaveLimiterHint : 0
; COMPUTE_PGM_RSRC2:SCRATCH_EN: 0
; COMPUTE_PGM_RSRC2:USER_SGPR: 2
; COMPUTE_PGM_RSRC2:TRAP_HANDLER: 0
; COMPUTE_PGM_RSRC2:TGID_X_EN: 1
; COMPUTE_PGM_RSRC2:TGID_Y_EN: 0
; COMPUTE_PGM_RSRC2:TGID_Z_EN: 0
; COMPUTE_PGM_RSRC2:TIDIG_COMP_CNT: 0
	.section	.text._ZN2at6native29vectorized_elementwise_kernelILi8ENS0_13BinaryFunctorIN3c107complexIfEES5_bNS0_12_GLOBAL__N_116CompareEqFunctorIS5_EEEESt5arrayIPcLm3EEEEviT0_T1_,"axG",@progbits,_ZN2at6native29vectorized_elementwise_kernelILi8ENS0_13BinaryFunctorIN3c107complexIfEES5_bNS0_12_GLOBAL__N_116CompareEqFunctorIS5_EEEESt5arrayIPcLm3EEEEviT0_T1_,comdat
	.globl	_ZN2at6native29vectorized_elementwise_kernelILi8ENS0_13BinaryFunctorIN3c107complexIfEES5_bNS0_12_GLOBAL__N_116CompareEqFunctorIS5_EEEESt5arrayIPcLm3EEEEviT0_T1_ ; -- Begin function _ZN2at6native29vectorized_elementwise_kernelILi8ENS0_13BinaryFunctorIN3c107complexIfEES5_bNS0_12_GLOBAL__N_116CompareEqFunctorIS5_EEEESt5arrayIPcLm3EEEEviT0_T1_
	.p2align	8
	.type	_ZN2at6native29vectorized_elementwise_kernelILi8ENS0_13BinaryFunctorIN3c107complexIfEES5_bNS0_12_GLOBAL__N_116CompareEqFunctorIS5_EEEESt5arrayIPcLm3EEEEviT0_T1_,@function
_ZN2at6native29vectorized_elementwise_kernelILi8ENS0_13BinaryFunctorIN3c107complexIfEES5_bNS0_12_GLOBAL__N_116CompareEqFunctorIS5_EEEESt5arrayIPcLm3EEEEviT0_T1_: ; @_ZN2at6native29vectorized_elementwise_kernelILi8ENS0_13BinaryFunctorIN3c107complexIfEES5_bNS0_12_GLOBAL__N_116CompareEqFunctorIS5_EEEESt5arrayIPcLm3EEEEviT0_T1_
; %bb.0:
	s_clause 0x2
	s_load_b64 s[8:9], s[0:1], 0x0
	s_load_b128 s[4:7], s[0:1], 0x8
	s_load_b64 s[10:11], s[0:1], 0x18
	s_wait_xcnt 0x0
	s_bfe_u32 s0, ttmp6, 0x4000c
	s_and_b32 s1, ttmp6, 15
	s_add_co_i32 s0, s0, 1
	s_getreg_b32 s2, hwreg(HW_REG_IB_STS2, 6, 4)
	s_mul_i32 s0, ttmp9, s0
	s_delay_alu instid0(SALU_CYCLE_1) | instskip(SKIP_2) | instid1(SALU_CYCLE_1)
	s_add_co_i32 s1, s1, s0
	s_cmp_eq_u32 s2, 0
	s_cselect_b32 s0, ttmp9, s1
	s_lshl_b32 s2, s0, 12
	s_mov_b32 s0, -1
	s_wait_kmcnt 0x0
	s_sub_co_i32 s8, s8, s2
	s_delay_alu instid0(SALU_CYCLE_1)
	s_cmp_gt_i32 s8, 0xfff
	s_cbranch_scc0 .LBB129_50
; %bb.1:
	s_ashr_i32 s3, s2, 31
	v_lshlrev_b32_e32 v1, 6, v0
	s_lshl_b64 s[0:1], s[2:3], 3
	s_cmp_lg_u32 s9, 0
	s_add_nc_u64 s[12:13], s[6:7], s[0:1]
	s_add_nc_u64 s[0:1], s[10:11], s[0:1]
	s_clause 0xf
	global_load_b128 v[34:37], v1, s[12:13] offset:48
	global_load_b128 v[42:45], v1, s[12:13] offset:32
	;; [unrolled: 1-line block ×3, first 2 shown]
	global_load_b128 v[58:61], v1, s[12:13]
	global_load_b128 v[2:5], v1, s[12:13] offset:16432
	global_load_b128 v[10:13], v1, s[12:13] offset:16416
	;; [unrolled: 1-line block ×7, first 2 shown]
	global_load_b128 v[62:65], v1, s[0:1]
	global_load_b128 v[6:9], v1, s[0:1] offset:16432
	global_load_b128 v[14:17], v1, s[0:1] offset:16416
	;; [unrolled: 1-line block ×4, first 2 shown]
	s_wait_xcnt 0x8
	s_cselect_b32 s12, -1, 0
	s_delay_alu instid0(SALU_CYCLE_1)
	s_and_b32 vcc_lo, exec_lo, s12
	s_cbranch_vccz .LBB129_196
; %bb.2:
	s_wait_loadcnt 0x4
	v_cmp_neq_f32_e32 vcc_lo, v58, v62
	s_wait_xcnt 0x0
	v_cmp_neq_f32_e64 s0, v59, v63
	s_or_b32 s1, vcc_lo, s0
	s_cbranch_execnz .LBB129_4
.LBB129_3:
	s_wait_loadcnt 0x4
	v_cmp_eq_f32_e32 vcc_lo, v58, v62
	v_cmp_eq_f32_e64 s0, v59, v63
	s_and_not1_b32 s1, s1, exec_lo
	s_and_b32 s0, vcc_lo, s0
	s_delay_alu instid0(SALU_CYCLE_1) | instskip(NEXT) | instid1(SALU_CYCLE_1)
	s_and_b32 s0, s0, exec_lo
	s_or_b32 s1, s1, s0
.LBB129_4:
	v_cndmask_b32_e64 v1, 0, 1, s12
	s_and_not1_b32 vcc_lo, exec_lo, s12
	s_cbranch_vccnz .LBB129_197
; %bb.5:
	s_wait_loadcnt 0x4
	v_cmp_neq_f32_e32 vcc_lo, v60, v64
	v_cmp_neq_f32_e64 s0, v61, v65
	s_or_b32 s12, vcc_lo, s0
	s_cbranch_execnz .LBB129_7
.LBB129_6:
	s_wait_loadcnt 0x4
	v_cmp_eq_f32_e32 vcc_lo, v60, v64
	v_cmp_eq_f32_e64 s0, v61, v65
	s_and_not1_b32 s12, s12, exec_lo
	s_and_b32 s0, vcc_lo, s0
	s_delay_alu instid0(SALU_CYCLE_1) | instskip(NEXT) | instid1(SALU_CYCLE_1)
	s_and_b32 s0, s0, exec_lo
	s_or_b32 s12, s12, s0
.LBB129_7:
	v_cmp_ne_u32_e32 vcc_lo, 1, v1
	s_cbranch_vccnz .LBB129_198
; %bb.8:
	s_wait_loadcnt 0x5
	v_cmp_neq_f32_e32 vcc_lo, v50, v54
	v_cmp_neq_f32_e64 s0, v51, v55
	s_or_b32 s13, vcc_lo, s0
	s_cbranch_execnz .LBB129_10
.LBB129_9:
	s_wait_loadcnt 0x5
	v_cmp_eq_f32_e32 vcc_lo, v50, v54
	v_cmp_eq_f32_e64 s0, v51, v55
	s_and_not1_b32 s13, s13, exec_lo
	s_and_b32 s0, vcc_lo, s0
	s_delay_alu instid0(SALU_CYCLE_1) | instskip(NEXT) | instid1(SALU_CYCLE_1)
	s_and_b32 s0, s0, exec_lo
	s_or_b32 s13, s13, s0
.LBB129_10:
	v_cmp_ne_u32_e32 vcc_lo, 1, v1
	s_cbranch_vccnz .LBB129_199
; %bb.11:
	s_wait_loadcnt 0x5
	v_cmp_neq_f32_e32 vcc_lo, v52, v56
	v_cmp_neq_f32_e64 s0, v53, v57
	s_or_b32 s14, vcc_lo, s0
	s_cbranch_execnz .LBB129_13
.LBB129_12:
	s_wait_loadcnt 0x5
	v_cmp_eq_f32_e32 vcc_lo, v52, v56
	v_cmp_eq_f32_e64 s0, v53, v57
	s_and_not1_b32 s14, s14, exec_lo
	s_and_b32 s0, vcc_lo, s0
	s_delay_alu instid0(SALU_CYCLE_1) | instskip(NEXT) | instid1(SALU_CYCLE_1)
	s_and_b32 s0, s0, exec_lo
	s_or_b32 s14, s14, s0
.LBB129_13:
	v_cmp_ne_u32_e32 vcc_lo, 1, v1
	s_cbranch_vccnz .LBB129_200
; %bb.14:
	s_wait_loadcnt 0x6
	v_cmp_neq_f32_e32 vcc_lo, v42, v46
	v_cmp_neq_f32_e64 s0, v43, v47
	s_or_b32 s15, vcc_lo, s0
	s_cbranch_execnz .LBB129_16
.LBB129_15:
	s_wait_loadcnt 0x6
	v_cmp_eq_f32_e32 vcc_lo, v42, v46
	v_cmp_eq_f32_e64 s0, v43, v47
	s_and_not1_b32 s15, s15, exec_lo
	s_and_b32 s0, vcc_lo, s0
	s_delay_alu instid0(SALU_CYCLE_1) | instskip(NEXT) | instid1(SALU_CYCLE_1)
	s_and_b32 s0, s0, exec_lo
	s_or_b32 s15, s15, s0
.LBB129_16:
	v_cmp_ne_u32_e32 vcc_lo, 1, v1
	s_cbranch_vccnz .LBB129_201
; %bb.17:
	s_wait_loadcnt 0x6
	v_cmp_neq_f32_e32 vcc_lo, v44, v48
	v_cmp_neq_f32_e64 s0, v45, v49
	s_or_b32 s16, vcc_lo, s0
	s_cbranch_execnz .LBB129_19
.LBB129_18:
	s_wait_loadcnt 0x6
	v_cmp_eq_f32_e32 vcc_lo, v44, v48
	v_cmp_eq_f32_e64 s0, v45, v49
	s_and_not1_b32 s16, s16, exec_lo
	s_and_b32 s0, vcc_lo, s0
	s_delay_alu instid0(SALU_CYCLE_1) | instskip(NEXT) | instid1(SALU_CYCLE_1)
	s_and_b32 s0, s0, exec_lo
	s_or_b32 s16, s16, s0
.LBB129_19:
	v_cmp_ne_u32_e32 vcc_lo, 1, v1
	s_cbranch_vccnz .LBB129_202
; %bb.20:
	s_wait_loadcnt 0x7
	v_cmp_neq_f32_e32 vcc_lo, v34, v38
	v_cmp_neq_f32_e64 s0, v35, v39
	s_or_b32 s17, vcc_lo, s0
	s_cbranch_execnz .LBB129_22
.LBB129_21:
	s_wait_loadcnt 0x7
	v_cmp_eq_f32_e32 vcc_lo, v34, v38
	v_cmp_eq_f32_e64 s0, v35, v39
	s_and_not1_b32 s17, s17, exec_lo
	s_and_b32 s0, vcc_lo, s0
	s_delay_alu instid0(SALU_CYCLE_1) | instskip(NEXT) | instid1(SALU_CYCLE_1)
	s_and_b32 s0, s0, exec_lo
	s_or_b32 s17, s17, s0
.LBB129_22:
	v_cmp_ne_u32_e32 vcc_lo, 1, v1
	s_cbranch_vccnz .LBB129_203
; %bb.23:
	s_wait_loadcnt 0x7
	v_cmp_neq_f32_e32 vcc_lo, v36, v40
	v_cmp_neq_f32_e64 s0, v37, v41
	s_or_b32 s18, vcc_lo, s0
	s_cbranch_execnz .LBB129_25
.LBB129_24:
	s_wait_loadcnt 0x7
	v_cmp_eq_f32_e32 vcc_lo, v36, v40
	v_cmp_eq_f32_e64 s0, v37, v41
	s_and_not1_b32 s18, s18, exec_lo
	s_and_b32 s0, vcc_lo, s0
	s_delay_alu instid0(SALU_CYCLE_1) | instskip(NEXT) | instid1(SALU_CYCLE_1)
	s_and_b32 s0, s0, exec_lo
	s_or_b32 s18, s18, s0
.LBB129_25:
	v_cmp_ne_u32_e32 vcc_lo, 1, v1
	s_cbranch_vccnz .LBB129_204
; %bb.26:
	s_wait_loadcnt 0x0
	v_cmp_neq_f32_e32 vcc_lo, v26, v30
	v_cmp_neq_f32_e64 s0, v27, v31
	s_or_b32 s19, vcc_lo, s0
	s_cbranch_execnz .LBB129_28
.LBB129_27:
	s_wait_loadcnt 0x0
	v_cmp_eq_f32_e32 vcc_lo, v26, v30
	v_cmp_eq_f32_e64 s0, v27, v31
	s_and_not1_b32 s19, s19, exec_lo
	s_and_b32 s0, vcc_lo, s0
	s_delay_alu instid0(SALU_CYCLE_1) | instskip(NEXT) | instid1(SALU_CYCLE_1)
	s_and_b32 s0, s0, exec_lo
	s_or_b32 s19, s19, s0
.LBB129_28:
	v_cmp_ne_u32_e32 vcc_lo, 1, v1
	s_cbranch_vccnz .LBB129_205
; %bb.29:
	s_wait_loadcnt 0x0
	v_cmp_neq_f32_e32 vcc_lo, v28, v32
	v_cmp_neq_f32_e64 s0, v29, v33
	s_or_b32 s20, vcc_lo, s0
	s_cbranch_execnz .LBB129_31
.LBB129_30:
	s_wait_loadcnt 0x0
	v_cmp_eq_f32_e32 vcc_lo, v28, v32
	v_cmp_eq_f32_e64 s0, v29, v33
	s_and_not1_b32 s20, s20, exec_lo
	s_and_b32 s0, vcc_lo, s0
	s_delay_alu instid0(SALU_CYCLE_1) | instskip(NEXT) | instid1(SALU_CYCLE_1)
	s_and_b32 s0, s0, exec_lo
	s_or_b32 s20, s20, s0
.LBB129_31:
	v_cmp_ne_u32_e32 vcc_lo, 1, v1
	s_cbranch_vccnz .LBB129_206
; %bb.32:
	s_wait_loadcnt 0x1
	v_cmp_neq_f32_e32 vcc_lo, v18, v22
	v_cmp_neq_f32_e64 s0, v19, v23
	s_or_b32 s21, vcc_lo, s0
	s_cbranch_execnz .LBB129_34
.LBB129_33:
	s_wait_loadcnt 0x1
	v_cmp_eq_f32_e32 vcc_lo, v18, v22
	v_cmp_eq_f32_e64 s0, v19, v23
	s_and_not1_b32 s21, s21, exec_lo
	s_and_b32 s0, vcc_lo, s0
	s_delay_alu instid0(SALU_CYCLE_1) | instskip(NEXT) | instid1(SALU_CYCLE_1)
	s_and_b32 s0, s0, exec_lo
	s_or_b32 s21, s21, s0
.LBB129_34:
	v_cmp_ne_u32_e32 vcc_lo, 1, v1
	s_cbranch_vccnz .LBB129_207
; %bb.35:
	s_wait_loadcnt 0x1
	v_cmp_neq_f32_e32 vcc_lo, v20, v24
	v_cmp_neq_f32_e64 s0, v21, v25
	s_or_b32 s22, vcc_lo, s0
	s_cbranch_execnz .LBB129_37
.LBB129_36:
	s_wait_loadcnt 0x1
	v_cmp_eq_f32_e32 vcc_lo, v20, v24
	v_cmp_eq_f32_e64 s0, v21, v25
	s_and_not1_b32 s22, s22, exec_lo
	s_and_b32 s0, vcc_lo, s0
	s_delay_alu instid0(SALU_CYCLE_1) | instskip(NEXT) | instid1(SALU_CYCLE_1)
	s_and_b32 s0, s0, exec_lo
	s_or_b32 s22, s22, s0
.LBB129_37:
	v_cmp_ne_u32_e32 vcc_lo, 1, v1
	s_cbranch_vccnz .LBB129_208
; %bb.38:
	s_wait_loadcnt 0x2
	v_cmp_neq_f32_e32 vcc_lo, v10, v14
	v_cmp_neq_f32_e64 s0, v11, v15
	s_or_b32 s23, vcc_lo, s0
	s_cbranch_execnz .LBB129_40
.LBB129_39:
	s_wait_loadcnt 0x2
	v_cmp_eq_f32_e32 vcc_lo, v10, v14
	v_cmp_eq_f32_e64 s0, v11, v15
	s_and_not1_b32 s23, s23, exec_lo
	s_and_b32 s0, vcc_lo, s0
	s_delay_alu instid0(SALU_CYCLE_1) | instskip(NEXT) | instid1(SALU_CYCLE_1)
	s_and_b32 s0, s0, exec_lo
	s_or_b32 s23, s23, s0
.LBB129_40:
	v_cmp_ne_u32_e32 vcc_lo, 1, v1
	s_cbranch_vccnz .LBB129_209
; %bb.41:
	s_wait_loadcnt 0x2
	v_cmp_neq_f32_e32 vcc_lo, v12, v16
	v_cmp_neq_f32_e64 s0, v13, v17
	s_or_b32 s24, vcc_lo, s0
	s_cbranch_execnz .LBB129_43
.LBB129_42:
	s_wait_loadcnt 0x2
	v_cmp_eq_f32_e32 vcc_lo, v12, v16
	v_cmp_eq_f32_e64 s0, v13, v17
	s_and_not1_b32 s24, s24, exec_lo
	s_and_b32 s0, vcc_lo, s0
	s_delay_alu instid0(SALU_CYCLE_1) | instskip(NEXT) | instid1(SALU_CYCLE_1)
	s_and_b32 s0, s0, exec_lo
	s_or_b32 s24, s24, s0
.LBB129_43:
	v_cmp_ne_u32_e32 vcc_lo, 1, v1
	s_cbranch_vccnz .LBB129_210
; %bb.44:
	s_wait_loadcnt 0x3
	v_cmp_neq_f32_e32 vcc_lo, v2, v6
	v_cmp_neq_f32_e64 s0, v3, v7
	s_or_b32 s25, vcc_lo, s0
	s_cbranch_execnz .LBB129_46
.LBB129_45:
	s_wait_loadcnt 0x3
	v_cmp_eq_f32_e32 vcc_lo, v2, v6
	v_cmp_eq_f32_e64 s0, v3, v7
	s_and_not1_b32 s25, s25, exec_lo
	s_and_b32 s0, vcc_lo, s0
	s_delay_alu instid0(SALU_CYCLE_1) | instskip(NEXT) | instid1(SALU_CYCLE_1)
	s_and_b32 s0, s0, exec_lo
	s_or_b32 s25, s25, s0
.LBB129_46:
	v_cmp_ne_u32_e32 vcc_lo, 1, v1
	s_cbranch_vccnz .LBB129_211
; %bb.47:
	s_wait_loadcnt 0x3
	v_cmp_neq_f32_e32 vcc_lo, v4, v8
	v_cmp_neq_f32_e64 s0, v5, v9
	s_or_b32 s26, vcc_lo, s0
	s_cbranch_execnz .LBB129_49
.LBB129_48:
	s_wait_loadcnt 0x3
	v_cmp_eq_f32_e32 vcc_lo, v4, v8
	v_cmp_eq_f32_e64 s0, v5, v9
	s_and_not1_b32 s26, s26, exec_lo
	s_and_b32 s0, vcc_lo, s0
	s_delay_alu instid0(SALU_CYCLE_1) | instskip(NEXT) | instid1(SALU_CYCLE_1)
	s_and_b32 s0, s0, exec_lo
	s_or_b32 s26, s26, s0
.LBB129_49:
	v_cndmask_b32_e64 v1, 0, 0x100, s20
	s_wait_loadcnt 0xb
	v_cndmask_b32_e64 v2, 0, 1, s19
	v_cndmask_b32_e64 v4, 0, 0x100, s12
	;; [unrolled: 1-line block ×4, first 2 shown]
	s_wait_loadcnt 0x3
	v_cndmask_b32_e64 v9, 0, 0x1000000, s14
	v_or_b32_e32 v1, v1, v2
	v_cndmask_b32_e64 v2, 0, 0x1000000, s22
	v_or_b32_e32 v4, v4, v5
	v_cndmask_b32_e64 v5, 0, 0x10000, s13
	v_or3_b32 v6, 0, 0, 0
	v_cndmask_b32_e64 v7, 0, 1, s23
	v_cndmask_b32_e64 v8, 0, 0x100, s24
	;; [unrolled: 1-line block ×4, first 2 shown]
	v_or3_b32 v1, v1, v3, v2
	v_or3_b32 v2, v4, v5, v9
	;; [unrolled: 1-line block ×3, first 2 shown]
	v_cndmask_b32_e64 v5, 0, 0x10000, s17
	v_or3_b32 v3, v6, v10, v11
	v_cndmask_b32_e64 v6, 0, 0x1000000, s18
	v_or3_b32 v2, v2, 0, 0
	v_cndmask_b32_e64 v4, 0, 0x10000, s25
	v_cndmask_b32_e64 v8, 0, 0x1000000, s26
	v_or3_b32 v1, v1, 0, 0
	v_or3_b32 v3, v3, v5, v6
	;; [unrolled: 1-line block ×3, first 2 shown]
	s_add_nc_u64 s[12:13], s[4:5], s[2:3]
	v_or3_b32 v5, v7, v4, v8
	v_or3_b32 v4, v1, 0, 0
	s_mov_b32 s0, 0
	s_clause 0x1
	global_store_b64 v0, v[2:3], s[12:13] scale_offset
	global_store_b64 v0, v[4:5], s[12:13] offset:2048 scale_offset
.LBB129_50:
	s_and_b32 vcc_lo, exec_lo, s0
	s_cbranch_vccz .LBB129_195
; %bb.51:
	v_cmp_gt_i32_e64 s0, s8, v0
	v_dual_mov_b32 v52, 0 :: v_dual_bitop2_b32 v1, s2, v0 bitop3:0x54
	v_or_b32_e32 v66, 0x100, v0
	v_dual_mov_b32 v67, v0 :: v_dual_mov_b32 v62, 0
	v_dual_mov_b32 v63, 0 :: v_dual_mov_b32 v64, 0
	v_mov_b32_e32 v65, 0
	s_wait_xcnt 0x0
	s_and_saveexec_b32 s1, s0
	s_cbranch_execz .LBB129_53
; %bb.52:
	s_clause 0x1
	global_load_b64 v[62:63], v1, s[6:7] scale_offset
	global_load_b64 v[64:65], v1, s[10:11] scale_offset
	v_or_b32_e32 v67, 0x100, v0
.LBB129_53:
	s_wait_xcnt 0x0
	s_or_b32 exec_lo, exec_lo, s1
	v_dual_mov_b32 v53, 0 :: v_dual_mov_b32 v60, 0
	v_mov_b32_e32 v61, 0
	s_mov_b32 s1, exec_lo
	v_cmpx_gt_i32_e64 s8, v67
	s_cbranch_execz .LBB129_55
; %bb.54:
	v_add_nc_u32_e32 v2, s2, v67
	v_add_nc_u32_e32 v67, 0x100, v67
	s_clause 0x1
	global_load_b64 v[52:53], v2, s[6:7] scale_offset
	global_load_b64 v[60:61], v2, s[10:11] scale_offset
.LBB129_55:
	s_wait_xcnt 0x0
	s_or_b32 exec_lo, exec_lo, s1
	v_dual_mov_b32 v44, 0 :: v_dual_mov_b32 v56, 0
	v_dual_mov_b32 v57, 0 :: v_dual_mov_b32 v58, 0
	v_mov_b32_e32 v59, 0
	s_mov_b32 s1, exec_lo
	v_cmpx_gt_i32_e64 s8, v67
	s_cbranch_execz .LBB129_57
; %bb.56:
	v_add_nc_u32_e32 v2, s2, v67
	v_add_nc_u32_e32 v67, 0x100, v67
	s_clause 0x1
	global_load_b64 v[56:57], v2, s[6:7] scale_offset
	global_load_b64 v[58:59], v2, s[10:11] scale_offset
.LBB129_57:
	s_wait_xcnt 0x0
	s_or_b32 exec_lo, exec_lo, s1
	v_dual_mov_b32 v45, 0 :: v_dual_mov_b32 v54, 0
	v_mov_b32_e32 v55, 0
	s_mov_b32 s1, exec_lo
	v_cmpx_gt_i32_e64 s8, v67
	s_cbranch_execz .LBB129_59
; %bb.58:
	v_add_nc_u32_e32 v2, s2, v67
	v_add_nc_u32_e32 v67, 0x100, v67
	s_clause 0x1
	global_load_b64 v[44:45], v2, s[6:7] scale_offset
	global_load_b64 v[54:55], v2, s[10:11] scale_offset
.LBB129_59:
	s_wait_xcnt 0x0
	s_or_b32 exec_lo, exec_lo, s1
	v_dual_mov_b32 v36, 0 :: v_dual_mov_b32 v48, 0
	v_dual_mov_b32 v49, 0 :: v_dual_mov_b32 v50, 0
	v_mov_b32_e32 v51, 0
	s_mov_b32 s1, exec_lo
	v_cmpx_gt_i32_e64 s8, v67
	s_cbranch_execz .LBB129_61
; %bb.60:
	v_add_nc_u32_e32 v2, s2, v67
	v_add_nc_u32_e32 v67, 0x100, v67
	s_clause 0x1
	global_load_b64 v[48:49], v2, s[6:7] scale_offset
	global_load_b64 v[50:51], v2, s[10:11] scale_offset
.LBB129_61:
	s_wait_xcnt 0x0
	s_or_b32 exec_lo, exec_lo, s1
	v_dual_mov_b32 v37, 0 :: v_dual_mov_b32 v46, 0
	v_mov_b32_e32 v47, 0
	s_mov_b32 s1, exec_lo
	v_cmpx_gt_i32_e64 s8, v67
	s_cbranch_execz .LBB129_63
; %bb.62:
	v_add_nc_u32_e32 v2, s2, v67
	v_add_nc_u32_e32 v67, 0x100, v67
	s_clause 0x1
	global_load_b64 v[36:37], v2, s[6:7] scale_offset
	global_load_b64 v[46:47], v2, s[10:11] scale_offset
.LBB129_63:
	s_wait_xcnt 0x0
	s_or_b32 exec_lo, exec_lo, s1
	v_dual_mov_b32 v28, 0 :: v_dual_mov_b32 v40, 0
	v_dual_mov_b32 v41, 0 :: v_dual_mov_b32 v42, 0
	v_mov_b32_e32 v43, 0
	s_mov_b32 s1, exec_lo
	v_cmpx_gt_i32_e64 s8, v67
	s_cbranch_execz .LBB129_65
; %bb.64:
	v_add_nc_u32_e32 v2, s2, v67
	v_add_nc_u32_e32 v67, 0x100, v67
	s_clause 0x1
	global_load_b64 v[40:41], v2, s[6:7] scale_offset
	global_load_b64 v[42:43], v2, s[10:11] scale_offset
.LBB129_65:
	s_wait_xcnt 0x0
	s_or_b32 exec_lo, exec_lo, s1
	v_dual_mov_b32 v29, 0 :: v_dual_mov_b32 v38, 0
	v_mov_b32_e32 v39, 0
	s_mov_b32 s1, exec_lo
	v_cmpx_gt_i32_e64 s8, v67
	s_cbranch_execz .LBB129_67
; %bb.66:
	v_add_nc_u32_e32 v2, s2, v67
	v_add_nc_u32_e32 v67, 0x100, v67
	s_clause 0x1
	global_load_b64 v[28:29], v2, s[6:7] scale_offset
	global_load_b64 v[38:39], v2, s[10:11] scale_offset
.LBB129_67:
	s_wait_xcnt 0x0
	s_or_b32 exec_lo, exec_lo, s1
	s_wait_loadcnt 0x0
	v_dual_mov_b32 v20, 0 :: v_dual_mov_b32 v32, 0
	v_dual_mov_b32 v33, 0 :: v_dual_mov_b32 v34, 0
	v_mov_b32_e32 v35, 0
	s_mov_b32 s1, exec_lo
	v_cmpx_gt_i32_e64 s8, v67
	s_cbranch_execz .LBB129_69
; %bb.68:
	v_add_nc_u32_e32 v2, s2, v67
	v_add_nc_u32_e32 v67, 0x100, v67
	s_clause 0x1
	global_load_b64 v[32:33], v2, s[6:7] scale_offset
	global_load_b64 v[34:35], v2, s[10:11] scale_offset
.LBB129_69:
	s_wait_xcnt 0x0
	s_or_b32 exec_lo, exec_lo, s1
	v_dual_mov_b32 v21, 0 :: v_dual_mov_b32 v30, 0
	v_mov_b32_e32 v31, 0
	s_mov_b32 s1, exec_lo
	v_cmpx_gt_i32_e64 s8, v67
	s_cbranch_execz .LBB129_71
; %bb.70:
	v_add_nc_u32_e32 v2, s2, v67
	v_add_nc_u32_e32 v67, 0x100, v67
	s_clause 0x1
	global_load_b64 v[20:21], v2, s[6:7] scale_offset
	global_load_b64 v[30:31], v2, s[10:11] scale_offset
.LBB129_71:
	s_wait_xcnt 0x0
	s_or_b32 exec_lo, exec_lo, s1
	v_dual_mov_b32 v12, 0 :: v_dual_mov_b32 v24, 0
	v_dual_mov_b32 v25, 0 :: v_dual_mov_b32 v26, 0
	v_mov_b32_e32 v27, 0
	s_mov_b32 s1, exec_lo
	v_cmpx_gt_i32_e64 s8, v67
	s_cbranch_execz .LBB129_73
; %bb.72:
	v_add_nc_u32_e32 v2, s2, v67
	v_add_nc_u32_e32 v67, 0x100, v67
	s_clause 0x1
	global_load_b64 v[24:25], v2, s[6:7] scale_offset
	global_load_b64 v[26:27], v2, s[10:11] scale_offset
.LBB129_73:
	s_wait_xcnt 0x0
	s_or_b32 exec_lo, exec_lo, s1
	v_dual_mov_b32 v13, 0 :: v_dual_mov_b32 v22, 0
	v_mov_b32_e32 v23, 0
	s_mov_b32 s1, exec_lo
	v_cmpx_gt_i32_e64 s8, v67
	s_cbranch_execz .LBB129_75
; %bb.74:
	v_add_nc_u32_e32 v2, s2, v67
	v_add_nc_u32_e32 v67, 0x100, v67
	s_clause 0x1
	global_load_b64 v[12:13], v2, s[6:7] scale_offset
	global_load_b64 v[22:23], v2, s[10:11] scale_offset
.LBB129_75:
	s_wait_xcnt 0x0
	s_or_b32 exec_lo, exec_lo, s1
	;; [unrolled: 29-line block ×3, first 2 shown]
	v_dual_mov_b32 v2, 0 :: v_dual_mov_b32 v8, 0
	v_dual_mov_b32 v9, 0 :: v_dual_mov_b32 v10, 0
	v_mov_b32_e32 v11, 0
	s_mov_b32 s1, exec_lo
	v_cmpx_gt_i32_e64 s8, v67
	s_cbranch_execz .LBB129_81
; %bb.80:
	v_add_nc_u32_e32 v3, s2, v67
	v_add_nc_u32_e32 v67, 0x100, v67
	s_clause 0x1
	global_load_b64 v[8:9], v3, s[6:7] scale_offset
	global_load_b64 v[10:11], v3, s[10:11] scale_offset
.LBB129_81:
	s_wait_xcnt 0x0
	s_or_b32 exec_lo, exec_lo, s1
	v_dual_mov_b32 v3, 0 :: v_dual_mov_b32 v6, 0
	v_mov_b32_e32 v7, 0
	s_mov_b32 s1, exec_lo
	v_cmpx_gt_i32_e64 s8, v67
	s_cbranch_execz .LBB129_83
; %bb.82:
	v_add_nc_u32_e32 v67, s2, v67
	s_clause 0x1
	global_load_b64 v[2:3], v67, s[6:7] scale_offset
	global_load_b64 v[6:7], v67, s[10:11] scale_offset
.LBB129_83:
	s_wait_xcnt 0x0
	s_or_b32 exec_lo, exec_lo, s1
	s_cmp_lg_u32 s9, 0
                                        ; implicit-def: $vgpr67
	s_cselect_b32 s3, -1, 0
	s_and_saveexec_b32 s6, s0
	s_cbranch_execz .LBB129_88
; %bb.84:
	s_and_b32 vcc_lo, exec_lo, s3
	s_cbranch_vccz .LBB129_212
; %bb.85:
	v_cmp_neq_f32_e32 vcc_lo, v62, v64
	v_cmp_neq_f32_e64 s1, v63, v65
	s_or_b32 s7, vcc_lo, s1
	s_cbranch_execnz .LBB129_87
.LBB129_86:
	v_cmp_eq_f32_e32 vcc_lo, v62, v64
	v_cmp_eq_f32_e64 s1, v63, v65
	s_and_not1_b32 s7, s7, exec_lo
	s_and_b32 s1, vcc_lo, s1
	s_delay_alu instid0(SALU_CYCLE_1) | instskip(NEXT) | instid1(SALU_CYCLE_1)
	s_and_b32 s1, s1, exec_lo
	s_or_b32 s7, s7, s1
.LBB129_87:
	s_delay_alu instid0(SALU_CYCLE_1)
	v_cndmask_b32_e64 v67, 0, 1, s7
.LBB129_88:
	s_or_b32 exec_lo, exec_lo, s6
	v_cndmask_b32_e64 v63, 0, 1, s3
	s_mov_b32 s6, exec_lo
                                        ; implicit-def: $vgpr62
	v_cmpx_gt_i32_e64 s8, v66
	s_cbranch_execz .LBB129_93
; %bb.89:
	s_and_not1_b32 vcc_lo, exec_lo, s3
	s_cbranch_vccnz .LBB129_213
; %bb.90:
	v_cmp_neq_f32_e32 vcc_lo, v52, v60
	v_cmp_neq_f32_e64 s1, v53, v61
	s_or_b32 s3, vcc_lo, s1
	s_cbranch_execnz .LBB129_92
.LBB129_91:
	v_cmp_eq_f32_e32 vcc_lo, v52, v60
	v_cmp_eq_f32_e64 s1, v53, v61
	s_and_not1_b32 s3, s3, exec_lo
	s_and_b32 s1, vcc_lo, s1
	s_delay_alu instid0(SALU_CYCLE_1) | instskip(NEXT) | instid1(SALU_CYCLE_1)
	s_and_b32 s1, s1, exec_lo
	s_or_b32 s3, s3, s1
.LBB129_92:
	s_delay_alu instid0(SALU_CYCLE_1)
	v_cndmask_b32_e64 v62, 0, 1, s3
.LBB129_93:
	s_or_b32 exec_lo, exec_lo, s6
	v_or_b32_e32 v52, 0x200, v0
	s_delay_alu instid0(VALU_DEP_1)
	v_cmp_gt_i32_e32 vcc_lo, s8, v52
                                        ; implicit-def: $vgpr52
	s_and_saveexec_b32 s3, vcc_lo
	s_cbranch_execz .LBB129_98
; %bb.94:
	v_cmp_ne_u32_e32 vcc_lo, 1, v63
	s_cbranch_vccnz .LBB129_214
; %bb.95:
	v_cmp_neq_f32_e32 vcc_lo, v56, v58
	v_cmp_neq_f32_e64 s1, v57, v59
	s_or_b32 s6, vcc_lo, s1
	s_cbranch_execnz .LBB129_97
.LBB129_96:
	v_cmp_eq_f32_e32 vcc_lo, v56, v58
	v_cmp_eq_f32_e64 s1, v57, v59
	s_and_not1_b32 s6, s6, exec_lo
	s_and_b32 s1, vcc_lo, s1
	s_delay_alu instid0(SALU_CYCLE_1) | instskip(NEXT) | instid1(SALU_CYCLE_1)
	s_and_b32 s1, s1, exec_lo
	s_or_b32 s6, s6, s1
.LBB129_97:
	s_delay_alu instid0(SALU_CYCLE_1)
	v_cndmask_b32_e64 v52, 0, 1, s6
.LBB129_98:
	s_or_b32 exec_lo, exec_lo, s3
	v_or_b32_e32 v53, 0x300, v0
	s_delay_alu instid0(VALU_DEP_1)
	v_cmp_gt_i32_e32 vcc_lo, s8, v53
                                        ; implicit-def: $vgpr53
	s_and_saveexec_b32 s3, vcc_lo
	s_cbranch_execz .LBB129_103
; %bb.99:
	v_cmp_ne_u32_e32 vcc_lo, 1, v63
	s_cbranch_vccnz .LBB129_215
; %bb.100:
	v_cmp_neq_f32_e32 vcc_lo, v44, v54
	v_cmp_neq_f32_e64 s1, v45, v55
	s_or_b32 s6, vcc_lo, s1
	s_cbranch_execnz .LBB129_102
.LBB129_101:
	v_cmp_eq_f32_e32 vcc_lo, v44, v54
	v_cmp_eq_f32_e64 s1, v45, v55
	s_and_not1_b32 s6, s6, exec_lo
	s_and_b32 s1, vcc_lo, s1
	s_delay_alu instid0(SALU_CYCLE_1) | instskip(NEXT) | instid1(SALU_CYCLE_1)
	s_and_b32 s1, s1, exec_lo
	s_or_b32 s6, s6, s1
.LBB129_102:
	s_delay_alu instid0(SALU_CYCLE_1)
	v_cndmask_b32_e64 v53, 0, 1, s6
.LBB129_103:
	s_or_b32 exec_lo, exec_lo, s3
	v_or_b32_e32 v44, 0x400, v0
	s_delay_alu instid0(VALU_DEP_1)
	v_cmp_gt_i32_e32 vcc_lo, s8, v44
                                        ; implicit-def: $vgpr44
	s_and_saveexec_b32 s3, vcc_lo
	s_cbranch_execz .LBB129_108
; %bb.104:
	v_cmp_ne_u32_e32 vcc_lo, 1, v63
	s_cbranch_vccnz .LBB129_216
; %bb.105:
	v_cmp_neq_f32_e32 vcc_lo, v48, v50
	v_cmp_neq_f32_e64 s1, v49, v51
	s_or_b32 s6, vcc_lo, s1
	s_cbranch_execnz .LBB129_107
.LBB129_106:
	v_cmp_eq_f32_e32 vcc_lo, v48, v50
	v_cmp_eq_f32_e64 s1, v49, v51
	s_and_not1_b32 s6, s6, exec_lo
	s_and_b32 s1, vcc_lo, s1
	s_delay_alu instid0(SALU_CYCLE_1) | instskip(NEXT) | instid1(SALU_CYCLE_1)
	s_and_b32 s1, s1, exec_lo
	s_or_b32 s6, s6, s1
.LBB129_107:
	s_delay_alu instid0(SALU_CYCLE_1)
	v_cndmask_b32_e64 v44, 0, 1, s6
.LBB129_108:
	s_or_b32 exec_lo, exec_lo, s3
	v_or_b32_e32 v45, 0x500, v0
	s_delay_alu instid0(VALU_DEP_1)
	v_cmp_gt_i32_e32 vcc_lo, s8, v45
                                        ; implicit-def: $vgpr45
	s_and_saveexec_b32 s3, vcc_lo
	s_cbranch_execz .LBB129_113
; %bb.109:
	v_cmp_ne_u32_e32 vcc_lo, 1, v63
	s_cbranch_vccnz .LBB129_217
; %bb.110:
	v_cmp_neq_f32_e32 vcc_lo, v36, v46
	v_cmp_neq_f32_e64 s1, v37, v47
	s_or_b32 s6, vcc_lo, s1
	s_cbranch_execnz .LBB129_112
.LBB129_111:
	v_cmp_eq_f32_e32 vcc_lo, v36, v46
	v_cmp_eq_f32_e64 s1, v37, v47
	s_and_not1_b32 s6, s6, exec_lo
	s_and_b32 s1, vcc_lo, s1
	s_delay_alu instid0(SALU_CYCLE_1) | instskip(NEXT) | instid1(SALU_CYCLE_1)
	s_and_b32 s1, s1, exec_lo
	s_or_b32 s6, s6, s1
.LBB129_112:
	s_delay_alu instid0(SALU_CYCLE_1)
	v_cndmask_b32_e64 v45, 0, 1, s6
.LBB129_113:
	s_or_b32 exec_lo, exec_lo, s3
	v_or_b32_e32 v36, 0x600, v0
	s_delay_alu instid0(VALU_DEP_1)
	v_cmp_gt_i32_e32 vcc_lo, s8, v36
                                        ; implicit-def: $vgpr36
	s_and_saveexec_b32 s3, vcc_lo
	s_cbranch_execz .LBB129_118
; %bb.114:
	v_cmp_ne_u32_e32 vcc_lo, 1, v63
	s_cbranch_vccnz .LBB129_218
; %bb.115:
	v_cmp_neq_f32_e32 vcc_lo, v40, v42
	v_cmp_neq_f32_e64 s1, v41, v43
	s_or_b32 s6, vcc_lo, s1
	s_cbranch_execnz .LBB129_117
.LBB129_116:
	v_cmp_eq_f32_e32 vcc_lo, v40, v42
	v_cmp_eq_f32_e64 s1, v41, v43
	s_and_not1_b32 s6, s6, exec_lo
	s_and_b32 s1, vcc_lo, s1
	s_delay_alu instid0(SALU_CYCLE_1) | instskip(NEXT) | instid1(SALU_CYCLE_1)
	s_and_b32 s1, s1, exec_lo
	s_or_b32 s6, s6, s1
.LBB129_117:
	s_delay_alu instid0(SALU_CYCLE_1)
	v_cndmask_b32_e64 v36, 0, 1, s6
.LBB129_118:
	s_or_b32 exec_lo, exec_lo, s3
	v_or_b32_e32 v37, 0x700, v0
	s_delay_alu instid0(VALU_DEP_1)
	v_cmp_gt_i32_e32 vcc_lo, s8, v37
                                        ; implicit-def: $vgpr37
	s_and_saveexec_b32 s3, vcc_lo
	s_cbranch_execz .LBB129_123
; %bb.119:
	v_cmp_ne_u32_e32 vcc_lo, 1, v63
	s_cbranch_vccnz .LBB129_219
; %bb.120:
	v_cmp_neq_f32_e32 vcc_lo, v28, v38
	v_cmp_neq_f32_e64 s1, v29, v39
	s_or_b32 s6, vcc_lo, s1
	s_cbranch_execnz .LBB129_122
.LBB129_121:
	v_cmp_eq_f32_e32 vcc_lo, v28, v38
	v_cmp_eq_f32_e64 s1, v29, v39
	s_and_not1_b32 s6, s6, exec_lo
	s_and_b32 s1, vcc_lo, s1
	s_delay_alu instid0(SALU_CYCLE_1) | instskip(NEXT) | instid1(SALU_CYCLE_1)
	s_and_b32 s1, s1, exec_lo
	s_or_b32 s6, s6, s1
.LBB129_122:
	s_delay_alu instid0(SALU_CYCLE_1)
	v_cndmask_b32_e64 v37, 0, 1, s6
.LBB129_123:
	s_or_b32 exec_lo, exec_lo, s3
	v_or_b32_e32 v28, 0x800, v0
	s_delay_alu instid0(VALU_DEP_1)
	v_cmp_gt_i32_e32 vcc_lo, s8, v28
                                        ; implicit-def: $vgpr28
	s_and_saveexec_b32 s3, vcc_lo
	s_cbranch_execz .LBB129_128
; %bb.124:
	v_cmp_ne_u32_e32 vcc_lo, 1, v63
	s_cbranch_vccnz .LBB129_220
; %bb.125:
	s_wait_loadcnt 0x0
	v_cmp_neq_f32_e32 vcc_lo, v32, v34
	v_cmp_neq_f32_e64 s1, v33, v35
	s_or_b32 s6, vcc_lo, s1
	s_cbranch_execnz .LBB129_127
.LBB129_126:
	s_wait_loadcnt 0x0
	v_cmp_eq_f32_e32 vcc_lo, v32, v34
	v_cmp_eq_f32_e64 s1, v33, v35
	s_and_not1_b32 s6, s6, exec_lo
	s_and_b32 s1, vcc_lo, s1
	s_delay_alu instid0(SALU_CYCLE_1) | instskip(NEXT) | instid1(SALU_CYCLE_1)
	s_and_b32 s1, s1, exec_lo
	s_or_b32 s6, s6, s1
.LBB129_127:
	s_delay_alu instid0(SALU_CYCLE_1)
	v_cndmask_b32_e64 v28, 0, 1, s6
.LBB129_128:
	s_or_b32 exec_lo, exec_lo, s3
	v_or_b32_e32 v29, 0x900, v0
	s_delay_alu instid0(VALU_DEP_1)
	v_cmp_gt_i32_e32 vcc_lo, s8, v29
                                        ; implicit-def: $vgpr29
	s_and_saveexec_b32 s3, vcc_lo
	s_cbranch_execz .LBB129_133
; %bb.129:
	v_cmp_ne_u32_e32 vcc_lo, 1, v63
	s_cbranch_vccnz .LBB129_221
; %bb.130:
	s_wait_loadcnt 0x0
	v_cmp_neq_f32_e32 vcc_lo, v20, v30
	v_cmp_neq_f32_e64 s1, v21, v31
	s_or_b32 s6, vcc_lo, s1
	s_cbranch_execnz .LBB129_132
.LBB129_131:
	s_wait_loadcnt 0x0
	v_cmp_eq_f32_e32 vcc_lo, v20, v30
	v_cmp_eq_f32_e64 s1, v21, v31
	s_and_not1_b32 s6, s6, exec_lo
	s_and_b32 s1, vcc_lo, s1
	s_delay_alu instid0(SALU_CYCLE_1) | instskip(NEXT) | instid1(SALU_CYCLE_1)
	s_and_b32 s1, s1, exec_lo
	s_or_b32 s6, s6, s1
.LBB129_132:
	s_delay_alu instid0(SALU_CYCLE_1)
	v_cndmask_b32_e64 v29, 0, 1, s6
.LBB129_133:
	s_or_b32 exec_lo, exec_lo, s3
	s_wait_loadcnt 0x1
	v_or_b32_e32 v20, 0xa00, v0
	s_delay_alu instid0(VALU_DEP_1)
	v_cmp_gt_i32_e32 vcc_lo, s8, v20
                                        ; implicit-def: $vgpr20
	s_and_saveexec_b32 s3, vcc_lo
	s_cbranch_execz .LBB129_138
; %bb.134:
	v_cmp_ne_u32_e32 vcc_lo, 1, v63
	s_cbranch_vccnz .LBB129_222
; %bb.135:
	s_wait_loadcnt 0x0
	v_cmp_neq_f32_e32 vcc_lo, v24, v26
	v_cmp_neq_f32_e64 s1, v25, v27
	s_or_b32 s6, vcc_lo, s1
	s_cbranch_execnz .LBB129_137
.LBB129_136:
	s_wait_loadcnt 0x0
	v_cmp_eq_f32_e32 vcc_lo, v24, v26
	v_cmp_eq_f32_e64 s1, v25, v27
	s_and_not1_b32 s6, s6, exec_lo
	s_and_b32 s1, vcc_lo, s1
	s_delay_alu instid0(SALU_CYCLE_1) | instskip(NEXT) | instid1(SALU_CYCLE_1)
	s_and_b32 s1, s1, exec_lo
	s_or_b32 s6, s6, s1
.LBB129_137:
	s_delay_alu instid0(SALU_CYCLE_1)
	v_cndmask_b32_e64 v20, 0, 1, s6
.LBB129_138:
	s_or_b32 exec_lo, exec_lo, s3
	v_or_b32_e32 v21, 0xb00, v0
	s_delay_alu instid0(VALU_DEP_1)
	v_cmp_gt_i32_e32 vcc_lo, s8, v21
                                        ; implicit-def: $vgpr21
	s_and_saveexec_b32 s3, vcc_lo
	s_cbranch_execz .LBB129_143
; %bb.139:
	v_cmp_ne_u32_e32 vcc_lo, 1, v63
	s_cbranch_vccnz .LBB129_223
; %bb.140:
	s_wait_loadcnt 0x0
	v_cmp_neq_f32_e32 vcc_lo, v12, v22
	v_cmp_neq_f32_e64 s1, v13, v23
	s_or_b32 s6, vcc_lo, s1
	s_cbranch_execnz .LBB129_142
.LBB129_141:
	s_wait_loadcnt 0x0
	v_cmp_eq_f32_e32 vcc_lo, v12, v22
	v_cmp_eq_f32_e64 s1, v13, v23
	s_and_not1_b32 s6, s6, exec_lo
	s_and_b32 s1, vcc_lo, s1
	s_delay_alu instid0(SALU_CYCLE_1) | instskip(NEXT) | instid1(SALU_CYCLE_1)
	s_and_b32 s1, s1, exec_lo
	s_or_b32 s6, s6, s1
.LBB129_142:
	s_delay_alu instid0(SALU_CYCLE_1)
	v_cndmask_b32_e64 v21, 0, 1, s6
.LBB129_143:
	s_or_b32 exec_lo, exec_lo, s3
	v_or_b32_e32 v12, 0xc00, v0
	s_delay_alu instid0(VALU_DEP_1)
	v_cmp_gt_i32_e32 vcc_lo, s8, v12
                                        ; implicit-def: $vgpr12
	s_and_saveexec_b32 s3, vcc_lo
	s_cbranch_execz .LBB129_148
; %bb.144:
	v_cmp_ne_u32_e32 vcc_lo, 1, v63
	s_cbranch_vccnz .LBB129_224
; %bb.145:
	s_wait_loadcnt 0x0
	v_cmp_neq_f32_e32 vcc_lo, v16, v18
	v_cmp_neq_f32_e64 s1, v17, v19
	s_or_b32 s6, vcc_lo, s1
	s_cbranch_execnz .LBB129_147
.LBB129_146:
	s_wait_loadcnt 0x0
	v_cmp_eq_f32_e32 vcc_lo, v16, v18
	v_cmp_eq_f32_e64 s1, v17, v19
	s_and_not1_b32 s6, s6, exec_lo
	s_and_b32 s1, vcc_lo, s1
	s_delay_alu instid0(SALU_CYCLE_1) | instskip(NEXT) | instid1(SALU_CYCLE_1)
	s_and_b32 s1, s1, exec_lo
	s_or_b32 s6, s6, s1
.LBB129_147:
	s_delay_alu instid0(SALU_CYCLE_1)
	v_cndmask_b32_e64 v12, 0, 1, s6
.LBB129_148:
	s_or_b32 exec_lo, exec_lo, s3
	v_or_b32_e32 v13, 0xd00, v0
	s_delay_alu instid0(VALU_DEP_1)
	v_cmp_gt_i32_e32 vcc_lo, s8, v13
                                        ; implicit-def: $vgpr13
	s_and_saveexec_b32 s3, vcc_lo
	s_cbranch_execz .LBB129_153
; %bb.149:
	v_cmp_ne_u32_e32 vcc_lo, 1, v63
	s_cbranch_vccnz .LBB129_225
; %bb.150:
	s_wait_loadcnt 0x0
	v_cmp_neq_f32_e32 vcc_lo, v4, v14
	v_cmp_neq_f32_e64 s1, v5, v15
	s_or_b32 s6, vcc_lo, s1
	s_cbranch_execnz .LBB129_152
.LBB129_151:
	s_wait_loadcnt 0x0
	v_cmp_eq_f32_e32 vcc_lo, v4, v14
	v_cmp_eq_f32_e64 s1, v5, v15
	s_and_not1_b32 s6, s6, exec_lo
	s_and_b32 s1, vcc_lo, s1
	s_delay_alu instid0(SALU_CYCLE_1) | instskip(NEXT) | instid1(SALU_CYCLE_1)
	s_and_b32 s1, s1, exec_lo
	s_or_b32 s6, s6, s1
.LBB129_152:
	s_delay_alu instid0(SALU_CYCLE_1)
	v_cndmask_b32_e64 v13, 0, 1, s6
.LBB129_153:
	s_or_b32 exec_lo, exec_lo, s3
	v_or_b32_e32 v4, 0xe00, v0
	s_delay_alu instid0(VALU_DEP_1)
	v_cmp_gt_i32_e32 vcc_lo, s8, v4
                                        ; implicit-def: $vgpr4
	s_and_saveexec_b32 s3, vcc_lo
	s_cbranch_execz .LBB129_158
; %bb.154:
	v_cmp_ne_u32_e32 vcc_lo, 1, v63
	s_cbranch_vccnz .LBB129_226
; %bb.155:
	s_wait_loadcnt 0x0
	v_cmp_neq_f32_e32 vcc_lo, v8, v10
	v_cmp_neq_f32_e64 s1, v9, v11
	s_or_b32 s6, vcc_lo, s1
	s_cbranch_execnz .LBB129_157
.LBB129_156:
	s_wait_loadcnt 0x0
	v_cmp_eq_f32_e32 vcc_lo, v8, v10
	v_cmp_eq_f32_e64 s1, v9, v11
	s_and_not1_b32 s6, s6, exec_lo
	s_and_b32 s1, vcc_lo, s1
	s_delay_alu instid0(SALU_CYCLE_1) | instskip(NEXT) | instid1(SALU_CYCLE_1)
	s_and_b32 s1, s1, exec_lo
	s_or_b32 s6, s6, s1
.LBB129_157:
	s_delay_alu instid0(SALU_CYCLE_1)
	v_cndmask_b32_e64 v4, 0, 1, s6
.LBB129_158:
	s_or_b32 exec_lo, exec_lo, s3
	v_or_b32_e32 v5, 0xf00, v0
	s_delay_alu instid0(VALU_DEP_1)
	v_cmp_gt_i32_e32 vcc_lo, s8, v5
                                        ; implicit-def: $vgpr5
	s_and_saveexec_b32 s3, vcc_lo
	s_cbranch_execz .LBB129_163
; %bb.159:
	v_cmp_ne_u32_e32 vcc_lo, 1, v63
	s_cbranch_vccnz .LBB129_227
; %bb.160:
	s_wait_loadcnt 0x0
	v_cmp_neq_f32_e32 vcc_lo, v2, v6
	v_cmp_neq_f32_e64 s1, v3, v7
	s_or_b32 s6, vcc_lo, s1
	s_cbranch_execnz .LBB129_162
.LBB129_161:
	s_wait_loadcnt 0x0
	v_cmp_eq_f32_e32 vcc_lo, v2, v6
	v_cmp_eq_f32_e64 s1, v3, v7
	s_and_not1_b32 s6, s6, exec_lo
	s_and_b32 s1, vcc_lo, s1
	s_delay_alu instid0(SALU_CYCLE_1) | instskip(NEXT) | instid1(SALU_CYCLE_1)
	s_and_b32 s1, s1, exec_lo
	s_or_b32 s6, s6, s1
.LBB129_162:
	s_delay_alu instid0(SALU_CYCLE_1)
	v_cndmask_b32_e64 v5, 0, 1, s6
.LBB129_163:
	s_or_b32 exec_lo, exec_lo, s3
	s_and_saveexec_b32 s1, s0
	s_delay_alu instid0(SALU_CYCLE_1)
	s_xor_b32 s0, exec_lo, s1
	s_cbranch_execz .LBB129_165
; %bb.164:
	v_mov_b32_e32 v0, v66
	global_store_b8 v1, v67, s[4:5]
.LBB129_165:
	s_wait_xcnt 0x0
	s_or_b32 exec_lo, exec_lo, s0
	s_delay_alu instid0(SALU_CYCLE_1)
	s_mov_b32 s0, exec_lo
	v_cmpx_gt_i32_e64 s8, v0
	s_cbranch_execnz .LBB129_181
; %bb.166:
	s_or_b32 exec_lo, exec_lo, s0
	s_delay_alu instid0(SALU_CYCLE_1)
	s_mov_b32 s0, exec_lo
	v_cmpx_gt_i32_e64 s8, v0
	s_cbranch_execnz .LBB129_182
.LBB129_167:
	s_or_b32 exec_lo, exec_lo, s0
	s_delay_alu instid0(SALU_CYCLE_1)
	s_mov_b32 s0, exec_lo
	v_cmpx_gt_i32_e64 s8, v0
	s_cbranch_execnz .LBB129_183
.LBB129_168:
	s_or_b32 exec_lo, exec_lo, s0
	s_delay_alu instid0(SALU_CYCLE_1)
	s_mov_b32 s0, exec_lo
	v_cmpx_gt_i32_e64 s8, v0
	s_cbranch_execnz .LBB129_184
.LBB129_169:
	s_or_b32 exec_lo, exec_lo, s0
	s_delay_alu instid0(SALU_CYCLE_1)
	s_mov_b32 s0, exec_lo
	v_cmpx_gt_i32_e64 s8, v0
	s_cbranch_execnz .LBB129_185
.LBB129_170:
	s_or_b32 exec_lo, exec_lo, s0
	s_delay_alu instid0(SALU_CYCLE_1)
	s_mov_b32 s0, exec_lo
	v_cmpx_gt_i32_e64 s8, v0
	s_cbranch_execnz .LBB129_186
.LBB129_171:
	s_or_b32 exec_lo, exec_lo, s0
	s_delay_alu instid0(SALU_CYCLE_1)
	s_mov_b32 s0, exec_lo
	v_cmpx_gt_i32_e64 s8, v0
	s_cbranch_execnz .LBB129_187
.LBB129_172:
	s_or_b32 exec_lo, exec_lo, s0
	s_delay_alu instid0(SALU_CYCLE_1)
	s_mov_b32 s0, exec_lo
	v_cmpx_gt_i32_e64 s8, v0
	s_cbranch_execnz .LBB129_188
.LBB129_173:
	s_or_b32 exec_lo, exec_lo, s0
	s_delay_alu instid0(SALU_CYCLE_1)
	s_mov_b32 s0, exec_lo
	v_cmpx_gt_i32_e64 s8, v0
	s_cbranch_execnz .LBB129_189
.LBB129_174:
	s_or_b32 exec_lo, exec_lo, s0
	s_delay_alu instid0(SALU_CYCLE_1)
	s_mov_b32 s0, exec_lo
	v_cmpx_gt_i32_e64 s8, v0
	s_cbranch_execnz .LBB129_190
.LBB129_175:
	s_or_b32 exec_lo, exec_lo, s0
	s_delay_alu instid0(SALU_CYCLE_1)
	s_mov_b32 s0, exec_lo
	v_cmpx_gt_i32_e64 s8, v0
	s_cbranch_execnz .LBB129_191
.LBB129_176:
	s_or_b32 exec_lo, exec_lo, s0
	s_delay_alu instid0(SALU_CYCLE_1)
	s_mov_b32 s0, exec_lo
	v_cmpx_gt_i32_e64 s8, v0
	s_cbranch_execnz .LBB129_192
.LBB129_177:
	s_or_b32 exec_lo, exec_lo, s0
	s_delay_alu instid0(SALU_CYCLE_1)
	s_mov_b32 s0, exec_lo
	v_cmpx_gt_i32_e64 s8, v0
	s_cbranch_execnz .LBB129_193
.LBB129_178:
	s_or_b32 exec_lo, exec_lo, s0
	s_delay_alu instid0(SALU_CYCLE_1)
	s_mov_b32 s0, exec_lo
	v_cmpx_gt_i32_e64 s8, v0
	s_cbranch_execnz .LBB129_194
.LBB129_179:
	s_or_b32 exec_lo, exec_lo, s0
	s_delay_alu instid0(SALU_CYCLE_1)
	s_mov_b32 s0, exec_lo
	v_cmpx_gt_i32_e64 s8, v0
	s_cbranch_execz .LBB129_195
.LBB129_180:
	v_add_nc_u32_e32 v0, s2, v0
	global_store_b8 v0, v5, s[4:5]
	s_sendmsg sendmsg(MSG_DEALLOC_VGPRS)
	s_endpgm
.LBB129_181:
	v_add_nc_u32_e32 v1, s2, v0
	v_add_nc_u32_e32 v0, 0x100, v0
	global_store_b8 v1, v62, s[4:5]
	s_wait_xcnt 0x0
	s_or_b32 exec_lo, exec_lo, s0
	s_delay_alu instid0(SALU_CYCLE_1)
	s_mov_b32 s0, exec_lo
	v_cmpx_gt_i32_e64 s8, v0
	s_cbranch_execz .LBB129_167
.LBB129_182:
	v_add_nc_u32_e32 v1, s2, v0
	v_add_nc_u32_e32 v0, 0x100, v0
	global_store_b8 v1, v52, s[4:5]
	s_wait_xcnt 0x0
	s_or_b32 exec_lo, exec_lo, s0
	s_delay_alu instid0(SALU_CYCLE_1)
	s_mov_b32 s0, exec_lo
	v_cmpx_gt_i32_e64 s8, v0
	s_cbranch_execz .LBB129_168
.LBB129_183:
	v_add_nc_u32_e32 v1, s2, v0
	v_add_nc_u32_e32 v0, 0x100, v0
	global_store_b8 v1, v53, s[4:5]
	s_wait_xcnt 0x0
	s_or_b32 exec_lo, exec_lo, s0
	s_delay_alu instid0(SALU_CYCLE_1)
	s_mov_b32 s0, exec_lo
	v_cmpx_gt_i32_e64 s8, v0
	s_cbranch_execz .LBB129_169
.LBB129_184:
	v_add_nc_u32_e32 v1, s2, v0
	v_add_nc_u32_e32 v0, 0x100, v0
	global_store_b8 v1, v44, s[4:5]
	s_wait_xcnt 0x0
	s_or_b32 exec_lo, exec_lo, s0
	s_delay_alu instid0(SALU_CYCLE_1)
	s_mov_b32 s0, exec_lo
	v_cmpx_gt_i32_e64 s8, v0
	s_cbranch_execz .LBB129_170
.LBB129_185:
	v_add_nc_u32_e32 v1, s2, v0
	v_add_nc_u32_e32 v0, 0x100, v0
	global_store_b8 v1, v45, s[4:5]
	s_wait_xcnt 0x0
	s_or_b32 exec_lo, exec_lo, s0
	s_delay_alu instid0(SALU_CYCLE_1)
	s_mov_b32 s0, exec_lo
	v_cmpx_gt_i32_e64 s8, v0
	s_cbranch_execz .LBB129_171
.LBB129_186:
	v_add_nc_u32_e32 v1, s2, v0
	v_add_nc_u32_e32 v0, 0x100, v0
	global_store_b8 v1, v36, s[4:5]
	s_wait_xcnt 0x0
	s_or_b32 exec_lo, exec_lo, s0
	s_delay_alu instid0(SALU_CYCLE_1)
	s_mov_b32 s0, exec_lo
	v_cmpx_gt_i32_e64 s8, v0
	s_cbranch_execz .LBB129_172
.LBB129_187:
	v_add_nc_u32_e32 v1, s2, v0
	v_add_nc_u32_e32 v0, 0x100, v0
	global_store_b8 v1, v37, s[4:5]
	s_wait_xcnt 0x0
	s_or_b32 exec_lo, exec_lo, s0
	s_delay_alu instid0(SALU_CYCLE_1)
	s_mov_b32 s0, exec_lo
	v_cmpx_gt_i32_e64 s8, v0
	s_cbranch_execz .LBB129_173
.LBB129_188:
	v_add_nc_u32_e32 v1, s2, v0
	v_add_nc_u32_e32 v0, 0x100, v0
	global_store_b8 v1, v28, s[4:5]
	s_wait_xcnt 0x0
	s_or_b32 exec_lo, exec_lo, s0
	s_delay_alu instid0(SALU_CYCLE_1)
	s_mov_b32 s0, exec_lo
	v_cmpx_gt_i32_e64 s8, v0
	s_cbranch_execz .LBB129_174
.LBB129_189:
	v_add_nc_u32_e32 v1, s2, v0
	v_add_nc_u32_e32 v0, 0x100, v0
	global_store_b8 v1, v29, s[4:5]
	s_wait_xcnt 0x0
	s_or_b32 exec_lo, exec_lo, s0
	s_delay_alu instid0(SALU_CYCLE_1)
	s_mov_b32 s0, exec_lo
	v_cmpx_gt_i32_e64 s8, v0
	s_cbranch_execz .LBB129_175
.LBB129_190:
	v_add_nc_u32_e32 v1, s2, v0
	v_add_nc_u32_e32 v0, 0x100, v0
	global_store_b8 v1, v20, s[4:5]
	s_wait_xcnt 0x0
	s_or_b32 exec_lo, exec_lo, s0
	s_delay_alu instid0(SALU_CYCLE_1)
	s_mov_b32 s0, exec_lo
	v_cmpx_gt_i32_e64 s8, v0
	s_cbranch_execz .LBB129_176
.LBB129_191:
	v_add_nc_u32_e32 v1, s2, v0
	v_add_nc_u32_e32 v0, 0x100, v0
	global_store_b8 v1, v21, s[4:5]
	s_wait_xcnt 0x0
	s_or_b32 exec_lo, exec_lo, s0
	s_delay_alu instid0(SALU_CYCLE_1)
	s_mov_b32 s0, exec_lo
	v_cmpx_gt_i32_e64 s8, v0
	s_cbranch_execz .LBB129_177
.LBB129_192:
	v_add_nc_u32_e32 v1, s2, v0
	v_add_nc_u32_e32 v0, 0x100, v0
	global_store_b8 v1, v12, s[4:5]
	s_wait_xcnt 0x0
	s_or_b32 exec_lo, exec_lo, s0
	s_delay_alu instid0(SALU_CYCLE_1)
	s_mov_b32 s0, exec_lo
	v_cmpx_gt_i32_e64 s8, v0
	s_cbranch_execz .LBB129_178
.LBB129_193:
	v_add_nc_u32_e32 v1, s2, v0
	v_add_nc_u32_e32 v0, 0x100, v0
	global_store_b8 v1, v13, s[4:5]
	s_wait_xcnt 0x0
	s_or_b32 exec_lo, exec_lo, s0
	s_delay_alu instid0(SALU_CYCLE_1)
	s_mov_b32 s0, exec_lo
	v_cmpx_gt_i32_e64 s8, v0
	s_cbranch_execz .LBB129_179
.LBB129_194:
	v_add_nc_u32_e32 v1, s2, v0
	v_add_nc_u32_e32 v0, 0x100, v0
	global_store_b8 v1, v4, s[4:5]
	s_wait_xcnt 0x0
	s_or_b32 exec_lo, exec_lo, s0
	s_delay_alu instid0(SALU_CYCLE_1)
	s_mov_b32 s0, exec_lo
	v_cmpx_gt_i32_e64 s8, v0
	s_cbranch_execnz .LBB129_180
.LBB129_195:
	s_sendmsg sendmsg(MSG_DEALLOC_VGPRS)
	s_endpgm
.LBB129_196:
	s_wait_xcnt 0x0
                                        ; implicit-def: $sgpr1
	s_branch .LBB129_3
.LBB129_197:
                                        ; implicit-def: $sgpr12
	s_branch .LBB129_6
.LBB129_198:
                                        ; implicit-def: $sgpr13
	s_branch .LBB129_9
.LBB129_199:
                                        ; implicit-def: $sgpr14
	s_branch .LBB129_12
.LBB129_200:
                                        ; implicit-def: $sgpr15
	s_branch .LBB129_15
.LBB129_201:
                                        ; implicit-def: $sgpr16
	s_branch .LBB129_18
.LBB129_202:
                                        ; implicit-def: $sgpr17
	s_branch .LBB129_21
.LBB129_203:
                                        ; implicit-def: $sgpr18
	s_branch .LBB129_24
.LBB129_204:
                                        ; implicit-def: $sgpr19
	s_branch .LBB129_27
.LBB129_205:
                                        ; implicit-def: $sgpr20
	s_branch .LBB129_30
.LBB129_206:
                                        ; implicit-def: $sgpr21
	s_branch .LBB129_33
.LBB129_207:
                                        ; implicit-def: $sgpr22
	s_branch .LBB129_36
.LBB129_208:
                                        ; implicit-def: $sgpr23
	s_branch .LBB129_39
.LBB129_209:
                                        ; implicit-def: $sgpr24
	s_branch .LBB129_42
.LBB129_210:
                                        ; implicit-def: $sgpr25
	s_branch .LBB129_45
.LBB129_211:
                                        ; implicit-def: $sgpr26
	s_branch .LBB129_48
.LBB129_212:
                                        ; implicit-def: $sgpr7
	s_branch .LBB129_86
.LBB129_213:
                                        ; implicit-def: $sgpr3
	s_branch .LBB129_91
.LBB129_214:
                                        ; implicit-def: $sgpr6
	s_branch .LBB129_96
.LBB129_215:
                                        ; implicit-def: $sgpr6
	s_branch .LBB129_101
.LBB129_216:
                                        ; implicit-def: $sgpr6
	s_branch .LBB129_106
.LBB129_217:
                                        ; implicit-def: $sgpr6
	s_branch .LBB129_111
.LBB129_218:
                                        ; implicit-def: $sgpr6
	s_branch .LBB129_116
.LBB129_219:
                                        ; implicit-def: $sgpr6
	s_branch .LBB129_121
.LBB129_220:
                                        ; implicit-def: $sgpr6
	s_branch .LBB129_126
.LBB129_221:
                                        ; implicit-def: $sgpr6
	s_branch .LBB129_131
.LBB129_222:
                                        ; implicit-def: $sgpr6
	s_branch .LBB129_136
.LBB129_223:
                                        ; implicit-def: $sgpr6
	s_branch .LBB129_141
.LBB129_224:
                                        ; implicit-def: $sgpr6
	s_branch .LBB129_146
.LBB129_225:
                                        ; implicit-def: $sgpr6
	s_branch .LBB129_151
.LBB129_226:
                                        ; implicit-def: $sgpr6
	s_branch .LBB129_156
.LBB129_227:
                                        ; implicit-def: $sgpr6
	s_branch .LBB129_161
	.section	.rodata,"a",@progbits
	.p2align	6, 0x0
	.amdhsa_kernel _ZN2at6native29vectorized_elementwise_kernelILi8ENS0_13BinaryFunctorIN3c107complexIfEES5_bNS0_12_GLOBAL__N_116CompareEqFunctorIS5_EEEESt5arrayIPcLm3EEEEviT0_T1_
		.amdhsa_group_segment_fixed_size 0
		.amdhsa_private_segment_fixed_size 0
		.amdhsa_kernarg_size 32
		.amdhsa_user_sgpr_count 2
		.amdhsa_user_sgpr_dispatch_ptr 0
		.amdhsa_user_sgpr_queue_ptr 0
		.amdhsa_user_sgpr_kernarg_segment_ptr 1
		.amdhsa_user_sgpr_dispatch_id 0
		.amdhsa_user_sgpr_kernarg_preload_length 0
		.amdhsa_user_sgpr_kernarg_preload_offset 0
		.amdhsa_user_sgpr_private_segment_size 0
		.amdhsa_wavefront_size32 1
		.amdhsa_uses_dynamic_stack 0
		.amdhsa_enable_private_segment 0
		.amdhsa_system_sgpr_workgroup_id_x 1
		.amdhsa_system_sgpr_workgroup_id_y 0
		.amdhsa_system_sgpr_workgroup_id_z 0
		.amdhsa_system_sgpr_workgroup_info 0
		.amdhsa_system_vgpr_workitem_id 0
		.amdhsa_next_free_vgpr 68
		.amdhsa_next_free_sgpr 27
		.amdhsa_named_barrier_count 0
		.amdhsa_reserve_vcc 1
		.amdhsa_float_round_mode_32 0
		.amdhsa_float_round_mode_16_64 0
		.amdhsa_float_denorm_mode_32 3
		.amdhsa_float_denorm_mode_16_64 3
		.amdhsa_fp16_overflow 0
		.amdhsa_memory_ordered 1
		.amdhsa_forward_progress 1
		.amdhsa_inst_pref_size 48
		.amdhsa_round_robin_scheduling 0
		.amdhsa_exception_fp_ieee_invalid_op 0
		.amdhsa_exception_fp_denorm_src 0
		.amdhsa_exception_fp_ieee_div_zero 0
		.amdhsa_exception_fp_ieee_overflow 0
		.amdhsa_exception_fp_ieee_underflow 0
		.amdhsa_exception_fp_ieee_inexact 0
		.amdhsa_exception_int_div_zero 0
	.end_amdhsa_kernel
	.section	.text._ZN2at6native29vectorized_elementwise_kernelILi8ENS0_13BinaryFunctorIN3c107complexIfEES5_bNS0_12_GLOBAL__N_116CompareEqFunctorIS5_EEEESt5arrayIPcLm3EEEEviT0_T1_,"axG",@progbits,_ZN2at6native29vectorized_elementwise_kernelILi8ENS0_13BinaryFunctorIN3c107complexIfEES5_bNS0_12_GLOBAL__N_116CompareEqFunctorIS5_EEEESt5arrayIPcLm3EEEEviT0_T1_,comdat
.Lfunc_end129:
	.size	_ZN2at6native29vectorized_elementwise_kernelILi8ENS0_13BinaryFunctorIN3c107complexIfEES5_bNS0_12_GLOBAL__N_116CompareEqFunctorIS5_EEEESt5arrayIPcLm3EEEEviT0_T1_, .Lfunc_end129-_ZN2at6native29vectorized_elementwise_kernelILi8ENS0_13BinaryFunctorIN3c107complexIfEES5_bNS0_12_GLOBAL__N_116CompareEqFunctorIS5_EEEESt5arrayIPcLm3EEEEviT0_T1_
                                        ; -- End function
	.set _ZN2at6native29vectorized_elementwise_kernelILi8ENS0_13BinaryFunctorIN3c107complexIfEES5_bNS0_12_GLOBAL__N_116CompareEqFunctorIS5_EEEESt5arrayIPcLm3EEEEviT0_T1_.num_vgpr, 68
	.set _ZN2at6native29vectorized_elementwise_kernelILi8ENS0_13BinaryFunctorIN3c107complexIfEES5_bNS0_12_GLOBAL__N_116CompareEqFunctorIS5_EEEESt5arrayIPcLm3EEEEviT0_T1_.num_agpr, 0
	.set _ZN2at6native29vectorized_elementwise_kernelILi8ENS0_13BinaryFunctorIN3c107complexIfEES5_bNS0_12_GLOBAL__N_116CompareEqFunctorIS5_EEEESt5arrayIPcLm3EEEEviT0_T1_.numbered_sgpr, 27
	.set _ZN2at6native29vectorized_elementwise_kernelILi8ENS0_13BinaryFunctorIN3c107complexIfEES5_bNS0_12_GLOBAL__N_116CompareEqFunctorIS5_EEEESt5arrayIPcLm3EEEEviT0_T1_.num_named_barrier, 0
	.set _ZN2at6native29vectorized_elementwise_kernelILi8ENS0_13BinaryFunctorIN3c107complexIfEES5_bNS0_12_GLOBAL__N_116CompareEqFunctorIS5_EEEESt5arrayIPcLm3EEEEviT0_T1_.private_seg_size, 0
	.set _ZN2at6native29vectorized_elementwise_kernelILi8ENS0_13BinaryFunctorIN3c107complexIfEES5_bNS0_12_GLOBAL__N_116CompareEqFunctorIS5_EEEESt5arrayIPcLm3EEEEviT0_T1_.uses_vcc, 1
	.set _ZN2at6native29vectorized_elementwise_kernelILi8ENS0_13BinaryFunctorIN3c107complexIfEES5_bNS0_12_GLOBAL__N_116CompareEqFunctorIS5_EEEESt5arrayIPcLm3EEEEviT0_T1_.uses_flat_scratch, 0
	.set _ZN2at6native29vectorized_elementwise_kernelILi8ENS0_13BinaryFunctorIN3c107complexIfEES5_bNS0_12_GLOBAL__N_116CompareEqFunctorIS5_EEEESt5arrayIPcLm3EEEEviT0_T1_.has_dyn_sized_stack, 0
	.set _ZN2at6native29vectorized_elementwise_kernelILi8ENS0_13BinaryFunctorIN3c107complexIfEES5_bNS0_12_GLOBAL__N_116CompareEqFunctorIS5_EEEESt5arrayIPcLm3EEEEviT0_T1_.has_recursion, 0
	.set _ZN2at6native29vectorized_elementwise_kernelILi8ENS0_13BinaryFunctorIN3c107complexIfEES5_bNS0_12_GLOBAL__N_116CompareEqFunctorIS5_EEEESt5arrayIPcLm3EEEEviT0_T1_.has_indirect_call, 0
	.section	.AMDGPU.csdata,"",@progbits
; Kernel info:
; codeLenInByte = 6032
; TotalNumSgprs: 29
; NumVgprs: 68
; ScratchSize: 0
; MemoryBound: 1
; FloatMode: 240
; IeeeMode: 1
; LDSByteSize: 0 bytes/workgroup (compile time only)
; SGPRBlocks: 0
; VGPRBlocks: 4
; NumSGPRsForWavesPerEU: 29
; NumVGPRsForWavesPerEU: 68
; NamedBarCnt: 0
; Occupancy: 12
; WaveLimiterHint : 1
; COMPUTE_PGM_RSRC2:SCRATCH_EN: 0
; COMPUTE_PGM_RSRC2:USER_SGPR: 2
; COMPUTE_PGM_RSRC2:TRAP_HANDLER: 0
; COMPUTE_PGM_RSRC2:TGID_X_EN: 1
; COMPUTE_PGM_RSRC2:TGID_Y_EN: 0
; COMPUTE_PGM_RSRC2:TGID_Z_EN: 0
; COMPUTE_PGM_RSRC2:TIDIG_COMP_CNT: 0
	.section	.text._ZN2at6native29vectorized_elementwise_kernelILi4ENS0_13BinaryFunctorIN3c107complexIfEES5_bNS0_12_GLOBAL__N_116CompareEqFunctorIS5_EEEESt5arrayIPcLm3EEEEviT0_T1_,"axG",@progbits,_ZN2at6native29vectorized_elementwise_kernelILi4ENS0_13BinaryFunctorIN3c107complexIfEES5_bNS0_12_GLOBAL__N_116CompareEqFunctorIS5_EEEESt5arrayIPcLm3EEEEviT0_T1_,comdat
	.globl	_ZN2at6native29vectorized_elementwise_kernelILi4ENS0_13BinaryFunctorIN3c107complexIfEES5_bNS0_12_GLOBAL__N_116CompareEqFunctorIS5_EEEESt5arrayIPcLm3EEEEviT0_T1_ ; -- Begin function _ZN2at6native29vectorized_elementwise_kernelILi4ENS0_13BinaryFunctorIN3c107complexIfEES5_bNS0_12_GLOBAL__N_116CompareEqFunctorIS5_EEEESt5arrayIPcLm3EEEEviT0_T1_
	.p2align	8
	.type	_ZN2at6native29vectorized_elementwise_kernelILi4ENS0_13BinaryFunctorIN3c107complexIfEES5_bNS0_12_GLOBAL__N_116CompareEqFunctorIS5_EEEESt5arrayIPcLm3EEEEviT0_T1_,@function
_ZN2at6native29vectorized_elementwise_kernelILi4ENS0_13BinaryFunctorIN3c107complexIfEES5_bNS0_12_GLOBAL__N_116CompareEqFunctorIS5_EEEESt5arrayIPcLm3EEEEviT0_T1_: ; @_ZN2at6native29vectorized_elementwise_kernelILi4ENS0_13BinaryFunctorIN3c107complexIfEES5_bNS0_12_GLOBAL__N_116CompareEqFunctorIS5_EEEESt5arrayIPcLm3EEEEviT0_T1_
; %bb.0:
	s_clause 0x2
	s_load_b64 s[8:9], s[0:1], 0x0
	s_load_b128 s[4:7], s[0:1], 0x8
	s_load_b64 s[10:11], s[0:1], 0x18
	s_wait_xcnt 0x0
	s_bfe_u32 s0, ttmp6, 0x4000c
	s_and_b32 s1, ttmp6, 15
	s_add_co_i32 s0, s0, 1
	s_getreg_b32 s2, hwreg(HW_REG_IB_STS2, 6, 4)
	s_mul_i32 s0, ttmp9, s0
	s_delay_alu instid0(SALU_CYCLE_1) | instskip(SKIP_2) | instid1(SALU_CYCLE_1)
	s_add_co_i32 s1, s1, s0
	s_cmp_eq_u32 s2, 0
	s_cselect_b32 s0, ttmp9, s1
	s_lshl_b32 s2, s0, 12
	s_mov_b32 s0, -1
	s_wait_kmcnt 0x0
	s_sub_co_i32 s8, s8, s2
	s_delay_alu instid0(SALU_CYCLE_1)
	s_cmp_gt_i32 s8, 0xfff
	s_cbranch_scc0 .LBB130_50
; %bb.1:
	s_ashr_i32 s3, s2, 31
	v_lshlrev_b32_e32 v1, 5, v0
	s_lshl_b64 s[0:1], s[2:3], 3
	s_cmp_lg_u32 s9, 0
	s_add_nc_u64 s[12:13], s[6:7], s[0:1]
	s_add_nc_u64 s[0:1], s[10:11], s[0:1]
	s_clause 0xf
	global_load_b128 v[50:53], v1, s[12:13] offset:16
	global_load_b128 v[58:61], v1, s[12:13]
	global_load_b128 v[34:37], v1, s[12:13] offset:8208
	global_load_b128 v[42:45], v1, s[12:13] offset:8192
	;; [unrolled: 1-line block ×7, first 2 shown]
	global_load_b128 v[62:65], v1, s[0:1]
	global_load_b128 v[38:41], v1, s[0:1] offset:8208
	global_load_b128 v[46:49], v1, s[0:1] offset:8192
	;; [unrolled: 1-line block ×6, first 2 shown]
	s_wait_xcnt 0x8
	s_cselect_b32 s12, -1, 0
	s_delay_alu instid0(SALU_CYCLE_1)
	s_and_b32 vcc_lo, exec_lo, s12
	s_cbranch_vccz .LBB130_196
; %bb.2:
	s_wait_loadcnt 0x6
	v_cmp_neq_f32_e32 vcc_lo, v58, v62
	s_wait_xcnt 0x0
	v_cmp_neq_f32_e64 s0, v59, v63
	s_or_b32 s1, vcc_lo, s0
	s_cbranch_execnz .LBB130_4
.LBB130_3:
	s_wait_loadcnt 0x6
	v_cmp_eq_f32_e32 vcc_lo, v58, v62
	v_cmp_eq_f32_e64 s0, v59, v63
	s_and_not1_b32 s1, s1, exec_lo
	s_and_b32 s0, vcc_lo, s0
	s_delay_alu instid0(SALU_CYCLE_1) | instskip(NEXT) | instid1(SALU_CYCLE_1)
	s_and_b32 s0, s0, exec_lo
	s_or_b32 s1, s1, s0
.LBB130_4:
	v_cndmask_b32_e64 v1, 0, 1, s12
	s_and_not1_b32 vcc_lo, exec_lo, s12
	s_cbranch_vccnz .LBB130_197
; %bb.5:
	s_wait_loadcnt 0x6
	v_cmp_neq_f32_e32 vcc_lo, v60, v64
	v_cmp_neq_f32_e64 s0, v61, v65
	s_or_b32 s12, vcc_lo, s0
	s_cbranch_execnz .LBB130_7
.LBB130_6:
	s_wait_loadcnt 0x6
	v_cmp_eq_f32_e32 vcc_lo, v60, v64
	v_cmp_eq_f32_e64 s0, v61, v65
	s_and_not1_b32 s12, s12, exec_lo
	s_and_b32 s0, vcc_lo, s0
	s_delay_alu instid0(SALU_CYCLE_1) | instskip(NEXT) | instid1(SALU_CYCLE_1)
	s_and_b32 s0, s0, exec_lo
	s_or_b32 s12, s12, s0
.LBB130_7:
	v_cmp_ne_u32_e32 vcc_lo, 1, v1
	s_cbranch_vccnz .LBB130_198
; %bb.8:
	s_wait_loadcnt 0x7
	v_cmp_neq_f32_e32 vcc_lo, v50, v54
	v_cmp_neq_f32_e64 s0, v51, v55
	s_or_b32 s13, vcc_lo, s0
	s_cbranch_execnz .LBB130_10
.LBB130_9:
	s_wait_loadcnt 0x7
	v_cmp_eq_f32_e32 vcc_lo, v50, v54
	v_cmp_eq_f32_e64 s0, v51, v55
	s_and_not1_b32 s13, s13, exec_lo
	s_and_b32 s0, vcc_lo, s0
	s_delay_alu instid0(SALU_CYCLE_1) | instskip(NEXT) | instid1(SALU_CYCLE_1)
	s_and_b32 s0, s0, exec_lo
	s_or_b32 s13, s13, s0
.LBB130_10:
	v_cmp_ne_u32_e32 vcc_lo, 1, v1
	s_cbranch_vccnz .LBB130_199
; %bb.11:
	s_wait_loadcnt 0x7
	v_cmp_neq_f32_e32 vcc_lo, v52, v56
	v_cmp_neq_f32_e64 s0, v53, v57
	s_or_b32 s14, vcc_lo, s0
	s_cbranch_execnz .LBB130_13
.LBB130_12:
	s_wait_loadcnt 0x7
	v_cmp_eq_f32_e32 vcc_lo, v52, v56
	v_cmp_eq_f32_e64 s0, v53, v57
	s_and_not1_b32 s14, s14, exec_lo
	s_and_b32 s0, vcc_lo, s0
	s_delay_alu instid0(SALU_CYCLE_1) | instskip(NEXT) | instid1(SALU_CYCLE_1)
	s_and_b32 s0, s0, exec_lo
	s_or_b32 s14, s14, s0
.LBB130_13:
	v_cmp_ne_u32_e32 vcc_lo, 1, v1
	s_cbranch_vccnz .LBB130_200
; %bb.14:
	s_wait_loadcnt 0x4
	v_cmp_neq_f32_e32 vcc_lo, v42, v46
	v_cmp_neq_f32_e64 s0, v43, v47
	s_or_b32 s15, vcc_lo, s0
	s_cbranch_execnz .LBB130_16
.LBB130_15:
	s_wait_loadcnt 0x4
	v_cmp_eq_f32_e32 vcc_lo, v42, v46
	v_cmp_eq_f32_e64 s0, v43, v47
	s_and_not1_b32 s15, s15, exec_lo
	s_and_b32 s0, vcc_lo, s0
	s_delay_alu instid0(SALU_CYCLE_1) | instskip(NEXT) | instid1(SALU_CYCLE_1)
	s_and_b32 s0, s0, exec_lo
	s_or_b32 s15, s15, s0
.LBB130_16:
	v_cmp_ne_u32_e32 vcc_lo, 1, v1
	s_cbranch_vccnz .LBB130_201
; %bb.17:
	s_wait_loadcnt 0x4
	v_cmp_neq_f32_e32 vcc_lo, v44, v48
	v_cmp_neq_f32_e64 s0, v45, v49
	s_or_b32 s16, vcc_lo, s0
	s_cbranch_execnz .LBB130_19
.LBB130_18:
	s_wait_loadcnt 0x4
	v_cmp_eq_f32_e32 vcc_lo, v44, v48
	v_cmp_eq_f32_e64 s0, v45, v49
	s_and_not1_b32 s16, s16, exec_lo
	s_and_b32 s0, vcc_lo, s0
	s_delay_alu instid0(SALU_CYCLE_1) | instskip(NEXT) | instid1(SALU_CYCLE_1)
	s_and_b32 s0, s0, exec_lo
	s_or_b32 s16, s16, s0
.LBB130_19:
	v_cmp_ne_u32_e32 vcc_lo, 1, v1
	s_cbranch_vccnz .LBB130_202
; %bb.20:
	s_wait_loadcnt 0x5
	v_cmp_neq_f32_e32 vcc_lo, v34, v38
	v_cmp_neq_f32_e64 s0, v35, v39
	s_or_b32 s17, vcc_lo, s0
	s_cbranch_execnz .LBB130_22
.LBB130_21:
	s_wait_loadcnt 0x5
	v_cmp_eq_f32_e32 vcc_lo, v34, v38
	v_cmp_eq_f32_e64 s0, v35, v39
	s_and_not1_b32 s17, s17, exec_lo
	s_and_b32 s0, vcc_lo, s0
	s_delay_alu instid0(SALU_CYCLE_1) | instskip(NEXT) | instid1(SALU_CYCLE_1)
	s_and_b32 s0, s0, exec_lo
	s_or_b32 s17, s17, s0
.LBB130_22:
	v_cmp_ne_u32_e32 vcc_lo, 1, v1
	s_cbranch_vccnz .LBB130_203
; %bb.23:
	s_wait_loadcnt 0x5
	v_cmp_neq_f32_e32 vcc_lo, v36, v40
	v_cmp_neq_f32_e64 s0, v37, v41
	s_or_b32 s18, vcc_lo, s0
	s_cbranch_execnz .LBB130_25
.LBB130_24:
	s_wait_loadcnt 0x5
	v_cmp_eq_f32_e32 vcc_lo, v36, v40
	v_cmp_eq_f32_e64 s0, v37, v41
	s_and_not1_b32 s18, s18, exec_lo
	s_and_b32 s0, vcc_lo, s0
	s_delay_alu instid0(SALU_CYCLE_1) | instskip(NEXT) | instid1(SALU_CYCLE_1)
	s_and_b32 s0, s0, exec_lo
	s_or_b32 s18, s18, s0
.LBB130_25:
	v_cmp_ne_u32_e32 vcc_lo, 1, v1
	s_cbranch_vccnz .LBB130_204
; %bb.26:
	s_wait_loadcnt 0x2
	v_cmp_neq_f32_e32 vcc_lo, v26, v30
	v_cmp_neq_f32_e64 s0, v27, v31
	s_or_b32 s19, vcc_lo, s0
	s_cbranch_execnz .LBB130_28
.LBB130_27:
	s_wait_loadcnt 0x2
	v_cmp_eq_f32_e32 vcc_lo, v26, v30
	v_cmp_eq_f32_e64 s0, v27, v31
	s_and_not1_b32 s19, s19, exec_lo
	s_and_b32 s0, vcc_lo, s0
	s_delay_alu instid0(SALU_CYCLE_1) | instskip(NEXT) | instid1(SALU_CYCLE_1)
	s_and_b32 s0, s0, exec_lo
	s_or_b32 s19, s19, s0
.LBB130_28:
	v_cmp_ne_u32_e32 vcc_lo, 1, v1
	s_cbranch_vccnz .LBB130_205
; %bb.29:
	s_wait_loadcnt 0x2
	v_cmp_neq_f32_e32 vcc_lo, v28, v32
	v_cmp_neq_f32_e64 s0, v29, v33
	s_or_b32 s20, vcc_lo, s0
	s_cbranch_execnz .LBB130_31
.LBB130_30:
	s_wait_loadcnt 0x2
	v_cmp_eq_f32_e32 vcc_lo, v28, v32
	v_cmp_eq_f32_e64 s0, v29, v33
	s_and_not1_b32 s20, s20, exec_lo
	s_and_b32 s0, vcc_lo, s0
	s_delay_alu instid0(SALU_CYCLE_1) | instskip(NEXT) | instid1(SALU_CYCLE_1)
	s_and_b32 s0, s0, exec_lo
	s_or_b32 s20, s20, s0
.LBB130_31:
	v_cmp_ne_u32_e32 vcc_lo, 1, v1
	s_cbranch_vccnz .LBB130_206
; %bb.32:
	s_wait_loadcnt 0x3
	v_cmp_neq_f32_e32 vcc_lo, v18, v22
	v_cmp_neq_f32_e64 s0, v19, v23
	s_or_b32 s21, vcc_lo, s0
	s_cbranch_execnz .LBB130_34
.LBB130_33:
	s_wait_loadcnt 0x3
	v_cmp_eq_f32_e32 vcc_lo, v18, v22
	v_cmp_eq_f32_e64 s0, v19, v23
	s_and_not1_b32 s21, s21, exec_lo
	s_and_b32 s0, vcc_lo, s0
	s_delay_alu instid0(SALU_CYCLE_1) | instskip(NEXT) | instid1(SALU_CYCLE_1)
	s_and_b32 s0, s0, exec_lo
	s_or_b32 s21, s21, s0
.LBB130_34:
	v_cmp_ne_u32_e32 vcc_lo, 1, v1
	s_cbranch_vccnz .LBB130_207
; %bb.35:
	s_wait_loadcnt 0x3
	v_cmp_neq_f32_e32 vcc_lo, v20, v24
	v_cmp_neq_f32_e64 s0, v21, v25
	s_or_b32 s22, vcc_lo, s0
	s_cbranch_execnz .LBB130_37
.LBB130_36:
	s_wait_loadcnt 0x3
	v_cmp_eq_f32_e32 vcc_lo, v20, v24
	v_cmp_eq_f32_e64 s0, v21, v25
	s_and_not1_b32 s22, s22, exec_lo
	s_and_b32 s0, vcc_lo, s0
	s_delay_alu instid0(SALU_CYCLE_1) | instskip(NEXT) | instid1(SALU_CYCLE_1)
	s_and_b32 s0, s0, exec_lo
	s_or_b32 s22, s22, s0
.LBB130_37:
	v_cmp_ne_u32_e32 vcc_lo, 1, v1
	s_cbranch_vccnz .LBB130_208
; %bb.38:
	s_wait_loadcnt 0x0
	v_cmp_neq_f32_e32 vcc_lo, v10, v14
	v_cmp_neq_f32_e64 s0, v11, v15
	s_or_b32 s23, vcc_lo, s0
	s_cbranch_execnz .LBB130_40
.LBB130_39:
	s_wait_loadcnt 0x0
	v_cmp_eq_f32_e32 vcc_lo, v10, v14
	v_cmp_eq_f32_e64 s0, v11, v15
	s_and_not1_b32 s23, s23, exec_lo
	s_and_b32 s0, vcc_lo, s0
	s_delay_alu instid0(SALU_CYCLE_1) | instskip(NEXT) | instid1(SALU_CYCLE_1)
	s_and_b32 s0, s0, exec_lo
	s_or_b32 s23, s23, s0
.LBB130_40:
	v_cmp_ne_u32_e32 vcc_lo, 1, v1
	s_cbranch_vccnz .LBB130_209
; %bb.41:
	s_wait_loadcnt 0x0
	v_cmp_neq_f32_e32 vcc_lo, v12, v16
	v_cmp_neq_f32_e64 s0, v13, v17
	s_or_b32 s24, vcc_lo, s0
	s_cbranch_execnz .LBB130_43
.LBB130_42:
	s_wait_loadcnt 0x0
	v_cmp_eq_f32_e32 vcc_lo, v12, v16
	v_cmp_eq_f32_e64 s0, v13, v17
	s_and_not1_b32 s24, s24, exec_lo
	s_and_b32 s0, vcc_lo, s0
	s_delay_alu instid0(SALU_CYCLE_1) | instskip(NEXT) | instid1(SALU_CYCLE_1)
	s_and_b32 s0, s0, exec_lo
	s_or_b32 s24, s24, s0
.LBB130_43:
	v_cmp_ne_u32_e32 vcc_lo, 1, v1
	s_cbranch_vccnz .LBB130_210
; %bb.44:
	s_wait_loadcnt 0x1
	v_cmp_neq_f32_e32 vcc_lo, v2, v6
	v_cmp_neq_f32_e64 s0, v3, v7
	s_or_b32 s25, vcc_lo, s0
	s_cbranch_execnz .LBB130_46
.LBB130_45:
	s_wait_loadcnt 0x1
	v_cmp_eq_f32_e32 vcc_lo, v2, v6
	v_cmp_eq_f32_e64 s0, v3, v7
	s_and_not1_b32 s25, s25, exec_lo
	s_and_b32 s0, vcc_lo, s0
	s_delay_alu instid0(SALU_CYCLE_1) | instskip(NEXT) | instid1(SALU_CYCLE_1)
	s_and_b32 s0, s0, exec_lo
	s_or_b32 s25, s25, s0
.LBB130_46:
	v_cmp_ne_u32_e32 vcc_lo, 1, v1
	s_cbranch_vccnz .LBB130_211
; %bb.47:
	s_wait_loadcnt 0x1
	v_cmp_neq_f32_e32 vcc_lo, v4, v8
	v_cmp_neq_f32_e64 s0, v5, v9
	s_or_b32 s26, vcc_lo, s0
	s_cbranch_execnz .LBB130_49
.LBB130_48:
	s_wait_loadcnt 0x1
	v_cmp_eq_f32_e32 vcc_lo, v4, v8
	v_cmp_eq_f32_e64 s0, v5, v9
	s_and_not1_b32 s26, s26, exec_lo
	s_and_b32 s0, vcc_lo, s0
	s_delay_alu instid0(SALU_CYCLE_1) | instskip(NEXT) | instid1(SALU_CYCLE_1)
	s_and_b32 s0, s0, exec_lo
	s_or_b32 s26, s26, s0
.LBB130_49:
	v_cndmask_b32_e64 v1, 0, 0x100, s24
	s_wait_loadcnt 0x9
	v_cndmask_b32_e64 v2, 0, 1, s23
	v_cndmask_b32_e64 v3, 0, 0x100, s20
	v_cndmask_b32_e64 v4, 0, 1, s19
	s_wait_loadcnt 0x1
	v_cndmask_b32_e64 v6, 0, 0x100, s12
	v_cndmask_b32_e64 v7, 0, 1, s1
	v_or_b32_e32 v1, v1, v2
	v_cndmask_b32_e64 v10, 0, 0x1000000, s14
	v_or_b32_e32 v2, v3, v4
	v_cndmask_b32_e64 v3, 0, 0x100, s16
	v_cndmask_b32_e64 v4, 0, 1, s15
	v_or_b32_e32 v6, v6, v7
	v_cndmask_b32_e64 v7, 0, 0x10000, s13
	v_cndmask_b32_e64 v11, 0, 0x1000000, s18
	;; [unrolled: 1-line block ×3, first 2 shown]
	v_or_b32_e32 v3, v3, v4
	v_cndmask_b32_e64 v4, 0, 0x10000, s17
	v_cndmask_b32_e64 v9, 0, 0x1000000, s22
	;; [unrolled: 1-line block ×4, first 2 shown]
	v_or3_b32 v6, v6, v7, v10
	v_or3_b32 v3, v3, v4, v11
	;; [unrolled: 1-line block ×3, first 2 shown]
	s_add_nc_u64 s[12:13], s[4:5], s[2:3]
	v_or3_b32 v1, v1, v5, v12
	s_mov_b32 s0, 0
	s_clause 0x3
	global_store_b32 v0, v6, s[12:13] scale_offset
	global_store_b32 v0, v3, s[12:13] offset:1024 scale_offset
	global_store_b32 v0, v2, s[12:13] offset:2048 scale_offset
	;; [unrolled: 1-line block ×3, first 2 shown]
.LBB130_50:
	s_and_b32 vcc_lo, exec_lo, s0
	s_cbranch_vccz .LBB130_195
; %bb.51:
	v_cmp_gt_i32_e64 s0, s8, v0
	s_wait_xcnt 0x0
	v_dual_mov_b32 v52, 0 :: v_dual_bitop2_b32 v1, s2, v0 bitop3:0x54
	v_or_b32_e32 v66, 0x100, v0
	v_dual_mov_b32 v67, v0 :: v_dual_mov_b32 v62, 0
	v_dual_mov_b32 v63, 0 :: v_dual_mov_b32 v64, 0
	v_mov_b32_e32 v65, 0
	s_and_saveexec_b32 s1, s0
	s_cbranch_execz .LBB130_53
; %bb.52:
	s_clause 0x1
	global_load_b64 v[62:63], v1, s[6:7] scale_offset
	global_load_b64 v[64:65], v1, s[10:11] scale_offset
	v_or_b32_e32 v67, 0x100, v0
.LBB130_53:
	s_wait_xcnt 0x0
	s_or_b32 exec_lo, exec_lo, s1
	v_dual_mov_b32 v53, 0 :: v_dual_mov_b32 v60, 0
	v_mov_b32_e32 v61, 0
	s_mov_b32 s1, exec_lo
	v_cmpx_gt_i32_e64 s8, v67
	s_cbranch_execz .LBB130_55
; %bb.54:
	v_add_nc_u32_e32 v2, s2, v67
	v_add_nc_u32_e32 v67, 0x100, v67
	s_clause 0x1
	global_load_b64 v[52:53], v2, s[6:7] scale_offset
	global_load_b64 v[60:61], v2, s[10:11] scale_offset
.LBB130_55:
	s_wait_xcnt 0x0
	s_or_b32 exec_lo, exec_lo, s1
	v_dual_mov_b32 v44, 0 :: v_dual_mov_b32 v56, 0
	v_dual_mov_b32 v57, 0 :: v_dual_mov_b32 v58, 0
	v_mov_b32_e32 v59, 0
	s_mov_b32 s1, exec_lo
	v_cmpx_gt_i32_e64 s8, v67
	s_cbranch_execz .LBB130_57
; %bb.56:
	v_add_nc_u32_e32 v2, s2, v67
	v_add_nc_u32_e32 v67, 0x100, v67
	s_clause 0x1
	global_load_b64 v[56:57], v2, s[6:7] scale_offset
	global_load_b64 v[58:59], v2, s[10:11] scale_offset
.LBB130_57:
	s_wait_xcnt 0x0
	s_or_b32 exec_lo, exec_lo, s1
	v_dual_mov_b32 v45, 0 :: v_dual_mov_b32 v54, 0
	v_mov_b32_e32 v55, 0
	s_mov_b32 s1, exec_lo
	v_cmpx_gt_i32_e64 s8, v67
	s_cbranch_execz .LBB130_59
; %bb.58:
	v_add_nc_u32_e32 v2, s2, v67
	v_add_nc_u32_e32 v67, 0x100, v67
	s_clause 0x1
	global_load_b64 v[44:45], v2, s[6:7] scale_offset
	global_load_b64 v[54:55], v2, s[10:11] scale_offset
.LBB130_59:
	s_wait_xcnt 0x0
	s_or_b32 exec_lo, exec_lo, s1
	v_dual_mov_b32 v36, 0 :: v_dual_mov_b32 v48, 0
	v_dual_mov_b32 v49, 0 :: v_dual_mov_b32 v50, 0
	v_mov_b32_e32 v51, 0
	s_mov_b32 s1, exec_lo
	v_cmpx_gt_i32_e64 s8, v67
	s_cbranch_execz .LBB130_61
; %bb.60:
	v_add_nc_u32_e32 v2, s2, v67
	v_add_nc_u32_e32 v67, 0x100, v67
	s_clause 0x1
	global_load_b64 v[48:49], v2, s[6:7] scale_offset
	global_load_b64 v[50:51], v2, s[10:11] scale_offset
.LBB130_61:
	;; [unrolled: 29-line block ×5, first 2 shown]
	s_wait_xcnt 0x0
	s_or_b32 exec_lo, exec_lo, s1
	v_dual_mov_b32 v13, 0 :: v_dual_mov_b32 v22, 0
	v_mov_b32_e32 v23, 0
	s_mov_b32 s1, exec_lo
	v_cmpx_gt_i32_e64 s8, v67
	s_cbranch_execz .LBB130_75
; %bb.74:
	v_add_nc_u32_e32 v2, s2, v67
	v_add_nc_u32_e32 v67, 0x100, v67
	s_clause 0x1
	global_load_b64 v[12:13], v2, s[6:7] scale_offset
	global_load_b64 v[22:23], v2, s[10:11] scale_offset
.LBB130_75:
	s_wait_xcnt 0x0
	s_or_b32 exec_lo, exec_lo, s1
	s_wait_loadcnt 0x0
	v_dual_mov_b32 v4, 0 :: v_dual_mov_b32 v16, 0
	v_dual_mov_b32 v17, 0 :: v_dual_mov_b32 v18, 0
	v_mov_b32_e32 v19, 0
	s_mov_b32 s1, exec_lo
	v_cmpx_gt_i32_e64 s8, v67
	s_cbranch_execz .LBB130_77
; %bb.76:
	v_add_nc_u32_e32 v2, s2, v67
	v_add_nc_u32_e32 v67, 0x100, v67
	s_clause 0x1
	global_load_b64 v[16:17], v2, s[6:7] scale_offset
	global_load_b64 v[18:19], v2, s[10:11] scale_offset
.LBB130_77:
	s_wait_xcnt 0x0
	s_or_b32 exec_lo, exec_lo, s1
	v_dual_mov_b32 v5, 0 :: v_dual_mov_b32 v14, 0
	v_mov_b32_e32 v15, 0
	s_mov_b32 s1, exec_lo
	v_cmpx_gt_i32_e64 s8, v67
	s_cbranch_execz .LBB130_79
; %bb.78:
	v_add_nc_u32_e32 v2, s2, v67
	v_add_nc_u32_e32 v67, 0x100, v67
	s_clause 0x1
	global_load_b64 v[4:5], v2, s[6:7] scale_offset
	global_load_b64 v[14:15], v2, s[10:11] scale_offset
.LBB130_79:
	s_wait_xcnt 0x0
	s_or_b32 exec_lo, exec_lo, s1
	v_dual_mov_b32 v2, 0 :: v_dual_mov_b32 v8, 0
	v_dual_mov_b32 v9, 0 :: v_dual_mov_b32 v10, 0
	v_mov_b32_e32 v11, 0
	s_mov_b32 s1, exec_lo
	v_cmpx_gt_i32_e64 s8, v67
	s_cbranch_execz .LBB130_81
; %bb.80:
	v_add_nc_u32_e32 v3, s2, v67
	v_add_nc_u32_e32 v67, 0x100, v67
	s_clause 0x1
	global_load_b64 v[8:9], v3, s[6:7] scale_offset
	global_load_b64 v[10:11], v3, s[10:11] scale_offset
.LBB130_81:
	s_wait_xcnt 0x0
	s_or_b32 exec_lo, exec_lo, s1
	v_dual_mov_b32 v3, 0 :: v_dual_mov_b32 v6, 0
	v_mov_b32_e32 v7, 0
	s_mov_b32 s1, exec_lo
	v_cmpx_gt_i32_e64 s8, v67
	s_cbranch_execz .LBB130_83
; %bb.82:
	v_add_nc_u32_e32 v67, s2, v67
	s_clause 0x1
	global_load_b64 v[2:3], v67, s[6:7] scale_offset
	global_load_b64 v[6:7], v67, s[10:11] scale_offset
.LBB130_83:
	s_wait_xcnt 0x0
	s_or_b32 exec_lo, exec_lo, s1
	s_cmp_lg_u32 s9, 0
                                        ; implicit-def: $vgpr67
	s_cselect_b32 s3, -1, 0
	s_and_saveexec_b32 s6, s0
	s_cbranch_execz .LBB130_88
; %bb.84:
	s_and_b32 vcc_lo, exec_lo, s3
	s_cbranch_vccz .LBB130_212
; %bb.85:
	v_cmp_neq_f32_e32 vcc_lo, v62, v64
	v_cmp_neq_f32_e64 s1, v63, v65
	s_or_b32 s7, vcc_lo, s1
	s_cbranch_execnz .LBB130_87
.LBB130_86:
	v_cmp_eq_f32_e32 vcc_lo, v62, v64
	v_cmp_eq_f32_e64 s1, v63, v65
	s_and_not1_b32 s7, s7, exec_lo
	s_and_b32 s1, vcc_lo, s1
	s_delay_alu instid0(SALU_CYCLE_1) | instskip(NEXT) | instid1(SALU_CYCLE_1)
	s_and_b32 s1, s1, exec_lo
	s_or_b32 s7, s7, s1
.LBB130_87:
	s_delay_alu instid0(SALU_CYCLE_1)
	v_cndmask_b32_e64 v67, 0, 1, s7
.LBB130_88:
	s_or_b32 exec_lo, exec_lo, s6
	v_cndmask_b32_e64 v63, 0, 1, s3
	s_mov_b32 s6, exec_lo
                                        ; implicit-def: $vgpr62
	v_cmpx_gt_i32_e64 s8, v66
	s_cbranch_execz .LBB130_93
; %bb.89:
	s_and_not1_b32 vcc_lo, exec_lo, s3
	s_cbranch_vccnz .LBB130_213
; %bb.90:
	v_cmp_neq_f32_e32 vcc_lo, v52, v60
	v_cmp_neq_f32_e64 s1, v53, v61
	s_or_b32 s3, vcc_lo, s1
	s_cbranch_execnz .LBB130_92
.LBB130_91:
	v_cmp_eq_f32_e32 vcc_lo, v52, v60
	v_cmp_eq_f32_e64 s1, v53, v61
	s_and_not1_b32 s3, s3, exec_lo
	s_and_b32 s1, vcc_lo, s1
	s_delay_alu instid0(SALU_CYCLE_1) | instskip(NEXT) | instid1(SALU_CYCLE_1)
	s_and_b32 s1, s1, exec_lo
	s_or_b32 s3, s3, s1
.LBB130_92:
	s_delay_alu instid0(SALU_CYCLE_1)
	v_cndmask_b32_e64 v62, 0, 1, s3
.LBB130_93:
	s_or_b32 exec_lo, exec_lo, s6
	v_or_b32_e32 v52, 0x200, v0
	s_delay_alu instid0(VALU_DEP_1)
	v_cmp_gt_i32_e32 vcc_lo, s8, v52
                                        ; implicit-def: $vgpr52
	s_and_saveexec_b32 s3, vcc_lo
	s_cbranch_execz .LBB130_98
; %bb.94:
	v_cmp_ne_u32_e32 vcc_lo, 1, v63
	s_cbranch_vccnz .LBB130_214
; %bb.95:
	v_cmp_neq_f32_e32 vcc_lo, v56, v58
	v_cmp_neq_f32_e64 s1, v57, v59
	s_or_b32 s6, vcc_lo, s1
	s_cbranch_execnz .LBB130_97
.LBB130_96:
	v_cmp_eq_f32_e32 vcc_lo, v56, v58
	v_cmp_eq_f32_e64 s1, v57, v59
	s_and_not1_b32 s6, s6, exec_lo
	s_and_b32 s1, vcc_lo, s1
	s_delay_alu instid0(SALU_CYCLE_1) | instskip(NEXT) | instid1(SALU_CYCLE_1)
	s_and_b32 s1, s1, exec_lo
	s_or_b32 s6, s6, s1
.LBB130_97:
	s_delay_alu instid0(SALU_CYCLE_1)
	v_cndmask_b32_e64 v52, 0, 1, s6
.LBB130_98:
	s_or_b32 exec_lo, exec_lo, s3
	v_or_b32_e32 v53, 0x300, v0
	s_delay_alu instid0(VALU_DEP_1)
	v_cmp_gt_i32_e32 vcc_lo, s8, v53
                                        ; implicit-def: $vgpr53
	s_and_saveexec_b32 s3, vcc_lo
	s_cbranch_execz .LBB130_103
; %bb.99:
	v_cmp_ne_u32_e32 vcc_lo, 1, v63
	s_cbranch_vccnz .LBB130_215
; %bb.100:
	v_cmp_neq_f32_e32 vcc_lo, v44, v54
	v_cmp_neq_f32_e64 s1, v45, v55
	s_or_b32 s6, vcc_lo, s1
	s_cbranch_execnz .LBB130_102
.LBB130_101:
	v_cmp_eq_f32_e32 vcc_lo, v44, v54
	v_cmp_eq_f32_e64 s1, v45, v55
	s_and_not1_b32 s6, s6, exec_lo
	s_and_b32 s1, vcc_lo, s1
	s_delay_alu instid0(SALU_CYCLE_1) | instskip(NEXT) | instid1(SALU_CYCLE_1)
	s_and_b32 s1, s1, exec_lo
	s_or_b32 s6, s6, s1
.LBB130_102:
	s_delay_alu instid0(SALU_CYCLE_1)
	v_cndmask_b32_e64 v53, 0, 1, s6
.LBB130_103:
	s_or_b32 exec_lo, exec_lo, s3
	v_or_b32_e32 v44, 0x400, v0
	s_delay_alu instid0(VALU_DEP_1)
	v_cmp_gt_i32_e32 vcc_lo, s8, v44
                                        ; implicit-def: $vgpr44
	s_and_saveexec_b32 s3, vcc_lo
	s_cbranch_execz .LBB130_108
; %bb.104:
	v_cmp_ne_u32_e32 vcc_lo, 1, v63
	s_cbranch_vccnz .LBB130_216
; %bb.105:
	v_cmp_neq_f32_e32 vcc_lo, v48, v50
	v_cmp_neq_f32_e64 s1, v49, v51
	s_or_b32 s6, vcc_lo, s1
	s_cbranch_execnz .LBB130_107
.LBB130_106:
	v_cmp_eq_f32_e32 vcc_lo, v48, v50
	v_cmp_eq_f32_e64 s1, v49, v51
	s_and_not1_b32 s6, s6, exec_lo
	s_and_b32 s1, vcc_lo, s1
	s_delay_alu instid0(SALU_CYCLE_1) | instskip(NEXT) | instid1(SALU_CYCLE_1)
	s_and_b32 s1, s1, exec_lo
	s_or_b32 s6, s6, s1
.LBB130_107:
	s_delay_alu instid0(SALU_CYCLE_1)
	v_cndmask_b32_e64 v44, 0, 1, s6
.LBB130_108:
	s_or_b32 exec_lo, exec_lo, s3
	v_or_b32_e32 v45, 0x500, v0
	s_delay_alu instid0(VALU_DEP_1)
	v_cmp_gt_i32_e32 vcc_lo, s8, v45
                                        ; implicit-def: $vgpr45
	s_and_saveexec_b32 s3, vcc_lo
	s_cbranch_execz .LBB130_113
; %bb.109:
	v_cmp_ne_u32_e32 vcc_lo, 1, v63
	s_cbranch_vccnz .LBB130_217
; %bb.110:
	v_cmp_neq_f32_e32 vcc_lo, v36, v46
	v_cmp_neq_f32_e64 s1, v37, v47
	s_or_b32 s6, vcc_lo, s1
	s_cbranch_execnz .LBB130_112
.LBB130_111:
	v_cmp_eq_f32_e32 vcc_lo, v36, v46
	v_cmp_eq_f32_e64 s1, v37, v47
	s_and_not1_b32 s6, s6, exec_lo
	s_and_b32 s1, vcc_lo, s1
	s_delay_alu instid0(SALU_CYCLE_1) | instskip(NEXT) | instid1(SALU_CYCLE_1)
	s_and_b32 s1, s1, exec_lo
	s_or_b32 s6, s6, s1
.LBB130_112:
	s_delay_alu instid0(SALU_CYCLE_1)
	v_cndmask_b32_e64 v45, 0, 1, s6
.LBB130_113:
	s_or_b32 exec_lo, exec_lo, s3
	v_or_b32_e32 v36, 0x600, v0
	s_delay_alu instid0(VALU_DEP_1)
	v_cmp_gt_i32_e32 vcc_lo, s8, v36
                                        ; implicit-def: $vgpr36
	s_and_saveexec_b32 s3, vcc_lo
	s_cbranch_execz .LBB130_118
; %bb.114:
	v_cmp_ne_u32_e32 vcc_lo, 1, v63
	s_cbranch_vccnz .LBB130_218
; %bb.115:
	v_cmp_neq_f32_e32 vcc_lo, v40, v42
	v_cmp_neq_f32_e64 s1, v41, v43
	s_or_b32 s6, vcc_lo, s1
	s_cbranch_execnz .LBB130_117
.LBB130_116:
	v_cmp_eq_f32_e32 vcc_lo, v40, v42
	v_cmp_eq_f32_e64 s1, v41, v43
	s_and_not1_b32 s6, s6, exec_lo
	s_and_b32 s1, vcc_lo, s1
	s_delay_alu instid0(SALU_CYCLE_1) | instskip(NEXT) | instid1(SALU_CYCLE_1)
	s_and_b32 s1, s1, exec_lo
	s_or_b32 s6, s6, s1
.LBB130_117:
	s_delay_alu instid0(SALU_CYCLE_1)
	v_cndmask_b32_e64 v36, 0, 1, s6
.LBB130_118:
	s_or_b32 exec_lo, exec_lo, s3
	v_or_b32_e32 v37, 0x700, v0
	s_delay_alu instid0(VALU_DEP_1)
	v_cmp_gt_i32_e32 vcc_lo, s8, v37
                                        ; implicit-def: $vgpr37
	s_and_saveexec_b32 s3, vcc_lo
	s_cbranch_execz .LBB130_123
; %bb.119:
	v_cmp_ne_u32_e32 vcc_lo, 1, v63
	s_cbranch_vccnz .LBB130_219
; %bb.120:
	v_cmp_neq_f32_e32 vcc_lo, v28, v38
	v_cmp_neq_f32_e64 s1, v29, v39
	s_or_b32 s6, vcc_lo, s1
	s_cbranch_execnz .LBB130_122
.LBB130_121:
	v_cmp_eq_f32_e32 vcc_lo, v28, v38
	v_cmp_eq_f32_e64 s1, v29, v39
	s_and_not1_b32 s6, s6, exec_lo
	s_and_b32 s1, vcc_lo, s1
	s_delay_alu instid0(SALU_CYCLE_1) | instskip(NEXT) | instid1(SALU_CYCLE_1)
	s_and_b32 s1, s1, exec_lo
	s_or_b32 s6, s6, s1
.LBB130_122:
	s_delay_alu instid0(SALU_CYCLE_1)
	v_cndmask_b32_e64 v37, 0, 1, s6
.LBB130_123:
	s_or_b32 exec_lo, exec_lo, s3
	v_or_b32_e32 v28, 0x800, v0
	s_delay_alu instid0(VALU_DEP_1)
	v_cmp_gt_i32_e32 vcc_lo, s8, v28
                                        ; implicit-def: $vgpr28
	s_and_saveexec_b32 s3, vcc_lo
	s_cbranch_execz .LBB130_128
; %bb.124:
	v_cmp_ne_u32_e32 vcc_lo, 1, v63
	s_cbranch_vccnz .LBB130_220
; %bb.125:
	v_cmp_neq_f32_e32 vcc_lo, v32, v34
	v_cmp_neq_f32_e64 s1, v33, v35
	s_or_b32 s6, vcc_lo, s1
	s_cbranch_execnz .LBB130_127
.LBB130_126:
	v_cmp_eq_f32_e32 vcc_lo, v32, v34
	v_cmp_eq_f32_e64 s1, v33, v35
	s_and_not1_b32 s6, s6, exec_lo
	s_and_b32 s1, vcc_lo, s1
	s_delay_alu instid0(SALU_CYCLE_1) | instskip(NEXT) | instid1(SALU_CYCLE_1)
	s_and_b32 s1, s1, exec_lo
	s_or_b32 s6, s6, s1
.LBB130_127:
	s_delay_alu instid0(SALU_CYCLE_1)
	v_cndmask_b32_e64 v28, 0, 1, s6
.LBB130_128:
	s_or_b32 exec_lo, exec_lo, s3
	v_or_b32_e32 v29, 0x900, v0
	s_delay_alu instid0(VALU_DEP_1)
	v_cmp_gt_i32_e32 vcc_lo, s8, v29
                                        ; implicit-def: $vgpr29
	s_and_saveexec_b32 s3, vcc_lo
	s_cbranch_execz .LBB130_133
; %bb.129:
	v_cmp_ne_u32_e32 vcc_lo, 1, v63
	s_cbranch_vccnz .LBB130_221
; %bb.130:
	v_cmp_neq_f32_e32 vcc_lo, v20, v30
	v_cmp_neq_f32_e64 s1, v21, v31
	s_or_b32 s6, vcc_lo, s1
	s_cbranch_execnz .LBB130_132
.LBB130_131:
	v_cmp_eq_f32_e32 vcc_lo, v20, v30
	v_cmp_eq_f32_e64 s1, v21, v31
	s_and_not1_b32 s6, s6, exec_lo
	s_and_b32 s1, vcc_lo, s1
	s_delay_alu instid0(SALU_CYCLE_1) | instskip(NEXT) | instid1(SALU_CYCLE_1)
	s_and_b32 s1, s1, exec_lo
	s_or_b32 s6, s6, s1
.LBB130_132:
	s_delay_alu instid0(SALU_CYCLE_1)
	v_cndmask_b32_e64 v29, 0, 1, s6
.LBB130_133:
	s_or_b32 exec_lo, exec_lo, s3
	v_or_b32_e32 v20, 0xa00, v0
	s_delay_alu instid0(VALU_DEP_1)
	v_cmp_gt_i32_e32 vcc_lo, s8, v20
                                        ; implicit-def: $vgpr20
	s_and_saveexec_b32 s3, vcc_lo
	s_cbranch_execz .LBB130_138
; %bb.134:
	v_cmp_ne_u32_e32 vcc_lo, 1, v63
	s_cbranch_vccnz .LBB130_222
; %bb.135:
	v_cmp_neq_f32_e32 vcc_lo, v24, v26
	v_cmp_neq_f32_e64 s1, v25, v27
	s_or_b32 s6, vcc_lo, s1
	s_cbranch_execnz .LBB130_137
.LBB130_136:
	v_cmp_eq_f32_e32 vcc_lo, v24, v26
	v_cmp_eq_f32_e64 s1, v25, v27
	s_and_not1_b32 s6, s6, exec_lo
	s_and_b32 s1, vcc_lo, s1
	s_delay_alu instid0(SALU_CYCLE_1) | instskip(NEXT) | instid1(SALU_CYCLE_1)
	s_and_b32 s1, s1, exec_lo
	s_or_b32 s6, s6, s1
.LBB130_137:
	s_delay_alu instid0(SALU_CYCLE_1)
	v_cndmask_b32_e64 v20, 0, 1, s6
.LBB130_138:
	s_or_b32 exec_lo, exec_lo, s3
	v_or_b32_e32 v21, 0xb00, v0
	s_delay_alu instid0(VALU_DEP_1)
	v_cmp_gt_i32_e32 vcc_lo, s8, v21
                                        ; implicit-def: $vgpr21
	s_and_saveexec_b32 s3, vcc_lo
	s_cbranch_execz .LBB130_143
; %bb.139:
	v_cmp_ne_u32_e32 vcc_lo, 1, v63
	s_cbranch_vccnz .LBB130_223
; %bb.140:
	v_cmp_neq_f32_e32 vcc_lo, v12, v22
	v_cmp_neq_f32_e64 s1, v13, v23
	s_or_b32 s6, vcc_lo, s1
	s_cbranch_execnz .LBB130_142
.LBB130_141:
	v_cmp_eq_f32_e32 vcc_lo, v12, v22
	v_cmp_eq_f32_e64 s1, v13, v23
	s_and_not1_b32 s6, s6, exec_lo
	s_and_b32 s1, vcc_lo, s1
	s_delay_alu instid0(SALU_CYCLE_1) | instskip(NEXT) | instid1(SALU_CYCLE_1)
	s_and_b32 s1, s1, exec_lo
	s_or_b32 s6, s6, s1
.LBB130_142:
	s_delay_alu instid0(SALU_CYCLE_1)
	v_cndmask_b32_e64 v21, 0, 1, s6
.LBB130_143:
	s_or_b32 exec_lo, exec_lo, s3
	v_or_b32_e32 v12, 0xc00, v0
	s_delay_alu instid0(VALU_DEP_1)
	v_cmp_gt_i32_e32 vcc_lo, s8, v12
                                        ; implicit-def: $vgpr12
	s_and_saveexec_b32 s3, vcc_lo
	s_cbranch_execz .LBB130_148
; %bb.144:
	v_cmp_ne_u32_e32 vcc_lo, 1, v63
	s_cbranch_vccnz .LBB130_224
; %bb.145:
	s_wait_loadcnt 0x0
	v_cmp_neq_f32_e32 vcc_lo, v16, v18
	v_cmp_neq_f32_e64 s1, v17, v19
	s_or_b32 s6, vcc_lo, s1
	s_cbranch_execnz .LBB130_147
.LBB130_146:
	s_wait_loadcnt 0x0
	v_cmp_eq_f32_e32 vcc_lo, v16, v18
	v_cmp_eq_f32_e64 s1, v17, v19
	s_and_not1_b32 s6, s6, exec_lo
	s_and_b32 s1, vcc_lo, s1
	s_delay_alu instid0(SALU_CYCLE_1) | instskip(NEXT) | instid1(SALU_CYCLE_1)
	s_and_b32 s1, s1, exec_lo
	s_or_b32 s6, s6, s1
.LBB130_147:
	s_delay_alu instid0(SALU_CYCLE_1)
	v_cndmask_b32_e64 v12, 0, 1, s6
.LBB130_148:
	s_or_b32 exec_lo, exec_lo, s3
	v_or_b32_e32 v13, 0xd00, v0
	s_delay_alu instid0(VALU_DEP_1)
	v_cmp_gt_i32_e32 vcc_lo, s8, v13
                                        ; implicit-def: $vgpr13
	s_and_saveexec_b32 s3, vcc_lo
	s_cbranch_execz .LBB130_153
; %bb.149:
	v_cmp_ne_u32_e32 vcc_lo, 1, v63
	s_cbranch_vccnz .LBB130_225
; %bb.150:
	s_wait_loadcnt 0x0
	v_cmp_neq_f32_e32 vcc_lo, v4, v14
	v_cmp_neq_f32_e64 s1, v5, v15
	s_or_b32 s6, vcc_lo, s1
	s_cbranch_execnz .LBB130_152
.LBB130_151:
	s_wait_loadcnt 0x0
	v_cmp_eq_f32_e32 vcc_lo, v4, v14
	v_cmp_eq_f32_e64 s1, v5, v15
	s_and_not1_b32 s6, s6, exec_lo
	s_and_b32 s1, vcc_lo, s1
	s_delay_alu instid0(SALU_CYCLE_1) | instskip(NEXT) | instid1(SALU_CYCLE_1)
	s_and_b32 s1, s1, exec_lo
	s_or_b32 s6, s6, s1
.LBB130_152:
	s_delay_alu instid0(SALU_CYCLE_1)
	v_cndmask_b32_e64 v13, 0, 1, s6
.LBB130_153:
	s_or_b32 exec_lo, exec_lo, s3
	s_wait_loadcnt 0x1
	v_or_b32_e32 v4, 0xe00, v0
	s_delay_alu instid0(VALU_DEP_1)
	v_cmp_gt_i32_e32 vcc_lo, s8, v4
                                        ; implicit-def: $vgpr4
	s_and_saveexec_b32 s3, vcc_lo
	s_cbranch_execz .LBB130_158
; %bb.154:
	v_cmp_ne_u32_e32 vcc_lo, 1, v63
	s_cbranch_vccnz .LBB130_226
; %bb.155:
	s_wait_loadcnt 0x0
	v_cmp_neq_f32_e32 vcc_lo, v8, v10
	v_cmp_neq_f32_e64 s1, v9, v11
	s_or_b32 s6, vcc_lo, s1
	s_cbranch_execnz .LBB130_157
.LBB130_156:
	s_wait_loadcnt 0x0
	v_cmp_eq_f32_e32 vcc_lo, v8, v10
	v_cmp_eq_f32_e64 s1, v9, v11
	s_and_not1_b32 s6, s6, exec_lo
	s_and_b32 s1, vcc_lo, s1
	s_delay_alu instid0(SALU_CYCLE_1) | instskip(NEXT) | instid1(SALU_CYCLE_1)
	s_and_b32 s1, s1, exec_lo
	s_or_b32 s6, s6, s1
.LBB130_157:
	s_delay_alu instid0(SALU_CYCLE_1)
	v_cndmask_b32_e64 v4, 0, 1, s6
.LBB130_158:
	s_or_b32 exec_lo, exec_lo, s3
	v_or_b32_e32 v5, 0xf00, v0
	s_delay_alu instid0(VALU_DEP_1)
	v_cmp_gt_i32_e32 vcc_lo, s8, v5
                                        ; implicit-def: $vgpr5
	s_and_saveexec_b32 s3, vcc_lo
	s_cbranch_execz .LBB130_163
; %bb.159:
	v_cmp_ne_u32_e32 vcc_lo, 1, v63
	s_cbranch_vccnz .LBB130_227
; %bb.160:
	s_wait_loadcnt 0x0
	v_cmp_neq_f32_e32 vcc_lo, v2, v6
	v_cmp_neq_f32_e64 s1, v3, v7
	s_or_b32 s6, vcc_lo, s1
	s_cbranch_execnz .LBB130_162
.LBB130_161:
	s_wait_loadcnt 0x0
	v_cmp_eq_f32_e32 vcc_lo, v2, v6
	v_cmp_eq_f32_e64 s1, v3, v7
	s_and_not1_b32 s6, s6, exec_lo
	s_and_b32 s1, vcc_lo, s1
	s_delay_alu instid0(SALU_CYCLE_1) | instskip(NEXT) | instid1(SALU_CYCLE_1)
	s_and_b32 s1, s1, exec_lo
	s_or_b32 s6, s6, s1
.LBB130_162:
	s_delay_alu instid0(SALU_CYCLE_1)
	v_cndmask_b32_e64 v5, 0, 1, s6
.LBB130_163:
	s_or_b32 exec_lo, exec_lo, s3
	s_and_saveexec_b32 s1, s0
	s_delay_alu instid0(SALU_CYCLE_1)
	s_xor_b32 s0, exec_lo, s1
	s_cbranch_execz .LBB130_165
; %bb.164:
	v_mov_b32_e32 v0, v66
	global_store_b8 v1, v67, s[4:5]
.LBB130_165:
	s_wait_xcnt 0x0
	s_or_b32 exec_lo, exec_lo, s0
	s_delay_alu instid0(SALU_CYCLE_1)
	s_mov_b32 s0, exec_lo
	v_cmpx_gt_i32_e64 s8, v0
	s_cbranch_execnz .LBB130_181
; %bb.166:
	s_or_b32 exec_lo, exec_lo, s0
	s_delay_alu instid0(SALU_CYCLE_1)
	s_mov_b32 s0, exec_lo
	v_cmpx_gt_i32_e64 s8, v0
	s_cbranch_execnz .LBB130_182
.LBB130_167:
	s_or_b32 exec_lo, exec_lo, s0
	s_delay_alu instid0(SALU_CYCLE_1)
	s_mov_b32 s0, exec_lo
	v_cmpx_gt_i32_e64 s8, v0
	s_cbranch_execnz .LBB130_183
.LBB130_168:
	s_or_b32 exec_lo, exec_lo, s0
	s_delay_alu instid0(SALU_CYCLE_1)
	s_mov_b32 s0, exec_lo
	v_cmpx_gt_i32_e64 s8, v0
	s_cbranch_execnz .LBB130_184
.LBB130_169:
	s_or_b32 exec_lo, exec_lo, s0
	s_delay_alu instid0(SALU_CYCLE_1)
	s_mov_b32 s0, exec_lo
	v_cmpx_gt_i32_e64 s8, v0
	s_cbranch_execnz .LBB130_185
.LBB130_170:
	s_or_b32 exec_lo, exec_lo, s0
	s_delay_alu instid0(SALU_CYCLE_1)
	s_mov_b32 s0, exec_lo
	v_cmpx_gt_i32_e64 s8, v0
	s_cbranch_execnz .LBB130_186
.LBB130_171:
	s_or_b32 exec_lo, exec_lo, s0
	s_delay_alu instid0(SALU_CYCLE_1)
	s_mov_b32 s0, exec_lo
	v_cmpx_gt_i32_e64 s8, v0
	s_cbranch_execnz .LBB130_187
.LBB130_172:
	s_or_b32 exec_lo, exec_lo, s0
	s_delay_alu instid0(SALU_CYCLE_1)
	s_mov_b32 s0, exec_lo
	v_cmpx_gt_i32_e64 s8, v0
	s_cbranch_execnz .LBB130_188
.LBB130_173:
	s_or_b32 exec_lo, exec_lo, s0
	s_delay_alu instid0(SALU_CYCLE_1)
	s_mov_b32 s0, exec_lo
	v_cmpx_gt_i32_e64 s8, v0
	s_cbranch_execnz .LBB130_189
.LBB130_174:
	s_or_b32 exec_lo, exec_lo, s0
	s_delay_alu instid0(SALU_CYCLE_1)
	s_mov_b32 s0, exec_lo
	v_cmpx_gt_i32_e64 s8, v0
	s_cbranch_execnz .LBB130_190
.LBB130_175:
	s_or_b32 exec_lo, exec_lo, s0
	s_delay_alu instid0(SALU_CYCLE_1)
	s_mov_b32 s0, exec_lo
	v_cmpx_gt_i32_e64 s8, v0
	s_cbranch_execnz .LBB130_191
.LBB130_176:
	s_or_b32 exec_lo, exec_lo, s0
	s_delay_alu instid0(SALU_CYCLE_1)
	s_mov_b32 s0, exec_lo
	v_cmpx_gt_i32_e64 s8, v0
	s_cbranch_execnz .LBB130_192
.LBB130_177:
	s_or_b32 exec_lo, exec_lo, s0
	s_delay_alu instid0(SALU_CYCLE_1)
	s_mov_b32 s0, exec_lo
	v_cmpx_gt_i32_e64 s8, v0
	s_cbranch_execnz .LBB130_193
.LBB130_178:
	s_or_b32 exec_lo, exec_lo, s0
	s_delay_alu instid0(SALU_CYCLE_1)
	s_mov_b32 s0, exec_lo
	v_cmpx_gt_i32_e64 s8, v0
	s_cbranch_execnz .LBB130_194
.LBB130_179:
	s_or_b32 exec_lo, exec_lo, s0
	s_delay_alu instid0(SALU_CYCLE_1)
	s_mov_b32 s0, exec_lo
	v_cmpx_gt_i32_e64 s8, v0
	s_cbranch_execz .LBB130_195
.LBB130_180:
	v_add_nc_u32_e32 v0, s2, v0
	global_store_b8 v0, v5, s[4:5]
	s_sendmsg sendmsg(MSG_DEALLOC_VGPRS)
	s_endpgm
.LBB130_181:
	v_add_nc_u32_e32 v1, s2, v0
	v_add_nc_u32_e32 v0, 0x100, v0
	global_store_b8 v1, v62, s[4:5]
	s_wait_xcnt 0x0
	s_or_b32 exec_lo, exec_lo, s0
	s_delay_alu instid0(SALU_CYCLE_1)
	s_mov_b32 s0, exec_lo
	v_cmpx_gt_i32_e64 s8, v0
	s_cbranch_execz .LBB130_167
.LBB130_182:
	v_add_nc_u32_e32 v1, s2, v0
	v_add_nc_u32_e32 v0, 0x100, v0
	global_store_b8 v1, v52, s[4:5]
	s_wait_xcnt 0x0
	s_or_b32 exec_lo, exec_lo, s0
	s_delay_alu instid0(SALU_CYCLE_1)
	s_mov_b32 s0, exec_lo
	v_cmpx_gt_i32_e64 s8, v0
	s_cbranch_execz .LBB130_168
.LBB130_183:
	v_add_nc_u32_e32 v1, s2, v0
	v_add_nc_u32_e32 v0, 0x100, v0
	global_store_b8 v1, v53, s[4:5]
	s_wait_xcnt 0x0
	s_or_b32 exec_lo, exec_lo, s0
	s_delay_alu instid0(SALU_CYCLE_1)
	s_mov_b32 s0, exec_lo
	v_cmpx_gt_i32_e64 s8, v0
	s_cbranch_execz .LBB130_169
.LBB130_184:
	v_add_nc_u32_e32 v1, s2, v0
	v_add_nc_u32_e32 v0, 0x100, v0
	global_store_b8 v1, v44, s[4:5]
	s_wait_xcnt 0x0
	s_or_b32 exec_lo, exec_lo, s0
	s_delay_alu instid0(SALU_CYCLE_1)
	s_mov_b32 s0, exec_lo
	v_cmpx_gt_i32_e64 s8, v0
	s_cbranch_execz .LBB130_170
.LBB130_185:
	v_add_nc_u32_e32 v1, s2, v0
	v_add_nc_u32_e32 v0, 0x100, v0
	global_store_b8 v1, v45, s[4:5]
	s_wait_xcnt 0x0
	s_or_b32 exec_lo, exec_lo, s0
	s_delay_alu instid0(SALU_CYCLE_1)
	s_mov_b32 s0, exec_lo
	v_cmpx_gt_i32_e64 s8, v0
	s_cbranch_execz .LBB130_171
.LBB130_186:
	v_add_nc_u32_e32 v1, s2, v0
	v_add_nc_u32_e32 v0, 0x100, v0
	global_store_b8 v1, v36, s[4:5]
	s_wait_xcnt 0x0
	s_or_b32 exec_lo, exec_lo, s0
	s_delay_alu instid0(SALU_CYCLE_1)
	s_mov_b32 s0, exec_lo
	v_cmpx_gt_i32_e64 s8, v0
	s_cbranch_execz .LBB130_172
.LBB130_187:
	v_add_nc_u32_e32 v1, s2, v0
	v_add_nc_u32_e32 v0, 0x100, v0
	global_store_b8 v1, v37, s[4:5]
	s_wait_xcnt 0x0
	s_or_b32 exec_lo, exec_lo, s0
	s_delay_alu instid0(SALU_CYCLE_1)
	s_mov_b32 s0, exec_lo
	v_cmpx_gt_i32_e64 s8, v0
	s_cbranch_execz .LBB130_173
.LBB130_188:
	v_add_nc_u32_e32 v1, s2, v0
	v_add_nc_u32_e32 v0, 0x100, v0
	global_store_b8 v1, v28, s[4:5]
	s_wait_xcnt 0x0
	s_or_b32 exec_lo, exec_lo, s0
	s_delay_alu instid0(SALU_CYCLE_1)
	s_mov_b32 s0, exec_lo
	v_cmpx_gt_i32_e64 s8, v0
	s_cbranch_execz .LBB130_174
.LBB130_189:
	v_add_nc_u32_e32 v1, s2, v0
	v_add_nc_u32_e32 v0, 0x100, v0
	global_store_b8 v1, v29, s[4:5]
	s_wait_xcnt 0x0
	s_or_b32 exec_lo, exec_lo, s0
	s_delay_alu instid0(SALU_CYCLE_1)
	s_mov_b32 s0, exec_lo
	v_cmpx_gt_i32_e64 s8, v0
	s_cbranch_execz .LBB130_175
.LBB130_190:
	v_add_nc_u32_e32 v1, s2, v0
	v_add_nc_u32_e32 v0, 0x100, v0
	global_store_b8 v1, v20, s[4:5]
	s_wait_xcnt 0x0
	s_or_b32 exec_lo, exec_lo, s0
	s_delay_alu instid0(SALU_CYCLE_1)
	s_mov_b32 s0, exec_lo
	v_cmpx_gt_i32_e64 s8, v0
	s_cbranch_execz .LBB130_176
.LBB130_191:
	v_add_nc_u32_e32 v1, s2, v0
	v_add_nc_u32_e32 v0, 0x100, v0
	global_store_b8 v1, v21, s[4:5]
	s_wait_xcnt 0x0
	s_or_b32 exec_lo, exec_lo, s0
	s_delay_alu instid0(SALU_CYCLE_1)
	s_mov_b32 s0, exec_lo
	v_cmpx_gt_i32_e64 s8, v0
	s_cbranch_execz .LBB130_177
.LBB130_192:
	v_add_nc_u32_e32 v1, s2, v0
	v_add_nc_u32_e32 v0, 0x100, v0
	global_store_b8 v1, v12, s[4:5]
	s_wait_xcnt 0x0
	s_or_b32 exec_lo, exec_lo, s0
	s_delay_alu instid0(SALU_CYCLE_1)
	s_mov_b32 s0, exec_lo
	v_cmpx_gt_i32_e64 s8, v0
	s_cbranch_execz .LBB130_178
.LBB130_193:
	v_add_nc_u32_e32 v1, s2, v0
	v_add_nc_u32_e32 v0, 0x100, v0
	global_store_b8 v1, v13, s[4:5]
	s_wait_xcnt 0x0
	s_or_b32 exec_lo, exec_lo, s0
	s_delay_alu instid0(SALU_CYCLE_1)
	s_mov_b32 s0, exec_lo
	v_cmpx_gt_i32_e64 s8, v0
	s_cbranch_execz .LBB130_179
.LBB130_194:
	v_add_nc_u32_e32 v1, s2, v0
	v_add_nc_u32_e32 v0, 0x100, v0
	global_store_b8 v1, v4, s[4:5]
	s_wait_xcnt 0x0
	s_or_b32 exec_lo, exec_lo, s0
	s_delay_alu instid0(SALU_CYCLE_1)
	s_mov_b32 s0, exec_lo
	v_cmpx_gt_i32_e64 s8, v0
	s_cbranch_execnz .LBB130_180
.LBB130_195:
	s_sendmsg sendmsg(MSG_DEALLOC_VGPRS)
	s_endpgm
.LBB130_196:
	s_wait_xcnt 0x0
                                        ; implicit-def: $sgpr1
	s_branch .LBB130_3
.LBB130_197:
                                        ; implicit-def: $sgpr12
	s_branch .LBB130_6
.LBB130_198:
                                        ; implicit-def: $sgpr13
	s_branch .LBB130_9
.LBB130_199:
                                        ; implicit-def: $sgpr14
	s_branch .LBB130_12
.LBB130_200:
                                        ; implicit-def: $sgpr15
	s_branch .LBB130_15
.LBB130_201:
                                        ; implicit-def: $sgpr16
	s_branch .LBB130_18
.LBB130_202:
                                        ; implicit-def: $sgpr17
	s_branch .LBB130_21
.LBB130_203:
                                        ; implicit-def: $sgpr18
	s_branch .LBB130_24
.LBB130_204:
                                        ; implicit-def: $sgpr19
	s_branch .LBB130_27
.LBB130_205:
                                        ; implicit-def: $sgpr20
	s_branch .LBB130_30
.LBB130_206:
                                        ; implicit-def: $sgpr21
	s_branch .LBB130_33
.LBB130_207:
                                        ; implicit-def: $sgpr22
	s_branch .LBB130_36
.LBB130_208:
                                        ; implicit-def: $sgpr23
	s_branch .LBB130_39
.LBB130_209:
                                        ; implicit-def: $sgpr24
	s_branch .LBB130_42
.LBB130_210:
                                        ; implicit-def: $sgpr25
	s_branch .LBB130_45
.LBB130_211:
                                        ; implicit-def: $sgpr26
	s_branch .LBB130_48
.LBB130_212:
                                        ; implicit-def: $sgpr7
	s_branch .LBB130_86
.LBB130_213:
                                        ; implicit-def: $sgpr3
	s_branch .LBB130_91
.LBB130_214:
                                        ; implicit-def: $sgpr6
	s_branch .LBB130_96
.LBB130_215:
                                        ; implicit-def: $sgpr6
	s_branch .LBB130_101
.LBB130_216:
                                        ; implicit-def: $sgpr6
	s_branch .LBB130_106
.LBB130_217:
                                        ; implicit-def: $sgpr6
	s_branch .LBB130_111
.LBB130_218:
                                        ; implicit-def: $sgpr6
	s_branch .LBB130_116
.LBB130_219:
                                        ; implicit-def: $sgpr6
	s_branch .LBB130_121
.LBB130_220:
                                        ; implicit-def: $sgpr6
	s_branch .LBB130_126
.LBB130_221:
                                        ; implicit-def: $sgpr6
	s_branch .LBB130_131
.LBB130_222:
                                        ; implicit-def: $sgpr6
	s_branch .LBB130_136
.LBB130_223:
                                        ; implicit-def: $sgpr6
	s_branch .LBB130_141
.LBB130_224:
                                        ; implicit-def: $sgpr6
	s_branch .LBB130_146
.LBB130_225:
                                        ; implicit-def: $sgpr6
	s_branch .LBB130_151
.LBB130_226:
                                        ; implicit-def: $sgpr6
	s_branch .LBB130_156
.LBB130_227:
                                        ; implicit-def: $sgpr6
	s_branch .LBB130_161
	.section	.rodata,"a",@progbits
	.p2align	6, 0x0
	.amdhsa_kernel _ZN2at6native29vectorized_elementwise_kernelILi4ENS0_13BinaryFunctorIN3c107complexIfEES5_bNS0_12_GLOBAL__N_116CompareEqFunctorIS5_EEEESt5arrayIPcLm3EEEEviT0_T1_
		.amdhsa_group_segment_fixed_size 0
		.amdhsa_private_segment_fixed_size 0
		.amdhsa_kernarg_size 32
		.amdhsa_user_sgpr_count 2
		.amdhsa_user_sgpr_dispatch_ptr 0
		.amdhsa_user_sgpr_queue_ptr 0
		.amdhsa_user_sgpr_kernarg_segment_ptr 1
		.amdhsa_user_sgpr_dispatch_id 0
		.amdhsa_user_sgpr_kernarg_preload_length 0
		.amdhsa_user_sgpr_kernarg_preload_offset 0
		.amdhsa_user_sgpr_private_segment_size 0
		.amdhsa_wavefront_size32 1
		.amdhsa_uses_dynamic_stack 0
		.amdhsa_enable_private_segment 0
		.amdhsa_system_sgpr_workgroup_id_x 1
		.amdhsa_system_sgpr_workgroup_id_y 0
		.amdhsa_system_sgpr_workgroup_id_z 0
		.amdhsa_system_sgpr_workgroup_info 0
		.amdhsa_system_vgpr_workitem_id 0
		.amdhsa_next_free_vgpr 68
		.amdhsa_next_free_sgpr 27
		.amdhsa_named_barrier_count 0
		.amdhsa_reserve_vcc 1
		.amdhsa_float_round_mode_32 0
		.amdhsa_float_round_mode_16_64 0
		.amdhsa_float_denorm_mode_32 3
		.amdhsa_float_denorm_mode_16_64 3
		.amdhsa_fp16_overflow 0
		.amdhsa_memory_ordered 1
		.amdhsa_forward_progress 1
		.amdhsa_inst_pref_size 47
		.amdhsa_round_robin_scheduling 0
		.amdhsa_exception_fp_ieee_invalid_op 0
		.amdhsa_exception_fp_denorm_src 0
		.amdhsa_exception_fp_ieee_div_zero 0
		.amdhsa_exception_fp_ieee_overflow 0
		.amdhsa_exception_fp_ieee_underflow 0
		.amdhsa_exception_fp_ieee_inexact 0
		.amdhsa_exception_int_div_zero 0
	.end_amdhsa_kernel
	.section	.text._ZN2at6native29vectorized_elementwise_kernelILi4ENS0_13BinaryFunctorIN3c107complexIfEES5_bNS0_12_GLOBAL__N_116CompareEqFunctorIS5_EEEESt5arrayIPcLm3EEEEviT0_T1_,"axG",@progbits,_ZN2at6native29vectorized_elementwise_kernelILi4ENS0_13BinaryFunctorIN3c107complexIfEES5_bNS0_12_GLOBAL__N_116CompareEqFunctorIS5_EEEESt5arrayIPcLm3EEEEviT0_T1_,comdat
.Lfunc_end130:
	.size	_ZN2at6native29vectorized_elementwise_kernelILi4ENS0_13BinaryFunctorIN3c107complexIfEES5_bNS0_12_GLOBAL__N_116CompareEqFunctorIS5_EEEESt5arrayIPcLm3EEEEviT0_T1_, .Lfunc_end130-_ZN2at6native29vectorized_elementwise_kernelILi4ENS0_13BinaryFunctorIN3c107complexIfEES5_bNS0_12_GLOBAL__N_116CompareEqFunctorIS5_EEEESt5arrayIPcLm3EEEEviT0_T1_
                                        ; -- End function
	.set _ZN2at6native29vectorized_elementwise_kernelILi4ENS0_13BinaryFunctorIN3c107complexIfEES5_bNS0_12_GLOBAL__N_116CompareEqFunctorIS5_EEEESt5arrayIPcLm3EEEEviT0_T1_.num_vgpr, 68
	.set _ZN2at6native29vectorized_elementwise_kernelILi4ENS0_13BinaryFunctorIN3c107complexIfEES5_bNS0_12_GLOBAL__N_116CompareEqFunctorIS5_EEEESt5arrayIPcLm3EEEEviT0_T1_.num_agpr, 0
	.set _ZN2at6native29vectorized_elementwise_kernelILi4ENS0_13BinaryFunctorIN3c107complexIfEES5_bNS0_12_GLOBAL__N_116CompareEqFunctorIS5_EEEESt5arrayIPcLm3EEEEviT0_T1_.numbered_sgpr, 27
	.set _ZN2at6native29vectorized_elementwise_kernelILi4ENS0_13BinaryFunctorIN3c107complexIfEES5_bNS0_12_GLOBAL__N_116CompareEqFunctorIS5_EEEESt5arrayIPcLm3EEEEviT0_T1_.num_named_barrier, 0
	.set _ZN2at6native29vectorized_elementwise_kernelILi4ENS0_13BinaryFunctorIN3c107complexIfEES5_bNS0_12_GLOBAL__N_116CompareEqFunctorIS5_EEEESt5arrayIPcLm3EEEEviT0_T1_.private_seg_size, 0
	.set _ZN2at6native29vectorized_elementwise_kernelILi4ENS0_13BinaryFunctorIN3c107complexIfEES5_bNS0_12_GLOBAL__N_116CompareEqFunctorIS5_EEEESt5arrayIPcLm3EEEEviT0_T1_.uses_vcc, 1
	.set _ZN2at6native29vectorized_elementwise_kernelILi4ENS0_13BinaryFunctorIN3c107complexIfEES5_bNS0_12_GLOBAL__N_116CompareEqFunctorIS5_EEEESt5arrayIPcLm3EEEEviT0_T1_.uses_flat_scratch, 0
	.set _ZN2at6native29vectorized_elementwise_kernelILi4ENS0_13BinaryFunctorIN3c107complexIfEES5_bNS0_12_GLOBAL__N_116CompareEqFunctorIS5_EEEESt5arrayIPcLm3EEEEviT0_T1_.has_dyn_sized_stack, 0
	.set _ZN2at6native29vectorized_elementwise_kernelILi4ENS0_13BinaryFunctorIN3c107complexIfEES5_bNS0_12_GLOBAL__N_116CompareEqFunctorIS5_EEEESt5arrayIPcLm3EEEEviT0_T1_.has_recursion, 0
	.set _ZN2at6native29vectorized_elementwise_kernelILi4ENS0_13BinaryFunctorIN3c107complexIfEES5_bNS0_12_GLOBAL__N_116CompareEqFunctorIS5_EEEESt5arrayIPcLm3EEEEviT0_T1_.has_indirect_call, 0
	.section	.AMDGPU.csdata,"",@progbits
; Kernel info:
; codeLenInByte = 5976
; TotalNumSgprs: 29
; NumVgprs: 68
; ScratchSize: 0
; MemoryBound: 1
; FloatMode: 240
; IeeeMode: 1
; LDSByteSize: 0 bytes/workgroup (compile time only)
; SGPRBlocks: 0
; VGPRBlocks: 4
; NumSGPRsForWavesPerEU: 29
; NumVGPRsForWavesPerEU: 68
; NamedBarCnt: 0
; Occupancy: 12
; WaveLimiterHint : 1
; COMPUTE_PGM_RSRC2:SCRATCH_EN: 0
; COMPUTE_PGM_RSRC2:USER_SGPR: 2
; COMPUTE_PGM_RSRC2:TRAP_HANDLER: 0
; COMPUTE_PGM_RSRC2:TGID_X_EN: 1
; COMPUTE_PGM_RSRC2:TGID_Y_EN: 0
; COMPUTE_PGM_RSRC2:TGID_Z_EN: 0
; COMPUTE_PGM_RSRC2:TIDIG_COMP_CNT: 0
	.section	.text._ZN2at6native29vectorized_elementwise_kernelILi2ENS0_13BinaryFunctorIN3c107complexIfEES5_bNS0_12_GLOBAL__N_116CompareEqFunctorIS5_EEEESt5arrayIPcLm3EEEEviT0_T1_,"axG",@progbits,_ZN2at6native29vectorized_elementwise_kernelILi2ENS0_13BinaryFunctorIN3c107complexIfEES5_bNS0_12_GLOBAL__N_116CompareEqFunctorIS5_EEEESt5arrayIPcLm3EEEEviT0_T1_,comdat
	.globl	_ZN2at6native29vectorized_elementwise_kernelILi2ENS0_13BinaryFunctorIN3c107complexIfEES5_bNS0_12_GLOBAL__N_116CompareEqFunctorIS5_EEEESt5arrayIPcLm3EEEEviT0_T1_ ; -- Begin function _ZN2at6native29vectorized_elementwise_kernelILi2ENS0_13BinaryFunctorIN3c107complexIfEES5_bNS0_12_GLOBAL__N_116CompareEqFunctorIS5_EEEESt5arrayIPcLm3EEEEviT0_T1_
	.p2align	8
	.type	_ZN2at6native29vectorized_elementwise_kernelILi2ENS0_13BinaryFunctorIN3c107complexIfEES5_bNS0_12_GLOBAL__N_116CompareEqFunctorIS5_EEEESt5arrayIPcLm3EEEEviT0_T1_,@function
_ZN2at6native29vectorized_elementwise_kernelILi2ENS0_13BinaryFunctorIN3c107complexIfEES5_bNS0_12_GLOBAL__N_116CompareEqFunctorIS5_EEEESt5arrayIPcLm3EEEEviT0_T1_: ; @_ZN2at6native29vectorized_elementwise_kernelILi2ENS0_13BinaryFunctorIN3c107complexIfEES5_bNS0_12_GLOBAL__N_116CompareEqFunctorIS5_EEEESt5arrayIPcLm3EEEEviT0_T1_
; %bb.0:
	s_clause 0x2
	s_load_b64 s[8:9], s[0:1], 0x0
	s_load_b128 s[4:7], s[0:1], 0x8
	s_load_b64 s[10:11], s[0:1], 0x18
	s_wait_xcnt 0x0
	s_bfe_u32 s0, ttmp6, 0x4000c
	s_and_b32 s1, ttmp6, 15
	s_add_co_i32 s0, s0, 1
	s_getreg_b32 s2, hwreg(HW_REG_IB_STS2, 6, 4)
	s_mul_i32 s0, ttmp9, s0
	s_delay_alu instid0(SALU_CYCLE_1) | instskip(SKIP_2) | instid1(SALU_CYCLE_1)
	s_add_co_i32 s1, s1, s0
	s_cmp_eq_u32 s2, 0
	s_cselect_b32 s0, ttmp9, s1
	s_lshl_b32 s2, s0, 12
	s_mov_b32 s0, -1
	s_wait_kmcnt 0x0
	s_sub_co_i32 s8, s8, s2
	s_delay_alu instid0(SALU_CYCLE_1)
	s_cmp_gt_i32 s8, 0xfff
	s_cbranch_scc0 .LBB131_50
; %bb.1:
	s_ashr_i32 s3, s2, 31
	s_delay_alu instid0(SALU_CYCLE_1)
	s_lshl_b64 s[0:1], s[2:3], 3
	s_cmp_lg_u32 s9, 0
	s_add_nc_u64 s[12:13], s[6:7], s[0:1]
	s_add_nc_u64 s[0:1], s[10:11], s[0:1]
	s_clause 0xf
	global_load_b128 v[58:61], v0, s[12:13] scale_offset
	global_load_b128 v[50:53], v0, s[12:13] offset:4096 scale_offset
	global_load_b128 v[42:45], v0, s[12:13] offset:8192 scale_offset
	;; [unrolled: 1-line block ×7, first 2 shown]
	global_load_b128 v[62:65], v0, s[0:1] scale_offset
	global_load_b128 v[54:57], v0, s[0:1] offset:4096 scale_offset
	global_load_b128 v[46:49], v0, s[0:1] offset:8192 scale_offset
	;; [unrolled: 1-line block ×7, first 2 shown]
	s_wait_xcnt 0x8
	s_cselect_b32 s12, -1, 0
	s_delay_alu instid0(SALU_CYCLE_1)
	s_and_b32 vcc_lo, exec_lo, s12
	s_cbranch_vccz .LBB131_196
; %bb.2:
	s_wait_loadcnt 0x7
	v_cmp_neq_f32_e32 vcc_lo, v58, v62
	s_wait_xcnt 0x0
	v_cmp_neq_f32_e64 s0, v59, v63
	s_or_b32 s1, vcc_lo, s0
	s_cbranch_execnz .LBB131_4
.LBB131_3:
	s_wait_loadcnt 0x7
	v_cmp_eq_f32_e32 vcc_lo, v58, v62
	v_cmp_eq_f32_e64 s0, v59, v63
	s_and_not1_b32 s1, s1, exec_lo
	s_and_b32 s0, vcc_lo, s0
	s_delay_alu instid0(SALU_CYCLE_1) | instskip(NEXT) | instid1(SALU_CYCLE_1)
	s_and_b32 s0, s0, exec_lo
	s_or_b32 s1, s1, s0
.LBB131_4:
	v_cndmask_b32_e64 v1, 0, 1, s12
	s_and_not1_b32 vcc_lo, exec_lo, s12
	s_cbranch_vccnz .LBB131_197
; %bb.5:
	s_wait_loadcnt 0x7
	v_cmp_neq_f32_e32 vcc_lo, v60, v64
	v_cmp_neq_f32_e64 s0, v61, v65
	s_or_b32 s12, vcc_lo, s0
	s_cbranch_execnz .LBB131_7
.LBB131_6:
	s_wait_loadcnt 0x7
	v_cmp_eq_f32_e32 vcc_lo, v60, v64
	v_cmp_eq_f32_e64 s0, v61, v65
	s_and_not1_b32 s12, s12, exec_lo
	s_and_b32 s0, vcc_lo, s0
	s_delay_alu instid0(SALU_CYCLE_1) | instskip(NEXT) | instid1(SALU_CYCLE_1)
	s_and_b32 s0, s0, exec_lo
	s_or_b32 s12, s12, s0
.LBB131_7:
	v_cmp_ne_u32_e32 vcc_lo, 1, v1
	s_cbranch_vccnz .LBB131_198
; %bb.8:
	s_wait_loadcnt 0x6
	v_cmp_neq_f32_e32 vcc_lo, v50, v54
	v_cmp_neq_f32_e64 s0, v51, v55
	s_or_b32 s13, vcc_lo, s0
	s_cbranch_execnz .LBB131_10
.LBB131_9:
	s_wait_loadcnt 0x6
	v_cmp_eq_f32_e32 vcc_lo, v50, v54
	v_cmp_eq_f32_e64 s0, v51, v55
	s_and_not1_b32 s13, s13, exec_lo
	s_and_b32 s0, vcc_lo, s0
	s_delay_alu instid0(SALU_CYCLE_1) | instskip(NEXT) | instid1(SALU_CYCLE_1)
	s_and_b32 s0, s0, exec_lo
	s_or_b32 s13, s13, s0
.LBB131_10:
	v_cmp_ne_u32_e32 vcc_lo, 1, v1
	s_cbranch_vccnz .LBB131_199
; %bb.11:
	s_wait_loadcnt 0x6
	v_cmp_neq_f32_e32 vcc_lo, v52, v56
	v_cmp_neq_f32_e64 s0, v53, v57
	s_or_b32 s14, vcc_lo, s0
	s_cbranch_execnz .LBB131_13
.LBB131_12:
	s_wait_loadcnt 0x6
	v_cmp_eq_f32_e32 vcc_lo, v52, v56
	v_cmp_eq_f32_e64 s0, v53, v57
	s_and_not1_b32 s14, s14, exec_lo
	s_and_b32 s0, vcc_lo, s0
	s_delay_alu instid0(SALU_CYCLE_1) | instskip(NEXT) | instid1(SALU_CYCLE_1)
	s_and_b32 s0, s0, exec_lo
	s_or_b32 s14, s14, s0
.LBB131_13:
	v_cmp_ne_u32_e32 vcc_lo, 1, v1
	s_cbranch_vccnz .LBB131_200
; %bb.14:
	s_wait_loadcnt 0x5
	v_cmp_neq_f32_e32 vcc_lo, v42, v46
	v_cmp_neq_f32_e64 s0, v43, v47
	s_or_b32 s15, vcc_lo, s0
	s_cbranch_execnz .LBB131_16
.LBB131_15:
	s_wait_loadcnt 0x5
	v_cmp_eq_f32_e32 vcc_lo, v42, v46
	v_cmp_eq_f32_e64 s0, v43, v47
	s_and_not1_b32 s15, s15, exec_lo
	s_and_b32 s0, vcc_lo, s0
	s_delay_alu instid0(SALU_CYCLE_1) | instskip(NEXT) | instid1(SALU_CYCLE_1)
	s_and_b32 s0, s0, exec_lo
	s_or_b32 s15, s15, s0
.LBB131_16:
	v_cmp_ne_u32_e32 vcc_lo, 1, v1
	s_cbranch_vccnz .LBB131_201
; %bb.17:
	s_wait_loadcnt 0x5
	v_cmp_neq_f32_e32 vcc_lo, v44, v48
	v_cmp_neq_f32_e64 s0, v45, v49
	s_or_b32 s16, vcc_lo, s0
	s_cbranch_execnz .LBB131_19
.LBB131_18:
	s_wait_loadcnt 0x5
	v_cmp_eq_f32_e32 vcc_lo, v44, v48
	v_cmp_eq_f32_e64 s0, v45, v49
	s_and_not1_b32 s16, s16, exec_lo
	s_and_b32 s0, vcc_lo, s0
	s_delay_alu instid0(SALU_CYCLE_1) | instskip(NEXT) | instid1(SALU_CYCLE_1)
	s_and_b32 s0, s0, exec_lo
	s_or_b32 s16, s16, s0
.LBB131_19:
	v_cmp_ne_u32_e32 vcc_lo, 1, v1
	s_cbranch_vccnz .LBB131_202
; %bb.20:
	s_wait_loadcnt 0x4
	v_cmp_neq_f32_e32 vcc_lo, v34, v38
	v_cmp_neq_f32_e64 s0, v35, v39
	s_or_b32 s17, vcc_lo, s0
	s_cbranch_execnz .LBB131_22
.LBB131_21:
	s_wait_loadcnt 0x4
	v_cmp_eq_f32_e32 vcc_lo, v34, v38
	v_cmp_eq_f32_e64 s0, v35, v39
	s_and_not1_b32 s17, s17, exec_lo
	s_and_b32 s0, vcc_lo, s0
	s_delay_alu instid0(SALU_CYCLE_1) | instskip(NEXT) | instid1(SALU_CYCLE_1)
	s_and_b32 s0, s0, exec_lo
	s_or_b32 s17, s17, s0
.LBB131_22:
	v_cmp_ne_u32_e32 vcc_lo, 1, v1
	s_cbranch_vccnz .LBB131_203
; %bb.23:
	s_wait_loadcnt 0x4
	v_cmp_neq_f32_e32 vcc_lo, v36, v40
	v_cmp_neq_f32_e64 s0, v37, v41
	s_or_b32 s18, vcc_lo, s0
	s_cbranch_execnz .LBB131_25
.LBB131_24:
	s_wait_loadcnt 0x4
	v_cmp_eq_f32_e32 vcc_lo, v36, v40
	v_cmp_eq_f32_e64 s0, v37, v41
	s_and_not1_b32 s18, s18, exec_lo
	s_and_b32 s0, vcc_lo, s0
	s_delay_alu instid0(SALU_CYCLE_1) | instskip(NEXT) | instid1(SALU_CYCLE_1)
	s_and_b32 s0, s0, exec_lo
	s_or_b32 s18, s18, s0
.LBB131_25:
	v_cmp_ne_u32_e32 vcc_lo, 1, v1
	s_cbranch_vccnz .LBB131_204
; %bb.26:
	s_wait_loadcnt 0x3
	v_cmp_neq_f32_e32 vcc_lo, v26, v30
	v_cmp_neq_f32_e64 s0, v27, v31
	s_or_b32 s19, vcc_lo, s0
	s_cbranch_execnz .LBB131_28
.LBB131_27:
	s_wait_loadcnt 0x3
	v_cmp_eq_f32_e32 vcc_lo, v26, v30
	v_cmp_eq_f32_e64 s0, v27, v31
	s_and_not1_b32 s19, s19, exec_lo
	s_and_b32 s0, vcc_lo, s0
	s_delay_alu instid0(SALU_CYCLE_1) | instskip(NEXT) | instid1(SALU_CYCLE_1)
	s_and_b32 s0, s0, exec_lo
	s_or_b32 s19, s19, s0
.LBB131_28:
	v_cmp_ne_u32_e32 vcc_lo, 1, v1
	s_cbranch_vccnz .LBB131_205
; %bb.29:
	s_wait_loadcnt 0x3
	v_cmp_neq_f32_e32 vcc_lo, v28, v32
	v_cmp_neq_f32_e64 s0, v29, v33
	s_or_b32 s20, vcc_lo, s0
	s_cbranch_execnz .LBB131_31
.LBB131_30:
	s_wait_loadcnt 0x3
	v_cmp_eq_f32_e32 vcc_lo, v28, v32
	v_cmp_eq_f32_e64 s0, v29, v33
	s_and_not1_b32 s20, s20, exec_lo
	s_and_b32 s0, vcc_lo, s0
	s_delay_alu instid0(SALU_CYCLE_1) | instskip(NEXT) | instid1(SALU_CYCLE_1)
	s_and_b32 s0, s0, exec_lo
	s_or_b32 s20, s20, s0
.LBB131_31:
	v_cmp_ne_u32_e32 vcc_lo, 1, v1
	s_cbranch_vccnz .LBB131_206
; %bb.32:
	s_wait_loadcnt 0x2
	v_cmp_neq_f32_e32 vcc_lo, v18, v22
	v_cmp_neq_f32_e64 s0, v19, v23
	s_or_b32 s21, vcc_lo, s0
	s_cbranch_execnz .LBB131_34
.LBB131_33:
	s_wait_loadcnt 0x2
	v_cmp_eq_f32_e32 vcc_lo, v18, v22
	v_cmp_eq_f32_e64 s0, v19, v23
	s_and_not1_b32 s21, s21, exec_lo
	s_and_b32 s0, vcc_lo, s0
	s_delay_alu instid0(SALU_CYCLE_1) | instskip(NEXT) | instid1(SALU_CYCLE_1)
	s_and_b32 s0, s0, exec_lo
	s_or_b32 s21, s21, s0
.LBB131_34:
	v_cmp_ne_u32_e32 vcc_lo, 1, v1
	s_cbranch_vccnz .LBB131_207
; %bb.35:
	s_wait_loadcnt 0x2
	v_cmp_neq_f32_e32 vcc_lo, v20, v24
	v_cmp_neq_f32_e64 s0, v21, v25
	s_or_b32 s22, vcc_lo, s0
	s_cbranch_execnz .LBB131_37
.LBB131_36:
	s_wait_loadcnt 0x2
	v_cmp_eq_f32_e32 vcc_lo, v20, v24
	v_cmp_eq_f32_e64 s0, v21, v25
	s_and_not1_b32 s22, s22, exec_lo
	s_and_b32 s0, vcc_lo, s0
	s_delay_alu instid0(SALU_CYCLE_1) | instskip(NEXT) | instid1(SALU_CYCLE_1)
	s_and_b32 s0, s0, exec_lo
	s_or_b32 s22, s22, s0
.LBB131_37:
	v_cmp_ne_u32_e32 vcc_lo, 1, v1
	s_cbranch_vccnz .LBB131_208
; %bb.38:
	s_wait_loadcnt 0x1
	v_cmp_neq_f32_e32 vcc_lo, v10, v14
	v_cmp_neq_f32_e64 s0, v11, v15
	s_or_b32 s23, vcc_lo, s0
	s_cbranch_execnz .LBB131_40
.LBB131_39:
	s_wait_loadcnt 0x1
	v_cmp_eq_f32_e32 vcc_lo, v10, v14
	v_cmp_eq_f32_e64 s0, v11, v15
	s_and_not1_b32 s23, s23, exec_lo
	s_and_b32 s0, vcc_lo, s0
	s_delay_alu instid0(SALU_CYCLE_1) | instskip(NEXT) | instid1(SALU_CYCLE_1)
	s_and_b32 s0, s0, exec_lo
	s_or_b32 s23, s23, s0
.LBB131_40:
	v_cmp_ne_u32_e32 vcc_lo, 1, v1
	s_cbranch_vccnz .LBB131_209
; %bb.41:
	s_wait_loadcnt 0x1
	v_cmp_neq_f32_e32 vcc_lo, v12, v16
	v_cmp_neq_f32_e64 s0, v13, v17
	s_or_b32 s24, vcc_lo, s0
	s_cbranch_execnz .LBB131_43
.LBB131_42:
	s_wait_loadcnt 0x1
	v_cmp_eq_f32_e32 vcc_lo, v12, v16
	v_cmp_eq_f32_e64 s0, v13, v17
	s_and_not1_b32 s24, s24, exec_lo
	s_and_b32 s0, vcc_lo, s0
	s_delay_alu instid0(SALU_CYCLE_1) | instskip(NEXT) | instid1(SALU_CYCLE_1)
	s_and_b32 s0, s0, exec_lo
	s_or_b32 s24, s24, s0
.LBB131_43:
	v_cmp_ne_u32_e32 vcc_lo, 1, v1
	s_cbranch_vccnz .LBB131_210
; %bb.44:
	s_wait_loadcnt 0x0
	v_cmp_neq_f32_e32 vcc_lo, v2, v6
	v_cmp_neq_f32_e64 s0, v3, v7
	s_or_b32 s25, vcc_lo, s0
	s_cbranch_execnz .LBB131_46
.LBB131_45:
	s_wait_loadcnt 0x0
	v_cmp_eq_f32_e32 vcc_lo, v2, v6
	v_cmp_eq_f32_e64 s0, v3, v7
	s_and_not1_b32 s25, s25, exec_lo
	s_and_b32 s0, vcc_lo, s0
	s_delay_alu instid0(SALU_CYCLE_1) | instskip(NEXT) | instid1(SALU_CYCLE_1)
	s_and_b32 s0, s0, exec_lo
	s_or_b32 s25, s25, s0
.LBB131_46:
	v_cmp_ne_u32_e32 vcc_lo, 1, v1
	s_cbranch_vccnz .LBB131_211
; %bb.47:
	s_wait_loadcnt 0x0
	v_cmp_neq_f32_e32 vcc_lo, v4, v8
	v_cmp_neq_f32_e64 s0, v5, v9
	s_or_b32 s26, vcc_lo, s0
	s_cbranch_execnz .LBB131_49
.LBB131_48:
	s_wait_loadcnt 0x0
	v_cmp_eq_f32_e32 vcc_lo, v4, v8
	v_cmp_eq_f32_e64 s0, v5, v9
	s_and_not1_b32 s26, s26, exec_lo
	s_and_b32 s0, vcc_lo, s0
	s_delay_alu instid0(SALU_CYCLE_1) | instskip(NEXT) | instid1(SALU_CYCLE_1)
	s_and_b32 s0, s0, exec_lo
	s_or_b32 s26, s26, s0
.LBB131_49:
	v_cndmask_b32_e64 v1, 0, 1, s23
	s_wait_loadcnt 0x8
	v_cndmask_b32_e64 v2, 0, 0x100, s24
	v_cndmask_b32_e64 v3, 0, 1, s21
	;; [unrolled: 1-line block ×4, first 2 shown]
	s_wait_loadcnt 0x0
	v_cndmask_b32_e64 v6, 0, 0x100, s20
	v_or_b32_e32 v1, v2, v1
	v_cndmask_b32_e64 v9, 0, 1, s1
	v_or_b32_e32 v2, v4, v3
	;; [unrolled: 2-line block ×3, first 2 shown]
	v_cndmask_b32_e64 v5, 0, 0x100, s18
	v_cndmask_b32_e64 v10, 0, 0x100, s12
	;; [unrolled: 1-line block ×7, first 2 shown]
	v_or_b32_e32 v4, v5, v4
	v_cndmask_b32_e64 v5, 0, 0x100, s26
	v_or_b32_e32 v9, v10, v9
	v_or_b32_e32 v8, v11, v8
	;; [unrolled: 1-line block ×3, first 2 shown]
	s_mov_b32 s0, 0
	s_add_nc_u64 s[12:13], s[4:5], s[2:3]
	v_or_b32_e32 v5, v5, v7
	s_clause 0x7
	global_store_b16 v0, v9, s[12:13] scale_offset
	global_store_b16 v0, v8, s[12:13] offset:512 scale_offset
	global_store_b16 v0, v6, s[12:13] offset:1024 scale_offset
	;; [unrolled: 1-line block ×7, first 2 shown]
.LBB131_50:
	s_and_b32 vcc_lo, exec_lo, s0
	s_cbranch_vccz .LBB131_195
; %bb.51:
	v_cmp_gt_i32_e64 s0, s8, v0
	s_wait_xcnt 0x1
	v_dual_mov_b32 v52, 0 :: v_dual_bitop2_b32 v1, s2, v0 bitop3:0x54
	v_or_b32_e32 v66, 0x100, v0
	v_dual_mov_b32 v67, v0 :: v_dual_mov_b32 v62, 0
	v_dual_mov_b32 v63, 0 :: v_dual_mov_b32 v64, 0
	v_mov_b32_e32 v65, 0
	s_wait_xcnt 0x0
	s_and_saveexec_b32 s1, s0
	s_cbranch_execz .LBB131_53
; %bb.52:
	s_clause 0x1
	global_load_b64 v[62:63], v1, s[6:7] scale_offset
	global_load_b64 v[64:65], v1, s[10:11] scale_offset
	v_or_b32_e32 v67, 0x100, v0
.LBB131_53:
	s_wait_xcnt 0x0
	s_or_b32 exec_lo, exec_lo, s1
	v_dual_mov_b32 v53, 0 :: v_dual_mov_b32 v60, 0
	v_mov_b32_e32 v61, 0
	s_mov_b32 s1, exec_lo
	v_cmpx_gt_i32_e64 s8, v67
	s_cbranch_execz .LBB131_55
; %bb.54:
	v_add_nc_u32_e32 v2, s2, v67
	v_add_nc_u32_e32 v67, 0x100, v67
	s_clause 0x1
	global_load_b64 v[52:53], v2, s[6:7] scale_offset
	global_load_b64 v[60:61], v2, s[10:11] scale_offset
.LBB131_55:
	s_wait_xcnt 0x0
	s_or_b32 exec_lo, exec_lo, s1
	v_dual_mov_b32 v44, 0 :: v_dual_mov_b32 v56, 0
	v_dual_mov_b32 v57, 0 :: v_dual_mov_b32 v58, 0
	v_mov_b32_e32 v59, 0
	s_mov_b32 s1, exec_lo
	v_cmpx_gt_i32_e64 s8, v67
	s_cbranch_execz .LBB131_57
; %bb.56:
	v_add_nc_u32_e32 v2, s2, v67
	v_add_nc_u32_e32 v67, 0x100, v67
	s_clause 0x1
	global_load_b64 v[56:57], v2, s[6:7] scale_offset
	global_load_b64 v[58:59], v2, s[10:11] scale_offset
.LBB131_57:
	s_wait_xcnt 0x0
	s_or_b32 exec_lo, exec_lo, s1
	v_dual_mov_b32 v45, 0 :: v_dual_mov_b32 v54, 0
	v_mov_b32_e32 v55, 0
	s_mov_b32 s1, exec_lo
	v_cmpx_gt_i32_e64 s8, v67
	s_cbranch_execz .LBB131_59
; %bb.58:
	v_add_nc_u32_e32 v2, s2, v67
	v_add_nc_u32_e32 v67, 0x100, v67
	s_clause 0x1
	global_load_b64 v[44:45], v2, s[6:7] scale_offset
	global_load_b64 v[54:55], v2, s[10:11] scale_offset
.LBB131_59:
	s_wait_xcnt 0x0
	s_or_b32 exec_lo, exec_lo, s1
	v_dual_mov_b32 v36, 0 :: v_dual_mov_b32 v48, 0
	v_dual_mov_b32 v49, 0 :: v_dual_mov_b32 v50, 0
	v_mov_b32_e32 v51, 0
	s_mov_b32 s1, exec_lo
	v_cmpx_gt_i32_e64 s8, v67
	s_cbranch_execz .LBB131_61
; %bb.60:
	v_add_nc_u32_e32 v2, s2, v67
	v_add_nc_u32_e32 v67, 0x100, v67
	s_clause 0x1
	global_load_b64 v[48:49], v2, s[6:7] scale_offset
	global_load_b64 v[50:51], v2, s[10:11] scale_offset
.LBB131_61:
	;; [unrolled: 29-line block ×7, first 2 shown]
	s_wait_xcnt 0x0
	s_or_b32 exec_lo, exec_lo, s1
	v_dual_mov_b32 v3, 0 :: v_dual_mov_b32 v6, 0
	v_mov_b32_e32 v7, 0
	s_mov_b32 s1, exec_lo
	v_cmpx_gt_i32_e64 s8, v67
	s_cbranch_execz .LBB131_83
; %bb.82:
	v_add_nc_u32_e32 v67, s2, v67
	s_clause 0x1
	global_load_b64 v[2:3], v67, s[6:7] scale_offset
	global_load_b64 v[6:7], v67, s[10:11] scale_offset
.LBB131_83:
	s_wait_xcnt 0x0
	s_or_b32 exec_lo, exec_lo, s1
	s_cmp_lg_u32 s9, 0
                                        ; implicit-def: $vgpr67
	s_cselect_b32 s3, -1, 0
	s_and_saveexec_b32 s6, s0
	s_cbranch_execz .LBB131_88
; %bb.84:
	s_and_b32 vcc_lo, exec_lo, s3
	s_cbranch_vccz .LBB131_212
; %bb.85:
	s_wait_loadcnt 0x0
	v_cmp_neq_f32_e32 vcc_lo, v62, v64
	v_cmp_neq_f32_e64 s1, v63, v65
	s_or_b32 s7, vcc_lo, s1
	s_cbranch_execnz .LBB131_87
.LBB131_86:
	s_wait_loadcnt 0x0
	v_cmp_eq_f32_e32 vcc_lo, v62, v64
	v_cmp_eq_f32_e64 s1, v63, v65
	s_and_not1_b32 s7, s7, exec_lo
	s_and_b32 s1, vcc_lo, s1
	s_delay_alu instid0(SALU_CYCLE_1) | instskip(NEXT) | instid1(SALU_CYCLE_1)
	s_and_b32 s1, s1, exec_lo
	s_or_b32 s7, s7, s1
.LBB131_87:
	s_delay_alu instid0(SALU_CYCLE_1)
	v_cndmask_b32_e64 v67, 0, 1, s7
.LBB131_88:
	s_or_b32 exec_lo, exec_lo, s6
	s_wait_loadcnt 0x1
	v_cndmask_b32_e64 v63, 0, 1, s3
	s_mov_b32 s6, exec_lo
                                        ; implicit-def: $vgpr62
	v_cmpx_gt_i32_e64 s8, v66
	s_cbranch_execz .LBB131_93
; %bb.89:
	s_and_not1_b32 vcc_lo, exec_lo, s3
	s_cbranch_vccnz .LBB131_213
; %bb.90:
	s_wait_loadcnt 0x0
	v_cmp_neq_f32_e32 vcc_lo, v52, v60
	v_cmp_neq_f32_e64 s1, v53, v61
	s_or_b32 s3, vcc_lo, s1
	s_cbranch_execnz .LBB131_92
.LBB131_91:
	s_wait_loadcnt 0x0
	v_cmp_eq_f32_e32 vcc_lo, v52, v60
	v_cmp_eq_f32_e64 s1, v53, v61
	s_and_not1_b32 s3, s3, exec_lo
	s_and_b32 s1, vcc_lo, s1
	s_delay_alu instid0(SALU_CYCLE_1) | instskip(NEXT) | instid1(SALU_CYCLE_1)
	s_and_b32 s1, s1, exec_lo
	s_or_b32 s3, s3, s1
.LBB131_92:
	s_delay_alu instid0(SALU_CYCLE_1)
	v_cndmask_b32_e64 v62, 0, 1, s3
.LBB131_93:
	s_or_b32 exec_lo, exec_lo, s6
	v_or_b32_e32 v52, 0x200, v0
	s_delay_alu instid0(VALU_DEP_1)
	v_cmp_gt_i32_e32 vcc_lo, s8, v52
                                        ; implicit-def: $vgpr52
	s_and_saveexec_b32 s3, vcc_lo
	s_cbranch_execz .LBB131_98
; %bb.94:
	v_cmp_ne_u32_e32 vcc_lo, 1, v63
	s_cbranch_vccnz .LBB131_214
; %bb.95:
	s_wait_loadcnt 0x0
	v_cmp_neq_f32_e32 vcc_lo, v56, v58
	v_cmp_neq_f32_e64 s1, v57, v59
	s_or_b32 s6, vcc_lo, s1
	s_cbranch_execnz .LBB131_97
.LBB131_96:
	s_wait_loadcnt 0x0
	v_cmp_eq_f32_e32 vcc_lo, v56, v58
	v_cmp_eq_f32_e64 s1, v57, v59
	s_and_not1_b32 s6, s6, exec_lo
	s_and_b32 s1, vcc_lo, s1
	s_delay_alu instid0(SALU_CYCLE_1) | instskip(NEXT) | instid1(SALU_CYCLE_1)
	s_and_b32 s1, s1, exec_lo
	s_or_b32 s6, s6, s1
.LBB131_97:
	s_delay_alu instid0(SALU_CYCLE_1)
	v_cndmask_b32_e64 v52, 0, 1, s6
.LBB131_98:
	s_or_b32 exec_lo, exec_lo, s3
	v_or_b32_e32 v53, 0x300, v0
	s_delay_alu instid0(VALU_DEP_1)
	v_cmp_gt_i32_e32 vcc_lo, s8, v53
                                        ; implicit-def: $vgpr53
	s_and_saveexec_b32 s3, vcc_lo
	s_cbranch_execz .LBB131_103
; %bb.99:
	v_cmp_ne_u32_e32 vcc_lo, 1, v63
	s_cbranch_vccnz .LBB131_215
; %bb.100:
	s_wait_loadcnt 0x0
	v_cmp_neq_f32_e32 vcc_lo, v44, v54
	v_cmp_neq_f32_e64 s1, v45, v55
	s_or_b32 s6, vcc_lo, s1
	s_cbranch_execnz .LBB131_102
.LBB131_101:
	s_wait_loadcnt 0x0
	v_cmp_eq_f32_e32 vcc_lo, v44, v54
	v_cmp_eq_f32_e64 s1, v45, v55
	s_and_not1_b32 s6, s6, exec_lo
	s_and_b32 s1, vcc_lo, s1
	s_delay_alu instid0(SALU_CYCLE_1) | instskip(NEXT) | instid1(SALU_CYCLE_1)
	s_and_b32 s1, s1, exec_lo
	s_or_b32 s6, s6, s1
.LBB131_102:
	s_delay_alu instid0(SALU_CYCLE_1)
	v_cndmask_b32_e64 v53, 0, 1, s6
.LBB131_103:
	s_or_b32 exec_lo, exec_lo, s3
	v_or_b32_e32 v44, 0x400, v0
	s_delay_alu instid0(VALU_DEP_1)
	v_cmp_gt_i32_e32 vcc_lo, s8, v44
                                        ; implicit-def: $vgpr44
	s_and_saveexec_b32 s3, vcc_lo
	s_cbranch_execz .LBB131_108
; %bb.104:
	v_cmp_ne_u32_e32 vcc_lo, 1, v63
	s_cbranch_vccnz .LBB131_216
; %bb.105:
	s_wait_loadcnt 0x0
	v_cmp_neq_f32_e32 vcc_lo, v48, v50
	v_cmp_neq_f32_e64 s1, v49, v51
	s_or_b32 s6, vcc_lo, s1
	s_cbranch_execnz .LBB131_107
.LBB131_106:
	s_wait_loadcnt 0x0
	v_cmp_eq_f32_e32 vcc_lo, v48, v50
	v_cmp_eq_f32_e64 s1, v49, v51
	s_and_not1_b32 s6, s6, exec_lo
	s_and_b32 s1, vcc_lo, s1
	s_delay_alu instid0(SALU_CYCLE_1) | instskip(NEXT) | instid1(SALU_CYCLE_1)
	s_and_b32 s1, s1, exec_lo
	s_or_b32 s6, s6, s1
.LBB131_107:
	s_delay_alu instid0(SALU_CYCLE_1)
	v_cndmask_b32_e64 v44, 0, 1, s6
.LBB131_108:
	s_or_b32 exec_lo, exec_lo, s3
	v_or_b32_e32 v45, 0x500, v0
	s_delay_alu instid0(VALU_DEP_1)
	v_cmp_gt_i32_e32 vcc_lo, s8, v45
                                        ; implicit-def: $vgpr45
	s_and_saveexec_b32 s3, vcc_lo
	s_cbranch_execz .LBB131_113
; %bb.109:
	v_cmp_ne_u32_e32 vcc_lo, 1, v63
	s_cbranch_vccnz .LBB131_217
; %bb.110:
	s_wait_loadcnt 0x0
	v_cmp_neq_f32_e32 vcc_lo, v36, v46
	v_cmp_neq_f32_e64 s1, v37, v47
	s_or_b32 s6, vcc_lo, s1
	s_cbranch_execnz .LBB131_112
.LBB131_111:
	s_wait_loadcnt 0x0
	v_cmp_eq_f32_e32 vcc_lo, v36, v46
	v_cmp_eq_f32_e64 s1, v37, v47
	s_and_not1_b32 s6, s6, exec_lo
	s_and_b32 s1, vcc_lo, s1
	s_delay_alu instid0(SALU_CYCLE_1) | instskip(NEXT) | instid1(SALU_CYCLE_1)
	s_and_b32 s1, s1, exec_lo
	s_or_b32 s6, s6, s1
.LBB131_112:
	s_delay_alu instid0(SALU_CYCLE_1)
	v_cndmask_b32_e64 v45, 0, 1, s6
.LBB131_113:
	s_or_b32 exec_lo, exec_lo, s3
	v_or_b32_e32 v36, 0x600, v0
	s_delay_alu instid0(VALU_DEP_1)
	v_cmp_gt_i32_e32 vcc_lo, s8, v36
                                        ; implicit-def: $vgpr36
	s_and_saveexec_b32 s3, vcc_lo
	s_cbranch_execz .LBB131_118
; %bb.114:
	v_cmp_ne_u32_e32 vcc_lo, 1, v63
	s_cbranch_vccnz .LBB131_218
; %bb.115:
	s_wait_loadcnt 0x0
	v_cmp_neq_f32_e32 vcc_lo, v40, v42
	v_cmp_neq_f32_e64 s1, v41, v43
	s_or_b32 s6, vcc_lo, s1
	s_cbranch_execnz .LBB131_117
.LBB131_116:
	s_wait_loadcnt 0x0
	v_cmp_eq_f32_e32 vcc_lo, v40, v42
	v_cmp_eq_f32_e64 s1, v41, v43
	s_and_not1_b32 s6, s6, exec_lo
	s_and_b32 s1, vcc_lo, s1
	s_delay_alu instid0(SALU_CYCLE_1) | instskip(NEXT) | instid1(SALU_CYCLE_1)
	s_and_b32 s1, s1, exec_lo
	s_or_b32 s6, s6, s1
.LBB131_117:
	s_delay_alu instid0(SALU_CYCLE_1)
	v_cndmask_b32_e64 v36, 0, 1, s6
.LBB131_118:
	s_or_b32 exec_lo, exec_lo, s3
	v_or_b32_e32 v37, 0x700, v0
	s_delay_alu instid0(VALU_DEP_1)
	v_cmp_gt_i32_e32 vcc_lo, s8, v37
                                        ; implicit-def: $vgpr37
	s_and_saveexec_b32 s3, vcc_lo
	s_cbranch_execz .LBB131_123
; %bb.119:
	v_cmp_ne_u32_e32 vcc_lo, 1, v63
	s_cbranch_vccnz .LBB131_219
; %bb.120:
	s_wait_loadcnt 0x0
	v_cmp_neq_f32_e32 vcc_lo, v28, v38
	v_cmp_neq_f32_e64 s1, v29, v39
	s_or_b32 s6, vcc_lo, s1
	s_cbranch_execnz .LBB131_122
.LBB131_121:
	s_wait_loadcnt 0x0
	v_cmp_eq_f32_e32 vcc_lo, v28, v38
	v_cmp_eq_f32_e64 s1, v29, v39
	s_and_not1_b32 s6, s6, exec_lo
	s_and_b32 s1, vcc_lo, s1
	s_delay_alu instid0(SALU_CYCLE_1) | instskip(NEXT) | instid1(SALU_CYCLE_1)
	s_and_b32 s1, s1, exec_lo
	s_or_b32 s6, s6, s1
.LBB131_122:
	s_delay_alu instid0(SALU_CYCLE_1)
	v_cndmask_b32_e64 v37, 0, 1, s6
.LBB131_123:
	s_or_b32 exec_lo, exec_lo, s3
	v_or_b32_e32 v28, 0x800, v0
	s_delay_alu instid0(VALU_DEP_1)
	v_cmp_gt_i32_e32 vcc_lo, s8, v28
                                        ; implicit-def: $vgpr28
	s_and_saveexec_b32 s3, vcc_lo
	s_cbranch_execz .LBB131_128
; %bb.124:
	v_cmp_ne_u32_e32 vcc_lo, 1, v63
	s_cbranch_vccnz .LBB131_220
; %bb.125:
	s_wait_loadcnt 0x0
	v_cmp_neq_f32_e32 vcc_lo, v32, v34
	v_cmp_neq_f32_e64 s1, v33, v35
	s_or_b32 s6, vcc_lo, s1
	s_cbranch_execnz .LBB131_127
.LBB131_126:
	s_wait_loadcnt 0x0
	v_cmp_eq_f32_e32 vcc_lo, v32, v34
	v_cmp_eq_f32_e64 s1, v33, v35
	s_and_not1_b32 s6, s6, exec_lo
	s_and_b32 s1, vcc_lo, s1
	s_delay_alu instid0(SALU_CYCLE_1) | instskip(NEXT) | instid1(SALU_CYCLE_1)
	s_and_b32 s1, s1, exec_lo
	s_or_b32 s6, s6, s1
.LBB131_127:
	s_delay_alu instid0(SALU_CYCLE_1)
	v_cndmask_b32_e64 v28, 0, 1, s6
.LBB131_128:
	s_or_b32 exec_lo, exec_lo, s3
	v_or_b32_e32 v29, 0x900, v0
	s_delay_alu instid0(VALU_DEP_1)
	v_cmp_gt_i32_e32 vcc_lo, s8, v29
                                        ; implicit-def: $vgpr29
	s_and_saveexec_b32 s3, vcc_lo
	s_cbranch_execz .LBB131_133
; %bb.129:
	v_cmp_ne_u32_e32 vcc_lo, 1, v63
	s_cbranch_vccnz .LBB131_221
; %bb.130:
	s_wait_loadcnt 0x0
	v_cmp_neq_f32_e32 vcc_lo, v20, v30
	v_cmp_neq_f32_e64 s1, v21, v31
	s_or_b32 s6, vcc_lo, s1
	s_cbranch_execnz .LBB131_132
.LBB131_131:
	s_wait_loadcnt 0x0
	v_cmp_eq_f32_e32 vcc_lo, v20, v30
	v_cmp_eq_f32_e64 s1, v21, v31
	s_and_not1_b32 s6, s6, exec_lo
	s_and_b32 s1, vcc_lo, s1
	s_delay_alu instid0(SALU_CYCLE_1) | instskip(NEXT) | instid1(SALU_CYCLE_1)
	s_and_b32 s1, s1, exec_lo
	s_or_b32 s6, s6, s1
.LBB131_132:
	s_delay_alu instid0(SALU_CYCLE_1)
	v_cndmask_b32_e64 v29, 0, 1, s6
.LBB131_133:
	s_or_b32 exec_lo, exec_lo, s3
	v_or_b32_e32 v20, 0xa00, v0
	s_delay_alu instid0(VALU_DEP_1)
	v_cmp_gt_i32_e32 vcc_lo, s8, v20
                                        ; implicit-def: $vgpr20
	s_and_saveexec_b32 s3, vcc_lo
	s_cbranch_execz .LBB131_138
; %bb.134:
	v_cmp_ne_u32_e32 vcc_lo, 1, v63
	s_cbranch_vccnz .LBB131_222
; %bb.135:
	s_wait_loadcnt 0x0
	v_cmp_neq_f32_e32 vcc_lo, v24, v26
	v_cmp_neq_f32_e64 s1, v25, v27
	s_or_b32 s6, vcc_lo, s1
	s_cbranch_execnz .LBB131_137
.LBB131_136:
	s_wait_loadcnt 0x0
	v_cmp_eq_f32_e32 vcc_lo, v24, v26
	v_cmp_eq_f32_e64 s1, v25, v27
	s_and_not1_b32 s6, s6, exec_lo
	s_and_b32 s1, vcc_lo, s1
	s_delay_alu instid0(SALU_CYCLE_1) | instskip(NEXT) | instid1(SALU_CYCLE_1)
	s_and_b32 s1, s1, exec_lo
	s_or_b32 s6, s6, s1
.LBB131_137:
	s_delay_alu instid0(SALU_CYCLE_1)
	v_cndmask_b32_e64 v20, 0, 1, s6
.LBB131_138:
	s_or_b32 exec_lo, exec_lo, s3
	v_or_b32_e32 v21, 0xb00, v0
	s_delay_alu instid0(VALU_DEP_1)
	v_cmp_gt_i32_e32 vcc_lo, s8, v21
                                        ; implicit-def: $vgpr21
	s_and_saveexec_b32 s3, vcc_lo
	s_cbranch_execz .LBB131_143
; %bb.139:
	v_cmp_ne_u32_e32 vcc_lo, 1, v63
	s_cbranch_vccnz .LBB131_223
; %bb.140:
	s_wait_loadcnt 0x0
	v_cmp_neq_f32_e32 vcc_lo, v12, v22
	v_cmp_neq_f32_e64 s1, v13, v23
	s_or_b32 s6, vcc_lo, s1
	s_cbranch_execnz .LBB131_142
.LBB131_141:
	s_wait_loadcnt 0x0
	v_cmp_eq_f32_e32 vcc_lo, v12, v22
	v_cmp_eq_f32_e64 s1, v13, v23
	s_and_not1_b32 s6, s6, exec_lo
	s_and_b32 s1, vcc_lo, s1
	s_delay_alu instid0(SALU_CYCLE_1) | instskip(NEXT) | instid1(SALU_CYCLE_1)
	s_and_b32 s1, s1, exec_lo
	s_or_b32 s6, s6, s1
.LBB131_142:
	s_delay_alu instid0(SALU_CYCLE_1)
	v_cndmask_b32_e64 v21, 0, 1, s6
.LBB131_143:
	s_or_b32 exec_lo, exec_lo, s3
	v_or_b32_e32 v12, 0xc00, v0
	s_delay_alu instid0(VALU_DEP_1)
	v_cmp_gt_i32_e32 vcc_lo, s8, v12
                                        ; implicit-def: $vgpr12
	s_and_saveexec_b32 s3, vcc_lo
	s_cbranch_execz .LBB131_148
; %bb.144:
	v_cmp_ne_u32_e32 vcc_lo, 1, v63
	s_cbranch_vccnz .LBB131_224
; %bb.145:
	s_wait_loadcnt 0x0
	v_cmp_neq_f32_e32 vcc_lo, v16, v18
	v_cmp_neq_f32_e64 s1, v17, v19
	s_or_b32 s6, vcc_lo, s1
	s_cbranch_execnz .LBB131_147
.LBB131_146:
	s_wait_loadcnt 0x0
	v_cmp_eq_f32_e32 vcc_lo, v16, v18
	v_cmp_eq_f32_e64 s1, v17, v19
	s_and_not1_b32 s6, s6, exec_lo
	s_and_b32 s1, vcc_lo, s1
	s_delay_alu instid0(SALU_CYCLE_1) | instskip(NEXT) | instid1(SALU_CYCLE_1)
	s_and_b32 s1, s1, exec_lo
	s_or_b32 s6, s6, s1
.LBB131_147:
	s_delay_alu instid0(SALU_CYCLE_1)
	v_cndmask_b32_e64 v12, 0, 1, s6
.LBB131_148:
	s_or_b32 exec_lo, exec_lo, s3
	v_or_b32_e32 v13, 0xd00, v0
	s_delay_alu instid0(VALU_DEP_1)
	v_cmp_gt_i32_e32 vcc_lo, s8, v13
                                        ; implicit-def: $vgpr13
	s_and_saveexec_b32 s3, vcc_lo
	s_cbranch_execz .LBB131_153
; %bb.149:
	v_cmp_ne_u32_e32 vcc_lo, 1, v63
	s_cbranch_vccnz .LBB131_225
; %bb.150:
	s_wait_loadcnt 0x0
	v_cmp_neq_f32_e32 vcc_lo, v4, v14
	v_cmp_neq_f32_e64 s1, v5, v15
	s_or_b32 s6, vcc_lo, s1
	s_cbranch_execnz .LBB131_152
.LBB131_151:
	s_wait_loadcnt 0x0
	v_cmp_eq_f32_e32 vcc_lo, v4, v14
	v_cmp_eq_f32_e64 s1, v5, v15
	s_and_not1_b32 s6, s6, exec_lo
	s_and_b32 s1, vcc_lo, s1
	s_delay_alu instid0(SALU_CYCLE_1) | instskip(NEXT) | instid1(SALU_CYCLE_1)
	s_and_b32 s1, s1, exec_lo
	s_or_b32 s6, s6, s1
.LBB131_152:
	s_delay_alu instid0(SALU_CYCLE_1)
	v_cndmask_b32_e64 v13, 0, 1, s6
.LBB131_153:
	s_or_b32 exec_lo, exec_lo, s3
	v_or_b32_e32 v4, 0xe00, v0
	s_delay_alu instid0(VALU_DEP_1)
	v_cmp_gt_i32_e32 vcc_lo, s8, v4
                                        ; implicit-def: $vgpr4
	s_and_saveexec_b32 s3, vcc_lo
	s_cbranch_execz .LBB131_158
; %bb.154:
	v_cmp_ne_u32_e32 vcc_lo, 1, v63
	s_cbranch_vccnz .LBB131_226
; %bb.155:
	s_wait_loadcnt 0x0
	v_cmp_neq_f32_e32 vcc_lo, v8, v10
	v_cmp_neq_f32_e64 s1, v9, v11
	s_or_b32 s6, vcc_lo, s1
	s_cbranch_execnz .LBB131_157
.LBB131_156:
	s_wait_loadcnt 0x0
	v_cmp_eq_f32_e32 vcc_lo, v8, v10
	v_cmp_eq_f32_e64 s1, v9, v11
	s_and_not1_b32 s6, s6, exec_lo
	s_and_b32 s1, vcc_lo, s1
	s_delay_alu instid0(SALU_CYCLE_1) | instskip(NEXT) | instid1(SALU_CYCLE_1)
	s_and_b32 s1, s1, exec_lo
	s_or_b32 s6, s6, s1
.LBB131_157:
	s_delay_alu instid0(SALU_CYCLE_1)
	v_cndmask_b32_e64 v4, 0, 1, s6
.LBB131_158:
	s_or_b32 exec_lo, exec_lo, s3
	v_or_b32_e32 v5, 0xf00, v0
	s_delay_alu instid0(VALU_DEP_1)
	v_cmp_gt_i32_e32 vcc_lo, s8, v5
                                        ; implicit-def: $vgpr5
	s_and_saveexec_b32 s3, vcc_lo
	s_cbranch_execz .LBB131_163
; %bb.159:
	v_cmp_ne_u32_e32 vcc_lo, 1, v63
	s_cbranch_vccnz .LBB131_227
; %bb.160:
	s_wait_loadcnt 0x0
	v_cmp_neq_f32_e32 vcc_lo, v2, v6
	v_cmp_neq_f32_e64 s1, v3, v7
	s_or_b32 s6, vcc_lo, s1
	s_cbranch_execnz .LBB131_162
.LBB131_161:
	s_wait_loadcnt 0x0
	v_cmp_eq_f32_e32 vcc_lo, v2, v6
	v_cmp_eq_f32_e64 s1, v3, v7
	s_and_not1_b32 s6, s6, exec_lo
	s_and_b32 s1, vcc_lo, s1
	s_delay_alu instid0(SALU_CYCLE_1) | instskip(NEXT) | instid1(SALU_CYCLE_1)
	s_and_b32 s1, s1, exec_lo
	s_or_b32 s6, s6, s1
.LBB131_162:
	s_delay_alu instid0(SALU_CYCLE_1)
	v_cndmask_b32_e64 v5, 0, 1, s6
.LBB131_163:
	s_or_b32 exec_lo, exec_lo, s3
	s_and_saveexec_b32 s1, s0
	s_delay_alu instid0(SALU_CYCLE_1)
	s_xor_b32 s0, exec_lo, s1
	s_cbranch_execz .LBB131_165
; %bb.164:
	v_mov_b32_e32 v0, v66
	global_store_b8 v1, v67, s[4:5]
.LBB131_165:
	s_wait_xcnt 0x0
	s_or_b32 exec_lo, exec_lo, s0
	s_delay_alu instid0(SALU_CYCLE_1)
	s_mov_b32 s0, exec_lo
	v_cmpx_gt_i32_e64 s8, v0
	s_cbranch_execnz .LBB131_181
; %bb.166:
	s_or_b32 exec_lo, exec_lo, s0
	s_delay_alu instid0(SALU_CYCLE_1)
	s_mov_b32 s0, exec_lo
	v_cmpx_gt_i32_e64 s8, v0
	s_cbranch_execnz .LBB131_182
.LBB131_167:
	s_or_b32 exec_lo, exec_lo, s0
	s_delay_alu instid0(SALU_CYCLE_1)
	s_mov_b32 s0, exec_lo
	v_cmpx_gt_i32_e64 s8, v0
	s_cbranch_execnz .LBB131_183
.LBB131_168:
	s_or_b32 exec_lo, exec_lo, s0
	s_delay_alu instid0(SALU_CYCLE_1)
	s_mov_b32 s0, exec_lo
	v_cmpx_gt_i32_e64 s8, v0
	s_cbranch_execnz .LBB131_184
.LBB131_169:
	s_or_b32 exec_lo, exec_lo, s0
	s_delay_alu instid0(SALU_CYCLE_1)
	s_mov_b32 s0, exec_lo
	v_cmpx_gt_i32_e64 s8, v0
	s_cbranch_execnz .LBB131_185
.LBB131_170:
	s_or_b32 exec_lo, exec_lo, s0
	s_delay_alu instid0(SALU_CYCLE_1)
	s_mov_b32 s0, exec_lo
	v_cmpx_gt_i32_e64 s8, v0
	s_cbranch_execnz .LBB131_186
.LBB131_171:
	s_or_b32 exec_lo, exec_lo, s0
	s_delay_alu instid0(SALU_CYCLE_1)
	s_mov_b32 s0, exec_lo
	v_cmpx_gt_i32_e64 s8, v0
	s_cbranch_execnz .LBB131_187
.LBB131_172:
	s_or_b32 exec_lo, exec_lo, s0
	s_delay_alu instid0(SALU_CYCLE_1)
	s_mov_b32 s0, exec_lo
	v_cmpx_gt_i32_e64 s8, v0
	s_cbranch_execnz .LBB131_188
.LBB131_173:
	s_or_b32 exec_lo, exec_lo, s0
	s_delay_alu instid0(SALU_CYCLE_1)
	s_mov_b32 s0, exec_lo
	v_cmpx_gt_i32_e64 s8, v0
	s_cbranch_execnz .LBB131_189
.LBB131_174:
	s_or_b32 exec_lo, exec_lo, s0
	s_delay_alu instid0(SALU_CYCLE_1)
	s_mov_b32 s0, exec_lo
	v_cmpx_gt_i32_e64 s8, v0
	s_cbranch_execnz .LBB131_190
.LBB131_175:
	s_or_b32 exec_lo, exec_lo, s0
	s_delay_alu instid0(SALU_CYCLE_1)
	s_mov_b32 s0, exec_lo
	v_cmpx_gt_i32_e64 s8, v0
	s_cbranch_execnz .LBB131_191
.LBB131_176:
	s_or_b32 exec_lo, exec_lo, s0
	s_delay_alu instid0(SALU_CYCLE_1)
	s_mov_b32 s0, exec_lo
	v_cmpx_gt_i32_e64 s8, v0
	s_cbranch_execnz .LBB131_192
.LBB131_177:
	s_or_b32 exec_lo, exec_lo, s0
	s_delay_alu instid0(SALU_CYCLE_1)
	s_mov_b32 s0, exec_lo
	v_cmpx_gt_i32_e64 s8, v0
	s_cbranch_execnz .LBB131_193
.LBB131_178:
	s_or_b32 exec_lo, exec_lo, s0
	s_delay_alu instid0(SALU_CYCLE_1)
	s_mov_b32 s0, exec_lo
	v_cmpx_gt_i32_e64 s8, v0
	s_cbranch_execnz .LBB131_194
.LBB131_179:
	s_or_b32 exec_lo, exec_lo, s0
	s_delay_alu instid0(SALU_CYCLE_1)
	s_mov_b32 s0, exec_lo
	v_cmpx_gt_i32_e64 s8, v0
	s_cbranch_execz .LBB131_195
.LBB131_180:
	v_add_nc_u32_e32 v0, s2, v0
	global_store_b8 v0, v5, s[4:5]
	s_sendmsg sendmsg(MSG_DEALLOC_VGPRS)
	s_endpgm
.LBB131_181:
	v_add_nc_u32_e32 v1, s2, v0
	v_add_nc_u32_e32 v0, 0x100, v0
	global_store_b8 v1, v62, s[4:5]
	s_wait_xcnt 0x0
	s_or_b32 exec_lo, exec_lo, s0
	s_delay_alu instid0(SALU_CYCLE_1)
	s_mov_b32 s0, exec_lo
	v_cmpx_gt_i32_e64 s8, v0
	s_cbranch_execz .LBB131_167
.LBB131_182:
	v_add_nc_u32_e32 v1, s2, v0
	v_add_nc_u32_e32 v0, 0x100, v0
	global_store_b8 v1, v52, s[4:5]
	s_wait_xcnt 0x0
	s_or_b32 exec_lo, exec_lo, s0
	s_delay_alu instid0(SALU_CYCLE_1)
	s_mov_b32 s0, exec_lo
	v_cmpx_gt_i32_e64 s8, v0
	s_cbranch_execz .LBB131_168
.LBB131_183:
	v_add_nc_u32_e32 v1, s2, v0
	v_add_nc_u32_e32 v0, 0x100, v0
	global_store_b8 v1, v53, s[4:5]
	s_wait_xcnt 0x0
	s_or_b32 exec_lo, exec_lo, s0
	s_delay_alu instid0(SALU_CYCLE_1)
	s_mov_b32 s0, exec_lo
	v_cmpx_gt_i32_e64 s8, v0
	s_cbranch_execz .LBB131_169
.LBB131_184:
	v_add_nc_u32_e32 v1, s2, v0
	v_add_nc_u32_e32 v0, 0x100, v0
	global_store_b8 v1, v44, s[4:5]
	s_wait_xcnt 0x0
	s_or_b32 exec_lo, exec_lo, s0
	s_delay_alu instid0(SALU_CYCLE_1)
	s_mov_b32 s0, exec_lo
	v_cmpx_gt_i32_e64 s8, v0
	s_cbranch_execz .LBB131_170
.LBB131_185:
	v_add_nc_u32_e32 v1, s2, v0
	v_add_nc_u32_e32 v0, 0x100, v0
	global_store_b8 v1, v45, s[4:5]
	s_wait_xcnt 0x0
	s_or_b32 exec_lo, exec_lo, s0
	s_delay_alu instid0(SALU_CYCLE_1)
	s_mov_b32 s0, exec_lo
	v_cmpx_gt_i32_e64 s8, v0
	s_cbranch_execz .LBB131_171
.LBB131_186:
	v_add_nc_u32_e32 v1, s2, v0
	v_add_nc_u32_e32 v0, 0x100, v0
	global_store_b8 v1, v36, s[4:5]
	s_wait_xcnt 0x0
	s_or_b32 exec_lo, exec_lo, s0
	s_delay_alu instid0(SALU_CYCLE_1)
	s_mov_b32 s0, exec_lo
	v_cmpx_gt_i32_e64 s8, v0
	s_cbranch_execz .LBB131_172
.LBB131_187:
	v_add_nc_u32_e32 v1, s2, v0
	v_add_nc_u32_e32 v0, 0x100, v0
	global_store_b8 v1, v37, s[4:5]
	s_wait_xcnt 0x0
	s_or_b32 exec_lo, exec_lo, s0
	s_delay_alu instid0(SALU_CYCLE_1)
	s_mov_b32 s0, exec_lo
	v_cmpx_gt_i32_e64 s8, v0
	s_cbranch_execz .LBB131_173
.LBB131_188:
	v_add_nc_u32_e32 v1, s2, v0
	v_add_nc_u32_e32 v0, 0x100, v0
	global_store_b8 v1, v28, s[4:5]
	s_wait_xcnt 0x0
	s_or_b32 exec_lo, exec_lo, s0
	s_delay_alu instid0(SALU_CYCLE_1)
	s_mov_b32 s0, exec_lo
	v_cmpx_gt_i32_e64 s8, v0
	s_cbranch_execz .LBB131_174
.LBB131_189:
	v_add_nc_u32_e32 v1, s2, v0
	v_add_nc_u32_e32 v0, 0x100, v0
	global_store_b8 v1, v29, s[4:5]
	s_wait_xcnt 0x0
	s_or_b32 exec_lo, exec_lo, s0
	s_delay_alu instid0(SALU_CYCLE_1)
	s_mov_b32 s0, exec_lo
	v_cmpx_gt_i32_e64 s8, v0
	s_cbranch_execz .LBB131_175
.LBB131_190:
	v_add_nc_u32_e32 v1, s2, v0
	v_add_nc_u32_e32 v0, 0x100, v0
	global_store_b8 v1, v20, s[4:5]
	s_wait_xcnt 0x0
	s_or_b32 exec_lo, exec_lo, s0
	s_delay_alu instid0(SALU_CYCLE_1)
	s_mov_b32 s0, exec_lo
	v_cmpx_gt_i32_e64 s8, v0
	s_cbranch_execz .LBB131_176
.LBB131_191:
	v_add_nc_u32_e32 v1, s2, v0
	v_add_nc_u32_e32 v0, 0x100, v0
	global_store_b8 v1, v21, s[4:5]
	s_wait_xcnt 0x0
	s_or_b32 exec_lo, exec_lo, s0
	s_delay_alu instid0(SALU_CYCLE_1)
	s_mov_b32 s0, exec_lo
	v_cmpx_gt_i32_e64 s8, v0
	s_cbranch_execz .LBB131_177
.LBB131_192:
	v_add_nc_u32_e32 v1, s2, v0
	v_add_nc_u32_e32 v0, 0x100, v0
	global_store_b8 v1, v12, s[4:5]
	s_wait_xcnt 0x0
	s_or_b32 exec_lo, exec_lo, s0
	s_delay_alu instid0(SALU_CYCLE_1)
	s_mov_b32 s0, exec_lo
	v_cmpx_gt_i32_e64 s8, v0
	s_cbranch_execz .LBB131_178
.LBB131_193:
	v_add_nc_u32_e32 v1, s2, v0
	v_add_nc_u32_e32 v0, 0x100, v0
	global_store_b8 v1, v13, s[4:5]
	s_wait_xcnt 0x0
	s_or_b32 exec_lo, exec_lo, s0
	s_delay_alu instid0(SALU_CYCLE_1)
	s_mov_b32 s0, exec_lo
	v_cmpx_gt_i32_e64 s8, v0
	s_cbranch_execz .LBB131_179
.LBB131_194:
	v_add_nc_u32_e32 v1, s2, v0
	v_add_nc_u32_e32 v0, 0x100, v0
	global_store_b8 v1, v4, s[4:5]
	s_wait_xcnt 0x0
	s_or_b32 exec_lo, exec_lo, s0
	s_delay_alu instid0(SALU_CYCLE_1)
	s_mov_b32 s0, exec_lo
	v_cmpx_gt_i32_e64 s8, v0
	s_cbranch_execnz .LBB131_180
.LBB131_195:
	s_sendmsg sendmsg(MSG_DEALLOC_VGPRS)
	s_endpgm
.LBB131_196:
	s_wait_xcnt 0x0
                                        ; implicit-def: $sgpr1
	s_branch .LBB131_3
.LBB131_197:
                                        ; implicit-def: $sgpr12
	s_branch .LBB131_6
.LBB131_198:
                                        ; implicit-def: $sgpr13
	s_branch .LBB131_9
.LBB131_199:
                                        ; implicit-def: $sgpr14
	s_branch .LBB131_12
.LBB131_200:
                                        ; implicit-def: $sgpr15
	s_branch .LBB131_15
.LBB131_201:
                                        ; implicit-def: $sgpr16
	s_branch .LBB131_18
.LBB131_202:
                                        ; implicit-def: $sgpr17
	s_branch .LBB131_21
.LBB131_203:
                                        ; implicit-def: $sgpr18
	s_branch .LBB131_24
.LBB131_204:
                                        ; implicit-def: $sgpr19
	s_branch .LBB131_27
.LBB131_205:
                                        ; implicit-def: $sgpr20
	s_branch .LBB131_30
.LBB131_206:
                                        ; implicit-def: $sgpr21
	s_branch .LBB131_33
.LBB131_207:
                                        ; implicit-def: $sgpr22
	s_branch .LBB131_36
.LBB131_208:
                                        ; implicit-def: $sgpr23
	s_branch .LBB131_39
.LBB131_209:
                                        ; implicit-def: $sgpr24
	s_branch .LBB131_42
.LBB131_210:
                                        ; implicit-def: $sgpr25
	s_branch .LBB131_45
.LBB131_211:
                                        ; implicit-def: $sgpr26
	s_branch .LBB131_48
.LBB131_212:
                                        ; implicit-def: $sgpr7
	s_branch .LBB131_86
.LBB131_213:
                                        ; implicit-def: $sgpr3
	s_branch .LBB131_91
.LBB131_214:
                                        ; implicit-def: $sgpr6
	s_branch .LBB131_96
.LBB131_215:
                                        ; implicit-def: $sgpr6
	s_branch .LBB131_101
.LBB131_216:
                                        ; implicit-def: $sgpr6
	s_branch .LBB131_106
.LBB131_217:
                                        ; implicit-def: $sgpr6
	s_branch .LBB131_111
.LBB131_218:
                                        ; implicit-def: $sgpr6
	s_branch .LBB131_116
.LBB131_219:
                                        ; implicit-def: $sgpr6
	s_branch .LBB131_121
.LBB131_220:
                                        ; implicit-def: $sgpr6
	s_branch .LBB131_126
.LBB131_221:
                                        ; implicit-def: $sgpr6
	s_branch .LBB131_131
.LBB131_222:
                                        ; implicit-def: $sgpr6
	s_branch .LBB131_136
.LBB131_223:
                                        ; implicit-def: $sgpr6
	s_branch .LBB131_141
.LBB131_224:
                                        ; implicit-def: $sgpr6
	s_branch .LBB131_146
.LBB131_225:
                                        ; implicit-def: $sgpr6
	s_branch .LBB131_151
.LBB131_226:
                                        ; implicit-def: $sgpr6
	s_branch .LBB131_156
.LBB131_227:
                                        ; implicit-def: $sgpr6
	s_branch .LBB131_161
	.section	.rodata,"a",@progbits
	.p2align	6, 0x0
	.amdhsa_kernel _ZN2at6native29vectorized_elementwise_kernelILi2ENS0_13BinaryFunctorIN3c107complexIfEES5_bNS0_12_GLOBAL__N_116CompareEqFunctorIS5_EEEESt5arrayIPcLm3EEEEviT0_T1_
		.amdhsa_group_segment_fixed_size 0
		.amdhsa_private_segment_fixed_size 0
		.amdhsa_kernarg_size 32
		.amdhsa_user_sgpr_count 2
		.amdhsa_user_sgpr_dispatch_ptr 0
		.amdhsa_user_sgpr_queue_ptr 0
		.amdhsa_user_sgpr_kernarg_segment_ptr 1
		.amdhsa_user_sgpr_dispatch_id 0
		.amdhsa_user_sgpr_kernarg_preload_length 0
		.amdhsa_user_sgpr_kernarg_preload_offset 0
		.amdhsa_user_sgpr_private_segment_size 0
		.amdhsa_wavefront_size32 1
		.amdhsa_uses_dynamic_stack 0
		.amdhsa_enable_private_segment 0
		.amdhsa_system_sgpr_workgroup_id_x 1
		.amdhsa_system_sgpr_workgroup_id_y 0
		.amdhsa_system_sgpr_workgroup_id_z 0
		.amdhsa_system_sgpr_workgroup_info 0
		.amdhsa_system_vgpr_workitem_id 0
		.amdhsa_next_free_vgpr 68
		.amdhsa_next_free_sgpr 27
		.amdhsa_named_barrier_count 0
		.amdhsa_reserve_vcc 1
		.amdhsa_float_round_mode_32 0
		.amdhsa_float_round_mode_16_64 0
		.amdhsa_float_denorm_mode_32 3
		.amdhsa_float_denorm_mode_16_64 3
		.amdhsa_fp16_overflow 0
		.amdhsa_memory_ordered 1
		.amdhsa_forward_progress 1
		.amdhsa_inst_pref_size 48
		.amdhsa_round_robin_scheduling 0
		.amdhsa_exception_fp_ieee_invalid_op 0
		.amdhsa_exception_fp_denorm_src 0
		.amdhsa_exception_fp_ieee_div_zero 0
		.amdhsa_exception_fp_ieee_overflow 0
		.amdhsa_exception_fp_ieee_underflow 0
		.amdhsa_exception_fp_ieee_inexact 0
		.amdhsa_exception_int_div_zero 0
	.end_amdhsa_kernel
	.section	.text._ZN2at6native29vectorized_elementwise_kernelILi2ENS0_13BinaryFunctorIN3c107complexIfEES5_bNS0_12_GLOBAL__N_116CompareEqFunctorIS5_EEEESt5arrayIPcLm3EEEEviT0_T1_,"axG",@progbits,_ZN2at6native29vectorized_elementwise_kernelILi2ENS0_13BinaryFunctorIN3c107complexIfEES5_bNS0_12_GLOBAL__N_116CompareEqFunctorIS5_EEEESt5arrayIPcLm3EEEEviT0_T1_,comdat
.Lfunc_end131:
	.size	_ZN2at6native29vectorized_elementwise_kernelILi2ENS0_13BinaryFunctorIN3c107complexIfEES5_bNS0_12_GLOBAL__N_116CompareEqFunctorIS5_EEEESt5arrayIPcLm3EEEEviT0_T1_, .Lfunc_end131-_ZN2at6native29vectorized_elementwise_kernelILi2ENS0_13BinaryFunctorIN3c107complexIfEES5_bNS0_12_GLOBAL__N_116CompareEqFunctorIS5_EEEESt5arrayIPcLm3EEEEviT0_T1_
                                        ; -- End function
	.set _ZN2at6native29vectorized_elementwise_kernelILi2ENS0_13BinaryFunctorIN3c107complexIfEES5_bNS0_12_GLOBAL__N_116CompareEqFunctorIS5_EEEESt5arrayIPcLm3EEEEviT0_T1_.num_vgpr, 68
	.set _ZN2at6native29vectorized_elementwise_kernelILi2ENS0_13BinaryFunctorIN3c107complexIfEES5_bNS0_12_GLOBAL__N_116CompareEqFunctorIS5_EEEESt5arrayIPcLm3EEEEviT0_T1_.num_agpr, 0
	.set _ZN2at6native29vectorized_elementwise_kernelILi2ENS0_13BinaryFunctorIN3c107complexIfEES5_bNS0_12_GLOBAL__N_116CompareEqFunctorIS5_EEEESt5arrayIPcLm3EEEEviT0_T1_.numbered_sgpr, 27
	.set _ZN2at6native29vectorized_elementwise_kernelILi2ENS0_13BinaryFunctorIN3c107complexIfEES5_bNS0_12_GLOBAL__N_116CompareEqFunctorIS5_EEEESt5arrayIPcLm3EEEEviT0_T1_.num_named_barrier, 0
	.set _ZN2at6native29vectorized_elementwise_kernelILi2ENS0_13BinaryFunctorIN3c107complexIfEES5_bNS0_12_GLOBAL__N_116CompareEqFunctorIS5_EEEESt5arrayIPcLm3EEEEviT0_T1_.private_seg_size, 0
	.set _ZN2at6native29vectorized_elementwise_kernelILi2ENS0_13BinaryFunctorIN3c107complexIfEES5_bNS0_12_GLOBAL__N_116CompareEqFunctorIS5_EEEESt5arrayIPcLm3EEEEviT0_T1_.uses_vcc, 1
	.set _ZN2at6native29vectorized_elementwise_kernelILi2ENS0_13BinaryFunctorIN3c107complexIfEES5_bNS0_12_GLOBAL__N_116CompareEqFunctorIS5_EEEESt5arrayIPcLm3EEEEviT0_T1_.uses_flat_scratch, 0
	.set _ZN2at6native29vectorized_elementwise_kernelILi2ENS0_13BinaryFunctorIN3c107complexIfEES5_bNS0_12_GLOBAL__N_116CompareEqFunctorIS5_EEEESt5arrayIPcLm3EEEEviT0_T1_.has_dyn_sized_stack, 0
	.set _ZN2at6native29vectorized_elementwise_kernelILi2ENS0_13BinaryFunctorIN3c107complexIfEES5_bNS0_12_GLOBAL__N_116CompareEqFunctorIS5_EEEESt5arrayIPcLm3EEEEviT0_T1_.has_recursion, 0
	.set _ZN2at6native29vectorized_elementwise_kernelILi2ENS0_13BinaryFunctorIN3c107complexIfEES5_bNS0_12_GLOBAL__N_116CompareEqFunctorIS5_EEEESt5arrayIPcLm3EEEEviT0_T1_.has_indirect_call, 0
	.section	.AMDGPU.csdata,"",@progbits
; Kernel info:
; codeLenInByte = 6088
; TotalNumSgprs: 29
; NumVgprs: 68
; ScratchSize: 0
; MemoryBound: 0
; FloatMode: 240
; IeeeMode: 1
; LDSByteSize: 0 bytes/workgroup (compile time only)
; SGPRBlocks: 0
; VGPRBlocks: 4
; NumSGPRsForWavesPerEU: 29
; NumVGPRsForWavesPerEU: 68
; NamedBarCnt: 0
; Occupancy: 12
; WaveLimiterHint : 1
; COMPUTE_PGM_RSRC2:SCRATCH_EN: 0
; COMPUTE_PGM_RSRC2:USER_SGPR: 2
; COMPUTE_PGM_RSRC2:TRAP_HANDLER: 0
; COMPUTE_PGM_RSRC2:TGID_X_EN: 1
; COMPUTE_PGM_RSRC2:TGID_Y_EN: 0
; COMPUTE_PGM_RSRC2:TGID_Z_EN: 0
; COMPUTE_PGM_RSRC2:TIDIG_COMP_CNT: 0
	.section	.text._ZN2at6native27unrolled_elementwise_kernelINS0_13BinaryFunctorIN3c107complexIfEES5_bNS0_12_GLOBAL__N_116CompareEqFunctorIS5_EEEESt5arrayIPcLm3EELi4E23TrivialOffsetCalculatorILi2EjESD_ILi1EjENS0_6memory15LoadWithoutCastENSG_16StoreWithoutCastEEEviT_T0_T2_T3_T4_T5_,"axG",@progbits,_ZN2at6native27unrolled_elementwise_kernelINS0_13BinaryFunctorIN3c107complexIfEES5_bNS0_12_GLOBAL__N_116CompareEqFunctorIS5_EEEESt5arrayIPcLm3EELi4E23TrivialOffsetCalculatorILi2EjESD_ILi1EjENS0_6memory15LoadWithoutCastENSG_16StoreWithoutCastEEEviT_T0_T2_T3_T4_T5_,comdat
	.globl	_ZN2at6native27unrolled_elementwise_kernelINS0_13BinaryFunctorIN3c107complexIfEES5_bNS0_12_GLOBAL__N_116CompareEqFunctorIS5_EEEESt5arrayIPcLm3EELi4E23TrivialOffsetCalculatorILi2EjESD_ILi1EjENS0_6memory15LoadWithoutCastENSG_16StoreWithoutCastEEEviT_T0_T2_T3_T4_T5_ ; -- Begin function _ZN2at6native27unrolled_elementwise_kernelINS0_13BinaryFunctorIN3c107complexIfEES5_bNS0_12_GLOBAL__N_116CompareEqFunctorIS5_EEEESt5arrayIPcLm3EELi4E23TrivialOffsetCalculatorILi2EjESD_ILi1EjENS0_6memory15LoadWithoutCastENSG_16StoreWithoutCastEEEviT_T0_T2_T3_T4_T5_
	.p2align	8
	.type	_ZN2at6native27unrolled_elementwise_kernelINS0_13BinaryFunctorIN3c107complexIfEES5_bNS0_12_GLOBAL__N_116CompareEqFunctorIS5_EEEESt5arrayIPcLm3EELi4E23TrivialOffsetCalculatorILi2EjESD_ILi1EjENS0_6memory15LoadWithoutCastENSG_16StoreWithoutCastEEEviT_T0_T2_T3_T4_T5_,@function
_ZN2at6native27unrolled_elementwise_kernelINS0_13BinaryFunctorIN3c107complexIfEES5_bNS0_12_GLOBAL__N_116CompareEqFunctorIS5_EEEESt5arrayIPcLm3EELi4E23TrivialOffsetCalculatorILi2EjESD_ILi1EjENS0_6memory15LoadWithoutCastENSG_16StoreWithoutCastEEEviT_T0_T2_T3_T4_T5_: ; @_ZN2at6native27unrolled_elementwise_kernelINS0_13BinaryFunctorIN3c107complexIfEES5_bNS0_12_GLOBAL__N_116CompareEqFunctorIS5_EEEESt5arrayIPcLm3EELi4E23TrivialOffsetCalculatorILi2EjESD_ILi1EjENS0_6memory15LoadWithoutCastENSG_16StoreWithoutCastEEEviT_T0_T2_T3_T4_T5_
; %bb.0:
	s_load_b64 s[2:3], s[0:1], 0x0
	s_bfe_u32 s11, ttmp6, 0x4000c
	s_clause 0x1
	s_load_b128 s[4:7], s[0:1], 0x8
	s_load_b64 s[8:9], s[0:1], 0x18
	s_add_co_i32 s11, s11, 1
	s_and_b32 s10, ttmp6, 15
	s_wait_xcnt 0x0
	s_mul_i32 s0, ttmp9, s11
	s_getreg_b32 s12, hwreg(HW_REG_IB_STS2, 6, 4)
	s_add_co_i32 s10, s10, s0
	s_cmp_eq_u32 s12, 0
	v_dual_mov_b32 v4, 0 :: v_dual_mov_b32 v14, 0
	s_cselect_b32 s0, ttmp9, s10
	v_dual_mov_b32 v15, 0 :: v_dual_mov_b32 v16, 0
	s_lshl_b32 s10, s0, 10
	v_or_b32_e32 v1, 0x100, v0
	v_dual_mov_b32 v19, v0 :: v_dual_bitop2_b32 v18, s10, v0 bitop3:0x54
	v_mov_b32_e32 v17, 0
	s_wait_kmcnt 0x0
	s_sub_co_i32 s2, s2, s10
	s_delay_alu instid0(SALU_CYCLE_1)
	v_cmp_gt_i32_e64 s0, s2, v0
	s_and_saveexec_b32 s1, s0
	s_cbranch_execz .LBB132_2
; %bb.1:
	s_clause 0x1
	global_load_b64 v[14:15], v18, s[6:7] scale_offset
	global_load_b64 v[16:17], v18, s[8:9] scale_offset
	v_or_b32_e32 v19, 0x100, v0
.LBB132_2:
	s_wait_xcnt 0x0
	s_or_b32 exec_lo, exec_lo, s1
	v_dual_mov_b32 v5, 0 :: v_dual_mov_b32 v12, 0
	v_mov_b32_e32 v13, 0
	s_mov_b32 s1, exec_lo
	v_cmpx_gt_i32_e64 s2, v19
	s_cbranch_execz .LBB132_4
; %bb.3:
	v_add_nc_u32_e32 v2, s10, v19
	v_add_nc_u32_e32 v19, 0x100, v19
	s_clause 0x1
	global_load_b64 v[4:5], v2, s[6:7] scale_offset
	global_load_b64 v[12:13], v2, s[8:9] scale_offset
.LBB132_4:
	s_wait_xcnt 0x0
	s_or_b32 exec_lo, exec_lo, s1
	v_dual_mov_b32 v2, 0 :: v_dual_mov_b32 v8, 0
	v_dual_mov_b32 v9, 0 :: v_dual_mov_b32 v10, 0
	v_mov_b32_e32 v11, 0
	s_mov_b32 s1, exec_lo
	v_cmpx_gt_i32_e64 s2, v19
	s_cbranch_execz .LBB132_6
; %bb.5:
	v_add_nc_u32_e32 v3, s10, v19
	v_add_nc_u32_e32 v19, 0x100, v19
	s_clause 0x1
	global_load_b64 v[8:9], v3, s[6:7] scale_offset
	global_load_b64 v[10:11], v3, s[8:9] scale_offset
.LBB132_6:
	s_wait_xcnt 0x0
	s_or_b32 exec_lo, exec_lo, s1
	v_dual_mov_b32 v3, 0 :: v_dual_mov_b32 v6, 0
	v_mov_b32_e32 v7, 0
	s_mov_b32 s1, exec_lo
	v_cmpx_gt_i32_e64 s2, v19
	s_cbranch_execz .LBB132_8
; %bb.7:
	v_add_nc_u32_e32 v19, s10, v19
	s_clause 0x1
	global_load_b64 v[2:3], v19, s[6:7] scale_offset
	global_load_b64 v[6:7], v19, s[8:9] scale_offset
.LBB132_8:
	s_wait_xcnt 0x0
	s_or_b32 exec_lo, exec_lo, s1
	s_cmp_lg_u32 s3, 0
                                        ; implicit-def: $vgpr19
	s_cselect_b32 s3, -1, 0
	s_and_saveexec_b32 s6, s0
	s_cbranch_execz .LBB132_13
; %bb.9:
	s_and_b32 vcc_lo, exec_lo, s3
	s_cbranch_vccz .LBB132_37
; %bb.10:
	s_wait_loadcnt 0x0
	v_cmp_neq_f32_e32 vcc_lo, v14, v16
	v_cmp_neq_f32_e64 s1, v15, v17
	s_or_b32 s7, vcc_lo, s1
	s_cbranch_execnz .LBB132_12
.LBB132_11:
	s_wait_loadcnt 0x0
	v_cmp_eq_f32_e32 vcc_lo, v14, v16
	v_cmp_eq_f32_e64 s1, v15, v17
	s_and_not1_b32 s7, s7, exec_lo
	s_and_b32 s1, vcc_lo, s1
	s_delay_alu instid0(SALU_CYCLE_1) | instskip(NEXT) | instid1(SALU_CYCLE_1)
	s_and_b32 s1, s1, exec_lo
	s_or_b32 s7, s7, s1
.LBB132_12:
	s_delay_alu instid0(SALU_CYCLE_1)
	v_cndmask_b32_e64 v19, 0, 1, s7
.LBB132_13:
	s_or_b32 exec_lo, exec_lo, s6
	s_wait_loadcnt 0x1
	v_cndmask_b32_e64 v15, 0, 1, s3
	s_mov_b32 s6, exec_lo
                                        ; implicit-def: $vgpr14
	v_cmpx_gt_i32_e64 s2, v1
	s_cbranch_execz .LBB132_18
; %bb.14:
	s_and_not1_b32 vcc_lo, exec_lo, s3
	s_cbranch_vccnz .LBB132_38
; %bb.15:
	s_wait_loadcnt 0x0
	v_cmp_neq_f32_e32 vcc_lo, v4, v12
	v_cmp_neq_f32_e64 s1, v5, v13
	s_or_b32 s3, vcc_lo, s1
	s_cbranch_execnz .LBB132_17
.LBB132_16:
	s_wait_loadcnt 0x0
	v_cmp_eq_f32_e32 vcc_lo, v4, v12
	v_cmp_eq_f32_e64 s1, v5, v13
	s_and_not1_b32 s3, s3, exec_lo
	s_and_b32 s1, vcc_lo, s1
	s_delay_alu instid0(SALU_CYCLE_1) | instskip(NEXT) | instid1(SALU_CYCLE_1)
	s_and_b32 s1, s1, exec_lo
	s_or_b32 s3, s3, s1
.LBB132_17:
	s_delay_alu instid0(SALU_CYCLE_1)
	v_cndmask_b32_e64 v14, 0, 1, s3
.LBB132_18:
	s_or_b32 exec_lo, exec_lo, s6
	v_or_b32_e32 v4, 0x200, v0
	s_delay_alu instid0(VALU_DEP_1)
	v_cmp_gt_i32_e32 vcc_lo, s2, v4
                                        ; implicit-def: $vgpr4
	s_and_saveexec_b32 s3, vcc_lo
	s_cbranch_execz .LBB132_23
; %bb.19:
	v_cmp_ne_u32_e32 vcc_lo, 1, v15
	s_cbranch_vccnz .LBB132_39
; %bb.20:
	s_wait_loadcnt 0x0
	v_cmp_neq_f32_e32 vcc_lo, v8, v10
	v_cmp_neq_f32_e64 s1, v9, v11
	s_or_b32 s6, vcc_lo, s1
	s_cbranch_execnz .LBB132_22
.LBB132_21:
	s_wait_loadcnt 0x0
	v_cmp_eq_f32_e32 vcc_lo, v8, v10
	v_cmp_eq_f32_e64 s1, v9, v11
	s_and_not1_b32 s6, s6, exec_lo
	s_and_b32 s1, vcc_lo, s1
	s_delay_alu instid0(SALU_CYCLE_1) | instskip(NEXT) | instid1(SALU_CYCLE_1)
	s_and_b32 s1, s1, exec_lo
	s_or_b32 s6, s6, s1
.LBB132_22:
	s_delay_alu instid0(SALU_CYCLE_1)
	v_cndmask_b32_e64 v4, 0, 1, s6
.LBB132_23:
	s_or_b32 exec_lo, exec_lo, s3
	v_or_b32_e32 v5, 0x300, v0
	s_delay_alu instid0(VALU_DEP_1)
	v_cmp_gt_i32_e32 vcc_lo, s2, v5
                                        ; implicit-def: $vgpr5
	s_and_saveexec_b32 s3, vcc_lo
	s_cbranch_execz .LBB132_28
; %bb.24:
	v_cmp_ne_u32_e32 vcc_lo, 1, v15
	s_cbranch_vccnz .LBB132_40
; %bb.25:
	s_wait_loadcnt 0x0
	v_cmp_neq_f32_e32 vcc_lo, v2, v6
	v_cmp_neq_f32_e64 s1, v3, v7
	s_or_b32 s6, vcc_lo, s1
	s_cbranch_execnz .LBB132_27
.LBB132_26:
	s_wait_loadcnt 0x0
	v_cmp_eq_f32_e32 vcc_lo, v2, v6
	v_cmp_eq_f32_e64 s1, v3, v7
	s_and_not1_b32 s6, s6, exec_lo
	s_and_b32 s1, vcc_lo, s1
	s_delay_alu instid0(SALU_CYCLE_1) | instskip(NEXT) | instid1(SALU_CYCLE_1)
	s_and_b32 s1, s1, exec_lo
	s_or_b32 s6, s6, s1
.LBB132_27:
	s_delay_alu instid0(SALU_CYCLE_1)
	v_cndmask_b32_e64 v5, 0, 1, s6
.LBB132_28:
	s_or_b32 exec_lo, exec_lo, s3
	s_and_saveexec_b32 s1, s0
	s_delay_alu instid0(SALU_CYCLE_1)
	s_xor_b32 s0, exec_lo, s1
	s_cbranch_execz .LBB132_30
; %bb.29:
	v_mov_b32_e32 v0, v1
	global_store_b8 v18, v19, s[4:5]
.LBB132_30:
	s_wait_xcnt 0x0
	s_or_b32 exec_lo, exec_lo, s0
	s_delay_alu instid0(SALU_CYCLE_1)
	s_mov_b32 s0, exec_lo
	v_cmpx_gt_i32_e64 s2, v0
	s_cbranch_execnz .LBB132_34
; %bb.31:
	s_or_b32 exec_lo, exec_lo, s0
	s_delay_alu instid0(SALU_CYCLE_1)
	s_mov_b32 s0, exec_lo
	v_cmpx_gt_i32_e64 s2, v0
	s_cbranch_execnz .LBB132_35
.LBB132_32:
	s_or_b32 exec_lo, exec_lo, s0
	s_delay_alu instid0(SALU_CYCLE_1)
	s_mov_b32 s0, exec_lo
	v_cmpx_gt_i32_e64 s2, v0
	s_cbranch_execnz .LBB132_36
.LBB132_33:
	s_endpgm
.LBB132_34:
	v_add_nc_u32_e32 v1, 0x100, v0
	s_delay_alu instid0(VALU_DEP_1) | instskip(SKIP_3) | instid1(SALU_CYCLE_1)
	v_dual_add_nc_u32 v2, s10, v0 :: v_dual_mov_b32 v0, v1
	global_store_b8 v2, v14, s[4:5]
	s_wait_xcnt 0x0
	s_or_b32 exec_lo, exec_lo, s0
	s_mov_b32 s0, exec_lo
	v_cmpx_gt_i32_e64 s2, v0
	s_cbranch_execz .LBB132_32
.LBB132_35:
	v_add_nc_u32_e32 v1, 0x100, v0
	s_delay_alu instid0(VALU_DEP_1) | instskip(SKIP_3) | instid1(SALU_CYCLE_1)
	v_dual_add_nc_u32 v2, s10, v0 :: v_dual_mov_b32 v0, v1
	global_store_b8 v2, v4, s[4:5]
	s_wait_xcnt 0x0
	s_or_b32 exec_lo, exec_lo, s0
	s_mov_b32 s0, exec_lo
	v_cmpx_gt_i32_e64 s2, v0
	s_cbranch_execz .LBB132_33
.LBB132_36:
	v_add_nc_u32_e32 v0, s10, v0
	global_store_b8 v0, v5, s[4:5]
	s_endpgm
.LBB132_37:
                                        ; implicit-def: $sgpr7
	s_branch .LBB132_11
.LBB132_38:
                                        ; implicit-def: $sgpr3
	s_branch .LBB132_16
.LBB132_39:
                                        ; implicit-def: $sgpr6
	s_branch .LBB132_21
.LBB132_40:
                                        ; implicit-def: $sgpr6
	s_branch .LBB132_26
	.section	.rodata,"a",@progbits
	.p2align	6, 0x0
	.amdhsa_kernel _ZN2at6native27unrolled_elementwise_kernelINS0_13BinaryFunctorIN3c107complexIfEES5_bNS0_12_GLOBAL__N_116CompareEqFunctorIS5_EEEESt5arrayIPcLm3EELi4E23TrivialOffsetCalculatorILi2EjESD_ILi1EjENS0_6memory15LoadWithoutCastENSG_16StoreWithoutCastEEEviT_T0_T2_T3_T4_T5_
		.amdhsa_group_segment_fixed_size 0
		.amdhsa_private_segment_fixed_size 0
		.amdhsa_kernarg_size 36
		.amdhsa_user_sgpr_count 2
		.amdhsa_user_sgpr_dispatch_ptr 0
		.amdhsa_user_sgpr_queue_ptr 0
		.amdhsa_user_sgpr_kernarg_segment_ptr 1
		.amdhsa_user_sgpr_dispatch_id 0
		.amdhsa_user_sgpr_kernarg_preload_length 0
		.amdhsa_user_sgpr_kernarg_preload_offset 0
		.amdhsa_user_sgpr_private_segment_size 0
		.amdhsa_wavefront_size32 1
		.amdhsa_uses_dynamic_stack 0
		.amdhsa_enable_private_segment 0
		.amdhsa_system_sgpr_workgroup_id_x 1
		.amdhsa_system_sgpr_workgroup_id_y 0
		.amdhsa_system_sgpr_workgroup_id_z 0
		.amdhsa_system_sgpr_workgroup_info 0
		.amdhsa_system_vgpr_workitem_id 0
		.amdhsa_next_free_vgpr 20
		.amdhsa_next_free_sgpr 13
		.amdhsa_named_barrier_count 0
		.amdhsa_reserve_vcc 1
		.amdhsa_float_round_mode_32 0
		.amdhsa_float_round_mode_16_64 0
		.amdhsa_float_denorm_mode_32 3
		.amdhsa_float_denorm_mode_16_64 3
		.amdhsa_fp16_overflow 0
		.amdhsa_memory_ordered 1
		.amdhsa_forward_progress 1
		.amdhsa_inst_pref_size 9
		.amdhsa_round_robin_scheduling 0
		.amdhsa_exception_fp_ieee_invalid_op 0
		.amdhsa_exception_fp_denorm_src 0
		.amdhsa_exception_fp_ieee_div_zero 0
		.amdhsa_exception_fp_ieee_overflow 0
		.amdhsa_exception_fp_ieee_underflow 0
		.amdhsa_exception_fp_ieee_inexact 0
		.amdhsa_exception_int_div_zero 0
	.end_amdhsa_kernel
	.section	.text._ZN2at6native27unrolled_elementwise_kernelINS0_13BinaryFunctorIN3c107complexIfEES5_bNS0_12_GLOBAL__N_116CompareEqFunctorIS5_EEEESt5arrayIPcLm3EELi4E23TrivialOffsetCalculatorILi2EjESD_ILi1EjENS0_6memory15LoadWithoutCastENSG_16StoreWithoutCastEEEviT_T0_T2_T3_T4_T5_,"axG",@progbits,_ZN2at6native27unrolled_elementwise_kernelINS0_13BinaryFunctorIN3c107complexIfEES5_bNS0_12_GLOBAL__N_116CompareEqFunctorIS5_EEEESt5arrayIPcLm3EELi4E23TrivialOffsetCalculatorILi2EjESD_ILi1EjENS0_6memory15LoadWithoutCastENSG_16StoreWithoutCastEEEviT_T0_T2_T3_T4_T5_,comdat
.Lfunc_end132:
	.size	_ZN2at6native27unrolled_elementwise_kernelINS0_13BinaryFunctorIN3c107complexIfEES5_bNS0_12_GLOBAL__N_116CompareEqFunctorIS5_EEEESt5arrayIPcLm3EELi4E23TrivialOffsetCalculatorILi2EjESD_ILi1EjENS0_6memory15LoadWithoutCastENSG_16StoreWithoutCastEEEviT_T0_T2_T3_T4_T5_, .Lfunc_end132-_ZN2at6native27unrolled_elementwise_kernelINS0_13BinaryFunctorIN3c107complexIfEES5_bNS0_12_GLOBAL__N_116CompareEqFunctorIS5_EEEESt5arrayIPcLm3EELi4E23TrivialOffsetCalculatorILi2EjESD_ILi1EjENS0_6memory15LoadWithoutCastENSG_16StoreWithoutCastEEEviT_T0_T2_T3_T4_T5_
                                        ; -- End function
	.set _ZN2at6native27unrolled_elementwise_kernelINS0_13BinaryFunctorIN3c107complexIfEES5_bNS0_12_GLOBAL__N_116CompareEqFunctorIS5_EEEESt5arrayIPcLm3EELi4E23TrivialOffsetCalculatorILi2EjESD_ILi1EjENS0_6memory15LoadWithoutCastENSG_16StoreWithoutCastEEEviT_T0_T2_T3_T4_T5_.num_vgpr, 20
	.set _ZN2at6native27unrolled_elementwise_kernelINS0_13BinaryFunctorIN3c107complexIfEES5_bNS0_12_GLOBAL__N_116CompareEqFunctorIS5_EEEESt5arrayIPcLm3EELi4E23TrivialOffsetCalculatorILi2EjESD_ILi1EjENS0_6memory15LoadWithoutCastENSG_16StoreWithoutCastEEEviT_T0_T2_T3_T4_T5_.num_agpr, 0
	.set _ZN2at6native27unrolled_elementwise_kernelINS0_13BinaryFunctorIN3c107complexIfEES5_bNS0_12_GLOBAL__N_116CompareEqFunctorIS5_EEEESt5arrayIPcLm3EELi4E23TrivialOffsetCalculatorILi2EjESD_ILi1EjENS0_6memory15LoadWithoutCastENSG_16StoreWithoutCastEEEviT_T0_T2_T3_T4_T5_.numbered_sgpr, 13
	.set _ZN2at6native27unrolled_elementwise_kernelINS0_13BinaryFunctorIN3c107complexIfEES5_bNS0_12_GLOBAL__N_116CompareEqFunctorIS5_EEEESt5arrayIPcLm3EELi4E23TrivialOffsetCalculatorILi2EjESD_ILi1EjENS0_6memory15LoadWithoutCastENSG_16StoreWithoutCastEEEviT_T0_T2_T3_T4_T5_.num_named_barrier, 0
	.set _ZN2at6native27unrolled_elementwise_kernelINS0_13BinaryFunctorIN3c107complexIfEES5_bNS0_12_GLOBAL__N_116CompareEqFunctorIS5_EEEESt5arrayIPcLm3EELi4E23TrivialOffsetCalculatorILi2EjESD_ILi1EjENS0_6memory15LoadWithoutCastENSG_16StoreWithoutCastEEEviT_T0_T2_T3_T4_T5_.private_seg_size, 0
	.set _ZN2at6native27unrolled_elementwise_kernelINS0_13BinaryFunctorIN3c107complexIfEES5_bNS0_12_GLOBAL__N_116CompareEqFunctorIS5_EEEESt5arrayIPcLm3EELi4E23TrivialOffsetCalculatorILi2EjESD_ILi1EjENS0_6memory15LoadWithoutCastENSG_16StoreWithoutCastEEEviT_T0_T2_T3_T4_T5_.uses_vcc, 1
	.set _ZN2at6native27unrolled_elementwise_kernelINS0_13BinaryFunctorIN3c107complexIfEES5_bNS0_12_GLOBAL__N_116CompareEqFunctorIS5_EEEESt5arrayIPcLm3EELi4E23TrivialOffsetCalculatorILi2EjESD_ILi1EjENS0_6memory15LoadWithoutCastENSG_16StoreWithoutCastEEEviT_T0_T2_T3_T4_T5_.uses_flat_scratch, 0
	.set _ZN2at6native27unrolled_elementwise_kernelINS0_13BinaryFunctorIN3c107complexIfEES5_bNS0_12_GLOBAL__N_116CompareEqFunctorIS5_EEEESt5arrayIPcLm3EELi4E23TrivialOffsetCalculatorILi2EjESD_ILi1EjENS0_6memory15LoadWithoutCastENSG_16StoreWithoutCastEEEviT_T0_T2_T3_T4_T5_.has_dyn_sized_stack, 0
	.set _ZN2at6native27unrolled_elementwise_kernelINS0_13BinaryFunctorIN3c107complexIfEES5_bNS0_12_GLOBAL__N_116CompareEqFunctorIS5_EEEESt5arrayIPcLm3EELi4E23TrivialOffsetCalculatorILi2EjESD_ILi1EjENS0_6memory15LoadWithoutCastENSG_16StoreWithoutCastEEEviT_T0_T2_T3_T4_T5_.has_recursion, 0
	.set _ZN2at6native27unrolled_elementwise_kernelINS0_13BinaryFunctorIN3c107complexIfEES5_bNS0_12_GLOBAL__N_116CompareEqFunctorIS5_EEEESt5arrayIPcLm3EELi4E23TrivialOffsetCalculatorILi2EjESD_ILi1EjENS0_6memory15LoadWithoutCastENSG_16StoreWithoutCastEEEviT_T0_T2_T3_T4_T5_.has_indirect_call, 0
	.section	.AMDGPU.csdata,"",@progbits
; Kernel info:
; codeLenInByte = 1116
; TotalNumSgprs: 15
; NumVgprs: 20
; ScratchSize: 0
; MemoryBound: 0
; FloatMode: 240
; IeeeMode: 1
; LDSByteSize: 0 bytes/workgroup (compile time only)
; SGPRBlocks: 0
; VGPRBlocks: 1
; NumSGPRsForWavesPerEU: 15
; NumVGPRsForWavesPerEU: 20
; NamedBarCnt: 0
; Occupancy: 16
; WaveLimiterHint : 0
; COMPUTE_PGM_RSRC2:SCRATCH_EN: 0
; COMPUTE_PGM_RSRC2:USER_SGPR: 2
; COMPUTE_PGM_RSRC2:TRAP_HANDLER: 0
; COMPUTE_PGM_RSRC2:TGID_X_EN: 1
; COMPUTE_PGM_RSRC2:TGID_Y_EN: 0
; COMPUTE_PGM_RSRC2:TGID_Z_EN: 0
; COMPUTE_PGM_RSRC2:TIDIG_COMP_CNT: 0
	.section	.text._ZN2at6native32elementwise_kernel_manual_unrollILi128ELi8EZNS0_22gpu_kernel_impl_nocastINS0_13BinaryFunctorIN3c107complexIfEES6_bNS0_12_GLOBAL__N_116CompareEqFunctorIS6_EEEEEEvRNS_18TensorIteratorBaseERKT_EUlibE_EEviT1_,"axG",@progbits,_ZN2at6native32elementwise_kernel_manual_unrollILi128ELi8EZNS0_22gpu_kernel_impl_nocastINS0_13BinaryFunctorIN3c107complexIfEES6_bNS0_12_GLOBAL__N_116CompareEqFunctorIS6_EEEEEEvRNS_18TensorIteratorBaseERKT_EUlibE_EEviT1_,comdat
	.globl	_ZN2at6native32elementwise_kernel_manual_unrollILi128ELi8EZNS0_22gpu_kernel_impl_nocastINS0_13BinaryFunctorIN3c107complexIfEES6_bNS0_12_GLOBAL__N_116CompareEqFunctorIS6_EEEEEEvRNS_18TensorIteratorBaseERKT_EUlibE_EEviT1_ ; -- Begin function _ZN2at6native32elementwise_kernel_manual_unrollILi128ELi8EZNS0_22gpu_kernel_impl_nocastINS0_13BinaryFunctorIN3c107complexIfEES6_bNS0_12_GLOBAL__N_116CompareEqFunctorIS6_EEEEEEvRNS_18TensorIteratorBaseERKT_EUlibE_EEviT1_
	.p2align	8
	.type	_ZN2at6native32elementwise_kernel_manual_unrollILi128ELi8EZNS0_22gpu_kernel_impl_nocastINS0_13BinaryFunctorIN3c107complexIfEES6_bNS0_12_GLOBAL__N_116CompareEqFunctorIS6_EEEEEEvRNS_18TensorIteratorBaseERKT_EUlibE_EEviT1_,@function
_ZN2at6native32elementwise_kernel_manual_unrollILi128ELi8EZNS0_22gpu_kernel_impl_nocastINS0_13BinaryFunctorIN3c107complexIfEES6_bNS0_12_GLOBAL__N_116CompareEqFunctorIS6_EEEEEEvRNS_18TensorIteratorBaseERKT_EUlibE_EEviT1_: ; @_ZN2at6native32elementwise_kernel_manual_unrollILi128ELi8EZNS0_22gpu_kernel_impl_nocastINS0_13BinaryFunctorIN3c107complexIfEES6_bNS0_12_GLOBAL__N_116CompareEqFunctorIS6_EEEEEEvRNS_18TensorIteratorBaseERKT_EUlibE_EEviT1_
; %bb.0:
	s_clause 0x1
	s_load_b32 s26, s[0:1], 0x8
	s_load_b32 s33, s[0:1], 0x0
	s_bfe_u32 s2, ttmp6, 0x4000c
	s_and_b32 s3, ttmp6, 15
	s_add_co_i32 s2, s2, 1
	s_getreg_b32 s4, hwreg(HW_REG_IB_STS2, 6, 4)
	s_mul_i32 s2, ttmp9, s2
	s_mov_b32 s21, 0
	s_add_co_i32 s3, s3, s2
	s_cmp_eq_u32 s4, 0
	s_cselect_b32 s2, ttmp9, s3
	s_delay_alu instid0(SALU_CYCLE_1) | instskip(SKIP_3) | instid1(VALU_DEP_1)
	v_lshl_or_b32 v0, s2, 10, v0
	s_add_nc_u64 s[2:3], s[0:1], 8
	s_wait_xcnt 0x0
	s_mov_b32 s0, exec_lo
	v_or_b32_e32 v1, 0x380, v0
	s_wait_kmcnt 0x0
	s_add_co_i32 s27, s26, -1
	s_delay_alu instid0(SALU_CYCLE_1)
	s_cmp_gt_u32 s27, 1
	s_cselect_b32 s28, -1, 0
	v_cmpx_le_i32_e64 s33, v1
	s_xor_b32 s29, exec_lo, s0
	s_cbranch_execz .LBB133_137
; %bb.1:
	s_clause 0x5
	s_load_b128 s[8:11], s[2:3], 0x4
	s_load_b64 s[0:1], s[2:3], 0x14
	s_load_b96 s[16:18], s[2:3], 0x198
	s_load_b128 s[12:15], s[2:3], 0xc4
	s_load_b64 s[22:23], s[2:3], 0xd4
	s_load_b128 s[4:7], s[2:3], 0x188
	s_cmp_lg_u32 s26, 0
	s_mov_b32 s25, s21
	s_cselect_b32 s34, -1, 0
	s_min_u32 s31, s27, 15
	s_cmp_gt_u32 s26, 1
	s_mov_b32 s35, exec_lo
	s_cselect_b32 s30, -1, 0
	s_wait_kmcnt 0x0
	s_mov_b32 s20, s9
	s_mov_b32 s24, s0
	s_cmp_lg_u32 s18, 0
	s_cselect_b32 s9, -1, 0
	v_cmpx_gt_i32_e64 s33, v0
	s_cbranch_execnz .LBB133_9
; %bb.2:
	s_or_b32 exec_lo, exec_lo, s35
	s_delay_alu instid0(SALU_CYCLE_1)
	s_mov_b32 s35, exec_lo
	v_cmpx_gt_i32_e64 s33, v0
	s_cbranch_execnz .LBB133_24
.LBB133_3:
	s_or_b32 exec_lo, exec_lo, s35
	s_delay_alu instid0(SALU_CYCLE_1)
	s_mov_b32 s35, exec_lo
	v_cmpx_gt_i32_e64 s33, v0
	s_cbranch_execnz .LBB133_40
.LBB133_4:
	s_or_b32 exec_lo, exec_lo, s35
	s_delay_alu instid0(SALU_CYCLE_1)
	s_mov_b32 s35, exec_lo
	v_cmpx_gt_i32_e64 s33, v0
	s_cbranch_execnz .LBB133_56
.LBB133_5:
	s_or_b32 exec_lo, exec_lo, s35
	s_delay_alu instid0(SALU_CYCLE_1)
	s_mov_b32 s35, exec_lo
	v_cmpx_gt_i32_e64 s33, v0
	s_cbranch_execnz .LBB133_72
.LBB133_6:
	s_or_b32 exec_lo, exec_lo, s35
	s_delay_alu instid0(SALU_CYCLE_1)
	s_mov_b32 s35, exec_lo
	v_cmpx_gt_i32_e64 s33, v0
	s_cbranch_execnz .LBB133_88
.LBB133_7:
	s_or_b32 exec_lo, exec_lo, s35
	s_delay_alu instid0(SALU_CYCLE_1)
	s_mov_b32 s35, exec_lo
	v_cmpx_gt_i32_e64 s33, v0
	s_cbranch_execnz .LBB133_104
.LBB133_8:
	s_or_b32 exec_lo, exec_lo, s35
	v_cmp_gt_i32_e32 vcc_lo, s33, v0
	s_and_saveexec_b32 s33, vcc_lo
	s_cbranch_execnz .LBB133_120
	s_branch .LBB133_136
.LBB133_9:
	s_and_not1_b32 vcc_lo, exec_lo, s28
	s_cbranch_vccnz .LBB133_15
; %bb.10:
	s_and_not1_b32 vcc_lo, exec_lo, s34
	s_cbranch_vccnz .LBB133_16
; %bb.11:
	v_dual_mov_b32 v6, 0 :: v_dual_mov_b32 v1, v0
	v_dual_mov_b32 v8, 0 :: v_dual_mov_b32 v7, 0
	s_add_co_i32 s0, s31, 1
	s_mov_b64 s[18:19], 0xffffffffffffffe8
	s_and_b32 s0, s0, 30
	s_add_nc_u64 s[18:19], s[2:3], s[18:19]
.LBB133_12:                             ; =>This Inner Loop Header: Depth=1
	s_clause 0x1
	s_load_b128 s[36:39], s[18:19], 0x1c
	s_load_b64 s[44:45], s[18:19], 0x2c
	s_add_co_i32 s0, s0, -2
	s_delay_alu instid0(SALU_CYCLE_1) | instskip(SKIP_2) | instid1(VALU_DEP_1)
	s_cmp_lg_u32 s0, 0
	s_wait_kmcnt 0x0
	v_mul_hi_u32 v2, s37, v1
	v_add_nc_u32_e32 v2, v1, v2
	s_delay_alu instid0(VALU_DEP_1) | instskip(NEXT) | instid1(VALU_DEP_1)
	v_lshrrev_b32_e32 v2, s38, v2
	v_mul_hi_u32 v3, s44, v2
	v_mul_lo_u32 v4, v2, s36
	s_clause 0x1
	s_load_b128 s[40:43], s[18:19], 0xdc
	s_load_b64 s[36:37], s[18:19], 0xec
	s_wait_xcnt 0x0
	s_add_nc_u64 s[18:19], s[18:19], 24
	s_delay_alu instid0(VALU_DEP_1) | instskip(NEXT) | instid1(VALU_DEP_1)
	v_dual_add_nc_u32 v3, v2, v3 :: v_dual_sub_nc_u32 v4, v1, v4
	v_lshrrev_b32_e32 v1, s45, v3
	s_wait_kmcnt 0x0
	s_delay_alu instid0(VALU_DEP_2) | instskip(NEXT) | instid1(VALU_DEP_2)
	v_mad_u32 v5, v4, s40, v6
	v_mul_lo_u32 v3, v1, s39
	v_mad_u32 v7, v4, s42, v7
	v_mad_u32 v4, v4, s41, v8
	s_delay_alu instid0(VALU_DEP_3) | instskip(NEXT) | instid1(VALU_DEP_1)
	v_sub_nc_u32_e32 v2, v2, v3
	v_mad_u32 v6, v2, s43, v5
	s_delay_alu instid0(VALU_DEP_4) | instskip(NEXT) | instid1(VALU_DEP_4)
	v_mad_u32 v7, v2, s37, v7
	v_mad_u32 v8, v2, s36, v4
	s_cbranch_scc1 .LBB133_12
; %bb.13:
	s_bitcmp1_b32 s31, 0
	s_cselect_b32 s0, -1, 0
	s_delay_alu instid0(SALU_CYCLE_1)
	s_and_b32 vcc_lo, exec_lo, s0
	s_cbranch_vccnz .LBB133_17
; %bb.14:
	s_clause 0x1
	s_load_b96 s[36:38], s[18:19], 0x1c
	s_load_b96 s[40:42], s[18:19], 0xdc
	s_wait_kmcnt 0x0
	v_mul_hi_u32 v2, s37, v1
	s_delay_alu instid0(VALU_DEP_1) | instskip(NEXT) | instid1(VALU_DEP_1)
	v_add_nc_u32_e32 v2, v1, v2
	v_lshrrev_b32_e32 v2, s38, v2
	s_delay_alu instid0(VALU_DEP_1) | instskip(NEXT) | instid1(VALU_DEP_1)
	v_mul_lo_u32 v2, v2, s36
	v_sub_nc_u32_e32 v1, v1, v2
	s_delay_alu instid0(VALU_DEP_1)
	v_mad_u32 v6, v1, s40, v6
	v_mad_u32 v8, v1, s41, v8
	;; [unrolled: 1-line block ×3, first 2 shown]
	s_cbranch_execz .LBB133_18
	s_branch .LBB133_20
.LBB133_15:
                                        ; implicit-def: $vgpr7
                                        ; implicit-def: $vgpr8
                                        ; implicit-def: $vgpr6
	s_branch .LBB133_18
.LBB133_16:
	v_dual_mov_b32 v7, 0 :: v_dual_mov_b32 v8, 0
	v_mov_b32_e32 v6, 0
.LBB133_17:
	s_cbranch_execnz .LBB133_20
.LBB133_18:
	v_mov_b32_e32 v1, 0
	s_and_not1_b32 vcc_lo, exec_lo, s30
	s_delay_alu instid0(VALU_DEP_1) | instskip(NEXT) | instid1(VALU_DEP_1)
	v_mul_u64_e32 v[2:3], s[20:21], v[0:1]
	v_add_nc_u32_e32 v2, v0, v3
	s_delay_alu instid0(VALU_DEP_1) | instskip(NEXT) | instid1(VALU_DEP_1)
	v_lshrrev_b32_e32 v2, s10, v2
	v_mul_lo_u32 v3, v2, s8
	s_delay_alu instid0(VALU_DEP_1) | instskip(NEXT) | instid1(VALU_DEP_1)
	v_sub_nc_u32_e32 v3, v0, v3
	v_mul_lo_u32 v6, v3, s12
	v_mul_lo_u32 v7, v3, s14
	;; [unrolled: 1-line block ×3, first 2 shown]
	s_cbranch_vccnz .LBB133_20
; %bb.19:
	v_mov_b32_e32 v3, v1
	s_delay_alu instid0(VALU_DEP_1) | instskip(NEXT) | instid1(VALU_DEP_1)
	v_mul_u64_e32 v[4:5], s[24:25], v[2:3]
	v_add_nc_u32_e32 v1, v2, v5
	s_delay_alu instid0(VALU_DEP_1) | instskip(NEXT) | instid1(VALU_DEP_1)
	v_lshrrev_b32_e32 v1, s1, v1
	v_mul_lo_u32 v1, v1, s11
	s_delay_alu instid0(VALU_DEP_1) | instskip(NEXT) | instid1(VALU_DEP_1)
	v_sub_nc_u32_e32 v1, v2, v1
	v_mad_u32 v6, v1, s15, v6
	v_mad_u32 v8, v1, s22, v8
	;; [unrolled: 1-line block ×3, first 2 shown]
.LBB133_20:
	global_load_b64 v[2:3], v8, s[6:7]
	global_load_b64 v[4:5], v7, s[16:17]
	s_and_b32 vcc_lo, exec_lo, s9
	s_cbranch_vccz .LBB133_31
; %bb.21:
	s_wait_loadcnt 0x0
	v_cmp_neq_f32_e32 vcc_lo, v2, v4
	v_cmp_neq_f32_e64 s0, v3, v5
	s_or_b32 s18, vcc_lo, s0
	s_cbranch_execnz .LBB133_23
.LBB133_22:
	s_wait_loadcnt 0x0
	v_cmp_eq_f32_e32 vcc_lo, v2, v4
	v_cmp_eq_f32_e64 s0, v3, v5
	s_and_not1_b32 s18, s18, exec_lo
	s_and_b32 s0, vcc_lo, s0
	s_delay_alu instid0(SALU_CYCLE_1) | instskip(NEXT) | instid1(SALU_CYCLE_1)
	s_and_b32 s0, s0, exec_lo
	s_or_b32 s18, s18, s0
.LBB133_23:
	s_delay_alu instid0(SALU_CYCLE_1) | instskip(SKIP_4) | instid1(SALU_CYCLE_1)
	v_cndmask_b32_e64 v1, 0, 1, s18
	v_add_nc_u32_e32 v0, 0x80, v0
	global_store_b8 v6, v1, s[4:5]
	s_wait_xcnt 0x0
	s_or_b32 exec_lo, exec_lo, s35
	s_mov_b32 s35, exec_lo
	v_cmpx_gt_i32_e64 s33, v0
	s_cbranch_execz .LBB133_3
.LBB133_24:
	s_and_not1_b32 vcc_lo, exec_lo, s28
	s_cbranch_vccnz .LBB133_30
; %bb.25:
	s_and_not1_b32 vcc_lo, exec_lo, s34
	s_cbranch_vccnz .LBB133_32
; %bb.26:
	v_dual_mov_b32 v6, 0 :: v_dual_mov_b32 v1, v0
	v_dual_mov_b32 v8, 0 :: v_dual_mov_b32 v7, 0
	s_add_co_i32 s0, s31, 1
	s_mov_b64 s[18:19], 0xffffffffffffffe8
	s_and_b32 s0, s0, 30
	s_add_nc_u64 s[18:19], s[2:3], s[18:19]
.LBB133_27:                             ; =>This Inner Loop Header: Depth=1
	s_clause 0x1
	s_load_b128 s[36:39], s[18:19], 0x1c
	s_load_b64 s[44:45], s[18:19], 0x2c
	s_add_co_i32 s0, s0, -2
	s_delay_alu instid0(SALU_CYCLE_1) | instskip(SKIP_3) | instid1(VALU_DEP_1)
	s_cmp_eq_u32 s0, 0
	s_wait_loadcnt 0x1
	s_wait_kmcnt 0x0
	v_mul_hi_u32 v2, s37, v1
	v_add_nc_u32_e32 v2, v1, v2
	s_delay_alu instid0(VALU_DEP_1) | instskip(NEXT) | instid1(VALU_DEP_1)
	v_lshrrev_b32_e32 v2, s38, v2
	v_mul_hi_u32 v3, s44, v2
	s_wait_loadcnt 0x0
	v_mul_lo_u32 v4, v2, s36
	s_clause 0x1
	s_load_b128 s[40:43], s[18:19], 0xdc
	s_load_b64 s[36:37], s[18:19], 0xec
	s_wait_xcnt 0x0
	s_add_nc_u64 s[18:19], s[18:19], 24
	s_delay_alu instid0(VALU_DEP_1) | instskip(NEXT) | instid1(VALU_DEP_1)
	v_dual_add_nc_u32 v3, v2, v3 :: v_dual_sub_nc_u32 v4, v1, v4
	v_lshrrev_b32_e32 v1, s45, v3
	s_wait_kmcnt 0x0
	s_delay_alu instid0(VALU_DEP_2) | instskip(NEXT) | instid1(VALU_DEP_2)
	v_mad_u32 v5, v4, s40, v6
	v_mul_lo_u32 v3, v1, s39
	v_mad_u32 v7, v4, s42, v7
	v_mad_u32 v4, v4, s41, v8
	s_delay_alu instid0(VALU_DEP_3) | instskip(NEXT) | instid1(VALU_DEP_1)
	v_sub_nc_u32_e32 v2, v2, v3
	v_mad_u32 v6, v2, s43, v5
	s_delay_alu instid0(VALU_DEP_4) | instskip(NEXT) | instid1(VALU_DEP_4)
	v_mad_u32 v7, v2, s37, v7
	v_mad_u32 v8, v2, s36, v4
	s_cbranch_scc0 .LBB133_27
; %bb.28:
	s_bitcmp1_b32 s31, 0
	s_cselect_b32 s0, -1, 0
	s_delay_alu instid0(SALU_CYCLE_1)
	s_and_b32 vcc_lo, exec_lo, s0
	s_cbranch_vccnz .LBB133_33
; %bb.29:
	s_clause 0x1
	s_load_b96 s[36:38], s[18:19], 0x1c
	s_load_b96 s[40:42], s[18:19], 0xdc
	s_wait_kmcnt 0x0
	v_mul_hi_u32 v2, s37, v1
	s_delay_alu instid0(VALU_DEP_1) | instskip(NEXT) | instid1(VALU_DEP_1)
	v_add_nc_u32_e32 v2, v1, v2
	v_lshrrev_b32_e32 v2, s38, v2
	s_delay_alu instid0(VALU_DEP_1) | instskip(NEXT) | instid1(VALU_DEP_1)
	v_mul_lo_u32 v2, v2, s36
	v_sub_nc_u32_e32 v1, v1, v2
	s_delay_alu instid0(VALU_DEP_1)
	v_mad_u32 v6, v1, s40, v6
	v_mad_u32 v8, v1, s41, v8
	;; [unrolled: 1-line block ×3, first 2 shown]
	s_branch .LBB133_33
.LBB133_30:
                                        ; implicit-def: $vgpr7
                                        ; implicit-def: $vgpr8
                                        ; implicit-def: $vgpr6
	s_branch .LBB133_34
.LBB133_31:
                                        ; implicit-def: $sgpr18
	s_branch .LBB133_22
.LBB133_32:
	v_dual_mov_b32 v7, 0 :: v_dual_mov_b32 v8, 0
	v_mov_b32_e32 v6, 0
.LBB133_33:
	s_cbranch_execnz .LBB133_36
.LBB133_34:
	v_mov_b32_e32 v1, 0
	s_and_not1_b32 vcc_lo, exec_lo, s30
	s_wait_loadcnt 0x1
	s_delay_alu instid0(VALU_DEP_1) | instskip(NEXT) | instid1(VALU_DEP_1)
	v_mul_u64_e32 v[2:3], s[20:21], v[0:1]
	v_add_nc_u32_e32 v2, v0, v3
	s_delay_alu instid0(VALU_DEP_1) | instskip(NEXT) | instid1(VALU_DEP_1)
	v_lshrrev_b32_e32 v2, s10, v2
	v_mul_lo_u32 v3, v2, s8
	s_delay_alu instid0(VALU_DEP_1) | instskip(NEXT) | instid1(VALU_DEP_1)
	v_sub_nc_u32_e32 v3, v0, v3
	v_mul_lo_u32 v6, v3, s12
	v_mul_lo_u32 v7, v3, s14
	v_mul_lo_u32 v8, v3, s13
	s_cbranch_vccnz .LBB133_36
; %bb.35:
	v_mov_b32_e32 v3, v1
	s_wait_loadcnt 0x0
	s_delay_alu instid0(VALU_DEP_1) | instskip(NEXT) | instid1(VALU_DEP_1)
	v_mul_u64_e32 v[4:5], s[24:25], v[2:3]
	v_add_nc_u32_e32 v1, v2, v5
	s_delay_alu instid0(VALU_DEP_1) | instskip(NEXT) | instid1(VALU_DEP_1)
	v_lshrrev_b32_e32 v1, s1, v1
	v_mul_lo_u32 v1, v1, s11
	s_delay_alu instid0(VALU_DEP_1) | instskip(NEXT) | instid1(VALU_DEP_1)
	v_sub_nc_u32_e32 v1, v2, v1
	v_mad_u32 v6, v1, s15, v6
	v_mad_u32 v8, v1, s22, v8
	;; [unrolled: 1-line block ×3, first 2 shown]
.LBB133_36:
	s_wait_loadcnt 0x1
	global_load_b64 v[2:3], v8, s[6:7]
	s_wait_loadcnt 0x1
	global_load_b64 v[4:5], v7, s[16:17]
	s_and_not1_b32 vcc_lo, exec_lo, s9
	s_cbranch_vccnz .LBB133_47
; %bb.37:
	s_wait_loadcnt 0x0
	v_cmp_neq_f32_e32 vcc_lo, v2, v4
	v_cmp_neq_f32_e64 s0, v3, v5
	s_or_b32 s18, vcc_lo, s0
	s_cbranch_execnz .LBB133_39
.LBB133_38:
	s_wait_loadcnt 0x0
	v_cmp_eq_f32_e32 vcc_lo, v2, v4
	v_cmp_eq_f32_e64 s0, v3, v5
	s_and_not1_b32 s18, s18, exec_lo
	s_and_b32 s0, vcc_lo, s0
	s_delay_alu instid0(SALU_CYCLE_1) | instskip(NEXT) | instid1(SALU_CYCLE_1)
	s_and_b32 s0, s0, exec_lo
	s_or_b32 s18, s18, s0
.LBB133_39:
	s_delay_alu instid0(SALU_CYCLE_1) | instskip(SKIP_4) | instid1(SALU_CYCLE_1)
	v_cndmask_b32_e64 v1, 0, 1, s18
	v_add_nc_u32_e32 v0, 0x80, v0
	global_store_b8 v6, v1, s[4:5]
	s_wait_xcnt 0x0
	s_or_b32 exec_lo, exec_lo, s35
	s_mov_b32 s35, exec_lo
	v_cmpx_gt_i32_e64 s33, v0
	s_cbranch_execz .LBB133_4
.LBB133_40:
	s_and_not1_b32 vcc_lo, exec_lo, s28
	s_cbranch_vccnz .LBB133_46
; %bb.41:
	s_and_not1_b32 vcc_lo, exec_lo, s34
	s_cbranch_vccnz .LBB133_48
; %bb.42:
	v_dual_mov_b32 v6, 0 :: v_dual_mov_b32 v1, v0
	v_dual_mov_b32 v8, 0 :: v_dual_mov_b32 v7, 0
	s_add_co_i32 s0, s31, 1
	s_mov_b64 s[18:19], 0xffffffffffffffe8
	s_and_b32 s0, s0, 30
	s_add_nc_u64 s[18:19], s[2:3], s[18:19]
.LBB133_43:                             ; =>This Inner Loop Header: Depth=1
	s_clause 0x1
	s_load_b128 s[36:39], s[18:19], 0x1c
	s_load_b64 s[44:45], s[18:19], 0x2c
	s_add_co_i32 s0, s0, -2
	s_delay_alu instid0(SALU_CYCLE_1) | instskip(SKIP_3) | instid1(VALU_DEP_1)
	s_cmp_eq_u32 s0, 0
	s_wait_loadcnt 0x1
	s_wait_kmcnt 0x0
	v_mul_hi_u32 v2, s37, v1
	v_add_nc_u32_e32 v2, v1, v2
	s_delay_alu instid0(VALU_DEP_1) | instskip(NEXT) | instid1(VALU_DEP_1)
	v_lshrrev_b32_e32 v2, s38, v2
	v_mul_hi_u32 v3, s44, v2
	s_wait_loadcnt 0x0
	v_mul_lo_u32 v4, v2, s36
	s_clause 0x1
	s_load_b128 s[40:43], s[18:19], 0xdc
	s_load_b64 s[36:37], s[18:19], 0xec
	s_wait_xcnt 0x0
	s_add_nc_u64 s[18:19], s[18:19], 24
	s_delay_alu instid0(VALU_DEP_1) | instskip(NEXT) | instid1(VALU_DEP_1)
	v_dual_add_nc_u32 v3, v2, v3 :: v_dual_sub_nc_u32 v4, v1, v4
	v_lshrrev_b32_e32 v1, s45, v3
	s_wait_kmcnt 0x0
	s_delay_alu instid0(VALU_DEP_2) | instskip(NEXT) | instid1(VALU_DEP_2)
	v_mad_u32 v5, v4, s40, v6
	v_mul_lo_u32 v3, v1, s39
	v_mad_u32 v7, v4, s42, v7
	v_mad_u32 v4, v4, s41, v8
	s_delay_alu instid0(VALU_DEP_3) | instskip(NEXT) | instid1(VALU_DEP_1)
	v_sub_nc_u32_e32 v2, v2, v3
	v_mad_u32 v6, v2, s43, v5
	s_delay_alu instid0(VALU_DEP_4) | instskip(NEXT) | instid1(VALU_DEP_4)
	v_mad_u32 v7, v2, s37, v7
	v_mad_u32 v8, v2, s36, v4
	s_cbranch_scc0 .LBB133_43
; %bb.44:
	s_bitcmp1_b32 s31, 0
	s_cselect_b32 s0, -1, 0
	s_delay_alu instid0(SALU_CYCLE_1)
	s_and_b32 vcc_lo, exec_lo, s0
	s_cbranch_vccnz .LBB133_49
; %bb.45:
	s_clause 0x1
	s_load_b96 s[36:38], s[18:19], 0x1c
	s_load_b96 s[40:42], s[18:19], 0xdc
	s_wait_kmcnt 0x0
	v_mul_hi_u32 v2, s37, v1
	s_delay_alu instid0(VALU_DEP_1) | instskip(NEXT) | instid1(VALU_DEP_1)
	v_add_nc_u32_e32 v2, v1, v2
	v_lshrrev_b32_e32 v2, s38, v2
	s_delay_alu instid0(VALU_DEP_1) | instskip(NEXT) | instid1(VALU_DEP_1)
	v_mul_lo_u32 v2, v2, s36
	v_sub_nc_u32_e32 v1, v1, v2
	s_delay_alu instid0(VALU_DEP_1)
	v_mad_u32 v6, v1, s40, v6
	v_mad_u32 v8, v1, s41, v8
	;; [unrolled: 1-line block ×3, first 2 shown]
	s_branch .LBB133_49
.LBB133_46:
                                        ; implicit-def: $vgpr7
                                        ; implicit-def: $vgpr8
                                        ; implicit-def: $vgpr6
	s_branch .LBB133_50
.LBB133_47:
                                        ; implicit-def: $sgpr18
	s_branch .LBB133_38
.LBB133_48:
	v_dual_mov_b32 v7, 0 :: v_dual_mov_b32 v8, 0
	v_mov_b32_e32 v6, 0
.LBB133_49:
	s_cbranch_execnz .LBB133_52
.LBB133_50:
	v_mov_b32_e32 v1, 0
	s_and_not1_b32 vcc_lo, exec_lo, s30
	s_wait_loadcnt 0x1
	s_delay_alu instid0(VALU_DEP_1) | instskip(NEXT) | instid1(VALU_DEP_1)
	v_mul_u64_e32 v[2:3], s[20:21], v[0:1]
	v_add_nc_u32_e32 v2, v0, v3
	s_delay_alu instid0(VALU_DEP_1) | instskip(NEXT) | instid1(VALU_DEP_1)
	v_lshrrev_b32_e32 v2, s10, v2
	v_mul_lo_u32 v3, v2, s8
	s_delay_alu instid0(VALU_DEP_1) | instskip(NEXT) | instid1(VALU_DEP_1)
	v_sub_nc_u32_e32 v3, v0, v3
	v_mul_lo_u32 v6, v3, s12
	v_mul_lo_u32 v7, v3, s14
	;; [unrolled: 1-line block ×3, first 2 shown]
	s_cbranch_vccnz .LBB133_52
; %bb.51:
	v_mov_b32_e32 v3, v1
	s_wait_loadcnt 0x0
	s_delay_alu instid0(VALU_DEP_1) | instskip(NEXT) | instid1(VALU_DEP_1)
	v_mul_u64_e32 v[4:5], s[24:25], v[2:3]
	v_add_nc_u32_e32 v1, v2, v5
	s_delay_alu instid0(VALU_DEP_1) | instskip(NEXT) | instid1(VALU_DEP_1)
	v_lshrrev_b32_e32 v1, s1, v1
	v_mul_lo_u32 v1, v1, s11
	s_delay_alu instid0(VALU_DEP_1) | instskip(NEXT) | instid1(VALU_DEP_1)
	v_sub_nc_u32_e32 v1, v2, v1
	v_mad_u32 v6, v1, s15, v6
	v_mad_u32 v8, v1, s22, v8
	;; [unrolled: 1-line block ×3, first 2 shown]
.LBB133_52:
	s_wait_loadcnt 0x1
	global_load_b64 v[2:3], v8, s[6:7]
	s_wait_loadcnt 0x1
	global_load_b64 v[4:5], v7, s[16:17]
	s_and_not1_b32 vcc_lo, exec_lo, s9
	s_cbranch_vccnz .LBB133_63
; %bb.53:
	s_wait_loadcnt 0x0
	v_cmp_neq_f32_e32 vcc_lo, v2, v4
	v_cmp_neq_f32_e64 s0, v3, v5
	s_or_b32 s18, vcc_lo, s0
	s_cbranch_execnz .LBB133_55
.LBB133_54:
	s_wait_loadcnt 0x0
	v_cmp_eq_f32_e32 vcc_lo, v2, v4
	v_cmp_eq_f32_e64 s0, v3, v5
	s_and_not1_b32 s18, s18, exec_lo
	s_and_b32 s0, vcc_lo, s0
	s_delay_alu instid0(SALU_CYCLE_1) | instskip(NEXT) | instid1(SALU_CYCLE_1)
	s_and_b32 s0, s0, exec_lo
	s_or_b32 s18, s18, s0
.LBB133_55:
	s_delay_alu instid0(SALU_CYCLE_1) | instskip(SKIP_4) | instid1(SALU_CYCLE_1)
	v_cndmask_b32_e64 v1, 0, 1, s18
	v_add_nc_u32_e32 v0, 0x80, v0
	global_store_b8 v6, v1, s[4:5]
	s_wait_xcnt 0x0
	s_or_b32 exec_lo, exec_lo, s35
	s_mov_b32 s35, exec_lo
	v_cmpx_gt_i32_e64 s33, v0
	s_cbranch_execz .LBB133_5
.LBB133_56:
	s_and_not1_b32 vcc_lo, exec_lo, s28
	s_cbranch_vccnz .LBB133_62
; %bb.57:
	s_and_not1_b32 vcc_lo, exec_lo, s34
	s_cbranch_vccnz .LBB133_64
; %bb.58:
	v_dual_mov_b32 v6, 0 :: v_dual_mov_b32 v1, v0
	v_dual_mov_b32 v8, 0 :: v_dual_mov_b32 v7, 0
	s_add_co_i32 s0, s31, 1
	s_mov_b64 s[18:19], 0xffffffffffffffe8
	s_and_b32 s0, s0, 30
	s_add_nc_u64 s[18:19], s[2:3], s[18:19]
.LBB133_59:                             ; =>This Inner Loop Header: Depth=1
	s_clause 0x1
	s_load_b128 s[36:39], s[18:19], 0x1c
	s_load_b64 s[44:45], s[18:19], 0x2c
	s_add_co_i32 s0, s0, -2
	s_delay_alu instid0(SALU_CYCLE_1) | instskip(SKIP_3) | instid1(VALU_DEP_1)
	s_cmp_eq_u32 s0, 0
	s_wait_loadcnt 0x1
	s_wait_kmcnt 0x0
	v_mul_hi_u32 v2, s37, v1
	v_add_nc_u32_e32 v2, v1, v2
	s_delay_alu instid0(VALU_DEP_1) | instskip(NEXT) | instid1(VALU_DEP_1)
	v_lshrrev_b32_e32 v2, s38, v2
	v_mul_hi_u32 v3, s44, v2
	s_wait_loadcnt 0x0
	v_mul_lo_u32 v4, v2, s36
	s_clause 0x1
	s_load_b128 s[40:43], s[18:19], 0xdc
	s_load_b64 s[36:37], s[18:19], 0xec
	s_wait_xcnt 0x0
	s_add_nc_u64 s[18:19], s[18:19], 24
	s_delay_alu instid0(VALU_DEP_1) | instskip(NEXT) | instid1(VALU_DEP_1)
	v_dual_add_nc_u32 v3, v2, v3 :: v_dual_sub_nc_u32 v4, v1, v4
	v_lshrrev_b32_e32 v1, s45, v3
	s_wait_kmcnt 0x0
	s_delay_alu instid0(VALU_DEP_2) | instskip(NEXT) | instid1(VALU_DEP_2)
	v_mad_u32 v5, v4, s40, v6
	v_mul_lo_u32 v3, v1, s39
	v_mad_u32 v7, v4, s42, v7
	v_mad_u32 v4, v4, s41, v8
	s_delay_alu instid0(VALU_DEP_3) | instskip(NEXT) | instid1(VALU_DEP_1)
	v_sub_nc_u32_e32 v2, v2, v3
	v_mad_u32 v6, v2, s43, v5
	s_delay_alu instid0(VALU_DEP_4) | instskip(NEXT) | instid1(VALU_DEP_4)
	v_mad_u32 v7, v2, s37, v7
	v_mad_u32 v8, v2, s36, v4
	s_cbranch_scc0 .LBB133_59
; %bb.60:
	s_bitcmp1_b32 s31, 0
	s_cselect_b32 s0, -1, 0
	s_delay_alu instid0(SALU_CYCLE_1)
	s_and_b32 vcc_lo, exec_lo, s0
	s_cbranch_vccnz .LBB133_65
; %bb.61:
	s_clause 0x1
	s_load_b96 s[36:38], s[18:19], 0x1c
	s_load_b96 s[40:42], s[18:19], 0xdc
	s_wait_kmcnt 0x0
	v_mul_hi_u32 v2, s37, v1
	s_delay_alu instid0(VALU_DEP_1) | instskip(NEXT) | instid1(VALU_DEP_1)
	v_add_nc_u32_e32 v2, v1, v2
	v_lshrrev_b32_e32 v2, s38, v2
	s_delay_alu instid0(VALU_DEP_1) | instskip(NEXT) | instid1(VALU_DEP_1)
	v_mul_lo_u32 v2, v2, s36
	v_sub_nc_u32_e32 v1, v1, v2
	s_delay_alu instid0(VALU_DEP_1)
	v_mad_u32 v6, v1, s40, v6
	v_mad_u32 v8, v1, s41, v8
	;; [unrolled: 1-line block ×3, first 2 shown]
	s_branch .LBB133_65
.LBB133_62:
                                        ; implicit-def: $vgpr7
                                        ; implicit-def: $vgpr8
                                        ; implicit-def: $vgpr6
	s_branch .LBB133_66
.LBB133_63:
                                        ; implicit-def: $sgpr18
	s_branch .LBB133_54
.LBB133_64:
	v_dual_mov_b32 v7, 0 :: v_dual_mov_b32 v8, 0
	v_mov_b32_e32 v6, 0
.LBB133_65:
	s_cbranch_execnz .LBB133_68
.LBB133_66:
	v_mov_b32_e32 v1, 0
	s_and_not1_b32 vcc_lo, exec_lo, s30
	s_wait_loadcnt 0x1
	s_delay_alu instid0(VALU_DEP_1) | instskip(NEXT) | instid1(VALU_DEP_1)
	v_mul_u64_e32 v[2:3], s[20:21], v[0:1]
	v_add_nc_u32_e32 v2, v0, v3
	s_delay_alu instid0(VALU_DEP_1) | instskip(NEXT) | instid1(VALU_DEP_1)
	v_lshrrev_b32_e32 v2, s10, v2
	v_mul_lo_u32 v3, v2, s8
	s_delay_alu instid0(VALU_DEP_1) | instskip(NEXT) | instid1(VALU_DEP_1)
	v_sub_nc_u32_e32 v3, v0, v3
	v_mul_lo_u32 v6, v3, s12
	v_mul_lo_u32 v7, v3, s14
	;; [unrolled: 1-line block ×3, first 2 shown]
	s_cbranch_vccnz .LBB133_68
; %bb.67:
	v_mov_b32_e32 v3, v1
	s_wait_loadcnt 0x0
	s_delay_alu instid0(VALU_DEP_1) | instskip(NEXT) | instid1(VALU_DEP_1)
	v_mul_u64_e32 v[4:5], s[24:25], v[2:3]
	v_add_nc_u32_e32 v1, v2, v5
	s_delay_alu instid0(VALU_DEP_1) | instskip(NEXT) | instid1(VALU_DEP_1)
	v_lshrrev_b32_e32 v1, s1, v1
	v_mul_lo_u32 v1, v1, s11
	s_delay_alu instid0(VALU_DEP_1) | instskip(NEXT) | instid1(VALU_DEP_1)
	v_sub_nc_u32_e32 v1, v2, v1
	v_mad_u32 v6, v1, s15, v6
	v_mad_u32 v8, v1, s22, v8
	;; [unrolled: 1-line block ×3, first 2 shown]
.LBB133_68:
	s_wait_loadcnt 0x1
	global_load_b64 v[2:3], v8, s[6:7]
	s_wait_loadcnt 0x1
	global_load_b64 v[4:5], v7, s[16:17]
	s_and_not1_b32 vcc_lo, exec_lo, s9
	s_cbranch_vccnz .LBB133_79
; %bb.69:
	s_wait_loadcnt 0x0
	v_cmp_neq_f32_e32 vcc_lo, v2, v4
	v_cmp_neq_f32_e64 s0, v3, v5
	s_or_b32 s18, vcc_lo, s0
	s_cbranch_execnz .LBB133_71
.LBB133_70:
	s_wait_loadcnt 0x0
	v_cmp_eq_f32_e32 vcc_lo, v2, v4
	v_cmp_eq_f32_e64 s0, v3, v5
	s_and_not1_b32 s18, s18, exec_lo
	s_and_b32 s0, vcc_lo, s0
	s_delay_alu instid0(SALU_CYCLE_1) | instskip(NEXT) | instid1(SALU_CYCLE_1)
	s_and_b32 s0, s0, exec_lo
	s_or_b32 s18, s18, s0
.LBB133_71:
	s_delay_alu instid0(SALU_CYCLE_1) | instskip(SKIP_4) | instid1(SALU_CYCLE_1)
	v_cndmask_b32_e64 v1, 0, 1, s18
	v_add_nc_u32_e32 v0, 0x80, v0
	global_store_b8 v6, v1, s[4:5]
	s_wait_xcnt 0x0
	s_or_b32 exec_lo, exec_lo, s35
	s_mov_b32 s35, exec_lo
	v_cmpx_gt_i32_e64 s33, v0
	s_cbranch_execz .LBB133_6
.LBB133_72:
	s_and_not1_b32 vcc_lo, exec_lo, s28
	s_cbranch_vccnz .LBB133_78
; %bb.73:
	s_and_not1_b32 vcc_lo, exec_lo, s34
	s_cbranch_vccnz .LBB133_80
; %bb.74:
	v_dual_mov_b32 v6, 0 :: v_dual_mov_b32 v1, v0
	v_dual_mov_b32 v8, 0 :: v_dual_mov_b32 v7, 0
	s_add_co_i32 s0, s31, 1
	s_mov_b64 s[18:19], 0xffffffffffffffe8
	s_and_b32 s0, s0, 30
	s_add_nc_u64 s[18:19], s[2:3], s[18:19]
.LBB133_75:                             ; =>This Inner Loop Header: Depth=1
	s_clause 0x1
	s_load_b128 s[36:39], s[18:19], 0x1c
	s_load_b64 s[44:45], s[18:19], 0x2c
	s_add_co_i32 s0, s0, -2
	s_delay_alu instid0(SALU_CYCLE_1) | instskip(SKIP_3) | instid1(VALU_DEP_1)
	s_cmp_eq_u32 s0, 0
	s_wait_loadcnt 0x1
	s_wait_kmcnt 0x0
	v_mul_hi_u32 v2, s37, v1
	v_add_nc_u32_e32 v2, v1, v2
	s_delay_alu instid0(VALU_DEP_1) | instskip(NEXT) | instid1(VALU_DEP_1)
	v_lshrrev_b32_e32 v2, s38, v2
	v_mul_hi_u32 v3, s44, v2
	s_wait_loadcnt 0x0
	v_mul_lo_u32 v4, v2, s36
	s_clause 0x1
	s_load_b128 s[40:43], s[18:19], 0xdc
	s_load_b64 s[36:37], s[18:19], 0xec
	s_wait_xcnt 0x0
	s_add_nc_u64 s[18:19], s[18:19], 24
	s_delay_alu instid0(VALU_DEP_1) | instskip(NEXT) | instid1(VALU_DEP_1)
	v_dual_add_nc_u32 v3, v2, v3 :: v_dual_sub_nc_u32 v4, v1, v4
	v_lshrrev_b32_e32 v1, s45, v3
	s_wait_kmcnt 0x0
	s_delay_alu instid0(VALU_DEP_2) | instskip(NEXT) | instid1(VALU_DEP_2)
	v_mad_u32 v5, v4, s40, v6
	v_mul_lo_u32 v3, v1, s39
	v_mad_u32 v7, v4, s42, v7
	v_mad_u32 v4, v4, s41, v8
	s_delay_alu instid0(VALU_DEP_3) | instskip(NEXT) | instid1(VALU_DEP_1)
	v_sub_nc_u32_e32 v2, v2, v3
	v_mad_u32 v6, v2, s43, v5
	s_delay_alu instid0(VALU_DEP_4) | instskip(NEXT) | instid1(VALU_DEP_4)
	v_mad_u32 v7, v2, s37, v7
	v_mad_u32 v8, v2, s36, v4
	s_cbranch_scc0 .LBB133_75
; %bb.76:
	s_bitcmp1_b32 s31, 0
	s_cselect_b32 s0, -1, 0
	s_delay_alu instid0(SALU_CYCLE_1)
	s_and_b32 vcc_lo, exec_lo, s0
	s_cbranch_vccnz .LBB133_81
; %bb.77:
	s_clause 0x1
	s_load_b96 s[36:38], s[18:19], 0x1c
	s_load_b96 s[40:42], s[18:19], 0xdc
	s_wait_kmcnt 0x0
	v_mul_hi_u32 v2, s37, v1
	s_delay_alu instid0(VALU_DEP_1) | instskip(NEXT) | instid1(VALU_DEP_1)
	v_add_nc_u32_e32 v2, v1, v2
	v_lshrrev_b32_e32 v2, s38, v2
	s_delay_alu instid0(VALU_DEP_1) | instskip(NEXT) | instid1(VALU_DEP_1)
	v_mul_lo_u32 v2, v2, s36
	v_sub_nc_u32_e32 v1, v1, v2
	s_delay_alu instid0(VALU_DEP_1)
	v_mad_u32 v6, v1, s40, v6
	v_mad_u32 v8, v1, s41, v8
	;; [unrolled: 1-line block ×3, first 2 shown]
	s_branch .LBB133_81
.LBB133_78:
                                        ; implicit-def: $vgpr7
                                        ; implicit-def: $vgpr8
                                        ; implicit-def: $vgpr6
	s_branch .LBB133_82
.LBB133_79:
                                        ; implicit-def: $sgpr18
	s_branch .LBB133_70
.LBB133_80:
	v_dual_mov_b32 v7, 0 :: v_dual_mov_b32 v8, 0
	v_mov_b32_e32 v6, 0
.LBB133_81:
	s_cbranch_execnz .LBB133_84
.LBB133_82:
	v_mov_b32_e32 v1, 0
	s_and_not1_b32 vcc_lo, exec_lo, s30
	s_wait_loadcnt 0x1
	s_delay_alu instid0(VALU_DEP_1) | instskip(NEXT) | instid1(VALU_DEP_1)
	v_mul_u64_e32 v[2:3], s[20:21], v[0:1]
	v_add_nc_u32_e32 v2, v0, v3
	s_delay_alu instid0(VALU_DEP_1) | instskip(NEXT) | instid1(VALU_DEP_1)
	v_lshrrev_b32_e32 v2, s10, v2
	v_mul_lo_u32 v3, v2, s8
	s_delay_alu instid0(VALU_DEP_1) | instskip(NEXT) | instid1(VALU_DEP_1)
	v_sub_nc_u32_e32 v3, v0, v3
	v_mul_lo_u32 v6, v3, s12
	v_mul_lo_u32 v7, v3, s14
	;; [unrolled: 1-line block ×3, first 2 shown]
	s_cbranch_vccnz .LBB133_84
; %bb.83:
	v_mov_b32_e32 v3, v1
	s_wait_loadcnt 0x0
	s_delay_alu instid0(VALU_DEP_1) | instskip(NEXT) | instid1(VALU_DEP_1)
	v_mul_u64_e32 v[4:5], s[24:25], v[2:3]
	v_add_nc_u32_e32 v1, v2, v5
	s_delay_alu instid0(VALU_DEP_1) | instskip(NEXT) | instid1(VALU_DEP_1)
	v_lshrrev_b32_e32 v1, s1, v1
	v_mul_lo_u32 v1, v1, s11
	s_delay_alu instid0(VALU_DEP_1) | instskip(NEXT) | instid1(VALU_DEP_1)
	v_sub_nc_u32_e32 v1, v2, v1
	v_mad_u32 v6, v1, s15, v6
	v_mad_u32 v8, v1, s22, v8
	;; [unrolled: 1-line block ×3, first 2 shown]
.LBB133_84:
	s_wait_loadcnt 0x1
	global_load_b64 v[2:3], v8, s[6:7]
	s_wait_loadcnt 0x1
	global_load_b64 v[4:5], v7, s[16:17]
	s_and_not1_b32 vcc_lo, exec_lo, s9
	s_cbranch_vccnz .LBB133_95
; %bb.85:
	s_wait_loadcnt 0x0
	v_cmp_neq_f32_e32 vcc_lo, v2, v4
	v_cmp_neq_f32_e64 s0, v3, v5
	s_or_b32 s18, vcc_lo, s0
	s_cbranch_execnz .LBB133_87
.LBB133_86:
	s_wait_loadcnt 0x0
	v_cmp_eq_f32_e32 vcc_lo, v2, v4
	v_cmp_eq_f32_e64 s0, v3, v5
	s_and_not1_b32 s18, s18, exec_lo
	s_and_b32 s0, vcc_lo, s0
	s_delay_alu instid0(SALU_CYCLE_1) | instskip(NEXT) | instid1(SALU_CYCLE_1)
	s_and_b32 s0, s0, exec_lo
	s_or_b32 s18, s18, s0
.LBB133_87:
	s_delay_alu instid0(SALU_CYCLE_1) | instskip(SKIP_4) | instid1(SALU_CYCLE_1)
	v_cndmask_b32_e64 v1, 0, 1, s18
	v_add_nc_u32_e32 v0, 0x80, v0
	global_store_b8 v6, v1, s[4:5]
	s_wait_xcnt 0x0
	s_or_b32 exec_lo, exec_lo, s35
	s_mov_b32 s35, exec_lo
	v_cmpx_gt_i32_e64 s33, v0
	s_cbranch_execz .LBB133_7
.LBB133_88:
	s_and_not1_b32 vcc_lo, exec_lo, s28
	s_cbranch_vccnz .LBB133_94
; %bb.89:
	s_and_not1_b32 vcc_lo, exec_lo, s34
	s_cbranch_vccnz .LBB133_96
; %bb.90:
	v_dual_mov_b32 v6, 0 :: v_dual_mov_b32 v1, v0
	v_dual_mov_b32 v8, 0 :: v_dual_mov_b32 v7, 0
	s_add_co_i32 s0, s31, 1
	s_mov_b64 s[18:19], 0xffffffffffffffe8
	s_and_b32 s0, s0, 30
	s_add_nc_u64 s[18:19], s[2:3], s[18:19]
.LBB133_91:                             ; =>This Inner Loop Header: Depth=1
	s_clause 0x1
	s_load_b128 s[36:39], s[18:19], 0x1c
	s_load_b64 s[44:45], s[18:19], 0x2c
	s_add_co_i32 s0, s0, -2
	s_delay_alu instid0(SALU_CYCLE_1) | instskip(SKIP_3) | instid1(VALU_DEP_1)
	s_cmp_eq_u32 s0, 0
	s_wait_loadcnt 0x1
	s_wait_kmcnt 0x0
	v_mul_hi_u32 v2, s37, v1
	v_add_nc_u32_e32 v2, v1, v2
	s_delay_alu instid0(VALU_DEP_1) | instskip(NEXT) | instid1(VALU_DEP_1)
	v_lshrrev_b32_e32 v2, s38, v2
	v_mul_hi_u32 v3, s44, v2
	s_wait_loadcnt 0x0
	v_mul_lo_u32 v4, v2, s36
	s_clause 0x1
	s_load_b128 s[40:43], s[18:19], 0xdc
	s_load_b64 s[36:37], s[18:19], 0xec
	s_wait_xcnt 0x0
	s_add_nc_u64 s[18:19], s[18:19], 24
	s_delay_alu instid0(VALU_DEP_1) | instskip(NEXT) | instid1(VALU_DEP_1)
	v_dual_add_nc_u32 v3, v2, v3 :: v_dual_sub_nc_u32 v4, v1, v4
	v_lshrrev_b32_e32 v1, s45, v3
	s_wait_kmcnt 0x0
	s_delay_alu instid0(VALU_DEP_2) | instskip(NEXT) | instid1(VALU_DEP_2)
	v_mad_u32 v5, v4, s40, v6
	v_mul_lo_u32 v3, v1, s39
	v_mad_u32 v7, v4, s42, v7
	v_mad_u32 v4, v4, s41, v8
	s_delay_alu instid0(VALU_DEP_3) | instskip(NEXT) | instid1(VALU_DEP_1)
	v_sub_nc_u32_e32 v2, v2, v3
	v_mad_u32 v6, v2, s43, v5
	s_delay_alu instid0(VALU_DEP_4) | instskip(NEXT) | instid1(VALU_DEP_4)
	v_mad_u32 v7, v2, s37, v7
	v_mad_u32 v8, v2, s36, v4
	s_cbranch_scc0 .LBB133_91
; %bb.92:
	s_bitcmp1_b32 s31, 0
	s_cselect_b32 s0, -1, 0
	s_delay_alu instid0(SALU_CYCLE_1)
	s_and_b32 vcc_lo, exec_lo, s0
	s_cbranch_vccnz .LBB133_97
; %bb.93:
	s_clause 0x1
	s_load_b96 s[36:38], s[18:19], 0x1c
	s_load_b96 s[40:42], s[18:19], 0xdc
	s_wait_kmcnt 0x0
	v_mul_hi_u32 v2, s37, v1
	s_delay_alu instid0(VALU_DEP_1) | instskip(NEXT) | instid1(VALU_DEP_1)
	v_add_nc_u32_e32 v2, v1, v2
	v_lshrrev_b32_e32 v2, s38, v2
	s_delay_alu instid0(VALU_DEP_1) | instskip(NEXT) | instid1(VALU_DEP_1)
	v_mul_lo_u32 v2, v2, s36
	v_sub_nc_u32_e32 v1, v1, v2
	s_delay_alu instid0(VALU_DEP_1)
	v_mad_u32 v6, v1, s40, v6
	v_mad_u32 v8, v1, s41, v8
	;; [unrolled: 1-line block ×3, first 2 shown]
	s_branch .LBB133_97
.LBB133_94:
                                        ; implicit-def: $vgpr7
                                        ; implicit-def: $vgpr8
                                        ; implicit-def: $vgpr6
	s_branch .LBB133_98
.LBB133_95:
                                        ; implicit-def: $sgpr18
	s_branch .LBB133_86
.LBB133_96:
	v_dual_mov_b32 v7, 0 :: v_dual_mov_b32 v8, 0
	v_mov_b32_e32 v6, 0
.LBB133_97:
	s_cbranch_execnz .LBB133_100
.LBB133_98:
	v_mov_b32_e32 v1, 0
	s_and_not1_b32 vcc_lo, exec_lo, s30
	s_wait_loadcnt 0x1
	s_delay_alu instid0(VALU_DEP_1) | instskip(NEXT) | instid1(VALU_DEP_1)
	v_mul_u64_e32 v[2:3], s[20:21], v[0:1]
	v_add_nc_u32_e32 v2, v0, v3
	s_delay_alu instid0(VALU_DEP_1) | instskip(NEXT) | instid1(VALU_DEP_1)
	v_lshrrev_b32_e32 v2, s10, v2
	v_mul_lo_u32 v3, v2, s8
	s_delay_alu instid0(VALU_DEP_1) | instskip(NEXT) | instid1(VALU_DEP_1)
	v_sub_nc_u32_e32 v3, v0, v3
	v_mul_lo_u32 v6, v3, s12
	v_mul_lo_u32 v7, v3, s14
	;; [unrolled: 1-line block ×3, first 2 shown]
	s_cbranch_vccnz .LBB133_100
; %bb.99:
	v_mov_b32_e32 v3, v1
	s_wait_loadcnt 0x0
	s_delay_alu instid0(VALU_DEP_1) | instskip(NEXT) | instid1(VALU_DEP_1)
	v_mul_u64_e32 v[4:5], s[24:25], v[2:3]
	v_add_nc_u32_e32 v1, v2, v5
	s_delay_alu instid0(VALU_DEP_1) | instskip(NEXT) | instid1(VALU_DEP_1)
	v_lshrrev_b32_e32 v1, s1, v1
	v_mul_lo_u32 v1, v1, s11
	s_delay_alu instid0(VALU_DEP_1) | instskip(NEXT) | instid1(VALU_DEP_1)
	v_sub_nc_u32_e32 v1, v2, v1
	v_mad_u32 v6, v1, s15, v6
	v_mad_u32 v8, v1, s22, v8
	;; [unrolled: 1-line block ×3, first 2 shown]
.LBB133_100:
	s_wait_loadcnt 0x1
	global_load_b64 v[2:3], v8, s[6:7]
	s_wait_loadcnt 0x1
	global_load_b64 v[4:5], v7, s[16:17]
	s_and_not1_b32 vcc_lo, exec_lo, s9
	s_cbranch_vccnz .LBB133_111
; %bb.101:
	s_wait_loadcnt 0x0
	v_cmp_neq_f32_e32 vcc_lo, v2, v4
	v_cmp_neq_f32_e64 s0, v3, v5
	s_or_b32 s18, vcc_lo, s0
	s_cbranch_execnz .LBB133_103
.LBB133_102:
	s_wait_loadcnt 0x0
	v_cmp_eq_f32_e32 vcc_lo, v2, v4
	v_cmp_eq_f32_e64 s0, v3, v5
	s_and_not1_b32 s18, s18, exec_lo
	s_and_b32 s0, vcc_lo, s0
	s_delay_alu instid0(SALU_CYCLE_1) | instskip(NEXT) | instid1(SALU_CYCLE_1)
	s_and_b32 s0, s0, exec_lo
	s_or_b32 s18, s18, s0
.LBB133_103:
	s_delay_alu instid0(SALU_CYCLE_1) | instskip(SKIP_4) | instid1(SALU_CYCLE_1)
	v_cndmask_b32_e64 v1, 0, 1, s18
	v_add_nc_u32_e32 v0, 0x80, v0
	global_store_b8 v6, v1, s[4:5]
	s_wait_xcnt 0x0
	s_or_b32 exec_lo, exec_lo, s35
	s_mov_b32 s35, exec_lo
	v_cmpx_gt_i32_e64 s33, v0
	s_cbranch_execz .LBB133_8
.LBB133_104:
	s_and_not1_b32 vcc_lo, exec_lo, s28
	s_cbranch_vccnz .LBB133_110
; %bb.105:
	s_and_not1_b32 vcc_lo, exec_lo, s34
	s_cbranch_vccnz .LBB133_112
; %bb.106:
	v_dual_mov_b32 v6, 0 :: v_dual_mov_b32 v1, v0
	v_dual_mov_b32 v8, 0 :: v_dual_mov_b32 v7, 0
	s_add_co_i32 s0, s31, 1
	s_mov_b64 s[18:19], 0xffffffffffffffe8
	s_and_b32 s0, s0, 30
	s_add_nc_u64 s[18:19], s[2:3], s[18:19]
.LBB133_107:                            ; =>This Inner Loop Header: Depth=1
	s_clause 0x1
	s_load_b128 s[36:39], s[18:19], 0x1c
	s_load_b64 s[44:45], s[18:19], 0x2c
	s_add_co_i32 s0, s0, -2
	s_delay_alu instid0(SALU_CYCLE_1) | instskip(SKIP_3) | instid1(VALU_DEP_1)
	s_cmp_eq_u32 s0, 0
	s_wait_loadcnt 0x1
	s_wait_kmcnt 0x0
	v_mul_hi_u32 v2, s37, v1
	v_add_nc_u32_e32 v2, v1, v2
	s_delay_alu instid0(VALU_DEP_1) | instskip(NEXT) | instid1(VALU_DEP_1)
	v_lshrrev_b32_e32 v2, s38, v2
	v_mul_hi_u32 v3, s44, v2
	s_wait_loadcnt 0x0
	v_mul_lo_u32 v4, v2, s36
	s_clause 0x1
	s_load_b128 s[40:43], s[18:19], 0xdc
	s_load_b64 s[36:37], s[18:19], 0xec
	s_wait_xcnt 0x0
	s_add_nc_u64 s[18:19], s[18:19], 24
	s_delay_alu instid0(VALU_DEP_1) | instskip(NEXT) | instid1(VALU_DEP_1)
	v_dual_add_nc_u32 v3, v2, v3 :: v_dual_sub_nc_u32 v4, v1, v4
	v_lshrrev_b32_e32 v1, s45, v3
	s_wait_kmcnt 0x0
	s_delay_alu instid0(VALU_DEP_2) | instskip(NEXT) | instid1(VALU_DEP_2)
	v_mad_u32 v5, v4, s40, v6
	v_mul_lo_u32 v3, v1, s39
	v_mad_u32 v7, v4, s42, v7
	v_mad_u32 v4, v4, s41, v8
	s_delay_alu instid0(VALU_DEP_3) | instskip(NEXT) | instid1(VALU_DEP_1)
	v_sub_nc_u32_e32 v2, v2, v3
	v_mad_u32 v6, v2, s43, v5
	s_delay_alu instid0(VALU_DEP_4) | instskip(NEXT) | instid1(VALU_DEP_4)
	v_mad_u32 v7, v2, s37, v7
	v_mad_u32 v8, v2, s36, v4
	s_cbranch_scc0 .LBB133_107
; %bb.108:
	s_bitcmp1_b32 s31, 0
	s_cselect_b32 s0, -1, 0
	s_delay_alu instid0(SALU_CYCLE_1)
	s_and_b32 vcc_lo, exec_lo, s0
	s_cbranch_vccnz .LBB133_113
; %bb.109:
	s_clause 0x1
	s_load_b96 s[36:38], s[18:19], 0x1c
	s_load_b96 s[40:42], s[18:19], 0xdc
	s_wait_kmcnt 0x0
	v_mul_hi_u32 v2, s37, v1
	s_delay_alu instid0(VALU_DEP_1) | instskip(NEXT) | instid1(VALU_DEP_1)
	v_add_nc_u32_e32 v2, v1, v2
	v_lshrrev_b32_e32 v2, s38, v2
	s_delay_alu instid0(VALU_DEP_1) | instskip(NEXT) | instid1(VALU_DEP_1)
	v_mul_lo_u32 v2, v2, s36
	v_sub_nc_u32_e32 v1, v1, v2
	s_delay_alu instid0(VALU_DEP_1)
	v_mad_u32 v6, v1, s40, v6
	v_mad_u32 v8, v1, s41, v8
	;; [unrolled: 1-line block ×3, first 2 shown]
	s_branch .LBB133_113
.LBB133_110:
                                        ; implicit-def: $vgpr7
                                        ; implicit-def: $vgpr8
                                        ; implicit-def: $vgpr6
	s_branch .LBB133_114
.LBB133_111:
                                        ; implicit-def: $sgpr18
	s_branch .LBB133_102
.LBB133_112:
	v_dual_mov_b32 v7, 0 :: v_dual_mov_b32 v8, 0
	v_mov_b32_e32 v6, 0
.LBB133_113:
	s_cbranch_execnz .LBB133_116
.LBB133_114:
	v_mov_b32_e32 v1, 0
	s_and_not1_b32 vcc_lo, exec_lo, s30
	s_wait_loadcnt 0x1
	s_delay_alu instid0(VALU_DEP_1) | instskip(NEXT) | instid1(VALU_DEP_1)
	v_mul_u64_e32 v[2:3], s[20:21], v[0:1]
	v_add_nc_u32_e32 v2, v0, v3
	s_delay_alu instid0(VALU_DEP_1) | instskip(NEXT) | instid1(VALU_DEP_1)
	v_lshrrev_b32_e32 v2, s10, v2
	v_mul_lo_u32 v3, v2, s8
	s_delay_alu instid0(VALU_DEP_1) | instskip(NEXT) | instid1(VALU_DEP_1)
	v_sub_nc_u32_e32 v3, v0, v3
	v_mul_lo_u32 v6, v3, s12
	v_mul_lo_u32 v7, v3, s14
	v_mul_lo_u32 v8, v3, s13
	s_cbranch_vccnz .LBB133_116
; %bb.115:
	v_mov_b32_e32 v3, v1
	s_wait_loadcnt 0x0
	s_delay_alu instid0(VALU_DEP_1) | instskip(NEXT) | instid1(VALU_DEP_1)
	v_mul_u64_e32 v[4:5], s[24:25], v[2:3]
	v_add_nc_u32_e32 v1, v2, v5
	s_delay_alu instid0(VALU_DEP_1) | instskip(NEXT) | instid1(VALU_DEP_1)
	v_lshrrev_b32_e32 v1, s1, v1
	v_mul_lo_u32 v1, v1, s11
	s_delay_alu instid0(VALU_DEP_1) | instskip(NEXT) | instid1(VALU_DEP_1)
	v_sub_nc_u32_e32 v1, v2, v1
	v_mad_u32 v6, v1, s15, v6
	v_mad_u32 v8, v1, s22, v8
	;; [unrolled: 1-line block ×3, first 2 shown]
.LBB133_116:
	s_wait_loadcnt 0x1
	global_load_b64 v[2:3], v8, s[6:7]
	s_wait_loadcnt 0x1
	global_load_b64 v[4:5], v7, s[16:17]
	s_and_not1_b32 vcc_lo, exec_lo, s9
	s_cbranch_vccnz .LBB133_127
; %bb.117:
	s_wait_loadcnt 0x0
	v_cmp_neq_f32_e32 vcc_lo, v2, v4
	v_cmp_neq_f32_e64 s0, v3, v5
	s_or_b32 s18, vcc_lo, s0
	s_cbranch_execnz .LBB133_119
.LBB133_118:
	s_wait_loadcnt 0x0
	v_cmp_eq_f32_e32 vcc_lo, v2, v4
	v_cmp_eq_f32_e64 s0, v3, v5
	s_and_not1_b32 s18, s18, exec_lo
	s_and_b32 s0, vcc_lo, s0
	s_delay_alu instid0(SALU_CYCLE_1) | instskip(NEXT) | instid1(SALU_CYCLE_1)
	s_and_b32 s0, s0, exec_lo
	s_or_b32 s18, s18, s0
.LBB133_119:
	s_delay_alu instid0(SALU_CYCLE_1)
	v_cndmask_b32_e64 v1, 0, 1, s18
	v_add_nc_u32_e32 v0, 0x80, v0
	global_store_b8 v6, v1, s[4:5]
	s_wait_xcnt 0x0
	s_or_b32 exec_lo, exec_lo, s35
	v_cmp_gt_i32_e32 vcc_lo, s33, v0
	s_and_saveexec_b32 s33, vcc_lo
	s_cbranch_execz .LBB133_136
.LBB133_120:
	s_and_not1_b32 vcc_lo, exec_lo, s28
	s_cbranch_vccnz .LBB133_126
; %bb.121:
	s_and_not1_b32 vcc_lo, exec_lo, s34
	s_cbranch_vccnz .LBB133_128
; %bb.122:
	s_wait_loadcnt 0x0
	v_dual_mov_b32 v4, 0 :: v_dual_mov_b32 v1, v0
	v_dual_mov_b32 v6, 0 :: v_dual_mov_b32 v5, 0
	s_add_co_i32 s0, s31, 1
	s_mov_b64 s[18:19], 0xffffffffffffffe8
	s_and_b32 s0, s0, 30
	s_add_nc_u64 s[18:19], s[2:3], s[18:19]
.LBB133_123:                            ; =>This Inner Loop Header: Depth=1
	s_clause 0x1
	s_load_b128 s[36:39], s[18:19], 0x1c
	s_load_b64 s[34:35], s[18:19], 0x2c
	s_add_co_i32 s0, s0, -2
	s_delay_alu instid0(SALU_CYCLE_1) | instskip(SKIP_2) | instid1(VALU_DEP_1)
	s_cmp_eq_u32 s0, 0
	s_wait_kmcnt 0x0
	v_mul_hi_u32 v2, s37, v1
	v_add_nc_u32_e32 v2, v1, v2
	s_delay_alu instid0(VALU_DEP_1) | instskip(NEXT) | instid1(VALU_DEP_1)
	v_lshrrev_b32_e32 v2, s38, v2
	v_mul_hi_u32 v3, s34, v2
	v_mul_lo_u32 v7, v2, s36
	s_clause 0x1
	s_load_b128 s[40:43], s[18:19], 0xdc
	s_load_b64 s[36:37], s[18:19], 0xec
	s_wait_xcnt 0x0
	s_add_nc_u64 s[18:19], s[18:19], 24
	s_delay_alu instid0(VALU_DEP_2) | instskip(NEXT) | instid1(VALU_DEP_2)
	v_add_nc_u32_e32 v3, v2, v3
	v_sub_nc_u32_e32 v7, v1, v7
	s_delay_alu instid0(VALU_DEP_2) | instskip(SKIP_1) | instid1(VALU_DEP_2)
	v_lshrrev_b32_e32 v1, s35, v3
	s_wait_kmcnt 0x0
	v_mad_u32 v4, v7, s40, v4
	s_delay_alu instid0(VALU_DEP_2) | instskip(SKIP_2) | instid1(VALU_DEP_3)
	v_mul_lo_u32 v3, v1, s39
	v_mad_u32 v5, v7, s42, v5
	v_mad_u32 v6, v7, s41, v6
	v_sub_nc_u32_e32 v2, v2, v3
	s_delay_alu instid0(VALU_DEP_1) | instskip(NEXT) | instid1(VALU_DEP_4)
	v_mad_u32 v4, v2, s43, v4
	v_mad_u32 v5, v2, s37, v5
	s_delay_alu instid0(VALU_DEP_4)
	v_mad_u32 v6, v2, s36, v6
	s_cbranch_scc0 .LBB133_123
; %bb.124:
	s_bitcmp1_b32 s31, 0
	s_cselect_b32 s0, -1, 0
	s_delay_alu instid0(SALU_CYCLE_1)
	s_and_b32 vcc_lo, exec_lo, s0
	s_cbranch_vccnz .LBB133_129
; %bb.125:
	s_clause 0x1
	s_load_b96 s[36:38], s[18:19], 0x1c
	s_load_b96 s[40:42], s[18:19], 0xdc
	s_wait_kmcnt 0x0
	v_mul_hi_u32 v2, s37, v1
	s_delay_alu instid0(VALU_DEP_1) | instskip(NEXT) | instid1(VALU_DEP_1)
	v_add_nc_u32_e32 v2, v1, v2
	v_lshrrev_b32_e32 v2, s38, v2
	s_delay_alu instid0(VALU_DEP_1) | instskip(NEXT) | instid1(VALU_DEP_1)
	v_mul_lo_u32 v2, v2, s36
	v_sub_nc_u32_e32 v1, v1, v2
	s_delay_alu instid0(VALU_DEP_1)
	v_mad_u32 v4, v1, s40, v4
	v_mad_u32 v6, v1, s41, v6
	v_mad_u32 v5, v1, s42, v5
	s_branch .LBB133_129
.LBB133_126:
                                        ; implicit-def: $vgpr5
                                        ; implicit-def: $vgpr6
                                        ; implicit-def: $vgpr4
	s_branch .LBB133_130
.LBB133_127:
                                        ; implicit-def: $sgpr18
	s_branch .LBB133_118
.LBB133_128:
	s_wait_loadcnt 0x0
	v_dual_mov_b32 v5, 0 :: v_dual_mov_b32 v6, 0
	v_mov_b32_e32 v4, 0
.LBB133_129:
	s_cbranch_execnz .LBB133_132
.LBB133_130:
	v_mov_b32_e32 v1, 0
	s_and_not1_b32 vcc_lo, exec_lo, s30
	s_wait_loadcnt 0x1
	s_delay_alu instid0(VALU_DEP_1) | instskip(NEXT) | instid1(VALU_DEP_1)
	v_mul_u64_e32 v[2:3], s[20:21], v[0:1]
	v_add_nc_u32_e32 v2, v0, v3
	s_delay_alu instid0(VALU_DEP_1) | instskip(NEXT) | instid1(VALU_DEP_1)
	v_lshrrev_b32_e32 v2, s10, v2
	v_mul_lo_u32 v3, v2, s8
	s_delay_alu instid0(VALU_DEP_1) | instskip(SKIP_1) | instid1(VALU_DEP_1)
	v_sub_nc_u32_e32 v0, v0, v3
	s_wait_loadcnt 0x0
	v_mul_lo_u32 v4, v0, s12
	v_mul_lo_u32 v5, v0, s14
	;; [unrolled: 1-line block ×3, first 2 shown]
	s_cbranch_vccnz .LBB133_132
; %bb.131:
	v_mov_b32_e32 v3, v1
	s_delay_alu instid0(VALU_DEP_1) | instskip(NEXT) | instid1(VALU_DEP_1)
	v_mul_u64_e32 v[0:1], s[24:25], v[2:3]
	v_add_nc_u32_e32 v0, v2, v1
	s_delay_alu instid0(VALU_DEP_1) | instskip(NEXT) | instid1(VALU_DEP_1)
	v_lshrrev_b32_e32 v0, s1, v0
	v_mul_lo_u32 v0, v0, s11
	s_delay_alu instid0(VALU_DEP_1) | instskip(NEXT) | instid1(VALU_DEP_1)
	v_sub_nc_u32_e32 v0, v2, v0
	v_mad_u32 v4, v0, s15, v4
	v_mad_u32 v6, v0, s22, v6
	;; [unrolled: 1-line block ×3, first 2 shown]
.LBB133_132:
	global_load_b64 v[0:1], v6, s[6:7]
	s_wait_loadcnt 0x1
	global_load_b64 v[2:3], v5, s[16:17]
	s_and_not1_b32 vcc_lo, exec_lo, s9
	s_cbranch_vccnz .LBB133_149
; %bb.133:
	s_wait_loadcnt 0x0
	v_cmp_neq_f32_e32 vcc_lo, v0, v2
	v_cmp_neq_f32_e64 s0, v1, v3
	s_or_b32 s1, vcc_lo, s0
	s_cbranch_execnz .LBB133_135
.LBB133_134:
	s_wait_loadcnt 0x0
	v_cmp_eq_f32_e32 vcc_lo, v0, v2
	v_cmp_eq_f32_e64 s0, v1, v3
	s_and_not1_b32 s1, s1, exec_lo
	s_and_b32 s0, vcc_lo, s0
	s_delay_alu instid0(SALU_CYCLE_1) | instskip(NEXT) | instid1(SALU_CYCLE_1)
	s_and_b32 s0, s0, exec_lo
	s_or_b32 s1, s1, s0
.LBB133_135:
	s_wait_loadcnt 0x1
	v_cndmask_b32_e64 v0, 0, 1, s1
	global_store_b8 v4, v0, s[4:5]
.LBB133_136:
	s_wait_xcnt 0x0
	s_or_b32 exec_lo, exec_lo, s33
                                        ; implicit-def: $vgpr1
                                        ; implicit-def: $vgpr0
.LBB133_137:
	s_and_not1_saveexec_b32 s0, s29
	s_cbranch_execz .LBB133_144
; %bb.138:
	s_wait_loadcnt 0x0
	v_cndmask_b32_e64 v2, 0, 1, s28
	s_and_not1_b32 vcc_lo, exec_lo, s28
	s_cbranch_vccnz .LBB133_145
; %bb.139:
	s_cmp_lg_u32 s26, 0
	s_mov_b32 s4, 0
	s_cbranch_scc0 .LBB133_150
; %bb.140:
	s_min_u32 s5, s27, 15
	v_dual_mov_b32 v4, 0 :: v_dual_mov_b32 v3, v0
	v_dual_mov_b32 v7, 0 :: v_dual_mov_b32 v6, 0
	s_add_co_i32 s6, s5, 1
	s_mov_b64 s[0:1], 0xffffffffffffffe8
	s_and_b32 s6, s6, 30
	s_add_nc_u64 s[0:1], s[2:3], s[0:1]
.LBB133_141:                            ; =>This Inner Loop Header: Depth=1
	s_clause 0x1
	s_load_b128 s[8:11], s[0:1], 0x1c
	s_load_b64 s[16:17], s[0:1], 0x2c
	s_add_co_i32 s6, s6, -2
	s_delay_alu instid0(SALU_CYCLE_1) | instskip(SKIP_2) | instid1(VALU_DEP_1)
	s_cmp_lg_u32 s6, 0
	s_wait_kmcnt 0x0
	v_mul_hi_u32 v5, s9, v3
	v_add_nc_u32_e32 v5, v3, v5
	s_delay_alu instid0(VALU_DEP_1) | instskip(NEXT) | instid1(VALU_DEP_1)
	v_lshrrev_b32_e32 v5, s10, v5
	v_mul_hi_u32 v8, s16, v5
	v_mul_lo_u32 v9, v5, s8
	s_clause 0x1
	s_load_b128 s[12:15], s[0:1], 0xdc
	s_load_b64 s[8:9], s[0:1], 0xec
	s_wait_xcnt 0x0
	s_add_nc_u64 s[0:1], s[0:1], 24
	s_delay_alu instid0(VALU_DEP_1) | instskip(NEXT) | instid1(VALU_DEP_1)
	v_dual_add_nc_u32 v8, v5, v8 :: v_dual_sub_nc_u32 v9, v3, v9
	v_lshrrev_b32_e32 v3, s17, v8
	s_wait_kmcnt 0x0
	s_delay_alu instid0(VALU_DEP_2) | instskip(NEXT) | instid1(VALU_DEP_2)
	v_mad_u32 v4, v9, s12, v4
	v_mul_lo_u32 v8, v3, s11
	v_mad_u32 v6, v9, s14, v6
	v_mad_u32 v7, v9, s13, v7
	s_delay_alu instid0(VALU_DEP_3) | instskip(NEXT) | instid1(VALU_DEP_1)
	v_sub_nc_u32_e32 v5, v5, v8
	v_mad_u32 v4, v5, s15, v4
	s_delay_alu instid0(VALU_DEP_4) | instskip(NEXT) | instid1(VALU_DEP_4)
	v_mad_u32 v6, v5, s9, v6
	v_mad_u32 v7, v5, s8, v7
	s_cbranch_scc1 .LBB133_141
; %bb.142:
	s_bitcmp1_b32 s5, 0
	s_cselect_b32 s5, -1, 0
	s_delay_alu instid0(SALU_CYCLE_1)
	s_and_b32 vcc_lo, exec_lo, s5
	s_cbranch_vccnz .LBB133_146
; %bb.143:
	s_clause 0x1
	s_load_b96 s[8:10], s[0:1], 0x1c
	s_load_b96 s[12:14], s[0:1], 0xdc
	s_wait_kmcnt 0x0
	v_mul_hi_u32 v5, s9, v3
	s_delay_alu instid0(VALU_DEP_1) | instskip(NEXT) | instid1(VALU_DEP_1)
	v_add_nc_u32_e32 v5, v3, v5
	v_lshrrev_b32_e32 v5, s10, v5
	s_delay_alu instid0(VALU_DEP_1) | instskip(NEXT) | instid1(VALU_DEP_1)
	v_mul_lo_u32 v5, v5, s8
	v_sub_nc_u32_e32 v3, v3, v5
	s_delay_alu instid0(VALU_DEP_1)
	v_mad_u32 v4, v3, s12, v4
	v_mad_u32 v7, v3, s13, v7
	;; [unrolled: 1-line block ×3, first 2 shown]
	s_and_not1_b32 vcc_lo, exec_lo, s4
	s_cbranch_vccz .LBB133_147
	s_branch .LBB133_151
.LBB133_144:
	s_endpgm
.LBB133_145:
	s_mov_b32 s4, -1
                                        ; implicit-def: $vgpr6
                                        ; implicit-def: $vgpr7
                                        ; implicit-def: $vgpr4
.LBB133_146:
	s_delay_alu instid0(SALU_CYCLE_1)
	s_and_not1_b32 vcc_lo, exec_lo, s4
	s_cbranch_vccnz .LBB133_151
.LBB133_147:
	s_clause 0x1
	s_load_b96 s[4:6], s[2:3], 0x4
	s_load_b96 s[8:10], s[2:3], 0xc4
	s_cmp_lt_u32 s26, 2
	s_wait_kmcnt 0x0
	v_mul_hi_u32 v3, s5, v0
	s_delay_alu instid0(VALU_DEP_1) | instskip(NEXT) | instid1(VALU_DEP_1)
	v_add_nc_u32_e32 v3, v0, v3
	v_lshrrev_b32_e32 v3, s6, v3
	s_delay_alu instid0(VALU_DEP_1) | instskip(NEXT) | instid1(VALU_DEP_1)
	v_mul_lo_u32 v4, v3, s4
	v_sub_nc_u32_e32 v5, v0, v4
	s_delay_alu instid0(VALU_DEP_1)
	v_mul_lo_u32 v4, v5, s8
	v_mul_lo_u32 v6, v5, s10
	;; [unrolled: 1-line block ×3, first 2 shown]
	s_cbranch_scc1 .LBB133_151
; %bb.148:
	s_clause 0x1
	s_load_b96 s[4:6], s[2:3], 0x10
	s_load_b96 s[8:10], s[2:3], 0xd0
	s_wait_kmcnt 0x0
	v_mul_hi_u32 v5, s5, v3
	s_delay_alu instid0(VALU_DEP_1) | instskip(NEXT) | instid1(VALU_DEP_1)
	v_add_nc_u32_e32 v5, v3, v5
	v_lshrrev_b32_e32 v5, s6, v5
	s_delay_alu instid0(VALU_DEP_1) | instskip(NEXT) | instid1(VALU_DEP_1)
	v_mul_lo_u32 v5, v5, s4
	v_sub_nc_u32_e32 v3, v3, v5
	s_delay_alu instid0(VALU_DEP_1)
	v_mad_u32 v4, v3, s8, v4
	v_mad_u32 v7, v3, s9, v7
	;; [unrolled: 1-line block ×3, first 2 shown]
	s_branch .LBB133_151
.LBB133_149:
                                        ; implicit-def: $sgpr1
	s_branch .LBB133_134
.LBB133_150:
	v_dual_mov_b32 v6, 0 :: v_dual_mov_b32 v7, 0
	v_mov_b32_e32 v4, 0
	s_and_not1_b32 vcc_lo, exec_lo, s4
	s_cbranch_vccz .LBB133_147
.LBB133_151:
	v_cmp_ne_u32_e32 vcc_lo, 1, v2
	v_add_nc_u32_e32 v3, 0x80, v0
	s_cbranch_vccnz .LBB133_157
; %bb.152:
	s_cmp_lg_u32 s26, 0
	s_mov_b32 s4, 0
	s_cbranch_scc0 .LBB133_161
; %bb.153:
	s_min_u32 s5, s27, 15
	v_dual_mov_b32 v5, 0 :: v_dual_mov_b32 v8, v3
	v_dual_mov_b32 v10, 0 :: v_dual_mov_b32 v9, 0
	s_add_co_i32 s6, s5, 1
	s_mov_b64 s[0:1], 0xffffffffffffffe8
	s_and_b32 s6, s6, 30
	s_add_nc_u64 s[0:1], s[2:3], s[0:1]
.LBB133_154:                            ; =>This Inner Loop Header: Depth=1
	s_clause 0x1
	s_load_b128 s[8:11], s[0:1], 0x1c
	s_load_b64 s[16:17], s[0:1], 0x2c
	s_add_co_i32 s6, s6, -2
	s_delay_alu instid0(SALU_CYCLE_1) | instskip(SKIP_2) | instid1(VALU_DEP_1)
	s_cmp_lg_u32 s6, 0
	s_wait_kmcnt 0x0
	v_mul_hi_u32 v11, s9, v8
	v_add_nc_u32_e32 v11, v8, v11
	s_delay_alu instid0(VALU_DEP_1) | instskip(NEXT) | instid1(VALU_DEP_1)
	v_lshrrev_b32_e32 v11, s10, v11
	v_mul_hi_u32 v12, s16, v11
	v_mul_lo_u32 v13, v11, s8
	s_clause 0x1
	s_load_b128 s[12:15], s[0:1], 0xdc
	s_load_b64 s[8:9], s[0:1], 0xec
	s_wait_xcnt 0x0
	s_add_nc_u64 s[0:1], s[0:1], 24
	s_delay_alu instid0(VALU_DEP_1) | instskip(NEXT) | instid1(VALU_DEP_1)
	v_dual_add_nc_u32 v12, v11, v12 :: v_dual_sub_nc_u32 v13, v8, v13
	v_lshrrev_b32_e32 v8, s17, v12
	s_wait_kmcnt 0x0
	s_delay_alu instid0(VALU_DEP_2) | instskip(NEXT) | instid1(VALU_DEP_2)
	v_mad_u32 v5, v13, s12, v5
	v_mul_lo_u32 v12, v8, s11
	v_mad_u32 v9, v13, s14, v9
	v_mad_u32 v10, v13, s13, v10
	s_delay_alu instid0(VALU_DEP_3) | instskip(NEXT) | instid1(VALU_DEP_1)
	v_sub_nc_u32_e32 v11, v11, v12
	v_mad_u32 v5, v11, s15, v5
	s_delay_alu instid0(VALU_DEP_4) | instskip(NEXT) | instid1(VALU_DEP_4)
	v_mad_u32 v9, v11, s9, v9
	v_mad_u32 v10, v11, s8, v10
	s_cbranch_scc1 .LBB133_154
; %bb.155:
	s_bitcmp1_b32 s5, 0
	s_cselect_b32 s5, -1, 0
	s_delay_alu instid0(SALU_CYCLE_1)
	s_and_b32 vcc_lo, exec_lo, s5
	s_cbranch_vccnz .LBB133_158
; %bb.156:
	s_clause 0x1
	s_load_b96 s[8:10], s[0:1], 0x1c
	s_load_b96 s[12:14], s[0:1], 0xdc
	s_wait_kmcnt 0x0
	v_mul_hi_u32 v11, s9, v8
	s_delay_alu instid0(VALU_DEP_1) | instskip(NEXT) | instid1(VALU_DEP_1)
	v_add_nc_u32_e32 v11, v8, v11
	v_lshrrev_b32_e32 v11, s10, v11
	s_delay_alu instid0(VALU_DEP_1) | instskip(NEXT) | instid1(VALU_DEP_1)
	v_mul_lo_u32 v11, v11, s8
	v_sub_nc_u32_e32 v8, v8, v11
	s_delay_alu instid0(VALU_DEP_1)
	v_mad_u32 v5, v8, s12, v5
	v_mad_u32 v10, v8, s13, v10
	;; [unrolled: 1-line block ×3, first 2 shown]
	s_and_not1_b32 vcc_lo, exec_lo, s4
	s_cbranch_vccz .LBB133_159
	s_branch .LBB133_162
.LBB133_157:
	s_mov_b32 s4, -1
                                        ; implicit-def: $vgpr9
                                        ; implicit-def: $vgpr10
                                        ; implicit-def: $vgpr5
.LBB133_158:
	s_delay_alu instid0(SALU_CYCLE_1)
	s_and_not1_b32 vcc_lo, exec_lo, s4
	s_cbranch_vccnz .LBB133_162
.LBB133_159:
	s_clause 0x1
	s_load_b96 s[4:6], s[2:3], 0x4
	s_load_b96 s[8:10], s[2:3], 0xc4
	s_cmp_lt_u32 s26, 2
	s_wait_kmcnt 0x0
	v_mul_hi_u32 v5, s5, v3
	s_delay_alu instid0(VALU_DEP_1) | instskip(NEXT) | instid1(VALU_DEP_1)
	v_add_nc_u32_e32 v5, v3, v5
	v_lshrrev_b32_e32 v8, s6, v5
	s_delay_alu instid0(VALU_DEP_1) | instskip(NEXT) | instid1(VALU_DEP_1)
	v_mul_lo_u32 v5, v8, s4
	v_sub_nc_u32_e32 v3, v3, v5
	s_delay_alu instid0(VALU_DEP_1)
	v_mul_lo_u32 v5, v3, s8
	v_mul_lo_u32 v9, v3, s10
	;; [unrolled: 1-line block ×3, first 2 shown]
	s_cbranch_scc1 .LBB133_162
; %bb.160:
	s_clause 0x1
	s_load_b96 s[4:6], s[2:3], 0x10
	s_load_b96 s[8:10], s[2:3], 0xd0
	s_wait_kmcnt 0x0
	v_mul_hi_u32 v3, s5, v8
	s_delay_alu instid0(VALU_DEP_1) | instskip(NEXT) | instid1(VALU_DEP_1)
	v_add_nc_u32_e32 v3, v8, v3
	v_lshrrev_b32_e32 v3, s6, v3
	s_delay_alu instid0(VALU_DEP_1) | instskip(NEXT) | instid1(VALU_DEP_1)
	v_mul_lo_u32 v3, v3, s4
	v_sub_nc_u32_e32 v3, v8, v3
	s_delay_alu instid0(VALU_DEP_1)
	v_mad_u32 v5, v3, s8, v5
	v_mad_u32 v10, v3, s9, v10
	;; [unrolled: 1-line block ×3, first 2 shown]
	s_branch .LBB133_162
.LBB133_161:
	v_dual_mov_b32 v9, 0 :: v_dual_mov_b32 v10, 0
	v_mov_b32_e32 v5, 0
	s_and_not1_b32 vcc_lo, exec_lo, s4
	s_cbranch_vccz .LBB133_159
.LBB133_162:
	v_cmp_ne_u32_e32 vcc_lo, 1, v2
	v_add_nc_u32_e32 v3, 0x100, v0
	s_cbranch_vccnz .LBB133_168
; %bb.163:
	s_cmp_lg_u32 s26, 0
	s_mov_b32 s4, 0
	s_cbranch_scc0 .LBB133_172
; %bb.164:
	s_min_u32 s5, s27, 15
	v_dual_mov_b32 v8, 0 :: v_dual_mov_b32 v11, v3
	v_dual_mov_b32 v13, 0 :: v_dual_mov_b32 v12, 0
	s_add_co_i32 s6, s5, 1
	s_mov_b64 s[0:1], 0xffffffffffffffe8
	s_and_b32 s6, s6, 30
	s_add_nc_u64 s[0:1], s[2:3], s[0:1]
.LBB133_165:                            ; =>This Inner Loop Header: Depth=1
	s_clause 0x1
	s_load_b128 s[8:11], s[0:1], 0x1c
	s_load_b64 s[16:17], s[0:1], 0x2c
	s_add_co_i32 s6, s6, -2
	s_delay_alu instid0(SALU_CYCLE_1) | instskip(SKIP_2) | instid1(VALU_DEP_1)
	s_cmp_lg_u32 s6, 0
	s_wait_kmcnt 0x0
	v_mul_hi_u32 v14, s9, v11
	v_add_nc_u32_e32 v14, v11, v14
	s_delay_alu instid0(VALU_DEP_1) | instskip(NEXT) | instid1(VALU_DEP_1)
	v_lshrrev_b32_e32 v14, s10, v14
	v_mul_hi_u32 v15, s16, v14
	v_mul_lo_u32 v16, v14, s8
	s_clause 0x1
	s_load_b128 s[12:15], s[0:1], 0xdc
	s_load_b64 s[8:9], s[0:1], 0xec
	s_wait_xcnt 0x0
	s_add_nc_u64 s[0:1], s[0:1], 24
	s_delay_alu instid0(VALU_DEP_1) | instskip(NEXT) | instid1(VALU_DEP_1)
	v_dual_add_nc_u32 v15, v14, v15 :: v_dual_sub_nc_u32 v16, v11, v16
	v_lshrrev_b32_e32 v11, s17, v15
	s_wait_kmcnt 0x0
	s_delay_alu instid0(VALU_DEP_2) | instskip(NEXT) | instid1(VALU_DEP_2)
	v_mad_u32 v8, v16, s12, v8
	v_mul_lo_u32 v15, v11, s11
	v_mad_u32 v12, v16, s14, v12
	v_mad_u32 v13, v16, s13, v13
	s_delay_alu instid0(VALU_DEP_3) | instskip(NEXT) | instid1(VALU_DEP_1)
	v_sub_nc_u32_e32 v14, v14, v15
	v_mad_u32 v8, v14, s15, v8
	s_delay_alu instid0(VALU_DEP_4) | instskip(NEXT) | instid1(VALU_DEP_4)
	v_mad_u32 v12, v14, s9, v12
	v_mad_u32 v13, v14, s8, v13
	s_cbranch_scc1 .LBB133_165
; %bb.166:
	s_bitcmp1_b32 s5, 0
	s_cselect_b32 s5, -1, 0
	s_delay_alu instid0(SALU_CYCLE_1)
	s_and_b32 vcc_lo, exec_lo, s5
	s_cbranch_vccnz .LBB133_169
; %bb.167:
	s_clause 0x1
	s_load_b96 s[8:10], s[0:1], 0x1c
	s_load_b96 s[12:14], s[0:1], 0xdc
	s_wait_kmcnt 0x0
	v_mul_hi_u32 v14, s9, v11
	s_delay_alu instid0(VALU_DEP_1) | instskip(NEXT) | instid1(VALU_DEP_1)
	v_add_nc_u32_e32 v14, v11, v14
	v_lshrrev_b32_e32 v14, s10, v14
	s_delay_alu instid0(VALU_DEP_1) | instskip(NEXT) | instid1(VALU_DEP_1)
	v_mul_lo_u32 v14, v14, s8
	v_sub_nc_u32_e32 v11, v11, v14
	s_delay_alu instid0(VALU_DEP_1)
	v_mad_u32 v8, v11, s12, v8
	v_mad_u32 v13, v11, s13, v13
	;; [unrolled: 1-line block ×3, first 2 shown]
	s_and_not1_b32 vcc_lo, exec_lo, s4
	s_cbranch_vccz .LBB133_170
	s_branch .LBB133_173
.LBB133_168:
	s_mov_b32 s4, -1
                                        ; implicit-def: $vgpr12
                                        ; implicit-def: $vgpr13
                                        ; implicit-def: $vgpr8
.LBB133_169:
	s_delay_alu instid0(SALU_CYCLE_1)
	s_and_not1_b32 vcc_lo, exec_lo, s4
	s_cbranch_vccnz .LBB133_173
.LBB133_170:
	s_clause 0x1
	s_load_b96 s[4:6], s[2:3], 0x4
	s_load_b96 s[8:10], s[2:3], 0xc4
	s_cmp_lt_u32 s26, 2
	s_wait_kmcnt 0x0
	v_mul_hi_u32 v8, s5, v3
	s_delay_alu instid0(VALU_DEP_1) | instskip(NEXT) | instid1(VALU_DEP_1)
	v_add_nc_u32_e32 v8, v3, v8
	v_lshrrev_b32_e32 v11, s6, v8
	s_delay_alu instid0(VALU_DEP_1) | instskip(NEXT) | instid1(VALU_DEP_1)
	v_mul_lo_u32 v8, v11, s4
	v_sub_nc_u32_e32 v3, v3, v8
	s_delay_alu instid0(VALU_DEP_1)
	v_mul_lo_u32 v8, v3, s8
	v_mul_lo_u32 v12, v3, s10
	;; [unrolled: 1-line block ×3, first 2 shown]
	s_cbranch_scc1 .LBB133_173
; %bb.171:
	s_clause 0x1
	s_load_b96 s[4:6], s[2:3], 0x10
	s_load_b96 s[8:10], s[2:3], 0xd0
	s_wait_kmcnt 0x0
	v_mul_hi_u32 v3, s5, v11
	s_delay_alu instid0(VALU_DEP_1) | instskip(NEXT) | instid1(VALU_DEP_1)
	v_add_nc_u32_e32 v3, v11, v3
	v_lshrrev_b32_e32 v3, s6, v3
	s_delay_alu instid0(VALU_DEP_1) | instskip(NEXT) | instid1(VALU_DEP_1)
	v_mul_lo_u32 v3, v3, s4
	v_sub_nc_u32_e32 v3, v11, v3
	s_delay_alu instid0(VALU_DEP_1)
	v_mad_u32 v8, v3, s8, v8
	v_mad_u32 v13, v3, s9, v13
	;; [unrolled: 1-line block ×3, first 2 shown]
	s_branch .LBB133_173
.LBB133_172:
	v_dual_mov_b32 v12, 0 :: v_dual_mov_b32 v13, 0
	v_mov_b32_e32 v8, 0
	s_and_not1_b32 vcc_lo, exec_lo, s4
	s_cbranch_vccz .LBB133_170
.LBB133_173:
	v_cmp_ne_u32_e32 vcc_lo, 1, v2
	v_add_nc_u32_e32 v3, 0x180, v0
	s_cbranch_vccnz .LBB133_179
; %bb.174:
	s_cmp_lg_u32 s26, 0
	s_mov_b32 s4, 0
	s_cbranch_scc0 .LBB133_183
; %bb.175:
	s_min_u32 s5, s27, 15
	v_dual_mov_b32 v11, 0 :: v_dual_mov_b32 v14, v3
	v_dual_mov_b32 v16, 0 :: v_dual_mov_b32 v15, 0
	s_add_co_i32 s6, s5, 1
	s_mov_b64 s[0:1], 0xffffffffffffffe8
	s_and_b32 s6, s6, 30
	s_add_nc_u64 s[0:1], s[2:3], s[0:1]
.LBB133_176:                            ; =>This Inner Loop Header: Depth=1
	s_clause 0x1
	s_load_b128 s[8:11], s[0:1], 0x1c
	s_load_b64 s[16:17], s[0:1], 0x2c
	s_add_co_i32 s6, s6, -2
	s_delay_alu instid0(SALU_CYCLE_1) | instskip(SKIP_2) | instid1(VALU_DEP_1)
	s_cmp_lg_u32 s6, 0
	s_wait_kmcnt 0x0
	v_mul_hi_u32 v17, s9, v14
	v_add_nc_u32_e32 v17, v14, v17
	s_delay_alu instid0(VALU_DEP_1) | instskip(NEXT) | instid1(VALU_DEP_1)
	v_lshrrev_b32_e32 v17, s10, v17
	v_mul_hi_u32 v18, s16, v17
	v_mul_lo_u32 v19, v17, s8
	s_clause 0x1
	s_load_b128 s[12:15], s[0:1], 0xdc
	s_load_b64 s[8:9], s[0:1], 0xec
	s_wait_xcnt 0x0
	s_add_nc_u64 s[0:1], s[0:1], 24
	s_delay_alu instid0(VALU_DEP_1) | instskip(NEXT) | instid1(VALU_DEP_1)
	v_dual_add_nc_u32 v18, v17, v18 :: v_dual_sub_nc_u32 v19, v14, v19
	v_lshrrev_b32_e32 v14, s17, v18
	s_wait_kmcnt 0x0
	s_delay_alu instid0(VALU_DEP_2) | instskip(NEXT) | instid1(VALU_DEP_2)
	v_mad_u32 v11, v19, s12, v11
	v_mul_lo_u32 v18, v14, s11
	v_mad_u32 v15, v19, s14, v15
	v_mad_u32 v16, v19, s13, v16
	s_delay_alu instid0(VALU_DEP_3) | instskip(NEXT) | instid1(VALU_DEP_1)
	v_sub_nc_u32_e32 v17, v17, v18
	v_mad_u32 v11, v17, s15, v11
	s_delay_alu instid0(VALU_DEP_4) | instskip(NEXT) | instid1(VALU_DEP_4)
	v_mad_u32 v15, v17, s9, v15
	v_mad_u32 v16, v17, s8, v16
	s_cbranch_scc1 .LBB133_176
; %bb.177:
	s_bitcmp1_b32 s5, 0
	s_cselect_b32 s5, -1, 0
	s_delay_alu instid0(SALU_CYCLE_1)
	s_and_b32 vcc_lo, exec_lo, s5
	s_cbranch_vccnz .LBB133_180
; %bb.178:
	s_clause 0x1
	s_load_b96 s[8:10], s[0:1], 0x1c
	s_load_b96 s[12:14], s[0:1], 0xdc
	s_wait_kmcnt 0x0
	v_mul_hi_u32 v17, s9, v14
	s_delay_alu instid0(VALU_DEP_1) | instskip(NEXT) | instid1(VALU_DEP_1)
	v_add_nc_u32_e32 v17, v14, v17
	v_lshrrev_b32_e32 v17, s10, v17
	s_delay_alu instid0(VALU_DEP_1) | instskip(NEXT) | instid1(VALU_DEP_1)
	v_mul_lo_u32 v17, v17, s8
	v_sub_nc_u32_e32 v14, v14, v17
	s_delay_alu instid0(VALU_DEP_1)
	v_mad_u32 v11, v14, s12, v11
	v_mad_u32 v16, v14, s13, v16
	;; [unrolled: 1-line block ×3, first 2 shown]
	s_and_not1_b32 vcc_lo, exec_lo, s4
	s_cbranch_vccz .LBB133_181
	s_branch .LBB133_184
.LBB133_179:
	s_mov_b32 s4, -1
                                        ; implicit-def: $vgpr15
                                        ; implicit-def: $vgpr16
                                        ; implicit-def: $vgpr11
.LBB133_180:
	s_delay_alu instid0(SALU_CYCLE_1)
	s_and_not1_b32 vcc_lo, exec_lo, s4
	s_cbranch_vccnz .LBB133_184
.LBB133_181:
	s_clause 0x1
	s_load_b96 s[4:6], s[2:3], 0x4
	s_load_b96 s[8:10], s[2:3], 0xc4
	s_cmp_lt_u32 s26, 2
	s_wait_kmcnt 0x0
	v_mul_hi_u32 v11, s5, v3
	s_delay_alu instid0(VALU_DEP_1) | instskip(NEXT) | instid1(VALU_DEP_1)
	v_add_nc_u32_e32 v11, v3, v11
	v_lshrrev_b32_e32 v14, s6, v11
	s_delay_alu instid0(VALU_DEP_1) | instskip(NEXT) | instid1(VALU_DEP_1)
	v_mul_lo_u32 v11, v14, s4
	v_sub_nc_u32_e32 v3, v3, v11
	s_delay_alu instid0(VALU_DEP_1)
	v_mul_lo_u32 v11, v3, s8
	v_mul_lo_u32 v15, v3, s10
	;; [unrolled: 1-line block ×3, first 2 shown]
	s_cbranch_scc1 .LBB133_184
; %bb.182:
	s_clause 0x1
	s_load_b96 s[4:6], s[2:3], 0x10
	s_load_b96 s[8:10], s[2:3], 0xd0
	s_wait_kmcnt 0x0
	v_mul_hi_u32 v3, s5, v14
	s_delay_alu instid0(VALU_DEP_1) | instskip(NEXT) | instid1(VALU_DEP_1)
	v_add_nc_u32_e32 v3, v14, v3
	v_lshrrev_b32_e32 v3, s6, v3
	s_delay_alu instid0(VALU_DEP_1) | instskip(NEXT) | instid1(VALU_DEP_1)
	v_mul_lo_u32 v3, v3, s4
	v_sub_nc_u32_e32 v3, v14, v3
	s_delay_alu instid0(VALU_DEP_1)
	v_mad_u32 v11, v3, s8, v11
	v_mad_u32 v16, v3, s9, v16
	;; [unrolled: 1-line block ×3, first 2 shown]
	s_branch .LBB133_184
.LBB133_183:
	v_dual_mov_b32 v15, 0 :: v_dual_mov_b32 v16, 0
	v_mov_b32_e32 v11, 0
	s_and_not1_b32 vcc_lo, exec_lo, s4
	s_cbranch_vccz .LBB133_181
.LBB133_184:
	v_cmp_ne_u32_e32 vcc_lo, 1, v2
	v_add_nc_u32_e32 v3, 0x200, v0
	s_cbranch_vccnz .LBB133_190
; %bb.185:
	s_cmp_lg_u32 s26, 0
	s_mov_b32 s4, 0
	s_cbranch_scc0 .LBB133_194
; %bb.186:
	s_min_u32 s5, s27, 15
	v_dual_mov_b32 v14, 0 :: v_dual_mov_b32 v19, v3
	v_dual_mov_b32 v18, 0 :: v_dual_mov_b32 v17, 0
	s_add_co_i32 s6, s5, 1
	s_mov_b64 s[0:1], 0xffffffffffffffe8
	s_and_b32 s6, s6, 30
	s_add_nc_u64 s[0:1], s[2:3], s[0:1]
.LBB133_187:                            ; =>This Inner Loop Header: Depth=1
	s_clause 0x1
	s_load_b128 s[8:11], s[0:1], 0x1c
	s_load_b64 s[16:17], s[0:1], 0x2c
	s_add_co_i32 s6, s6, -2
	s_delay_alu instid0(SALU_CYCLE_1) | instskip(SKIP_2) | instid1(VALU_DEP_1)
	s_cmp_lg_u32 s6, 0
	s_wait_kmcnt 0x0
	v_mul_hi_u32 v20, s9, v19
	v_add_nc_u32_e32 v20, v19, v20
	s_delay_alu instid0(VALU_DEP_1) | instskip(NEXT) | instid1(VALU_DEP_1)
	v_lshrrev_b32_e32 v20, s10, v20
	v_mul_hi_u32 v21, s16, v20
	v_mul_lo_u32 v22, v20, s8
	s_clause 0x1
	s_load_b128 s[12:15], s[0:1], 0xdc
	s_load_b64 s[8:9], s[0:1], 0xec
	s_wait_xcnt 0x0
	s_add_nc_u64 s[0:1], s[0:1], 24
	s_delay_alu instid0(VALU_DEP_1) | instskip(NEXT) | instid1(VALU_DEP_1)
	v_dual_add_nc_u32 v21, v20, v21 :: v_dual_sub_nc_u32 v22, v19, v22
	v_lshrrev_b32_e32 v19, s17, v21
	s_wait_kmcnt 0x0
	s_delay_alu instid0(VALU_DEP_2) | instskip(NEXT) | instid1(VALU_DEP_2)
	v_mad_u32 v14, v22, s12, v14
	v_mul_lo_u32 v21, v19, s11
	v_mad_u32 v17, v22, s14, v17
	v_mad_u32 v18, v22, s13, v18
	s_delay_alu instid0(VALU_DEP_3) | instskip(NEXT) | instid1(VALU_DEP_1)
	v_sub_nc_u32_e32 v20, v20, v21
	v_mad_u32 v14, v20, s15, v14
	s_delay_alu instid0(VALU_DEP_4) | instskip(NEXT) | instid1(VALU_DEP_4)
	v_mad_u32 v17, v20, s9, v17
	v_mad_u32 v18, v20, s8, v18
	s_cbranch_scc1 .LBB133_187
; %bb.188:
	s_bitcmp1_b32 s5, 0
	s_cselect_b32 s5, -1, 0
	s_delay_alu instid0(SALU_CYCLE_1)
	s_and_b32 vcc_lo, exec_lo, s5
	s_cbranch_vccnz .LBB133_191
; %bb.189:
	s_clause 0x1
	s_load_b96 s[8:10], s[0:1], 0x1c
	s_load_b96 s[12:14], s[0:1], 0xdc
	s_wait_kmcnt 0x0
	v_mul_hi_u32 v20, s9, v19
	s_delay_alu instid0(VALU_DEP_1) | instskip(NEXT) | instid1(VALU_DEP_1)
	v_add_nc_u32_e32 v20, v19, v20
	v_lshrrev_b32_e32 v20, s10, v20
	s_delay_alu instid0(VALU_DEP_1) | instskip(NEXT) | instid1(VALU_DEP_1)
	v_mul_lo_u32 v20, v20, s8
	v_sub_nc_u32_e32 v19, v19, v20
	s_delay_alu instid0(VALU_DEP_1)
	v_mad_u32 v14, v19, s12, v14
	v_mad_u32 v18, v19, s13, v18
	;; [unrolled: 1-line block ×3, first 2 shown]
	s_and_not1_b32 vcc_lo, exec_lo, s4
	s_cbranch_vccz .LBB133_192
	s_branch .LBB133_195
.LBB133_190:
	s_mov_b32 s4, -1
                                        ; implicit-def: $vgpr17
                                        ; implicit-def: $vgpr18
                                        ; implicit-def: $vgpr14
.LBB133_191:
	s_delay_alu instid0(SALU_CYCLE_1)
	s_and_not1_b32 vcc_lo, exec_lo, s4
	s_cbranch_vccnz .LBB133_195
.LBB133_192:
	s_clause 0x1
	s_load_b96 s[4:6], s[2:3], 0x4
	s_load_b96 s[8:10], s[2:3], 0xc4
	s_cmp_lt_u32 s26, 2
	s_wait_kmcnt 0x0
	v_mul_hi_u32 v14, s5, v3
	s_delay_alu instid0(VALU_DEP_1) | instskip(NEXT) | instid1(VALU_DEP_1)
	v_add_nc_u32_e32 v14, v3, v14
	v_lshrrev_b32_e32 v19, s6, v14
	s_delay_alu instid0(VALU_DEP_1) | instskip(NEXT) | instid1(VALU_DEP_1)
	v_mul_lo_u32 v14, v19, s4
	v_sub_nc_u32_e32 v3, v3, v14
	s_delay_alu instid0(VALU_DEP_1)
	v_mul_lo_u32 v14, v3, s8
	v_mul_lo_u32 v17, v3, s10
	;; [unrolled: 1-line block ×3, first 2 shown]
	s_cbranch_scc1 .LBB133_195
; %bb.193:
	s_clause 0x1
	s_load_b96 s[4:6], s[2:3], 0x10
	s_load_b96 s[8:10], s[2:3], 0xd0
	s_wait_kmcnt 0x0
	v_mul_hi_u32 v3, s5, v19
	s_delay_alu instid0(VALU_DEP_1) | instskip(NEXT) | instid1(VALU_DEP_1)
	v_add_nc_u32_e32 v3, v19, v3
	v_lshrrev_b32_e32 v3, s6, v3
	s_delay_alu instid0(VALU_DEP_1) | instskip(NEXT) | instid1(VALU_DEP_1)
	v_mul_lo_u32 v3, v3, s4
	v_sub_nc_u32_e32 v3, v19, v3
	s_delay_alu instid0(VALU_DEP_1)
	v_mad_u32 v14, v3, s8, v14
	v_mad_u32 v18, v3, s9, v18
	;; [unrolled: 1-line block ×3, first 2 shown]
	s_branch .LBB133_195
.LBB133_194:
	v_dual_mov_b32 v17, 0 :: v_dual_mov_b32 v18, 0
	v_mov_b32_e32 v14, 0
	s_and_not1_b32 vcc_lo, exec_lo, s4
	s_cbranch_vccz .LBB133_192
.LBB133_195:
	v_cmp_ne_u32_e32 vcc_lo, 1, v2
	v_add_nc_u32_e32 v3, 0x280, v0
	s_cbranch_vccnz .LBB133_201
; %bb.196:
	s_cmp_lg_u32 s26, 0
	s_mov_b32 s4, 0
	s_cbranch_scc0 .LBB133_205
; %bb.197:
	s_min_u32 s5, s27, 15
	v_dual_mov_b32 v19, 0 :: v_dual_mov_b32 v22, v3
	v_dual_mov_b32 v21, 0 :: v_dual_mov_b32 v20, 0
	s_add_co_i32 s6, s5, 1
	s_mov_b64 s[0:1], 0xffffffffffffffe8
	s_and_b32 s6, s6, 30
	s_add_nc_u64 s[0:1], s[2:3], s[0:1]
.LBB133_198:                            ; =>This Inner Loop Header: Depth=1
	s_clause 0x1
	s_load_b128 s[8:11], s[0:1], 0x1c
	s_load_b64 s[16:17], s[0:1], 0x2c
	s_add_co_i32 s6, s6, -2
	s_delay_alu instid0(SALU_CYCLE_1) | instskip(SKIP_2) | instid1(VALU_DEP_1)
	s_cmp_lg_u32 s6, 0
	s_wait_kmcnt 0x0
	v_mul_hi_u32 v23, s9, v22
	v_add_nc_u32_e32 v23, v22, v23
	s_delay_alu instid0(VALU_DEP_1) | instskip(NEXT) | instid1(VALU_DEP_1)
	v_lshrrev_b32_e32 v23, s10, v23
	v_mul_hi_u32 v24, s16, v23
	v_mul_lo_u32 v25, v23, s8
	s_clause 0x1
	s_load_b128 s[12:15], s[0:1], 0xdc
	s_load_b64 s[8:9], s[0:1], 0xec
	s_wait_xcnt 0x0
	s_add_nc_u64 s[0:1], s[0:1], 24
	s_delay_alu instid0(VALU_DEP_1) | instskip(NEXT) | instid1(VALU_DEP_1)
	v_dual_add_nc_u32 v24, v23, v24 :: v_dual_sub_nc_u32 v25, v22, v25
	v_lshrrev_b32_e32 v22, s17, v24
	s_wait_kmcnt 0x0
	s_delay_alu instid0(VALU_DEP_2) | instskip(NEXT) | instid1(VALU_DEP_2)
	v_mad_u32 v19, v25, s12, v19
	v_mul_lo_u32 v24, v22, s11
	v_mad_u32 v20, v25, s14, v20
	v_mad_u32 v21, v25, s13, v21
	s_delay_alu instid0(VALU_DEP_3) | instskip(NEXT) | instid1(VALU_DEP_1)
	v_sub_nc_u32_e32 v23, v23, v24
	v_mad_u32 v19, v23, s15, v19
	s_delay_alu instid0(VALU_DEP_4) | instskip(NEXT) | instid1(VALU_DEP_4)
	v_mad_u32 v20, v23, s9, v20
	v_mad_u32 v21, v23, s8, v21
	s_cbranch_scc1 .LBB133_198
; %bb.199:
	s_bitcmp1_b32 s5, 0
	s_cselect_b32 s5, -1, 0
	s_delay_alu instid0(SALU_CYCLE_1)
	s_and_b32 vcc_lo, exec_lo, s5
	s_cbranch_vccnz .LBB133_202
; %bb.200:
	s_clause 0x1
	s_load_b96 s[8:10], s[0:1], 0x1c
	s_load_b96 s[12:14], s[0:1], 0xdc
	s_wait_kmcnt 0x0
	v_mul_hi_u32 v23, s9, v22
	s_delay_alu instid0(VALU_DEP_1) | instskip(NEXT) | instid1(VALU_DEP_1)
	v_add_nc_u32_e32 v23, v22, v23
	v_lshrrev_b32_e32 v23, s10, v23
	s_delay_alu instid0(VALU_DEP_1) | instskip(NEXT) | instid1(VALU_DEP_1)
	v_mul_lo_u32 v23, v23, s8
	v_sub_nc_u32_e32 v22, v22, v23
	s_delay_alu instid0(VALU_DEP_1)
	v_mad_u32 v19, v22, s12, v19
	v_mad_u32 v21, v22, s13, v21
	;; [unrolled: 1-line block ×3, first 2 shown]
	s_and_not1_b32 vcc_lo, exec_lo, s4
	s_cbranch_vccz .LBB133_203
	s_branch .LBB133_206
.LBB133_201:
	s_mov_b32 s4, -1
                                        ; implicit-def: $vgpr20
                                        ; implicit-def: $vgpr21
                                        ; implicit-def: $vgpr19
.LBB133_202:
	s_delay_alu instid0(SALU_CYCLE_1)
	s_and_not1_b32 vcc_lo, exec_lo, s4
	s_cbranch_vccnz .LBB133_206
.LBB133_203:
	s_clause 0x1
	s_load_b96 s[4:6], s[2:3], 0x4
	s_load_b96 s[8:10], s[2:3], 0xc4
	s_cmp_lt_u32 s26, 2
	s_wait_kmcnt 0x0
	v_mul_hi_u32 v19, s5, v3
	s_delay_alu instid0(VALU_DEP_1) | instskip(NEXT) | instid1(VALU_DEP_1)
	v_add_nc_u32_e32 v19, v3, v19
	v_lshrrev_b32_e32 v22, s6, v19
	s_delay_alu instid0(VALU_DEP_1) | instskip(NEXT) | instid1(VALU_DEP_1)
	v_mul_lo_u32 v19, v22, s4
	v_sub_nc_u32_e32 v3, v3, v19
	s_delay_alu instid0(VALU_DEP_1)
	v_mul_lo_u32 v19, v3, s8
	v_mul_lo_u32 v20, v3, s10
	;; [unrolled: 1-line block ×3, first 2 shown]
	s_cbranch_scc1 .LBB133_206
; %bb.204:
	s_clause 0x1
	s_load_b96 s[4:6], s[2:3], 0x10
	s_load_b96 s[8:10], s[2:3], 0xd0
	s_wait_kmcnt 0x0
	v_mul_hi_u32 v3, s5, v22
	s_delay_alu instid0(VALU_DEP_1) | instskip(NEXT) | instid1(VALU_DEP_1)
	v_add_nc_u32_e32 v3, v22, v3
	v_lshrrev_b32_e32 v3, s6, v3
	s_delay_alu instid0(VALU_DEP_1) | instskip(NEXT) | instid1(VALU_DEP_1)
	v_mul_lo_u32 v3, v3, s4
	v_sub_nc_u32_e32 v3, v22, v3
	s_delay_alu instid0(VALU_DEP_1)
	v_mad_u32 v19, v3, s8, v19
	v_mad_u32 v21, v3, s9, v21
	;; [unrolled: 1-line block ×3, first 2 shown]
	s_branch .LBB133_206
.LBB133_205:
	v_dual_mov_b32 v20, 0 :: v_dual_mov_b32 v21, 0
	v_mov_b32_e32 v19, 0
	s_and_not1_b32 vcc_lo, exec_lo, s4
	s_cbranch_vccz .LBB133_203
.LBB133_206:
	v_cmp_ne_u32_e32 vcc_lo, 1, v2
	v_add_nc_u32_e32 v0, 0x300, v0
	s_cbranch_vccnz .LBB133_212
; %bb.207:
	s_cmp_lg_u32 s26, 0
	s_mov_b32 s4, 0
	s_cbranch_scc0 .LBB133_216
; %bb.208:
	s_min_u32 s5, s27, 15
	v_dual_mov_b32 v22, 0 :: v_dual_mov_b32 v3, v0
	v_dual_mov_b32 v24, 0 :: v_dual_mov_b32 v23, 0
	s_add_co_i32 s6, s5, 1
	s_mov_b64 s[0:1], 0xffffffffffffffe8
	s_and_b32 s6, s6, 30
	s_add_nc_u64 s[0:1], s[2:3], s[0:1]
.LBB133_209:                            ; =>This Inner Loop Header: Depth=1
	s_clause 0x1
	s_load_b128 s[8:11], s[0:1], 0x1c
	s_load_b64 s[16:17], s[0:1], 0x2c
	s_add_co_i32 s6, s6, -2
	s_delay_alu instid0(SALU_CYCLE_1) | instskip(SKIP_2) | instid1(VALU_DEP_1)
	s_cmp_lg_u32 s6, 0
	s_wait_kmcnt 0x0
	v_mul_hi_u32 v25, s9, v3
	v_add_nc_u32_e32 v25, v3, v25
	s_delay_alu instid0(VALU_DEP_1) | instskip(NEXT) | instid1(VALU_DEP_1)
	v_lshrrev_b32_e32 v25, s10, v25
	v_mul_hi_u32 v26, s16, v25
	v_mul_lo_u32 v27, v25, s8
	s_clause 0x1
	s_load_b128 s[12:15], s[0:1], 0xdc
	s_load_b64 s[8:9], s[0:1], 0xec
	s_wait_xcnt 0x0
	s_add_nc_u64 s[0:1], s[0:1], 24
	s_delay_alu instid0(VALU_DEP_1) | instskip(NEXT) | instid1(VALU_DEP_1)
	v_dual_add_nc_u32 v26, v25, v26 :: v_dual_sub_nc_u32 v27, v3, v27
	v_lshrrev_b32_e32 v3, s17, v26
	s_wait_kmcnt 0x0
	s_delay_alu instid0(VALU_DEP_2) | instskip(NEXT) | instid1(VALU_DEP_2)
	v_mad_u32 v22, v27, s12, v22
	v_mul_lo_u32 v26, v3, s11
	v_mad_u32 v23, v27, s14, v23
	v_mad_u32 v24, v27, s13, v24
	s_delay_alu instid0(VALU_DEP_3) | instskip(NEXT) | instid1(VALU_DEP_1)
	v_sub_nc_u32_e32 v25, v25, v26
	v_mad_u32 v22, v25, s15, v22
	s_delay_alu instid0(VALU_DEP_4) | instskip(NEXT) | instid1(VALU_DEP_4)
	v_mad_u32 v23, v25, s9, v23
	v_mad_u32 v24, v25, s8, v24
	s_cbranch_scc1 .LBB133_209
; %bb.210:
	s_bitcmp1_b32 s5, 0
	s_cselect_b32 s5, -1, 0
	s_delay_alu instid0(SALU_CYCLE_1)
	s_and_b32 vcc_lo, exec_lo, s5
	s_cbranch_vccnz .LBB133_213
; %bb.211:
	s_clause 0x1
	s_load_b96 s[8:10], s[0:1], 0x1c
	s_load_b96 s[12:14], s[0:1], 0xdc
	s_wait_kmcnt 0x0
	v_mul_hi_u32 v25, s9, v3
	s_delay_alu instid0(VALU_DEP_1) | instskip(NEXT) | instid1(VALU_DEP_1)
	v_add_nc_u32_e32 v25, v3, v25
	v_lshrrev_b32_e32 v25, s10, v25
	s_delay_alu instid0(VALU_DEP_1) | instskip(NEXT) | instid1(VALU_DEP_1)
	v_mul_lo_u32 v25, v25, s8
	v_sub_nc_u32_e32 v3, v3, v25
	s_delay_alu instid0(VALU_DEP_1)
	v_mad_u32 v22, v3, s12, v22
	v_mad_u32 v24, v3, s13, v24
	v_mad_u32 v23, v3, s14, v23
	s_and_not1_b32 vcc_lo, exec_lo, s4
	s_cbranch_vccz .LBB133_214
	s_branch .LBB133_217
.LBB133_212:
	s_mov_b32 s4, -1
                                        ; implicit-def: $vgpr23
                                        ; implicit-def: $vgpr24
                                        ; implicit-def: $vgpr22
.LBB133_213:
	s_delay_alu instid0(SALU_CYCLE_1)
	s_and_not1_b32 vcc_lo, exec_lo, s4
	s_cbranch_vccnz .LBB133_217
.LBB133_214:
	s_clause 0x1
	s_load_b96 s[4:6], s[2:3], 0x4
	s_load_b96 s[8:10], s[2:3], 0xc4
	s_cmp_lt_u32 s26, 2
	s_wait_kmcnt 0x0
	v_mul_hi_u32 v3, s5, v0
	s_delay_alu instid0(VALU_DEP_1) | instskip(NEXT) | instid1(VALU_DEP_1)
	v_add_nc_u32_e32 v3, v0, v3
	v_lshrrev_b32_e32 v3, s6, v3
	s_delay_alu instid0(VALU_DEP_1) | instskip(NEXT) | instid1(VALU_DEP_1)
	v_mul_lo_u32 v22, v3, s4
	v_sub_nc_u32_e32 v0, v0, v22
	s_delay_alu instid0(VALU_DEP_1)
	v_mul_lo_u32 v22, v0, s8
	v_mul_lo_u32 v23, v0, s10
	;; [unrolled: 1-line block ×3, first 2 shown]
	s_cbranch_scc1 .LBB133_217
; %bb.215:
	s_clause 0x1
	s_load_b96 s[4:6], s[2:3], 0x10
	s_load_b96 s[8:10], s[2:3], 0xd0
	s_wait_kmcnt 0x0
	v_mul_hi_u32 v0, s5, v3
	s_delay_alu instid0(VALU_DEP_1) | instskip(NEXT) | instid1(VALU_DEP_1)
	v_add_nc_u32_e32 v0, v3, v0
	v_lshrrev_b32_e32 v0, s6, v0
	s_delay_alu instid0(VALU_DEP_1) | instskip(NEXT) | instid1(VALU_DEP_1)
	v_mul_lo_u32 v0, v0, s4
	v_sub_nc_u32_e32 v0, v3, v0
	s_delay_alu instid0(VALU_DEP_1)
	v_mad_u32 v22, v0, s8, v22
	v_mad_u32 v24, v0, s9, v24
	;; [unrolled: 1-line block ×3, first 2 shown]
	s_branch .LBB133_217
.LBB133_216:
	v_dual_mov_b32 v23, 0 :: v_dual_mov_b32 v24, 0
	v_mov_b32_e32 v22, 0
	s_and_not1_b32 vcc_lo, exec_lo, s4
	s_cbranch_vccz .LBB133_214
.LBB133_217:
	v_cmp_ne_u32_e32 vcc_lo, 1, v2
	s_cbranch_vccnz .LBB133_223
; %bb.218:
	s_cmp_lg_u32 s26, 0
	s_mov_b32 s4, 0
	s_cbranch_scc0 .LBB133_227
; %bb.219:
	s_min_u32 s5, s27, 15
	v_dual_mov_b32 v25, 0 :: v_dual_mov_b32 v0, v1
	v_dual_mov_b32 v27, 0 :: v_dual_mov_b32 v26, 0
	s_add_co_i32 s6, s5, 1
	s_mov_b64 s[0:1], 0xffffffffffffffe8
	s_and_b32 s6, s6, 30
	s_add_nc_u64 s[0:1], s[2:3], s[0:1]
.LBB133_220:                            ; =>This Inner Loop Header: Depth=1
	s_clause 0x1
	s_load_b128 s[8:11], s[0:1], 0x1c
	s_load_b64 s[16:17], s[0:1], 0x2c
	s_add_co_i32 s6, s6, -2
	s_delay_alu instid0(SALU_CYCLE_1) | instskip(SKIP_2) | instid1(VALU_DEP_1)
	s_cmp_lg_u32 s6, 0
	s_wait_kmcnt 0x0
	v_mul_hi_u32 v2, s9, v0
	v_add_nc_u32_e32 v2, v0, v2
	s_delay_alu instid0(VALU_DEP_1) | instskip(NEXT) | instid1(VALU_DEP_1)
	v_lshrrev_b32_e32 v2, s10, v2
	v_mul_hi_u32 v3, s16, v2
	v_mul_lo_u32 v28, v2, s8
	s_clause 0x1
	s_load_b128 s[12:15], s[0:1], 0xdc
	s_load_b64 s[8:9], s[0:1], 0xec
	s_wait_xcnt 0x0
	s_add_nc_u64 s[0:1], s[0:1], 24
	s_delay_alu instid0(VALU_DEP_1) | instskip(NEXT) | instid1(VALU_DEP_1)
	v_dual_add_nc_u32 v3, v2, v3 :: v_dual_sub_nc_u32 v28, v0, v28
	v_lshrrev_b32_e32 v0, s17, v3
	s_wait_kmcnt 0x0
	s_delay_alu instid0(VALU_DEP_2) | instskip(NEXT) | instid1(VALU_DEP_2)
	v_mad_u32 v25, v28, s12, v25
	v_mul_lo_u32 v3, v0, s11
	v_mad_u32 v26, v28, s14, v26
	v_mad_u32 v27, v28, s13, v27
	s_delay_alu instid0(VALU_DEP_3) | instskip(NEXT) | instid1(VALU_DEP_1)
	v_sub_nc_u32_e32 v2, v2, v3
	v_mad_u32 v25, v2, s15, v25
	s_delay_alu instid0(VALU_DEP_4) | instskip(NEXT) | instid1(VALU_DEP_4)
	v_mad_u32 v26, v2, s9, v26
	v_mad_u32 v27, v2, s8, v27
	s_cbranch_scc1 .LBB133_220
; %bb.221:
	s_bitcmp1_b32 s5, 0
	s_cselect_b32 s5, -1, 0
	s_delay_alu instid0(SALU_CYCLE_1)
	s_and_b32 vcc_lo, exec_lo, s5
	s_cbranch_vccnz .LBB133_224
; %bb.222:
	s_clause 0x1
	s_load_b96 s[8:10], s[0:1], 0x1c
	s_load_b96 s[12:14], s[0:1], 0xdc
	s_wait_kmcnt 0x0
	v_mul_hi_u32 v2, s9, v0
	s_delay_alu instid0(VALU_DEP_1) | instskip(NEXT) | instid1(VALU_DEP_1)
	v_add_nc_u32_e32 v2, v0, v2
	v_lshrrev_b32_e32 v2, s10, v2
	s_delay_alu instid0(VALU_DEP_1) | instskip(NEXT) | instid1(VALU_DEP_1)
	v_mul_lo_u32 v2, v2, s8
	v_sub_nc_u32_e32 v0, v0, v2
	s_delay_alu instid0(VALU_DEP_1)
	v_mad_u32 v25, v0, s12, v25
	v_mad_u32 v27, v0, s13, v27
	;; [unrolled: 1-line block ×3, first 2 shown]
	s_and_not1_b32 vcc_lo, exec_lo, s4
	s_cbranch_vccz .LBB133_225
	s_branch .LBB133_228
.LBB133_223:
	s_mov_b32 s4, -1
                                        ; implicit-def: $vgpr26
                                        ; implicit-def: $vgpr27
                                        ; implicit-def: $vgpr25
.LBB133_224:
	s_delay_alu instid0(SALU_CYCLE_1)
	s_and_not1_b32 vcc_lo, exec_lo, s4
	s_cbranch_vccnz .LBB133_228
.LBB133_225:
	s_clause 0x1
	s_load_b96 s[4:6], s[2:3], 0x4
	s_load_b96 s[8:10], s[2:3], 0xc4
	s_cmp_lt_u32 s26, 2
	s_wait_kmcnt 0x0
	v_mul_hi_u32 v0, s5, v1
	s_delay_alu instid0(VALU_DEP_1) | instskip(NEXT) | instid1(VALU_DEP_1)
	v_add_nc_u32_e32 v0, v1, v0
	v_lshrrev_b32_e32 v0, s6, v0
	s_delay_alu instid0(VALU_DEP_1) | instskip(NEXT) | instid1(VALU_DEP_1)
	v_mul_lo_u32 v2, v0, s4
	v_sub_nc_u32_e32 v1, v1, v2
	s_delay_alu instid0(VALU_DEP_1)
	v_mul_lo_u32 v25, v1, s8
	v_mul_lo_u32 v26, v1, s10
	;; [unrolled: 1-line block ×3, first 2 shown]
	s_cbranch_scc1 .LBB133_228
; %bb.226:
	s_clause 0x1
	s_load_b96 s[4:6], s[2:3], 0x10
	s_load_b96 s[8:10], s[2:3], 0xd0
	s_wait_kmcnt 0x0
	v_mul_hi_u32 v1, s5, v0
	s_delay_alu instid0(VALU_DEP_1) | instskip(NEXT) | instid1(VALU_DEP_1)
	v_add_nc_u32_e32 v1, v0, v1
	v_lshrrev_b32_e32 v1, s6, v1
	s_delay_alu instid0(VALU_DEP_1) | instskip(NEXT) | instid1(VALU_DEP_1)
	v_mul_lo_u32 v1, v1, s4
	v_sub_nc_u32_e32 v0, v0, v1
	s_delay_alu instid0(VALU_DEP_1)
	v_mad_u32 v25, v0, s8, v25
	v_mad_u32 v27, v0, s9, v27
	;; [unrolled: 1-line block ×3, first 2 shown]
	s_branch .LBB133_228
.LBB133_227:
	v_dual_mov_b32 v26, 0 :: v_dual_mov_b32 v27, 0
	v_mov_b32_e32 v25, 0
	s_and_not1_b32 vcc_lo, exec_lo, s4
	s_cbranch_vccz .LBB133_225
.LBB133_228:
	s_clause 0x1
	s_load_b128 s[4:7], s[2:3], 0x188
	s_load_b96 s[8:10], s[2:3], 0x198
	s_wait_xcnt 0x0
	s_mov_b32 s3, 0
	s_wait_kmcnt 0x0
	global_load_b64 v[0:1], v7, s[6:7]
	global_load_b64 v[2:3], v6, s[8:9]
	s_cmp_lg_u32 s10, 0
	s_cselect_b32 s2, -1, 0
	s_delay_alu instid0(SALU_CYCLE_1)
	s_and_b32 vcc_lo, exec_lo, s2
	s_cbranch_vccz .LBB133_253
; %bb.229:
	s_wait_loadcnt 0x0
	v_cmp_neq_f32_e32 vcc_lo, v0, v2
	v_cmp_neq_f32_e64 s0, v1, v3
	s_or_b32 s1, vcc_lo, s0
	s_and_not1_b32 vcc_lo, exec_lo, s3
	s_cbranch_vccnz .LBB133_231
.LBB133_230:
	s_wait_loadcnt 0x0
	v_cmp_eq_f32_e32 vcc_lo, v0, v2
	v_cmp_eq_f32_e64 s0, v1, v3
	s_and_not1_b32 s1, s1, exec_lo
	s_and_b32 s0, vcc_lo, s0
	s_delay_alu instid0(SALU_CYCLE_1) | instskip(NEXT) | instid1(SALU_CYCLE_1)
	s_and_b32 s0, s0, exec_lo
	s_or_b32 s1, s1, s0
.LBB133_231:
	s_wait_loadcnt 0x1
	global_load_b64 v[0:1], v10, s[6:7]
	s_wait_loadcnt 0x1
	global_load_b64 v[2:3], v9, s[8:9]
	s_and_b32 vcc_lo, exec_lo, s2
	s_cbranch_vccz .LBB133_254
; %bb.232:
	s_wait_loadcnt 0x0
	v_cmp_neq_f32_e32 vcc_lo, v0, v2
	v_cmp_neq_f32_e64 s0, v1, v3
	s_or_b32 s3, vcc_lo, s0
	s_cbranch_execnz .LBB133_234
.LBB133_233:
	s_wait_loadcnt 0x0
	v_cmp_eq_f32_e32 vcc_lo, v0, v2
	v_cmp_eq_f32_e64 s0, v1, v3
	s_and_not1_b32 s3, s3, exec_lo
	s_and_b32 s0, vcc_lo, s0
	s_delay_alu instid0(SALU_CYCLE_1) | instskip(NEXT) | instid1(SALU_CYCLE_1)
	s_and_b32 s0, s0, exec_lo
	s_or_b32 s3, s3, s0
.LBB133_234:
	s_wait_loadcnt 0x1
	global_load_b64 v[0:1], v13, s[6:7]
	s_wait_loadcnt 0x1
	global_load_b64 v[2:3], v12, s[8:9]
	s_and_b32 vcc_lo, exec_lo, s2
	s_cbranch_vccz .LBB133_255
; %bb.235:
	s_wait_loadcnt 0x0
	v_cmp_neq_f32_e32 vcc_lo, v0, v2
	v_cmp_neq_f32_e64 s0, v1, v3
	s_or_b32 s10, vcc_lo, s0
	s_cbranch_execnz .LBB133_237
.LBB133_236:
	s_wait_loadcnt 0x0
	v_cmp_eq_f32_e32 vcc_lo, v0, v2
	v_cmp_eq_f32_e64 s0, v1, v3
	s_and_not1_b32 s10, s10, exec_lo
	s_and_b32 s0, vcc_lo, s0
	s_delay_alu instid0(SALU_CYCLE_1) | instskip(NEXT) | instid1(SALU_CYCLE_1)
	s_and_b32 s0, s0, exec_lo
	s_or_b32 s10, s10, s0
.LBB133_237:
	s_wait_loadcnt 0x1
	global_load_b64 v[0:1], v16, s[6:7]
	s_wait_loadcnt 0x1
	global_load_b64 v[2:3], v15, s[8:9]
	s_and_b32 vcc_lo, exec_lo, s2
	s_cbranch_vccz .LBB133_256
; %bb.238:
	s_wait_loadcnt 0x0
	v_cmp_neq_f32_e32 vcc_lo, v0, v2
	v_cmp_neq_f32_e64 s0, v1, v3
	s_or_b32 s11, vcc_lo, s0
	s_cbranch_execnz .LBB133_240
.LBB133_239:
	s_wait_loadcnt 0x0
	v_cmp_eq_f32_e32 vcc_lo, v0, v2
	v_cmp_eq_f32_e64 s0, v1, v3
	s_and_not1_b32 s11, s11, exec_lo
	s_and_b32 s0, vcc_lo, s0
	s_delay_alu instid0(SALU_CYCLE_1) | instskip(NEXT) | instid1(SALU_CYCLE_1)
	s_and_b32 s0, s0, exec_lo
	s_or_b32 s11, s11, s0
.LBB133_240:
	s_wait_loadcnt 0x1
	global_load_b64 v[0:1], v18, s[6:7]
	s_wait_loadcnt 0x1
	global_load_b64 v[2:3], v17, s[8:9]
	s_and_b32 vcc_lo, exec_lo, s2
	s_cbranch_vccz .LBB133_257
; %bb.241:
	s_wait_loadcnt 0x0
	v_cmp_neq_f32_e32 vcc_lo, v0, v2
	v_cmp_neq_f32_e64 s0, v1, v3
	s_or_b32 s12, vcc_lo, s0
	s_cbranch_execnz .LBB133_243
.LBB133_242:
	s_wait_loadcnt 0x0
	v_cmp_eq_f32_e32 vcc_lo, v0, v2
	v_cmp_eq_f32_e64 s0, v1, v3
	s_and_not1_b32 s12, s12, exec_lo
	s_and_b32 s0, vcc_lo, s0
	s_delay_alu instid0(SALU_CYCLE_1) | instskip(NEXT) | instid1(SALU_CYCLE_1)
	s_and_b32 s0, s0, exec_lo
	s_or_b32 s12, s12, s0
.LBB133_243:
	s_wait_loadcnt 0x1
	global_load_b64 v[0:1], v21, s[6:7]
	s_wait_loadcnt 0x1
	global_load_b64 v[2:3], v20, s[8:9]
	s_and_b32 vcc_lo, exec_lo, s2
	s_cbranch_vccz .LBB133_258
; %bb.244:
	s_wait_loadcnt 0x0
	v_cmp_neq_f32_e32 vcc_lo, v0, v2
	v_cmp_neq_f32_e64 s0, v1, v3
	s_or_b32 s13, vcc_lo, s0
	s_cbranch_execnz .LBB133_246
.LBB133_245:
	s_wait_loadcnt 0x0
	v_cmp_eq_f32_e32 vcc_lo, v0, v2
	v_cmp_eq_f32_e64 s0, v1, v3
	s_and_not1_b32 s13, s13, exec_lo
	s_and_b32 s0, vcc_lo, s0
	s_delay_alu instid0(SALU_CYCLE_1) | instskip(NEXT) | instid1(SALU_CYCLE_1)
	s_and_b32 s0, s0, exec_lo
	s_or_b32 s13, s13, s0
.LBB133_246:
	s_wait_loadcnt 0x1
	global_load_b64 v[0:1], v24, s[6:7]
	s_wait_loadcnt 0x1
	global_load_b64 v[2:3], v23, s[8:9]
	s_and_b32 vcc_lo, exec_lo, s2
	s_cbranch_vccz .LBB133_259
; %bb.247:
	s_wait_loadcnt 0x0
	v_cmp_neq_f32_e32 vcc_lo, v0, v2
	v_cmp_neq_f32_e64 s0, v1, v3
	s_or_b32 s14, vcc_lo, s0
	s_cbranch_execnz .LBB133_249
.LBB133_248:
	s_wait_loadcnt 0x0
	v_cmp_eq_f32_e32 vcc_lo, v0, v2
	v_cmp_eq_f32_e64 s0, v1, v3
	s_and_not1_b32 s14, s14, exec_lo
	s_and_b32 s0, vcc_lo, s0
	s_delay_alu instid0(SALU_CYCLE_1) | instskip(NEXT) | instid1(SALU_CYCLE_1)
	s_and_b32 s0, s0, exec_lo
	s_or_b32 s14, s14, s0
.LBB133_249:
	s_wait_loadcnt 0x1
	global_load_b64 v[0:1], v27, s[6:7]
	s_wait_loadcnt 0x1
	global_load_b64 v[2:3], v26, s[8:9]
	s_and_b32 vcc_lo, exec_lo, s2
	s_cbranch_vccz .LBB133_260
; %bb.250:
	s_wait_loadcnt 0x0
	v_cmp_neq_f32_e32 vcc_lo, v0, v2
	v_cmp_neq_f32_e64 s0, v1, v3
	s_or_b32 s2, vcc_lo, s0
	s_cbranch_execnz .LBB133_252
.LBB133_251:
	s_wait_loadcnt 0x0
	v_cmp_eq_f32_e32 vcc_lo, v0, v2
	v_cmp_eq_f32_e64 s0, v1, v3
	s_and_not1_b32 s2, s2, exec_lo
	s_and_b32 s0, vcc_lo, s0
	s_delay_alu instid0(SALU_CYCLE_1) | instskip(NEXT) | instid1(SALU_CYCLE_1)
	s_and_b32 s0, s0, exec_lo
	s_or_b32 s2, s2, s0
.LBB133_252:
	s_wait_loadcnt 0x0
	v_cndmask_b32_e64 v3, 0, 1, s1
	s_wait_xcnt 0xe
	v_cndmask_b32_e64 v6, 0, 1, s3
	v_cndmask_b32_e64 v7, 0, 1, s10
	s_wait_xcnt 0xc
	v_cndmask_b32_e64 v9, 0, 1, s11
	v_cndmask_b32_e64 v2, 0, 1, s12
	;; [unrolled: 1-line block ×5, first 2 shown]
	s_clause 0x7
	global_store_b8 v4, v3, s[4:5]
	global_store_b8 v5, v6, s[4:5]
	;; [unrolled: 1-line block ×8, first 2 shown]
	s_endpgm
.LBB133_253:
                                        ; implicit-def: $sgpr1
	s_branch .LBB133_230
.LBB133_254:
                                        ; implicit-def: $sgpr3
	s_branch .LBB133_233
.LBB133_255:
                                        ; implicit-def: $sgpr10
	s_branch .LBB133_236
.LBB133_256:
                                        ; implicit-def: $sgpr11
	s_branch .LBB133_239
.LBB133_257:
                                        ; implicit-def: $sgpr12
	s_branch .LBB133_242
.LBB133_258:
                                        ; implicit-def: $sgpr13
	s_branch .LBB133_245
.LBB133_259:
                                        ; implicit-def: $sgpr14
	s_branch .LBB133_248
.LBB133_260:
                                        ; implicit-def: $sgpr2
	s_branch .LBB133_251
	.section	.rodata,"a",@progbits
	.p2align	6, 0x0
	.amdhsa_kernel _ZN2at6native32elementwise_kernel_manual_unrollILi128ELi8EZNS0_22gpu_kernel_impl_nocastINS0_13BinaryFunctorIN3c107complexIfEES6_bNS0_12_GLOBAL__N_116CompareEqFunctorIS6_EEEEEEvRNS_18TensorIteratorBaseERKT_EUlibE_EEviT1_
		.amdhsa_group_segment_fixed_size 0
		.amdhsa_private_segment_fixed_size 0
		.amdhsa_kernarg_size 432
		.amdhsa_user_sgpr_count 2
		.amdhsa_user_sgpr_dispatch_ptr 0
		.amdhsa_user_sgpr_queue_ptr 0
		.amdhsa_user_sgpr_kernarg_segment_ptr 1
		.amdhsa_user_sgpr_dispatch_id 0
		.amdhsa_user_sgpr_kernarg_preload_length 0
		.amdhsa_user_sgpr_kernarg_preload_offset 0
		.amdhsa_user_sgpr_private_segment_size 0
		.amdhsa_wavefront_size32 1
		.amdhsa_uses_dynamic_stack 0
		.amdhsa_enable_private_segment 0
		.amdhsa_system_sgpr_workgroup_id_x 1
		.amdhsa_system_sgpr_workgroup_id_y 0
		.amdhsa_system_sgpr_workgroup_id_z 0
		.amdhsa_system_sgpr_workgroup_info 0
		.amdhsa_system_vgpr_workitem_id 0
		.amdhsa_next_free_vgpr 29
		.amdhsa_next_free_sgpr 46
		.amdhsa_named_barrier_count 0
		.amdhsa_reserve_vcc 1
		.amdhsa_float_round_mode_32 0
		.amdhsa_float_round_mode_16_64 0
		.amdhsa_float_denorm_mode_32 3
		.amdhsa_float_denorm_mode_16_64 3
		.amdhsa_fp16_overflow 0
		.amdhsa_memory_ordered 1
		.amdhsa_forward_progress 1
		.amdhsa_inst_pref_size 93
		.amdhsa_round_robin_scheduling 0
		.amdhsa_exception_fp_ieee_invalid_op 0
		.amdhsa_exception_fp_denorm_src 0
		.amdhsa_exception_fp_ieee_div_zero 0
		.amdhsa_exception_fp_ieee_overflow 0
		.amdhsa_exception_fp_ieee_underflow 0
		.amdhsa_exception_fp_ieee_inexact 0
		.amdhsa_exception_int_div_zero 0
	.end_amdhsa_kernel
	.section	.text._ZN2at6native32elementwise_kernel_manual_unrollILi128ELi8EZNS0_22gpu_kernel_impl_nocastINS0_13BinaryFunctorIN3c107complexIfEES6_bNS0_12_GLOBAL__N_116CompareEqFunctorIS6_EEEEEEvRNS_18TensorIteratorBaseERKT_EUlibE_EEviT1_,"axG",@progbits,_ZN2at6native32elementwise_kernel_manual_unrollILi128ELi8EZNS0_22gpu_kernel_impl_nocastINS0_13BinaryFunctorIN3c107complexIfEES6_bNS0_12_GLOBAL__N_116CompareEqFunctorIS6_EEEEEEvRNS_18TensorIteratorBaseERKT_EUlibE_EEviT1_,comdat
.Lfunc_end133:
	.size	_ZN2at6native32elementwise_kernel_manual_unrollILi128ELi8EZNS0_22gpu_kernel_impl_nocastINS0_13BinaryFunctorIN3c107complexIfEES6_bNS0_12_GLOBAL__N_116CompareEqFunctorIS6_EEEEEEvRNS_18TensorIteratorBaseERKT_EUlibE_EEviT1_, .Lfunc_end133-_ZN2at6native32elementwise_kernel_manual_unrollILi128ELi8EZNS0_22gpu_kernel_impl_nocastINS0_13BinaryFunctorIN3c107complexIfEES6_bNS0_12_GLOBAL__N_116CompareEqFunctorIS6_EEEEEEvRNS_18TensorIteratorBaseERKT_EUlibE_EEviT1_
                                        ; -- End function
	.set _ZN2at6native32elementwise_kernel_manual_unrollILi128ELi8EZNS0_22gpu_kernel_impl_nocastINS0_13BinaryFunctorIN3c107complexIfEES6_bNS0_12_GLOBAL__N_116CompareEqFunctorIS6_EEEEEEvRNS_18TensorIteratorBaseERKT_EUlibE_EEviT1_.num_vgpr, 29
	.set _ZN2at6native32elementwise_kernel_manual_unrollILi128ELi8EZNS0_22gpu_kernel_impl_nocastINS0_13BinaryFunctorIN3c107complexIfEES6_bNS0_12_GLOBAL__N_116CompareEqFunctorIS6_EEEEEEvRNS_18TensorIteratorBaseERKT_EUlibE_EEviT1_.num_agpr, 0
	.set _ZN2at6native32elementwise_kernel_manual_unrollILi128ELi8EZNS0_22gpu_kernel_impl_nocastINS0_13BinaryFunctorIN3c107complexIfEES6_bNS0_12_GLOBAL__N_116CompareEqFunctorIS6_EEEEEEvRNS_18TensorIteratorBaseERKT_EUlibE_EEviT1_.numbered_sgpr, 46
	.set _ZN2at6native32elementwise_kernel_manual_unrollILi128ELi8EZNS0_22gpu_kernel_impl_nocastINS0_13BinaryFunctorIN3c107complexIfEES6_bNS0_12_GLOBAL__N_116CompareEqFunctorIS6_EEEEEEvRNS_18TensorIteratorBaseERKT_EUlibE_EEviT1_.num_named_barrier, 0
	.set _ZN2at6native32elementwise_kernel_manual_unrollILi128ELi8EZNS0_22gpu_kernel_impl_nocastINS0_13BinaryFunctorIN3c107complexIfEES6_bNS0_12_GLOBAL__N_116CompareEqFunctorIS6_EEEEEEvRNS_18TensorIteratorBaseERKT_EUlibE_EEviT1_.private_seg_size, 0
	.set _ZN2at6native32elementwise_kernel_manual_unrollILi128ELi8EZNS0_22gpu_kernel_impl_nocastINS0_13BinaryFunctorIN3c107complexIfEES6_bNS0_12_GLOBAL__N_116CompareEqFunctorIS6_EEEEEEvRNS_18TensorIteratorBaseERKT_EUlibE_EEviT1_.uses_vcc, 1
	.set _ZN2at6native32elementwise_kernel_manual_unrollILi128ELi8EZNS0_22gpu_kernel_impl_nocastINS0_13BinaryFunctorIN3c107complexIfEES6_bNS0_12_GLOBAL__N_116CompareEqFunctorIS6_EEEEEEvRNS_18TensorIteratorBaseERKT_EUlibE_EEviT1_.uses_flat_scratch, 0
	.set _ZN2at6native32elementwise_kernel_manual_unrollILi128ELi8EZNS0_22gpu_kernel_impl_nocastINS0_13BinaryFunctorIN3c107complexIfEES6_bNS0_12_GLOBAL__N_116CompareEqFunctorIS6_EEEEEEvRNS_18TensorIteratorBaseERKT_EUlibE_EEviT1_.has_dyn_sized_stack, 0
	.set _ZN2at6native32elementwise_kernel_manual_unrollILi128ELi8EZNS0_22gpu_kernel_impl_nocastINS0_13BinaryFunctorIN3c107complexIfEES6_bNS0_12_GLOBAL__N_116CompareEqFunctorIS6_EEEEEEvRNS_18TensorIteratorBaseERKT_EUlibE_EEviT1_.has_recursion, 0
	.set _ZN2at6native32elementwise_kernel_manual_unrollILi128ELi8EZNS0_22gpu_kernel_impl_nocastINS0_13BinaryFunctorIN3c107complexIfEES6_bNS0_12_GLOBAL__N_116CompareEqFunctorIS6_EEEEEEvRNS_18TensorIteratorBaseERKT_EUlibE_EEviT1_.has_indirect_call, 0
	.section	.AMDGPU.csdata,"",@progbits
; Kernel info:
; codeLenInByte = 11876
; TotalNumSgprs: 48
; NumVgprs: 29
; ScratchSize: 0
; MemoryBound: 0
; FloatMode: 240
; IeeeMode: 1
; LDSByteSize: 0 bytes/workgroup (compile time only)
; SGPRBlocks: 0
; VGPRBlocks: 1
; NumSGPRsForWavesPerEU: 48
; NumVGPRsForWavesPerEU: 29
; NamedBarCnt: 0
; Occupancy: 16
; WaveLimiterHint : 1
; COMPUTE_PGM_RSRC2:SCRATCH_EN: 0
; COMPUTE_PGM_RSRC2:USER_SGPR: 2
; COMPUTE_PGM_RSRC2:TRAP_HANDLER: 0
; COMPUTE_PGM_RSRC2:TGID_X_EN: 1
; COMPUTE_PGM_RSRC2:TGID_Y_EN: 0
; COMPUTE_PGM_RSRC2:TGID_Z_EN: 0
; COMPUTE_PGM_RSRC2:TIDIG_COMP_CNT: 0
	.section	.text._ZN2at6native32elementwise_kernel_manual_unrollILi128ELi4EZNS0_15gpu_kernel_implINS0_13BinaryFunctorIN3c107complexIfEES6_bNS0_12_GLOBAL__N_116CompareEqFunctorIS6_EEEEEEvRNS_18TensorIteratorBaseERKT_EUlibE_EEviT1_,"axG",@progbits,_ZN2at6native32elementwise_kernel_manual_unrollILi128ELi4EZNS0_15gpu_kernel_implINS0_13BinaryFunctorIN3c107complexIfEES6_bNS0_12_GLOBAL__N_116CompareEqFunctorIS6_EEEEEEvRNS_18TensorIteratorBaseERKT_EUlibE_EEviT1_,comdat
	.globl	_ZN2at6native32elementwise_kernel_manual_unrollILi128ELi4EZNS0_15gpu_kernel_implINS0_13BinaryFunctorIN3c107complexIfEES6_bNS0_12_GLOBAL__N_116CompareEqFunctorIS6_EEEEEEvRNS_18TensorIteratorBaseERKT_EUlibE_EEviT1_ ; -- Begin function _ZN2at6native32elementwise_kernel_manual_unrollILi128ELi4EZNS0_15gpu_kernel_implINS0_13BinaryFunctorIN3c107complexIfEES6_bNS0_12_GLOBAL__N_116CompareEqFunctorIS6_EEEEEEvRNS_18TensorIteratorBaseERKT_EUlibE_EEviT1_
	.p2align	8
	.type	_ZN2at6native32elementwise_kernel_manual_unrollILi128ELi4EZNS0_15gpu_kernel_implINS0_13BinaryFunctorIN3c107complexIfEES6_bNS0_12_GLOBAL__N_116CompareEqFunctorIS6_EEEEEEvRNS_18TensorIteratorBaseERKT_EUlibE_EEviT1_,@function
_ZN2at6native32elementwise_kernel_manual_unrollILi128ELi4EZNS0_15gpu_kernel_implINS0_13BinaryFunctorIN3c107complexIfEES6_bNS0_12_GLOBAL__N_116CompareEqFunctorIS6_EEEEEEvRNS_18TensorIteratorBaseERKT_EUlibE_EEviT1_: ; @_ZN2at6native32elementwise_kernel_manual_unrollILi128ELi4EZNS0_15gpu_kernel_implINS0_13BinaryFunctorIN3c107complexIfEES6_bNS0_12_GLOBAL__N_116CompareEqFunctorIS6_EEEEEEvRNS_18TensorIteratorBaseERKT_EUlibE_EEviT1_
; %bb.0:
	s_load_b32 s12, s[0:1], 0x30
	s_bfe_u32 s2, ttmp6, 0x4000c
	s_clause 0x1
	s_load_b32 s17, s[0:1], 0x0
	s_load_b128 s[4:7], s[0:1], 0x8
	s_add_co_i32 s14, s2, 1
	s_clause 0x1
	s_load_b64 s[2:3], s[0:1], 0x18
	s_load_b128 s[8:11], s[0:1], 0x20
	s_and_b32 s13, ttmp6, 15
	s_wait_xcnt 0x0
	s_mul_i32 s0, ttmp9, s14
	s_getreg_b32 s15, hwreg(HW_REG_IB_STS2, 6, 4)
	s_add_co_i32 s13, s13, s0
	s_mov_b32 s16, 0
	s_wait_kmcnt 0x0
	s_lshr_b32 s14, s12, 8
	s_lshr_b32 s1, s12, 16
	s_cmp_eq_u32 s15, 0
	s_cselect_b32 s0, ttmp9, s13
	s_mov_b32 s13, 0
	v_lshl_or_b32 v10, s0, 9, v0
	s_mov_b32 s0, exec_lo
	s_delay_alu instid0(VALU_DEP_1) | instskip(NEXT) | instid1(VALU_DEP_1)
	v_or_b32_e32 v0, 0x180, v10
	v_cmpx_le_i32_e64 s17, v0
	s_xor_b32 s15, exec_lo, s0
	s_cbranch_execz .LBB134_1604
; %bb.1:
	s_cmp_lg_u32 s11, 0
	s_mov_b32 s22, 0
	s_cselect_b32 s16, -1, 0
	s_mov_b32 s25, -1
	s_mov_b32 s20, 0
	s_mov_b32 s19, 0
	;; [unrolled: 1-line block ×3, first 2 shown]
	s_mov_b32 s21, exec_lo
	v_cmpx_gt_i32_e64 s17, v10
	s_cbranch_execz .LBB134_395
; %bb.2:
	v_mul_lo_u32 v0, v10, s9
	s_and_b32 s0, s14, 0xff
	s_delay_alu instid0(SALU_CYCLE_1) | instskip(NEXT) | instid1(VALU_DEP_1)
	s_cmp_lt_i32 s0, 11
	v_ashrrev_i32_e32 v1, 31, v0
	s_delay_alu instid0(VALU_DEP_1)
	v_add_nc_u64_e32 v[2:3], s[6:7], v[0:1]
	s_cbranch_scc1 .LBB134_9
; %bb.3:
	s_and_b32 s18, 0xffff, s0
	s_delay_alu instid0(SALU_CYCLE_1)
	s_cmp_gt_i32 s18, 25
	s_cbranch_scc0 .LBB134_18
; %bb.4:
	s_cmp_gt_i32 s18, 28
	s_cbranch_scc0 .LBB134_31
; %bb.5:
	;; [unrolled: 3-line block ×4, first 2 shown]
	s_cmp_eq_u32 s18, 46
	s_mov_b32 s23, 0
	s_cbranch_scc0 .LBB134_41
; %bb.8:
	global_load_b32 v0, v[2:3], off
	s_mov_b32 s19, -1
	s_wait_loadcnt 0x0
	v_and_b32_e32 v1, 0xffff0000, v0
	v_lshlrev_b32_e32 v0, 16, v0
	s_branch .LBB134_43
.LBB134_9:
                                        ; implicit-def: $vgpr1
	s_cbranch_execnz .LBB134_111
.LBB134_10:
	s_and_not1_b32 vcc_lo, exec_lo, s19
	s_cbranch_vccnz .LBB134_160
.LBB134_11:
	s_wait_xcnt 0x0
	v_mul_lo_u32 v2, v10, s10
	s_and_b32 s0, s1, 0xff
	s_delay_alu instid0(SALU_CYCLE_1) | instskip(NEXT) | instid1(VALU_DEP_1)
	s_cmp_lt_i32 s0, 11
	v_ashrrev_i32_e32 v3, 31, v2
	s_delay_alu instid0(VALU_DEP_1)
	v_add_nc_u64_e32 v[2:3], s[2:3], v[2:3]
	s_cbranch_scc1 .LBB134_19
; %bb.12:
	s_and_b32 s18, 0xffff, s0
	s_delay_alu instid0(SALU_CYCLE_1)
	s_cmp_gt_i32 s18, 25
	s_cbranch_scc0 .LBB134_32
; %bb.13:
	s_cmp_gt_i32 s18, 28
	s_cbranch_scc0 .LBB134_36
; %bb.14:
	s_cmp_gt_i32 s18, 43
	s_cbranch_scc0 .LBB134_39
; %bb.15:
	s_cmp_gt_i32 s18, 45
	s_cbranch_scc0 .LBB134_46
; %bb.16:
	s_cmp_eq_u32 s18, 46
	s_mov_b32 s24, 0
	s_cbranch_scc0 .LBB134_161
; %bb.17:
	global_load_b32 v4, v[2:3], off
	s_mov_b32 s23, -1
	s_mov_b32 s19, 0
	s_wait_loadcnt 0x0
	v_and_b32_e32 v5, 0xffff0000, v4
	v_lshlrev_b32_e32 v4, 16, v4
	s_branch .LBB134_163
.LBB134_18:
                                        ; implicit-def: $vgpr1
	s_cbranch_execnz .LBB134_76
	s_branch .LBB134_110
.LBB134_19:
	s_mov_b32 s19, 0
	s_mov_b32 s23, 0
                                        ; implicit-def: $vgpr5
	s_cbranch_execnz .LBB134_342
.LBB134_20:
	s_and_not1_b32 vcc_lo, exec_lo, s23
	s_cbranch_vccnz .LBB134_392
.LBB134_21:
	s_and_b32 vcc_lo, exec_lo, s16
	s_cbranch_vccz .LBB134_34
; %bb.22:
	s_wait_loadcnt 0x0
	s_delay_alu instid0(VALU_DEP_2) | instskip(NEXT) | instid1(VALU_DEP_2)
	v_cmp_neq_f32_e32 vcc_lo, v0, v4
	v_cmp_neq_f32_e64 s0, v1, v5
	s_or_b32 s18, vcc_lo, s0
	s_cbranch_execnz .LBB134_24
.LBB134_23:
	s_wait_loadcnt 0x0
	s_delay_alu instid0(VALU_DEP_1) | instskip(NEXT) | instid1(VALU_DEP_3)
	v_cmp_eq_f32_e32 vcc_lo, v1, v5
	v_cmp_eq_f32_e64 s0, v0, v4
	s_and_not1_b32 s18, s18, exec_lo
	s_and_b32 s0, s0, vcc_lo
	s_delay_alu instid0(SALU_CYCLE_1) | instskip(NEXT) | instid1(SALU_CYCLE_1)
	s_and_b32 s0, s0, exec_lo
	s_or_b32 s18, s18, s0
.LBB134_24:
	s_wait_loadcnt 0x0
	v_mul_lo_u32 v0, v10, s8
	s_and_b32 s23, s12, 0xff
	s_delay_alu instid0(SALU_CYCLE_1) | instskip(NEXT) | instid1(VALU_DEP_1)
	s_cmp_lt_i32 s23, 11
	v_ashrrev_i32_e32 v1, 31, v0
	s_delay_alu instid0(VALU_DEP_1)
	v_add_nc_u64_e32 v[0:1], s[4:5], v[0:1]
	s_cbranch_scc1 .LBB134_33
; %bb.25:
	s_and_b32 s24, 0xffff, s23
	s_delay_alu instid0(SALU_CYCLE_1)
	s_cmp_gt_i32 s24, 25
	s_cbranch_scc0 .LBB134_37
; %bb.26:
	s_cmp_gt_i32 s24, 28
	s_cbranch_scc0 .LBB134_40
; %bb.27:
	;; [unrolled: 3-line block ×4, first 2 shown]
	s_mov_b32 s26, 0
	s_mov_b32 s0, -1
	s_cmp_eq_u32 s24, 46
	s_mov_b32 s25, 0
	s_cbranch_scc0 .LBB134_167
; %bb.30:
	v_cndmask_b32_e64 v2, 0, 1.0, s18
	s_mov_b32 s25, -1
	s_mov_b32 s0, 0
	s_delay_alu instid0(VALU_DEP_1) | instskip(NEXT) | instid1(VALU_DEP_1)
	v_bfe_u32 v3, v2, 16, 1
	v_add3_u32 v2, v2, v3, 0x7fff
	s_delay_alu instid0(VALU_DEP_1)
	v_lshrrev_b32_e32 v2, 16, v2
	global_store_b32 v[0:1], v2, off
	s_branch .LBB134_167
.LBB134_31:
	s_mov_b32 s23, -1
                                        ; implicit-def: $vgpr1
	s_branch .LBB134_57
.LBB134_32:
	s_mov_b32 s24, -1
	s_mov_b32 s19, 0
	s_mov_b32 s23, 0
                                        ; implicit-def: $vgpr5
	s_branch .LBB134_305
.LBB134_33:
	s_mov_b32 s24, -1
	s_mov_b32 s0, 0
	s_mov_b32 s25, 0
	s_branch .LBB134_236
.LBB134_34:
                                        ; implicit-def: $sgpr18
	s_branch .LBB134_23
.LBB134_35:
	s_mov_b32 s23, -1
                                        ; implicit-def: $vgpr1
	s_branch .LBB134_51
.LBB134_36:
	s_mov_b32 s24, -1
	s_mov_b32 s19, 0
	s_mov_b32 s23, 0
                                        ; implicit-def: $vgpr5
	s_branch .LBB134_286
.LBB134_37:
	s_mov_b32 s26, -1
	s_mov_b32 s0, 0
	s_mov_b32 s25, 0
	s_branch .LBB134_194
.LBB134_38:
	s_mov_b32 s23, -1
	s_branch .LBB134_42
.LBB134_39:
	s_mov_b32 s24, -1
	s_mov_b32 s19, 0
	s_mov_b32 s23, 0
                                        ; implicit-def: $vgpr5
	s_branch .LBB134_280
.LBB134_40:
	s_mov_b32 s26, -1
	s_mov_b32 s0, 0
	s_mov_b32 s25, 0
	s_branch .LBB134_177
.LBB134_41:
	s_mov_b32 s20, -1
.LBB134_42:
                                        ; implicit-def: $vgpr1
.LBB134_43:
	s_and_b32 vcc_lo, exec_lo, s23
	s_cbranch_vccz .LBB134_50
; %bb.44:
	s_cmp_eq_u32 s18, 44
	s_cbranch_scc0 .LBB134_48
; %bb.45:
	global_load_u8 v0, v[2:3], off
	s_mov_b32 s20, 0
	s_mov_b32 s19, -1
	s_wait_loadcnt 0x0
	v_lshlrev_b32_e32 v1, 23, v0
	v_cmp_ne_u32_e32 vcc_lo, 0xff, v0
	s_delay_alu instid0(VALU_DEP_2) | instskip(SKIP_1) | instid1(VALU_DEP_2)
	v_cndmask_b32_e32 v1, 0x7f800001, v1, vcc_lo
	v_cmp_ne_u32_e32 vcc_lo, 0, v0
	v_cndmask_b32_e32 v0, 0x400000, v1, vcc_lo
	s_branch .LBB134_49
.LBB134_46:
	s_mov_b32 s24, -1
	s_mov_b32 s19, 0
	s_branch .LBB134_162
.LBB134_47:
	s_mov_b32 s26, -1
	s_mov_b32 s0, 0
	s_mov_b32 s25, 0
	s_branch .LBB134_173
.LBB134_48:
	s_mov_b32 s20, -1
                                        ; implicit-def: $vgpr0
.LBB134_49:
	v_mov_b32_e32 v1, 0
.LBB134_50:
	s_mov_b32 s23, 0
.LBB134_51:
	s_delay_alu instid0(SALU_CYCLE_1)
	s_and_b32 vcc_lo, exec_lo, s23
	s_cbranch_vccz .LBB134_56
; %bb.52:
	s_cmp_eq_u32 s18, 29
	s_cbranch_scc0 .LBB134_54
; %bb.53:
	global_load_b64 v[0:1], v[2:3], off
	s_mov_b32 s19, -1
	s_mov_b32 s20, 0
	s_wait_loadcnt 0x0
	v_clz_i32_u32_e32 v4, v1
	s_delay_alu instid0(VALU_DEP_1) | instskip(NEXT) | instid1(VALU_DEP_1)
	v_min_u32_e32 v4, 32, v4
	v_lshlrev_b64_e32 v[0:1], v4, v[0:1]
	s_delay_alu instid0(VALU_DEP_1) | instskip(NEXT) | instid1(VALU_DEP_1)
	v_min_u32_e32 v0, 1, v0
	v_or_b32_e32 v0, v1, v0
	v_sub_nc_u32_e32 v1, 32, v4
	s_delay_alu instid0(VALU_DEP_2) | instskip(NEXT) | instid1(VALU_DEP_1)
	v_cvt_f32_u32_e32 v0, v0
	v_ldexp_f32 v0, v0, v1
	s_branch .LBB134_55
.LBB134_54:
	s_mov_b32 s20, -1
                                        ; implicit-def: $vgpr0
.LBB134_55:
	v_mov_b32_e32 v1, 0
.LBB134_56:
	s_mov_b32 s23, 0
.LBB134_57:
	s_delay_alu instid0(SALU_CYCLE_1)
	s_and_b32 vcc_lo, exec_lo, s23
	s_cbranch_vccz .LBB134_75
; %bb.58:
	s_cmp_lt_i32 s18, 27
	s_cbranch_scc1 .LBB134_61
; %bb.59:
	s_cmp_gt_i32 s18, 27
	s_cbranch_scc0 .LBB134_62
; %bb.60:
	global_load_b32 v0, v[2:3], off
	s_mov_b32 s19, 0
	s_wait_loadcnt 0x0
	v_cvt_f32_u32_e32 v0, v0
	s_branch .LBB134_63
.LBB134_61:
	s_mov_b32 s19, -1
                                        ; implicit-def: $vgpr0
	s_branch .LBB134_66
.LBB134_62:
	s_mov_b32 s19, -1
                                        ; implicit-def: $vgpr0
.LBB134_63:
	s_delay_alu instid0(SALU_CYCLE_1)
	s_and_not1_b32 vcc_lo, exec_lo, s19
	s_cbranch_vccnz .LBB134_65
; %bb.64:
	global_load_u16 v0, v[2:3], off
	s_wait_loadcnt 0x0
	v_cvt_f32_u32_e32 v0, v0
.LBB134_65:
	s_mov_b32 s19, 0
.LBB134_66:
	s_delay_alu instid0(SALU_CYCLE_1)
	s_and_not1_b32 vcc_lo, exec_lo, s19
	s_cbranch_vccnz .LBB134_74
; %bb.67:
	global_load_u8 v1, v[2:3], off
	s_mov_b32 s19, 0
	s_mov_b32 s23, exec_lo
	s_wait_loadcnt 0x0
	v_cmpx_lt_i16_e32 0x7f, v1
	s_xor_b32 s23, exec_lo, s23
	s_cbranch_execz .LBB134_87
; %bb.68:
	s_mov_b32 s19, -1
	s_mov_b32 s24, exec_lo
	v_cmpx_eq_u16_e32 0x80, v1
; %bb.69:
	s_xor_b32 s19, exec_lo, -1
; %bb.70:
	s_or_b32 exec_lo, exec_lo, s24
	s_delay_alu instid0(SALU_CYCLE_1)
	s_and_b32 s19, s19, exec_lo
	s_or_saveexec_b32 s23, s23
	v_mov_b32_e32 v0, 0x7f800001
	s_xor_b32 exec_lo, exec_lo, s23
	s_cbranch_execnz .LBB134_88
.LBB134_71:
	s_or_b32 exec_lo, exec_lo, s23
	s_and_saveexec_b32 s23, s19
	s_cbranch_execz .LBB134_73
.LBB134_72:
	v_and_b32_e32 v0, 0xffff, v1
	s_delay_alu instid0(VALU_DEP_1) | instskip(SKIP_1) | instid1(VALU_DEP_2)
	v_and_b32_e32 v4, 7, v0
	v_bfe_u32 v7, v0, 3, 4
	v_clz_i32_u32_e32 v5, v4
	s_delay_alu instid0(VALU_DEP_2) | instskip(NEXT) | instid1(VALU_DEP_2)
	v_cmp_eq_u32_e32 vcc_lo, 0, v7
	v_min_u32_e32 v5, 32, v5
	s_delay_alu instid0(VALU_DEP_1) | instskip(NEXT) | instid1(VALU_DEP_1)
	v_subrev_nc_u32_e32 v6, 28, v5
	v_dual_lshlrev_b32 v0, v6, v0 :: v_dual_sub_nc_u32 v5, 29, v5
	s_delay_alu instid0(VALU_DEP_1) | instskip(NEXT) | instid1(VALU_DEP_1)
	v_dual_lshlrev_b32 v1, 24, v1 :: v_dual_bitop2_b32 v0, 7, v0 bitop3:0x40
	v_dual_cndmask_b32 v0, v4, v0 :: v_dual_cndmask_b32 v5, v7, v5
	s_delay_alu instid0(VALU_DEP_2) | instskip(NEXT) | instid1(VALU_DEP_2)
	v_and_b32_e32 v1, 0x80000000, v1
	v_lshlrev_b32_e32 v0, 20, v0
	s_delay_alu instid0(VALU_DEP_3) | instskip(NEXT) | instid1(VALU_DEP_1)
	v_lshl_add_u32 v4, v5, 23, 0x3b800000
	v_or3_b32 v0, v1, v4, v0
.LBB134_73:
	s_or_b32 exec_lo, exec_lo, s23
.LBB134_74:
	v_mov_b32_e32 v1, 0
	s_mov_b32 s19, -1
.LBB134_75:
	s_branch .LBB134_110
.LBB134_76:
	s_cmp_gt_i32 s18, 22
	s_cbranch_scc0 .LBB134_86
; %bb.77:
	s_cmp_lt_i32 s18, 24
	s_cbranch_scc1 .LBB134_89
; %bb.78:
	s_cmp_gt_i32 s18, 24
	s_cbranch_scc0 .LBB134_90
; %bb.79:
	global_load_u8 v1, v[2:3], off
	s_mov_b32 s19, 0
	s_mov_b32 s23, exec_lo
	s_wait_loadcnt 0x0
	v_cmpx_lt_i16_e32 0x7f, v1
	s_xor_b32 s23, exec_lo, s23
	s_cbranch_execz .LBB134_101
; %bb.80:
	s_mov_b32 s19, -1
	s_mov_b32 s24, exec_lo
	v_cmpx_eq_u16_e32 0x80, v1
; %bb.81:
	s_xor_b32 s19, exec_lo, -1
; %bb.82:
	s_or_b32 exec_lo, exec_lo, s24
	s_delay_alu instid0(SALU_CYCLE_1)
	s_and_b32 s19, s19, exec_lo
	s_or_saveexec_b32 s23, s23
	v_mov_b32_e32 v0, 0x7f800001
	s_xor_b32 exec_lo, exec_lo, s23
	s_cbranch_execnz .LBB134_102
.LBB134_83:
	s_or_b32 exec_lo, exec_lo, s23
	s_and_saveexec_b32 s23, s19
	s_cbranch_execz .LBB134_85
.LBB134_84:
	v_and_b32_e32 v0, 0xffff, v1
	s_delay_alu instid0(VALU_DEP_1) | instskip(SKIP_1) | instid1(VALU_DEP_2)
	v_and_b32_e32 v4, 3, v0
	v_bfe_u32 v7, v0, 2, 5
	v_clz_i32_u32_e32 v5, v4
	s_delay_alu instid0(VALU_DEP_2) | instskip(NEXT) | instid1(VALU_DEP_2)
	v_cmp_eq_u32_e32 vcc_lo, 0, v7
	v_min_u32_e32 v5, 32, v5
	s_delay_alu instid0(VALU_DEP_1) | instskip(NEXT) | instid1(VALU_DEP_1)
	v_subrev_nc_u32_e32 v6, 29, v5
	v_dual_lshlrev_b32 v0, v6, v0 :: v_dual_sub_nc_u32 v5, 30, v5
	s_delay_alu instid0(VALU_DEP_1) | instskip(NEXT) | instid1(VALU_DEP_1)
	v_dual_lshlrev_b32 v1, 24, v1 :: v_dual_bitop2_b32 v0, 3, v0 bitop3:0x40
	v_dual_cndmask_b32 v0, v4, v0 :: v_dual_cndmask_b32 v5, v7, v5
	s_delay_alu instid0(VALU_DEP_2) | instskip(NEXT) | instid1(VALU_DEP_2)
	v_and_b32_e32 v1, 0x80000000, v1
	v_lshlrev_b32_e32 v0, 21, v0
	s_delay_alu instid0(VALU_DEP_3) | instskip(NEXT) | instid1(VALU_DEP_1)
	v_lshl_add_u32 v4, v5, 23, 0x37800000
	v_or3_b32 v0, v1, v4, v0
.LBB134_85:
	s_or_b32 exec_lo, exec_lo, s23
	s_mov_b32 s19, 0
	s_branch .LBB134_91
.LBB134_86:
                                        ; implicit-def: $vgpr0
	s_branch .LBB134_97
.LBB134_87:
	s_or_saveexec_b32 s23, s23
	v_mov_b32_e32 v0, 0x7f800001
	s_xor_b32 exec_lo, exec_lo, s23
	s_cbranch_execz .LBB134_71
.LBB134_88:
	v_cmp_ne_u16_e32 vcc_lo, 0, v1
	v_mov_b32_e32 v0, 0
	s_and_not1_b32 s19, s19, exec_lo
	s_and_b32 s24, vcc_lo, exec_lo
	s_delay_alu instid0(SALU_CYCLE_1)
	s_or_b32 s19, s19, s24
	s_or_b32 exec_lo, exec_lo, s23
	s_and_saveexec_b32 s23, s19
	s_cbranch_execnz .LBB134_72
	s_branch .LBB134_73
.LBB134_89:
	s_mov_b32 s19, -1
                                        ; implicit-def: $vgpr0
	s_branch .LBB134_94
.LBB134_90:
	s_mov_b32 s19, -1
                                        ; implicit-def: $vgpr0
.LBB134_91:
	s_delay_alu instid0(SALU_CYCLE_1)
	s_and_b32 vcc_lo, exec_lo, s19
	s_cbranch_vccz .LBB134_93
; %bb.92:
	global_load_u8 v0, v[2:3], off
	s_wait_loadcnt 0x0
	v_lshlrev_b32_e32 v0, 24, v0
	s_delay_alu instid0(VALU_DEP_1) | instskip(NEXT) | instid1(VALU_DEP_1)
	v_and_b32_e32 v1, 0x7f000000, v0
	v_clz_i32_u32_e32 v4, v1
	v_cmp_ne_u32_e32 vcc_lo, 0, v1
	v_add_nc_u32_e32 v6, 0x1000000, v1
	s_delay_alu instid0(VALU_DEP_3) | instskip(NEXT) | instid1(VALU_DEP_1)
	v_min_u32_e32 v4, 32, v4
	v_sub_nc_u32_e64 v4, v4, 4 clamp
	s_delay_alu instid0(VALU_DEP_1) | instskip(NEXT) | instid1(VALU_DEP_1)
	v_dual_lshlrev_b32 v5, v4, v1 :: v_dual_lshlrev_b32 v4, 23, v4
	v_lshrrev_b32_e32 v5, 4, v5
	s_delay_alu instid0(VALU_DEP_1) | instskip(NEXT) | instid1(VALU_DEP_1)
	v_dual_sub_nc_u32 v4, v5, v4 :: v_dual_ashrrev_i32 v5, 8, v6
	v_add_nc_u32_e32 v4, 0x3c000000, v4
	s_delay_alu instid0(VALU_DEP_1) | instskip(NEXT) | instid1(VALU_DEP_1)
	v_and_or_b32 v4, 0x7f800000, v5, v4
	v_cndmask_b32_e32 v1, 0, v4, vcc_lo
	s_delay_alu instid0(VALU_DEP_1)
	v_and_or_b32 v0, 0x80000000, v0, v1
.LBB134_93:
	s_mov_b32 s19, 0
.LBB134_94:
	s_delay_alu instid0(SALU_CYCLE_1)
	s_and_not1_b32 vcc_lo, exec_lo, s19
	s_cbranch_vccnz .LBB134_96
; %bb.95:
	global_load_u8 v0, v[2:3], off
	s_wait_loadcnt 0x0
	v_lshlrev_b32_e32 v1, 25, v0
	v_lshlrev_b16 v0, 8, v0
	s_delay_alu instid0(VALU_DEP_1) | instskip(SKIP_1) | instid1(VALU_DEP_2)
	v_and_or_b32 v5, 0x7f00, v0, 0.5
	v_bfe_i32 v0, v0, 0, 16
	v_add_f32_e32 v5, -0.5, v5
	v_lshrrev_b32_e32 v4, 4, v1
	v_cmp_gt_u32_e32 vcc_lo, 0x8000000, v1
	s_delay_alu instid0(VALU_DEP_2) | instskip(NEXT) | instid1(VALU_DEP_1)
	v_or_b32_e32 v4, 0x70000000, v4
	v_mul_f32_e32 v4, 0x7800000, v4
	s_delay_alu instid0(VALU_DEP_1) | instskip(NEXT) | instid1(VALU_DEP_1)
	v_cndmask_b32_e32 v1, v4, v5, vcc_lo
	v_and_or_b32 v0, 0x80000000, v0, v1
.LBB134_96:
	s_mov_b32 s19, -1
	s_cbranch_execnz .LBB134_109
.LBB134_97:
	s_cmp_gt_i32 s18, 14
	s_cbranch_scc0 .LBB134_100
; %bb.98:
	s_cmp_eq_u32 s18, 15
	s_cbranch_scc0 .LBB134_103
; %bb.99:
	global_load_u16 v0, v[2:3], off
	s_mov_b32 s19, -1
	s_mov_b32 s20, 0
	s_wait_loadcnt 0x0
	v_lshlrev_b32_e32 v0, 16, v0
	s_branch .LBB134_104
.LBB134_100:
	s_mov_b32 s23, -1
                                        ; implicit-def: $vgpr0
	s_branch .LBB134_105
.LBB134_101:
	s_or_saveexec_b32 s23, s23
	v_mov_b32_e32 v0, 0x7f800001
	s_xor_b32 exec_lo, exec_lo, s23
	s_cbranch_execz .LBB134_83
.LBB134_102:
	v_cmp_ne_u16_e32 vcc_lo, 0, v1
	v_mov_b32_e32 v0, 0
	s_and_not1_b32 s19, s19, exec_lo
	s_and_b32 s24, vcc_lo, exec_lo
	s_delay_alu instid0(SALU_CYCLE_1)
	s_or_b32 s19, s19, s24
	s_or_b32 exec_lo, exec_lo, s23
	s_and_saveexec_b32 s23, s19
	s_cbranch_execnz .LBB134_84
	s_branch .LBB134_85
.LBB134_103:
	s_mov_b32 s20, -1
                                        ; implicit-def: $vgpr0
.LBB134_104:
	s_mov_b32 s23, 0
.LBB134_105:
	s_delay_alu instid0(SALU_CYCLE_1)
	s_and_b32 vcc_lo, exec_lo, s23
	s_cbranch_vccz .LBB134_109
; %bb.106:
	s_cmp_eq_u32 s18, 11
	s_cbranch_scc0 .LBB134_108
; %bb.107:
	global_load_u8 v0, v[2:3], off
	s_mov_b32 s20, 0
	s_mov_b32 s19, -1
	v_mov_b32_e32 v1, 0
	s_wait_loadcnt 0x0
	v_cmp_ne_u16_e32 vcc_lo, 0, v0
	v_cndmask_b32_e64 v0, 0, 1.0, vcc_lo
	s_branch .LBB134_110
.LBB134_108:
	s_mov_b32 s20, -1
                                        ; implicit-def: $vgpr0
.LBB134_109:
	v_mov_b32_e32 v1, 0
.LBB134_110:
	s_branch .LBB134_10
.LBB134_111:
	s_and_b32 s0, 0xffff, s0
	s_delay_alu instid0(SALU_CYCLE_1)
	s_cmp_lt_i32 s0, 5
	s_cbranch_scc1 .LBB134_116
; %bb.112:
	s_cmp_lt_i32 s0, 8
	s_cbranch_scc1 .LBB134_117
; %bb.113:
	;; [unrolled: 3-line block ×3, first 2 shown]
	s_cmp_gt_i32 s0, 9
	s_cbranch_scc0 .LBB134_119
; %bb.115:
	global_load_b128 v[4:7], v[2:3], off
	s_mov_b32 s18, 0
	s_wait_loadcnt 0x0
	v_cvt_f32_f64_e32 v0, v[4:5]
	v_cvt_f32_f64_e32 v1, v[6:7]
	s_branch .LBB134_120
.LBB134_116:
                                        ; implicit-def: $vgpr1
	s_branch .LBB134_139
.LBB134_117:
	s_mov_b32 s18, -1
                                        ; implicit-def: $vgpr1
	s_branch .LBB134_126
.LBB134_118:
	s_mov_b32 s18, -1
                                        ; implicit-def: $vgpr1
	s_branch .LBB134_123
.LBB134_119:
	s_mov_b32 s18, -1
                                        ; implicit-def: $vgpr1
.LBB134_120:
	s_delay_alu instid0(SALU_CYCLE_1)
	s_and_not1_b32 vcc_lo, exec_lo, s18
	s_cbranch_vccnz .LBB134_122
; %bb.121:
	global_load_b64 v[0:1], v[2:3], off
.LBB134_122:
	s_mov_b32 s18, 0
.LBB134_123:
	s_delay_alu instid0(SALU_CYCLE_1)
	s_and_not1_b32 vcc_lo, exec_lo, s18
	s_cbranch_vccnz .LBB134_125
; %bb.124:
	s_wait_loadcnt 0x0
	global_load_b32 v0, v[2:3], off
	s_wait_loadcnt 0x0
	v_lshrrev_b32_e32 v1, 16, v0
	v_cvt_f32_f16_e32 v0, v0
	s_delay_alu instid0(VALU_DEP_2)
	v_cvt_f32_f16_e32 v1, v1
.LBB134_125:
	s_mov_b32 s18, 0
.LBB134_126:
	s_delay_alu instid0(SALU_CYCLE_1)
	s_and_not1_b32 vcc_lo, exec_lo, s18
	s_cbranch_vccnz .LBB134_138
; %bb.127:
	s_cmp_lt_i32 s0, 6
	s_cbranch_scc1 .LBB134_130
; %bb.128:
	s_cmp_gt_i32 s0, 6
	s_cbranch_scc0 .LBB134_131
; %bb.129:
	s_wait_loadcnt 0x0
	global_load_b64 v[0:1], v[2:3], off
	s_mov_b32 s18, 0
	s_wait_loadcnt 0x0
	v_cvt_f32_f64_e32 v0, v[0:1]
	s_branch .LBB134_132
.LBB134_130:
	s_mov_b32 s18, -1
                                        ; implicit-def: $vgpr0
	s_branch .LBB134_135
.LBB134_131:
	s_mov_b32 s18, -1
                                        ; implicit-def: $vgpr0
.LBB134_132:
	s_delay_alu instid0(SALU_CYCLE_1)
	s_and_not1_b32 vcc_lo, exec_lo, s18
	s_cbranch_vccnz .LBB134_134
; %bb.133:
	s_wait_loadcnt 0x0
	global_load_b32 v0, v[2:3], off
.LBB134_134:
	s_mov_b32 s18, 0
.LBB134_135:
	s_delay_alu instid0(SALU_CYCLE_1)
	s_and_not1_b32 vcc_lo, exec_lo, s18
	s_cbranch_vccnz .LBB134_137
; %bb.136:
	s_wait_loadcnt 0x0
	global_load_u16 v0, v[2:3], off
	s_wait_loadcnt 0x0
	v_cvt_f32_f16_e32 v0, v0
.LBB134_137:
	s_wait_loadcnt 0x0
	v_mov_b32_e32 v1, 0
.LBB134_138:
	s_cbranch_execnz .LBB134_159
.LBB134_139:
	s_cmp_lt_i32 s0, 2
	s_cbranch_scc1 .LBB134_143
; %bb.140:
	s_cmp_lt_i32 s0, 3
	s_cbranch_scc1 .LBB134_144
; %bb.141:
	s_cmp_gt_i32 s0, 3
	s_cbranch_scc0 .LBB134_145
; %bb.142:
	s_wait_loadcnt 0x0
	global_load_b64 v[0:1], v[2:3], off
	s_mov_b32 s18, 0
	s_wait_loadcnt 0x0
	v_xor_b32_e32 v4, v0, v1
	v_cls_i32_e32 v5, v1
	s_delay_alu instid0(VALU_DEP_2) | instskip(NEXT) | instid1(VALU_DEP_1)
	v_ashrrev_i32_e32 v4, 31, v4
	v_add_nc_u32_e32 v4, 32, v4
	s_delay_alu instid0(VALU_DEP_1) | instskip(NEXT) | instid1(VALU_DEP_1)
	v_add_min_u32_e64 v4, v5, -1, v4
	v_lshlrev_b64_e32 v[0:1], v4, v[0:1]
	s_delay_alu instid0(VALU_DEP_1) | instskip(NEXT) | instid1(VALU_DEP_1)
	v_min_u32_e32 v0, 1, v0
	v_or_b32_e32 v0, v1, v0
	v_sub_nc_u32_e32 v1, 32, v4
	s_delay_alu instid0(VALU_DEP_2) | instskip(NEXT) | instid1(VALU_DEP_1)
	v_cvt_f32_i32_e32 v0, v0
	v_ldexp_f32 v0, v0, v1
	s_branch .LBB134_146
.LBB134_143:
	s_mov_b32 s18, -1
                                        ; implicit-def: $vgpr0
	s_branch .LBB134_152
.LBB134_144:
	s_mov_b32 s18, -1
                                        ; implicit-def: $vgpr0
	s_branch .LBB134_149
.LBB134_145:
	s_mov_b32 s18, -1
                                        ; implicit-def: $vgpr0
.LBB134_146:
	s_delay_alu instid0(SALU_CYCLE_1)
	s_and_not1_b32 vcc_lo, exec_lo, s18
	s_cbranch_vccnz .LBB134_148
; %bb.147:
	s_wait_loadcnt 0x0
	global_load_b32 v0, v[2:3], off
	s_wait_loadcnt 0x0
	v_cvt_f32_i32_e32 v0, v0
.LBB134_148:
	s_mov_b32 s18, 0
.LBB134_149:
	s_delay_alu instid0(SALU_CYCLE_1)
	s_and_not1_b32 vcc_lo, exec_lo, s18
	s_cbranch_vccnz .LBB134_151
; %bb.150:
	s_wait_loadcnt 0x0
	global_load_i16 v0, v[2:3], off
	s_wait_loadcnt 0x0
	v_cvt_f32_i32_e32 v0, v0
.LBB134_151:
	s_mov_b32 s18, 0
.LBB134_152:
	s_delay_alu instid0(SALU_CYCLE_1)
	s_and_not1_b32 vcc_lo, exec_lo, s18
	s_cbranch_vccnz .LBB134_158
; %bb.153:
	s_cmp_gt_i32 s0, 0
	s_mov_b32 s0, 0
	s_cbranch_scc0 .LBB134_155
; %bb.154:
	s_wait_loadcnt 0x0
	global_load_i8 v0, v[2:3], off
	s_wait_loadcnt 0x0
	v_cvt_f32_i32_e32 v0, v0
	s_branch .LBB134_156
.LBB134_155:
	s_mov_b32 s0, -1
                                        ; implicit-def: $vgpr0
.LBB134_156:
	s_delay_alu instid0(SALU_CYCLE_1)
	s_and_not1_b32 vcc_lo, exec_lo, s0
	s_cbranch_vccnz .LBB134_158
; %bb.157:
	s_wait_loadcnt 0x0
	global_load_u8 v0, v[2:3], off
	s_wait_loadcnt 0x0
	v_cvt_f32_ubyte0_e32 v0, v0
.LBB134_158:
	s_wait_loadcnt 0x0
	v_mov_b32_e32 v1, 0
.LBB134_159:
	s_branch .LBB134_11
.LBB134_160:
	s_mov_b32 s0, 0
	s_mov_b32 s19, 0
	s_branch .LBB134_393
.LBB134_161:
	s_mov_b32 s19, -1
.LBB134_162:
	s_mov_b32 s23, 0
                                        ; implicit-def: $vgpr5
.LBB134_163:
	s_and_b32 vcc_lo, exec_lo, s24
	s_cbranch_vccz .LBB134_279
; %bb.164:
	s_cmp_eq_u32 s18, 44
	s_cbranch_scc0 .LBB134_277
; %bb.165:
	global_load_u8 v4, v[2:3], off
	s_mov_b32 s19, 0
	s_mov_b32 s23, -1
	s_wait_loadcnt 0x0
	v_lshlrev_b32_e32 v5, 23, v4
	v_cmp_ne_u32_e32 vcc_lo, 0xff, v4
	s_delay_alu instid0(VALU_DEP_2) | instskip(SKIP_1) | instid1(VALU_DEP_2)
	v_cndmask_b32_e32 v5, 0x7f800001, v5, vcc_lo
	v_cmp_ne_u32_e32 vcc_lo, 0, v4
	v_cndmask_b32_e32 v4, 0x400000, v5, vcc_lo
	s_branch .LBB134_278
.LBB134_166:
	s_mov_b32 s26, -1
	s_mov_b32 s0, 0
	s_mov_b32 s25, 0
.LBB134_167:
	s_and_b32 vcc_lo, exec_lo, s26
	s_cbranch_vccz .LBB134_172
; %bb.168:
	s_cmp_eq_u32 s24, 44
	s_mov_b32 s0, -1
	s_cbranch_scc0 .LBB134_172
; %bb.169:
	v_cndmask_b32_e64 v4, 0, 1.0, s18
	s_mov_b32 s25, exec_lo
	s_wait_xcnt 0x0
	s_delay_alu instid0(VALU_DEP_1) | instskip(NEXT) | instid1(VALU_DEP_1)
	v_dual_mov_b32 v3, 0xff :: v_dual_lshrrev_b32 v2, 23, v4
	v_cmpx_ne_u32_e32 0xff, v2
; %bb.170:
	v_and_b32_e32 v3, 0x400000, v4
	v_and_or_b32 v4, 0x3fffff, v4, v2
	s_delay_alu instid0(VALU_DEP_2) | instskip(NEXT) | instid1(VALU_DEP_2)
	v_cmp_ne_u32_e32 vcc_lo, 0, v3
	v_cmp_ne_u32_e64 s0, 0, v4
	s_and_b32 s0, vcc_lo, s0
	s_delay_alu instid0(SALU_CYCLE_1) | instskip(NEXT) | instid1(VALU_DEP_1)
	v_cndmask_b32_e64 v3, 0, 1, s0
	v_add_nc_u32_e32 v3, v2, v3
; %bb.171:
	s_or_b32 exec_lo, exec_lo, s25
	s_mov_b32 s25, -1
	s_mov_b32 s0, 0
	global_store_b8 v[0:1], v3, off
.LBB134_172:
	s_mov_b32 s26, 0
.LBB134_173:
	s_delay_alu instid0(SALU_CYCLE_1)
	s_and_b32 vcc_lo, exec_lo, s26
	s_cbranch_vccz .LBB134_176
; %bb.174:
	s_cmp_eq_u32 s24, 29
	s_mov_b32 s0, -1
	s_cbranch_scc0 .LBB134_176
; %bb.175:
	s_mov_b32 s0, 0
	s_wait_xcnt 0x0
	v_cndmask_b32_e64 v2, 0, 1, s18
	v_mov_b32_e32 v3, s0
	s_mov_b32 s25, -1
	s_mov_b32 s26, 0
	global_store_b64 v[0:1], v[2:3], off
	s_branch .LBB134_177
.LBB134_176:
	s_mov_b32 s26, 0
.LBB134_177:
	s_delay_alu instid0(SALU_CYCLE_1)
	s_and_b32 vcc_lo, exec_lo, s26
	s_cbranch_vccz .LBB134_193
; %bb.178:
	s_cmp_lt_i32 s24, 27
	s_mov_b32 s25, -1
	s_cbranch_scc1 .LBB134_184
; %bb.179:
	s_cmp_gt_i32 s24, 27
	s_cbranch_scc0 .LBB134_181
; %bb.180:
	s_wait_xcnt 0x0
	v_cndmask_b32_e64 v2, 0, 1, s18
	s_mov_b32 s25, 0
	global_store_b32 v[0:1], v2, off
.LBB134_181:
	s_and_not1_b32 vcc_lo, exec_lo, s25
	s_cbranch_vccnz .LBB134_183
; %bb.182:
	s_wait_xcnt 0x0
	v_cndmask_b32_e64 v2, 0, 1, s18
	global_store_b16 v[0:1], v2, off
.LBB134_183:
	s_mov_b32 s25, 0
.LBB134_184:
	s_delay_alu instid0(SALU_CYCLE_1)
	s_and_not1_b32 vcc_lo, exec_lo, s25
	s_cbranch_vccnz .LBB134_192
; %bb.185:
	s_wait_xcnt 0x0
	v_cndmask_b32_e64 v3, 0, 1.0, s18
	v_mov_b32_e32 v4, 0x80
	s_mov_b32 s25, exec_lo
	s_delay_alu instid0(VALU_DEP_2)
	v_cmpx_gt_u32_e32 0x43800000, v3
	s_cbranch_execz .LBB134_191
; %bb.186:
	s_mov_b32 s26, 0
	s_mov_b32 s27, exec_lo
                                        ; implicit-def: $vgpr2
	v_cmpx_lt_u32_e32 0x3bffffff, v3
	s_xor_b32 s27, exec_lo, s27
	s_cbranch_execz .LBB134_424
; %bb.187:
	v_bfe_u32 v2, v3, 20, 1
	s_mov_b32 s26, exec_lo
	s_delay_alu instid0(VALU_DEP_1) | instskip(NEXT) | instid1(VALU_DEP_1)
	v_add3_u32 v2, v3, v2, 0x487ffff
                                        ; implicit-def: $vgpr3
	v_lshrrev_b32_e32 v2, 20, v2
	s_and_not1_saveexec_b32 s27, s27
	s_cbranch_execnz .LBB134_425
.LBB134_188:
	s_or_b32 exec_lo, exec_lo, s27
	v_mov_b32_e32 v4, 0
	s_and_saveexec_b32 s27, s26
.LBB134_189:
	v_mov_b32_e32 v4, v2
.LBB134_190:
	s_or_b32 exec_lo, exec_lo, s27
.LBB134_191:
	s_delay_alu instid0(SALU_CYCLE_1)
	s_or_b32 exec_lo, exec_lo, s25
	global_store_b8 v[0:1], v4, off
.LBB134_192:
	s_mov_b32 s25, -1
.LBB134_193:
	s_mov_b32 s26, 0
.LBB134_194:
	s_delay_alu instid0(SALU_CYCLE_1)
	s_and_b32 vcc_lo, exec_lo, s26
	s_cbranch_vccz .LBB134_235
; %bb.195:
	s_cmp_gt_i32 s24, 22
	s_mov_b32 s26, -1
	s_cbranch_scc0 .LBB134_227
; %bb.196:
	s_cmp_lt_i32 s24, 24
	s_mov_b32 s25, -1
	s_cbranch_scc1 .LBB134_216
; %bb.197:
	s_cmp_gt_i32 s24, 24
	s_cbranch_scc0 .LBB134_205
; %bb.198:
	s_wait_xcnt 0x0
	v_cndmask_b32_e64 v3, 0, 1.0, s18
	v_mov_b32_e32 v4, 0x80
	s_mov_b32 s25, exec_lo
	s_delay_alu instid0(VALU_DEP_2)
	v_cmpx_gt_u32_e32 0x47800000, v3
	s_cbranch_execz .LBB134_204
; %bb.199:
	s_mov_b32 s26, 0
	s_mov_b32 s27, exec_lo
                                        ; implicit-def: $vgpr2
	v_cmpx_lt_u32_e32 0x37ffffff, v3
	s_xor_b32 s27, exec_lo, s27
	s_cbranch_execz .LBB134_548
; %bb.200:
	v_bfe_u32 v2, v3, 21, 1
	s_mov_b32 s26, exec_lo
	s_delay_alu instid0(VALU_DEP_1) | instskip(NEXT) | instid1(VALU_DEP_1)
	v_add3_u32 v2, v3, v2, 0x88fffff
                                        ; implicit-def: $vgpr3
	v_lshrrev_b32_e32 v2, 21, v2
	s_and_not1_saveexec_b32 s27, s27
	s_cbranch_execnz .LBB134_549
.LBB134_201:
	s_or_b32 exec_lo, exec_lo, s27
	v_mov_b32_e32 v4, 0
	s_and_saveexec_b32 s27, s26
.LBB134_202:
	v_mov_b32_e32 v4, v2
.LBB134_203:
	s_or_b32 exec_lo, exec_lo, s27
.LBB134_204:
	s_delay_alu instid0(SALU_CYCLE_1)
	s_or_b32 exec_lo, exec_lo, s25
	s_mov_b32 s25, 0
	global_store_b8 v[0:1], v4, off
.LBB134_205:
	s_and_b32 vcc_lo, exec_lo, s25
	s_cbranch_vccz .LBB134_215
; %bb.206:
	s_wait_xcnt 0x0
	v_cndmask_b32_e64 v3, 0, 1.0, s18
	s_mov_b32 s25, exec_lo
                                        ; implicit-def: $vgpr2
	s_delay_alu instid0(VALU_DEP_1)
	v_cmpx_gt_u32_e32 0x43f00000, v3
	s_xor_b32 s25, exec_lo, s25
	s_cbranch_execz .LBB134_212
; %bb.207:
	s_mov_b32 s26, exec_lo
                                        ; implicit-def: $vgpr2
	v_cmpx_lt_u32_e32 0x3c7fffff, v3
	s_xor_b32 s26, exec_lo, s26
; %bb.208:
	v_bfe_u32 v2, v3, 20, 1
	s_delay_alu instid0(VALU_DEP_1) | instskip(NEXT) | instid1(VALU_DEP_1)
	v_add3_u32 v2, v3, v2, 0x407ffff
	v_and_b32_e32 v3, 0xff00000, v2
	v_lshrrev_b32_e32 v2, 20, v2
	s_delay_alu instid0(VALU_DEP_2) | instskip(NEXT) | instid1(VALU_DEP_2)
	v_cmp_ne_u32_e32 vcc_lo, 0x7f00000, v3
                                        ; implicit-def: $vgpr3
	v_cndmask_b32_e32 v2, 0x7e, v2, vcc_lo
; %bb.209:
	s_and_not1_saveexec_b32 s26, s26
; %bb.210:
	v_add_f32_e32 v2, 0x46800000, v3
; %bb.211:
	s_or_b32 exec_lo, exec_lo, s26
                                        ; implicit-def: $vgpr3
.LBB134_212:
	s_and_not1_saveexec_b32 s25, s25
; %bb.213:
	v_mov_b32_e32 v2, 0x7f
	v_cmp_lt_u32_e32 vcc_lo, 0x7f800000, v3
	s_delay_alu instid0(VALU_DEP_2)
	v_cndmask_b32_e32 v2, 0x7e, v2, vcc_lo
; %bb.214:
	s_or_b32 exec_lo, exec_lo, s25
	global_store_b8 v[0:1], v2, off
.LBB134_215:
	s_mov_b32 s25, 0
.LBB134_216:
	s_delay_alu instid0(SALU_CYCLE_1)
	s_and_not1_b32 vcc_lo, exec_lo, s25
	s_cbranch_vccnz .LBB134_226
; %bb.217:
	s_wait_xcnt 0x0
	v_cndmask_b32_e64 v3, 0, 1.0, s18
	s_mov_b32 s25, exec_lo
                                        ; implicit-def: $vgpr2
	s_delay_alu instid0(VALU_DEP_1)
	v_cmpx_gt_u32_e32 0x47800000, v3
	s_xor_b32 s25, exec_lo, s25
	s_cbranch_execz .LBB134_223
; %bb.218:
	s_mov_b32 s26, exec_lo
                                        ; implicit-def: $vgpr2
	v_cmpx_lt_u32_e32 0x387fffff, v3
	s_xor_b32 s26, exec_lo, s26
; %bb.219:
	v_bfe_u32 v2, v3, 21, 1
	s_delay_alu instid0(VALU_DEP_1) | instskip(NEXT) | instid1(VALU_DEP_1)
	v_add3_u32 v2, v3, v2, 0x80fffff
                                        ; implicit-def: $vgpr3
	v_lshrrev_b32_e32 v2, 21, v2
; %bb.220:
	s_and_not1_saveexec_b32 s26, s26
; %bb.221:
	v_add_f32_e32 v2, 0x43000000, v3
; %bb.222:
	s_or_b32 exec_lo, exec_lo, s26
                                        ; implicit-def: $vgpr3
.LBB134_223:
	s_and_not1_saveexec_b32 s25, s25
; %bb.224:
	v_mov_b32_e32 v2, 0x7f
	v_cmp_lt_u32_e32 vcc_lo, 0x7f800000, v3
	s_delay_alu instid0(VALU_DEP_2)
	v_cndmask_b32_e32 v2, 0x7c, v2, vcc_lo
; %bb.225:
	s_or_b32 exec_lo, exec_lo, s25
	global_store_b8 v[0:1], v2, off
.LBB134_226:
	s_mov_b32 s26, 0
	s_mov_b32 s25, -1
.LBB134_227:
	s_and_not1_b32 vcc_lo, exec_lo, s26
	s_cbranch_vccnz .LBB134_235
; %bb.228:
	s_cmp_gt_i32 s24, 14
	s_mov_b32 s26, -1
	s_cbranch_scc0 .LBB134_232
; %bb.229:
	s_cmp_eq_u32 s24, 15
	s_mov_b32 s0, -1
	s_cbranch_scc0 .LBB134_231
; %bb.230:
	s_wait_xcnt 0x0
	v_cndmask_b32_e64 v2, 0, 1.0, s18
	s_mov_b32 s25, -1
	s_mov_b32 s0, 0
	s_delay_alu instid0(VALU_DEP_1) | instskip(NEXT) | instid1(VALU_DEP_1)
	v_bfe_u32 v3, v2, 16, 1
	v_add3_u32 v2, v2, v3, 0x7fff
	global_store_d16_hi_b16 v[0:1], v2, off
.LBB134_231:
	s_mov_b32 s26, 0
.LBB134_232:
	s_delay_alu instid0(SALU_CYCLE_1)
	s_and_b32 vcc_lo, exec_lo, s26
	s_cbranch_vccz .LBB134_235
; %bb.233:
	s_cmp_eq_u32 s24, 11
	s_mov_b32 s0, -1
	s_cbranch_scc0 .LBB134_235
; %bb.234:
	s_wait_xcnt 0x0
	v_cndmask_b32_e64 v2, 0, 1, s18
	s_mov_b32 s25, -1
	s_mov_b32 s0, 0
	global_store_b8 v[0:1], v2, off
.LBB134_235:
	s_mov_b32 s24, 0
.LBB134_236:
	s_delay_alu instid0(SALU_CYCLE_1)
	s_and_b32 vcc_lo, exec_lo, s24
	s_cbranch_vccz .LBB134_275
; %bb.237:
	s_and_b32 s23, 0xffff, s23
	s_mov_b32 s24, -1
	s_cmp_lt_i32 s23, 5
	s_cbranch_scc1 .LBB134_258
; %bb.238:
	s_cmp_lt_i32 s23, 8
	s_cbranch_scc1 .LBB134_248
; %bb.239:
	;; [unrolled: 3-line block ×3, first 2 shown]
	s_cmp_gt_i32 s23, 9
	s_cbranch_scc0 .LBB134_242
; %bb.241:
	s_wait_xcnt 0x0
	v_cndmask_b32_e64 v2, 0, 1, s18
	v_mov_b32_e32 v4, 0
	s_mov_b32 s24, 0
	s_delay_alu instid0(VALU_DEP_2) | instskip(NEXT) | instid1(VALU_DEP_2)
	v_cvt_f64_u32_e32 v[2:3], v2
	v_mov_b32_e32 v5, v4
	global_store_b128 v[0:1], v[2:5], off
.LBB134_242:
	s_and_not1_b32 vcc_lo, exec_lo, s24
	s_cbranch_vccnz .LBB134_244
; %bb.243:
	s_wait_xcnt 0x0
	v_cndmask_b32_e64 v2, 0, 1.0, s18
	v_mov_b32_e32 v3, 0
	global_store_b64 v[0:1], v[2:3], off
.LBB134_244:
	s_mov_b32 s24, 0
.LBB134_245:
	s_delay_alu instid0(SALU_CYCLE_1)
	s_and_not1_b32 vcc_lo, exec_lo, s24
	s_cbranch_vccnz .LBB134_247
; %bb.246:
	s_wait_xcnt 0x0
	v_cndmask_b32_e64 v2, 0, 1.0, s18
	s_delay_alu instid0(VALU_DEP_1) | instskip(NEXT) | instid1(VALU_DEP_1)
	v_cvt_f16_f32_e32 v2, v2
	v_and_b32_e32 v2, 0xffff, v2
	global_store_b32 v[0:1], v2, off
.LBB134_247:
	s_mov_b32 s24, 0
.LBB134_248:
	s_delay_alu instid0(SALU_CYCLE_1)
	s_and_not1_b32 vcc_lo, exec_lo, s24
	s_cbranch_vccnz .LBB134_257
; %bb.249:
	s_cmp_lt_i32 s23, 6
	s_mov_b32 s24, -1
	s_cbranch_scc1 .LBB134_255
; %bb.250:
	s_cmp_gt_i32 s23, 6
	s_cbranch_scc0 .LBB134_252
; %bb.251:
	s_wait_xcnt 0x0
	v_cndmask_b32_e64 v2, 0, 1, s18
	s_mov_b32 s24, 0
	s_delay_alu instid0(VALU_DEP_1)
	v_cvt_f64_u32_e32 v[2:3], v2
	global_store_b64 v[0:1], v[2:3], off
.LBB134_252:
	s_and_not1_b32 vcc_lo, exec_lo, s24
	s_cbranch_vccnz .LBB134_254
; %bb.253:
	s_wait_xcnt 0x0
	v_cndmask_b32_e64 v2, 0, 1.0, s18
	global_store_b32 v[0:1], v2, off
.LBB134_254:
	s_mov_b32 s24, 0
.LBB134_255:
	s_delay_alu instid0(SALU_CYCLE_1)
	s_and_not1_b32 vcc_lo, exec_lo, s24
	s_cbranch_vccnz .LBB134_257
; %bb.256:
	s_wait_xcnt 0x0
	v_cndmask_b32_e64 v2, 0, 1.0, s18
	s_delay_alu instid0(VALU_DEP_1)
	v_cvt_f16_f32_e32 v2, v2
	global_store_b16 v[0:1], v2, off
.LBB134_257:
	s_mov_b32 s24, 0
.LBB134_258:
	s_delay_alu instid0(SALU_CYCLE_1)
	s_and_not1_b32 vcc_lo, exec_lo, s24
	s_cbranch_vccnz .LBB134_274
; %bb.259:
	s_cmp_lt_i32 s23, 2
	s_mov_b32 s24, -1
	s_cbranch_scc1 .LBB134_269
; %bb.260:
	s_cmp_lt_i32 s23, 3
	s_cbranch_scc1 .LBB134_266
; %bb.261:
	s_cmp_gt_i32 s23, 3
	s_cbranch_scc0 .LBB134_263
; %bb.262:
	s_mov_b32 s24, 0
	s_wait_xcnt 0x0
	v_cndmask_b32_e64 v2, 0, 1, s18
	v_mov_b32_e32 v3, s24
	global_store_b64 v[0:1], v[2:3], off
.LBB134_263:
	s_and_not1_b32 vcc_lo, exec_lo, s24
	s_cbranch_vccnz .LBB134_265
; %bb.264:
	s_wait_xcnt 0x0
	v_cndmask_b32_e64 v2, 0, 1, s18
	global_store_b32 v[0:1], v2, off
.LBB134_265:
	s_mov_b32 s24, 0
.LBB134_266:
	s_delay_alu instid0(SALU_CYCLE_1)
	s_and_not1_b32 vcc_lo, exec_lo, s24
	s_cbranch_vccnz .LBB134_268
; %bb.267:
	s_wait_xcnt 0x0
	v_cndmask_b32_e64 v2, 0, 1, s18
	global_store_b16 v[0:1], v2, off
.LBB134_268:
	s_mov_b32 s24, 0
.LBB134_269:
	s_delay_alu instid0(SALU_CYCLE_1)
	s_and_not1_b32 vcc_lo, exec_lo, s24
	s_cbranch_vccnz .LBB134_274
; %bb.270:
	s_wait_xcnt 0x0
	v_cndmask_b32_e64 v2, 0, 1, s18
	s_cmp_gt_i32 s23, 0
	s_mov_b32 s18, -1
	s_cbranch_scc0 .LBB134_272
; %bb.271:
	s_mov_b32 s18, 0
	global_store_b8 v[0:1], v2, off
.LBB134_272:
	s_and_not1_b32 vcc_lo, exec_lo, s18
	s_cbranch_vccnz .LBB134_274
; %bb.273:
	global_store_b8 v[0:1], v2, off
.LBB134_274:
	s_mov_b32 s25, -1
.LBB134_275:
	s_delay_alu instid0(SALU_CYCLE_1)
	s_and_not1_b32 vcc_lo, exec_lo, s25
	s_cbranch_vccnz .LBB134_393
; %bb.276:
	v_add_nc_u32_e32 v10, 0x80, v10
	s_mov_b32 s23, -1
	s_branch .LBB134_394
.LBB134_277:
	s_mov_b32 s19, -1
                                        ; implicit-def: $vgpr4
.LBB134_278:
	v_mov_b32_e32 v5, 0
.LBB134_279:
	s_mov_b32 s24, 0
.LBB134_280:
	s_delay_alu instid0(SALU_CYCLE_1)
	s_and_b32 vcc_lo, exec_lo, s24
	s_cbranch_vccz .LBB134_285
; %bb.281:
	s_cmp_eq_u32 s18, 29
	s_cbranch_scc0 .LBB134_283
; %bb.282:
	global_load_b64 v[4:5], v[2:3], off
	s_mov_b32 s23, -1
	s_mov_b32 s19, 0
	s_wait_loadcnt 0x0
	v_clz_i32_u32_e32 v6, v5
	s_delay_alu instid0(VALU_DEP_1) | instskip(NEXT) | instid1(VALU_DEP_1)
	v_min_u32_e32 v6, 32, v6
	v_lshlrev_b64_e32 v[4:5], v6, v[4:5]
	s_delay_alu instid0(VALU_DEP_1) | instskip(NEXT) | instid1(VALU_DEP_1)
	v_min_u32_e32 v4, 1, v4
	v_dual_sub_nc_u32 v5, 32, v6 :: v_dual_bitop2_b32 v4, v5, v4 bitop3:0x54
	s_delay_alu instid0(VALU_DEP_1) | instskip(NEXT) | instid1(VALU_DEP_1)
	v_cvt_f32_u32_e32 v4, v4
	v_ldexp_f32 v4, v4, v5
	s_branch .LBB134_284
.LBB134_283:
	s_mov_b32 s19, -1
                                        ; implicit-def: $vgpr4
.LBB134_284:
	v_mov_b32_e32 v5, 0
.LBB134_285:
	s_mov_b32 s24, 0
.LBB134_286:
	s_delay_alu instid0(SALU_CYCLE_1)
	s_and_b32 vcc_lo, exec_lo, s24
	s_cbranch_vccz .LBB134_304
; %bb.287:
	s_cmp_lt_i32 s18, 27
	s_cbranch_scc1 .LBB134_290
; %bb.288:
	s_cmp_gt_i32 s18, 27
	s_cbranch_scc0 .LBB134_291
; %bb.289:
	global_load_b32 v4, v[2:3], off
	s_mov_b32 s23, 0
	s_wait_loadcnt 0x0
	v_cvt_f32_u32_e32 v4, v4
	s_branch .LBB134_292
.LBB134_290:
	s_mov_b32 s23, -1
                                        ; implicit-def: $vgpr4
	s_branch .LBB134_295
.LBB134_291:
	s_mov_b32 s23, -1
                                        ; implicit-def: $vgpr4
.LBB134_292:
	s_delay_alu instid0(SALU_CYCLE_1)
	s_and_not1_b32 vcc_lo, exec_lo, s23
	s_cbranch_vccnz .LBB134_294
; %bb.293:
	global_load_u16 v4, v[2:3], off
	s_wait_loadcnt 0x0
	v_cvt_f32_u32_e32 v4, v4
.LBB134_294:
	s_mov_b32 s23, 0
.LBB134_295:
	s_delay_alu instid0(SALU_CYCLE_1)
	s_and_not1_b32 vcc_lo, exec_lo, s23
	s_cbranch_vccnz .LBB134_303
; %bb.296:
	global_load_u8 v5, v[2:3], off
	s_mov_b32 s23, 0
	s_mov_b32 s24, exec_lo
	s_wait_loadcnt 0x0
	v_cmpx_lt_i16_e32 0x7f, v5
	s_xor_b32 s24, exec_lo, s24
	s_cbranch_execz .LBB134_317
; %bb.297:
	s_mov_b32 s23, -1
	s_mov_b32 s25, exec_lo
	v_cmpx_eq_u16_e32 0x80, v5
; %bb.298:
	s_xor_b32 s23, exec_lo, -1
; %bb.299:
	s_or_b32 exec_lo, exec_lo, s25
	s_delay_alu instid0(SALU_CYCLE_1)
	s_and_b32 s23, s23, exec_lo
	s_or_saveexec_b32 s24, s24
	v_mov_b32_e32 v4, 0x7f800001
	s_xor_b32 exec_lo, exec_lo, s24
	s_cbranch_execnz .LBB134_318
.LBB134_300:
	s_or_b32 exec_lo, exec_lo, s24
	s_and_saveexec_b32 s24, s23
	s_cbranch_execz .LBB134_302
.LBB134_301:
	v_and_b32_e32 v4, 0xffff, v5
	s_delay_alu instid0(VALU_DEP_1) | instskip(SKIP_1) | instid1(VALU_DEP_2)
	v_and_b32_e32 v6, 7, v4
	v_bfe_u32 v9, v4, 3, 4
	v_clz_i32_u32_e32 v7, v6
	s_delay_alu instid0(VALU_DEP_2) | instskip(NEXT) | instid1(VALU_DEP_2)
	v_cmp_eq_u32_e32 vcc_lo, 0, v9
	v_min_u32_e32 v7, 32, v7
	s_delay_alu instid0(VALU_DEP_1) | instskip(NEXT) | instid1(VALU_DEP_1)
	v_subrev_nc_u32_e32 v8, 28, v7
	v_dual_lshlrev_b32 v4, v8, v4 :: v_dual_sub_nc_u32 v7, 29, v7
	s_delay_alu instid0(VALU_DEP_1) | instskip(NEXT) | instid1(VALU_DEP_1)
	v_dual_lshlrev_b32 v5, 24, v5 :: v_dual_bitop2_b32 v4, 7, v4 bitop3:0x40
	v_dual_cndmask_b32 v7, v9, v7 :: v_dual_cndmask_b32 v4, v6, v4
	s_delay_alu instid0(VALU_DEP_2) | instskip(NEXT) | instid1(VALU_DEP_2)
	v_and_b32_e32 v5, 0x80000000, v5
	v_lshl_add_u32 v6, v7, 23, 0x3b800000
	s_delay_alu instid0(VALU_DEP_3) | instskip(NEXT) | instid1(VALU_DEP_1)
	v_lshlrev_b32_e32 v4, 20, v4
	v_or3_b32 v4, v5, v6, v4
.LBB134_302:
	s_or_b32 exec_lo, exec_lo, s24
.LBB134_303:
	v_mov_b32_e32 v5, 0
	s_mov_b32 s23, -1
.LBB134_304:
	s_mov_b32 s24, 0
.LBB134_305:
	s_delay_alu instid0(SALU_CYCLE_1)
	s_and_b32 vcc_lo, exec_lo, s24
	s_cbranch_vccz .LBB134_341
; %bb.306:
	s_cmp_gt_i32 s18, 22
	s_cbranch_scc0 .LBB134_316
; %bb.307:
	s_cmp_lt_i32 s18, 24
	s_cbranch_scc1 .LBB134_319
; %bb.308:
	s_cmp_gt_i32 s18, 24
	s_cbranch_scc0 .LBB134_320
; %bb.309:
	global_load_u8 v5, v[2:3], off
	s_mov_b32 s23, 0
	s_mov_b32 s24, exec_lo
	s_wait_loadcnt 0x0
	v_cmpx_lt_i16_e32 0x7f, v5
	s_xor_b32 s24, exec_lo, s24
	s_cbranch_execz .LBB134_332
; %bb.310:
	s_mov_b32 s23, -1
	s_mov_b32 s25, exec_lo
	v_cmpx_eq_u16_e32 0x80, v5
; %bb.311:
	s_xor_b32 s23, exec_lo, -1
; %bb.312:
	s_or_b32 exec_lo, exec_lo, s25
	s_delay_alu instid0(SALU_CYCLE_1)
	s_and_b32 s23, s23, exec_lo
	s_or_saveexec_b32 s24, s24
	v_mov_b32_e32 v4, 0x7f800001
	s_xor_b32 exec_lo, exec_lo, s24
	s_cbranch_execnz .LBB134_333
.LBB134_313:
	s_or_b32 exec_lo, exec_lo, s24
	s_and_saveexec_b32 s24, s23
	s_cbranch_execz .LBB134_315
.LBB134_314:
	v_and_b32_e32 v4, 0xffff, v5
	s_delay_alu instid0(VALU_DEP_1) | instskip(SKIP_1) | instid1(VALU_DEP_2)
	v_and_b32_e32 v6, 3, v4
	v_bfe_u32 v9, v4, 2, 5
	v_clz_i32_u32_e32 v7, v6
	s_delay_alu instid0(VALU_DEP_2) | instskip(NEXT) | instid1(VALU_DEP_2)
	v_cmp_eq_u32_e32 vcc_lo, 0, v9
	v_min_u32_e32 v7, 32, v7
	s_delay_alu instid0(VALU_DEP_1) | instskip(NEXT) | instid1(VALU_DEP_1)
	v_subrev_nc_u32_e32 v8, 29, v7
	v_dual_lshlrev_b32 v4, v8, v4 :: v_dual_sub_nc_u32 v7, 30, v7
	s_delay_alu instid0(VALU_DEP_1) | instskip(NEXT) | instid1(VALU_DEP_1)
	v_dual_lshlrev_b32 v5, 24, v5 :: v_dual_bitop2_b32 v4, 3, v4 bitop3:0x40
	v_dual_cndmask_b32 v7, v9, v7 :: v_dual_cndmask_b32 v4, v6, v4
	s_delay_alu instid0(VALU_DEP_2) | instskip(NEXT) | instid1(VALU_DEP_2)
	v_and_b32_e32 v5, 0x80000000, v5
	v_lshl_add_u32 v6, v7, 23, 0x37800000
	s_delay_alu instid0(VALU_DEP_3) | instskip(NEXT) | instid1(VALU_DEP_1)
	v_lshlrev_b32_e32 v4, 21, v4
	v_or3_b32 v4, v5, v6, v4
.LBB134_315:
	s_or_b32 exec_lo, exec_lo, s24
	s_mov_b32 s23, 0
	s_branch .LBB134_321
.LBB134_316:
	s_mov_b32 s24, -1
                                        ; implicit-def: $vgpr4
	s_branch .LBB134_327
.LBB134_317:
	s_or_saveexec_b32 s24, s24
	v_mov_b32_e32 v4, 0x7f800001
	s_xor_b32 exec_lo, exec_lo, s24
	s_cbranch_execz .LBB134_300
.LBB134_318:
	v_cmp_ne_u16_e32 vcc_lo, 0, v5
	v_mov_b32_e32 v4, 0
	s_and_not1_b32 s23, s23, exec_lo
	s_and_b32 s25, vcc_lo, exec_lo
	s_delay_alu instid0(SALU_CYCLE_1)
	s_or_b32 s23, s23, s25
	s_or_b32 exec_lo, exec_lo, s24
	s_and_saveexec_b32 s24, s23
	s_cbranch_execnz .LBB134_301
	s_branch .LBB134_302
.LBB134_319:
	s_mov_b32 s23, -1
                                        ; implicit-def: $vgpr4
	s_branch .LBB134_324
.LBB134_320:
	s_mov_b32 s23, -1
                                        ; implicit-def: $vgpr4
.LBB134_321:
	s_delay_alu instid0(SALU_CYCLE_1)
	s_and_b32 vcc_lo, exec_lo, s23
	s_cbranch_vccz .LBB134_323
; %bb.322:
	global_load_u8 v4, v[2:3], off
	s_wait_loadcnt 0x0
	v_lshlrev_b32_e32 v4, 24, v4
	s_delay_alu instid0(VALU_DEP_1) | instskip(NEXT) | instid1(VALU_DEP_1)
	v_and_b32_e32 v5, 0x7f000000, v4
	v_clz_i32_u32_e32 v6, v5
	v_cmp_ne_u32_e32 vcc_lo, 0, v5
	v_add_nc_u32_e32 v8, 0x1000000, v5
	s_delay_alu instid0(VALU_DEP_3) | instskip(NEXT) | instid1(VALU_DEP_1)
	v_min_u32_e32 v6, 32, v6
	v_sub_nc_u32_e64 v6, v6, 4 clamp
	s_delay_alu instid0(VALU_DEP_1) | instskip(NEXT) | instid1(VALU_DEP_1)
	v_dual_lshlrev_b32 v7, v6, v5 :: v_dual_lshlrev_b32 v6, 23, v6
	v_lshrrev_b32_e32 v7, 4, v7
	s_delay_alu instid0(VALU_DEP_1) | instskip(NEXT) | instid1(VALU_DEP_1)
	v_dual_sub_nc_u32 v6, v7, v6 :: v_dual_ashrrev_i32 v7, 8, v8
	v_add_nc_u32_e32 v6, 0x3c000000, v6
	s_delay_alu instid0(VALU_DEP_1) | instskip(NEXT) | instid1(VALU_DEP_1)
	v_and_or_b32 v6, 0x7f800000, v7, v6
	v_cndmask_b32_e32 v5, 0, v6, vcc_lo
	s_delay_alu instid0(VALU_DEP_1)
	v_and_or_b32 v4, 0x80000000, v4, v5
.LBB134_323:
	s_mov_b32 s23, 0
.LBB134_324:
	s_delay_alu instid0(SALU_CYCLE_1)
	s_and_not1_b32 vcc_lo, exec_lo, s23
	s_cbranch_vccnz .LBB134_326
; %bb.325:
	global_load_u8 v4, v[2:3], off
	s_wait_loadcnt 0x0
	v_lshlrev_b32_e32 v5, 25, v4
	v_lshlrev_b16 v4, 8, v4
	s_delay_alu instid0(VALU_DEP_1) | instskip(SKIP_1) | instid1(VALU_DEP_2)
	v_and_or_b32 v7, 0x7f00, v4, 0.5
	v_bfe_i32 v4, v4, 0, 16
	v_dual_add_f32 v7, -0.5, v7 :: v_dual_lshrrev_b32 v6, 4, v5
	v_cmp_gt_u32_e32 vcc_lo, 0x8000000, v5
	s_delay_alu instid0(VALU_DEP_2) | instskip(NEXT) | instid1(VALU_DEP_1)
	v_or_b32_e32 v6, 0x70000000, v6
	v_mul_f32_e32 v6, 0x7800000, v6
	s_delay_alu instid0(VALU_DEP_1) | instskip(NEXT) | instid1(VALU_DEP_1)
	v_cndmask_b32_e32 v5, v6, v7, vcc_lo
	v_and_or_b32 v4, 0x80000000, v4, v5
.LBB134_326:
	s_mov_b32 s24, 0
	s_mov_b32 s23, -1
.LBB134_327:
	s_and_not1_b32 vcc_lo, exec_lo, s24
	s_cbranch_vccnz .LBB134_340
; %bb.328:
	s_cmp_gt_i32 s18, 14
	s_cbranch_scc0 .LBB134_331
; %bb.329:
	s_cmp_eq_u32 s18, 15
	s_cbranch_scc0 .LBB134_334
; %bb.330:
	global_load_u16 v4, v[2:3], off
	s_mov_b32 s23, -1
	s_mov_b32 s19, 0
	s_wait_loadcnt 0x0
	v_lshlrev_b32_e32 v4, 16, v4
	s_branch .LBB134_335
.LBB134_331:
	s_mov_b32 s24, -1
                                        ; implicit-def: $vgpr4
	s_branch .LBB134_336
.LBB134_332:
	s_or_saveexec_b32 s24, s24
	v_mov_b32_e32 v4, 0x7f800001
	s_xor_b32 exec_lo, exec_lo, s24
	s_cbranch_execz .LBB134_313
.LBB134_333:
	v_cmp_ne_u16_e32 vcc_lo, 0, v5
	v_mov_b32_e32 v4, 0
	s_and_not1_b32 s23, s23, exec_lo
	s_and_b32 s25, vcc_lo, exec_lo
	s_delay_alu instid0(SALU_CYCLE_1)
	s_or_b32 s23, s23, s25
	s_or_b32 exec_lo, exec_lo, s24
	s_and_saveexec_b32 s24, s23
	s_cbranch_execnz .LBB134_314
	s_branch .LBB134_315
.LBB134_334:
	s_mov_b32 s19, -1
                                        ; implicit-def: $vgpr4
.LBB134_335:
	s_mov_b32 s24, 0
.LBB134_336:
	s_delay_alu instid0(SALU_CYCLE_1)
	s_and_b32 vcc_lo, exec_lo, s24
	s_cbranch_vccz .LBB134_340
; %bb.337:
	s_cmp_eq_u32 s18, 11
	s_cbranch_scc0 .LBB134_339
; %bb.338:
	global_load_u8 v4, v[2:3], off
	s_mov_b32 s19, 0
	s_mov_b32 s23, -1
	v_mov_b32_e32 v5, 0
	s_wait_loadcnt 0x0
	v_cmp_ne_u16_e32 vcc_lo, 0, v4
	v_cndmask_b32_e64 v4, 0, 1.0, vcc_lo
	s_branch .LBB134_341
.LBB134_339:
	s_mov_b32 s19, -1
                                        ; implicit-def: $vgpr4
.LBB134_340:
	v_mov_b32_e32 v5, 0
.LBB134_341:
	s_branch .LBB134_20
.LBB134_342:
	s_and_b32 s0, 0xffff, s0
	s_delay_alu instid0(SALU_CYCLE_1)
	s_cmp_lt_i32 s0, 5
	s_cbranch_scc1 .LBB134_347
; %bb.343:
	s_cmp_lt_i32 s0, 8
	s_cbranch_scc1 .LBB134_348
; %bb.344:
	;; [unrolled: 3-line block ×3, first 2 shown]
	s_cmp_gt_i32 s0, 9
	s_cbranch_scc0 .LBB134_350
; %bb.346:
	global_load_b128 v[4:7], v[2:3], off
	s_mov_b32 s18, 0
	s_wait_loadcnt 0x0
	v_cvt_f32_f64_e32 v4, v[4:5]
	v_cvt_f32_f64_e32 v5, v[6:7]
	s_branch .LBB134_351
.LBB134_347:
	s_mov_b32 s18, -1
                                        ; implicit-def: $vgpr5
	s_branch .LBB134_370
.LBB134_348:
	s_mov_b32 s18, -1
                                        ; implicit-def: $vgpr5
	s_branch .LBB134_357
.LBB134_349:
	s_mov_b32 s18, -1
                                        ; implicit-def: $vgpr5
	s_branch .LBB134_354
.LBB134_350:
	s_mov_b32 s18, -1
                                        ; implicit-def: $vgpr5
.LBB134_351:
	s_delay_alu instid0(SALU_CYCLE_1)
	s_and_not1_b32 vcc_lo, exec_lo, s18
	s_cbranch_vccnz .LBB134_353
; %bb.352:
	global_load_b64 v[4:5], v[2:3], off
.LBB134_353:
	s_mov_b32 s18, 0
.LBB134_354:
	s_delay_alu instid0(SALU_CYCLE_1)
	s_and_not1_b32 vcc_lo, exec_lo, s18
	s_cbranch_vccnz .LBB134_356
; %bb.355:
	s_wait_loadcnt 0x0
	global_load_b32 v4, v[2:3], off
	s_wait_loadcnt 0x0
	v_lshrrev_b32_e32 v5, 16, v4
	v_cvt_f32_f16_e32 v4, v4
	s_delay_alu instid0(VALU_DEP_2)
	v_cvt_f32_f16_e32 v5, v5
.LBB134_356:
	s_mov_b32 s18, 0
.LBB134_357:
	s_delay_alu instid0(SALU_CYCLE_1)
	s_and_not1_b32 vcc_lo, exec_lo, s18
	s_cbranch_vccnz .LBB134_369
; %bb.358:
	s_cmp_lt_i32 s0, 6
	s_cbranch_scc1 .LBB134_361
; %bb.359:
	s_cmp_gt_i32 s0, 6
	s_cbranch_scc0 .LBB134_362
; %bb.360:
	s_wait_loadcnt 0x0
	global_load_b64 v[4:5], v[2:3], off
	s_mov_b32 s18, 0
	s_wait_loadcnt 0x0
	v_cvt_f32_f64_e32 v4, v[4:5]
	s_branch .LBB134_363
.LBB134_361:
	s_mov_b32 s18, -1
                                        ; implicit-def: $vgpr4
	s_branch .LBB134_366
.LBB134_362:
	s_mov_b32 s18, -1
                                        ; implicit-def: $vgpr4
.LBB134_363:
	s_delay_alu instid0(SALU_CYCLE_1)
	s_and_not1_b32 vcc_lo, exec_lo, s18
	s_cbranch_vccnz .LBB134_365
; %bb.364:
	s_wait_loadcnt 0x0
	global_load_b32 v4, v[2:3], off
.LBB134_365:
	s_mov_b32 s18, 0
.LBB134_366:
	s_delay_alu instid0(SALU_CYCLE_1)
	s_and_not1_b32 vcc_lo, exec_lo, s18
	s_cbranch_vccnz .LBB134_368
; %bb.367:
	s_wait_loadcnt 0x0
	global_load_u16 v4, v[2:3], off
	s_wait_loadcnt 0x0
	v_cvt_f32_f16_e32 v4, v4
.LBB134_368:
	s_wait_loadcnt 0x0
	v_mov_b32_e32 v5, 0
.LBB134_369:
	s_mov_b32 s18, 0
.LBB134_370:
	s_delay_alu instid0(SALU_CYCLE_1)
	s_and_not1_b32 vcc_lo, exec_lo, s18
	s_cbranch_vccnz .LBB134_391
; %bb.371:
	s_cmp_lt_i32 s0, 2
	s_cbranch_scc1 .LBB134_375
; %bb.372:
	s_cmp_lt_i32 s0, 3
	s_cbranch_scc1 .LBB134_376
; %bb.373:
	s_cmp_gt_i32 s0, 3
	s_cbranch_scc0 .LBB134_377
; %bb.374:
	s_wait_loadcnt 0x0
	global_load_b64 v[4:5], v[2:3], off
	s_mov_b32 s18, 0
	s_wait_loadcnt 0x0
	v_xor_b32_e32 v6, v4, v5
	v_cls_i32_e32 v7, v5
	s_delay_alu instid0(VALU_DEP_2) | instskip(NEXT) | instid1(VALU_DEP_1)
	v_ashrrev_i32_e32 v6, 31, v6
	v_add_nc_u32_e32 v6, 32, v6
	s_delay_alu instid0(VALU_DEP_1) | instskip(NEXT) | instid1(VALU_DEP_1)
	v_add_min_u32_e64 v6, v7, -1, v6
	v_lshlrev_b64_e32 v[4:5], v6, v[4:5]
	s_delay_alu instid0(VALU_DEP_1) | instskip(NEXT) | instid1(VALU_DEP_1)
	v_min_u32_e32 v4, 1, v4
	v_dual_sub_nc_u32 v5, 32, v6 :: v_dual_bitop2_b32 v4, v5, v4 bitop3:0x54
	s_delay_alu instid0(VALU_DEP_1) | instskip(NEXT) | instid1(VALU_DEP_1)
	v_cvt_f32_i32_e32 v4, v4
	v_ldexp_f32 v4, v4, v5
	s_branch .LBB134_378
.LBB134_375:
	s_mov_b32 s18, -1
                                        ; implicit-def: $vgpr4
	s_branch .LBB134_384
.LBB134_376:
	s_mov_b32 s18, -1
                                        ; implicit-def: $vgpr4
	s_branch .LBB134_381
.LBB134_377:
	s_mov_b32 s18, -1
                                        ; implicit-def: $vgpr4
.LBB134_378:
	s_delay_alu instid0(SALU_CYCLE_1)
	s_and_not1_b32 vcc_lo, exec_lo, s18
	s_cbranch_vccnz .LBB134_380
; %bb.379:
	s_wait_loadcnt 0x0
	global_load_b32 v4, v[2:3], off
	s_wait_loadcnt 0x0
	v_cvt_f32_i32_e32 v4, v4
.LBB134_380:
	s_mov_b32 s18, 0
.LBB134_381:
	s_delay_alu instid0(SALU_CYCLE_1)
	s_and_not1_b32 vcc_lo, exec_lo, s18
	s_cbranch_vccnz .LBB134_383
; %bb.382:
	s_wait_loadcnt 0x0
	global_load_i16 v4, v[2:3], off
	s_wait_loadcnt 0x0
	v_cvt_f32_i32_e32 v4, v4
.LBB134_383:
	s_mov_b32 s18, 0
.LBB134_384:
	s_delay_alu instid0(SALU_CYCLE_1)
	s_and_not1_b32 vcc_lo, exec_lo, s18
	s_cbranch_vccnz .LBB134_390
; %bb.385:
	s_cmp_gt_i32 s0, 0
	s_mov_b32 s0, 0
	s_cbranch_scc0 .LBB134_387
; %bb.386:
	s_wait_loadcnt 0x0
	global_load_i8 v4, v[2:3], off
	s_wait_loadcnt 0x0
	v_cvt_f32_i32_e32 v4, v4
	s_branch .LBB134_388
.LBB134_387:
	s_mov_b32 s0, -1
                                        ; implicit-def: $vgpr4
.LBB134_388:
	s_delay_alu instid0(SALU_CYCLE_1)
	s_and_not1_b32 vcc_lo, exec_lo, s0
	s_cbranch_vccnz .LBB134_390
; %bb.389:
	global_load_u8 v2, v[2:3], off
	s_wait_loadcnt 0x0
	v_cvt_f32_ubyte0_e32 v4, v2
.LBB134_390:
	s_wait_loadcnt 0x0
	v_mov_b32_e32 v5, 0
.LBB134_391:
	s_branch .LBB134_21
.LBB134_392:
	s_mov_b32 s0, 0
.LBB134_393:
	s_mov_b32 s23, 0
                                        ; implicit-def: $vgpr10
.LBB134_394:
	s_and_b32 s18, s0, exec_lo
	s_and_b32 s19, s19, exec_lo
	;; [unrolled: 1-line block ×3, first 2 shown]
	s_or_not1_b32 s25, s23, exec_lo
.LBB134_395:
	s_wait_xcnt 0x0
	s_or_b32 exec_lo, exec_lo, s21
	s_mov_b32 s24, 0
	s_mov_b32 s23, 0
                                        ; implicit-def: $sgpr0
                                        ; implicit-def: $vgpr2_vgpr3
                                        ; implicit-def: $vgpr1
	s_and_saveexec_b32 s21, s25
	s_cbranch_execz .LBB134_404
; %bb.396:
	s_mov_b32 s27, -1
	s_mov_b32 s22, s20
	s_mov_b32 s24, s19
	;; [unrolled: 1-line block ×3, first 2 shown]
	s_mov_b32 s25, exec_lo
	v_cmpx_gt_i32_e64 s17, v10
	s_cbranch_execz .LBB134_803
; %bb.397:
	s_wait_loadcnt 0x0
	v_mul_lo_u32 v0, v10, s9
	s_and_b32 s0, s14, 0xff
	s_delay_alu instid0(SALU_CYCLE_1) | instskip(NEXT) | instid1(VALU_DEP_1)
	s_cmp_lt_i32 s0, 11
	v_ashrrev_i32_e32 v1, 31, v0
	s_delay_alu instid0(VALU_DEP_1)
	v_add_nc_u64_e32 v[2:3], s[6:7], v[0:1]
	s_cbranch_scc1 .LBB134_407
; %bb.398:
	s_and_b32 s23, 0xffff, s0
	s_delay_alu instid0(SALU_CYCLE_1)
	s_cmp_gt_i32 s23, 25
	s_cbranch_scc0 .LBB134_416
; %bb.399:
	s_cmp_gt_i32 s23, 28
	s_cbranch_scc0 .LBB134_418
; %bb.400:
	;; [unrolled: 3-line block ×4, first 2 shown]
	s_cmp_eq_u32 s23, 46
	s_mov_b32 s26, 0
	s_cbranch_scc0 .LBB134_426
; %bb.403:
	global_load_b32 v0, v[2:3], off
	s_mov_b32 s24, -1
	s_mov_b32 s22, 0
	s_wait_loadcnt 0x0
	v_and_b32_e32 v1, 0xffff0000, v0
	v_lshlrev_b32_e32 v0, 16, v0
	s_branch .LBB134_428
.LBB134_404:
	s_or_b32 exec_lo, exec_lo, s21
	s_mov_b32 s17, 0
	s_and_saveexec_b32 s21, s20
	s_cbranch_execnz .LBB134_1297
.LBB134_405:
	s_or_b32 exec_lo, exec_lo, s21
	s_and_saveexec_b32 s20, s22
	s_delay_alu instid0(SALU_CYCLE_1)
	s_xor_b32 s20, exec_lo, s20
	s_cbranch_execz .LBB134_1298
.LBB134_406:
	s_wait_loadcnt 0x0
	global_load_u8 v0, v[2:3], off
	v_mov_b32_e32 v1, 0
	s_or_b32 s23, s23, exec_lo
	s_wait_loadcnt 0x0
	v_cmp_ne_u16_e32 vcc_lo, 0, v0
	v_cndmask_b32_e64 v0, 0, 1.0, vcc_lo
	s_wait_xcnt 0x0
	s_or_b32 exec_lo, exec_lo, s20
	s_and_saveexec_b32 s20, s24
	s_cbranch_execz .LBB134_1346
	s_branch .LBB134_1299
.LBB134_407:
	s_mov_b32 s24, 0
	s_mov_b32 s22, s20
                                        ; implicit-def: $vgpr1
	s_cbranch_execnz .LBB134_497
.LBB134_408:
	s_and_not1_b32 vcc_lo, exec_lo, s24
	s_cbranch_vccnz .LBB134_547
.LBB134_409:
	s_wait_xcnt 0x0
	v_mul_lo_u32 v2, v10, s10
	s_and_b32 s0, s1, 0xff
	s_delay_alu instid0(SALU_CYCLE_1) | instskip(NEXT) | instid1(VALU_DEP_1)
	s_cmp_lt_i32 s0, 11
	v_ashrrev_i32_e32 v3, 31, v2
	s_delay_alu instid0(VALU_DEP_1)
	v_add_nc_u64_e32 v[2:3], s[2:3], v[2:3]
	s_cbranch_scc1 .LBB134_417
; %bb.410:
	s_and_b32 s23, 0xffff, s0
	s_delay_alu instid0(SALU_CYCLE_1)
	s_cmp_gt_i32 s23, 25
	s_cbranch_scc0 .LBB134_419
; %bb.411:
	s_cmp_gt_i32 s23, 28
	s_cbranch_scc0 .LBB134_421
; %bb.412:
	;; [unrolled: 3-line block ×4, first 2 shown]
	s_cmp_eq_u32 s23, 46
	s_mov_b32 s27, 0
	s_cbranch_scc0 .LBB134_550
; %bb.415:
	global_load_b32 v4, v[2:3], off
	s_mov_b32 s26, -1
	s_mov_b32 s24, 0
	s_wait_loadcnt 0x0
	v_and_b32_e32 v5, 0xffff0000, v4
	v_lshlrev_b32_e32 v4, 16, v4
	s_branch .LBB134_552
.LBB134_416:
	s_mov_b32 s26, -1
	s_mov_b32 s24, 0
	s_mov_b32 s22, s20
                                        ; implicit-def: $vgpr1
	s_branch .LBB134_460
.LBB134_417:
	s_mov_b32 s23, -1
	s_mov_b32 s26, 0
	s_mov_b32 s24, s19
                                        ; implicit-def: $vgpr5
	s_branch .LBB134_620
.LBB134_418:
	s_mov_b32 s26, -1
	s_mov_b32 s24, 0
	s_mov_b32 s22, s20
                                        ; implicit-def: $vgpr1
	s_branch .LBB134_441
.LBB134_419:
	s_mov_b32 s27, -1
	s_mov_b32 s26, 0
	s_mov_b32 s24, s19
                                        ; implicit-def: $vgpr5
	s_branch .LBB134_583
.LBB134_420:
	s_mov_b32 s26, -1
	s_mov_b32 s24, 0
	s_mov_b32 s22, s20
                                        ; implicit-def: $vgpr1
	s_branch .LBB134_435
.LBB134_421:
	s_mov_b32 s27, -1
	s_mov_b32 s26, 0
	s_mov_b32 s24, s19
                                        ; implicit-def: $vgpr5
	s_branch .LBB134_564
.LBB134_422:
	s_mov_b32 s26, -1
	s_mov_b32 s24, 0
	s_mov_b32 s22, s20
	s_branch .LBB134_427
.LBB134_423:
	s_mov_b32 s27, -1
	s_mov_b32 s26, 0
	s_mov_b32 s24, s19
                                        ; implicit-def: $vgpr5
	s_branch .LBB134_558
.LBB134_424:
	s_and_not1_saveexec_b32 s27, s27
	s_cbranch_execz .LBB134_188
.LBB134_425:
	v_add_f32_e32 v2, 0x46000000, v3
	s_and_not1_b32 s26, s26, exec_lo
	s_delay_alu instid0(VALU_DEP_1) | instskip(NEXT) | instid1(VALU_DEP_1)
	v_and_b32_e32 v2, 0xff, v2
	v_cmp_ne_u32_e32 vcc_lo, 0, v2
	s_and_b32 s28, vcc_lo, exec_lo
	s_delay_alu instid0(SALU_CYCLE_1)
	s_or_b32 s26, s26, s28
	s_or_b32 exec_lo, exec_lo, s27
	v_mov_b32_e32 v4, 0
	s_and_saveexec_b32 s27, s26
	s_cbranch_execnz .LBB134_189
	s_branch .LBB134_190
.LBB134_426:
	s_mov_b32 s22, -1
	s_mov_b32 s24, 0
.LBB134_427:
                                        ; implicit-def: $vgpr1
.LBB134_428:
	s_and_b32 vcc_lo, exec_lo, s26
	s_cbranch_vccz .LBB134_434
; %bb.429:
	s_cmp_eq_u32 s23, 44
	s_cbranch_scc0 .LBB134_432
; %bb.430:
	global_load_u8 v0, v[2:3], off
	s_mov_b32 s22, 0
	s_mov_b32 s24, -1
	s_wait_loadcnt 0x0
	v_lshlrev_b32_e32 v1, 23, v0
	v_cmp_ne_u32_e32 vcc_lo, 0xff, v0
	s_delay_alu instid0(VALU_DEP_2) | instskip(SKIP_1) | instid1(VALU_DEP_2)
	v_cndmask_b32_e32 v1, 0x7f800001, v1, vcc_lo
	v_cmp_ne_u32_e32 vcc_lo, 0, v0
	v_cndmask_b32_e32 v0, 0x400000, v1, vcc_lo
	s_branch .LBB134_433
.LBB134_431:
	s_mov_b32 s27, -1
	s_mov_b32 s26, 0
	s_mov_b32 s24, s19
	s_branch .LBB134_551
.LBB134_432:
	s_mov_b32 s22, -1
                                        ; implicit-def: $vgpr0
.LBB134_433:
	v_mov_b32_e32 v1, 0
.LBB134_434:
	s_mov_b32 s26, 0
.LBB134_435:
	s_delay_alu instid0(SALU_CYCLE_1)
	s_and_b32 vcc_lo, exec_lo, s26
	s_cbranch_vccz .LBB134_440
; %bb.436:
	s_cmp_eq_u32 s23, 29
	s_cbranch_scc0 .LBB134_438
; %bb.437:
	global_load_b64 v[0:1], v[2:3], off
	s_mov_b32 s24, -1
	s_mov_b32 s22, 0
	s_wait_loadcnt 0x0
	v_clz_i32_u32_e32 v4, v1
	s_delay_alu instid0(VALU_DEP_1) | instskip(NEXT) | instid1(VALU_DEP_1)
	v_min_u32_e32 v4, 32, v4
	v_lshlrev_b64_e32 v[0:1], v4, v[0:1]
	s_delay_alu instid0(VALU_DEP_1) | instskip(NEXT) | instid1(VALU_DEP_1)
	v_min_u32_e32 v0, 1, v0
	v_or_b32_e32 v0, v1, v0
	v_sub_nc_u32_e32 v1, 32, v4
	s_delay_alu instid0(VALU_DEP_2) | instskip(NEXT) | instid1(VALU_DEP_1)
	v_cvt_f32_u32_e32 v0, v0
	v_ldexp_f32 v0, v0, v1
	s_branch .LBB134_439
.LBB134_438:
	s_mov_b32 s22, -1
                                        ; implicit-def: $vgpr0
.LBB134_439:
	v_mov_b32_e32 v1, 0
.LBB134_440:
	s_mov_b32 s26, 0
.LBB134_441:
	s_delay_alu instid0(SALU_CYCLE_1)
	s_and_b32 vcc_lo, exec_lo, s26
	s_cbranch_vccz .LBB134_459
; %bb.442:
	s_cmp_lt_i32 s23, 27
	s_cbranch_scc1 .LBB134_445
; %bb.443:
	s_cmp_gt_i32 s23, 27
	s_cbranch_scc0 .LBB134_446
; %bb.444:
	global_load_b32 v0, v[2:3], off
	s_mov_b32 s24, 0
	s_wait_loadcnt 0x0
	v_cvt_f32_u32_e32 v0, v0
	s_branch .LBB134_447
.LBB134_445:
	s_mov_b32 s24, -1
                                        ; implicit-def: $vgpr0
	s_branch .LBB134_450
.LBB134_446:
	s_mov_b32 s24, -1
                                        ; implicit-def: $vgpr0
.LBB134_447:
	s_delay_alu instid0(SALU_CYCLE_1)
	s_and_not1_b32 vcc_lo, exec_lo, s24
	s_cbranch_vccnz .LBB134_449
; %bb.448:
	global_load_u16 v0, v[2:3], off
	s_wait_loadcnt 0x0
	v_cvt_f32_u32_e32 v0, v0
.LBB134_449:
	s_mov_b32 s24, 0
.LBB134_450:
	s_delay_alu instid0(SALU_CYCLE_1)
	s_and_not1_b32 vcc_lo, exec_lo, s24
	s_cbranch_vccnz .LBB134_458
; %bb.451:
	global_load_u8 v1, v[2:3], off
	s_mov_b32 s24, 0
	s_mov_b32 s26, exec_lo
	s_wait_loadcnt 0x0
	v_cmpx_lt_i16_e32 0x7f, v1
	s_xor_b32 s26, exec_lo, s26
	s_cbranch_execz .LBB134_472
; %bb.452:
	s_mov_b32 s24, -1
	s_mov_b32 s27, exec_lo
	v_cmpx_eq_u16_e32 0x80, v1
; %bb.453:
	s_xor_b32 s24, exec_lo, -1
; %bb.454:
	s_or_b32 exec_lo, exec_lo, s27
	s_delay_alu instid0(SALU_CYCLE_1)
	s_and_b32 s24, s24, exec_lo
	s_or_saveexec_b32 s26, s26
	v_mov_b32_e32 v0, 0x7f800001
	s_xor_b32 exec_lo, exec_lo, s26
	s_cbranch_execnz .LBB134_473
.LBB134_455:
	s_or_b32 exec_lo, exec_lo, s26
	s_and_saveexec_b32 s26, s24
	s_cbranch_execz .LBB134_457
.LBB134_456:
	v_and_b32_e32 v0, 0xffff, v1
	s_delay_alu instid0(VALU_DEP_1) | instskip(SKIP_1) | instid1(VALU_DEP_2)
	v_and_b32_e32 v4, 7, v0
	v_bfe_u32 v7, v0, 3, 4
	v_clz_i32_u32_e32 v5, v4
	s_delay_alu instid0(VALU_DEP_2) | instskip(NEXT) | instid1(VALU_DEP_2)
	v_cmp_eq_u32_e32 vcc_lo, 0, v7
	v_min_u32_e32 v5, 32, v5
	s_delay_alu instid0(VALU_DEP_1) | instskip(NEXT) | instid1(VALU_DEP_1)
	v_subrev_nc_u32_e32 v6, 28, v5
	v_dual_lshlrev_b32 v0, v6, v0 :: v_dual_sub_nc_u32 v5, 29, v5
	s_delay_alu instid0(VALU_DEP_1) | instskip(NEXT) | instid1(VALU_DEP_1)
	v_dual_lshlrev_b32 v1, 24, v1 :: v_dual_bitop2_b32 v0, 7, v0 bitop3:0x40
	v_dual_cndmask_b32 v0, v4, v0 :: v_dual_cndmask_b32 v5, v7, v5
	s_delay_alu instid0(VALU_DEP_2) | instskip(NEXT) | instid1(VALU_DEP_2)
	v_and_b32_e32 v1, 0x80000000, v1
	v_lshlrev_b32_e32 v0, 20, v0
	s_delay_alu instid0(VALU_DEP_3) | instskip(NEXT) | instid1(VALU_DEP_1)
	v_lshl_add_u32 v4, v5, 23, 0x3b800000
	v_or3_b32 v0, v1, v4, v0
.LBB134_457:
	s_or_b32 exec_lo, exec_lo, s26
.LBB134_458:
	v_mov_b32_e32 v1, 0
	s_mov_b32 s24, -1
.LBB134_459:
	s_mov_b32 s26, 0
.LBB134_460:
	s_delay_alu instid0(SALU_CYCLE_1)
	s_and_b32 vcc_lo, exec_lo, s26
	s_cbranch_vccz .LBB134_496
; %bb.461:
	s_cmp_gt_i32 s23, 22
	s_cbranch_scc0 .LBB134_471
; %bb.462:
	s_cmp_lt_i32 s23, 24
	s_cbranch_scc1 .LBB134_474
; %bb.463:
	s_cmp_gt_i32 s23, 24
	s_cbranch_scc0 .LBB134_475
; %bb.464:
	global_load_u8 v1, v[2:3], off
	s_mov_b32 s24, 0
	s_mov_b32 s26, exec_lo
	s_wait_loadcnt 0x0
	v_cmpx_lt_i16_e32 0x7f, v1
	s_xor_b32 s26, exec_lo, s26
	s_cbranch_execz .LBB134_487
; %bb.465:
	s_mov_b32 s24, -1
	s_mov_b32 s27, exec_lo
	v_cmpx_eq_u16_e32 0x80, v1
; %bb.466:
	s_xor_b32 s24, exec_lo, -1
; %bb.467:
	s_or_b32 exec_lo, exec_lo, s27
	s_delay_alu instid0(SALU_CYCLE_1)
	s_and_b32 s24, s24, exec_lo
	s_or_saveexec_b32 s26, s26
	v_mov_b32_e32 v0, 0x7f800001
	s_xor_b32 exec_lo, exec_lo, s26
	s_cbranch_execnz .LBB134_488
.LBB134_468:
	s_or_b32 exec_lo, exec_lo, s26
	s_and_saveexec_b32 s26, s24
	s_cbranch_execz .LBB134_470
.LBB134_469:
	v_and_b32_e32 v0, 0xffff, v1
	s_delay_alu instid0(VALU_DEP_1) | instskip(SKIP_1) | instid1(VALU_DEP_2)
	v_and_b32_e32 v4, 3, v0
	v_bfe_u32 v7, v0, 2, 5
	v_clz_i32_u32_e32 v5, v4
	s_delay_alu instid0(VALU_DEP_2) | instskip(NEXT) | instid1(VALU_DEP_2)
	v_cmp_eq_u32_e32 vcc_lo, 0, v7
	v_min_u32_e32 v5, 32, v5
	s_delay_alu instid0(VALU_DEP_1) | instskip(NEXT) | instid1(VALU_DEP_1)
	v_subrev_nc_u32_e32 v6, 29, v5
	v_dual_lshlrev_b32 v0, v6, v0 :: v_dual_sub_nc_u32 v5, 30, v5
	s_delay_alu instid0(VALU_DEP_1) | instskip(NEXT) | instid1(VALU_DEP_1)
	v_dual_lshlrev_b32 v1, 24, v1 :: v_dual_bitop2_b32 v0, 3, v0 bitop3:0x40
	v_dual_cndmask_b32 v0, v4, v0 :: v_dual_cndmask_b32 v5, v7, v5
	s_delay_alu instid0(VALU_DEP_2) | instskip(NEXT) | instid1(VALU_DEP_2)
	v_and_b32_e32 v1, 0x80000000, v1
	v_lshlrev_b32_e32 v0, 21, v0
	s_delay_alu instid0(VALU_DEP_3) | instskip(NEXT) | instid1(VALU_DEP_1)
	v_lshl_add_u32 v4, v5, 23, 0x37800000
	v_or3_b32 v0, v1, v4, v0
.LBB134_470:
	s_or_b32 exec_lo, exec_lo, s26
	s_mov_b32 s24, 0
	s_branch .LBB134_476
.LBB134_471:
	s_mov_b32 s26, -1
                                        ; implicit-def: $vgpr0
	s_branch .LBB134_482
.LBB134_472:
	s_or_saveexec_b32 s26, s26
	v_mov_b32_e32 v0, 0x7f800001
	s_xor_b32 exec_lo, exec_lo, s26
	s_cbranch_execz .LBB134_455
.LBB134_473:
	v_cmp_ne_u16_e32 vcc_lo, 0, v1
	v_mov_b32_e32 v0, 0
	s_and_not1_b32 s24, s24, exec_lo
	s_and_b32 s27, vcc_lo, exec_lo
	s_delay_alu instid0(SALU_CYCLE_1)
	s_or_b32 s24, s24, s27
	s_or_b32 exec_lo, exec_lo, s26
	s_and_saveexec_b32 s26, s24
	s_cbranch_execnz .LBB134_456
	s_branch .LBB134_457
.LBB134_474:
	s_mov_b32 s24, -1
                                        ; implicit-def: $vgpr0
	s_branch .LBB134_479
.LBB134_475:
	s_mov_b32 s24, -1
                                        ; implicit-def: $vgpr0
.LBB134_476:
	s_delay_alu instid0(SALU_CYCLE_1)
	s_and_b32 vcc_lo, exec_lo, s24
	s_cbranch_vccz .LBB134_478
; %bb.477:
	global_load_u8 v0, v[2:3], off
	s_wait_loadcnt 0x0
	v_lshlrev_b32_e32 v0, 24, v0
	s_delay_alu instid0(VALU_DEP_1) | instskip(NEXT) | instid1(VALU_DEP_1)
	v_and_b32_e32 v1, 0x7f000000, v0
	v_clz_i32_u32_e32 v4, v1
	v_cmp_ne_u32_e32 vcc_lo, 0, v1
	v_add_nc_u32_e32 v6, 0x1000000, v1
	s_delay_alu instid0(VALU_DEP_3) | instskip(NEXT) | instid1(VALU_DEP_1)
	v_min_u32_e32 v4, 32, v4
	v_sub_nc_u32_e64 v4, v4, 4 clamp
	s_delay_alu instid0(VALU_DEP_1) | instskip(NEXT) | instid1(VALU_DEP_1)
	v_dual_lshlrev_b32 v5, v4, v1 :: v_dual_lshlrev_b32 v4, 23, v4
	v_lshrrev_b32_e32 v5, 4, v5
	s_delay_alu instid0(VALU_DEP_1) | instskip(NEXT) | instid1(VALU_DEP_1)
	v_dual_sub_nc_u32 v4, v5, v4 :: v_dual_ashrrev_i32 v5, 8, v6
	v_add_nc_u32_e32 v4, 0x3c000000, v4
	s_delay_alu instid0(VALU_DEP_1) | instskip(NEXT) | instid1(VALU_DEP_1)
	v_and_or_b32 v4, 0x7f800000, v5, v4
	v_cndmask_b32_e32 v1, 0, v4, vcc_lo
	s_delay_alu instid0(VALU_DEP_1)
	v_and_or_b32 v0, 0x80000000, v0, v1
.LBB134_478:
	s_mov_b32 s24, 0
.LBB134_479:
	s_delay_alu instid0(SALU_CYCLE_1)
	s_and_not1_b32 vcc_lo, exec_lo, s24
	s_cbranch_vccnz .LBB134_481
; %bb.480:
	global_load_u8 v0, v[2:3], off
	s_wait_loadcnt 0x0
	v_lshlrev_b32_e32 v1, 25, v0
	v_lshlrev_b16 v0, 8, v0
	s_delay_alu instid0(VALU_DEP_1) | instskip(SKIP_1) | instid1(VALU_DEP_2)
	v_and_or_b32 v5, 0x7f00, v0, 0.5
	v_bfe_i32 v0, v0, 0, 16
	v_add_f32_e32 v5, -0.5, v5
	v_lshrrev_b32_e32 v4, 4, v1
	v_cmp_gt_u32_e32 vcc_lo, 0x8000000, v1
	s_delay_alu instid0(VALU_DEP_2) | instskip(NEXT) | instid1(VALU_DEP_1)
	v_or_b32_e32 v4, 0x70000000, v4
	v_mul_f32_e32 v4, 0x7800000, v4
	s_delay_alu instid0(VALU_DEP_1) | instskip(NEXT) | instid1(VALU_DEP_1)
	v_cndmask_b32_e32 v1, v4, v5, vcc_lo
	v_and_or_b32 v0, 0x80000000, v0, v1
.LBB134_481:
	s_mov_b32 s26, 0
	s_mov_b32 s24, -1
.LBB134_482:
	s_and_not1_b32 vcc_lo, exec_lo, s26
	s_cbranch_vccnz .LBB134_495
; %bb.483:
	s_cmp_gt_i32 s23, 14
	s_cbranch_scc0 .LBB134_486
; %bb.484:
	s_cmp_eq_u32 s23, 15
	s_cbranch_scc0 .LBB134_489
; %bb.485:
	global_load_u16 v0, v[2:3], off
	s_mov_b32 s24, -1
	s_mov_b32 s22, 0
	s_wait_loadcnt 0x0
	v_lshlrev_b32_e32 v0, 16, v0
	s_branch .LBB134_490
.LBB134_486:
	s_mov_b32 s26, -1
                                        ; implicit-def: $vgpr0
	s_branch .LBB134_491
.LBB134_487:
	s_or_saveexec_b32 s26, s26
	v_mov_b32_e32 v0, 0x7f800001
	s_xor_b32 exec_lo, exec_lo, s26
	s_cbranch_execz .LBB134_468
.LBB134_488:
	v_cmp_ne_u16_e32 vcc_lo, 0, v1
	v_mov_b32_e32 v0, 0
	s_and_not1_b32 s24, s24, exec_lo
	s_and_b32 s27, vcc_lo, exec_lo
	s_delay_alu instid0(SALU_CYCLE_1)
	s_or_b32 s24, s24, s27
	s_or_b32 exec_lo, exec_lo, s26
	s_and_saveexec_b32 s26, s24
	s_cbranch_execnz .LBB134_469
	s_branch .LBB134_470
.LBB134_489:
	s_mov_b32 s22, -1
                                        ; implicit-def: $vgpr0
.LBB134_490:
	s_mov_b32 s26, 0
.LBB134_491:
	s_delay_alu instid0(SALU_CYCLE_1)
	s_and_b32 vcc_lo, exec_lo, s26
	s_cbranch_vccz .LBB134_495
; %bb.492:
	s_cmp_eq_u32 s23, 11
	s_cbranch_scc0 .LBB134_494
; %bb.493:
	global_load_u8 v0, v[2:3], off
	s_mov_b32 s22, 0
	s_mov_b32 s24, -1
	v_mov_b32_e32 v1, 0
	s_wait_loadcnt 0x0
	v_cmp_ne_u16_e32 vcc_lo, 0, v0
	v_cndmask_b32_e64 v0, 0, 1.0, vcc_lo
	s_branch .LBB134_496
.LBB134_494:
	s_mov_b32 s22, -1
                                        ; implicit-def: $vgpr0
.LBB134_495:
	v_mov_b32_e32 v1, 0
.LBB134_496:
	s_branch .LBB134_408
.LBB134_497:
	s_and_b32 s0, 0xffff, s0
	s_delay_alu instid0(SALU_CYCLE_1)
	s_cmp_lt_i32 s0, 5
	s_cbranch_scc1 .LBB134_502
; %bb.498:
	s_cmp_lt_i32 s0, 8
	s_cbranch_scc1 .LBB134_503
; %bb.499:
	;; [unrolled: 3-line block ×3, first 2 shown]
	s_cmp_gt_i32 s0, 9
	s_cbranch_scc0 .LBB134_505
; %bb.501:
	global_load_b128 v[4:7], v[2:3], off
	s_mov_b32 s23, 0
	s_wait_loadcnt 0x0
	v_cvt_f32_f64_e32 v0, v[4:5]
	v_cvt_f32_f64_e32 v1, v[6:7]
	s_branch .LBB134_506
.LBB134_502:
	s_mov_b32 s23, -1
                                        ; implicit-def: $vgpr1
	s_branch .LBB134_525
.LBB134_503:
	s_mov_b32 s23, -1
                                        ; implicit-def: $vgpr1
	s_branch .LBB134_512
.LBB134_504:
	s_mov_b32 s23, -1
                                        ; implicit-def: $vgpr1
	s_branch .LBB134_509
.LBB134_505:
	s_mov_b32 s23, -1
                                        ; implicit-def: $vgpr1
.LBB134_506:
	s_delay_alu instid0(SALU_CYCLE_1)
	s_and_not1_b32 vcc_lo, exec_lo, s23
	s_cbranch_vccnz .LBB134_508
; %bb.507:
	global_load_b64 v[0:1], v[2:3], off
.LBB134_508:
	s_mov_b32 s23, 0
.LBB134_509:
	s_delay_alu instid0(SALU_CYCLE_1)
	s_and_not1_b32 vcc_lo, exec_lo, s23
	s_cbranch_vccnz .LBB134_511
; %bb.510:
	s_wait_loadcnt 0x0
	global_load_b32 v0, v[2:3], off
	s_wait_loadcnt 0x0
	v_lshrrev_b32_e32 v1, 16, v0
	v_cvt_f32_f16_e32 v0, v0
	s_delay_alu instid0(VALU_DEP_2)
	v_cvt_f32_f16_e32 v1, v1
.LBB134_511:
	s_mov_b32 s23, 0
.LBB134_512:
	s_delay_alu instid0(SALU_CYCLE_1)
	s_and_not1_b32 vcc_lo, exec_lo, s23
	s_cbranch_vccnz .LBB134_524
; %bb.513:
	s_cmp_lt_i32 s0, 6
	s_cbranch_scc1 .LBB134_516
; %bb.514:
	s_cmp_gt_i32 s0, 6
	s_cbranch_scc0 .LBB134_517
; %bb.515:
	s_wait_loadcnt 0x0
	global_load_b64 v[0:1], v[2:3], off
	s_mov_b32 s23, 0
	s_wait_loadcnt 0x0
	v_cvt_f32_f64_e32 v0, v[0:1]
	s_branch .LBB134_518
.LBB134_516:
	s_mov_b32 s23, -1
                                        ; implicit-def: $vgpr0
	s_branch .LBB134_521
.LBB134_517:
	s_mov_b32 s23, -1
                                        ; implicit-def: $vgpr0
.LBB134_518:
	s_delay_alu instid0(SALU_CYCLE_1)
	s_and_not1_b32 vcc_lo, exec_lo, s23
	s_cbranch_vccnz .LBB134_520
; %bb.519:
	s_wait_loadcnt 0x0
	global_load_b32 v0, v[2:3], off
.LBB134_520:
	s_mov_b32 s23, 0
.LBB134_521:
	s_delay_alu instid0(SALU_CYCLE_1)
	s_and_not1_b32 vcc_lo, exec_lo, s23
	s_cbranch_vccnz .LBB134_523
; %bb.522:
	s_wait_loadcnt 0x0
	global_load_u16 v0, v[2:3], off
	s_wait_loadcnt 0x0
	v_cvt_f32_f16_e32 v0, v0
.LBB134_523:
	s_wait_loadcnt 0x0
	v_mov_b32_e32 v1, 0
.LBB134_524:
	s_mov_b32 s23, 0
.LBB134_525:
	s_delay_alu instid0(SALU_CYCLE_1)
	s_and_not1_b32 vcc_lo, exec_lo, s23
	s_cbranch_vccnz .LBB134_546
; %bb.526:
	s_cmp_lt_i32 s0, 2
	s_cbranch_scc1 .LBB134_530
; %bb.527:
	s_cmp_lt_i32 s0, 3
	s_cbranch_scc1 .LBB134_531
; %bb.528:
	s_cmp_gt_i32 s0, 3
	s_cbranch_scc0 .LBB134_532
; %bb.529:
	s_wait_loadcnt 0x0
	global_load_b64 v[0:1], v[2:3], off
	s_mov_b32 s23, 0
	s_wait_loadcnt 0x0
	v_xor_b32_e32 v4, v0, v1
	v_cls_i32_e32 v5, v1
	s_delay_alu instid0(VALU_DEP_2) | instskip(NEXT) | instid1(VALU_DEP_1)
	v_ashrrev_i32_e32 v4, 31, v4
	v_add_nc_u32_e32 v4, 32, v4
	s_delay_alu instid0(VALU_DEP_1) | instskip(NEXT) | instid1(VALU_DEP_1)
	v_add_min_u32_e64 v4, v5, -1, v4
	v_lshlrev_b64_e32 v[0:1], v4, v[0:1]
	s_delay_alu instid0(VALU_DEP_1) | instskip(NEXT) | instid1(VALU_DEP_1)
	v_min_u32_e32 v0, 1, v0
	v_or_b32_e32 v0, v1, v0
	v_sub_nc_u32_e32 v1, 32, v4
	s_delay_alu instid0(VALU_DEP_2) | instskip(NEXT) | instid1(VALU_DEP_1)
	v_cvt_f32_i32_e32 v0, v0
	v_ldexp_f32 v0, v0, v1
	s_branch .LBB134_533
.LBB134_530:
	s_mov_b32 s23, -1
                                        ; implicit-def: $vgpr0
	s_branch .LBB134_539
.LBB134_531:
	s_mov_b32 s23, -1
                                        ; implicit-def: $vgpr0
	s_branch .LBB134_536
.LBB134_532:
	s_mov_b32 s23, -1
                                        ; implicit-def: $vgpr0
.LBB134_533:
	s_delay_alu instid0(SALU_CYCLE_1)
	s_and_not1_b32 vcc_lo, exec_lo, s23
	s_cbranch_vccnz .LBB134_535
; %bb.534:
	s_wait_loadcnt 0x0
	global_load_b32 v0, v[2:3], off
	s_wait_loadcnt 0x0
	v_cvt_f32_i32_e32 v0, v0
.LBB134_535:
	s_mov_b32 s23, 0
.LBB134_536:
	s_delay_alu instid0(SALU_CYCLE_1)
	s_and_not1_b32 vcc_lo, exec_lo, s23
	s_cbranch_vccnz .LBB134_538
; %bb.537:
	s_wait_loadcnt 0x0
	global_load_i16 v0, v[2:3], off
	s_wait_loadcnt 0x0
	v_cvt_f32_i32_e32 v0, v0
.LBB134_538:
	s_mov_b32 s23, 0
.LBB134_539:
	s_delay_alu instid0(SALU_CYCLE_1)
	s_and_not1_b32 vcc_lo, exec_lo, s23
	s_cbranch_vccnz .LBB134_545
; %bb.540:
	s_cmp_gt_i32 s0, 0
	s_mov_b32 s0, 0
	s_cbranch_scc0 .LBB134_542
; %bb.541:
	s_wait_loadcnt 0x0
	global_load_i8 v0, v[2:3], off
	s_wait_loadcnt 0x0
	v_cvt_f32_i32_e32 v0, v0
	s_branch .LBB134_543
.LBB134_542:
	s_mov_b32 s0, -1
                                        ; implicit-def: $vgpr0
.LBB134_543:
	s_delay_alu instid0(SALU_CYCLE_1)
	s_and_not1_b32 vcc_lo, exec_lo, s0
	s_cbranch_vccnz .LBB134_545
; %bb.544:
	s_wait_loadcnt 0x0
	global_load_u8 v0, v[2:3], off
	s_wait_loadcnt 0x0
	v_cvt_f32_ubyte0_e32 v0, v0
.LBB134_545:
	s_wait_loadcnt 0x0
	v_mov_b32_e32 v1, 0
.LBB134_546:
	s_branch .LBB134_409
.LBB134_547:
	s_mov_b32 s26, 0
	s_mov_b32 s0, s18
	;; [unrolled: 1-line block ×3, first 2 shown]
	s_branch .LBB134_801
.LBB134_548:
	s_and_not1_saveexec_b32 s27, s27
	s_cbranch_execz .LBB134_201
.LBB134_549:
	v_add_f32_e32 v2, 0x42800000, v3
	s_and_not1_b32 s26, s26, exec_lo
	s_delay_alu instid0(VALU_DEP_1) | instskip(NEXT) | instid1(VALU_DEP_1)
	v_and_b32_e32 v2, 0xff, v2
	v_cmp_ne_u32_e32 vcc_lo, 0, v2
	s_and_b32 s28, vcc_lo, exec_lo
	s_delay_alu instid0(SALU_CYCLE_1)
	s_or_b32 s26, s26, s28
	s_or_b32 exec_lo, exec_lo, s27
	v_mov_b32_e32 v4, 0
	s_and_saveexec_b32 s27, s26
	s_cbranch_execnz .LBB134_202
	s_branch .LBB134_203
.LBB134_550:
	s_mov_b32 s24, -1
	s_mov_b32 s26, 0
.LBB134_551:
                                        ; implicit-def: $vgpr5
.LBB134_552:
	s_and_b32 vcc_lo, exec_lo, s27
	s_cbranch_vccz .LBB134_557
; %bb.553:
	s_cmp_eq_u32 s23, 44
	s_cbranch_scc0 .LBB134_555
; %bb.554:
	global_load_u8 v4, v[2:3], off
	s_mov_b32 s24, 0
	s_mov_b32 s26, -1
	s_wait_loadcnt 0x0
	v_lshlrev_b32_e32 v5, 23, v4
	v_cmp_ne_u32_e32 vcc_lo, 0xff, v4
	s_delay_alu instid0(VALU_DEP_2) | instskip(SKIP_1) | instid1(VALU_DEP_2)
	v_cndmask_b32_e32 v5, 0x7f800001, v5, vcc_lo
	v_cmp_ne_u32_e32 vcc_lo, 0, v4
	v_cndmask_b32_e32 v4, 0x400000, v5, vcc_lo
	s_branch .LBB134_556
.LBB134_555:
	s_mov_b32 s24, -1
                                        ; implicit-def: $vgpr4
.LBB134_556:
	v_mov_b32_e32 v5, 0
.LBB134_557:
	s_mov_b32 s27, 0
.LBB134_558:
	s_delay_alu instid0(SALU_CYCLE_1)
	s_and_b32 vcc_lo, exec_lo, s27
	s_cbranch_vccz .LBB134_563
; %bb.559:
	s_cmp_eq_u32 s23, 29
	s_cbranch_scc0 .LBB134_561
; %bb.560:
	global_load_b64 v[4:5], v[2:3], off
	s_mov_b32 s26, -1
	s_mov_b32 s24, 0
	s_wait_loadcnt 0x0
	v_clz_i32_u32_e32 v6, v5
	s_delay_alu instid0(VALU_DEP_1) | instskip(NEXT) | instid1(VALU_DEP_1)
	v_min_u32_e32 v6, 32, v6
	v_lshlrev_b64_e32 v[4:5], v6, v[4:5]
	s_delay_alu instid0(VALU_DEP_1) | instskip(NEXT) | instid1(VALU_DEP_1)
	v_min_u32_e32 v4, 1, v4
	v_dual_sub_nc_u32 v5, 32, v6 :: v_dual_bitop2_b32 v4, v5, v4 bitop3:0x54
	s_delay_alu instid0(VALU_DEP_1) | instskip(NEXT) | instid1(VALU_DEP_1)
	v_cvt_f32_u32_e32 v4, v4
	v_ldexp_f32 v4, v4, v5
	s_branch .LBB134_562
.LBB134_561:
	s_mov_b32 s24, -1
                                        ; implicit-def: $vgpr4
.LBB134_562:
	v_mov_b32_e32 v5, 0
.LBB134_563:
	s_mov_b32 s27, 0
.LBB134_564:
	s_delay_alu instid0(SALU_CYCLE_1)
	s_and_b32 vcc_lo, exec_lo, s27
	s_cbranch_vccz .LBB134_582
; %bb.565:
	s_cmp_lt_i32 s23, 27
	s_cbranch_scc1 .LBB134_568
; %bb.566:
	s_cmp_gt_i32 s23, 27
	s_cbranch_scc0 .LBB134_569
; %bb.567:
	global_load_b32 v4, v[2:3], off
	s_mov_b32 s26, 0
	s_wait_loadcnt 0x0
	v_cvt_f32_u32_e32 v4, v4
	s_branch .LBB134_570
.LBB134_568:
	s_mov_b32 s26, -1
                                        ; implicit-def: $vgpr4
	s_branch .LBB134_573
.LBB134_569:
	s_mov_b32 s26, -1
                                        ; implicit-def: $vgpr4
.LBB134_570:
	s_delay_alu instid0(SALU_CYCLE_1)
	s_and_not1_b32 vcc_lo, exec_lo, s26
	s_cbranch_vccnz .LBB134_572
; %bb.571:
	global_load_u16 v4, v[2:3], off
	s_wait_loadcnt 0x0
	v_cvt_f32_u32_e32 v4, v4
.LBB134_572:
	s_mov_b32 s26, 0
.LBB134_573:
	s_delay_alu instid0(SALU_CYCLE_1)
	s_and_not1_b32 vcc_lo, exec_lo, s26
	s_cbranch_vccnz .LBB134_581
; %bb.574:
	global_load_u8 v5, v[2:3], off
	s_mov_b32 s26, 0
	s_mov_b32 s27, exec_lo
	s_wait_loadcnt 0x0
	v_cmpx_lt_i16_e32 0x7f, v5
	s_xor_b32 s27, exec_lo, s27
	s_cbranch_execz .LBB134_595
; %bb.575:
	s_mov_b32 s26, -1
	s_mov_b32 s28, exec_lo
	v_cmpx_eq_u16_e32 0x80, v5
; %bb.576:
	s_xor_b32 s26, exec_lo, -1
; %bb.577:
	s_or_b32 exec_lo, exec_lo, s28
	s_delay_alu instid0(SALU_CYCLE_1)
	s_and_b32 s26, s26, exec_lo
	s_or_saveexec_b32 s27, s27
	v_mov_b32_e32 v4, 0x7f800001
	s_xor_b32 exec_lo, exec_lo, s27
	s_cbranch_execnz .LBB134_596
.LBB134_578:
	s_or_b32 exec_lo, exec_lo, s27
	s_and_saveexec_b32 s27, s26
	s_cbranch_execz .LBB134_580
.LBB134_579:
	v_and_b32_e32 v4, 0xffff, v5
	s_delay_alu instid0(VALU_DEP_1) | instskip(SKIP_1) | instid1(VALU_DEP_2)
	v_and_b32_e32 v6, 7, v4
	v_bfe_u32 v9, v4, 3, 4
	v_clz_i32_u32_e32 v7, v6
	s_delay_alu instid0(VALU_DEP_2) | instskip(NEXT) | instid1(VALU_DEP_2)
	v_cmp_eq_u32_e32 vcc_lo, 0, v9
	v_min_u32_e32 v7, 32, v7
	s_delay_alu instid0(VALU_DEP_1) | instskip(NEXT) | instid1(VALU_DEP_1)
	v_subrev_nc_u32_e32 v8, 28, v7
	v_dual_lshlrev_b32 v4, v8, v4 :: v_dual_sub_nc_u32 v7, 29, v7
	s_delay_alu instid0(VALU_DEP_1) | instskip(NEXT) | instid1(VALU_DEP_1)
	v_dual_lshlrev_b32 v5, 24, v5 :: v_dual_bitop2_b32 v4, 7, v4 bitop3:0x40
	v_dual_cndmask_b32 v7, v9, v7 :: v_dual_cndmask_b32 v4, v6, v4
	s_delay_alu instid0(VALU_DEP_2) | instskip(NEXT) | instid1(VALU_DEP_2)
	v_and_b32_e32 v5, 0x80000000, v5
	v_lshl_add_u32 v6, v7, 23, 0x3b800000
	s_delay_alu instid0(VALU_DEP_3) | instskip(NEXT) | instid1(VALU_DEP_1)
	v_lshlrev_b32_e32 v4, 20, v4
	v_or3_b32 v4, v5, v6, v4
.LBB134_580:
	s_or_b32 exec_lo, exec_lo, s27
.LBB134_581:
	v_mov_b32_e32 v5, 0
	s_mov_b32 s26, -1
.LBB134_582:
	s_mov_b32 s27, 0
.LBB134_583:
	s_delay_alu instid0(SALU_CYCLE_1)
	s_and_b32 vcc_lo, exec_lo, s27
	s_cbranch_vccz .LBB134_619
; %bb.584:
	s_cmp_gt_i32 s23, 22
	s_cbranch_scc0 .LBB134_594
; %bb.585:
	s_cmp_lt_i32 s23, 24
	s_cbranch_scc1 .LBB134_597
; %bb.586:
	s_cmp_gt_i32 s23, 24
	s_cbranch_scc0 .LBB134_598
; %bb.587:
	global_load_u8 v5, v[2:3], off
	s_mov_b32 s26, 0
	s_mov_b32 s27, exec_lo
	s_wait_loadcnt 0x0
	v_cmpx_lt_i16_e32 0x7f, v5
	s_xor_b32 s27, exec_lo, s27
	s_cbranch_execz .LBB134_610
; %bb.588:
	s_mov_b32 s26, -1
	s_mov_b32 s28, exec_lo
	v_cmpx_eq_u16_e32 0x80, v5
; %bb.589:
	s_xor_b32 s26, exec_lo, -1
; %bb.590:
	s_or_b32 exec_lo, exec_lo, s28
	s_delay_alu instid0(SALU_CYCLE_1)
	s_and_b32 s26, s26, exec_lo
	s_or_saveexec_b32 s27, s27
	v_mov_b32_e32 v4, 0x7f800001
	s_xor_b32 exec_lo, exec_lo, s27
	s_cbranch_execnz .LBB134_611
.LBB134_591:
	s_or_b32 exec_lo, exec_lo, s27
	s_and_saveexec_b32 s27, s26
	s_cbranch_execz .LBB134_593
.LBB134_592:
	v_and_b32_e32 v4, 0xffff, v5
	s_delay_alu instid0(VALU_DEP_1) | instskip(SKIP_1) | instid1(VALU_DEP_2)
	v_and_b32_e32 v6, 3, v4
	v_bfe_u32 v9, v4, 2, 5
	v_clz_i32_u32_e32 v7, v6
	s_delay_alu instid0(VALU_DEP_2) | instskip(NEXT) | instid1(VALU_DEP_2)
	v_cmp_eq_u32_e32 vcc_lo, 0, v9
	v_min_u32_e32 v7, 32, v7
	s_delay_alu instid0(VALU_DEP_1) | instskip(NEXT) | instid1(VALU_DEP_1)
	v_subrev_nc_u32_e32 v8, 29, v7
	v_dual_lshlrev_b32 v4, v8, v4 :: v_dual_sub_nc_u32 v7, 30, v7
	s_delay_alu instid0(VALU_DEP_1) | instskip(NEXT) | instid1(VALU_DEP_1)
	v_dual_lshlrev_b32 v5, 24, v5 :: v_dual_bitop2_b32 v4, 3, v4 bitop3:0x40
	v_dual_cndmask_b32 v7, v9, v7 :: v_dual_cndmask_b32 v4, v6, v4
	s_delay_alu instid0(VALU_DEP_2) | instskip(NEXT) | instid1(VALU_DEP_2)
	v_and_b32_e32 v5, 0x80000000, v5
	v_lshl_add_u32 v6, v7, 23, 0x37800000
	s_delay_alu instid0(VALU_DEP_3) | instskip(NEXT) | instid1(VALU_DEP_1)
	v_lshlrev_b32_e32 v4, 21, v4
	v_or3_b32 v4, v5, v6, v4
.LBB134_593:
	s_or_b32 exec_lo, exec_lo, s27
	s_mov_b32 s26, 0
	s_branch .LBB134_599
.LBB134_594:
	s_mov_b32 s27, -1
                                        ; implicit-def: $vgpr4
	s_branch .LBB134_605
.LBB134_595:
	s_or_saveexec_b32 s27, s27
	v_mov_b32_e32 v4, 0x7f800001
	s_xor_b32 exec_lo, exec_lo, s27
	s_cbranch_execz .LBB134_578
.LBB134_596:
	v_cmp_ne_u16_e32 vcc_lo, 0, v5
	v_mov_b32_e32 v4, 0
	s_and_not1_b32 s26, s26, exec_lo
	s_and_b32 s28, vcc_lo, exec_lo
	s_delay_alu instid0(SALU_CYCLE_1)
	s_or_b32 s26, s26, s28
	s_or_b32 exec_lo, exec_lo, s27
	s_and_saveexec_b32 s27, s26
	s_cbranch_execnz .LBB134_579
	s_branch .LBB134_580
.LBB134_597:
	s_mov_b32 s26, -1
                                        ; implicit-def: $vgpr4
	s_branch .LBB134_602
.LBB134_598:
	s_mov_b32 s26, -1
                                        ; implicit-def: $vgpr4
.LBB134_599:
	s_delay_alu instid0(SALU_CYCLE_1)
	s_and_b32 vcc_lo, exec_lo, s26
	s_cbranch_vccz .LBB134_601
; %bb.600:
	global_load_u8 v4, v[2:3], off
	s_wait_loadcnt 0x0
	v_lshlrev_b32_e32 v4, 24, v4
	s_delay_alu instid0(VALU_DEP_1) | instskip(NEXT) | instid1(VALU_DEP_1)
	v_and_b32_e32 v5, 0x7f000000, v4
	v_clz_i32_u32_e32 v6, v5
	v_cmp_ne_u32_e32 vcc_lo, 0, v5
	v_add_nc_u32_e32 v8, 0x1000000, v5
	s_delay_alu instid0(VALU_DEP_3) | instskip(NEXT) | instid1(VALU_DEP_1)
	v_min_u32_e32 v6, 32, v6
	v_sub_nc_u32_e64 v6, v6, 4 clamp
	s_delay_alu instid0(VALU_DEP_1) | instskip(NEXT) | instid1(VALU_DEP_1)
	v_dual_lshlrev_b32 v7, v6, v5 :: v_dual_lshlrev_b32 v6, 23, v6
	v_lshrrev_b32_e32 v7, 4, v7
	s_delay_alu instid0(VALU_DEP_1) | instskip(NEXT) | instid1(VALU_DEP_1)
	v_dual_sub_nc_u32 v6, v7, v6 :: v_dual_ashrrev_i32 v7, 8, v8
	v_add_nc_u32_e32 v6, 0x3c000000, v6
	s_delay_alu instid0(VALU_DEP_1) | instskip(NEXT) | instid1(VALU_DEP_1)
	v_and_or_b32 v6, 0x7f800000, v7, v6
	v_cndmask_b32_e32 v5, 0, v6, vcc_lo
	s_delay_alu instid0(VALU_DEP_1)
	v_and_or_b32 v4, 0x80000000, v4, v5
.LBB134_601:
	s_mov_b32 s26, 0
.LBB134_602:
	s_delay_alu instid0(SALU_CYCLE_1)
	s_and_not1_b32 vcc_lo, exec_lo, s26
	s_cbranch_vccnz .LBB134_604
; %bb.603:
	global_load_u8 v4, v[2:3], off
	s_wait_loadcnt 0x0
	v_lshlrev_b32_e32 v5, 25, v4
	v_lshlrev_b16 v4, 8, v4
	s_delay_alu instid0(VALU_DEP_1) | instskip(SKIP_1) | instid1(VALU_DEP_2)
	v_and_or_b32 v7, 0x7f00, v4, 0.5
	v_bfe_i32 v4, v4, 0, 16
	v_dual_add_f32 v7, -0.5, v7 :: v_dual_lshrrev_b32 v6, 4, v5
	v_cmp_gt_u32_e32 vcc_lo, 0x8000000, v5
	s_delay_alu instid0(VALU_DEP_2) | instskip(NEXT) | instid1(VALU_DEP_1)
	v_or_b32_e32 v6, 0x70000000, v6
	v_mul_f32_e32 v6, 0x7800000, v6
	s_delay_alu instid0(VALU_DEP_1) | instskip(NEXT) | instid1(VALU_DEP_1)
	v_cndmask_b32_e32 v5, v6, v7, vcc_lo
	v_and_or_b32 v4, 0x80000000, v4, v5
.LBB134_604:
	s_mov_b32 s27, 0
	s_mov_b32 s26, -1
.LBB134_605:
	s_and_not1_b32 vcc_lo, exec_lo, s27
	s_cbranch_vccnz .LBB134_618
; %bb.606:
	s_cmp_gt_i32 s23, 14
	s_cbranch_scc0 .LBB134_609
; %bb.607:
	s_cmp_eq_u32 s23, 15
	s_cbranch_scc0 .LBB134_612
; %bb.608:
	global_load_u16 v4, v[2:3], off
	s_mov_b32 s26, -1
	s_mov_b32 s24, 0
	s_wait_loadcnt 0x0
	v_lshlrev_b32_e32 v4, 16, v4
	s_branch .LBB134_613
.LBB134_609:
	s_mov_b32 s27, -1
                                        ; implicit-def: $vgpr4
	s_branch .LBB134_614
.LBB134_610:
	s_or_saveexec_b32 s27, s27
	v_mov_b32_e32 v4, 0x7f800001
	s_xor_b32 exec_lo, exec_lo, s27
	s_cbranch_execz .LBB134_591
.LBB134_611:
	v_cmp_ne_u16_e32 vcc_lo, 0, v5
	v_mov_b32_e32 v4, 0
	s_and_not1_b32 s26, s26, exec_lo
	s_and_b32 s28, vcc_lo, exec_lo
	s_delay_alu instid0(SALU_CYCLE_1)
	s_or_b32 s26, s26, s28
	s_or_b32 exec_lo, exec_lo, s27
	s_and_saveexec_b32 s27, s26
	s_cbranch_execnz .LBB134_592
	s_branch .LBB134_593
.LBB134_612:
	s_mov_b32 s24, -1
                                        ; implicit-def: $vgpr4
.LBB134_613:
	s_mov_b32 s27, 0
.LBB134_614:
	s_delay_alu instid0(SALU_CYCLE_1)
	s_and_b32 vcc_lo, exec_lo, s27
	s_cbranch_vccz .LBB134_618
; %bb.615:
	s_cmp_eq_u32 s23, 11
	s_cbranch_scc0 .LBB134_617
; %bb.616:
	global_load_u8 v4, v[2:3], off
	s_mov_b32 s24, 0
	s_mov_b32 s26, -1
	v_mov_b32_e32 v5, 0
	s_wait_loadcnt 0x0
	v_cmp_ne_u16_e32 vcc_lo, 0, v4
	v_cndmask_b32_e64 v4, 0, 1.0, vcc_lo
	s_branch .LBB134_619
.LBB134_617:
	s_mov_b32 s24, -1
                                        ; implicit-def: $vgpr4
.LBB134_618:
	v_mov_b32_e32 v5, 0
.LBB134_619:
	s_mov_b32 s23, 0
.LBB134_620:
	s_delay_alu instid0(SALU_CYCLE_1)
	s_and_b32 vcc_lo, exec_lo, s23
	s_cbranch_vccz .LBB134_671
; %bb.621:
	s_and_b32 s0, 0xffff, s0
	s_delay_alu instid0(SALU_CYCLE_1)
	s_cmp_lt_i32 s0, 5
	s_cbranch_scc1 .LBB134_626
; %bb.622:
	s_cmp_lt_i32 s0, 8
	s_cbranch_scc1 .LBB134_627
; %bb.623:
	s_cmp_lt_i32 s0, 9
	s_cbranch_scc1 .LBB134_628
; %bb.624:
	s_cmp_gt_i32 s0, 9
	s_cbranch_scc0 .LBB134_629
; %bb.625:
	global_load_b128 v[4:7], v[2:3], off
	s_mov_b32 s23, 0
	s_wait_loadcnt 0x0
	v_cvt_f32_f64_e32 v4, v[4:5]
	v_cvt_f32_f64_e32 v5, v[6:7]
	s_branch .LBB134_630
.LBB134_626:
	s_mov_b32 s23, -1
                                        ; implicit-def: $vgpr5
	s_branch .LBB134_649
.LBB134_627:
	s_mov_b32 s23, -1
                                        ; implicit-def: $vgpr5
	s_branch .LBB134_636
.LBB134_628:
	s_mov_b32 s23, -1
                                        ; implicit-def: $vgpr5
	s_branch .LBB134_633
.LBB134_629:
	s_mov_b32 s23, -1
                                        ; implicit-def: $vgpr5
.LBB134_630:
	s_delay_alu instid0(SALU_CYCLE_1)
	s_and_not1_b32 vcc_lo, exec_lo, s23
	s_cbranch_vccnz .LBB134_632
; %bb.631:
	global_load_b64 v[4:5], v[2:3], off
.LBB134_632:
	s_mov_b32 s23, 0
.LBB134_633:
	s_delay_alu instid0(SALU_CYCLE_1)
	s_and_not1_b32 vcc_lo, exec_lo, s23
	s_cbranch_vccnz .LBB134_635
; %bb.634:
	s_wait_loadcnt 0x0
	global_load_b32 v4, v[2:3], off
	s_wait_loadcnt 0x0
	v_lshrrev_b32_e32 v5, 16, v4
	v_cvt_f32_f16_e32 v4, v4
	s_delay_alu instid0(VALU_DEP_2)
	v_cvt_f32_f16_e32 v5, v5
.LBB134_635:
	s_mov_b32 s23, 0
.LBB134_636:
	s_delay_alu instid0(SALU_CYCLE_1)
	s_and_not1_b32 vcc_lo, exec_lo, s23
	s_cbranch_vccnz .LBB134_648
; %bb.637:
	s_cmp_lt_i32 s0, 6
	s_cbranch_scc1 .LBB134_640
; %bb.638:
	s_cmp_gt_i32 s0, 6
	s_cbranch_scc0 .LBB134_641
; %bb.639:
	s_wait_loadcnt 0x0
	global_load_b64 v[4:5], v[2:3], off
	s_mov_b32 s23, 0
	s_wait_loadcnt 0x0
	v_cvt_f32_f64_e32 v4, v[4:5]
	s_branch .LBB134_642
.LBB134_640:
	s_mov_b32 s23, -1
                                        ; implicit-def: $vgpr4
	s_branch .LBB134_645
.LBB134_641:
	s_mov_b32 s23, -1
                                        ; implicit-def: $vgpr4
.LBB134_642:
	s_delay_alu instid0(SALU_CYCLE_1)
	s_and_not1_b32 vcc_lo, exec_lo, s23
	s_cbranch_vccnz .LBB134_644
; %bb.643:
	s_wait_loadcnt 0x0
	global_load_b32 v4, v[2:3], off
.LBB134_644:
	s_mov_b32 s23, 0
.LBB134_645:
	s_delay_alu instid0(SALU_CYCLE_1)
	s_and_not1_b32 vcc_lo, exec_lo, s23
	s_cbranch_vccnz .LBB134_647
; %bb.646:
	s_wait_loadcnt 0x0
	global_load_u16 v4, v[2:3], off
	s_wait_loadcnt 0x0
	v_cvt_f32_f16_e32 v4, v4
.LBB134_647:
	s_wait_loadcnt 0x0
	v_mov_b32_e32 v5, 0
.LBB134_648:
	s_mov_b32 s23, 0
.LBB134_649:
	s_delay_alu instid0(SALU_CYCLE_1)
	s_and_not1_b32 vcc_lo, exec_lo, s23
	s_cbranch_vccnz .LBB134_670
; %bb.650:
	s_cmp_lt_i32 s0, 2
	s_cbranch_scc1 .LBB134_654
; %bb.651:
	s_cmp_lt_i32 s0, 3
	s_cbranch_scc1 .LBB134_655
; %bb.652:
	s_cmp_gt_i32 s0, 3
	s_cbranch_scc0 .LBB134_656
; %bb.653:
	s_wait_loadcnt 0x0
	global_load_b64 v[4:5], v[2:3], off
	s_mov_b32 s23, 0
	s_wait_loadcnt 0x0
	v_xor_b32_e32 v6, v4, v5
	v_cls_i32_e32 v7, v5
	s_delay_alu instid0(VALU_DEP_2) | instskip(NEXT) | instid1(VALU_DEP_1)
	v_ashrrev_i32_e32 v6, 31, v6
	v_add_nc_u32_e32 v6, 32, v6
	s_delay_alu instid0(VALU_DEP_1) | instskip(NEXT) | instid1(VALU_DEP_1)
	v_add_min_u32_e64 v6, v7, -1, v6
	v_lshlrev_b64_e32 v[4:5], v6, v[4:5]
	s_delay_alu instid0(VALU_DEP_1) | instskip(NEXT) | instid1(VALU_DEP_1)
	v_min_u32_e32 v4, 1, v4
	v_dual_sub_nc_u32 v5, 32, v6 :: v_dual_bitop2_b32 v4, v5, v4 bitop3:0x54
	s_delay_alu instid0(VALU_DEP_1) | instskip(NEXT) | instid1(VALU_DEP_1)
	v_cvt_f32_i32_e32 v4, v4
	v_ldexp_f32 v4, v4, v5
	s_branch .LBB134_657
.LBB134_654:
	s_mov_b32 s23, -1
                                        ; implicit-def: $vgpr4
	s_branch .LBB134_663
.LBB134_655:
	s_mov_b32 s23, -1
                                        ; implicit-def: $vgpr4
	s_branch .LBB134_660
.LBB134_656:
	s_mov_b32 s23, -1
                                        ; implicit-def: $vgpr4
.LBB134_657:
	s_delay_alu instid0(SALU_CYCLE_1)
	s_and_not1_b32 vcc_lo, exec_lo, s23
	s_cbranch_vccnz .LBB134_659
; %bb.658:
	s_wait_loadcnt 0x0
	global_load_b32 v4, v[2:3], off
	s_wait_loadcnt 0x0
	v_cvt_f32_i32_e32 v4, v4
.LBB134_659:
	s_mov_b32 s23, 0
.LBB134_660:
	s_delay_alu instid0(SALU_CYCLE_1)
	s_and_not1_b32 vcc_lo, exec_lo, s23
	s_cbranch_vccnz .LBB134_662
; %bb.661:
	s_wait_loadcnt 0x0
	global_load_i16 v4, v[2:3], off
	s_wait_loadcnt 0x0
	v_cvt_f32_i32_e32 v4, v4
.LBB134_662:
	s_mov_b32 s23, 0
.LBB134_663:
	s_delay_alu instid0(SALU_CYCLE_1)
	s_and_not1_b32 vcc_lo, exec_lo, s23
	s_cbranch_vccnz .LBB134_669
; %bb.664:
	s_cmp_gt_i32 s0, 0
	s_mov_b32 s0, 0
	s_cbranch_scc0 .LBB134_666
; %bb.665:
	s_wait_loadcnt 0x0
	global_load_i8 v4, v[2:3], off
	s_wait_loadcnt 0x0
	v_cvt_f32_i32_e32 v4, v4
	s_branch .LBB134_667
.LBB134_666:
	s_mov_b32 s0, -1
                                        ; implicit-def: $vgpr4
.LBB134_667:
	s_delay_alu instid0(SALU_CYCLE_1)
	s_and_not1_b32 vcc_lo, exec_lo, s0
	s_cbranch_vccnz .LBB134_669
; %bb.668:
	global_load_u8 v2, v[2:3], off
	s_wait_loadcnt 0x0
	v_cvt_f32_ubyte0_e32 v4, v2
.LBB134_669:
	s_wait_loadcnt 0x0
	v_mov_b32_e32 v5, 0
.LBB134_670:
	s_mov_b32 s26, -1
.LBB134_671:
	s_delay_alu instid0(SALU_CYCLE_1)
	s_and_not1_b32 vcc_lo, exec_lo, s26
	s_cbranch_vccnz .LBB134_674
; %bb.672:
	s_and_not1_b32 vcc_lo, exec_lo, s16
	s_cbranch_vccnz .LBB134_675
; %bb.673:
	s_wait_loadcnt 0x0
	s_delay_alu instid0(VALU_DEP_2) | instskip(NEXT) | instid1(VALU_DEP_2)
	v_cmp_neq_f32_e32 vcc_lo, v0, v4
	v_cmp_neq_f32_e64 s0, v1, v5
	s_or_b32 s23, vcc_lo, s0
	s_mov_b32 s0, 0
	s_branch .LBB134_676
.LBB134_674:
	s_mov_b32 s26, 0
	s_mov_b32 s0, s18
	s_branch .LBB134_801
.LBB134_675:
	s_mov_b32 s0, -1
                                        ; implicit-def: $sgpr23
.LBB134_676:
	s_delay_alu instid0(SALU_CYCLE_1)
	s_and_not1_b32 vcc_lo, exec_lo, s0
	s_cbranch_vccnz .LBB134_678
; %bb.677:
	s_wait_loadcnt 0x0
	s_delay_alu instid0(VALU_DEP_1) | instskip(NEXT) | instid1(VALU_DEP_3)
	v_cmp_eq_f32_e32 vcc_lo, v1, v5
	v_cmp_eq_f32_e64 s0, v0, v4
	s_and_not1_b32 s23, s23, exec_lo
	s_and_b32 s0, s0, vcc_lo
	s_delay_alu instid0(SALU_CYCLE_1) | instskip(NEXT) | instid1(SALU_CYCLE_1)
	s_and_b32 s0, s0, exec_lo
	s_or_b32 s23, s23, s0
.LBB134_678:
	s_wait_loadcnt 0x0
	v_mul_lo_u32 v0, v10, s8
	s_and_b32 s26, s12, 0xff
	s_delay_alu instid0(SALU_CYCLE_1) | instskip(NEXT) | instid1(VALU_DEP_1)
	s_cmp_lt_i32 s26, 11
	v_ashrrev_i32_e32 v1, 31, v0
	s_delay_alu instid0(VALU_DEP_1)
	v_add_nc_u64_e32 v[0:1], s[4:5], v[0:1]
	s_cbranch_scc1 .LBB134_685
; %bb.679:
	s_and_b32 s27, 0xffff, s26
	s_delay_alu instid0(SALU_CYCLE_1)
	s_cmp_gt_i32 s27, 25
	s_cbranch_scc0 .LBB134_686
; %bb.680:
	s_cmp_gt_i32 s27, 28
	s_cbranch_scc0 .LBB134_687
; %bb.681:
	;; [unrolled: 3-line block ×4, first 2 shown]
	s_mov_b32 s29, 0
	s_mov_b32 s0, -1
	s_cmp_eq_u32 s27, 46
	s_mov_b32 s28, 0
	s_cbranch_scc0 .LBB134_690
; %bb.684:
	s_wait_xcnt 0x0
	v_cndmask_b32_e64 v2, 0, 1.0, s23
	s_mov_b32 s28, -1
	s_mov_b32 s0, 0
	s_delay_alu instid0(VALU_DEP_1) | instskip(NEXT) | instid1(VALU_DEP_1)
	v_bfe_u32 v3, v2, 16, 1
	v_add3_u32 v2, v2, v3, 0x7fff
	s_delay_alu instid0(VALU_DEP_1)
	v_lshrrev_b32_e32 v2, 16, v2
	global_store_b32 v[0:1], v2, off
	s_branch .LBB134_690
.LBB134_685:
	s_mov_b32 s27, -1
	s_mov_b32 s28, 0
	s_mov_b32 s0, s18
	s_branch .LBB134_759
.LBB134_686:
	s_mov_b32 s29, -1
	s_mov_b32 s28, 0
	s_mov_b32 s0, s18
	s_branch .LBB134_717
.LBB134_687:
	s_mov_b32 s29, -1
	s_mov_b32 s28, 0
	s_mov_b32 s0, s18
	s_branch .LBB134_700
.LBB134_688:
	s_mov_b32 s29, -1
	s_mov_b32 s28, 0
	s_mov_b32 s0, s18
	s_branch .LBB134_696
.LBB134_689:
	s_mov_b32 s29, -1
	s_mov_b32 s28, 0
	s_mov_b32 s0, s18
.LBB134_690:
	s_and_b32 vcc_lo, exec_lo, s29
	s_cbranch_vccz .LBB134_695
; %bb.691:
	s_cmp_eq_u32 s27, 44
	s_mov_b32 s0, -1
	s_cbranch_scc0 .LBB134_695
; %bb.692:
	v_cndmask_b32_e64 v4, 0, 1.0, s23
	s_mov_b32 s28, exec_lo
	s_wait_xcnt 0x0
	s_delay_alu instid0(VALU_DEP_1) | instskip(NEXT) | instid1(VALU_DEP_1)
	v_dual_mov_b32 v3, 0xff :: v_dual_lshrrev_b32 v2, 23, v4
	v_cmpx_ne_u32_e32 0xff, v2
; %bb.693:
	v_and_b32_e32 v3, 0x400000, v4
	v_and_or_b32 v4, 0x3fffff, v4, v2
	s_delay_alu instid0(VALU_DEP_2) | instskip(NEXT) | instid1(VALU_DEP_2)
	v_cmp_ne_u32_e32 vcc_lo, 0, v3
	v_cmp_ne_u32_e64 s0, 0, v4
	s_and_b32 s0, vcc_lo, s0
	s_delay_alu instid0(SALU_CYCLE_1) | instskip(NEXT) | instid1(VALU_DEP_1)
	v_cndmask_b32_e64 v3, 0, 1, s0
	v_add_nc_u32_e32 v3, v2, v3
; %bb.694:
	s_or_b32 exec_lo, exec_lo, s28
	s_mov_b32 s28, -1
	s_mov_b32 s0, 0
	global_store_b8 v[0:1], v3, off
.LBB134_695:
	s_mov_b32 s29, 0
.LBB134_696:
	s_delay_alu instid0(SALU_CYCLE_1)
	s_and_b32 vcc_lo, exec_lo, s29
	s_cbranch_vccz .LBB134_699
; %bb.697:
	s_cmp_eq_u32 s27, 29
	s_mov_b32 s0, -1
	s_cbranch_scc0 .LBB134_699
; %bb.698:
	s_mov_b32 s0, 0
	s_wait_xcnt 0x0
	v_cndmask_b32_e64 v2, 0, 1, s23
	v_mov_b32_e32 v3, s0
	s_mov_b32 s28, -1
	s_mov_b32 s29, 0
	global_store_b64 v[0:1], v[2:3], off
	s_branch .LBB134_700
.LBB134_699:
	s_mov_b32 s29, 0
.LBB134_700:
	s_delay_alu instid0(SALU_CYCLE_1)
	s_and_b32 vcc_lo, exec_lo, s29
	s_cbranch_vccz .LBB134_716
; %bb.701:
	s_cmp_lt_i32 s27, 27
	s_mov_b32 s28, -1
	s_cbranch_scc1 .LBB134_707
; %bb.702:
	s_cmp_gt_i32 s27, 27
	s_cbranch_scc0 .LBB134_704
; %bb.703:
	s_wait_xcnt 0x0
	v_cndmask_b32_e64 v2, 0, 1, s23
	s_mov_b32 s28, 0
	global_store_b32 v[0:1], v2, off
.LBB134_704:
	s_and_not1_b32 vcc_lo, exec_lo, s28
	s_cbranch_vccnz .LBB134_706
; %bb.705:
	s_wait_xcnt 0x0
	v_cndmask_b32_e64 v2, 0, 1, s23
	global_store_b16 v[0:1], v2, off
.LBB134_706:
	s_mov_b32 s28, 0
.LBB134_707:
	s_delay_alu instid0(SALU_CYCLE_1)
	s_and_not1_b32 vcc_lo, exec_lo, s28
	s_cbranch_vccnz .LBB134_715
; %bb.708:
	s_wait_xcnt 0x0
	v_cndmask_b32_e64 v3, 0, 1.0, s23
	v_mov_b32_e32 v4, 0x80
	s_mov_b32 s28, exec_lo
	s_delay_alu instid0(VALU_DEP_2)
	v_cmpx_gt_u32_e32 0x43800000, v3
	s_cbranch_execz .LBB134_714
; %bb.709:
	s_mov_b32 s29, 0
	s_mov_b32 s30, exec_lo
                                        ; implicit-def: $vgpr2
	v_cmpx_lt_u32_e32 0x3bffffff, v3
	s_xor_b32 s30, exec_lo, s30
	s_cbranch_execz .LBB134_817
; %bb.710:
	v_bfe_u32 v2, v3, 20, 1
	s_mov_b32 s29, exec_lo
	s_delay_alu instid0(VALU_DEP_1) | instskip(NEXT) | instid1(VALU_DEP_1)
	v_add3_u32 v2, v3, v2, 0x487ffff
                                        ; implicit-def: $vgpr3
	v_lshrrev_b32_e32 v2, 20, v2
	s_and_not1_saveexec_b32 s30, s30
	s_cbranch_execnz .LBB134_818
.LBB134_711:
	s_or_b32 exec_lo, exec_lo, s30
	v_mov_b32_e32 v4, 0
	s_and_saveexec_b32 s30, s29
.LBB134_712:
	v_mov_b32_e32 v4, v2
.LBB134_713:
	s_or_b32 exec_lo, exec_lo, s30
.LBB134_714:
	s_delay_alu instid0(SALU_CYCLE_1)
	s_or_b32 exec_lo, exec_lo, s28
	global_store_b8 v[0:1], v4, off
.LBB134_715:
	s_mov_b32 s28, -1
.LBB134_716:
	s_mov_b32 s29, 0
.LBB134_717:
	s_delay_alu instid0(SALU_CYCLE_1)
	s_and_b32 vcc_lo, exec_lo, s29
	s_cbranch_vccz .LBB134_758
; %bb.718:
	s_cmp_gt_i32 s27, 22
	s_mov_b32 s29, -1
	s_cbranch_scc0 .LBB134_750
; %bb.719:
	s_cmp_lt_i32 s27, 24
	s_mov_b32 s28, -1
	s_cbranch_scc1 .LBB134_739
; %bb.720:
	s_cmp_gt_i32 s27, 24
	s_cbranch_scc0 .LBB134_728
; %bb.721:
	s_wait_xcnt 0x0
	v_cndmask_b32_e64 v3, 0, 1.0, s23
	v_mov_b32_e32 v4, 0x80
	s_mov_b32 s28, exec_lo
	s_delay_alu instid0(VALU_DEP_2)
	v_cmpx_gt_u32_e32 0x47800000, v3
	s_cbranch_execz .LBB134_727
; %bb.722:
	s_mov_b32 s29, 0
	s_mov_b32 s30, exec_lo
                                        ; implicit-def: $vgpr2
	v_cmpx_lt_u32_e32 0x37ffffff, v3
	s_xor_b32 s30, exec_lo, s30
	s_cbranch_execz .LBB134_954
; %bb.723:
	v_bfe_u32 v2, v3, 21, 1
	s_mov_b32 s29, exec_lo
	s_delay_alu instid0(VALU_DEP_1) | instskip(NEXT) | instid1(VALU_DEP_1)
	v_add3_u32 v2, v3, v2, 0x88fffff
                                        ; implicit-def: $vgpr3
	v_lshrrev_b32_e32 v2, 21, v2
	s_and_not1_saveexec_b32 s30, s30
	s_cbranch_execnz .LBB134_955
.LBB134_724:
	s_or_b32 exec_lo, exec_lo, s30
	v_mov_b32_e32 v4, 0
	s_and_saveexec_b32 s30, s29
.LBB134_725:
	v_mov_b32_e32 v4, v2
.LBB134_726:
	s_or_b32 exec_lo, exec_lo, s30
.LBB134_727:
	s_delay_alu instid0(SALU_CYCLE_1)
	s_or_b32 exec_lo, exec_lo, s28
	s_mov_b32 s28, 0
	global_store_b8 v[0:1], v4, off
.LBB134_728:
	s_and_b32 vcc_lo, exec_lo, s28
	s_cbranch_vccz .LBB134_738
; %bb.729:
	s_wait_xcnt 0x0
	v_cndmask_b32_e64 v3, 0, 1.0, s23
	s_mov_b32 s28, exec_lo
                                        ; implicit-def: $vgpr2
	s_delay_alu instid0(VALU_DEP_1)
	v_cmpx_gt_u32_e32 0x43f00000, v3
	s_xor_b32 s28, exec_lo, s28
	s_cbranch_execz .LBB134_735
; %bb.730:
	s_mov_b32 s29, exec_lo
                                        ; implicit-def: $vgpr2
	v_cmpx_lt_u32_e32 0x3c7fffff, v3
	s_xor_b32 s29, exec_lo, s29
; %bb.731:
	v_bfe_u32 v2, v3, 20, 1
	s_delay_alu instid0(VALU_DEP_1) | instskip(NEXT) | instid1(VALU_DEP_1)
	v_add3_u32 v2, v3, v2, 0x407ffff
	v_and_b32_e32 v3, 0xff00000, v2
	v_lshrrev_b32_e32 v2, 20, v2
	s_delay_alu instid0(VALU_DEP_2) | instskip(NEXT) | instid1(VALU_DEP_2)
	v_cmp_ne_u32_e32 vcc_lo, 0x7f00000, v3
                                        ; implicit-def: $vgpr3
	v_cndmask_b32_e32 v2, 0x7e, v2, vcc_lo
; %bb.732:
	s_and_not1_saveexec_b32 s29, s29
; %bb.733:
	v_add_f32_e32 v2, 0x46800000, v3
; %bb.734:
	s_or_b32 exec_lo, exec_lo, s29
                                        ; implicit-def: $vgpr3
.LBB134_735:
	s_and_not1_saveexec_b32 s28, s28
; %bb.736:
	v_mov_b32_e32 v2, 0x7f
	v_cmp_lt_u32_e32 vcc_lo, 0x7f800000, v3
	s_delay_alu instid0(VALU_DEP_2)
	v_cndmask_b32_e32 v2, 0x7e, v2, vcc_lo
; %bb.737:
	s_or_b32 exec_lo, exec_lo, s28
	global_store_b8 v[0:1], v2, off
.LBB134_738:
	s_mov_b32 s28, 0
.LBB134_739:
	s_delay_alu instid0(SALU_CYCLE_1)
	s_and_not1_b32 vcc_lo, exec_lo, s28
	s_cbranch_vccnz .LBB134_749
; %bb.740:
	s_wait_xcnt 0x0
	v_cndmask_b32_e64 v3, 0, 1.0, s23
	s_mov_b32 s28, exec_lo
                                        ; implicit-def: $vgpr2
	s_delay_alu instid0(VALU_DEP_1)
	v_cmpx_gt_u32_e32 0x47800000, v3
	s_xor_b32 s28, exec_lo, s28
	s_cbranch_execz .LBB134_746
; %bb.741:
	s_mov_b32 s29, exec_lo
                                        ; implicit-def: $vgpr2
	v_cmpx_lt_u32_e32 0x387fffff, v3
	s_xor_b32 s29, exec_lo, s29
; %bb.742:
	v_bfe_u32 v2, v3, 21, 1
	s_delay_alu instid0(VALU_DEP_1) | instskip(NEXT) | instid1(VALU_DEP_1)
	v_add3_u32 v2, v3, v2, 0x80fffff
                                        ; implicit-def: $vgpr3
	v_lshrrev_b32_e32 v2, 21, v2
; %bb.743:
	s_and_not1_saveexec_b32 s29, s29
; %bb.744:
	v_add_f32_e32 v2, 0x43000000, v3
; %bb.745:
	s_or_b32 exec_lo, exec_lo, s29
                                        ; implicit-def: $vgpr3
.LBB134_746:
	s_and_not1_saveexec_b32 s28, s28
; %bb.747:
	v_mov_b32_e32 v2, 0x7f
	v_cmp_lt_u32_e32 vcc_lo, 0x7f800000, v3
	s_delay_alu instid0(VALU_DEP_2)
	v_cndmask_b32_e32 v2, 0x7c, v2, vcc_lo
; %bb.748:
	s_or_b32 exec_lo, exec_lo, s28
	global_store_b8 v[0:1], v2, off
.LBB134_749:
	s_mov_b32 s29, 0
	s_mov_b32 s28, -1
.LBB134_750:
	s_and_not1_b32 vcc_lo, exec_lo, s29
	s_cbranch_vccnz .LBB134_758
; %bb.751:
	s_cmp_gt_i32 s27, 14
	s_mov_b32 s29, -1
	s_cbranch_scc0 .LBB134_755
; %bb.752:
	s_cmp_eq_u32 s27, 15
	s_mov_b32 s0, -1
	s_cbranch_scc0 .LBB134_754
; %bb.753:
	s_wait_xcnt 0x0
	v_cndmask_b32_e64 v2, 0, 1.0, s23
	s_mov_b32 s28, -1
	s_mov_b32 s0, 0
	s_delay_alu instid0(VALU_DEP_1) | instskip(NEXT) | instid1(VALU_DEP_1)
	v_bfe_u32 v3, v2, 16, 1
	v_add3_u32 v2, v2, v3, 0x7fff
	global_store_d16_hi_b16 v[0:1], v2, off
.LBB134_754:
	s_mov_b32 s29, 0
.LBB134_755:
	s_delay_alu instid0(SALU_CYCLE_1)
	s_and_b32 vcc_lo, exec_lo, s29
	s_cbranch_vccz .LBB134_758
; %bb.756:
	s_cmp_eq_u32 s27, 11
	s_mov_b32 s0, -1
	s_cbranch_scc0 .LBB134_758
; %bb.757:
	s_wait_xcnt 0x0
	v_cndmask_b32_e64 v2, 0, 1, s23
	s_mov_b32 s28, -1
	s_mov_b32 s0, 0
	global_store_b8 v[0:1], v2, off
.LBB134_758:
	s_mov_b32 s27, 0
.LBB134_759:
	s_delay_alu instid0(SALU_CYCLE_1)
	s_and_b32 vcc_lo, exec_lo, s27
	s_cbranch_vccz .LBB134_798
; %bb.760:
	s_and_b32 s26, 0xffff, s26
	s_mov_b32 s27, -1
	s_cmp_lt_i32 s26, 5
	s_cbranch_scc1 .LBB134_781
; %bb.761:
	s_cmp_lt_i32 s26, 8
	s_cbranch_scc1 .LBB134_771
; %bb.762:
	;; [unrolled: 3-line block ×3, first 2 shown]
	s_cmp_gt_i32 s26, 9
	s_cbranch_scc0 .LBB134_765
; %bb.764:
	s_wait_xcnt 0x0
	v_cndmask_b32_e64 v2, 0, 1, s23
	v_mov_b32_e32 v4, 0
	s_mov_b32 s27, 0
	s_delay_alu instid0(VALU_DEP_2) | instskip(NEXT) | instid1(VALU_DEP_2)
	v_cvt_f64_u32_e32 v[2:3], v2
	v_mov_b32_e32 v5, v4
	global_store_b128 v[0:1], v[2:5], off
.LBB134_765:
	s_and_not1_b32 vcc_lo, exec_lo, s27
	s_cbranch_vccnz .LBB134_767
; %bb.766:
	s_wait_xcnt 0x0
	v_cndmask_b32_e64 v2, 0, 1.0, s23
	v_mov_b32_e32 v3, 0
	global_store_b64 v[0:1], v[2:3], off
.LBB134_767:
	s_mov_b32 s27, 0
.LBB134_768:
	s_delay_alu instid0(SALU_CYCLE_1)
	s_and_not1_b32 vcc_lo, exec_lo, s27
	s_cbranch_vccnz .LBB134_770
; %bb.769:
	s_wait_xcnt 0x0
	v_cndmask_b32_e64 v2, 0, 1.0, s23
	s_delay_alu instid0(VALU_DEP_1) | instskip(NEXT) | instid1(VALU_DEP_1)
	v_cvt_f16_f32_e32 v2, v2
	v_and_b32_e32 v2, 0xffff, v2
	global_store_b32 v[0:1], v2, off
.LBB134_770:
	s_mov_b32 s27, 0
.LBB134_771:
	s_delay_alu instid0(SALU_CYCLE_1)
	s_and_not1_b32 vcc_lo, exec_lo, s27
	s_cbranch_vccnz .LBB134_780
; %bb.772:
	s_cmp_lt_i32 s26, 6
	s_mov_b32 s27, -1
	s_cbranch_scc1 .LBB134_778
; %bb.773:
	s_cmp_gt_i32 s26, 6
	s_cbranch_scc0 .LBB134_775
; %bb.774:
	s_wait_xcnt 0x0
	v_cndmask_b32_e64 v2, 0, 1, s23
	s_mov_b32 s27, 0
	s_delay_alu instid0(VALU_DEP_1)
	v_cvt_f64_u32_e32 v[2:3], v2
	global_store_b64 v[0:1], v[2:3], off
.LBB134_775:
	s_and_not1_b32 vcc_lo, exec_lo, s27
	s_cbranch_vccnz .LBB134_777
; %bb.776:
	s_wait_xcnt 0x0
	v_cndmask_b32_e64 v2, 0, 1.0, s23
	global_store_b32 v[0:1], v2, off
.LBB134_777:
	s_mov_b32 s27, 0
.LBB134_778:
	s_delay_alu instid0(SALU_CYCLE_1)
	s_and_not1_b32 vcc_lo, exec_lo, s27
	s_cbranch_vccnz .LBB134_780
; %bb.779:
	s_wait_xcnt 0x0
	v_cndmask_b32_e64 v2, 0, 1.0, s23
	s_delay_alu instid0(VALU_DEP_1)
	v_cvt_f16_f32_e32 v2, v2
	global_store_b16 v[0:1], v2, off
.LBB134_780:
	s_mov_b32 s27, 0
.LBB134_781:
	s_delay_alu instid0(SALU_CYCLE_1)
	s_and_not1_b32 vcc_lo, exec_lo, s27
	s_cbranch_vccnz .LBB134_797
; %bb.782:
	s_cmp_lt_i32 s26, 2
	s_mov_b32 s27, -1
	s_cbranch_scc1 .LBB134_792
; %bb.783:
	s_cmp_lt_i32 s26, 3
	s_cbranch_scc1 .LBB134_789
; %bb.784:
	s_cmp_gt_i32 s26, 3
	s_cbranch_scc0 .LBB134_786
; %bb.785:
	s_mov_b32 s27, 0
	s_wait_xcnt 0x0
	v_cndmask_b32_e64 v2, 0, 1, s23
	v_mov_b32_e32 v3, s27
	global_store_b64 v[0:1], v[2:3], off
.LBB134_786:
	s_and_not1_b32 vcc_lo, exec_lo, s27
	s_cbranch_vccnz .LBB134_788
; %bb.787:
	s_wait_xcnt 0x0
	v_cndmask_b32_e64 v2, 0, 1, s23
	global_store_b32 v[0:1], v2, off
.LBB134_788:
	s_mov_b32 s27, 0
.LBB134_789:
	s_delay_alu instid0(SALU_CYCLE_1)
	s_and_not1_b32 vcc_lo, exec_lo, s27
	s_cbranch_vccnz .LBB134_791
; %bb.790:
	s_wait_xcnt 0x0
	v_cndmask_b32_e64 v2, 0, 1, s23
	global_store_b16 v[0:1], v2, off
.LBB134_791:
	s_mov_b32 s27, 0
.LBB134_792:
	s_delay_alu instid0(SALU_CYCLE_1)
	s_and_not1_b32 vcc_lo, exec_lo, s27
	s_cbranch_vccnz .LBB134_797
; %bb.793:
	s_wait_xcnt 0x0
	v_cndmask_b32_e64 v2, 0, 1, s23
	s_cmp_gt_i32 s26, 0
	s_mov_b32 s23, -1
	s_cbranch_scc0 .LBB134_795
; %bb.794:
	s_mov_b32 s23, 0
	global_store_b8 v[0:1], v2, off
.LBB134_795:
	s_and_not1_b32 vcc_lo, exec_lo, s23
	s_cbranch_vccnz .LBB134_797
; %bb.796:
	global_store_b8 v[0:1], v2, off
.LBB134_797:
	s_mov_b32 s28, -1
.LBB134_798:
	s_delay_alu instid0(SALU_CYCLE_1)
	s_and_not1_b32 vcc_lo, exec_lo, s28
	s_cbranch_vccnz .LBB134_800
; %bb.799:
	v_add_nc_u32_e32 v10, 0x80, v10
	s_mov_b32 s26, -1
	s_branch .LBB134_802
.LBB134_800:
	s_mov_b32 s26, 0
.LBB134_801:
                                        ; implicit-def: $vgpr10
.LBB134_802:
	s_and_not1_b32 s23, s18, exec_lo
	s_and_b32 s0, s0, exec_lo
	s_and_b32 s24, s24, exec_lo
	s_or_b32 s23, s23, s0
	s_and_not1_b32 s0, s19, exec_lo
	s_and_not1_b32 s27, s20, exec_lo
	s_and_b32 s22, s22, exec_lo
	s_or_b32 s24, s0, s24
	s_or_b32 s22, s27, s22
	s_or_not1_b32 s27, s26, exec_lo
.LBB134_803:
	s_wait_xcnt 0x0
	s_or_b32 exec_lo, exec_lo, s25
	s_mov_b32 s26, 0
	s_mov_b32 s28, 0
	;; [unrolled: 1-line block ×3, first 2 shown]
                                        ; implicit-def: $sgpr0
                                        ; implicit-def: $vgpr2_vgpr3
                                        ; implicit-def: $vgpr1
	s_and_saveexec_b32 s25, s27
	s_cbranch_execz .LBB134_1296
; %bb.804:
	s_mov_b32 s34, -1
	s_mov_b32 s27, s22
	s_mov_b32 s28, s24
	;; [unrolled: 1-line block ×3, first 2 shown]
	s_mov_b32 s26, exec_lo
	v_cmpx_gt_i32_e64 s17, v10
	s_cbranch_execz .LBB134_1209
; %bb.805:
	s_wait_loadcnt 0x0
	v_mul_lo_u32 v0, v10, s9
	s_and_b32 s0, s14, 0xff
	s_delay_alu instid0(SALU_CYCLE_1) | instskip(NEXT) | instid1(VALU_DEP_1)
	s_cmp_lt_i32 s0, 11
	v_ashrrev_i32_e32 v1, 31, v0
	s_delay_alu instid0(VALU_DEP_1)
	v_add_nc_u64_e32 v[2:3], s[6:7], v[0:1]
	s_cbranch_scc1 .LBB134_812
; %bb.806:
	s_and_b32 s28, 0xffff, s0
	s_delay_alu instid0(SALU_CYCLE_1)
	s_cmp_gt_i32 s28, 25
	s_cbranch_scc0 .LBB134_813
; %bb.807:
	s_cmp_gt_i32 s28, 28
	s_cbranch_scc0 .LBB134_814
; %bb.808:
	;; [unrolled: 3-line block ×4, first 2 shown]
	s_cmp_eq_u32 s28, 46
	s_mov_b32 s30, 0
	s_cbranch_scc0 .LBB134_819
; %bb.811:
	global_load_b32 v0, v[2:3], off
	s_mov_b32 s29, -1
	s_mov_b32 s27, 0
	s_wait_loadcnt 0x0
	v_and_b32_e32 v1, 0xffff0000, v0
	v_lshlrev_b32_e32 v0, 16, v0
	s_branch .LBB134_821
.LBB134_812:
	s_mov_b32 s28, -1
	s_mov_b32 s29, 0
	s_mov_b32 s27, s22
                                        ; implicit-def: $vgpr1
	s_branch .LBB134_889
.LBB134_813:
	s_mov_b32 s30, -1
	s_mov_b32 s29, 0
	s_mov_b32 s27, s22
                                        ; implicit-def: $vgpr1
	s_branch .LBB134_852
.LBB134_814:
	s_mov_b32 s30, -1
	s_mov_b32 s29, 0
	s_mov_b32 s27, s22
                                        ; implicit-def: $vgpr1
	s_branch .LBB134_833
.LBB134_815:
	s_mov_b32 s30, -1
	s_mov_b32 s29, 0
	s_mov_b32 s27, s22
                                        ; implicit-def: $vgpr1
	s_branch .LBB134_827
.LBB134_816:
	s_mov_b32 s30, -1
	s_mov_b32 s29, 0
	s_mov_b32 s27, s22
	s_branch .LBB134_820
.LBB134_817:
	s_and_not1_saveexec_b32 s30, s30
	s_cbranch_execz .LBB134_711
.LBB134_818:
	v_add_f32_e32 v2, 0x46000000, v3
	s_and_not1_b32 s29, s29, exec_lo
	s_delay_alu instid0(VALU_DEP_1) | instskip(NEXT) | instid1(VALU_DEP_1)
	v_and_b32_e32 v2, 0xff, v2
	v_cmp_ne_u32_e32 vcc_lo, 0, v2
	s_and_b32 s31, vcc_lo, exec_lo
	s_delay_alu instid0(SALU_CYCLE_1)
	s_or_b32 s29, s29, s31
	s_or_b32 exec_lo, exec_lo, s30
	v_mov_b32_e32 v4, 0
	s_and_saveexec_b32 s30, s29
	s_cbranch_execnz .LBB134_712
	s_branch .LBB134_713
.LBB134_819:
	s_mov_b32 s27, -1
	s_mov_b32 s29, 0
.LBB134_820:
                                        ; implicit-def: $vgpr1
.LBB134_821:
	s_and_b32 vcc_lo, exec_lo, s30
	s_cbranch_vccz .LBB134_826
; %bb.822:
	s_cmp_eq_u32 s28, 44
	s_cbranch_scc0 .LBB134_824
; %bb.823:
	global_load_u8 v0, v[2:3], off
	s_mov_b32 s27, 0
	s_mov_b32 s29, -1
	s_wait_loadcnt 0x0
	v_lshlrev_b32_e32 v1, 23, v0
	v_cmp_ne_u32_e32 vcc_lo, 0xff, v0
	s_delay_alu instid0(VALU_DEP_2) | instskip(SKIP_1) | instid1(VALU_DEP_2)
	v_cndmask_b32_e32 v1, 0x7f800001, v1, vcc_lo
	v_cmp_ne_u32_e32 vcc_lo, 0, v0
	v_cndmask_b32_e32 v0, 0x400000, v1, vcc_lo
	s_branch .LBB134_825
.LBB134_824:
	s_mov_b32 s27, -1
                                        ; implicit-def: $vgpr0
.LBB134_825:
	v_mov_b32_e32 v1, 0
.LBB134_826:
	s_mov_b32 s30, 0
.LBB134_827:
	s_delay_alu instid0(SALU_CYCLE_1)
	s_and_b32 vcc_lo, exec_lo, s30
	s_cbranch_vccz .LBB134_832
; %bb.828:
	s_cmp_eq_u32 s28, 29
	s_cbranch_scc0 .LBB134_830
; %bb.829:
	global_load_b64 v[0:1], v[2:3], off
	s_mov_b32 s29, -1
	s_mov_b32 s27, 0
	s_wait_loadcnt 0x0
	v_clz_i32_u32_e32 v4, v1
	s_delay_alu instid0(VALU_DEP_1) | instskip(NEXT) | instid1(VALU_DEP_1)
	v_min_u32_e32 v4, 32, v4
	v_lshlrev_b64_e32 v[0:1], v4, v[0:1]
	s_delay_alu instid0(VALU_DEP_1) | instskip(NEXT) | instid1(VALU_DEP_1)
	v_min_u32_e32 v0, 1, v0
	v_or_b32_e32 v0, v1, v0
	v_sub_nc_u32_e32 v1, 32, v4
	s_delay_alu instid0(VALU_DEP_2) | instskip(NEXT) | instid1(VALU_DEP_1)
	v_cvt_f32_u32_e32 v0, v0
	v_ldexp_f32 v0, v0, v1
	s_branch .LBB134_831
.LBB134_830:
	s_mov_b32 s27, -1
                                        ; implicit-def: $vgpr0
.LBB134_831:
	v_mov_b32_e32 v1, 0
.LBB134_832:
	s_mov_b32 s30, 0
.LBB134_833:
	s_delay_alu instid0(SALU_CYCLE_1)
	s_and_b32 vcc_lo, exec_lo, s30
	s_cbranch_vccz .LBB134_851
; %bb.834:
	s_cmp_lt_i32 s28, 27
	s_cbranch_scc1 .LBB134_837
; %bb.835:
	s_cmp_gt_i32 s28, 27
	s_cbranch_scc0 .LBB134_838
; %bb.836:
	global_load_b32 v0, v[2:3], off
	s_mov_b32 s29, 0
	s_wait_loadcnt 0x0
	v_cvt_f32_u32_e32 v0, v0
	s_branch .LBB134_839
.LBB134_837:
	s_mov_b32 s29, -1
                                        ; implicit-def: $vgpr0
	s_branch .LBB134_842
.LBB134_838:
	s_mov_b32 s29, -1
                                        ; implicit-def: $vgpr0
.LBB134_839:
	s_delay_alu instid0(SALU_CYCLE_1)
	s_and_not1_b32 vcc_lo, exec_lo, s29
	s_cbranch_vccnz .LBB134_841
; %bb.840:
	global_load_u16 v0, v[2:3], off
	s_wait_loadcnt 0x0
	v_cvt_f32_u32_e32 v0, v0
.LBB134_841:
	s_mov_b32 s29, 0
.LBB134_842:
	s_delay_alu instid0(SALU_CYCLE_1)
	s_and_not1_b32 vcc_lo, exec_lo, s29
	s_cbranch_vccnz .LBB134_850
; %bb.843:
	global_load_u8 v1, v[2:3], off
	s_mov_b32 s29, 0
	s_mov_b32 s30, exec_lo
	s_wait_loadcnt 0x0
	v_cmpx_lt_i16_e32 0x7f, v1
	s_xor_b32 s30, exec_lo, s30
	s_cbranch_execz .LBB134_864
; %bb.844:
	s_mov_b32 s29, -1
	s_mov_b32 s31, exec_lo
	v_cmpx_eq_u16_e32 0x80, v1
; %bb.845:
	s_xor_b32 s29, exec_lo, -1
; %bb.846:
	s_or_b32 exec_lo, exec_lo, s31
	s_delay_alu instid0(SALU_CYCLE_1)
	s_and_b32 s29, s29, exec_lo
	s_or_saveexec_b32 s30, s30
	v_mov_b32_e32 v0, 0x7f800001
	s_xor_b32 exec_lo, exec_lo, s30
	s_cbranch_execnz .LBB134_865
.LBB134_847:
	s_or_b32 exec_lo, exec_lo, s30
	s_and_saveexec_b32 s30, s29
	s_cbranch_execz .LBB134_849
.LBB134_848:
	v_and_b32_e32 v0, 0xffff, v1
	s_delay_alu instid0(VALU_DEP_1) | instskip(SKIP_1) | instid1(VALU_DEP_2)
	v_and_b32_e32 v4, 7, v0
	v_bfe_u32 v7, v0, 3, 4
	v_clz_i32_u32_e32 v5, v4
	s_delay_alu instid0(VALU_DEP_2) | instskip(NEXT) | instid1(VALU_DEP_2)
	v_cmp_eq_u32_e32 vcc_lo, 0, v7
	v_min_u32_e32 v5, 32, v5
	s_delay_alu instid0(VALU_DEP_1) | instskip(NEXT) | instid1(VALU_DEP_1)
	v_subrev_nc_u32_e32 v6, 28, v5
	v_dual_lshlrev_b32 v0, v6, v0 :: v_dual_sub_nc_u32 v5, 29, v5
	s_delay_alu instid0(VALU_DEP_1) | instskip(NEXT) | instid1(VALU_DEP_1)
	v_dual_lshlrev_b32 v1, 24, v1 :: v_dual_bitop2_b32 v0, 7, v0 bitop3:0x40
	v_dual_cndmask_b32 v0, v4, v0 :: v_dual_cndmask_b32 v5, v7, v5
	s_delay_alu instid0(VALU_DEP_2) | instskip(NEXT) | instid1(VALU_DEP_2)
	v_and_b32_e32 v1, 0x80000000, v1
	v_lshlrev_b32_e32 v0, 20, v0
	s_delay_alu instid0(VALU_DEP_3) | instskip(NEXT) | instid1(VALU_DEP_1)
	v_lshl_add_u32 v4, v5, 23, 0x3b800000
	v_or3_b32 v0, v1, v4, v0
.LBB134_849:
	s_or_b32 exec_lo, exec_lo, s30
.LBB134_850:
	v_mov_b32_e32 v1, 0
	s_mov_b32 s29, -1
.LBB134_851:
	s_mov_b32 s30, 0
.LBB134_852:
	s_delay_alu instid0(SALU_CYCLE_1)
	s_and_b32 vcc_lo, exec_lo, s30
	s_cbranch_vccz .LBB134_888
; %bb.853:
	s_cmp_gt_i32 s28, 22
	s_cbranch_scc0 .LBB134_863
; %bb.854:
	s_cmp_lt_i32 s28, 24
	s_cbranch_scc1 .LBB134_866
; %bb.855:
	s_cmp_gt_i32 s28, 24
	s_cbranch_scc0 .LBB134_867
; %bb.856:
	global_load_u8 v1, v[2:3], off
	s_mov_b32 s29, 0
	s_mov_b32 s30, exec_lo
	s_wait_loadcnt 0x0
	v_cmpx_lt_i16_e32 0x7f, v1
	s_xor_b32 s30, exec_lo, s30
	s_cbranch_execz .LBB134_879
; %bb.857:
	s_mov_b32 s29, -1
	s_mov_b32 s31, exec_lo
	v_cmpx_eq_u16_e32 0x80, v1
; %bb.858:
	s_xor_b32 s29, exec_lo, -1
; %bb.859:
	s_or_b32 exec_lo, exec_lo, s31
	s_delay_alu instid0(SALU_CYCLE_1)
	s_and_b32 s29, s29, exec_lo
	s_or_saveexec_b32 s30, s30
	v_mov_b32_e32 v0, 0x7f800001
	s_xor_b32 exec_lo, exec_lo, s30
	s_cbranch_execnz .LBB134_880
.LBB134_860:
	s_or_b32 exec_lo, exec_lo, s30
	s_and_saveexec_b32 s30, s29
	s_cbranch_execz .LBB134_862
.LBB134_861:
	v_and_b32_e32 v0, 0xffff, v1
	s_delay_alu instid0(VALU_DEP_1) | instskip(SKIP_1) | instid1(VALU_DEP_2)
	v_and_b32_e32 v4, 3, v0
	v_bfe_u32 v7, v0, 2, 5
	v_clz_i32_u32_e32 v5, v4
	s_delay_alu instid0(VALU_DEP_2) | instskip(NEXT) | instid1(VALU_DEP_2)
	v_cmp_eq_u32_e32 vcc_lo, 0, v7
	v_min_u32_e32 v5, 32, v5
	s_delay_alu instid0(VALU_DEP_1) | instskip(NEXT) | instid1(VALU_DEP_1)
	v_subrev_nc_u32_e32 v6, 29, v5
	v_dual_lshlrev_b32 v0, v6, v0 :: v_dual_sub_nc_u32 v5, 30, v5
	s_delay_alu instid0(VALU_DEP_1) | instskip(NEXT) | instid1(VALU_DEP_1)
	v_dual_lshlrev_b32 v1, 24, v1 :: v_dual_bitop2_b32 v0, 3, v0 bitop3:0x40
	v_dual_cndmask_b32 v0, v4, v0 :: v_dual_cndmask_b32 v5, v7, v5
	s_delay_alu instid0(VALU_DEP_2) | instskip(NEXT) | instid1(VALU_DEP_2)
	v_and_b32_e32 v1, 0x80000000, v1
	v_lshlrev_b32_e32 v0, 21, v0
	s_delay_alu instid0(VALU_DEP_3) | instskip(NEXT) | instid1(VALU_DEP_1)
	v_lshl_add_u32 v4, v5, 23, 0x37800000
	v_or3_b32 v0, v1, v4, v0
.LBB134_862:
	s_or_b32 exec_lo, exec_lo, s30
	s_mov_b32 s29, 0
	s_branch .LBB134_868
.LBB134_863:
	s_mov_b32 s30, -1
                                        ; implicit-def: $vgpr0
	s_branch .LBB134_874
.LBB134_864:
	s_or_saveexec_b32 s30, s30
	v_mov_b32_e32 v0, 0x7f800001
	s_xor_b32 exec_lo, exec_lo, s30
	s_cbranch_execz .LBB134_847
.LBB134_865:
	v_cmp_ne_u16_e32 vcc_lo, 0, v1
	v_mov_b32_e32 v0, 0
	s_and_not1_b32 s29, s29, exec_lo
	s_and_b32 s31, vcc_lo, exec_lo
	s_delay_alu instid0(SALU_CYCLE_1)
	s_or_b32 s29, s29, s31
	s_or_b32 exec_lo, exec_lo, s30
	s_and_saveexec_b32 s30, s29
	s_cbranch_execnz .LBB134_848
	s_branch .LBB134_849
.LBB134_866:
	s_mov_b32 s29, -1
                                        ; implicit-def: $vgpr0
	s_branch .LBB134_871
.LBB134_867:
	s_mov_b32 s29, -1
                                        ; implicit-def: $vgpr0
.LBB134_868:
	s_delay_alu instid0(SALU_CYCLE_1)
	s_and_b32 vcc_lo, exec_lo, s29
	s_cbranch_vccz .LBB134_870
; %bb.869:
	global_load_u8 v0, v[2:3], off
	s_wait_loadcnt 0x0
	v_lshlrev_b32_e32 v0, 24, v0
	s_delay_alu instid0(VALU_DEP_1) | instskip(NEXT) | instid1(VALU_DEP_1)
	v_and_b32_e32 v1, 0x7f000000, v0
	v_clz_i32_u32_e32 v4, v1
	v_cmp_ne_u32_e32 vcc_lo, 0, v1
	v_add_nc_u32_e32 v6, 0x1000000, v1
	s_delay_alu instid0(VALU_DEP_3) | instskip(NEXT) | instid1(VALU_DEP_1)
	v_min_u32_e32 v4, 32, v4
	v_sub_nc_u32_e64 v4, v4, 4 clamp
	s_delay_alu instid0(VALU_DEP_1) | instskip(NEXT) | instid1(VALU_DEP_1)
	v_dual_lshlrev_b32 v5, v4, v1 :: v_dual_lshlrev_b32 v4, 23, v4
	v_lshrrev_b32_e32 v5, 4, v5
	s_delay_alu instid0(VALU_DEP_1) | instskip(NEXT) | instid1(VALU_DEP_1)
	v_dual_sub_nc_u32 v4, v5, v4 :: v_dual_ashrrev_i32 v5, 8, v6
	v_add_nc_u32_e32 v4, 0x3c000000, v4
	s_delay_alu instid0(VALU_DEP_1) | instskip(NEXT) | instid1(VALU_DEP_1)
	v_and_or_b32 v4, 0x7f800000, v5, v4
	v_cndmask_b32_e32 v1, 0, v4, vcc_lo
	s_delay_alu instid0(VALU_DEP_1)
	v_and_or_b32 v0, 0x80000000, v0, v1
.LBB134_870:
	s_mov_b32 s29, 0
.LBB134_871:
	s_delay_alu instid0(SALU_CYCLE_1)
	s_and_not1_b32 vcc_lo, exec_lo, s29
	s_cbranch_vccnz .LBB134_873
; %bb.872:
	global_load_u8 v0, v[2:3], off
	s_wait_loadcnt 0x0
	v_lshlrev_b32_e32 v1, 25, v0
	v_lshlrev_b16 v0, 8, v0
	s_delay_alu instid0(VALU_DEP_1) | instskip(SKIP_1) | instid1(VALU_DEP_2)
	v_and_or_b32 v5, 0x7f00, v0, 0.5
	v_bfe_i32 v0, v0, 0, 16
	v_add_f32_e32 v5, -0.5, v5
	v_lshrrev_b32_e32 v4, 4, v1
	v_cmp_gt_u32_e32 vcc_lo, 0x8000000, v1
	s_delay_alu instid0(VALU_DEP_2) | instskip(NEXT) | instid1(VALU_DEP_1)
	v_or_b32_e32 v4, 0x70000000, v4
	v_mul_f32_e32 v4, 0x7800000, v4
	s_delay_alu instid0(VALU_DEP_1) | instskip(NEXT) | instid1(VALU_DEP_1)
	v_cndmask_b32_e32 v1, v4, v5, vcc_lo
	v_and_or_b32 v0, 0x80000000, v0, v1
.LBB134_873:
	s_mov_b32 s30, 0
	s_mov_b32 s29, -1
.LBB134_874:
	s_and_not1_b32 vcc_lo, exec_lo, s30
	s_cbranch_vccnz .LBB134_887
; %bb.875:
	s_cmp_gt_i32 s28, 14
	s_cbranch_scc0 .LBB134_878
; %bb.876:
	s_cmp_eq_u32 s28, 15
	s_cbranch_scc0 .LBB134_881
; %bb.877:
	global_load_u16 v0, v[2:3], off
	s_mov_b32 s29, -1
	s_mov_b32 s27, 0
	s_wait_loadcnt 0x0
	v_lshlrev_b32_e32 v0, 16, v0
	s_branch .LBB134_882
.LBB134_878:
	s_mov_b32 s30, -1
                                        ; implicit-def: $vgpr0
	s_branch .LBB134_883
.LBB134_879:
	s_or_saveexec_b32 s30, s30
	v_mov_b32_e32 v0, 0x7f800001
	s_xor_b32 exec_lo, exec_lo, s30
	s_cbranch_execz .LBB134_860
.LBB134_880:
	v_cmp_ne_u16_e32 vcc_lo, 0, v1
	v_mov_b32_e32 v0, 0
	s_and_not1_b32 s29, s29, exec_lo
	s_and_b32 s31, vcc_lo, exec_lo
	s_delay_alu instid0(SALU_CYCLE_1)
	s_or_b32 s29, s29, s31
	s_or_b32 exec_lo, exec_lo, s30
	s_and_saveexec_b32 s30, s29
	s_cbranch_execnz .LBB134_861
	s_branch .LBB134_862
.LBB134_881:
	s_mov_b32 s27, -1
                                        ; implicit-def: $vgpr0
.LBB134_882:
	s_mov_b32 s30, 0
.LBB134_883:
	s_delay_alu instid0(SALU_CYCLE_1)
	s_and_b32 vcc_lo, exec_lo, s30
	s_cbranch_vccz .LBB134_887
; %bb.884:
	s_cmp_eq_u32 s28, 11
	s_cbranch_scc0 .LBB134_886
; %bb.885:
	global_load_u8 v0, v[2:3], off
	s_mov_b32 s27, 0
	s_mov_b32 s29, -1
	v_mov_b32_e32 v1, 0
	s_wait_loadcnt 0x0
	v_cmp_ne_u16_e32 vcc_lo, 0, v0
	v_cndmask_b32_e64 v0, 0, 1.0, vcc_lo
	s_branch .LBB134_888
.LBB134_886:
	s_mov_b32 s27, -1
                                        ; implicit-def: $vgpr0
.LBB134_887:
	v_mov_b32_e32 v1, 0
.LBB134_888:
	s_mov_b32 s28, 0
.LBB134_889:
	s_delay_alu instid0(SALU_CYCLE_1)
	s_and_b32 vcc_lo, exec_lo, s28
	s_cbranch_vccz .LBB134_940
; %bb.890:
	s_and_b32 s0, 0xffff, s0
	s_delay_alu instid0(SALU_CYCLE_1)
	s_cmp_lt_i32 s0, 5
	s_cbranch_scc1 .LBB134_895
; %bb.891:
	s_cmp_lt_i32 s0, 8
	s_cbranch_scc1 .LBB134_896
; %bb.892:
	;; [unrolled: 3-line block ×3, first 2 shown]
	s_cmp_gt_i32 s0, 9
	s_cbranch_scc0 .LBB134_898
; %bb.894:
	global_load_b128 v[4:7], v[2:3], off
	s_mov_b32 s28, 0
	s_wait_loadcnt 0x0
	v_cvt_f32_f64_e32 v0, v[4:5]
	v_cvt_f32_f64_e32 v1, v[6:7]
	s_branch .LBB134_899
.LBB134_895:
	s_mov_b32 s28, -1
                                        ; implicit-def: $vgpr1
	s_branch .LBB134_918
.LBB134_896:
	s_mov_b32 s28, -1
                                        ; implicit-def: $vgpr1
	s_branch .LBB134_905
.LBB134_897:
	s_mov_b32 s28, -1
                                        ; implicit-def: $vgpr1
	s_branch .LBB134_902
.LBB134_898:
	s_mov_b32 s28, -1
                                        ; implicit-def: $vgpr1
.LBB134_899:
	s_delay_alu instid0(SALU_CYCLE_1)
	s_and_not1_b32 vcc_lo, exec_lo, s28
	s_cbranch_vccnz .LBB134_901
; %bb.900:
	global_load_b64 v[0:1], v[2:3], off
.LBB134_901:
	s_mov_b32 s28, 0
.LBB134_902:
	s_delay_alu instid0(SALU_CYCLE_1)
	s_and_not1_b32 vcc_lo, exec_lo, s28
	s_cbranch_vccnz .LBB134_904
; %bb.903:
	s_wait_loadcnt 0x0
	global_load_b32 v0, v[2:3], off
	s_wait_loadcnt 0x0
	v_lshrrev_b32_e32 v1, 16, v0
	v_cvt_f32_f16_e32 v0, v0
	s_delay_alu instid0(VALU_DEP_2)
	v_cvt_f32_f16_e32 v1, v1
.LBB134_904:
	s_mov_b32 s28, 0
.LBB134_905:
	s_delay_alu instid0(SALU_CYCLE_1)
	s_and_not1_b32 vcc_lo, exec_lo, s28
	s_cbranch_vccnz .LBB134_917
; %bb.906:
	s_cmp_lt_i32 s0, 6
	s_cbranch_scc1 .LBB134_909
; %bb.907:
	s_cmp_gt_i32 s0, 6
	s_cbranch_scc0 .LBB134_910
; %bb.908:
	s_wait_loadcnt 0x0
	global_load_b64 v[0:1], v[2:3], off
	s_mov_b32 s28, 0
	s_wait_loadcnt 0x0
	v_cvt_f32_f64_e32 v0, v[0:1]
	s_branch .LBB134_911
.LBB134_909:
	s_mov_b32 s28, -1
                                        ; implicit-def: $vgpr0
	s_branch .LBB134_914
.LBB134_910:
	s_mov_b32 s28, -1
                                        ; implicit-def: $vgpr0
.LBB134_911:
	s_delay_alu instid0(SALU_CYCLE_1)
	s_and_not1_b32 vcc_lo, exec_lo, s28
	s_cbranch_vccnz .LBB134_913
; %bb.912:
	s_wait_loadcnt 0x0
	global_load_b32 v0, v[2:3], off
.LBB134_913:
	s_mov_b32 s28, 0
.LBB134_914:
	s_delay_alu instid0(SALU_CYCLE_1)
	s_and_not1_b32 vcc_lo, exec_lo, s28
	s_cbranch_vccnz .LBB134_916
; %bb.915:
	s_wait_loadcnt 0x0
	global_load_u16 v0, v[2:3], off
	s_wait_loadcnt 0x0
	v_cvt_f32_f16_e32 v0, v0
.LBB134_916:
	s_wait_loadcnt 0x0
	v_mov_b32_e32 v1, 0
.LBB134_917:
	s_mov_b32 s28, 0
.LBB134_918:
	s_delay_alu instid0(SALU_CYCLE_1)
	s_and_not1_b32 vcc_lo, exec_lo, s28
	s_cbranch_vccnz .LBB134_939
; %bb.919:
	s_cmp_lt_i32 s0, 2
	s_cbranch_scc1 .LBB134_923
; %bb.920:
	s_cmp_lt_i32 s0, 3
	s_cbranch_scc1 .LBB134_924
; %bb.921:
	s_cmp_gt_i32 s0, 3
	s_cbranch_scc0 .LBB134_925
; %bb.922:
	s_wait_loadcnt 0x0
	global_load_b64 v[0:1], v[2:3], off
	s_mov_b32 s28, 0
	s_wait_loadcnt 0x0
	v_xor_b32_e32 v4, v0, v1
	v_cls_i32_e32 v5, v1
	s_delay_alu instid0(VALU_DEP_2) | instskip(NEXT) | instid1(VALU_DEP_1)
	v_ashrrev_i32_e32 v4, 31, v4
	v_add_nc_u32_e32 v4, 32, v4
	s_delay_alu instid0(VALU_DEP_1) | instskip(NEXT) | instid1(VALU_DEP_1)
	v_add_min_u32_e64 v4, v5, -1, v4
	v_lshlrev_b64_e32 v[0:1], v4, v[0:1]
	s_delay_alu instid0(VALU_DEP_1) | instskip(NEXT) | instid1(VALU_DEP_1)
	v_min_u32_e32 v0, 1, v0
	v_or_b32_e32 v0, v1, v0
	v_sub_nc_u32_e32 v1, 32, v4
	s_delay_alu instid0(VALU_DEP_2) | instskip(NEXT) | instid1(VALU_DEP_1)
	v_cvt_f32_i32_e32 v0, v0
	v_ldexp_f32 v0, v0, v1
	s_branch .LBB134_926
.LBB134_923:
	s_mov_b32 s28, -1
                                        ; implicit-def: $vgpr0
	s_branch .LBB134_932
.LBB134_924:
	s_mov_b32 s28, -1
                                        ; implicit-def: $vgpr0
	s_branch .LBB134_929
.LBB134_925:
	s_mov_b32 s28, -1
                                        ; implicit-def: $vgpr0
.LBB134_926:
	s_delay_alu instid0(SALU_CYCLE_1)
	s_and_not1_b32 vcc_lo, exec_lo, s28
	s_cbranch_vccnz .LBB134_928
; %bb.927:
	s_wait_loadcnt 0x0
	global_load_b32 v0, v[2:3], off
	s_wait_loadcnt 0x0
	v_cvt_f32_i32_e32 v0, v0
.LBB134_928:
	s_mov_b32 s28, 0
.LBB134_929:
	s_delay_alu instid0(SALU_CYCLE_1)
	s_and_not1_b32 vcc_lo, exec_lo, s28
	s_cbranch_vccnz .LBB134_931
; %bb.930:
	s_wait_loadcnt 0x0
	global_load_i16 v0, v[2:3], off
	s_wait_loadcnt 0x0
	v_cvt_f32_i32_e32 v0, v0
.LBB134_931:
	s_mov_b32 s28, 0
.LBB134_932:
	s_delay_alu instid0(SALU_CYCLE_1)
	s_and_not1_b32 vcc_lo, exec_lo, s28
	s_cbranch_vccnz .LBB134_938
; %bb.933:
	s_cmp_gt_i32 s0, 0
	s_mov_b32 s0, 0
	s_cbranch_scc0 .LBB134_935
; %bb.934:
	s_wait_loadcnt 0x0
	global_load_i8 v0, v[2:3], off
	s_wait_loadcnt 0x0
	v_cvt_f32_i32_e32 v0, v0
	s_branch .LBB134_936
.LBB134_935:
	s_mov_b32 s0, -1
                                        ; implicit-def: $vgpr0
.LBB134_936:
	s_delay_alu instid0(SALU_CYCLE_1)
	s_and_not1_b32 vcc_lo, exec_lo, s0
	s_cbranch_vccnz .LBB134_938
; %bb.937:
	s_wait_loadcnt 0x0
	global_load_u8 v0, v[2:3], off
	s_wait_loadcnt 0x0
	v_cvt_f32_ubyte0_e32 v0, v0
.LBB134_938:
	s_wait_loadcnt 0x0
	v_mov_b32_e32 v1, 0
.LBB134_939:
	s_mov_b32 s29, -1
.LBB134_940:
	s_delay_alu instid0(SALU_CYCLE_1)
	s_and_not1_b32 vcc_lo, exec_lo, s29
	s_cbranch_vccnz .LBB134_948
; %bb.941:
	s_wait_xcnt 0x0
	v_mul_lo_u32 v2, v10, s10
	s_and_b32 s0, s1, 0xff
	s_delay_alu instid0(SALU_CYCLE_1) | instskip(NEXT) | instid1(VALU_DEP_1)
	s_cmp_lt_i32 s0, 11
	v_ashrrev_i32_e32 v3, 31, v2
	s_delay_alu instid0(VALU_DEP_1)
	v_add_nc_u64_e32 v[2:3], s[2:3], v[2:3]
	s_cbranch_scc1 .LBB134_949
; %bb.942:
	s_and_b32 s29, 0xffff, s0
	s_delay_alu instid0(SALU_CYCLE_1)
	s_cmp_gt_i32 s29, 25
	s_cbranch_scc0 .LBB134_950
; %bb.943:
	s_cmp_gt_i32 s29, 28
	s_cbranch_scc0 .LBB134_951
; %bb.944:
	;; [unrolled: 3-line block ×4, first 2 shown]
	s_cmp_eq_u32 s29, 46
	s_mov_b32 s31, 0
	s_cbranch_scc0 .LBB134_956
; %bb.947:
	global_load_b32 v4, v[2:3], off
	s_mov_b32 s30, -1
	s_mov_b32 s28, 0
	s_wait_loadcnt 0x0
	v_and_b32_e32 v5, 0xffff0000, v4
	v_lshlrev_b32_e32 v4, 16, v4
	s_branch .LBB134_958
.LBB134_948:
	s_mov_b32 s30, 0
	s_mov_b32 s0, s23
	;; [unrolled: 1-line block ×3, first 2 shown]
	s_branch .LBB134_1207
.LBB134_949:
	s_mov_b32 s29, -1
	s_mov_b32 s30, 0
	s_mov_b32 s28, s24
                                        ; implicit-def: $vgpr5
	s_branch .LBB134_1026
.LBB134_950:
	s_mov_b32 s31, -1
	s_mov_b32 s30, 0
	s_mov_b32 s28, s24
                                        ; implicit-def: $vgpr5
	s_branch .LBB134_989
.LBB134_951:
	s_mov_b32 s31, -1
	s_mov_b32 s30, 0
	s_mov_b32 s28, s24
                                        ; implicit-def: $vgpr5
	s_branch .LBB134_970
.LBB134_952:
	s_mov_b32 s31, -1
	s_mov_b32 s30, 0
	s_mov_b32 s28, s24
                                        ; implicit-def: $vgpr5
	s_branch .LBB134_964
.LBB134_953:
	s_mov_b32 s31, -1
	s_mov_b32 s30, 0
	s_mov_b32 s28, s24
	s_branch .LBB134_957
.LBB134_954:
	s_and_not1_saveexec_b32 s30, s30
	s_cbranch_execz .LBB134_724
.LBB134_955:
	v_add_f32_e32 v2, 0x42800000, v3
	s_and_not1_b32 s29, s29, exec_lo
	s_delay_alu instid0(VALU_DEP_1) | instskip(NEXT) | instid1(VALU_DEP_1)
	v_and_b32_e32 v2, 0xff, v2
	v_cmp_ne_u32_e32 vcc_lo, 0, v2
	s_and_b32 s31, vcc_lo, exec_lo
	s_delay_alu instid0(SALU_CYCLE_1)
	s_or_b32 s29, s29, s31
	s_or_b32 exec_lo, exec_lo, s30
	v_mov_b32_e32 v4, 0
	s_and_saveexec_b32 s30, s29
	s_cbranch_execnz .LBB134_725
	s_branch .LBB134_726
.LBB134_956:
	s_mov_b32 s28, -1
	s_mov_b32 s30, 0
.LBB134_957:
                                        ; implicit-def: $vgpr5
.LBB134_958:
	s_and_b32 vcc_lo, exec_lo, s31
	s_cbranch_vccz .LBB134_963
; %bb.959:
	s_cmp_eq_u32 s29, 44
	s_cbranch_scc0 .LBB134_961
; %bb.960:
	global_load_u8 v4, v[2:3], off
	s_mov_b32 s28, 0
	s_mov_b32 s30, -1
	s_wait_loadcnt 0x0
	v_lshlrev_b32_e32 v5, 23, v4
	v_cmp_ne_u32_e32 vcc_lo, 0xff, v4
	s_delay_alu instid0(VALU_DEP_2) | instskip(SKIP_1) | instid1(VALU_DEP_2)
	v_cndmask_b32_e32 v5, 0x7f800001, v5, vcc_lo
	v_cmp_ne_u32_e32 vcc_lo, 0, v4
	v_cndmask_b32_e32 v4, 0x400000, v5, vcc_lo
	s_branch .LBB134_962
.LBB134_961:
	s_mov_b32 s28, -1
                                        ; implicit-def: $vgpr4
.LBB134_962:
	v_mov_b32_e32 v5, 0
.LBB134_963:
	s_mov_b32 s31, 0
.LBB134_964:
	s_delay_alu instid0(SALU_CYCLE_1)
	s_and_b32 vcc_lo, exec_lo, s31
	s_cbranch_vccz .LBB134_969
; %bb.965:
	s_cmp_eq_u32 s29, 29
	s_cbranch_scc0 .LBB134_967
; %bb.966:
	global_load_b64 v[4:5], v[2:3], off
	s_mov_b32 s30, -1
	s_mov_b32 s28, 0
	s_wait_loadcnt 0x0
	v_clz_i32_u32_e32 v6, v5
	s_delay_alu instid0(VALU_DEP_1) | instskip(NEXT) | instid1(VALU_DEP_1)
	v_min_u32_e32 v6, 32, v6
	v_lshlrev_b64_e32 v[4:5], v6, v[4:5]
	s_delay_alu instid0(VALU_DEP_1) | instskip(NEXT) | instid1(VALU_DEP_1)
	v_min_u32_e32 v4, 1, v4
	v_dual_sub_nc_u32 v5, 32, v6 :: v_dual_bitop2_b32 v4, v5, v4 bitop3:0x54
	s_delay_alu instid0(VALU_DEP_1) | instskip(NEXT) | instid1(VALU_DEP_1)
	v_cvt_f32_u32_e32 v4, v4
	v_ldexp_f32 v4, v4, v5
	s_branch .LBB134_968
.LBB134_967:
	s_mov_b32 s28, -1
                                        ; implicit-def: $vgpr4
.LBB134_968:
	v_mov_b32_e32 v5, 0
.LBB134_969:
	s_mov_b32 s31, 0
.LBB134_970:
	s_delay_alu instid0(SALU_CYCLE_1)
	s_and_b32 vcc_lo, exec_lo, s31
	s_cbranch_vccz .LBB134_988
; %bb.971:
	s_cmp_lt_i32 s29, 27
	s_cbranch_scc1 .LBB134_974
; %bb.972:
	s_cmp_gt_i32 s29, 27
	s_cbranch_scc0 .LBB134_975
; %bb.973:
	global_load_b32 v4, v[2:3], off
	s_mov_b32 s30, 0
	s_wait_loadcnt 0x0
	v_cvt_f32_u32_e32 v4, v4
	s_branch .LBB134_976
.LBB134_974:
	s_mov_b32 s30, -1
                                        ; implicit-def: $vgpr4
	s_branch .LBB134_979
.LBB134_975:
	s_mov_b32 s30, -1
                                        ; implicit-def: $vgpr4
.LBB134_976:
	s_delay_alu instid0(SALU_CYCLE_1)
	s_and_not1_b32 vcc_lo, exec_lo, s30
	s_cbranch_vccnz .LBB134_978
; %bb.977:
	global_load_u16 v4, v[2:3], off
	s_wait_loadcnt 0x0
	v_cvt_f32_u32_e32 v4, v4
.LBB134_978:
	s_mov_b32 s30, 0
.LBB134_979:
	s_delay_alu instid0(SALU_CYCLE_1)
	s_and_not1_b32 vcc_lo, exec_lo, s30
	s_cbranch_vccnz .LBB134_987
; %bb.980:
	global_load_u8 v5, v[2:3], off
	s_mov_b32 s30, 0
	s_mov_b32 s31, exec_lo
	s_wait_loadcnt 0x0
	v_cmpx_lt_i16_e32 0x7f, v5
	s_xor_b32 s31, exec_lo, s31
	s_cbranch_execz .LBB134_1001
; %bb.981:
	s_mov_b32 s30, -1
	s_mov_b32 s33, exec_lo
	v_cmpx_eq_u16_e32 0x80, v5
; %bb.982:
	s_xor_b32 s30, exec_lo, -1
; %bb.983:
	s_or_b32 exec_lo, exec_lo, s33
	s_delay_alu instid0(SALU_CYCLE_1)
	s_and_b32 s30, s30, exec_lo
	s_or_saveexec_b32 s31, s31
	v_mov_b32_e32 v4, 0x7f800001
	s_xor_b32 exec_lo, exec_lo, s31
	s_cbranch_execnz .LBB134_1002
.LBB134_984:
	s_or_b32 exec_lo, exec_lo, s31
	s_and_saveexec_b32 s31, s30
	s_cbranch_execz .LBB134_986
.LBB134_985:
	v_and_b32_e32 v4, 0xffff, v5
	s_delay_alu instid0(VALU_DEP_1) | instskip(SKIP_1) | instid1(VALU_DEP_2)
	v_and_b32_e32 v6, 7, v4
	v_bfe_u32 v9, v4, 3, 4
	v_clz_i32_u32_e32 v7, v6
	s_delay_alu instid0(VALU_DEP_2) | instskip(NEXT) | instid1(VALU_DEP_2)
	v_cmp_eq_u32_e32 vcc_lo, 0, v9
	v_min_u32_e32 v7, 32, v7
	s_delay_alu instid0(VALU_DEP_1) | instskip(NEXT) | instid1(VALU_DEP_1)
	v_subrev_nc_u32_e32 v8, 28, v7
	v_dual_lshlrev_b32 v4, v8, v4 :: v_dual_sub_nc_u32 v7, 29, v7
	s_delay_alu instid0(VALU_DEP_1) | instskip(NEXT) | instid1(VALU_DEP_1)
	v_dual_lshlrev_b32 v5, 24, v5 :: v_dual_bitop2_b32 v4, 7, v4 bitop3:0x40
	v_dual_cndmask_b32 v7, v9, v7 :: v_dual_cndmask_b32 v4, v6, v4
	s_delay_alu instid0(VALU_DEP_2) | instskip(NEXT) | instid1(VALU_DEP_2)
	v_and_b32_e32 v5, 0x80000000, v5
	v_lshl_add_u32 v6, v7, 23, 0x3b800000
	s_delay_alu instid0(VALU_DEP_3) | instskip(NEXT) | instid1(VALU_DEP_1)
	v_lshlrev_b32_e32 v4, 20, v4
	v_or3_b32 v4, v5, v6, v4
.LBB134_986:
	s_or_b32 exec_lo, exec_lo, s31
.LBB134_987:
	v_mov_b32_e32 v5, 0
	s_mov_b32 s30, -1
.LBB134_988:
	s_mov_b32 s31, 0
.LBB134_989:
	s_delay_alu instid0(SALU_CYCLE_1)
	s_and_b32 vcc_lo, exec_lo, s31
	s_cbranch_vccz .LBB134_1025
; %bb.990:
	s_cmp_gt_i32 s29, 22
	s_cbranch_scc0 .LBB134_1000
; %bb.991:
	s_cmp_lt_i32 s29, 24
	s_cbranch_scc1 .LBB134_1003
; %bb.992:
	s_cmp_gt_i32 s29, 24
	s_cbranch_scc0 .LBB134_1004
; %bb.993:
	global_load_u8 v5, v[2:3], off
	s_mov_b32 s30, 0
	s_mov_b32 s31, exec_lo
	s_wait_loadcnt 0x0
	v_cmpx_lt_i16_e32 0x7f, v5
	s_xor_b32 s31, exec_lo, s31
	s_cbranch_execz .LBB134_1016
; %bb.994:
	s_mov_b32 s30, -1
	s_mov_b32 s33, exec_lo
	v_cmpx_eq_u16_e32 0x80, v5
; %bb.995:
	s_xor_b32 s30, exec_lo, -1
; %bb.996:
	s_or_b32 exec_lo, exec_lo, s33
	s_delay_alu instid0(SALU_CYCLE_1)
	s_and_b32 s30, s30, exec_lo
	s_or_saveexec_b32 s31, s31
	v_mov_b32_e32 v4, 0x7f800001
	s_xor_b32 exec_lo, exec_lo, s31
	s_cbranch_execnz .LBB134_1017
.LBB134_997:
	s_or_b32 exec_lo, exec_lo, s31
	s_and_saveexec_b32 s31, s30
	s_cbranch_execz .LBB134_999
.LBB134_998:
	v_and_b32_e32 v4, 0xffff, v5
	s_delay_alu instid0(VALU_DEP_1) | instskip(SKIP_1) | instid1(VALU_DEP_2)
	v_and_b32_e32 v6, 3, v4
	v_bfe_u32 v9, v4, 2, 5
	v_clz_i32_u32_e32 v7, v6
	s_delay_alu instid0(VALU_DEP_2) | instskip(NEXT) | instid1(VALU_DEP_2)
	v_cmp_eq_u32_e32 vcc_lo, 0, v9
	v_min_u32_e32 v7, 32, v7
	s_delay_alu instid0(VALU_DEP_1) | instskip(NEXT) | instid1(VALU_DEP_1)
	v_subrev_nc_u32_e32 v8, 29, v7
	v_dual_lshlrev_b32 v4, v8, v4 :: v_dual_sub_nc_u32 v7, 30, v7
	s_delay_alu instid0(VALU_DEP_1) | instskip(NEXT) | instid1(VALU_DEP_1)
	v_dual_lshlrev_b32 v5, 24, v5 :: v_dual_bitop2_b32 v4, 3, v4 bitop3:0x40
	v_dual_cndmask_b32 v7, v9, v7 :: v_dual_cndmask_b32 v4, v6, v4
	s_delay_alu instid0(VALU_DEP_2) | instskip(NEXT) | instid1(VALU_DEP_2)
	v_and_b32_e32 v5, 0x80000000, v5
	v_lshl_add_u32 v6, v7, 23, 0x37800000
	s_delay_alu instid0(VALU_DEP_3) | instskip(NEXT) | instid1(VALU_DEP_1)
	v_lshlrev_b32_e32 v4, 21, v4
	v_or3_b32 v4, v5, v6, v4
.LBB134_999:
	s_or_b32 exec_lo, exec_lo, s31
	s_mov_b32 s30, 0
	s_branch .LBB134_1005
.LBB134_1000:
	s_mov_b32 s31, -1
                                        ; implicit-def: $vgpr4
	s_branch .LBB134_1011
.LBB134_1001:
	s_or_saveexec_b32 s31, s31
	v_mov_b32_e32 v4, 0x7f800001
	s_xor_b32 exec_lo, exec_lo, s31
	s_cbranch_execz .LBB134_984
.LBB134_1002:
	v_cmp_ne_u16_e32 vcc_lo, 0, v5
	v_mov_b32_e32 v4, 0
	s_and_not1_b32 s30, s30, exec_lo
	s_and_b32 s33, vcc_lo, exec_lo
	s_delay_alu instid0(SALU_CYCLE_1)
	s_or_b32 s30, s30, s33
	s_or_b32 exec_lo, exec_lo, s31
	s_and_saveexec_b32 s31, s30
	s_cbranch_execnz .LBB134_985
	s_branch .LBB134_986
.LBB134_1003:
	s_mov_b32 s30, -1
                                        ; implicit-def: $vgpr4
	s_branch .LBB134_1008
.LBB134_1004:
	s_mov_b32 s30, -1
                                        ; implicit-def: $vgpr4
.LBB134_1005:
	s_delay_alu instid0(SALU_CYCLE_1)
	s_and_b32 vcc_lo, exec_lo, s30
	s_cbranch_vccz .LBB134_1007
; %bb.1006:
	global_load_u8 v4, v[2:3], off
	s_wait_loadcnt 0x0
	v_lshlrev_b32_e32 v4, 24, v4
	s_delay_alu instid0(VALU_DEP_1) | instskip(NEXT) | instid1(VALU_DEP_1)
	v_and_b32_e32 v5, 0x7f000000, v4
	v_clz_i32_u32_e32 v6, v5
	v_cmp_ne_u32_e32 vcc_lo, 0, v5
	v_add_nc_u32_e32 v8, 0x1000000, v5
	s_delay_alu instid0(VALU_DEP_3) | instskip(NEXT) | instid1(VALU_DEP_1)
	v_min_u32_e32 v6, 32, v6
	v_sub_nc_u32_e64 v6, v6, 4 clamp
	s_delay_alu instid0(VALU_DEP_1) | instskip(NEXT) | instid1(VALU_DEP_1)
	v_dual_lshlrev_b32 v7, v6, v5 :: v_dual_lshlrev_b32 v6, 23, v6
	v_lshrrev_b32_e32 v7, 4, v7
	s_delay_alu instid0(VALU_DEP_1) | instskip(NEXT) | instid1(VALU_DEP_1)
	v_dual_sub_nc_u32 v6, v7, v6 :: v_dual_ashrrev_i32 v7, 8, v8
	v_add_nc_u32_e32 v6, 0x3c000000, v6
	s_delay_alu instid0(VALU_DEP_1) | instskip(NEXT) | instid1(VALU_DEP_1)
	v_and_or_b32 v6, 0x7f800000, v7, v6
	v_cndmask_b32_e32 v5, 0, v6, vcc_lo
	s_delay_alu instid0(VALU_DEP_1)
	v_and_or_b32 v4, 0x80000000, v4, v5
.LBB134_1007:
	s_mov_b32 s30, 0
.LBB134_1008:
	s_delay_alu instid0(SALU_CYCLE_1)
	s_and_not1_b32 vcc_lo, exec_lo, s30
	s_cbranch_vccnz .LBB134_1010
; %bb.1009:
	global_load_u8 v4, v[2:3], off
	s_wait_loadcnt 0x0
	v_lshlrev_b32_e32 v5, 25, v4
	v_lshlrev_b16 v4, 8, v4
	s_delay_alu instid0(VALU_DEP_1) | instskip(SKIP_1) | instid1(VALU_DEP_2)
	v_and_or_b32 v7, 0x7f00, v4, 0.5
	v_bfe_i32 v4, v4, 0, 16
	v_dual_add_f32 v7, -0.5, v7 :: v_dual_lshrrev_b32 v6, 4, v5
	v_cmp_gt_u32_e32 vcc_lo, 0x8000000, v5
	s_delay_alu instid0(VALU_DEP_2) | instskip(NEXT) | instid1(VALU_DEP_1)
	v_or_b32_e32 v6, 0x70000000, v6
	v_mul_f32_e32 v6, 0x7800000, v6
	s_delay_alu instid0(VALU_DEP_1) | instskip(NEXT) | instid1(VALU_DEP_1)
	v_cndmask_b32_e32 v5, v6, v7, vcc_lo
	v_and_or_b32 v4, 0x80000000, v4, v5
.LBB134_1010:
	s_mov_b32 s31, 0
	s_mov_b32 s30, -1
.LBB134_1011:
	s_and_not1_b32 vcc_lo, exec_lo, s31
	s_cbranch_vccnz .LBB134_1024
; %bb.1012:
	s_cmp_gt_i32 s29, 14
	s_cbranch_scc0 .LBB134_1015
; %bb.1013:
	s_cmp_eq_u32 s29, 15
	s_cbranch_scc0 .LBB134_1018
; %bb.1014:
	global_load_u16 v4, v[2:3], off
	s_mov_b32 s30, -1
	s_mov_b32 s28, 0
	s_wait_loadcnt 0x0
	v_lshlrev_b32_e32 v4, 16, v4
	s_branch .LBB134_1019
.LBB134_1015:
	s_mov_b32 s31, -1
                                        ; implicit-def: $vgpr4
	s_branch .LBB134_1020
.LBB134_1016:
	s_or_saveexec_b32 s31, s31
	v_mov_b32_e32 v4, 0x7f800001
	s_xor_b32 exec_lo, exec_lo, s31
	s_cbranch_execz .LBB134_997
.LBB134_1017:
	v_cmp_ne_u16_e32 vcc_lo, 0, v5
	v_mov_b32_e32 v4, 0
	s_and_not1_b32 s30, s30, exec_lo
	s_and_b32 s33, vcc_lo, exec_lo
	s_delay_alu instid0(SALU_CYCLE_1)
	s_or_b32 s30, s30, s33
	s_or_b32 exec_lo, exec_lo, s31
	s_and_saveexec_b32 s31, s30
	s_cbranch_execnz .LBB134_998
	s_branch .LBB134_999
.LBB134_1018:
	s_mov_b32 s28, -1
                                        ; implicit-def: $vgpr4
.LBB134_1019:
	s_mov_b32 s31, 0
.LBB134_1020:
	s_delay_alu instid0(SALU_CYCLE_1)
	s_and_b32 vcc_lo, exec_lo, s31
	s_cbranch_vccz .LBB134_1024
; %bb.1021:
	s_cmp_eq_u32 s29, 11
	s_cbranch_scc0 .LBB134_1023
; %bb.1022:
	global_load_u8 v4, v[2:3], off
	s_mov_b32 s28, 0
	s_mov_b32 s30, -1
	v_mov_b32_e32 v5, 0
	s_wait_loadcnt 0x0
	v_cmp_ne_u16_e32 vcc_lo, 0, v4
	v_cndmask_b32_e64 v4, 0, 1.0, vcc_lo
	s_branch .LBB134_1025
.LBB134_1023:
	s_mov_b32 s28, -1
                                        ; implicit-def: $vgpr4
.LBB134_1024:
	v_mov_b32_e32 v5, 0
.LBB134_1025:
	s_mov_b32 s29, 0
.LBB134_1026:
	s_delay_alu instid0(SALU_CYCLE_1)
	s_and_b32 vcc_lo, exec_lo, s29
	s_cbranch_vccz .LBB134_1077
; %bb.1027:
	s_and_b32 s0, 0xffff, s0
	s_delay_alu instid0(SALU_CYCLE_1)
	s_cmp_lt_i32 s0, 5
	s_cbranch_scc1 .LBB134_1032
; %bb.1028:
	s_cmp_lt_i32 s0, 8
	s_cbranch_scc1 .LBB134_1033
; %bb.1029:
	s_cmp_lt_i32 s0, 9
	s_cbranch_scc1 .LBB134_1034
; %bb.1030:
	s_cmp_gt_i32 s0, 9
	s_cbranch_scc0 .LBB134_1035
; %bb.1031:
	global_load_b128 v[4:7], v[2:3], off
	s_mov_b32 s29, 0
	s_wait_loadcnt 0x0
	v_cvt_f32_f64_e32 v4, v[4:5]
	v_cvt_f32_f64_e32 v5, v[6:7]
	s_branch .LBB134_1036
.LBB134_1032:
	s_mov_b32 s29, -1
                                        ; implicit-def: $vgpr5
	s_branch .LBB134_1055
.LBB134_1033:
	s_mov_b32 s29, -1
                                        ; implicit-def: $vgpr5
	s_branch .LBB134_1042
.LBB134_1034:
	s_mov_b32 s29, -1
                                        ; implicit-def: $vgpr5
	s_branch .LBB134_1039
.LBB134_1035:
	s_mov_b32 s29, -1
                                        ; implicit-def: $vgpr5
.LBB134_1036:
	s_delay_alu instid0(SALU_CYCLE_1)
	s_and_not1_b32 vcc_lo, exec_lo, s29
	s_cbranch_vccnz .LBB134_1038
; %bb.1037:
	global_load_b64 v[4:5], v[2:3], off
.LBB134_1038:
	s_mov_b32 s29, 0
.LBB134_1039:
	s_delay_alu instid0(SALU_CYCLE_1)
	s_and_not1_b32 vcc_lo, exec_lo, s29
	s_cbranch_vccnz .LBB134_1041
; %bb.1040:
	s_wait_loadcnt 0x0
	global_load_b32 v4, v[2:3], off
	s_wait_loadcnt 0x0
	v_lshrrev_b32_e32 v5, 16, v4
	v_cvt_f32_f16_e32 v4, v4
	s_delay_alu instid0(VALU_DEP_2)
	v_cvt_f32_f16_e32 v5, v5
.LBB134_1041:
	s_mov_b32 s29, 0
.LBB134_1042:
	s_delay_alu instid0(SALU_CYCLE_1)
	s_and_not1_b32 vcc_lo, exec_lo, s29
	s_cbranch_vccnz .LBB134_1054
; %bb.1043:
	s_cmp_lt_i32 s0, 6
	s_cbranch_scc1 .LBB134_1046
; %bb.1044:
	s_cmp_gt_i32 s0, 6
	s_cbranch_scc0 .LBB134_1047
; %bb.1045:
	s_wait_loadcnt 0x0
	global_load_b64 v[4:5], v[2:3], off
	s_mov_b32 s29, 0
	s_wait_loadcnt 0x0
	v_cvt_f32_f64_e32 v4, v[4:5]
	s_branch .LBB134_1048
.LBB134_1046:
	s_mov_b32 s29, -1
                                        ; implicit-def: $vgpr4
	s_branch .LBB134_1051
.LBB134_1047:
	s_mov_b32 s29, -1
                                        ; implicit-def: $vgpr4
.LBB134_1048:
	s_delay_alu instid0(SALU_CYCLE_1)
	s_and_not1_b32 vcc_lo, exec_lo, s29
	s_cbranch_vccnz .LBB134_1050
; %bb.1049:
	s_wait_loadcnt 0x0
	global_load_b32 v4, v[2:3], off
.LBB134_1050:
	s_mov_b32 s29, 0
.LBB134_1051:
	s_delay_alu instid0(SALU_CYCLE_1)
	s_and_not1_b32 vcc_lo, exec_lo, s29
	s_cbranch_vccnz .LBB134_1053
; %bb.1052:
	s_wait_loadcnt 0x0
	global_load_u16 v4, v[2:3], off
	s_wait_loadcnt 0x0
	v_cvt_f32_f16_e32 v4, v4
.LBB134_1053:
	s_wait_loadcnt 0x0
	v_mov_b32_e32 v5, 0
.LBB134_1054:
	s_mov_b32 s29, 0
.LBB134_1055:
	s_delay_alu instid0(SALU_CYCLE_1)
	s_and_not1_b32 vcc_lo, exec_lo, s29
	s_cbranch_vccnz .LBB134_1076
; %bb.1056:
	s_cmp_lt_i32 s0, 2
	s_cbranch_scc1 .LBB134_1060
; %bb.1057:
	s_cmp_lt_i32 s0, 3
	s_cbranch_scc1 .LBB134_1061
; %bb.1058:
	s_cmp_gt_i32 s0, 3
	s_cbranch_scc0 .LBB134_1062
; %bb.1059:
	s_wait_loadcnt 0x0
	global_load_b64 v[4:5], v[2:3], off
	s_mov_b32 s29, 0
	s_wait_loadcnt 0x0
	v_xor_b32_e32 v6, v4, v5
	v_cls_i32_e32 v7, v5
	s_delay_alu instid0(VALU_DEP_2) | instskip(NEXT) | instid1(VALU_DEP_1)
	v_ashrrev_i32_e32 v6, 31, v6
	v_add_nc_u32_e32 v6, 32, v6
	s_delay_alu instid0(VALU_DEP_1) | instskip(NEXT) | instid1(VALU_DEP_1)
	v_add_min_u32_e64 v6, v7, -1, v6
	v_lshlrev_b64_e32 v[4:5], v6, v[4:5]
	s_delay_alu instid0(VALU_DEP_1) | instskip(NEXT) | instid1(VALU_DEP_1)
	v_min_u32_e32 v4, 1, v4
	v_dual_sub_nc_u32 v5, 32, v6 :: v_dual_bitop2_b32 v4, v5, v4 bitop3:0x54
	s_delay_alu instid0(VALU_DEP_1) | instskip(NEXT) | instid1(VALU_DEP_1)
	v_cvt_f32_i32_e32 v4, v4
	v_ldexp_f32 v4, v4, v5
	s_branch .LBB134_1063
.LBB134_1060:
	s_mov_b32 s29, -1
                                        ; implicit-def: $vgpr4
	s_branch .LBB134_1069
.LBB134_1061:
	s_mov_b32 s29, -1
                                        ; implicit-def: $vgpr4
	s_branch .LBB134_1066
.LBB134_1062:
	s_mov_b32 s29, -1
                                        ; implicit-def: $vgpr4
.LBB134_1063:
	s_delay_alu instid0(SALU_CYCLE_1)
	s_and_not1_b32 vcc_lo, exec_lo, s29
	s_cbranch_vccnz .LBB134_1065
; %bb.1064:
	s_wait_loadcnt 0x0
	global_load_b32 v4, v[2:3], off
	s_wait_loadcnt 0x0
	v_cvt_f32_i32_e32 v4, v4
.LBB134_1065:
	s_mov_b32 s29, 0
.LBB134_1066:
	s_delay_alu instid0(SALU_CYCLE_1)
	s_and_not1_b32 vcc_lo, exec_lo, s29
	s_cbranch_vccnz .LBB134_1068
; %bb.1067:
	s_wait_loadcnt 0x0
	global_load_i16 v4, v[2:3], off
	s_wait_loadcnt 0x0
	v_cvt_f32_i32_e32 v4, v4
.LBB134_1068:
	s_mov_b32 s29, 0
.LBB134_1069:
	s_delay_alu instid0(SALU_CYCLE_1)
	s_and_not1_b32 vcc_lo, exec_lo, s29
	s_cbranch_vccnz .LBB134_1075
; %bb.1070:
	s_cmp_gt_i32 s0, 0
	s_mov_b32 s0, 0
	s_cbranch_scc0 .LBB134_1072
; %bb.1071:
	s_wait_loadcnt 0x0
	global_load_i8 v4, v[2:3], off
	s_wait_loadcnt 0x0
	v_cvt_f32_i32_e32 v4, v4
	s_branch .LBB134_1073
.LBB134_1072:
	s_mov_b32 s0, -1
                                        ; implicit-def: $vgpr4
.LBB134_1073:
	s_delay_alu instid0(SALU_CYCLE_1)
	s_and_not1_b32 vcc_lo, exec_lo, s0
	s_cbranch_vccnz .LBB134_1075
; %bb.1074:
	global_load_u8 v2, v[2:3], off
	s_wait_loadcnt 0x0
	v_cvt_f32_ubyte0_e32 v4, v2
.LBB134_1075:
	s_wait_loadcnt 0x0
	v_mov_b32_e32 v5, 0
.LBB134_1076:
	s_mov_b32 s30, -1
.LBB134_1077:
	s_delay_alu instid0(SALU_CYCLE_1)
	s_and_not1_b32 vcc_lo, exec_lo, s30
	s_cbranch_vccnz .LBB134_1080
; %bb.1078:
	s_and_not1_b32 vcc_lo, exec_lo, s16
	s_cbranch_vccnz .LBB134_1081
; %bb.1079:
	s_wait_loadcnt 0x0
	s_delay_alu instid0(VALU_DEP_2) | instskip(NEXT) | instid1(VALU_DEP_2)
	v_cmp_neq_f32_e32 vcc_lo, v0, v4
	v_cmp_neq_f32_e64 s0, v1, v5
	s_or_b32 s29, vcc_lo, s0
	s_mov_b32 s0, 0
	s_branch .LBB134_1082
.LBB134_1080:
	s_mov_b32 s30, 0
	s_mov_b32 s0, s23
	s_branch .LBB134_1207
.LBB134_1081:
	s_mov_b32 s0, -1
                                        ; implicit-def: $sgpr29
.LBB134_1082:
	s_delay_alu instid0(SALU_CYCLE_1)
	s_and_not1_b32 vcc_lo, exec_lo, s0
	s_cbranch_vccnz .LBB134_1084
; %bb.1083:
	s_wait_loadcnt 0x0
	s_delay_alu instid0(VALU_DEP_1) | instskip(NEXT) | instid1(VALU_DEP_3)
	v_cmp_eq_f32_e32 vcc_lo, v1, v5
	v_cmp_eq_f32_e64 s0, v0, v4
	s_and_not1_b32 s29, s29, exec_lo
	s_and_b32 s0, s0, vcc_lo
	s_delay_alu instid0(SALU_CYCLE_1) | instskip(NEXT) | instid1(SALU_CYCLE_1)
	s_and_b32 s0, s0, exec_lo
	s_or_b32 s29, s29, s0
.LBB134_1084:
	s_wait_loadcnt 0x0
	v_mul_lo_u32 v0, v10, s8
	s_and_b32 s30, s12, 0xff
	s_delay_alu instid0(SALU_CYCLE_1) | instskip(NEXT) | instid1(VALU_DEP_1)
	s_cmp_lt_i32 s30, 11
	v_ashrrev_i32_e32 v1, 31, v0
	s_delay_alu instid0(VALU_DEP_1)
	v_add_nc_u64_e32 v[0:1], s[4:5], v[0:1]
	s_cbranch_scc1 .LBB134_1091
; %bb.1085:
	s_and_b32 s31, 0xffff, s30
	s_delay_alu instid0(SALU_CYCLE_1)
	s_cmp_gt_i32 s31, 25
	s_cbranch_scc0 .LBB134_1092
; %bb.1086:
	s_cmp_gt_i32 s31, 28
	s_cbranch_scc0 .LBB134_1093
; %bb.1087:
	;; [unrolled: 3-line block ×4, first 2 shown]
	s_mov_b32 s34, 0
	s_mov_b32 s0, -1
	s_cmp_eq_u32 s31, 46
	s_mov_b32 s33, 0
	s_cbranch_scc0 .LBB134_1096
; %bb.1090:
	s_wait_xcnt 0x0
	v_cndmask_b32_e64 v2, 0, 1.0, s29
	s_mov_b32 s33, -1
	s_mov_b32 s0, 0
	s_delay_alu instid0(VALU_DEP_1) | instskip(NEXT) | instid1(VALU_DEP_1)
	v_bfe_u32 v3, v2, 16, 1
	v_add3_u32 v2, v2, v3, 0x7fff
	s_delay_alu instid0(VALU_DEP_1)
	v_lshrrev_b32_e32 v2, 16, v2
	global_store_b32 v[0:1], v2, off
	s_branch .LBB134_1096
.LBB134_1091:
	s_mov_b32 s31, -1
	s_mov_b32 s33, 0
	s_mov_b32 s0, s23
	s_branch .LBB134_1165
.LBB134_1092:
	s_mov_b32 s33, 0
	s_mov_b32 s0, s23
	s_branch .LBB134_1123
.LBB134_1093:
	s_mov_b32 s33, 0
	s_mov_b32 s0, s23
	s_branch .LBB134_1106
.LBB134_1094:
	s_mov_b32 s33, 0
	s_mov_b32 s0, s23
	s_branch .LBB134_1102
.LBB134_1095:
	s_mov_b32 s33, 0
	s_mov_b32 s0, s23
.LBB134_1096:
	s_and_b32 vcc_lo, exec_lo, s34
	s_cbranch_vccz .LBB134_1101
; %bb.1097:
	s_cmp_eq_u32 s31, 44
	s_mov_b32 s0, -1
	s_cbranch_scc0 .LBB134_1101
; %bb.1098:
	v_cndmask_b32_e64 v4, 0, 1.0, s29
	s_mov_b32 s33, exec_lo
	s_wait_xcnt 0x0
	s_delay_alu instid0(VALU_DEP_1) | instskip(NEXT) | instid1(VALU_DEP_1)
	v_dual_mov_b32 v3, 0xff :: v_dual_lshrrev_b32 v2, 23, v4
	v_cmpx_ne_u32_e32 0xff, v2
; %bb.1099:
	v_and_b32_e32 v3, 0x400000, v4
	v_and_or_b32 v4, 0x3fffff, v4, v2
	s_delay_alu instid0(VALU_DEP_2) | instskip(NEXT) | instid1(VALU_DEP_2)
	v_cmp_ne_u32_e32 vcc_lo, 0, v3
	v_cmp_ne_u32_e64 s0, 0, v4
	s_and_b32 s0, vcc_lo, s0
	s_delay_alu instid0(SALU_CYCLE_1) | instskip(NEXT) | instid1(VALU_DEP_1)
	v_cndmask_b32_e64 v3, 0, 1, s0
	v_add_nc_u32_e32 v3, v2, v3
; %bb.1100:
	s_or_b32 exec_lo, exec_lo, s33
	s_mov_b32 s33, -1
	s_mov_b32 s0, 0
	global_store_b8 v[0:1], v3, off
.LBB134_1101:
	s_mov_b32 s34, 0
.LBB134_1102:
	s_delay_alu instid0(SALU_CYCLE_1)
	s_and_b32 vcc_lo, exec_lo, s34
	s_cbranch_vccz .LBB134_1105
; %bb.1103:
	s_cmp_eq_u32 s31, 29
	s_mov_b32 s0, -1
	s_cbranch_scc0 .LBB134_1105
; %bb.1104:
	s_mov_b32 s0, 0
	s_wait_xcnt 0x0
	v_cndmask_b32_e64 v2, 0, 1, s29
	v_mov_b32_e32 v3, s0
	s_mov_b32 s33, -1
	s_mov_b32 s34, 0
	global_store_b64 v[0:1], v[2:3], off
	s_branch .LBB134_1106
.LBB134_1105:
	s_mov_b32 s34, 0
.LBB134_1106:
	s_delay_alu instid0(SALU_CYCLE_1)
	s_and_b32 vcc_lo, exec_lo, s34
	s_cbranch_vccz .LBB134_1122
; %bb.1107:
	s_cmp_lt_i32 s31, 27
	s_mov_b32 s33, -1
	s_cbranch_scc1 .LBB134_1113
; %bb.1108:
	s_cmp_gt_i32 s31, 27
	s_cbranch_scc0 .LBB134_1110
; %bb.1109:
	s_wait_xcnt 0x0
	v_cndmask_b32_e64 v2, 0, 1, s29
	s_mov_b32 s33, 0
	global_store_b32 v[0:1], v2, off
.LBB134_1110:
	s_and_not1_b32 vcc_lo, exec_lo, s33
	s_cbranch_vccnz .LBB134_1112
; %bb.1111:
	s_wait_xcnt 0x0
	v_cndmask_b32_e64 v2, 0, 1, s29
	global_store_b16 v[0:1], v2, off
.LBB134_1112:
	s_mov_b32 s33, 0
.LBB134_1113:
	s_delay_alu instid0(SALU_CYCLE_1)
	s_and_not1_b32 vcc_lo, exec_lo, s33
	s_cbranch_vccnz .LBB134_1121
; %bb.1114:
	s_wait_xcnt 0x0
	v_cndmask_b32_e64 v3, 0, 1.0, s29
	v_mov_b32_e32 v4, 0x80
	s_mov_b32 s33, exec_lo
	s_delay_alu instid0(VALU_DEP_2)
	v_cmpx_gt_u32_e32 0x43800000, v3
	s_cbranch_execz .LBB134_1120
; %bb.1115:
	s_mov_b32 s34, 0
	s_mov_b32 s35, exec_lo
                                        ; implicit-def: $vgpr2
	v_cmpx_lt_u32_e32 0x3bffffff, v3
	s_xor_b32 s35, exec_lo, s35
	s_cbranch_execz .LBB134_1223
; %bb.1116:
	v_bfe_u32 v2, v3, 20, 1
	s_mov_b32 s34, exec_lo
	s_delay_alu instid0(VALU_DEP_1) | instskip(NEXT) | instid1(VALU_DEP_1)
	v_add3_u32 v2, v3, v2, 0x487ffff
                                        ; implicit-def: $vgpr3
	v_lshrrev_b32_e32 v2, 20, v2
	s_and_not1_saveexec_b32 s35, s35
	s_cbranch_execnz .LBB134_1224
.LBB134_1117:
	s_or_b32 exec_lo, exec_lo, s35
	v_mov_b32_e32 v4, 0
	s_and_saveexec_b32 s35, s34
.LBB134_1118:
	v_mov_b32_e32 v4, v2
.LBB134_1119:
	s_or_b32 exec_lo, exec_lo, s35
.LBB134_1120:
	s_delay_alu instid0(SALU_CYCLE_1)
	s_or_b32 exec_lo, exec_lo, s33
	global_store_b8 v[0:1], v4, off
.LBB134_1121:
	s_mov_b32 s33, -1
.LBB134_1122:
	s_mov_b32 s34, 0
.LBB134_1123:
	s_delay_alu instid0(SALU_CYCLE_1)
	s_and_b32 vcc_lo, exec_lo, s34
	s_cbranch_vccz .LBB134_1164
; %bb.1124:
	s_cmp_gt_i32 s31, 22
	s_mov_b32 s34, -1
	s_cbranch_scc0 .LBB134_1156
; %bb.1125:
	s_cmp_lt_i32 s31, 24
	s_mov_b32 s33, -1
	s_cbranch_scc1 .LBB134_1145
; %bb.1126:
	s_cmp_gt_i32 s31, 24
	s_cbranch_scc0 .LBB134_1134
; %bb.1127:
	s_wait_xcnt 0x0
	v_cndmask_b32_e64 v3, 0, 1.0, s29
	v_mov_b32_e32 v4, 0x80
	s_mov_b32 s33, exec_lo
	s_delay_alu instid0(VALU_DEP_2)
	v_cmpx_gt_u32_e32 0x47800000, v3
	s_cbranch_execz .LBB134_1133
; %bb.1128:
	s_mov_b32 s34, 0
	s_mov_b32 s35, exec_lo
                                        ; implicit-def: $vgpr2
	v_cmpx_lt_u32_e32 0x37ffffff, v3
	s_xor_b32 s35, exec_lo, s35
	s_cbranch_execz .LBB134_2298
; %bb.1129:
	v_bfe_u32 v2, v3, 21, 1
	s_mov_b32 s34, exec_lo
	s_delay_alu instid0(VALU_DEP_1) | instskip(NEXT) | instid1(VALU_DEP_1)
	v_add3_u32 v2, v3, v2, 0x88fffff
                                        ; implicit-def: $vgpr3
	v_lshrrev_b32_e32 v2, 21, v2
	s_and_not1_saveexec_b32 s35, s35
	s_cbranch_execnz .LBB134_2299
.LBB134_1130:
	s_or_b32 exec_lo, exec_lo, s35
	v_mov_b32_e32 v4, 0
	s_and_saveexec_b32 s35, s34
.LBB134_1131:
	v_mov_b32_e32 v4, v2
.LBB134_1132:
	s_or_b32 exec_lo, exec_lo, s35
.LBB134_1133:
	s_delay_alu instid0(SALU_CYCLE_1)
	s_or_b32 exec_lo, exec_lo, s33
	s_mov_b32 s33, 0
	global_store_b8 v[0:1], v4, off
.LBB134_1134:
	s_and_b32 vcc_lo, exec_lo, s33
	s_cbranch_vccz .LBB134_1144
; %bb.1135:
	s_wait_xcnt 0x0
	v_cndmask_b32_e64 v3, 0, 1.0, s29
	s_mov_b32 s33, exec_lo
                                        ; implicit-def: $vgpr2
	s_delay_alu instid0(VALU_DEP_1)
	v_cmpx_gt_u32_e32 0x43f00000, v3
	s_xor_b32 s33, exec_lo, s33
	s_cbranch_execz .LBB134_1141
; %bb.1136:
	s_mov_b32 s34, exec_lo
                                        ; implicit-def: $vgpr2
	v_cmpx_lt_u32_e32 0x3c7fffff, v3
	s_xor_b32 s34, exec_lo, s34
; %bb.1137:
	v_bfe_u32 v2, v3, 20, 1
	s_delay_alu instid0(VALU_DEP_1) | instskip(NEXT) | instid1(VALU_DEP_1)
	v_add3_u32 v2, v3, v2, 0x407ffff
	v_and_b32_e32 v3, 0xff00000, v2
	v_lshrrev_b32_e32 v2, 20, v2
	s_delay_alu instid0(VALU_DEP_2) | instskip(NEXT) | instid1(VALU_DEP_2)
	v_cmp_ne_u32_e32 vcc_lo, 0x7f00000, v3
                                        ; implicit-def: $vgpr3
	v_cndmask_b32_e32 v2, 0x7e, v2, vcc_lo
; %bb.1138:
	s_and_not1_saveexec_b32 s34, s34
; %bb.1139:
	v_add_f32_e32 v2, 0x46800000, v3
; %bb.1140:
	s_or_b32 exec_lo, exec_lo, s34
                                        ; implicit-def: $vgpr3
.LBB134_1141:
	s_and_not1_saveexec_b32 s33, s33
; %bb.1142:
	v_mov_b32_e32 v2, 0x7f
	v_cmp_lt_u32_e32 vcc_lo, 0x7f800000, v3
	s_delay_alu instid0(VALU_DEP_2)
	v_cndmask_b32_e32 v2, 0x7e, v2, vcc_lo
; %bb.1143:
	s_or_b32 exec_lo, exec_lo, s33
	global_store_b8 v[0:1], v2, off
.LBB134_1144:
	s_mov_b32 s33, 0
.LBB134_1145:
	s_delay_alu instid0(SALU_CYCLE_1)
	s_and_not1_b32 vcc_lo, exec_lo, s33
	s_cbranch_vccnz .LBB134_1155
; %bb.1146:
	s_wait_xcnt 0x0
	v_cndmask_b32_e64 v3, 0, 1.0, s29
	s_mov_b32 s33, exec_lo
                                        ; implicit-def: $vgpr2
	s_delay_alu instid0(VALU_DEP_1)
	v_cmpx_gt_u32_e32 0x47800000, v3
	s_xor_b32 s33, exec_lo, s33
	s_cbranch_execz .LBB134_1152
; %bb.1147:
	s_mov_b32 s34, exec_lo
                                        ; implicit-def: $vgpr2
	v_cmpx_lt_u32_e32 0x387fffff, v3
	s_xor_b32 s34, exec_lo, s34
; %bb.1148:
	v_bfe_u32 v2, v3, 21, 1
	s_delay_alu instid0(VALU_DEP_1) | instskip(NEXT) | instid1(VALU_DEP_1)
	v_add3_u32 v2, v3, v2, 0x80fffff
                                        ; implicit-def: $vgpr3
	v_lshrrev_b32_e32 v2, 21, v2
; %bb.1149:
	s_and_not1_saveexec_b32 s34, s34
; %bb.1150:
	v_add_f32_e32 v2, 0x43000000, v3
; %bb.1151:
	s_or_b32 exec_lo, exec_lo, s34
                                        ; implicit-def: $vgpr3
.LBB134_1152:
	s_and_not1_saveexec_b32 s33, s33
; %bb.1153:
	v_mov_b32_e32 v2, 0x7f
	v_cmp_lt_u32_e32 vcc_lo, 0x7f800000, v3
	s_delay_alu instid0(VALU_DEP_2)
	v_cndmask_b32_e32 v2, 0x7c, v2, vcc_lo
; %bb.1154:
	s_or_b32 exec_lo, exec_lo, s33
	global_store_b8 v[0:1], v2, off
.LBB134_1155:
	s_mov_b32 s34, 0
	s_mov_b32 s33, -1
.LBB134_1156:
	s_and_not1_b32 vcc_lo, exec_lo, s34
	s_cbranch_vccnz .LBB134_1164
; %bb.1157:
	s_cmp_gt_i32 s31, 14
	s_mov_b32 s34, -1
	s_cbranch_scc0 .LBB134_1161
; %bb.1158:
	s_cmp_eq_u32 s31, 15
	s_mov_b32 s0, -1
	s_cbranch_scc0 .LBB134_1160
; %bb.1159:
	s_wait_xcnt 0x0
	v_cndmask_b32_e64 v2, 0, 1.0, s29
	s_mov_b32 s33, -1
	s_mov_b32 s0, 0
	s_delay_alu instid0(VALU_DEP_1) | instskip(NEXT) | instid1(VALU_DEP_1)
	v_bfe_u32 v3, v2, 16, 1
	v_add3_u32 v2, v2, v3, 0x7fff
	global_store_d16_hi_b16 v[0:1], v2, off
.LBB134_1160:
	s_mov_b32 s34, 0
.LBB134_1161:
	s_delay_alu instid0(SALU_CYCLE_1)
	s_and_b32 vcc_lo, exec_lo, s34
	s_cbranch_vccz .LBB134_1164
; %bb.1162:
	s_cmp_eq_u32 s31, 11
	s_mov_b32 s0, -1
	s_cbranch_scc0 .LBB134_1164
; %bb.1163:
	s_wait_xcnt 0x0
	v_cndmask_b32_e64 v2, 0, 1, s29
	s_mov_b32 s33, -1
	s_mov_b32 s0, 0
	global_store_b8 v[0:1], v2, off
.LBB134_1164:
	s_mov_b32 s31, 0
.LBB134_1165:
	s_delay_alu instid0(SALU_CYCLE_1)
	s_and_b32 vcc_lo, exec_lo, s31
	s_cbranch_vccz .LBB134_1204
; %bb.1166:
	s_and_b32 s30, 0xffff, s30
	s_mov_b32 s31, -1
	s_cmp_lt_i32 s30, 5
	s_cbranch_scc1 .LBB134_1187
; %bb.1167:
	s_cmp_lt_i32 s30, 8
	s_cbranch_scc1 .LBB134_1177
; %bb.1168:
	;; [unrolled: 3-line block ×3, first 2 shown]
	s_cmp_gt_i32 s30, 9
	s_cbranch_scc0 .LBB134_1171
; %bb.1170:
	s_wait_xcnt 0x0
	v_cndmask_b32_e64 v2, 0, 1, s29
	v_mov_b32_e32 v4, 0
	s_mov_b32 s31, 0
	s_delay_alu instid0(VALU_DEP_2) | instskip(NEXT) | instid1(VALU_DEP_2)
	v_cvt_f64_u32_e32 v[2:3], v2
	v_mov_b32_e32 v5, v4
	global_store_b128 v[0:1], v[2:5], off
.LBB134_1171:
	s_and_not1_b32 vcc_lo, exec_lo, s31
	s_cbranch_vccnz .LBB134_1173
; %bb.1172:
	s_wait_xcnt 0x0
	v_cndmask_b32_e64 v2, 0, 1.0, s29
	v_mov_b32_e32 v3, 0
	global_store_b64 v[0:1], v[2:3], off
.LBB134_1173:
	s_mov_b32 s31, 0
.LBB134_1174:
	s_delay_alu instid0(SALU_CYCLE_1)
	s_and_not1_b32 vcc_lo, exec_lo, s31
	s_cbranch_vccnz .LBB134_1176
; %bb.1175:
	s_wait_xcnt 0x0
	v_cndmask_b32_e64 v2, 0, 1.0, s29
	s_delay_alu instid0(VALU_DEP_1) | instskip(NEXT) | instid1(VALU_DEP_1)
	v_cvt_f16_f32_e32 v2, v2
	v_and_b32_e32 v2, 0xffff, v2
	global_store_b32 v[0:1], v2, off
.LBB134_1176:
	s_mov_b32 s31, 0
.LBB134_1177:
	s_delay_alu instid0(SALU_CYCLE_1)
	s_and_not1_b32 vcc_lo, exec_lo, s31
	s_cbranch_vccnz .LBB134_1186
; %bb.1178:
	s_cmp_lt_i32 s30, 6
	s_mov_b32 s31, -1
	s_cbranch_scc1 .LBB134_1184
; %bb.1179:
	s_cmp_gt_i32 s30, 6
	s_cbranch_scc0 .LBB134_1181
; %bb.1180:
	s_wait_xcnt 0x0
	v_cndmask_b32_e64 v2, 0, 1, s29
	s_mov_b32 s31, 0
	s_delay_alu instid0(VALU_DEP_1)
	v_cvt_f64_u32_e32 v[2:3], v2
	global_store_b64 v[0:1], v[2:3], off
.LBB134_1181:
	s_and_not1_b32 vcc_lo, exec_lo, s31
	s_cbranch_vccnz .LBB134_1183
; %bb.1182:
	s_wait_xcnt 0x0
	v_cndmask_b32_e64 v2, 0, 1.0, s29
	global_store_b32 v[0:1], v2, off
.LBB134_1183:
	s_mov_b32 s31, 0
.LBB134_1184:
	s_delay_alu instid0(SALU_CYCLE_1)
	s_and_not1_b32 vcc_lo, exec_lo, s31
	s_cbranch_vccnz .LBB134_1186
; %bb.1185:
	s_wait_xcnt 0x0
	v_cndmask_b32_e64 v2, 0, 1.0, s29
	s_delay_alu instid0(VALU_DEP_1)
	v_cvt_f16_f32_e32 v2, v2
	global_store_b16 v[0:1], v2, off
.LBB134_1186:
	s_mov_b32 s31, 0
.LBB134_1187:
	s_delay_alu instid0(SALU_CYCLE_1)
	s_and_not1_b32 vcc_lo, exec_lo, s31
	s_cbranch_vccnz .LBB134_1203
; %bb.1188:
	s_cmp_lt_i32 s30, 2
	s_mov_b32 s31, -1
	s_cbranch_scc1 .LBB134_1198
; %bb.1189:
	s_cmp_lt_i32 s30, 3
	s_cbranch_scc1 .LBB134_1195
; %bb.1190:
	s_cmp_gt_i32 s30, 3
	s_cbranch_scc0 .LBB134_1192
; %bb.1191:
	s_mov_b32 s31, 0
	s_wait_xcnt 0x0
	v_cndmask_b32_e64 v2, 0, 1, s29
	v_mov_b32_e32 v3, s31
	global_store_b64 v[0:1], v[2:3], off
.LBB134_1192:
	s_and_not1_b32 vcc_lo, exec_lo, s31
	s_cbranch_vccnz .LBB134_1194
; %bb.1193:
	s_wait_xcnt 0x0
	v_cndmask_b32_e64 v2, 0, 1, s29
	global_store_b32 v[0:1], v2, off
.LBB134_1194:
	s_mov_b32 s31, 0
.LBB134_1195:
	s_delay_alu instid0(SALU_CYCLE_1)
	s_and_not1_b32 vcc_lo, exec_lo, s31
	s_cbranch_vccnz .LBB134_1197
; %bb.1196:
	s_wait_xcnt 0x0
	v_cndmask_b32_e64 v2, 0, 1, s29
	global_store_b16 v[0:1], v2, off
.LBB134_1197:
	s_mov_b32 s31, 0
.LBB134_1198:
	s_delay_alu instid0(SALU_CYCLE_1)
	s_and_not1_b32 vcc_lo, exec_lo, s31
	s_cbranch_vccnz .LBB134_1203
; %bb.1199:
	s_wait_xcnt 0x0
	v_cndmask_b32_e64 v2, 0, 1, s29
	s_cmp_gt_i32 s30, 0
	s_mov_b32 s29, -1
	s_cbranch_scc0 .LBB134_1201
; %bb.1200:
	s_mov_b32 s29, 0
	global_store_b8 v[0:1], v2, off
.LBB134_1201:
	s_and_not1_b32 vcc_lo, exec_lo, s29
	s_cbranch_vccnz .LBB134_1203
; %bb.1202:
	global_store_b8 v[0:1], v2, off
.LBB134_1203:
	s_mov_b32 s33, -1
.LBB134_1204:
	s_delay_alu instid0(SALU_CYCLE_1)
	s_and_not1_b32 vcc_lo, exec_lo, s33
	s_cbranch_vccnz .LBB134_1206
; %bb.1205:
	v_add_nc_u32_e32 v10, 0x80, v10
	s_mov_b32 s30, -1
	s_branch .LBB134_1208
.LBB134_1206:
	s_mov_b32 s30, 0
.LBB134_1207:
                                        ; implicit-def: $vgpr10
.LBB134_1208:
	s_and_not1_b32 s29, s23, exec_lo
	s_and_b32 s0, s0, exec_lo
	s_and_b32 s28, s28, exec_lo
	s_or_b32 s29, s29, s0
	s_and_not1_b32 s0, s24, exec_lo
	s_and_not1_b32 s31, s22, exec_lo
	s_and_b32 s27, s27, exec_lo
	s_or_b32 s28, s0, s28
	s_or_b32 s27, s31, s27
	s_or_not1_b32 s34, s30, exec_lo
.LBB134_1209:
	s_wait_xcnt 0x0
	s_or_b32 exec_lo, exec_lo, s26
	s_mov_b32 s30, 0
	s_mov_b32 s31, 0
	;; [unrolled: 1-line block ×3, first 2 shown]
                                        ; implicit-def: $sgpr0
                                        ; implicit-def: $vgpr2_vgpr3
                                        ; implicit-def: $vgpr1
	s_and_saveexec_b32 s26, s34
	s_cbranch_execz .LBB134_1295
; %bb.1210:
	v_cmp_gt_i32_e32 vcc_lo, s17, v10
	s_mov_b32 s35, s27
	s_mov_b32 s34, 0
	;; [unrolled: 1-line block ×3, first 2 shown]
                                        ; implicit-def: $sgpr0
                                        ; implicit-def: $vgpr2_vgpr3
                                        ; implicit-def: $vgpr1
	s_and_saveexec_b32 s17, vcc_lo
	s_cbranch_execz .LBB134_1294
; %bb.1211:
	s_wait_loadcnt 0x0
	v_mul_lo_u32 v0, v10, s9
	s_and_b32 s0, s14, 0xff
	s_delay_alu instid0(SALU_CYCLE_1) | instskip(NEXT) | instid1(VALU_DEP_1)
	s_cmp_lt_i32 s0, 11
	v_ashrrev_i32_e32 v1, 31, v0
	s_delay_alu instid0(VALU_DEP_1)
	v_add_nc_u64_e32 v[2:3], s[6:7], v[0:1]
	s_cbranch_scc1 .LBB134_1218
; %bb.1212:
	s_and_b32 s30, 0xffff, s0
	s_delay_alu instid0(SALU_CYCLE_1)
	s_cmp_gt_i32 s30, 25
	s_cbranch_scc0 .LBB134_1219
; %bb.1213:
	s_cmp_gt_i32 s30, 28
	s_cbranch_scc0 .LBB134_1220
; %bb.1214:
	;; [unrolled: 3-line block ×4, first 2 shown]
	s_cmp_eq_u32 s30, 46
	s_mov_b32 s35, 0
	s_cbranch_scc0 .LBB134_1225
; %bb.1217:
	global_load_b32 v0, v[2:3], off
	s_mov_b32 s34, -1
	s_wait_loadcnt 0x0
	v_and_b32_e32 v1, 0xffff0000, v0
	v_lshlrev_b32_e32 v0, 16, v0
	s_branch .LBB134_1227
.LBB134_1218:
	s_mov_b32 s30, -1
	s_mov_b32 s31, s27
                                        ; implicit-def: $vgpr1
	s_branch .LBB134_1293
.LBB134_1219:
	s_mov_b32 s35, -1
	s_mov_b32 s31, s27
                                        ; implicit-def: $vgpr1
	s_branch .LBB134_1258
.LBB134_1220:
	s_mov_b32 s35, -1
	s_mov_b32 s31, s27
                                        ; implicit-def: $vgpr1
	s_branch .LBB134_1239
.LBB134_1221:
	s_mov_b32 s35, -1
	s_mov_b32 s31, s27
                                        ; implicit-def: $vgpr1
	s_branch .LBB134_1233
.LBB134_1222:
	s_mov_b32 s35, -1
	s_mov_b32 s31, s27
	s_branch .LBB134_1226
.LBB134_1223:
	s_and_not1_saveexec_b32 s35, s35
	s_cbranch_execz .LBB134_1117
.LBB134_1224:
	v_add_f32_e32 v2, 0x46000000, v3
	s_and_not1_b32 s34, s34, exec_lo
	s_delay_alu instid0(VALU_DEP_1) | instskip(NEXT) | instid1(VALU_DEP_1)
	v_and_b32_e32 v2, 0xff, v2
	v_cmp_ne_u32_e32 vcc_lo, 0, v2
	s_and_b32 s36, vcc_lo, exec_lo
	s_delay_alu instid0(SALU_CYCLE_1)
	s_or_b32 s34, s34, s36
	s_or_b32 exec_lo, exec_lo, s35
	v_mov_b32_e32 v4, 0
	s_and_saveexec_b32 s35, s34
	s_cbranch_execnz .LBB134_1118
	s_branch .LBB134_1119
.LBB134_1225:
	s_mov_b32 s31, -1
.LBB134_1226:
                                        ; implicit-def: $vgpr1
.LBB134_1227:
	s_and_b32 vcc_lo, exec_lo, s35
	s_cbranch_vccz .LBB134_1232
; %bb.1228:
	s_cmp_eq_u32 s30, 44
	s_cbranch_scc0 .LBB134_1230
; %bb.1229:
	global_load_u8 v0, v[2:3], off
	s_mov_b32 s31, 0
	s_mov_b32 s34, -1
	s_wait_loadcnt 0x0
	v_lshlrev_b32_e32 v1, 23, v0
	v_cmp_ne_u32_e32 vcc_lo, 0xff, v0
	s_delay_alu instid0(VALU_DEP_2) | instskip(SKIP_1) | instid1(VALU_DEP_2)
	v_cndmask_b32_e32 v1, 0x7f800001, v1, vcc_lo
	v_cmp_ne_u32_e32 vcc_lo, 0, v0
	v_cndmask_b32_e32 v0, 0x400000, v1, vcc_lo
	s_branch .LBB134_1231
.LBB134_1230:
	s_mov_b32 s31, -1
                                        ; implicit-def: $vgpr0
.LBB134_1231:
	v_mov_b32_e32 v1, 0
.LBB134_1232:
	s_mov_b32 s35, 0
.LBB134_1233:
	s_delay_alu instid0(SALU_CYCLE_1)
	s_and_b32 vcc_lo, exec_lo, s35
	s_cbranch_vccz .LBB134_1238
; %bb.1234:
	s_cmp_eq_u32 s30, 29
	s_cbranch_scc0 .LBB134_1236
; %bb.1235:
	global_load_b64 v[0:1], v[2:3], off
	s_mov_b32 s31, 0
	s_mov_b32 s34, -1
	s_wait_loadcnt 0x0
	v_clz_i32_u32_e32 v4, v1
	s_delay_alu instid0(VALU_DEP_1) | instskip(NEXT) | instid1(VALU_DEP_1)
	v_min_u32_e32 v4, 32, v4
	v_lshlrev_b64_e32 v[0:1], v4, v[0:1]
	s_delay_alu instid0(VALU_DEP_1) | instskip(NEXT) | instid1(VALU_DEP_1)
	v_min_u32_e32 v0, 1, v0
	v_or_b32_e32 v0, v1, v0
	v_sub_nc_u32_e32 v1, 32, v4
	s_delay_alu instid0(VALU_DEP_2) | instskip(NEXT) | instid1(VALU_DEP_1)
	v_cvt_f32_u32_e32 v0, v0
	v_ldexp_f32 v0, v0, v1
	s_branch .LBB134_1237
.LBB134_1236:
	s_mov_b32 s31, -1
                                        ; implicit-def: $vgpr0
.LBB134_1237:
	v_mov_b32_e32 v1, 0
.LBB134_1238:
	s_mov_b32 s35, 0
.LBB134_1239:
	s_delay_alu instid0(SALU_CYCLE_1)
	s_and_b32 vcc_lo, exec_lo, s35
	s_cbranch_vccz .LBB134_1257
; %bb.1240:
	s_cmp_lt_i32 s30, 27
	s_cbranch_scc1 .LBB134_1243
; %bb.1241:
	s_cmp_gt_i32 s30, 27
	s_cbranch_scc0 .LBB134_1244
; %bb.1242:
	global_load_b32 v0, v[2:3], off
	s_mov_b32 s34, 0
	s_wait_loadcnt 0x0
	v_cvt_f32_u32_e32 v0, v0
	s_branch .LBB134_1245
.LBB134_1243:
	s_mov_b32 s34, -1
                                        ; implicit-def: $vgpr0
	s_branch .LBB134_1248
.LBB134_1244:
	s_mov_b32 s34, -1
                                        ; implicit-def: $vgpr0
.LBB134_1245:
	s_delay_alu instid0(SALU_CYCLE_1)
	s_and_not1_b32 vcc_lo, exec_lo, s34
	s_cbranch_vccnz .LBB134_1247
; %bb.1246:
	global_load_u16 v0, v[2:3], off
	s_wait_loadcnt 0x0
	v_cvt_f32_u32_e32 v0, v0
.LBB134_1247:
	s_mov_b32 s34, 0
.LBB134_1248:
	s_delay_alu instid0(SALU_CYCLE_1)
	s_and_not1_b32 vcc_lo, exec_lo, s34
	s_cbranch_vccnz .LBB134_1256
; %bb.1249:
	global_load_u8 v1, v[2:3], off
	s_mov_b32 s34, 0
	s_mov_b32 s35, exec_lo
	s_wait_loadcnt 0x0
	v_cmpx_lt_i16_e32 0x7f, v1
	s_xor_b32 s35, exec_lo, s35
	s_cbranch_execz .LBB134_1270
; %bb.1250:
	s_mov_b32 s34, -1
	s_mov_b32 s36, exec_lo
	v_cmpx_eq_u16_e32 0x80, v1
; %bb.1251:
	s_xor_b32 s34, exec_lo, -1
; %bb.1252:
	s_or_b32 exec_lo, exec_lo, s36
	s_delay_alu instid0(SALU_CYCLE_1)
	s_and_b32 s34, s34, exec_lo
	s_or_saveexec_b32 s35, s35
	v_mov_b32_e32 v0, 0x7f800001
	s_xor_b32 exec_lo, exec_lo, s35
	s_cbranch_execnz .LBB134_1271
.LBB134_1253:
	s_or_b32 exec_lo, exec_lo, s35
	s_and_saveexec_b32 s35, s34
	s_cbranch_execz .LBB134_1255
.LBB134_1254:
	v_and_b32_e32 v0, 0xffff, v1
	s_delay_alu instid0(VALU_DEP_1) | instskip(SKIP_1) | instid1(VALU_DEP_2)
	v_and_b32_e32 v4, 7, v0
	v_bfe_u32 v7, v0, 3, 4
	v_clz_i32_u32_e32 v5, v4
	s_delay_alu instid0(VALU_DEP_2) | instskip(NEXT) | instid1(VALU_DEP_2)
	v_cmp_eq_u32_e32 vcc_lo, 0, v7
	v_min_u32_e32 v5, 32, v5
	s_delay_alu instid0(VALU_DEP_1) | instskip(NEXT) | instid1(VALU_DEP_1)
	v_subrev_nc_u32_e32 v6, 28, v5
	v_dual_lshlrev_b32 v0, v6, v0 :: v_dual_sub_nc_u32 v5, 29, v5
	s_delay_alu instid0(VALU_DEP_1) | instskip(NEXT) | instid1(VALU_DEP_1)
	v_dual_lshlrev_b32 v1, 24, v1 :: v_dual_bitop2_b32 v0, 7, v0 bitop3:0x40
	v_dual_cndmask_b32 v0, v4, v0 :: v_dual_cndmask_b32 v5, v7, v5
	s_delay_alu instid0(VALU_DEP_2) | instskip(NEXT) | instid1(VALU_DEP_2)
	v_and_b32_e32 v1, 0x80000000, v1
	v_lshlrev_b32_e32 v0, 20, v0
	s_delay_alu instid0(VALU_DEP_3) | instskip(NEXT) | instid1(VALU_DEP_1)
	v_lshl_add_u32 v4, v5, 23, 0x3b800000
	v_or3_b32 v0, v1, v4, v0
.LBB134_1255:
	s_or_b32 exec_lo, exec_lo, s35
.LBB134_1256:
	v_mov_b32_e32 v1, 0
	s_mov_b32 s34, -1
.LBB134_1257:
	s_mov_b32 s35, 0
.LBB134_1258:
	s_delay_alu instid0(SALU_CYCLE_1)
	s_and_b32 vcc_lo, exec_lo, s35
	s_cbranch_vccz .LBB134_1292
; %bb.1259:
	s_cmp_gt_i32 s30, 22
	s_cbranch_scc0 .LBB134_1269
; %bb.1260:
	s_cmp_lt_i32 s30, 24
	s_cbranch_scc1 .LBB134_1272
; %bb.1261:
	s_cmp_gt_i32 s30, 24
	s_cbranch_scc0 .LBB134_1273
; %bb.1262:
	global_load_u8 v1, v[2:3], off
	s_mov_b32 s34, exec_lo
	s_wait_loadcnt 0x0
	v_cmpx_lt_i16_e32 0x7f, v1
	s_xor_b32 s34, exec_lo, s34
	s_cbranch_execz .LBB134_1285
; %bb.1263:
	s_mov_b32 s33, -1
	s_mov_b32 s35, exec_lo
	v_cmpx_eq_u16_e32 0x80, v1
; %bb.1264:
	s_xor_b32 s33, exec_lo, -1
; %bb.1265:
	s_or_b32 exec_lo, exec_lo, s35
	s_delay_alu instid0(SALU_CYCLE_1)
	s_and_b32 s33, s33, exec_lo
	s_or_saveexec_b32 s34, s34
	v_mov_b32_e32 v0, 0x7f800001
	s_xor_b32 exec_lo, exec_lo, s34
	s_cbranch_execnz .LBB134_1286
.LBB134_1266:
	s_or_b32 exec_lo, exec_lo, s34
	s_and_saveexec_b32 s34, s33
	s_cbranch_execz .LBB134_1268
.LBB134_1267:
	v_and_b32_e32 v0, 0xffff, v1
	s_delay_alu instid0(VALU_DEP_1) | instskip(SKIP_1) | instid1(VALU_DEP_2)
	v_and_b32_e32 v4, 3, v0
	v_bfe_u32 v7, v0, 2, 5
	v_clz_i32_u32_e32 v5, v4
	s_delay_alu instid0(VALU_DEP_2) | instskip(NEXT) | instid1(VALU_DEP_2)
	v_cmp_eq_u32_e32 vcc_lo, 0, v7
	v_min_u32_e32 v5, 32, v5
	s_delay_alu instid0(VALU_DEP_1) | instskip(NEXT) | instid1(VALU_DEP_1)
	v_subrev_nc_u32_e32 v6, 29, v5
	v_dual_lshlrev_b32 v0, v6, v0 :: v_dual_sub_nc_u32 v5, 30, v5
	s_delay_alu instid0(VALU_DEP_1) | instskip(NEXT) | instid1(VALU_DEP_1)
	v_dual_lshlrev_b32 v1, 24, v1 :: v_dual_bitop2_b32 v0, 3, v0 bitop3:0x40
	v_dual_cndmask_b32 v0, v4, v0 :: v_dual_cndmask_b32 v5, v7, v5
	s_delay_alu instid0(VALU_DEP_2) | instskip(NEXT) | instid1(VALU_DEP_2)
	v_and_b32_e32 v1, 0x80000000, v1
	v_lshlrev_b32_e32 v0, 21, v0
	s_delay_alu instid0(VALU_DEP_3) | instskip(NEXT) | instid1(VALU_DEP_1)
	v_lshl_add_u32 v4, v5, 23, 0x37800000
	v_or3_b32 v0, v1, v4, v0
.LBB134_1268:
	s_or_b32 exec_lo, exec_lo, s34
	s_mov_b32 s33, 0
	s_branch .LBB134_1274
.LBB134_1269:
	s_mov_b32 s33, -1
                                        ; implicit-def: $vgpr0
	s_branch .LBB134_1280
.LBB134_1270:
	s_or_saveexec_b32 s35, s35
	v_mov_b32_e32 v0, 0x7f800001
	s_xor_b32 exec_lo, exec_lo, s35
	s_cbranch_execz .LBB134_1253
.LBB134_1271:
	v_cmp_ne_u16_e32 vcc_lo, 0, v1
	v_mov_b32_e32 v0, 0
	s_and_not1_b32 s34, s34, exec_lo
	s_and_b32 s36, vcc_lo, exec_lo
	s_delay_alu instid0(SALU_CYCLE_1)
	s_or_b32 s34, s34, s36
	s_or_b32 exec_lo, exec_lo, s35
	s_and_saveexec_b32 s35, s34
	s_cbranch_execnz .LBB134_1254
	s_branch .LBB134_1255
.LBB134_1272:
	s_mov_b32 s33, -1
                                        ; implicit-def: $vgpr0
	s_branch .LBB134_1277
.LBB134_1273:
	s_mov_b32 s33, -1
                                        ; implicit-def: $vgpr0
.LBB134_1274:
	s_delay_alu instid0(SALU_CYCLE_1)
	s_and_b32 vcc_lo, exec_lo, s33
	s_cbranch_vccz .LBB134_1276
; %bb.1275:
	global_load_u8 v0, v[2:3], off
	s_wait_loadcnt 0x0
	v_lshlrev_b32_e32 v0, 24, v0
	s_delay_alu instid0(VALU_DEP_1) | instskip(NEXT) | instid1(VALU_DEP_1)
	v_and_b32_e32 v1, 0x7f000000, v0
	v_clz_i32_u32_e32 v4, v1
	v_cmp_ne_u32_e32 vcc_lo, 0, v1
	v_add_nc_u32_e32 v6, 0x1000000, v1
	s_delay_alu instid0(VALU_DEP_3) | instskip(NEXT) | instid1(VALU_DEP_1)
	v_min_u32_e32 v4, 32, v4
	v_sub_nc_u32_e64 v4, v4, 4 clamp
	s_delay_alu instid0(VALU_DEP_1) | instskip(NEXT) | instid1(VALU_DEP_1)
	v_dual_lshlrev_b32 v5, v4, v1 :: v_dual_lshlrev_b32 v4, 23, v4
	v_lshrrev_b32_e32 v5, 4, v5
	s_delay_alu instid0(VALU_DEP_1) | instskip(NEXT) | instid1(VALU_DEP_1)
	v_dual_sub_nc_u32 v4, v5, v4 :: v_dual_ashrrev_i32 v5, 8, v6
	v_add_nc_u32_e32 v4, 0x3c000000, v4
	s_delay_alu instid0(VALU_DEP_1) | instskip(NEXT) | instid1(VALU_DEP_1)
	v_and_or_b32 v4, 0x7f800000, v5, v4
	v_cndmask_b32_e32 v1, 0, v4, vcc_lo
	s_delay_alu instid0(VALU_DEP_1)
	v_and_or_b32 v0, 0x80000000, v0, v1
.LBB134_1276:
	s_mov_b32 s33, 0
.LBB134_1277:
	s_delay_alu instid0(SALU_CYCLE_1)
	s_and_not1_b32 vcc_lo, exec_lo, s33
	s_cbranch_vccnz .LBB134_1279
; %bb.1278:
	global_load_u8 v0, v[2:3], off
	s_wait_loadcnt 0x0
	v_lshlrev_b32_e32 v1, 25, v0
	v_lshlrev_b16 v0, 8, v0
	s_delay_alu instid0(VALU_DEP_1) | instskip(SKIP_1) | instid1(VALU_DEP_2)
	v_and_or_b32 v5, 0x7f00, v0, 0.5
	v_bfe_i32 v0, v0, 0, 16
	v_add_f32_e32 v5, -0.5, v5
	v_lshrrev_b32_e32 v4, 4, v1
	v_cmp_gt_u32_e32 vcc_lo, 0x8000000, v1
	s_delay_alu instid0(VALU_DEP_2) | instskip(NEXT) | instid1(VALU_DEP_1)
	v_or_b32_e32 v4, 0x70000000, v4
	v_mul_f32_e32 v4, 0x7800000, v4
	s_delay_alu instid0(VALU_DEP_1) | instskip(NEXT) | instid1(VALU_DEP_1)
	v_cndmask_b32_e32 v1, v4, v5, vcc_lo
	v_and_or_b32 v0, 0x80000000, v0, v1
.LBB134_1279:
	s_mov_b32 s33, 0
	s_mov_b32 s34, -1
.LBB134_1280:
	s_and_not1_b32 vcc_lo, exec_lo, s33
	s_mov_b32 s33, 0
	s_cbranch_vccnz .LBB134_1291
; %bb.1281:
	s_cmp_gt_i32 s30, 14
	s_cbranch_scc0 .LBB134_1284
; %bb.1282:
	s_cmp_eq_u32 s30, 15
	s_cbranch_scc0 .LBB134_1287
; %bb.1283:
	global_load_u16 v0, v[2:3], off
	s_mov_b32 s31, 0
	s_mov_b32 s34, -1
	s_wait_loadcnt 0x0
	v_lshlrev_b32_e32 v0, 16, v0
	s_branch .LBB134_1289
.LBB134_1284:
	s_mov_b32 s33, -1
	s_branch .LBB134_1288
.LBB134_1285:
	s_or_saveexec_b32 s34, s34
	v_mov_b32_e32 v0, 0x7f800001
	s_xor_b32 exec_lo, exec_lo, s34
	s_cbranch_execz .LBB134_1266
.LBB134_1286:
	v_cmp_ne_u16_e32 vcc_lo, 0, v1
	v_mov_b32_e32 v0, 0
	s_and_not1_b32 s33, s33, exec_lo
	s_and_b32 s35, vcc_lo, exec_lo
	s_delay_alu instid0(SALU_CYCLE_1)
	s_or_b32 s33, s33, s35
	s_or_b32 exec_lo, exec_lo, s34
	s_and_saveexec_b32 s34, s33
	s_cbranch_execnz .LBB134_1267
	s_branch .LBB134_1268
.LBB134_1287:
	s_mov_b32 s31, -1
.LBB134_1288:
                                        ; implicit-def: $vgpr0
.LBB134_1289:
	s_and_b32 vcc_lo, exec_lo, s33
	s_mov_b32 s33, 0
	s_cbranch_vccz .LBB134_1291
; %bb.1290:
	s_cmp_lg_u32 s30, 11
	s_mov_b32 s33, -1
	s_cselect_b32 s30, -1, 0
	s_and_not1_b32 s31, s31, exec_lo
	s_and_b32 s30, s30, exec_lo
	s_delay_alu instid0(SALU_CYCLE_1)
	s_or_b32 s31, s31, s30
.LBB134_1291:
	v_mov_b32_e32 v1, 0
.LBB134_1292:
	s_mov_b32 s30, 0
.LBB134_1293:
	s_and_not1_b32 s35, s27, exec_lo
	s_and_b32 s31, s31, exec_lo
	s_and_b32 s36, s34, exec_lo
	s_and_b32 s34, s30, exec_lo
	s_and_b32 s30, s33, exec_lo
	s_or_b32 s35, s35, s31
.LBB134_1294:
	s_wait_xcnt 0x0
	s_or_b32 exec_lo, exec_lo, s17
	s_delay_alu instid0(SALU_CYCLE_1)
	s_and_not1_b32 s17, s27, exec_lo
	s_and_b32 s27, s35, exec_lo
	s_and_b32 s33, s36, exec_lo
	;; [unrolled: 1-line block ×4, first 2 shown]
	s_or_b32 s27, s17, s27
.LBB134_1295:
	s_or_b32 exec_lo, exec_lo, s26
	s_delay_alu instid0(SALU_CYCLE_1)
	s_and_not1_b32 s17, s23, exec_lo
	s_and_b32 s23, s29, exec_lo
	s_and_not1_b32 s24, s24, exec_lo
	s_and_b32 s26, s28, exec_lo
	s_or_b32 s23, s17, s23
	s_and_not1_b32 s17, s22, exec_lo
	s_and_b32 s22, s27, exec_lo
	s_or_b32 s24, s24, s26
	s_and_b32 s29, s33, exec_lo
	s_and_b32 s28, s31, exec_lo
	;; [unrolled: 1-line block ×3, first 2 shown]
	s_or_b32 s22, s17, s22
.LBB134_1296:
	s_or_b32 exec_lo, exec_lo, s25
	s_delay_alu instid0(SALU_CYCLE_1)
	s_and_not1_b32 s17, s18, exec_lo
	s_and_b32 s18, s23, exec_lo
	s_and_not1_b32 s19, s19, exec_lo
	s_and_b32 s23, s24, exec_lo
	s_or_b32 s18, s17, s18
	s_and_not1_b32 s17, s20, exec_lo
	s_and_b32 s20, s22, exec_lo
	s_or_b32 s19, s19, s23
	s_and_b32 s23, s29, exec_lo
	s_and_b32 s24, s28, exec_lo
	;; [unrolled: 1-line block ×3, first 2 shown]
	s_or_b32 s20, s17, s20
	s_or_b32 exec_lo, exec_lo, s21
	s_mov_b32 s17, 0
	s_and_saveexec_b32 s21, s20
	s_cbranch_execz .LBB134_405
.LBB134_1297:
	s_mov_b32 s17, exec_lo
	s_and_not1_b32 s22, s22, exec_lo
	s_trap 2
	s_or_b32 exec_lo, exec_lo, s21
	s_and_saveexec_b32 s20, s22
	s_delay_alu instid0(SALU_CYCLE_1)
	s_xor_b32 s20, exec_lo, s20
	s_cbranch_execnz .LBB134_406
.LBB134_1298:
	s_or_b32 exec_lo, exec_lo, s20
	s_and_saveexec_b32 s20, s24
	s_cbranch_execz .LBB134_1346
.LBB134_1299:
	s_sext_i32_i16 s21, s0
	s_delay_alu instid0(SALU_CYCLE_1)
	s_cmp_lt_i32 s21, 5
	s_cbranch_scc1 .LBB134_1304
; %bb.1300:
	s_cmp_lt_i32 s21, 8
	s_cbranch_scc1 .LBB134_1305
; %bb.1301:
	s_cmp_lt_i32 s21, 9
	s_cbranch_scc1 .LBB134_1306
; %bb.1302:
	s_cmp_gt_i32 s21, 9
	s_cbranch_scc0 .LBB134_1307
; %bb.1303:
	s_wait_loadcnt 0x0
	global_load_b128 v[4:7], v[2:3], off
	s_mov_b32 s21, 0
	s_wait_loadcnt 0x0
	v_cvt_f32_f64_e32 v0, v[4:5]
	v_cvt_f32_f64_e32 v1, v[6:7]
	s_branch .LBB134_1308
.LBB134_1304:
                                        ; implicit-def: $vgpr1
	s_branch .LBB134_1326
.LBB134_1305:
                                        ; implicit-def: $vgpr1
	s_branch .LBB134_1314
.LBB134_1306:
	s_mov_b32 s21, -1
                                        ; implicit-def: $vgpr1
	s_branch .LBB134_1311
.LBB134_1307:
	s_mov_b32 s21, -1
                                        ; implicit-def: $vgpr1
.LBB134_1308:
	s_delay_alu instid0(SALU_CYCLE_1)
	s_and_not1_b32 vcc_lo, exec_lo, s21
	s_cbranch_vccnz .LBB134_1310
; %bb.1309:
	s_wait_loadcnt 0x0
	global_load_b64 v[0:1], v[2:3], off
.LBB134_1310:
	s_mov_b32 s21, 0
.LBB134_1311:
	s_delay_alu instid0(SALU_CYCLE_1)
	s_and_not1_b32 vcc_lo, exec_lo, s21
	s_cbranch_vccnz .LBB134_1313
; %bb.1312:
	s_wait_loadcnt 0x0
	global_load_b32 v0, v[2:3], off
	s_wait_loadcnt 0x0
	v_lshrrev_b32_e32 v1, 16, v0
	v_cvt_f32_f16_e32 v0, v0
	s_delay_alu instid0(VALU_DEP_2)
	v_cvt_f32_f16_e32 v1, v1
.LBB134_1313:
	s_cbranch_execnz .LBB134_1325
.LBB134_1314:
	s_sext_i32_i16 s21, s0
	s_delay_alu instid0(SALU_CYCLE_1)
	s_cmp_lt_i32 s21, 6
	s_cbranch_scc1 .LBB134_1317
; %bb.1315:
	s_cmp_gt_i32 s21, 6
	s_cbranch_scc0 .LBB134_1318
; %bb.1316:
	s_wait_loadcnt 0x0
	global_load_b64 v[0:1], v[2:3], off
	s_mov_b32 s21, 0
	s_wait_loadcnt 0x0
	v_cvt_f32_f64_e32 v0, v[0:1]
	s_branch .LBB134_1319
.LBB134_1317:
	s_mov_b32 s21, -1
                                        ; implicit-def: $vgpr0
	s_branch .LBB134_1322
.LBB134_1318:
	s_mov_b32 s21, -1
                                        ; implicit-def: $vgpr0
.LBB134_1319:
	s_delay_alu instid0(SALU_CYCLE_1)
	s_and_not1_b32 vcc_lo, exec_lo, s21
	s_cbranch_vccnz .LBB134_1321
; %bb.1320:
	s_wait_loadcnt 0x0
	global_load_b32 v0, v[2:3], off
.LBB134_1321:
	s_mov_b32 s21, 0
.LBB134_1322:
	s_delay_alu instid0(SALU_CYCLE_1)
	s_and_not1_b32 vcc_lo, exec_lo, s21
	s_cbranch_vccnz .LBB134_1324
; %bb.1323:
	s_wait_loadcnt 0x0
	global_load_u16 v0, v[2:3], off
	s_wait_loadcnt 0x0
	v_cvt_f32_f16_e32 v0, v0
.LBB134_1324:
	s_wait_loadcnt 0x0
	v_mov_b32_e32 v1, 0
.LBB134_1325:
	s_cbranch_execnz .LBB134_1345
.LBB134_1326:
	s_sext_i32_i16 s21, s0
	s_delay_alu instid0(SALU_CYCLE_1)
	s_cmp_lt_i32 s21, 2
	s_cbranch_scc1 .LBB134_1330
; %bb.1327:
	s_cmp_lt_i32 s21, 3
	s_cbranch_scc1 .LBB134_1331
; %bb.1328:
	s_cmp_gt_i32 s21, 3
	s_cbranch_scc0 .LBB134_1332
; %bb.1329:
	s_wait_loadcnt 0x0
	global_load_b64 v[0:1], v[2:3], off
	s_mov_b32 s21, 0
	s_wait_loadcnt 0x0
	v_xor_b32_e32 v4, v0, v1
	v_cls_i32_e32 v5, v1
	s_delay_alu instid0(VALU_DEP_2) | instskip(NEXT) | instid1(VALU_DEP_1)
	v_ashrrev_i32_e32 v4, 31, v4
	v_add_nc_u32_e32 v4, 32, v4
	s_delay_alu instid0(VALU_DEP_1) | instskip(NEXT) | instid1(VALU_DEP_1)
	v_add_min_u32_e64 v4, v5, -1, v4
	v_lshlrev_b64_e32 v[0:1], v4, v[0:1]
	s_delay_alu instid0(VALU_DEP_1) | instskip(NEXT) | instid1(VALU_DEP_1)
	v_min_u32_e32 v0, 1, v0
	v_or_b32_e32 v0, v1, v0
	v_sub_nc_u32_e32 v1, 32, v4
	s_delay_alu instid0(VALU_DEP_2) | instskip(NEXT) | instid1(VALU_DEP_1)
	v_cvt_f32_i32_e32 v0, v0
	v_ldexp_f32 v0, v0, v1
	s_branch .LBB134_1333
.LBB134_1330:
                                        ; implicit-def: $vgpr0
	s_branch .LBB134_1339
.LBB134_1331:
	s_mov_b32 s21, -1
                                        ; implicit-def: $vgpr0
	s_branch .LBB134_1336
.LBB134_1332:
	s_mov_b32 s21, -1
                                        ; implicit-def: $vgpr0
.LBB134_1333:
	s_delay_alu instid0(SALU_CYCLE_1)
	s_and_not1_b32 vcc_lo, exec_lo, s21
	s_cbranch_vccnz .LBB134_1335
; %bb.1334:
	s_wait_loadcnt 0x0
	global_load_b32 v0, v[2:3], off
	s_wait_loadcnt 0x0
	v_cvt_f32_i32_e32 v0, v0
.LBB134_1335:
	s_mov_b32 s21, 0
.LBB134_1336:
	s_delay_alu instid0(SALU_CYCLE_1)
	s_and_not1_b32 vcc_lo, exec_lo, s21
	s_cbranch_vccnz .LBB134_1338
; %bb.1337:
	s_wait_loadcnt 0x0
	global_load_i16 v0, v[2:3], off
	s_wait_loadcnt 0x0
	v_cvt_f32_i32_e32 v0, v0
.LBB134_1338:
	s_cbranch_execnz .LBB134_1344
.LBB134_1339:
	s_sext_i32_i16 s0, s0
	s_delay_alu instid0(SALU_CYCLE_1)
	s_cmp_gt_i32 s0, 0
	s_mov_b32 s0, 0
	s_cbranch_scc0 .LBB134_1341
; %bb.1340:
	s_wait_loadcnt 0x0
	global_load_i8 v0, v[2:3], off
	s_wait_loadcnt 0x0
	v_cvt_f32_i32_e32 v0, v0
	s_branch .LBB134_1342
.LBB134_1341:
	s_mov_b32 s0, -1
                                        ; implicit-def: $vgpr0
.LBB134_1342:
	s_delay_alu instid0(SALU_CYCLE_1)
	s_and_not1_b32 vcc_lo, exec_lo, s0
	s_cbranch_vccnz .LBB134_1344
; %bb.1343:
	s_wait_loadcnt 0x0
	global_load_u8 v0, v[2:3], off
	s_wait_loadcnt 0x0
	v_cvt_f32_ubyte0_e32 v0, v0
.LBB134_1344:
	s_wait_loadcnt 0x0
	v_mov_b32_e32 v1, 0
.LBB134_1345:
	s_or_b32 s23, s23, exec_lo
.LBB134_1346:
	s_wait_xcnt 0x0
	s_or_b32 exec_lo, exec_lo, s20
	s_mov_b32 s22, 0
	s_mov_b32 s21, 0
	;; [unrolled: 1-line block ×3, first 2 shown]
                                        ; implicit-def: $sgpr0
                                        ; implicit-def: $vgpr2_vgpr3
                                        ; implicit-def: $vgpr5
	s_and_saveexec_b32 s20, s23
	s_cbranch_execz .LBB134_1354
; %bb.1347:
	v_mul_lo_u32 v2, v10, s10
	s_and_b32 s0, s1, 0xff
	s_delay_alu instid0(SALU_CYCLE_1) | instskip(NEXT) | instid1(VALU_DEP_1)
	s_cmp_lt_i32 s0, 11
	v_ashrrev_i32_e32 v3, 31, v2
	s_delay_alu instid0(VALU_DEP_1)
	v_add_nc_u64_e32 v[2:3], s[2:3], v[2:3]
	s_cbranch_scc1 .LBB134_1357
; %bb.1348:
	s_and_b32 s21, 0xffff, s0
	s_mov_b32 s23, 0
	s_cmp_gt_i32 s21, 25
	s_cbranch_scc0 .LBB134_1358
; %bb.1349:
	s_cmp_gt_i32 s21, 28
	s_cbranch_scc0 .LBB134_1359
; %bb.1350:
	;; [unrolled: 3-line block ×4, first 2 shown]
	s_cmp_eq_u32 s21, 46
	s_mov_b32 s25, 0
	s_cbranch_scc0 .LBB134_1362
; %bb.1353:
	s_wait_loadcnt 0x0
	global_load_b32 v4, v[2:3], off
	s_mov_b32 s24, -1
	s_wait_loadcnt 0x0
	v_and_b32_e32 v5, 0xffff0000, v4
	v_lshlrev_b32_e32 v4, 16, v4
	s_branch .LBB134_1364
.LBB134_1354:
	s_or_b32 exec_lo, exec_lo, s20
	s_and_saveexec_b32 s20, s19
	s_cbranch_execnz .LBB134_1430
.LBB134_1355:
	s_or_b32 exec_lo, exec_lo, s20
	s_and_saveexec_b32 s19, s22
	s_delay_alu instid0(SALU_CYCLE_1)
	s_xor_b32 s19, exec_lo, s19
	s_cbranch_execz .LBB134_1431
.LBB134_1356:
	s_wait_loadcnt 0x0
	global_load_u8 v4, v[2:3], off
	v_mov_b32_e32 v5, 0
	s_or_b32 s24, s24, exec_lo
	s_wait_loadcnt 0x0
	v_cmp_ne_u16_e32 vcc_lo, 0, v4
	v_cndmask_b32_e64 v4, 0, 1.0, vcc_lo
	s_wait_xcnt 0x0
	s_or_b32 exec_lo, exec_lo, s19
	s_and_saveexec_b32 s19, s21
	s_cbranch_execz .LBB134_1479
	s_branch .LBB134_1432
.LBB134_1357:
	s_mov_b32 s21, -1
	s_mov_b32 s23, 0
	s_mov_b32 s22, s19
                                        ; implicit-def: $vgpr5
	s_branch .LBB134_1429
.LBB134_1358:
	s_mov_b32 s22, s19
                                        ; implicit-def: $vgpr5
	s_cbranch_execnz .LBB134_1395
	s_branch .LBB134_1428
.LBB134_1359:
	s_mov_b32 s25, -1
	s_mov_b32 s22, s19
                                        ; implicit-def: $vgpr5
	s_branch .LBB134_1376
.LBB134_1360:
	s_mov_b32 s25, -1
	s_mov_b32 s22, s19
                                        ; implicit-def: $vgpr5
	s_branch .LBB134_1370
.LBB134_1361:
	s_mov_b32 s25, -1
	s_mov_b32 s22, s19
	s_branch .LBB134_1363
.LBB134_1362:
	s_mov_b32 s22, -1
.LBB134_1363:
                                        ; implicit-def: $vgpr5
.LBB134_1364:
	s_and_b32 vcc_lo, exec_lo, s25
	s_cbranch_vccz .LBB134_1369
; %bb.1365:
	s_cmp_eq_u32 s21, 44
	s_cbranch_scc0 .LBB134_1367
; %bb.1366:
	s_wait_loadcnt 0x0
	global_load_u8 v4, v[2:3], off
	s_mov_b32 s22, 0
	s_mov_b32 s24, -1
	s_wait_loadcnt 0x0
	v_lshlrev_b32_e32 v5, 23, v4
	v_cmp_ne_u32_e32 vcc_lo, 0xff, v4
	s_delay_alu instid0(VALU_DEP_2) | instskip(SKIP_1) | instid1(VALU_DEP_2)
	v_cndmask_b32_e32 v5, 0x7f800001, v5, vcc_lo
	v_cmp_ne_u32_e32 vcc_lo, 0, v4
	v_cndmask_b32_e32 v4, 0x400000, v5, vcc_lo
	s_branch .LBB134_1368
.LBB134_1367:
	s_mov_b32 s22, -1
                                        ; implicit-def: $vgpr4
.LBB134_1368:
	s_wait_loadcnt 0x0
	v_mov_b32_e32 v5, 0
.LBB134_1369:
	s_mov_b32 s25, 0
.LBB134_1370:
	s_delay_alu instid0(SALU_CYCLE_1)
	s_and_b32 vcc_lo, exec_lo, s25
	s_cbranch_vccz .LBB134_1375
; %bb.1371:
	s_cmp_eq_u32 s21, 29
	s_cbranch_scc0 .LBB134_1373
; %bb.1372:
	s_wait_loadcnt 0x0
	global_load_b64 v[4:5], v[2:3], off
	s_mov_b32 s22, 0
	s_mov_b32 s24, -1
	s_wait_loadcnt 0x0
	v_clz_i32_u32_e32 v6, v5
	s_delay_alu instid0(VALU_DEP_1) | instskip(NEXT) | instid1(VALU_DEP_1)
	v_min_u32_e32 v6, 32, v6
	v_lshlrev_b64_e32 v[4:5], v6, v[4:5]
	s_delay_alu instid0(VALU_DEP_1) | instskip(NEXT) | instid1(VALU_DEP_1)
	v_min_u32_e32 v4, 1, v4
	v_dual_sub_nc_u32 v5, 32, v6 :: v_dual_bitop2_b32 v4, v5, v4 bitop3:0x54
	s_delay_alu instid0(VALU_DEP_1) | instskip(NEXT) | instid1(VALU_DEP_1)
	v_cvt_f32_u32_e32 v4, v4
	v_ldexp_f32 v4, v4, v5
	s_branch .LBB134_1374
.LBB134_1373:
	s_mov_b32 s22, -1
                                        ; implicit-def: $vgpr4
.LBB134_1374:
	s_wait_loadcnt 0x0
	v_mov_b32_e32 v5, 0
.LBB134_1375:
	s_mov_b32 s25, 0
.LBB134_1376:
	s_delay_alu instid0(SALU_CYCLE_1)
	s_and_b32 vcc_lo, exec_lo, s25
	s_cbranch_vccz .LBB134_1394
; %bb.1377:
	s_cmp_lt_i32 s21, 27
	s_cbranch_scc1 .LBB134_1380
; %bb.1378:
	s_cmp_gt_i32 s21, 27
	s_cbranch_scc0 .LBB134_1381
; %bb.1379:
	s_wait_loadcnt 0x0
	global_load_b32 v4, v[2:3], off
	s_mov_b32 s24, 0
	s_wait_loadcnt 0x0
	v_cvt_f32_u32_e32 v4, v4
	s_branch .LBB134_1382
.LBB134_1380:
	s_mov_b32 s24, -1
                                        ; implicit-def: $vgpr4
	s_branch .LBB134_1385
.LBB134_1381:
	s_mov_b32 s24, -1
                                        ; implicit-def: $vgpr4
.LBB134_1382:
	s_delay_alu instid0(SALU_CYCLE_1)
	s_and_not1_b32 vcc_lo, exec_lo, s24
	s_cbranch_vccnz .LBB134_1384
; %bb.1383:
	s_wait_loadcnt 0x0
	global_load_u16 v4, v[2:3], off
	s_wait_loadcnt 0x0
	v_cvt_f32_u32_e32 v4, v4
.LBB134_1384:
	s_mov_b32 s24, 0
.LBB134_1385:
	s_delay_alu instid0(SALU_CYCLE_1)
	s_and_not1_b32 vcc_lo, exec_lo, s24
	s_cbranch_vccnz .LBB134_1393
; %bb.1386:
	s_wait_loadcnt 0x0
	global_load_u8 v5, v[2:3], off
	s_mov_b32 s24, 0
	s_mov_b32 s25, exec_lo
	s_wait_loadcnt 0x0
	v_cmpx_lt_i16_e32 0x7f, v5
	s_xor_b32 s25, exec_lo, s25
	s_cbranch_execz .LBB134_1406
; %bb.1387:
	s_mov_b32 s24, -1
	s_mov_b32 s26, exec_lo
	v_cmpx_eq_u16_e32 0x80, v5
; %bb.1388:
	s_xor_b32 s24, exec_lo, -1
; %bb.1389:
	s_or_b32 exec_lo, exec_lo, s26
	s_delay_alu instid0(SALU_CYCLE_1)
	s_and_b32 s24, s24, exec_lo
	s_or_saveexec_b32 s25, s25
	v_mov_b32_e32 v4, 0x7f800001
	s_xor_b32 exec_lo, exec_lo, s25
	s_cbranch_execnz .LBB134_1407
.LBB134_1390:
	s_or_b32 exec_lo, exec_lo, s25
	s_and_saveexec_b32 s25, s24
	s_cbranch_execz .LBB134_1392
.LBB134_1391:
	v_and_b32_e32 v4, 0xffff, v5
	s_delay_alu instid0(VALU_DEP_1) | instskip(SKIP_1) | instid1(VALU_DEP_2)
	v_and_b32_e32 v6, 7, v4
	v_bfe_u32 v9, v4, 3, 4
	v_clz_i32_u32_e32 v7, v6
	s_delay_alu instid0(VALU_DEP_2) | instskip(NEXT) | instid1(VALU_DEP_2)
	v_cmp_eq_u32_e32 vcc_lo, 0, v9
	v_min_u32_e32 v7, 32, v7
	s_delay_alu instid0(VALU_DEP_1) | instskip(NEXT) | instid1(VALU_DEP_1)
	v_subrev_nc_u32_e32 v8, 28, v7
	v_dual_lshlrev_b32 v4, v8, v4 :: v_dual_sub_nc_u32 v7, 29, v7
	s_delay_alu instid0(VALU_DEP_1) | instskip(NEXT) | instid1(VALU_DEP_1)
	v_dual_lshlrev_b32 v5, 24, v5 :: v_dual_bitop2_b32 v4, 7, v4 bitop3:0x40
	v_dual_cndmask_b32 v7, v9, v7 :: v_dual_cndmask_b32 v4, v6, v4
	s_delay_alu instid0(VALU_DEP_2) | instskip(NEXT) | instid1(VALU_DEP_2)
	v_and_b32_e32 v5, 0x80000000, v5
	v_lshl_add_u32 v6, v7, 23, 0x3b800000
	s_delay_alu instid0(VALU_DEP_3) | instskip(NEXT) | instid1(VALU_DEP_1)
	v_lshlrev_b32_e32 v4, 20, v4
	v_or3_b32 v4, v5, v6, v4
.LBB134_1392:
	s_or_b32 exec_lo, exec_lo, s25
.LBB134_1393:
	s_wait_loadcnt 0x0
	v_mov_b32_e32 v5, 0
	s_mov_b32 s24, -1
.LBB134_1394:
	s_branch .LBB134_1428
.LBB134_1395:
	s_cmp_gt_i32 s21, 22
	s_cbranch_scc0 .LBB134_1405
; %bb.1396:
	s_cmp_lt_i32 s21, 24
	s_cbranch_scc1 .LBB134_1408
; %bb.1397:
	s_cmp_gt_i32 s21, 24
	s_cbranch_scc0 .LBB134_1409
; %bb.1398:
	s_wait_loadcnt 0x0
	global_load_u8 v5, v[2:3], off
	s_mov_b32 s24, exec_lo
	s_wait_loadcnt 0x0
	v_cmpx_lt_i16_e32 0x7f, v5
	s_xor_b32 s24, exec_lo, s24
	s_cbranch_execz .LBB134_1421
; %bb.1399:
	s_mov_b32 s23, -1
	s_mov_b32 s25, exec_lo
	v_cmpx_eq_u16_e32 0x80, v5
; %bb.1400:
	s_xor_b32 s23, exec_lo, -1
; %bb.1401:
	s_or_b32 exec_lo, exec_lo, s25
	s_delay_alu instid0(SALU_CYCLE_1)
	s_and_b32 s23, s23, exec_lo
	s_or_saveexec_b32 s24, s24
	v_mov_b32_e32 v4, 0x7f800001
	s_xor_b32 exec_lo, exec_lo, s24
	s_cbranch_execnz .LBB134_1422
.LBB134_1402:
	s_or_b32 exec_lo, exec_lo, s24
	s_and_saveexec_b32 s24, s23
	s_cbranch_execz .LBB134_1404
.LBB134_1403:
	v_and_b32_e32 v4, 0xffff, v5
	s_delay_alu instid0(VALU_DEP_1) | instskip(SKIP_1) | instid1(VALU_DEP_2)
	v_and_b32_e32 v6, 3, v4
	v_bfe_u32 v9, v4, 2, 5
	v_clz_i32_u32_e32 v7, v6
	s_delay_alu instid0(VALU_DEP_2) | instskip(NEXT) | instid1(VALU_DEP_2)
	v_cmp_eq_u32_e32 vcc_lo, 0, v9
	v_min_u32_e32 v7, 32, v7
	s_delay_alu instid0(VALU_DEP_1) | instskip(NEXT) | instid1(VALU_DEP_1)
	v_subrev_nc_u32_e32 v8, 29, v7
	v_dual_lshlrev_b32 v4, v8, v4 :: v_dual_sub_nc_u32 v7, 30, v7
	s_delay_alu instid0(VALU_DEP_1) | instskip(NEXT) | instid1(VALU_DEP_1)
	v_dual_lshlrev_b32 v5, 24, v5 :: v_dual_bitop2_b32 v4, 3, v4 bitop3:0x40
	v_dual_cndmask_b32 v7, v9, v7 :: v_dual_cndmask_b32 v4, v6, v4
	s_delay_alu instid0(VALU_DEP_2) | instskip(NEXT) | instid1(VALU_DEP_2)
	v_and_b32_e32 v5, 0x80000000, v5
	v_lshl_add_u32 v6, v7, 23, 0x37800000
	s_delay_alu instid0(VALU_DEP_3) | instskip(NEXT) | instid1(VALU_DEP_1)
	v_lshlrev_b32_e32 v4, 21, v4
	v_or3_b32 v4, v5, v6, v4
.LBB134_1404:
	s_or_b32 exec_lo, exec_lo, s24
	s_mov_b32 s23, 0
	s_branch .LBB134_1410
.LBB134_1405:
	s_mov_b32 s23, -1
                                        ; implicit-def: $vgpr4
	s_branch .LBB134_1416
.LBB134_1406:
	s_or_saveexec_b32 s25, s25
	v_mov_b32_e32 v4, 0x7f800001
	s_xor_b32 exec_lo, exec_lo, s25
	s_cbranch_execz .LBB134_1390
.LBB134_1407:
	v_cmp_ne_u16_e32 vcc_lo, 0, v5
	v_mov_b32_e32 v4, 0
	s_and_not1_b32 s24, s24, exec_lo
	s_and_b32 s26, vcc_lo, exec_lo
	s_delay_alu instid0(SALU_CYCLE_1)
	s_or_b32 s24, s24, s26
	s_or_b32 exec_lo, exec_lo, s25
	s_and_saveexec_b32 s25, s24
	s_cbranch_execnz .LBB134_1391
	s_branch .LBB134_1392
.LBB134_1408:
	s_mov_b32 s23, -1
                                        ; implicit-def: $vgpr4
	s_branch .LBB134_1413
.LBB134_1409:
	s_mov_b32 s23, -1
                                        ; implicit-def: $vgpr4
.LBB134_1410:
	s_delay_alu instid0(SALU_CYCLE_1)
	s_and_b32 vcc_lo, exec_lo, s23
	s_cbranch_vccz .LBB134_1412
; %bb.1411:
	s_wait_loadcnt 0x0
	global_load_u8 v4, v[2:3], off
	s_wait_loadcnt 0x0
	v_lshlrev_b32_e32 v4, 24, v4
	s_delay_alu instid0(VALU_DEP_1) | instskip(NEXT) | instid1(VALU_DEP_1)
	v_and_b32_e32 v5, 0x7f000000, v4
	v_clz_i32_u32_e32 v6, v5
	v_cmp_ne_u32_e32 vcc_lo, 0, v5
	v_add_nc_u32_e32 v8, 0x1000000, v5
	s_delay_alu instid0(VALU_DEP_3) | instskip(NEXT) | instid1(VALU_DEP_1)
	v_min_u32_e32 v6, 32, v6
	v_sub_nc_u32_e64 v6, v6, 4 clamp
	s_delay_alu instid0(VALU_DEP_1) | instskip(NEXT) | instid1(VALU_DEP_1)
	v_dual_lshlrev_b32 v7, v6, v5 :: v_dual_lshlrev_b32 v6, 23, v6
	v_lshrrev_b32_e32 v7, 4, v7
	s_delay_alu instid0(VALU_DEP_1) | instskip(NEXT) | instid1(VALU_DEP_1)
	v_dual_sub_nc_u32 v6, v7, v6 :: v_dual_ashrrev_i32 v7, 8, v8
	v_add_nc_u32_e32 v6, 0x3c000000, v6
	s_delay_alu instid0(VALU_DEP_1) | instskip(NEXT) | instid1(VALU_DEP_1)
	v_and_or_b32 v6, 0x7f800000, v7, v6
	v_cndmask_b32_e32 v5, 0, v6, vcc_lo
	s_delay_alu instid0(VALU_DEP_1)
	v_and_or_b32 v4, 0x80000000, v4, v5
.LBB134_1412:
	s_mov_b32 s23, 0
.LBB134_1413:
	s_delay_alu instid0(SALU_CYCLE_1)
	s_and_not1_b32 vcc_lo, exec_lo, s23
	s_cbranch_vccnz .LBB134_1415
; %bb.1414:
	s_wait_loadcnt 0x0
	global_load_u8 v4, v[2:3], off
	s_wait_loadcnt 0x0
	v_lshlrev_b32_e32 v5, 25, v4
	v_lshlrev_b16 v4, 8, v4
	s_delay_alu instid0(VALU_DEP_1) | instskip(SKIP_1) | instid1(VALU_DEP_2)
	v_and_or_b32 v7, 0x7f00, v4, 0.5
	v_bfe_i32 v4, v4, 0, 16
	v_dual_add_f32 v7, -0.5, v7 :: v_dual_lshrrev_b32 v6, 4, v5
	v_cmp_gt_u32_e32 vcc_lo, 0x8000000, v5
	s_delay_alu instid0(VALU_DEP_2) | instskip(NEXT) | instid1(VALU_DEP_1)
	v_or_b32_e32 v6, 0x70000000, v6
	v_mul_f32_e32 v6, 0x7800000, v6
	s_delay_alu instid0(VALU_DEP_1) | instskip(NEXT) | instid1(VALU_DEP_1)
	v_cndmask_b32_e32 v5, v6, v7, vcc_lo
	v_and_or_b32 v4, 0x80000000, v4, v5
.LBB134_1415:
	s_mov_b32 s23, 0
	s_mov_b32 s24, -1
.LBB134_1416:
	s_and_not1_b32 vcc_lo, exec_lo, s23
	s_mov_b32 s23, 0
	s_cbranch_vccnz .LBB134_1427
; %bb.1417:
	s_cmp_gt_i32 s21, 14
	s_cbranch_scc0 .LBB134_1420
; %bb.1418:
	s_cmp_eq_u32 s21, 15
	s_cbranch_scc0 .LBB134_1423
; %bb.1419:
	s_wait_loadcnt 0x0
	global_load_u16 v4, v[2:3], off
	s_mov_b32 s22, 0
	s_mov_b32 s24, -1
	s_wait_loadcnt 0x0
	v_lshlrev_b32_e32 v4, 16, v4
	s_branch .LBB134_1425
.LBB134_1420:
	s_mov_b32 s23, -1
	s_branch .LBB134_1424
.LBB134_1421:
	s_or_saveexec_b32 s24, s24
	v_mov_b32_e32 v4, 0x7f800001
	s_xor_b32 exec_lo, exec_lo, s24
	s_cbranch_execz .LBB134_1402
.LBB134_1422:
	v_cmp_ne_u16_e32 vcc_lo, 0, v5
	v_mov_b32_e32 v4, 0
	s_and_not1_b32 s23, s23, exec_lo
	s_and_b32 s25, vcc_lo, exec_lo
	s_delay_alu instid0(SALU_CYCLE_1)
	s_or_b32 s23, s23, s25
	s_or_b32 exec_lo, exec_lo, s24
	s_and_saveexec_b32 s24, s23
	s_cbranch_execnz .LBB134_1403
	s_branch .LBB134_1404
.LBB134_1423:
	s_mov_b32 s22, -1
.LBB134_1424:
                                        ; implicit-def: $vgpr4
.LBB134_1425:
	s_and_b32 vcc_lo, exec_lo, s23
	s_mov_b32 s23, 0
	s_cbranch_vccz .LBB134_1427
; %bb.1426:
	s_cmp_lg_u32 s21, 11
	s_mov_b32 s23, -1
	s_cselect_b32 s21, -1, 0
	s_and_not1_b32 s22, s22, exec_lo
	s_and_b32 s21, s21, exec_lo
	s_delay_alu instid0(SALU_CYCLE_1)
	s_or_b32 s22, s22, s21
.LBB134_1427:
	s_wait_loadcnt 0x0
	v_mov_b32_e32 v5, 0
.LBB134_1428:
	s_mov_b32 s21, 0
.LBB134_1429:
	s_and_not1_b32 s19, s19, exec_lo
	s_and_b32 s25, s22, exec_lo
	s_and_b32 s24, s24, exec_lo
	;; [unrolled: 1-line block ×4, first 2 shown]
	s_or_b32 s19, s19, s25
	s_wait_xcnt 0x0
	s_or_b32 exec_lo, exec_lo, s20
	s_and_saveexec_b32 s20, s19
	s_cbranch_execz .LBB134_1355
.LBB134_1430:
	s_or_b32 s17, s17, exec_lo
	s_and_not1_b32 s22, s22, exec_lo
	s_trap 2
	s_or_b32 exec_lo, exec_lo, s20
	s_and_saveexec_b32 s19, s22
	s_delay_alu instid0(SALU_CYCLE_1)
	s_xor_b32 s19, exec_lo, s19
	s_cbranch_execnz .LBB134_1356
.LBB134_1431:
	s_or_b32 exec_lo, exec_lo, s19
	s_and_saveexec_b32 s19, s21
	s_cbranch_execz .LBB134_1479
.LBB134_1432:
	s_sext_i32_i16 s20, s0
	s_delay_alu instid0(SALU_CYCLE_1)
	s_cmp_lt_i32 s20, 5
	s_cbranch_scc1 .LBB134_1437
; %bb.1433:
	s_cmp_lt_i32 s20, 8
	s_cbranch_scc1 .LBB134_1438
; %bb.1434:
	;; [unrolled: 3-line block ×3, first 2 shown]
	s_cmp_gt_i32 s20, 9
	s_cbranch_scc0 .LBB134_1440
; %bb.1436:
	s_wait_loadcnt 0x0
	global_load_b128 v[4:7], v[2:3], off
	s_mov_b32 s20, 0
	s_wait_loadcnt 0x0
	v_cvt_f32_f64_e32 v4, v[4:5]
	v_cvt_f32_f64_e32 v5, v[6:7]
	s_branch .LBB134_1441
.LBB134_1437:
                                        ; implicit-def: $vgpr5
	s_branch .LBB134_1459
.LBB134_1438:
                                        ; implicit-def: $vgpr5
	s_branch .LBB134_1447
.LBB134_1439:
	s_mov_b32 s20, -1
                                        ; implicit-def: $vgpr5
	s_branch .LBB134_1444
.LBB134_1440:
	s_mov_b32 s20, -1
                                        ; implicit-def: $vgpr5
.LBB134_1441:
	s_delay_alu instid0(SALU_CYCLE_1)
	s_and_not1_b32 vcc_lo, exec_lo, s20
	s_cbranch_vccnz .LBB134_1443
; %bb.1442:
	s_wait_loadcnt 0x0
	global_load_b64 v[4:5], v[2:3], off
.LBB134_1443:
	s_mov_b32 s20, 0
.LBB134_1444:
	s_delay_alu instid0(SALU_CYCLE_1)
	s_and_not1_b32 vcc_lo, exec_lo, s20
	s_cbranch_vccnz .LBB134_1446
; %bb.1445:
	s_wait_loadcnt 0x0
	global_load_b32 v4, v[2:3], off
	s_wait_loadcnt 0x0
	v_lshrrev_b32_e32 v5, 16, v4
	v_cvt_f32_f16_e32 v4, v4
	s_delay_alu instid0(VALU_DEP_2)
	v_cvt_f32_f16_e32 v5, v5
.LBB134_1446:
	s_cbranch_execnz .LBB134_1458
.LBB134_1447:
	s_sext_i32_i16 s20, s0
	s_delay_alu instid0(SALU_CYCLE_1)
	s_cmp_lt_i32 s20, 6
	s_cbranch_scc1 .LBB134_1450
; %bb.1448:
	s_cmp_gt_i32 s20, 6
	s_cbranch_scc0 .LBB134_1451
; %bb.1449:
	s_wait_loadcnt 0x0
	global_load_b64 v[4:5], v[2:3], off
	s_mov_b32 s20, 0
	s_wait_loadcnt 0x0
	v_cvt_f32_f64_e32 v4, v[4:5]
	s_branch .LBB134_1452
.LBB134_1450:
	s_mov_b32 s20, -1
                                        ; implicit-def: $vgpr4
	s_branch .LBB134_1455
.LBB134_1451:
	s_mov_b32 s20, -1
                                        ; implicit-def: $vgpr4
.LBB134_1452:
	s_delay_alu instid0(SALU_CYCLE_1)
	s_and_not1_b32 vcc_lo, exec_lo, s20
	s_cbranch_vccnz .LBB134_1454
; %bb.1453:
	s_wait_loadcnt 0x0
	global_load_b32 v4, v[2:3], off
.LBB134_1454:
	s_mov_b32 s20, 0
.LBB134_1455:
	s_delay_alu instid0(SALU_CYCLE_1)
	s_and_not1_b32 vcc_lo, exec_lo, s20
	s_cbranch_vccnz .LBB134_1457
; %bb.1456:
	s_wait_loadcnt 0x0
	global_load_u16 v4, v[2:3], off
	s_wait_loadcnt 0x0
	v_cvt_f32_f16_e32 v4, v4
.LBB134_1457:
	s_wait_loadcnt 0x0
	v_mov_b32_e32 v5, 0
.LBB134_1458:
	s_cbranch_execnz .LBB134_1478
.LBB134_1459:
	s_sext_i32_i16 s20, s0
	s_delay_alu instid0(SALU_CYCLE_1)
	s_cmp_lt_i32 s20, 2
	s_cbranch_scc1 .LBB134_1463
; %bb.1460:
	s_cmp_lt_i32 s20, 3
	s_cbranch_scc1 .LBB134_1464
; %bb.1461:
	s_cmp_gt_i32 s20, 3
	s_cbranch_scc0 .LBB134_1465
; %bb.1462:
	s_wait_loadcnt 0x0
	global_load_b64 v[4:5], v[2:3], off
	s_mov_b32 s20, 0
	s_wait_loadcnt 0x0
	v_xor_b32_e32 v6, v4, v5
	v_cls_i32_e32 v7, v5
	s_delay_alu instid0(VALU_DEP_2) | instskip(NEXT) | instid1(VALU_DEP_1)
	v_ashrrev_i32_e32 v6, 31, v6
	v_add_nc_u32_e32 v6, 32, v6
	s_delay_alu instid0(VALU_DEP_1) | instskip(NEXT) | instid1(VALU_DEP_1)
	v_add_min_u32_e64 v6, v7, -1, v6
	v_lshlrev_b64_e32 v[4:5], v6, v[4:5]
	s_delay_alu instid0(VALU_DEP_1) | instskip(NEXT) | instid1(VALU_DEP_1)
	v_min_u32_e32 v4, 1, v4
	v_dual_sub_nc_u32 v5, 32, v6 :: v_dual_bitop2_b32 v4, v5, v4 bitop3:0x54
	s_delay_alu instid0(VALU_DEP_1) | instskip(NEXT) | instid1(VALU_DEP_1)
	v_cvt_f32_i32_e32 v4, v4
	v_ldexp_f32 v4, v4, v5
	s_branch .LBB134_1466
.LBB134_1463:
                                        ; implicit-def: $vgpr4
	s_branch .LBB134_1472
.LBB134_1464:
	s_mov_b32 s20, -1
                                        ; implicit-def: $vgpr4
	s_branch .LBB134_1469
.LBB134_1465:
	s_mov_b32 s20, -1
                                        ; implicit-def: $vgpr4
.LBB134_1466:
	s_delay_alu instid0(SALU_CYCLE_1)
	s_and_not1_b32 vcc_lo, exec_lo, s20
	s_cbranch_vccnz .LBB134_1468
; %bb.1467:
	s_wait_loadcnt 0x0
	global_load_b32 v4, v[2:3], off
	s_wait_loadcnt 0x0
	v_cvt_f32_i32_e32 v4, v4
.LBB134_1468:
	s_mov_b32 s20, 0
.LBB134_1469:
	s_delay_alu instid0(SALU_CYCLE_1)
	s_and_not1_b32 vcc_lo, exec_lo, s20
	s_cbranch_vccnz .LBB134_1471
; %bb.1470:
	s_wait_loadcnt 0x0
	global_load_i16 v4, v[2:3], off
	s_wait_loadcnt 0x0
	v_cvt_f32_i32_e32 v4, v4
.LBB134_1471:
	s_cbranch_execnz .LBB134_1477
.LBB134_1472:
	s_sext_i32_i16 s0, s0
	s_delay_alu instid0(SALU_CYCLE_1)
	s_cmp_gt_i32 s0, 0
	s_mov_b32 s0, 0
	s_cbranch_scc0 .LBB134_1474
; %bb.1473:
	s_wait_loadcnt 0x0
	global_load_i8 v4, v[2:3], off
	s_wait_loadcnt 0x0
	v_cvt_f32_i32_e32 v4, v4
	s_branch .LBB134_1475
.LBB134_1474:
	s_mov_b32 s0, -1
                                        ; implicit-def: $vgpr4
.LBB134_1475:
	s_delay_alu instid0(SALU_CYCLE_1)
	s_and_not1_b32 vcc_lo, exec_lo, s0
	s_cbranch_vccnz .LBB134_1477
; %bb.1476:
	global_load_u8 v2, v[2:3], off
	s_wait_loadcnt 0x0
	v_cvt_f32_ubyte0_e32 v4, v2
.LBB134_1477:
	s_wait_loadcnt 0x0
	v_mov_b32_e32 v5, 0
.LBB134_1478:
	s_or_b32 s24, s24, exec_lo
.LBB134_1479:
	s_wait_xcnt 0x0
	s_or_b32 exec_lo, exec_lo, s19
	s_mov_b32 s0, 0
	s_mov_b32 s22, 0
                                        ; implicit-def: $sgpr19
                                        ; implicit-def: $sgpr20
                                        ; implicit-def: $vgpr2_vgpr3
	s_and_saveexec_b32 s21, s24
	s_cbranch_execz .LBB134_1490
; %bb.1480:
	s_and_not1_b32 vcc_lo, exec_lo, s16
	s_cbranch_vccnz .LBB134_1494
; %bb.1481:
	s_wait_loadcnt 0x0
	s_delay_alu instid0(VALU_DEP_2) | instskip(NEXT) | instid1(VALU_DEP_2)
	v_cmp_neq_f32_e32 vcc_lo, v0, v4
	v_cmp_neq_f32_e64 s0, v1, v5
	s_or_b32 s19, vcc_lo, s0
	s_cbranch_execnz .LBB134_1483
.LBB134_1482:
	s_wait_loadcnt 0x0
	s_delay_alu instid0(VALU_DEP_1) | instskip(NEXT) | instid1(VALU_DEP_3)
	v_cmp_eq_f32_e32 vcc_lo, v1, v5
	v_cmp_eq_f32_e64 s0, v0, v4
	s_and_not1_b32 s16, s19, exec_lo
	s_and_b32 s0, s0, vcc_lo
	s_delay_alu instid0(SALU_CYCLE_1) | instskip(NEXT) | instid1(SALU_CYCLE_1)
	s_and_b32 s0, s0, exec_lo
	s_or_b32 s19, s16, s0
.LBB134_1483:
	s_wait_loadcnt 0x0
	v_mul_lo_u32 v0, v10, s8
	s_and_b32 s20, s12, 0xff
	s_delay_alu instid0(SALU_CYCLE_1) | instskip(NEXT) | instid1(VALU_DEP_1)
	s_cmp_lt_i32 s20, 11
	v_ashrrev_i32_e32 v1, 31, v0
	s_delay_alu instid0(VALU_DEP_1)
	v_add_nc_u64_e32 v[2:3], s[4:5], v[0:1]
	s_cbranch_scc1 .LBB134_1493
; %bb.1484:
	s_and_b32 s16, 0xffff, s20
	s_mov_b32 s22, -1
	s_cmp_gt_i32 s16, 25
	s_mov_b32 s0, s18
	s_cbranch_scc0 .LBB134_1522
; %bb.1485:
	s_cmp_gt_i32 s16, 28
	s_mov_b32 s0, s18
	s_cbranch_scc0 .LBB134_1506
; %bb.1486:
	;; [unrolled: 4-line block ×4, first 2 shown]
	s_cmp_eq_u32 s16, 46
	s_mov_b32 s0, -1
	s_cbranch_scc0 .LBB134_1495
; %bb.1489:
	v_cndmask_b32_e64 v0, 0, 1.0, s19
	s_mov_b32 s0, 0
	s_mov_b32 s22, 0
	s_delay_alu instid0(VALU_DEP_1) | instskip(NEXT) | instid1(VALU_DEP_1)
	v_bfe_u32 v1, v0, 16, 1
	v_add3_u32 v0, v0, v1, 0x7fff
	s_delay_alu instid0(VALU_DEP_1)
	v_lshrrev_b32_e32 v0, 16, v0
	global_store_b32 v[2:3], v0, off
	s_branch .LBB134_1496
.LBB134_1490:
	s_or_b32 exec_lo, exec_lo, s21
	s_and_saveexec_b32 s16, s18
	s_cbranch_execnz .LBB134_1564
.LBB134_1491:
	s_or_b32 exec_lo, exec_lo, s16
	s_and_saveexec_b32 s16, s0
	s_delay_alu instid0(SALU_CYCLE_1)
	s_xor_b32 s0, exec_lo, s16
	s_cbranch_execz .LBB134_1565
.LBB134_1492:
	s_wait_loadcnt 0x0
	v_cndmask_b32_e64 v0, 0, 1, s19
	global_store_b8 v[2:3], v0, off
	s_wait_xcnt 0x0
	s_or_b32 exec_lo, exec_lo, s0
	s_and_saveexec_b32 s0, s22
	s_delay_alu instid0(SALU_CYCLE_1)
	s_xor_b32 s0, exec_lo, s0
	s_cbranch_execz .LBB134_1603
	s_branch .LBB134_1566
.LBB134_1493:
	s_mov_b32 s23, 0
	s_mov_b32 s22, -1
	s_mov_b32 s0, s18
	s_branch .LBB134_1563
.LBB134_1494:
                                        ; implicit-def: $sgpr19
	s_branch .LBB134_1482
.LBB134_1495:
	s_mov_b32 s22, 0
.LBB134_1496:
	s_delay_alu instid0(SALU_CYCLE_1)
	s_and_b32 vcc_lo, exec_lo, s22
	s_cbranch_vccz .LBB134_1501
; %bb.1497:
	s_cmp_eq_u32 s16, 44
	s_mov_b32 s0, -1
	s_cbranch_scc0 .LBB134_1501
; %bb.1498:
	v_cndmask_b32_e64 v4, 0, 1.0, s19
	s_mov_b32 s22, exec_lo
	s_wait_xcnt 0x0
	s_delay_alu instid0(VALU_DEP_1) | instskip(NEXT) | instid1(VALU_DEP_1)
	v_dual_mov_b32 v1, 0xff :: v_dual_lshrrev_b32 v0, 23, v4
	v_cmpx_ne_u32_e32 0xff, v0
; %bb.1499:
	v_and_b32_e32 v1, 0x400000, v4
	v_and_or_b32 v4, 0x3fffff, v4, v0
	s_delay_alu instid0(VALU_DEP_2) | instskip(NEXT) | instid1(VALU_DEP_2)
	v_cmp_ne_u32_e32 vcc_lo, 0, v1
	v_cmp_ne_u32_e64 s0, 0, v4
	s_and_b32 s0, vcc_lo, s0
	s_delay_alu instid0(SALU_CYCLE_1) | instskip(NEXT) | instid1(VALU_DEP_1)
	v_cndmask_b32_e64 v1, 0, 1, s0
	v_add_nc_u32_e32 v1, v0, v1
; %bb.1500:
	s_or_b32 exec_lo, exec_lo, s22
	s_mov_b32 s0, 0
	global_store_b8 v[2:3], v1, off
.LBB134_1501:
	s_mov_b32 s22, 0
.LBB134_1502:
	s_delay_alu instid0(SALU_CYCLE_1)
	s_and_b32 vcc_lo, exec_lo, s22
	s_cbranch_vccz .LBB134_1505
; %bb.1503:
	s_cmp_eq_u32 s16, 29
	s_mov_b32 s0, -1
	s_cbranch_scc0 .LBB134_1505
; %bb.1504:
	s_mov_b32 s0, 0
	s_wait_xcnt 0x0
	v_cndmask_b32_e64 v0, 0, 1, s19
	v_mov_b32_e32 v1, s0
	s_mov_b32 s22, 0
	global_store_b64 v[2:3], v[0:1], off
	s_branch .LBB134_1506
.LBB134_1505:
	s_mov_b32 s22, 0
.LBB134_1506:
	s_delay_alu instid0(SALU_CYCLE_1)
	s_and_b32 vcc_lo, exec_lo, s22
	s_cbranch_vccz .LBB134_1521
; %bb.1507:
	s_cmp_lt_i32 s16, 27
	s_mov_b32 s22, -1
	s_cbranch_scc1 .LBB134_1513
; %bb.1508:
	s_wait_xcnt 0x0
	v_cndmask_b32_e64 v0, 0, 1, s19
	s_cmp_gt_i32 s16, 27
	s_cbranch_scc0 .LBB134_1510
; %bb.1509:
	s_mov_b32 s22, 0
	global_store_b32 v[2:3], v0, off
.LBB134_1510:
	s_and_not1_b32 vcc_lo, exec_lo, s22
	s_cbranch_vccnz .LBB134_1512
; %bb.1511:
	global_store_b16 v[2:3], v0, off
.LBB134_1512:
	s_mov_b32 s22, 0
.LBB134_1513:
	s_delay_alu instid0(SALU_CYCLE_1)
	s_and_not1_b32 vcc_lo, exec_lo, s22
	s_cbranch_vccnz .LBB134_1521
; %bb.1514:
	s_wait_xcnt 0x0
	v_cndmask_b32_e64 v1, 0, 1.0, s19
	v_mov_b32_e32 v4, 0x80
	s_mov_b32 s22, exec_lo
	s_delay_alu instid0(VALU_DEP_2)
	v_cmpx_gt_u32_e32 0x43800000, v1
	s_cbranch_execz .LBB134_1520
; %bb.1515:
	s_mov_b32 s23, 0
	s_mov_b32 s24, exec_lo
                                        ; implicit-def: $vgpr0
	v_cmpx_lt_u32_e32 0x3bffffff, v1
	s_xor_b32 s24, exec_lo, s24
	s_cbranch_execz .LBB134_1618
; %bb.1516:
	v_bfe_u32 v0, v1, 20, 1
	s_mov_b32 s23, exec_lo
	s_delay_alu instid0(VALU_DEP_1) | instskip(NEXT) | instid1(VALU_DEP_1)
	v_add3_u32 v0, v1, v0, 0x487ffff
                                        ; implicit-def: $vgpr1
	v_lshrrev_b32_e32 v0, 20, v0
	s_and_not1_saveexec_b32 s24, s24
	s_cbranch_execnz .LBB134_1619
.LBB134_1517:
	s_or_b32 exec_lo, exec_lo, s24
	v_mov_b32_e32 v4, 0
	s_and_saveexec_b32 s24, s23
.LBB134_1518:
	v_mov_b32_e32 v4, v0
.LBB134_1519:
	s_or_b32 exec_lo, exec_lo, s24
.LBB134_1520:
	s_delay_alu instid0(SALU_CYCLE_1)
	s_or_b32 exec_lo, exec_lo, s22
	global_store_b8 v[2:3], v4, off
.LBB134_1521:
	s_mov_b32 s22, 0
.LBB134_1522:
	s_delay_alu instid0(SALU_CYCLE_1)
	s_and_b32 vcc_lo, exec_lo, s22
	s_mov_b32 s22, 0
	s_cbranch_vccz .LBB134_1562
; %bb.1523:
	s_cmp_gt_i32 s16, 22
	s_mov_b32 s23, -1
	s_cbranch_scc0 .LBB134_1555
; %bb.1524:
	s_cmp_lt_i32 s16, 24
	s_cbranch_scc1 .LBB134_1544
; %bb.1525:
	s_cmp_gt_i32 s16, 24
	s_cbranch_scc0 .LBB134_1533
; %bb.1526:
	s_wait_xcnt 0x0
	v_cndmask_b32_e64 v1, 0, 1.0, s19
	v_mov_b32_e32 v4, 0x80
	s_mov_b32 s23, exec_lo
	s_delay_alu instid0(VALU_DEP_2)
	v_cmpx_gt_u32_e32 0x47800000, v1
	s_cbranch_execz .LBB134_1532
; %bb.1527:
	s_mov_b32 s24, 0
	s_mov_b32 s25, exec_lo
                                        ; implicit-def: $vgpr0
	v_cmpx_lt_u32_e32 0x37ffffff, v1
	s_xor_b32 s25, exec_lo, s25
	s_cbranch_execz .LBB134_1749
; %bb.1528:
	v_bfe_u32 v0, v1, 21, 1
	s_mov_b32 s24, exec_lo
	s_delay_alu instid0(VALU_DEP_1) | instskip(NEXT) | instid1(VALU_DEP_1)
	v_add3_u32 v0, v1, v0, 0x88fffff
                                        ; implicit-def: $vgpr1
	v_lshrrev_b32_e32 v0, 21, v0
	s_and_not1_saveexec_b32 s25, s25
	s_cbranch_execnz .LBB134_1750
.LBB134_1529:
	s_or_b32 exec_lo, exec_lo, s25
	v_mov_b32_e32 v4, 0
	s_and_saveexec_b32 s25, s24
.LBB134_1530:
	v_mov_b32_e32 v4, v0
.LBB134_1531:
	s_or_b32 exec_lo, exec_lo, s25
.LBB134_1532:
	s_delay_alu instid0(SALU_CYCLE_1)
	s_or_b32 exec_lo, exec_lo, s23
	s_mov_b32 s23, 0
	global_store_b8 v[2:3], v4, off
.LBB134_1533:
	s_and_b32 vcc_lo, exec_lo, s23
	s_cbranch_vccz .LBB134_1543
; %bb.1534:
	s_wait_xcnt 0x0
	v_cndmask_b32_e64 v1, 0, 1.0, s19
	s_mov_b32 s23, exec_lo
                                        ; implicit-def: $vgpr0
	s_delay_alu instid0(VALU_DEP_1)
	v_cmpx_gt_u32_e32 0x43f00000, v1
	s_xor_b32 s23, exec_lo, s23
	s_cbranch_execz .LBB134_1540
; %bb.1535:
	s_mov_b32 s24, exec_lo
                                        ; implicit-def: $vgpr0
	v_cmpx_lt_u32_e32 0x3c7fffff, v1
	s_xor_b32 s24, exec_lo, s24
; %bb.1536:
	v_bfe_u32 v0, v1, 20, 1
	s_delay_alu instid0(VALU_DEP_1) | instskip(NEXT) | instid1(VALU_DEP_1)
	v_add3_u32 v0, v1, v0, 0x407ffff
	v_and_b32_e32 v1, 0xff00000, v0
	v_lshrrev_b32_e32 v0, 20, v0
	s_delay_alu instid0(VALU_DEP_2) | instskip(NEXT) | instid1(VALU_DEP_2)
	v_cmp_ne_u32_e32 vcc_lo, 0x7f00000, v1
                                        ; implicit-def: $vgpr1
	v_cndmask_b32_e32 v0, 0x7e, v0, vcc_lo
; %bb.1537:
	s_and_not1_saveexec_b32 s24, s24
; %bb.1538:
	v_add_f32_e32 v0, 0x46800000, v1
; %bb.1539:
	s_or_b32 exec_lo, exec_lo, s24
                                        ; implicit-def: $vgpr1
.LBB134_1540:
	s_and_not1_saveexec_b32 s23, s23
; %bb.1541:
	v_mov_b32_e32 v0, 0x7f
	v_cmp_lt_u32_e32 vcc_lo, 0x7f800000, v1
	s_delay_alu instid0(VALU_DEP_2)
	v_cndmask_b32_e32 v0, 0x7e, v0, vcc_lo
; %bb.1542:
	s_or_b32 exec_lo, exec_lo, s23
	global_store_b8 v[2:3], v0, off
.LBB134_1543:
	s_mov_b32 s23, 0
.LBB134_1544:
	s_delay_alu instid0(SALU_CYCLE_1)
	s_and_not1_b32 vcc_lo, exec_lo, s23
	s_cbranch_vccnz .LBB134_1554
; %bb.1545:
	s_wait_xcnt 0x0
	v_cndmask_b32_e64 v1, 0, 1.0, s19
	s_mov_b32 s23, exec_lo
                                        ; implicit-def: $vgpr0
	s_delay_alu instid0(VALU_DEP_1)
	v_cmpx_gt_u32_e32 0x47800000, v1
	s_xor_b32 s23, exec_lo, s23
	s_cbranch_execz .LBB134_1551
; %bb.1546:
	s_mov_b32 s24, exec_lo
                                        ; implicit-def: $vgpr0
	v_cmpx_lt_u32_e32 0x387fffff, v1
	s_xor_b32 s24, exec_lo, s24
; %bb.1547:
	v_bfe_u32 v0, v1, 21, 1
	s_delay_alu instid0(VALU_DEP_1) | instskip(NEXT) | instid1(VALU_DEP_1)
	v_add3_u32 v0, v1, v0, 0x80fffff
                                        ; implicit-def: $vgpr1
	v_lshrrev_b32_e32 v0, 21, v0
; %bb.1548:
	s_and_not1_saveexec_b32 s24, s24
; %bb.1549:
	v_add_f32_e32 v0, 0x43000000, v1
; %bb.1550:
	s_or_b32 exec_lo, exec_lo, s24
                                        ; implicit-def: $vgpr1
.LBB134_1551:
	s_and_not1_saveexec_b32 s23, s23
; %bb.1552:
	v_mov_b32_e32 v0, 0x7f
	v_cmp_lt_u32_e32 vcc_lo, 0x7f800000, v1
	s_delay_alu instid0(VALU_DEP_2)
	v_cndmask_b32_e32 v0, 0x7c, v0, vcc_lo
; %bb.1553:
	s_or_b32 exec_lo, exec_lo, s23
	global_store_b8 v[2:3], v0, off
.LBB134_1554:
	s_mov_b32 s23, 0
.LBB134_1555:
	s_delay_alu instid0(SALU_CYCLE_1)
	s_and_not1_b32 vcc_lo, exec_lo, s23
	s_mov_b32 s23, 0
	s_cbranch_vccnz .LBB134_1563
; %bb.1556:
	s_cmp_gt_i32 s16, 14
	s_mov_b32 s23, -1
	s_cbranch_scc0 .LBB134_1560
; %bb.1557:
	s_cmp_eq_u32 s16, 15
	s_mov_b32 s0, -1
	s_cbranch_scc0 .LBB134_1559
; %bb.1558:
	s_wait_xcnt 0x0
	v_cndmask_b32_e64 v0, 0, 1.0, s19
	s_mov_b32 s0, 0
	s_delay_alu instid0(VALU_DEP_1) | instskip(NEXT) | instid1(VALU_DEP_1)
	v_bfe_u32 v1, v0, 16, 1
	v_add3_u32 v0, v0, v1, 0x7fff
	global_store_d16_hi_b16 v[2:3], v0, off
.LBB134_1559:
	s_mov_b32 s23, 0
.LBB134_1560:
	s_delay_alu instid0(SALU_CYCLE_1)
	s_and_b32 vcc_lo, exec_lo, s23
	s_mov_b32 s23, 0
	s_cbranch_vccz .LBB134_1563
; %bb.1561:
	s_cmp_lg_u32 s16, 11
	s_mov_b32 s23, -1
	s_cselect_b32 s16, -1, 0
	s_and_not1_b32 s0, s0, exec_lo
	s_and_b32 s16, s16, exec_lo
	s_delay_alu instid0(SALU_CYCLE_1)
	s_or_b32 s0, s0, s16
	s_branch .LBB134_1563
.LBB134_1562:
	s_mov_b32 s23, 0
.LBB134_1563:
	s_and_not1_b32 s16, s18, exec_lo
	s_and_b32 s18, s0, exec_lo
	s_and_b32 s22, s22, exec_lo
	;; [unrolled: 1-line block ×3, first 2 shown]
	s_or_b32 s18, s16, s18
	s_wait_xcnt 0x0
	s_or_b32 exec_lo, exec_lo, s21
	s_and_saveexec_b32 s16, s18
	s_cbranch_execz .LBB134_1491
.LBB134_1564:
	s_or_b32 s17, s17, exec_lo
	s_and_not1_b32 s0, s0, exec_lo
	s_trap 2
	s_or_b32 exec_lo, exec_lo, s16
	s_and_saveexec_b32 s16, s0
	s_delay_alu instid0(SALU_CYCLE_1)
	s_xor_b32 s0, exec_lo, s16
	s_cbranch_execnz .LBB134_1492
.LBB134_1565:
	s_or_b32 exec_lo, exec_lo, s0
	s_and_saveexec_b32 s0, s22
	s_delay_alu instid0(SALU_CYCLE_1)
	s_xor_b32 s0, exec_lo, s0
	s_cbranch_execz .LBB134_1603
.LBB134_1566:
	s_sext_i32_i16 s18, s20
	s_mov_b32 s16, -1
	s_cmp_lt_i32 s18, 5
	s_cbranch_scc1 .LBB134_1587
; %bb.1567:
	s_cmp_lt_i32 s18, 8
	s_cbranch_scc1 .LBB134_1577
; %bb.1568:
	s_cmp_lt_i32 s18, 9
	s_cbranch_scc1 .LBB134_1574
; %bb.1569:
	s_cmp_gt_i32 s18, 9
	s_cbranch_scc0 .LBB134_1571
; %bb.1570:
	s_wait_loadcnt 0x0
	v_cndmask_b32_e64 v0, 0, 1, s19
	v_mov_b32_e32 v6, 0
	s_mov_b32 s16, 0
	s_delay_alu instid0(VALU_DEP_2) | instskip(NEXT) | instid1(VALU_DEP_2)
	v_cvt_f64_u32_e32 v[4:5], v0
	v_mov_b32_e32 v7, v6
	global_store_b128 v[2:3], v[4:7], off
.LBB134_1571:
	s_and_not1_b32 vcc_lo, exec_lo, s16
	s_cbranch_vccnz .LBB134_1573
; %bb.1572:
	s_wait_loadcnt 0x0
	v_cndmask_b32_e64 v0, 0, 1.0, s19
	v_mov_b32_e32 v1, 0
	global_store_b64 v[2:3], v[0:1], off
.LBB134_1573:
	s_mov_b32 s16, 0
.LBB134_1574:
	s_delay_alu instid0(SALU_CYCLE_1)
	s_and_not1_b32 vcc_lo, exec_lo, s16
	s_cbranch_vccnz .LBB134_1576
; %bb.1575:
	s_wait_loadcnt 0x0
	v_cndmask_b32_e64 v0, 0, 1.0, s19
	s_delay_alu instid0(VALU_DEP_1) | instskip(NEXT) | instid1(VALU_DEP_1)
	v_cvt_f16_f32_e32 v0, v0
	v_and_b32_e32 v0, 0xffff, v0
	global_store_b32 v[2:3], v0, off
.LBB134_1576:
	s_mov_b32 s16, 0
.LBB134_1577:
	s_delay_alu instid0(SALU_CYCLE_1)
	s_and_not1_b32 vcc_lo, exec_lo, s16
	s_cbranch_vccnz .LBB134_1586
; %bb.1578:
	s_sext_i32_i16 s18, s20
	s_mov_b32 s16, -1
	s_cmp_lt_i32 s18, 6
	s_cbranch_scc1 .LBB134_1584
; %bb.1579:
	s_cmp_gt_i32 s18, 6
	s_cbranch_scc0 .LBB134_1581
; %bb.1580:
	s_wait_loadcnt 0x0
	v_cndmask_b32_e64 v0, 0, 1, s19
	s_mov_b32 s16, 0
	s_delay_alu instid0(VALU_DEP_1)
	v_cvt_f64_u32_e32 v[0:1], v0
	global_store_b64 v[2:3], v[0:1], off
.LBB134_1581:
	s_and_not1_b32 vcc_lo, exec_lo, s16
	s_cbranch_vccnz .LBB134_1583
; %bb.1582:
	s_wait_loadcnt 0x0
	v_cndmask_b32_e64 v0, 0, 1.0, s19
	global_store_b32 v[2:3], v0, off
.LBB134_1583:
	s_mov_b32 s16, 0
.LBB134_1584:
	s_delay_alu instid0(SALU_CYCLE_1)
	s_and_not1_b32 vcc_lo, exec_lo, s16
	s_cbranch_vccnz .LBB134_1586
; %bb.1585:
	s_wait_loadcnt 0x0
	v_cndmask_b32_e64 v0, 0, 1.0, s19
	s_delay_alu instid0(VALU_DEP_1)
	v_cvt_f16_f32_e32 v0, v0
	global_store_b16 v[2:3], v0, off
.LBB134_1586:
	s_mov_b32 s16, 0
.LBB134_1587:
	s_delay_alu instid0(SALU_CYCLE_1)
	s_and_not1_b32 vcc_lo, exec_lo, s16
	s_cbranch_vccnz .LBB134_1603
; %bb.1588:
	s_sext_i32_i16 s18, s20
	s_mov_b32 s16, -1
	s_cmp_lt_i32 s18, 2
	s_cbranch_scc1 .LBB134_1598
; %bb.1589:
	s_cmp_lt_i32 s18, 3
	s_cbranch_scc1 .LBB134_1595
; %bb.1590:
	s_cmp_gt_i32 s18, 3
	s_cbranch_scc0 .LBB134_1592
; %bb.1591:
	s_mov_b32 s16, 0
	s_wait_loadcnt 0x0
	v_cndmask_b32_e64 v0, 0, 1, s19
	v_mov_b32_e32 v1, s16
	global_store_b64 v[2:3], v[0:1], off
.LBB134_1592:
	s_and_not1_b32 vcc_lo, exec_lo, s16
	s_cbranch_vccnz .LBB134_1594
; %bb.1593:
	s_wait_loadcnt 0x0
	v_cndmask_b32_e64 v0, 0, 1, s19
	global_store_b32 v[2:3], v0, off
.LBB134_1594:
	s_mov_b32 s16, 0
.LBB134_1595:
	s_delay_alu instid0(SALU_CYCLE_1)
	s_and_not1_b32 vcc_lo, exec_lo, s16
	s_cbranch_vccnz .LBB134_1597
; %bb.1596:
	s_wait_loadcnt 0x0
	v_cndmask_b32_e64 v0, 0, 1, s19
	global_store_b16 v[2:3], v0, off
.LBB134_1597:
	s_mov_b32 s16, 0
.LBB134_1598:
	s_delay_alu instid0(SALU_CYCLE_1)
	s_and_not1_b32 vcc_lo, exec_lo, s16
	s_cbranch_vccnz .LBB134_1603
; %bb.1599:
	s_wait_loadcnt 0x0
	v_cndmask_b32_e64 v0, 0, 1, s19
	s_sext_i32_i16 s16, s20
	s_delay_alu instid0(SALU_CYCLE_1)
	s_cmp_gt_i32 s16, 0
	s_mov_b32 s16, -1
	s_cbranch_scc0 .LBB134_1601
; %bb.1600:
	s_mov_b32 s16, 0
	global_store_b8 v[2:3], v0, off
.LBB134_1601:
	s_and_not1_b32 vcc_lo, exec_lo, s16
	s_cbranch_vccnz .LBB134_1603
; %bb.1602:
	global_store_b8 v[2:3], v0, off
.LBB134_1603:
	s_wait_xcnt 0x0
	s_or_b32 exec_lo, exec_lo, s0
	s_delay_alu instid0(SALU_CYCLE_1)
	s_and_b32 s16, s17, exec_lo
                                        ; implicit-def: $vgpr10
.LBB134_1604:
	s_or_saveexec_b32 s15, s15
	s_mov_b32 s0, 0
                                        ; implicit-def: $sgpr17
                                        ; implicit-def: $sgpr18
                                        ; implicit-def: $vgpr0_vgpr1
	s_xor_b32 exec_lo, exec_lo, s15
	s_cbranch_execz .LBB134_2706
; %bb.1605:
	s_wait_loadcnt 0x0
	v_mul_lo_u32 v0, s9, v10
	s_and_b32 s14, s14, 0xff
	s_delay_alu instid0(SALU_CYCLE_1) | instskip(NEXT) | instid1(VALU_DEP_1)
	s_cmp_lt_i32 s14, 11
	v_ashrrev_i32_e32 v1, 31, v0
	s_delay_alu instid0(VALU_DEP_1)
	v_add_nc_u64_e32 v[2:3], s[6:7], v[0:1]
	s_cbranch_scc1 .LBB134_1612
; %bb.1606:
	s_and_b32 s0, 0xffff, s14
	s_mov_b32 s17, 0
	s_cmp_gt_i32 s0, 25
	s_cbranch_scc0 .LBB134_1614
; %bb.1607:
	s_cmp_gt_i32 s0, 28
	s_cbranch_scc0 .LBB134_1615
; %bb.1608:
	;; [unrolled: 3-line block ×4, first 2 shown]
	s_cmp_eq_u32 s0, 46
	s_mov_b32 s19, 0
	s_cbranch_scc0 .LBB134_1620
; %bb.1611:
	global_load_b32 v1, v[2:3], off
	s_mov_b32 s18, -1
	s_wait_loadcnt 0x0
	v_and_b32_e32 v5, 0xffff0000, v1
	v_lshlrev_b32_e32 v4, 16, v1
	s_branch .LBB134_1622
.LBB134_1612:
	s_mov_b32 s18, 0
	s_mov_b32 s13, s16
                                        ; implicit-def: $vgpr5
	s_cbranch_execnz .LBB134_1688
.LBB134_1613:
	s_and_not1_b32 vcc_lo, exec_lo, s18
	s_cbranch_vccz .LBB134_1735
	s_branch .LBB134_2703
.LBB134_1614:
	s_mov_b32 s18, 0
                                        ; implicit-def: $vgpr5
	s_cbranch_execnz .LBB134_1652
	s_branch .LBB134_1684
.LBB134_1615:
	s_mov_b32 s18, 0
                                        ; implicit-def: $vgpr5
	s_cbranch_execnz .LBB134_1634
	s_branch .LBB134_1651
.LBB134_1616:
	s_mov_b32 s19, -1
	s_mov_b32 s18, 0
                                        ; implicit-def: $vgpr5
	s_branch .LBB134_1628
.LBB134_1617:
	s_mov_b32 s19, -1
	s_branch .LBB134_1621
.LBB134_1618:
	s_and_not1_saveexec_b32 s24, s24
	s_cbranch_execz .LBB134_1517
.LBB134_1619:
	v_add_f32_e32 v0, 0x46000000, v1
	s_and_not1_b32 s23, s23, exec_lo
	s_delay_alu instid0(VALU_DEP_1) | instskip(NEXT) | instid1(VALU_DEP_1)
	v_and_b32_e32 v0, 0xff, v0
	v_cmp_ne_u32_e32 vcc_lo, 0, v0
	s_and_b32 s25, vcc_lo, exec_lo
	s_delay_alu instid0(SALU_CYCLE_1)
	s_or_b32 s23, s23, s25
	s_or_b32 exec_lo, exec_lo, s24
	v_mov_b32_e32 v4, 0
	s_and_saveexec_b32 s24, s23
	s_cbranch_execnz .LBB134_1518
	s_branch .LBB134_1519
.LBB134_1620:
	s_mov_b32 s13, -1
.LBB134_1621:
	s_mov_b32 s18, 0
                                        ; implicit-def: $vgpr5
.LBB134_1622:
	s_and_b32 vcc_lo, exec_lo, s19
	s_cbranch_vccz .LBB134_1627
; %bb.1623:
	s_cmp_eq_u32 s0, 44
	s_cbranch_scc0 .LBB134_1625
; %bb.1624:
	global_load_u8 v1, v[2:3], off
	s_mov_b32 s13, 0
	s_mov_b32 s18, -1
	s_wait_loadcnt 0x0
	v_lshlrev_b32_e32 v4, 23, v1
	v_cmp_ne_u32_e32 vcc_lo, 0xff, v1
	s_delay_alu instid0(VALU_DEP_2) | instskip(SKIP_1) | instid1(VALU_DEP_2)
	v_cndmask_b32_e32 v4, 0x7f800001, v4, vcc_lo
	v_cmp_ne_u32_e32 vcc_lo, 0, v1
	v_cndmask_b32_e32 v4, 0x400000, v4, vcc_lo
	s_branch .LBB134_1626
.LBB134_1625:
	s_mov_b32 s13, -1
                                        ; implicit-def: $vgpr4
.LBB134_1626:
	v_mov_b32_e32 v5, 0
.LBB134_1627:
	s_mov_b32 s19, 0
.LBB134_1628:
	s_delay_alu instid0(SALU_CYCLE_1)
	s_and_b32 vcc_lo, exec_lo, s19
	s_cbranch_vccz .LBB134_1633
; %bb.1629:
	s_cmp_eq_u32 s0, 29
	s_cbranch_scc0 .LBB134_1631
; %bb.1630:
	global_load_b64 v[4:5], v[2:3], off
	s_mov_b32 s13, 0
	s_mov_b32 s18, -1
	s_wait_loadcnt 0x0
	v_clz_i32_u32_e32 v1, v5
	s_delay_alu instid0(VALU_DEP_1) | instskip(NEXT) | instid1(VALU_DEP_1)
	v_min_u32_e32 v1, 32, v1
	v_lshlrev_b64_e32 v[4:5], v1, v[4:5]
	v_sub_nc_u32_e32 v1, 32, v1
	s_delay_alu instid0(VALU_DEP_2) | instskip(NEXT) | instid1(VALU_DEP_1)
	v_min_u32_e32 v4, 1, v4
	v_or_b32_e32 v4, v5, v4
	s_delay_alu instid0(VALU_DEP_1) | instskip(NEXT) | instid1(VALU_DEP_1)
	v_cvt_f32_u32_e32 v4, v4
	v_ldexp_f32 v4, v4, v1
	s_branch .LBB134_1632
.LBB134_1631:
	s_mov_b32 s13, -1
                                        ; implicit-def: $vgpr4
.LBB134_1632:
	v_mov_b32_e32 v5, 0
.LBB134_1633:
	s_branch .LBB134_1651
.LBB134_1634:
	s_cmp_lt_i32 s0, 27
	s_cbranch_scc1 .LBB134_1637
; %bb.1635:
	s_cmp_gt_i32 s0, 27
	s_cbranch_scc0 .LBB134_1638
; %bb.1636:
	global_load_b32 v1, v[2:3], off
	s_mov_b32 s18, 0
	s_wait_loadcnt 0x0
	v_cvt_f32_u32_e32 v4, v1
	s_branch .LBB134_1639
.LBB134_1637:
	s_mov_b32 s18, -1
                                        ; implicit-def: $vgpr4
	s_branch .LBB134_1642
.LBB134_1638:
	s_mov_b32 s18, -1
                                        ; implicit-def: $vgpr4
.LBB134_1639:
	s_delay_alu instid0(SALU_CYCLE_1)
	s_and_not1_b32 vcc_lo, exec_lo, s18
	s_cbranch_vccnz .LBB134_1641
; %bb.1640:
	global_load_u16 v1, v[2:3], off
	s_wait_loadcnt 0x0
	v_cvt_f32_u32_e32 v4, v1
.LBB134_1641:
	s_mov_b32 s18, 0
.LBB134_1642:
	s_delay_alu instid0(SALU_CYCLE_1)
	s_and_not1_b32 vcc_lo, exec_lo, s18
	s_cbranch_vccnz .LBB134_1650
; %bb.1643:
	global_load_u8 v1, v[2:3], off
	s_mov_b32 s18, 0
	s_mov_b32 s19, exec_lo
	s_wait_loadcnt 0x0
	v_cmpx_lt_i16_e32 0x7f, v1
	s_xor_b32 s19, exec_lo, s19
	s_cbranch_execz .LBB134_1663
; %bb.1644:
	s_mov_b32 s18, -1
	s_mov_b32 s20, exec_lo
	v_cmpx_eq_u16_e32 0x80, v1
; %bb.1645:
	s_xor_b32 s18, exec_lo, -1
; %bb.1646:
	s_or_b32 exec_lo, exec_lo, s20
	s_delay_alu instid0(SALU_CYCLE_1)
	s_and_b32 s18, s18, exec_lo
	s_or_saveexec_b32 s19, s19
	v_mov_b32_e32 v4, 0x7f800001
	s_xor_b32 exec_lo, exec_lo, s19
	s_cbranch_execnz .LBB134_1664
.LBB134_1647:
	s_or_b32 exec_lo, exec_lo, s19
	s_and_saveexec_b32 s19, s18
	s_cbranch_execz .LBB134_1649
.LBB134_1648:
	v_and_b32_e32 v4, 0xffff, v1
	s_delay_alu instid0(VALU_DEP_1) | instskip(SKIP_1) | instid1(VALU_DEP_2)
	v_and_b32_e32 v5, 7, v4
	v_bfe_u32 v8, v4, 3, 4
	v_clz_i32_u32_e32 v6, v5
	s_delay_alu instid0(VALU_DEP_2) | instskip(NEXT) | instid1(VALU_DEP_2)
	v_cmp_eq_u32_e32 vcc_lo, 0, v8
	v_min_u32_e32 v6, 32, v6
	s_delay_alu instid0(VALU_DEP_1) | instskip(NEXT) | instid1(VALU_DEP_1)
	v_subrev_nc_u32_e32 v7, 28, v6
	v_dual_lshlrev_b32 v4, v7, v4 :: v_dual_sub_nc_u32 v6, 29, v6
	s_delay_alu instid0(VALU_DEP_1) | instskip(NEXT) | instid1(VALU_DEP_1)
	v_dual_lshlrev_b32 v1, 24, v1 :: v_dual_bitop2_b32 v4, 7, v4 bitop3:0x40
	v_dual_cndmask_b32 v6, v8, v6, vcc_lo :: v_dual_cndmask_b32 v4, v5, v4, vcc_lo
	s_delay_alu instid0(VALU_DEP_2) | instskip(NEXT) | instid1(VALU_DEP_2)
	v_and_b32_e32 v1, 0x80000000, v1
	v_lshl_add_u32 v5, v6, 23, 0x3b800000
	s_delay_alu instid0(VALU_DEP_3) | instskip(NEXT) | instid1(VALU_DEP_1)
	v_lshlrev_b32_e32 v4, 20, v4
	v_or3_b32 v4, v1, v5, v4
.LBB134_1649:
	s_or_b32 exec_lo, exec_lo, s19
.LBB134_1650:
	v_mov_b32_e32 v5, 0
	s_mov_b32 s18, -1
.LBB134_1651:
	s_branch .LBB134_1684
.LBB134_1652:
	s_cmp_gt_i32 s0, 22
	s_cbranch_scc0 .LBB134_1662
; %bb.1653:
	s_cmp_lt_i32 s0, 24
	s_cbranch_scc1 .LBB134_1665
; %bb.1654:
	s_cmp_gt_i32 s0, 24
	s_cbranch_scc0 .LBB134_1666
; %bb.1655:
	global_load_u8 v1, v[2:3], off
	s_mov_b32 s18, exec_lo
	s_wait_loadcnt 0x0
	v_cmpx_lt_i16_e32 0x7f, v1
	s_xor_b32 s18, exec_lo, s18
	s_cbranch_execz .LBB134_1677
; %bb.1656:
	s_mov_b32 s17, -1
	s_mov_b32 s19, exec_lo
	v_cmpx_eq_u16_e32 0x80, v1
; %bb.1657:
	s_xor_b32 s17, exec_lo, -1
; %bb.1658:
	s_or_b32 exec_lo, exec_lo, s19
	s_delay_alu instid0(SALU_CYCLE_1)
	s_and_b32 s17, s17, exec_lo
	s_or_saveexec_b32 s18, s18
	v_mov_b32_e32 v4, 0x7f800001
	s_xor_b32 exec_lo, exec_lo, s18
	s_cbranch_execnz .LBB134_1678
.LBB134_1659:
	s_or_b32 exec_lo, exec_lo, s18
	s_and_saveexec_b32 s18, s17
	s_cbranch_execz .LBB134_1661
.LBB134_1660:
	v_and_b32_e32 v4, 0xffff, v1
	s_delay_alu instid0(VALU_DEP_1) | instskip(SKIP_1) | instid1(VALU_DEP_2)
	v_and_b32_e32 v5, 3, v4
	v_bfe_u32 v8, v4, 2, 5
	v_clz_i32_u32_e32 v6, v5
	s_delay_alu instid0(VALU_DEP_2) | instskip(NEXT) | instid1(VALU_DEP_2)
	v_cmp_eq_u32_e32 vcc_lo, 0, v8
	v_min_u32_e32 v6, 32, v6
	s_delay_alu instid0(VALU_DEP_1) | instskip(NEXT) | instid1(VALU_DEP_1)
	v_subrev_nc_u32_e32 v7, 29, v6
	v_dual_lshlrev_b32 v4, v7, v4 :: v_dual_sub_nc_u32 v6, 30, v6
	s_delay_alu instid0(VALU_DEP_1) | instskip(NEXT) | instid1(VALU_DEP_1)
	v_dual_lshlrev_b32 v1, 24, v1 :: v_dual_bitop2_b32 v4, 3, v4 bitop3:0x40
	v_dual_cndmask_b32 v6, v8, v6, vcc_lo :: v_dual_cndmask_b32 v4, v5, v4, vcc_lo
	s_delay_alu instid0(VALU_DEP_2) | instskip(NEXT) | instid1(VALU_DEP_2)
	v_and_b32_e32 v1, 0x80000000, v1
	v_lshl_add_u32 v5, v6, 23, 0x37800000
	s_delay_alu instid0(VALU_DEP_3) | instskip(NEXT) | instid1(VALU_DEP_1)
	v_lshlrev_b32_e32 v4, 21, v4
	v_or3_b32 v4, v1, v5, v4
.LBB134_1661:
	s_or_b32 exec_lo, exec_lo, s18
	s_mov_b32 s17, 0
	s_branch .LBB134_1667
.LBB134_1662:
                                        ; implicit-def: $vgpr4
	s_mov_b32 s17, 0
	s_branch .LBB134_1673
.LBB134_1663:
	s_or_saveexec_b32 s19, s19
	v_mov_b32_e32 v4, 0x7f800001
	s_xor_b32 exec_lo, exec_lo, s19
	s_cbranch_execz .LBB134_1647
.LBB134_1664:
	v_cmp_ne_u16_e32 vcc_lo, 0, v1
	v_mov_b32_e32 v4, 0
	s_and_not1_b32 s18, s18, exec_lo
	s_and_b32 s20, vcc_lo, exec_lo
	s_delay_alu instid0(SALU_CYCLE_1)
	s_or_b32 s18, s18, s20
	s_or_b32 exec_lo, exec_lo, s19
	s_and_saveexec_b32 s19, s18
	s_cbranch_execnz .LBB134_1648
	s_branch .LBB134_1649
.LBB134_1665:
	s_mov_b32 s17, -1
                                        ; implicit-def: $vgpr4
	s_branch .LBB134_1670
.LBB134_1666:
	s_mov_b32 s17, -1
                                        ; implicit-def: $vgpr4
.LBB134_1667:
	s_delay_alu instid0(SALU_CYCLE_1)
	s_and_b32 vcc_lo, exec_lo, s17
	s_cbranch_vccz .LBB134_1669
; %bb.1668:
	global_load_u8 v1, v[2:3], off
	s_wait_loadcnt 0x0
	v_lshlrev_b32_e32 v1, 24, v1
	s_delay_alu instid0(VALU_DEP_1) | instskip(NEXT) | instid1(VALU_DEP_1)
	v_and_b32_e32 v4, 0x7f000000, v1
	v_clz_i32_u32_e32 v5, v4
	v_cmp_ne_u32_e32 vcc_lo, 0, v4
	v_add_nc_u32_e32 v7, 0x1000000, v4
	s_delay_alu instid0(VALU_DEP_3) | instskip(NEXT) | instid1(VALU_DEP_1)
	v_min_u32_e32 v5, 32, v5
	v_sub_nc_u32_e64 v5, v5, 4 clamp
	s_delay_alu instid0(VALU_DEP_1) | instskip(NEXT) | instid1(VALU_DEP_1)
	v_dual_lshlrev_b32 v6, v5, v4 :: v_dual_lshlrev_b32 v5, 23, v5
	v_lshrrev_b32_e32 v6, 4, v6
	s_delay_alu instid0(VALU_DEP_1) | instskip(NEXT) | instid1(VALU_DEP_1)
	v_dual_sub_nc_u32 v5, v6, v5 :: v_dual_ashrrev_i32 v6, 8, v7
	v_add_nc_u32_e32 v5, 0x3c000000, v5
	s_delay_alu instid0(VALU_DEP_1) | instskip(NEXT) | instid1(VALU_DEP_1)
	v_and_or_b32 v5, 0x7f800000, v6, v5
	v_cndmask_b32_e32 v4, 0, v5, vcc_lo
	s_delay_alu instid0(VALU_DEP_1)
	v_and_or_b32 v4, 0x80000000, v1, v4
.LBB134_1669:
	s_mov_b32 s17, 0
.LBB134_1670:
	s_delay_alu instid0(SALU_CYCLE_1)
	s_and_not1_b32 vcc_lo, exec_lo, s17
	s_cbranch_vccnz .LBB134_1672
; %bb.1671:
	global_load_u8 v1, v[2:3], off
	s_wait_loadcnt 0x0
	v_lshlrev_b32_e32 v4, 25, v1
	v_lshlrev_b16 v1, 8, v1
	s_delay_alu instid0(VALU_DEP_1) | instskip(SKIP_1) | instid1(VALU_DEP_2)
	v_and_or_b32 v6, 0x7f00, v1, 0.5
	v_bfe_i32 v1, v1, 0, 16
	v_dual_add_f32 v6, -0.5, v6 :: v_dual_lshrrev_b32 v5, 4, v4
	v_cmp_gt_u32_e32 vcc_lo, 0x8000000, v4
	s_delay_alu instid0(VALU_DEP_2) | instskip(NEXT) | instid1(VALU_DEP_1)
	v_or_b32_e32 v5, 0x70000000, v5
	v_mul_f32_e32 v5, 0x7800000, v5
	s_delay_alu instid0(VALU_DEP_1) | instskip(NEXT) | instid1(VALU_DEP_1)
	v_cndmask_b32_e32 v4, v5, v6, vcc_lo
	v_and_or_b32 v4, 0x80000000, v1, v4
.LBB134_1672:
	s_mov_b32 s18, -1
	s_mov_b32 s17, 0
	s_cbranch_execnz .LBB134_1683
.LBB134_1673:
	s_cmp_gt_i32 s0, 14
	s_cbranch_scc0 .LBB134_1676
; %bb.1674:
	s_cmp_eq_u32 s0, 15
	s_cbranch_scc0 .LBB134_1679
; %bb.1675:
	global_load_u16 v1, v[2:3], off
	s_mov_b32 s13, 0
	s_mov_b32 s18, -1
	s_wait_loadcnt 0x0
	v_lshlrev_b32_e32 v4, 16, v1
	s_branch .LBB134_1681
.LBB134_1676:
	s_mov_b32 s17, -1
	s_branch .LBB134_1680
.LBB134_1677:
	s_or_saveexec_b32 s18, s18
	v_mov_b32_e32 v4, 0x7f800001
	s_xor_b32 exec_lo, exec_lo, s18
	s_cbranch_execz .LBB134_1659
.LBB134_1678:
	v_cmp_ne_u16_e32 vcc_lo, 0, v1
	v_mov_b32_e32 v4, 0
	s_and_not1_b32 s17, s17, exec_lo
	s_and_b32 s19, vcc_lo, exec_lo
	s_delay_alu instid0(SALU_CYCLE_1)
	s_or_b32 s17, s17, s19
	s_or_b32 exec_lo, exec_lo, s18
	s_and_saveexec_b32 s18, s17
	s_cbranch_execnz .LBB134_1660
	s_branch .LBB134_1661
.LBB134_1679:
	s_mov_b32 s13, -1
.LBB134_1680:
                                        ; implicit-def: $vgpr4
.LBB134_1681:
	s_and_b32 vcc_lo, exec_lo, s17
	s_mov_b32 s17, 0
	s_cbranch_vccz .LBB134_1683
; %bb.1682:
	s_cmp_lg_u32 s0, 11
	s_mov_b32 s17, -1
	s_cselect_b32 s13, -1, 0
.LBB134_1683:
	v_mov_b32_e32 v5, 0
.LBB134_1684:
	s_and_b32 vcc_lo, exec_lo, s13
	s_mov_b32 s13, s16
	s_cbranch_vccnz .LBB134_1747
; %bb.1685:
	s_and_not1_b32 vcc_lo, exec_lo, s17
	s_cbranch_vccnz .LBB134_1687
.LBB134_1686:
	global_load_u8 v1, v[2:3], off
	v_mov_b32_e32 v5, 0
	s_mov_b32 s18, -1
	s_wait_loadcnt 0x0
	v_cmp_ne_u16_e32 vcc_lo, 0, v1
	v_cndmask_b32_e64 v4, 0, 1.0, vcc_lo
.LBB134_1687:
	s_branch .LBB134_1613
.LBB134_1688:
	s_and_b32 s0, 0xffff, s14
	s_delay_alu instid0(SALU_CYCLE_1)
	s_cmp_lt_i32 s0, 5
	s_cbranch_scc1 .LBB134_1693
; %bb.1689:
	s_cmp_lt_i32 s0, 8
	s_cbranch_scc1 .LBB134_1695
; %bb.1690:
	;; [unrolled: 3-line block ×3, first 2 shown]
	s_cmp_gt_i32 s0, 9
	s_cbranch_scc0 .LBB134_1697
; %bb.1692:
	global_load_b128 v[4:7], v[2:3], off
	s_mov_b32 s17, 0
	s_wait_loadcnt 0x0
	v_cvt_f32_f64_e32 v4, v[4:5]
	v_cvt_f32_f64_e32 v5, v[6:7]
	s_branch .LBB134_1698
.LBB134_1693:
                                        ; implicit-def: $vgpr5
	s_branch .LBB134_1716
.LBB134_1694:
	s_branch .LBB134_1735
.LBB134_1695:
                                        ; implicit-def: $vgpr5
	s_branch .LBB134_1704
.LBB134_1696:
	s_mov_b32 s17, -1
                                        ; implicit-def: $vgpr5
	s_branch .LBB134_1701
.LBB134_1697:
	s_mov_b32 s17, -1
                                        ; implicit-def: $vgpr5
.LBB134_1698:
	s_delay_alu instid0(SALU_CYCLE_1)
	s_and_not1_b32 vcc_lo, exec_lo, s17
	s_cbranch_vccnz .LBB134_1700
; %bb.1699:
	global_load_b64 v[4:5], v[2:3], off
.LBB134_1700:
	s_mov_b32 s17, 0
.LBB134_1701:
	s_delay_alu instid0(SALU_CYCLE_1)
	s_and_not1_b32 vcc_lo, exec_lo, s17
	s_cbranch_vccnz .LBB134_1703
; %bb.1702:
	global_load_b32 v1, v[2:3], off
	s_wait_loadcnt 0x0
	v_lshrrev_b32_e32 v4, 16, v1
	s_delay_alu instid0(VALU_DEP_1)
	v_cvt_f32_f16_e32 v5, v4
	v_cvt_f32_f16_e32 v4, v1
.LBB134_1703:
	s_cbranch_execnz .LBB134_1715
.LBB134_1704:
	s_cmp_lt_i32 s0, 6
	s_cbranch_scc1 .LBB134_1707
; %bb.1705:
	s_cmp_gt_i32 s0, 6
	s_cbranch_scc0 .LBB134_1708
; %bb.1706:
	s_wait_loadcnt 0x0
	global_load_b64 v[4:5], v[2:3], off
	s_mov_b32 s17, 0
	s_wait_loadcnt 0x0
	v_cvt_f32_f64_e32 v4, v[4:5]
	s_branch .LBB134_1709
.LBB134_1707:
	s_mov_b32 s17, -1
                                        ; implicit-def: $vgpr4
	s_branch .LBB134_1712
.LBB134_1708:
	s_mov_b32 s17, -1
                                        ; implicit-def: $vgpr4
.LBB134_1709:
	s_delay_alu instid0(SALU_CYCLE_1)
	s_and_not1_b32 vcc_lo, exec_lo, s17
	s_cbranch_vccnz .LBB134_1711
; %bb.1710:
	s_wait_loadcnt 0x0
	global_load_b32 v4, v[2:3], off
.LBB134_1711:
	s_mov_b32 s17, 0
.LBB134_1712:
	s_delay_alu instid0(SALU_CYCLE_1)
	s_and_not1_b32 vcc_lo, exec_lo, s17
	s_cbranch_vccnz .LBB134_1714
; %bb.1713:
	global_load_u16 v1, v[2:3], off
	s_wait_loadcnt 0x0
	v_cvt_f32_f16_e32 v4, v1
.LBB134_1714:
	s_wait_loadcnt 0x0
	v_mov_b32_e32 v5, 0
.LBB134_1715:
	s_cbranch_execnz .LBB134_1694
.LBB134_1716:
	s_cmp_lt_i32 s0, 2
	s_cbranch_scc1 .LBB134_1720
; %bb.1717:
	s_cmp_lt_i32 s0, 3
	s_cbranch_scc1 .LBB134_1721
; %bb.1718:
	s_cmp_gt_i32 s0, 3
	s_cbranch_scc0 .LBB134_1722
; %bb.1719:
	s_wait_loadcnt 0x0
	global_load_b64 v[4:5], v[2:3], off
	s_mov_b32 s17, 0
	s_wait_loadcnt 0x0
	v_xor_b32_e32 v1, v4, v5
	v_cls_i32_e32 v6, v5
	s_delay_alu instid0(VALU_DEP_2) | instskip(NEXT) | instid1(VALU_DEP_1)
	v_ashrrev_i32_e32 v1, 31, v1
	v_add_nc_u32_e32 v1, 32, v1
	s_delay_alu instid0(VALU_DEP_1) | instskip(NEXT) | instid1(VALU_DEP_1)
	v_add_min_u32_e64 v1, v6, -1, v1
	v_lshlrev_b64_e32 v[4:5], v1, v[4:5]
	v_sub_nc_u32_e32 v1, 32, v1
	s_delay_alu instid0(VALU_DEP_2) | instskip(NEXT) | instid1(VALU_DEP_1)
	v_min_u32_e32 v4, 1, v4
	v_or_b32_e32 v4, v5, v4
	s_delay_alu instid0(VALU_DEP_1) | instskip(NEXT) | instid1(VALU_DEP_1)
	v_cvt_f32_i32_e32 v4, v4
	v_ldexp_f32 v4, v4, v1
	s_branch .LBB134_1723
.LBB134_1720:
                                        ; implicit-def: $vgpr4
	s_branch .LBB134_1729
.LBB134_1721:
	s_mov_b32 s17, -1
                                        ; implicit-def: $vgpr4
	s_branch .LBB134_1726
.LBB134_1722:
	s_mov_b32 s17, -1
                                        ; implicit-def: $vgpr4
.LBB134_1723:
	s_delay_alu instid0(SALU_CYCLE_1)
	s_and_not1_b32 vcc_lo, exec_lo, s17
	s_cbranch_vccnz .LBB134_1725
; %bb.1724:
	global_load_b32 v1, v[2:3], off
	s_wait_loadcnt 0x0
	v_cvt_f32_i32_e32 v4, v1
.LBB134_1725:
	s_mov_b32 s17, 0
.LBB134_1726:
	s_delay_alu instid0(SALU_CYCLE_1)
	s_and_not1_b32 vcc_lo, exec_lo, s17
	s_cbranch_vccnz .LBB134_1728
; %bb.1727:
	global_load_i16 v1, v[2:3], off
	s_wait_loadcnt 0x0
	v_cvt_f32_i32_e32 v4, v1
.LBB134_1728:
	s_cbranch_execnz .LBB134_1734
.LBB134_1729:
	s_cmp_gt_i32 s0, 0
	s_mov_b32 s0, 0
	s_cbranch_scc0 .LBB134_1731
; %bb.1730:
	global_load_i8 v1, v[2:3], off
	s_wait_loadcnt 0x0
	v_cvt_f32_i32_e32 v4, v1
	s_branch .LBB134_1732
.LBB134_1731:
	s_mov_b32 s0, -1
                                        ; implicit-def: $vgpr4
.LBB134_1732:
	s_delay_alu instid0(SALU_CYCLE_1)
	s_and_not1_b32 vcc_lo, exec_lo, s0
	s_cbranch_vccnz .LBB134_1734
; %bb.1733:
	global_load_u8 v1, v[2:3], off
	s_wait_loadcnt 0x0
	v_cvt_f32_ubyte0_e32 v4, v1
.LBB134_1734:
	s_wait_loadcnt 0x0
	v_mov_b32_e32 v5, 0
.LBB134_1735:
	s_wait_xcnt 0x0
	v_mul_lo_u32 v2, s10, v10
	s_and_b32 s17, s1, 0xff
	s_delay_alu instid0(SALU_CYCLE_1) | instskip(NEXT) | instid1(VALU_DEP_1)
	s_cmp_lt_i32 s17, 11
	v_ashrrev_i32_e32 v3, 31, v2
	s_delay_alu instid0(VALU_DEP_1)
	v_add_nc_u64_e32 v[6:7], s[2:3], v[2:3]
	s_cbranch_scc1 .LBB134_1742
; %bb.1736:
	s_and_b32 s0, 0xffff, s17
	s_mov_b32 s18, 0
	s_cmp_gt_i32 s0, 25
	s_cbranch_scc0 .LBB134_1744
; %bb.1737:
	s_cmp_gt_i32 s0, 28
	s_cbranch_scc0 .LBB134_1745
; %bb.1738:
	;; [unrolled: 3-line block ×4, first 2 shown]
	s_cmp_eq_u32 s0, 46
	s_mov_b32 s20, 0
	s_cbranch_scc0 .LBB134_1751
; %bb.1741:
	global_load_b32 v1, v[6:7], off
	s_mov_b32 s1, 0
	s_mov_b32 s19, -1
	s_wait_loadcnt 0x0
	v_and_b32_e32 v9, 0xffff0000, v1
	v_lshlrev_b32_e32 v8, 16, v1
	s_branch .LBB134_1753
.LBB134_1742:
	s_mov_b32 s19, 0
                                        ; implicit-def: $vgpr9
	s_cbranch_execnz .LBB134_1821
.LBB134_1743:
	s_and_not1_b32 vcc_lo, exec_lo, s19
	s_cbranch_vccnz .LBB134_2703
	s_branch .LBB134_1870
.LBB134_1744:
	s_mov_b32 s19, 0
	s_mov_b32 s1, 0
                                        ; implicit-def: $vgpr9
	s_cbranch_execnz .LBB134_1784
	s_branch .LBB134_1817
.LBB134_1745:
	s_mov_b32 s20, -1
	s_mov_b32 s19, 0
	s_mov_b32 s1, 0
                                        ; implicit-def: $vgpr9
	s_branch .LBB134_1765
.LBB134_1746:
	s_mov_b32 s20, -1
	s_mov_b32 s19, 0
	s_mov_b32 s1, 0
                                        ; implicit-def: $vgpr9
	s_branch .LBB134_1759
.LBB134_1747:
	s_or_b32 s13, s16, exec_lo
	s_trap 2
	s_cbranch_execz .LBB134_1686
	s_branch .LBB134_1687
.LBB134_1748:
	s_mov_b32 s20, -1
	s_mov_b32 s19, 0
	s_mov_b32 s1, 0
	s_branch .LBB134_1752
.LBB134_1749:
	s_and_not1_saveexec_b32 s25, s25
	s_cbranch_execz .LBB134_1529
.LBB134_1750:
	v_add_f32_e32 v0, 0x42800000, v1
	s_and_not1_b32 s24, s24, exec_lo
	s_delay_alu instid0(VALU_DEP_1) | instskip(NEXT) | instid1(VALU_DEP_1)
	v_and_b32_e32 v0, 0xff, v0
	v_cmp_ne_u32_e32 vcc_lo, 0, v0
	s_and_b32 s26, vcc_lo, exec_lo
	s_delay_alu instid0(SALU_CYCLE_1)
	s_or_b32 s24, s24, s26
	s_or_b32 exec_lo, exec_lo, s25
	v_mov_b32_e32 v4, 0
	s_and_saveexec_b32 s25, s24
	s_cbranch_execnz .LBB134_1530
	s_branch .LBB134_1531
.LBB134_1751:
	s_mov_b32 s1, -1
	s_mov_b32 s19, 0
.LBB134_1752:
                                        ; implicit-def: $vgpr9
.LBB134_1753:
	s_and_b32 vcc_lo, exec_lo, s20
	s_cbranch_vccz .LBB134_1758
; %bb.1754:
	s_cmp_eq_u32 s0, 44
	s_cbranch_scc0 .LBB134_1756
; %bb.1755:
	global_load_u8 v1, v[6:7], off
	s_mov_b32 s1, 0
	s_mov_b32 s19, -1
	s_wait_loadcnt 0x0
	v_lshlrev_b32_e32 v3, 23, v1
	v_cmp_ne_u32_e32 vcc_lo, 0xff, v1
	s_delay_alu instid0(VALU_DEP_2) | instskip(SKIP_1) | instid1(VALU_DEP_2)
	v_cndmask_b32_e32 v3, 0x7f800001, v3, vcc_lo
	v_cmp_ne_u32_e32 vcc_lo, 0, v1
	v_cndmask_b32_e32 v8, 0x400000, v3, vcc_lo
	s_branch .LBB134_1757
.LBB134_1756:
	s_mov_b32 s1, -1
                                        ; implicit-def: $vgpr8
.LBB134_1757:
	v_mov_b32_e32 v9, 0
.LBB134_1758:
	s_mov_b32 s20, 0
.LBB134_1759:
	s_delay_alu instid0(SALU_CYCLE_1)
	s_and_b32 vcc_lo, exec_lo, s20
	s_cbranch_vccz .LBB134_1764
; %bb.1760:
	s_cmp_eq_u32 s0, 29
	s_cbranch_scc0 .LBB134_1762
; %bb.1761:
	global_load_b64 v[8:9], v[6:7], off
	s_mov_b32 s1, 0
	s_mov_b32 s19, -1
	s_wait_loadcnt 0x0
	v_clz_i32_u32_e32 v1, v9
	s_delay_alu instid0(VALU_DEP_1) | instskip(NEXT) | instid1(VALU_DEP_1)
	v_min_u32_e32 v1, 32, v1
	v_lshlrev_b64_e32 v[8:9], v1, v[8:9]
	v_sub_nc_u32_e32 v1, 32, v1
	s_delay_alu instid0(VALU_DEP_2) | instskip(NEXT) | instid1(VALU_DEP_1)
	v_min_u32_e32 v3, 1, v8
	v_or_b32_e32 v3, v9, v3
	s_delay_alu instid0(VALU_DEP_1) | instskip(NEXT) | instid1(VALU_DEP_1)
	v_cvt_f32_u32_e32 v3, v3
	v_ldexp_f32 v8, v3, v1
	s_branch .LBB134_1763
.LBB134_1762:
	s_mov_b32 s1, -1
                                        ; implicit-def: $vgpr8
.LBB134_1763:
	v_mov_b32_e32 v9, 0
.LBB134_1764:
	s_mov_b32 s20, 0
.LBB134_1765:
	s_delay_alu instid0(SALU_CYCLE_1)
	s_and_b32 vcc_lo, exec_lo, s20
	s_cbranch_vccz .LBB134_1783
; %bb.1766:
	s_cmp_lt_i32 s0, 27
	s_cbranch_scc1 .LBB134_1769
; %bb.1767:
	s_cmp_gt_i32 s0, 27
	s_cbranch_scc0 .LBB134_1770
; %bb.1768:
	global_load_b32 v1, v[6:7], off
	s_mov_b32 s19, 0
	s_wait_loadcnt 0x0
	v_cvt_f32_u32_e32 v8, v1
	s_branch .LBB134_1771
.LBB134_1769:
	s_mov_b32 s19, -1
                                        ; implicit-def: $vgpr8
	s_branch .LBB134_1774
.LBB134_1770:
	s_mov_b32 s19, -1
                                        ; implicit-def: $vgpr8
.LBB134_1771:
	s_delay_alu instid0(SALU_CYCLE_1)
	s_and_not1_b32 vcc_lo, exec_lo, s19
	s_cbranch_vccnz .LBB134_1773
; %bb.1772:
	global_load_u16 v1, v[6:7], off
	s_wait_loadcnt 0x0
	v_cvt_f32_u32_e32 v8, v1
.LBB134_1773:
	s_mov_b32 s19, 0
.LBB134_1774:
	s_delay_alu instid0(SALU_CYCLE_1)
	s_and_not1_b32 vcc_lo, exec_lo, s19
	s_cbranch_vccnz .LBB134_1782
; %bb.1775:
	global_load_u8 v1, v[6:7], off
	s_mov_b32 s19, 0
	s_mov_b32 s20, exec_lo
	s_wait_loadcnt 0x0
	v_cmpx_lt_i16_e32 0x7f, v1
	s_xor_b32 s20, exec_lo, s20
	s_cbranch_execz .LBB134_1795
; %bb.1776:
	s_mov_b32 s19, -1
	s_mov_b32 s21, exec_lo
	v_cmpx_eq_u16_e32 0x80, v1
; %bb.1777:
	s_xor_b32 s19, exec_lo, -1
; %bb.1778:
	s_or_b32 exec_lo, exec_lo, s21
	s_delay_alu instid0(SALU_CYCLE_1)
	s_and_b32 s19, s19, exec_lo
	s_or_saveexec_b32 s20, s20
	v_mov_b32_e32 v8, 0x7f800001
	s_xor_b32 exec_lo, exec_lo, s20
	s_cbranch_execnz .LBB134_1796
.LBB134_1779:
	s_or_b32 exec_lo, exec_lo, s20
	s_and_saveexec_b32 s20, s19
	s_cbranch_execz .LBB134_1781
.LBB134_1780:
	v_and_b32_e32 v3, 0xffff, v1
	s_delay_alu instid0(VALU_DEP_1) | instskip(SKIP_1) | instid1(VALU_DEP_2)
	v_and_b32_e32 v8, 7, v3
	v_bfe_u32 v12, v3, 3, 4
	v_clz_i32_u32_e32 v9, v8
	s_delay_alu instid0(VALU_DEP_2) | instskip(NEXT) | instid1(VALU_DEP_2)
	v_cmp_eq_u32_e32 vcc_lo, 0, v12
	v_min_u32_e32 v9, 32, v9
	s_delay_alu instid0(VALU_DEP_1) | instskip(NEXT) | instid1(VALU_DEP_1)
	v_subrev_nc_u32_e32 v11, 28, v9
	v_dual_lshlrev_b32 v3, v11, v3 :: v_dual_sub_nc_u32 v9, 29, v9
	s_delay_alu instid0(VALU_DEP_1) | instskip(NEXT) | instid1(VALU_DEP_1)
	v_dual_lshlrev_b32 v1, 24, v1 :: v_dual_bitop2_b32 v3, 7, v3 bitop3:0x40
	v_cndmask_b32_e32 v3, v8, v3, vcc_lo
	s_delay_alu instid0(VALU_DEP_3) | instskip(NEXT) | instid1(VALU_DEP_3)
	v_cndmask_b32_e32 v9, v12, v9, vcc_lo
	v_and_b32_e32 v1, 0x80000000, v1
	s_delay_alu instid0(VALU_DEP_3) | instskip(NEXT) | instid1(VALU_DEP_3)
	v_lshlrev_b32_e32 v3, 20, v3
	v_lshl_add_u32 v8, v9, 23, 0x3b800000
	s_delay_alu instid0(VALU_DEP_1)
	v_or3_b32 v8, v1, v8, v3
.LBB134_1781:
	s_or_b32 exec_lo, exec_lo, s20
.LBB134_1782:
	v_mov_b32_e32 v9, 0
	s_mov_b32 s19, -1
.LBB134_1783:
	s_branch .LBB134_1817
.LBB134_1784:
	s_cmp_gt_i32 s0, 22
	s_cbranch_scc0 .LBB134_1794
; %bb.1785:
	s_cmp_lt_i32 s0, 24
	s_cbranch_scc1 .LBB134_1797
; %bb.1786:
	s_cmp_gt_i32 s0, 24
	s_cbranch_scc0 .LBB134_1798
; %bb.1787:
	global_load_u8 v1, v[6:7], off
	s_mov_b32 s19, exec_lo
	s_wait_loadcnt 0x0
	v_cmpx_lt_i16_e32 0x7f, v1
	s_xor_b32 s19, exec_lo, s19
	s_cbranch_execz .LBB134_1810
; %bb.1788:
	s_mov_b32 s18, -1
	s_mov_b32 s20, exec_lo
	v_cmpx_eq_u16_e32 0x80, v1
; %bb.1789:
	s_xor_b32 s18, exec_lo, -1
; %bb.1790:
	s_or_b32 exec_lo, exec_lo, s20
	s_delay_alu instid0(SALU_CYCLE_1)
	s_and_b32 s18, s18, exec_lo
	s_or_saveexec_b32 s19, s19
	v_mov_b32_e32 v8, 0x7f800001
	s_xor_b32 exec_lo, exec_lo, s19
	s_cbranch_execnz .LBB134_1811
.LBB134_1791:
	s_or_b32 exec_lo, exec_lo, s19
	s_and_saveexec_b32 s19, s18
	s_cbranch_execz .LBB134_1793
.LBB134_1792:
	v_and_b32_e32 v3, 0xffff, v1
	s_delay_alu instid0(VALU_DEP_1) | instskip(SKIP_1) | instid1(VALU_DEP_2)
	v_and_b32_e32 v8, 3, v3
	v_bfe_u32 v12, v3, 2, 5
	v_clz_i32_u32_e32 v9, v8
	s_delay_alu instid0(VALU_DEP_2) | instskip(NEXT) | instid1(VALU_DEP_2)
	v_cmp_eq_u32_e32 vcc_lo, 0, v12
	v_min_u32_e32 v9, 32, v9
	s_delay_alu instid0(VALU_DEP_1) | instskip(NEXT) | instid1(VALU_DEP_1)
	v_subrev_nc_u32_e32 v11, 29, v9
	v_dual_lshlrev_b32 v3, v11, v3 :: v_dual_sub_nc_u32 v9, 30, v9
	s_delay_alu instid0(VALU_DEP_1) | instskip(NEXT) | instid1(VALU_DEP_1)
	v_dual_lshlrev_b32 v1, 24, v1 :: v_dual_bitop2_b32 v3, 3, v3 bitop3:0x40
	v_cndmask_b32_e32 v3, v8, v3, vcc_lo
	s_delay_alu instid0(VALU_DEP_3) | instskip(NEXT) | instid1(VALU_DEP_3)
	v_cndmask_b32_e32 v9, v12, v9, vcc_lo
	v_and_b32_e32 v1, 0x80000000, v1
	s_delay_alu instid0(VALU_DEP_3) | instskip(NEXT) | instid1(VALU_DEP_3)
	v_lshlrev_b32_e32 v3, 21, v3
	v_lshl_add_u32 v8, v9, 23, 0x37800000
	s_delay_alu instid0(VALU_DEP_1)
	v_or3_b32 v8, v1, v8, v3
.LBB134_1793:
	s_or_b32 exec_lo, exec_lo, s19
	s_mov_b32 s18, 0
	s_branch .LBB134_1799
.LBB134_1794:
	s_mov_b32 s18, -1
                                        ; implicit-def: $vgpr8
	s_branch .LBB134_1805
.LBB134_1795:
	s_or_saveexec_b32 s20, s20
	v_mov_b32_e32 v8, 0x7f800001
	s_xor_b32 exec_lo, exec_lo, s20
	s_cbranch_execz .LBB134_1779
.LBB134_1796:
	v_cmp_ne_u16_e32 vcc_lo, 0, v1
	v_mov_b32_e32 v8, 0
	s_and_not1_b32 s19, s19, exec_lo
	s_and_b32 s21, vcc_lo, exec_lo
	s_delay_alu instid0(SALU_CYCLE_1)
	s_or_b32 s19, s19, s21
	s_or_b32 exec_lo, exec_lo, s20
	s_and_saveexec_b32 s20, s19
	s_cbranch_execnz .LBB134_1780
	s_branch .LBB134_1781
.LBB134_1797:
	s_mov_b32 s18, -1
                                        ; implicit-def: $vgpr8
	s_branch .LBB134_1802
.LBB134_1798:
	s_mov_b32 s18, -1
                                        ; implicit-def: $vgpr8
.LBB134_1799:
	s_delay_alu instid0(SALU_CYCLE_1)
	s_and_b32 vcc_lo, exec_lo, s18
	s_cbranch_vccz .LBB134_1801
; %bb.1800:
	global_load_u8 v1, v[6:7], off
	s_wait_loadcnt 0x0
	v_lshlrev_b32_e32 v1, 24, v1
	s_delay_alu instid0(VALU_DEP_1) | instskip(NEXT) | instid1(VALU_DEP_1)
	v_and_b32_e32 v3, 0x7f000000, v1
	v_clz_i32_u32_e32 v8, v3
	v_add_nc_u32_e32 v11, 0x1000000, v3
	v_cmp_ne_u32_e32 vcc_lo, 0, v3
	s_delay_alu instid0(VALU_DEP_3) | instskip(NEXT) | instid1(VALU_DEP_1)
	v_min_u32_e32 v8, 32, v8
	v_sub_nc_u32_e64 v8, v8, 4 clamp
	s_delay_alu instid0(VALU_DEP_1) | instskip(NEXT) | instid1(VALU_DEP_1)
	v_dual_lshlrev_b32 v9, v8, v3 :: v_dual_lshlrev_b32 v8, 23, v8
	v_lshrrev_b32_e32 v9, 4, v9
	s_delay_alu instid0(VALU_DEP_1) | instskip(NEXT) | instid1(VALU_DEP_1)
	v_dual_sub_nc_u32 v8, v9, v8 :: v_dual_ashrrev_i32 v9, 8, v11
	v_add_nc_u32_e32 v8, 0x3c000000, v8
	s_delay_alu instid0(VALU_DEP_1) | instskip(NEXT) | instid1(VALU_DEP_1)
	v_and_or_b32 v8, 0x7f800000, v9, v8
	v_cndmask_b32_e32 v3, 0, v8, vcc_lo
	s_delay_alu instid0(VALU_DEP_1)
	v_and_or_b32 v8, 0x80000000, v1, v3
.LBB134_1801:
	s_mov_b32 s18, 0
.LBB134_1802:
	s_delay_alu instid0(SALU_CYCLE_1)
	s_and_not1_b32 vcc_lo, exec_lo, s18
	s_cbranch_vccnz .LBB134_1804
; %bb.1803:
	global_load_u8 v1, v[6:7], off
	s_wait_loadcnt 0x0
	v_lshlrev_b32_e32 v3, 25, v1
	v_lshlrev_b16 v1, 8, v1
	s_delay_alu instid0(VALU_DEP_1) | instskip(NEXT) | instid1(VALU_DEP_3)
	v_and_or_b32 v9, 0x7f00, v1, 0.5
	v_lshrrev_b32_e32 v8, 4, v3
	v_bfe_i32 v1, v1, 0, 16
	s_delay_alu instid0(VALU_DEP_3) | instskip(NEXT) | instid1(VALU_DEP_3)
	v_add_f32_e32 v9, -0.5, v9
	v_or_b32_e32 v8, 0x70000000, v8
	s_delay_alu instid0(VALU_DEP_1) | instskip(SKIP_1) | instid1(VALU_DEP_2)
	v_mul_f32_e32 v8, 0x7800000, v8
	v_cmp_gt_u32_e32 vcc_lo, 0x8000000, v3
	v_cndmask_b32_e32 v3, v8, v9, vcc_lo
	s_delay_alu instid0(VALU_DEP_1)
	v_and_or_b32 v8, 0x80000000, v1, v3
.LBB134_1804:
	s_mov_b32 s18, 0
	s_mov_b32 s19, -1
.LBB134_1805:
	s_and_not1_b32 vcc_lo, exec_lo, s18
	s_mov_b32 s18, 0
	s_cbranch_vccnz .LBB134_1816
; %bb.1806:
	s_cmp_gt_i32 s0, 14
	s_cbranch_scc0 .LBB134_1809
; %bb.1807:
	s_cmp_eq_u32 s0, 15
	s_cbranch_scc0 .LBB134_1812
; %bb.1808:
	global_load_u16 v1, v[6:7], off
	s_mov_b32 s1, 0
	s_mov_b32 s19, -1
	s_wait_loadcnt 0x0
	v_lshlrev_b32_e32 v8, 16, v1
	s_branch .LBB134_1814
.LBB134_1809:
	s_mov_b32 s18, -1
	s_branch .LBB134_1813
.LBB134_1810:
	s_or_saveexec_b32 s19, s19
	v_mov_b32_e32 v8, 0x7f800001
	s_xor_b32 exec_lo, exec_lo, s19
	s_cbranch_execz .LBB134_1791
.LBB134_1811:
	v_cmp_ne_u16_e32 vcc_lo, 0, v1
	v_mov_b32_e32 v8, 0
	s_and_not1_b32 s18, s18, exec_lo
	s_and_b32 s20, vcc_lo, exec_lo
	s_delay_alu instid0(SALU_CYCLE_1)
	s_or_b32 s18, s18, s20
	s_or_b32 exec_lo, exec_lo, s19
	s_and_saveexec_b32 s19, s18
	s_cbranch_execnz .LBB134_1792
	s_branch .LBB134_1793
.LBB134_1812:
	s_mov_b32 s1, -1
.LBB134_1813:
                                        ; implicit-def: $vgpr8
.LBB134_1814:
	s_and_b32 vcc_lo, exec_lo, s18
	s_mov_b32 s18, 0
	s_cbranch_vccz .LBB134_1816
; %bb.1815:
	s_cmp_lg_u32 s0, 11
	s_mov_b32 s18, -1
	s_cselect_b32 s1, -1, 0
.LBB134_1816:
	v_mov_b32_e32 v9, 0
.LBB134_1817:
	s_and_b32 vcc_lo, exec_lo, s1
	s_cbranch_vccnz .LBB134_1898
; %bb.1818:
	s_and_not1_b32 vcc_lo, exec_lo, s18
	s_cbranch_vccnz .LBB134_1820
.LBB134_1819:
	global_load_u8 v1, v[6:7], off
	v_mov_b32_e32 v9, 0
	s_mov_b32 s19, -1
	s_wait_loadcnt 0x0
	v_cmp_ne_u16_e32 vcc_lo, 0, v1
	v_cndmask_b32_e64 v8, 0, 1.0, vcc_lo
.LBB134_1820:
	s_branch .LBB134_1743
.LBB134_1821:
	s_and_b32 s0, 0xffff, s17
	s_delay_alu instid0(SALU_CYCLE_1)
	s_cmp_lt_i32 s0, 5
	s_cbranch_scc1 .LBB134_1826
; %bb.1822:
	s_cmp_lt_i32 s0, 8
	s_cbranch_scc1 .LBB134_1828
; %bb.1823:
	;; [unrolled: 3-line block ×3, first 2 shown]
	s_cmp_gt_i32 s0, 9
	s_cbranch_scc0 .LBB134_1830
; %bb.1825:
	global_load_b128 v[12:15], v[6:7], off
	s_mov_b32 s1, 0
	s_wait_loadcnt 0x0
	v_cvt_f32_f64_e32 v8, v[12:13]
	v_cvt_f32_f64_e32 v9, v[14:15]
	s_branch .LBB134_1831
.LBB134_1826:
                                        ; implicit-def: $vgpr9
	s_branch .LBB134_1850
.LBB134_1827:
	s_branch .LBB134_1870
.LBB134_1828:
	s_mov_b32 s1, -1
                                        ; implicit-def: $vgpr9
	s_branch .LBB134_1837
.LBB134_1829:
	s_mov_b32 s1, -1
                                        ; implicit-def: $vgpr9
	s_branch .LBB134_1834
.LBB134_1830:
	s_mov_b32 s1, -1
                                        ; implicit-def: $vgpr9
.LBB134_1831:
	s_delay_alu instid0(SALU_CYCLE_1)
	s_and_not1_b32 vcc_lo, exec_lo, s1
	s_cbranch_vccnz .LBB134_1833
; %bb.1832:
	global_load_b64 v[8:9], v[6:7], off
.LBB134_1833:
	s_mov_b32 s1, 0
.LBB134_1834:
	s_delay_alu instid0(SALU_CYCLE_1)
	s_and_not1_b32 vcc_lo, exec_lo, s1
	s_cbranch_vccnz .LBB134_1836
; %bb.1835:
	global_load_b32 v1, v[6:7], off
	s_wait_loadcnt 0x0
	v_lshrrev_b32_e32 v3, 16, v1
	v_cvt_f32_f16_e32 v8, v1
	s_delay_alu instid0(VALU_DEP_2)
	v_cvt_f32_f16_e32 v9, v3
.LBB134_1836:
	s_mov_b32 s1, 0
.LBB134_1837:
	s_delay_alu instid0(SALU_CYCLE_1)
	s_and_not1_b32 vcc_lo, exec_lo, s1
	s_cbranch_vccnz .LBB134_1849
; %bb.1838:
	s_cmp_lt_i32 s0, 6
	s_cbranch_scc1 .LBB134_1841
; %bb.1839:
	s_cmp_gt_i32 s0, 6
	s_cbranch_scc0 .LBB134_1842
; %bb.1840:
	s_wait_loadcnt 0x0
	global_load_b64 v[8:9], v[6:7], off
	s_mov_b32 s1, 0
	s_wait_loadcnt 0x0
	v_cvt_f32_f64_e32 v8, v[8:9]
	s_branch .LBB134_1843
.LBB134_1841:
	s_mov_b32 s1, -1
                                        ; implicit-def: $vgpr8
	s_branch .LBB134_1846
.LBB134_1842:
	s_mov_b32 s1, -1
                                        ; implicit-def: $vgpr8
.LBB134_1843:
	s_delay_alu instid0(SALU_CYCLE_1)
	s_and_not1_b32 vcc_lo, exec_lo, s1
	s_cbranch_vccnz .LBB134_1845
; %bb.1844:
	s_wait_loadcnt 0x0
	global_load_b32 v8, v[6:7], off
.LBB134_1845:
	s_mov_b32 s1, 0
.LBB134_1846:
	s_delay_alu instid0(SALU_CYCLE_1)
	s_and_not1_b32 vcc_lo, exec_lo, s1
	s_cbranch_vccnz .LBB134_1848
; %bb.1847:
	global_load_u16 v1, v[6:7], off
	s_wait_loadcnt 0x0
	v_cvt_f32_f16_e32 v8, v1
.LBB134_1848:
	s_wait_loadcnt 0x0
	v_mov_b32_e32 v9, 0
.LBB134_1849:
	s_cbranch_execnz .LBB134_1827
.LBB134_1850:
	s_cmp_lt_i32 s0, 2
	s_cbranch_scc1 .LBB134_1854
; %bb.1851:
	s_cmp_lt_i32 s0, 3
	s_cbranch_scc1 .LBB134_1855
; %bb.1852:
	s_cmp_gt_i32 s0, 3
	s_cbranch_scc0 .LBB134_1856
; %bb.1853:
	s_wait_loadcnt 0x0
	global_load_b64 v[8:9], v[6:7], off
	s_mov_b32 s1, 0
	s_wait_loadcnt 0x0
	v_xor_b32_e32 v1, v8, v9
	v_cls_i32_e32 v3, v9
	s_delay_alu instid0(VALU_DEP_2) | instskip(NEXT) | instid1(VALU_DEP_1)
	v_ashrrev_i32_e32 v1, 31, v1
	v_add_nc_u32_e32 v1, 32, v1
	s_delay_alu instid0(VALU_DEP_1) | instskip(NEXT) | instid1(VALU_DEP_1)
	v_add_min_u32_e64 v1, v3, -1, v1
	v_lshlrev_b64_e32 v[8:9], v1, v[8:9]
	v_sub_nc_u32_e32 v1, 32, v1
	s_delay_alu instid0(VALU_DEP_2) | instskip(NEXT) | instid1(VALU_DEP_1)
	v_min_u32_e32 v3, 1, v8
	v_or_b32_e32 v3, v9, v3
	s_delay_alu instid0(VALU_DEP_1) | instskip(NEXT) | instid1(VALU_DEP_1)
	v_cvt_f32_i32_e32 v3, v3
	v_ldexp_f32 v8, v3, v1
	s_branch .LBB134_1857
.LBB134_1854:
	s_mov_b32 s1, -1
                                        ; implicit-def: $vgpr8
	s_branch .LBB134_1863
.LBB134_1855:
	s_mov_b32 s1, -1
                                        ; implicit-def: $vgpr8
	s_branch .LBB134_1860
.LBB134_1856:
	s_mov_b32 s1, -1
                                        ; implicit-def: $vgpr8
.LBB134_1857:
	s_delay_alu instid0(SALU_CYCLE_1)
	s_and_not1_b32 vcc_lo, exec_lo, s1
	s_cbranch_vccnz .LBB134_1859
; %bb.1858:
	global_load_b32 v1, v[6:7], off
	s_wait_loadcnt 0x0
	v_cvt_f32_i32_e32 v8, v1
.LBB134_1859:
	s_mov_b32 s1, 0
.LBB134_1860:
	s_delay_alu instid0(SALU_CYCLE_1)
	s_and_not1_b32 vcc_lo, exec_lo, s1
	s_cbranch_vccnz .LBB134_1862
; %bb.1861:
	global_load_i16 v1, v[6:7], off
	s_wait_loadcnt 0x0
	v_cvt_f32_i32_e32 v8, v1
.LBB134_1862:
	s_mov_b32 s1, 0
.LBB134_1863:
	s_delay_alu instid0(SALU_CYCLE_1)
	s_and_not1_b32 vcc_lo, exec_lo, s1
	s_cbranch_vccnz .LBB134_1869
; %bb.1864:
	s_cmp_gt_i32 s0, 0
	s_mov_b32 s0, 0
	s_cbranch_scc0 .LBB134_1866
; %bb.1865:
	global_load_i8 v1, v[6:7], off
	s_wait_loadcnt 0x0
	v_cvt_f32_i32_e32 v8, v1
	s_branch .LBB134_1867
.LBB134_1866:
	s_mov_b32 s0, -1
                                        ; implicit-def: $vgpr8
.LBB134_1867:
	s_delay_alu instid0(SALU_CYCLE_1)
	s_and_not1_b32 vcc_lo, exec_lo, s0
	s_cbranch_vccnz .LBB134_1869
; %bb.1868:
	global_load_u8 v1, v[6:7], off
	s_wait_loadcnt 0x0
	v_cvt_f32_ubyte0_e32 v8, v1
.LBB134_1869:
	s_wait_loadcnt 0x0
	v_mov_b32_e32 v9, 0
.LBB134_1870:
	s_cmp_lg_u32 s11, 0
	s_mov_b32 s18, 0
	s_cselect_b32 s11, -1, 0
	s_delay_alu instid0(SALU_CYCLE_1)
	s_and_b32 vcc_lo, exec_lo, s11
	s_cbranch_vccz .LBB134_1882
; %bb.1871:
	s_wait_loadcnt 0x0
	s_delay_alu instid0(VALU_DEP_2) | instskip(NEXT) | instid1(VALU_DEP_2)
	v_cmp_neq_f32_e32 vcc_lo, v4, v8
	v_cmp_neq_f32_e64 s0, v5, v9
	s_or_b32 s1, vcc_lo, s0
	s_and_not1_b32 vcc_lo, exec_lo, s18
	s_cbranch_vccnz .LBB134_1873
.LBB134_1872:
	s_wait_loadcnt 0x0
	s_delay_alu instid0(VALU_DEP_1) | instskip(NEXT) | instid1(VALU_DEP_3)
	v_cmp_eq_f32_e32 vcc_lo, v5, v9
	v_cmp_eq_f32_e64 s0, v4, v8
	s_and_not1_b32 s1, s1, exec_lo
	s_and_b32 s0, s0, vcc_lo
	s_delay_alu instid0(SALU_CYCLE_1) | instskip(NEXT) | instid1(SALU_CYCLE_1)
	s_and_b32 s0, s0, exec_lo
	s_or_b32 s1, s1, s0
.LBB134_1873:
	s_lshl_b32 s18, s9, 7
	s_cmp_lt_i32 s14, 11
	v_add_nc_u32_e32 v0, s18, v0
	s_delay_alu instid0(VALU_DEP_1) | instskip(SKIP_1) | instid1(VALU_DEP_1)
	v_ashrrev_i32_e32 v1, 31, v0
	s_wait_xcnt 0x0
	v_add_nc_u64_e32 v[6:7], s[6:7], v[0:1]
	s_cbranch_scc1 .LBB134_1880
; %bb.1874:
	s_and_b32 s0, 0xffff, s14
	s_mov_b32 s19, 0
	s_cmp_gt_i32 s0, 25
	s_cbranch_scc0 .LBB134_1883
; %bb.1875:
	s_cmp_gt_i32 s0, 28
	s_cbranch_scc0 .LBB134_1894
; %bb.1876:
	s_cmp_gt_i32 s0, 43
	s_cbranch_scc0 .LBB134_1896
; %bb.1877:
	s_cmp_gt_i32 s0, 45
	s_cbranch_scc0 .LBB134_1899
; %bb.1878:
	s_cmp_eq_u32 s0, 46
	s_mov_b32 s21, 0
	s_cbranch_scc0 .LBB134_1953
; %bb.1879:
	global_load_b32 v1, v[6:7], off
	s_mov_b32 s9, 0
	s_mov_b32 s20, -1
	s_wait_loadcnt 0x0
	v_and_b32_e32 v5, 0xffff0000, v1
	v_lshlrev_b32_e32 v4, 16, v1
	s_branch .LBB134_1955
.LBB134_1880:
	s_mov_b32 s20, 0
                                        ; implicit-def: $vgpr5
	s_cbranch_execnz .LBB134_1888
.LBB134_1881:
	s_and_not1_b32 vcc_lo, exec_lo, s20
	s_cbranch_vccnz .LBB134_2703
	s_branch .LBB134_1942
.LBB134_1882:
                                        ; implicit-def: $sgpr1
	s_branch .LBB134_1872
.LBB134_1883:
	s_mov_b32 s20, 0
	s_mov_b32 s9, 0
                                        ; implicit-def: $vgpr5
	s_cbranch_execnz .LBB134_1987
.LBB134_1884:
	s_and_b32 vcc_lo, exec_lo, s9
	s_cbranch_vccnz .LBB134_2020
.LBB134_1885:
	s_and_not1_b32 vcc_lo, exec_lo, s19
	s_cbranch_vccnz .LBB134_1887
.LBB134_1886:
	global_load_u8 v1, v[6:7], off
	s_wait_loadcnt 0x1
	v_mov_b32_e32 v5, 0
	s_mov_b32 s20, -1
	s_wait_loadcnt 0x0
	v_cmp_ne_u16_e32 vcc_lo, 0, v1
	v_cndmask_b32_e64 v4, 0, 1.0, vcc_lo
.LBB134_1887:
	s_branch .LBB134_1881
.LBB134_1888:
	s_and_b32 s0, 0xffff, s14
	s_delay_alu instid0(SALU_CYCLE_1)
	s_cmp_lt_i32 s0, 5
	s_cbranch_scc1 .LBB134_1893
; %bb.1889:
	s_cmp_lt_i32 s0, 8
	s_cbranch_scc1 .LBB134_1895
; %bb.1890:
	;; [unrolled: 3-line block ×3, first 2 shown]
	s_cmp_gt_i32 s0, 9
	s_cbranch_scc0 .LBB134_1900
; %bb.1892:
	global_load_b128 v[12:15], v[6:7], off
	s_mov_b32 s9, 0
	s_wait_loadcnt 0x0
	v_cvt_f32_f64_e32 v4, v[12:13]
	v_cvt_f32_f64_e32 v5, v[14:15]
	s_branch .LBB134_1901
.LBB134_1893:
	s_mov_b32 s9, -1
                                        ; implicit-def: $vgpr5
	s_branch .LBB134_1920
.LBB134_1894:
	s_mov_b32 s21, -1
	s_mov_b32 s20, 0
	s_mov_b32 s9, 0
                                        ; implicit-def: $vgpr5
	s_branch .LBB134_1968
.LBB134_1895:
	s_mov_b32 s9, -1
                                        ; implicit-def: $vgpr5
	s_branch .LBB134_1907
.LBB134_1896:
	s_mov_b32 s21, -1
	s_mov_b32 s20, 0
	s_mov_b32 s9, 0
                                        ; implicit-def: $vgpr5
	s_branch .LBB134_1962
.LBB134_1897:
	s_mov_b32 s9, -1
                                        ; implicit-def: $vgpr5
	s_branch .LBB134_1904
.LBB134_1898:
	s_or_b32 s13, s13, exec_lo
	s_trap 2
	s_cbranch_execz .LBB134_1819
	s_branch .LBB134_1820
.LBB134_1899:
	s_mov_b32 s21, -1
	s_mov_b32 s20, 0
	s_mov_b32 s9, 0
	s_branch .LBB134_1954
.LBB134_1900:
	s_mov_b32 s9, -1
                                        ; implicit-def: $vgpr5
.LBB134_1901:
	s_delay_alu instid0(SALU_CYCLE_1)
	s_and_not1_b32 vcc_lo, exec_lo, s9
	s_cbranch_vccnz .LBB134_1903
; %bb.1902:
	s_wait_loadcnt 0x0
	global_load_b64 v[4:5], v[6:7], off
.LBB134_1903:
	s_mov_b32 s9, 0
.LBB134_1904:
	s_delay_alu instid0(SALU_CYCLE_1)
	s_and_not1_b32 vcc_lo, exec_lo, s9
	s_cbranch_vccnz .LBB134_1906
; %bb.1905:
	global_load_b32 v1, v[6:7], off
	s_wait_loadcnt 0x0
	v_lshrrev_b32_e32 v3, 16, v1
	v_cvt_f32_f16_e32 v4, v1
	s_delay_alu instid0(VALU_DEP_2)
	v_cvt_f32_f16_e32 v5, v3
.LBB134_1906:
	s_mov_b32 s9, 0
.LBB134_1907:
	s_delay_alu instid0(SALU_CYCLE_1)
	s_and_not1_b32 vcc_lo, exec_lo, s9
	s_cbranch_vccnz .LBB134_1919
; %bb.1908:
	s_cmp_lt_i32 s0, 6
	s_cbranch_scc1 .LBB134_1911
; %bb.1909:
	s_cmp_gt_i32 s0, 6
	s_cbranch_scc0 .LBB134_1912
; %bb.1910:
	s_wait_loadcnt 0x0
	global_load_b64 v[4:5], v[6:7], off
	s_mov_b32 s9, 0
	s_wait_loadcnt 0x0
	v_cvt_f32_f64_e32 v4, v[4:5]
	s_branch .LBB134_1913
.LBB134_1911:
	s_mov_b32 s9, -1
                                        ; implicit-def: $vgpr4
	s_branch .LBB134_1916
.LBB134_1912:
	s_mov_b32 s9, -1
                                        ; implicit-def: $vgpr4
.LBB134_1913:
	s_delay_alu instid0(SALU_CYCLE_1)
	s_and_not1_b32 vcc_lo, exec_lo, s9
	s_cbranch_vccnz .LBB134_1915
; %bb.1914:
	s_wait_loadcnt 0x0
	global_load_b32 v4, v[6:7], off
.LBB134_1915:
	s_mov_b32 s9, 0
.LBB134_1916:
	s_delay_alu instid0(SALU_CYCLE_1)
	s_and_not1_b32 vcc_lo, exec_lo, s9
	s_cbranch_vccnz .LBB134_1918
; %bb.1917:
	global_load_u16 v1, v[6:7], off
	s_wait_loadcnt 0x0
	v_cvt_f32_f16_e32 v4, v1
.LBB134_1918:
	s_wait_loadcnt 0x0
	v_mov_b32_e32 v5, 0
.LBB134_1919:
	s_mov_b32 s9, 0
.LBB134_1920:
	s_delay_alu instid0(SALU_CYCLE_1)
	s_and_not1_b32 vcc_lo, exec_lo, s9
	s_cbranch_vccnz .LBB134_1941
; %bb.1921:
	s_cmp_lt_i32 s0, 2
	s_cbranch_scc1 .LBB134_1925
; %bb.1922:
	s_cmp_lt_i32 s0, 3
	s_cbranch_scc1 .LBB134_1926
; %bb.1923:
	s_cmp_gt_i32 s0, 3
	s_cbranch_scc0 .LBB134_1927
; %bb.1924:
	s_wait_loadcnt 0x0
	global_load_b64 v[4:5], v[6:7], off
	s_mov_b32 s9, 0
	s_wait_loadcnt 0x0
	v_xor_b32_e32 v1, v4, v5
	v_cls_i32_e32 v3, v5
	s_delay_alu instid0(VALU_DEP_2) | instskip(NEXT) | instid1(VALU_DEP_1)
	v_ashrrev_i32_e32 v1, 31, v1
	v_add_nc_u32_e32 v1, 32, v1
	s_delay_alu instid0(VALU_DEP_1) | instskip(NEXT) | instid1(VALU_DEP_1)
	v_add_min_u32_e64 v1, v3, -1, v1
	v_lshlrev_b64_e32 v[4:5], v1, v[4:5]
	v_sub_nc_u32_e32 v1, 32, v1
	s_delay_alu instid0(VALU_DEP_2) | instskip(NEXT) | instid1(VALU_DEP_1)
	v_min_u32_e32 v3, 1, v4
	v_or_b32_e32 v3, v5, v3
	s_delay_alu instid0(VALU_DEP_1) | instskip(NEXT) | instid1(VALU_DEP_1)
	v_cvt_f32_i32_e32 v3, v3
	v_ldexp_f32 v4, v3, v1
	s_branch .LBB134_1928
.LBB134_1925:
	s_mov_b32 s9, -1
                                        ; implicit-def: $vgpr4
	s_branch .LBB134_1934
.LBB134_1926:
	s_mov_b32 s9, -1
                                        ; implicit-def: $vgpr4
	s_branch .LBB134_1931
.LBB134_1927:
	s_mov_b32 s9, -1
                                        ; implicit-def: $vgpr4
.LBB134_1928:
	s_delay_alu instid0(SALU_CYCLE_1)
	s_and_not1_b32 vcc_lo, exec_lo, s9
	s_cbranch_vccnz .LBB134_1930
; %bb.1929:
	global_load_b32 v1, v[6:7], off
	s_wait_loadcnt 0x0
	v_cvt_f32_i32_e32 v4, v1
.LBB134_1930:
	s_mov_b32 s9, 0
.LBB134_1931:
	s_delay_alu instid0(SALU_CYCLE_1)
	s_and_not1_b32 vcc_lo, exec_lo, s9
	s_cbranch_vccnz .LBB134_1933
; %bb.1932:
	global_load_i16 v1, v[6:7], off
	s_wait_loadcnt 0x0
	v_cvt_f32_i32_e32 v4, v1
.LBB134_1933:
	s_mov_b32 s9, 0
.LBB134_1934:
	s_delay_alu instid0(SALU_CYCLE_1)
	s_and_not1_b32 vcc_lo, exec_lo, s9
	s_cbranch_vccnz .LBB134_1940
; %bb.1935:
	s_cmp_gt_i32 s0, 0
	s_mov_b32 s0, 0
	s_cbranch_scc0 .LBB134_1937
; %bb.1936:
	global_load_i8 v1, v[6:7], off
	s_wait_loadcnt 0x0
	v_cvt_f32_i32_e32 v4, v1
	s_branch .LBB134_1938
.LBB134_1937:
	s_mov_b32 s0, -1
                                        ; implicit-def: $vgpr4
.LBB134_1938:
	s_delay_alu instid0(SALU_CYCLE_1)
	s_and_not1_b32 vcc_lo, exec_lo, s0
	s_cbranch_vccnz .LBB134_1940
; %bb.1939:
	global_load_u8 v1, v[6:7], off
	s_wait_loadcnt 0x0
	v_cvt_f32_ubyte0_e32 v4, v1
.LBB134_1940:
	s_wait_loadcnt 0x0
	v_mov_b32_e32 v5, 0
.LBB134_1941:
.LBB134_1942:
	s_lshl_b32 s19, s10, 7
	s_cmp_lt_i32 s17, 11
	v_add_nc_u32_e32 v2, s19, v2
	s_delay_alu instid0(VALU_DEP_1) | instskip(SKIP_1) | instid1(VALU_DEP_1)
	v_ashrrev_i32_e32 v3, 31, v2
	s_wait_xcnt 0x0
	v_add_nc_u64_e32 v[6:7], s[2:3], v[2:3]
	s_cbranch_scc1 .LBB134_1949
; %bb.1943:
	s_and_b32 s0, 0xffff, s17
	s_mov_b32 s10, 0
	s_cmp_gt_i32 s0, 25
	s_cbranch_scc0 .LBB134_1950
; %bb.1944:
	s_cmp_gt_i32 s0, 28
	s_cbranch_scc0 .LBB134_1951
; %bb.1945:
	;; [unrolled: 3-line block ×4, first 2 shown]
	s_cmp_eq_u32 s0, 46
	s_mov_b32 s21, 0
	s_cbranch_scc0 .LBB134_2021
; %bb.1948:
	global_load_b32 v1, v[6:7], off
	s_mov_b32 s9, 0
	s_mov_b32 s20, -1
	s_wait_loadcnt 0x0
	v_and_b32_e32 v9, 0xffff0000, v1
	v_lshlrev_b32_e32 v8, 16, v1
	s_branch .LBB134_2023
.LBB134_1949:
	s_mov_b32 s0, -1
	s_mov_b32 s20, 0
                                        ; implicit-def: $vgpr9
	s_branch .LBB134_2069
.LBB134_1950:
	s_mov_b32 s21, -1
	s_mov_b32 s20, 0
	s_mov_b32 s9, 0
                                        ; implicit-def: $vgpr9
	s_branch .LBB134_2054
.LBB134_1951:
	s_mov_b32 s21, -1
	s_mov_b32 s20, 0
	s_mov_b32 s9, 0
                                        ; implicit-def: $vgpr9
	s_branch .LBB134_2035
.LBB134_1952:
	s_mov_b32 s21, -1
	s_mov_b32 s20, 0
	s_mov_b32 s9, 0
                                        ; implicit-def: $vgpr9
	s_branch .LBB134_2029
.LBB134_1953:
	s_mov_b32 s9, -1
	s_mov_b32 s20, 0
.LBB134_1954:
                                        ; implicit-def: $vgpr5
.LBB134_1955:
	s_and_b32 vcc_lo, exec_lo, s21
	s_cbranch_vccz .LBB134_1961
; %bb.1956:
	s_cmp_eq_u32 s0, 44
	s_cbranch_scc0 .LBB134_1959
; %bb.1957:
	global_load_u8 v1, v[6:7], off
	s_mov_b32 s9, 0
	s_mov_b32 s20, -1
	s_wait_loadcnt 0x0
	v_lshlrev_b32_e32 v3, 23, v1
	v_cmp_ne_u32_e32 vcc_lo, 0xff, v1
	s_delay_alu instid0(VALU_DEP_2) | instskip(SKIP_1) | instid1(VALU_DEP_2)
	v_cndmask_b32_e32 v3, 0x7f800001, v3, vcc_lo
	v_cmp_ne_u32_e32 vcc_lo, 0, v1
	v_cndmask_b32_e32 v4, 0x400000, v3, vcc_lo
	s_branch .LBB134_1960
.LBB134_1958:
	s_mov_b32 s21, -1
	s_mov_b32 s20, 0
	s_mov_b32 s9, 0
	s_branch .LBB134_2022
.LBB134_1959:
	s_mov_b32 s9, -1
                                        ; implicit-def: $vgpr4
.LBB134_1960:
	s_wait_loadcnt 0x0
	v_mov_b32_e32 v5, 0
.LBB134_1961:
	s_mov_b32 s21, 0
.LBB134_1962:
	s_delay_alu instid0(SALU_CYCLE_1)
	s_and_b32 vcc_lo, exec_lo, s21
	s_cbranch_vccz .LBB134_1967
; %bb.1963:
	s_cmp_eq_u32 s0, 29
	s_cbranch_scc0 .LBB134_1965
; %bb.1964:
	s_wait_loadcnt 0x0
	global_load_b64 v[4:5], v[6:7], off
	s_mov_b32 s9, 0
	s_mov_b32 s20, -1
	s_wait_loadcnt 0x0
	v_clz_i32_u32_e32 v1, v5
	s_delay_alu instid0(VALU_DEP_1) | instskip(NEXT) | instid1(VALU_DEP_1)
	v_min_u32_e32 v1, 32, v1
	v_lshlrev_b64_e32 v[4:5], v1, v[4:5]
	v_sub_nc_u32_e32 v1, 32, v1
	s_delay_alu instid0(VALU_DEP_2) | instskip(NEXT) | instid1(VALU_DEP_1)
	v_min_u32_e32 v3, 1, v4
	v_or_b32_e32 v3, v5, v3
	s_delay_alu instid0(VALU_DEP_1) | instskip(NEXT) | instid1(VALU_DEP_1)
	v_cvt_f32_u32_e32 v3, v3
	v_ldexp_f32 v4, v3, v1
	s_branch .LBB134_1966
.LBB134_1965:
	s_mov_b32 s9, -1
                                        ; implicit-def: $vgpr4
.LBB134_1966:
	s_wait_loadcnt 0x0
	v_mov_b32_e32 v5, 0
.LBB134_1967:
	s_mov_b32 s21, 0
.LBB134_1968:
	s_delay_alu instid0(SALU_CYCLE_1)
	s_and_b32 vcc_lo, exec_lo, s21
	s_cbranch_vccz .LBB134_1986
; %bb.1969:
	s_cmp_lt_i32 s0, 27
	s_cbranch_scc1 .LBB134_1972
; %bb.1970:
	s_cmp_gt_i32 s0, 27
	s_cbranch_scc0 .LBB134_1973
; %bb.1971:
	global_load_b32 v1, v[6:7], off
	s_mov_b32 s20, 0
	s_wait_loadcnt 0x0
	v_cvt_f32_u32_e32 v4, v1
	s_branch .LBB134_1974
.LBB134_1972:
	s_mov_b32 s20, -1
                                        ; implicit-def: $vgpr4
	s_branch .LBB134_1977
.LBB134_1973:
	s_mov_b32 s20, -1
                                        ; implicit-def: $vgpr4
.LBB134_1974:
	s_delay_alu instid0(SALU_CYCLE_1)
	s_and_not1_b32 vcc_lo, exec_lo, s20
	s_cbranch_vccnz .LBB134_1976
; %bb.1975:
	global_load_u16 v1, v[6:7], off
	s_wait_loadcnt 0x0
	v_cvt_f32_u32_e32 v4, v1
.LBB134_1976:
	s_mov_b32 s20, 0
.LBB134_1977:
	s_delay_alu instid0(SALU_CYCLE_1)
	s_and_not1_b32 vcc_lo, exec_lo, s20
	s_cbranch_vccnz .LBB134_1985
; %bb.1978:
	global_load_u8 v1, v[6:7], off
	s_mov_b32 s20, 0
	s_mov_b32 s21, exec_lo
	s_wait_loadcnt 0x0
	v_cmpx_lt_i16_e32 0x7f, v1
	s_xor_b32 s21, exec_lo, s21
	s_cbranch_execz .LBB134_1998
; %bb.1979:
	s_mov_b32 s20, -1
	s_mov_b32 s22, exec_lo
	v_cmpx_eq_u16_e32 0x80, v1
; %bb.1980:
	s_xor_b32 s20, exec_lo, -1
; %bb.1981:
	s_or_b32 exec_lo, exec_lo, s22
	s_delay_alu instid0(SALU_CYCLE_1)
	s_and_b32 s20, s20, exec_lo
	s_or_saveexec_b32 s21, s21
	v_mov_b32_e32 v4, 0x7f800001
	s_xor_b32 exec_lo, exec_lo, s21
	s_cbranch_execnz .LBB134_1999
.LBB134_1982:
	s_or_b32 exec_lo, exec_lo, s21
	s_and_saveexec_b32 s21, s20
	s_cbranch_execz .LBB134_1984
.LBB134_1983:
	v_and_b32_e32 v3, 0xffff, v1
	s_delay_alu instid0(VALU_DEP_1) | instskip(SKIP_1) | instid1(VALU_DEP_2)
	v_and_b32_e32 v4, 7, v3
	v_bfe_u32 v9, v3, 3, 4
	v_clz_i32_u32_e32 v5, v4
	s_delay_alu instid0(VALU_DEP_2) | instskip(NEXT) | instid1(VALU_DEP_2)
	v_cmp_eq_u32_e32 vcc_lo, 0, v9
	v_min_u32_e32 v5, 32, v5
	s_delay_alu instid0(VALU_DEP_1) | instskip(NEXT) | instid1(VALU_DEP_1)
	v_subrev_nc_u32_e32 v8, 28, v5
	v_dual_lshlrev_b32 v3, v8, v3 :: v_dual_sub_nc_u32 v5, 29, v5
	s_delay_alu instid0(VALU_DEP_1) | instskip(NEXT) | instid1(VALU_DEP_1)
	v_dual_lshlrev_b32 v1, 24, v1 :: v_dual_bitop2_b32 v3, 7, v3 bitop3:0x40
	v_dual_cndmask_b32 v3, v4, v3, vcc_lo :: v_dual_cndmask_b32 v5, v9, v5, vcc_lo
	s_delay_alu instid0(VALU_DEP_2) | instskip(NEXT) | instid1(VALU_DEP_2)
	v_and_b32_e32 v1, 0x80000000, v1
	v_lshlrev_b32_e32 v3, 20, v3
	s_delay_alu instid0(VALU_DEP_3) | instskip(NEXT) | instid1(VALU_DEP_1)
	v_lshl_add_u32 v4, v5, 23, 0x3b800000
	v_or3_b32 v4, v1, v4, v3
.LBB134_1984:
	s_or_b32 exec_lo, exec_lo, s21
.LBB134_1985:
	s_wait_loadcnt 0x0
	v_mov_b32_e32 v5, 0
	s_mov_b32 s20, -1
.LBB134_1986:
	s_branch .LBB134_1884
.LBB134_1987:
	s_cmp_gt_i32 s0, 22
	s_cbranch_scc0 .LBB134_1997
; %bb.1988:
	s_cmp_lt_i32 s0, 24
	s_cbranch_scc1 .LBB134_2000
; %bb.1989:
	s_cmp_gt_i32 s0, 24
	s_cbranch_scc0 .LBB134_2001
; %bb.1990:
	global_load_u8 v1, v[6:7], off
	s_mov_b32 s20, exec_lo
	s_wait_loadcnt 0x0
	v_cmpx_lt_i16_e32 0x7f, v1
	s_xor_b32 s20, exec_lo, s20
	s_cbranch_execz .LBB134_2013
; %bb.1991:
	s_mov_b32 s19, -1
	s_mov_b32 s21, exec_lo
	v_cmpx_eq_u16_e32 0x80, v1
; %bb.1992:
	s_xor_b32 s19, exec_lo, -1
; %bb.1993:
	s_or_b32 exec_lo, exec_lo, s21
	s_delay_alu instid0(SALU_CYCLE_1)
	s_and_b32 s19, s19, exec_lo
	s_or_saveexec_b32 s20, s20
	v_mov_b32_e32 v4, 0x7f800001
	s_xor_b32 exec_lo, exec_lo, s20
	s_cbranch_execnz .LBB134_2014
.LBB134_1994:
	s_or_b32 exec_lo, exec_lo, s20
	s_and_saveexec_b32 s20, s19
	s_cbranch_execz .LBB134_1996
.LBB134_1995:
	v_and_b32_e32 v3, 0xffff, v1
	s_delay_alu instid0(VALU_DEP_1) | instskip(SKIP_1) | instid1(VALU_DEP_2)
	v_and_b32_e32 v4, 3, v3
	v_bfe_u32 v9, v3, 2, 5
	v_clz_i32_u32_e32 v5, v4
	s_delay_alu instid0(VALU_DEP_2) | instskip(NEXT) | instid1(VALU_DEP_2)
	v_cmp_eq_u32_e32 vcc_lo, 0, v9
	v_min_u32_e32 v5, 32, v5
	s_delay_alu instid0(VALU_DEP_1) | instskip(NEXT) | instid1(VALU_DEP_1)
	v_subrev_nc_u32_e32 v8, 29, v5
	v_dual_lshlrev_b32 v3, v8, v3 :: v_dual_sub_nc_u32 v5, 30, v5
	s_delay_alu instid0(VALU_DEP_1) | instskip(NEXT) | instid1(VALU_DEP_1)
	v_dual_lshlrev_b32 v1, 24, v1 :: v_dual_bitop2_b32 v3, 3, v3 bitop3:0x40
	v_dual_cndmask_b32 v3, v4, v3, vcc_lo :: v_dual_cndmask_b32 v5, v9, v5, vcc_lo
	s_delay_alu instid0(VALU_DEP_2) | instskip(NEXT) | instid1(VALU_DEP_2)
	v_and_b32_e32 v1, 0x80000000, v1
	v_lshlrev_b32_e32 v3, 21, v3
	s_delay_alu instid0(VALU_DEP_3) | instskip(NEXT) | instid1(VALU_DEP_1)
	v_lshl_add_u32 v4, v5, 23, 0x37800000
	v_or3_b32 v4, v1, v4, v3
.LBB134_1996:
	s_or_b32 exec_lo, exec_lo, s20
	s_mov_b32 s19, 0
	s_branch .LBB134_2002
.LBB134_1997:
	s_mov_b32 s19, -1
                                        ; implicit-def: $vgpr4
	s_branch .LBB134_2008
.LBB134_1998:
	s_or_saveexec_b32 s21, s21
	v_mov_b32_e32 v4, 0x7f800001
	s_xor_b32 exec_lo, exec_lo, s21
	s_cbranch_execz .LBB134_1982
.LBB134_1999:
	v_cmp_ne_u16_e32 vcc_lo, 0, v1
	v_mov_b32_e32 v4, 0
	s_and_not1_b32 s20, s20, exec_lo
	s_and_b32 s22, vcc_lo, exec_lo
	s_delay_alu instid0(SALU_CYCLE_1)
	s_or_b32 s20, s20, s22
	s_or_b32 exec_lo, exec_lo, s21
	s_and_saveexec_b32 s21, s20
	s_cbranch_execnz .LBB134_1983
	s_branch .LBB134_1984
.LBB134_2000:
	s_mov_b32 s19, -1
                                        ; implicit-def: $vgpr4
	s_branch .LBB134_2005
.LBB134_2001:
	s_mov_b32 s19, -1
                                        ; implicit-def: $vgpr4
.LBB134_2002:
	s_delay_alu instid0(SALU_CYCLE_1)
	s_and_b32 vcc_lo, exec_lo, s19
	s_cbranch_vccz .LBB134_2004
; %bb.2003:
	global_load_u8 v1, v[6:7], off
	s_wait_loadcnt 0x0
	v_lshlrev_b32_e32 v1, 24, v1
	s_delay_alu instid0(VALU_DEP_1) | instskip(NEXT) | instid1(VALU_DEP_1)
	v_and_b32_e32 v3, 0x7f000000, v1
	v_clz_i32_u32_e32 v4, v3
	v_cmp_ne_u32_e32 vcc_lo, 0, v3
	v_add_nc_u32_e32 v8, 0x1000000, v3
	s_delay_alu instid0(VALU_DEP_3) | instskip(NEXT) | instid1(VALU_DEP_1)
	v_min_u32_e32 v4, 32, v4
	v_sub_nc_u32_e64 v4, v4, 4 clamp
	s_delay_alu instid0(VALU_DEP_1) | instskip(NEXT) | instid1(VALU_DEP_1)
	v_dual_lshlrev_b32 v5, v4, v3 :: v_dual_lshlrev_b32 v4, 23, v4
	v_lshrrev_b32_e32 v5, 4, v5
	s_delay_alu instid0(VALU_DEP_1) | instskip(SKIP_1) | instid1(VALU_DEP_2)
	v_sub_nc_u32_e32 v4, v5, v4
	v_ashrrev_i32_e32 v5, 8, v8
	v_add_nc_u32_e32 v4, 0x3c000000, v4
	s_delay_alu instid0(VALU_DEP_1) | instskip(NEXT) | instid1(VALU_DEP_1)
	v_and_or_b32 v4, 0x7f800000, v5, v4
	v_cndmask_b32_e32 v3, 0, v4, vcc_lo
	s_delay_alu instid0(VALU_DEP_1)
	v_and_or_b32 v4, 0x80000000, v1, v3
.LBB134_2004:
	s_mov_b32 s19, 0
.LBB134_2005:
	s_delay_alu instid0(SALU_CYCLE_1)
	s_and_not1_b32 vcc_lo, exec_lo, s19
	s_cbranch_vccnz .LBB134_2007
; %bb.2006:
	global_load_u8 v1, v[6:7], off
	s_wait_loadcnt 0x0
	v_lshlrev_b32_e32 v3, 25, v1
	v_lshlrev_b16 v1, 8, v1
	s_delay_alu instid0(VALU_DEP_1) | instskip(NEXT) | instid1(VALU_DEP_3)
	v_and_or_b32 v5, 0x7f00, v1, 0.5
	v_lshrrev_b32_e32 v4, 4, v3
	v_bfe_i32 v1, v1, 0, 16
	s_delay_alu instid0(VALU_DEP_3) | instskip(NEXT) | instid1(VALU_DEP_3)
	v_add_f32_e32 v5, -0.5, v5
	v_or_b32_e32 v4, 0x70000000, v4
	s_delay_alu instid0(VALU_DEP_1) | instskip(SKIP_1) | instid1(VALU_DEP_2)
	v_mul_f32_e32 v4, 0x7800000, v4
	v_cmp_gt_u32_e32 vcc_lo, 0x8000000, v3
	v_cndmask_b32_e32 v3, v4, v5, vcc_lo
	s_delay_alu instid0(VALU_DEP_1)
	v_and_or_b32 v4, 0x80000000, v1, v3
.LBB134_2007:
	s_mov_b32 s19, 0
	s_mov_b32 s20, -1
.LBB134_2008:
	s_and_not1_b32 vcc_lo, exec_lo, s19
	s_mov_b32 s19, 0
	s_cbranch_vccnz .LBB134_2019
; %bb.2009:
	s_cmp_gt_i32 s0, 14
	s_cbranch_scc0 .LBB134_2012
; %bb.2010:
	s_cmp_eq_u32 s0, 15
	s_cbranch_scc0 .LBB134_2015
; %bb.2011:
	global_load_u16 v1, v[6:7], off
	s_mov_b32 s9, 0
	s_mov_b32 s20, -1
	s_wait_loadcnt 0x0
	v_lshlrev_b32_e32 v4, 16, v1
	s_branch .LBB134_2017
.LBB134_2012:
	s_mov_b32 s19, -1
	s_branch .LBB134_2016
.LBB134_2013:
	s_or_saveexec_b32 s20, s20
	v_mov_b32_e32 v4, 0x7f800001
	s_xor_b32 exec_lo, exec_lo, s20
	s_cbranch_execz .LBB134_1994
.LBB134_2014:
	v_cmp_ne_u16_e32 vcc_lo, 0, v1
	v_mov_b32_e32 v4, 0
	s_and_not1_b32 s19, s19, exec_lo
	s_and_b32 s21, vcc_lo, exec_lo
	s_delay_alu instid0(SALU_CYCLE_1)
	s_or_b32 s19, s19, s21
	s_or_b32 exec_lo, exec_lo, s20
	s_and_saveexec_b32 s20, s19
	s_cbranch_execnz .LBB134_1995
	s_branch .LBB134_1996
.LBB134_2015:
	s_mov_b32 s9, -1
.LBB134_2016:
                                        ; implicit-def: $vgpr4
.LBB134_2017:
	s_and_b32 vcc_lo, exec_lo, s19
	s_mov_b32 s19, 0
	s_cbranch_vccz .LBB134_2019
; %bb.2018:
	s_cmp_lg_u32 s0, 11
	s_mov_b32 s19, -1
	s_cselect_b32 s9, -1, 0
.LBB134_2019:
	s_wait_loadcnt 0x0
	v_mov_b32_e32 v5, 0
	s_and_b32 vcc_lo, exec_lo, s9
	s_cbranch_vccz .LBB134_1885
.LBB134_2020:
	s_or_b32 s13, s13, exec_lo
	s_trap 2
	s_cbranch_execz .LBB134_1886
	s_branch .LBB134_1887
.LBB134_2021:
	s_mov_b32 s9, -1
	s_mov_b32 s20, 0
.LBB134_2022:
                                        ; implicit-def: $vgpr9
.LBB134_2023:
	s_and_b32 vcc_lo, exec_lo, s21
	s_cbranch_vccz .LBB134_2028
; %bb.2024:
	s_cmp_eq_u32 s0, 44
	s_cbranch_scc0 .LBB134_2026
; %bb.2025:
	global_load_u8 v1, v[6:7], off
	s_mov_b32 s9, 0
	s_mov_b32 s20, -1
	s_wait_loadcnt 0x0
	v_lshlrev_b32_e32 v3, 23, v1
	v_cmp_ne_u32_e32 vcc_lo, 0xff, v1
	s_delay_alu instid0(VALU_DEP_2) | instskip(SKIP_1) | instid1(VALU_DEP_2)
	v_cndmask_b32_e32 v3, 0x7f800001, v3, vcc_lo
	v_cmp_ne_u32_e32 vcc_lo, 0, v1
	v_cndmask_b32_e32 v8, 0x400000, v3, vcc_lo
	s_branch .LBB134_2027
.LBB134_2026:
	s_mov_b32 s9, -1
                                        ; implicit-def: $vgpr8
.LBB134_2027:
	s_wait_loadcnt 0x0
	v_mov_b32_e32 v9, 0
.LBB134_2028:
	s_mov_b32 s21, 0
.LBB134_2029:
	s_delay_alu instid0(SALU_CYCLE_1)
	s_and_b32 vcc_lo, exec_lo, s21
	s_cbranch_vccz .LBB134_2034
; %bb.2030:
	s_cmp_eq_u32 s0, 29
	s_cbranch_scc0 .LBB134_2032
; %bb.2031:
	s_wait_loadcnt 0x0
	global_load_b64 v[8:9], v[6:7], off
	s_mov_b32 s9, 0
	s_mov_b32 s20, -1
	s_wait_loadcnt 0x0
	v_clz_i32_u32_e32 v1, v9
	s_delay_alu instid0(VALU_DEP_1) | instskip(NEXT) | instid1(VALU_DEP_1)
	v_min_u32_e32 v1, 32, v1
	v_lshlrev_b64_e32 v[8:9], v1, v[8:9]
	v_sub_nc_u32_e32 v1, 32, v1
	s_delay_alu instid0(VALU_DEP_2) | instskip(NEXT) | instid1(VALU_DEP_1)
	v_min_u32_e32 v3, 1, v8
	v_or_b32_e32 v3, v9, v3
	s_delay_alu instid0(VALU_DEP_1) | instskip(NEXT) | instid1(VALU_DEP_1)
	v_cvt_f32_u32_e32 v3, v3
	v_ldexp_f32 v8, v3, v1
	s_branch .LBB134_2033
.LBB134_2032:
	s_mov_b32 s9, -1
                                        ; implicit-def: $vgpr8
.LBB134_2033:
	s_wait_loadcnt 0x0
	v_mov_b32_e32 v9, 0
.LBB134_2034:
	s_mov_b32 s21, 0
.LBB134_2035:
	s_delay_alu instid0(SALU_CYCLE_1)
	s_and_b32 vcc_lo, exec_lo, s21
	s_cbranch_vccz .LBB134_2053
; %bb.2036:
	s_cmp_lt_i32 s0, 27
	s_cbranch_scc1 .LBB134_2039
; %bb.2037:
	s_cmp_gt_i32 s0, 27
	s_cbranch_scc0 .LBB134_2040
; %bb.2038:
	global_load_b32 v1, v[6:7], off
	s_mov_b32 s20, 0
	s_wait_loadcnt 0x0
	v_cvt_f32_u32_e32 v8, v1
	s_branch .LBB134_2041
.LBB134_2039:
	s_mov_b32 s20, -1
                                        ; implicit-def: $vgpr8
	s_branch .LBB134_2044
.LBB134_2040:
	s_mov_b32 s20, -1
                                        ; implicit-def: $vgpr8
.LBB134_2041:
	s_delay_alu instid0(SALU_CYCLE_1)
	s_and_not1_b32 vcc_lo, exec_lo, s20
	s_cbranch_vccnz .LBB134_2043
; %bb.2042:
	global_load_u16 v1, v[6:7], off
	s_wait_loadcnt 0x0
	v_cvt_f32_u32_e32 v8, v1
.LBB134_2043:
	s_mov_b32 s20, 0
.LBB134_2044:
	s_delay_alu instid0(SALU_CYCLE_1)
	s_and_not1_b32 vcc_lo, exec_lo, s20
	s_cbranch_vccnz .LBB134_2052
; %bb.2045:
	global_load_u8 v1, v[6:7], off
	s_mov_b32 s20, 0
	s_mov_b32 s21, exec_lo
	s_wait_loadcnt 0x0
	v_cmpx_lt_i16_e32 0x7f, v1
	s_xor_b32 s21, exec_lo, s21
	s_cbranch_execz .LBB134_2078
; %bb.2046:
	s_mov_b32 s20, -1
	s_mov_b32 s22, exec_lo
	v_cmpx_eq_u16_e32 0x80, v1
; %bb.2047:
	s_xor_b32 s20, exec_lo, -1
; %bb.2048:
	s_or_b32 exec_lo, exec_lo, s22
	s_delay_alu instid0(SALU_CYCLE_1)
	s_and_b32 s20, s20, exec_lo
	s_or_saveexec_b32 s21, s21
	v_mov_b32_e32 v8, 0x7f800001
	s_xor_b32 exec_lo, exec_lo, s21
	s_cbranch_execnz .LBB134_2079
.LBB134_2049:
	s_or_b32 exec_lo, exec_lo, s21
	s_and_saveexec_b32 s21, s20
	s_cbranch_execz .LBB134_2051
.LBB134_2050:
	v_and_b32_e32 v3, 0xffff, v1
	s_delay_alu instid0(VALU_DEP_1) | instskip(SKIP_1) | instid1(VALU_DEP_2)
	v_and_b32_e32 v8, 7, v3
	v_bfe_u32 v12, v3, 3, 4
	v_clz_i32_u32_e32 v9, v8
	s_delay_alu instid0(VALU_DEP_2) | instskip(NEXT) | instid1(VALU_DEP_2)
	v_cmp_eq_u32_e32 vcc_lo, 0, v12
	v_min_u32_e32 v9, 32, v9
	s_delay_alu instid0(VALU_DEP_1) | instskip(NEXT) | instid1(VALU_DEP_1)
	v_subrev_nc_u32_e32 v11, 28, v9
	v_dual_lshlrev_b32 v3, v11, v3 :: v_dual_sub_nc_u32 v9, 29, v9
	s_delay_alu instid0(VALU_DEP_1) | instskip(NEXT) | instid1(VALU_DEP_1)
	v_dual_lshlrev_b32 v1, 24, v1 :: v_dual_bitop2_b32 v3, 7, v3 bitop3:0x40
	v_cndmask_b32_e32 v3, v8, v3, vcc_lo
	s_delay_alu instid0(VALU_DEP_3) | instskip(NEXT) | instid1(VALU_DEP_3)
	v_cndmask_b32_e32 v9, v12, v9, vcc_lo
	v_and_b32_e32 v1, 0x80000000, v1
	s_delay_alu instid0(VALU_DEP_3) | instskip(NEXT) | instid1(VALU_DEP_3)
	v_lshlrev_b32_e32 v3, 20, v3
	v_lshl_add_u32 v8, v9, 23, 0x3b800000
	s_delay_alu instid0(VALU_DEP_1)
	v_or3_b32 v8, v1, v8, v3
.LBB134_2051:
	s_or_b32 exec_lo, exec_lo, s21
.LBB134_2052:
	s_wait_loadcnt 0x0
	v_mov_b32_e32 v9, 0
	s_mov_b32 s20, -1
.LBB134_2053:
	s_mov_b32 s21, 0
.LBB134_2054:
	s_delay_alu instid0(SALU_CYCLE_1)
	s_and_b32 vcc_lo, exec_lo, s21
	s_cbranch_vccz .LBB134_2065
; %bb.2055:
	s_cmp_gt_i32 s0, 22
	s_cbranch_scc0 .LBB134_2076
; %bb.2056:
	s_cmp_lt_i32 s0, 24
	s_cbranch_scc1 .LBB134_2080
; %bb.2057:
	s_cmp_gt_i32 s0, 24
	s_cbranch_scc0 .LBB134_2082
; %bb.2058:
	global_load_u8 v1, v[6:7], off
	s_mov_b32 s20, exec_lo
	s_wait_loadcnt 0x0
	v_cmpx_lt_i16_e32 0x7f, v1
	s_xor_b32 s20, exec_lo, s20
	s_cbranch_execz .LBB134_2094
; %bb.2059:
	s_mov_b32 s10, -1
	s_mov_b32 s21, exec_lo
	v_cmpx_eq_u16_e32 0x80, v1
; %bb.2060:
	s_xor_b32 s10, exec_lo, -1
; %bb.2061:
	s_or_b32 exec_lo, exec_lo, s21
	s_delay_alu instid0(SALU_CYCLE_1)
	s_and_b32 s10, s10, exec_lo
	s_or_saveexec_b32 s20, s20
	v_mov_b32_e32 v8, 0x7f800001
	s_xor_b32 exec_lo, exec_lo, s20
	s_cbranch_execnz .LBB134_2095
.LBB134_2062:
	s_or_b32 exec_lo, exec_lo, s20
	s_and_saveexec_b32 s20, s10
	s_cbranch_execz .LBB134_2064
.LBB134_2063:
	v_and_b32_e32 v3, 0xffff, v1
	s_delay_alu instid0(VALU_DEP_1) | instskip(SKIP_1) | instid1(VALU_DEP_2)
	v_and_b32_e32 v8, 3, v3
	v_bfe_u32 v12, v3, 2, 5
	v_clz_i32_u32_e32 v9, v8
	s_delay_alu instid0(VALU_DEP_2) | instskip(NEXT) | instid1(VALU_DEP_2)
	v_cmp_eq_u32_e32 vcc_lo, 0, v12
	v_min_u32_e32 v9, 32, v9
	s_delay_alu instid0(VALU_DEP_1) | instskip(NEXT) | instid1(VALU_DEP_1)
	v_subrev_nc_u32_e32 v11, 29, v9
	v_dual_lshlrev_b32 v3, v11, v3 :: v_dual_sub_nc_u32 v9, 30, v9
	s_delay_alu instid0(VALU_DEP_1) | instskip(NEXT) | instid1(VALU_DEP_1)
	v_dual_lshlrev_b32 v1, 24, v1 :: v_dual_bitop2_b32 v3, 3, v3 bitop3:0x40
	v_cndmask_b32_e32 v3, v8, v3, vcc_lo
	s_delay_alu instid0(VALU_DEP_3) | instskip(NEXT) | instid1(VALU_DEP_3)
	v_cndmask_b32_e32 v9, v12, v9, vcc_lo
	v_and_b32_e32 v1, 0x80000000, v1
	s_delay_alu instid0(VALU_DEP_3) | instskip(NEXT) | instid1(VALU_DEP_3)
	v_lshlrev_b32_e32 v3, 21, v3
	v_lshl_add_u32 v8, v9, 23, 0x37800000
	s_delay_alu instid0(VALU_DEP_1)
	v_or3_b32 v8, v1, v8, v3
.LBB134_2064:
	s_or_b32 exec_lo, exec_lo, s20
	s_mov_b32 s10, 0
	s_branch .LBB134_2083
.LBB134_2065:
	s_and_b32 vcc_lo, exec_lo, s9
	s_cbranch_vccnz .LBB134_2113
.LBB134_2066:
	s_and_not1_b32 vcc_lo, exec_lo, s10
	s_cbranch_vccnz .LBB134_2068
.LBB134_2067:
	global_load_u8 v1, v[6:7], off
	s_wait_loadcnt 0x1
	v_mov_b32_e32 v9, 0
	s_mov_b32 s20, -1
	s_wait_loadcnt 0x0
	v_cmp_ne_u16_e32 vcc_lo, 0, v1
	v_cndmask_b32_e64 v8, 0, 1.0, vcc_lo
.LBB134_2068:
	s_mov_b32 s0, 0
.LBB134_2069:
	s_delay_alu instid0(SALU_CYCLE_1)
	s_and_b32 vcc_lo, exec_lo, s0
	s_cbranch_vccz .LBB134_2144
; %bb.2070:
	s_and_b32 s0, 0xffff, s17
	s_delay_alu instid0(SALU_CYCLE_1)
	s_cmp_lt_i32 s0, 5
	s_cbranch_scc1 .LBB134_2075
; %bb.2071:
	s_cmp_lt_i32 s0, 8
	s_cbranch_scc1 .LBB134_2077
; %bb.2072:
	;; [unrolled: 3-line block ×3, first 2 shown]
	s_cmp_gt_i32 s0, 9
	s_cbranch_scc0 .LBB134_2096
; %bb.2074:
	global_load_b128 v[12:15], v[6:7], off
	s_mov_b32 s9, 0
	s_wait_loadcnt 0x0
	v_cvt_f32_f64_e32 v8, v[12:13]
	v_cvt_f32_f64_e32 v9, v[14:15]
	s_branch .LBB134_2097
.LBB134_2075:
	s_mov_b32 s9, -1
                                        ; implicit-def: $vgpr9
	s_branch .LBB134_2122
.LBB134_2076:
	s_mov_b32 s10, -1
                                        ; implicit-def: $vgpr8
	s_branch .LBB134_2089
.LBB134_2077:
	s_mov_b32 s9, -1
                                        ; implicit-def: $vgpr9
	s_branch .LBB134_2103
.LBB134_2078:
	s_or_saveexec_b32 s21, s21
	v_mov_b32_e32 v8, 0x7f800001
	s_xor_b32 exec_lo, exec_lo, s21
	s_cbranch_execz .LBB134_2049
.LBB134_2079:
	v_cmp_ne_u16_e32 vcc_lo, 0, v1
	v_mov_b32_e32 v8, 0
	s_and_not1_b32 s20, s20, exec_lo
	s_and_b32 s22, vcc_lo, exec_lo
	s_delay_alu instid0(SALU_CYCLE_1)
	s_or_b32 s20, s20, s22
	s_or_b32 exec_lo, exec_lo, s21
	s_and_saveexec_b32 s21, s20
	s_cbranch_execnz .LBB134_2050
	s_branch .LBB134_2051
.LBB134_2080:
	s_mov_b32 s10, -1
                                        ; implicit-def: $vgpr8
	s_branch .LBB134_2086
.LBB134_2081:
	s_mov_b32 s9, -1
                                        ; implicit-def: $vgpr9
	s_branch .LBB134_2100
.LBB134_2082:
	s_mov_b32 s10, -1
                                        ; implicit-def: $vgpr8
.LBB134_2083:
	s_delay_alu instid0(SALU_CYCLE_1)
	s_and_b32 vcc_lo, exec_lo, s10
	s_cbranch_vccz .LBB134_2085
; %bb.2084:
	global_load_u8 v1, v[6:7], off
	s_wait_loadcnt 0x0
	v_lshlrev_b32_e32 v1, 24, v1
	s_delay_alu instid0(VALU_DEP_1) | instskip(NEXT) | instid1(VALU_DEP_1)
	v_and_b32_e32 v3, 0x7f000000, v1
	v_clz_i32_u32_e32 v8, v3
	v_add_nc_u32_e32 v11, 0x1000000, v3
	v_cmp_ne_u32_e32 vcc_lo, 0, v3
	s_delay_alu instid0(VALU_DEP_3) | instskip(NEXT) | instid1(VALU_DEP_1)
	v_min_u32_e32 v8, 32, v8
	v_sub_nc_u32_e64 v8, v8, 4 clamp
	s_delay_alu instid0(VALU_DEP_1) | instskip(NEXT) | instid1(VALU_DEP_1)
	v_dual_lshlrev_b32 v9, v8, v3 :: v_dual_lshlrev_b32 v8, 23, v8
	v_lshrrev_b32_e32 v9, 4, v9
	s_delay_alu instid0(VALU_DEP_1) | instskip(NEXT) | instid1(VALU_DEP_1)
	v_dual_sub_nc_u32 v8, v9, v8 :: v_dual_ashrrev_i32 v9, 8, v11
	v_add_nc_u32_e32 v8, 0x3c000000, v8
	s_delay_alu instid0(VALU_DEP_1) | instskip(NEXT) | instid1(VALU_DEP_1)
	v_and_or_b32 v8, 0x7f800000, v9, v8
	v_cndmask_b32_e32 v3, 0, v8, vcc_lo
	s_delay_alu instid0(VALU_DEP_1)
	v_and_or_b32 v8, 0x80000000, v1, v3
.LBB134_2085:
	s_mov_b32 s10, 0
.LBB134_2086:
	s_delay_alu instid0(SALU_CYCLE_1)
	s_and_not1_b32 vcc_lo, exec_lo, s10
	s_cbranch_vccnz .LBB134_2088
; %bb.2087:
	global_load_u8 v1, v[6:7], off
	s_wait_loadcnt 0x0
	v_lshlrev_b32_e32 v3, 25, v1
	v_lshlrev_b16 v1, 8, v1
	s_delay_alu instid0(VALU_DEP_1) | instskip(NEXT) | instid1(VALU_DEP_3)
	v_and_or_b32 v9, 0x7f00, v1, 0.5
	v_lshrrev_b32_e32 v8, 4, v3
	v_bfe_i32 v1, v1, 0, 16
	s_delay_alu instid0(VALU_DEP_3) | instskip(NEXT) | instid1(VALU_DEP_3)
	v_add_f32_e32 v9, -0.5, v9
	v_or_b32_e32 v8, 0x70000000, v8
	s_delay_alu instid0(VALU_DEP_1) | instskip(SKIP_1) | instid1(VALU_DEP_2)
	v_mul_f32_e32 v8, 0x7800000, v8
	v_cmp_gt_u32_e32 vcc_lo, 0x8000000, v3
	v_cndmask_b32_e32 v3, v8, v9, vcc_lo
	s_delay_alu instid0(VALU_DEP_1)
	v_and_or_b32 v8, 0x80000000, v1, v3
.LBB134_2088:
	s_mov_b32 s10, 0
	s_mov_b32 s20, -1
.LBB134_2089:
	s_and_not1_b32 vcc_lo, exec_lo, s10
	s_mov_b32 s10, 0
	s_cbranch_vccnz .LBB134_2112
; %bb.2090:
	s_cmp_gt_i32 s0, 14
	s_cbranch_scc0 .LBB134_2093
; %bb.2091:
	s_cmp_eq_u32 s0, 15
	s_cbranch_scc0 .LBB134_2108
; %bb.2092:
	global_load_u16 v1, v[6:7], off
	s_mov_b32 s9, 0
	s_mov_b32 s20, -1
	s_wait_loadcnt 0x0
	v_lshlrev_b32_e32 v8, 16, v1
	s_branch .LBB134_2110
.LBB134_2093:
	s_mov_b32 s10, -1
	s_branch .LBB134_2109
.LBB134_2094:
	s_or_saveexec_b32 s20, s20
	v_mov_b32_e32 v8, 0x7f800001
	s_xor_b32 exec_lo, exec_lo, s20
	s_cbranch_execz .LBB134_2062
.LBB134_2095:
	v_cmp_ne_u16_e32 vcc_lo, 0, v1
	v_mov_b32_e32 v8, 0
	s_and_not1_b32 s10, s10, exec_lo
	s_and_b32 s21, vcc_lo, exec_lo
	s_delay_alu instid0(SALU_CYCLE_1)
	s_or_b32 s10, s10, s21
	s_or_b32 exec_lo, exec_lo, s20
	s_and_saveexec_b32 s20, s10
	s_cbranch_execnz .LBB134_2063
	s_branch .LBB134_2064
.LBB134_2096:
	s_mov_b32 s9, -1
                                        ; implicit-def: $vgpr9
.LBB134_2097:
	s_delay_alu instid0(SALU_CYCLE_1)
	s_and_not1_b32 vcc_lo, exec_lo, s9
	s_cbranch_vccnz .LBB134_2099
; %bb.2098:
	s_wait_loadcnt 0x0
	global_load_b64 v[8:9], v[6:7], off
.LBB134_2099:
	s_mov_b32 s9, 0
.LBB134_2100:
	s_delay_alu instid0(SALU_CYCLE_1)
	s_and_not1_b32 vcc_lo, exec_lo, s9
	s_cbranch_vccnz .LBB134_2102
; %bb.2101:
	global_load_b32 v1, v[6:7], off
	s_wait_loadcnt 0x0
	v_lshrrev_b32_e32 v3, 16, v1
	v_cvt_f32_f16_e32 v8, v1
	s_delay_alu instid0(VALU_DEP_2)
	v_cvt_f32_f16_e32 v9, v3
.LBB134_2102:
	s_mov_b32 s9, 0
.LBB134_2103:
	s_delay_alu instid0(SALU_CYCLE_1)
	s_and_not1_b32 vcc_lo, exec_lo, s9
	s_cbranch_vccnz .LBB134_2121
; %bb.2104:
	s_cmp_lt_i32 s0, 6
	s_cbranch_scc1 .LBB134_2107
; %bb.2105:
	s_cmp_gt_i32 s0, 6
	s_cbranch_scc0 .LBB134_2114
; %bb.2106:
	s_wait_loadcnt 0x0
	global_load_b64 v[8:9], v[6:7], off
	s_mov_b32 s9, 0
	s_wait_loadcnt 0x0
	v_cvt_f32_f64_e32 v8, v[8:9]
	s_branch .LBB134_2115
.LBB134_2107:
	s_mov_b32 s9, -1
                                        ; implicit-def: $vgpr8
	s_branch .LBB134_2118
.LBB134_2108:
	s_mov_b32 s9, -1
.LBB134_2109:
                                        ; implicit-def: $vgpr8
.LBB134_2110:
	s_and_b32 vcc_lo, exec_lo, s10
	s_mov_b32 s10, 0
	s_cbranch_vccz .LBB134_2112
; %bb.2111:
	s_cmp_lg_u32 s0, 11
	s_mov_b32 s10, -1
	s_cselect_b32 s9, -1, 0
.LBB134_2112:
	s_wait_loadcnt 0x0
	v_mov_b32_e32 v9, 0
	s_and_b32 vcc_lo, exec_lo, s9
	s_cbranch_vccz .LBB134_2066
.LBB134_2113:
	s_or_b32 s13, s13, exec_lo
	s_trap 2
	s_cbranch_execz .LBB134_2067
	s_branch .LBB134_2068
.LBB134_2114:
	s_mov_b32 s9, -1
                                        ; implicit-def: $vgpr8
.LBB134_2115:
	s_delay_alu instid0(SALU_CYCLE_1)
	s_and_not1_b32 vcc_lo, exec_lo, s9
	s_cbranch_vccnz .LBB134_2117
; %bb.2116:
	s_wait_loadcnt 0x0
	global_load_b32 v8, v[6:7], off
.LBB134_2117:
	s_mov_b32 s9, 0
.LBB134_2118:
	s_delay_alu instid0(SALU_CYCLE_1)
	s_and_not1_b32 vcc_lo, exec_lo, s9
	s_cbranch_vccnz .LBB134_2120
; %bb.2119:
	global_load_u16 v1, v[6:7], off
	s_wait_loadcnt 0x0
	v_cvt_f32_f16_e32 v8, v1
.LBB134_2120:
	s_wait_loadcnt 0x0
	v_mov_b32_e32 v9, 0
.LBB134_2121:
	s_mov_b32 s9, 0
.LBB134_2122:
	s_delay_alu instid0(SALU_CYCLE_1)
	s_and_not1_b32 vcc_lo, exec_lo, s9
	s_cbranch_vccnz .LBB134_2143
; %bb.2123:
	s_cmp_lt_i32 s0, 2
	s_cbranch_scc1 .LBB134_2127
; %bb.2124:
	s_cmp_lt_i32 s0, 3
	s_cbranch_scc1 .LBB134_2128
; %bb.2125:
	s_cmp_gt_i32 s0, 3
	s_cbranch_scc0 .LBB134_2129
; %bb.2126:
	s_wait_loadcnt 0x0
	global_load_b64 v[8:9], v[6:7], off
	s_mov_b32 s9, 0
	s_wait_loadcnt 0x0
	v_xor_b32_e32 v1, v8, v9
	v_cls_i32_e32 v3, v9
	s_delay_alu instid0(VALU_DEP_2) | instskip(NEXT) | instid1(VALU_DEP_1)
	v_ashrrev_i32_e32 v1, 31, v1
	v_add_nc_u32_e32 v1, 32, v1
	s_delay_alu instid0(VALU_DEP_1) | instskip(NEXT) | instid1(VALU_DEP_1)
	v_add_min_u32_e64 v1, v3, -1, v1
	v_lshlrev_b64_e32 v[8:9], v1, v[8:9]
	v_sub_nc_u32_e32 v1, 32, v1
	s_delay_alu instid0(VALU_DEP_2) | instskip(NEXT) | instid1(VALU_DEP_1)
	v_min_u32_e32 v3, 1, v8
	v_or_b32_e32 v3, v9, v3
	s_delay_alu instid0(VALU_DEP_1) | instskip(NEXT) | instid1(VALU_DEP_1)
	v_cvt_f32_i32_e32 v3, v3
	v_ldexp_f32 v8, v3, v1
	s_branch .LBB134_2130
.LBB134_2127:
	s_mov_b32 s9, -1
                                        ; implicit-def: $vgpr8
	s_branch .LBB134_2136
.LBB134_2128:
	s_mov_b32 s9, -1
                                        ; implicit-def: $vgpr8
	s_branch .LBB134_2133
.LBB134_2129:
	s_mov_b32 s9, -1
                                        ; implicit-def: $vgpr8
.LBB134_2130:
	s_delay_alu instid0(SALU_CYCLE_1)
	s_and_not1_b32 vcc_lo, exec_lo, s9
	s_cbranch_vccnz .LBB134_2132
; %bb.2131:
	global_load_b32 v1, v[6:7], off
	s_wait_loadcnt 0x0
	v_cvt_f32_i32_e32 v8, v1
.LBB134_2132:
	s_mov_b32 s9, 0
.LBB134_2133:
	s_delay_alu instid0(SALU_CYCLE_1)
	s_and_not1_b32 vcc_lo, exec_lo, s9
	s_cbranch_vccnz .LBB134_2135
; %bb.2134:
	global_load_i16 v1, v[6:7], off
	s_wait_loadcnt 0x0
	v_cvt_f32_i32_e32 v8, v1
.LBB134_2135:
	s_mov_b32 s9, 0
.LBB134_2136:
	s_delay_alu instid0(SALU_CYCLE_1)
	s_and_not1_b32 vcc_lo, exec_lo, s9
	s_cbranch_vccnz .LBB134_2142
; %bb.2137:
	s_cmp_gt_i32 s0, 0
	s_mov_b32 s0, 0
	s_cbranch_scc0 .LBB134_2139
; %bb.2138:
	global_load_i8 v1, v[6:7], off
	s_wait_loadcnt 0x0
	v_cvt_f32_i32_e32 v8, v1
	s_branch .LBB134_2140
.LBB134_2139:
	s_mov_b32 s0, -1
                                        ; implicit-def: $vgpr8
.LBB134_2140:
	s_delay_alu instid0(SALU_CYCLE_1)
	s_and_not1_b32 vcc_lo, exec_lo, s0
	s_cbranch_vccnz .LBB134_2142
; %bb.2141:
	global_load_u8 v1, v[6:7], off
	s_wait_loadcnt 0x0
	v_cvt_f32_ubyte0_e32 v8, v1
.LBB134_2142:
	s_wait_loadcnt 0x0
	v_mov_b32_e32 v9, 0
.LBB134_2143:
	s_mov_b32 s20, -1
.LBB134_2144:
	s_delay_alu instid0(SALU_CYCLE_1)
	s_and_not1_b32 vcc_lo, exec_lo, s20
	s_cbranch_vccnz .LBB134_2703
; %bb.2145:
	s_and_b32 vcc_lo, exec_lo, s11
	s_cbranch_vccz .LBB134_2147
; %bb.2146:
	s_wait_loadcnt 0x0
	s_delay_alu instid0(VALU_DEP_1) | instskip(NEXT) | instid1(VALU_DEP_2)
	v_cmp_neq_f32_e32 vcc_lo, v4, v8
	v_cmp_neq_f32_e64 s0, v5, v9
	s_or_b32 s9, vcc_lo, s0
	s_mov_b32 s0, 0
	s_branch .LBB134_2148
.LBB134_2147:
	s_mov_b32 s0, -1
                                        ; implicit-def: $sgpr9
.LBB134_2148:
	s_delay_alu instid0(SALU_CYCLE_1)
	s_and_not1_b32 vcc_lo, exec_lo, s0
	s_cbranch_vccnz .LBB134_2150
; %bb.2149:
	s_wait_loadcnt 0x0
	s_delay_alu instid0(VALU_DEP_1) | instskip(NEXT) | instid1(VALU_DEP_2)
	v_cmp_eq_f32_e32 vcc_lo, v5, v9
	v_cmp_eq_f32_e64 s0, v4, v8
	s_and_not1_b32 s9, s9, exec_lo
	s_and_b32 s0, s0, vcc_lo
	s_delay_alu instid0(SALU_CYCLE_1) | instskip(NEXT) | instid1(SALU_CYCLE_1)
	s_and_b32 s0, s0, exec_lo
	s_or_b32 s9, s9, s0
.LBB134_2150:
	v_add_nc_u32_e32 v0, s18, v0
	s_cmp_lt_i32 s14, 11
	s_delay_alu instid0(VALU_DEP_1) | instskip(SKIP_1) | instid1(VALU_DEP_1)
	v_ashrrev_i32_e32 v1, 31, v0
	s_wait_xcnt 0x0
	v_add_nc_u64_e32 v[6:7], s[6:7], v[0:1]
	s_cbranch_scc1 .LBB134_2157
; %bb.2151:
	s_and_b32 s0, 0xffff, s14
	s_mov_b32 s20, 0
	s_cmp_gt_i32 s0, 25
	s_cbranch_scc0 .LBB134_2158
; %bb.2152:
	s_cmp_gt_i32 s0, 28
	s_cbranch_scc0 .LBB134_2159
; %bb.2153:
	;; [unrolled: 3-line block ×4, first 2 shown]
	s_cmp_eq_u32 s0, 46
	s_mov_b32 s22, 0
	s_cbranch_scc0 .LBB134_2162
; %bb.2156:
	global_load_b32 v1, v[6:7], off
	s_mov_b32 s10, 0
	s_mov_b32 s21, -1
	s_wait_loadcnt 0x0
	v_and_b32_e32 v5, 0xffff0000, v1
	v_lshlrev_b32_e32 v4, 16, v1
	s_branch .LBB134_2164
.LBB134_2157:
	s_mov_b32 s0, -1
	s_mov_b32 s21, 0
                                        ; implicit-def: $vgpr5
	s_branch .LBB134_2210
.LBB134_2158:
	s_mov_b32 s22, -1
	s_mov_b32 s21, 0
	s_mov_b32 s10, 0
                                        ; implicit-def: $vgpr5
	s_branch .LBB134_2195
.LBB134_2159:
	s_mov_b32 s22, -1
	s_mov_b32 s21, 0
	s_mov_b32 s10, 0
                                        ; implicit-def: $vgpr5
	s_branch .LBB134_2176
.LBB134_2160:
	s_mov_b32 s22, -1
	s_mov_b32 s21, 0
	s_mov_b32 s10, 0
                                        ; implicit-def: $vgpr5
	s_branch .LBB134_2170
.LBB134_2161:
	s_mov_b32 s22, -1
	s_mov_b32 s21, 0
	s_mov_b32 s10, 0
	s_branch .LBB134_2163
.LBB134_2162:
	s_mov_b32 s10, -1
	s_mov_b32 s21, 0
.LBB134_2163:
                                        ; implicit-def: $vgpr5
.LBB134_2164:
	s_and_b32 vcc_lo, exec_lo, s22
	s_cbranch_vccz .LBB134_2169
; %bb.2165:
	s_cmp_eq_u32 s0, 44
	s_cbranch_scc0 .LBB134_2167
; %bb.2166:
	global_load_u8 v1, v[6:7], off
	s_mov_b32 s10, 0
	s_mov_b32 s21, -1
	s_wait_loadcnt 0x0
	v_lshlrev_b32_e32 v3, 23, v1
	v_cmp_ne_u32_e32 vcc_lo, 0xff, v1
	s_delay_alu instid0(VALU_DEP_2) | instskip(SKIP_1) | instid1(VALU_DEP_2)
	v_cndmask_b32_e32 v3, 0x7f800001, v3, vcc_lo
	v_cmp_ne_u32_e32 vcc_lo, 0, v1
	v_cndmask_b32_e32 v4, 0x400000, v3, vcc_lo
	s_branch .LBB134_2168
.LBB134_2167:
	s_mov_b32 s10, -1
                                        ; implicit-def: $vgpr4
.LBB134_2168:
	s_wait_loadcnt 0x0
	v_mov_b32_e32 v5, 0
.LBB134_2169:
	s_mov_b32 s22, 0
.LBB134_2170:
	s_delay_alu instid0(SALU_CYCLE_1)
	s_and_b32 vcc_lo, exec_lo, s22
	s_cbranch_vccz .LBB134_2175
; %bb.2171:
	s_cmp_eq_u32 s0, 29
	s_cbranch_scc0 .LBB134_2173
; %bb.2172:
	s_wait_loadcnt 0x0
	global_load_b64 v[4:5], v[6:7], off
	s_mov_b32 s10, 0
	s_mov_b32 s21, -1
	s_wait_loadcnt 0x0
	v_clz_i32_u32_e32 v1, v5
	s_delay_alu instid0(VALU_DEP_1) | instskip(NEXT) | instid1(VALU_DEP_1)
	v_min_u32_e32 v1, 32, v1
	v_lshlrev_b64_e32 v[4:5], v1, v[4:5]
	v_sub_nc_u32_e32 v1, 32, v1
	s_delay_alu instid0(VALU_DEP_2) | instskip(NEXT) | instid1(VALU_DEP_1)
	v_min_u32_e32 v3, 1, v4
	v_or_b32_e32 v3, v5, v3
	s_delay_alu instid0(VALU_DEP_1) | instskip(NEXT) | instid1(VALU_DEP_1)
	v_cvt_f32_u32_e32 v3, v3
	v_ldexp_f32 v4, v3, v1
	s_branch .LBB134_2174
.LBB134_2173:
	s_mov_b32 s10, -1
                                        ; implicit-def: $vgpr4
.LBB134_2174:
	s_wait_loadcnt 0x0
	v_mov_b32_e32 v5, 0
.LBB134_2175:
	s_mov_b32 s22, 0
.LBB134_2176:
	s_delay_alu instid0(SALU_CYCLE_1)
	s_and_b32 vcc_lo, exec_lo, s22
	s_cbranch_vccz .LBB134_2194
; %bb.2177:
	s_cmp_lt_i32 s0, 27
	s_cbranch_scc1 .LBB134_2180
; %bb.2178:
	s_cmp_gt_i32 s0, 27
	s_cbranch_scc0 .LBB134_2181
; %bb.2179:
	global_load_b32 v1, v[6:7], off
	s_mov_b32 s21, 0
	s_wait_loadcnt 0x0
	v_cvt_f32_u32_e32 v4, v1
	s_branch .LBB134_2182
.LBB134_2180:
	s_mov_b32 s21, -1
                                        ; implicit-def: $vgpr4
	s_branch .LBB134_2185
.LBB134_2181:
	s_mov_b32 s21, -1
                                        ; implicit-def: $vgpr4
.LBB134_2182:
	s_delay_alu instid0(SALU_CYCLE_1)
	s_and_not1_b32 vcc_lo, exec_lo, s21
	s_cbranch_vccnz .LBB134_2184
; %bb.2183:
	global_load_u16 v1, v[6:7], off
	s_wait_loadcnt 0x0
	v_cvt_f32_u32_e32 v4, v1
.LBB134_2184:
	s_mov_b32 s21, 0
.LBB134_2185:
	s_delay_alu instid0(SALU_CYCLE_1)
	s_and_not1_b32 vcc_lo, exec_lo, s21
	s_cbranch_vccnz .LBB134_2193
; %bb.2186:
	global_load_u8 v1, v[6:7], off
	s_mov_b32 s21, 0
	s_mov_b32 s22, exec_lo
	s_wait_loadcnt 0x0
	v_cmpx_lt_i16_e32 0x7f, v1
	s_xor_b32 s22, exec_lo, s22
	s_cbranch_execz .LBB134_2219
; %bb.2187:
	s_mov_b32 s21, -1
	s_mov_b32 s23, exec_lo
	v_cmpx_eq_u16_e32 0x80, v1
; %bb.2188:
	s_xor_b32 s21, exec_lo, -1
; %bb.2189:
	s_or_b32 exec_lo, exec_lo, s23
	s_delay_alu instid0(SALU_CYCLE_1)
	s_and_b32 s21, s21, exec_lo
	s_or_saveexec_b32 s22, s22
	v_mov_b32_e32 v4, 0x7f800001
	s_xor_b32 exec_lo, exec_lo, s22
	s_cbranch_execnz .LBB134_2220
.LBB134_2190:
	s_or_b32 exec_lo, exec_lo, s22
	s_and_saveexec_b32 s22, s21
	s_cbranch_execz .LBB134_2192
.LBB134_2191:
	v_and_b32_e32 v3, 0xffff, v1
	s_delay_alu instid0(VALU_DEP_1) | instskip(SKIP_1) | instid1(VALU_DEP_2)
	v_and_b32_e32 v4, 7, v3
	v_bfe_u32 v9, v3, 3, 4
	v_clz_i32_u32_e32 v5, v4
	s_delay_alu instid0(VALU_DEP_2) | instskip(NEXT) | instid1(VALU_DEP_2)
	v_cmp_eq_u32_e32 vcc_lo, 0, v9
	v_min_u32_e32 v5, 32, v5
	s_delay_alu instid0(VALU_DEP_1) | instskip(NEXT) | instid1(VALU_DEP_1)
	v_subrev_nc_u32_e32 v8, 28, v5
	v_dual_lshlrev_b32 v3, v8, v3 :: v_dual_sub_nc_u32 v5, 29, v5
	s_delay_alu instid0(VALU_DEP_1) | instskip(NEXT) | instid1(VALU_DEP_1)
	v_dual_lshlrev_b32 v1, 24, v1 :: v_dual_bitop2_b32 v3, 7, v3 bitop3:0x40
	v_dual_cndmask_b32 v3, v4, v3, vcc_lo :: v_dual_cndmask_b32 v5, v9, v5, vcc_lo
	s_delay_alu instid0(VALU_DEP_2) | instskip(NEXT) | instid1(VALU_DEP_2)
	v_and_b32_e32 v1, 0x80000000, v1
	v_lshlrev_b32_e32 v3, 20, v3
	s_delay_alu instid0(VALU_DEP_3) | instskip(NEXT) | instid1(VALU_DEP_1)
	v_lshl_add_u32 v4, v5, 23, 0x3b800000
	v_or3_b32 v4, v1, v4, v3
.LBB134_2192:
	s_or_b32 exec_lo, exec_lo, s22
.LBB134_2193:
	s_wait_loadcnt 0x0
	v_mov_b32_e32 v5, 0
	s_mov_b32 s21, -1
.LBB134_2194:
	s_mov_b32 s22, 0
.LBB134_2195:
	s_delay_alu instid0(SALU_CYCLE_1)
	s_and_b32 vcc_lo, exec_lo, s22
	s_cbranch_vccz .LBB134_2206
; %bb.2196:
	s_cmp_gt_i32 s0, 22
	s_cbranch_scc0 .LBB134_2217
; %bb.2197:
	s_cmp_lt_i32 s0, 24
	s_cbranch_scc1 .LBB134_2221
; %bb.2198:
	s_cmp_gt_i32 s0, 24
	s_cbranch_scc0 .LBB134_2223
; %bb.2199:
	global_load_u8 v1, v[6:7], off
	s_mov_b32 s21, exec_lo
	s_wait_loadcnt 0x0
	v_cmpx_lt_i16_e32 0x7f, v1
	s_xor_b32 s21, exec_lo, s21
	s_cbranch_execz .LBB134_2235
; %bb.2200:
	s_mov_b32 s20, -1
	s_mov_b32 s22, exec_lo
	v_cmpx_eq_u16_e32 0x80, v1
; %bb.2201:
	s_xor_b32 s20, exec_lo, -1
; %bb.2202:
	s_or_b32 exec_lo, exec_lo, s22
	s_delay_alu instid0(SALU_CYCLE_1)
	s_and_b32 s20, s20, exec_lo
	s_or_saveexec_b32 s21, s21
	v_mov_b32_e32 v4, 0x7f800001
	s_xor_b32 exec_lo, exec_lo, s21
	s_cbranch_execnz .LBB134_2236
.LBB134_2203:
	s_or_b32 exec_lo, exec_lo, s21
	s_and_saveexec_b32 s21, s20
	s_cbranch_execz .LBB134_2205
.LBB134_2204:
	v_and_b32_e32 v3, 0xffff, v1
	s_delay_alu instid0(VALU_DEP_1) | instskip(SKIP_1) | instid1(VALU_DEP_2)
	v_and_b32_e32 v4, 3, v3
	v_bfe_u32 v9, v3, 2, 5
	v_clz_i32_u32_e32 v5, v4
	s_delay_alu instid0(VALU_DEP_2) | instskip(NEXT) | instid1(VALU_DEP_2)
	v_cmp_eq_u32_e32 vcc_lo, 0, v9
	v_min_u32_e32 v5, 32, v5
	s_delay_alu instid0(VALU_DEP_1) | instskip(NEXT) | instid1(VALU_DEP_1)
	v_subrev_nc_u32_e32 v8, 29, v5
	v_dual_lshlrev_b32 v3, v8, v3 :: v_dual_sub_nc_u32 v5, 30, v5
	s_delay_alu instid0(VALU_DEP_1) | instskip(NEXT) | instid1(VALU_DEP_1)
	v_dual_lshlrev_b32 v1, 24, v1 :: v_dual_bitop2_b32 v3, 3, v3 bitop3:0x40
	v_dual_cndmask_b32 v3, v4, v3, vcc_lo :: v_dual_cndmask_b32 v5, v9, v5, vcc_lo
	s_delay_alu instid0(VALU_DEP_2) | instskip(NEXT) | instid1(VALU_DEP_2)
	v_and_b32_e32 v1, 0x80000000, v1
	v_lshlrev_b32_e32 v3, 21, v3
	s_delay_alu instid0(VALU_DEP_3) | instskip(NEXT) | instid1(VALU_DEP_1)
	v_lshl_add_u32 v4, v5, 23, 0x37800000
	v_or3_b32 v4, v1, v4, v3
.LBB134_2205:
	s_or_b32 exec_lo, exec_lo, s21
	s_mov_b32 s20, 0
	s_branch .LBB134_2224
.LBB134_2206:
	s_and_b32 vcc_lo, exec_lo, s10
	s_cbranch_vccnz .LBB134_2254
.LBB134_2207:
	s_and_not1_b32 vcc_lo, exec_lo, s20
	s_cbranch_vccnz .LBB134_2209
.LBB134_2208:
	global_load_u8 v1, v[6:7], off
	s_wait_loadcnt 0x1
	v_mov_b32_e32 v5, 0
	s_mov_b32 s21, -1
	s_wait_loadcnt 0x0
	v_cmp_ne_u16_e32 vcc_lo, 0, v1
	v_cndmask_b32_e64 v4, 0, 1.0, vcc_lo
.LBB134_2209:
	s_mov_b32 s0, 0
.LBB134_2210:
	s_delay_alu instid0(SALU_CYCLE_1)
	s_and_b32 vcc_lo, exec_lo, s0
	s_cbranch_vccz .LBB134_2285
; %bb.2211:
	s_and_b32 s0, 0xffff, s14
	s_delay_alu instid0(SALU_CYCLE_1)
	s_cmp_lt_i32 s0, 5
	s_cbranch_scc1 .LBB134_2216
; %bb.2212:
	s_cmp_lt_i32 s0, 8
	s_cbranch_scc1 .LBB134_2218
; %bb.2213:
	;; [unrolled: 3-line block ×3, first 2 shown]
	s_cmp_gt_i32 s0, 9
	s_cbranch_scc0 .LBB134_2237
; %bb.2215:
	global_load_b128 v[12:15], v[6:7], off
	s_mov_b32 s10, 0
	s_wait_loadcnt 0x0
	v_cvt_f32_f64_e32 v4, v[12:13]
	v_cvt_f32_f64_e32 v5, v[14:15]
	s_branch .LBB134_2238
.LBB134_2216:
	s_mov_b32 s10, -1
                                        ; implicit-def: $vgpr5
	s_branch .LBB134_2263
.LBB134_2217:
	s_mov_b32 s20, -1
                                        ; implicit-def: $vgpr4
	s_branch .LBB134_2230
.LBB134_2218:
	s_mov_b32 s10, -1
                                        ; implicit-def: $vgpr5
	s_branch .LBB134_2244
.LBB134_2219:
	s_or_saveexec_b32 s22, s22
	v_mov_b32_e32 v4, 0x7f800001
	s_xor_b32 exec_lo, exec_lo, s22
	s_cbranch_execz .LBB134_2190
.LBB134_2220:
	v_cmp_ne_u16_e32 vcc_lo, 0, v1
	v_mov_b32_e32 v4, 0
	s_and_not1_b32 s21, s21, exec_lo
	s_and_b32 s23, vcc_lo, exec_lo
	s_delay_alu instid0(SALU_CYCLE_1)
	s_or_b32 s21, s21, s23
	s_or_b32 exec_lo, exec_lo, s22
	s_and_saveexec_b32 s22, s21
	s_cbranch_execnz .LBB134_2191
	s_branch .LBB134_2192
.LBB134_2221:
	s_mov_b32 s20, -1
                                        ; implicit-def: $vgpr4
	s_branch .LBB134_2227
.LBB134_2222:
	s_mov_b32 s10, -1
                                        ; implicit-def: $vgpr5
	s_branch .LBB134_2241
.LBB134_2223:
	s_mov_b32 s20, -1
                                        ; implicit-def: $vgpr4
.LBB134_2224:
	s_delay_alu instid0(SALU_CYCLE_1)
	s_and_b32 vcc_lo, exec_lo, s20
	s_cbranch_vccz .LBB134_2226
; %bb.2225:
	global_load_u8 v1, v[6:7], off
	s_wait_loadcnt 0x0
	v_lshlrev_b32_e32 v1, 24, v1
	s_delay_alu instid0(VALU_DEP_1) | instskip(NEXT) | instid1(VALU_DEP_1)
	v_and_b32_e32 v3, 0x7f000000, v1
	v_clz_i32_u32_e32 v4, v3
	v_cmp_ne_u32_e32 vcc_lo, 0, v3
	v_add_nc_u32_e32 v8, 0x1000000, v3
	s_delay_alu instid0(VALU_DEP_3) | instskip(NEXT) | instid1(VALU_DEP_1)
	v_min_u32_e32 v4, 32, v4
	v_sub_nc_u32_e64 v4, v4, 4 clamp
	s_delay_alu instid0(VALU_DEP_1) | instskip(NEXT) | instid1(VALU_DEP_1)
	v_dual_lshlrev_b32 v5, v4, v3 :: v_dual_lshlrev_b32 v4, 23, v4
	v_lshrrev_b32_e32 v5, 4, v5
	s_delay_alu instid0(VALU_DEP_1) | instskip(SKIP_1) | instid1(VALU_DEP_2)
	v_sub_nc_u32_e32 v4, v5, v4
	v_ashrrev_i32_e32 v5, 8, v8
	v_add_nc_u32_e32 v4, 0x3c000000, v4
	s_delay_alu instid0(VALU_DEP_1) | instskip(NEXT) | instid1(VALU_DEP_1)
	v_and_or_b32 v4, 0x7f800000, v5, v4
	v_cndmask_b32_e32 v3, 0, v4, vcc_lo
	s_delay_alu instid0(VALU_DEP_1)
	v_and_or_b32 v4, 0x80000000, v1, v3
.LBB134_2226:
	s_mov_b32 s20, 0
.LBB134_2227:
	s_delay_alu instid0(SALU_CYCLE_1)
	s_and_not1_b32 vcc_lo, exec_lo, s20
	s_cbranch_vccnz .LBB134_2229
; %bb.2228:
	global_load_u8 v1, v[6:7], off
	s_wait_loadcnt 0x0
	v_lshlrev_b32_e32 v3, 25, v1
	v_lshlrev_b16 v1, 8, v1
	s_delay_alu instid0(VALU_DEP_1) | instskip(NEXT) | instid1(VALU_DEP_3)
	v_and_or_b32 v5, 0x7f00, v1, 0.5
	v_lshrrev_b32_e32 v4, 4, v3
	v_bfe_i32 v1, v1, 0, 16
	s_delay_alu instid0(VALU_DEP_3) | instskip(NEXT) | instid1(VALU_DEP_3)
	v_add_f32_e32 v5, -0.5, v5
	v_or_b32_e32 v4, 0x70000000, v4
	s_delay_alu instid0(VALU_DEP_1) | instskip(SKIP_1) | instid1(VALU_DEP_2)
	v_mul_f32_e32 v4, 0x7800000, v4
	v_cmp_gt_u32_e32 vcc_lo, 0x8000000, v3
	v_cndmask_b32_e32 v3, v4, v5, vcc_lo
	s_delay_alu instid0(VALU_DEP_1)
	v_and_or_b32 v4, 0x80000000, v1, v3
.LBB134_2229:
	s_mov_b32 s20, 0
	s_mov_b32 s21, -1
.LBB134_2230:
	s_and_not1_b32 vcc_lo, exec_lo, s20
	s_mov_b32 s20, 0
	s_cbranch_vccnz .LBB134_2253
; %bb.2231:
	s_cmp_gt_i32 s0, 14
	s_cbranch_scc0 .LBB134_2234
; %bb.2232:
	s_cmp_eq_u32 s0, 15
	s_cbranch_scc0 .LBB134_2249
; %bb.2233:
	global_load_u16 v1, v[6:7], off
	s_mov_b32 s10, 0
	s_mov_b32 s21, -1
	s_wait_loadcnt 0x0
	v_lshlrev_b32_e32 v4, 16, v1
	s_branch .LBB134_2251
.LBB134_2234:
	s_mov_b32 s20, -1
	s_branch .LBB134_2250
.LBB134_2235:
	s_or_saveexec_b32 s21, s21
	v_mov_b32_e32 v4, 0x7f800001
	s_xor_b32 exec_lo, exec_lo, s21
	s_cbranch_execz .LBB134_2203
.LBB134_2236:
	v_cmp_ne_u16_e32 vcc_lo, 0, v1
	v_mov_b32_e32 v4, 0
	s_and_not1_b32 s20, s20, exec_lo
	s_and_b32 s22, vcc_lo, exec_lo
	s_delay_alu instid0(SALU_CYCLE_1)
	s_or_b32 s20, s20, s22
	s_or_b32 exec_lo, exec_lo, s21
	s_and_saveexec_b32 s21, s20
	s_cbranch_execnz .LBB134_2204
	s_branch .LBB134_2205
.LBB134_2237:
	s_mov_b32 s10, -1
                                        ; implicit-def: $vgpr5
.LBB134_2238:
	s_delay_alu instid0(SALU_CYCLE_1)
	s_and_not1_b32 vcc_lo, exec_lo, s10
	s_cbranch_vccnz .LBB134_2240
; %bb.2239:
	s_wait_loadcnt 0x0
	global_load_b64 v[4:5], v[6:7], off
.LBB134_2240:
	s_mov_b32 s10, 0
.LBB134_2241:
	s_delay_alu instid0(SALU_CYCLE_1)
	s_and_not1_b32 vcc_lo, exec_lo, s10
	s_cbranch_vccnz .LBB134_2243
; %bb.2242:
	global_load_b32 v1, v[6:7], off
	s_wait_loadcnt 0x0
	v_lshrrev_b32_e32 v3, 16, v1
	v_cvt_f32_f16_e32 v4, v1
	s_delay_alu instid0(VALU_DEP_2)
	v_cvt_f32_f16_e32 v5, v3
.LBB134_2243:
	s_mov_b32 s10, 0
.LBB134_2244:
	s_delay_alu instid0(SALU_CYCLE_1)
	s_and_not1_b32 vcc_lo, exec_lo, s10
	s_cbranch_vccnz .LBB134_2262
; %bb.2245:
	s_cmp_lt_i32 s0, 6
	s_cbranch_scc1 .LBB134_2248
; %bb.2246:
	s_cmp_gt_i32 s0, 6
	s_cbranch_scc0 .LBB134_2255
; %bb.2247:
	s_wait_loadcnt 0x0
	global_load_b64 v[4:5], v[6:7], off
	s_mov_b32 s10, 0
	s_wait_loadcnt 0x0
	v_cvt_f32_f64_e32 v4, v[4:5]
	s_branch .LBB134_2256
.LBB134_2248:
	s_mov_b32 s10, -1
                                        ; implicit-def: $vgpr4
	s_branch .LBB134_2259
.LBB134_2249:
	s_mov_b32 s10, -1
.LBB134_2250:
                                        ; implicit-def: $vgpr4
.LBB134_2251:
	s_and_b32 vcc_lo, exec_lo, s20
	s_mov_b32 s20, 0
	s_cbranch_vccz .LBB134_2253
; %bb.2252:
	s_cmp_lg_u32 s0, 11
	s_mov_b32 s20, -1
	s_cselect_b32 s10, -1, 0
.LBB134_2253:
	s_wait_loadcnt 0x0
	v_mov_b32_e32 v5, 0
	s_and_b32 vcc_lo, exec_lo, s10
	s_cbranch_vccz .LBB134_2207
.LBB134_2254:
	s_or_b32 s13, s13, exec_lo
	s_trap 2
	s_cbranch_execz .LBB134_2208
	s_branch .LBB134_2209
.LBB134_2255:
	s_mov_b32 s10, -1
                                        ; implicit-def: $vgpr4
.LBB134_2256:
	s_delay_alu instid0(SALU_CYCLE_1)
	s_and_not1_b32 vcc_lo, exec_lo, s10
	s_cbranch_vccnz .LBB134_2258
; %bb.2257:
	s_wait_loadcnt 0x0
	global_load_b32 v4, v[6:7], off
.LBB134_2258:
	s_mov_b32 s10, 0
.LBB134_2259:
	s_delay_alu instid0(SALU_CYCLE_1)
	s_and_not1_b32 vcc_lo, exec_lo, s10
	s_cbranch_vccnz .LBB134_2261
; %bb.2260:
	global_load_u16 v1, v[6:7], off
	s_wait_loadcnt 0x0
	v_cvt_f32_f16_e32 v4, v1
.LBB134_2261:
	s_wait_loadcnt 0x0
	v_mov_b32_e32 v5, 0
.LBB134_2262:
	s_mov_b32 s10, 0
.LBB134_2263:
	s_delay_alu instid0(SALU_CYCLE_1)
	s_and_not1_b32 vcc_lo, exec_lo, s10
	s_cbranch_vccnz .LBB134_2284
; %bb.2264:
	s_cmp_lt_i32 s0, 2
	s_cbranch_scc1 .LBB134_2268
; %bb.2265:
	s_cmp_lt_i32 s0, 3
	s_cbranch_scc1 .LBB134_2269
; %bb.2266:
	s_cmp_gt_i32 s0, 3
	s_cbranch_scc0 .LBB134_2270
; %bb.2267:
	s_wait_loadcnt 0x0
	global_load_b64 v[4:5], v[6:7], off
	s_mov_b32 s10, 0
	s_wait_loadcnt 0x0
	v_xor_b32_e32 v1, v4, v5
	v_cls_i32_e32 v3, v5
	s_delay_alu instid0(VALU_DEP_2) | instskip(NEXT) | instid1(VALU_DEP_1)
	v_ashrrev_i32_e32 v1, 31, v1
	v_add_nc_u32_e32 v1, 32, v1
	s_delay_alu instid0(VALU_DEP_1) | instskip(NEXT) | instid1(VALU_DEP_1)
	v_add_min_u32_e64 v1, v3, -1, v1
	v_lshlrev_b64_e32 v[4:5], v1, v[4:5]
	v_sub_nc_u32_e32 v1, 32, v1
	s_delay_alu instid0(VALU_DEP_2) | instskip(NEXT) | instid1(VALU_DEP_1)
	v_min_u32_e32 v3, 1, v4
	v_or_b32_e32 v3, v5, v3
	s_delay_alu instid0(VALU_DEP_1) | instskip(NEXT) | instid1(VALU_DEP_1)
	v_cvt_f32_i32_e32 v3, v3
	v_ldexp_f32 v4, v3, v1
	s_branch .LBB134_2271
.LBB134_2268:
	s_mov_b32 s10, -1
                                        ; implicit-def: $vgpr4
	s_branch .LBB134_2277
.LBB134_2269:
	s_mov_b32 s10, -1
                                        ; implicit-def: $vgpr4
	s_branch .LBB134_2274
.LBB134_2270:
	s_mov_b32 s10, -1
                                        ; implicit-def: $vgpr4
.LBB134_2271:
	s_delay_alu instid0(SALU_CYCLE_1)
	s_and_not1_b32 vcc_lo, exec_lo, s10
	s_cbranch_vccnz .LBB134_2273
; %bb.2272:
	global_load_b32 v1, v[6:7], off
	s_wait_loadcnt 0x0
	v_cvt_f32_i32_e32 v4, v1
.LBB134_2273:
	s_mov_b32 s10, 0
.LBB134_2274:
	s_delay_alu instid0(SALU_CYCLE_1)
	s_and_not1_b32 vcc_lo, exec_lo, s10
	s_cbranch_vccnz .LBB134_2276
; %bb.2275:
	global_load_i16 v1, v[6:7], off
	s_wait_loadcnt 0x0
	v_cvt_f32_i32_e32 v4, v1
.LBB134_2276:
	s_mov_b32 s10, 0
.LBB134_2277:
	s_delay_alu instid0(SALU_CYCLE_1)
	s_and_not1_b32 vcc_lo, exec_lo, s10
	s_cbranch_vccnz .LBB134_2283
; %bb.2278:
	s_cmp_gt_i32 s0, 0
	s_mov_b32 s0, 0
	s_cbranch_scc0 .LBB134_2280
; %bb.2279:
	global_load_i8 v1, v[6:7], off
	s_wait_loadcnt 0x0
	v_cvt_f32_i32_e32 v4, v1
	s_branch .LBB134_2281
.LBB134_2280:
	s_mov_b32 s0, -1
                                        ; implicit-def: $vgpr4
.LBB134_2281:
	s_delay_alu instid0(SALU_CYCLE_1)
	s_and_not1_b32 vcc_lo, exec_lo, s0
	s_cbranch_vccnz .LBB134_2283
; %bb.2282:
	global_load_u8 v1, v[6:7], off
	s_wait_loadcnt 0x0
	v_cvt_f32_ubyte0_e32 v4, v1
.LBB134_2283:
	s_wait_loadcnt 0x0
	v_mov_b32_e32 v5, 0
.LBB134_2284:
	s_mov_b32 s21, -1
.LBB134_2285:
	s_delay_alu instid0(SALU_CYCLE_1)
	s_and_not1_b32 vcc_lo, exec_lo, s21
	s_cbranch_vccnz .LBB134_2703
; %bb.2286:
	v_add_nc_u32_e32 v2, s19, v2
	s_cmp_lt_i32 s17, 11
	s_delay_alu instid0(VALU_DEP_1) | instskip(SKIP_1) | instid1(VALU_DEP_1)
	v_ashrrev_i32_e32 v3, 31, v2
	s_wait_xcnt 0x0
	v_add_nc_u64_e32 v[6:7], s[2:3], v[2:3]
	s_cbranch_scc1 .LBB134_2293
; %bb.2287:
	s_and_b32 s0, 0xffff, s17
	s_mov_b32 s20, 0
	s_cmp_gt_i32 s0, 25
	s_cbranch_scc0 .LBB134_2294
; %bb.2288:
	s_cmp_gt_i32 s0, 28
	s_cbranch_scc0 .LBB134_2295
; %bb.2289:
	;; [unrolled: 3-line block ×4, first 2 shown]
	s_cmp_eq_u32 s0, 46
	s_mov_b32 s22, 0
	s_cbranch_scc0 .LBB134_2300
; %bb.2292:
	global_load_b32 v1, v[6:7], off
	s_mov_b32 s10, 0
	s_mov_b32 s21, -1
	s_wait_loadcnt 0x0
	v_and_b32_e32 v9, 0xffff0000, v1
	v_lshlrev_b32_e32 v8, 16, v1
	s_branch .LBB134_2302
.LBB134_2293:
	s_mov_b32 s0, -1
	s_mov_b32 s21, 0
                                        ; implicit-def: $vgpr9
	s_branch .LBB134_2348
.LBB134_2294:
	s_mov_b32 s22, -1
	s_mov_b32 s21, 0
	s_mov_b32 s10, 0
                                        ; implicit-def: $vgpr9
	s_branch .LBB134_2333
.LBB134_2295:
	s_mov_b32 s22, -1
	s_mov_b32 s21, 0
	s_mov_b32 s10, 0
                                        ; implicit-def: $vgpr9
	s_branch .LBB134_2314
.LBB134_2296:
	s_mov_b32 s22, -1
	s_mov_b32 s21, 0
	s_mov_b32 s10, 0
                                        ; implicit-def: $vgpr9
	s_branch .LBB134_2308
.LBB134_2297:
	s_mov_b32 s22, -1
	s_mov_b32 s21, 0
	s_mov_b32 s10, 0
	s_branch .LBB134_2301
.LBB134_2298:
	s_and_not1_saveexec_b32 s35, s35
	s_cbranch_execz .LBB134_1130
.LBB134_2299:
	v_add_f32_e32 v2, 0x42800000, v3
	s_and_not1_b32 s34, s34, exec_lo
	s_delay_alu instid0(VALU_DEP_1) | instskip(NEXT) | instid1(VALU_DEP_1)
	v_and_b32_e32 v2, 0xff, v2
	v_cmp_ne_u32_e32 vcc_lo, 0, v2
	s_and_b32 s36, vcc_lo, exec_lo
	s_delay_alu instid0(SALU_CYCLE_1)
	s_or_b32 s34, s34, s36
	s_or_b32 exec_lo, exec_lo, s35
	v_mov_b32_e32 v4, 0
	s_and_saveexec_b32 s35, s34
	s_cbranch_execnz .LBB134_1131
	s_branch .LBB134_1132
.LBB134_2300:
	s_mov_b32 s10, -1
	s_mov_b32 s21, 0
.LBB134_2301:
                                        ; implicit-def: $vgpr9
.LBB134_2302:
	s_and_b32 vcc_lo, exec_lo, s22
	s_cbranch_vccz .LBB134_2307
; %bb.2303:
	s_cmp_eq_u32 s0, 44
	s_cbranch_scc0 .LBB134_2305
; %bb.2304:
	global_load_u8 v1, v[6:7], off
	s_mov_b32 s10, 0
	s_mov_b32 s21, -1
	s_wait_loadcnt 0x0
	v_lshlrev_b32_e32 v3, 23, v1
	v_cmp_ne_u32_e32 vcc_lo, 0xff, v1
	s_delay_alu instid0(VALU_DEP_2) | instskip(SKIP_1) | instid1(VALU_DEP_2)
	v_cndmask_b32_e32 v3, 0x7f800001, v3, vcc_lo
	v_cmp_ne_u32_e32 vcc_lo, 0, v1
	v_cndmask_b32_e32 v8, 0x400000, v3, vcc_lo
	s_branch .LBB134_2306
.LBB134_2305:
	s_mov_b32 s10, -1
                                        ; implicit-def: $vgpr8
.LBB134_2306:
	s_wait_loadcnt 0x0
	v_mov_b32_e32 v9, 0
.LBB134_2307:
	s_mov_b32 s22, 0
.LBB134_2308:
	s_delay_alu instid0(SALU_CYCLE_1)
	s_and_b32 vcc_lo, exec_lo, s22
	s_cbranch_vccz .LBB134_2313
; %bb.2309:
	s_cmp_eq_u32 s0, 29
	s_cbranch_scc0 .LBB134_2311
; %bb.2310:
	s_wait_loadcnt 0x0
	global_load_b64 v[8:9], v[6:7], off
	s_mov_b32 s10, 0
	s_mov_b32 s21, -1
	s_wait_loadcnt 0x0
	v_clz_i32_u32_e32 v1, v9
	s_delay_alu instid0(VALU_DEP_1) | instskip(NEXT) | instid1(VALU_DEP_1)
	v_min_u32_e32 v1, 32, v1
	v_lshlrev_b64_e32 v[8:9], v1, v[8:9]
	v_sub_nc_u32_e32 v1, 32, v1
	s_delay_alu instid0(VALU_DEP_2) | instskip(NEXT) | instid1(VALU_DEP_1)
	v_min_u32_e32 v3, 1, v8
	v_or_b32_e32 v3, v9, v3
	s_delay_alu instid0(VALU_DEP_1) | instskip(NEXT) | instid1(VALU_DEP_1)
	v_cvt_f32_u32_e32 v3, v3
	v_ldexp_f32 v8, v3, v1
	s_branch .LBB134_2312
.LBB134_2311:
	s_mov_b32 s10, -1
                                        ; implicit-def: $vgpr8
.LBB134_2312:
	s_wait_loadcnt 0x0
	v_mov_b32_e32 v9, 0
.LBB134_2313:
	s_mov_b32 s22, 0
.LBB134_2314:
	s_delay_alu instid0(SALU_CYCLE_1)
	s_and_b32 vcc_lo, exec_lo, s22
	s_cbranch_vccz .LBB134_2332
; %bb.2315:
	s_cmp_lt_i32 s0, 27
	s_cbranch_scc1 .LBB134_2318
; %bb.2316:
	s_cmp_gt_i32 s0, 27
	s_cbranch_scc0 .LBB134_2319
; %bb.2317:
	global_load_b32 v1, v[6:7], off
	s_mov_b32 s21, 0
	s_wait_loadcnt 0x0
	v_cvt_f32_u32_e32 v8, v1
	s_branch .LBB134_2320
.LBB134_2318:
	s_mov_b32 s21, -1
                                        ; implicit-def: $vgpr8
	s_branch .LBB134_2323
.LBB134_2319:
	s_mov_b32 s21, -1
                                        ; implicit-def: $vgpr8
.LBB134_2320:
	s_delay_alu instid0(SALU_CYCLE_1)
	s_and_not1_b32 vcc_lo, exec_lo, s21
	s_cbranch_vccnz .LBB134_2322
; %bb.2321:
	global_load_u16 v1, v[6:7], off
	s_wait_loadcnt 0x0
	v_cvt_f32_u32_e32 v8, v1
.LBB134_2322:
	s_mov_b32 s21, 0
.LBB134_2323:
	s_delay_alu instid0(SALU_CYCLE_1)
	s_and_not1_b32 vcc_lo, exec_lo, s21
	s_cbranch_vccnz .LBB134_2331
; %bb.2324:
	global_load_u8 v1, v[6:7], off
	s_mov_b32 s21, 0
	s_mov_b32 s22, exec_lo
	s_wait_loadcnt 0x0
	v_cmpx_lt_i16_e32 0x7f, v1
	s_xor_b32 s22, exec_lo, s22
	s_cbranch_execz .LBB134_2357
; %bb.2325:
	s_mov_b32 s21, -1
	s_mov_b32 s23, exec_lo
	v_cmpx_eq_u16_e32 0x80, v1
; %bb.2326:
	s_xor_b32 s21, exec_lo, -1
; %bb.2327:
	s_or_b32 exec_lo, exec_lo, s23
	s_delay_alu instid0(SALU_CYCLE_1)
	s_and_b32 s21, s21, exec_lo
	s_or_saveexec_b32 s22, s22
	v_mov_b32_e32 v8, 0x7f800001
	s_xor_b32 exec_lo, exec_lo, s22
	s_cbranch_execnz .LBB134_2358
.LBB134_2328:
	s_or_b32 exec_lo, exec_lo, s22
	s_and_saveexec_b32 s22, s21
	s_cbranch_execz .LBB134_2330
.LBB134_2329:
	v_and_b32_e32 v3, 0xffff, v1
	s_delay_alu instid0(VALU_DEP_1) | instskip(SKIP_1) | instid1(VALU_DEP_2)
	v_and_b32_e32 v8, 7, v3
	v_bfe_u32 v12, v3, 3, 4
	v_clz_i32_u32_e32 v9, v8
	s_delay_alu instid0(VALU_DEP_2) | instskip(NEXT) | instid1(VALU_DEP_2)
	v_cmp_eq_u32_e32 vcc_lo, 0, v12
	v_min_u32_e32 v9, 32, v9
	s_delay_alu instid0(VALU_DEP_1) | instskip(NEXT) | instid1(VALU_DEP_1)
	v_subrev_nc_u32_e32 v11, 28, v9
	v_dual_lshlrev_b32 v3, v11, v3 :: v_dual_sub_nc_u32 v9, 29, v9
	s_delay_alu instid0(VALU_DEP_1) | instskip(NEXT) | instid1(VALU_DEP_1)
	v_dual_lshlrev_b32 v1, 24, v1 :: v_dual_bitop2_b32 v3, 7, v3 bitop3:0x40
	v_cndmask_b32_e32 v3, v8, v3, vcc_lo
	s_delay_alu instid0(VALU_DEP_3) | instskip(NEXT) | instid1(VALU_DEP_3)
	v_cndmask_b32_e32 v9, v12, v9, vcc_lo
	v_and_b32_e32 v1, 0x80000000, v1
	s_delay_alu instid0(VALU_DEP_3) | instskip(NEXT) | instid1(VALU_DEP_3)
	v_lshlrev_b32_e32 v3, 20, v3
	v_lshl_add_u32 v8, v9, 23, 0x3b800000
	s_delay_alu instid0(VALU_DEP_1)
	v_or3_b32 v8, v1, v8, v3
.LBB134_2330:
	s_or_b32 exec_lo, exec_lo, s22
.LBB134_2331:
	s_wait_loadcnt 0x0
	v_mov_b32_e32 v9, 0
	s_mov_b32 s21, -1
.LBB134_2332:
	s_mov_b32 s22, 0
.LBB134_2333:
	s_delay_alu instid0(SALU_CYCLE_1)
	s_and_b32 vcc_lo, exec_lo, s22
	s_cbranch_vccz .LBB134_2344
; %bb.2334:
	s_cmp_gt_i32 s0, 22
	s_cbranch_scc0 .LBB134_2355
; %bb.2335:
	s_cmp_lt_i32 s0, 24
	s_cbranch_scc1 .LBB134_2359
; %bb.2336:
	s_cmp_gt_i32 s0, 24
	s_cbranch_scc0 .LBB134_2361
; %bb.2337:
	global_load_u8 v1, v[6:7], off
	s_mov_b32 s21, exec_lo
	s_wait_loadcnt 0x0
	v_cmpx_lt_i16_e32 0x7f, v1
	s_xor_b32 s21, exec_lo, s21
	s_cbranch_execz .LBB134_2373
; %bb.2338:
	s_mov_b32 s20, -1
	s_mov_b32 s22, exec_lo
	v_cmpx_eq_u16_e32 0x80, v1
; %bb.2339:
	s_xor_b32 s20, exec_lo, -1
; %bb.2340:
	s_or_b32 exec_lo, exec_lo, s22
	s_delay_alu instid0(SALU_CYCLE_1)
	s_and_b32 s20, s20, exec_lo
	s_or_saveexec_b32 s21, s21
	v_mov_b32_e32 v8, 0x7f800001
	s_xor_b32 exec_lo, exec_lo, s21
	s_cbranch_execnz .LBB134_2374
.LBB134_2341:
	s_or_b32 exec_lo, exec_lo, s21
	s_and_saveexec_b32 s21, s20
	s_cbranch_execz .LBB134_2343
.LBB134_2342:
	v_and_b32_e32 v3, 0xffff, v1
	s_delay_alu instid0(VALU_DEP_1) | instskip(SKIP_1) | instid1(VALU_DEP_2)
	v_and_b32_e32 v8, 3, v3
	v_bfe_u32 v12, v3, 2, 5
	v_clz_i32_u32_e32 v9, v8
	s_delay_alu instid0(VALU_DEP_2) | instskip(NEXT) | instid1(VALU_DEP_2)
	v_cmp_eq_u32_e32 vcc_lo, 0, v12
	v_min_u32_e32 v9, 32, v9
	s_delay_alu instid0(VALU_DEP_1) | instskip(NEXT) | instid1(VALU_DEP_1)
	v_subrev_nc_u32_e32 v11, 29, v9
	v_dual_lshlrev_b32 v3, v11, v3 :: v_dual_sub_nc_u32 v9, 30, v9
	s_delay_alu instid0(VALU_DEP_1) | instskip(NEXT) | instid1(VALU_DEP_1)
	v_dual_lshlrev_b32 v1, 24, v1 :: v_dual_bitop2_b32 v3, 3, v3 bitop3:0x40
	v_cndmask_b32_e32 v3, v8, v3, vcc_lo
	s_delay_alu instid0(VALU_DEP_3) | instskip(NEXT) | instid1(VALU_DEP_3)
	v_cndmask_b32_e32 v9, v12, v9, vcc_lo
	v_and_b32_e32 v1, 0x80000000, v1
	s_delay_alu instid0(VALU_DEP_3) | instskip(NEXT) | instid1(VALU_DEP_3)
	v_lshlrev_b32_e32 v3, 21, v3
	v_lshl_add_u32 v8, v9, 23, 0x37800000
	s_delay_alu instid0(VALU_DEP_1)
	v_or3_b32 v8, v1, v8, v3
.LBB134_2343:
	s_or_b32 exec_lo, exec_lo, s21
	s_mov_b32 s20, 0
	s_branch .LBB134_2362
.LBB134_2344:
	s_and_b32 vcc_lo, exec_lo, s10
	s_cbranch_vccnz .LBB134_2392
.LBB134_2345:
	s_and_not1_b32 vcc_lo, exec_lo, s20
	s_cbranch_vccnz .LBB134_2347
.LBB134_2346:
	global_load_u8 v1, v[6:7], off
	s_wait_loadcnt 0x1
	v_mov_b32_e32 v9, 0
	s_mov_b32 s21, -1
	s_wait_loadcnt 0x0
	v_cmp_ne_u16_e32 vcc_lo, 0, v1
	v_cndmask_b32_e64 v8, 0, 1.0, vcc_lo
.LBB134_2347:
	s_mov_b32 s0, 0
.LBB134_2348:
	s_delay_alu instid0(SALU_CYCLE_1)
	s_and_b32 vcc_lo, exec_lo, s0
	s_cbranch_vccz .LBB134_2423
; %bb.2349:
	s_and_b32 s0, 0xffff, s17
	s_delay_alu instid0(SALU_CYCLE_1)
	s_cmp_lt_i32 s0, 5
	s_cbranch_scc1 .LBB134_2354
; %bb.2350:
	s_cmp_lt_i32 s0, 8
	s_cbranch_scc1 .LBB134_2356
; %bb.2351:
	;; [unrolled: 3-line block ×3, first 2 shown]
	s_cmp_gt_i32 s0, 9
	s_cbranch_scc0 .LBB134_2375
; %bb.2353:
	global_load_b128 v[12:15], v[6:7], off
	s_mov_b32 s10, 0
	s_wait_loadcnt 0x0
	v_cvt_f32_f64_e32 v8, v[12:13]
	v_cvt_f32_f64_e32 v9, v[14:15]
	s_branch .LBB134_2376
.LBB134_2354:
	s_mov_b32 s10, -1
                                        ; implicit-def: $vgpr9
	s_branch .LBB134_2401
.LBB134_2355:
	s_mov_b32 s20, -1
                                        ; implicit-def: $vgpr8
	s_branch .LBB134_2368
.LBB134_2356:
	s_mov_b32 s10, -1
                                        ; implicit-def: $vgpr9
	s_branch .LBB134_2382
.LBB134_2357:
	s_or_saveexec_b32 s22, s22
	v_mov_b32_e32 v8, 0x7f800001
	s_xor_b32 exec_lo, exec_lo, s22
	s_cbranch_execz .LBB134_2328
.LBB134_2358:
	v_cmp_ne_u16_e32 vcc_lo, 0, v1
	v_mov_b32_e32 v8, 0
	s_and_not1_b32 s21, s21, exec_lo
	s_and_b32 s23, vcc_lo, exec_lo
	s_delay_alu instid0(SALU_CYCLE_1)
	s_or_b32 s21, s21, s23
	s_or_b32 exec_lo, exec_lo, s22
	s_and_saveexec_b32 s22, s21
	s_cbranch_execnz .LBB134_2329
	s_branch .LBB134_2330
.LBB134_2359:
	s_mov_b32 s20, -1
                                        ; implicit-def: $vgpr8
	s_branch .LBB134_2365
.LBB134_2360:
	s_mov_b32 s10, -1
                                        ; implicit-def: $vgpr9
	s_branch .LBB134_2379
.LBB134_2361:
	s_mov_b32 s20, -1
                                        ; implicit-def: $vgpr8
.LBB134_2362:
	s_delay_alu instid0(SALU_CYCLE_1)
	s_and_b32 vcc_lo, exec_lo, s20
	s_cbranch_vccz .LBB134_2364
; %bb.2363:
	global_load_u8 v1, v[6:7], off
	s_wait_loadcnt 0x0
	v_lshlrev_b32_e32 v1, 24, v1
	s_delay_alu instid0(VALU_DEP_1) | instskip(NEXT) | instid1(VALU_DEP_1)
	v_and_b32_e32 v3, 0x7f000000, v1
	v_clz_i32_u32_e32 v8, v3
	v_add_nc_u32_e32 v11, 0x1000000, v3
	v_cmp_ne_u32_e32 vcc_lo, 0, v3
	s_delay_alu instid0(VALU_DEP_3) | instskip(NEXT) | instid1(VALU_DEP_1)
	v_min_u32_e32 v8, 32, v8
	v_sub_nc_u32_e64 v8, v8, 4 clamp
	s_delay_alu instid0(VALU_DEP_1) | instskip(NEXT) | instid1(VALU_DEP_1)
	v_dual_lshlrev_b32 v9, v8, v3 :: v_dual_lshlrev_b32 v8, 23, v8
	v_lshrrev_b32_e32 v9, 4, v9
	s_delay_alu instid0(VALU_DEP_1) | instskip(NEXT) | instid1(VALU_DEP_1)
	v_dual_sub_nc_u32 v8, v9, v8 :: v_dual_ashrrev_i32 v9, 8, v11
	v_add_nc_u32_e32 v8, 0x3c000000, v8
	s_delay_alu instid0(VALU_DEP_1) | instskip(NEXT) | instid1(VALU_DEP_1)
	v_and_or_b32 v8, 0x7f800000, v9, v8
	v_cndmask_b32_e32 v3, 0, v8, vcc_lo
	s_delay_alu instid0(VALU_DEP_1)
	v_and_or_b32 v8, 0x80000000, v1, v3
.LBB134_2364:
	s_mov_b32 s20, 0
.LBB134_2365:
	s_delay_alu instid0(SALU_CYCLE_1)
	s_and_not1_b32 vcc_lo, exec_lo, s20
	s_cbranch_vccnz .LBB134_2367
; %bb.2366:
	global_load_u8 v1, v[6:7], off
	s_wait_loadcnt 0x0
	v_lshlrev_b32_e32 v3, 25, v1
	v_lshlrev_b16 v1, 8, v1
	s_delay_alu instid0(VALU_DEP_1) | instskip(NEXT) | instid1(VALU_DEP_3)
	v_and_or_b32 v9, 0x7f00, v1, 0.5
	v_lshrrev_b32_e32 v8, 4, v3
	v_bfe_i32 v1, v1, 0, 16
	s_delay_alu instid0(VALU_DEP_3) | instskip(NEXT) | instid1(VALU_DEP_3)
	v_add_f32_e32 v9, -0.5, v9
	v_or_b32_e32 v8, 0x70000000, v8
	s_delay_alu instid0(VALU_DEP_1) | instskip(SKIP_1) | instid1(VALU_DEP_2)
	v_mul_f32_e32 v8, 0x7800000, v8
	v_cmp_gt_u32_e32 vcc_lo, 0x8000000, v3
	v_cndmask_b32_e32 v3, v8, v9, vcc_lo
	s_delay_alu instid0(VALU_DEP_1)
	v_and_or_b32 v8, 0x80000000, v1, v3
.LBB134_2367:
	s_mov_b32 s20, 0
	s_mov_b32 s21, -1
.LBB134_2368:
	s_and_not1_b32 vcc_lo, exec_lo, s20
	s_mov_b32 s20, 0
	s_cbranch_vccnz .LBB134_2391
; %bb.2369:
	s_cmp_gt_i32 s0, 14
	s_cbranch_scc0 .LBB134_2372
; %bb.2370:
	s_cmp_eq_u32 s0, 15
	s_cbranch_scc0 .LBB134_2387
; %bb.2371:
	global_load_u16 v1, v[6:7], off
	s_mov_b32 s10, 0
	s_mov_b32 s21, -1
	s_wait_loadcnt 0x0
	v_lshlrev_b32_e32 v8, 16, v1
	s_branch .LBB134_2389
.LBB134_2372:
	s_mov_b32 s20, -1
	s_branch .LBB134_2388
.LBB134_2373:
	s_or_saveexec_b32 s21, s21
	v_mov_b32_e32 v8, 0x7f800001
	s_xor_b32 exec_lo, exec_lo, s21
	s_cbranch_execz .LBB134_2341
.LBB134_2374:
	v_cmp_ne_u16_e32 vcc_lo, 0, v1
	v_mov_b32_e32 v8, 0
	s_and_not1_b32 s20, s20, exec_lo
	s_and_b32 s22, vcc_lo, exec_lo
	s_delay_alu instid0(SALU_CYCLE_1)
	s_or_b32 s20, s20, s22
	s_or_b32 exec_lo, exec_lo, s21
	s_and_saveexec_b32 s21, s20
	s_cbranch_execnz .LBB134_2342
	s_branch .LBB134_2343
.LBB134_2375:
	s_mov_b32 s10, -1
                                        ; implicit-def: $vgpr9
.LBB134_2376:
	s_delay_alu instid0(SALU_CYCLE_1)
	s_and_not1_b32 vcc_lo, exec_lo, s10
	s_cbranch_vccnz .LBB134_2378
; %bb.2377:
	s_wait_loadcnt 0x0
	global_load_b64 v[8:9], v[6:7], off
.LBB134_2378:
	s_mov_b32 s10, 0
.LBB134_2379:
	s_delay_alu instid0(SALU_CYCLE_1)
	s_and_not1_b32 vcc_lo, exec_lo, s10
	s_cbranch_vccnz .LBB134_2381
; %bb.2380:
	global_load_b32 v1, v[6:7], off
	s_wait_loadcnt 0x0
	v_lshrrev_b32_e32 v3, 16, v1
	v_cvt_f32_f16_e32 v8, v1
	s_delay_alu instid0(VALU_DEP_2)
	v_cvt_f32_f16_e32 v9, v3
.LBB134_2381:
	s_mov_b32 s10, 0
.LBB134_2382:
	s_delay_alu instid0(SALU_CYCLE_1)
	s_and_not1_b32 vcc_lo, exec_lo, s10
	s_cbranch_vccnz .LBB134_2400
; %bb.2383:
	s_cmp_lt_i32 s0, 6
	s_cbranch_scc1 .LBB134_2386
; %bb.2384:
	s_cmp_gt_i32 s0, 6
	s_cbranch_scc0 .LBB134_2393
; %bb.2385:
	s_wait_loadcnt 0x0
	global_load_b64 v[8:9], v[6:7], off
	s_mov_b32 s10, 0
	s_wait_loadcnt 0x0
	v_cvt_f32_f64_e32 v8, v[8:9]
	s_branch .LBB134_2394
.LBB134_2386:
	s_mov_b32 s10, -1
                                        ; implicit-def: $vgpr8
	s_branch .LBB134_2397
.LBB134_2387:
	s_mov_b32 s10, -1
.LBB134_2388:
                                        ; implicit-def: $vgpr8
.LBB134_2389:
	s_and_b32 vcc_lo, exec_lo, s20
	s_mov_b32 s20, 0
	s_cbranch_vccz .LBB134_2391
; %bb.2390:
	s_cmp_lg_u32 s0, 11
	s_mov_b32 s20, -1
	s_cselect_b32 s10, -1, 0
.LBB134_2391:
	s_wait_loadcnt 0x0
	v_mov_b32_e32 v9, 0
	s_and_b32 vcc_lo, exec_lo, s10
	s_cbranch_vccz .LBB134_2345
.LBB134_2392:
	s_or_b32 s13, s13, exec_lo
	s_trap 2
	s_cbranch_execz .LBB134_2346
	s_branch .LBB134_2347
.LBB134_2393:
	s_mov_b32 s10, -1
                                        ; implicit-def: $vgpr8
.LBB134_2394:
	s_delay_alu instid0(SALU_CYCLE_1)
	s_and_not1_b32 vcc_lo, exec_lo, s10
	s_cbranch_vccnz .LBB134_2396
; %bb.2395:
	s_wait_loadcnt 0x0
	global_load_b32 v8, v[6:7], off
.LBB134_2396:
	s_mov_b32 s10, 0
.LBB134_2397:
	s_delay_alu instid0(SALU_CYCLE_1)
	s_and_not1_b32 vcc_lo, exec_lo, s10
	s_cbranch_vccnz .LBB134_2399
; %bb.2398:
	global_load_u16 v1, v[6:7], off
	s_wait_loadcnt 0x0
	v_cvt_f32_f16_e32 v8, v1
.LBB134_2399:
	s_wait_loadcnt 0x0
	v_mov_b32_e32 v9, 0
.LBB134_2400:
	s_mov_b32 s10, 0
.LBB134_2401:
	s_delay_alu instid0(SALU_CYCLE_1)
	s_and_not1_b32 vcc_lo, exec_lo, s10
	s_cbranch_vccnz .LBB134_2422
; %bb.2402:
	s_cmp_lt_i32 s0, 2
	s_cbranch_scc1 .LBB134_2406
; %bb.2403:
	s_cmp_lt_i32 s0, 3
	s_cbranch_scc1 .LBB134_2407
; %bb.2404:
	s_cmp_gt_i32 s0, 3
	s_cbranch_scc0 .LBB134_2408
; %bb.2405:
	s_wait_loadcnt 0x0
	global_load_b64 v[8:9], v[6:7], off
	s_mov_b32 s10, 0
	s_wait_loadcnt 0x0
	v_xor_b32_e32 v1, v8, v9
	v_cls_i32_e32 v3, v9
	s_delay_alu instid0(VALU_DEP_2) | instskip(NEXT) | instid1(VALU_DEP_1)
	v_ashrrev_i32_e32 v1, 31, v1
	v_add_nc_u32_e32 v1, 32, v1
	s_delay_alu instid0(VALU_DEP_1) | instskip(NEXT) | instid1(VALU_DEP_1)
	v_add_min_u32_e64 v1, v3, -1, v1
	v_lshlrev_b64_e32 v[8:9], v1, v[8:9]
	v_sub_nc_u32_e32 v1, 32, v1
	s_delay_alu instid0(VALU_DEP_2) | instskip(NEXT) | instid1(VALU_DEP_1)
	v_min_u32_e32 v3, 1, v8
	v_or_b32_e32 v3, v9, v3
	s_delay_alu instid0(VALU_DEP_1) | instskip(NEXT) | instid1(VALU_DEP_1)
	v_cvt_f32_i32_e32 v3, v3
	v_ldexp_f32 v8, v3, v1
	s_branch .LBB134_2409
.LBB134_2406:
	s_mov_b32 s10, -1
                                        ; implicit-def: $vgpr8
	s_branch .LBB134_2415
.LBB134_2407:
	s_mov_b32 s10, -1
                                        ; implicit-def: $vgpr8
	s_branch .LBB134_2412
.LBB134_2408:
	s_mov_b32 s10, -1
                                        ; implicit-def: $vgpr8
.LBB134_2409:
	s_delay_alu instid0(SALU_CYCLE_1)
	s_and_not1_b32 vcc_lo, exec_lo, s10
	s_cbranch_vccnz .LBB134_2411
; %bb.2410:
	global_load_b32 v1, v[6:7], off
	s_wait_loadcnt 0x0
	v_cvt_f32_i32_e32 v8, v1
.LBB134_2411:
	s_mov_b32 s10, 0
.LBB134_2412:
	s_delay_alu instid0(SALU_CYCLE_1)
	s_and_not1_b32 vcc_lo, exec_lo, s10
	s_cbranch_vccnz .LBB134_2414
; %bb.2413:
	global_load_i16 v1, v[6:7], off
	s_wait_loadcnt 0x0
	v_cvt_f32_i32_e32 v8, v1
.LBB134_2414:
	s_mov_b32 s10, 0
.LBB134_2415:
	s_delay_alu instid0(SALU_CYCLE_1)
	s_and_not1_b32 vcc_lo, exec_lo, s10
	s_cbranch_vccnz .LBB134_2421
; %bb.2416:
	s_cmp_gt_i32 s0, 0
	s_mov_b32 s0, 0
	s_cbranch_scc0 .LBB134_2418
; %bb.2417:
	global_load_i8 v1, v[6:7], off
	s_wait_loadcnt 0x0
	v_cvt_f32_i32_e32 v8, v1
	s_branch .LBB134_2419
.LBB134_2418:
	s_mov_b32 s0, -1
                                        ; implicit-def: $vgpr8
.LBB134_2419:
	s_delay_alu instid0(SALU_CYCLE_1)
	s_and_not1_b32 vcc_lo, exec_lo, s0
	s_cbranch_vccnz .LBB134_2421
; %bb.2420:
	global_load_u8 v1, v[6:7], off
	s_wait_loadcnt 0x0
	v_cvt_f32_ubyte0_e32 v8, v1
.LBB134_2421:
	s_wait_loadcnt 0x0
	v_mov_b32_e32 v9, 0
.LBB134_2422:
	s_mov_b32 s21, -1
.LBB134_2423:
	s_delay_alu instid0(SALU_CYCLE_1)
	s_and_not1_b32 vcc_lo, exec_lo, s21
	s_cbranch_vccnz .LBB134_2703
; %bb.2424:
	s_and_b32 vcc_lo, exec_lo, s11
	s_cbranch_vccz .LBB134_2426
; %bb.2425:
	s_wait_loadcnt 0x0
	s_delay_alu instid0(VALU_DEP_1) | instskip(NEXT) | instid1(VALU_DEP_2)
	v_cmp_neq_f32_e32 vcc_lo, v4, v8
	v_cmp_neq_f32_e64 s0, v5, v9
	s_or_b32 s10, vcc_lo, s0
	s_mov_b32 s0, 0
	s_branch .LBB134_2427
.LBB134_2426:
	s_mov_b32 s0, -1
                                        ; implicit-def: $sgpr10
.LBB134_2427:
	s_delay_alu instid0(SALU_CYCLE_1)
	s_and_not1_b32 vcc_lo, exec_lo, s0
	s_cbranch_vccnz .LBB134_2429
; %bb.2428:
	s_wait_loadcnt 0x0
	s_delay_alu instid0(VALU_DEP_1) | instskip(NEXT) | instid1(VALU_DEP_2)
	v_cmp_eq_f32_e32 vcc_lo, v5, v9
	v_cmp_eq_f32_e64 s0, v4, v8
	s_and_not1_b32 s10, s10, exec_lo
	s_and_b32 s0, s0, vcc_lo
	s_delay_alu instid0(SALU_CYCLE_1) | instskip(NEXT) | instid1(SALU_CYCLE_1)
	s_and_b32 s0, s0, exec_lo
	s_or_b32 s10, s10, s0
.LBB134_2429:
	v_add_nc_u32_e32 v0, s18, v0
	s_cmp_lt_i32 s14, 11
	s_delay_alu instid0(VALU_DEP_1) | instskip(SKIP_1) | instid1(VALU_DEP_1)
	v_ashrrev_i32_e32 v1, 31, v0
	s_wait_loadcnt 0x0
	v_add_nc_u64_e32 v[4:5], s[6:7], v[0:1]
	s_cbranch_scc1 .LBB134_2436
; %bb.2430:
	s_and_b32 s0, 0xffff, s14
	s_mov_b32 s7, 0
	s_cmp_gt_i32 s0, 25
	s_cbranch_scc0 .LBB134_2437
; %bb.2431:
	s_cmp_gt_i32 s0, 28
	s_cbranch_scc0 .LBB134_2438
; %bb.2432:
	;; [unrolled: 3-line block ×4, first 2 shown]
	s_cmp_eq_u32 s0, 46
	s_mov_b32 s20, 0
	s_cbranch_scc0 .LBB134_2441
; %bb.2435:
	global_load_b32 v0, v[4:5], off
	s_mov_b32 s6, 0
	s_mov_b32 s18, -1
	s_wait_loadcnt 0x0
	v_and_b32_e32 v1, 0xffff0000, v0
	v_lshlrev_b32_e32 v0, 16, v0
	s_branch .LBB134_2443
.LBB134_2436:
	s_mov_b32 s0, -1
	s_mov_b32 s18, 0
                                        ; implicit-def: $vgpr1
	s_branch .LBB134_2489
.LBB134_2437:
	s_mov_b32 s20, -1
	s_mov_b32 s18, 0
	s_mov_b32 s6, 0
                                        ; implicit-def: $vgpr1
	s_branch .LBB134_2474
.LBB134_2438:
	s_mov_b32 s20, -1
	s_mov_b32 s18, 0
	s_mov_b32 s6, 0
                                        ; implicit-def: $vgpr1
	s_branch .LBB134_2455
.LBB134_2439:
	s_mov_b32 s20, -1
	s_mov_b32 s18, 0
	s_mov_b32 s6, 0
                                        ; implicit-def: $vgpr1
	s_branch .LBB134_2449
.LBB134_2440:
	s_mov_b32 s20, -1
	s_mov_b32 s18, 0
	s_mov_b32 s6, 0
	s_branch .LBB134_2442
.LBB134_2441:
	s_mov_b32 s6, -1
	s_mov_b32 s18, 0
.LBB134_2442:
                                        ; implicit-def: $vgpr1
.LBB134_2443:
	s_and_b32 vcc_lo, exec_lo, s20
	s_cbranch_vccz .LBB134_2448
; %bb.2444:
	s_cmp_eq_u32 s0, 44
	s_cbranch_scc0 .LBB134_2446
; %bb.2445:
	global_load_u8 v0, v[4:5], off
	s_mov_b32 s6, 0
	s_mov_b32 s18, -1
	s_wait_loadcnt 0x0
	v_lshlrev_b32_e32 v1, 23, v0
	v_cmp_ne_u32_e32 vcc_lo, 0xff, v0
	s_delay_alu instid0(VALU_DEP_2) | instskip(SKIP_1) | instid1(VALU_DEP_2)
	v_cndmask_b32_e32 v1, 0x7f800001, v1, vcc_lo
	v_cmp_ne_u32_e32 vcc_lo, 0, v0
	v_cndmask_b32_e32 v0, 0x400000, v1, vcc_lo
	s_branch .LBB134_2447
.LBB134_2446:
	s_mov_b32 s6, -1
                                        ; implicit-def: $vgpr0
.LBB134_2447:
	v_mov_b32_e32 v1, 0
.LBB134_2448:
	s_mov_b32 s20, 0
.LBB134_2449:
	s_delay_alu instid0(SALU_CYCLE_1)
	s_and_b32 vcc_lo, exec_lo, s20
	s_cbranch_vccz .LBB134_2454
; %bb.2450:
	s_cmp_eq_u32 s0, 29
	s_cbranch_scc0 .LBB134_2452
; %bb.2451:
	global_load_b64 v[0:1], v[4:5], off
	s_mov_b32 s6, 0
	s_mov_b32 s18, -1
	s_wait_loadcnt 0x0
	v_clz_i32_u32_e32 v3, v1
	s_delay_alu instid0(VALU_DEP_1) | instskip(NEXT) | instid1(VALU_DEP_1)
	v_min_u32_e32 v3, 32, v3
	v_lshlrev_b64_e32 v[0:1], v3, v[0:1]
	s_delay_alu instid0(VALU_DEP_1) | instskip(NEXT) | instid1(VALU_DEP_1)
	v_min_u32_e32 v0, 1, v0
	v_dual_sub_nc_u32 v1, 32, v3 :: v_dual_bitop2_b32 v0, v1, v0 bitop3:0x54
	s_delay_alu instid0(VALU_DEP_1) | instskip(NEXT) | instid1(VALU_DEP_1)
	v_cvt_f32_u32_e32 v0, v0
	v_ldexp_f32 v0, v0, v1
	s_branch .LBB134_2453
.LBB134_2452:
	s_mov_b32 s6, -1
                                        ; implicit-def: $vgpr0
.LBB134_2453:
	v_mov_b32_e32 v1, 0
.LBB134_2454:
	s_mov_b32 s20, 0
.LBB134_2455:
	s_delay_alu instid0(SALU_CYCLE_1)
	s_and_b32 vcc_lo, exec_lo, s20
	s_cbranch_vccz .LBB134_2473
; %bb.2456:
	s_cmp_lt_i32 s0, 27
	s_cbranch_scc1 .LBB134_2459
; %bb.2457:
	s_cmp_gt_i32 s0, 27
	s_cbranch_scc0 .LBB134_2460
; %bb.2458:
	global_load_b32 v0, v[4:5], off
	s_mov_b32 s18, 0
	s_wait_loadcnt 0x0
	v_cvt_f32_u32_e32 v0, v0
	s_branch .LBB134_2461
.LBB134_2459:
	s_mov_b32 s18, -1
                                        ; implicit-def: $vgpr0
	s_branch .LBB134_2464
.LBB134_2460:
	s_mov_b32 s18, -1
                                        ; implicit-def: $vgpr0
.LBB134_2461:
	s_delay_alu instid0(SALU_CYCLE_1)
	s_and_not1_b32 vcc_lo, exec_lo, s18
	s_cbranch_vccnz .LBB134_2463
; %bb.2462:
	global_load_u16 v0, v[4:5], off
	s_wait_loadcnt 0x0
	v_cvt_f32_u32_e32 v0, v0
.LBB134_2463:
	s_mov_b32 s18, 0
.LBB134_2464:
	s_delay_alu instid0(SALU_CYCLE_1)
	s_and_not1_b32 vcc_lo, exec_lo, s18
	s_cbranch_vccnz .LBB134_2472
; %bb.2465:
	global_load_u8 v1, v[4:5], off
	s_mov_b32 s18, 0
	s_mov_b32 s20, exec_lo
	s_wait_loadcnt 0x0
	v_cmpx_lt_i16_e32 0x7f, v1
	s_xor_b32 s20, exec_lo, s20
	s_cbranch_execz .LBB134_2498
; %bb.2466:
	s_mov_b32 s18, -1
	s_mov_b32 s21, exec_lo
	v_cmpx_eq_u16_e32 0x80, v1
; %bb.2467:
	s_xor_b32 s18, exec_lo, -1
; %bb.2468:
	s_or_b32 exec_lo, exec_lo, s21
	s_delay_alu instid0(SALU_CYCLE_1)
	s_and_b32 s18, s18, exec_lo
	s_or_saveexec_b32 s20, s20
	v_mov_b32_e32 v0, 0x7f800001
	s_xor_b32 exec_lo, exec_lo, s20
	s_cbranch_execnz .LBB134_2499
.LBB134_2469:
	s_or_b32 exec_lo, exec_lo, s20
	s_and_saveexec_b32 s20, s18
	s_cbranch_execz .LBB134_2471
.LBB134_2470:
	v_and_b32_e32 v0, 0xffff, v1
	s_delay_alu instid0(VALU_DEP_1) | instskip(SKIP_1) | instid1(VALU_DEP_2)
	v_and_b32_e32 v3, 7, v0
	v_bfe_u32 v8, v0, 3, 4
	v_clz_i32_u32_e32 v6, v3
	s_delay_alu instid0(VALU_DEP_2) | instskip(NEXT) | instid1(VALU_DEP_2)
	v_cmp_eq_u32_e32 vcc_lo, 0, v8
	v_min_u32_e32 v6, 32, v6
	s_delay_alu instid0(VALU_DEP_1) | instskip(NEXT) | instid1(VALU_DEP_1)
	v_subrev_nc_u32_e32 v7, 28, v6
	v_dual_lshlrev_b32 v0, v7, v0 :: v_dual_sub_nc_u32 v6, 29, v6
	s_delay_alu instid0(VALU_DEP_1) | instskip(NEXT) | instid1(VALU_DEP_1)
	v_dual_lshlrev_b32 v1, 24, v1 :: v_dual_bitop2_b32 v0, 7, v0 bitop3:0x40
	v_dual_cndmask_b32 v6, v8, v6, vcc_lo :: v_dual_cndmask_b32 v0, v3, v0, vcc_lo
	s_delay_alu instid0(VALU_DEP_2) | instskip(NEXT) | instid1(VALU_DEP_2)
	v_and_b32_e32 v1, 0x80000000, v1
	v_lshl_add_u32 v3, v6, 23, 0x3b800000
	s_delay_alu instid0(VALU_DEP_3) | instskip(NEXT) | instid1(VALU_DEP_1)
	v_lshlrev_b32_e32 v0, 20, v0
	v_or3_b32 v0, v1, v3, v0
.LBB134_2471:
	s_or_b32 exec_lo, exec_lo, s20
.LBB134_2472:
	v_mov_b32_e32 v1, 0
	s_mov_b32 s18, -1
.LBB134_2473:
	s_mov_b32 s20, 0
.LBB134_2474:
	s_delay_alu instid0(SALU_CYCLE_1)
	s_and_b32 vcc_lo, exec_lo, s20
	s_cbranch_vccz .LBB134_2485
; %bb.2475:
	s_cmp_gt_i32 s0, 22
	s_cbranch_scc0 .LBB134_2496
; %bb.2476:
	s_cmp_lt_i32 s0, 24
	s_cbranch_scc1 .LBB134_2500
; %bb.2477:
	s_cmp_gt_i32 s0, 24
	s_cbranch_scc0 .LBB134_2502
; %bb.2478:
	global_load_u8 v1, v[4:5], off
	s_mov_b32 s18, exec_lo
	s_wait_loadcnt 0x0
	v_cmpx_lt_i16_e32 0x7f, v1
	s_xor_b32 s18, exec_lo, s18
	s_cbranch_execz .LBB134_2514
; %bb.2479:
	s_mov_b32 s7, -1
	s_mov_b32 s20, exec_lo
	v_cmpx_eq_u16_e32 0x80, v1
; %bb.2480:
	s_xor_b32 s7, exec_lo, -1
; %bb.2481:
	s_or_b32 exec_lo, exec_lo, s20
	s_delay_alu instid0(SALU_CYCLE_1)
	s_and_b32 s7, s7, exec_lo
	s_or_saveexec_b32 s18, s18
	v_mov_b32_e32 v0, 0x7f800001
	s_xor_b32 exec_lo, exec_lo, s18
	s_cbranch_execnz .LBB134_2515
.LBB134_2482:
	s_or_b32 exec_lo, exec_lo, s18
	s_and_saveexec_b32 s18, s7
	s_cbranch_execz .LBB134_2484
.LBB134_2483:
	v_and_b32_e32 v0, 0xffff, v1
	s_delay_alu instid0(VALU_DEP_1) | instskip(SKIP_1) | instid1(VALU_DEP_2)
	v_and_b32_e32 v3, 3, v0
	v_bfe_u32 v8, v0, 2, 5
	v_clz_i32_u32_e32 v6, v3
	s_delay_alu instid0(VALU_DEP_2) | instskip(NEXT) | instid1(VALU_DEP_2)
	v_cmp_eq_u32_e32 vcc_lo, 0, v8
	v_min_u32_e32 v6, 32, v6
	s_delay_alu instid0(VALU_DEP_1) | instskip(NEXT) | instid1(VALU_DEP_1)
	v_subrev_nc_u32_e32 v7, 29, v6
	v_dual_lshlrev_b32 v0, v7, v0 :: v_dual_sub_nc_u32 v6, 30, v6
	s_delay_alu instid0(VALU_DEP_1) | instskip(NEXT) | instid1(VALU_DEP_1)
	v_dual_lshlrev_b32 v1, 24, v1 :: v_dual_bitop2_b32 v0, 3, v0 bitop3:0x40
	v_dual_cndmask_b32 v6, v8, v6, vcc_lo :: v_dual_cndmask_b32 v0, v3, v0, vcc_lo
	s_delay_alu instid0(VALU_DEP_2) | instskip(NEXT) | instid1(VALU_DEP_2)
	v_and_b32_e32 v1, 0x80000000, v1
	v_lshl_add_u32 v3, v6, 23, 0x37800000
	s_delay_alu instid0(VALU_DEP_3) | instskip(NEXT) | instid1(VALU_DEP_1)
	v_lshlrev_b32_e32 v0, 21, v0
	v_or3_b32 v0, v1, v3, v0
.LBB134_2484:
	s_or_b32 exec_lo, exec_lo, s18
	s_mov_b32 s7, 0
	s_branch .LBB134_2503
.LBB134_2485:
	s_and_b32 vcc_lo, exec_lo, s6
	s_cbranch_vccnz .LBB134_2533
.LBB134_2486:
	s_and_not1_b32 vcc_lo, exec_lo, s7
	s_cbranch_vccnz .LBB134_2488
.LBB134_2487:
	global_load_u8 v0, v[4:5], off
	v_mov_b32_e32 v1, 0
	s_mov_b32 s18, -1
	s_wait_loadcnt 0x0
	v_cmp_ne_u16_e32 vcc_lo, 0, v0
	v_cndmask_b32_e64 v0, 0, 1.0, vcc_lo
.LBB134_2488:
	s_mov_b32 s0, 0
.LBB134_2489:
	s_delay_alu instid0(SALU_CYCLE_1)
	s_and_b32 vcc_lo, exec_lo, s0
	s_cbranch_vccz .LBB134_2564
; %bb.2490:
	s_and_b32 s0, 0xffff, s14
	s_delay_alu instid0(SALU_CYCLE_1)
	s_cmp_lt_i32 s0, 5
	s_cbranch_scc1 .LBB134_2495
; %bb.2491:
	s_cmp_lt_i32 s0, 8
	s_cbranch_scc1 .LBB134_2497
; %bb.2492:
	;; [unrolled: 3-line block ×3, first 2 shown]
	s_cmp_gt_i32 s0, 9
	s_cbranch_scc0 .LBB134_2516
; %bb.2494:
	global_load_b128 v[6:9], v[4:5], off
	s_mov_b32 s6, 0
	s_wait_loadcnt 0x0
	v_cvt_f32_f64_e32 v0, v[6:7]
	v_cvt_f32_f64_e32 v1, v[8:9]
	s_branch .LBB134_2517
.LBB134_2495:
	s_mov_b32 s6, -1
                                        ; implicit-def: $vgpr1
	s_branch .LBB134_2542
.LBB134_2496:
	s_mov_b32 s7, -1
                                        ; implicit-def: $vgpr0
	s_branch .LBB134_2509
.LBB134_2497:
	s_mov_b32 s6, -1
                                        ; implicit-def: $vgpr1
	s_branch .LBB134_2523
.LBB134_2498:
	s_or_saveexec_b32 s20, s20
	v_mov_b32_e32 v0, 0x7f800001
	s_xor_b32 exec_lo, exec_lo, s20
	s_cbranch_execz .LBB134_2469
.LBB134_2499:
	v_cmp_ne_u16_e32 vcc_lo, 0, v1
	v_mov_b32_e32 v0, 0
	s_and_not1_b32 s18, s18, exec_lo
	s_and_b32 s21, vcc_lo, exec_lo
	s_delay_alu instid0(SALU_CYCLE_1)
	s_or_b32 s18, s18, s21
	s_or_b32 exec_lo, exec_lo, s20
	s_and_saveexec_b32 s20, s18
	s_cbranch_execnz .LBB134_2470
	s_branch .LBB134_2471
.LBB134_2500:
	s_mov_b32 s7, -1
                                        ; implicit-def: $vgpr0
	s_branch .LBB134_2506
.LBB134_2501:
	s_mov_b32 s6, -1
                                        ; implicit-def: $vgpr1
	s_branch .LBB134_2520
.LBB134_2502:
	s_mov_b32 s7, -1
                                        ; implicit-def: $vgpr0
.LBB134_2503:
	s_delay_alu instid0(SALU_CYCLE_1)
	s_and_b32 vcc_lo, exec_lo, s7
	s_cbranch_vccz .LBB134_2505
; %bb.2504:
	global_load_u8 v0, v[4:5], off
	s_wait_loadcnt 0x0
	v_lshlrev_b32_e32 v0, 24, v0
	s_delay_alu instid0(VALU_DEP_1) | instskip(NEXT) | instid1(VALU_DEP_1)
	v_and_b32_e32 v1, 0x7f000000, v0
	v_clz_i32_u32_e32 v3, v1
	s_wait_xcnt 0x1
	v_add_nc_u32_e32 v7, 0x1000000, v1
	v_cmp_ne_u32_e32 vcc_lo, 0, v1
	s_delay_alu instid0(VALU_DEP_3) | instskip(NEXT) | instid1(VALU_DEP_1)
	v_min_u32_e32 v3, 32, v3
	v_sub_nc_u32_e64 v3, v3, 4 clamp
	s_delay_alu instid0(VALU_DEP_1) | instskip(NEXT) | instid1(VALU_DEP_1)
	v_dual_lshlrev_b32 v6, v3, v1 :: v_dual_lshlrev_b32 v3, 23, v3
	v_lshrrev_b32_e32 v6, 4, v6
	s_delay_alu instid0(VALU_DEP_1) | instskip(SKIP_1) | instid1(VALU_DEP_2)
	v_sub_nc_u32_e32 v3, v6, v3
	v_ashrrev_i32_e32 v6, 8, v7
	v_add_nc_u32_e32 v3, 0x3c000000, v3
	s_delay_alu instid0(VALU_DEP_1) | instskip(NEXT) | instid1(VALU_DEP_1)
	v_and_or_b32 v3, 0x7f800000, v6, v3
	v_cndmask_b32_e32 v1, 0, v3, vcc_lo
	s_delay_alu instid0(VALU_DEP_1)
	v_and_or_b32 v0, 0x80000000, v0, v1
.LBB134_2505:
	s_mov_b32 s7, 0
.LBB134_2506:
	s_delay_alu instid0(SALU_CYCLE_1)
	s_and_not1_b32 vcc_lo, exec_lo, s7
	s_cbranch_vccnz .LBB134_2508
; %bb.2507:
	global_load_u8 v0, v[4:5], off
	s_wait_loadcnt 0x0
	v_lshlrev_b32_e32 v1, 25, v0
	v_lshlrev_b16 v0, 8, v0
	s_wait_xcnt 0x1
	s_delay_alu instid0(VALU_DEP_1) | instskip(SKIP_1) | instid1(VALU_DEP_2)
	v_and_or_b32 v6, 0x7f00, v0, 0.5
	v_bfe_i32 v0, v0, 0, 16
	v_dual_add_f32 v6, -0.5, v6 :: v_dual_lshrrev_b32 v3, 4, v1
	v_cmp_gt_u32_e32 vcc_lo, 0x8000000, v1
	s_delay_alu instid0(VALU_DEP_2) | instskip(NEXT) | instid1(VALU_DEP_1)
	v_or_b32_e32 v3, 0x70000000, v3
	v_mul_f32_e32 v3, 0x7800000, v3
	s_delay_alu instid0(VALU_DEP_1) | instskip(NEXT) | instid1(VALU_DEP_1)
	v_cndmask_b32_e32 v1, v3, v6, vcc_lo
	v_and_or_b32 v0, 0x80000000, v0, v1
.LBB134_2508:
	s_mov_b32 s7, 0
	s_mov_b32 s18, -1
.LBB134_2509:
	s_and_not1_b32 vcc_lo, exec_lo, s7
	s_mov_b32 s7, 0
	s_cbranch_vccnz .LBB134_2532
; %bb.2510:
	s_cmp_gt_i32 s0, 14
	s_cbranch_scc0 .LBB134_2513
; %bb.2511:
	s_cmp_eq_u32 s0, 15
	s_cbranch_scc0 .LBB134_2528
; %bb.2512:
	global_load_u16 v0, v[4:5], off
	s_mov_b32 s6, 0
	s_mov_b32 s18, -1
	s_wait_loadcnt 0x0
	v_lshlrev_b32_e32 v0, 16, v0
	s_branch .LBB134_2530
.LBB134_2513:
	s_mov_b32 s7, -1
	s_branch .LBB134_2529
.LBB134_2514:
	s_or_saveexec_b32 s18, s18
	v_mov_b32_e32 v0, 0x7f800001
	s_xor_b32 exec_lo, exec_lo, s18
	s_cbranch_execz .LBB134_2482
.LBB134_2515:
	v_cmp_ne_u16_e32 vcc_lo, 0, v1
	v_mov_b32_e32 v0, 0
	s_and_not1_b32 s7, s7, exec_lo
	s_and_b32 s20, vcc_lo, exec_lo
	s_delay_alu instid0(SALU_CYCLE_1)
	s_or_b32 s7, s7, s20
	s_or_b32 exec_lo, exec_lo, s18
	s_and_saveexec_b32 s18, s7
	s_cbranch_execnz .LBB134_2483
	s_branch .LBB134_2484
.LBB134_2516:
	s_mov_b32 s6, -1
                                        ; implicit-def: $vgpr1
.LBB134_2517:
	s_delay_alu instid0(SALU_CYCLE_1)
	s_and_not1_b32 vcc_lo, exec_lo, s6
	s_cbranch_vccnz .LBB134_2519
; %bb.2518:
	global_load_b64 v[0:1], v[4:5], off
.LBB134_2519:
	s_mov_b32 s6, 0
.LBB134_2520:
	s_delay_alu instid0(SALU_CYCLE_1)
	s_and_not1_b32 vcc_lo, exec_lo, s6
	s_cbranch_vccnz .LBB134_2522
; %bb.2521:
	s_wait_loadcnt 0x0
	global_load_b32 v0, v[4:5], off
	s_wait_loadcnt 0x0
	v_lshrrev_b32_e32 v1, 16, v0
	v_cvt_f32_f16_e32 v0, v0
	s_delay_alu instid0(VALU_DEP_2)
	v_cvt_f32_f16_e32 v1, v1
.LBB134_2522:
	s_mov_b32 s6, 0
.LBB134_2523:
	s_delay_alu instid0(SALU_CYCLE_1)
	s_and_not1_b32 vcc_lo, exec_lo, s6
	s_cbranch_vccnz .LBB134_2541
; %bb.2524:
	s_cmp_lt_i32 s0, 6
	s_cbranch_scc1 .LBB134_2527
; %bb.2525:
	s_cmp_gt_i32 s0, 6
	s_cbranch_scc0 .LBB134_2534
; %bb.2526:
	s_wait_loadcnt 0x0
	global_load_b64 v[0:1], v[4:5], off
	s_mov_b32 s6, 0
	s_wait_loadcnt 0x0
	v_cvt_f32_f64_e32 v0, v[0:1]
	s_branch .LBB134_2535
.LBB134_2527:
	s_mov_b32 s6, -1
                                        ; implicit-def: $vgpr0
	s_branch .LBB134_2538
.LBB134_2528:
	s_mov_b32 s6, -1
.LBB134_2529:
                                        ; implicit-def: $vgpr0
.LBB134_2530:
	s_and_b32 vcc_lo, exec_lo, s7
	s_mov_b32 s7, 0
	s_cbranch_vccz .LBB134_2532
; %bb.2531:
	s_cmp_lg_u32 s0, 11
	s_mov_b32 s7, -1
	s_cselect_b32 s6, -1, 0
.LBB134_2532:
	v_mov_b32_e32 v1, 0
	s_and_b32 vcc_lo, exec_lo, s6
	s_cbranch_vccz .LBB134_2486
.LBB134_2533:
	s_or_b32 s13, s13, exec_lo
	s_trap 2
	s_cbranch_execz .LBB134_2487
	s_branch .LBB134_2488
.LBB134_2534:
	s_mov_b32 s6, -1
                                        ; implicit-def: $vgpr0
.LBB134_2535:
	s_delay_alu instid0(SALU_CYCLE_1)
	s_and_not1_b32 vcc_lo, exec_lo, s6
	s_cbranch_vccnz .LBB134_2537
; %bb.2536:
	s_wait_loadcnt 0x0
	global_load_b32 v0, v[4:5], off
.LBB134_2537:
	s_mov_b32 s6, 0
.LBB134_2538:
	s_delay_alu instid0(SALU_CYCLE_1)
	s_and_not1_b32 vcc_lo, exec_lo, s6
	s_cbranch_vccnz .LBB134_2540
; %bb.2539:
	s_wait_loadcnt 0x0
	global_load_u16 v0, v[4:5], off
	s_wait_loadcnt 0x0
	v_cvt_f32_f16_e32 v0, v0
.LBB134_2540:
	s_wait_loadcnt 0x0
	v_mov_b32_e32 v1, 0
.LBB134_2541:
	s_mov_b32 s6, 0
.LBB134_2542:
	s_delay_alu instid0(SALU_CYCLE_1)
	s_and_not1_b32 vcc_lo, exec_lo, s6
	s_cbranch_vccnz .LBB134_2563
; %bb.2543:
	s_cmp_lt_i32 s0, 2
	s_cbranch_scc1 .LBB134_2547
; %bb.2544:
	s_cmp_lt_i32 s0, 3
	s_cbranch_scc1 .LBB134_2548
; %bb.2545:
	s_cmp_gt_i32 s0, 3
	s_cbranch_scc0 .LBB134_2549
; %bb.2546:
	s_wait_loadcnt 0x0
	global_load_b64 v[0:1], v[4:5], off
	s_mov_b32 s6, 0
	s_wait_loadcnt 0x0
	v_xor_b32_e32 v3, v0, v1
	s_wait_xcnt 0x1
	v_cls_i32_e32 v6, v1
	s_delay_alu instid0(VALU_DEP_2) | instskip(NEXT) | instid1(VALU_DEP_1)
	v_ashrrev_i32_e32 v3, 31, v3
	v_add_nc_u32_e32 v3, 32, v3
	s_delay_alu instid0(VALU_DEP_1) | instskip(NEXT) | instid1(VALU_DEP_1)
	v_add_min_u32_e64 v3, v6, -1, v3
	v_lshlrev_b64_e32 v[0:1], v3, v[0:1]
	s_delay_alu instid0(VALU_DEP_1) | instskip(NEXT) | instid1(VALU_DEP_1)
	v_min_u32_e32 v0, 1, v0
	v_dual_sub_nc_u32 v1, 32, v3 :: v_dual_bitop2_b32 v0, v1, v0 bitop3:0x54
	s_delay_alu instid0(VALU_DEP_1) | instskip(NEXT) | instid1(VALU_DEP_1)
	v_cvt_f32_i32_e32 v0, v0
	v_ldexp_f32 v0, v0, v1
	s_branch .LBB134_2550
.LBB134_2547:
	s_mov_b32 s6, -1
                                        ; implicit-def: $vgpr0
	s_branch .LBB134_2556
.LBB134_2548:
	s_mov_b32 s6, -1
                                        ; implicit-def: $vgpr0
	s_branch .LBB134_2553
.LBB134_2549:
	s_mov_b32 s6, -1
                                        ; implicit-def: $vgpr0
.LBB134_2550:
	s_delay_alu instid0(SALU_CYCLE_1)
	s_and_not1_b32 vcc_lo, exec_lo, s6
	s_cbranch_vccnz .LBB134_2552
; %bb.2551:
	s_wait_loadcnt 0x0
	global_load_b32 v0, v[4:5], off
	s_wait_loadcnt 0x0
	v_cvt_f32_i32_e32 v0, v0
.LBB134_2552:
	s_mov_b32 s6, 0
.LBB134_2553:
	s_delay_alu instid0(SALU_CYCLE_1)
	s_and_not1_b32 vcc_lo, exec_lo, s6
	s_cbranch_vccnz .LBB134_2555
; %bb.2554:
	s_wait_loadcnt 0x0
	global_load_i16 v0, v[4:5], off
	s_wait_loadcnt 0x0
	v_cvt_f32_i32_e32 v0, v0
.LBB134_2555:
	s_mov_b32 s6, 0
.LBB134_2556:
	s_delay_alu instid0(SALU_CYCLE_1)
	s_and_not1_b32 vcc_lo, exec_lo, s6
	s_cbranch_vccnz .LBB134_2562
; %bb.2557:
	s_cmp_gt_i32 s0, 0
	s_mov_b32 s0, 0
	s_cbranch_scc0 .LBB134_2559
; %bb.2558:
	s_wait_loadcnt 0x0
	global_load_i8 v0, v[4:5], off
	s_wait_loadcnt 0x0
	v_cvt_f32_i32_e32 v0, v0
	s_branch .LBB134_2560
.LBB134_2559:
	s_mov_b32 s0, -1
                                        ; implicit-def: $vgpr0
.LBB134_2560:
	s_delay_alu instid0(SALU_CYCLE_1)
	s_and_not1_b32 vcc_lo, exec_lo, s0
	s_cbranch_vccnz .LBB134_2562
; %bb.2561:
	s_wait_loadcnt 0x0
	global_load_u8 v0, v[4:5], off
	s_wait_loadcnt 0x0
	v_cvt_f32_ubyte0_e32 v0, v0
.LBB134_2562:
	s_wait_loadcnt 0x0
	v_mov_b32_e32 v1, 0
.LBB134_2563:
	s_mov_b32 s18, -1
.LBB134_2564:
	s_delay_alu instid0(SALU_CYCLE_1)
	s_and_not1_b32 vcc_lo, exec_lo, s18
	s_cbranch_vccnz .LBB134_2703
; %bb.2565:
	v_add_nc_u32_e32 v2, s19, v2
	s_cmp_lt_i32 s17, 11
	s_delay_alu instid0(VALU_DEP_1) | instskip(NEXT) | instid1(VALU_DEP_1)
	v_ashrrev_i32_e32 v3, 31, v2
	v_add_nc_u64_e32 v[2:3], s[2:3], v[2:3]
	s_cbranch_scc1 .LBB134_2572
; %bb.2566:
	s_and_b32 s0, 0xffff, s17
	s_mov_b32 s3, 0
	s_cmp_gt_i32 s0, 25
	s_cbranch_scc0 .LBB134_2573
; %bb.2567:
	s_cmp_gt_i32 s0, 28
	s_cbranch_scc0 .LBB134_2574
; %bb.2568:
	;; [unrolled: 3-line block ×4, first 2 shown]
	s_cmp_eq_u32 s0, 46
	s_mov_b32 s7, 0
	s_cbranch_scc0 .LBB134_2577
; %bb.2571:
	global_load_b32 v4, v[2:3], off
	s_mov_b32 s2, 0
	s_mov_b32 s6, -1
	s_wait_loadcnt 0x0
	v_and_b32_e32 v5, 0xffff0000, v4
	v_lshlrev_b32_e32 v4, 16, v4
	s_branch .LBB134_2579
.LBB134_2572:
	s_mov_b32 s0, -1
	s_mov_b32 s6, 0
                                        ; implicit-def: $vgpr5
	s_branch .LBB134_2625
.LBB134_2573:
	s_mov_b32 s7, -1
	s_mov_b32 s6, 0
	s_mov_b32 s2, 0
                                        ; implicit-def: $vgpr5
	s_branch .LBB134_2610
.LBB134_2574:
	s_mov_b32 s7, -1
	s_mov_b32 s6, 0
	s_mov_b32 s2, 0
                                        ; implicit-def: $vgpr5
	s_branch .LBB134_2591
.LBB134_2575:
	s_mov_b32 s7, -1
	s_mov_b32 s6, 0
	s_mov_b32 s2, 0
                                        ; implicit-def: $vgpr5
	s_branch .LBB134_2585
.LBB134_2576:
	s_mov_b32 s7, -1
	s_mov_b32 s6, 0
	s_mov_b32 s2, 0
	s_branch .LBB134_2578
.LBB134_2577:
	s_mov_b32 s2, -1
	s_mov_b32 s6, 0
.LBB134_2578:
                                        ; implicit-def: $vgpr5
.LBB134_2579:
	s_and_b32 vcc_lo, exec_lo, s7
	s_cbranch_vccz .LBB134_2584
; %bb.2580:
	s_cmp_eq_u32 s0, 44
	s_cbranch_scc0 .LBB134_2582
; %bb.2581:
	global_load_u8 v4, v[2:3], off
	s_mov_b32 s2, 0
	s_mov_b32 s6, -1
	s_wait_loadcnt 0x0
	v_lshlrev_b32_e32 v5, 23, v4
	v_cmp_ne_u32_e32 vcc_lo, 0xff, v4
	s_delay_alu instid0(VALU_DEP_2) | instskip(SKIP_1) | instid1(VALU_DEP_2)
	v_cndmask_b32_e32 v5, 0x7f800001, v5, vcc_lo
	v_cmp_ne_u32_e32 vcc_lo, 0, v4
	v_cndmask_b32_e32 v4, 0x400000, v5, vcc_lo
	s_branch .LBB134_2583
.LBB134_2582:
	s_mov_b32 s2, -1
                                        ; implicit-def: $vgpr4
.LBB134_2583:
	s_wait_xcnt 0x0
	v_mov_b32_e32 v5, 0
.LBB134_2584:
	s_mov_b32 s7, 0
.LBB134_2585:
	s_delay_alu instid0(SALU_CYCLE_1)
	s_and_b32 vcc_lo, exec_lo, s7
	s_cbranch_vccz .LBB134_2590
; %bb.2586:
	s_cmp_eq_u32 s0, 29
	s_cbranch_scc0 .LBB134_2588
; %bb.2587:
	global_load_b64 v[4:5], v[2:3], off
	s_mov_b32 s2, 0
	s_mov_b32 s6, -1
	s_wait_loadcnt 0x0
	v_clz_i32_u32_e32 v6, v5
	s_delay_alu instid0(VALU_DEP_1) | instskip(NEXT) | instid1(VALU_DEP_1)
	v_min_u32_e32 v6, 32, v6
	v_lshlrev_b64_e32 v[4:5], v6, v[4:5]
	s_delay_alu instid0(VALU_DEP_1) | instskip(NEXT) | instid1(VALU_DEP_1)
	v_min_u32_e32 v4, 1, v4
	v_dual_sub_nc_u32 v5, 32, v6 :: v_dual_bitop2_b32 v4, v5, v4 bitop3:0x54
	s_delay_alu instid0(VALU_DEP_1) | instskip(NEXT) | instid1(VALU_DEP_1)
	v_cvt_f32_u32_e32 v4, v4
	v_ldexp_f32 v4, v4, v5
	s_branch .LBB134_2589
.LBB134_2588:
	s_mov_b32 s2, -1
                                        ; implicit-def: $vgpr4
.LBB134_2589:
	s_wait_xcnt 0x0
	v_mov_b32_e32 v5, 0
.LBB134_2590:
	s_mov_b32 s7, 0
.LBB134_2591:
	s_delay_alu instid0(SALU_CYCLE_1)
	s_and_b32 vcc_lo, exec_lo, s7
	s_cbranch_vccz .LBB134_2609
; %bb.2592:
	s_cmp_lt_i32 s0, 27
	s_cbranch_scc1 .LBB134_2595
; %bb.2593:
	s_cmp_gt_i32 s0, 27
	s_cbranch_scc0 .LBB134_2596
; %bb.2594:
	global_load_b32 v4, v[2:3], off
	s_mov_b32 s6, 0
	s_wait_loadcnt 0x0
	v_cvt_f32_u32_e32 v4, v4
	s_branch .LBB134_2597
.LBB134_2595:
	s_mov_b32 s6, -1
                                        ; implicit-def: $vgpr4
	s_branch .LBB134_2600
.LBB134_2596:
	s_mov_b32 s6, -1
                                        ; implicit-def: $vgpr4
.LBB134_2597:
	s_delay_alu instid0(SALU_CYCLE_1)
	s_and_not1_b32 vcc_lo, exec_lo, s6
	s_cbranch_vccnz .LBB134_2599
; %bb.2598:
	global_load_u16 v4, v[2:3], off
	s_wait_loadcnt 0x0
	v_cvt_f32_u32_e32 v4, v4
.LBB134_2599:
	s_mov_b32 s6, 0
.LBB134_2600:
	s_delay_alu instid0(SALU_CYCLE_1)
	s_and_not1_b32 vcc_lo, exec_lo, s6
	s_cbranch_vccnz .LBB134_2608
; %bb.2601:
	global_load_u8 v5, v[2:3], off
	s_mov_b32 s6, 0
	s_mov_b32 s7, exec_lo
	s_wait_loadcnt 0x0
	v_cmpx_lt_i16_e32 0x7f, v5
	s_xor_b32 s7, exec_lo, s7
	s_cbranch_execz .LBB134_2634
; %bb.2602:
	s_mov_b32 s6, -1
	s_mov_b32 s14, exec_lo
	v_cmpx_eq_u16_e32 0x80, v5
; %bb.2603:
	s_xor_b32 s6, exec_lo, -1
; %bb.2604:
	s_or_b32 exec_lo, exec_lo, s14
	s_delay_alu instid0(SALU_CYCLE_1)
	s_and_b32 s6, s6, exec_lo
	s_or_saveexec_b32 s7, s7
	v_mov_b32_e32 v4, 0x7f800001
	s_xor_b32 exec_lo, exec_lo, s7
	s_cbranch_execnz .LBB134_2635
.LBB134_2605:
	s_or_b32 exec_lo, exec_lo, s7
	s_and_saveexec_b32 s7, s6
	s_cbranch_execz .LBB134_2607
.LBB134_2606:
	v_and_b32_e32 v4, 0xffff, v5
	s_delay_alu instid0(VALU_DEP_1) | instskip(SKIP_1) | instid1(VALU_DEP_2)
	v_and_b32_e32 v6, 7, v4
	v_bfe_u32 v9, v4, 3, 4
	v_clz_i32_u32_e32 v7, v6
	s_delay_alu instid0(VALU_DEP_2) | instskip(NEXT) | instid1(VALU_DEP_2)
	v_cmp_eq_u32_e32 vcc_lo, 0, v9
	v_min_u32_e32 v7, 32, v7
	s_delay_alu instid0(VALU_DEP_1) | instskip(NEXT) | instid1(VALU_DEP_1)
	v_subrev_nc_u32_e32 v8, 28, v7
	v_dual_lshlrev_b32 v4, v8, v4 :: v_dual_sub_nc_u32 v7, 29, v7
	s_delay_alu instid0(VALU_DEP_1) | instskip(NEXT) | instid1(VALU_DEP_1)
	v_dual_lshlrev_b32 v5, 24, v5 :: v_dual_bitop2_b32 v4, 7, v4 bitop3:0x40
	v_dual_cndmask_b32 v7, v9, v7 :: v_dual_cndmask_b32 v4, v6, v4
	s_delay_alu instid0(VALU_DEP_2) | instskip(NEXT) | instid1(VALU_DEP_2)
	v_and_b32_e32 v5, 0x80000000, v5
	v_lshl_add_u32 v6, v7, 23, 0x3b800000
	s_delay_alu instid0(VALU_DEP_3) | instskip(NEXT) | instid1(VALU_DEP_1)
	v_lshlrev_b32_e32 v4, 20, v4
	v_or3_b32 v4, v5, v6, v4
.LBB134_2607:
	s_or_b32 exec_lo, exec_lo, s7
.LBB134_2608:
	s_wait_xcnt 0x0
	v_mov_b32_e32 v5, 0
	s_mov_b32 s6, -1
.LBB134_2609:
	s_mov_b32 s7, 0
.LBB134_2610:
	s_delay_alu instid0(SALU_CYCLE_1)
	s_and_b32 vcc_lo, exec_lo, s7
	s_cbranch_vccz .LBB134_2621
; %bb.2611:
	s_cmp_gt_i32 s0, 22
	s_cbranch_scc0 .LBB134_2632
; %bb.2612:
	s_cmp_lt_i32 s0, 24
	s_cbranch_scc1 .LBB134_2636
; %bb.2613:
	s_cmp_gt_i32 s0, 24
	s_cbranch_scc0 .LBB134_2638
; %bb.2614:
	global_load_u8 v5, v[2:3], off
	s_mov_b32 s6, exec_lo
	s_wait_loadcnt 0x0
	v_cmpx_lt_i16_e32 0x7f, v5
	s_xor_b32 s6, exec_lo, s6
	s_cbranch_execz .LBB134_2650
; %bb.2615:
	s_mov_b32 s3, -1
	s_mov_b32 s7, exec_lo
	v_cmpx_eq_u16_e32 0x80, v5
; %bb.2616:
	s_xor_b32 s3, exec_lo, -1
; %bb.2617:
	s_or_b32 exec_lo, exec_lo, s7
	s_delay_alu instid0(SALU_CYCLE_1)
	s_and_b32 s3, s3, exec_lo
	s_or_saveexec_b32 s6, s6
	v_mov_b32_e32 v4, 0x7f800001
	s_xor_b32 exec_lo, exec_lo, s6
	s_cbranch_execnz .LBB134_2651
.LBB134_2618:
	s_or_b32 exec_lo, exec_lo, s6
	s_and_saveexec_b32 s6, s3
	s_cbranch_execz .LBB134_2620
.LBB134_2619:
	v_and_b32_e32 v4, 0xffff, v5
	s_delay_alu instid0(VALU_DEP_1) | instskip(SKIP_1) | instid1(VALU_DEP_2)
	v_and_b32_e32 v6, 3, v4
	v_bfe_u32 v9, v4, 2, 5
	v_clz_i32_u32_e32 v7, v6
	s_delay_alu instid0(VALU_DEP_2) | instskip(NEXT) | instid1(VALU_DEP_2)
	v_cmp_eq_u32_e32 vcc_lo, 0, v9
	v_min_u32_e32 v7, 32, v7
	s_delay_alu instid0(VALU_DEP_1) | instskip(NEXT) | instid1(VALU_DEP_1)
	v_subrev_nc_u32_e32 v8, 29, v7
	v_dual_lshlrev_b32 v4, v8, v4 :: v_dual_sub_nc_u32 v7, 30, v7
	s_delay_alu instid0(VALU_DEP_1) | instskip(NEXT) | instid1(VALU_DEP_1)
	v_dual_lshlrev_b32 v5, 24, v5 :: v_dual_bitop2_b32 v4, 3, v4 bitop3:0x40
	v_dual_cndmask_b32 v7, v9, v7 :: v_dual_cndmask_b32 v4, v6, v4
	s_delay_alu instid0(VALU_DEP_2) | instskip(NEXT) | instid1(VALU_DEP_2)
	v_and_b32_e32 v5, 0x80000000, v5
	v_lshl_add_u32 v6, v7, 23, 0x37800000
	s_delay_alu instid0(VALU_DEP_3) | instskip(NEXT) | instid1(VALU_DEP_1)
	v_lshlrev_b32_e32 v4, 21, v4
	v_or3_b32 v4, v5, v6, v4
.LBB134_2620:
	s_or_b32 exec_lo, exec_lo, s6
	s_mov_b32 s3, 0
	s_branch .LBB134_2639
.LBB134_2621:
	s_and_b32 vcc_lo, exec_lo, s2
	s_cbranch_vccnz .LBB134_2669
.LBB134_2622:
	s_and_not1_b32 vcc_lo, exec_lo, s3
	s_cbranch_vccnz .LBB134_2624
.LBB134_2623:
	global_load_u8 v4, v[2:3], off
	v_mov_b32_e32 v5, 0
	s_mov_b32 s6, -1
	s_wait_loadcnt 0x0
	v_cmp_ne_u16_e32 vcc_lo, 0, v4
	v_cndmask_b32_e64 v4, 0, 1.0, vcc_lo
.LBB134_2624:
	s_mov_b32 s0, 0
.LBB134_2625:
	s_delay_alu instid0(SALU_CYCLE_1)
	s_and_b32 vcc_lo, exec_lo, s0
	s_cbranch_vccz .LBB134_2700
; %bb.2626:
	s_and_b32 s0, 0xffff, s17
	s_delay_alu instid0(SALU_CYCLE_1)
	s_cmp_lt_i32 s0, 5
	s_cbranch_scc1 .LBB134_2631
; %bb.2627:
	s_cmp_lt_i32 s0, 8
	s_cbranch_scc1 .LBB134_2633
; %bb.2628:
	;; [unrolled: 3-line block ×3, first 2 shown]
	s_cmp_gt_i32 s0, 9
	s_cbranch_scc0 .LBB134_2652
; %bb.2630:
	global_load_b128 v[4:7], v[2:3], off
	s_mov_b32 s2, 0
	s_wait_loadcnt 0x0
	v_cvt_f32_f64_e32 v4, v[4:5]
	v_cvt_f32_f64_e32 v5, v[6:7]
	s_branch .LBB134_2653
.LBB134_2631:
	s_mov_b32 s2, -1
                                        ; implicit-def: $vgpr5
	s_branch .LBB134_2678
.LBB134_2632:
	s_mov_b32 s3, -1
                                        ; implicit-def: $vgpr4
	s_branch .LBB134_2645
.LBB134_2633:
	s_mov_b32 s2, -1
                                        ; implicit-def: $vgpr5
	s_branch .LBB134_2659
.LBB134_2634:
	s_or_saveexec_b32 s7, s7
	v_mov_b32_e32 v4, 0x7f800001
	s_xor_b32 exec_lo, exec_lo, s7
	s_cbranch_execz .LBB134_2605
.LBB134_2635:
	v_cmp_ne_u16_e32 vcc_lo, 0, v5
	v_mov_b32_e32 v4, 0
	s_and_not1_b32 s6, s6, exec_lo
	s_and_b32 s14, vcc_lo, exec_lo
	s_delay_alu instid0(SALU_CYCLE_1)
	s_or_b32 s6, s6, s14
	s_or_b32 exec_lo, exec_lo, s7
	s_and_saveexec_b32 s7, s6
	s_cbranch_execnz .LBB134_2606
	s_branch .LBB134_2607
.LBB134_2636:
	s_mov_b32 s3, -1
                                        ; implicit-def: $vgpr4
	s_branch .LBB134_2642
.LBB134_2637:
	s_mov_b32 s2, -1
                                        ; implicit-def: $vgpr5
	s_branch .LBB134_2656
.LBB134_2638:
	s_mov_b32 s3, -1
                                        ; implicit-def: $vgpr4
.LBB134_2639:
	s_delay_alu instid0(SALU_CYCLE_1)
	s_and_b32 vcc_lo, exec_lo, s3
	s_cbranch_vccz .LBB134_2641
; %bb.2640:
	global_load_u8 v4, v[2:3], off
	s_wait_loadcnt 0x0
	v_lshlrev_b32_e32 v4, 24, v4
	s_delay_alu instid0(VALU_DEP_1) | instskip(NEXT) | instid1(VALU_DEP_1)
	v_and_b32_e32 v5, 0x7f000000, v4
	v_clz_i32_u32_e32 v6, v5
	v_cmp_ne_u32_e32 vcc_lo, 0, v5
	v_add_nc_u32_e32 v8, 0x1000000, v5
	s_delay_alu instid0(VALU_DEP_3) | instskip(NEXT) | instid1(VALU_DEP_1)
	v_min_u32_e32 v6, 32, v6
	v_sub_nc_u32_e64 v6, v6, 4 clamp
	s_delay_alu instid0(VALU_DEP_1) | instskip(NEXT) | instid1(VALU_DEP_1)
	v_dual_lshlrev_b32 v7, v6, v5 :: v_dual_lshlrev_b32 v6, 23, v6
	v_lshrrev_b32_e32 v7, 4, v7
	s_delay_alu instid0(VALU_DEP_1) | instskip(NEXT) | instid1(VALU_DEP_1)
	v_dual_sub_nc_u32 v6, v7, v6 :: v_dual_ashrrev_i32 v7, 8, v8
	v_add_nc_u32_e32 v6, 0x3c000000, v6
	s_delay_alu instid0(VALU_DEP_1) | instskip(NEXT) | instid1(VALU_DEP_1)
	v_and_or_b32 v6, 0x7f800000, v7, v6
	v_cndmask_b32_e32 v5, 0, v6, vcc_lo
	s_delay_alu instid0(VALU_DEP_1)
	v_and_or_b32 v4, 0x80000000, v4, v5
.LBB134_2641:
	s_mov_b32 s3, 0
.LBB134_2642:
	s_delay_alu instid0(SALU_CYCLE_1)
	s_and_not1_b32 vcc_lo, exec_lo, s3
	s_cbranch_vccnz .LBB134_2644
; %bb.2643:
	global_load_u8 v4, v[2:3], off
	s_wait_loadcnt 0x0
	v_lshlrev_b32_e32 v5, 25, v4
	v_lshlrev_b16 v4, 8, v4
	s_delay_alu instid0(VALU_DEP_1) | instskip(SKIP_1) | instid1(VALU_DEP_2)
	v_and_or_b32 v7, 0x7f00, v4, 0.5
	v_bfe_i32 v4, v4, 0, 16
	v_dual_add_f32 v7, -0.5, v7 :: v_dual_lshrrev_b32 v6, 4, v5
	v_cmp_gt_u32_e32 vcc_lo, 0x8000000, v5
	s_delay_alu instid0(VALU_DEP_2) | instskip(NEXT) | instid1(VALU_DEP_1)
	v_or_b32_e32 v6, 0x70000000, v6
	v_mul_f32_e32 v6, 0x7800000, v6
	s_delay_alu instid0(VALU_DEP_1) | instskip(NEXT) | instid1(VALU_DEP_1)
	v_cndmask_b32_e32 v5, v6, v7, vcc_lo
	v_and_or_b32 v4, 0x80000000, v4, v5
.LBB134_2644:
	s_mov_b32 s3, 0
	s_mov_b32 s6, -1
.LBB134_2645:
	s_and_not1_b32 vcc_lo, exec_lo, s3
	s_mov_b32 s3, 0
	s_cbranch_vccnz .LBB134_2668
; %bb.2646:
	s_cmp_gt_i32 s0, 14
	s_cbranch_scc0 .LBB134_2649
; %bb.2647:
	s_cmp_eq_u32 s0, 15
	s_cbranch_scc0 .LBB134_2664
; %bb.2648:
	global_load_u16 v4, v[2:3], off
	s_mov_b32 s2, 0
	s_mov_b32 s6, -1
	s_wait_loadcnt 0x0
	v_lshlrev_b32_e32 v4, 16, v4
	s_branch .LBB134_2666
.LBB134_2649:
	s_mov_b32 s3, -1
	s_branch .LBB134_2665
.LBB134_2650:
	s_or_saveexec_b32 s6, s6
	v_mov_b32_e32 v4, 0x7f800001
	s_xor_b32 exec_lo, exec_lo, s6
	s_cbranch_execz .LBB134_2618
.LBB134_2651:
	v_cmp_ne_u16_e32 vcc_lo, 0, v5
	v_mov_b32_e32 v4, 0
	s_and_not1_b32 s3, s3, exec_lo
	s_and_b32 s7, vcc_lo, exec_lo
	s_delay_alu instid0(SALU_CYCLE_1)
	s_or_b32 s3, s3, s7
	s_or_b32 exec_lo, exec_lo, s6
	s_and_saveexec_b32 s6, s3
	s_cbranch_execnz .LBB134_2619
	s_branch .LBB134_2620
.LBB134_2652:
	s_mov_b32 s2, -1
                                        ; implicit-def: $vgpr5
.LBB134_2653:
	s_delay_alu instid0(SALU_CYCLE_1)
	s_and_not1_b32 vcc_lo, exec_lo, s2
	s_cbranch_vccnz .LBB134_2655
; %bb.2654:
	global_load_b64 v[4:5], v[2:3], off
.LBB134_2655:
	s_mov_b32 s2, 0
.LBB134_2656:
	s_delay_alu instid0(SALU_CYCLE_1)
	s_and_not1_b32 vcc_lo, exec_lo, s2
	s_cbranch_vccnz .LBB134_2658
; %bb.2657:
	s_wait_loadcnt 0x0
	global_load_b32 v4, v[2:3], off
	s_wait_loadcnt 0x0
	v_lshrrev_b32_e32 v5, 16, v4
	v_cvt_f32_f16_e32 v4, v4
	s_delay_alu instid0(VALU_DEP_2)
	v_cvt_f32_f16_e32 v5, v5
.LBB134_2658:
	s_mov_b32 s2, 0
.LBB134_2659:
	s_delay_alu instid0(SALU_CYCLE_1)
	s_and_not1_b32 vcc_lo, exec_lo, s2
	s_cbranch_vccnz .LBB134_2677
; %bb.2660:
	s_cmp_lt_i32 s0, 6
	s_cbranch_scc1 .LBB134_2663
; %bb.2661:
	s_cmp_gt_i32 s0, 6
	s_cbranch_scc0 .LBB134_2670
; %bb.2662:
	s_wait_loadcnt 0x0
	global_load_b64 v[4:5], v[2:3], off
	s_mov_b32 s2, 0
	s_wait_loadcnt 0x0
	v_cvt_f32_f64_e32 v4, v[4:5]
	s_branch .LBB134_2671
.LBB134_2663:
	s_mov_b32 s2, -1
                                        ; implicit-def: $vgpr4
	s_branch .LBB134_2674
.LBB134_2664:
	s_mov_b32 s2, -1
.LBB134_2665:
                                        ; implicit-def: $vgpr4
.LBB134_2666:
	s_and_b32 vcc_lo, exec_lo, s3
	s_mov_b32 s3, 0
	s_cbranch_vccz .LBB134_2668
; %bb.2667:
	s_cmp_lg_u32 s0, 11
	s_mov_b32 s3, -1
	s_cselect_b32 s2, -1, 0
.LBB134_2668:
	s_wait_xcnt 0x0
	v_mov_b32_e32 v5, 0
	s_and_b32 vcc_lo, exec_lo, s2
	s_cbranch_vccz .LBB134_2622
.LBB134_2669:
	s_or_b32 s13, s13, exec_lo
	s_trap 2
	s_cbranch_execz .LBB134_2623
	s_branch .LBB134_2624
.LBB134_2670:
	s_mov_b32 s2, -1
                                        ; implicit-def: $vgpr4
.LBB134_2671:
	s_delay_alu instid0(SALU_CYCLE_1)
	s_and_not1_b32 vcc_lo, exec_lo, s2
	s_cbranch_vccnz .LBB134_2673
; %bb.2672:
	s_wait_loadcnt 0x0
	global_load_b32 v4, v[2:3], off
.LBB134_2673:
	s_mov_b32 s2, 0
.LBB134_2674:
	s_delay_alu instid0(SALU_CYCLE_1)
	s_and_not1_b32 vcc_lo, exec_lo, s2
	s_cbranch_vccnz .LBB134_2676
; %bb.2675:
	s_wait_loadcnt 0x0
	global_load_u16 v4, v[2:3], off
	s_wait_loadcnt 0x0
	v_cvt_f32_f16_e32 v4, v4
.LBB134_2676:
	s_wait_loadcnt 0x0
	v_mov_b32_e32 v5, 0
.LBB134_2677:
	s_mov_b32 s2, 0
.LBB134_2678:
	s_delay_alu instid0(SALU_CYCLE_1)
	s_and_not1_b32 vcc_lo, exec_lo, s2
	s_cbranch_vccnz .LBB134_2699
; %bb.2679:
	s_cmp_lt_i32 s0, 2
	s_cbranch_scc1 .LBB134_2683
; %bb.2680:
	s_cmp_lt_i32 s0, 3
	s_cbranch_scc1 .LBB134_2684
; %bb.2681:
	s_cmp_gt_i32 s0, 3
	s_cbranch_scc0 .LBB134_2685
; %bb.2682:
	s_wait_loadcnt 0x0
	global_load_b64 v[4:5], v[2:3], off
	s_mov_b32 s2, 0
	s_wait_loadcnt 0x0
	v_xor_b32_e32 v6, v4, v5
	v_cls_i32_e32 v7, v5
	s_delay_alu instid0(VALU_DEP_2) | instskip(NEXT) | instid1(VALU_DEP_1)
	v_ashrrev_i32_e32 v6, 31, v6
	v_add_nc_u32_e32 v6, 32, v6
	s_delay_alu instid0(VALU_DEP_1) | instskip(NEXT) | instid1(VALU_DEP_1)
	v_add_min_u32_e64 v6, v7, -1, v6
	v_lshlrev_b64_e32 v[4:5], v6, v[4:5]
	s_delay_alu instid0(VALU_DEP_1) | instskip(NEXT) | instid1(VALU_DEP_1)
	v_min_u32_e32 v4, 1, v4
	v_dual_sub_nc_u32 v5, 32, v6 :: v_dual_bitop2_b32 v4, v5, v4 bitop3:0x54
	s_delay_alu instid0(VALU_DEP_1) | instskip(NEXT) | instid1(VALU_DEP_1)
	v_cvt_f32_i32_e32 v4, v4
	v_ldexp_f32 v4, v4, v5
	s_branch .LBB134_2686
.LBB134_2683:
	s_mov_b32 s2, -1
                                        ; implicit-def: $vgpr4
	s_branch .LBB134_2692
.LBB134_2684:
	s_mov_b32 s2, -1
                                        ; implicit-def: $vgpr4
	s_branch .LBB134_2689
.LBB134_2685:
	s_mov_b32 s2, -1
                                        ; implicit-def: $vgpr4
.LBB134_2686:
	s_delay_alu instid0(SALU_CYCLE_1)
	s_and_not1_b32 vcc_lo, exec_lo, s2
	s_cbranch_vccnz .LBB134_2688
; %bb.2687:
	s_wait_loadcnt 0x0
	global_load_b32 v4, v[2:3], off
	s_wait_loadcnt 0x0
	v_cvt_f32_i32_e32 v4, v4
.LBB134_2688:
	s_mov_b32 s2, 0
.LBB134_2689:
	s_delay_alu instid0(SALU_CYCLE_1)
	s_and_not1_b32 vcc_lo, exec_lo, s2
	s_cbranch_vccnz .LBB134_2691
; %bb.2690:
	s_wait_loadcnt 0x0
	global_load_i16 v4, v[2:3], off
	s_wait_loadcnt 0x0
	v_cvt_f32_i32_e32 v4, v4
.LBB134_2691:
	s_mov_b32 s2, 0
.LBB134_2692:
	s_delay_alu instid0(SALU_CYCLE_1)
	s_and_not1_b32 vcc_lo, exec_lo, s2
	s_cbranch_vccnz .LBB134_2698
; %bb.2693:
	s_cmp_gt_i32 s0, 0
	s_mov_b32 s0, 0
	s_cbranch_scc0 .LBB134_2695
; %bb.2694:
	s_wait_loadcnt 0x0
	global_load_i8 v4, v[2:3], off
	s_wait_loadcnt 0x0
	v_cvt_f32_i32_e32 v4, v4
	s_branch .LBB134_2696
.LBB134_2695:
	s_mov_b32 s0, -1
                                        ; implicit-def: $vgpr4
.LBB134_2696:
	s_delay_alu instid0(SALU_CYCLE_1)
	s_and_not1_b32 vcc_lo, exec_lo, s0
	s_cbranch_vccnz .LBB134_2698
; %bb.2697:
	global_load_u8 v2, v[2:3], off
	s_wait_loadcnt 0x0
	v_cvt_f32_ubyte0_e32 v4, v2
.LBB134_2698:
	s_wait_loadcnt 0x0
	v_mov_b32_e32 v5, 0
.LBB134_2699:
	s_mov_b32 s6, -1
.LBB134_2700:
	s_delay_alu instid0(SALU_CYCLE_1)
	s_and_not1_b32 vcc_lo, exec_lo, s6
	s_cbranch_vccnz .LBB134_2703
; %bb.2701:
	s_and_b32 vcc_lo, exec_lo, s11
	s_cbranch_vccz .LBB134_2749
; %bb.2702:
	s_wait_loadcnt 0x0
	s_delay_alu instid0(VALU_DEP_1) | instskip(NEXT) | instid1(VALU_DEP_2)
	v_cmp_neq_f32_e32 vcc_lo, v0, v4
	v_cmp_neq_f32_e64 s0, v1, v5
	s_or_b32 s17, vcc_lo, s0
	s_mov_b32 s0, 0
	s_branch .LBB134_2750
.LBB134_2703:
	s_mov_b32 s0, 0
	s_mov_b32 s2, 0
                                        ; implicit-def: $sgpr17
.LBB134_2704:
                                        ; implicit-def: $sgpr18
                                        ; implicit-def: $vgpr0_vgpr1
.LBB134_2705:
	s_and_not1_b32 s1, s16, exec_lo
	s_and_b32 s3, s13, exec_lo
	s_and_b32 s0, s0, exec_lo
	;; [unrolled: 1-line block ×3, first 2 shown]
	s_or_b32 s16, s1, s3
.LBB134_2706:
	s_wait_xcnt 0x0
	s_or_b32 exec_lo, exec_lo, s15
	s_and_saveexec_b32 s1, s16
	s_cbranch_execz .LBB134_2709
; %bb.2707:
	; divergent unreachable
	s_or_b32 exec_lo, exec_lo, s1
	s_and_saveexec_b32 s1, s13
	s_delay_alu instid0(SALU_CYCLE_1)
	s_xor_b32 s1, exec_lo, s1
	s_cbranch_execnz .LBB134_2710
.LBB134_2708:
	s_or_b32 exec_lo, exec_lo, s1
	s_and_saveexec_b32 s1, s0
	s_cbranch_execnz .LBB134_2711
	s_branch .LBB134_2748
.LBB134_2709:
	s_or_b32 exec_lo, exec_lo, s1
	s_and_saveexec_b32 s1, s13
	s_delay_alu instid0(SALU_CYCLE_1)
	s_xor_b32 s1, exec_lo, s1
	s_cbranch_execz .LBB134_2708
.LBB134_2710:
	v_cndmask_b32_e64 v2, 0, 1, s17
	s_wait_loadcnt 0x0
	global_store_b8 v[0:1], v2, off
	s_wait_xcnt 0x0
	s_or_b32 exec_lo, exec_lo, s1
	s_and_saveexec_b32 s1, s0
	s_cbranch_execz .LBB134_2748
.LBB134_2711:
	s_sext_i32_i16 s1, s18
	s_mov_b32 s0, -1
	s_cmp_lt_i32 s1, 5
	s_cbranch_scc1 .LBB134_2732
; %bb.2712:
	s_cmp_lt_i32 s1, 8
	s_cbranch_scc1 .LBB134_2722
; %bb.2713:
	;; [unrolled: 3-line block ×3, first 2 shown]
	s_cmp_gt_i32 s1, 9
	s_cbranch_scc0 .LBB134_2716
; %bb.2715:
	v_cndmask_b32_e64 v2, 0, 1, s17
	s_wait_loadcnt 0x0
	v_mov_b32_e32 v4, 0
	s_mov_b32 s0, 0
	s_delay_alu instid0(VALU_DEP_2) | instskip(NEXT) | instid1(VALU_DEP_2)
	v_cvt_f64_u32_e32 v[2:3], v2
	v_mov_b32_e32 v5, v4
	global_store_b128 v[0:1], v[2:5], off
.LBB134_2716:
	s_and_not1_b32 vcc_lo, exec_lo, s0
	s_cbranch_vccnz .LBB134_2718
; %bb.2717:
	s_wait_xcnt 0x0
	v_cndmask_b32_e64 v2, 0, 1.0, s17
	v_mov_b32_e32 v3, 0
	s_wait_loadcnt 0x0
	global_store_b64 v[0:1], v[2:3], off
.LBB134_2718:
	s_mov_b32 s0, 0
.LBB134_2719:
	s_delay_alu instid0(SALU_CYCLE_1)
	s_and_not1_b32 vcc_lo, exec_lo, s0
	s_cbranch_vccnz .LBB134_2721
; %bb.2720:
	s_wait_xcnt 0x0
	v_cndmask_b32_e64 v2, 0, 1.0, s17
	s_delay_alu instid0(VALU_DEP_1) | instskip(NEXT) | instid1(VALU_DEP_1)
	v_cvt_f16_f32_e32 v2, v2
	v_and_b32_e32 v2, 0xffff, v2
	s_wait_loadcnt 0x0
	global_store_b32 v[0:1], v2, off
.LBB134_2721:
	s_mov_b32 s0, 0
.LBB134_2722:
	s_delay_alu instid0(SALU_CYCLE_1)
	s_and_not1_b32 vcc_lo, exec_lo, s0
	s_cbranch_vccnz .LBB134_2731
; %bb.2723:
	s_sext_i32_i16 s1, s18
	s_mov_b32 s0, -1
	s_cmp_lt_i32 s1, 6
	s_cbranch_scc1 .LBB134_2729
; %bb.2724:
	s_cmp_gt_i32 s1, 6
	s_cbranch_scc0 .LBB134_2726
; %bb.2725:
	s_wait_xcnt 0x0
	v_cndmask_b32_e64 v2, 0, 1, s17
	s_mov_b32 s0, 0
	s_delay_alu instid0(VALU_DEP_1)
	v_cvt_f64_u32_e32 v[2:3], v2
	s_wait_loadcnt 0x0
	global_store_b64 v[0:1], v[2:3], off
.LBB134_2726:
	s_and_not1_b32 vcc_lo, exec_lo, s0
	s_cbranch_vccnz .LBB134_2728
; %bb.2727:
	s_wait_xcnt 0x0
	v_cndmask_b32_e64 v2, 0, 1.0, s17
	s_wait_loadcnt 0x0
	global_store_b32 v[0:1], v2, off
.LBB134_2728:
	s_mov_b32 s0, 0
.LBB134_2729:
	s_delay_alu instid0(SALU_CYCLE_1)
	s_and_not1_b32 vcc_lo, exec_lo, s0
	s_cbranch_vccnz .LBB134_2731
; %bb.2730:
	s_wait_xcnt 0x0
	v_cndmask_b32_e64 v2, 0, 1.0, s17
	s_delay_alu instid0(VALU_DEP_1)
	v_cvt_f16_f32_e32 v2, v2
	s_wait_loadcnt 0x0
	global_store_b16 v[0:1], v2, off
.LBB134_2731:
	s_mov_b32 s0, 0
.LBB134_2732:
	s_delay_alu instid0(SALU_CYCLE_1)
	s_and_not1_b32 vcc_lo, exec_lo, s0
	s_cbranch_vccnz .LBB134_2748
; %bb.2733:
	s_sext_i32_i16 s1, s18
	s_mov_b32 s0, -1
	s_cmp_lt_i32 s1, 2
	s_cbranch_scc1 .LBB134_2743
; %bb.2734:
	s_cmp_lt_i32 s1, 3
	s_cbranch_scc1 .LBB134_2740
; %bb.2735:
	s_cmp_gt_i32 s1, 3
	s_cbranch_scc0 .LBB134_2737
; %bb.2736:
	s_mov_b32 s0, 0
	s_wait_xcnt 0x0
	v_cndmask_b32_e64 v2, 0, 1, s17
	v_mov_b32_e32 v3, s0
	s_wait_loadcnt 0x0
	global_store_b64 v[0:1], v[2:3], off
.LBB134_2737:
	s_and_not1_b32 vcc_lo, exec_lo, s0
	s_cbranch_vccnz .LBB134_2739
; %bb.2738:
	s_wait_xcnt 0x0
	v_cndmask_b32_e64 v2, 0, 1, s17
	s_wait_loadcnt 0x0
	global_store_b32 v[0:1], v2, off
.LBB134_2739:
	s_mov_b32 s0, 0
.LBB134_2740:
	s_delay_alu instid0(SALU_CYCLE_1)
	s_and_not1_b32 vcc_lo, exec_lo, s0
	s_cbranch_vccnz .LBB134_2742
; %bb.2741:
	s_wait_xcnt 0x0
	v_cndmask_b32_e64 v2, 0, 1, s17
	s_wait_loadcnt 0x0
	global_store_b16 v[0:1], v2, off
.LBB134_2742:
	s_mov_b32 s0, 0
.LBB134_2743:
	s_delay_alu instid0(SALU_CYCLE_1)
	s_and_not1_b32 vcc_lo, exec_lo, s0
	s_cbranch_vccnz .LBB134_2748
; %bb.2744:
	s_wait_xcnt 0x0
	v_cndmask_b32_e64 v2, 0, 1, s17
	s_sext_i32_i16 s0, s18
	s_delay_alu instid0(SALU_CYCLE_1)
	s_cmp_gt_i32 s0, 0
	s_mov_b32 s0, -1
	s_cbranch_scc0 .LBB134_2746
; %bb.2745:
	s_mov_b32 s0, 0
	s_wait_loadcnt 0x0
	global_store_b8 v[0:1], v2, off
.LBB134_2746:
	s_and_not1_b32 vcc_lo, exec_lo, s0
	s_cbranch_vccnz .LBB134_2748
; %bb.2747:
	s_wait_loadcnt 0x0
	global_store_b8 v[0:1], v2, off
	s_endpgm
.LBB134_2748:
	s_endpgm
.LBB134_2749:
	s_mov_b32 s0, -1
                                        ; implicit-def: $sgpr17
.LBB134_2750:
	s_delay_alu instid0(SALU_CYCLE_1)
	s_and_not1_b32 vcc_lo, exec_lo, s0
	s_cbranch_vccnz .LBB134_2752
; %bb.2751:
	s_wait_loadcnt 0x0
	s_delay_alu instid0(VALU_DEP_1) | instskip(NEXT) | instid1(VALU_DEP_2)
	v_cmp_eq_f32_e32 vcc_lo, v1, v5
	v_cmp_eq_f32_e64 s0, v0, v4
	s_and_not1_b32 s2, s17, exec_lo
	s_and_b32 s0, s0, vcc_lo
	s_delay_alu instid0(SALU_CYCLE_1) | instskip(NEXT) | instid1(SALU_CYCLE_1)
	s_and_b32 s0, s0, exec_lo
	s_or_b32 s17, s2, s0
.LBB134_2752:
	s_wait_loadcnt 0x0
	v_mul_lo_u32 v0, s8, v10
	s_and_b32 s18, s12, 0xff
	s_delay_alu instid0(SALU_CYCLE_1) | instskip(NEXT) | instid1(VALU_DEP_1)
	s_cmp_lt_i32 s18, 11
	v_ashrrev_i32_e32 v1, 31, v0
	s_wait_xcnt 0x0
	s_delay_alu instid0(VALU_DEP_1)
	v_add_nc_u64_e32 v[2:3], s[4:5], v[0:1]
	s_cbranch_scc1 .LBB134_2830
; %bb.2753:
	s_and_b32 s2, 0xffff, s18
	s_mov_b32 s7, -1
	s_mov_b32 s3, 0
	s_cmp_gt_i32 s2, 25
	s_mov_b32 s6, 0
	s_mov_b32 s0, 0
	s_cbranch_scc0 .LBB134_2786
; %bb.2754:
	s_cmp_gt_i32 s2, 28
	s_cbranch_scc0 .LBB134_2769
; %bb.2755:
	s_cmp_gt_i32 s2, 43
	;; [unrolled: 3-line block ×3, first 2 shown]
	s_cbranch_scc0 .LBB134_2759
; %bb.2757:
	s_mov_b32 s0, -1
	s_mov_b32 s7, 0
	s_cmp_eq_u32 s2, 46
	s_cbranch_scc0 .LBB134_2759
; %bb.2758:
	v_cndmask_b32_e64 v1, 0, 1.0, s1
	s_mov_b32 s0, 0
	s_mov_b32 s6, -1
	s_delay_alu instid0(VALU_DEP_1) | instskip(NEXT) | instid1(VALU_DEP_1)
	v_bfe_u32 v4, v1, 16, 1
	v_add3_u32 v1, v1, v4, 0x7fff
	s_delay_alu instid0(VALU_DEP_1)
	v_lshrrev_b32_e32 v1, 16, v1
	global_store_b32 v[2:3], v1, off
.LBB134_2759:
	s_and_b32 vcc_lo, exec_lo, s7
	s_cbranch_vccz .LBB134_2764
; %bb.2760:
	s_cmp_eq_u32 s2, 44
	s_mov_b32 s0, -1
	s_cbranch_scc0 .LBB134_2764
; %bb.2761:
	v_cndmask_b32_e64 v5, 0, 1.0, s1
	s_mov_b32 s6, exec_lo
	s_wait_xcnt 0x0
	s_delay_alu instid0(VALU_DEP_1) | instskip(NEXT) | instid1(VALU_DEP_1)
	v_dual_mov_b32 v4, 0xff :: v_dual_lshrrev_b32 v1, 23, v5
	v_cmpx_ne_u32_e32 0xff, v1
; %bb.2762:
	v_and_b32_e32 v4, 0x400000, v5
	v_and_or_b32 v5, 0x3fffff, v5, v1
	s_delay_alu instid0(VALU_DEP_2) | instskip(NEXT) | instid1(VALU_DEP_2)
	v_cmp_ne_u32_e32 vcc_lo, 0, v4
	v_cmp_ne_u32_e64 s0, 0, v5
	s_and_b32 s0, vcc_lo, s0
	s_delay_alu instid0(SALU_CYCLE_1) | instskip(NEXT) | instid1(VALU_DEP_1)
	v_cndmask_b32_e64 v4, 0, 1, s0
	v_add_nc_u32_e32 v4, v1, v4
; %bb.2763:
	s_or_b32 exec_lo, exec_lo, s6
	s_mov_b32 s0, 0
	s_mov_b32 s6, -1
	global_store_b8 v[2:3], v4, off
.LBB134_2764:
	s_mov_b32 s7, 0
.LBB134_2765:
	s_delay_alu instid0(SALU_CYCLE_1)
	s_and_b32 vcc_lo, exec_lo, s7
	s_cbranch_vccz .LBB134_2768
; %bb.2766:
	s_cmp_eq_u32 s2, 29
	s_mov_b32 s0, -1
	s_cbranch_scc0 .LBB134_2768
; %bb.2767:
	s_mov_b32 s0, 0
	s_wait_xcnt 0x0
	v_cndmask_b32_e64 v4, 0, 1, s1
	v_mov_b32_e32 v5, s0
	s_mov_b32 s6, -1
	global_store_b64 v[2:3], v[4:5], off
.LBB134_2768:
	s_mov_b32 s7, 0
.LBB134_2769:
	s_delay_alu instid0(SALU_CYCLE_1)
	s_and_b32 vcc_lo, exec_lo, s7
	s_cbranch_vccz .LBB134_2785
; %bb.2770:
	s_cmp_lt_i32 s2, 27
	s_mov_b32 s6, -1
	s_cbranch_scc1 .LBB134_2776
; %bb.2771:
	s_cmp_gt_i32 s2, 27
	s_cbranch_scc0 .LBB134_2773
; %bb.2772:
	s_wait_xcnt 0x0
	v_cndmask_b32_e64 v1, 0, 1, s1
	s_mov_b32 s6, 0
	global_store_b32 v[2:3], v1, off
.LBB134_2773:
	s_and_not1_b32 vcc_lo, exec_lo, s6
	s_cbranch_vccnz .LBB134_2775
; %bb.2774:
	s_wait_xcnt 0x0
	v_cndmask_b32_e64 v1, 0, 1, s1
	global_store_b16 v[2:3], v1, off
.LBB134_2775:
	s_mov_b32 s6, 0
.LBB134_2776:
	s_delay_alu instid0(SALU_CYCLE_1)
	s_and_not1_b32 vcc_lo, exec_lo, s6
	s_cbranch_vccnz .LBB134_2784
; %bb.2777:
	s_wait_xcnt 0x0
	v_cndmask_b32_e64 v4, 0, 1.0, s1
	v_mov_b32_e32 v5, 0x80
	s_mov_b32 s6, exec_lo
	s_delay_alu instid0(VALU_DEP_2)
	v_cmpx_gt_u32_e32 0x43800000, v4
	s_cbranch_execz .LBB134_2783
; %bb.2778:
	s_mov_b32 s7, 0
	s_mov_b32 s11, exec_lo
                                        ; implicit-def: $vgpr1
	v_cmpx_lt_u32_e32 0x3bffffff, v4
	s_xor_b32 s11, exec_lo, s11
	s_cbranch_execz .LBB134_3187
; %bb.2779:
	v_bfe_u32 v1, v4, 20, 1
	s_mov_b32 s7, exec_lo
	s_delay_alu instid0(VALU_DEP_1) | instskip(NEXT) | instid1(VALU_DEP_1)
	v_add3_u32 v1, v4, v1, 0x487ffff
                                        ; implicit-def: $vgpr4
	v_lshrrev_b32_e32 v1, 20, v1
	s_and_not1_saveexec_b32 s11, s11
	s_cbranch_execnz .LBB134_3188
.LBB134_2780:
	s_or_b32 exec_lo, exec_lo, s11
	v_mov_b32_e32 v5, 0
	s_and_saveexec_b32 s11, s7
.LBB134_2781:
	v_mov_b32_e32 v5, v1
.LBB134_2782:
	s_or_b32 exec_lo, exec_lo, s11
.LBB134_2783:
	s_delay_alu instid0(SALU_CYCLE_1)
	s_or_b32 exec_lo, exec_lo, s6
	global_store_b8 v[2:3], v5, off
.LBB134_2784:
	s_mov_b32 s6, -1
.LBB134_2785:
	s_mov_b32 s7, 0
.LBB134_2786:
	s_delay_alu instid0(SALU_CYCLE_1)
	s_and_b32 vcc_lo, exec_lo, s7
	s_cbranch_vccz .LBB134_2826
; %bb.2787:
	s_cmp_gt_i32 s2, 22
	s_mov_b32 s3, -1
	s_cbranch_scc0 .LBB134_2819
; %bb.2788:
	s_cmp_lt_i32 s2, 24
	s_cbranch_scc1 .LBB134_2808
; %bb.2789:
	s_cmp_gt_i32 s2, 24
	s_cbranch_scc0 .LBB134_2797
; %bb.2790:
	s_wait_xcnt 0x0
	v_cndmask_b32_e64 v4, 0, 1.0, s1
	v_mov_b32_e32 v5, 0x80
	s_mov_b32 s3, exec_lo
	s_delay_alu instid0(VALU_DEP_2)
	v_cmpx_gt_u32_e32 0x47800000, v4
	s_cbranch_execz .LBB134_2796
; %bb.2791:
	s_mov_b32 s6, 0
	s_mov_b32 s7, exec_lo
                                        ; implicit-def: $vgpr1
	v_cmpx_lt_u32_e32 0x37ffffff, v4
	s_xor_b32 s7, exec_lo, s7
	s_cbranch_execz .LBB134_3190
; %bb.2792:
	v_bfe_u32 v1, v4, 21, 1
	s_mov_b32 s6, exec_lo
	s_delay_alu instid0(VALU_DEP_1) | instskip(NEXT) | instid1(VALU_DEP_1)
	v_add3_u32 v1, v4, v1, 0x88fffff
                                        ; implicit-def: $vgpr4
	v_lshrrev_b32_e32 v1, 21, v1
	s_and_not1_saveexec_b32 s7, s7
	s_cbranch_execnz .LBB134_3191
.LBB134_2793:
	s_or_b32 exec_lo, exec_lo, s7
	v_mov_b32_e32 v5, 0
	s_and_saveexec_b32 s7, s6
.LBB134_2794:
	v_mov_b32_e32 v5, v1
.LBB134_2795:
	s_or_b32 exec_lo, exec_lo, s7
.LBB134_2796:
	s_delay_alu instid0(SALU_CYCLE_1)
	s_or_b32 exec_lo, exec_lo, s3
	s_mov_b32 s3, 0
	global_store_b8 v[2:3], v5, off
.LBB134_2797:
	s_and_b32 vcc_lo, exec_lo, s3
	s_cbranch_vccz .LBB134_2807
; %bb.2798:
	s_wait_xcnt 0x0
	v_cndmask_b32_e64 v4, 0, 1.0, s1
	s_mov_b32 s3, exec_lo
                                        ; implicit-def: $vgpr1
	s_delay_alu instid0(VALU_DEP_1)
	v_cmpx_gt_u32_e32 0x43f00000, v4
	s_xor_b32 s3, exec_lo, s3
	s_cbranch_execz .LBB134_2804
; %bb.2799:
	s_mov_b32 s6, exec_lo
                                        ; implicit-def: $vgpr1
	v_cmpx_lt_u32_e32 0x3c7fffff, v4
	s_xor_b32 s6, exec_lo, s6
; %bb.2800:
	v_bfe_u32 v1, v4, 20, 1
	s_delay_alu instid0(VALU_DEP_1) | instskip(NEXT) | instid1(VALU_DEP_1)
	v_add3_u32 v1, v4, v1, 0x407ffff
	v_and_b32_e32 v4, 0xff00000, v1
	v_lshrrev_b32_e32 v1, 20, v1
	s_delay_alu instid0(VALU_DEP_2) | instskip(NEXT) | instid1(VALU_DEP_2)
	v_cmp_ne_u32_e32 vcc_lo, 0x7f00000, v4
                                        ; implicit-def: $vgpr4
	v_cndmask_b32_e32 v1, 0x7e, v1, vcc_lo
; %bb.2801:
	s_and_not1_saveexec_b32 s6, s6
; %bb.2802:
	v_add_f32_e32 v1, 0x46800000, v4
; %bb.2803:
	s_or_b32 exec_lo, exec_lo, s6
                                        ; implicit-def: $vgpr4
.LBB134_2804:
	s_and_not1_saveexec_b32 s3, s3
; %bb.2805:
	v_mov_b32_e32 v1, 0x7f
	v_cmp_lt_u32_e32 vcc_lo, 0x7f800000, v4
	s_delay_alu instid0(VALU_DEP_2)
	v_cndmask_b32_e32 v1, 0x7e, v1, vcc_lo
; %bb.2806:
	s_or_b32 exec_lo, exec_lo, s3
	global_store_b8 v[2:3], v1, off
.LBB134_2807:
	s_mov_b32 s3, 0
.LBB134_2808:
	s_delay_alu instid0(SALU_CYCLE_1)
	s_and_not1_b32 vcc_lo, exec_lo, s3
	s_cbranch_vccnz .LBB134_2818
; %bb.2809:
	s_wait_xcnt 0x0
	v_cndmask_b32_e64 v4, 0, 1.0, s1
	s_mov_b32 s3, exec_lo
                                        ; implicit-def: $vgpr1
	s_delay_alu instid0(VALU_DEP_1)
	v_cmpx_gt_u32_e32 0x47800000, v4
	s_xor_b32 s3, exec_lo, s3
	s_cbranch_execz .LBB134_2815
; %bb.2810:
	s_mov_b32 s6, exec_lo
                                        ; implicit-def: $vgpr1
	v_cmpx_lt_u32_e32 0x387fffff, v4
	s_xor_b32 s6, exec_lo, s6
; %bb.2811:
	v_bfe_u32 v1, v4, 21, 1
	s_delay_alu instid0(VALU_DEP_1) | instskip(NEXT) | instid1(VALU_DEP_1)
	v_add3_u32 v1, v4, v1, 0x80fffff
                                        ; implicit-def: $vgpr4
	v_lshrrev_b32_e32 v1, 21, v1
; %bb.2812:
	s_and_not1_saveexec_b32 s6, s6
; %bb.2813:
	v_add_f32_e32 v1, 0x43000000, v4
; %bb.2814:
	s_or_b32 exec_lo, exec_lo, s6
                                        ; implicit-def: $vgpr4
.LBB134_2815:
	s_and_not1_saveexec_b32 s3, s3
; %bb.2816:
	v_mov_b32_e32 v1, 0x7f
	v_cmp_lt_u32_e32 vcc_lo, 0x7f800000, v4
	s_delay_alu instid0(VALU_DEP_2)
	v_cndmask_b32_e32 v1, 0x7c, v1, vcc_lo
; %bb.2817:
	s_or_b32 exec_lo, exec_lo, s3
	global_store_b8 v[2:3], v1, off
.LBB134_2818:
	s_mov_b32 s3, 0
	s_mov_b32 s6, -1
.LBB134_2819:
	s_and_not1_b32 vcc_lo, exec_lo, s3
	s_mov_b32 s3, 0
	s_cbranch_vccnz .LBB134_2826
; %bb.2820:
	s_cmp_gt_i32 s2, 14
	s_mov_b32 s3, -1
	s_cbranch_scc0 .LBB134_2824
; %bb.2821:
	s_cmp_eq_u32 s2, 15
	s_mov_b32 s0, -1
	s_cbranch_scc0 .LBB134_2823
; %bb.2822:
	s_wait_xcnt 0x0
	v_cndmask_b32_e64 v1, 0, 1.0, s1
	s_mov_b32 s0, 0
	s_mov_b32 s6, -1
	s_delay_alu instid0(VALU_DEP_1) | instskip(NEXT) | instid1(VALU_DEP_1)
	v_bfe_u32 v4, v1, 16, 1
	v_add3_u32 v1, v1, v4, 0x7fff
	global_store_d16_hi_b16 v[2:3], v1, off
.LBB134_2823:
	s_mov_b32 s3, 0
.LBB134_2824:
	s_delay_alu instid0(SALU_CYCLE_1)
	s_and_b32 vcc_lo, exec_lo, s3
	s_mov_b32 s3, 0
	s_cbranch_vccz .LBB134_2826
; %bb.2825:
	s_cmp_lg_u32 s2, 11
	s_mov_b32 s3, -1
	s_cselect_b32 s0, -1, 0
.LBB134_2826:
	s_delay_alu instid0(SALU_CYCLE_1)
	s_and_b32 vcc_lo, exec_lo, s0
	s_cbranch_vccnz .LBB134_3189
; %bb.2827:
	s_and_not1_b32 vcc_lo, exec_lo, s3
	s_cbranch_vccnz .LBB134_2829
.LBB134_2828:
	s_wait_xcnt 0x0
	v_cndmask_b32_e64 v1, 0, 1, s1
	s_mov_b32 s6, -1
	global_store_b8 v[2:3], v1, off
.LBB134_2829:
	s_mov_b32 s0, 0
	s_branch .LBB134_2831
.LBB134_2830:
	s_mov_b32 s0, -1
	s_mov_b32 s6, 0
.LBB134_2831:
	s_and_b32 vcc_lo, exec_lo, s0
	s_cbranch_vccz .LBB134_2870
; %bb.2832:
	s_and_b32 s0, 0xffff, s18
	s_mov_b32 s2, -1
	s_cmp_lt_i32 s0, 5
	s_cbranch_scc1 .LBB134_2853
; %bb.2833:
	s_cmp_lt_i32 s0, 8
	s_cbranch_scc1 .LBB134_2843
; %bb.2834:
	s_cmp_lt_i32 s0, 9
	s_cbranch_scc1 .LBB134_2840
; %bb.2835:
	s_cmp_gt_i32 s0, 9
	s_cbranch_scc0 .LBB134_2837
; %bb.2836:
	s_wait_xcnt 0x0
	v_cndmask_b32_e64 v1, 0, 1, s1
	v_mov_b32_e32 v6, 0
	s_mov_b32 s2, 0
	s_delay_alu instid0(VALU_DEP_2) | instskip(NEXT) | instid1(VALU_DEP_2)
	v_cvt_f64_u32_e32 v[4:5], v1
	v_mov_b32_e32 v7, v6
	global_store_b128 v[2:3], v[4:7], off
.LBB134_2837:
	s_and_not1_b32 vcc_lo, exec_lo, s2
	s_cbranch_vccnz .LBB134_2839
; %bb.2838:
	s_wait_xcnt 0x0
	v_cndmask_b32_e64 v4, 0, 1.0, s1
	v_mov_b32_e32 v5, 0
	global_store_b64 v[2:3], v[4:5], off
.LBB134_2839:
	s_mov_b32 s2, 0
.LBB134_2840:
	s_delay_alu instid0(SALU_CYCLE_1)
	s_and_not1_b32 vcc_lo, exec_lo, s2
	s_cbranch_vccnz .LBB134_2842
; %bb.2841:
	s_wait_xcnt 0x0
	v_cndmask_b32_e64 v1, 0, 1.0, s1
	s_delay_alu instid0(VALU_DEP_1) | instskip(NEXT) | instid1(VALU_DEP_1)
	v_cvt_f16_f32_e32 v1, v1
	v_and_b32_e32 v1, 0xffff, v1
	global_store_b32 v[2:3], v1, off
.LBB134_2842:
	s_mov_b32 s2, 0
.LBB134_2843:
	s_delay_alu instid0(SALU_CYCLE_1)
	s_and_not1_b32 vcc_lo, exec_lo, s2
	s_cbranch_vccnz .LBB134_2852
; %bb.2844:
	s_cmp_lt_i32 s0, 6
	s_mov_b32 s2, -1
	s_cbranch_scc1 .LBB134_2850
; %bb.2845:
	s_cmp_gt_i32 s0, 6
	s_cbranch_scc0 .LBB134_2847
; %bb.2846:
	s_wait_xcnt 0x0
	v_cndmask_b32_e64 v1, 0, 1, s1
	s_mov_b32 s2, 0
	s_delay_alu instid0(VALU_DEP_1)
	v_cvt_f64_u32_e32 v[4:5], v1
	global_store_b64 v[2:3], v[4:5], off
.LBB134_2847:
	s_and_not1_b32 vcc_lo, exec_lo, s2
	s_cbranch_vccnz .LBB134_2849
; %bb.2848:
	s_wait_xcnt 0x0
	v_cndmask_b32_e64 v1, 0, 1.0, s1
	global_store_b32 v[2:3], v1, off
.LBB134_2849:
	s_mov_b32 s2, 0
.LBB134_2850:
	s_delay_alu instid0(SALU_CYCLE_1)
	s_and_not1_b32 vcc_lo, exec_lo, s2
	s_cbranch_vccnz .LBB134_2852
; %bb.2851:
	s_wait_xcnt 0x0
	v_cndmask_b32_e64 v1, 0, 1.0, s1
	s_delay_alu instid0(VALU_DEP_1)
	v_cvt_f16_f32_e32 v1, v1
	global_store_b16 v[2:3], v1, off
.LBB134_2852:
	s_mov_b32 s2, 0
.LBB134_2853:
	s_delay_alu instid0(SALU_CYCLE_1)
	s_and_not1_b32 vcc_lo, exec_lo, s2
	s_cbranch_vccnz .LBB134_2869
; %bb.2854:
	s_cmp_lt_i32 s0, 2
	s_mov_b32 s2, -1
	s_cbranch_scc1 .LBB134_2864
; %bb.2855:
	s_cmp_lt_i32 s0, 3
	s_cbranch_scc1 .LBB134_2861
; %bb.2856:
	s_cmp_gt_i32 s0, 3
	s_cbranch_scc0 .LBB134_2858
; %bb.2857:
	s_mov_b32 s2, 0
	s_wait_xcnt 0x0
	v_cndmask_b32_e64 v4, 0, 1, s1
	v_mov_b32_e32 v5, s2
	global_store_b64 v[2:3], v[4:5], off
.LBB134_2858:
	s_and_not1_b32 vcc_lo, exec_lo, s2
	s_cbranch_vccnz .LBB134_2860
; %bb.2859:
	s_wait_xcnt 0x0
	v_cndmask_b32_e64 v1, 0, 1, s1
	global_store_b32 v[2:3], v1, off
.LBB134_2860:
	s_mov_b32 s2, 0
.LBB134_2861:
	s_delay_alu instid0(SALU_CYCLE_1)
	s_and_not1_b32 vcc_lo, exec_lo, s2
	s_cbranch_vccnz .LBB134_2863
; %bb.2862:
	s_wait_xcnt 0x0
	v_cndmask_b32_e64 v1, 0, 1, s1
	global_store_b16 v[2:3], v1, off
.LBB134_2863:
	s_mov_b32 s2, 0
.LBB134_2864:
	s_delay_alu instid0(SALU_CYCLE_1)
	s_and_not1_b32 vcc_lo, exec_lo, s2
	s_cbranch_vccnz .LBB134_2869
; %bb.2865:
	s_wait_xcnt 0x0
	v_cndmask_b32_e64 v1, 0, 1, s1
	s_cmp_gt_i32 s0, 0
	s_mov_b32 s0, -1
	s_cbranch_scc0 .LBB134_2867
; %bb.2866:
	s_mov_b32 s0, 0
	global_store_b8 v[2:3], v1, off
.LBB134_2867:
	s_and_not1_b32 vcc_lo, exec_lo, s0
	s_cbranch_vccnz .LBB134_2869
; %bb.2868:
	global_store_b8 v[2:3], v1, off
.LBB134_2869:
	s_mov_b32 s6, -1
.LBB134_2870:
	s_delay_alu instid0(SALU_CYCLE_1)
	s_and_not1_b32 vcc_lo, exec_lo, s6
	s_cbranch_vccnz .LBB134_3185
; %bb.2871:
	s_lshl_b32 s1, s8, 7
	s_cmp_lt_i32 s18, 11
	v_add_nc_u32_e32 v0, s1, v0
	s_wait_xcnt 0x0
	s_delay_alu instid0(VALU_DEP_1) | instskip(NEXT) | instid1(VALU_DEP_1)
	v_ashrrev_i32_e32 v1, 31, v0
	v_add_nc_u64_e32 v[2:3], s[4:5], v[0:1]
	s_cbranch_scc1 .LBB134_2949
; %bb.2872:
	s_and_b32 s2, 0xffff, s18
	s_mov_b32 s7, -1
	s_mov_b32 s3, 0
	s_cmp_gt_i32 s2, 25
	s_mov_b32 s6, 0
	s_mov_b32 s0, 0
	s_cbranch_scc0 .LBB134_2905
; %bb.2873:
	s_cmp_gt_i32 s2, 28
	s_cbranch_scc0 .LBB134_2888
; %bb.2874:
	s_cmp_gt_i32 s2, 43
	;; [unrolled: 3-line block ×3, first 2 shown]
	s_cbranch_scc0 .LBB134_2878
; %bb.2876:
	s_mov_b32 s0, -1
	s_mov_b32 s7, 0
	s_cmp_eq_u32 s2, 46
	s_cbranch_scc0 .LBB134_2878
; %bb.2877:
	v_cndmask_b32_e64 v1, 0, 1.0, s9
	s_mov_b32 s0, 0
	s_mov_b32 s6, -1
	s_delay_alu instid0(VALU_DEP_1) | instskip(NEXT) | instid1(VALU_DEP_1)
	v_bfe_u32 v4, v1, 16, 1
	v_add3_u32 v1, v1, v4, 0x7fff
	s_delay_alu instid0(VALU_DEP_1)
	v_lshrrev_b32_e32 v1, 16, v1
	global_store_b32 v[2:3], v1, off
.LBB134_2878:
	s_and_b32 vcc_lo, exec_lo, s7
	s_cbranch_vccz .LBB134_2883
; %bb.2879:
	s_cmp_eq_u32 s2, 44
	s_mov_b32 s0, -1
	s_cbranch_scc0 .LBB134_2883
; %bb.2880:
	v_cndmask_b32_e64 v5, 0, 1.0, s9
	s_mov_b32 s6, exec_lo
	s_wait_xcnt 0x0
	s_delay_alu instid0(VALU_DEP_1) | instskip(NEXT) | instid1(VALU_DEP_1)
	v_dual_mov_b32 v4, 0xff :: v_dual_lshrrev_b32 v1, 23, v5
	v_cmpx_ne_u32_e32 0xff, v1
; %bb.2881:
	v_and_b32_e32 v4, 0x400000, v5
	v_and_or_b32 v5, 0x3fffff, v5, v1
	s_delay_alu instid0(VALU_DEP_2) | instskip(NEXT) | instid1(VALU_DEP_2)
	v_cmp_ne_u32_e32 vcc_lo, 0, v4
	v_cmp_ne_u32_e64 s0, 0, v5
	s_and_b32 s0, vcc_lo, s0
	s_delay_alu instid0(SALU_CYCLE_1) | instskip(NEXT) | instid1(VALU_DEP_1)
	v_cndmask_b32_e64 v4, 0, 1, s0
	v_add_nc_u32_e32 v4, v1, v4
; %bb.2882:
	s_or_b32 exec_lo, exec_lo, s6
	s_mov_b32 s0, 0
	s_mov_b32 s6, -1
	global_store_b8 v[2:3], v4, off
.LBB134_2883:
	s_mov_b32 s7, 0
.LBB134_2884:
	s_delay_alu instid0(SALU_CYCLE_1)
	s_and_b32 vcc_lo, exec_lo, s7
	s_cbranch_vccz .LBB134_2887
; %bb.2885:
	s_cmp_eq_u32 s2, 29
	s_mov_b32 s0, -1
	s_cbranch_scc0 .LBB134_2887
; %bb.2886:
	s_mov_b32 s0, 0
	s_wait_xcnt 0x0
	v_cndmask_b32_e64 v4, 0, 1, s9
	v_mov_b32_e32 v5, s0
	s_mov_b32 s6, -1
	global_store_b64 v[2:3], v[4:5], off
.LBB134_2887:
	s_mov_b32 s7, 0
.LBB134_2888:
	s_delay_alu instid0(SALU_CYCLE_1)
	s_and_b32 vcc_lo, exec_lo, s7
	s_cbranch_vccz .LBB134_2904
; %bb.2889:
	s_cmp_lt_i32 s2, 27
	s_mov_b32 s6, -1
	s_cbranch_scc1 .LBB134_2895
; %bb.2890:
	s_cmp_gt_i32 s2, 27
	s_cbranch_scc0 .LBB134_2892
; %bb.2891:
	s_wait_xcnt 0x0
	v_cndmask_b32_e64 v1, 0, 1, s9
	s_mov_b32 s6, 0
	global_store_b32 v[2:3], v1, off
.LBB134_2892:
	s_and_not1_b32 vcc_lo, exec_lo, s6
	s_cbranch_vccnz .LBB134_2894
; %bb.2893:
	s_wait_xcnt 0x0
	v_cndmask_b32_e64 v1, 0, 1, s9
	global_store_b16 v[2:3], v1, off
.LBB134_2894:
	s_mov_b32 s6, 0
.LBB134_2895:
	s_delay_alu instid0(SALU_CYCLE_1)
	s_and_not1_b32 vcc_lo, exec_lo, s6
	s_cbranch_vccnz .LBB134_2903
; %bb.2896:
	s_wait_xcnt 0x0
	v_cndmask_b32_e64 v4, 0, 1.0, s9
	v_mov_b32_e32 v5, 0x80
	s_mov_b32 s6, exec_lo
	s_delay_alu instid0(VALU_DEP_2)
	v_cmpx_gt_u32_e32 0x43800000, v4
	s_cbranch_execz .LBB134_2902
; %bb.2897:
	s_mov_b32 s7, 0
	s_mov_b32 s8, exec_lo
                                        ; implicit-def: $vgpr1
	v_cmpx_lt_u32_e32 0x3bffffff, v4
	s_xor_b32 s8, exec_lo, s8
	s_cbranch_execz .LBB134_3192
; %bb.2898:
	v_bfe_u32 v1, v4, 20, 1
	s_mov_b32 s7, exec_lo
	s_delay_alu instid0(VALU_DEP_1) | instskip(NEXT) | instid1(VALU_DEP_1)
	v_add3_u32 v1, v4, v1, 0x487ffff
                                        ; implicit-def: $vgpr4
	v_lshrrev_b32_e32 v1, 20, v1
	s_and_not1_saveexec_b32 s8, s8
	s_cbranch_execnz .LBB134_3193
.LBB134_2899:
	s_or_b32 exec_lo, exec_lo, s8
	v_mov_b32_e32 v5, 0
	s_and_saveexec_b32 s8, s7
.LBB134_2900:
	v_mov_b32_e32 v5, v1
.LBB134_2901:
	s_or_b32 exec_lo, exec_lo, s8
.LBB134_2902:
	s_delay_alu instid0(SALU_CYCLE_1)
	s_or_b32 exec_lo, exec_lo, s6
	global_store_b8 v[2:3], v5, off
.LBB134_2903:
	s_mov_b32 s6, -1
.LBB134_2904:
	s_mov_b32 s7, 0
.LBB134_2905:
	s_delay_alu instid0(SALU_CYCLE_1)
	s_and_b32 vcc_lo, exec_lo, s7
	s_cbranch_vccz .LBB134_2945
; %bb.2906:
	s_cmp_gt_i32 s2, 22
	s_mov_b32 s3, -1
	s_cbranch_scc0 .LBB134_2938
; %bb.2907:
	s_cmp_lt_i32 s2, 24
	s_cbranch_scc1 .LBB134_2927
; %bb.2908:
	s_cmp_gt_i32 s2, 24
	s_cbranch_scc0 .LBB134_2916
; %bb.2909:
	s_wait_xcnt 0x0
	v_cndmask_b32_e64 v4, 0, 1.0, s9
	v_mov_b32_e32 v5, 0x80
	s_mov_b32 s3, exec_lo
	s_delay_alu instid0(VALU_DEP_2)
	v_cmpx_gt_u32_e32 0x47800000, v4
	s_cbranch_execz .LBB134_2915
; %bb.2910:
	s_mov_b32 s6, 0
	s_mov_b32 s7, exec_lo
                                        ; implicit-def: $vgpr1
	v_cmpx_lt_u32_e32 0x37ffffff, v4
	s_xor_b32 s7, exec_lo, s7
	s_cbranch_execz .LBB134_3195
; %bb.2911:
	v_bfe_u32 v1, v4, 21, 1
	s_mov_b32 s6, exec_lo
	s_delay_alu instid0(VALU_DEP_1) | instskip(NEXT) | instid1(VALU_DEP_1)
	v_add3_u32 v1, v4, v1, 0x88fffff
                                        ; implicit-def: $vgpr4
	v_lshrrev_b32_e32 v1, 21, v1
	s_and_not1_saveexec_b32 s7, s7
	s_cbranch_execnz .LBB134_3196
.LBB134_2912:
	s_or_b32 exec_lo, exec_lo, s7
	v_mov_b32_e32 v5, 0
	s_and_saveexec_b32 s7, s6
.LBB134_2913:
	v_mov_b32_e32 v5, v1
.LBB134_2914:
	s_or_b32 exec_lo, exec_lo, s7
.LBB134_2915:
	s_delay_alu instid0(SALU_CYCLE_1)
	s_or_b32 exec_lo, exec_lo, s3
	s_mov_b32 s3, 0
	global_store_b8 v[2:3], v5, off
.LBB134_2916:
	s_and_b32 vcc_lo, exec_lo, s3
	s_cbranch_vccz .LBB134_2926
; %bb.2917:
	s_wait_xcnt 0x0
	v_cndmask_b32_e64 v4, 0, 1.0, s9
	s_mov_b32 s3, exec_lo
                                        ; implicit-def: $vgpr1
	s_delay_alu instid0(VALU_DEP_1)
	v_cmpx_gt_u32_e32 0x43f00000, v4
	s_xor_b32 s3, exec_lo, s3
	s_cbranch_execz .LBB134_2923
; %bb.2918:
	s_mov_b32 s6, exec_lo
                                        ; implicit-def: $vgpr1
	v_cmpx_lt_u32_e32 0x3c7fffff, v4
	s_xor_b32 s6, exec_lo, s6
; %bb.2919:
	v_bfe_u32 v1, v4, 20, 1
	s_delay_alu instid0(VALU_DEP_1) | instskip(NEXT) | instid1(VALU_DEP_1)
	v_add3_u32 v1, v4, v1, 0x407ffff
	v_and_b32_e32 v4, 0xff00000, v1
	v_lshrrev_b32_e32 v1, 20, v1
	s_delay_alu instid0(VALU_DEP_2) | instskip(NEXT) | instid1(VALU_DEP_2)
	v_cmp_ne_u32_e32 vcc_lo, 0x7f00000, v4
                                        ; implicit-def: $vgpr4
	v_cndmask_b32_e32 v1, 0x7e, v1, vcc_lo
; %bb.2920:
	s_and_not1_saveexec_b32 s6, s6
; %bb.2921:
	v_add_f32_e32 v1, 0x46800000, v4
; %bb.2922:
	s_or_b32 exec_lo, exec_lo, s6
                                        ; implicit-def: $vgpr4
.LBB134_2923:
	s_and_not1_saveexec_b32 s3, s3
; %bb.2924:
	v_mov_b32_e32 v1, 0x7f
	v_cmp_lt_u32_e32 vcc_lo, 0x7f800000, v4
	s_delay_alu instid0(VALU_DEP_2)
	v_cndmask_b32_e32 v1, 0x7e, v1, vcc_lo
; %bb.2925:
	s_or_b32 exec_lo, exec_lo, s3
	global_store_b8 v[2:3], v1, off
.LBB134_2926:
	s_mov_b32 s3, 0
.LBB134_2927:
	s_delay_alu instid0(SALU_CYCLE_1)
	s_and_not1_b32 vcc_lo, exec_lo, s3
	s_cbranch_vccnz .LBB134_2937
; %bb.2928:
	s_wait_xcnt 0x0
	v_cndmask_b32_e64 v4, 0, 1.0, s9
	s_mov_b32 s3, exec_lo
                                        ; implicit-def: $vgpr1
	s_delay_alu instid0(VALU_DEP_1)
	v_cmpx_gt_u32_e32 0x47800000, v4
	s_xor_b32 s3, exec_lo, s3
	s_cbranch_execz .LBB134_2934
; %bb.2929:
	s_mov_b32 s6, exec_lo
                                        ; implicit-def: $vgpr1
	v_cmpx_lt_u32_e32 0x387fffff, v4
	s_xor_b32 s6, exec_lo, s6
; %bb.2930:
	v_bfe_u32 v1, v4, 21, 1
	s_delay_alu instid0(VALU_DEP_1) | instskip(NEXT) | instid1(VALU_DEP_1)
	v_add3_u32 v1, v4, v1, 0x80fffff
                                        ; implicit-def: $vgpr4
	v_lshrrev_b32_e32 v1, 21, v1
; %bb.2931:
	s_and_not1_saveexec_b32 s6, s6
; %bb.2932:
	v_add_f32_e32 v1, 0x43000000, v4
; %bb.2933:
	s_or_b32 exec_lo, exec_lo, s6
                                        ; implicit-def: $vgpr4
.LBB134_2934:
	s_and_not1_saveexec_b32 s3, s3
; %bb.2935:
	v_mov_b32_e32 v1, 0x7f
	v_cmp_lt_u32_e32 vcc_lo, 0x7f800000, v4
	s_delay_alu instid0(VALU_DEP_2)
	v_cndmask_b32_e32 v1, 0x7c, v1, vcc_lo
; %bb.2936:
	s_or_b32 exec_lo, exec_lo, s3
	global_store_b8 v[2:3], v1, off
.LBB134_2937:
	s_mov_b32 s3, 0
	s_mov_b32 s6, -1
.LBB134_2938:
	s_and_not1_b32 vcc_lo, exec_lo, s3
	s_mov_b32 s3, 0
	s_cbranch_vccnz .LBB134_2945
; %bb.2939:
	s_cmp_gt_i32 s2, 14
	s_mov_b32 s3, -1
	s_cbranch_scc0 .LBB134_2943
; %bb.2940:
	s_cmp_eq_u32 s2, 15
	s_mov_b32 s0, -1
	s_cbranch_scc0 .LBB134_2942
; %bb.2941:
	s_wait_xcnt 0x0
	v_cndmask_b32_e64 v1, 0, 1.0, s9
	s_mov_b32 s0, 0
	s_mov_b32 s6, -1
	s_delay_alu instid0(VALU_DEP_1) | instskip(NEXT) | instid1(VALU_DEP_1)
	v_bfe_u32 v4, v1, 16, 1
	v_add3_u32 v1, v1, v4, 0x7fff
	global_store_d16_hi_b16 v[2:3], v1, off
.LBB134_2942:
	s_mov_b32 s3, 0
.LBB134_2943:
	s_delay_alu instid0(SALU_CYCLE_1)
	s_and_b32 vcc_lo, exec_lo, s3
	s_mov_b32 s3, 0
	s_cbranch_vccz .LBB134_2945
; %bb.2944:
	s_cmp_lg_u32 s2, 11
	s_mov_b32 s3, -1
	s_cselect_b32 s0, -1, 0
.LBB134_2945:
	s_delay_alu instid0(SALU_CYCLE_1)
	s_and_b32 vcc_lo, exec_lo, s0
	s_cbranch_vccnz .LBB134_3194
; %bb.2946:
	s_and_not1_b32 vcc_lo, exec_lo, s3
	s_cbranch_vccnz .LBB134_2948
.LBB134_2947:
	s_wait_xcnt 0x0
	v_cndmask_b32_e64 v1, 0, 1, s9
	s_mov_b32 s6, -1
	global_store_b8 v[2:3], v1, off
.LBB134_2948:
	s_mov_b32 s0, 0
	s_branch .LBB134_2950
.LBB134_2949:
	s_mov_b32 s0, -1
	s_mov_b32 s6, 0
.LBB134_2950:
	s_and_b32 vcc_lo, exec_lo, s0
	s_cbranch_vccz .LBB134_2989
; %bb.2951:
	s_and_b32 s0, 0xffff, s18
	s_mov_b32 s2, -1
	s_cmp_lt_i32 s0, 5
	s_cbranch_scc1 .LBB134_2972
; %bb.2952:
	s_cmp_lt_i32 s0, 8
	s_cbranch_scc1 .LBB134_2962
; %bb.2953:
	;; [unrolled: 3-line block ×3, first 2 shown]
	s_cmp_gt_i32 s0, 9
	s_cbranch_scc0 .LBB134_2956
; %bb.2955:
	s_wait_xcnt 0x0
	v_cndmask_b32_e64 v1, 0, 1, s9
	v_mov_b32_e32 v6, 0
	s_mov_b32 s2, 0
	s_delay_alu instid0(VALU_DEP_2) | instskip(NEXT) | instid1(VALU_DEP_2)
	v_cvt_f64_u32_e32 v[4:5], v1
	v_mov_b32_e32 v7, v6
	global_store_b128 v[2:3], v[4:7], off
.LBB134_2956:
	s_and_not1_b32 vcc_lo, exec_lo, s2
	s_cbranch_vccnz .LBB134_2958
; %bb.2957:
	s_wait_xcnt 0x0
	v_cndmask_b32_e64 v4, 0, 1.0, s9
	v_mov_b32_e32 v5, 0
	global_store_b64 v[2:3], v[4:5], off
.LBB134_2958:
	s_mov_b32 s2, 0
.LBB134_2959:
	s_delay_alu instid0(SALU_CYCLE_1)
	s_and_not1_b32 vcc_lo, exec_lo, s2
	s_cbranch_vccnz .LBB134_2961
; %bb.2960:
	s_wait_xcnt 0x0
	v_cndmask_b32_e64 v1, 0, 1.0, s9
	s_delay_alu instid0(VALU_DEP_1) | instskip(NEXT) | instid1(VALU_DEP_1)
	v_cvt_f16_f32_e32 v1, v1
	v_and_b32_e32 v1, 0xffff, v1
	global_store_b32 v[2:3], v1, off
.LBB134_2961:
	s_mov_b32 s2, 0
.LBB134_2962:
	s_delay_alu instid0(SALU_CYCLE_1)
	s_and_not1_b32 vcc_lo, exec_lo, s2
	s_cbranch_vccnz .LBB134_2971
; %bb.2963:
	s_cmp_lt_i32 s0, 6
	s_mov_b32 s2, -1
	s_cbranch_scc1 .LBB134_2969
; %bb.2964:
	s_cmp_gt_i32 s0, 6
	s_cbranch_scc0 .LBB134_2966
; %bb.2965:
	s_wait_xcnt 0x0
	v_cndmask_b32_e64 v1, 0, 1, s9
	s_mov_b32 s2, 0
	s_delay_alu instid0(VALU_DEP_1)
	v_cvt_f64_u32_e32 v[4:5], v1
	global_store_b64 v[2:3], v[4:5], off
.LBB134_2966:
	s_and_not1_b32 vcc_lo, exec_lo, s2
	s_cbranch_vccnz .LBB134_2968
; %bb.2967:
	s_wait_xcnt 0x0
	v_cndmask_b32_e64 v1, 0, 1.0, s9
	global_store_b32 v[2:3], v1, off
.LBB134_2968:
	s_mov_b32 s2, 0
.LBB134_2969:
	s_delay_alu instid0(SALU_CYCLE_1)
	s_and_not1_b32 vcc_lo, exec_lo, s2
	s_cbranch_vccnz .LBB134_2971
; %bb.2970:
	s_wait_xcnt 0x0
	v_cndmask_b32_e64 v1, 0, 1.0, s9
	s_delay_alu instid0(VALU_DEP_1)
	v_cvt_f16_f32_e32 v1, v1
	global_store_b16 v[2:3], v1, off
.LBB134_2971:
	s_mov_b32 s2, 0
.LBB134_2972:
	s_delay_alu instid0(SALU_CYCLE_1)
	s_and_not1_b32 vcc_lo, exec_lo, s2
	s_cbranch_vccnz .LBB134_2988
; %bb.2973:
	s_cmp_lt_i32 s0, 2
	s_mov_b32 s2, -1
	s_cbranch_scc1 .LBB134_2983
; %bb.2974:
	s_cmp_lt_i32 s0, 3
	s_cbranch_scc1 .LBB134_2980
; %bb.2975:
	s_cmp_gt_i32 s0, 3
	s_cbranch_scc0 .LBB134_2977
; %bb.2976:
	s_mov_b32 s2, 0
	s_wait_xcnt 0x0
	v_cndmask_b32_e64 v4, 0, 1, s9
	v_mov_b32_e32 v5, s2
	global_store_b64 v[2:3], v[4:5], off
.LBB134_2977:
	s_and_not1_b32 vcc_lo, exec_lo, s2
	s_cbranch_vccnz .LBB134_2979
; %bb.2978:
	s_wait_xcnt 0x0
	v_cndmask_b32_e64 v1, 0, 1, s9
	global_store_b32 v[2:3], v1, off
.LBB134_2979:
	s_mov_b32 s2, 0
.LBB134_2980:
	s_delay_alu instid0(SALU_CYCLE_1)
	s_and_not1_b32 vcc_lo, exec_lo, s2
	s_cbranch_vccnz .LBB134_2982
; %bb.2981:
	s_wait_xcnt 0x0
	v_cndmask_b32_e64 v1, 0, 1, s9
	global_store_b16 v[2:3], v1, off
.LBB134_2982:
	s_mov_b32 s2, 0
.LBB134_2983:
	s_delay_alu instid0(SALU_CYCLE_1)
	s_and_not1_b32 vcc_lo, exec_lo, s2
	s_cbranch_vccnz .LBB134_2988
; %bb.2984:
	s_wait_xcnt 0x0
	v_cndmask_b32_e64 v1, 0, 1, s9
	s_cmp_gt_i32 s0, 0
	s_mov_b32 s0, -1
	s_cbranch_scc0 .LBB134_2986
; %bb.2985:
	s_mov_b32 s0, 0
	global_store_b8 v[2:3], v1, off
.LBB134_2986:
	s_and_not1_b32 vcc_lo, exec_lo, s0
	s_cbranch_vccnz .LBB134_2988
; %bb.2987:
	global_store_b8 v[2:3], v1, off
.LBB134_2988:
	s_mov_b32 s6, -1
.LBB134_2989:
	s_delay_alu instid0(SALU_CYCLE_1)
	s_and_not1_b32 vcc_lo, exec_lo, s6
	s_cbranch_vccnz .LBB134_3185
; %bb.2990:
	v_add_nc_u32_e32 v0, s1, v0
	s_cmp_lt_i32 s18, 11
	s_wait_xcnt 0x0
	s_delay_alu instid0(VALU_DEP_1) | instskip(NEXT) | instid1(VALU_DEP_1)
	v_ashrrev_i32_e32 v1, 31, v0
	v_add_nc_u64_e32 v[2:3], s[4:5], v[0:1]
	s_cbranch_scc1 .LBB134_3068
; %bb.2991:
	s_and_b32 s2, 0xffff, s18
	s_mov_b32 s7, -1
	s_mov_b32 s3, 0
	s_cmp_gt_i32 s2, 25
	s_mov_b32 s6, 0
	s_mov_b32 s0, 0
	s_cbranch_scc0 .LBB134_3024
; %bb.2992:
	s_cmp_gt_i32 s2, 28
	s_cbranch_scc0 .LBB134_3007
; %bb.2993:
	s_cmp_gt_i32 s2, 43
	;; [unrolled: 3-line block ×3, first 2 shown]
	s_cbranch_scc0 .LBB134_2997
; %bb.2995:
	s_mov_b32 s0, -1
	s_mov_b32 s7, 0
	s_cmp_eq_u32 s2, 46
	s_cbranch_scc0 .LBB134_2997
; %bb.2996:
	v_cndmask_b32_e64 v1, 0, 1.0, s10
	s_mov_b32 s0, 0
	s_mov_b32 s6, -1
	s_delay_alu instid0(VALU_DEP_1) | instskip(NEXT) | instid1(VALU_DEP_1)
	v_bfe_u32 v4, v1, 16, 1
	v_add3_u32 v1, v1, v4, 0x7fff
	s_delay_alu instid0(VALU_DEP_1)
	v_lshrrev_b32_e32 v1, 16, v1
	global_store_b32 v[2:3], v1, off
.LBB134_2997:
	s_and_b32 vcc_lo, exec_lo, s7
	s_cbranch_vccz .LBB134_3002
; %bb.2998:
	s_cmp_eq_u32 s2, 44
	s_mov_b32 s0, -1
	s_cbranch_scc0 .LBB134_3002
; %bb.2999:
	v_cndmask_b32_e64 v5, 0, 1.0, s10
	s_mov_b32 s6, exec_lo
	s_wait_xcnt 0x0
	s_delay_alu instid0(VALU_DEP_1) | instskip(NEXT) | instid1(VALU_DEP_1)
	v_dual_mov_b32 v4, 0xff :: v_dual_lshrrev_b32 v1, 23, v5
	v_cmpx_ne_u32_e32 0xff, v1
; %bb.3000:
	v_and_b32_e32 v4, 0x400000, v5
	v_and_or_b32 v5, 0x3fffff, v5, v1
	s_delay_alu instid0(VALU_DEP_2) | instskip(NEXT) | instid1(VALU_DEP_2)
	v_cmp_ne_u32_e32 vcc_lo, 0, v4
	v_cmp_ne_u32_e64 s0, 0, v5
	s_and_b32 s0, vcc_lo, s0
	s_delay_alu instid0(SALU_CYCLE_1) | instskip(NEXT) | instid1(VALU_DEP_1)
	v_cndmask_b32_e64 v4, 0, 1, s0
	v_add_nc_u32_e32 v4, v1, v4
; %bb.3001:
	s_or_b32 exec_lo, exec_lo, s6
	s_mov_b32 s0, 0
	s_mov_b32 s6, -1
	global_store_b8 v[2:3], v4, off
.LBB134_3002:
	s_mov_b32 s7, 0
.LBB134_3003:
	s_delay_alu instid0(SALU_CYCLE_1)
	s_and_b32 vcc_lo, exec_lo, s7
	s_cbranch_vccz .LBB134_3006
; %bb.3004:
	s_cmp_eq_u32 s2, 29
	s_mov_b32 s0, -1
	s_cbranch_scc0 .LBB134_3006
; %bb.3005:
	s_mov_b32 s0, 0
	s_wait_xcnt 0x0
	v_cndmask_b32_e64 v4, 0, 1, s10
	v_mov_b32_e32 v5, s0
	s_mov_b32 s6, -1
	global_store_b64 v[2:3], v[4:5], off
.LBB134_3006:
	s_mov_b32 s7, 0
.LBB134_3007:
	s_delay_alu instid0(SALU_CYCLE_1)
	s_and_b32 vcc_lo, exec_lo, s7
	s_cbranch_vccz .LBB134_3023
; %bb.3008:
	s_cmp_lt_i32 s2, 27
	s_mov_b32 s6, -1
	s_cbranch_scc1 .LBB134_3014
; %bb.3009:
	s_cmp_gt_i32 s2, 27
	s_cbranch_scc0 .LBB134_3011
; %bb.3010:
	s_wait_xcnt 0x0
	v_cndmask_b32_e64 v1, 0, 1, s10
	s_mov_b32 s6, 0
	global_store_b32 v[2:3], v1, off
.LBB134_3011:
	s_and_not1_b32 vcc_lo, exec_lo, s6
	s_cbranch_vccnz .LBB134_3013
; %bb.3012:
	s_wait_xcnt 0x0
	v_cndmask_b32_e64 v1, 0, 1, s10
	global_store_b16 v[2:3], v1, off
.LBB134_3013:
	s_mov_b32 s6, 0
.LBB134_3014:
	s_delay_alu instid0(SALU_CYCLE_1)
	s_and_not1_b32 vcc_lo, exec_lo, s6
	s_cbranch_vccnz .LBB134_3022
; %bb.3015:
	s_wait_xcnt 0x0
	v_cndmask_b32_e64 v4, 0, 1.0, s10
	v_mov_b32_e32 v5, 0x80
	s_mov_b32 s6, exec_lo
	s_delay_alu instid0(VALU_DEP_2)
	v_cmpx_gt_u32_e32 0x43800000, v4
	s_cbranch_execz .LBB134_3021
; %bb.3016:
	s_mov_b32 s7, 0
	s_mov_b32 s8, exec_lo
                                        ; implicit-def: $vgpr1
	v_cmpx_lt_u32_e32 0x3bffffff, v4
	s_xor_b32 s8, exec_lo, s8
	s_cbranch_execz .LBB134_3197
; %bb.3017:
	v_bfe_u32 v1, v4, 20, 1
	s_mov_b32 s7, exec_lo
	s_delay_alu instid0(VALU_DEP_1) | instskip(NEXT) | instid1(VALU_DEP_1)
	v_add3_u32 v1, v4, v1, 0x487ffff
                                        ; implicit-def: $vgpr4
	v_lshrrev_b32_e32 v1, 20, v1
	s_and_not1_saveexec_b32 s8, s8
	s_cbranch_execnz .LBB134_3198
.LBB134_3018:
	s_or_b32 exec_lo, exec_lo, s8
	v_mov_b32_e32 v5, 0
	s_and_saveexec_b32 s8, s7
.LBB134_3019:
	v_mov_b32_e32 v5, v1
.LBB134_3020:
	s_or_b32 exec_lo, exec_lo, s8
.LBB134_3021:
	s_delay_alu instid0(SALU_CYCLE_1)
	s_or_b32 exec_lo, exec_lo, s6
	global_store_b8 v[2:3], v5, off
.LBB134_3022:
	s_mov_b32 s6, -1
.LBB134_3023:
	s_mov_b32 s7, 0
.LBB134_3024:
	s_delay_alu instid0(SALU_CYCLE_1)
	s_and_b32 vcc_lo, exec_lo, s7
	s_cbranch_vccz .LBB134_3064
; %bb.3025:
	s_cmp_gt_i32 s2, 22
	s_mov_b32 s3, -1
	s_cbranch_scc0 .LBB134_3057
; %bb.3026:
	s_cmp_lt_i32 s2, 24
	s_cbranch_scc1 .LBB134_3046
; %bb.3027:
	s_cmp_gt_i32 s2, 24
	s_cbranch_scc0 .LBB134_3035
; %bb.3028:
	s_wait_xcnt 0x0
	v_cndmask_b32_e64 v4, 0, 1.0, s10
	v_mov_b32_e32 v5, 0x80
	s_mov_b32 s3, exec_lo
	s_delay_alu instid0(VALU_DEP_2)
	v_cmpx_gt_u32_e32 0x47800000, v4
	s_cbranch_execz .LBB134_3034
; %bb.3029:
	s_mov_b32 s6, 0
	s_mov_b32 s7, exec_lo
                                        ; implicit-def: $vgpr1
	v_cmpx_lt_u32_e32 0x37ffffff, v4
	s_xor_b32 s7, exec_lo, s7
	s_cbranch_execz .LBB134_3200
; %bb.3030:
	v_bfe_u32 v1, v4, 21, 1
	s_mov_b32 s6, exec_lo
	s_delay_alu instid0(VALU_DEP_1) | instskip(NEXT) | instid1(VALU_DEP_1)
	v_add3_u32 v1, v4, v1, 0x88fffff
                                        ; implicit-def: $vgpr4
	v_lshrrev_b32_e32 v1, 21, v1
	s_and_not1_saveexec_b32 s7, s7
	s_cbranch_execnz .LBB134_3201
.LBB134_3031:
	s_or_b32 exec_lo, exec_lo, s7
	v_mov_b32_e32 v5, 0
	s_and_saveexec_b32 s7, s6
.LBB134_3032:
	v_mov_b32_e32 v5, v1
.LBB134_3033:
	s_or_b32 exec_lo, exec_lo, s7
.LBB134_3034:
	s_delay_alu instid0(SALU_CYCLE_1)
	s_or_b32 exec_lo, exec_lo, s3
	s_mov_b32 s3, 0
	global_store_b8 v[2:3], v5, off
.LBB134_3035:
	s_and_b32 vcc_lo, exec_lo, s3
	s_cbranch_vccz .LBB134_3045
; %bb.3036:
	s_wait_xcnt 0x0
	v_cndmask_b32_e64 v4, 0, 1.0, s10
	s_mov_b32 s3, exec_lo
                                        ; implicit-def: $vgpr1
	s_delay_alu instid0(VALU_DEP_1)
	v_cmpx_gt_u32_e32 0x43f00000, v4
	s_xor_b32 s3, exec_lo, s3
	s_cbranch_execz .LBB134_3042
; %bb.3037:
	s_mov_b32 s6, exec_lo
                                        ; implicit-def: $vgpr1
	v_cmpx_lt_u32_e32 0x3c7fffff, v4
	s_xor_b32 s6, exec_lo, s6
; %bb.3038:
	v_bfe_u32 v1, v4, 20, 1
	s_delay_alu instid0(VALU_DEP_1) | instskip(NEXT) | instid1(VALU_DEP_1)
	v_add3_u32 v1, v4, v1, 0x407ffff
	v_and_b32_e32 v4, 0xff00000, v1
	v_lshrrev_b32_e32 v1, 20, v1
	s_delay_alu instid0(VALU_DEP_2) | instskip(NEXT) | instid1(VALU_DEP_2)
	v_cmp_ne_u32_e32 vcc_lo, 0x7f00000, v4
                                        ; implicit-def: $vgpr4
	v_cndmask_b32_e32 v1, 0x7e, v1, vcc_lo
; %bb.3039:
	s_and_not1_saveexec_b32 s6, s6
; %bb.3040:
	v_add_f32_e32 v1, 0x46800000, v4
; %bb.3041:
	s_or_b32 exec_lo, exec_lo, s6
                                        ; implicit-def: $vgpr4
.LBB134_3042:
	s_and_not1_saveexec_b32 s3, s3
; %bb.3043:
	v_mov_b32_e32 v1, 0x7f
	v_cmp_lt_u32_e32 vcc_lo, 0x7f800000, v4
	s_delay_alu instid0(VALU_DEP_2)
	v_cndmask_b32_e32 v1, 0x7e, v1, vcc_lo
; %bb.3044:
	s_or_b32 exec_lo, exec_lo, s3
	global_store_b8 v[2:3], v1, off
.LBB134_3045:
	s_mov_b32 s3, 0
.LBB134_3046:
	s_delay_alu instid0(SALU_CYCLE_1)
	s_and_not1_b32 vcc_lo, exec_lo, s3
	s_cbranch_vccnz .LBB134_3056
; %bb.3047:
	s_wait_xcnt 0x0
	v_cndmask_b32_e64 v4, 0, 1.0, s10
	s_mov_b32 s3, exec_lo
                                        ; implicit-def: $vgpr1
	s_delay_alu instid0(VALU_DEP_1)
	v_cmpx_gt_u32_e32 0x47800000, v4
	s_xor_b32 s3, exec_lo, s3
	s_cbranch_execz .LBB134_3053
; %bb.3048:
	s_mov_b32 s6, exec_lo
                                        ; implicit-def: $vgpr1
	v_cmpx_lt_u32_e32 0x387fffff, v4
	s_xor_b32 s6, exec_lo, s6
; %bb.3049:
	v_bfe_u32 v1, v4, 21, 1
	s_delay_alu instid0(VALU_DEP_1) | instskip(NEXT) | instid1(VALU_DEP_1)
	v_add3_u32 v1, v4, v1, 0x80fffff
                                        ; implicit-def: $vgpr4
	v_lshrrev_b32_e32 v1, 21, v1
; %bb.3050:
	s_and_not1_saveexec_b32 s6, s6
; %bb.3051:
	v_add_f32_e32 v1, 0x43000000, v4
; %bb.3052:
	s_or_b32 exec_lo, exec_lo, s6
                                        ; implicit-def: $vgpr4
.LBB134_3053:
	s_and_not1_saveexec_b32 s3, s3
; %bb.3054:
	v_mov_b32_e32 v1, 0x7f
	v_cmp_lt_u32_e32 vcc_lo, 0x7f800000, v4
	s_delay_alu instid0(VALU_DEP_2)
	v_cndmask_b32_e32 v1, 0x7c, v1, vcc_lo
; %bb.3055:
	s_or_b32 exec_lo, exec_lo, s3
	global_store_b8 v[2:3], v1, off
.LBB134_3056:
	s_mov_b32 s3, 0
	s_mov_b32 s6, -1
.LBB134_3057:
	s_and_not1_b32 vcc_lo, exec_lo, s3
	s_mov_b32 s3, 0
	s_cbranch_vccnz .LBB134_3064
; %bb.3058:
	s_cmp_gt_i32 s2, 14
	s_mov_b32 s3, -1
	s_cbranch_scc0 .LBB134_3062
; %bb.3059:
	s_cmp_eq_u32 s2, 15
	s_mov_b32 s0, -1
	s_cbranch_scc0 .LBB134_3061
; %bb.3060:
	s_wait_xcnt 0x0
	v_cndmask_b32_e64 v1, 0, 1.0, s10
	s_mov_b32 s0, 0
	s_mov_b32 s6, -1
	s_delay_alu instid0(VALU_DEP_1) | instskip(NEXT) | instid1(VALU_DEP_1)
	v_bfe_u32 v4, v1, 16, 1
	v_add3_u32 v1, v1, v4, 0x7fff
	global_store_d16_hi_b16 v[2:3], v1, off
.LBB134_3061:
	s_mov_b32 s3, 0
.LBB134_3062:
	s_delay_alu instid0(SALU_CYCLE_1)
	s_and_b32 vcc_lo, exec_lo, s3
	s_mov_b32 s3, 0
	s_cbranch_vccz .LBB134_3064
; %bb.3063:
	s_cmp_lg_u32 s2, 11
	s_mov_b32 s3, -1
	s_cselect_b32 s0, -1, 0
.LBB134_3064:
	s_delay_alu instid0(SALU_CYCLE_1)
	s_and_b32 vcc_lo, exec_lo, s0
	s_cbranch_vccnz .LBB134_3199
; %bb.3065:
	s_and_not1_b32 vcc_lo, exec_lo, s3
	s_cbranch_vccnz .LBB134_3067
.LBB134_3066:
	s_wait_xcnt 0x0
	v_cndmask_b32_e64 v1, 0, 1, s10
	s_mov_b32 s6, -1
	global_store_b8 v[2:3], v1, off
.LBB134_3067:
	s_mov_b32 s0, 0
	s_branch .LBB134_3069
.LBB134_3068:
	s_mov_b32 s0, -1
	s_mov_b32 s6, 0
.LBB134_3069:
	s_and_b32 vcc_lo, exec_lo, s0
	s_cbranch_vccz .LBB134_3108
; %bb.3070:
	s_and_b32 s0, 0xffff, s18
	s_mov_b32 s2, -1
	s_cmp_lt_i32 s0, 5
	s_cbranch_scc1 .LBB134_3091
; %bb.3071:
	s_cmp_lt_i32 s0, 8
	s_cbranch_scc1 .LBB134_3081
; %bb.3072:
	;; [unrolled: 3-line block ×3, first 2 shown]
	s_cmp_gt_i32 s0, 9
	s_cbranch_scc0 .LBB134_3075
; %bb.3074:
	s_wait_xcnt 0x0
	v_cndmask_b32_e64 v1, 0, 1, s10
	v_mov_b32_e32 v6, 0
	s_mov_b32 s2, 0
	s_delay_alu instid0(VALU_DEP_2) | instskip(NEXT) | instid1(VALU_DEP_2)
	v_cvt_f64_u32_e32 v[4:5], v1
	v_mov_b32_e32 v7, v6
	global_store_b128 v[2:3], v[4:7], off
.LBB134_3075:
	s_and_not1_b32 vcc_lo, exec_lo, s2
	s_cbranch_vccnz .LBB134_3077
; %bb.3076:
	s_wait_xcnt 0x0
	v_cndmask_b32_e64 v4, 0, 1.0, s10
	v_mov_b32_e32 v5, 0
	global_store_b64 v[2:3], v[4:5], off
.LBB134_3077:
	s_mov_b32 s2, 0
.LBB134_3078:
	s_delay_alu instid0(SALU_CYCLE_1)
	s_and_not1_b32 vcc_lo, exec_lo, s2
	s_cbranch_vccnz .LBB134_3080
; %bb.3079:
	s_wait_xcnt 0x0
	v_cndmask_b32_e64 v1, 0, 1.0, s10
	s_delay_alu instid0(VALU_DEP_1) | instskip(NEXT) | instid1(VALU_DEP_1)
	v_cvt_f16_f32_e32 v1, v1
	v_and_b32_e32 v1, 0xffff, v1
	global_store_b32 v[2:3], v1, off
.LBB134_3080:
	s_mov_b32 s2, 0
.LBB134_3081:
	s_delay_alu instid0(SALU_CYCLE_1)
	s_and_not1_b32 vcc_lo, exec_lo, s2
	s_cbranch_vccnz .LBB134_3090
; %bb.3082:
	s_cmp_lt_i32 s0, 6
	s_mov_b32 s2, -1
	s_cbranch_scc1 .LBB134_3088
; %bb.3083:
	s_cmp_gt_i32 s0, 6
	s_cbranch_scc0 .LBB134_3085
; %bb.3084:
	s_wait_xcnt 0x0
	v_cndmask_b32_e64 v1, 0, 1, s10
	s_mov_b32 s2, 0
	s_delay_alu instid0(VALU_DEP_1)
	v_cvt_f64_u32_e32 v[4:5], v1
	global_store_b64 v[2:3], v[4:5], off
.LBB134_3085:
	s_and_not1_b32 vcc_lo, exec_lo, s2
	s_cbranch_vccnz .LBB134_3087
; %bb.3086:
	s_wait_xcnt 0x0
	v_cndmask_b32_e64 v1, 0, 1.0, s10
	global_store_b32 v[2:3], v1, off
.LBB134_3087:
	s_mov_b32 s2, 0
.LBB134_3088:
	s_delay_alu instid0(SALU_CYCLE_1)
	s_and_not1_b32 vcc_lo, exec_lo, s2
	s_cbranch_vccnz .LBB134_3090
; %bb.3089:
	s_wait_xcnt 0x0
	v_cndmask_b32_e64 v1, 0, 1.0, s10
	s_delay_alu instid0(VALU_DEP_1)
	v_cvt_f16_f32_e32 v1, v1
	global_store_b16 v[2:3], v1, off
.LBB134_3090:
	s_mov_b32 s2, 0
.LBB134_3091:
	s_delay_alu instid0(SALU_CYCLE_1)
	s_and_not1_b32 vcc_lo, exec_lo, s2
	s_cbranch_vccnz .LBB134_3107
; %bb.3092:
	s_cmp_lt_i32 s0, 2
	s_mov_b32 s2, -1
	s_cbranch_scc1 .LBB134_3102
; %bb.3093:
	s_cmp_lt_i32 s0, 3
	s_cbranch_scc1 .LBB134_3099
; %bb.3094:
	s_cmp_gt_i32 s0, 3
	s_cbranch_scc0 .LBB134_3096
; %bb.3095:
	s_mov_b32 s2, 0
	s_wait_xcnt 0x0
	v_cndmask_b32_e64 v4, 0, 1, s10
	v_mov_b32_e32 v5, s2
	global_store_b64 v[2:3], v[4:5], off
.LBB134_3096:
	s_and_not1_b32 vcc_lo, exec_lo, s2
	s_cbranch_vccnz .LBB134_3098
; %bb.3097:
	s_wait_xcnt 0x0
	v_cndmask_b32_e64 v1, 0, 1, s10
	global_store_b32 v[2:3], v1, off
.LBB134_3098:
	s_mov_b32 s2, 0
.LBB134_3099:
	s_delay_alu instid0(SALU_CYCLE_1)
	s_and_not1_b32 vcc_lo, exec_lo, s2
	s_cbranch_vccnz .LBB134_3101
; %bb.3100:
	s_wait_xcnt 0x0
	v_cndmask_b32_e64 v1, 0, 1, s10
	global_store_b16 v[2:3], v1, off
.LBB134_3101:
	s_mov_b32 s2, 0
.LBB134_3102:
	s_delay_alu instid0(SALU_CYCLE_1)
	s_and_not1_b32 vcc_lo, exec_lo, s2
	s_cbranch_vccnz .LBB134_3107
; %bb.3103:
	s_wait_xcnt 0x0
	v_cndmask_b32_e64 v1, 0, 1, s10
	s_cmp_gt_i32 s0, 0
	s_mov_b32 s0, -1
	s_cbranch_scc0 .LBB134_3105
; %bb.3104:
	s_mov_b32 s0, 0
	global_store_b8 v[2:3], v1, off
.LBB134_3105:
	s_and_not1_b32 vcc_lo, exec_lo, s0
	s_cbranch_vccnz .LBB134_3107
; %bb.3106:
	global_store_b8 v[2:3], v1, off
.LBB134_3107:
	s_mov_b32 s6, -1
.LBB134_3108:
	s_delay_alu instid0(SALU_CYCLE_1)
	s_and_not1_b32 vcc_lo, exec_lo, s6
	s_cbranch_vccnz .LBB134_3185
; %bb.3109:
	v_add_nc_u32_e32 v0, s1, v0
	s_cmp_lt_i32 s18, 11
	s_wait_xcnt 0x0
	s_delay_alu instid0(VALU_DEP_1) | instskip(NEXT) | instid1(VALU_DEP_1)
	v_ashrrev_i32_e32 v1, 31, v0
	v_add_nc_u64_e32 v[0:1], s[4:5], v[0:1]
	s_cbranch_scc1 .LBB134_3186
; %bb.3110:
	s_and_b32 s1, 0xffff, s18
	s_mov_b32 s3, -1
	s_mov_b32 s2, 0
	s_cmp_gt_i32 s1, 25
	s_mov_b32 s0, 0
	s_cbranch_scc0 .LBB134_3143
; %bb.3111:
	s_cmp_gt_i32 s1, 28
	s_cbranch_scc0 .LBB134_3127
; %bb.3112:
	s_cmp_gt_i32 s1, 43
	s_cbranch_scc0 .LBB134_3123
; %bb.3113:
	s_cmp_gt_i32 s1, 45
	s_cbranch_scc0 .LBB134_3117
; %bb.3114:
	s_cmp_eq_u32 s1, 46
	s_mov_b32 s0, -1
	s_cbranch_scc0 .LBB134_3116
; %bb.3115:
	v_cndmask_b32_e64 v2, 0, 1.0, s17
	s_mov_b32 s0, 0
	s_delay_alu instid0(VALU_DEP_1) | instskip(NEXT) | instid1(VALU_DEP_1)
	v_bfe_u32 v3, v2, 16, 1
	v_add3_u32 v2, v2, v3, 0x7fff
	s_delay_alu instid0(VALU_DEP_1)
	v_lshrrev_b32_e32 v2, 16, v2
	global_store_b32 v[0:1], v2, off
.LBB134_3116:
	s_mov_b32 s3, 0
.LBB134_3117:
	s_delay_alu instid0(SALU_CYCLE_1)
	s_and_b32 vcc_lo, exec_lo, s3
	s_cbranch_vccz .LBB134_3122
; %bb.3118:
	s_cmp_eq_u32 s1, 44
	s_mov_b32 s0, -1
	s_cbranch_scc0 .LBB134_3122
; %bb.3119:
	v_cndmask_b32_e64 v4, 0, 1.0, s17
	s_mov_b32 s3, exec_lo
	s_wait_xcnt 0x0
	s_delay_alu instid0(VALU_DEP_1) | instskip(NEXT) | instid1(VALU_DEP_1)
	v_dual_mov_b32 v3, 0xff :: v_dual_lshrrev_b32 v2, 23, v4
	v_cmpx_ne_u32_e32 0xff, v2
; %bb.3120:
	v_and_b32_e32 v3, 0x400000, v4
	v_and_or_b32 v4, 0x3fffff, v4, v2
	s_delay_alu instid0(VALU_DEP_2) | instskip(NEXT) | instid1(VALU_DEP_2)
	v_cmp_ne_u32_e32 vcc_lo, 0, v3
	v_cmp_ne_u32_e64 s0, 0, v4
	s_and_b32 s0, vcc_lo, s0
	s_delay_alu instid0(SALU_CYCLE_1) | instskip(NEXT) | instid1(VALU_DEP_1)
	v_cndmask_b32_e64 v3, 0, 1, s0
	v_add_nc_u32_e32 v3, v2, v3
; %bb.3121:
	s_or_b32 exec_lo, exec_lo, s3
	s_mov_b32 s0, 0
	global_store_b8 v[0:1], v3, off
.LBB134_3122:
	s_mov_b32 s3, 0
.LBB134_3123:
	s_delay_alu instid0(SALU_CYCLE_1)
	s_and_b32 vcc_lo, exec_lo, s3
	s_cbranch_vccz .LBB134_3126
; %bb.3124:
	s_cmp_eq_u32 s1, 29
	s_mov_b32 s0, -1
	s_cbranch_scc0 .LBB134_3126
; %bb.3125:
	s_mov_b32 s0, 0
	s_wait_xcnt 0x0
	v_cndmask_b32_e64 v2, 0, 1, s17
	v_mov_b32_e32 v3, s0
	global_store_b64 v[0:1], v[2:3], off
.LBB134_3126:
	s_mov_b32 s3, 0
.LBB134_3127:
	s_delay_alu instid0(SALU_CYCLE_1)
	s_and_b32 vcc_lo, exec_lo, s3
	s_cbranch_vccz .LBB134_3142
; %bb.3128:
	s_cmp_lt_i32 s1, 27
	s_mov_b32 s3, -1
	s_cbranch_scc1 .LBB134_3134
; %bb.3129:
	s_wait_xcnt 0x0
	v_cndmask_b32_e64 v2, 0, 1, s17
	s_cmp_gt_i32 s1, 27
	s_cbranch_scc0 .LBB134_3131
; %bb.3130:
	s_mov_b32 s3, 0
	global_store_b32 v[0:1], v2, off
.LBB134_3131:
	s_and_not1_b32 vcc_lo, exec_lo, s3
	s_cbranch_vccnz .LBB134_3133
; %bb.3132:
	global_store_b16 v[0:1], v2, off
.LBB134_3133:
	s_mov_b32 s3, 0
.LBB134_3134:
	s_delay_alu instid0(SALU_CYCLE_1)
	s_and_not1_b32 vcc_lo, exec_lo, s3
	s_cbranch_vccnz .LBB134_3142
; %bb.3135:
	s_wait_xcnt 0x0
	v_cndmask_b32_e64 v3, 0, 1.0, s17
	v_mov_b32_e32 v4, 0x80
	s_mov_b32 s3, exec_lo
	s_delay_alu instid0(VALU_DEP_2)
	v_cmpx_gt_u32_e32 0x43800000, v3
	s_cbranch_execz .LBB134_3141
; %bb.3136:
	s_mov_b32 s4, 0
	s_mov_b32 s5, exec_lo
                                        ; implicit-def: $vgpr2
	v_cmpx_lt_u32_e32 0x3bffffff, v3
	s_xor_b32 s5, exec_lo, s5
	s_cbranch_execz .LBB134_3202
; %bb.3137:
	v_bfe_u32 v2, v3, 20, 1
	s_mov_b32 s4, exec_lo
	s_delay_alu instid0(VALU_DEP_1) | instskip(NEXT) | instid1(VALU_DEP_1)
	v_add3_u32 v2, v3, v2, 0x487ffff
                                        ; implicit-def: $vgpr3
	v_lshrrev_b32_e32 v2, 20, v2
	s_and_not1_saveexec_b32 s5, s5
	s_cbranch_execnz .LBB134_3203
.LBB134_3138:
	s_or_b32 exec_lo, exec_lo, s5
	v_mov_b32_e32 v4, 0
	s_and_saveexec_b32 s5, s4
.LBB134_3139:
	v_mov_b32_e32 v4, v2
.LBB134_3140:
	s_or_b32 exec_lo, exec_lo, s5
.LBB134_3141:
	s_delay_alu instid0(SALU_CYCLE_1)
	s_or_b32 exec_lo, exec_lo, s3
	global_store_b8 v[0:1], v4, off
.LBB134_3142:
	s_mov_b32 s3, 0
.LBB134_3143:
	s_delay_alu instid0(SALU_CYCLE_1)
	s_and_b32 vcc_lo, exec_lo, s3
	s_cbranch_vccz .LBB134_3183
; %bb.3144:
	s_cmp_gt_i32 s1, 22
	s_mov_b32 s2, -1
	s_cbranch_scc0 .LBB134_3176
; %bb.3145:
	s_cmp_lt_i32 s1, 24
	s_cbranch_scc1 .LBB134_3165
; %bb.3146:
	s_cmp_gt_i32 s1, 24
	s_cbranch_scc0 .LBB134_3154
; %bb.3147:
	s_wait_xcnt 0x0
	v_cndmask_b32_e64 v3, 0, 1.0, s17
	v_mov_b32_e32 v4, 0x80
	s_mov_b32 s2, exec_lo
	s_delay_alu instid0(VALU_DEP_2)
	v_cmpx_gt_u32_e32 0x47800000, v3
	s_cbranch_execz .LBB134_3153
; %bb.3148:
	s_mov_b32 s3, 0
	s_mov_b32 s4, exec_lo
                                        ; implicit-def: $vgpr2
	v_cmpx_lt_u32_e32 0x37ffffff, v3
	s_xor_b32 s4, exec_lo, s4
	s_cbranch_execz .LBB134_3205
; %bb.3149:
	v_bfe_u32 v2, v3, 21, 1
	s_mov_b32 s3, exec_lo
	s_delay_alu instid0(VALU_DEP_1) | instskip(NEXT) | instid1(VALU_DEP_1)
	v_add3_u32 v2, v3, v2, 0x88fffff
                                        ; implicit-def: $vgpr3
	v_lshrrev_b32_e32 v2, 21, v2
	s_and_not1_saveexec_b32 s4, s4
	s_cbranch_execnz .LBB134_3206
.LBB134_3150:
	s_or_b32 exec_lo, exec_lo, s4
	v_mov_b32_e32 v4, 0
	s_and_saveexec_b32 s4, s3
.LBB134_3151:
	v_mov_b32_e32 v4, v2
.LBB134_3152:
	s_or_b32 exec_lo, exec_lo, s4
.LBB134_3153:
	s_delay_alu instid0(SALU_CYCLE_1)
	s_or_b32 exec_lo, exec_lo, s2
	s_mov_b32 s2, 0
	global_store_b8 v[0:1], v4, off
.LBB134_3154:
	s_and_b32 vcc_lo, exec_lo, s2
	s_cbranch_vccz .LBB134_3164
; %bb.3155:
	s_wait_xcnt 0x0
	v_cndmask_b32_e64 v3, 0, 1.0, s17
	s_mov_b32 s2, exec_lo
                                        ; implicit-def: $vgpr2
	s_delay_alu instid0(VALU_DEP_1)
	v_cmpx_gt_u32_e32 0x43f00000, v3
	s_xor_b32 s2, exec_lo, s2
	s_cbranch_execz .LBB134_3161
; %bb.3156:
	s_mov_b32 s3, exec_lo
                                        ; implicit-def: $vgpr2
	v_cmpx_lt_u32_e32 0x3c7fffff, v3
	s_xor_b32 s3, exec_lo, s3
; %bb.3157:
	v_bfe_u32 v2, v3, 20, 1
	s_delay_alu instid0(VALU_DEP_1) | instskip(NEXT) | instid1(VALU_DEP_1)
	v_add3_u32 v2, v3, v2, 0x407ffff
	v_and_b32_e32 v3, 0xff00000, v2
	v_lshrrev_b32_e32 v2, 20, v2
	s_delay_alu instid0(VALU_DEP_2) | instskip(NEXT) | instid1(VALU_DEP_2)
	v_cmp_ne_u32_e32 vcc_lo, 0x7f00000, v3
                                        ; implicit-def: $vgpr3
	v_cndmask_b32_e32 v2, 0x7e, v2, vcc_lo
; %bb.3158:
	s_and_not1_saveexec_b32 s3, s3
; %bb.3159:
	v_add_f32_e32 v2, 0x46800000, v3
; %bb.3160:
	s_or_b32 exec_lo, exec_lo, s3
                                        ; implicit-def: $vgpr3
.LBB134_3161:
	s_and_not1_saveexec_b32 s2, s2
; %bb.3162:
	v_mov_b32_e32 v2, 0x7f
	v_cmp_lt_u32_e32 vcc_lo, 0x7f800000, v3
	s_delay_alu instid0(VALU_DEP_2)
	v_cndmask_b32_e32 v2, 0x7e, v2, vcc_lo
; %bb.3163:
	s_or_b32 exec_lo, exec_lo, s2
	global_store_b8 v[0:1], v2, off
.LBB134_3164:
	s_mov_b32 s2, 0
.LBB134_3165:
	s_delay_alu instid0(SALU_CYCLE_1)
	s_and_not1_b32 vcc_lo, exec_lo, s2
	s_cbranch_vccnz .LBB134_3175
; %bb.3166:
	s_wait_xcnt 0x0
	v_cndmask_b32_e64 v3, 0, 1.0, s17
	s_mov_b32 s2, exec_lo
                                        ; implicit-def: $vgpr2
	s_delay_alu instid0(VALU_DEP_1)
	v_cmpx_gt_u32_e32 0x47800000, v3
	s_xor_b32 s2, exec_lo, s2
	s_cbranch_execz .LBB134_3172
; %bb.3167:
	s_mov_b32 s3, exec_lo
                                        ; implicit-def: $vgpr2
	v_cmpx_lt_u32_e32 0x387fffff, v3
	s_xor_b32 s3, exec_lo, s3
; %bb.3168:
	v_bfe_u32 v2, v3, 21, 1
	s_delay_alu instid0(VALU_DEP_1) | instskip(NEXT) | instid1(VALU_DEP_1)
	v_add3_u32 v2, v3, v2, 0x80fffff
                                        ; implicit-def: $vgpr3
	v_lshrrev_b32_e32 v2, 21, v2
; %bb.3169:
	s_and_not1_saveexec_b32 s3, s3
; %bb.3170:
	v_add_f32_e32 v2, 0x43000000, v3
; %bb.3171:
	s_or_b32 exec_lo, exec_lo, s3
                                        ; implicit-def: $vgpr3
.LBB134_3172:
	s_and_not1_saveexec_b32 s2, s2
; %bb.3173:
	v_mov_b32_e32 v2, 0x7f
	v_cmp_lt_u32_e32 vcc_lo, 0x7f800000, v3
	s_delay_alu instid0(VALU_DEP_2)
	v_cndmask_b32_e32 v2, 0x7c, v2, vcc_lo
; %bb.3174:
	s_or_b32 exec_lo, exec_lo, s2
	global_store_b8 v[0:1], v2, off
.LBB134_3175:
	s_mov_b32 s2, 0
.LBB134_3176:
	s_delay_alu instid0(SALU_CYCLE_1)
	s_and_not1_b32 vcc_lo, exec_lo, s2
	s_mov_b32 s2, 0
	s_cbranch_vccnz .LBB134_3183
; %bb.3177:
	s_cmp_gt_i32 s1, 14
	s_mov_b32 s2, -1
	s_cbranch_scc0 .LBB134_3181
; %bb.3178:
	s_cmp_eq_u32 s1, 15
	s_mov_b32 s0, -1
	s_cbranch_scc0 .LBB134_3180
; %bb.3179:
	s_wait_xcnt 0x0
	v_cndmask_b32_e64 v2, 0, 1.0, s17
	s_mov_b32 s0, 0
	s_delay_alu instid0(VALU_DEP_1) | instskip(NEXT) | instid1(VALU_DEP_1)
	v_bfe_u32 v3, v2, 16, 1
	v_add3_u32 v2, v2, v3, 0x7fff
	global_store_d16_hi_b16 v[0:1], v2, off
.LBB134_3180:
	s_mov_b32 s2, 0
.LBB134_3181:
	s_delay_alu instid0(SALU_CYCLE_1)
	s_and_b32 vcc_lo, exec_lo, s2
	s_mov_b32 s2, 0
	s_cbranch_vccz .LBB134_3183
; %bb.3182:
	s_cmp_lg_u32 s1, 11
	s_mov_b32 s2, -1
	s_cselect_b32 s0, -1, 0
.LBB134_3183:
	s_delay_alu instid0(SALU_CYCLE_1)
	s_and_b32 vcc_lo, exec_lo, s0
	s_cbranch_vccnz .LBB134_3204
.LBB134_3184:
	s_mov_b32 s0, 0
	s_branch .LBB134_2705
.LBB134_3185:
	s_mov_b32 s0, 0
	s_mov_b32 s2, 0
	s_branch .LBB134_2704
.LBB134_3186:
	s_mov_b32 s2, 0
	s_mov_b32 s0, -1
	s_branch .LBB134_2705
.LBB134_3187:
	s_and_not1_saveexec_b32 s11, s11
	s_cbranch_execz .LBB134_2780
.LBB134_3188:
	v_add_f32_e32 v1, 0x46000000, v4
	s_and_not1_b32 s7, s7, exec_lo
	s_delay_alu instid0(VALU_DEP_1) | instskip(NEXT) | instid1(VALU_DEP_1)
	v_and_b32_e32 v1, 0xff, v1
	v_cmp_ne_u32_e32 vcc_lo, 0, v1
	s_and_b32 s12, vcc_lo, exec_lo
	s_delay_alu instid0(SALU_CYCLE_1)
	s_or_b32 s7, s7, s12
	s_or_b32 exec_lo, exec_lo, s11
	v_mov_b32_e32 v5, 0
	s_and_saveexec_b32 s11, s7
	s_cbranch_execnz .LBB134_2781
	s_branch .LBB134_2782
.LBB134_3189:
	s_or_b32 s13, s13, exec_lo
	s_trap 2
	s_cbranch_execz .LBB134_2828
	s_branch .LBB134_2829
.LBB134_3190:
	s_and_not1_saveexec_b32 s7, s7
	s_cbranch_execz .LBB134_2793
.LBB134_3191:
	v_add_f32_e32 v1, 0x42800000, v4
	s_and_not1_b32 s6, s6, exec_lo
	s_delay_alu instid0(VALU_DEP_1) | instskip(NEXT) | instid1(VALU_DEP_1)
	v_and_b32_e32 v1, 0xff, v1
	v_cmp_ne_u32_e32 vcc_lo, 0, v1
	s_and_b32 s11, vcc_lo, exec_lo
	s_delay_alu instid0(SALU_CYCLE_1)
	s_or_b32 s6, s6, s11
	s_or_b32 exec_lo, exec_lo, s7
	v_mov_b32_e32 v5, 0
	s_and_saveexec_b32 s7, s6
	s_cbranch_execnz .LBB134_2794
	s_branch .LBB134_2795
.LBB134_3192:
	s_and_not1_saveexec_b32 s8, s8
	s_cbranch_execz .LBB134_2899
.LBB134_3193:
	v_add_f32_e32 v1, 0x46000000, v4
	s_and_not1_b32 s7, s7, exec_lo
	s_delay_alu instid0(VALU_DEP_1) | instskip(NEXT) | instid1(VALU_DEP_1)
	v_and_b32_e32 v1, 0xff, v1
	v_cmp_ne_u32_e32 vcc_lo, 0, v1
	s_and_b32 s11, vcc_lo, exec_lo
	s_delay_alu instid0(SALU_CYCLE_1)
	s_or_b32 s7, s7, s11
	s_or_b32 exec_lo, exec_lo, s8
	v_mov_b32_e32 v5, 0
	s_and_saveexec_b32 s8, s7
	s_cbranch_execnz .LBB134_2900
	s_branch .LBB134_2901
.LBB134_3194:
	s_or_b32 s13, s13, exec_lo
	s_trap 2
	s_cbranch_execz .LBB134_2947
	s_branch .LBB134_2948
.LBB134_3195:
	s_and_not1_saveexec_b32 s7, s7
	s_cbranch_execz .LBB134_2912
.LBB134_3196:
	v_add_f32_e32 v1, 0x42800000, v4
	s_and_not1_b32 s6, s6, exec_lo
	s_delay_alu instid0(VALU_DEP_1) | instskip(NEXT) | instid1(VALU_DEP_1)
	v_and_b32_e32 v1, 0xff, v1
	v_cmp_ne_u32_e32 vcc_lo, 0, v1
	s_and_b32 s8, vcc_lo, exec_lo
	s_delay_alu instid0(SALU_CYCLE_1)
	s_or_b32 s6, s6, s8
	s_or_b32 exec_lo, exec_lo, s7
	v_mov_b32_e32 v5, 0
	s_and_saveexec_b32 s7, s6
	s_cbranch_execnz .LBB134_2913
	s_branch .LBB134_2914
.LBB134_3197:
	s_and_not1_saveexec_b32 s8, s8
	s_cbranch_execz .LBB134_3018
.LBB134_3198:
	v_add_f32_e32 v1, 0x46000000, v4
	s_and_not1_b32 s7, s7, exec_lo
	s_delay_alu instid0(VALU_DEP_1) | instskip(NEXT) | instid1(VALU_DEP_1)
	v_and_b32_e32 v1, 0xff, v1
	v_cmp_ne_u32_e32 vcc_lo, 0, v1
	s_and_b32 s9, vcc_lo, exec_lo
	s_delay_alu instid0(SALU_CYCLE_1)
	s_or_b32 s7, s7, s9
	s_or_b32 exec_lo, exec_lo, s8
	v_mov_b32_e32 v5, 0
	s_and_saveexec_b32 s8, s7
	s_cbranch_execnz .LBB134_3019
	s_branch .LBB134_3020
.LBB134_3199:
	s_or_b32 s13, s13, exec_lo
	s_trap 2
	s_cbranch_execz .LBB134_3066
	s_branch .LBB134_3067
.LBB134_3200:
	s_and_not1_saveexec_b32 s7, s7
	s_cbranch_execz .LBB134_3031
.LBB134_3201:
	v_add_f32_e32 v1, 0x42800000, v4
	s_and_not1_b32 s6, s6, exec_lo
	s_delay_alu instid0(VALU_DEP_1) | instskip(NEXT) | instid1(VALU_DEP_1)
	v_and_b32_e32 v1, 0xff, v1
	v_cmp_ne_u32_e32 vcc_lo, 0, v1
	s_and_b32 s8, vcc_lo, exec_lo
	s_delay_alu instid0(SALU_CYCLE_1)
	s_or_b32 s6, s6, s8
	s_or_b32 exec_lo, exec_lo, s7
	v_mov_b32_e32 v5, 0
	s_and_saveexec_b32 s7, s6
	s_cbranch_execnz .LBB134_3032
	s_branch .LBB134_3033
.LBB134_3202:
	s_and_not1_saveexec_b32 s5, s5
	s_cbranch_execz .LBB134_3138
.LBB134_3203:
	v_add_f32_e32 v2, 0x46000000, v3
	s_and_not1_b32 s4, s4, exec_lo
	s_delay_alu instid0(VALU_DEP_1) | instskip(NEXT) | instid1(VALU_DEP_1)
	v_and_b32_e32 v2, 0xff, v2
	v_cmp_ne_u32_e32 vcc_lo, 0, v2
	s_and_b32 s6, vcc_lo, exec_lo
	s_delay_alu instid0(SALU_CYCLE_1)
	s_or_b32 s4, s4, s6
	s_or_b32 exec_lo, exec_lo, s5
	v_mov_b32_e32 v4, 0
	s_and_saveexec_b32 s5, s4
	s_cbranch_execnz .LBB134_3139
	s_branch .LBB134_3140
.LBB134_3204:
	s_mov_b32 s2, 0
	s_or_b32 s13, s13, exec_lo
	s_trap 2
	s_branch .LBB134_3184
.LBB134_3205:
	s_and_not1_saveexec_b32 s4, s4
	s_cbranch_execz .LBB134_3150
.LBB134_3206:
	v_add_f32_e32 v2, 0x42800000, v3
	s_and_not1_b32 s3, s3, exec_lo
	s_delay_alu instid0(VALU_DEP_1) | instskip(NEXT) | instid1(VALU_DEP_1)
	v_and_b32_e32 v2, 0xff, v2
	v_cmp_ne_u32_e32 vcc_lo, 0, v2
	s_and_b32 s5, vcc_lo, exec_lo
	s_delay_alu instid0(SALU_CYCLE_1)
	s_or_b32 s3, s3, s5
	s_or_b32 exec_lo, exec_lo, s4
	v_mov_b32_e32 v4, 0
	s_and_saveexec_b32 s4, s3
	s_cbranch_execnz .LBB134_3151
	s_branch .LBB134_3152
	.section	.rodata,"a",@progbits
	.p2align	6, 0x0
	.amdhsa_kernel _ZN2at6native32elementwise_kernel_manual_unrollILi128ELi4EZNS0_15gpu_kernel_implINS0_13BinaryFunctorIN3c107complexIfEES6_bNS0_12_GLOBAL__N_116CompareEqFunctorIS6_EEEEEEvRNS_18TensorIteratorBaseERKT_EUlibE_EEviT1_
		.amdhsa_group_segment_fixed_size 0
		.amdhsa_private_segment_fixed_size 0
		.amdhsa_kernarg_size 56
		.amdhsa_user_sgpr_count 2
		.amdhsa_user_sgpr_dispatch_ptr 0
		.amdhsa_user_sgpr_queue_ptr 0
		.amdhsa_user_sgpr_kernarg_segment_ptr 1
		.amdhsa_user_sgpr_dispatch_id 0
		.amdhsa_user_sgpr_kernarg_preload_length 0
		.amdhsa_user_sgpr_kernarg_preload_offset 0
		.amdhsa_user_sgpr_private_segment_size 0
		.amdhsa_wavefront_size32 1
		.amdhsa_uses_dynamic_stack 0
		.amdhsa_enable_private_segment 0
		.amdhsa_system_sgpr_workgroup_id_x 1
		.amdhsa_system_sgpr_workgroup_id_y 0
		.amdhsa_system_sgpr_workgroup_id_z 0
		.amdhsa_system_sgpr_workgroup_info 0
		.amdhsa_system_vgpr_workitem_id 0
		.amdhsa_next_free_vgpr 16
		.amdhsa_next_free_sgpr 37
		.amdhsa_named_barrier_count 0
		.amdhsa_reserve_vcc 1
		.amdhsa_float_round_mode_32 0
		.amdhsa_float_round_mode_16_64 0
		.amdhsa_float_denorm_mode_32 3
		.amdhsa_float_denorm_mode_16_64 3
		.amdhsa_fp16_overflow 0
		.amdhsa_memory_ordered 1
		.amdhsa_forward_progress 1
		.amdhsa_inst_pref_size 255
		.amdhsa_round_robin_scheduling 0
		.amdhsa_exception_fp_ieee_invalid_op 0
		.amdhsa_exception_fp_denorm_src 0
		.amdhsa_exception_fp_ieee_div_zero 0
		.amdhsa_exception_fp_ieee_overflow 0
		.amdhsa_exception_fp_ieee_underflow 0
		.amdhsa_exception_fp_ieee_inexact 0
		.amdhsa_exception_int_div_zero 0
	.end_amdhsa_kernel
	.section	.text._ZN2at6native32elementwise_kernel_manual_unrollILi128ELi4EZNS0_15gpu_kernel_implINS0_13BinaryFunctorIN3c107complexIfEES6_bNS0_12_GLOBAL__N_116CompareEqFunctorIS6_EEEEEEvRNS_18TensorIteratorBaseERKT_EUlibE_EEviT1_,"axG",@progbits,_ZN2at6native32elementwise_kernel_manual_unrollILi128ELi4EZNS0_15gpu_kernel_implINS0_13BinaryFunctorIN3c107complexIfEES6_bNS0_12_GLOBAL__N_116CompareEqFunctorIS6_EEEEEEvRNS_18TensorIteratorBaseERKT_EUlibE_EEviT1_,comdat
.Lfunc_end134:
	.size	_ZN2at6native32elementwise_kernel_manual_unrollILi128ELi4EZNS0_15gpu_kernel_implINS0_13BinaryFunctorIN3c107complexIfEES6_bNS0_12_GLOBAL__N_116CompareEqFunctorIS6_EEEEEEvRNS_18TensorIteratorBaseERKT_EUlibE_EEviT1_, .Lfunc_end134-_ZN2at6native32elementwise_kernel_manual_unrollILi128ELi4EZNS0_15gpu_kernel_implINS0_13BinaryFunctorIN3c107complexIfEES6_bNS0_12_GLOBAL__N_116CompareEqFunctorIS6_EEEEEEvRNS_18TensorIteratorBaseERKT_EUlibE_EEviT1_
                                        ; -- End function
	.set _ZN2at6native32elementwise_kernel_manual_unrollILi128ELi4EZNS0_15gpu_kernel_implINS0_13BinaryFunctorIN3c107complexIfEES6_bNS0_12_GLOBAL__N_116CompareEqFunctorIS6_EEEEEEvRNS_18TensorIteratorBaseERKT_EUlibE_EEviT1_.num_vgpr, 16
	.set _ZN2at6native32elementwise_kernel_manual_unrollILi128ELi4EZNS0_15gpu_kernel_implINS0_13BinaryFunctorIN3c107complexIfEES6_bNS0_12_GLOBAL__N_116CompareEqFunctorIS6_EEEEEEvRNS_18TensorIteratorBaseERKT_EUlibE_EEviT1_.num_agpr, 0
	.set _ZN2at6native32elementwise_kernel_manual_unrollILi128ELi4EZNS0_15gpu_kernel_implINS0_13BinaryFunctorIN3c107complexIfEES6_bNS0_12_GLOBAL__N_116CompareEqFunctorIS6_EEEEEEvRNS_18TensorIteratorBaseERKT_EUlibE_EEviT1_.numbered_sgpr, 37
	.set _ZN2at6native32elementwise_kernel_manual_unrollILi128ELi4EZNS0_15gpu_kernel_implINS0_13BinaryFunctorIN3c107complexIfEES6_bNS0_12_GLOBAL__N_116CompareEqFunctorIS6_EEEEEEvRNS_18TensorIteratorBaseERKT_EUlibE_EEviT1_.num_named_barrier, 0
	.set _ZN2at6native32elementwise_kernel_manual_unrollILi128ELi4EZNS0_15gpu_kernel_implINS0_13BinaryFunctorIN3c107complexIfEES6_bNS0_12_GLOBAL__N_116CompareEqFunctorIS6_EEEEEEvRNS_18TensorIteratorBaseERKT_EUlibE_EEviT1_.private_seg_size, 0
	.set _ZN2at6native32elementwise_kernel_manual_unrollILi128ELi4EZNS0_15gpu_kernel_implINS0_13BinaryFunctorIN3c107complexIfEES6_bNS0_12_GLOBAL__N_116CompareEqFunctorIS6_EEEEEEvRNS_18TensorIteratorBaseERKT_EUlibE_EEviT1_.uses_vcc, 1
	.set _ZN2at6native32elementwise_kernel_manual_unrollILi128ELi4EZNS0_15gpu_kernel_implINS0_13BinaryFunctorIN3c107complexIfEES6_bNS0_12_GLOBAL__N_116CompareEqFunctorIS6_EEEEEEvRNS_18TensorIteratorBaseERKT_EUlibE_EEviT1_.uses_flat_scratch, 0
	.set _ZN2at6native32elementwise_kernel_manual_unrollILi128ELi4EZNS0_15gpu_kernel_implINS0_13BinaryFunctorIN3c107complexIfEES6_bNS0_12_GLOBAL__N_116CompareEqFunctorIS6_EEEEEEvRNS_18TensorIteratorBaseERKT_EUlibE_EEviT1_.has_dyn_sized_stack, 0
	.set _ZN2at6native32elementwise_kernel_manual_unrollILi128ELi4EZNS0_15gpu_kernel_implINS0_13BinaryFunctorIN3c107complexIfEES6_bNS0_12_GLOBAL__N_116CompareEqFunctorIS6_EEEEEEvRNS_18TensorIteratorBaseERKT_EUlibE_EEviT1_.has_recursion, 0
	.set _ZN2at6native32elementwise_kernel_manual_unrollILi128ELi4EZNS0_15gpu_kernel_implINS0_13BinaryFunctorIN3c107complexIfEES6_bNS0_12_GLOBAL__N_116CompareEqFunctorIS6_EEEEEEvRNS_18TensorIteratorBaseERKT_EUlibE_EEviT1_.has_indirect_call, 0
	.section	.AMDGPU.csdata,"",@progbits
; Kernel info:
; codeLenInByte = 56052
; TotalNumSgprs: 39
; NumVgprs: 16
; ScratchSize: 0
; MemoryBound: 1
; FloatMode: 240
; IeeeMode: 1
; LDSByteSize: 0 bytes/workgroup (compile time only)
; SGPRBlocks: 0
; VGPRBlocks: 0
; NumSGPRsForWavesPerEU: 39
; NumVGPRsForWavesPerEU: 16
; NamedBarCnt: 0
; Occupancy: 16
; WaveLimiterHint : 0
; COMPUTE_PGM_RSRC2:SCRATCH_EN: 0
; COMPUTE_PGM_RSRC2:USER_SGPR: 2
; COMPUTE_PGM_RSRC2:TRAP_HANDLER: 0
; COMPUTE_PGM_RSRC2:TGID_X_EN: 1
; COMPUTE_PGM_RSRC2:TGID_Y_EN: 0
; COMPUTE_PGM_RSRC2:TGID_Z_EN: 0
; COMPUTE_PGM_RSRC2:TIDIG_COMP_CNT: 0
	.section	.text._ZN2at6native32elementwise_kernel_manual_unrollILi128ELi4EZNS0_15gpu_kernel_implINS0_13BinaryFunctorIN3c107complexIfEES6_bNS0_12_GLOBAL__N_116CompareEqFunctorIS6_EEEEEEvRNS_18TensorIteratorBaseERKT_EUlibE0_EEviT1_,"axG",@progbits,_ZN2at6native32elementwise_kernel_manual_unrollILi128ELi4EZNS0_15gpu_kernel_implINS0_13BinaryFunctorIN3c107complexIfEES6_bNS0_12_GLOBAL__N_116CompareEqFunctorIS6_EEEEEEvRNS_18TensorIteratorBaseERKT_EUlibE0_EEviT1_,comdat
	.globl	_ZN2at6native32elementwise_kernel_manual_unrollILi128ELi4EZNS0_15gpu_kernel_implINS0_13BinaryFunctorIN3c107complexIfEES6_bNS0_12_GLOBAL__N_116CompareEqFunctorIS6_EEEEEEvRNS_18TensorIteratorBaseERKT_EUlibE0_EEviT1_ ; -- Begin function _ZN2at6native32elementwise_kernel_manual_unrollILi128ELi4EZNS0_15gpu_kernel_implINS0_13BinaryFunctorIN3c107complexIfEES6_bNS0_12_GLOBAL__N_116CompareEqFunctorIS6_EEEEEEvRNS_18TensorIteratorBaseERKT_EUlibE0_EEviT1_
	.p2align	8
	.type	_ZN2at6native32elementwise_kernel_manual_unrollILi128ELi4EZNS0_15gpu_kernel_implINS0_13BinaryFunctorIN3c107complexIfEES6_bNS0_12_GLOBAL__N_116CompareEqFunctorIS6_EEEEEEvRNS_18TensorIteratorBaseERKT_EUlibE0_EEviT1_,@function
_ZN2at6native32elementwise_kernel_manual_unrollILi128ELi4EZNS0_15gpu_kernel_implINS0_13BinaryFunctorIN3c107complexIfEES6_bNS0_12_GLOBAL__N_116CompareEqFunctorIS6_EEEEEEvRNS_18TensorIteratorBaseERKT_EUlibE0_EEviT1_: ; @_ZN2at6native32elementwise_kernel_manual_unrollILi128ELi4EZNS0_15gpu_kernel_implINS0_13BinaryFunctorIN3c107complexIfEES6_bNS0_12_GLOBAL__N_116CompareEqFunctorIS6_EEEEEEvRNS_18TensorIteratorBaseERKT_EUlibE0_EEviT1_
; %bb.0:
	s_clause 0x1
	s_load_b32 s28, s[0:1], 0x8
	s_load_b32 s37, s[0:1], 0x0
	s_bfe_u32 s2, ttmp6, 0x4000c
	s_and_b32 s3, ttmp6, 15
	s_add_co_i32 s2, s2, 1
	s_getreg_b32 s4, hwreg(HW_REG_IB_STS2, 6, 4)
	s_mul_i32 s2, ttmp9, s2
	s_mov_b32 s30, 0
	s_add_co_i32 s3, s3, s2
	s_cmp_eq_u32 s4, 0
	s_mov_b32 s43, -1
	s_cselect_b32 s2, ttmp9, s3
	s_mov_b32 s10, 0
	v_lshl_or_b32 v0, s2, 9, v0
	s_add_nc_u64 s[2:3], s[0:1], 8
	s_wait_xcnt 0x0
	s_mov_b32 s0, exec_lo
	s_delay_alu instid0(VALU_DEP_1) | instskip(SKIP_2) | instid1(SALU_CYCLE_1)
	v_or_b32_e32 v1, 0x180, v0
	s_wait_kmcnt 0x0
	s_add_co_i32 s29, s28, -1
	s_cmp_gt_u32 s29, 1
	s_cselect_b32 s31, -1, 0
	v_cmpx_le_i32_e64 s37, v1
	s_xor_b32 s33, exec_lo, s0
	s_cbranch_execz .LBB135_1650
; %bb.1:
	s_clause 0x4
	s_load_b128 s[12:15], s[2:3], 0x4
	s_load_b256 s[4:11], s[2:3], 0x188
	s_load_b64 s[0:1], s[2:3], 0x14
	s_load_b128 s[16:19], s[2:3], 0xc4
	s_load_b64 s[22:23], s[2:3], 0xd4
	s_cmp_lg_u32 s28, 0
	s_mov_b32 s21, 0
	s_cselect_b32 s38, -1, 0
	s_min_u32 s36, s29, 15
	s_cmp_gt_u32 s28, 1
	s_mov_b32 s25, s21
	s_cselect_b32 s35, -1, 0
	s_mov_b32 s41, s21
	s_mov_b32 s40, s21
	;; [unrolled: 1-line block ×3, first 2 shown]
	s_mov_b32 s42, exec_lo
	s_wait_kmcnt 0x0
	s_mov_b32 s20, s13
	s_lshr_b32 s34, s11, 8
	s_lshr_b32 s13, s11, 16
	s_cmp_lg_u32 s10, 0
	s_mov_b32 s24, s0
	s_cselect_b32 s10, -1, 0
	v_cmpx_gt_i32_e64 s37, v0
	s_cbranch_execz .LBB135_406
; %bb.2:
	s_and_not1_b32 vcc_lo, exec_lo, s31
	s_cbranch_vccnz .LBB135_8
; %bb.3:
	s_and_not1_b32 vcc_lo, exec_lo, s38
	s_cbranch_vccnz .LBB135_9
; %bb.4:
	v_dual_mov_b32 v2, 0 :: v_dual_mov_b32 v1, v0
	v_dual_mov_b32 v4, 0 :: v_dual_mov_b32 v6, 0
	s_add_co_i32 s0, s36, 1
	s_mov_b64 s[26:27], 0xffffffffffffffe8
	s_and_b32 s0, s0, 30
	s_add_nc_u64 s[26:27], s[2:3], s[26:27]
.LBB135_5:                              ; =>This Inner Loop Header: Depth=1
	s_clause 0x1
	s_load_b128 s[44:47], s[26:27], 0x1c
	s_load_b64 s[40:41], s[26:27], 0x2c
	s_add_co_i32 s0, s0, -2
	s_delay_alu instid0(SALU_CYCLE_1) | instskip(SKIP_2) | instid1(VALU_DEP_1)
	s_cmp_lg_u32 s0, 0
	s_wait_kmcnt 0x0
	v_mul_hi_u32 v3, s45, v1
	v_add_nc_u32_e32 v3, v1, v3
	s_delay_alu instid0(VALU_DEP_1) | instskip(NEXT) | instid1(VALU_DEP_1)
	v_lshrrev_b32_e32 v3, s46, v3
	v_mul_hi_u32 v5, s40, v3
	v_mul_lo_u32 v7, v3, s44
	s_clause 0x1
	s_load_b128 s[48:51], s[26:27], 0xdc
	s_load_b64 s[44:45], s[26:27], 0xec
	s_wait_xcnt 0x0
	s_add_nc_u64 s[26:27], s[26:27], 24
	s_delay_alu instid0(VALU_DEP_1) | instskip(NEXT) | instid1(VALU_DEP_1)
	v_dual_add_nc_u32 v5, v3, v5 :: v_dual_sub_nc_u32 v7, v1, v7
	v_lshrrev_b32_e32 v1, s41, v5
	s_wait_kmcnt 0x0
	s_delay_alu instid0(VALU_DEP_2) | instskip(NEXT) | instid1(VALU_DEP_2)
	v_mad_u32 v2, v7, s48, v2
	v_mul_lo_u32 v5, v1, s47
	v_mad_u32 v6, v7, s50, v6
	v_mad_u32 v4, v7, s49, v4
	s_delay_alu instid0(VALU_DEP_3) | instskip(NEXT) | instid1(VALU_DEP_1)
	v_sub_nc_u32_e32 v3, v3, v5
	v_mad_u32 v2, v3, s51, v2
	s_delay_alu instid0(VALU_DEP_4) | instskip(NEXT) | instid1(VALU_DEP_4)
	v_mad_u32 v6, v3, s45, v6
	v_mad_u32 v4, v3, s44, v4
	s_cbranch_scc1 .LBB135_5
; %bb.6:
	s_bitcmp1_b32 s36, 0
	s_cselect_b32 s0, -1, 0
	s_delay_alu instid0(SALU_CYCLE_1)
	s_and_b32 vcc_lo, exec_lo, s0
	s_cbranch_vccnz .LBB135_10
; %bb.7:
	s_clause 0x1
	s_load_b96 s[44:46], s[26:27], 0x1c
	s_load_b96 s[48:50], s[26:27], 0xdc
	s_wait_kmcnt 0x0
	v_mul_hi_u32 v3, s45, v1
	s_delay_alu instid0(VALU_DEP_1) | instskip(NEXT) | instid1(VALU_DEP_1)
	v_add_nc_u32_e32 v3, v1, v3
	v_lshrrev_b32_e32 v3, s46, v3
	s_delay_alu instid0(VALU_DEP_1) | instskip(NEXT) | instid1(VALU_DEP_1)
	v_mul_lo_u32 v3, v3, s44
	v_sub_nc_u32_e32 v1, v1, v3
	s_delay_alu instid0(VALU_DEP_1)
	v_mad_u32 v2, v1, s48, v2
	v_mad_u32 v4, v1, s49, v4
	v_mad_u32 v6, v1, s50, v6
	s_cbranch_execz .LBB135_11
	s_branch .LBB135_13
.LBB135_8:
                                        ; implicit-def: $vgpr6
                                        ; implicit-def: $vgpr4
                                        ; implicit-def: $vgpr2
	s_branch .LBB135_11
.LBB135_9:
	v_dual_mov_b32 v6, 0 :: v_dual_mov_b32 v4, 0
	v_mov_b32_e32 v2, 0
.LBB135_10:
	s_cbranch_execnz .LBB135_13
.LBB135_11:
	v_mov_b32_e32 v1, 0
	s_and_not1_b32 vcc_lo, exec_lo, s35
	s_delay_alu instid0(VALU_DEP_1) | instskip(NEXT) | instid1(VALU_DEP_1)
	v_mul_u64_e32 v[2:3], s[20:21], v[0:1]
	v_add_nc_u32_e32 v2, v0, v3
	s_delay_alu instid0(VALU_DEP_1) | instskip(NEXT) | instid1(VALU_DEP_1)
	v_lshrrev_b32_e32 v8, s14, v2
	v_mul_lo_u32 v2, v8, s12
	s_delay_alu instid0(VALU_DEP_1) | instskip(NEXT) | instid1(VALU_DEP_1)
	v_sub_nc_u32_e32 v3, v0, v2
	v_mul_lo_u32 v2, v3, s16
	v_mul_lo_u32 v6, v3, s18
	;; [unrolled: 1-line block ×3, first 2 shown]
	s_cbranch_vccnz .LBB135_13
; %bb.12:
	v_mov_b32_e32 v9, v1
	s_delay_alu instid0(VALU_DEP_1) | instskip(NEXT) | instid1(VALU_DEP_1)
	v_mul_u64_e32 v[10:11], s[24:25], v[8:9]
	v_add_nc_u32_e32 v1, v8, v11
	s_delay_alu instid0(VALU_DEP_1) | instskip(NEXT) | instid1(VALU_DEP_1)
	v_lshrrev_b32_e32 v1, s1, v1
	v_mul_lo_u32 v1, v1, s15
	s_delay_alu instid0(VALU_DEP_1) | instskip(NEXT) | instid1(VALU_DEP_1)
	v_sub_nc_u32_e32 v1, v8, v1
	v_mad_u32 v2, v1, s19, v2
	v_mad_u32 v4, v1, s22, v4
	;; [unrolled: 1-line block ×3, first 2 shown]
.LBB135_13:
	v_mov_b32_e32 v5, 0
	s_and_b32 s0, s34, 0xff
	s_delay_alu instid0(SALU_CYCLE_1) | instskip(NEXT) | instid1(VALU_DEP_1)
	s_cmp_lt_i32 s0, 11
	v_add_nc_u64_e32 v[8:9], s[6:7], v[4:5]
	s_cbranch_scc1 .LBB135_20
; %bb.14:
	s_and_b32 s27, 0xffff, s0
	s_delay_alu instid0(SALU_CYCLE_1)
	s_cmp_gt_i32 s27, 25
	s_cbranch_scc0 .LBB135_29
; %bb.15:
	s_cmp_gt_i32 s27, 28
	s_cbranch_scc0 .LBB135_42
; %bb.16:
	;; [unrolled: 3-line block ×4, first 2 shown]
	s_cmp_eq_u32 s27, 46
	s_mov_b32 s40, 0
	s_cbranch_scc0 .LBB135_52
; %bb.19:
	global_load_b32 v1, v[8:9], off
	s_mov_b32 s39, -1
	s_mov_b32 s26, 0
	s_wait_loadcnt 0x0
	v_and_b32_e32 v5, 0xffff0000, v1
	v_lshlrev_b32_e32 v4, 16, v1
	s_branch .LBB135_54
.LBB135_20:
	s_mov_b32 s26, 0
	s_mov_b32 s39, 0
                                        ; implicit-def: $vgpr5
	s_cbranch_execnz .LBB135_122
.LBB135_21:
	s_and_not1_b32 vcc_lo, exec_lo, s39
	s_cbranch_vccnz .LBB135_171
.LBB135_22:
	v_mov_b32_e32 v7, 0
	s_and_b32 s0, s13, 0xff
	s_delay_alu instid0(SALU_CYCLE_1) | instskip(NEXT) | instid1(VALU_DEP_1)
	s_cmp_lt_i32 s0, 11
	v_add_nc_u64_e32 v[6:7], s[8:9], v[6:7]
	s_cbranch_scc1 .LBB135_30
; %bb.23:
	s_and_b32 s39, 0xffff, s0
	s_delay_alu instid0(SALU_CYCLE_1)
	s_cmp_gt_i32 s39, 25
	s_cbranch_scc0 .LBB135_43
; %bb.24:
	s_cmp_gt_i32 s39, 28
	s_cbranch_scc0 .LBB135_47
; %bb.25:
	;; [unrolled: 3-line block ×4, first 2 shown]
	s_cmp_eq_u32 s39, 46
	s_mov_b32 s41, 0
	s_cbranch_scc0 .LBB135_172
; %bb.28:
	global_load_b32 v1, v[6:7], off
	s_mov_b32 s40, -1
	s_mov_b32 s27, 0
	s_wait_loadcnt 0x0
	v_and_b32_e32 v9, 0xffff0000, v1
	v_lshlrev_b32_e32 v8, 16, v1
	s_branch .LBB135_174
.LBB135_29:
	s_mov_b32 s26, 0
	s_mov_b32 s39, 0
                                        ; implicit-def: $vgpr5
	s_cbranch_execnz .LBB135_87
	s_branch .LBB135_121
.LBB135_30:
	s_mov_b32 s27, 0
	s_mov_b32 s40, 0
                                        ; implicit-def: $vgpr9
	s_cbranch_execnz .LBB135_353
.LBB135_31:
	s_and_not1_b32 vcc_lo, exec_lo, s40
	s_cbranch_vccnz .LBB135_403
.LBB135_32:
	s_and_b32 vcc_lo, exec_lo, s10
	s_cbranch_vccz .LBB135_45
; %bb.33:
	s_wait_loadcnt 0x0
	s_delay_alu instid0(VALU_DEP_2) | instskip(NEXT) | instid1(VALU_DEP_2)
	v_cmp_neq_f32_e32 vcc_lo, v4, v8
	v_cmp_neq_f32_e64 s0, v5, v9
	s_or_b32 s39, vcc_lo, s0
	s_cbranch_execnz .LBB135_35
.LBB135_34:
	s_wait_loadcnt 0x0
	s_delay_alu instid0(VALU_DEP_1) | instskip(NEXT) | instid1(VALU_DEP_3)
	v_cmp_eq_f32_e32 vcc_lo, v5, v9
	v_cmp_eq_f32_e64 s0, v4, v8
	s_and_not1_b32 s39, s39, exec_lo
	s_and_b32 s0, s0, vcc_lo
	s_delay_alu instid0(SALU_CYCLE_1) | instskip(NEXT) | instid1(SALU_CYCLE_1)
	s_and_b32 s0, s0, exec_lo
	s_or_b32 s39, s39, s0
.LBB135_35:
	v_mov_b32_e32 v3, 0
	s_and_b32 s40, s11, 0xff
	s_delay_alu instid0(SALU_CYCLE_1) | instskip(NEXT) | instid1(VALU_DEP_1)
	s_cmp_lt_i32 s40, 11
	v_add_nc_u64_e32 v[2:3], s[4:5], v[2:3]
	s_cbranch_scc1 .LBB135_44
; %bb.36:
	s_and_b32 s41, 0xffff, s40
	s_delay_alu instid0(SALU_CYCLE_1)
	s_cmp_gt_i32 s41, 25
	s_cbranch_scc0 .LBB135_48
; %bb.37:
	s_cmp_gt_i32 s41, 28
	s_cbranch_scc0 .LBB135_51
; %bb.38:
	;; [unrolled: 3-line block ×4, first 2 shown]
	s_mov_b32 s44, 0
	s_mov_b32 s0, -1
	s_cmp_eq_u32 s41, 46
	s_mov_b32 s43, 0
	s_cbranch_scc0 .LBB135_178
; %bb.41:
	v_cndmask_b32_e64 v1, 0, 1.0, s39
	s_mov_b32 s43, -1
	s_mov_b32 s0, 0
	s_wait_loadcnt 0x0
	s_delay_alu instid0(VALU_DEP_1) | instskip(NEXT) | instid1(VALU_DEP_1)
	v_bfe_u32 v4, v1, 16, 1
	v_add3_u32 v1, v1, v4, 0x7fff
	s_delay_alu instid0(VALU_DEP_1)
	v_lshrrev_b32_e32 v1, 16, v1
	global_store_b32 v[2:3], v1, off
	s_branch .LBB135_178
.LBB135_42:
	s_mov_b32 s40, -1
	s_mov_b32 s26, 0
	s_mov_b32 s39, 0
                                        ; implicit-def: $vgpr5
	s_branch .LBB135_68
.LBB135_43:
	s_mov_b32 s41, -1
	s_mov_b32 s27, 0
	s_mov_b32 s40, 0
                                        ; implicit-def: $vgpr9
	s_branch .LBB135_316
.LBB135_44:
	s_mov_b32 s41, -1
	s_mov_b32 s0, 0
	s_mov_b32 s43, 0
	s_branch .LBB135_247
.LBB135_45:
                                        ; implicit-def: $sgpr39
	s_branch .LBB135_34
.LBB135_46:
	s_mov_b32 s40, -1
	s_mov_b32 s26, 0
	s_mov_b32 s39, 0
                                        ; implicit-def: $vgpr5
	s_branch .LBB135_62
.LBB135_47:
	s_mov_b32 s41, -1
	s_mov_b32 s27, 0
	s_mov_b32 s40, 0
                                        ; implicit-def: $vgpr9
	s_branch .LBB135_297
.LBB135_48:
	s_mov_b32 s44, -1
	s_mov_b32 s0, 0
	s_mov_b32 s43, 0
	s_branch .LBB135_205
.LBB135_49:
	s_mov_b32 s40, -1
	s_mov_b32 s26, 0
	s_branch .LBB135_53
.LBB135_50:
	s_mov_b32 s41, -1
	s_mov_b32 s27, 0
	s_mov_b32 s40, 0
                                        ; implicit-def: $vgpr9
	s_branch .LBB135_291
.LBB135_51:
	s_mov_b32 s44, -1
	s_mov_b32 s0, 0
	s_mov_b32 s43, 0
	s_branch .LBB135_188
.LBB135_52:
	s_mov_b32 s26, -1
.LBB135_53:
	s_mov_b32 s39, 0
                                        ; implicit-def: $vgpr5
.LBB135_54:
	s_and_b32 vcc_lo, exec_lo, s40
	s_cbranch_vccz .LBB135_61
; %bb.55:
	s_cmp_eq_u32 s27, 44
	s_cbranch_scc0 .LBB135_59
; %bb.56:
	global_load_u8 v1, v[8:9], off
	s_mov_b32 s26, 0
	s_mov_b32 s39, -1
	s_wait_loadcnt 0x0
	v_lshlrev_b32_e32 v3, 23, v1
	v_cmp_ne_u32_e32 vcc_lo, 0xff, v1
	s_delay_alu instid0(VALU_DEP_2) | instskip(SKIP_1) | instid1(VALU_DEP_2)
	v_cndmask_b32_e32 v3, 0x7f800001, v3, vcc_lo
	v_cmp_ne_u32_e32 vcc_lo, 0, v1
	v_cndmask_b32_e32 v4, 0x400000, v3, vcc_lo
	s_branch .LBB135_60
.LBB135_57:
	s_mov_b32 s41, -1
	s_mov_b32 s27, 0
	s_branch .LBB135_173
.LBB135_58:
	s_mov_b32 s44, -1
	s_mov_b32 s0, 0
	s_mov_b32 s43, 0
	s_branch .LBB135_184
.LBB135_59:
	s_mov_b32 s26, -1
                                        ; implicit-def: $vgpr4
.LBB135_60:
	v_mov_b32_e32 v5, 0
.LBB135_61:
	s_mov_b32 s40, 0
.LBB135_62:
	s_delay_alu instid0(SALU_CYCLE_1)
	s_and_b32 vcc_lo, exec_lo, s40
	s_cbranch_vccz .LBB135_67
; %bb.63:
	s_cmp_eq_u32 s27, 29
	s_cbranch_scc0 .LBB135_65
; %bb.64:
	global_load_b64 v[4:5], v[8:9], off
	s_mov_b32 s39, -1
	s_mov_b32 s26, 0
	s_wait_loadcnt 0x0
	v_clz_i32_u32_e32 v1, v5
	s_delay_alu instid0(VALU_DEP_1) | instskip(NEXT) | instid1(VALU_DEP_1)
	v_min_u32_e32 v1, 32, v1
	v_lshlrev_b64_e32 v[4:5], v1, v[4:5]
	v_sub_nc_u32_e32 v1, 32, v1
	s_delay_alu instid0(VALU_DEP_2) | instskip(NEXT) | instid1(VALU_DEP_1)
	v_min_u32_e32 v3, 1, v4
	v_or_b32_e32 v3, v5, v3
	s_delay_alu instid0(VALU_DEP_1) | instskip(NEXT) | instid1(VALU_DEP_1)
	v_cvt_f32_u32_e32 v3, v3
	v_ldexp_f32 v4, v3, v1
	s_branch .LBB135_66
.LBB135_65:
	s_mov_b32 s26, -1
                                        ; implicit-def: $vgpr4
.LBB135_66:
	v_mov_b32_e32 v5, 0
.LBB135_67:
	s_mov_b32 s40, 0
.LBB135_68:
	s_delay_alu instid0(SALU_CYCLE_1)
	s_and_b32 vcc_lo, exec_lo, s40
	s_cbranch_vccz .LBB135_86
; %bb.69:
	s_cmp_lt_i32 s27, 27
	s_cbranch_scc1 .LBB135_72
; %bb.70:
	s_cmp_gt_i32 s27, 27
	s_cbranch_scc0 .LBB135_73
; %bb.71:
	global_load_b32 v1, v[8:9], off
	s_mov_b32 s39, 0
	s_wait_loadcnt 0x0
	v_cvt_f32_u32_e32 v4, v1
	s_branch .LBB135_74
.LBB135_72:
	s_mov_b32 s39, -1
                                        ; implicit-def: $vgpr4
	s_branch .LBB135_77
.LBB135_73:
	s_mov_b32 s39, -1
                                        ; implicit-def: $vgpr4
.LBB135_74:
	s_delay_alu instid0(SALU_CYCLE_1)
	s_and_not1_b32 vcc_lo, exec_lo, s39
	s_cbranch_vccnz .LBB135_76
; %bb.75:
	global_load_u16 v1, v[8:9], off
	s_wait_loadcnt 0x0
	v_cvt_f32_u32_e32 v4, v1
.LBB135_76:
	s_mov_b32 s39, 0
.LBB135_77:
	s_delay_alu instid0(SALU_CYCLE_1)
	s_and_not1_b32 vcc_lo, exec_lo, s39
	s_cbranch_vccnz .LBB135_85
; %bb.78:
	global_load_u8 v1, v[8:9], off
	s_mov_b32 s39, 0
	s_mov_b32 s40, exec_lo
	s_wait_loadcnt 0x0
	v_cmpx_lt_i16_e32 0x7f, v1
	s_xor_b32 s40, exec_lo, s40
	s_cbranch_execz .LBB135_98
; %bb.79:
	s_mov_b32 s39, -1
	s_mov_b32 s41, exec_lo
	v_cmpx_eq_u16_e32 0x80, v1
; %bb.80:
	s_xor_b32 s39, exec_lo, -1
; %bb.81:
	s_or_b32 exec_lo, exec_lo, s41
	s_delay_alu instid0(SALU_CYCLE_1)
	s_and_b32 s39, s39, exec_lo
	s_or_saveexec_b32 s40, s40
	v_mov_b32_e32 v4, 0x7f800001
	s_xor_b32 exec_lo, exec_lo, s40
	s_cbranch_execnz .LBB135_99
.LBB135_82:
	s_or_b32 exec_lo, exec_lo, s40
	s_and_saveexec_b32 s40, s39
	s_cbranch_execz .LBB135_84
.LBB135_83:
	v_and_b32_e32 v3, 0xffff, v1
	s_delay_alu instid0(VALU_DEP_1) | instskip(SKIP_1) | instid1(VALU_DEP_2)
	v_and_b32_e32 v4, 7, v3
	v_bfe_u32 v10, v3, 3, 4
	v_clz_i32_u32_e32 v5, v4
	s_delay_alu instid0(VALU_DEP_2) | instskip(NEXT) | instid1(VALU_DEP_2)
	v_cmp_eq_u32_e32 vcc_lo, 0, v10
	v_min_u32_e32 v5, 32, v5
	s_delay_alu instid0(VALU_DEP_1) | instskip(NEXT) | instid1(VALU_DEP_1)
	v_subrev_nc_u32_e32 v7, 28, v5
	v_dual_lshlrev_b32 v3, v7, v3 :: v_dual_sub_nc_u32 v5, 29, v5
	s_delay_alu instid0(VALU_DEP_1) | instskip(NEXT) | instid1(VALU_DEP_1)
	v_dual_lshlrev_b32 v1, 24, v1 :: v_dual_bitop2_b32 v3, 7, v3 bitop3:0x40
	v_dual_cndmask_b32 v3, v4, v3, vcc_lo :: v_dual_cndmask_b32 v5, v10, v5, vcc_lo
	s_delay_alu instid0(VALU_DEP_2) | instskip(NEXT) | instid1(VALU_DEP_2)
	v_and_b32_e32 v1, 0x80000000, v1
	v_lshlrev_b32_e32 v3, 20, v3
	s_delay_alu instid0(VALU_DEP_3) | instskip(NEXT) | instid1(VALU_DEP_1)
	v_lshl_add_u32 v4, v5, 23, 0x3b800000
	v_or3_b32 v4, v1, v4, v3
.LBB135_84:
	s_or_b32 exec_lo, exec_lo, s40
.LBB135_85:
	v_mov_b32_e32 v5, 0
	s_mov_b32 s39, -1
.LBB135_86:
	s_branch .LBB135_121
.LBB135_87:
	s_cmp_gt_i32 s27, 22
	s_cbranch_scc0 .LBB135_97
; %bb.88:
	s_cmp_lt_i32 s27, 24
	s_cbranch_scc1 .LBB135_100
; %bb.89:
	s_cmp_gt_i32 s27, 24
	s_cbranch_scc0 .LBB135_101
; %bb.90:
	global_load_u8 v1, v[8:9], off
	s_mov_b32 s39, 0
	s_mov_b32 s40, exec_lo
	s_wait_loadcnt 0x0
	v_cmpx_lt_i16_e32 0x7f, v1
	s_xor_b32 s40, exec_lo, s40
	s_cbranch_execz .LBB135_112
; %bb.91:
	s_mov_b32 s39, -1
	s_mov_b32 s41, exec_lo
	v_cmpx_eq_u16_e32 0x80, v1
; %bb.92:
	s_xor_b32 s39, exec_lo, -1
; %bb.93:
	s_or_b32 exec_lo, exec_lo, s41
	s_delay_alu instid0(SALU_CYCLE_1)
	s_and_b32 s39, s39, exec_lo
	s_or_saveexec_b32 s40, s40
	v_mov_b32_e32 v4, 0x7f800001
	s_xor_b32 exec_lo, exec_lo, s40
	s_cbranch_execnz .LBB135_113
.LBB135_94:
	s_or_b32 exec_lo, exec_lo, s40
	s_and_saveexec_b32 s40, s39
	s_cbranch_execz .LBB135_96
.LBB135_95:
	v_and_b32_e32 v3, 0xffff, v1
	s_delay_alu instid0(VALU_DEP_1) | instskip(SKIP_1) | instid1(VALU_DEP_2)
	v_and_b32_e32 v4, 3, v3
	v_bfe_u32 v10, v3, 2, 5
	v_clz_i32_u32_e32 v5, v4
	s_delay_alu instid0(VALU_DEP_2) | instskip(NEXT) | instid1(VALU_DEP_2)
	v_cmp_eq_u32_e32 vcc_lo, 0, v10
	v_min_u32_e32 v5, 32, v5
	s_delay_alu instid0(VALU_DEP_1) | instskip(NEXT) | instid1(VALU_DEP_1)
	v_subrev_nc_u32_e32 v7, 29, v5
	v_dual_lshlrev_b32 v3, v7, v3 :: v_dual_sub_nc_u32 v5, 30, v5
	s_delay_alu instid0(VALU_DEP_1) | instskip(NEXT) | instid1(VALU_DEP_1)
	v_dual_lshlrev_b32 v1, 24, v1 :: v_dual_bitop2_b32 v3, 3, v3 bitop3:0x40
	v_dual_cndmask_b32 v3, v4, v3, vcc_lo :: v_dual_cndmask_b32 v5, v10, v5, vcc_lo
	s_delay_alu instid0(VALU_DEP_2) | instskip(NEXT) | instid1(VALU_DEP_2)
	v_and_b32_e32 v1, 0x80000000, v1
	v_lshlrev_b32_e32 v3, 21, v3
	s_delay_alu instid0(VALU_DEP_3) | instskip(NEXT) | instid1(VALU_DEP_1)
	v_lshl_add_u32 v4, v5, 23, 0x37800000
	v_or3_b32 v4, v1, v4, v3
.LBB135_96:
	s_or_b32 exec_lo, exec_lo, s40
	s_mov_b32 s39, 0
	s_branch .LBB135_102
.LBB135_97:
                                        ; implicit-def: $vgpr4
	s_branch .LBB135_108
.LBB135_98:
	s_or_saveexec_b32 s40, s40
	v_mov_b32_e32 v4, 0x7f800001
	s_xor_b32 exec_lo, exec_lo, s40
	s_cbranch_execz .LBB135_82
.LBB135_99:
	v_cmp_ne_u16_e32 vcc_lo, 0, v1
	v_mov_b32_e32 v4, 0
	s_and_not1_b32 s39, s39, exec_lo
	s_and_b32 s41, vcc_lo, exec_lo
	s_delay_alu instid0(SALU_CYCLE_1)
	s_or_b32 s39, s39, s41
	s_or_b32 exec_lo, exec_lo, s40
	s_and_saveexec_b32 s40, s39
	s_cbranch_execnz .LBB135_83
	s_branch .LBB135_84
.LBB135_100:
	s_mov_b32 s39, -1
                                        ; implicit-def: $vgpr4
	s_branch .LBB135_105
.LBB135_101:
	s_mov_b32 s39, -1
                                        ; implicit-def: $vgpr4
.LBB135_102:
	s_delay_alu instid0(SALU_CYCLE_1)
	s_and_b32 vcc_lo, exec_lo, s39
	s_cbranch_vccz .LBB135_104
; %bb.103:
	global_load_u8 v1, v[8:9], off
	s_wait_loadcnt 0x0
	v_lshlrev_b32_e32 v1, 24, v1
	s_delay_alu instid0(VALU_DEP_1) | instskip(NEXT) | instid1(VALU_DEP_1)
	v_and_b32_e32 v3, 0x7f000000, v1
	v_clz_i32_u32_e32 v4, v3
	v_add_nc_u32_e32 v7, 0x1000000, v3
	v_cmp_ne_u32_e32 vcc_lo, 0, v3
	s_delay_alu instid0(VALU_DEP_3) | instskip(NEXT) | instid1(VALU_DEP_1)
	v_min_u32_e32 v4, 32, v4
	v_sub_nc_u32_e64 v4, v4, 4 clamp
	s_delay_alu instid0(VALU_DEP_1) | instskip(NEXT) | instid1(VALU_DEP_1)
	v_dual_lshlrev_b32 v5, v4, v3 :: v_dual_lshlrev_b32 v4, 23, v4
	v_lshrrev_b32_e32 v5, 4, v5
	s_delay_alu instid0(VALU_DEP_1) | instskip(NEXT) | instid1(VALU_DEP_1)
	v_dual_sub_nc_u32 v4, v5, v4 :: v_dual_ashrrev_i32 v5, 8, v7
	v_add_nc_u32_e32 v4, 0x3c000000, v4
	s_delay_alu instid0(VALU_DEP_1) | instskip(NEXT) | instid1(VALU_DEP_1)
	v_and_or_b32 v4, 0x7f800000, v5, v4
	v_cndmask_b32_e32 v3, 0, v4, vcc_lo
	s_delay_alu instid0(VALU_DEP_1)
	v_and_or_b32 v4, 0x80000000, v1, v3
.LBB135_104:
	s_mov_b32 s39, 0
.LBB135_105:
	s_delay_alu instid0(SALU_CYCLE_1)
	s_and_not1_b32 vcc_lo, exec_lo, s39
	s_cbranch_vccnz .LBB135_107
; %bb.106:
	global_load_u8 v1, v[8:9], off
	s_wait_loadcnt 0x0
	v_lshlrev_b32_e32 v3, 25, v1
	v_lshlrev_b16 v1, 8, v1
	s_delay_alu instid0(VALU_DEP_1) | instskip(NEXT) | instid1(VALU_DEP_3)
	v_and_or_b32 v5, 0x7f00, v1, 0.5
	v_lshrrev_b32_e32 v4, 4, v3
	v_bfe_i32 v1, v1, 0, 16
	s_delay_alu instid0(VALU_DEP_3) | instskip(NEXT) | instid1(VALU_DEP_3)
	v_add_f32_e32 v5, -0.5, v5
	v_or_b32_e32 v4, 0x70000000, v4
	s_delay_alu instid0(VALU_DEP_1) | instskip(SKIP_1) | instid1(VALU_DEP_2)
	v_mul_f32_e32 v4, 0x7800000, v4
	v_cmp_gt_u32_e32 vcc_lo, 0x8000000, v3
	v_cndmask_b32_e32 v3, v4, v5, vcc_lo
	s_delay_alu instid0(VALU_DEP_1)
	v_and_or_b32 v4, 0x80000000, v1, v3
.LBB135_107:
	s_mov_b32 s39, -1
	s_cbranch_execnz .LBB135_120
.LBB135_108:
	s_cmp_gt_i32 s27, 14
	s_cbranch_scc0 .LBB135_111
; %bb.109:
	s_cmp_eq_u32 s27, 15
	s_cbranch_scc0 .LBB135_114
; %bb.110:
	global_load_u16 v1, v[8:9], off
	s_mov_b32 s39, -1
	s_mov_b32 s26, 0
	s_wait_loadcnt 0x0
	v_lshlrev_b32_e32 v4, 16, v1
	s_branch .LBB135_115
.LBB135_111:
	s_mov_b32 s40, -1
                                        ; implicit-def: $vgpr4
	s_branch .LBB135_116
.LBB135_112:
	s_or_saveexec_b32 s40, s40
	v_mov_b32_e32 v4, 0x7f800001
	s_xor_b32 exec_lo, exec_lo, s40
	s_cbranch_execz .LBB135_94
.LBB135_113:
	v_cmp_ne_u16_e32 vcc_lo, 0, v1
	v_mov_b32_e32 v4, 0
	s_and_not1_b32 s39, s39, exec_lo
	s_and_b32 s41, vcc_lo, exec_lo
	s_delay_alu instid0(SALU_CYCLE_1)
	s_or_b32 s39, s39, s41
	s_or_b32 exec_lo, exec_lo, s40
	s_and_saveexec_b32 s40, s39
	s_cbranch_execnz .LBB135_95
	s_branch .LBB135_96
.LBB135_114:
	s_mov_b32 s26, -1
                                        ; implicit-def: $vgpr4
.LBB135_115:
	s_mov_b32 s40, 0
.LBB135_116:
	s_delay_alu instid0(SALU_CYCLE_1)
	s_and_b32 vcc_lo, exec_lo, s40
	s_cbranch_vccz .LBB135_120
; %bb.117:
	s_cmp_eq_u32 s27, 11
	s_cbranch_scc0 .LBB135_119
; %bb.118:
	global_load_u8 v1, v[8:9], off
	s_mov_b32 s26, 0
	s_mov_b32 s39, -1
	v_mov_b32_e32 v5, 0
	s_wait_loadcnt 0x0
	v_cmp_ne_u16_e32 vcc_lo, 0, v1
	v_cndmask_b32_e64 v4, 0, 1.0, vcc_lo
	s_branch .LBB135_121
.LBB135_119:
	s_mov_b32 s26, -1
                                        ; implicit-def: $vgpr4
.LBB135_120:
	v_mov_b32_e32 v5, 0
.LBB135_121:
	s_branch .LBB135_21
.LBB135_122:
	s_and_b32 s0, 0xffff, s0
	s_delay_alu instid0(SALU_CYCLE_1)
	s_cmp_lt_i32 s0, 5
	s_cbranch_scc1 .LBB135_127
; %bb.123:
	s_cmp_lt_i32 s0, 8
	s_cbranch_scc1 .LBB135_128
; %bb.124:
	;; [unrolled: 3-line block ×3, first 2 shown]
	s_cmp_gt_i32 s0, 9
	s_cbranch_scc0 .LBB135_130
; %bb.126:
	global_load_b128 v[10:13], v[8:9], off
	s_mov_b32 s27, 0
	s_wait_loadcnt 0x0
	v_cvt_f32_f64_e32 v4, v[10:11]
	v_cvt_f32_f64_e32 v5, v[12:13]
	s_branch .LBB135_131
.LBB135_127:
                                        ; implicit-def: $vgpr5
	s_branch .LBB135_150
.LBB135_128:
	s_mov_b32 s27, -1
                                        ; implicit-def: $vgpr5
	s_branch .LBB135_137
.LBB135_129:
	s_mov_b32 s27, -1
                                        ; implicit-def: $vgpr5
	s_branch .LBB135_134
.LBB135_130:
	s_mov_b32 s27, -1
                                        ; implicit-def: $vgpr5
.LBB135_131:
	s_delay_alu instid0(SALU_CYCLE_1)
	s_and_not1_b32 vcc_lo, exec_lo, s27
	s_cbranch_vccnz .LBB135_133
; %bb.132:
	global_load_b64 v[4:5], v[8:9], off
.LBB135_133:
	s_mov_b32 s27, 0
.LBB135_134:
	s_delay_alu instid0(SALU_CYCLE_1)
	s_and_not1_b32 vcc_lo, exec_lo, s27
	s_cbranch_vccnz .LBB135_136
; %bb.135:
	global_load_b32 v1, v[8:9], off
	s_wait_loadcnt 0x0
	v_lshrrev_b32_e32 v3, 16, v1
	v_cvt_f32_f16_e32 v4, v1
	s_delay_alu instid0(VALU_DEP_2)
	v_cvt_f32_f16_e32 v5, v3
.LBB135_136:
	s_mov_b32 s27, 0
.LBB135_137:
	s_delay_alu instid0(SALU_CYCLE_1)
	s_and_not1_b32 vcc_lo, exec_lo, s27
	s_cbranch_vccnz .LBB135_149
; %bb.138:
	s_cmp_lt_i32 s0, 6
	s_cbranch_scc1 .LBB135_141
; %bb.139:
	s_cmp_gt_i32 s0, 6
	s_cbranch_scc0 .LBB135_142
; %bb.140:
	s_wait_loadcnt 0x0
	global_load_b64 v[4:5], v[8:9], off
	s_mov_b32 s27, 0
	s_wait_loadcnt 0x0
	v_cvt_f32_f64_e32 v4, v[4:5]
	s_branch .LBB135_143
.LBB135_141:
	s_mov_b32 s27, -1
                                        ; implicit-def: $vgpr4
	s_branch .LBB135_146
.LBB135_142:
	s_mov_b32 s27, -1
                                        ; implicit-def: $vgpr4
.LBB135_143:
	s_delay_alu instid0(SALU_CYCLE_1)
	s_and_not1_b32 vcc_lo, exec_lo, s27
	s_cbranch_vccnz .LBB135_145
; %bb.144:
	s_wait_loadcnt 0x0
	global_load_b32 v4, v[8:9], off
.LBB135_145:
	s_mov_b32 s27, 0
.LBB135_146:
	s_delay_alu instid0(SALU_CYCLE_1)
	s_and_not1_b32 vcc_lo, exec_lo, s27
	s_cbranch_vccnz .LBB135_148
; %bb.147:
	global_load_u16 v1, v[8:9], off
	s_wait_loadcnt 0x0
	v_cvt_f32_f16_e32 v4, v1
.LBB135_148:
	s_wait_loadcnt 0x0
	v_mov_b32_e32 v5, 0
.LBB135_149:
	s_cbranch_execnz .LBB135_170
.LBB135_150:
	s_cmp_lt_i32 s0, 2
	s_cbranch_scc1 .LBB135_154
; %bb.151:
	s_cmp_lt_i32 s0, 3
	s_cbranch_scc1 .LBB135_155
; %bb.152:
	s_cmp_gt_i32 s0, 3
	s_cbranch_scc0 .LBB135_156
; %bb.153:
	s_wait_loadcnt 0x0
	global_load_b64 v[4:5], v[8:9], off
	s_mov_b32 s27, 0
	s_wait_loadcnt 0x0
	v_xor_b32_e32 v1, v4, v5
	v_cls_i32_e32 v3, v5
	s_delay_alu instid0(VALU_DEP_2) | instskip(NEXT) | instid1(VALU_DEP_1)
	v_ashrrev_i32_e32 v1, 31, v1
	v_add_nc_u32_e32 v1, 32, v1
	s_delay_alu instid0(VALU_DEP_1) | instskip(NEXT) | instid1(VALU_DEP_1)
	v_add_min_u32_e64 v1, v3, -1, v1
	v_lshlrev_b64_e32 v[4:5], v1, v[4:5]
	v_sub_nc_u32_e32 v1, 32, v1
	s_delay_alu instid0(VALU_DEP_2) | instskip(NEXT) | instid1(VALU_DEP_1)
	v_min_u32_e32 v3, 1, v4
	v_or_b32_e32 v3, v5, v3
	s_delay_alu instid0(VALU_DEP_1) | instskip(NEXT) | instid1(VALU_DEP_1)
	v_cvt_f32_i32_e32 v3, v3
	v_ldexp_f32 v4, v3, v1
	s_branch .LBB135_157
.LBB135_154:
	s_mov_b32 s27, -1
                                        ; implicit-def: $vgpr4
	s_branch .LBB135_163
.LBB135_155:
	s_mov_b32 s27, -1
                                        ; implicit-def: $vgpr4
	s_branch .LBB135_160
.LBB135_156:
	s_mov_b32 s27, -1
                                        ; implicit-def: $vgpr4
.LBB135_157:
	s_delay_alu instid0(SALU_CYCLE_1)
	s_and_not1_b32 vcc_lo, exec_lo, s27
	s_cbranch_vccnz .LBB135_159
; %bb.158:
	global_load_b32 v1, v[8:9], off
	s_wait_loadcnt 0x0
	v_cvt_f32_i32_e32 v4, v1
.LBB135_159:
	s_mov_b32 s27, 0
.LBB135_160:
	s_delay_alu instid0(SALU_CYCLE_1)
	s_and_not1_b32 vcc_lo, exec_lo, s27
	s_cbranch_vccnz .LBB135_162
; %bb.161:
	global_load_i16 v1, v[8:9], off
	s_wait_loadcnt 0x0
	v_cvt_f32_i32_e32 v4, v1
.LBB135_162:
	s_mov_b32 s27, 0
.LBB135_163:
	s_delay_alu instid0(SALU_CYCLE_1)
	s_and_not1_b32 vcc_lo, exec_lo, s27
	s_cbranch_vccnz .LBB135_169
; %bb.164:
	s_cmp_gt_i32 s0, 0
	s_mov_b32 s0, 0
	s_cbranch_scc0 .LBB135_166
; %bb.165:
	global_load_i8 v1, v[8:9], off
	s_wait_loadcnt 0x0
	v_cvt_f32_i32_e32 v4, v1
	s_branch .LBB135_167
.LBB135_166:
	s_mov_b32 s0, -1
                                        ; implicit-def: $vgpr4
.LBB135_167:
	s_delay_alu instid0(SALU_CYCLE_1)
	s_and_not1_b32 vcc_lo, exec_lo, s0
	s_cbranch_vccnz .LBB135_169
; %bb.168:
	global_load_u8 v1, v[8:9], off
	s_wait_loadcnt 0x0
	v_cvt_f32_ubyte0_e32 v4, v1
.LBB135_169:
	s_wait_loadcnt 0x0
	v_mov_b32_e32 v5, 0
.LBB135_170:
	s_branch .LBB135_22
.LBB135_171:
	s_mov_b32 s0, 0
	s_mov_b32 s27, 0
	s_branch .LBB135_404
.LBB135_172:
	s_mov_b32 s27, -1
.LBB135_173:
	s_mov_b32 s40, 0
                                        ; implicit-def: $vgpr9
.LBB135_174:
	s_and_b32 vcc_lo, exec_lo, s41
	s_cbranch_vccz .LBB135_290
; %bb.175:
	s_cmp_eq_u32 s39, 44
	s_cbranch_scc0 .LBB135_288
; %bb.176:
	global_load_u8 v1, v[6:7], off
	s_mov_b32 s27, 0
	s_mov_b32 s40, -1
	s_wait_loadcnt 0x0
	v_lshlrev_b32_e32 v3, 23, v1
	v_cmp_ne_u32_e32 vcc_lo, 0xff, v1
	s_delay_alu instid0(VALU_DEP_2) | instskip(SKIP_1) | instid1(VALU_DEP_2)
	v_cndmask_b32_e32 v3, 0x7f800001, v3, vcc_lo
	v_cmp_ne_u32_e32 vcc_lo, 0, v1
	v_cndmask_b32_e32 v8, 0x400000, v3, vcc_lo
	s_branch .LBB135_289
.LBB135_177:
	s_mov_b32 s44, -1
	s_mov_b32 s0, 0
	s_mov_b32 s43, 0
.LBB135_178:
	s_and_b32 vcc_lo, exec_lo, s44
	s_cbranch_vccz .LBB135_183
; %bb.179:
	s_cmp_eq_u32 s41, 44
	s_mov_b32 s0, -1
	s_cbranch_scc0 .LBB135_183
; %bb.180:
	s_wait_loadcnt 0x0
	v_cndmask_b32_e64 v5, 0, 1.0, s39
	s_mov_b32 s43, exec_lo
	s_wait_xcnt 0x0
	s_delay_alu instid0(VALU_DEP_1) | instskip(NEXT) | instid1(VALU_DEP_1)
	v_dual_mov_b32 v4, 0xff :: v_dual_lshrrev_b32 v1, 23, v5
	v_cmpx_ne_u32_e32 0xff, v1
; %bb.181:
	v_and_b32_e32 v4, 0x400000, v5
	v_and_or_b32 v5, 0x3fffff, v5, v1
	s_delay_alu instid0(VALU_DEP_2) | instskip(NEXT) | instid1(VALU_DEP_2)
	v_cmp_ne_u32_e32 vcc_lo, 0, v4
	v_cmp_ne_u32_e64 s0, 0, v5
	s_and_b32 s0, vcc_lo, s0
	s_delay_alu instid0(SALU_CYCLE_1) | instskip(NEXT) | instid1(VALU_DEP_1)
	v_cndmask_b32_e64 v4, 0, 1, s0
	v_add_nc_u32_e32 v4, v1, v4
; %bb.182:
	s_or_b32 exec_lo, exec_lo, s43
	s_mov_b32 s43, -1
	s_mov_b32 s0, 0
	global_store_b8 v[2:3], v4, off
.LBB135_183:
	s_mov_b32 s44, 0
.LBB135_184:
	s_delay_alu instid0(SALU_CYCLE_1)
	s_and_b32 vcc_lo, exec_lo, s44
	s_cbranch_vccz .LBB135_187
; %bb.185:
	s_cmp_eq_u32 s41, 29
	s_mov_b32 s0, -1
	s_cbranch_scc0 .LBB135_187
; %bb.186:
	s_mov_b32 s0, 0
	s_wait_loadcnt 0x0
	v_cndmask_b32_e64 v4, 0, 1, s39
	v_mov_b32_e32 v5, s0
	s_mov_b32 s43, -1
	s_mov_b32 s44, 0
	global_store_b64 v[2:3], v[4:5], off
	s_branch .LBB135_188
.LBB135_187:
	s_mov_b32 s44, 0
.LBB135_188:
	s_delay_alu instid0(SALU_CYCLE_1)
	s_and_b32 vcc_lo, exec_lo, s44
	s_cbranch_vccz .LBB135_204
; %bb.189:
	s_cmp_lt_i32 s41, 27
	s_mov_b32 s43, -1
	s_cbranch_scc1 .LBB135_195
; %bb.190:
	s_cmp_gt_i32 s41, 27
	s_cbranch_scc0 .LBB135_192
; %bb.191:
	s_wait_xcnt 0x0
	v_cndmask_b32_e64 v1, 0, 1, s39
	s_mov_b32 s43, 0
	global_store_b32 v[2:3], v1, off
.LBB135_192:
	s_and_not1_b32 vcc_lo, exec_lo, s43
	s_cbranch_vccnz .LBB135_194
; %bb.193:
	s_wait_xcnt 0x0
	v_cndmask_b32_e64 v1, 0, 1, s39
	global_store_b16 v[2:3], v1, off
.LBB135_194:
	s_mov_b32 s43, 0
.LBB135_195:
	s_delay_alu instid0(SALU_CYCLE_1)
	s_and_not1_b32 vcc_lo, exec_lo, s43
	s_cbranch_vccnz .LBB135_203
; %bb.196:
	s_wait_loadcnt 0x0
	v_cndmask_b32_e64 v4, 0, 1.0, s39
	v_mov_b32_e32 v5, 0x80
	s_mov_b32 s43, exec_lo
	s_delay_alu instid0(VALU_DEP_2)
	v_cmpx_gt_u32_e32 0x43800000, v4
	s_cbranch_execz .LBB135_202
; %bb.197:
	s_mov_b32 s44, 0
	s_mov_b32 s45, exec_lo
                                        ; implicit-def: $vgpr1
	v_cmpx_lt_u32_e32 0x3bffffff, v4
	s_xor_b32 s45, exec_lo, s45
	s_cbranch_execz .LBB135_446
; %bb.198:
	v_bfe_u32 v1, v4, 20, 1
	s_mov_b32 s44, exec_lo
	s_delay_alu instid0(VALU_DEP_1) | instskip(NEXT) | instid1(VALU_DEP_1)
	v_add3_u32 v1, v4, v1, 0x487ffff
                                        ; implicit-def: $vgpr4
	v_lshrrev_b32_e32 v1, 20, v1
	s_and_not1_saveexec_b32 s45, s45
	s_cbranch_execnz .LBB135_447
.LBB135_199:
	s_or_b32 exec_lo, exec_lo, s45
	v_mov_b32_e32 v5, 0
	s_and_saveexec_b32 s45, s44
.LBB135_200:
	v_mov_b32_e32 v5, v1
.LBB135_201:
	s_or_b32 exec_lo, exec_lo, s45
.LBB135_202:
	s_delay_alu instid0(SALU_CYCLE_1)
	s_or_b32 exec_lo, exec_lo, s43
	global_store_b8 v[2:3], v5, off
.LBB135_203:
	s_mov_b32 s43, -1
.LBB135_204:
	s_mov_b32 s44, 0
.LBB135_205:
	s_delay_alu instid0(SALU_CYCLE_1)
	s_and_b32 vcc_lo, exec_lo, s44
	s_cbranch_vccz .LBB135_246
; %bb.206:
	s_cmp_gt_i32 s41, 22
	s_mov_b32 s44, -1
	s_cbranch_scc0 .LBB135_238
; %bb.207:
	s_cmp_lt_i32 s41, 24
	s_mov_b32 s43, -1
	s_cbranch_scc1 .LBB135_227
; %bb.208:
	s_cmp_gt_i32 s41, 24
	s_cbranch_scc0 .LBB135_216
; %bb.209:
	s_wait_loadcnt 0x0
	v_cndmask_b32_e64 v4, 0, 1.0, s39
	v_mov_b32_e32 v5, 0x80
	s_mov_b32 s43, exec_lo
	s_delay_alu instid0(VALU_DEP_2)
	v_cmpx_gt_u32_e32 0x47800000, v4
	s_cbranch_execz .LBB135_215
; %bb.210:
	s_mov_b32 s44, 0
	s_mov_b32 s45, exec_lo
                                        ; implicit-def: $vgpr1
	v_cmpx_lt_u32_e32 0x37ffffff, v4
	s_xor_b32 s45, exec_lo, s45
	s_cbranch_execz .LBB135_570
; %bb.211:
	v_bfe_u32 v1, v4, 21, 1
	s_mov_b32 s44, exec_lo
	s_delay_alu instid0(VALU_DEP_1) | instskip(NEXT) | instid1(VALU_DEP_1)
	v_add3_u32 v1, v4, v1, 0x88fffff
                                        ; implicit-def: $vgpr4
	v_lshrrev_b32_e32 v1, 21, v1
	s_and_not1_saveexec_b32 s45, s45
	s_cbranch_execnz .LBB135_571
.LBB135_212:
	s_or_b32 exec_lo, exec_lo, s45
	v_mov_b32_e32 v5, 0
	s_and_saveexec_b32 s45, s44
.LBB135_213:
	v_mov_b32_e32 v5, v1
.LBB135_214:
	s_or_b32 exec_lo, exec_lo, s45
.LBB135_215:
	s_delay_alu instid0(SALU_CYCLE_1)
	s_or_b32 exec_lo, exec_lo, s43
	s_mov_b32 s43, 0
	global_store_b8 v[2:3], v5, off
.LBB135_216:
	s_and_b32 vcc_lo, exec_lo, s43
	s_cbranch_vccz .LBB135_226
; %bb.217:
	s_wait_loadcnt 0x0
	v_cndmask_b32_e64 v4, 0, 1.0, s39
	s_mov_b32 s43, exec_lo
                                        ; implicit-def: $vgpr1
	s_delay_alu instid0(VALU_DEP_1)
	v_cmpx_gt_u32_e32 0x43f00000, v4
	s_xor_b32 s43, exec_lo, s43
	s_cbranch_execz .LBB135_223
; %bb.218:
	s_mov_b32 s44, exec_lo
                                        ; implicit-def: $vgpr1
	v_cmpx_lt_u32_e32 0x3c7fffff, v4
	s_xor_b32 s44, exec_lo, s44
; %bb.219:
	v_bfe_u32 v1, v4, 20, 1
	s_delay_alu instid0(VALU_DEP_1) | instskip(NEXT) | instid1(VALU_DEP_1)
	v_add3_u32 v1, v4, v1, 0x407ffff
	v_and_b32_e32 v4, 0xff00000, v1
	v_lshrrev_b32_e32 v1, 20, v1
	s_delay_alu instid0(VALU_DEP_2) | instskip(NEXT) | instid1(VALU_DEP_2)
	v_cmp_ne_u32_e32 vcc_lo, 0x7f00000, v4
                                        ; implicit-def: $vgpr4
	v_cndmask_b32_e32 v1, 0x7e, v1, vcc_lo
; %bb.220:
	s_and_not1_saveexec_b32 s44, s44
; %bb.221:
	v_add_f32_e32 v1, 0x46800000, v4
; %bb.222:
	s_or_b32 exec_lo, exec_lo, s44
                                        ; implicit-def: $vgpr4
.LBB135_223:
	s_and_not1_saveexec_b32 s43, s43
; %bb.224:
	v_mov_b32_e32 v1, 0x7f
	v_cmp_lt_u32_e32 vcc_lo, 0x7f800000, v4
	s_delay_alu instid0(VALU_DEP_2)
	v_cndmask_b32_e32 v1, 0x7e, v1, vcc_lo
; %bb.225:
	s_or_b32 exec_lo, exec_lo, s43
	global_store_b8 v[2:3], v1, off
.LBB135_226:
	s_mov_b32 s43, 0
.LBB135_227:
	s_delay_alu instid0(SALU_CYCLE_1)
	s_and_not1_b32 vcc_lo, exec_lo, s43
	s_cbranch_vccnz .LBB135_237
; %bb.228:
	s_wait_loadcnt 0x0
	v_cndmask_b32_e64 v4, 0, 1.0, s39
	s_mov_b32 s43, exec_lo
                                        ; implicit-def: $vgpr1
	s_delay_alu instid0(VALU_DEP_1)
	v_cmpx_gt_u32_e32 0x47800000, v4
	s_xor_b32 s43, exec_lo, s43
	s_cbranch_execz .LBB135_234
; %bb.229:
	s_mov_b32 s44, exec_lo
                                        ; implicit-def: $vgpr1
	v_cmpx_lt_u32_e32 0x387fffff, v4
	s_xor_b32 s44, exec_lo, s44
; %bb.230:
	v_bfe_u32 v1, v4, 21, 1
	s_delay_alu instid0(VALU_DEP_1) | instskip(NEXT) | instid1(VALU_DEP_1)
	v_add3_u32 v1, v4, v1, 0x80fffff
                                        ; implicit-def: $vgpr4
	v_lshrrev_b32_e32 v1, 21, v1
; %bb.231:
	s_and_not1_saveexec_b32 s44, s44
; %bb.232:
	v_add_f32_e32 v1, 0x43000000, v4
; %bb.233:
	s_or_b32 exec_lo, exec_lo, s44
                                        ; implicit-def: $vgpr4
.LBB135_234:
	s_and_not1_saveexec_b32 s43, s43
; %bb.235:
	v_mov_b32_e32 v1, 0x7f
	v_cmp_lt_u32_e32 vcc_lo, 0x7f800000, v4
	s_delay_alu instid0(VALU_DEP_2)
	v_cndmask_b32_e32 v1, 0x7c, v1, vcc_lo
; %bb.236:
	s_or_b32 exec_lo, exec_lo, s43
	global_store_b8 v[2:3], v1, off
.LBB135_237:
	s_mov_b32 s44, 0
	s_mov_b32 s43, -1
.LBB135_238:
	s_and_not1_b32 vcc_lo, exec_lo, s44
	s_cbranch_vccnz .LBB135_246
; %bb.239:
	s_cmp_gt_i32 s41, 14
	s_mov_b32 s44, -1
	s_cbranch_scc0 .LBB135_243
; %bb.240:
	s_cmp_eq_u32 s41, 15
	s_mov_b32 s0, -1
	s_cbranch_scc0 .LBB135_242
; %bb.241:
	s_wait_xcnt 0x0
	v_cndmask_b32_e64 v1, 0, 1.0, s39
	s_mov_b32 s43, -1
	s_mov_b32 s0, 0
	s_wait_loadcnt 0x0
	s_delay_alu instid0(VALU_DEP_1) | instskip(NEXT) | instid1(VALU_DEP_1)
	v_bfe_u32 v4, v1, 16, 1
	v_add3_u32 v1, v1, v4, 0x7fff
	global_store_d16_hi_b16 v[2:3], v1, off
.LBB135_242:
	s_mov_b32 s44, 0
.LBB135_243:
	s_delay_alu instid0(SALU_CYCLE_1)
	s_and_b32 vcc_lo, exec_lo, s44
	s_cbranch_vccz .LBB135_246
; %bb.244:
	s_cmp_eq_u32 s41, 11
	s_mov_b32 s0, -1
	s_cbranch_scc0 .LBB135_246
; %bb.245:
	s_wait_xcnt 0x0
	v_cndmask_b32_e64 v1, 0, 1, s39
	s_mov_b32 s43, -1
	s_mov_b32 s0, 0
	global_store_b8 v[2:3], v1, off
.LBB135_246:
	s_mov_b32 s41, 0
.LBB135_247:
	s_delay_alu instid0(SALU_CYCLE_1)
	s_and_b32 vcc_lo, exec_lo, s41
	s_cbranch_vccz .LBB135_286
; %bb.248:
	s_and_b32 s40, 0xffff, s40
	s_mov_b32 s41, -1
	s_cmp_lt_i32 s40, 5
	s_cbranch_scc1 .LBB135_269
; %bb.249:
	s_cmp_lt_i32 s40, 8
	s_cbranch_scc1 .LBB135_259
; %bb.250:
	;; [unrolled: 3-line block ×3, first 2 shown]
	s_cmp_gt_i32 s40, 9
	s_cbranch_scc0 .LBB135_253
; %bb.252:
	s_wait_xcnt 0x0
	v_cndmask_b32_e64 v1, 0, 1, s39
	v_mov_b32_e32 v6, 0
	s_mov_b32 s41, 0
	s_wait_loadcnt 0x0
	s_delay_alu instid0(VALU_DEP_2) | instskip(NEXT) | instid1(VALU_DEP_2)
	v_cvt_f64_u32_e32 v[4:5], v1
	v_mov_b32_e32 v7, v6
	global_store_b128 v[2:3], v[4:7], off
.LBB135_253:
	s_and_not1_b32 vcc_lo, exec_lo, s41
	s_cbranch_vccnz .LBB135_255
; %bb.254:
	s_wait_loadcnt 0x0
	v_cndmask_b32_e64 v4, 0, 1.0, s39
	v_mov_b32_e32 v5, 0
	global_store_b64 v[2:3], v[4:5], off
.LBB135_255:
	s_mov_b32 s41, 0
.LBB135_256:
	s_delay_alu instid0(SALU_CYCLE_1)
	s_and_not1_b32 vcc_lo, exec_lo, s41
	s_cbranch_vccnz .LBB135_258
; %bb.257:
	s_wait_xcnt 0x0
	v_cndmask_b32_e64 v1, 0, 1.0, s39
	s_delay_alu instid0(VALU_DEP_1) | instskip(NEXT) | instid1(VALU_DEP_1)
	v_cvt_f16_f32_e32 v1, v1
	v_and_b32_e32 v1, 0xffff, v1
	global_store_b32 v[2:3], v1, off
.LBB135_258:
	s_mov_b32 s41, 0
.LBB135_259:
	s_delay_alu instid0(SALU_CYCLE_1)
	s_and_not1_b32 vcc_lo, exec_lo, s41
	s_cbranch_vccnz .LBB135_268
; %bb.260:
	s_cmp_lt_i32 s40, 6
	s_mov_b32 s41, -1
	s_cbranch_scc1 .LBB135_266
; %bb.261:
	s_cmp_gt_i32 s40, 6
	s_cbranch_scc0 .LBB135_263
; %bb.262:
	s_wait_xcnt 0x0
	v_cndmask_b32_e64 v1, 0, 1, s39
	s_mov_b32 s41, 0
	s_wait_loadcnt 0x0
	s_delay_alu instid0(VALU_DEP_1)
	v_cvt_f64_u32_e32 v[4:5], v1
	global_store_b64 v[2:3], v[4:5], off
.LBB135_263:
	s_and_not1_b32 vcc_lo, exec_lo, s41
	s_cbranch_vccnz .LBB135_265
; %bb.264:
	s_wait_xcnt 0x0
	v_cndmask_b32_e64 v1, 0, 1.0, s39
	global_store_b32 v[2:3], v1, off
.LBB135_265:
	s_mov_b32 s41, 0
.LBB135_266:
	s_delay_alu instid0(SALU_CYCLE_1)
	s_and_not1_b32 vcc_lo, exec_lo, s41
	s_cbranch_vccnz .LBB135_268
; %bb.267:
	s_wait_xcnt 0x0
	v_cndmask_b32_e64 v1, 0, 1.0, s39
	s_delay_alu instid0(VALU_DEP_1)
	v_cvt_f16_f32_e32 v1, v1
	global_store_b16 v[2:3], v1, off
.LBB135_268:
	s_mov_b32 s41, 0
.LBB135_269:
	s_delay_alu instid0(SALU_CYCLE_1)
	s_and_not1_b32 vcc_lo, exec_lo, s41
	s_cbranch_vccnz .LBB135_285
; %bb.270:
	s_cmp_lt_i32 s40, 2
	s_mov_b32 s41, -1
	s_cbranch_scc1 .LBB135_280
; %bb.271:
	s_cmp_lt_i32 s40, 3
	s_cbranch_scc1 .LBB135_277
; %bb.272:
	s_cmp_gt_i32 s40, 3
	s_cbranch_scc0 .LBB135_274
; %bb.273:
	s_mov_b32 s41, 0
	s_wait_loadcnt 0x0
	v_cndmask_b32_e64 v4, 0, 1, s39
	v_mov_b32_e32 v5, s41
	global_store_b64 v[2:3], v[4:5], off
.LBB135_274:
	s_and_not1_b32 vcc_lo, exec_lo, s41
	s_cbranch_vccnz .LBB135_276
; %bb.275:
	s_wait_xcnt 0x0
	v_cndmask_b32_e64 v1, 0, 1, s39
	global_store_b32 v[2:3], v1, off
.LBB135_276:
	s_mov_b32 s41, 0
.LBB135_277:
	s_delay_alu instid0(SALU_CYCLE_1)
	s_and_not1_b32 vcc_lo, exec_lo, s41
	s_cbranch_vccnz .LBB135_279
; %bb.278:
	s_wait_xcnt 0x0
	v_cndmask_b32_e64 v1, 0, 1, s39
	global_store_b16 v[2:3], v1, off
.LBB135_279:
	s_mov_b32 s41, 0
.LBB135_280:
	s_delay_alu instid0(SALU_CYCLE_1)
	s_and_not1_b32 vcc_lo, exec_lo, s41
	s_cbranch_vccnz .LBB135_285
; %bb.281:
	s_cmp_gt_i32 s40, 0
	s_mov_b32 s40, -1
	s_cbranch_scc0 .LBB135_283
; %bb.282:
	s_wait_xcnt 0x0
	v_cndmask_b32_e64 v1, 0, 1, s39
	s_mov_b32 s40, 0
	global_store_b8 v[2:3], v1, off
.LBB135_283:
	s_and_not1_b32 vcc_lo, exec_lo, s40
	s_cbranch_vccnz .LBB135_285
; %bb.284:
	s_wait_xcnt 0x0
	v_cndmask_b32_e64 v1, 0, 1, s39
	global_store_b8 v[2:3], v1, off
.LBB135_285:
	s_mov_b32 s43, -1
.LBB135_286:
	s_delay_alu instid0(SALU_CYCLE_1)
	s_and_not1_b32 vcc_lo, exec_lo, s43
	s_cbranch_vccnz .LBB135_404
; %bb.287:
	v_add_nc_u32_e32 v0, 0x80, v0
	s_mov_b32 s43, -1
	s_branch .LBB135_405
.LBB135_288:
	s_mov_b32 s27, -1
                                        ; implicit-def: $vgpr8
.LBB135_289:
	s_wait_xcnt 0x0
	v_mov_b32_e32 v9, 0
.LBB135_290:
	s_mov_b32 s41, 0
.LBB135_291:
	s_delay_alu instid0(SALU_CYCLE_1)
	s_and_b32 vcc_lo, exec_lo, s41
	s_cbranch_vccz .LBB135_296
; %bb.292:
	s_cmp_eq_u32 s39, 29
	s_cbranch_scc0 .LBB135_294
; %bb.293:
	global_load_b64 v[8:9], v[6:7], off
	s_mov_b32 s40, -1
	s_mov_b32 s27, 0
	s_wait_loadcnt 0x0
	v_clz_i32_u32_e32 v1, v9
	s_delay_alu instid0(VALU_DEP_1) | instskip(NEXT) | instid1(VALU_DEP_1)
	v_min_u32_e32 v1, 32, v1
	v_lshlrev_b64_e32 v[8:9], v1, v[8:9]
	v_sub_nc_u32_e32 v1, 32, v1
	s_delay_alu instid0(VALU_DEP_2) | instskip(NEXT) | instid1(VALU_DEP_1)
	v_min_u32_e32 v3, 1, v8
	v_or_b32_e32 v3, v9, v3
	s_delay_alu instid0(VALU_DEP_1) | instskip(NEXT) | instid1(VALU_DEP_1)
	v_cvt_f32_u32_e32 v3, v3
	v_ldexp_f32 v8, v3, v1
	s_branch .LBB135_295
.LBB135_294:
	s_mov_b32 s27, -1
                                        ; implicit-def: $vgpr8
.LBB135_295:
	s_wait_xcnt 0x0
	v_mov_b32_e32 v9, 0
.LBB135_296:
	s_mov_b32 s41, 0
.LBB135_297:
	s_delay_alu instid0(SALU_CYCLE_1)
	s_and_b32 vcc_lo, exec_lo, s41
	s_cbranch_vccz .LBB135_315
; %bb.298:
	s_cmp_lt_i32 s39, 27
	s_cbranch_scc1 .LBB135_301
; %bb.299:
	s_cmp_gt_i32 s39, 27
	s_cbranch_scc0 .LBB135_302
; %bb.300:
	global_load_b32 v1, v[6:7], off
	s_mov_b32 s40, 0
	s_wait_loadcnt 0x0
	v_cvt_f32_u32_e32 v8, v1
	s_branch .LBB135_303
.LBB135_301:
	s_mov_b32 s40, -1
                                        ; implicit-def: $vgpr8
	s_branch .LBB135_306
.LBB135_302:
	s_mov_b32 s40, -1
                                        ; implicit-def: $vgpr8
.LBB135_303:
	s_delay_alu instid0(SALU_CYCLE_1)
	s_and_not1_b32 vcc_lo, exec_lo, s40
	s_cbranch_vccnz .LBB135_305
; %bb.304:
	global_load_u16 v1, v[6:7], off
	s_wait_loadcnt 0x0
	v_cvt_f32_u32_e32 v8, v1
.LBB135_305:
	s_mov_b32 s40, 0
.LBB135_306:
	s_delay_alu instid0(SALU_CYCLE_1)
	s_and_not1_b32 vcc_lo, exec_lo, s40
	s_cbranch_vccnz .LBB135_314
; %bb.307:
	global_load_u8 v1, v[6:7], off
	s_mov_b32 s40, 0
	s_mov_b32 s41, exec_lo
	s_wait_loadcnt 0x0
	v_cmpx_lt_i16_e32 0x7f, v1
	s_xor_b32 s41, exec_lo, s41
	s_cbranch_execz .LBB135_328
; %bb.308:
	s_mov_b32 s40, -1
	s_mov_b32 s43, exec_lo
	v_cmpx_eq_u16_e32 0x80, v1
; %bb.309:
	s_xor_b32 s40, exec_lo, -1
; %bb.310:
	s_or_b32 exec_lo, exec_lo, s43
	s_delay_alu instid0(SALU_CYCLE_1)
	s_and_b32 s40, s40, exec_lo
	s_or_saveexec_b32 s41, s41
	v_mov_b32_e32 v8, 0x7f800001
	s_xor_b32 exec_lo, exec_lo, s41
	s_cbranch_execnz .LBB135_329
.LBB135_311:
	s_or_b32 exec_lo, exec_lo, s41
	s_and_saveexec_b32 s41, s40
	s_cbranch_execz .LBB135_313
.LBB135_312:
	v_and_b32_e32 v3, 0xffff, v1
	s_delay_alu instid0(VALU_DEP_1) | instskip(SKIP_1) | instid1(VALU_DEP_2)
	v_and_b32_e32 v8, 7, v3
	v_bfe_u32 v11, v3, 3, 4
	v_clz_i32_u32_e32 v9, v8
	s_delay_alu instid0(VALU_DEP_2) | instskip(NEXT) | instid1(VALU_DEP_2)
	v_cmp_eq_u32_e32 vcc_lo, 0, v11
	v_min_u32_e32 v9, 32, v9
	s_delay_alu instid0(VALU_DEP_1) | instskip(NEXT) | instid1(VALU_DEP_1)
	v_subrev_nc_u32_e32 v10, 28, v9
	v_dual_lshlrev_b32 v3, v10, v3 :: v_dual_sub_nc_u32 v9, 29, v9
	s_delay_alu instid0(VALU_DEP_1) | instskip(NEXT) | instid1(VALU_DEP_1)
	v_dual_lshlrev_b32 v1, 24, v1 :: v_dual_bitop2_b32 v3, 7, v3 bitop3:0x40
	v_dual_cndmask_b32 v3, v8, v3, vcc_lo :: v_dual_cndmask_b32 v9, v11, v9, vcc_lo
	s_delay_alu instid0(VALU_DEP_2) | instskip(NEXT) | instid1(VALU_DEP_2)
	v_and_b32_e32 v1, 0x80000000, v1
	v_lshlrev_b32_e32 v3, 20, v3
	s_delay_alu instid0(VALU_DEP_3) | instskip(NEXT) | instid1(VALU_DEP_1)
	v_lshl_add_u32 v8, v9, 23, 0x3b800000
	v_or3_b32 v8, v1, v8, v3
.LBB135_313:
	s_or_b32 exec_lo, exec_lo, s41
.LBB135_314:
	s_wait_xcnt 0x0
	v_mov_b32_e32 v9, 0
	s_mov_b32 s40, -1
.LBB135_315:
	s_mov_b32 s41, 0
.LBB135_316:
	s_delay_alu instid0(SALU_CYCLE_1)
	s_and_b32 vcc_lo, exec_lo, s41
	s_cbranch_vccz .LBB135_352
; %bb.317:
	s_cmp_gt_i32 s39, 22
	s_cbranch_scc0 .LBB135_327
; %bb.318:
	s_cmp_lt_i32 s39, 24
	s_cbranch_scc1 .LBB135_330
; %bb.319:
	s_cmp_gt_i32 s39, 24
	s_cbranch_scc0 .LBB135_331
; %bb.320:
	global_load_u8 v1, v[6:7], off
	s_mov_b32 s40, 0
	s_mov_b32 s41, exec_lo
	s_wait_loadcnt 0x0
	v_cmpx_lt_i16_e32 0x7f, v1
	s_xor_b32 s41, exec_lo, s41
	s_cbranch_execz .LBB135_343
; %bb.321:
	s_mov_b32 s40, -1
	s_mov_b32 s43, exec_lo
	v_cmpx_eq_u16_e32 0x80, v1
; %bb.322:
	s_xor_b32 s40, exec_lo, -1
; %bb.323:
	s_or_b32 exec_lo, exec_lo, s43
	s_delay_alu instid0(SALU_CYCLE_1)
	s_and_b32 s40, s40, exec_lo
	s_or_saveexec_b32 s41, s41
	v_mov_b32_e32 v8, 0x7f800001
	s_xor_b32 exec_lo, exec_lo, s41
	s_cbranch_execnz .LBB135_344
.LBB135_324:
	s_or_b32 exec_lo, exec_lo, s41
	s_and_saveexec_b32 s41, s40
	s_cbranch_execz .LBB135_326
.LBB135_325:
	v_and_b32_e32 v3, 0xffff, v1
	s_delay_alu instid0(VALU_DEP_1) | instskip(SKIP_1) | instid1(VALU_DEP_2)
	v_and_b32_e32 v8, 3, v3
	v_bfe_u32 v11, v3, 2, 5
	v_clz_i32_u32_e32 v9, v8
	s_delay_alu instid0(VALU_DEP_2) | instskip(NEXT) | instid1(VALU_DEP_2)
	v_cmp_eq_u32_e32 vcc_lo, 0, v11
	v_min_u32_e32 v9, 32, v9
	s_delay_alu instid0(VALU_DEP_1) | instskip(NEXT) | instid1(VALU_DEP_1)
	v_subrev_nc_u32_e32 v10, 29, v9
	v_dual_lshlrev_b32 v3, v10, v3 :: v_dual_sub_nc_u32 v9, 30, v9
	s_delay_alu instid0(VALU_DEP_1) | instskip(NEXT) | instid1(VALU_DEP_1)
	v_dual_lshlrev_b32 v1, 24, v1 :: v_dual_bitop2_b32 v3, 3, v3 bitop3:0x40
	v_dual_cndmask_b32 v3, v8, v3, vcc_lo :: v_dual_cndmask_b32 v9, v11, v9, vcc_lo
	s_delay_alu instid0(VALU_DEP_2) | instskip(NEXT) | instid1(VALU_DEP_2)
	v_and_b32_e32 v1, 0x80000000, v1
	v_lshlrev_b32_e32 v3, 21, v3
	s_delay_alu instid0(VALU_DEP_3) | instskip(NEXT) | instid1(VALU_DEP_1)
	v_lshl_add_u32 v8, v9, 23, 0x37800000
	v_or3_b32 v8, v1, v8, v3
.LBB135_326:
	s_or_b32 exec_lo, exec_lo, s41
	s_mov_b32 s40, 0
	s_branch .LBB135_332
.LBB135_327:
	s_mov_b32 s41, -1
                                        ; implicit-def: $vgpr8
	s_branch .LBB135_338
.LBB135_328:
	s_or_saveexec_b32 s41, s41
	v_mov_b32_e32 v8, 0x7f800001
	s_xor_b32 exec_lo, exec_lo, s41
	s_cbranch_execz .LBB135_311
.LBB135_329:
	v_cmp_ne_u16_e32 vcc_lo, 0, v1
	v_mov_b32_e32 v8, 0
	s_and_not1_b32 s40, s40, exec_lo
	s_and_b32 s43, vcc_lo, exec_lo
	s_delay_alu instid0(SALU_CYCLE_1)
	s_or_b32 s40, s40, s43
	s_or_b32 exec_lo, exec_lo, s41
	s_and_saveexec_b32 s41, s40
	s_cbranch_execnz .LBB135_312
	s_branch .LBB135_313
.LBB135_330:
	s_mov_b32 s40, -1
                                        ; implicit-def: $vgpr8
	s_branch .LBB135_335
.LBB135_331:
	s_mov_b32 s40, -1
                                        ; implicit-def: $vgpr8
.LBB135_332:
	s_delay_alu instid0(SALU_CYCLE_1)
	s_and_b32 vcc_lo, exec_lo, s40
	s_cbranch_vccz .LBB135_334
; %bb.333:
	global_load_u8 v1, v[6:7], off
	s_wait_loadcnt 0x0
	v_lshlrev_b32_e32 v1, 24, v1
	s_delay_alu instid0(VALU_DEP_1) | instskip(NEXT) | instid1(VALU_DEP_1)
	v_and_b32_e32 v3, 0x7f000000, v1
	v_clz_i32_u32_e32 v8, v3
	v_cmp_ne_u32_e32 vcc_lo, 0, v3
	v_add_nc_u32_e32 v10, 0x1000000, v3
	s_delay_alu instid0(VALU_DEP_3) | instskip(NEXT) | instid1(VALU_DEP_1)
	v_min_u32_e32 v8, 32, v8
	v_sub_nc_u32_e64 v8, v8, 4 clamp
	s_delay_alu instid0(VALU_DEP_1) | instskip(NEXT) | instid1(VALU_DEP_1)
	v_dual_lshlrev_b32 v9, v8, v3 :: v_dual_lshlrev_b32 v8, 23, v8
	v_lshrrev_b32_e32 v9, 4, v9
	s_delay_alu instid0(VALU_DEP_1) | instskip(NEXT) | instid1(VALU_DEP_1)
	v_dual_sub_nc_u32 v8, v9, v8 :: v_dual_ashrrev_i32 v9, 8, v10
	v_add_nc_u32_e32 v8, 0x3c000000, v8
	s_delay_alu instid0(VALU_DEP_1) | instskip(NEXT) | instid1(VALU_DEP_1)
	v_and_or_b32 v8, 0x7f800000, v9, v8
	v_cndmask_b32_e32 v3, 0, v8, vcc_lo
	s_delay_alu instid0(VALU_DEP_1)
	v_and_or_b32 v8, 0x80000000, v1, v3
.LBB135_334:
	s_mov_b32 s40, 0
.LBB135_335:
	s_delay_alu instid0(SALU_CYCLE_1)
	s_and_not1_b32 vcc_lo, exec_lo, s40
	s_cbranch_vccnz .LBB135_337
; %bb.336:
	global_load_u8 v1, v[6:7], off
	s_wait_loadcnt 0x0
	v_lshlrev_b32_e32 v3, 25, v1
	v_lshlrev_b16 v1, 8, v1
	s_delay_alu instid0(VALU_DEP_1) | instskip(NEXT) | instid1(VALU_DEP_3)
	v_and_or_b32 v9, 0x7f00, v1, 0.5
	v_lshrrev_b32_e32 v8, 4, v3
	v_bfe_i32 v1, v1, 0, 16
	s_delay_alu instid0(VALU_DEP_3) | instskip(NEXT) | instid1(VALU_DEP_3)
	v_add_f32_e32 v9, -0.5, v9
	v_or_b32_e32 v8, 0x70000000, v8
	s_delay_alu instid0(VALU_DEP_1) | instskip(SKIP_1) | instid1(VALU_DEP_2)
	v_mul_f32_e32 v8, 0x7800000, v8
	v_cmp_gt_u32_e32 vcc_lo, 0x8000000, v3
	v_cndmask_b32_e32 v3, v8, v9, vcc_lo
	s_delay_alu instid0(VALU_DEP_1)
	v_and_or_b32 v8, 0x80000000, v1, v3
.LBB135_337:
	s_mov_b32 s41, 0
	s_mov_b32 s40, -1
.LBB135_338:
	s_and_not1_b32 vcc_lo, exec_lo, s41
	s_cbranch_vccnz .LBB135_351
; %bb.339:
	s_cmp_gt_i32 s39, 14
	s_cbranch_scc0 .LBB135_342
; %bb.340:
	s_cmp_eq_u32 s39, 15
	s_cbranch_scc0 .LBB135_345
; %bb.341:
	global_load_u16 v1, v[6:7], off
	s_mov_b32 s40, -1
	s_mov_b32 s27, 0
	s_wait_loadcnt 0x0
	v_lshlrev_b32_e32 v8, 16, v1
	s_branch .LBB135_346
.LBB135_342:
	s_mov_b32 s41, -1
                                        ; implicit-def: $vgpr8
	s_branch .LBB135_347
.LBB135_343:
	s_or_saveexec_b32 s41, s41
	v_mov_b32_e32 v8, 0x7f800001
	s_xor_b32 exec_lo, exec_lo, s41
	s_cbranch_execz .LBB135_324
.LBB135_344:
	v_cmp_ne_u16_e32 vcc_lo, 0, v1
	v_mov_b32_e32 v8, 0
	s_and_not1_b32 s40, s40, exec_lo
	s_and_b32 s43, vcc_lo, exec_lo
	s_delay_alu instid0(SALU_CYCLE_1)
	s_or_b32 s40, s40, s43
	s_or_b32 exec_lo, exec_lo, s41
	s_and_saveexec_b32 s41, s40
	s_cbranch_execnz .LBB135_325
	s_branch .LBB135_326
.LBB135_345:
	s_mov_b32 s27, -1
                                        ; implicit-def: $vgpr8
.LBB135_346:
	s_mov_b32 s41, 0
.LBB135_347:
	s_delay_alu instid0(SALU_CYCLE_1)
	s_and_b32 vcc_lo, exec_lo, s41
	s_cbranch_vccz .LBB135_351
; %bb.348:
	s_cmp_eq_u32 s39, 11
	s_cbranch_scc0 .LBB135_350
; %bb.349:
	global_load_u8 v1, v[6:7], off
	s_mov_b32 s27, 0
	s_mov_b32 s40, -1
	s_wait_xcnt 0x1
	v_mov_b32_e32 v9, 0
	s_wait_loadcnt 0x0
	v_cmp_ne_u16_e32 vcc_lo, 0, v1
	v_cndmask_b32_e64 v8, 0, 1.0, vcc_lo
	s_branch .LBB135_352
.LBB135_350:
	s_mov_b32 s27, -1
                                        ; implicit-def: $vgpr8
.LBB135_351:
	s_wait_xcnt 0x0
	v_mov_b32_e32 v9, 0
.LBB135_352:
	s_branch .LBB135_31
.LBB135_353:
	s_and_b32 s0, 0xffff, s0
	s_delay_alu instid0(SALU_CYCLE_1)
	s_cmp_lt_i32 s0, 5
	s_cbranch_scc1 .LBB135_358
; %bb.354:
	s_cmp_lt_i32 s0, 8
	s_cbranch_scc1 .LBB135_359
; %bb.355:
	s_cmp_lt_i32 s0, 9
	s_cbranch_scc1 .LBB135_360
; %bb.356:
	s_cmp_gt_i32 s0, 9
	s_cbranch_scc0 .LBB135_361
; %bb.357:
	global_load_b128 v[8:11], v[6:7], off
	s_mov_b32 s39, 0
	s_wait_loadcnt 0x0
	v_cvt_f32_f64_e32 v8, v[8:9]
	v_cvt_f32_f64_e32 v9, v[10:11]
	s_branch .LBB135_362
.LBB135_358:
	s_mov_b32 s39, -1
                                        ; implicit-def: $vgpr9
	s_branch .LBB135_381
.LBB135_359:
	s_mov_b32 s39, -1
                                        ; implicit-def: $vgpr9
	s_branch .LBB135_368
.LBB135_360:
	s_mov_b32 s39, -1
                                        ; implicit-def: $vgpr9
	s_branch .LBB135_365
.LBB135_361:
	s_mov_b32 s39, -1
                                        ; implicit-def: $vgpr9
.LBB135_362:
	s_delay_alu instid0(SALU_CYCLE_1)
	s_and_not1_b32 vcc_lo, exec_lo, s39
	s_cbranch_vccnz .LBB135_364
; %bb.363:
	global_load_b64 v[8:9], v[6:7], off
.LBB135_364:
	s_mov_b32 s39, 0
.LBB135_365:
	s_delay_alu instid0(SALU_CYCLE_1)
	s_and_not1_b32 vcc_lo, exec_lo, s39
	s_cbranch_vccnz .LBB135_367
; %bb.366:
	global_load_b32 v1, v[6:7], off
	s_wait_loadcnt 0x0
	v_lshrrev_b32_e32 v3, 16, v1
	v_cvt_f32_f16_e32 v8, v1
	s_delay_alu instid0(VALU_DEP_2)
	v_cvt_f32_f16_e32 v9, v3
.LBB135_367:
	s_mov_b32 s39, 0
.LBB135_368:
	s_delay_alu instid0(SALU_CYCLE_1)
	s_and_not1_b32 vcc_lo, exec_lo, s39
	s_cbranch_vccnz .LBB135_380
; %bb.369:
	s_cmp_lt_i32 s0, 6
	s_cbranch_scc1 .LBB135_372
; %bb.370:
	s_cmp_gt_i32 s0, 6
	s_cbranch_scc0 .LBB135_373
; %bb.371:
	s_wait_loadcnt 0x0
	global_load_b64 v[8:9], v[6:7], off
	s_mov_b32 s39, 0
	s_wait_loadcnt 0x0
	v_cvt_f32_f64_e32 v8, v[8:9]
	s_branch .LBB135_374
.LBB135_372:
	s_mov_b32 s39, -1
                                        ; implicit-def: $vgpr8
	s_branch .LBB135_377
.LBB135_373:
	s_mov_b32 s39, -1
                                        ; implicit-def: $vgpr8
.LBB135_374:
	s_delay_alu instid0(SALU_CYCLE_1)
	s_and_not1_b32 vcc_lo, exec_lo, s39
	s_cbranch_vccnz .LBB135_376
; %bb.375:
	s_wait_loadcnt 0x0
	global_load_b32 v8, v[6:7], off
.LBB135_376:
	s_mov_b32 s39, 0
.LBB135_377:
	s_delay_alu instid0(SALU_CYCLE_1)
	s_and_not1_b32 vcc_lo, exec_lo, s39
	s_cbranch_vccnz .LBB135_379
; %bb.378:
	global_load_u16 v1, v[6:7], off
	s_wait_loadcnt 0x0
	v_cvt_f32_f16_e32 v8, v1
.LBB135_379:
	s_wait_loadcnt 0x0
	v_mov_b32_e32 v9, 0
.LBB135_380:
	s_mov_b32 s39, 0
.LBB135_381:
	s_delay_alu instid0(SALU_CYCLE_1)
	s_and_not1_b32 vcc_lo, exec_lo, s39
	s_cbranch_vccnz .LBB135_402
; %bb.382:
	s_cmp_lt_i32 s0, 2
	s_cbranch_scc1 .LBB135_386
; %bb.383:
	s_cmp_lt_i32 s0, 3
	s_cbranch_scc1 .LBB135_387
; %bb.384:
	s_cmp_gt_i32 s0, 3
	s_cbranch_scc0 .LBB135_388
; %bb.385:
	s_wait_loadcnt 0x0
	global_load_b64 v[8:9], v[6:7], off
	s_mov_b32 s39, 0
	s_wait_loadcnt 0x0
	v_xor_b32_e32 v1, v8, v9
	v_cls_i32_e32 v3, v9
	s_delay_alu instid0(VALU_DEP_2) | instskip(NEXT) | instid1(VALU_DEP_1)
	v_ashrrev_i32_e32 v1, 31, v1
	v_add_nc_u32_e32 v1, 32, v1
	s_delay_alu instid0(VALU_DEP_1) | instskip(NEXT) | instid1(VALU_DEP_1)
	v_add_min_u32_e64 v1, v3, -1, v1
	v_lshlrev_b64_e32 v[8:9], v1, v[8:9]
	v_sub_nc_u32_e32 v1, 32, v1
	s_delay_alu instid0(VALU_DEP_2) | instskip(NEXT) | instid1(VALU_DEP_1)
	v_min_u32_e32 v3, 1, v8
	v_or_b32_e32 v3, v9, v3
	s_delay_alu instid0(VALU_DEP_1) | instskip(NEXT) | instid1(VALU_DEP_1)
	v_cvt_f32_i32_e32 v3, v3
	v_ldexp_f32 v8, v3, v1
	s_branch .LBB135_389
.LBB135_386:
	s_mov_b32 s39, -1
                                        ; implicit-def: $vgpr8
	s_branch .LBB135_395
.LBB135_387:
	s_mov_b32 s39, -1
                                        ; implicit-def: $vgpr8
	s_branch .LBB135_392
.LBB135_388:
	s_mov_b32 s39, -1
                                        ; implicit-def: $vgpr8
.LBB135_389:
	s_delay_alu instid0(SALU_CYCLE_1)
	s_and_not1_b32 vcc_lo, exec_lo, s39
	s_cbranch_vccnz .LBB135_391
; %bb.390:
	global_load_b32 v1, v[6:7], off
	s_wait_loadcnt 0x0
	v_cvt_f32_i32_e32 v8, v1
.LBB135_391:
	s_mov_b32 s39, 0
.LBB135_392:
	s_delay_alu instid0(SALU_CYCLE_1)
	s_and_not1_b32 vcc_lo, exec_lo, s39
	s_cbranch_vccnz .LBB135_394
; %bb.393:
	global_load_i16 v1, v[6:7], off
	s_wait_loadcnt 0x0
	v_cvt_f32_i32_e32 v8, v1
.LBB135_394:
	s_mov_b32 s39, 0
.LBB135_395:
	s_delay_alu instid0(SALU_CYCLE_1)
	s_and_not1_b32 vcc_lo, exec_lo, s39
	s_cbranch_vccnz .LBB135_401
; %bb.396:
	s_cmp_gt_i32 s0, 0
	s_mov_b32 s0, 0
	s_cbranch_scc0 .LBB135_398
; %bb.397:
	global_load_i8 v1, v[6:7], off
	s_wait_loadcnt 0x0
	v_cvt_f32_i32_e32 v8, v1
	s_branch .LBB135_399
.LBB135_398:
	s_mov_b32 s0, -1
                                        ; implicit-def: $vgpr8
.LBB135_399:
	s_delay_alu instid0(SALU_CYCLE_1)
	s_and_not1_b32 vcc_lo, exec_lo, s0
	s_cbranch_vccnz .LBB135_401
; %bb.400:
	global_load_u8 v1, v[6:7], off
	s_wait_loadcnt 0x0
	v_cvt_f32_ubyte0_e32 v8, v1
.LBB135_401:
	s_wait_loadcnt 0x0
	v_mov_b32_e32 v9, 0
.LBB135_402:
	s_branch .LBB135_32
.LBB135_403:
	s_mov_b32 s0, 0
.LBB135_404:
	s_mov_b32 s43, 0
                                        ; implicit-def: $vgpr0
.LBB135_405:
	s_and_b32 s39, s0, exec_lo
	s_and_b32 s40, s27, exec_lo
	s_and_b32 s41, s26, exec_lo
	s_or_not1_b32 s43, s43, exec_lo
.LBB135_406:
	s_wait_xcnt 0x0
	s_or_b32 exec_lo, exec_lo, s42
	s_mov_b32 s27, 0
	s_mov_b32 s26, 0
                                        ; implicit-def: $sgpr0
                                        ; implicit-def: $vgpr6_vgpr7
                                        ; implicit-def: $vgpr4
                                        ; implicit-def: $vgpr2
                                        ; implicit-def: $vgpr1
	s_and_saveexec_b32 s42, s43
	s_cbranch_execz .LBB135_414
; %bb.407:
	s_mov_b32 s48, -1
	s_mov_b32 s43, s41
	s_mov_b32 s45, s40
	;; [unrolled: 1-line block ×3, first 2 shown]
	s_mov_b32 s46, exec_lo
	v_cmpx_gt_i32_e64 s37, v0
	s_cbranch_execz .LBB135_825
; %bb.408:
	s_and_not1_b32 vcc_lo, exec_lo, s31
	s_cbranch_vccnz .LBB135_417
; %bb.409:
	s_and_not1_b32 vcc_lo, exec_lo, s38
	s_cbranch_vccnz .LBB135_418
; %bb.410:
	v_dual_mov_b32 v2, 0 :: v_dual_mov_b32 v1, v0
	s_wait_loadcnt 0x0
	v_dual_mov_b32 v4, 0 :: v_dual_mov_b32 v6, 0
	s_add_co_i32 s0, s36, 1
	s_mov_b64 s[26:27], 0xffffffffffffffe8
	s_and_b32 s0, s0, 30
	s_add_nc_u64 s[26:27], s[2:3], s[26:27]
.LBB135_411:                            ; =>This Inner Loop Header: Depth=1
	s_clause 0x1
	s_load_b128 s[48:51], s[26:27], 0x1c
	s_load_b64 s[44:45], s[26:27], 0x2c
	s_add_co_i32 s0, s0, -2
	s_delay_alu instid0(SALU_CYCLE_1) | instskip(SKIP_2) | instid1(VALU_DEP_1)
	s_cmp_eq_u32 s0, 0
	s_wait_kmcnt 0x0
	v_mul_hi_u32 v3, s49, v1
	v_add_nc_u32_e32 v3, v1, v3
	s_delay_alu instid0(VALU_DEP_1) | instskip(NEXT) | instid1(VALU_DEP_1)
	v_lshrrev_b32_e32 v3, s50, v3
	v_mul_hi_u32 v5, s44, v3
	v_mul_lo_u32 v7, v3, s48
	s_clause 0x1
	s_load_b128 s[52:55], s[26:27], 0xdc
	s_load_b64 s[48:49], s[26:27], 0xec
	s_wait_xcnt 0x0
	s_add_nc_u64 s[26:27], s[26:27], 24
	s_delay_alu instid0(VALU_DEP_1) | instskip(NEXT) | instid1(VALU_DEP_1)
	v_dual_add_nc_u32 v5, v3, v5 :: v_dual_sub_nc_u32 v7, v1, v7
	v_lshrrev_b32_e32 v1, s45, v5
	s_wait_kmcnt 0x0
	s_delay_alu instid0(VALU_DEP_2) | instskip(NEXT) | instid1(VALU_DEP_2)
	v_mad_u32 v2, v7, s52, v2
	v_mul_lo_u32 v5, v1, s51
	v_mad_u32 v6, v7, s54, v6
	v_mad_u32 v4, v7, s53, v4
	s_delay_alu instid0(VALU_DEP_3) | instskip(NEXT) | instid1(VALU_DEP_1)
	v_sub_nc_u32_e32 v3, v3, v5
	v_mad_u32 v2, v3, s55, v2
	s_delay_alu instid0(VALU_DEP_4) | instskip(NEXT) | instid1(VALU_DEP_4)
	v_mad_u32 v6, v3, s49, v6
	v_mad_u32 v4, v3, s48, v4
	s_cbranch_scc0 .LBB135_411
; %bb.412:
	s_bitcmp1_b32 s36, 0
	s_cselect_b32 s0, -1, 0
	s_delay_alu instid0(SALU_CYCLE_1)
	s_and_b32 vcc_lo, exec_lo, s0
	s_cbranch_vccnz .LBB135_419
; %bb.413:
	s_clause 0x1
	s_load_b96 s[48:50], s[26:27], 0x1c
	s_load_b96 s[52:54], s[26:27], 0xdc
	s_wait_kmcnt 0x0
	v_mul_hi_u32 v3, s49, v1
	s_delay_alu instid0(VALU_DEP_1) | instskip(NEXT) | instid1(VALU_DEP_1)
	v_add_nc_u32_e32 v3, v1, v3
	v_lshrrev_b32_e32 v3, s50, v3
	s_delay_alu instid0(VALU_DEP_1) | instskip(NEXT) | instid1(VALU_DEP_1)
	v_mul_lo_u32 v3, v3, s48
	v_sub_nc_u32_e32 v1, v1, v3
	s_delay_alu instid0(VALU_DEP_1)
	v_mad_u32 v2, v1, s52, v2
	v_mad_u32 v4, v1, s53, v4
	;; [unrolled: 1-line block ×3, first 2 shown]
	s_branch .LBB135_419
.LBB135_414:
	s_or_b32 exec_lo, exec_lo, s42
	s_mov_b32 s1, 0
	s_and_saveexec_b32 s6, s41
	s_cbranch_execnz .LBB135_1343
.LBB135_415:
	s_or_b32 exec_lo, exec_lo, s6
	s_and_saveexec_b32 s6, s21
	s_delay_alu instid0(SALU_CYCLE_1)
	s_xor_b32 s6, exec_lo, s6
	s_cbranch_execz .LBB135_1344
.LBB135_416:
	global_load_u8 v0, v[6:7], off
	v_mov_b32_e32 v1, 0
	s_or_b32 s26, s26, exec_lo
	s_wait_loadcnt 0x0
	v_cmp_ne_u16_e32 vcc_lo, 0, v0
	v_cndmask_b32_e64 v0, 0, 1.0, vcc_lo
	s_wait_xcnt 0x0
	s_or_b32 exec_lo, exec_lo, s6
	s_and_saveexec_b32 s6, s27
	s_cbranch_execz .LBB135_1392
	s_branch .LBB135_1345
.LBB135_417:
                                        ; implicit-def: $vgpr6
                                        ; implicit-def: $vgpr4
                                        ; implicit-def: $vgpr2
	s_branch .LBB135_420
.LBB135_418:
	s_wait_loadcnt 0x0
	v_dual_mov_b32 v6, 0 :: v_dual_mov_b32 v4, 0
	v_mov_b32_e32 v2, 0
.LBB135_419:
	s_cbranch_execnz .LBB135_422
.LBB135_420:
	v_mov_b32_e32 v1, 0
	s_and_not1_b32 vcc_lo, exec_lo, s35
	s_delay_alu instid0(VALU_DEP_1) | instskip(NEXT) | instid1(VALU_DEP_1)
	v_mul_u64_e32 v[2:3], s[20:21], v[0:1]
	v_add_nc_u32_e32 v2, v0, v3
	s_wait_loadcnt 0x0
	s_delay_alu instid0(VALU_DEP_1) | instskip(NEXT) | instid1(VALU_DEP_1)
	v_lshrrev_b32_e32 v8, s14, v2
	v_mul_lo_u32 v2, v8, s12
	s_delay_alu instid0(VALU_DEP_1) | instskip(NEXT) | instid1(VALU_DEP_1)
	v_sub_nc_u32_e32 v3, v0, v2
	v_mul_lo_u32 v2, v3, s16
	v_mul_lo_u32 v6, v3, s18
	;; [unrolled: 1-line block ×3, first 2 shown]
	s_cbranch_vccnz .LBB135_422
; %bb.421:
	v_mov_b32_e32 v9, v1
	s_delay_alu instid0(VALU_DEP_1) | instskip(NEXT) | instid1(VALU_DEP_1)
	v_mul_u64_e32 v[10:11], s[24:25], v[8:9]
	v_add_nc_u32_e32 v1, v8, v11
	s_delay_alu instid0(VALU_DEP_1) | instskip(NEXT) | instid1(VALU_DEP_1)
	v_lshrrev_b32_e32 v1, s1, v1
	v_mul_lo_u32 v1, v1, s15
	s_delay_alu instid0(VALU_DEP_1) | instskip(NEXT) | instid1(VALU_DEP_1)
	v_sub_nc_u32_e32 v1, v8, v1
	v_mad_u32 v2, v1, s19, v2
	v_mad_u32 v4, v1, s22, v4
	;; [unrolled: 1-line block ×3, first 2 shown]
.LBB135_422:
	s_wait_loadcnt 0x0
	v_mov_b32_e32 v5, 0
	s_and_b32 s0, s34, 0xff
	s_delay_alu instid0(SALU_CYCLE_1) | instskip(NEXT) | instid1(VALU_DEP_1)
	s_cmp_lt_i32 s0, 11
	v_add_nc_u64_e32 v[8:9], s[6:7], v[4:5]
	s_cbranch_scc1 .LBB135_429
; %bb.423:
	s_and_b32 s27, 0xffff, s0
	s_delay_alu instid0(SALU_CYCLE_1)
	s_cmp_gt_i32 s27, 25
	s_cbranch_scc0 .LBB135_438
; %bb.424:
	s_cmp_gt_i32 s27, 28
	s_cbranch_scc0 .LBB135_440
; %bb.425:
	;; [unrolled: 3-line block ×4, first 2 shown]
	s_cmp_eq_u32 s27, 46
	s_mov_b32 s44, 0
	s_cbranch_scc0 .LBB135_448
; %bb.428:
	global_load_b32 v1, v[8:9], off
	s_mov_b32 s43, -1
	s_mov_b32 s26, 0
	s_wait_loadcnt 0x0
	v_and_b32_e32 v5, 0xffff0000, v1
	v_lshlrev_b32_e32 v4, 16, v1
	s_branch .LBB135_450
.LBB135_429:
	s_mov_b32 s43, 0
	s_mov_b32 s26, s41
                                        ; implicit-def: $vgpr5
	s_cbranch_execnz .LBB135_519
.LBB135_430:
	s_and_not1_b32 vcc_lo, exec_lo, s43
	s_cbranch_vccnz .LBB135_569
.LBB135_431:
	v_mov_b32_e32 v7, 0
	s_and_b32 s0, s13, 0xff
	s_delay_alu instid0(SALU_CYCLE_1) | instskip(NEXT) | instid1(VALU_DEP_1)
	s_cmp_lt_i32 s0, 11
	v_add_nc_u64_e32 v[6:7], s[8:9], v[6:7]
	s_cbranch_scc1 .LBB135_439
; %bb.432:
	s_and_b32 s43, 0xffff, s0
	s_delay_alu instid0(SALU_CYCLE_1)
	s_cmp_gt_i32 s43, 25
	s_cbranch_scc0 .LBB135_441
; %bb.433:
	s_cmp_gt_i32 s43, 28
	s_cbranch_scc0 .LBB135_443
; %bb.434:
	;; [unrolled: 3-line block ×4, first 2 shown]
	s_cmp_eq_u32 s43, 46
	s_mov_b32 s45, 0
	s_cbranch_scc0 .LBB135_572
; %bb.437:
	global_load_b32 v1, v[6:7], off
	s_mov_b32 s44, -1
	s_mov_b32 s27, 0
	s_wait_loadcnt 0x0
	s_wait_xcnt 0x1
	v_and_b32_e32 v9, 0xffff0000, v1
	v_lshlrev_b32_e32 v8, 16, v1
	s_branch .LBB135_574
.LBB135_438:
	s_mov_b32 s44, -1
	s_mov_b32 s43, 0
	s_mov_b32 s26, s41
                                        ; implicit-def: $vgpr5
	s_branch .LBB135_482
.LBB135_439:
	s_mov_b32 s43, -1
	s_mov_b32 s44, 0
	s_mov_b32 s27, s40
                                        ; implicit-def: $vgpr9
	s_branch .LBB135_642
.LBB135_440:
	s_mov_b32 s44, -1
	s_mov_b32 s43, 0
	s_mov_b32 s26, s41
                                        ; implicit-def: $vgpr5
	s_branch .LBB135_463
.LBB135_441:
	s_mov_b32 s45, -1
	s_mov_b32 s44, 0
	s_mov_b32 s27, s40
                                        ; implicit-def: $vgpr9
	s_branch .LBB135_605
.LBB135_442:
	s_mov_b32 s44, -1
	s_mov_b32 s43, 0
	s_mov_b32 s26, s41
                                        ; implicit-def: $vgpr5
	s_branch .LBB135_457
.LBB135_443:
	s_mov_b32 s45, -1
	s_mov_b32 s44, 0
	s_mov_b32 s27, s40
                                        ; implicit-def: $vgpr9
	s_branch .LBB135_586
.LBB135_444:
	s_mov_b32 s44, -1
	s_mov_b32 s43, 0
	s_mov_b32 s26, s41
	s_branch .LBB135_449
.LBB135_445:
	s_mov_b32 s45, -1
	s_mov_b32 s44, 0
	s_mov_b32 s27, s40
                                        ; implicit-def: $vgpr9
	s_branch .LBB135_580
.LBB135_446:
	s_and_not1_saveexec_b32 s45, s45
	s_cbranch_execz .LBB135_199
.LBB135_447:
	v_add_f32_e32 v1, 0x46000000, v4
	s_and_not1_b32 s44, s44, exec_lo
	s_delay_alu instid0(VALU_DEP_1) | instskip(NEXT) | instid1(VALU_DEP_1)
	v_and_b32_e32 v1, 0xff, v1
	v_cmp_ne_u32_e32 vcc_lo, 0, v1
	s_and_b32 s46, vcc_lo, exec_lo
	s_delay_alu instid0(SALU_CYCLE_1)
	s_or_b32 s44, s44, s46
	s_or_b32 exec_lo, exec_lo, s45
	v_mov_b32_e32 v5, 0
	s_and_saveexec_b32 s45, s44
	s_cbranch_execnz .LBB135_200
	s_branch .LBB135_201
.LBB135_448:
	s_mov_b32 s26, -1
	s_mov_b32 s43, 0
.LBB135_449:
                                        ; implicit-def: $vgpr5
.LBB135_450:
	s_and_b32 vcc_lo, exec_lo, s44
	s_cbranch_vccz .LBB135_456
; %bb.451:
	s_cmp_eq_u32 s27, 44
	s_cbranch_scc0 .LBB135_454
; %bb.452:
	global_load_u8 v1, v[8:9], off
	s_mov_b32 s26, 0
	s_mov_b32 s43, -1
	s_wait_loadcnt 0x0
	v_lshlrev_b32_e32 v3, 23, v1
	v_cmp_ne_u32_e32 vcc_lo, 0xff, v1
	s_delay_alu instid0(VALU_DEP_2) | instskip(SKIP_1) | instid1(VALU_DEP_2)
	v_cndmask_b32_e32 v3, 0x7f800001, v3, vcc_lo
	v_cmp_ne_u32_e32 vcc_lo, 0, v1
	v_cndmask_b32_e32 v4, 0x400000, v3, vcc_lo
	s_branch .LBB135_455
.LBB135_453:
	s_mov_b32 s45, -1
	s_mov_b32 s44, 0
	s_mov_b32 s27, s40
	s_branch .LBB135_573
.LBB135_454:
	s_mov_b32 s26, -1
                                        ; implicit-def: $vgpr4
.LBB135_455:
	v_mov_b32_e32 v5, 0
.LBB135_456:
	s_mov_b32 s44, 0
.LBB135_457:
	s_delay_alu instid0(SALU_CYCLE_1)
	s_and_b32 vcc_lo, exec_lo, s44
	s_cbranch_vccz .LBB135_462
; %bb.458:
	s_cmp_eq_u32 s27, 29
	s_cbranch_scc0 .LBB135_460
; %bb.459:
	global_load_b64 v[4:5], v[8:9], off
	s_mov_b32 s43, -1
	s_mov_b32 s26, 0
	s_wait_loadcnt 0x0
	v_clz_i32_u32_e32 v1, v5
	s_delay_alu instid0(VALU_DEP_1) | instskip(NEXT) | instid1(VALU_DEP_1)
	v_min_u32_e32 v1, 32, v1
	v_lshlrev_b64_e32 v[4:5], v1, v[4:5]
	v_sub_nc_u32_e32 v1, 32, v1
	s_delay_alu instid0(VALU_DEP_2) | instskip(NEXT) | instid1(VALU_DEP_1)
	v_min_u32_e32 v3, 1, v4
	v_or_b32_e32 v3, v5, v3
	s_delay_alu instid0(VALU_DEP_1) | instskip(NEXT) | instid1(VALU_DEP_1)
	v_cvt_f32_u32_e32 v3, v3
	v_ldexp_f32 v4, v3, v1
	s_branch .LBB135_461
.LBB135_460:
	s_mov_b32 s26, -1
                                        ; implicit-def: $vgpr4
.LBB135_461:
	v_mov_b32_e32 v5, 0
.LBB135_462:
	s_mov_b32 s44, 0
.LBB135_463:
	s_delay_alu instid0(SALU_CYCLE_1)
	s_and_b32 vcc_lo, exec_lo, s44
	s_cbranch_vccz .LBB135_481
; %bb.464:
	s_cmp_lt_i32 s27, 27
	s_cbranch_scc1 .LBB135_467
; %bb.465:
	s_cmp_gt_i32 s27, 27
	s_cbranch_scc0 .LBB135_468
; %bb.466:
	global_load_b32 v1, v[8:9], off
	s_mov_b32 s43, 0
	s_wait_loadcnt 0x0
	v_cvt_f32_u32_e32 v4, v1
	s_branch .LBB135_469
.LBB135_467:
	s_mov_b32 s43, -1
                                        ; implicit-def: $vgpr4
	s_branch .LBB135_472
.LBB135_468:
	s_mov_b32 s43, -1
                                        ; implicit-def: $vgpr4
.LBB135_469:
	s_delay_alu instid0(SALU_CYCLE_1)
	s_and_not1_b32 vcc_lo, exec_lo, s43
	s_cbranch_vccnz .LBB135_471
; %bb.470:
	global_load_u16 v1, v[8:9], off
	s_wait_loadcnt 0x0
	v_cvt_f32_u32_e32 v4, v1
.LBB135_471:
	s_mov_b32 s43, 0
.LBB135_472:
	s_delay_alu instid0(SALU_CYCLE_1)
	s_and_not1_b32 vcc_lo, exec_lo, s43
	s_cbranch_vccnz .LBB135_480
; %bb.473:
	global_load_u8 v1, v[8:9], off
	s_mov_b32 s43, 0
	s_mov_b32 s44, exec_lo
	s_wait_loadcnt 0x0
	v_cmpx_lt_i16_e32 0x7f, v1
	s_xor_b32 s44, exec_lo, s44
	s_cbranch_execz .LBB135_494
; %bb.474:
	s_mov_b32 s43, -1
	s_mov_b32 s45, exec_lo
	v_cmpx_eq_u16_e32 0x80, v1
; %bb.475:
	s_xor_b32 s43, exec_lo, -1
; %bb.476:
	s_or_b32 exec_lo, exec_lo, s45
	s_delay_alu instid0(SALU_CYCLE_1)
	s_and_b32 s43, s43, exec_lo
	s_or_saveexec_b32 s44, s44
	v_mov_b32_e32 v4, 0x7f800001
	s_xor_b32 exec_lo, exec_lo, s44
	s_cbranch_execnz .LBB135_495
.LBB135_477:
	s_or_b32 exec_lo, exec_lo, s44
	s_and_saveexec_b32 s44, s43
	s_cbranch_execz .LBB135_479
.LBB135_478:
	v_and_b32_e32 v3, 0xffff, v1
	s_delay_alu instid0(VALU_DEP_1) | instskip(SKIP_1) | instid1(VALU_DEP_2)
	v_and_b32_e32 v4, 7, v3
	v_bfe_u32 v10, v3, 3, 4
	v_clz_i32_u32_e32 v5, v4
	s_delay_alu instid0(VALU_DEP_2) | instskip(NEXT) | instid1(VALU_DEP_2)
	v_cmp_eq_u32_e32 vcc_lo, 0, v10
	v_min_u32_e32 v5, 32, v5
	s_delay_alu instid0(VALU_DEP_1) | instskip(NEXT) | instid1(VALU_DEP_1)
	v_subrev_nc_u32_e32 v7, 28, v5
	v_dual_lshlrev_b32 v3, v7, v3 :: v_dual_sub_nc_u32 v5, 29, v5
	s_delay_alu instid0(VALU_DEP_1) | instskip(NEXT) | instid1(VALU_DEP_1)
	v_dual_lshlrev_b32 v1, 24, v1 :: v_dual_bitop2_b32 v3, 7, v3 bitop3:0x40
	v_dual_cndmask_b32 v3, v4, v3, vcc_lo :: v_dual_cndmask_b32 v5, v10, v5, vcc_lo
	s_delay_alu instid0(VALU_DEP_2) | instskip(NEXT) | instid1(VALU_DEP_2)
	v_and_b32_e32 v1, 0x80000000, v1
	v_lshlrev_b32_e32 v3, 20, v3
	s_delay_alu instid0(VALU_DEP_3) | instskip(NEXT) | instid1(VALU_DEP_1)
	v_lshl_add_u32 v4, v5, 23, 0x3b800000
	v_or3_b32 v4, v1, v4, v3
.LBB135_479:
	s_or_b32 exec_lo, exec_lo, s44
.LBB135_480:
	v_mov_b32_e32 v5, 0
	s_mov_b32 s43, -1
.LBB135_481:
	s_mov_b32 s44, 0
.LBB135_482:
	s_delay_alu instid0(SALU_CYCLE_1)
	s_and_b32 vcc_lo, exec_lo, s44
	s_cbranch_vccz .LBB135_518
; %bb.483:
	s_cmp_gt_i32 s27, 22
	s_cbranch_scc0 .LBB135_493
; %bb.484:
	s_cmp_lt_i32 s27, 24
	s_cbranch_scc1 .LBB135_496
; %bb.485:
	s_cmp_gt_i32 s27, 24
	s_cbranch_scc0 .LBB135_497
; %bb.486:
	global_load_u8 v1, v[8:9], off
	s_mov_b32 s43, 0
	s_mov_b32 s44, exec_lo
	s_wait_loadcnt 0x0
	v_cmpx_lt_i16_e32 0x7f, v1
	s_xor_b32 s44, exec_lo, s44
	s_cbranch_execz .LBB135_509
; %bb.487:
	s_mov_b32 s43, -1
	s_mov_b32 s45, exec_lo
	v_cmpx_eq_u16_e32 0x80, v1
; %bb.488:
	s_xor_b32 s43, exec_lo, -1
; %bb.489:
	s_or_b32 exec_lo, exec_lo, s45
	s_delay_alu instid0(SALU_CYCLE_1)
	s_and_b32 s43, s43, exec_lo
	s_or_saveexec_b32 s44, s44
	v_mov_b32_e32 v4, 0x7f800001
	s_xor_b32 exec_lo, exec_lo, s44
	s_cbranch_execnz .LBB135_510
.LBB135_490:
	s_or_b32 exec_lo, exec_lo, s44
	s_and_saveexec_b32 s44, s43
	s_cbranch_execz .LBB135_492
.LBB135_491:
	v_and_b32_e32 v3, 0xffff, v1
	s_delay_alu instid0(VALU_DEP_1) | instskip(SKIP_1) | instid1(VALU_DEP_2)
	v_and_b32_e32 v4, 3, v3
	v_bfe_u32 v10, v3, 2, 5
	v_clz_i32_u32_e32 v5, v4
	s_delay_alu instid0(VALU_DEP_2) | instskip(NEXT) | instid1(VALU_DEP_2)
	v_cmp_eq_u32_e32 vcc_lo, 0, v10
	v_min_u32_e32 v5, 32, v5
	s_delay_alu instid0(VALU_DEP_1) | instskip(NEXT) | instid1(VALU_DEP_1)
	v_subrev_nc_u32_e32 v7, 29, v5
	v_dual_lshlrev_b32 v3, v7, v3 :: v_dual_sub_nc_u32 v5, 30, v5
	s_delay_alu instid0(VALU_DEP_1) | instskip(NEXT) | instid1(VALU_DEP_1)
	v_dual_lshlrev_b32 v1, 24, v1 :: v_dual_bitop2_b32 v3, 3, v3 bitop3:0x40
	v_dual_cndmask_b32 v3, v4, v3, vcc_lo :: v_dual_cndmask_b32 v5, v10, v5, vcc_lo
	s_delay_alu instid0(VALU_DEP_2) | instskip(NEXT) | instid1(VALU_DEP_2)
	v_and_b32_e32 v1, 0x80000000, v1
	v_lshlrev_b32_e32 v3, 21, v3
	s_delay_alu instid0(VALU_DEP_3) | instskip(NEXT) | instid1(VALU_DEP_1)
	v_lshl_add_u32 v4, v5, 23, 0x37800000
	v_or3_b32 v4, v1, v4, v3
.LBB135_492:
	s_or_b32 exec_lo, exec_lo, s44
	s_mov_b32 s43, 0
	s_branch .LBB135_498
.LBB135_493:
	s_mov_b32 s44, -1
                                        ; implicit-def: $vgpr4
	s_branch .LBB135_504
.LBB135_494:
	s_or_saveexec_b32 s44, s44
	v_mov_b32_e32 v4, 0x7f800001
	s_xor_b32 exec_lo, exec_lo, s44
	s_cbranch_execz .LBB135_477
.LBB135_495:
	v_cmp_ne_u16_e32 vcc_lo, 0, v1
	v_mov_b32_e32 v4, 0
	s_and_not1_b32 s43, s43, exec_lo
	s_and_b32 s45, vcc_lo, exec_lo
	s_delay_alu instid0(SALU_CYCLE_1)
	s_or_b32 s43, s43, s45
	s_or_b32 exec_lo, exec_lo, s44
	s_and_saveexec_b32 s44, s43
	s_cbranch_execnz .LBB135_478
	s_branch .LBB135_479
.LBB135_496:
	s_mov_b32 s43, -1
                                        ; implicit-def: $vgpr4
	s_branch .LBB135_501
.LBB135_497:
	s_mov_b32 s43, -1
                                        ; implicit-def: $vgpr4
.LBB135_498:
	s_delay_alu instid0(SALU_CYCLE_1)
	s_and_b32 vcc_lo, exec_lo, s43
	s_cbranch_vccz .LBB135_500
; %bb.499:
	global_load_u8 v1, v[8:9], off
	s_wait_loadcnt 0x0
	v_lshlrev_b32_e32 v1, 24, v1
	s_delay_alu instid0(VALU_DEP_1) | instskip(NEXT) | instid1(VALU_DEP_1)
	v_and_b32_e32 v3, 0x7f000000, v1
	v_clz_i32_u32_e32 v4, v3
	v_add_nc_u32_e32 v7, 0x1000000, v3
	v_cmp_ne_u32_e32 vcc_lo, 0, v3
	s_delay_alu instid0(VALU_DEP_3) | instskip(NEXT) | instid1(VALU_DEP_1)
	v_min_u32_e32 v4, 32, v4
	v_sub_nc_u32_e64 v4, v4, 4 clamp
	s_delay_alu instid0(VALU_DEP_1) | instskip(NEXT) | instid1(VALU_DEP_1)
	v_dual_lshlrev_b32 v5, v4, v3 :: v_dual_lshlrev_b32 v4, 23, v4
	v_lshrrev_b32_e32 v5, 4, v5
	s_delay_alu instid0(VALU_DEP_1) | instskip(NEXT) | instid1(VALU_DEP_1)
	v_dual_sub_nc_u32 v4, v5, v4 :: v_dual_ashrrev_i32 v5, 8, v7
	v_add_nc_u32_e32 v4, 0x3c000000, v4
	s_delay_alu instid0(VALU_DEP_1) | instskip(NEXT) | instid1(VALU_DEP_1)
	v_and_or_b32 v4, 0x7f800000, v5, v4
	v_cndmask_b32_e32 v3, 0, v4, vcc_lo
	s_delay_alu instid0(VALU_DEP_1)
	v_and_or_b32 v4, 0x80000000, v1, v3
.LBB135_500:
	s_mov_b32 s43, 0
.LBB135_501:
	s_delay_alu instid0(SALU_CYCLE_1)
	s_and_not1_b32 vcc_lo, exec_lo, s43
	s_cbranch_vccnz .LBB135_503
; %bb.502:
	global_load_u8 v1, v[8:9], off
	s_wait_loadcnt 0x0
	v_lshlrev_b32_e32 v3, 25, v1
	v_lshlrev_b16 v1, 8, v1
	s_delay_alu instid0(VALU_DEP_1) | instskip(NEXT) | instid1(VALU_DEP_3)
	v_and_or_b32 v5, 0x7f00, v1, 0.5
	v_lshrrev_b32_e32 v4, 4, v3
	v_bfe_i32 v1, v1, 0, 16
	s_delay_alu instid0(VALU_DEP_3) | instskip(NEXT) | instid1(VALU_DEP_3)
	v_add_f32_e32 v5, -0.5, v5
	v_or_b32_e32 v4, 0x70000000, v4
	s_delay_alu instid0(VALU_DEP_1) | instskip(SKIP_1) | instid1(VALU_DEP_2)
	v_mul_f32_e32 v4, 0x7800000, v4
	v_cmp_gt_u32_e32 vcc_lo, 0x8000000, v3
	v_cndmask_b32_e32 v3, v4, v5, vcc_lo
	s_delay_alu instid0(VALU_DEP_1)
	v_and_or_b32 v4, 0x80000000, v1, v3
.LBB135_503:
	s_mov_b32 s44, 0
	s_mov_b32 s43, -1
.LBB135_504:
	s_and_not1_b32 vcc_lo, exec_lo, s44
	s_cbranch_vccnz .LBB135_517
; %bb.505:
	s_cmp_gt_i32 s27, 14
	s_cbranch_scc0 .LBB135_508
; %bb.506:
	s_cmp_eq_u32 s27, 15
	s_cbranch_scc0 .LBB135_511
; %bb.507:
	global_load_u16 v1, v[8:9], off
	s_mov_b32 s43, -1
	s_mov_b32 s26, 0
	s_wait_loadcnt 0x0
	v_lshlrev_b32_e32 v4, 16, v1
	s_branch .LBB135_512
.LBB135_508:
	s_mov_b32 s44, -1
                                        ; implicit-def: $vgpr4
	s_branch .LBB135_513
.LBB135_509:
	s_or_saveexec_b32 s44, s44
	v_mov_b32_e32 v4, 0x7f800001
	s_xor_b32 exec_lo, exec_lo, s44
	s_cbranch_execz .LBB135_490
.LBB135_510:
	v_cmp_ne_u16_e32 vcc_lo, 0, v1
	v_mov_b32_e32 v4, 0
	s_and_not1_b32 s43, s43, exec_lo
	s_and_b32 s45, vcc_lo, exec_lo
	s_delay_alu instid0(SALU_CYCLE_1)
	s_or_b32 s43, s43, s45
	s_or_b32 exec_lo, exec_lo, s44
	s_and_saveexec_b32 s44, s43
	s_cbranch_execnz .LBB135_491
	s_branch .LBB135_492
.LBB135_511:
	s_mov_b32 s26, -1
                                        ; implicit-def: $vgpr4
.LBB135_512:
	s_mov_b32 s44, 0
.LBB135_513:
	s_delay_alu instid0(SALU_CYCLE_1)
	s_and_b32 vcc_lo, exec_lo, s44
	s_cbranch_vccz .LBB135_517
; %bb.514:
	s_cmp_eq_u32 s27, 11
	s_cbranch_scc0 .LBB135_516
; %bb.515:
	global_load_u8 v1, v[8:9], off
	s_mov_b32 s26, 0
	s_mov_b32 s43, -1
	v_mov_b32_e32 v5, 0
	s_wait_loadcnt 0x0
	v_cmp_ne_u16_e32 vcc_lo, 0, v1
	v_cndmask_b32_e64 v4, 0, 1.0, vcc_lo
	s_branch .LBB135_518
.LBB135_516:
	s_mov_b32 s26, -1
                                        ; implicit-def: $vgpr4
.LBB135_517:
	v_mov_b32_e32 v5, 0
.LBB135_518:
	s_branch .LBB135_430
.LBB135_519:
	s_and_b32 s0, 0xffff, s0
	s_delay_alu instid0(SALU_CYCLE_1)
	s_cmp_lt_i32 s0, 5
	s_cbranch_scc1 .LBB135_524
; %bb.520:
	s_cmp_lt_i32 s0, 8
	s_cbranch_scc1 .LBB135_525
; %bb.521:
	;; [unrolled: 3-line block ×3, first 2 shown]
	s_cmp_gt_i32 s0, 9
	s_cbranch_scc0 .LBB135_527
; %bb.523:
	global_load_b128 v[10:13], v[8:9], off
	s_mov_b32 s27, 0
	s_wait_loadcnt 0x0
	v_cvt_f32_f64_e32 v4, v[10:11]
	v_cvt_f32_f64_e32 v5, v[12:13]
	s_branch .LBB135_528
.LBB135_524:
	s_mov_b32 s27, -1
                                        ; implicit-def: $vgpr5
	s_branch .LBB135_547
.LBB135_525:
	s_mov_b32 s27, -1
                                        ; implicit-def: $vgpr5
	s_branch .LBB135_534
.LBB135_526:
	s_mov_b32 s27, -1
                                        ; implicit-def: $vgpr5
	s_branch .LBB135_531
.LBB135_527:
	s_mov_b32 s27, -1
                                        ; implicit-def: $vgpr5
.LBB135_528:
	s_delay_alu instid0(SALU_CYCLE_1)
	s_and_not1_b32 vcc_lo, exec_lo, s27
	s_cbranch_vccnz .LBB135_530
; %bb.529:
	global_load_b64 v[4:5], v[8:9], off
.LBB135_530:
	s_mov_b32 s27, 0
.LBB135_531:
	s_delay_alu instid0(SALU_CYCLE_1)
	s_and_not1_b32 vcc_lo, exec_lo, s27
	s_cbranch_vccnz .LBB135_533
; %bb.532:
	global_load_b32 v1, v[8:9], off
	s_wait_loadcnt 0x0
	v_lshrrev_b32_e32 v3, 16, v1
	v_cvt_f32_f16_e32 v4, v1
	s_delay_alu instid0(VALU_DEP_2)
	v_cvt_f32_f16_e32 v5, v3
.LBB135_533:
	s_mov_b32 s27, 0
.LBB135_534:
	s_delay_alu instid0(SALU_CYCLE_1)
	s_and_not1_b32 vcc_lo, exec_lo, s27
	s_cbranch_vccnz .LBB135_546
; %bb.535:
	s_cmp_lt_i32 s0, 6
	s_cbranch_scc1 .LBB135_538
; %bb.536:
	s_cmp_gt_i32 s0, 6
	s_cbranch_scc0 .LBB135_539
; %bb.537:
	s_wait_loadcnt 0x0
	global_load_b64 v[4:5], v[8:9], off
	s_mov_b32 s27, 0
	s_wait_loadcnt 0x0
	v_cvt_f32_f64_e32 v4, v[4:5]
	s_branch .LBB135_540
.LBB135_538:
	s_mov_b32 s27, -1
                                        ; implicit-def: $vgpr4
	s_branch .LBB135_543
.LBB135_539:
	s_mov_b32 s27, -1
                                        ; implicit-def: $vgpr4
.LBB135_540:
	s_delay_alu instid0(SALU_CYCLE_1)
	s_and_not1_b32 vcc_lo, exec_lo, s27
	s_cbranch_vccnz .LBB135_542
; %bb.541:
	s_wait_loadcnt 0x0
	global_load_b32 v4, v[8:9], off
.LBB135_542:
	s_mov_b32 s27, 0
.LBB135_543:
	s_delay_alu instid0(SALU_CYCLE_1)
	s_and_not1_b32 vcc_lo, exec_lo, s27
	s_cbranch_vccnz .LBB135_545
; %bb.544:
	global_load_u16 v1, v[8:9], off
	s_wait_loadcnt 0x0
	v_cvt_f32_f16_e32 v4, v1
.LBB135_545:
	s_wait_loadcnt 0x0
	v_mov_b32_e32 v5, 0
.LBB135_546:
	s_mov_b32 s27, 0
.LBB135_547:
	s_delay_alu instid0(SALU_CYCLE_1)
	s_and_not1_b32 vcc_lo, exec_lo, s27
	s_cbranch_vccnz .LBB135_568
; %bb.548:
	s_cmp_lt_i32 s0, 2
	s_cbranch_scc1 .LBB135_552
; %bb.549:
	s_cmp_lt_i32 s0, 3
	s_cbranch_scc1 .LBB135_553
; %bb.550:
	s_cmp_gt_i32 s0, 3
	s_cbranch_scc0 .LBB135_554
; %bb.551:
	s_wait_loadcnt 0x0
	global_load_b64 v[4:5], v[8:9], off
	s_mov_b32 s27, 0
	s_wait_loadcnt 0x0
	v_xor_b32_e32 v1, v4, v5
	v_cls_i32_e32 v3, v5
	s_delay_alu instid0(VALU_DEP_2) | instskip(NEXT) | instid1(VALU_DEP_1)
	v_ashrrev_i32_e32 v1, 31, v1
	v_add_nc_u32_e32 v1, 32, v1
	s_delay_alu instid0(VALU_DEP_1) | instskip(NEXT) | instid1(VALU_DEP_1)
	v_add_min_u32_e64 v1, v3, -1, v1
	v_lshlrev_b64_e32 v[4:5], v1, v[4:5]
	v_sub_nc_u32_e32 v1, 32, v1
	s_delay_alu instid0(VALU_DEP_2) | instskip(NEXT) | instid1(VALU_DEP_1)
	v_min_u32_e32 v3, 1, v4
	v_or_b32_e32 v3, v5, v3
	s_delay_alu instid0(VALU_DEP_1) | instskip(NEXT) | instid1(VALU_DEP_1)
	v_cvt_f32_i32_e32 v3, v3
	v_ldexp_f32 v4, v3, v1
	s_branch .LBB135_555
.LBB135_552:
	s_mov_b32 s27, -1
                                        ; implicit-def: $vgpr4
	s_branch .LBB135_561
.LBB135_553:
	s_mov_b32 s27, -1
                                        ; implicit-def: $vgpr4
	s_branch .LBB135_558
.LBB135_554:
	s_mov_b32 s27, -1
                                        ; implicit-def: $vgpr4
.LBB135_555:
	s_delay_alu instid0(SALU_CYCLE_1)
	s_and_not1_b32 vcc_lo, exec_lo, s27
	s_cbranch_vccnz .LBB135_557
; %bb.556:
	global_load_b32 v1, v[8:9], off
	s_wait_loadcnt 0x0
	v_cvt_f32_i32_e32 v4, v1
.LBB135_557:
	s_mov_b32 s27, 0
.LBB135_558:
	s_delay_alu instid0(SALU_CYCLE_1)
	s_and_not1_b32 vcc_lo, exec_lo, s27
	s_cbranch_vccnz .LBB135_560
; %bb.559:
	global_load_i16 v1, v[8:9], off
	s_wait_loadcnt 0x0
	v_cvt_f32_i32_e32 v4, v1
.LBB135_560:
	s_mov_b32 s27, 0
.LBB135_561:
	s_delay_alu instid0(SALU_CYCLE_1)
	s_and_not1_b32 vcc_lo, exec_lo, s27
	s_cbranch_vccnz .LBB135_567
; %bb.562:
	s_cmp_gt_i32 s0, 0
	s_mov_b32 s0, 0
	s_cbranch_scc0 .LBB135_564
; %bb.563:
	global_load_i8 v1, v[8:9], off
	s_wait_loadcnt 0x0
	v_cvt_f32_i32_e32 v4, v1
	s_branch .LBB135_565
.LBB135_564:
	s_mov_b32 s0, -1
                                        ; implicit-def: $vgpr4
.LBB135_565:
	s_delay_alu instid0(SALU_CYCLE_1)
	s_and_not1_b32 vcc_lo, exec_lo, s0
	s_cbranch_vccnz .LBB135_567
; %bb.566:
	global_load_u8 v1, v[8:9], off
	s_wait_loadcnt 0x0
	v_cvt_f32_ubyte0_e32 v4, v1
.LBB135_567:
	s_wait_loadcnt 0x0
	v_mov_b32_e32 v5, 0
.LBB135_568:
	s_branch .LBB135_431
.LBB135_569:
	s_mov_b32 s47, 0
	s_mov_b32 s0, s39
	;; [unrolled: 1-line block ×3, first 2 shown]
	s_branch .LBB135_823
.LBB135_570:
	s_and_not1_saveexec_b32 s45, s45
	s_cbranch_execz .LBB135_212
.LBB135_571:
	v_add_f32_e32 v1, 0x42800000, v4
	s_and_not1_b32 s44, s44, exec_lo
	s_delay_alu instid0(VALU_DEP_1) | instskip(NEXT) | instid1(VALU_DEP_1)
	v_and_b32_e32 v1, 0xff, v1
	v_cmp_ne_u32_e32 vcc_lo, 0, v1
	s_and_b32 s46, vcc_lo, exec_lo
	s_delay_alu instid0(SALU_CYCLE_1)
	s_or_b32 s44, s44, s46
	s_or_b32 exec_lo, exec_lo, s45
	v_mov_b32_e32 v5, 0
	s_and_saveexec_b32 s45, s44
	s_cbranch_execnz .LBB135_213
	s_branch .LBB135_214
.LBB135_572:
	s_mov_b32 s27, -1
	s_mov_b32 s44, 0
.LBB135_573:
                                        ; implicit-def: $vgpr9
.LBB135_574:
	s_and_b32 vcc_lo, exec_lo, s45
	s_cbranch_vccz .LBB135_579
; %bb.575:
	s_cmp_eq_u32 s43, 44
	s_cbranch_scc0 .LBB135_577
; %bb.576:
	global_load_u8 v1, v[6:7], off
	s_mov_b32 s27, 0
	s_mov_b32 s44, -1
	s_wait_loadcnt 0x0
	v_lshlrev_b32_e32 v3, 23, v1
	v_cmp_ne_u32_e32 vcc_lo, 0xff, v1
	s_delay_alu instid0(VALU_DEP_2) | instskip(SKIP_2) | instid1(VALU_DEP_2)
	v_cndmask_b32_e32 v3, 0x7f800001, v3, vcc_lo
	v_cmp_ne_u32_e32 vcc_lo, 0, v1
	s_wait_xcnt 0x1
	v_cndmask_b32_e32 v8, 0x400000, v3, vcc_lo
	s_branch .LBB135_578
.LBB135_577:
	s_mov_b32 s27, -1
                                        ; implicit-def: $vgpr8
.LBB135_578:
	s_wait_xcnt 0x0
	v_mov_b32_e32 v9, 0
.LBB135_579:
	s_mov_b32 s45, 0
.LBB135_580:
	s_delay_alu instid0(SALU_CYCLE_1)
	s_and_b32 vcc_lo, exec_lo, s45
	s_cbranch_vccz .LBB135_585
; %bb.581:
	s_cmp_eq_u32 s43, 29
	s_cbranch_scc0 .LBB135_583
; %bb.582:
	global_load_b64 v[8:9], v[6:7], off
	s_mov_b32 s44, -1
	s_mov_b32 s27, 0
	s_wait_loadcnt 0x0
	v_clz_i32_u32_e32 v1, v9
	s_delay_alu instid0(VALU_DEP_1) | instskip(NEXT) | instid1(VALU_DEP_1)
	v_min_u32_e32 v1, 32, v1
	v_lshlrev_b64_e32 v[8:9], v1, v[8:9]
	v_sub_nc_u32_e32 v1, 32, v1
	s_delay_alu instid0(VALU_DEP_2) | instskip(NEXT) | instid1(VALU_DEP_1)
	v_min_u32_e32 v3, 1, v8
	v_or_b32_e32 v3, v9, v3
	s_delay_alu instid0(VALU_DEP_1) | instskip(NEXT) | instid1(VALU_DEP_1)
	v_cvt_f32_u32_e32 v3, v3
	v_ldexp_f32 v8, v3, v1
	s_branch .LBB135_584
.LBB135_583:
	s_mov_b32 s27, -1
                                        ; implicit-def: $vgpr8
.LBB135_584:
	s_wait_xcnt 0x0
	v_mov_b32_e32 v9, 0
.LBB135_585:
	s_mov_b32 s45, 0
.LBB135_586:
	s_delay_alu instid0(SALU_CYCLE_1)
	s_and_b32 vcc_lo, exec_lo, s45
	s_cbranch_vccz .LBB135_604
; %bb.587:
	s_cmp_lt_i32 s43, 27
	s_cbranch_scc1 .LBB135_590
; %bb.588:
	s_cmp_gt_i32 s43, 27
	s_cbranch_scc0 .LBB135_591
; %bb.589:
	global_load_b32 v1, v[6:7], off
	s_mov_b32 s44, 0
	s_wait_loadcnt 0x0
	s_wait_xcnt 0x1
	v_cvt_f32_u32_e32 v8, v1
	s_branch .LBB135_592
.LBB135_590:
	s_mov_b32 s44, -1
                                        ; implicit-def: $vgpr8
	s_branch .LBB135_595
.LBB135_591:
	s_mov_b32 s44, -1
                                        ; implicit-def: $vgpr8
.LBB135_592:
	s_delay_alu instid0(SALU_CYCLE_1)
	s_and_not1_b32 vcc_lo, exec_lo, s44
	s_cbranch_vccnz .LBB135_594
; %bb.593:
	global_load_u16 v1, v[6:7], off
	s_wait_loadcnt 0x0
	s_wait_xcnt 0x1
	v_cvt_f32_u32_e32 v8, v1
.LBB135_594:
	s_mov_b32 s44, 0
.LBB135_595:
	s_delay_alu instid0(SALU_CYCLE_1)
	s_and_not1_b32 vcc_lo, exec_lo, s44
	s_cbranch_vccnz .LBB135_603
; %bb.596:
	global_load_u8 v1, v[6:7], off
	s_mov_b32 s44, 0
	s_mov_b32 s45, exec_lo
	s_wait_loadcnt 0x0
	v_cmpx_lt_i16_e32 0x7f, v1
	s_xor_b32 s45, exec_lo, s45
	s_cbranch_execz .LBB135_617
; %bb.597:
	s_mov_b32 s44, -1
	s_mov_b32 s47, exec_lo
	v_cmpx_eq_u16_e32 0x80, v1
; %bb.598:
	s_xor_b32 s44, exec_lo, -1
; %bb.599:
	s_or_b32 exec_lo, exec_lo, s47
	s_delay_alu instid0(SALU_CYCLE_1)
	s_and_b32 s44, s44, exec_lo
	s_or_saveexec_b32 s45, s45
	v_mov_b32_e32 v8, 0x7f800001
	s_xor_b32 exec_lo, exec_lo, s45
	s_cbranch_execnz .LBB135_618
.LBB135_600:
	s_or_b32 exec_lo, exec_lo, s45
	s_and_saveexec_b32 s45, s44
	s_cbranch_execz .LBB135_602
.LBB135_601:
	v_and_b32_e32 v3, 0xffff, v1
	s_delay_alu instid0(VALU_DEP_1) | instskip(SKIP_1) | instid1(VALU_DEP_2)
	v_and_b32_e32 v8, 7, v3
	v_bfe_u32 v11, v3, 3, 4
	v_clz_i32_u32_e32 v9, v8
	s_delay_alu instid0(VALU_DEP_2) | instskip(NEXT) | instid1(VALU_DEP_2)
	v_cmp_eq_u32_e32 vcc_lo, 0, v11
	v_min_u32_e32 v9, 32, v9
	s_delay_alu instid0(VALU_DEP_1) | instskip(NEXT) | instid1(VALU_DEP_1)
	v_subrev_nc_u32_e32 v10, 28, v9
	v_dual_lshlrev_b32 v3, v10, v3 :: v_dual_sub_nc_u32 v9, 29, v9
	s_delay_alu instid0(VALU_DEP_1) | instskip(NEXT) | instid1(VALU_DEP_1)
	v_dual_lshlrev_b32 v1, 24, v1 :: v_dual_bitop2_b32 v3, 7, v3 bitop3:0x40
	v_dual_cndmask_b32 v3, v8, v3, vcc_lo :: v_dual_cndmask_b32 v9, v11, v9, vcc_lo
	s_delay_alu instid0(VALU_DEP_2) | instskip(NEXT) | instid1(VALU_DEP_2)
	v_and_b32_e32 v1, 0x80000000, v1
	v_lshlrev_b32_e32 v3, 20, v3
	s_delay_alu instid0(VALU_DEP_3) | instskip(NEXT) | instid1(VALU_DEP_1)
	v_lshl_add_u32 v8, v9, 23, 0x3b800000
	v_or3_b32 v8, v1, v8, v3
.LBB135_602:
	s_or_b32 exec_lo, exec_lo, s45
.LBB135_603:
	s_wait_xcnt 0x0
	v_mov_b32_e32 v9, 0
	s_mov_b32 s44, -1
.LBB135_604:
	s_mov_b32 s45, 0
.LBB135_605:
	s_delay_alu instid0(SALU_CYCLE_1)
	s_and_b32 vcc_lo, exec_lo, s45
	s_cbranch_vccz .LBB135_641
; %bb.606:
	s_cmp_gt_i32 s43, 22
	s_cbranch_scc0 .LBB135_616
; %bb.607:
	s_cmp_lt_i32 s43, 24
	s_cbranch_scc1 .LBB135_619
; %bb.608:
	s_cmp_gt_i32 s43, 24
	s_cbranch_scc0 .LBB135_620
; %bb.609:
	global_load_u8 v1, v[6:7], off
	s_mov_b32 s44, 0
	s_mov_b32 s45, exec_lo
	s_wait_loadcnt 0x0
	v_cmpx_lt_i16_e32 0x7f, v1
	s_xor_b32 s45, exec_lo, s45
	s_cbranch_execz .LBB135_632
; %bb.610:
	s_mov_b32 s44, -1
	s_mov_b32 s47, exec_lo
	v_cmpx_eq_u16_e32 0x80, v1
; %bb.611:
	s_xor_b32 s44, exec_lo, -1
; %bb.612:
	s_or_b32 exec_lo, exec_lo, s47
	s_delay_alu instid0(SALU_CYCLE_1)
	s_and_b32 s44, s44, exec_lo
	s_or_saveexec_b32 s45, s45
	v_mov_b32_e32 v8, 0x7f800001
	s_xor_b32 exec_lo, exec_lo, s45
	s_cbranch_execnz .LBB135_633
.LBB135_613:
	s_or_b32 exec_lo, exec_lo, s45
	s_and_saveexec_b32 s45, s44
	s_cbranch_execz .LBB135_615
.LBB135_614:
	v_and_b32_e32 v3, 0xffff, v1
	s_delay_alu instid0(VALU_DEP_1) | instskip(SKIP_1) | instid1(VALU_DEP_2)
	v_and_b32_e32 v8, 3, v3
	v_bfe_u32 v11, v3, 2, 5
	v_clz_i32_u32_e32 v9, v8
	s_delay_alu instid0(VALU_DEP_2) | instskip(NEXT) | instid1(VALU_DEP_2)
	v_cmp_eq_u32_e32 vcc_lo, 0, v11
	v_min_u32_e32 v9, 32, v9
	s_delay_alu instid0(VALU_DEP_1) | instskip(NEXT) | instid1(VALU_DEP_1)
	v_subrev_nc_u32_e32 v10, 29, v9
	v_dual_lshlrev_b32 v3, v10, v3 :: v_dual_sub_nc_u32 v9, 30, v9
	s_delay_alu instid0(VALU_DEP_1) | instskip(NEXT) | instid1(VALU_DEP_1)
	v_dual_lshlrev_b32 v1, 24, v1 :: v_dual_bitop2_b32 v3, 3, v3 bitop3:0x40
	v_dual_cndmask_b32 v3, v8, v3, vcc_lo :: v_dual_cndmask_b32 v9, v11, v9, vcc_lo
	s_delay_alu instid0(VALU_DEP_2) | instskip(NEXT) | instid1(VALU_DEP_2)
	v_and_b32_e32 v1, 0x80000000, v1
	v_lshlrev_b32_e32 v3, 21, v3
	s_delay_alu instid0(VALU_DEP_3) | instskip(NEXT) | instid1(VALU_DEP_1)
	v_lshl_add_u32 v8, v9, 23, 0x37800000
	v_or3_b32 v8, v1, v8, v3
.LBB135_615:
	s_or_b32 exec_lo, exec_lo, s45
	s_mov_b32 s44, 0
	s_branch .LBB135_621
.LBB135_616:
	s_mov_b32 s45, -1
                                        ; implicit-def: $vgpr8
	s_branch .LBB135_627
.LBB135_617:
	s_or_saveexec_b32 s45, s45
	v_mov_b32_e32 v8, 0x7f800001
	s_xor_b32 exec_lo, exec_lo, s45
	s_cbranch_execz .LBB135_600
.LBB135_618:
	v_cmp_ne_u16_e32 vcc_lo, 0, v1
	v_mov_b32_e32 v8, 0
	s_and_not1_b32 s44, s44, exec_lo
	s_and_b32 s47, vcc_lo, exec_lo
	s_delay_alu instid0(SALU_CYCLE_1)
	s_or_b32 s44, s44, s47
	s_or_b32 exec_lo, exec_lo, s45
	s_and_saveexec_b32 s45, s44
	s_cbranch_execnz .LBB135_601
	s_branch .LBB135_602
.LBB135_619:
	s_mov_b32 s44, -1
                                        ; implicit-def: $vgpr8
	s_branch .LBB135_624
.LBB135_620:
	s_mov_b32 s44, -1
                                        ; implicit-def: $vgpr8
.LBB135_621:
	s_delay_alu instid0(SALU_CYCLE_1)
	s_and_b32 vcc_lo, exec_lo, s44
	s_cbranch_vccz .LBB135_623
; %bb.622:
	global_load_u8 v1, v[6:7], off
	s_wait_loadcnt 0x0
	v_lshlrev_b32_e32 v1, 24, v1
	s_delay_alu instid0(VALU_DEP_1) | instskip(SKIP_1) | instid1(VALU_DEP_1)
	v_and_b32_e32 v3, 0x7f000000, v1
	s_wait_xcnt 0x1
	v_clz_i32_u32_e32 v8, v3
	v_cmp_ne_u32_e32 vcc_lo, 0, v3
	v_add_nc_u32_e32 v10, 0x1000000, v3
	s_delay_alu instid0(VALU_DEP_3) | instskip(NEXT) | instid1(VALU_DEP_1)
	v_min_u32_e32 v8, 32, v8
	v_sub_nc_u32_e64 v8, v8, 4 clamp
	s_delay_alu instid0(VALU_DEP_1) | instskip(NEXT) | instid1(VALU_DEP_1)
	v_dual_lshlrev_b32 v9, v8, v3 :: v_dual_lshlrev_b32 v8, 23, v8
	v_lshrrev_b32_e32 v9, 4, v9
	s_delay_alu instid0(VALU_DEP_1) | instskip(NEXT) | instid1(VALU_DEP_1)
	v_dual_sub_nc_u32 v8, v9, v8 :: v_dual_ashrrev_i32 v9, 8, v10
	v_add_nc_u32_e32 v8, 0x3c000000, v8
	s_delay_alu instid0(VALU_DEP_1) | instskip(NEXT) | instid1(VALU_DEP_1)
	v_and_or_b32 v8, 0x7f800000, v9, v8
	v_cndmask_b32_e32 v3, 0, v8, vcc_lo
	s_delay_alu instid0(VALU_DEP_1)
	v_and_or_b32 v8, 0x80000000, v1, v3
.LBB135_623:
	s_mov_b32 s44, 0
.LBB135_624:
	s_delay_alu instid0(SALU_CYCLE_1)
	s_and_not1_b32 vcc_lo, exec_lo, s44
	s_cbranch_vccnz .LBB135_626
; %bb.625:
	global_load_u8 v1, v[6:7], off
	s_wait_loadcnt 0x0
	v_lshlrev_b32_e32 v3, 25, v1
	v_lshlrev_b16 v1, 8, v1
	s_wait_xcnt 0x1
	s_delay_alu instid0(VALU_DEP_1) | instskip(NEXT) | instid1(VALU_DEP_3)
	v_and_or_b32 v9, 0x7f00, v1, 0.5
	v_lshrrev_b32_e32 v8, 4, v3
	v_bfe_i32 v1, v1, 0, 16
	s_delay_alu instid0(VALU_DEP_3) | instskip(NEXT) | instid1(VALU_DEP_3)
	v_add_f32_e32 v9, -0.5, v9
	v_or_b32_e32 v8, 0x70000000, v8
	s_delay_alu instid0(VALU_DEP_1) | instskip(SKIP_1) | instid1(VALU_DEP_2)
	v_mul_f32_e32 v8, 0x7800000, v8
	v_cmp_gt_u32_e32 vcc_lo, 0x8000000, v3
	v_cndmask_b32_e32 v3, v8, v9, vcc_lo
	s_delay_alu instid0(VALU_DEP_1)
	v_and_or_b32 v8, 0x80000000, v1, v3
.LBB135_626:
	s_mov_b32 s45, 0
	s_mov_b32 s44, -1
.LBB135_627:
	s_and_not1_b32 vcc_lo, exec_lo, s45
	s_cbranch_vccnz .LBB135_640
; %bb.628:
	s_cmp_gt_i32 s43, 14
	s_cbranch_scc0 .LBB135_631
; %bb.629:
	s_cmp_eq_u32 s43, 15
	s_cbranch_scc0 .LBB135_634
; %bb.630:
	global_load_u16 v1, v[6:7], off
	s_mov_b32 s44, -1
	s_mov_b32 s27, 0
	s_wait_loadcnt 0x0
	s_wait_xcnt 0x1
	v_lshlrev_b32_e32 v8, 16, v1
	s_branch .LBB135_635
.LBB135_631:
	s_mov_b32 s45, -1
                                        ; implicit-def: $vgpr8
	s_branch .LBB135_636
.LBB135_632:
	s_or_saveexec_b32 s45, s45
	v_mov_b32_e32 v8, 0x7f800001
	s_xor_b32 exec_lo, exec_lo, s45
	s_cbranch_execz .LBB135_613
.LBB135_633:
	v_cmp_ne_u16_e32 vcc_lo, 0, v1
	v_mov_b32_e32 v8, 0
	s_and_not1_b32 s44, s44, exec_lo
	s_and_b32 s47, vcc_lo, exec_lo
	s_delay_alu instid0(SALU_CYCLE_1)
	s_or_b32 s44, s44, s47
	s_or_b32 exec_lo, exec_lo, s45
	s_and_saveexec_b32 s45, s44
	s_cbranch_execnz .LBB135_614
	s_branch .LBB135_615
.LBB135_634:
	s_mov_b32 s27, -1
                                        ; implicit-def: $vgpr8
.LBB135_635:
	s_mov_b32 s45, 0
.LBB135_636:
	s_delay_alu instid0(SALU_CYCLE_1)
	s_and_b32 vcc_lo, exec_lo, s45
	s_cbranch_vccz .LBB135_640
; %bb.637:
	s_cmp_eq_u32 s43, 11
	s_cbranch_scc0 .LBB135_639
; %bb.638:
	global_load_u8 v1, v[6:7], off
	s_mov_b32 s27, 0
	s_mov_b32 s44, -1
	s_wait_xcnt 0x1
	v_mov_b32_e32 v9, 0
	s_wait_loadcnt 0x0
	v_cmp_ne_u16_e32 vcc_lo, 0, v1
	v_cndmask_b32_e64 v8, 0, 1.0, vcc_lo
	s_branch .LBB135_641
.LBB135_639:
	s_mov_b32 s27, -1
                                        ; implicit-def: $vgpr8
.LBB135_640:
	s_wait_xcnt 0x0
	v_mov_b32_e32 v9, 0
.LBB135_641:
	s_mov_b32 s43, 0
.LBB135_642:
	s_delay_alu instid0(SALU_CYCLE_1)
	s_and_b32 vcc_lo, exec_lo, s43
	s_cbranch_vccz .LBB135_693
; %bb.643:
	s_and_b32 s0, 0xffff, s0
	s_delay_alu instid0(SALU_CYCLE_1)
	s_cmp_lt_i32 s0, 5
	s_cbranch_scc1 .LBB135_648
; %bb.644:
	s_cmp_lt_i32 s0, 8
	s_cbranch_scc1 .LBB135_649
; %bb.645:
	s_cmp_lt_i32 s0, 9
	s_cbranch_scc1 .LBB135_650
; %bb.646:
	s_cmp_gt_i32 s0, 9
	s_cbranch_scc0 .LBB135_651
; %bb.647:
	global_load_b128 v[8:11], v[6:7], off
	s_mov_b32 s43, 0
	s_wait_loadcnt 0x0
	v_cvt_f32_f64_e32 v8, v[8:9]
	v_cvt_f32_f64_e32 v9, v[10:11]
	s_branch .LBB135_652
.LBB135_648:
	s_mov_b32 s43, -1
                                        ; implicit-def: $vgpr9
	s_branch .LBB135_671
.LBB135_649:
	s_mov_b32 s43, -1
                                        ; implicit-def: $vgpr9
	s_branch .LBB135_658
.LBB135_650:
	s_mov_b32 s43, -1
                                        ; implicit-def: $vgpr9
	s_branch .LBB135_655
.LBB135_651:
	s_mov_b32 s43, -1
                                        ; implicit-def: $vgpr9
.LBB135_652:
	s_delay_alu instid0(SALU_CYCLE_1)
	s_and_not1_b32 vcc_lo, exec_lo, s43
	s_cbranch_vccnz .LBB135_654
; %bb.653:
	global_load_b64 v[8:9], v[6:7], off
.LBB135_654:
	s_mov_b32 s43, 0
.LBB135_655:
	s_delay_alu instid0(SALU_CYCLE_1)
	s_and_not1_b32 vcc_lo, exec_lo, s43
	s_cbranch_vccnz .LBB135_657
; %bb.656:
	global_load_b32 v1, v[6:7], off
	s_wait_loadcnt 0x0
	v_lshrrev_b32_e32 v3, 16, v1
	s_wait_xcnt 0x1
	v_cvt_f32_f16_e32 v8, v1
	s_delay_alu instid0(VALU_DEP_2)
	v_cvt_f32_f16_e32 v9, v3
.LBB135_657:
	s_mov_b32 s43, 0
.LBB135_658:
	s_delay_alu instid0(SALU_CYCLE_1)
	s_and_not1_b32 vcc_lo, exec_lo, s43
	s_cbranch_vccnz .LBB135_670
; %bb.659:
	s_cmp_lt_i32 s0, 6
	s_cbranch_scc1 .LBB135_662
; %bb.660:
	s_cmp_gt_i32 s0, 6
	s_cbranch_scc0 .LBB135_663
; %bb.661:
	s_wait_loadcnt 0x0
	global_load_b64 v[8:9], v[6:7], off
	s_mov_b32 s43, 0
	s_wait_loadcnt 0x0
	v_cvt_f32_f64_e32 v8, v[8:9]
	s_branch .LBB135_664
.LBB135_662:
	s_mov_b32 s43, -1
                                        ; implicit-def: $vgpr8
	s_branch .LBB135_667
.LBB135_663:
	s_mov_b32 s43, -1
                                        ; implicit-def: $vgpr8
.LBB135_664:
	s_delay_alu instid0(SALU_CYCLE_1)
	s_and_not1_b32 vcc_lo, exec_lo, s43
	s_cbranch_vccnz .LBB135_666
; %bb.665:
	s_wait_loadcnt 0x0
	global_load_b32 v8, v[6:7], off
.LBB135_666:
	s_mov_b32 s43, 0
.LBB135_667:
	s_delay_alu instid0(SALU_CYCLE_1)
	s_and_not1_b32 vcc_lo, exec_lo, s43
	s_cbranch_vccnz .LBB135_669
; %bb.668:
	global_load_u16 v1, v[6:7], off
	s_wait_loadcnt 0x0
	s_wait_xcnt 0x1
	v_cvt_f32_f16_e32 v8, v1
.LBB135_669:
	s_wait_loadcnt 0x0
	v_mov_b32_e32 v9, 0
.LBB135_670:
	s_mov_b32 s43, 0
.LBB135_671:
	s_delay_alu instid0(SALU_CYCLE_1)
	s_and_not1_b32 vcc_lo, exec_lo, s43
	s_cbranch_vccnz .LBB135_692
; %bb.672:
	s_cmp_lt_i32 s0, 2
	s_cbranch_scc1 .LBB135_676
; %bb.673:
	s_cmp_lt_i32 s0, 3
	s_cbranch_scc1 .LBB135_677
; %bb.674:
	s_cmp_gt_i32 s0, 3
	s_cbranch_scc0 .LBB135_678
; %bb.675:
	s_wait_loadcnt 0x0
	global_load_b64 v[8:9], v[6:7], off
	s_mov_b32 s43, 0
	s_wait_loadcnt 0x0
	v_xor_b32_e32 v1, v8, v9
	v_cls_i32_e32 v3, v9
	s_delay_alu instid0(VALU_DEP_2) | instskip(NEXT) | instid1(VALU_DEP_1)
	v_ashrrev_i32_e32 v1, 31, v1
	v_add_nc_u32_e32 v1, 32, v1
	s_delay_alu instid0(VALU_DEP_1) | instskip(NEXT) | instid1(VALU_DEP_1)
	v_add_min_u32_e64 v1, v3, -1, v1
	v_lshlrev_b64_e32 v[8:9], v1, v[8:9]
	v_sub_nc_u32_e32 v1, 32, v1
	s_delay_alu instid0(VALU_DEP_2) | instskip(NEXT) | instid1(VALU_DEP_1)
	v_min_u32_e32 v3, 1, v8
	v_or_b32_e32 v3, v9, v3
	s_delay_alu instid0(VALU_DEP_1) | instskip(NEXT) | instid1(VALU_DEP_1)
	v_cvt_f32_i32_e32 v3, v3
	v_ldexp_f32 v8, v3, v1
	s_branch .LBB135_679
.LBB135_676:
	s_mov_b32 s43, -1
                                        ; implicit-def: $vgpr8
	s_branch .LBB135_685
.LBB135_677:
	s_mov_b32 s43, -1
                                        ; implicit-def: $vgpr8
	s_branch .LBB135_682
.LBB135_678:
	s_mov_b32 s43, -1
                                        ; implicit-def: $vgpr8
.LBB135_679:
	s_delay_alu instid0(SALU_CYCLE_1)
	s_and_not1_b32 vcc_lo, exec_lo, s43
	s_cbranch_vccnz .LBB135_681
; %bb.680:
	global_load_b32 v1, v[6:7], off
	s_wait_loadcnt 0x0
	s_wait_xcnt 0x1
	v_cvt_f32_i32_e32 v8, v1
.LBB135_681:
	s_mov_b32 s43, 0
.LBB135_682:
	s_delay_alu instid0(SALU_CYCLE_1)
	s_and_not1_b32 vcc_lo, exec_lo, s43
	s_cbranch_vccnz .LBB135_684
; %bb.683:
	global_load_i16 v1, v[6:7], off
	s_wait_loadcnt 0x0
	s_wait_xcnt 0x1
	v_cvt_f32_i32_e32 v8, v1
.LBB135_684:
	s_mov_b32 s43, 0
.LBB135_685:
	s_delay_alu instid0(SALU_CYCLE_1)
	s_and_not1_b32 vcc_lo, exec_lo, s43
	s_cbranch_vccnz .LBB135_691
; %bb.686:
	s_cmp_gt_i32 s0, 0
	s_mov_b32 s0, 0
	s_cbranch_scc0 .LBB135_688
; %bb.687:
	global_load_i8 v1, v[6:7], off
	s_wait_loadcnt 0x0
	s_wait_xcnt 0x1
	v_cvt_f32_i32_e32 v8, v1
	s_branch .LBB135_689
.LBB135_688:
	s_mov_b32 s0, -1
                                        ; implicit-def: $vgpr8
.LBB135_689:
	s_delay_alu instid0(SALU_CYCLE_1)
	s_and_not1_b32 vcc_lo, exec_lo, s0
	s_cbranch_vccnz .LBB135_691
; %bb.690:
	global_load_u8 v1, v[6:7], off
	s_wait_loadcnt 0x0
	s_wait_xcnt 0x1
	v_cvt_f32_ubyte0_e32 v8, v1
.LBB135_691:
	s_wait_loadcnt 0x0
	v_mov_b32_e32 v9, 0
.LBB135_692:
	s_mov_b32 s44, -1
.LBB135_693:
	s_delay_alu instid0(SALU_CYCLE_1)
	s_and_not1_b32 vcc_lo, exec_lo, s44
	s_cbranch_vccnz .LBB135_696
; %bb.694:
	s_and_not1_b32 vcc_lo, exec_lo, s10
	s_cbranch_vccnz .LBB135_697
; %bb.695:
	s_wait_loadcnt 0x0
	s_delay_alu instid0(VALU_DEP_2) | instskip(NEXT) | instid1(VALU_DEP_2)
	v_cmp_neq_f32_e32 vcc_lo, v4, v8
	v_cmp_neq_f32_e64 s0, v5, v9
	s_or_b32 s43, vcc_lo, s0
	s_mov_b32 s0, 0
	s_branch .LBB135_698
.LBB135_696:
	s_mov_b32 s47, 0
	s_mov_b32 s0, s39
	s_branch .LBB135_823
.LBB135_697:
	s_mov_b32 s0, -1
                                        ; implicit-def: $sgpr43
.LBB135_698:
	s_delay_alu instid0(SALU_CYCLE_1)
	s_and_not1_b32 vcc_lo, exec_lo, s0
	s_cbranch_vccnz .LBB135_700
; %bb.699:
	s_wait_loadcnt 0x0
	s_delay_alu instid0(VALU_DEP_1) | instskip(NEXT) | instid1(VALU_DEP_3)
	v_cmp_eq_f32_e32 vcc_lo, v5, v9
	v_cmp_eq_f32_e64 s0, v4, v8
	s_and_not1_b32 s43, s43, exec_lo
	s_and_b32 s0, s0, vcc_lo
	s_delay_alu instid0(SALU_CYCLE_1) | instskip(NEXT) | instid1(SALU_CYCLE_1)
	s_and_b32 s0, s0, exec_lo
	s_or_b32 s43, s43, s0
.LBB135_700:
	v_mov_b32_e32 v3, 0
	s_and_b32 s44, s11, 0xff
	s_delay_alu instid0(SALU_CYCLE_1) | instskip(NEXT) | instid1(VALU_DEP_1)
	s_cmp_lt_i32 s44, 11
	v_add_nc_u64_e32 v[2:3], s[4:5], v[2:3]
	s_cbranch_scc1 .LBB135_707
; %bb.701:
	s_and_b32 s45, 0xffff, s44
	s_delay_alu instid0(SALU_CYCLE_1)
	s_cmp_gt_i32 s45, 25
	s_cbranch_scc0 .LBB135_708
; %bb.702:
	s_cmp_gt_i32 s45, 28
	s_cbranch_scc0 .LBB135_709
; %bb.703:
	;; [unrolled: 3-line block ×4, first 2 shown]
	s_mov_b32 s48, 0
	s_mov_b32 s0, -1
	s_cmp_eq_u32 s45, 46
	s_mov_b32 s47, 0
	s_cbranch_scc0 .LBB135_712
; %bb.706:
	v_cndmask_b32_e64 v1, 0, 1.0, s43
	s_mov_b32 s47, -1
	s_mov_b32 s0, 0
	s_wait_loadcnt 0x0
	s_delay_alu instid0(VALU_DEP_1) | instskip(NEXT) | instid1(VALU_DEP_1)
	v_bfe_u32 v4, v1, 16, 1
	v_add3_u32 v1, v1, v4, 0x7fff
	s_delay_alu instid0(VALU_DEP_1)
	v_lshrrev_b32_e32 v1, 16, v1
	global_store_b32 v[2:3], v1, off
	s_branch .LBB135_712
.LBB135_707:
	s_mov_b32 s45, -1
	s_mov_b32 s47, 0
	s_mov_b32 s0, s39
	s_branch .LBB135_781
.LBB135_708:
	s_mov_b32 s48, -1
	s_mov_b32 s47, 0
	s_mov_b32 s0, s39
	s_branch .LBB135_739
.LBB135_709:
	s_mov_b32 s48, -1
	s_mov_b32 s47, 0
	s_mov_b32 s0, s39
	s_branch .LBB135_722
.LBB135_710:
	s_mov_b32 s48, -1
	s_mov_b32 s47, 0
	s_mov_b32 s0, s39
	s_branch .LBB135_718
.LBB135_711:
	s_mov_b32 s48, -1
	s_mov_b32 s47, 0
	s_mov_b32 s0, s39
.LBB135_712:
	s_and_b32 vcc_lo, exec_lo, s48
	s_cbranch_vccz .LBB135_717
; %bb.713:
	s_cmp_eq_u32 s45, 44
	s_mov_b32 s0, -1
	s_cbranch_scc0 .LBB135_717
; %bb.714:
	s_wait_loadcnt 0x0
	v_cndmask_b32_e64 v5, 0, 1.0, s43
	s_mov_b32 s47, exec_lo
	s_wait_xcnt 0x0
	s_delay_alu instid0(VALU_DEP_1) | instskip(NEXT) | instid1(VALU_DEP_1)
	v_dual_mov_b32 v4, 0xff :: v_dual_lshrrev_b32 v1, 23, v5
	v_cmpx_ne_u32_e32 0xff, v1
; %bb.715:
	v_and_b32_e32 v4, 0x400000, v5
	v_and_or_b32 v5, 0x3fffff, v5, v1
	s_delay_alu instid0(VALU_DEP_2) | instskip(NEXT) | instid1(VALU_DEP_2)
	v_cmp_ne_u32_e32 vcc_lo, 0, v4
	v_cmp_ne_u32_e64 s0, 0, v5
	s_and_b32 s0, vcc_lo, s0
	s_delay_alu instid0(SALU_CYCLE_1) | instskip(NEXT) | instid1(VALU_DEP_1)
	v_cndmask_b32_e64 v4, 0, 1, s0
	v_add_nc_u32_e32 v4, v1, v4
; %bb.716:
	s_or_b32 exec_lo, exec_lo, s47
	s_mov_b32 s47, -1
	s_mov_b32 s0, 0
	global_store_b8 v[2:3], v4, off
.LBB135_717:
	s_mov_b32 s48, 0
.LBB135_718:
	s_delay_alu instid0(SALU_CYCLE_1)
	s_and_b32 vcc_lo, exec_lo, s48
	s_cbranch_vccz .LBB135_721
; %bb.719:
	s_cmp_eq_u32 s45, 29
	s_mov_b32 s0, -1
	s_cbranch_scc0 .LBB135_721
; %bb.720:
	s_mov_b32 s0, 0
	s_wait_loadcnt 0x0
	v_cndmask_b32_e64 v4, 0, 1, s43
	v_mov_b32_e32 v5, s0
	s_mov_b32 s47, -1
	s_mov_b32 s48, 0
	global_store_b64 v[2:3], v[4:5], off
	s_branch .LBB135_722
.LBB135_721:
	s_mov_b32 s48, 0
.LBB135_722:
	s_delay_alu instid0(SALU_CYCLE_1)
	s_and_b32 vcc_lo, exec_lo, s48
	s_cbranch_vccz .LBB135_738
; %bb.723:
	s_cmp_lt_i32 s45, 27
	s_mov_b32 s47, -1
	s_cbranch_scc1 .LBB135_729
; %bb.724:
	s_cmp_gt_i32 s45, 27
	s_cbranch_scc0 .LBB135_726
; %bb.725:
	s_wait_xcnt 0x0
	v_cndmask_b32_e64 v1, 0, 1, s43
	s_mov_b32 s47, 0
	global_store_b32 v[2:3], v1, off
.LBB135_726:
	s_and_not1_b32 vcc_lo, exec_lo, s47
	s_cbranch_vccnz .LBB135_728
; %bb.727:
	s_wait_xcnt 0x0
	v_cndmask_b32_e64 v1, 0, 1, s43
	global_store_b16 v[2:3], v1, off
.LBB135_728:
	s_mov_b32 s47, 0
.LBB135_729:
	s_delay_alu instid0(SALU_CYCLE_1)
	s_and_not1_b32 vcc_lo, exec_lo, s47
	s_cbranch_vccnz .LBB135_737
; %bb.730:
	s_wait_loadcnt 0x0
	v_cndmask_b32_e64 v4, 0, 1.0, s43
	v_mov_b32_e32 v5, 0x80
	s_mov_b32 s47, exec_lo
	s_delay_alu instid0(VALU_DEP_2)
	v_cmpx_gt_u32_e32 0x43800000, v4
	s_cbranch_execz .LBB135_736
; %bb.731:
	s_mov_b32 s48, 0
	s_mov_b32 s49, exec_lo
                                        ; implicit-def: $vgpr1
	v_cmpx_lt_u32_e32 0x3bffffff, v4
	s_xor_b32 s49, exec_lo, s49
	s_cbranch_execz .LBB135_851
; %bb.732:
	v_bfe_u32 v1, v4, 20, 1
	s_mov_b32 s48, exec_lo
	s_delay_alu instid0(VALU_DEP_1) | instskip(NEXT) | instid1(VALU_DEP_1)
	v_add3_u32 v1, v4, v1, 0x487ffff
                                        ; implicit-def: $vgpr4
	v_lshrrev_b32_e32 v1, 20, v1
	s_and_not1_saveexec_b32 s49, s49
	s_cbranch_execnz .LBB135_852
.LBB135_733:
	s_or_b32 exec_lo, exec_lo, s49
	v_mov_b32_e32 v5, 0
	s_and_saveexec_b32 s49, s48
.LBB135_734:
	v_mov_b32_e32 v5, v1
.LBB135_735:
	s_or_b32 exec_lo, exec_lo, s49
.LBB135_736:
	s_delay_alu instid0(SALU_CYCLE_1)
	s_or_b32 exec_lo, exec_lo, s47
	global_store_b8 v[2:3], v5, off
.LBB135_737:
	s_mov_b32 s47, -1
.LBB135_738:
	s_mov_b32 s48, 0
.LBB135_739:
	s_delay_alu instid0(SALU_CYCLE_1)
	s_and_b32 vcc_lo, exec_lo, s48
	s_cbranch_vccz .LBB135_780
; %bb.740:
	s_cmp_gt_i32 s45, 22
	s_mov_b32 s48, -1
	s_cbranch_scc0 .LBB135_772
; %bb.741:
	s_cmp_lt_i32 s45, 24
	s_mov_b32 s47, -1
	s_cbranch_scc1 .LBB135_761
; %bb.742:
	s_cmp_gt_i32 s45, 24
	s_cbranch_scc0 .LBB135_750
; %bb.743:
	s_wait_loadcnt 0x0
	v_cndmask_b32_e64 v4, 0, 1.0, s43
	v_mov_b32_e32 v5, 0x80
	s_mov_b32 s47, exec_lo
	s_delay_alu instid0(VALU_DEP_2)
	v_cmpx_gt_u32_e32 0x47800000, v4
	s_cbranch_execz .LBB135_749
; %bb.744:
	s_mov_b32 s48, 0
	s_mov_b32 s49, exec_lo
                                        ; implicit-def: $vgpr1
	v_cmpx_lt_u32_e32 0x37ffffff, v4
	s_xor_b32 s49, exec_lo, s49
	s_cbranch_execz .LBB135_988
; %bb.745:
	v_bfe_u32 v1, v4, 21, 1
	s_mov_b32 s48, exec_lo
	s_delay_alu instid0(VALU_DEP_1) | instskip(NEXT) | instid1(VALU_DEP_1)
	v_add3_u32 v1, v4, v1, 0x88fffff
                                        ; implicit-def: $vgpr4
	v_lshrrev_b32_e32 v1, 21, v1
	s_and_not1_saveexec_b32 s49, s49
	s_cbranch_execnz .LBB135_989
.LBB135_746:
	s_or_b32 exec_lo, exec_lo, s49
	v_mov_b32_e32 v5, 0
	s_and_saveexec_b32 s49, s48
.LBB135_747:
	v_mov_b32_e32 v5, v1
.LBB135_748:
	s_or_b32 exec_lo, exec_lo, s49
.LBB135_749:
	s_delay_alu instid0(SALU_CYCLE_1)
	s_or_b32 exec_lo, exec_lo, s47
	s_mov_b32 s47, 0
	global_store_b8 v[2:3], v5, off
.LBB135_750:
	s_and_b32 vcc_lo, exec_lo, s47
	s_cbranch_vccz .LBB135_760
; %bb.751:
	s_wait_loadcnt 0x0
	v_cndmask_b32_e64 v4, 0, 1.0, s43
	s_mov_b32 s47, exec_lo
                                        ; implicit-def: $vgpr1
	s_delay_alu instid0(VALU_DEP_1)
	v_cmpx_gt_u32_e32 0x43f00000, v4
	s_xor_b32 s47, exec_lo, s47
	s_cbranch_execz .LBB135_757
; %bb.752:
	s_mov_b32 s48, exec_lo
                                        ; implicit-def: $vgpr1
	v_cmpx_lt_u32_e32 0x3c7fffff, v4
	s_xor_b32 s48, exec_lo, s48
; %bb.753:
	v_bfe_u32 v1, v4, 20, 1
	s_delay_alu instid0(VALU_DEP_1) | instskip(NEXT) | instid1(VALU_DEP_1)
	v_add3_u32 v1, v4, v1, 0x407ffff
	v_and_b32_e32 v4, 0xff00000, v1
	v_lshrrev_b32_e32 v1, 20, v1
	s_delay_alu instid0(VALU_DEP_2) | instskip(NEXT) | instid1(VALU_DEP_2)
	v_cmp_ne_u32_e32 vcc_lo, 0x7f00000, v4
                                        ; implicit-def: $vgpr4
	v_cndmask_b32_e32 v1, 0x7e, v1, vcc_lo
; %bb.754:
	s_and_not1_saveexec_b32 s48, s48
; %bb.755:
	v_add_f32_e32 v1, 0x46800000, v4
; %bb.756:
	s_or_b32 exec_lo, exec_lo, s48
                                        ; implicit-def: $vgpr4
.LBB135_757:
	s_and_not1_saveexec_b32 s47, s47
; %bb.758:
	v_mov_b32_e32 v1, 0x7f
	v_cmp_lt_u32_e32 vcc_lo, 0x7f800000, v4
	s_delay_alu instid0(VALU_DEP_2)
	v_cndmask_b32_e32 v1, 0x7e, v1, vcc_lo
; %bb.759:
	s_or_b32 exec_lo, exec_lo, s47
	global_store_b8 v[2:3], v1, off
.LBB135_760:
	s_mov_b32 s47, 0
.LBB135_761:
	s_delay_alu instid0(SALU_CYCLE_1)
	s_and_not1_b32 vcc_lo, exec_lo, s47
	s_cbranch_vccnz .LBB135_771
; %bb.762:
	s_wait_loadcnt 0x0
	v_cndmask_b32_e64 v4, 0, 1.0, s43
	s_mov_b32 s47, exec_lo
                                        ; implicit-def: $vgpr1
	s_delay_alu instid0(VALU_DEP_1)
	v_cmpx_gt_u32_e32 0x47800000, v4
	s_xor_b32 s47, exec_lo, s47
	s_cbranch_execz .LBB135_768
; %bb.763:
	s_mov_b32 s48, exec_lo
                                        ; implicit-def: $vgpr1
	v_cmpx_lt_u32_e32 0x387fffff, v4
	s_xor_b32 s48, exec_lo, s48
; %bb.764:
	v_bfe_u32 v1, v4, 21, 1
	s_delay_alu instid0(VALU_DEP_1) | instskip(NEXT) | instid1(VALU_DEP_1)
	v_add3_u32 v1, v4, v1, 0x80fffff
                                        ; implicit-def: $vgpr4
	v_lshrrev_b32_e32 v1, 21, v1
; %bb.765:
	s_and_not1_saveexec_b32 s48, s48
; %bb.766:
	v_add_f32_e32 v1, 0x43000000, v4
; %bb.767:
	s_or_b32 exec_lo, exec_lo, s48
                                        ; implicit-def: $vgpr4
.LBB135_768:
	s_and_not1_saveexec_b32 s47, s47
; %bb.769:
	v_mov_b32_e32 v1, 0x7f
	v_cmp_lt_u32_e32 vcc_lo, 0x7f800000, v4
	s_delay_alu instid0(VALU_DEP_2)
	v_cndmask_b32_e32 v1, 0x7c, v1, vcc_lo
; %bb.770:
	s_or_b32 exec_lo, exec_lo, s47
	global_store_b8 v[2:3], v1, off
.LBB135_771:
	s_mov_b32 s48, 0
	s_mov_b32 s47, -1
.LBB135_772:
	s_and_not1_b32 vcc_lo, exec_lo, s48
	s_cbranch_vccnz .LBB135_780
; %bb.773:
	s_cmp_gt_i32 s45, 14
	s_mov_b32 s48, -1
	s_cbranch_scc0 .LBB135_777
; %bb.774:
	s_cmp_eq_u32 s45, 15
	s_mov_b32 s0, -1
	s_cbranch_scc0 .LBB135_776
; %bb.775:
	s_wait_xcnt 0x0
	v_cndmask_b32_e64 v1, 0, 1.0, s43
	s_mov_b32 s47, -1
	s_mov_b32 s0, 0
	s_wait_loadcnt 0x0
	s_delay_alu instid0(VALU_DEP_1) | instskip(NEXT) | instid1(VALU_DEP_1)
	v_bfe_u32 v4, v1, 16, 1
	v_add3_u32 v1, v1, v4, 0x7fff
	global_store_d16_hi_b16 v[2:3], v1, off
.LBB135_776:
	s_mov_b32 s48, 0
.LBB135_777:
	s_delay_alu instid0(SALU_CYCLE_1)
	s_and_b32 vcc_lo, exec_lo, s48
	s_cbranch_vccz .LBB135_780
; %bb.778:
	s_cmp_eq_u32 s45, 11
	s_mov_b32 s0, -1
	s_cbranch_scc0 .LBB135_780
; %bb.779:
	s_wait_xcnt 0x0
	v_cndmask_b32_e64 v1, 0, 1, s43
	s_mov_b32 s47, -1
	s_mov_b32 s0, 0
	global_store_b8 v[2:3], v1, off
.LBB135_780:
	s_mov_b32 s45, 0
.LBB135_781:
	s_delay_alu instid0(SALU_CYCLE_1)
	s_and_b32 vcc_lo, exec_lo, s45
	s_cbranch_vccz .LBB135_820
; %bb.782:
	s_and_b32 s44, 0xffff, s44
	s_mov_b32 s45, -1
	s_cmp_lt_i32 s44, 5
	s_cbranch_scc1 .LBB135_803
; %bb.783:
	s_cmp_lt_i32 s44, 8
	s_cbranch_scc1 .LBB135_793
; %bb.784:
	;; [unrolled: 3-line block ×3, first 2 shown]
	s_cmp_gt_i32 s44, 9
	s_cbranch_scc0 .LBB135_787
; %bb.786:
	s_wait_xcnt 0x0
	v_cndmask_b32_e64 v1, 0, 1, s43
	v_mov_b32_e32 v6, 0
	s_mov_b32 s45, 0
	s_wait_loadcnt 0x0
	s_delay_alu instid0(VALU_DEP_2) | instskip(NEXT) | instid1(VALU_DEP_2)
	v_cvt_f64_u32_e32 v[4:5], v1
	v_mov_b32_e32 v7, v6
	global_store_b128 v[2:3], v[4:7], off
.LBB135_787:
	s_and_not1_b32 vcc_lo, exec_lo, s45
	s_cbranch_vccnz .LBB135_789
; %bb.788:
	s_wait_loadcnt 0x0
	v_cndmask_b32_e64 v4, 0, 1.0, s43
	v_mov_b32_e32 v5, 0
	global_store_b64 v[2:3], v[4:5], off
.LBB135_789:
	s_mov_b32 s45, 0
.LBB135_790:
	s_delay_alu instid0(SALU_CYCLE_1)
	s_and_not1_b32 vcc_lo, exec_lo, s45
	s_cbranch_vccnz .LBB135_792
; %bb.791:
	s_wait_xcnt 0x0
	v_cndmask_b32_e64 v1, 0, 1.0, s43
	s_delay_alu instid0(VALU_DEP_1) | instskip(NEXT) | instid1(VALU_DEP_1)
	v_cvt_f16_f32_e32 v1, v1
	v_and_b32_e32 v1, 0xffff, v1
	global_store_b32 v[2:3], v1, off
.LBB135_792:
	s_mov_b32 s45, 0
.LBB135_793:
	s_delay_alu instid0(SALU_CYCLE_1)
	s_and_not1_b32 vcc_lo, exec_lo, s45
	s_cbranch_vccnz .LBB135_802
; %bb.794:
	s_cmp_lt_i32 s44, 6
	s_mov_b32 s45, -1
	s_cbranch_scc1 .LBB135_800
; %bb.795:
	s_cmp_gt_i32 s44, 6
	s_cbranch_scc0 .LBB135_797
; %bb.796:
	s_wait_xcnt 0x0
	v_cndmask_b32_e64 v1, 0, 1, s43
	s_mov_b32 s45, 0
	s_wait_loadcnt 0x0
	s_delay_alu instid0(VALU_DEP_1)
	v_cvt_f64_u32_e32 v[4:5], v1
	global_store_b64 v[2:3], v[4:5], off
.LBB135_797:
	s_and_not1_b32 vcc_lo, exec_lo, s45
	s_cbranch_vccnz .LBB135_799
; %bb.798:
	s_wait_xcnt 0x0
	v_cndmask_b32_e64 v1, 0, 1.0, s43
	global_store_b32 v[2:3], v1, off
.LBB135_799:
	s_mov_b32 s45, 0
.LBB135_800:
	s_delay_alu instid0(SALU_CYCLE_1)
	s_and_not1_b32 vcc_lo, exec_lo, s45
	s_cbranch_vccnz .LBB135_802
; %bb.801:
	s_wait_xcnt 0x0
	v_cndmask_b32_e64 v1, 0, 1.0, s43
	s_delay_alu instid0(VALU_DEP_1)
	v_cvt_f16_f32_e32 v1, v1
	global_store_b16 v[2:3], v1, off
.LBB135_802:
	s_mov_b32 s45, 0
.LBB135_803:
	s_delay_alu instid0(SALU_CYCLE_1)
	s_and_not1_b32 vcc_lo, exec_lo, s45
	s_cbranch_vccnz .LBB135_819
; %bb.804:
	s_cmp_lt_i32 s44, 2
	s_mov_b32 s45, -1
	s_cbranch_scc1 .LBB135_814
; %bb.805:
	s_cmp_lt_i32 s44, 3
	s_cbranch_scc1 .LBB135_811
; %bb.806:
	s_cmp_gt_i32 s44, 3
	s_cbranch_scc0 .LBB135_808
; %bb.807:
	s_mov_b32 s45, 0
	s_wait_loadcnt 0x0
	v_cndmask_b32_e64 v4, 0, 1, s43
	v_mov_b32_e32 v5, s45
	global_store_b64 v[2:3], v[4:5], off
.LBB135_808:
	s_and_not1_b32 vcc_lo, exec_lo, s45
	s_cbranch_vccnz .LBB135_810
; %bb.809:
	s_wait_xcnt 0x0
	v_cndmask_b32_e64 v1, 0, 1, s43
	global_store_b32 v[2:3], v1, off
.LBB135_810:
	s_mov_b32 s45, 0
.LBB135_811:
	s_delay_alu instid0(SALU_CYCLE_1)
	s_and_not1_b32 vcc_lo, exec_lo, s45
	s_cbranch_vccnz .LBB135_813
; %bb.812:
	s_wait_xcnt 0x0
	v_cndmask_b32_e64 v1, 0, 1, s43
	global_store_b16 v[2:3], v1, off
.LBB135_813:
	s_mov_b32 s45, 0
.LBB135_814:
	s_delay_alu instid0(SALU_CYCLE_1)
	s_and_not1_b32 vcc_lo, exec_lo, s45
	s_cbranch_vccnz .LBB135_819
; %bb.815:
	s_wait_xcnt 0x0
	v_cndmask_b32_e64 v1, 0, 1, s43
	s_cmp_gt_i32 s44, 0
	s_mov_b32 s43, -1
	s_cbranch_scc0 .LBB135_817
; %bb.816:
	s_mov_b32 s43, 0
	global_store_b8 v[2:3], v1, off
.LBB135_817:
	s_and_not1_b32 vcc_lo, exec_lo, s43
	s_cbranch_vccnz .LBB135_819
; %bb.818:
	global_store_b8 v[2:3], v1, off
.LBB135_819:
	s_mov_b32 s47, -1
.LBB135_820:
	s_delay_alu instid0(SALU_CYCLE_1)
	s_and_not1_b32 vcc_lo, exec_lo, s47
	s_cbranch_vccnz .LBB135_822
; %bb.821:
	v_add_nc_u32_e32 v0, 0x80, v0
	s_mov_b32 s47, -1
	s_branch .LBB135_824
.LBB135_822:
	s_mov_b32 s47, 0
.LBB135_823:
                                        ; implicit-def: $vgpr0
.LBB135_824:
	s_and_not1_b32 s43, s39, exec_lo
	s_and_b32 s0, s0, exec_lo
	s_and_b32 s27, s27, exec_lo
	s_or_b32 s44, s43, s0
	s_and_not1_b32 s0, s40, exec_lo
	s_and_not1_b32 s43, s41, exec_lo
	s_and_b32 s26, s26, exec_lo
	s_or_b32 s45, s0, s27
	s_or_b32 s43, s43, s26
	s_or_not1_b32 s48, s47, exec_lo
.LBB135_825:
	s_wait_xcnt 0x0
	s_or_b32 exec_lo, exec_lo, s46
	s_mov_b32 s47, 0
	s_mov_b32 s27, 0
	;; [unrolled: 1-line block ×3, first 2 shown]
                                        ; implicit-def: $sgpr0
                                        ; implicit-def: $vgpr6_vgpr7
                                        ; implicit-def: $vgpr4
                                        ; implicit-def: $vgpr2
                                        ; implicit-def: $vgpr1
	s_and_saveexec_b32 s46, s48
	s_cbranch_execz .LBB135_1342
; %bb.826:
	s_mov_b32 s52, -1
	s_mov_b32 s48, s43
	s_mov_b32 s50, s45
	;; [unrolled: 1-line block ×3, first 2 shown]
	s_mov_b32 s47, exec_lo
	v_cmpx_gt_i32_e64 s37, v0
	s_cbranch_execz .LBB135_1243
; %bb.827:
	s_and_not1_b32 vcc_lo, exec_lo, s31
	s_cbranch_vccnz .LBB135_833
; %bb.828:
	s_and_not1_b32 vcc_lo, exec_lo, s38
	s_cbranch_vccnz .LBB135_834
; %bb.829:
	v_dual_mov_b32 v2, 0 :: v_dual_mov_b32 v1, v0
	s_wait_loadcnt 0x0
	v_dual_mov_b32 v4, 0 :: v_dual_mov_b32 v6, 0
	s_add_co_i32 s0, s36, 1
	s_mov_b64 s[26:27], 0xffffffffffffffe8
	s_and_b32 s0, s0, 30
	s_add_nc_u64 s[26:27], s[2:3], s[26:27]
.LBB135_830:                            ; =>This Inner Loop Header: Depth=1
	s_clause 0x1
	s_load_b128 s[48:51], s[26:27], 0x1c
	s_load_b64 s[56:57], s[26:27], 0x2c
	s_add_co_i32 s0, s0, -2
	s_delay_alu instid0(SALU_CYCLE_1) | instskip(SKIP_2) | instid1(VALU_DEP_1)
	s_cmp_eq_u32 s0, 0
	s_wait_kmcnt 0x0
	v_mul_hi_u32 v3, s49, v1
	v_add_nc_u32_e32 v3, v1, v3
	s_delay_alu instid0(VALU_DEP_1) | instskip(NEXT) | instid1(VALU_DEP_1)
	v_lshrrev_b32_e32 v3, s50, v3
	v_mul_hi_u32 v5, s56, v3
	v_mul_lo_u32 v7, v3, s48
	s_clause 0x1
	s_load_b128 s[52:55], s[26:27], 0xdc
	s_load_b64 s[48:49], s[26:27], 0xec
	s_wait_xcnt 0x0
	s_add_nc_u64 s[26:27], s[26:27], 24
	s_delay_alu instid0(VALU_DEP_1) | instskip(NEXT) | instid1(VALU_DEP_1)
	v_dual_add_nc_u32 v5, v3, v5 :: v_dual_sub_nc_u32 v7, v1, v7
	v_lshrrev_b32_e32 v1, s57, v5
	s_wait_kmcnt 0x0
	s_delay_alu instid0(VALU_DEP_2) | instskip(NEXT) | instid1(VALU_DEP_2)
	v_mad_u32 v2, v7, s52, v2
	v_mul_lo_u32 v5, v1, s51
	v_mad_u32 v6, v7, s54, v6
	v_mad_u32 v4, v7, s53, v4
	s_delay_alu instid0(VALU_DEP_3) | instskip(NEXT) | instid1(VALU_DEP_1)
	v_sub_nc_u32_e32 v3, v3, v5
	v_mad_u32 v2, v3, s55, v2
	s_delay_alu instid0(VALU_DEP_4) | instskip(NEXT) | instid1(VALU_DEP_4)
	v_mad_u32 v6, v3, s49, v6
	v_mad_u32 v4, v3, s48, v4
	s_cbranch_scc0 .LBB135_830
; %bb.831:
	s_bitcmp1_b32 s36, 0
	s_cselect_b32 s0, -1, 0
	s_delay_alu instid0(SALU_CYCLE_1)
	s_and_b32 vcc_lo, exec_lo, s0
	s_cbranch_vccnz .LBB135_835
; %bb.832:
	s_clause 0x1
	s_load_b96 s[48:50], s[26:27], 0x1c
	s_load_b96 s[52:54], s[26:27], 0xdc
	s_wait_kmcnt 0x0
	v_mul_hi_u32 v3, s49, v1
	s_delay_alu instid0(VALU_DEP_1) | instskip(NEXT) | instid1(VALU_DEP_1)
	v_add_nc_u32_e32 v3, v1, v3
	v_lshrrev_b32_e32 v3, s50, v3
	s_delay_alu instid0(VALU_DEP_1) | instskip(NEXT) | instid1(VALU_DEP_1)
	v_mul_lo_u32 v3, v3, s48
	v_sub_nc_u32_e32 v1, v1, v3
	s_delay_alu instid0(VALU_DEP_1)
	v_mad_u32 v2, v1, s52, v2
	v_mad_u32 v4, v1, s53, v4
	;; [unrolled: 1-line block ×3, first 2 shown]
	s_branch .LBB135_835
.LBB135_833:
	s_mov_b32 s0, -1
                                        ; implicit-def: $vgpr6
                                        ; implicit-def: $vgpr4
                                        ; implicit-def: $vgpr2
	s_branch .LBB135_836
.LBB135_834:
	s_wait_loadcnt 0x0
	v_dual_mov_b32 v6, 0 :: v_dual_mov_b32 v4, 0
	v_mov_b32_e32 v2, 0
.LBB135_835:
	s_mov_b32 s0, 0
.LBB135_836:
	s_delay_alu instid0(SALU_CYCLE_1)
	s_and_not1_b32 vcc_lo, exec_lo, s0
	s_cbranch_vccnz .LBB135_839
; %bb.837:
	v_mov_b32_e32 v1, 0
	s_and_not1_b32 vcc_lo, exec_lo, s35
	s_delay_alu instid0(VALU_DEP_1) | instskip(NEXT) | instid1(VALU_DEP_1)
	v_mul_u64_e32 v[2:3], s[20:21], v[0:1]
	v_add_nc_u32_e32 v2, v0, v3
	s_wait_loadcnt 0x0
	s_delay_alu instid0(VALU_DEP_1) | instskip(NEXT) | instid1(VALU_DEP_1)
	v_lshrrev_b32_e32 v8, s14, v2
	v_mul_lo_u32 v2, v8, s12
	s_delay_alu instid0(VALU_DEP_1) | instskip(NEXT) | instid1(VALU_DEP_1)
	v_sub_nc_u32_e32 v3, v0, v2
	v_mul_lo_u32 v2, v3, s16
	v_mul_lo_u32 v6, v3, s18
	;; [unrolled: 1-line block ×3, first 2 shown]
	s_cbranch_vccnz .LBB135_839
; %bb.838:
	v_mov_b32_e32 v9, v1
	s_delay_alu instid0(VALU_DEP_1) | instskip(NEXT) | instid1(VALU_DEP_1)
	v_mul_u64_e32 v[10:11], s[24:25], v[8:9]
	v_add_nc_u32_e32 v1, v8, v11
	s_delay_alu instid0(VALU_DEP_1) | instskip(NEXT) | instid1(VALU_DEP_1)
	v_lshrrev_b32_e32 v1, s1, v1
	v_mul_lo_u32 v1, v1, s15
	s_delay_alu instid0(VALU_DEP_1) | instskip(NEXT) | instid1(VALU_DEP_1)
	v_sub_nc_u32_e32 v1, v8, v1
	v_mad_u32 v2, v1, s19, v2
	v_mad_u32 v4, v1, s22, v4
	;; [unrolled: 1-line block ×3, first 2 shown]
.LBB135_839:
	s_wait_loadcnt 0x0
	v_mov_b32_e32 v5, 0
	s_and_b32 s0, s34, 0xff
	s_delay_alu instid0(SALU_CYCLE_1) | instskip(NEXT) | instid1(VALU_DEP_1)
	s_cmp_lt_i32 s0, 11
	v_add_nc_u64_e32 v[8:9], s[6:7], v[4:5]
	s_cbranch_scc1 .LBB135_846
; %bb.840:
	s_and_b32 s27, 0xffff, s0
	s_delay_alu instid0(SALU_CYCLE_1)
	s_cmp_gt_i32 s27, 25
	s_cbranch_scc0 .LBB135_847
; %bb.841:
	s_cmp_gt_i32 s27, 28
	s_cbranch_scc0 .LBB135_848
; %bb.842:
	s_cmp_gt_i32 s27, 43
	s_cbranch_scc0 .LBB135_849
; %bb.843:
	s_cmp_gt_i32 s27, 45
	s_cbranch_scc0 .LBB135_850
; %bb.844:
	s_cmp_eq_u32 s27, 46
	s_mov_b32 s49, 0
	s_cbranch_scc0 .LBB135_853
; %bb.845:
	global_load_b32 v1, v[8:9], off
	s_mov_b32 s48, -1
	s_mov_b32 s26, 0
	s_wait_loadcnt 0x0
	v_and_b32_e32 v5, 0xffff0000, v1
	v_lshlrev_b32_e32 v4, 16, v1
	s_branch .LBB135_855
.LBB135_846:
	s_mov_b32 s27, -1
	s_mov_b32 s48, 0
	s_mov_b32 s26, s43
                                        ; implicit-def: $vgpr5
	s_branch .LBB135_923
.LBB135_847:
	s_mov_b32 s49, -1
	s_mov_b32 s48, 0
	s_mov_b32 s26, s43
                                        ; implicit-def: $vgpr5
	s_branch .LBB135_886
.LBB135_848:
	s_mov_b32 s49, -1
	s_mov_b32 s48, 0
	s_mov_b32 s26, s43
                                        ; implicit-def: $vgpr5
	s_branch .LBB135_867
.LBB135_849:
	s_mov_b32 s49, -1
	s_mov_b32 s48, 0
	s_mov_b32 s26, s43
                                        ; implicit-def: $vgpr5
	s_branch .LBB135_861
.LBB135_850:
	s_mov_b32 s49, -1
	s_mov_b32 s48, 0
	s_mov_b32 s26, s43
	s_branch .LBB135_854
.LBB135_851:
	s_and_not1_saveexec_b32 s49, s49
	s_cbranch_execz .LBB135_733
.LBB135_852:
	v_add_f32_e32 v1, 0x46000000, v4
	s_and_not1_b32 s48, s48, exec_lo
	s_delay_alu instid0(VALU_DEP_1) | instskip(NEXT) | instid1(VALU_DEP_1)
	v_and_b32_e32 v1, 0xff, v1
	v_cmp_ne_u32_e32 vcc_lo, 0, v1
	s_and_b32 s50, vcc_lo, exec_lo
	s_delay_alu instid0(SALU_CYCLE_1)
	s_or_b32 s48, s48, s50
	s_or_b32 exec_lo, exec_lo, s49
	v_mov_b32_e32 v5, 0
	s_and_saveexec_b32 s49, s48
	s_cbranch_execnz .LBB135_734
	s_branch .LBB135_735
.LBB135_853:
	s_mov_b32 s26, -1
	s_mov_b32 s48, 0
.LBB135_854:
                                        ; implicit-def: $vgpr5
.LBB135_855:
	s_and_b32 vcc_lo, exec_lo, s49
	s_cbranch_vccz .LBB135_860
; %bb.856:
	s_cmp_eq_u32 s27, 44
	s_cbranch_scc0 .LBB135_858
; %bb.857:
	global_load_u8 v1, v[8:9], off
	s_mov_b32 s26, 0
	s_mov_b32 s48, -1
	s_wait_loadcnt 0x0
	v_lshlrev_b32_e32 v3, 23, v1
	v_cmp_ne_u32_e32 vcc_lo, 0xff, v1
	s_delay_alu instid0(VALU_DEP_2) | instskip(SKIP_1) | instid1(VALU_DEP_2)
	v_cndmask_b32_e32 v3, 0x7f800001, v3, vcc_lo
	v_cmp_ne_u32_e32 vcc_lo, 0, v1
	v_cndmask_b32_e32 v4, 0x400000, v3, vcc_lo
	s_branch .LBB135_859
.LBB135_858:
	s_mov_b32 s26, -1
                                        ; implicit-def: $vgpr4
.LBB135_859:
	v_mov_b32_e32 v5, 0
.LBB135_860:
	s_mov_b32 s49, 0
.LBB135_861:
	s_delay_alu instid0(SALU_CYCLE_1)
	s_and_b32 vcc_lo, exec_lo, s49
	s_cbranch_vccz .LBB135_866
; %bb.862:
	s_cmp_eq_u32 s27, 29
	s_cbranch_scc0 .LBB135_864
; %bb.863:
	global_load_b64 v[4:5], v[8:9], off
	s_mov_b32 s48, -1
	s_mov_b32 s26, 0
	s_wait_loadcnt 0x0
	v_clz_i32_u32_e32 v1, v5
	s_delay_alu instid0(VALU_DEP_1) | instskip(NEXT) | instid1(VALU_DEP_1)
	v_min_u32_e32 v1, 32, v1
	v_lshlrev_b64_e32 v[4:5], v1, v[4:5]
	v_sub_nc_u32_e32 v1, 32, v1
	s_delay_alu instid0(VALU_DEP_2) | instskip(NEXT) | instid1(VALU_DEP_1)
	v_min_u32_e32 v3, 1, v4
	v_or_b32_e32 v3, v5, v3
	s_delay_alu instid0(VALU_DEP_1) | instskip(NEXT) | instid1(VALU_DEP_1)
	v_cvt_f32_u32_e32 v3, v3
	v_ldexp_f32 v4, v3, v1
	s_branch .LBB135_865
.LBB135_864:
	s_mov_b32 s26, -1
                                        ; implicit-def: $vgpr4
.LBB135_865:
	v_mov_b32_e32 v5, 0
.LBB135_866:
	s_mov_b32 s49, 0
.LBB135_867:
	s_delay_alu instid0(SALU_CYCLE_1)
	s_and_b32 vcc_lo, exec_lo, s49
	s_cbranch_vccz .LBB135_885
; %bb.868:
	s_cmp_lt_i32 s27, 27
	s_cbranch_scc1 .LBB135_871
; %bb.869:
	s_cmp_gt_i32 s27, 27
	s_cbranch_scc0 .LBB135_872
; %bb.870:
	global_load_b32 v1, v[8:9], off
	s_mov_b32 s48, 0
	s_wait_loadcnt 0x0
	v_cvt_f32_u32_e32 v4, v1
	s_branch .LBB135_873
.LBB135_871:
	s_mov_b32 s48, -1
                                        ; implicit-def: $vgpr4
	s_branch .LBB135_876
.LBB135_872:
	s_mov_b32 s48, -1
                                        ; implicit-def: $vgpr4
.LBB135_873:
	s_delay_alu instid0(SALU_CYCLE_1)
	s_and_not1_b32 vcc_lo, exec_lo, s48
	s_cbranch_vccnz .LBB135_875
; %bb.874:
	global_load_u16 v1, v[8:9], off
	s_wait_loadcnt 0x0
	v_cvt_f32_u32_e32 v4, v1
.LBB135_875:
	s_mov_b32 s48, 0
.LBB135_876:
	s_delay_alu instid0(SALU_CYCLE_1)
	s_and_not1_b32 vcc_lo, exec_lo, s48
	s_cbranch_vccnz .LBB135_884
; %bb.877:
	global_load_u8 v1, v[8:9], off
	s_mov_b32 s48, 0
	s_mov_b32 s49, exec_lo
	s_wait_loadcnt 0x0
	v_cmpx_lt_i16_e32 0x7f, v1
	s_xor_b32 s49, exec_lo, s49
	s_cbranch_execz .LBB135_898
; %bb.878:
	s_mov_b32 s48, -1
	s_mov_b32 s50, exec_lo
	v_cmpx_eq_u16_e32 0x80, v1
; %bb.879:
	s_xor_b32 s48, exec_lo, -1
; %bb.880:
	s_or_b32 exec_lo, exec_lo, s50
	s_delay_alu instid0(SALU_CYCLE_1)
	s_and_b32 s48, s48, exec_lo
	s_or_saveexec_b32 s49, s49
	v_mov_b32_e32 v4, 0x7f800001
	s_xor_b32 exec_lo, exec_lo, s49
	s_cbranch_execnz .LBB135_899
.LBB135_881:
	s_or_b32 exec_lo, exec_lo, s49
	s_and_saveexec_b32 s49, s48
	s_cbranch_execz .LBB135_883
.LBB135_882:
	v_and_b32_e32 v3, 0xffff, v1
	s_delay_alu instid0(VALU_DEP_1) | instskip(SKIP_1) | instid1(VALU_DEP_2)
	v_and_b32_e32 v4, 7, v3
	v_bfe_u32 v10, v3, 3, 4
	v_clz_i32_u32_e32 v5, v4
	s_delay_alu instid0(VALU_DEP_2) | instskip(NEXT) | instid1(VALU_DEP_2)
	v_cmp_eq_u32_e32 vcc_lo, 0, v10
	v_min_u32_e32 v5, 32, v5
	s_delay_alu instid0(VALU_DEP_1) | instskip(NEXT) | instid1(VALU_DEP_1)
	v_subrev_nc_u32_e32 v7, 28, v5
	v_dual_lshlrev_b32 v3, v7, v3 :: v_dual_sub_nc_u32 v5, 29, v5
	s_delay_alu instid0(VALU_DEP_1) | instskip(NEXT) | instid1(VALU_DEP_1)
	v_dual_lshlrev_b32 v1, 24, v1 :: v_dual_bitop2_b32 v3, 7, v3 bitop3:0x40
	v_dual_cndmask_b32 v3, v4, v3, vcc_lo :: v_dual_cndmask_b32 v5, v10, v5, vcc_lo
	s_delay_alu instid0(VALU_DEP_2) | instskip(NEXT) | instid1(VALU_DEP_2)
	v_and_b32_e32 v1, 0x80000000, v1
	v_lshlrev_b32_e32 v3, 20, v3
	s_delay_alu instid0(VALU_DEP_3) | instskip(NEXT) | instid1(VALU_DEP_1)
	v_lshl_add_u32 v4, v5, 23, 0x3b800000
	v_or3_b32 v4, v1, v4, v3
.LBB135_883:
	s_or_b32 exec_lo, exec_lo, s49
.LBB135_884:
	v_mov_b32_e32 v5, 0
	s_mov_b32 s48, -1
.LBB135_885:
	s_mov_b32 s49, 0
.LBB135_886:
	s_delay_alu instid0(SALU_CYCLE_1)
	s_and_b32 vcc_lo, exec_lo, s49
	s_cbranch_vccz .LBB135_922
; %bb.887:
	s_cmp_gt_i32 s27, 22
	s_cbranch_scc0 .LBB135_897
; %bb.888:
	s_cmp_lt_i32 s27, 24
	s_cbranch_scc1 .LBB135_900
; %bb.889:
	s_cmp_gt_i32 s27, 24
	s_cbranch_scc0 .LBB135_901
; %bb.890:
	global_load_u8 v1, v[8:9], off
	s_mov_b32 s48, 0
	s_mov_b32 s49, exec_lo
	s_wait_loadcnt 0x0
	v_cmpx_lt_i16_e32 0x7f, v1
	s_xor_b32 s49, exec_lo, s49
	s_cbranch_execz .LBB135_913
; %bb.891:
	s_mov_b32 s48, -1
	s_mov_b32 s50, exec_lo
	v_cmpx_eq_u16_e32 0x80, v1
; %bb.892:
	s_xor_b32 s48, exec_lo, -1
; %bb.893:
	s_or_b32 exec_lo, exec_lo, s50
	s_delay_alu instid0(SALU_CYCLE_1)
	s_and_b32 s48, s48, exec_lo
	s_or_saveexec_b32 s49, s49
	v_mov_b32_e32 v4, 0x7f800001
	s_xor_b32 exec_lo, exec_lo, s49
	s_cbranch_execnz .LBB135_914
.LBB135_894:
	s_or_b32 exec_lo, exec_lo, s49
	s_and_saveexec_b32 s49, s48
	s_cbranch_execz .LBB135_896
.LBB135_895:
	v_and_b32_e32 v3, 0xffff, v1
	s_delay_alu instid0(VALU_DEP_1) | instskip(SKIP_1) | instid1(VALU_DEP_2)
	v_and_b32_e32 v4, 3, v3
	v_bfe_u32 v10, v3, 2, 5
	v_clz_i32_u32_e32 v5, v4
	s_delay_alu instid0(VALU_DEP_2) | instskip(NEXT) | instid1(VALU_DEP_2)
	v_cmp_eq_u32_e32 vcc_lo, 0, v10
	v_min_u32_e32 v5, 32, v5
	s_delay_alu instid0(VALU_DEP_1) | instskip(NEXT) | instid1(VALU_DEP_1)
	v_subrev_nc_u32_e32 v7, 29, v5
	v_dual_lshlrev_b32 v3, v7, v3 :: v_dual_sub_nc_u32 v5, 30, v5
	s_delay_alu instid0(VALU_DEP_1) | instskip(NEXT) | instid1(VALU_DEP_1)
	v_dual_lshlrev_b32 v1, 24, v1 :: v_dual_bitop2_b32 v3, 3, v3 bitop3:0x40
	v_dual_cndmask_b32 v3, v4, v3, vcc_lo :: v_dual_cndmask_b32 v5, v10, v5, vcc_lo
	s_delay_alu instid0(VALU_DEP_2) | instskip(NEXT) | instid1(VALU_DEP_2)
	v_and_b32_e32 v1, 0x80000000, v1
	v_lshlrev_b32_e32 v3, 21, v3
	s_delay_alu instid0(VALU_DEP_3) | instskip(NEXT) | instid1(VALU_DEP_1)
	v_lshl_add_u32 v4, v5, 23, 0x37800000
	v_or3_b32 v4, v1, v4, v3
.LBB135_896:
	s_or_b32 exec_lo, exec_lo, s49
	s_mov_b32 s48, 0
	s_branch .LBB135_902
.LBB135_897:
	s_mov_b32 s49, -1
                                        ; implicit-def: $vgpr4
	s_branch .LBB135_908
.LBB135_898:
	s_or_saveexec_b32 s49, s49
	v_mov_b32_e32 v4, 0x7f800001
	s_xor_b32 exec_lo, exec_lo, s49
	s_cbranch_execz .LBB135_881
.LBB135_899:
	v_cmp_ne_u16_e32 vcc_lo, 0, v1
	v_mov_b32_e32 v4, 0
	s_and_not1_b32 s48, s48, exec_lo
	s_and_b32 s50, vcc_lo, exec_lo
	s_delay_alu instid0(SALU_CYCLE_1)
	s_or_b32 s48, s48, s50
	s_or_b32 exec_lo, exec_lo, s49
	s_and_saveexec_b32 s49, s48
	s_cbranch_execnz .LBB135_882
	s_branch .LBB135_883
.LBB135_900:
	s_mov_b32 s48, -1
                                        ; implicit-def: $vgpr4
	s_branch .LBB135_905
.LBB135_901:
	s_mov_b32 s48, -1
                                        ; implicit-def: $vgpr4
.LBB135_902:
	s_delay_alu instid0(SALU_CYCLE_1)
	s_and_b32 vcc_lo, exec_lo, s48
	s_cbranch_vccz .LBB135_904
; %bb.903:
	global_load_u8 v1, v[8:9], off
	s_wait_loadcnt 0x0
	v_lshlrev_b32_e32 v1, 24, v1
	s_delay_alu instid0(VALU_DEP_1) | instskip(NEXT) | instid1(VALU_DEP_1)
	v_and_b32_e32 v3, 0x7f000000, v1
	v_clz_i32_u32_e32 v4, v3
	v_add_nc_u32_e32 v7, 0x1000000, v3
	v_cmp_ne_u32_e32 vcc_lo, 0, v3
	s_delay_alu instid0(VALU_DEP_3) | instskip(NEXT) | instid1(VALU_DEP_1)
	v_min_u32_e32 v4, 32, v4
	v_sub_nc_u32_e64 v4, v4, 4 clamp
	s_delay_alu instid0(VALU_DEP_1) | instskip(NEXT) | instid1(VALU_DEP_1)
	v_dual_lshlrev_b32 v5, v4, v3 :: v_dual_lshlrev_b32 v4, 23, v4
	v_lshrrev_b32_e32 v5, 4, v5
	s_delay_alu instid0(VALU_DEP_1) | instskip(NEXT) | instid1(VALU_DEP_1)
	v_dual_sub_nc_u32 v4, v5, v4 :: v_dual_ashrrev_i32 v5, 8, v7
	v_add_nc_u32_e32 v4, 0x3c000000, v4
	s_delay_alu instid0(VALU_DEP_1) | instskip(NEXT) | instid1(VALU_DEP_1)
	v_and_or_b32 v4, 0x7f800000, v5, v4
	v_cndmask_b32_e32 v3, 0, v4, vcc_lo
	s_delay_alu instid0(VALU_DEP_1)
	v_and_or_b32 v4, 0x80000000, v1, v3
.LBB135_904:
	s_mov_b32 s48, 0
.LBB135_905:
	s_delay_alu instid0(SALU_CYCLE_1)
	s_and_not1_b32 vcc_lo, exec_lo, s48
	s_cbranch_vccnz .LBB135_907
; %bb.906:
	global_load_u8 v1, v[8:9], off
	s_wait_loadcnt 0x0
	v_lshlrev_b32_e32 v3, 25, v1
	v_lshlrev_b16 v1, 8, v1
	s_delay_alu instid0(VALU_DEP_1) | instskip(NEXT) | instid1(VALU_DEP_3)
	v_and_or_b32 v5, 0x7f00, v1, 0.5
	v_lshrrev_b32_e32 v4, 4, v3
	v_bfe_i32 v1, v1, 0, 16
	s_delay_alu instid0(VALU_DEP_3) | instskip(NEXT) | instid1(VALU_DEP_3)
	v_add_f32_e32 v5, -0.5, v5
	v_or_b32_e32 v4, 0x70000000, v4
	s_delay_alu instid0(VALU_DEP_1) | instskip(SKIP_1) | instid1(VALU_DEP_2)
	v_mul_f32_e32 v4, 0x7800000, v4
	v_cmp_gt_u32_e32 vcc_lo, 0x8000000, v3
	v_cndmask_b32_e32 v3, v4, v5, vcc_lo
	s_delay_alu instid0(VALU_DEP_1)
	v_and_or_b32 v4, 0x80000000, v1, v3
.LBB135_907:
	s_mov_b32 s49, 0
	s_mov_b32 s48, -1
.LBB135_908:
	s_and_not1_b32 vcc_lo, exec_lo, s49
	s_cbranch_vccnz .LBB135_921
; %bb.909:
	s_cmp_gt_i32 s27, 14
	s_cbranch_scc0 .LBB135_912
; %bb.910:
	s_cmp_eq_u32 s27, 15
	s_cbranch_scc0 .LBB135_915
; %bb.911:
	global_load_u16 v1, v[8:9], off
	s_mov_b32 s48, -1
	s_mov_b32 s26, 0
	s_wait_loadcnt 0x0
	v_lshlrev_b32_e32 v4, 16, v1
	s_branch .LBB135_916
.LBB135_912:
	s_mov_b32 s49, -1
                                        ; implicit-def: $vgpr4
	s_branch .LBB135_917
.LBB135_913:
	s_or_saveexec_b32 s49, s49
	v_mov_b32_e32 v4, 0x7f800001
	s_xor_b32 exec_lo, exec_lo, s49
	s_cbranch_execz .LBB135_894
.LBB135_914:
	v_cmp_ne_u16_e32 vcc_lo, 0, v1
	v_mov_b32_e32 v4, 0
	s_and_not1_b32 s48, s48, exec_lo
	s_and_b32 s50, vcc_lo, exec_lo
	s_delay_alu instid0(SALU_CYCLE_1)
	s_or_b32 s48, s48, s50
	s_or_b32 exec_lo, exec_lo, s49
	s_and_saveexec_b32 s49, s48
	s_cbranch_execnz .LBB135_895
	s_branch .LBB135_896
.LBB135_915:
	s_mov_b32 s26, -1
                                        ; implicit-def: $vgpr4
.LBB135_916:
	s_mov_b32 s49, 0
.LBB135_917:
	s_delay_alu instid0(SALU_CYCLE_1)
	s_and_b32 vcc_lo, exec_lo, s49
	s_cbranch_vccz .LBB135_921
; %bb.918:
	s_cmp_eq_u32 s27, 11
	s_cbranch_scc0 .LBB135_920
; %bb.919:
	global_load_u8 v1, v[8:9], off
	s_mov_b32 s26, 0
	s_mov_b32 s48, -1
	v_mov_b32_e32 v5, 0
	s_wait_loadcnt 0x0
	v_cmp_ne_u16_e32 vcc_lo, 0, v1
	v_cndmask_b32_e64 v4, 0, 1.0, vcc_lo
	s_branch .LBB135_922
.LBB135_920:
	s_mov_b32 s26, -1
                                        ; implicit-def: $vgpr4
.LBB135_921:
	v_mov_b32_e32 v5, 0
.LBB135_922:
	s_mov_b32 s27, 0
.LBB135_923:
	s_delay_alu instid0(SALU_CYCLE_1)
	s_and_b32 vcc_lo, exec_lo, s27
	s_cbranch_vccz .LBB135_974
; %bb.924:
	s_and_b32 s0, 0xffff, s0
	s_delay_alu instid0(SALU_CYCLE_1)
	s_cmp_lt_i32 s0, 5
	s_cbranch_scc1 .LBB135_929
; %bb.925:
	s_cmp_lt_i32 s0, 8
	s_cbranch_scc1 .LBB135_930
; %bb.926:
	;; [unrolled: 3-line block ×3, first 2 shown]
	s_cmp_gt_i32 s0, 9
	s_cbranch_scc0 .LBB135_932
; %bb.928:
	global_load_b128 v[10:13], v[8:9], off
	s_mov_b32 s27, 0
	s_wait_loadcnt 0x0
	v_cvt_f32_f64_e32 v4, v[10:11]
	v_cvt_f32_f64_e32 v5, v[12:13]
	s_branch .LBB135_933
.LBB135_929:
	s_mov_b32 s27, -1
                                        ; implicit-def: $vgpr5
	s_branch .LBB135_952
.LBB135_930:
	s_mov_b32 s27, -1
                                        ; implicit-def: $vgpr5
	s_branch .LBB135_939
.LBB135_931:
	s_mov_b32 s27, -1
                                        ; implicit-def: $vgpr5
	s_branch .LBB135_936
.LBB135_932:
	s_mov_b32 s27, -1
                                        ; implicit-def: $vgpr5
.LBB135_933:
	s_delay_alu instid0(SALU_CYCLE_1)
	s_and_not1_b32 vcc_lo, exec_lo, s27
	s_cbranch_vccnz .LBB135_935
; %bb.934:
	global_load_b64 v[4:5], v[8:9], off
.LBB135_935:
	s_mov_b32 s27, 0
.LBB135_936:
	s_delay_alu instid0(SALU_CYCLE_1)
	s_and_not1_b32 vcc_lo, exec_lo, s27
	s_cbranch_vccnz .LBB135_938
; %bb.937:
	global_load_b32 v1, v[8:9], off
	s_wait_loadcnt 0x0
	v_lshrrev_b32_e32 v3, 16, v1
	v_cvt_f32_f16_e32 v4, v1
	s_delay_alu instid0(VALU_DEP_2)
	v_cvt_f32_f16_e32 v5, v3
.LBB135_938:
	s_mov_b32 s27, 0
.LBB135_939:
	s_delay_alu instid0(SALU_CYCLE_1)
	s_and_not1_b32 vcc_lo, exec_lo, s27
	s_cbranch_vccnz .LBB135_951
; %bb.940:
	s_cmp_lt_i32 s0, 6
	s_cbranch_scc1 .LBB135_943
; %bb.941:
	s_cmp_gt_i32 s0, 6
	s_cbranch_scc0 .LBB135_944
; %bb.942:
	s_wait_loadcnt 0x0
	global_load_b64 v[4:5], v[8:9], off
	s_mov_b32 s27, 0
	s_wait_loadcnt 0x0
	v_cvt_f32_f64_e32 v4, v[4:5]
	s_branch .LBB135_945
.LBB135_943:
	s_mov_b32 s27, -1
                                        ; implicit-def: $vgpr4
	s_branch .LBB135_948
.LBB135_944:
	s_mov_b32 s27, -1
                                        ; implicit-def: $vgpr4
.LBB135_945:
	s_delay_alu instid0(SALU_CYCLE_1)
	s_and_not1_b32 vcc_lo, exec_lo, s27
	s_cbranch_vccnz .LBB135_947
; %bb.946:
	s_wait_loadcnt 0x0
	global_load_b32 v4, v[8:9], off
.LBB135_947:
	s_mov_b32 s27, 0
.LBB135_948:
	s_delay_alu instid0(SALU_CYCLE_1)
	s_and_not1_b32 vcc_lo, exec_lo, s27
	s_cbranch_vccnz .LBB135_950
; %bb.949:
	global_load_u16 v1, v[8:9], off
	s_wait_loadcnt 0x0
	v_cvt_f32_f16_e32 v4, v1
.LBB135_950:
	s_wait_loadcnt 0x0
	v_mov_b32_e32 v5, 0
.LBB135_951:
	s_mov_b32 s27, 0
.LBB135_952:
	s_delay_alu instid0(SALU_CYCLE_1)
	s_and_not1_b32 vcc_lo, exec_lo, s27
	s_cbranch_vccnz .LBB135_973
; %bb.953:
	s_cmp_lt_i32 s0, 2
	s_cbranch_scc1 .LBB135_957
; %bb.954:
	s_cmp_lt_i32 s0, 3
	s_cbranch_scc1 .LBB135_958
; %bb.955:
	s_cmp_gt_i32 s0, 3
	s_cbranch_scc0 .LBB135_959
; %bb.956:
	s_wait_loadcnt 0x0
	global_load_b64 v[4:5], v[8:9], off
	s_mov_b32 s27, 0
	s_wait_loadcnt 0x0
	v_xor_b32_e32 v1, v4, v5
	v_cls_i32_e32 v3, v5
	s_delay_alu instid0(VALU_DEP_2) | instskip(NEXT) | instid1(VALU_DEP_1)
	v_ashrrev_i32_e32 v1, 31, v1
	v_add_nc_u32_e32 v1, 32, v1
	s_delay_alu instid0(VALU_DEP_1) | instskip(NEXT) | instid1(VALU_DEP_1)
	v_add_min_u32_e64 v1, v3, -1, v1
	v_lshlrev_b64_e32 v[4:5], v1, v[4:5]
	v_sub_nc_u32_e32 v1, 32, v1
	s_delay_alu instid0(VALU_DEP_2) | instskip(NEXT) | instid1(VALU_DEP_1)
	v_min_u32_e32 v3, 1, v4
	v_or_b32_e32 v3, v5, v3
	s_delay_alu instid0(VALU_DEP_1) | instskip(NEXT) | instid1(VALU_DEP_1)
	v_cvt_f32_i32_e32 v3, v3
	v_ldexp_f32 v4, v3, v1
	s_branch .LBB135_960
.LBB135_957:
	s_mov_b32 s27, -1
                                        ; implicit-def: $vgpr4
	s_branch .LBB135_966
.LBB135_958:
	s_mov_b32 s27, -1
                                        ; implicit-def: $vgpr4
	s_branch .LBB135_963
.LBB135_959:
	s_mov_b32 s27, -1
                                        ; implicit-def: $vgpr4
.LBB135_960:
	s_delay_alu instid0(SALU_CYCLE_1)
	s_and_not1_b32 vcc_lo, exec_lo, s27
	s_cbranch_vccnz .LBB135_962
; %bb.961:
	global_load_b32 v1, v[8:9], off
	s_wait_loadcnt 0x0
	v_cvt_f32_i32_e32 v4, v1
.LBB135_962:
	s_mov_b32 s27, 0
.LBB135_963:
	s_delay_alu instid0(SALU_CYCLE_1)
	s_and_not1_b32 vcc_lo, exec_lo, s27
	s_cbranch_vccnz .LBB135_965
; %bb.964:
	global_load_i16 v1, v[8:9], off
	s_wait_loadcnt 0x0
	v_cvt_f32_i32_e32 v4, v1
.LBB135_965:
	s_mov_b32 s27, 0
.LBB135_966:
	s_delay_alu instid0(SALU_CYCLE_1)
	s_and_not1_b32 vcc_lo, exec_lo, s27
	s_cbranch_vccnz .LBB135_972
; %bb.967:
	s_cmp_gt_i32 s0, 0
	s_mov_b32 s0, 0
	s_cbranch_scc0 .LBB135_969
; %bb.968:
	global_load_i8 v1, v[8:9], off
	s_wait_loadcnt 0x0
	v_cvt_f32_i32_e32 v4, v1
	s_branch .LBB135_970
.LBB135_969:
	s_mov_b32 s0, -1
                                        ; implicit-def: $vgpr4
.LBB135_970:
	s_delay_alu instid0(SALU_CYCLE_1)
	s_and_not1_b32 vcc_lo, exec_lo, s0
	s_cbranch_vccnz .LBB135_972
; %bb.971:
	global_load_u8 v1, v[8:9], off
	s_wait_loadcnt 0x0
	v_cvt_f32_ubyte0_e32 v4, v1
.LBB135_972:
	s_wait_loadcnt 0x0
	v_mov_b32_e32 v5, 0
.LBB135_973:
	s_mov_b32 s48, -1
.LBB135_974:
	s_delay_alu instid0(SALU_CYCLE_1)
	s_and_not1_b32 vcc_lo, exec_lo, s48
	s_cbranch_vccnz .LBB135_982
; %bb.975:
	v_mov_b32_e32 v7, 0
	s_and_b32 s0, s13, 0xff
	s_delay_alu instid0(SALU_CYCLE_1) | instskip(NEXT) | instid1(VALU_DEP_1)
	s_cmp_lt_i32 s0, 11
	v_add_nc_u64_e32 v[6:7], s[8:9], v[6:7]
	s_cbranch_scc1 .LBB135_983
; %bb.976:
	s_and_b32 s48, 0xffff, s0
	s_delay_alu instid0(SALU_CYCLE_1)
	s_cmp_gt_i32 s48, 25
	s_cbranch_scc0 .LBB135_984
; %bb.977:
	s_cmp_gt_i32 s48, 28
	s_cbranch_scc0 .LBB135_985
; %bb.978:
	;; [unrolled: 3-line block ×4, first 2 shown]
	s_cmp_eq_u32 s48, 46
	s_mov_b32 s50, 0
	s_cbranch_scc0 .LBB135_990
; %bb.981:
	global_load_b32 v1, v[6:7], off
	s_mov_b32 s49, -1
	s_mov_b32 s27, 0
	s_wait_loadcnt 0x0
	s_wait_xcnt 0x1
	v_and_b32_e32 v9, 0xffff0000, v1
	v_lshlrev_b32_e32 v8, 16, v1
	s_branch .LBB135_992
.LBB135_982:
	s_mov_b32 s51, 0
	s_mov_b32 s0, s44
	;; [unrolled: 1-line block ×3, first 2 shown]
	s_branch .LBB135_1241
.LBB135_983:
	s_mov_b32 s48, -1
	s_mov_b32 s49, 0
	s_mov_b32 s27, s45
                                        ; implicit-def: $vgpr9
	s_branch .LBB135_1060
.LBB135_984:
	s_mov_b32 s50, -1
	s_mov_b32 s49, 0
	s_mov_b32 s27, s45
                                        ; implicit-def: $vgpr9
	s_branch .LBB135_1023
.LBB135_985:
	s_mov_b32 s50, -1
	s_mov_b32 s49, 0
	s_mov_b32 s27, s45
                                        ; implicit-def: $vgpr9
	s_branch .LBB135_1004
.LBB135_986:
	s_mov_b32 s50, -1
	s_mov_b32 s49, 0
	s_mov_b32 s27, s45
                                        ; implicit-def: $vgpr9
	s_branch .LBB135_998
.LBB135_987:
	s_mov_b32 s50, -1
	s_mov_b32 s49, 0
	s_mov_b32 s27, s45
	s_branch .LBB135_991
.LBB135_988:
	s_and_not1_saveexec_b32 s49, s49
	s_cbranch_execz .LBB135_746
.LBB135_989:
	v_add_f32_e32 v1, 0x42800000, v4
	s_and_not1_b32 s48, s48, exec_lo
	s_delay_alu instid0(VALU_DEP_1) | instskip(NEXT) | instid1(VALU_DEP_1)
	v_and_b32_e32 v1, 0xff, v1
	v_cmp_ne_u32_e32 vcc_lo, 0, v1
	s_and_b32 s50, vcc_lo, exec_lo
	s_delay_alu instid0(SALU_CYCLE_1)
	s_or_b32 s48, s48, s50
	s_or_b32 exec_lo, exec_lo, s49
	v_mov_b32_e32 v5, 0
	s_and_saveexec_b32 s49, s48
	s_cbranch_execnz .LBB135_747
	s_branch .LBB135_748
.LBB135_990:
	s_mov_b32 s27, -1
	s_mov_b32 s49, 0
.LBB135_991:
                                        ; implicit-def: $vgpr9
.LBB135_992:
	s_and_b32 vcc_lo, exec_lo, s50
	s_cbranch_vccz .LBB135_997
; %bb.993:
	s_cmp_eq_u32 s48, 44
	s_cbranch_scc0 .LBB135_995
; %bb.994:
	global_load_u8 v1, v[6:7], off
	s_mov_b32 s27, 0
	s_mov_b32 s49, -1
	s_wait_loadcnt 0x0
	v_lshlrev_b32_e32 v3, 23, v1
	v_cmp_ne_u32_e32 vcc_lo, 0xff, v1
	s_delay_alu instid0(VALU_DEP_2) | instskip(SKIP_2) | instid1(VALU_DEP_2)
	v_cndmask_b32_e32 v3, 0x7f800001, v3, vcc_lo
	v_cmp_ne_u32_e32 vcc_lo, 0, v1
	s_wait_xcnt 0x1
	v_cndmask_b32_e32 v8, 0x400000, v3, vcc_lo
	s_branch .LBB135_996
.LBB135_995:
	s_mov_b32 s27, -1
                                        ; implicit-def: $vgpr8
.LBB135_996:
	s_wait_xcnt 0x0
	v_mov_b32_e32 v9, 0
.LBB135_997:
	s_mov_b32 s50, 0
.LBB135_998:
	s_delay_alu instid0(SALU_CYCLE_1)
	s_and_b32 vcc_lo, exec_lo, s50
	s_cbranch_vccz .LBB135_1003
; %bb.999:
	s_cmp_eq_u32 s48, 29
	s_cbranch_scc0 .LBB135_1001
; %bb.1000:
	global_load_b64 v[8:9], v[6:7], off
	s_mov_b32 s49, -1
	s_mov_b32 s27, 0
	s_wait_loadcnt 0x0
	v_clz_i32_u32_e32 v1, v9
	s_delay_alu instid0(VALU_DEP_1) | instskip(NEXT) | instid1(VALU_DEP_1)
	v_min_u32_e32 v1, 32, v1
	v_lshlrev_b64_e32 v[8:9], v1, v[8:9]
	v_sub_nc_u32_e32 v1, 32, v1
	s_delay_alu instid0(VALU_DEP_2) | instskip(NEXT) | instid1(VALU_DEP_1)
	v_min_u32_e32 v3, 1, v8
	v_or_b32_e32 v3, v9, v3
	s_delay_alu instid0(VALU_DEP_1) | instskip(NEXT) | instid1(VALU_DEP_1)
	v_cvt_f32_u32_e32 v3, v3
	v_ldexp_f32 v8, v3, v1
	s_branch .LBB135_1002
.LBB135_1001:
	s_mov_b32 s27, -1
                                        ; implicit-def: $vgpr8
.LBB135_1002:
	s_wait_xcnt 0x0
	v_mov_b32_e32 v9, 0
.LBB135_1003:
	s_mov_b32 s50, 0
.LBB135_1004:
	s_delay_alu instid0(SALU_CYCLE_1)
	s_and_b32 vcc_lo, exec_lo, s50
	s_cbranch_vccz .LBB135_1022
; %bb.1005:
	s_cmp_lt_i32 s48, 27
	s_cbranch_scc1 .LBB135_1008
; %bb.1006:
	s_cmp_gt_i32 s48, 27
	s_cbranch_scc0 .LBB135_1009
; %bb.1007:
	global_load_b32 v1, v[6:7], off
	s_mov_b32 s49, 0
	s_wait_loadcnt 0x0
	s_wait_xcnt 0x1
	v_cvt_f32_u32_e32 v8, v1
	s_branch .LBB135_1010
.LBB135_1008:
	s_mov_b32 s49, -1
                                        ; implicit-def: $vgpr8
	s_branch .LBB135_1013
.LBB135_1009:
	s_mov_b32 s49, -1
                                        ; implicit-def: $vgpr8
.LBB135_1010:
	s_delay_alu instid0(SALU_CYCLE_1)
	s_and_not1_b32 vcc_lo, exec_lo, s49
	s_cbranch_vccnz .LBB135_1012
; %bb.1011:
	global_load_u16 v1, v[6:7], off
	s_wait_loadcnt 0x0
	s_wait_xcnt 0x1
	v_cvt_f32_u32_e32 v8, v1
.LBB135_1012:
	s_mov_b32 s49, 0
.LBB135_1013:
	s_delay_alu instid0(SALU_CYCLE_1)
	s_and_not1_b32 vcc_lo, exec_lo, s49
	s_cbranch_vccnz .LBB135_1021
; %bb.1014:
	global_load_u8 v1, v[6:7], off
	s_mov_b32 s49, 0
	s_mov_b32 s50, exec_lo
	s_wait_loadcnt 0x0
	v_cmpx_lt_i16_e32 0x7f, v1
	s_xor_b32 s50, exec_lo, s50
	s_cbranch_execz .LBB135_1035
; %bb.1015:
	s_mov_b32 s49, -1
	s_mov_b32 s51, exec_lo
	v_cmpx_eq_u16_e32 0x80, v1
; %bb.1016:
	s_xor_b32 s49, exec_lo, -1
; %bb.1017:
	s_or_b32 exec_lo, exec_lo, s51
	s_delay_alu instid0(SALU_CYCLE_1)
	s_and_b32 s49, s49, exec_lo
	s_or_saveexec_b32 s50, s50
	v_mov_b32_e32 v8, 0x7f800001
	s_xor_b32 exec_lo, exec_lo, s50
	s_cbranch_execnz .LBB135_1036
.LBB135_1018:
	s_or_b32 exec_lo, exec_lo, s50
	s_and_saveexec_b32 s50, s49
	s_cbranch_execz .LBB135_1020
.LBB135_1019:
	v_and_b32_e32 v3, 0xffff, v1
	s_delay_alu instid0(VALU_DEP_1) | instskip(SKIP_1) | instid1(VALU_DEP_2)
	v_and_b32_e32 v8, 7, v3
	v_bfe_u32 v11, v3, 3, 4
	v_clz_i32_u32_e32 v9, v8
	s_delay_alu instid0(VALU_DEP_2) | instskip(NEXT) | instid1(VALU_DEP_2)
	v_cmp_eq_u32_e32 vcc_lo, 0, v11
	v_min_u32_e32 v9, 32, v9
	s_delay_alu instid0(VALU_DEP_1) | instskip(NEXT) | instid1(VALU_DEP_1)
	v_subrev_nc_u32_e32 v10, 28, v9
	v_dual_lshlrev_b32 v3, v10, v3 :: v_dual_sub_nc_u32 v9, 29, v9
	s_delay_alu instid0(VALU_DEP_1) | instskip(NEXT) | instid1(VALU_DEP_1)
	v_dual_lshlrev_b32 v1, 24, v1 :: v_dual_bitop2_b32 v3, 7, v3 bitop3:0x40
	v_dual_cndmask_b32 v3, v8, v3, vcc_lo :: v_dual_cndmask_b32 v9, v11, v9, vcc_lo
	s_delay_alu instid0(VALU_DEP_2) | instskip(NEXT) | instid1(VALU_DEP_2)
	v_and_b32_e32 v1, 0x80000000, v1
	v_lshlrev_b32_e32 v3, 20, v3
	s_delay_alu instid0(VALU_DEP_3) | instskip(NEXT) | instid1(VALU_DEP_1)
	v_lshl_add_u32 v8, v9, 23, 0x3b800000
	v_or3_b32 v8, v1, v8, v3
.LBB135_1020:
	s_or_b32 exec_lo, exec_lo, s50
.LBB135_1021:
	s_wait_xcnt 0x0
	v_mov_b32_e32 v9, 0
	s_mov_b32 s49, -1
.LBB135_1022:
	s_mov_b32 s50, 0
.LBB135_1023:
	s_delay_alu instid0(SALU_CYCLE_1)
	s_and_b32 vcc_lo, exec_lo, s50
	s_cbranch_vccz .LBB135_1059
; %bb.1024:
	s_cmp_gt_i32 s48, 22
	s_cbranch_scc0 .LBB135_1034
; %bb.1025:
	s_cmp_lt_i32 s48, 24
	s_cbranch_scc1 .LBB135_1037
; %bb.1026:
	s_cmp_gt_i32 s48, 24
	s_cbranch_scc0 .LBB135_1038
; %bb.1027:
	global_load_u8 v1, v[6:7], off
	s_mov_b32 s49, 0
	s_mov_b32 s50, exec_lo
	s_wait_loadcnt 0x0
	v_cmpx_lt_i16_e32 0x7f, v1
	s_xor_b32 s50, exec_lo, s50
	s_cbranch_execz .LBB135_1050
; %bb.1028:
	s_mov_b32 s49, -1
	s_mov_b32 s51, exec_lo
	v_cmpx_eq_u16_e32 0x80, v1
; %bb.1029:
	s_xor_b32 s49, exec_lo, -1
; %bb.1030:
	s_or_b32 exec_lo, exec_lo, s51
	s_delay_alu instid0(SALU_CYCLE_1)
	s_and_b32 s49, s49, exec_lo
	s_or_saveexec_b32 s50, s50
	v_mov_b32_e32 v8, 0x7f800001
	s_xor_b32 exec_lo, exec_lo, s50
	s_cbranch_execnz .LBB135_1051
.LBB135_1031:
	s_or_b32 exec_lo, exec_lo, s50
	s_and_saveexec_b32 s50, s49
	s_cbranch_execz .LBB135_1033
.LBB135_1032:
	v_and_b32_e32 v3, 0xffff, v1
	s_delay_alu instid0(VALU_DEP_1) | instskip(SKIP_1) | instid1(VALU_DEP_2)
	v_and_b32_e32 v8, 3, v3
	v_bfe_u32 v11, v3, 2, 5
	v_clz_i32_u32_e32 v9, v8
	s_delay_alu instid0(VALU_DEP_2) | instskip(NEXT) | instid1(VALU_DEP_2)
	v_cmp_eq_u32_e32 vcc_lo, 0, v11
	v_min_u32_e32 v9, 32, v9
	s_delay_alu instid0(VALU_DEP_1) | instskip(NEXT) | instid1(VALU_DEP_1)
	v_subrev_nc_u32_e32 v10, 29, v9
	v_dual_lshlrev_b32 v3, v10, v3 :: v_dual_sub_nc_u32 v9, 30, v9
	s_delay_alu instid0(VALU_DEP_1) | instskip(NEXT) | instid1(VALU_DEP_1)
	v_dual_lshlrev_b32 v1, 24, v1 :: v_dual_bitop2_b32 v3, 3, v3 bitop3:0x40
	v_dual_cndmask_b32 v3, v8, v3, vcc_lo :: v_dual_cndmask_b32 v9, v11, v9, vcc_lo
	s_delay_alu instid0(VALU_DEP_2) | instskip(NEXT) | instid1(VALU_DEP_2)
	v_and_b32_e32 v1, 0x80000000, v1
	v_lshlrev_b32_e32 v3, 21, v3
	s_delay_alu instid0(VALU_DEP_3) | instskip(NEXT) | instid1(VALU_DEP_1)
	v_lshl_add_u32 v8, v9, 23, 0x37800000
	v_or3_b32 v8, v1, v8, v3
.LBB135_1033:
	s_or_b32 exec_lo, exec_lo, s50
	s_mov_b32 s49, 0
	s_branch .LBB135_1039
.LBB135_1034:
	s_mov_b32 s50, -1
                                        ; implicit-def: $vgpr8
	s_branch .LBB135_1045
.LBB135_1035:
	s_or_saveexec_b32 s50, s50
	v_mov_b32_e32 v8, 0x7f800001
	s_xor_b32 exec_lo, exec_lo, s50
	s_cbranch_execz .LBB135_1018
.LBB135_1036:
	v_cmp_ne_u16_e32 vcc_lo, 0, v1
	v_mov_b32_e32 v8, 0
	s_and_not1_b32 s49, s49, exec_lo
	s_and_b32 s51, vcc_lo, exec_lo
	s_delay_alu instid0(SALU_CYCLE_1)
	s_or_b32 s49, s49, s51
	s_or_b32 exec_lo, exec_lo, s50
	s_and_saveexec_b32 s50, s49
	s_cbranch_execnz .LBB135_1019
	s_branch .LBB135_1020
.LBB135_1037:
	s_mov_b32 s49, -1
                                        ; implicit-def: $vgpr8
	s_branch .LBB135_1042
.LBB135_1038:
	s_mov_b32 s49, -1
                                        ; implicit-def: $vgpr8
.LBB135_1039:
	s_delay_alu instid0(SALU_CYCLE_1)
	s_and_b32 vcc_lo, exec_lo, s49
	s_cbranch_vccz .LBB135_1041
; %bb.1040:
	global_load_u8 v1, v[6:7], off
	s_wait_loadcnt 0x0
	v_lshlrev_b32_e32 v1, 24, v1
	s_delay_alu instid0(VALU_DEP_1) | instskip(SKIP_1) | instid1(VALU_DEP_1)
	v_and_b32_e32 v3, 0x7f000000, v1
	s_wait_xcnt 0x1
	v_clz_i32_u32_e32 v8, v3
	v_cmp_ne_u32_e32 vcc_lo, 0, v3
	v_add_nc_u32_e32 v10, 0x1000000, v3
	s_delay_alu instid0(VALU_DEP_3) | instskip(NEXT) | instid1(VALU_DEP_1)
	v_min_u32_e32 v8, 32, v8
	v_sub_nc_u32_e64 v8, v8, 4 clamp
	s_delay_alu instid0(VALU_DEP_1) | instskip(NEXT) | instid1(VALU_DEP_1)
	v_dual_lshlrev_b32 v9, v8, v3 :: v_dual_lshlrev_b32 v8, 23, v8
	v_lshrrev_b32_e32 v9, 4, v9
	s_delay_alu instid0(VALU_DEP_1) | instskip(NEXT) | instid1(VALU_DEP_1)
	v_dual_sub_nc_u32 v8, v9, v8 :: v_dual_ashrrev_i32 v9, 8, v10
	v_add_nc_u32_e32 v8, 0x3c000000, v8
	s_delay_alu instid0(VALU_DEP_1) | instskip(NEXT) | instid1(VALU_DEP_1)
	v_and_or_b32 v8, 0x7f800000, v9, v8
	v_cndmask_b32_e32 v3, 0, v8, vcc_lo
	s_delay_alu instid0(VALU_DEP_1)
	v_and_or_b32 v8, 0x80000000, v1, v3
.LBB135_1041:
	s_mov_b32 s49, 0
.LBB135_1042:
	s_delay_alu instid0(SALU_CYCLE_1)
	s_and_not1_b32 vcc_lo, exec_lo, s49
	s_cbranch_vccnz .LBB135_1044
; %bb.1043:
	global_load_u8 v1, v[6:7], off
	s_wait_loadcnt 0x0
	v_lshlrev_b32_e32 v3, 25, v1
	v_lshlrev_b16 v1, 8, v1
	s_wait_xcnt 0x1
	s_delay_alu instid0(VALU_DEP_1) | instskip(NEXT) | instid1(VALU_DEP_3)
	v_and_or_b32 v9, 0x7f00, v1, 0.5
	v_lshrrev_b32_e32 v8, 4, v3
	v_bfe_i32 v1, v1, 0, 16
	s_delay_alu instid0(VALU_DEP_3) | instskip(NEXT) | instid1(VALU_DEP_3)
	v_add_f32_e32 v9, -0.5, v9
	v_or_b32_e32 v8, 0x70000000, v8
	s_delay_alu instid0(VALU_DEP_1) | instskip(SKIP_1) | instid1(VALU_DEP_2)
	v_mul_f32_e32 v8, 0x7800000, v8
	v_cmp_gt_u32_e32 vcc_lo, 0x8000000, v3
	v_cndmask_b32_e32 v3, v8, v9, vcc_lo
	s_delay_alu instid0(VALU_DEP_1)
	v_and_or_b32 v8, 0x80000000, v1, v3
.LBB135_1044:
	s_mov_b32 s50, 0
	s_mov_b32 s49, -1
.LBB135_1045:
	s_and_not1_b32 vcc_lo, exec_lo, s50
	s_cbranch_vccnz .LBB135_1058
; %bb.1046:
	s_cmp_gt_i32 s48, 14
	s_cbranch_scc0 .LBB135_1049
; %bb.1047:
	s_cmp_eq_u32 s48, 15
	s_cbranch_scc0 .LBB135_1052
; %bb.1048:
	global_load_u16 v1, v[6:7], off
	s_mov_b32 s49, -1
	s_mov_b32 s27, 0
	s_wait_loadcnt 0x0
	s_wait_xcnt 0x1
	v_lshlrev_b32_e32 v8, 16, v1
	s_branch .LBB135_1053
.LBB135_1049:
	s_mov_b32 s50, -1
                                        ; implicit-def: $vgpr8
	s_branch .LBB135_1054
.LBB135_1050:
	s_or_saveexec_b32 s50, s50
	v_mov_b32_e32 v8, 0x7f800001
	s_xor_b32 exec_lo, exec_lo, s50
	s_cbranch_execz .LBB135_1031
.LBB135_1051:
	v_cmp_ne_u16_e32 vcc_lo, 0, v1
	v_mov_b32_e32 v8, 0
	s_and_not1_b32 s49, s49, exec_lo
	s_and_b32 s51, vcc_lo, exec_lo
	s_delay_alu instid0(SALU_CYCLE_1)
	s_or_b32 s49, s49, s51
	s_or_b32 exec_lo, exec_lo, s50
	s_and_saveexec_b32 s50, s49
	s_cbranch_execnz .LBB135_1032
	s_branch .LBB135_1033
.LBB135_1052:
	s_mov_b32 s27, -1
                                        ; implicit-def: $vgpr8
.LBB135_1053:
	s_mov_b32 s50, 0
.LBB135_1054:
	s_delay_alu instid0(SALU_CYCLE_1)
	s_and_b32 vcc_lo, exec_lo, s50
	s_cbranch_vccz .LBB135_1058
; %bb.1055:
	s_cmp_eq_u32 s48, 11
	s_cbranch_scc0 .LBB135_1057
; %bb.1056:
	global_load_u8 v1, v[6:7], off
	s_mov_b32 s27, 0
	s_mov_b32 s49, -1
	s_wait_xcnt 0x1
	v_mov_b32_e32 v9, 0
	s_wait_loadcnt 0x0
	v_cmp_ne_u16_e32 vcc_lo, 0, v1
	v_cndmask_b32_e64 v8, 0, 1.0, vcc_lo
	s_branch .LBB135_1059
.LBB135_1057:
	s_mov_b32 s27, -1
                                        ; implicit-def: $vgpr8
.LBB135_1058:
	s_wait_xcnt 0x0
	v_mov_b32_e32 v9, 0
.LBB135_1059:
	s_mov_b32 s48, 0
.LBB135_1060:
	s_delay_alu instid0(SALU_CYCLE_1)
	s_and_b32 vcc_lo, exec_lo, s48
	s_cbranch_vccz .LBB135_1111
; %bb.1061:
	s_and_b32 s0, 0xffff, s0
	s_delay_alu instid0(SALU_CYCLE_1)
	s_cmp_lt_i32 s0, 5
	s_cbranch_scc1 .LBB135_1066
; %bb.1062:
	s_cmp_lt_i32 s0, 8
	s_cbranch_scc1 .LBB135_1067
; %bb.1063:
	;; [unrolled: 3-line block ×3, first 2 shown]
	s_cmp_gt_i32 s0, 9
	s_cbranch_scc0 .LBB135_1069
; %bb.1065:
	global_load_b128 v[8:11], v[6:7], off
	s_mov_b32 s48, 0
	s_wait_loadcnt 0x0
	v_cvt_f32_f64_e32 v8, v[8:9]
	v_cvt_f32_f64_e32 v9, v[10:11]
	s_branch .LBB135_1070
.LBB135_1066:
	s_mov_b32 s48, -1
                                        ; implicit-def: $vgpr9
	s_branch .LBB135_1089
.LBB135_1067:
	s_mov_b32 s48, -1
                                        ; implicit-def: $vgpr9
	s_branch .LBB135_1076
.LBB135_1068:
	s_mov_b32 s48, -1
                                        ; implicit-def: $vgpr9
	s_branch .LBB135_1073
.LBB135_1069:
	s_mov_b32 s48, -1
                                        ; implicit-def: $vgpr9
.LBB135_1070:
	s_delay_alu instid0(SALU_CYCLE_1)
	s_and_not1_b32 vcc_lo, exec_lo, s48
	s_cbranch_vccnz .LBB135_1072
; %bb.1071:
	global_load_b64 v[8:9], v[6:7], off
.LBB135_1072:
	s_mov_b32 s48, 0
.LBB135_1073:
	s_delay_alu instid0(SALU_CYCLE_1)
	s_and_not1_b32 vcc_lo, exec_lo, s48
	s_cbranch_vccnz .LBB135_1075
; %bb.1074:
	global_load_b32 v1, v[6:7], off
	s_wait_loadcnt 0x0
	v_lshrrev_b32_e32 v3, 16, v1
	s_wait_xcnt 0x1
	v_cvt_f32_f16_e32 v8, v1
	s_delay_alu instid0(VALU_DEP_2)
	v_cvt_f32_f16_e32 v9, v3
.LBB135_1075:
	s_mov_b32 s48, 0
.LBB135_1076:
	s_delay_alu instid0(SALU_CYCLE_1)
	s_and_not1_b32 vcc_lo, exec_lo, s48
	s_cbranch_vccnz .LBB135_1088
; %bb.1077:
	s_cmp_lt_i32 s0, 6
	s_cbranch_scc1 .LBB135_1080
; %bb.1078:
	s_cmp_gt_i32 s0, 6
	s_cbranch_scc0 .LBB135_1081
; %bb.1079:
	s_wait_loadcnt 0x0
	global_load_b64 v[8:9], v[6:7], off
	s_mov_b32 s48, 0
	s_wait_loadcnt 0x0
	v_cvt_f32_f64_e32 v8, v[8:9]
	s_branch .LBB135_1082
.LBB135_1080:
	s_mov_b32 s48, -1
                                        ; implicit-def: $vgpr8
	s_branch .LBB135_1085
.LBB135_1081:
	s_mov_b32 s48, -1
                                        ; implicit-def: $vgpr8
.LBB135_1082:
	s_delay_alu instid0(SALU_CYCLE_1)
	s_and_not1_b32 vcc_lo, exec_lo, s48
	s_cbranch_vccnz .LBB135_1084
; %bb.1083:
	s_wait_loadcnt 0x0
	global_load_b32 v8, v[6:7], off
.LBB135_1084:
	s_mov_b32 s48, 0
.LBB135_1085:
	s_delay_alu instid0(SALU_CYCLE_1)
	s_and_not1_b32 vcc_lo, exec_lo, s48
	s_cbranch_vccnz .LBB135_1087
; %bb.1086:
	global_load_u16 v1, v[6:7], off
	s_wait_loadcnt 0x0
	s_wait_xcnt 0x1
	v_cvt_f32_f16_e32 v8, v1
.LBB135_1087:
	s_wait_loadcnt 0x0
	v_mov_b32_e32 v9, 0
.LBB135_1088:
	s_mov_b32 s48, 0
.LBB135_1089:
	s_delay_alu instid0(SALU_CYCLE_1)
	s_and_not1_b32 vcc_lo, exec_lo, s48
	s_cbranch_vccnz .LBB135_1110
; %bb.1090:
	s_cmp_lt_i32 s0, 2
	s_cbranch_scc1 .LBB135_1094
; %bb.1091:
	s_cmp_lt_i32 s0, 3
	s_cbranch_scc1 .LBB135_1095
; %bb.1092:
	s_cmp_gt_i32 s0, 3
	s_cbranch_scc0 .LBB135_1096
; %bb.1093:
	s_wait_loadcnt 0x0
	global_load_b64 v[8:9], v[6:7], off
	s_mov_b32 s48, 0
	s_wait_loadcnt 0x0
	v_xor_b32_e32 v1, v8, v9
	v_cls_i32_e32 v3, v9
	s_delay_alu instid0(VALU_DEP_2) | instskip(NEXT) | instid1(VALU_DEP_1)
	v_ashrrev_i32_e32 v1, 31, v1
	v_add_nc_u32_e32 v1, 32, v1
	s_delay_alu instid0(VALU_DEP_1) | instskip(NEXT) | instid1(VALU_DEP_1)
	v_add_min_u32_e64 v1, v3, -1, v1
	v_lshlrev_b64_e32 v[8:9], v1, v[8:9]
	v_sub_nc_u32_e32 v1, 32, v1
	s_delay_alu instid0(VALU_DEP_2) | instskip(NEXT) | instid1(VALU_DEP_1)
	v_min_u32_e32 v3, 1, v8
	v_or_b32_e32 v3, v9, v3
	s_delay_alu instid0(VALU_DEP_1) | instskip(NEXT) | instid1(VALU_DEP_1)
	v_cvt_f32_i32_e32 v3, v3
	v_ldexp_f32 v8, v3, v1
	s_branch .LBB135_1097
.LBB135_1094:
	s_mov_b32 s48, -1
                                        ; implicit-def: $vgpr8
	s_branch .LBB135_1103
.LBB135_1095:
	s_mov_b32 s48, -1
                                        ; implicit-def: $vgpr8
	s_branch .LBB135_1100
.LBB135_1096:
	s_mov_b32 s48, -1
                                        ; implicit-def: $vgpr8
.LBB135_1097:
	s_delay_alu instid0(SALU_CYCLE_1)
	s_and_not1_b32 vcc_lo, exec_lo, s48
	s_cbranch_vccnz .LBB135_1099
; %bb.1098:
	global_load_b32 v1, v[6:7], off
	s_wait_loadcnt 0x0
	s_wait_xcnt 0x1
	v_cvt_f32_i32_e32 v8, v1
.LBB135_1099:
	s_mov_b32 s48, 0
.LBB135_1100:
	s_delay_alu instid0(SALU_CYCLE_1)
	s_and_not1_b32 vcc_lo, exec_lo, s48
	s_cbranch_vccnz .LBB135_1102
; %bb.1101:
	global_load_i16 v1, v[6:7], off
	s_wait_loadcnt 0x0
	s_wait_xcnt 0x1
	v_cvt_f32_i32_e32 v8, v1
.LBB135_1102:
	s_mov_b32 s48, 0
.LBB135_1103:
	s_delay_alu instid0(SALU_CYCLE_1)
	s_and_not1_b32 vcc_lo, exec_lo, s48
	s_cbranch_vccnz .LBB135_1109
; %bb.1104:
	s_cmp_gt_i32 s0, 0
	s_mov_b32 s0, 0
	s_cbranch_scc0 .LBB135_1106
; %bb.1105:
	global_load_i8 v1, v[6:7], off
	s_wait_loadcnt 0x0
	s_wait_xcnt 0x1
	v_cvt_f32_i32_e32 v8, v1
	s_branch .LBB135_1107
.LBB135_1106:
	s_mov_b32 s0, -1
                                        ; implicit-def: $vgpr8
.LBB135_1107:
	s_delay_alu instid0(SALU_CYCLE_1)
	s_and_not1_b32 vcc_lo, exec_lo, s0
	s_cbranch_vccnz .LBB135_1109
; %bb.1108:
	global_load_u8 v1, v[6:7], off
	s_wait_loadcnt 0x0
	s_wait_xcnt 0x1
	v_cvt_f32_ubyte0_e32 v8, v1
.LBB135_1109:
	s_wait_loadcnt 0x0
	v_mov_b32_e32 v9, 0
.LBB135_1110:
	s_mov_b32 s49, -1
.LBB135_1111:
	s_delay_alu instid0(SALU_CYCLE_1)
	s_and_not1_b32 vcc_lo, exec_lo, s49
	s_cbranch_vccnz .LBB135_1114
; %bb.1112:
	s_and_not1_b32 vcc_lo, exec_lo, s10
	s_cbranch_vccnz .LBB135_1115
; %bb.1113:
	s_wait_loadcnt 0x0
	s_delay_alu instid0(VALU_DEP_2) | instskip(NEXT) | instid1(VALU_DEP_2)
	v_cmp_neq_f32_e32 vcc_lo, v4, v8
	v_cmp_neq_f32_e64 s0, v5, v9
	s_or_b32 s48, vcc_lo, s0
	s_mov_b32 s0, 0
	s_branch .LBB135_1116
.LBB135_1114:
	s_mov_b32 s51, 0
	s_mov_b32 s0, s44
	s_branch .LBB135_1241
.LBB135_1115:
	s_mov_b32 s0, -1
                                        ; implicit-def: $sgpr48
.LBB135_1116:
	s_delay_alu instid0(SALU_CYCLE_1)
	s_and_not1_b32 vcc_lo, exec_lo, s0
	s_cbranch_vccnz .LBB135_1118
; %bb.1117:
	s_wait_loadcnt 0x0
	s_delay_alu instid0(VALU_DEP_1) | instskip(NEXT) | instid1(VALU_DEP_3)
	v_cmp_eq_f32_e32 vcc_lo, v5, v9
	v_cmp_eq_f32_e64 s0, v4, v8
	s_and_not1_b32 s48, s48, exec_lo
	s_and_b32 s0, s0, vcc_lo
	s_delay_alu instid0(SALU_CYCLE_1) | instskip(NEXT) | instid1(SALU_CYCLE_1)
	s_and_b32 s0, s0, exec_lo
	s_or_b32 s48, s48, s0
.LBB135_1118:
	v_mov_b32_e32 v3, 0
	s_and_b32 s49, s11, 0xff
	s_delay_alu instid0(SALU_CYCLE_1) | instskip(NEXT) | instid1(VALU_DEP_1)
	s_cmp_lt_i32 s49, 11
	v_add_nc_u64_e32 v[2:3], s[4:5], v[2:3]
	s_cbranch_scc1 .LBB135_1125
; %bb.1119:
	s_and_b32 s50, 0xffff, s49
	s_delay_alu instid0(SALU_CYCLE_1)
	s_cmp_gt_i32 s50, 25
	s_cbranch_scc0 .LBB135_1126
; %bb.1120:
	s_cmp_gt_i32 s50, 28
	s_cbranch_scc0 .LBB135_1127
; %bb.1121:
	;; [unrolled: 3-line block ×4, first 2 shown]
	s_mov_b32 s52, 0
	s_mov_b32 s0, -1
	s_cmp_eq_u32 s50, 46
	s_mov_b32 s51, 0
	s_cbranch_scc0 .LBB135_1130
; %bb.1124:
	v_cndmask_b32_e64 v1, 0, 1.0, s48
	s_mov_b32 s51, -1
	s_mov_b32 s0, 0
	s_wait_loadcnt 0x0
	s_delay_alu instid0(VALU_DEP_1) | instskip(NEXT) | instid1(VALU_DEP_1)
	v_bfe_u32 v4, v1, 16, 1
	v_add3_u32 v1, v1, v4, 0x7fff
	s_delay_alu instid0(VALU_DEP_1)
	v_lshrrev_b32_e32 v1, 16, v1
	global_store_b32 v[2:3], v1, off
	s_branch .LBB135_1130
.LBB135_1125:
	s_mov_b32 s50, -1
	s_mov_b32 s51, 0
	s_mov_b32 s0, s44
	s_branch .LBB135_1199
.LBB135_1126:
	s_mov_b32 s52, -1
	s_mov_b32 s51, 0
	s_mov_b32 s0, s44
	s_branch .LBB135_1157
.LBB135_1127:
	s_mov_b32 s52, -1
	s_mov_b32 s51, 0
	s_mov_b32 s0, s44
	s_branch .LBB135_1140
.LBB135_1128:
	s_mov_b32 s52, -1
	s_mov_b32 s51, 0
	s_mov_b32 s0, s44
	s_branch .LBB135_1136
.LBB135_1129:
	s_mov_b32 s52, -1
	s_mov_b32 s51, 0
	s_mov_b32 s0, s44
.LBB135_1130:
	s_and_b32 vcc_lo, exec_lo, s52
	s_cbranch_vccz .LBB135_1135
; %bb.1131:
	s_cmp_eq_u32 s50, 44
	s_mov_b32 s0, -1
	s_cbranch_scc0 .LBB135_1135
; %bb.1132:
	s_wait_loadcnt 0x0
	v_cndmask_b32_e64 v5, 0, 1.0, s48
	s_mov_b32 s51, exec_lo
	s_wait_xcnt 0x0
	s_delay_alu instid0(VALU_DEP_1) | instskip(NEXT) | instid1(VALU_DEP_1)
	v_dual_mov_b32 v4, 0xff :: v_dual_lshrrev_b32 v1, 23, v5
	v_cmpx_ne_u32_e32 0xff, v1
; %bb.1133:
	v_and_b32_e32 v4, 0x400000, v5
	v_and_or_b32 v5, 0x3fffff, v5, v1
	s_delay_alu instid0(VALU_DEP_2) | instskip(NEXT) | instid1(VALU_DEP_2)
	v_cmp_ne_u32_e32 vcc_lo, 0, v4
	v_cmp_ne_u32_e64 s0, 0, v5
	s_and_b32 s0, vcc_lo, s0
	s_delay_alu instid0(SALU_CYCLE_1) | instskip(NEXT) | instid1(VALU_DEP_1)
	v_cndmask_b32_e64 v4, 0, 1, s0
	v_add_nc_u32_e32 v4, v1, v4
; %bb.1134:
	s_or_b32 exec_lo, exec_lo, s51
	s_mov_b32 s51, -1
	s_mov_b32 s0, 0
	global_store_b8 v[2:3], v4, off
.LBB135_1135:
	s_mov_b32 s52, 0
.LBB135_1136:
	s_delay_alu instid0(SALU_CYCLE_1)
	s_and_b32 vcc_lo, exec_lo, s52
	s_cbranch_vccz .LBB135_1139
; %bb.1137:
	s_cmp_eq_u32 s50, 29
	s_mov_b32 s0, -1
	s_cbranch_scc0 .LBB135_1139
; %bb.1138:
	s_mov_b32 s0, 0
	s_wait_loadcnt 0x0
	v_cndmask_b32_e64 v4, 0, 1, s48
	v_mov_b32_e32 v5, s0
	s_mov_b32 s51, -1
	s_mov_b32 s52, 0
	global_store_b64 v[2:3], v[4:5], off
	s_branch .LBB135_1140
.LBB135_1139:
	s_mov_b32 s52, 0
.LBB135_1140:
	s_delay_alu instid0(SALU_CYCLE_1)
	s_and_b32 vcc_lo, exec_lo, s52
	s_cbranch_vccz .LBB135_1156
; %bb.1141:
	s_cmp_lt_i32 s50, 27
	s_mov_b32 s51, -1
	s_cbranch_scc1 .LBB135_1147
; %bb.1142:
	s_cmp_gt_i32 s50, 27
	s_cbranch_scc0 .LBB135_1144
; %bb.1143:
	s_wait_xcnt 0x0
	v_cndmask_b32_e64 v1, 0, 1, s48
	s_mov_b32 s51, 0
	global_store_b32 v[2:3], v1, off
.LBB135_1144:
	s_and_not1_b32 vcc_lo, exec_lo, s51
	s_cbranch_vccnz .LBB135_1146
; %bb.1145:
	s_wait_xcnt 0x0
	v_cndmask_b32_e64 v1, 0, 1, s48
	global_store_b16 v[2:3], v1, off
.LBB135_1146:
	s_mov_b32 s51, 0
.LBB135_1147:
	s_delay_alu instid0(SALU_CYCLE_1)
	s_and_not1_b32 vcc_lo, exec_lo, s51
	s_cbranch_vccnz .LBB135_1155
; %bb.1148:
	s_wait_loadcnt 0x0
	v_cndmask_b32_e64 v4, 0, 1.0, s48
	v_mov_b32_e32 v5, 0x80
	s_mov_b32 s51, exec_lo
	s_delay_alu instid0(VALU_DEP_2)
	v_cmpx_gt_u32_e32 0x43800000, v4
	s_cbranch_execz .LBB135_1154
; %bb.1149:
	s_mov_b32 s52, 0
	s_mov_b32 s53, exec_lo
                                        ; implicit-def: $vgpr1
	v_cmpx_lt_u32_e32 0x3bffffff, v4
	s_xor_b32 s53, exec_lo, s53
	s_cbranch_execz .LBB135_1269
; %bb.1150:
	v_bfe_u32 v1, v4, 20, 1
	s_mov_b32 s52, exec_lo
	s_delay_alu instid0(VALU_DEP_1) | instskip(NEXT) | instid1(VALU_DEP_1)
	v_add3_u32 v1, v4, v1, 0x487ffff
                                        ; implicit-def: $vgpr4
	v_lshrrev_b32_e32 v1, 20, v1
	s_and_not1_saveexec_b32 s53, s53
	s_cbranch_execnz .LBB135_1270
.LBB135_1151:
	s_or_b32 exec_lo, exec_lo, s53
	v_mov_b32_e32 v5, 0
	s_and_saveexec_b32 s53, s52
.LBB135_1152:
	v_mov_b32_e32 v5, v1
.LBB135_1153:
	s_or_b32 exec_lo, exec_lo, s53
.LBB135_1154:
	s_delay_alu instid0(SALU_CYCLE_1)
	s_or_b32 exec_lo, exec_lo, s51
	global_store_b8 v[2:3], v5, off
.LBB135_1155:
	s_mov_b32 s51, -1
.LBB135_1156:
	s_mov_b32 s52, 0
.LBB135_1157:
	s_delay_alu instid0(SALU_CYCLE_1)
	s_and_b32 vcc_lo, exec_lo, s52
	s_cbranch_vccz .LBB135_1198
; %bb.1158:
	s_cmp_gt_i32 s50, 22
	s_mov_b32 s52, -1
	s_cbranch_scc0 .LBB135_1190
; %bb.1159:
	s_cmp_lt_i32 s50, 24
	s_mov_b32 s51, -1
	s_cbranch_scc1 .LBB135_1179
; %bb.1160:
	s_cmp_gt_i32 s50, 24
	s_cbranch_scc0 .LBB135_1168
; %bb.1161:
	s_wait_loadcnt 0x0
	v_cndmask_b32_e64 v4, 0, 1.0, s48
	v_mov_b32_e32 v5, 0x80
	s_mov_b32 s51, exec_lo
	s_delay_alu instid0(VALU_DEP_2)
	v_cmpx_gt_u32_e32 0x47800000, v4
	s_cbranch_execz .LBB135_1167
; %bb.1162:
	s_mov_b32 s52, 0
	s_mov_b32 s53, exec_lo
                                        ; implicit-def: $vgpr1
	v_cmpx_lt_u32_e32 0x37ffffff, v4
	s_xor_b32 s53, exec_lo, s53
	s_cbranch_execz .LBB135_2388
; %bb.1163:
	v_bfe_u32 v1, v4, 21, 1
	s_mov_b32 s52, exec_lo
	s_delay_alu instid0(VALU_DEP_1) | instskip(NEXT) | instid1(VALU_DEP_1)
	v_add3_u32 v1, v4, v1, 0x88fffff
                                        ; implicit-def: $vgpr4
	v_lshrrev_b32_e32 v1, 21, v1
	s_and_not1_saveexec_b32 s53, s53
	s_cbranch_execnz .LBB135_2389
.LBB135_1164:
	s_or_b32 exec_lo, exec_lo, s53
	v_mov_b32_e32 v5, 0
	s_and_saveexec_b32 s53, s52
.LBB135_1165:
	v_mov_b32_e32 v5, v1
.LBB135_1166:
	s_or_b32 exec_lo, exec_lo, s53
.LBB135_1167:
	s_delay_alu instid0(SALU_CYCLE_1)
	s_or_b32 exec_lo, exec_lo, s51
	s_mov_b32 s51, 0
	global_store_b8 v[2:3], v5, off
.LBB135_1168:
	s_and_b32 vcc_lo, exec_lo, s51
	s_cbranch_vccz .LBB135_1178
; %bb.1169:
	s_wait_loadcnt 0x0
	v_cndmask_b32_e64 v4, 0, 1.0, s48
	s_mov_b32 s51, exec_lo
                                        ; implicit-def: $vgpr1
	s_delay_alu instid0(VALU_DEP_1)
	v_cmpx_gt_u32_e32 0x43f00000, v4
	s_xor_b32 s51, exec_lo, s51
	s_cbranch_execz .LBB135_1175
; %bb.1170:
	s_mov_b32 s52, exec_lo
                                        ; implicit-def: $vgpr1
	v_cmpx_lt_u32_e32 0x3c7fffff, v4
	s_xor_b32 s52, exec_lo, s52
; %bb.1171:
	v_bfe_u32 v1, v4, 20, 1
	s_delay_alu instid0(VALU_DEP_1) | instskip(NEXT) | instid1(VALU_DEP_1)
	v_add3_u32 v1, v4, v1, 0x407ffff
	v_and_b32_e32 v4, 0xff00000, v1
	v_lshrrev_b32_e32 v1, 20, v1
	s_delay_alu instid0(VALU_DEP_2) | instskip(NEXT) | instid1(VALU_DEP_2)
	v_cmp_ne_u32_e32 vcc_lo, 0x7f00000, v4
                                        ; implicit-def: $vgpr4
	v_cndmask_b32_e32 v1, 0x7e, v1, vcc_lo
; %bb.1172:
	s_and_not1_saveexec_b32 s52, s52
; %bb.1173:
	v_add_f32_e32 v1, 0x46800000, v4
; %bb.1174:
	s_or_b32 exec_lo, exec_lo, s52
                                        ; implicit-def: $vgpr4
.LBB135_1175:
	s_and_not1_saveexec_b32 s51, s51
; %bb.1176:
	v_mov_b32_e32 v1, 0x7f
	v_cmp_lt_u32_e32 vcc_lo, 0x7f800000, v4
	s_delay_alu instid0(VALU_DEP_2)
	v_cndmask_b32_e32 v1, 0x7e, v1, vcc_lo
; %bb.1177:
	s_or_b32 exec_lo, exec_lo, s51
	global_store_b8 v[2:3], v1, off
.LBB135_1178:
	s_mov_b32 s51, 0
.LBB135_1179:
	s_delay_alu instid0(SALU_CYCLE_1)
	s_and_not1_b32 vcc_lo, exec_lo, s51
	s_cbranch_vccnz .LBB135_1189
; %bb.1180:
	s_wait_loadcnt 0x0
	v_cndmask_b32_e64 v4, 0, 1.0, s48
	s_mov_b32 s51, exec_lo
                                        ; implicit-def: $vgpr1
	s_delay_alu instid0(VALU_DEP_1)
	v_cmpx_gt_u32_e32 0x47800000, v4
	s_xor_b32 s51, exec_lo, s51
	s_cbranch_execz .LBB135_1186
; %bb.1181:
	s_mov_b32 s52, exec_lo
                                        ; implicit-def: $vgpr1
	v_cmpx_lt_u32_e32 0x387fffff, v4
	s_xor_b32 s52, exec_lo, s52
; %bb.1182:
	v_bfe_u32 v1, v4, 21, 1
	s_delay_alu instid0(VALU_DEP_1) | instskip(NEXT) | instid1(VALU_DEP_1)
	v_add3_u32 v1, v4, v1, 0x80fffff
                                        ; implicit-def: $vgpr4
	v_lshrrev_b32_e32 v1, 21, v1
; %bb.1183:
	s_and_not1_saveexec_b32 s52, s52
; %bb.1184:
	v_add_f32_e32 v1, 0x43000000, v4
; %bb.1185:
	s_or_b32 exec_lo, exec_lo, s52
                                        ; implicit-def: $vgpr4
.LBB135_1186:
	s_and_not1_saveexec_b32 s51, s51
; %bb.1187:
	v_mov_b32_e32 v1, 0x7f
	v_cmp_lt_u32_e32 vcc_lo, 0x7f800000, v4
	s_delay_alu instid0(VALU_DEP_2)
	v_cndmask_b32_e32 v1, 0x7c, v1, vcc_lo
; %bb.1188:
	s_or_b32 exec_lo, exec_lo, s51
	global_store_b8 v[2:3], v1, off
.LBB135_1189:
	s_mov_b32 s52, 0
	s_mov_b32 s51, -1
.LBB135_1190:
	s_and_not1_b32 vcc_lo, exec_lo, s52
	s_cbranch_vccnz .LBB135_1198
; %bb.1191:
	s_cmp_gt_i32 s50, 14
	s_mov_b32 s52, -1
	s_cbranch_scc0 .LBB135_1195
; %bb.1192:
	s_cmp_eq_u32 s50, 15
	s_mov_b32 s0, -1
	s_cbranch_scc0 .LBB135_1194
; %bb.1193:
	s_wait_xcnt 0x0
	v_cndmask_b32_e64 v1, 0, 1.0, s48
	s_mov_b32 s51, -1
	s_mov_b32 s0, 0
	s_wait_loadcnt 0x0
	s_delay_alu instid0(VALU_DEP_1) | instskip(NEXT) | instid1(VALU_DEP_1)
	v_bfe_u32 v4, v1, 16, 1
	v_add3_u32 v1, v1, v4, 0x7fff
	global_store_d16_hi_b16 v[2:3], v1, off
.LBB135_1194:
	s_mov_b32 s52, 0
.LBB135_1195:
	s_delay_alu instid0(SALU_CYCLE_1)
	s_and_b32 vcc_lo, exec_lo, s52
	s_cbranch_vccz .LBB135_1198
; %bb.1196:
	s_cmp_eq_u32 s50, 11
	s_mov_b32 s0, -1
	s_cbranch_scc0 .LBB135_1198
; %bb.1197:
	s_wait_xcnt 0x0
	v_cndmask_b32_e64 v1, 0, 1, s48
	s_mov_b32 s51, -1
	s_mov_b32 s0, 0
	global_store_b8 v[2:3], v1, off
.LBB135_1198:
	s_mov_b32 s50, 0
.LBB135_1199:
	s_delay_alu instid0(SALU_CYCLE_1)
	s_and_b32 vcc_lo, exec_lo, s50
	s_cbranch_vccz .LBB135_1238
; %bb.1200:
	s_and_b32 s49, 0xffff, s49
	s_mov_b32 s50, -1
	s_cmp_lt_i32 s49, 5
	s_cbranch_scc1 .LBB135_1221
; %bb.1201:
	s_cmp_lt_i32 s49, 8
	s_cbranch_scc1 .LBB135_1211
; %bb.1202:
	;; [unrolled: 3-line block ×3, first 2 shown]
	s_cmp_gt_i32 s49, 9
	s_cbranch_scc0 .LBB135_1205
; %bb.1204:
	s_wait_xcnt 0x0
	v_cndmask_b32_e64 v1, 0, 1, s48
	v_mov_b32_e32 v6, 0
	s_mov_b32 s50, 0
	s_wait_loadcnt 0x0
	s_delay_alu instid0(VALU_DEP_2) | instskip(NEXT) | instid1(VALU_DEP_2)
	v_cvt_f64_u32_e32 v[4:5], v1
	v_mov_b32_e32 v7, v6
	global_store_b128 v[2:3], v[4:7], off
.LBB135_1205:
	s_and_not1_b32 vcc_lo, exec_lo, s50
	s_cbranch_vccnz .LBB135_1207
; %bb.1206:
	s_wait_loadcnt 0x0
	v_cndmask_b32_e64 v4, 0, 1.0, s48
	v_mov_b32_e32 v5, 0
	global_store_b64 v[2:3], v[4:5], off
.LBB135_1207:
	s_mov_b32 s50, 0
.LBB135_1208:
	s_delay_alu instid0(SALU_CYCLE_1)
	s_and_not1_b32 vcc_lo, exec_lo, s50
	s_cbranch_vccnz .LBB135_1210
; %bb.1209:
	s_wait_xcnt 0x0
	v_cndmask_b32_e64 v1, 0, 1.0, s48
	s_delay_alu instid0(VALU_DEP_1) | instskip(NEXT) | instid1(VALU_DEP_1)
	v_cvt_f16_f32_e32 v1, v1
	v_and_b32_e32 v1, 0xffff, v1
	global_store_b32 v[2:3], v1, off
.LBB135_1210:
	s_mov_b32 s50, 0
.LBB135_1211:
	s_delay_alu instid0(SALU_CYCLE_1)
	s_and_not1_b32 vcc_lo, exec_lo, s50
	s_cbranch_vccnz .LBB135_1220
; %bb.1212:
	s_cmp_lt_i32 s49, 6
	s_mov_b32 s50, -1
	s_cbranch_scc1 .LBB135_1218
; %bb.1213:
	s_cmp_gt_i32 s49, 6
	s_cbranch_scc0 .LBB135_1215
; %bb.1214:
	s_wait_xcnt 0x0
	v_cndmask_b32_e64 v1, 0, 1, s48
	s_mov_b32 s50, 0
	s_wait_loadcnt 0x0
	s_delay_alu instid0(VALU_DEP_1)
	v_cvt_f64_u32_e32 v[4:5], v1
	global_store_b64 v[2:3], v[4:5], off
.LBB135_1215:
	s_and_not1_b32 vcc_lo, exec_lo, s50
	s_cbranch_vccnz .LBB135_1217
; %bb.1216:
	s_wait_xcnt 0x0
	v_cndmask_b32_e64 v1, 0, 1.0, s48
	global_store_b32 v[2:3], v1, off
.LBB135_1217:
	s_mov_b32 s50, 0
.LBB135_1218:
	s_delay_alu instid0(SALU_CYCLE_1)
	s_and_not1_b32 vcc_lo, exec_lo, s50
	s_cbranch_vccnz .LBB135_1220
; %bb.1219:
	s_wait_xcnt 0x0
	v_cndmask_b32_e64 v1, 0, 1.0, s48
	s_delay_alu instid0(VALU_DEP_1)
	v_cvt_f16_f32_e32 v1, v1
	global_store_b16 v[2:3], v1, off
.LBB135_1220:
	s_mov_b32 s50, 0
.LBB135_1221:
	s_delay_alu instid0(SALU_CYCLE_1)
	s_and_not1_b32 vcc_lo, exec_lo, s50
	s_cbranch_vccnz .LBB135_1237
; %bb.1222:
	s_cmp_lt_i32 s49, 2
	s_mov_b32 s50, -1
	s_cbranch_scc1 .LBB135_1232
; %bb.1223:
	s_cmp_lt_i32 s49, 3
	s_cbranch_scc1 .LBB135_1229
; %bb.1224:
	s_cmp_gt_i32 s49, 3
	s_cbranch_scc0 .LBB135_1226
; %bb.1225:
	s_mov_b32 s50, 0
	s_wait_loadcnt 0x0
	v_cndmask_b32_e64 v4, 0, 1, s48
	v_mov_b32_e32 v5, s50
	global_store_b64 v[2:3], v[4:5], off
.LBB135_1226:
	s_and_not1_b32 vcc_lo, exec_lo, s50
	s_cbranch_vccnz .LBB135_1228
; %bb.1227:
	s_wait_xcnt 0x0
	v_cndmask_b32_e64 v1, 0, 1, s48
	global_store_b32 v[2:3], v1, off
.LBB135_1228:
	s_mov_b32 s50, 0
.LBB135_1229:
	s_delay_alu instid0(SALU_CYCLE_1)
	s_and_not1_b32 vcc_lo, exec_lo, s50
	s_cbranch_vccnz .LBB135_1231
; %bb.1230:
	s_wait_xcnt 0x0
	v_cndmask_b32_e64 v1, 0, 1, s48
	global_store_b16 v[2:3], v1, off
.LBB135_1231:
	s_mov_b32 s50, 0
.LBB135_1232:
	s_delay_alu instid0(SALU_CYCLE_1)
	s_and_not1_b32 vcc_lo, exec_lo, s50
	s_cbranch_vccnz .LBB135_1237
; %bb.1233:
	s_wait_xcnt 0x0
	v_cndmask_b32_e64 v1, 0, 1, s48
	s_cmp_gt_i32 s49, 0
	s_mov_b32 s48, -1
	s_cbranch_scc0 .LBB135_1235
; %bb.1234:
	s_mov_b32 s48, 0
	global_store_b8 v[2:3], v1, off
.LBB135_1235:
	s_and_not1_b32 vcc_lo, exec_lo, s48
	s_cbranch_vccnz .LBB135_1237
; %bb.1236:
	global_store_b8 v[2:3], v1, off
.LBB135_1237:
	s_mov_b32 s51, -1
.LBB135_1238:
	s_delay_alu instid0(SALU_CYCLE_1)
	s_and_not1_b32 vcc_lo, exec_lo, s51
	s_cbranch_vccnz .LBB135_1240
; %bb.1239:
	v_add_nc_u32_e32 v0, 0x80, v0
	s_mov_b32 s51, -1
	s_branch .LBB135_1242
.LBB135_1240:
	s_mov_b32 s51, 0
.LBB135_1241:
                                        ; implicit-def: $vgpr0
.LBB135_1242:
	s_and_not1_b32 s48, s44, exec_lo
	s_and_b32 s0, s0, exec_lo
	s_and_b32 s27, s27, exec_lo
	s_or_b32 s49, s48, s0
	s_and_not1_b32 s0, s45, exec_lo
	s_and_not1_b32 s48, s43, exec_lo
	s_and_b32 s26, s26, exec_lo
	s_or_b32 s50, s0, s27
	s_or_b32 s48, s48, s26
	s_or_not1_b32 s52, s51, exec_lo
.LBB135_1243:
	s_wait_xcnt 0x0
	s_or_b32 exec_lo, exec_lo, s47
	s_mov_b32 s51, 0
	s_mov_b32 s27, 0
	;; [unrolled: 1-line block ×3, first 2 shown]
                                        ; implicit-def: $sgpr0
                                        ; implicit-def: $vgpr6_vgpr7
                                        ; implicit-def: $vgpr4
                                        ; implicit-def: $vgpr2
                                        ; implicit-def: $vgpr1
	s_and_saveexec_b32 s47, s52
	s_cbranch_execz .LBB135_1341
; %bb.1244:
	v_cmp_gt_i32_e32 vcc_lo, s37, v0
	s_mov_b32 s52, s48
                                        ; implicit-def: $sgpr0
                                        ; implicit-def: $vgpr6_vgpr7
                                        ; implicit-def: $vgpr4
                                        ; implicit-def: $vgpr2
                                        ; implicit-def: $vgpr1
	s_and_saveexec_b32 s37, vcc_lo
	s_cbranch_execz .LBB135_1340
; %bb.1245:
	s_and_not1_b32 vcc_lo, exec_lo, s31
	s_cbranch_vccnz .LBB135_1251
; %bb.1246:
	s_and_not1_b32 vcc_lo, exec_lo, s38
	s_cbranch_vccnz .LBB135_1252
; %bb.1247:
	v_dual_mov_b32 v2, 0 :: v_dual_mov_b32 v1, v0
	s_wait_loadcnt 0x0
	v_dual_mov_b32 v6, 0 :: v_dual_mov_b32 v4, 0
	s_add_co_i32 s0, s36, 1
	s_mov_b64 s[26:27], 0xffffffffffffffe8
	s_and_b32 s0, s0, 30
	s_add_nc_u64 s[26:27], s[2:3], s[26:27]
.LBB135_1248:                           ; =>This Inner Loop Header: Depth=1
	s_clause 0x1
	s_load_b128 s[52:55], s[26:27], 0x1c
	s_load_b64 s[60:61], s[26:27], 0x2c
	s_add_co_i32 s0, s0, -2
	s_delay_alu instid0(SALU_CYCLE_1) | instskip(SKIP_2) | instid1(VALU_DEP_1)
	s_cmp_eq_u32 s0, 0
	s_wait_kmcnt 0x0
	v_mul_hi_u32 v3, s53, v1
	v_add_nc_u32_e32 v3, v1, v3
	s_delay_alu instid0(VALU_DEP_1) | instskip(NEXT) | instid1(VALU_DEP_1)
	v_lshrrev_b32_e32 v3, s54, v3
	v_mul_hi_u32 v5, s60, v3
	v_mul_lo_u32 v7, v3, s52
	s_clause 0x1
	s_load_b128 s[56:59], s[26:27], 0xdc
	s_load_b64 s[52:53], s[26:27], 0xec
	s_wait_xcnt 0x0
	s_add_nc_u64 s[26:27], s[26:27], 24
	s_delay_alu instid0(VALU_DEP_1) | instskip(NEXT) | instid1(VALU_DEP_1)
	v_dual_add_nc_u32 v5, v3, v5 :: v_dual_sub_nc_u32 v7, v1, v7
	v_lshrrev_b32_e32 v1, s61, v5
	s_wait_kmcnt 0x0
	s_delay_alu instid0(VALU_DEP_2) | instskip(NEXT) | instid1(VALU_DEP_2)
	v_mad_u32 v2, v7, s56, v2
	v_mul_lo_u32 v5, v1, s55
	v_mad_u32 v4, v7, s58, v4
	v_mad_u32 v6, v7, s57, v6
	s_delay_alu instid0(VALU_DEP_3) | instskip(NEXT) | instid1(VALU_DEP_1)
	v_sub_nc_u32_e32 v3, v3, v5
	v_mad_u32 v2, v3, s59, v2
	s_delay_alu instid0(VALU_DEP_4) | instskip(NEXT) | instid1(VALU_DEP_4)
	v_mad_u32 v4, v3, s53, v4
	v_mad_u32 v6, v3, s52, v6
	s_cbranch_scc0 .LBB135_1248
; %bb.1249:
	s_bitcmp1_b32 s36, 0
	s_cselect_b32 s0, -1, 0
	s_delay_alu instid0(SALU_CYCLE_1)
	s_and_b32 vcc_lo, exec_lo, s0
	s_cbranch_vccnz .LBB135_1253
; %bb.1250:
	s_clause 0x1
	s_load_b96 s[52:54], s[26:27], 0x1c
	s_load_b96 s[56:58], s[26:27], 0xdc
	s_wait_kmcnt 0x0
	v_mul_hi_u32 v3, s53, v1
	s_delay_alu instid0(VALU_DEP_1) | instskip(NEXT) | instid1(VALU_DEP_1)
	v_add_nc_u32_e32 v3, v1, v3
	v_lshrrev_b32_e32 v3, s54, v3
	s_delay_alu instid0(VALU_DEP_1) | instskip(NEXT) | instid1(VALU_DEP_1)
	v_mul_lo_u32 v3, v3, s52
	v_sub_nc_u32_e32 v1, v1, v3
	s_delay_alu instid0(VALU_DEP_1)
	v_mad_u32 v2, v1, s56, v2
	v_mad_u32 v6, v1, s57, v6
	;; [unrolled: 1-line block ×3, first 2 shown]
	s_branch .LBB135_1253
.LBB135_1251:
	s_mov_b32 s0, -1
                                        ; implicit-def: $vgpr4
                                        ; implicit-def: $vgpr6
                                        ; implicit-def: $vgpr2
	s_branch .LBB135_1254
.LBB135_1252:
	s_wait_loadcnt 0x0
	v_dual_mov_b32 v4, 0 :: v_dual_mov_b32 v6, 0
	v_mov_b32_e32 v2, 0
.LBB135_1253:
	s_mov_b32 s0, 0
.LBB135_1254:
	s_delay_alu instid0(SALU_CYCLE_1)
	s_and_not1_b32 vcc_lo, exec_lo, s0
	s_cbranch_vccnz .LBB135_1257
; %bb.1255:
	v_mov_b32_e32 v1, 0
	s_and_not1_b32 vcc_lo, exec_lo, s35
	s_delay_alu instid0(VALU_DEP_1) | instskip(NEXT) | instid1(VALU_DEP_1)
	v_mul_u64_e32 v[2:3], s[20:21], v[0:1]
	v_add_nc_u32_e32 v2, v0, v3
	s_wait_loadcnt 0x0
	s_delay_alu instid0(VALU_DEP_1) | instskip(NEXT) | instid1(VALU_DEP_1)
	v_lshrrev_b32_e32 v8, s14, v2
	v_mul_lo_u32 v2, v8, s12
	s_delay_alu instid0(VALU_DEP_1) | instskip(NEXT) | instid1(VALU_DEP_1)
	v_sub_nc_u32_e32 v0, v0, v2
	v_mul_lo_u32 v2, v0, s16
	v_mul_lo_u32 v4, v0, s18
	;; [unrolled: 1-line block ×3, first 2 shown]
	s_cbranch_vccnz .LBB135_1257
; %bb.1256:
	v_mov_b32_e32 v9, v1
	s_delay_alu instid0(VALU_DEP_1) | instskip(NEXT) | instid1(VALU_DEP_1)
	v_mul_u64_e32 v[0:1], s[24:25], v[8:9]
	v_add_nc_u32_e32 v0, v8, v1
	s_delay_alu instid0(VALU_DEP_1) | instskip(NEXT) | instid1(VALU_DEP_1)
	v_lshrrev_b32_e32 v0, s1, v0
	v_mul_lo_u32 v0, v0, s15
	s_delay_alu instid0(VALU_DEP_1) | instskip(NEXT) | instid1(VALU_DEP_1)
	v_sub_nc_u32_e32 v0, v8, v0
	v_mad_u32 v2, v0, s19, v2
	v_mad_u32 v6, v0, s22, v6
	;; [unrolled: 1-line block ×3, first 2 shown]
.LBB135_1257:
	v_mov_b32_e32 v7, 0
	s_and_b32 s0, s34, 0xff
	s_delay_alu instid0(SALU_CYCLE_1) | instskip(NEXT) | instid1(VALU_DEP_1)
	s_cmp_lt_i32 s0, 11
	v_add_nc_u64_e32 v[6:7], s[6:7], v[6:7]
	s_cbranch_scc1 .LBB135_1264
; %bb.1258:
	s_and_b32 s1, 0xffff, s0
	s_mov_b32 s7, 0
	s_cmp_gt_i32 s1, 25
	s_cbranch_scc0 .LBB135_1265
; %bb.1259:
	s_cmp_gt_i32 s1, 28
	s_cbranch_scc0 .LBB135_1266
; %bb.1260:
	;; [unrolled: 3-line block ×4, first 2 shown]
	s_cmp_eq_u32 s1, 46
	s_mov_b32 s14, 0
	s_cbranch_scc0 .LBB135_1271
; %bb.1263:
	global_load_b32 v0, v[6:7], off
	s_mov_b32 s6, 0
	s_mov_b32 s12, -1
	s_wait_loadcnt 0x0
	v_and_b32_e32 v1, 0xffff0000, v0
	v_lshlrev_b32_e32 v0, 16, v0
	s_branch .LBB135_1273
.LBB135_1264:
	s_mov_b32 s1, -1
	s_mov_b32 s12, 0
	s_mov_b32 s7, 0
	;; [unrolled: 1-line block ×3, first 2 shown]
                                        ; implicit-def: $vgpr1
	s_branch .LBB135_1339
.LBB135_1265:
	s_mov_b32 s14, -1
	s_mov_b32 s12, 0
	s_mov_b32 s6, s48
                                        ; implicit-def: $vgpr1
	s_branch .LBB135_1304
.LBB135_1266:
	s_mov_b32 s14, -1
	s_mov_b32 s12, 0
	s_mov_b32 s6, s48
                                        ; implicit-def: $vgpr1
	s_branch .LBB135_1285
.LBB135_1267:
	s_mov_b32 s14, -1
	s_mov_b32 s12, 0
	s_mov_b32 s6, s48
                                        ; implicit-def: $vgpr1
	s_branch .LBB135_1279
.LBB135_1268:
	s_mov_b32 s14, -1
	s_mov_b32 s12, 0
	s_mov_b32 s6, s48
	s_branch .LBB135_1272
.LBB135_1269:
	s_and_not1_saveexec_b32 s53, s53
	s_cbranch_execz .LBB135_1151
.LBB135_1270:
	v_add_f32_e32 v1, 0x46000000, v4
	s_and_not1_b32 s52, s52, exec_lo
	s_delay_alu instid0(VALU_DEP_1) | instskip(NEXT) | instid1(VALU_DEP_1)
	v_and_b32_e32 v1, 0xff, v1
	v_cmp_ne_u32_e32 vcc_lo, 0, v1
	s_and_b32 s54, vcc_lo, exec_lo
	s_delay_alu instid0(SALU_CYCLE_1)
	s_or_b32 s52, s52, s54
	s_or_b32 exec_lo, exec_lo, s53
	v_mov_b32_e32 v5, 0
	s_and_saveexec_b32 s53, s52
	s_cbranch_execnz .LBB135_1152
	s_branch .LBB135_1153
.LBB135_1271:
	s_mov_b32 s6, -1
	s_mov_b32 s12, 0
.LBB135_1272:
                                        ; implicit-def: $vgpr1
.LBB135_1273:
	s_and_b32 vcc_lo, exec_lo, s14
	s_cbranch_vccz .LBB135_1278
; %bb.1274:
	s_cmp_eq_u32 s1, 44
	s_cbranch_scc0 .LBB135_1276
; %bb.1275:
	global_load_u8 v0, v[6:7], off
	s_mov_b32 s6, 0
	s_mov_b32 s12, -1
	s_wait_loadcnt 0x0
	v_lshlrev_b32_e32 v1, 23, v0
	v_cmp_ne_u32_e32 vcc_lo, 0xff, v0
	s_delay_alu instid0(VALU_DEP_2) | instskip(SKIP_1) | instid1(VALU_DEP_2)
	v_cndmask_b32_e32 v1, 0x7f800001, v1, vcc_lo
	v_cmp_ne_u32_e32 vcc_lo, 0, v0
	v_cndmask_b32_e32 v0, 0x400000, v1, vcc_lo
	s_branch .LBB135_1277
.LBB135_1276:
	s_mov_b32 s6, -1
                                        ; implicit-def: $vgpr0
.LBB135_1277:
	v_mov_b32_e32 v1, 0
.LBB135_1278:
	s_mov_b32 s14, 0
.LBB135_1279:
	s_delay_alu instid0(SALU_CYCLE_1)
	s_and_b32 vcc_lo, exec_lo, s14
	s_cbranch_vccz .LBB135_1284
; %bb.1280:
	s_cmp_eq_u32 s1, 29
	s_cbranch_scc0 .LBB135_1282
; %bb.1281:
	global_load_b64 v[0:1], v[6:7], off
	s_mov_b32 s6, 0
	s_mov_b32 s12, -1
	s_wait_loadcnt 0x0
	v_clz_i32_u32_e32 v3, v1
	s_delay_alu instid0(VALU_DEP_1) | instskip(NEXT) | instid1(VALU_DEP_1)
	v_min_u32_e32 v3, 32, v3
	v_lshlrev_b64_e32 v[0:1], v3, v[0:1]
	s_delay_alu instid0(VALU_DEP_1) | instskip(NEXT) | instid1(VALU_DEP_1)
	v_min_u32_e32 v0, 1, v0
	v_dual_sub_nc_u32 v1, 32, v3 :: v_dual_bitop2_b32 v0, v1, v0 bitop3:0x54
	s_delay_alu instid0(VALU_DEP_1) | instskip(NEXT) | instid1(VALU_DEP_1)
	v_cvt_f32_u32_e32 v0, v0
	v_ldexp_f32 v0, v0, v1
	s_branch .LBB135_1283
.LBB135_1282:
	s_mov_b32 s6, -1
                                        ; implicit-def: $vgpr0
.LBB135_1283:
	v_mov_b32_e32 v1, 0
.LBB135_1284:
	s_mov_b32 s14, 0
.LBB135_1285:
	s_delay_alu instid0(SALU_CYCLE_1)
	s_and_b32 vcc_lo, exec_lo, s14
	s_cbranch_vccz .LBB135_1303
; %bb.1286:
	s_cmp_lt_i32 s1, 27
	s_cbranch_scc1 .LBB135_1289
; %bb.1287:
	s_cmp_gt_i32 s1, 27
	s_cbranch_scc0 .LBB135_1290
; %bb.1288:
	global_load_b32 v0, v[6:7], off
	s_mov_b32 s12, 0
	s_wait_loadcnt 0x0
	v_cvt_f32_u32_e32 v0, v0
	s_branch .LBB135_1291
.LBB135_1289:
	s_mov_b32 s12, -1
                                        ; implicit-def: $vgpr0
	s_branch .LBB135_1294
.LBB135_1290:
	s_mov_b32 s12, -1
                                        ; implicit-def: $vgpr0
.LBB135_1291:
	s_delay_alu instid0(SALU_CYCLE_1)
	s_and_not1_b32 vcc_lo, exec_lo, s12
	s_cbranch_vccnz .LBB135_1293
; %bb.1292:
	global_load_u16 v0, v[6:7], off
	s_wait_loadcnt 0x0
	v_cvt_f32_u32_e32 v0, v0
.LBB135_1293:
	s_mov_b32 s12, 0
.LBB135_1294:
	s_delay_alu instid0(SALU_CYCLE_1)
	s_and_not1_b32 vcc_lo, exec_lo, s12
	s_cbranch_vccnz .LBB135_1302
; %bb.1295:
	global_load_u8 v1, v[6:7], off
	s_mov_b32 s12, 0
	s_mov_b32 s14, exec_lo
	s_wait_loadcnt 0x0
	v_cmpx_lt_i16_e32 0x7f, v1
	s_xor_b32 s14, exec_lo, s14
	s_cbranch_execz .LBB135_1316
; %bb.1296:
	s_mov_b32 s12, -1
	s_mov_b32 s15, exec_lo
	v_cmpx_eq_u16_e32 0x80, v1
; %bb.1297:
	s_xor_b32 s12, exec_lo, -1
; %bb.1298:
	s_or_b32 exec_lo, exec_lo, s15
	s_delay_alu instid0(SALU_CYCLE_1)
	s_and_b32 s12, s12, exec_lo
	s_or_saveexec_b32 s14, s14
	v_mov_b32_e32 v0, 0x7f800001
	s_xor_b32 exec_lo, exec_lo, s14
	s_cbranch_execnz .LBB135_1317
.LBB135_1299:
	s_or_b32 exec_lo, exec_lo, s14
	s_and_saveexec_b32 s14, s12
	s_cbranch_execz .LBB135_1301
.LBB135_1300:
	v_and_b32_e32 v0, 0xffff, v1
	s_delay_alu instid0(VALU_DEP_1) | instskip(SKIP_1) | instid1(VALU_DEP_2)
	v_and_b32_e32 v3, 7, v0
	v_bfe_u32 v9, v0, 3, 4
	v_clz_i32_u32_e32 v5, v3
	s_delay_alu instid0(VALU_DEP_2) | instskip(NEXT) | instid1(VALU_DEP_2)
	v_cmp_eq_u32_e32 vcc_lo, 0, v9
	v_min_u32_e32 v5, 32, v5
	s_delay_alu instid0(VALU_DEP_1) | instskip(NEXT) | instid1(VALU_DEP_1)
	v_subrev_nc_u32_e32 v8, 28, v5
	v_dual_lshlrev_b32 v0, v8, v0 :: v_dual_sub_nc_u32 v5, 29, v5
	s_delay_alu instid0(VALU_DEP_1) | instskip(NEXT) | instid1(VALU_DEP_1)
	v_dual_lshlrev_b32 v1, 24, v1 :: v_dual_bitop2_b32 v0, 7, v0 bitop3:0x40
	v_dual_cndmask_b32 v0, v3, v0 :: v_dual_cndmask_b32 v5, v9, v5
	s_delay_alu instid0(VALU_DEP_2) | instskip(NEXT) | instid1(VALU_DEP_2)
	v_and_b32_e32 v1, 0x80000000, v1
	v_lshlrev_b32_e32 v0, 20, v0
	s_delay_alu instid0(VALU_DEP_3) | instskip(NEXT) | instid1(VALU_DEP_1)
	v_lshl_add_u32 v3, v5, 23, 0x3b800000
	v_or3_b32 v0, v1, v3, v0
.LBB135_1301:
	s_or_b32 exec_lo, exec_lo, s14
.LBB135_1302:
	v_mov_b32_e32 v1, 0
	s_mov_b32 s12, -1
.LBB135_1303:
	s_mov_b32 s14, 0
.LBB135_1304:
	s_delay_alu instid0(SALU_CYCLE_1)
	s_and_b32 vcc_lo, exec_lo, s14
	s_cbranch_vccz .LBB135_1338
; %bb.1305:
	s_cmp_gt_i32 s1, 22
	s_cbranch_scc0 .LBB135_1315
; %bb.1306:
	s_cmp_lt_i32 s1, 24
	s_cbranch_scc1 .LBB135_1318
; %bb.1307:
	s_cmp_gt_i32 s1, 24
	s_cbranch_scc0 .LBB135_1319
; %bb.1308:
	global_load_u8 v1, v[6:7], off
	s_mov_b32 s12, exec_lo
	s_wait_loadcnt 0x0
	v_cmpx_lt_i16_e32 0x7f, v1
	s_xor_b32 s12, exec_lo, s12
	s_cbranch_execz .LBB135_1331
; %bb.1309:
	s_mov_b32 s7, -1
	s_mov_b32 s14, exec_lo
	v_cmpx_eq_u16_e32 0x80, v1
; %bb.1310:
	s_xor_b32 s7, exec_lo, -1
; %bb.1311:
	s_or_b32 exec_lo, exec_lo, s14
	s_delay_alu instid0(SALU_CYCLE_1)
	s_and_b32 s7, s7, exec_lo
	s_or_saveexec_b32 s12, s12
	v_mov_b32_e32 v0, 0x7f800001
	s_xor_b32 exec_lo, exec_lo, s12
	s_cbranch_execnz .LBB135_1332
.LBB135_1312:
	s_or_b32 exec_lo, exec_lo, s12
	s_and_saveexec_b32 s12, s7
	s_cbranch_execz .LBB135_1314
.LBB135_1313:
	v_and_b32_e32 v0, 0xffff, v1
	s_delay_alu instid0(VALU_DEP_1) | instskip(SKIP_1) | instid1(VALU_DEP_2)
	v_and_b32_e32 v3, 3, v0
	v_bfe_u32 v9, v0, 2, 5
	v_clz_i32_u32_e32 v5, v3
	s_delay_alu instid0(VALU_DEP_2) | instskip(NEXT) | instid1(VALU_DEP_2)
	v_cmp_eq_u32_e32 vcc_lo, 0, v9
	v_min_u32_e32 v5, 32, v5
	s_delay_alu instid0(VALU_DEP_1) | instskip(NEXT) | instid1(VALU_DEP_1)
	v_subrev_nc_u32_e32 v8, 29, v5
	v_dual_lshlrev_b32 v0, v8, v0 :: v_dual_sub_nc_u32 v5, 30, v5
	s_delay_alu instid0(VALU_DEP_1) | instskip(NEXT) | instid1(VALU_DEP_1)
	v_dual_lshlrev_b32 v1, 24, v1 :: v_dual_bitop2_b32 v0, 3, v0 bitop3:0x40
	v_dual_cndmask_b32 v0, v3, v0 :: v_dual_cndmask_b32 v5, v9, v5
	s_delay_alu instid0(VALU_DEP_2) | instskip(NEXT) | instid1(VALU_DEP_2)
	v_and_b32_e32 v1, 0x80000000, v1
	v_lshlrev_b32_e32 v0, 21, v0
	s_delay_alu instid0(VALU_DEP_3) | instskip(NEXT) | instid1(VALU_DEP_1)
	v_lshl_add_u32 v3, v5, 23, 0x37800000
	v_or3_b32 v0, v1, v3, v0
.LBB135_1314:
	s_or_b32 exec_lo, exec_lo, s12
	s_mov_b32 s7, 0
	s_branch .LBB135_1320
.LBB135_1315:
	s_mov_b32 s7, -1
                                        ; implicit-def: $vgpr0
	s_branch .LBB135_1326
.LBB135_1316:
	s_or_saveexec_b32 s14, s14
	v_mov_b32_e32 v0, 0x7f800001
	s_xor_b32 exec_lo, exec_lo, s14
	s_cbranch_execz .LBB135_1299
.LBB135_1317:
	v_cmp_ne_u16_e32 vcc_lo, 0, v1
	v_mov_b32_e32 v0, 0
	s_and_not1_b32 s12, s12, exec_lo
	s_and_b32 s15, vcc_lo, exec_lo
	s_delay_alu instid0(SALU_CYCLE_1)
	s_or_b32 s12, s12, s15
	s_or_b32 exec_lo, exec_lo, s14
	s_and_saveexec_b32 s14, s12
	s_cbranch_execnz .LBB135_1300
	s_branch .LBB135_1301
.LBB135_1318:
	s_mov_b32 s7, -1
                                        ; implicit-def: $vgpr0
	s_branch .LBB135_1323
.LBB135_1319:
	s_mov_b32 s7, -1
                                        ; implicit-def: $vgpr0
.LBB135_1320:
	s_delay_alu instid0(SALU_CYCLE_1)
	s_and_b32 vcc_lo, exec_lo, s7
	s_cbranch_vccz .LBB135_1322
; %bb.1321:
	global_load_u8 v0, v[6:7], off
	s_wait_loadcnt 0x0
	v_lshlrev_b32_e32 v0, 24, v0
	s_delay_alu instid0(VALU_DEP_1) | instskip(NEXT) | instid1(VALU_DEP_1)
	v_and_b32_e32 v1, 0x7f000000, v0
	v_clz_i32_u32_e32 v3, v1
	v_cmp_ne_u32_e32 vcc_lo, 0, v1
	v_add_nc_u32_e32 v8, 0x1000000, v1
	s_delay_alu instid0(VALU_DEP_3) | instskip(NEXT) | instid1(VALU_DEP_1)
	v_min_u32_e32 v3, 32, v3
	v_sub_nc_u32_e64 v3, v3, 4 clamp
	s_delay_alu instid0(VALU_DEP_1) | instskip(NEXT) | instid1(VALU_DEP_1)
	v_dual_lshlrev_b32 v5, v3, v1 :: v_dual_lshlrev_b32 v3, 23, v3
	v_lshrrev_b32_e32 v5, 4, v5
	s_delay_alu instid0(VALU_DEP_1) | instskip(NEXT) | instid1(VALU_DEP_1)
	v_dual_sub_nc_u32 v3, v5, v3 :: v_dual_ashrrev_i32 v5, 8, v8
	v_add_nc_u32_e32 v3, 0x3c000000, v3
	s_delay_alu instid0(VALU_DEP_1) | instskip(NEXT) | instid1(VALU_DEP_1)
	v_and_or_b32 v3, 0x7f800000, v5, v3
	v_cndmask_b32_e32 v1, 0, v3, vcc_lo
	s_delay_alu instid0(VALU_DEP_1)
	v_and_or_b32 v0, 0x80000000, v0, v1
.LBB135_1322:
	s_mov_b32 s7, 0
.LBB135_1323:
	s_delay_alu instid0(SALU_CYCLE_1)
	s_and_not1_b32 vcc_lo, exec_lo, s7
	s_cbranch_vccnz .LBB135_1325
; %bb.1324:
	global_load_u8 v0, v[6:7], off
	s_wait_loadcnt 0x0
	v_lshlrev_b32_e32 v1, 25, v0
	v_lshlrev_b16 v0, 8, v0
	s_delay_alu instid0(VALU_DEP_1) | instskip(SKIP_1) | instid1(VALU_DEP_2)
	v_and_or_b32 v5, 0x7f00, v0, 0.5
	v_bfe_i32 v0, v0, 0, 16
	v_add_f32_e32 v5, -0.5, v5
	v_lshrrev_b32_e32 v3, 4, v1
	v_cmp_gt_u32_e32 vcc_lo, 0x8000000, v1
	s_delay_alu instid0(VALU_DEP_2) | instskip(NEXT) | instid1(VALU_DEP_1)
	v_or_b32_e32 v3, 0x70000000, v3
	v_mul_f32_e32 v3, 0x7800000, v3
	s_delay_alu instid0(VALU_DEP_1) | instskip(NEXT) | instid1(VALU_DEP_1)
	v_cndmask_b32_e32 v1, v3, v5, vcc_lo
	v_and_or_b32 v0, 0x80000000, v0, v1
.LBB135_1325:
	s_mov_b32 s7, 0
	s_mov_b32 s12, -1
.LBB135_1326:
	s_and_not1_b32 vcc_lo, exec_lo, s7
	s_mov_b32 s7, 0
	s_cbranch_vccnz .LBB135_1337
; %bb.1327:
	s_cmp_gt_i32 s1, 14
	s_cbranch_scc0 .LBB135_1330
; %bb.1328:
	s_cmp_eq_u32 s1, 15
	s_cbranch_scc0 .LBB135_1333
; %bb.1329:
	global_load_u16 v0, v[6:7], off
	s_mov_b32 s6, 0
	s_mov_b32 s12, -1
	s_wait_loadcnt 0x0
	v_lshlrev_b32_e32 v0, 16, v0
	s_branch .LBB135_1335
.LBB135_1330:
	s_mov_b32 s7, -1
	s_branch .LBB135_1334
.LBB135_1331:
	s_or_saveexec_b32 s12, s12
	v_mov_b32_e32 v0, 0x7f800001
	s_xor_b32 exec_lo, exec_lo, s12
	s_cbranch_execz .LBB135_1312
.LBB135_1332:
	v_cmp_ne_u16_e32 vcc_lo, 0, v1
	v_mov_b32_e32 v0, 0
	s_and_not1_b32 s7, s7, exec_lo
	s_and_b32 s14, vcc_lo, exec_lo
	s_delay_alu instid0(SALU_CYCLE_1)
	s_or_b32 s7, s7, s14
	s_or_b32 exec_lo, exec_lo, s12
	s_and_saveexec_b32 s12, s7
	s_cbranch_execnz .LBB135_1313
	s_branch .LBB135_1314
.LBB135_1333:
	s_mov_b32 s6, -1
.LBB135_1334:
                                        ; implicit-def: $vgpr0
.LBB135_1335:
	s_and_b32 vcc_lo, exec_lo, s7
	s_mov_b32 s7, 0
	s_cbranch_vccz .LBB135_1337
; %bb.1336:
	s_cmp_lg_u32 s1, 11
	s_mov_b32 s7, -1
	s_cselect_b32 s1, -1, 0
	s_and_not1_b32 s6, s6, exec_lo
	s_and_b32 s1, s1, exec_lo
	s_delay_alu instid0(SALU_CYCLE_1)
	s_or_b32 s6, s6, s1
.LBB135_1337:
	v_mov_b32_e32 v1, 0
.LBB135_1338:
	s_mov_b32 s1, 0
.LBB135_1339:
	s_delay_alu instid0(SALU_CYCLE_1)
	s_and_b32 s27, s1, exec_lo
	s_and_not1_b32 s1, s48, exec_lo
	s_and_b32 s6, s6, exec_lo
	s_and_b32 s26, s12, exec_lo
	;; [unrolled: 1-line block ×3, first 2 shown]
	s_or_b32 s52, s1, s6
.LBB135_1340:
	s_wait_xcnt 0x0
	s_or_b32 exec_lo, exec_lo, s37
	s_delay_alu instid0(SALU_CYCLE_1)
	s_and_not1_b32 s1, s48, exec_lo
	s_and_b32 s6, s52, exec_lo
	s_and_b32 s26, s26, exec_lo
	;; [unrolled: 1-line block ×4, first 2 shown]
	s_or_b32 s48, s1, s6
.LBB135_1341:
	s_or_b32 exec_lo, exec_lo, s47
	s_delay_alu instid0(SALU_CYCLE_1)
	s_and_not1_b32 s1, s44, exec_lo
	s_and_b32 s6, s49, exec_lo
	s_and_not1_b32 s7, s45, exec_lo
	s_and_b32 s12, s50, exec_lo
	s_or_b32 s44, s1, s6
	s_and_not1_b32 s1, s43, exec_lo
	s_and_b32 s6, s48, exec_lo
	s_or_b32 s45, s7, s12
	s_and_b32 s26, s26, exec_lo
	s_and_b32 s27, s27, exec_lo
	;; [unrolled: 1-line block ×3, first 2 shown]
	s_or_b32 s43, s1, s6
.LBB135_1342:
	s_or_b32 exec_lo, exec_lo, s46
	s_delay_alu instid0(SALU_CYCLE_1)
	s_and_not1_b32 s1, s39, exec_lo
	s_and_b32 s6, s44, exec_lo
	s_and_not1_b32 s7, s40, exec_lo
	s_and_b32 s12, s45, exec_lo
	s_or_b32 s39, s1, s6
	s_and_not1_b32 s1, s41, exec_lo
	s_and_b32 s6, s43, exec_lo
	s_or_b32 s40, s7, s12
	s_and_b32 s26, s26, exec_lo
	s_and_b32 s27, s27, exec_lo
	;; [unrolled: 1-line block ×3, first 2 shown]
	s_or_b32 s41, s1, s6
	s_or_b32 exec_lo, exec_lo, s42
	s_mov_b32 s1, 0
	s_and_saveexec_b32 s6, s41
	s_cbranch_execz .LBB135_415
.LBB135_1343:
	s_mov_b32 s1, exec_lo
	s_and_not1_b32 s21, s21, exec_lo
	s_trap 2
	s_or_b32 exec_lo, exec_lo, s6
	s_and_saveexec_b32 s6, s21
	s_delay_alu instid0(SALU_CYCLE_1)
	s_xor_b32 s6, exec_lo, s6
	s_cbranch_execnz .LBB135_416
.LBB135_1344:
	s_or_b32 exec_lo, exec_lo, s6
	s_and_saveexec_b32 s6, s27
	s_cbranch_execz .LBB135_1392
.LBB135_1345:
	s_sext_i32_i16 s7, s0
	s_delay_alu instid0(SALU_CYCLE_1)
	s_cmp_lt_i32 s7, 5
	s_cbranch_scc1 .LBB135_1350
; %bb.1346:
	s_cmp_lt_i32 s7, 8
	s_cbranch_scc1 .LBB135_1351
; %bb.1347:
	;; [unrolled: 3-line block ×3, first 2 shown]
	s_cmp_gt_i32 s7, 9
	s_cbranch_scc0 .LBB135_1353
; %bb.1349:
	s_wait_loadcnt 0x0
	global_load_b128 v[8:11], v[6:7], off
	s_mov_b32 s7, 0
	s_wait_loadcnt 0x0
	v_cvt_f32_f64_e32 v0, v[8:9]
	v_cvt_f32_f64_e32 v1, v[10:11]
	s_branch .LBB135_1354
.LBB135_1350:
                                        ; implicit-def: $vgpr1
	s_branch .LBB135_1372
.LBB135_1351:
                                        ; implicit-def: $vgpr1
	s_branch .LBB135_1360
.LBB135_1352:
	s_mov_b32 s7, -1
                                        ; implicit-def: $vgpr1
	s_branch .LBB135_1357
.LBB135_1353:
	s_mov_b32 s7, -1
                                        ; implicit-def: $vgpr1
.LBB135_1354:
	s_delay_alu instid0(SALU_CYCLE_1)
	s_and_not1_b32 vcc_lo, exec_lo, s7
	s_cbranch_vccnz .LBB135_1356
; %bb.1355:
	global_load_b64 v[0:1], v[6:7], off
.LBB135_1356:
	s_mov_b32 s7, 0
.LBB135_1357:
	s_delay_alu instid0(SALU_CYCLE_1)
	s_and_not1_b32 vcc_lo, exec_lo, s7
	s_cbranch_vccnz .LBB135_1359
; %bb.1358:
	s_wait_loadcnt 0x0
	global_load_b32 v0, v[6:7], off
	s_wait_loadcnt 0x0
	v_lshrrev_b32_e32 v1, 16, v0
	v_cvt_f32_f16_e32 v0, v0
	s_delay_alu instid0(VALU_DEP_2)
	v_cvt_f32_f16_e32 v1, v1
.LBB135_1359:
	s_cbranch_execnz .LBB135_1371
.LBB135_1360:
	s_sext_i32_i16 s7, s0
	s_delay_alu instid0(SALU_CYCLE_1)
	s_cmp_lt_i32 s7, 6
	s_cbranch_scc1 .LBB135_1363
; %bb.1361:
	s_cmp_gt_i32 s7, 6
	s_cbranch_scc0 .LBB135_1364
; %bb.1362:
	s_wait_loadcnt 0x0
	global_load_b64 v[0:1], v[6:7], off
	s_mov_b32 s7, 0
	s_wait_loadcnt 0x0
	v_cvt_f32_f64_e32 v0, v[0:1]
	s_branch .LBB135_1365
.LBB135_1363:
	s_mov_b32 s7, -1
                                        ; implicit-def: $vgpr0
	s_branch .LBB135_1368
.LBB135_1364:
	s_mov_b32 s7, -1
                                        ; implicit-def: $vgpr0
.LBB135_1365:
	s_delay_alu instid0(SALU_CYCLE_1)
	s_and_not1_b32 vcc_lo, exec_lo, s7
	s_cbranch_vccnz .LBB135_1367
; %bb.1366:
	s_wait_loadcnt 0x0
	global_load_b32 v0, v[6:7], off
.LBB135_1367:
	s_mov_b32 s7, 0
.LBB135_1368:
	s_delay_alu instid0(SALU_CYCLE_1)
	s_and_not1_b32 vcc_lo, exec_lo, s7
	s_cbranch_vccnz .LBB135_1370
; %bb.1369:
	s_wait_loadcnt 0x0
	global_load_u16 v0, v[6:7], off
	s_wait_loadcnt 0x0
	v_cvt_f32_f16_e32 v0, v0
.LBB135_1370:
	s_wait_loadcnt 0x0
	v_mov_b32_e32 v1, 0
.LBB135_1371:
	s_cbranch_execnz .LBB135_1391
.LBB135_1372:
	s_sext_i32_i16 s7, s0
	s_delay_alu instid0(SALU_CYCLE_1)
	s_cmp_lt_i32 s7, 2
	s_cbranch_scc1 .LBB135_1376
; %bb.1373:
	s_cmp_lt_i32 s7, 3
	s_cbranch_scc1 .LBB135_1377
; %bb.1374:
	s_cmp_gt_i32 s7, 3
	s_cbranch_scc0 .LBB135_1378
; %bb.1375:
	s_wait_loadcnt 0x0
	global_load_b64 v[0:1], v[6:7], off
	s_mov_b32 s7, 0
	s_wait_loadcnt 0x0
	v_xor_b32_e32 v3, v0, v1
	v_cls_i32_e32 v5, v1
	s_delay_alu instid0(VALU_DEP_2) | instskip(NEXT) | instid1(VALU_DEP_1)
	v_ashrrev_i32_e32 v3, 31, v3
	v_add_nc_u32_e32 v3, 32, v3
	s_delay_alu instid0(VALU_DEP_1) | instskip(NEXT) | instid1(VALU_DEP_1)
	v_add_min_u32_e64 v3, v5, -1, v3
	v_lshlrev_b64_e32 v[0:1], v3, v[0:1]
	s_delay_alu instid0(VALU_DEP_1) | instskip(NEXT) | instid1(VALU_DEP_1)
	v_min_u32_e32 v0, 1, v0
	v_dual_sub_nc_u32 v1, 32, v3 :: v_dual_bitop2_b32 v0, v1, v0 bitop3:0x54
	s_delay_alu instid0(VALU_DEP_1) | instskip(NEXT) | instid1(VALU_DEP_1)
	v_cvt_f32_i32_e32 v0, v0
	v_ldexp_f32 v0, v0, v1
	s_branch .LBB135_1379
.LBB135_1376:
                                        ; implicit-def: $vgpr0
	s_branch .LBB135_1385
.LBB135_1377:
	s_mov_b32 s7, -1
                                        ; implicit-def: $vgpr0
	s_branch .LBB135_1382
.LBB135_1378:
	s_mov_b32 s7, -1
                                        ; implicit-def: $vgpr0
.LBB135_1379:
	s_delay_alu instid0(SALU_CYCLE_1)
	s_and_not1_b32 vcc_lo, exec_lo, s7
	s_cbranch_vccnz .LBB135_1381
; %bb.1380:
	s_wait_loadcnt 0x0
	global_load_b32 v0, v[6:7], off
	s_wait_loadcnt 0x0
	v_cvt_f32_i32_e32 v0, v0
.LBB135_1381:
	s_mov_b32 s7, 0
.LBB135_1382:
	s_delay_alu instid0(SALU_CYCLE_1)
	s_and_not1_b32 vcc_lo, exec_lo, s7
	s_cbranch_vccnz .LBB135_1384
; %bb.1383:
	s_wait_loadcnt 0x0
	global_load_i16 v0, v[6:7], off
	s_wait_loadcnt 0x0
	v_cvt_f32_i32_e32 v0, v0
.LBB135_1384:
	s_cbranch_execnz .LBB135_1390
.LBB135_1385:
	s_sext_i32_i16 s0, s0
	s_delay_alu instid0(SALU_CYCLE_1)
	s_cmp_gt_i32 s0, 0
	s_mov_b32 s0, 0
	s_cbranch_scc0 .LBB135_1387
; %bb.1386:
	s_wait_loadcnt 0x0
	global_load_i8 v0, v[6:7], off
	s_wait_loadcnt 0x0
	v_cvt_f32_i32_e32 v0, v0
	s_branch .LBB135_1388
.LBB135_1387:
	s_mov_b32 s0, -1
                                        ; implicit-def: $vgpr0
.LBB135_1388:
	s_delay_alu instid0(SALU_CYCLE_1)
	s_and_not1_b32 vcc_lo, exec_lo, s0
	s_cbranch_vccnz .LBB135_1390
; %bb.1389:
	s_wait_loadcnt 0x0
	global_load_u8 v0, v[6:7], off
	s_wait_loadcnt 0x0
	v_cvt_f32_ubyte0_e32 v0, v0
.LBB135_1390:
	s_wait_loadcnt 0x0
	v_mov_b32_e32 v1, 0
.LBB135_1391:
	s_or_b32 s26, s26, exec_lo
.LBB135_1392:
	s_wait_xcnt 0x0
	s_or_b32 exec_lo, exec_lo, s6
	s_mov_b32 s14, 0
	s_mov_b32 s7, 0
	;; [unrolled: 1-line block ×3, first 2 shown]
                                        ; implicit-def: $sgpr0
                                        ; implicit-def: $vgpr6_vgpr7
                                        ; implicit-def: $vgpr9
	s_and_saveexec_b32 s6, s26
	s_cbranch_execz .LBB135_1400
; %bb.1393:
	s_wait_loadcnt 0x0
	v_mov_b32_e32 v5, 0
	s_and_b32 s0, s13, 0xff
	s_delay_alu instid0(SALU_CYCLE_1) | instskip(NEXT) | instid1(VALU_DEP_1)
	s_cmp_lt_i32 s0, 11
	v_add_nc_u64_e32 v[6:7], s[8:9], v[4:5]
	s_cbranch_scc1 .LBB135_1403
; %bb.1394:
	s_and_b32 s7, 0xffff, s0
	s_mov_b32 s9, 0
	s_cmp_gt_i32 s7, 25
	s_cbranch_scc0 .LBB135_1404
; %bb.1395:
	s_cmp_gt_i32 s7, 28
	s_cbranch_scc0 .LBB135_1405
; %bb.1396:
	;; [unrolled: 3-line block ×4, first 2 shown]
	s_cmp_eq_u32 s7, 46
	s_mov_b32 s13, 0
	s_cbranch_scc0 .LBB135_1408
; %bb.1399:
	global_load_b32 v3, v[6:7], off
	s_mov_b32 s8, 0
	s_mov_b32 s12, -1
	s_wait_loadcnt 0x0
	v_and_b32_e32 v9, 0xffff0000, v3
	v_lshlrev_b32_e32 v8, 16, v3
	s_branch .LBB135_1410
.LBB135_1400:
	s_or_b32 exec_lo, exec_lo, s6
	s_and_saveexec_b32 s6, s40
	s_cbranch_execnz .LBB135_1476
.LBB135_1401:
	s_or_b32 exec_lo, exec_lo, s6
	s_and_saveexec_b32 s6, s14
	s_delay_alu instid0(SALU_CYCLE_1)
	s_xor_b32 s6, exec_lo, s6
	s_cbranch_execz .LBB135_1477
.LBB135_1402:
	global_load_u8 v3, v[6:7], off
	s_wait_loadcnt 0x1
	v_mov_b32_e32 v9, 0
	s_or_b32 s12, s12, exec_lo
	s_wait_loadcnt 0x0
	v_cmp_ne_u16_e32 vcc_lo, 0, v3
	v_cndmask_b32_e64 v8, 0, 1.0, vcc_lo
	s_wait_xcnt 0x0
	s_or_b32 exec_lo, exec_lo, s6
	s_and_saveexec_b32 s6, s7
	s_cbranch_execz .LBB135_1525
	s_branch .LBB135_1478
.LBB135_1403:
	s_mov_b32 s7, -1
	s_mov_b32 s9, 0
	s_mov_b32 s8, s40
                                        ; implicit-def: $vgpr9
	s_branch .LBB135_1475
.LBB135_1404:
	s_mov_b32 s8, s40
                                        ; implicit-def: $vgpr9
	s_cbranch_execnz .LBB135_1441
	s_branch .LBB135_1474
.LBB135_1405:
	s_mov_b32 s13, -1
	s_mov_b32 s8, s40
                                        ; implicit-def: $vgpr9
	s_branch .LBB135_1422
.LBB135_1406:
	s_mov_b32 s13, -1
	s_mov_b32 s8, s40
                                        ; implicit-def: $vgpr9
	s_branch .LBB135_1416
.LBB135_1407:
	s_mov_b32 s13, -1
	s_mov_b32 s8, s40
	s_branch .LBB135_1409
.LBB135_1408:
	s_mov_b32 s8, -1
.LBB135_1409:
                                        ; implicit-def: $vgpr9
.LBB135_1410:
	s_and_b32 vcc_lo, exec_lo, s13
	s_cbranch_vccz .LBB135_1415
; %bb.1411:
	s_cmp_eq_u32 s7, 44
	s_cbranch_scc0 .LBB135_1413
; %bb.1412:
	global_load_u8 v3, v[6:7], off
	s_mov_b32 s8, 0
	s_mov_b32 s12, -1
	s_wait_loadcnt 0x0
	v_lshlrev_b32_e32 v4, 23, v3
	v_cmp_ne_u32_e32 vcc_lo, 0xff, v3
	s_delay_alu instid0(VALU_DEP_2) | instskip(SKIP_1) | instid1(VALU_DEP_2)
	v_cndmask_b32_e32 v4, 0x7f800001, v4, vcc_lo
	v_cmp_ne_u32_e32 vcc_lo, 0, v3
	v_cndmask_b32_e32 v8, 0x400000, v4, vcc_lo
	s_branch .LBB135_1414
.LBB135_1413:
	s_mov_b32 s8, -1
                                        ; implicit-def: $vgpr8
.LBB135_1414:
	v_mov_b32_e32 v9, 0
.LBB135_1415:
	s_mov_b32 s13, 0
.LBB135_1416:
	s_delay_alu instid0(SALU_CYCLE_1)
	s_and_b32 vcc_lo, exec_lo, s13
	s_cbranch_vccz .LBB135_1421
; %bb.1417:
	s_cmp_eq_u32 s7, 29
	s_cbranch_scc0 .LBB135_1419
; %bb.1418:
	global_load_b64 v[4:5], v[6:7], off
	s_mov_b32 s8, 0
	s_mov_b32 s12, -1
	s_wait_loadcnt 0x0
	v_clz_i32_u32_e32 v3, v5
	s_delay_alu instid0(VALU_DEP_1) | instskip(NEXT) | instid1(VALU_DEP_1)
	v_min_u32_e32 v3, 32, v3
	v_lshlrev_b64_e32 v[4:5], v3, v[4:5]
	v_sub_nc_u32_e32 v3, 32, v3
	s_delay_alu instid0(VALU_DEP_2) | instskip(NEXT) | instid1(VALU_DEP_1)
	v_min_u32_e32 v4, 1, v4
	v_or_b32_e32 v4, v5, v4
	s_delay_alu instid0(VALU_DEP_1) | instskip(NEXT) | instid1(VALU_DEP_1)
	v_cvt_f32_u32_e32 v4, v4
	v_ldexp_f32 v8, v4, v3
	s_branch .LBB135_1420
.LBB135_1419:
	s_mov_b32 s8, -1
                                        ; implicit-def: $vgpr8
.LBB135_1420:
	v_mov_b32_e32 v9, 0
.LBB135_1421:
	s_mov_b32 s13, 0
.LBB135_1422:
	s_delay_alu instid0(SALU_CYCLE_1)
	s_and_b32 vcc_lo, exec_lo, s13
	s_cbranch_vccz .LBB135_1440
; %bb.1423:
	s_cmp_lt_i32 s7, 27
	s_cbranch_scc1 .LBB135_1426
; %bb.1424:
	s_cmp_gt_i32 s7, 27
	s_cbranch_scc0 .LBB135_1427
; %bb.1425:
	global_load_b32 v3, v[6:7], off
	s_mov_b32 s12, 0
	s_wait_loadcnt 0x0
	v_cvt_f32_u32_e32 v8, v3
	s_branch .LBB135_1428
.LBB135_1426:
	s_mov_b32 s12, -1
                                        ; implicit-def: $vgpr8
	s_branch .LBB135_1431
.LBB135_1427:
	s_mov_b32 s12, -1
                                        ; implicit-def: $vgpr8
.LBB135_1428:
	s_delay_alu instid0(SALU_CYCLE_1)
	s_and_not1_b32 vcc_lo, exec_lo, s12
	s_cbranch_vccnz .LBB135_1430
; %bb.1429:
	global_load_u16 v3, v[6:7], off
	s_wait_loadcnt 0x0
	v_cvt_f32_u32_e32 v8, v3
.LBB135_1430:
	s_mov_b32 s12, 0
.LBB135_1431:
	s_delay_alu instid0(SALU_CYCLE_1)
	s_and_not1_b32 vcc_lo, exec_lo, s12
	s_cbranch_vccnz .LBB135_1439
; %bb.1432:
	global_load_u8 v3, v[6:7], off
	s_mov_b32 s12, 0
	s_mov_b32 s13, exec_lo
	s_wait_loadcnt 0x0
	v_cmpx_lt_i16_e32 0x7f, v3
	s_xor_b32 s13, exec_lo, s13
	s_cbranch_execz .LBB135_1452
; %bb.1433:
	s_mov_b32 s12, -1
	s_mov_b32 s14, exec_lo
	v_cmpx_eq_u16_e32 0x80, v3
; %bb.1434:
	s_xor_b32 s12, exec_lo, -1
; %bb.1435:
	s_or_b32 exec_lo, exec_lo, s14
	s_delay_alu instid0(SALU_CYCLE_1)
	s_and_b32 s12, s12, exec_lo
	s_or_saveexec_b32 s13, s13
	v_mov_b32_e32 v8, 0x7f800001
	s_xor_b32 exec_lo, exec_lo, s13
	s_cbranch_execnz .LBB135_1453
.LBB135_1436:
	s_or_b32 exec_lo, exec_lo, s13
	s_and_saveexec_b32 s13, s12
	s_cbranch_execz .LBB135_1438
.LBB135_1437:
	v_and_b32_e32 v4, 0xffff, v3
	s_delay_alu instid0(VALU_DEP_1) | instskip(SKIP_1) | instid1(VALU_DEP_2)
	v_dual_lshlrev_b32 v3, 24, v3 :: v_dual_bitop2_b32 v5, 7, v4 bitop3:0x40
	v_bfe_u32 v10, v4, 3, 4
	v_and_b32_e32 v3, 0x80000000, v3
	s_delay_alu instid0(VALU_DEP_3) | instskip(NEXT) | instid1(VALU_DEP_3)
	v_clz_i32_u32_e32 v8, v5
	v_cmp_eq_u32_e32 vcc_lo, 0, v10
	s_delay_alu instid0(VALU_DEP_2) | instskip(NEXT) | instid1(VALU_DEP_1)
	v_min_u32_e32 v8, 32, v8
	v_subrev_nc_u32_e32 v9, 28, v8
	v_sub_nc_u32_e32 v8, 29, v8
	s_delay_alu instid0(VALU_DEP_2) | instskip(NEXT) | instid1(VALU_DEP_2)
	v_lshlrev_b32_e32 v4, v9, v4
	v_cndmask_b32_e32 v8, v10, v8, vcc_lo
	s_delay_alu instid0(VALU_DEP_2) | instskip(NEXT) | instid1(VALU_DEP_1)
	v_and_b32_e32 v4, 7, v4
	v_cndmask_b32_e32 v4, v5, v4, vcc_lo
	s_delay_alu instid0(VALU_DEP_3) | instskip(NEXT) | instid1(VALU_DEP_2)
	v_lshl_add_u32 v5, v8, 23, 0x3b800000
	v_lshlrev_b32_e32 v4, 20, v4
	s_delay_alu instid0(VALU_DEP_1)
	v_or3_b32 v8, v3, v5, v4
.LBB135_1438:
	s_or_b32 exec_lo, exec_lo, s13
.LBB135_1439:
	v_mov_b32_e32 v9, 0
	s_mov_b32 s12, -1
.LBB135_1440:
	s_branch .LBB135_1474
.LBB135_1441:
	s_cmp_gt_i32 s7, 22
	s_cbranch_scc0 .LBB135_1451
; %bb.1442:
	s_cmp_lt_i32 s7, 24
	s_cbranch_scc1 .LBB135_1454
; %bb.1443:
	s_cmp_gt_i32 s7, 24
	s_cbranch_scc0 .LBB135_1455
; %bb.1444:
	global_load_u8 v3, v[6:7], off
	s_mov_b32 s12, exec_lo
	s_wait_loadcnt 0x0
	v_cmpx_lt_i16_e32 0x7f, v3
	s_xor_b32 s12, exec_lo, s12
	s_cbranch_execz .LBB135_1467
; %bb.1445:
	s_mov_b32 s9, -1
	s_mov_b32 s13, exec_lo
	v_cmpx_eq_u16_e32 0x80, v3
; %bb.1446:
	s_xor_b32 s9, exec_lo, -1
; %bb.1447:
	s_or_b32 exec_lo, exec_lo, s13
	s_delay_alu instid0(SALU_CYCLE_1)
	s_and_b32 s9, s9, exec_lo
	s_or_saveexec_b32 s12, s12
	v_mov_b32_e32 v8, 0x7f800001
	s_xor_b32 exec_lo, exec_lo, s12
	s_cbranch_execnz .LBB135_1468
.LBB135_1448:
	s_or_b32 exec_lo, exec_lo, s12
	s_and_saveexec_b32 s12, s9
	s_cbranch_execz .LBB135_1450
.LBB135_1449:
	v_and_b32_e32 v4, 0xffff, v3
	s_delay_alu instid0(VALU_DEP_1) | instskip(SKIP_1) | instid1(VALU_DEP_2)
	v_dual_lshlrev_b32 v3, 24, v3 :: v_dual_bitop2_b32 v5, 3, v4 bitop3:0x40
	v_bfe_u32 v10, v4, 2, 5
	v_and_b32_e32 v3, 0x80000000, v3
	s_delay_alu instid0(VALU_DEP_3) | instskip(NEXT) | instid1(VALU_DEP_3)
	v_clz_i32_u32_e32 v8, v5
	v_cmp_eq_u32_e32 vcc_lo, 0, v10
	s_delay_alu instid0(VALU_DEP_2) | instskip(NEXT) | instid1(VALU_DEP_1)
	v_min_u32_e32 v8, 32, v8
	v_subrev_nc_u32_e32 v9, 29, v8
	v_sub_nc_u32_e32 v8, 30, v8
	s_delay_alu instid0(VALU_DEP_2) | instskip(NEXT) | instid1(VALU_DEP_2)
	v_lshlrev_b32_e32 v4, v9, v4
	v_cndmask_b32_e32 v8, v10, v8, vcc_lo
	s_delay_alu instid0(VALU_DEP_2) | instskip(NEXT) | instid1(VALU_DEP_1)
	v_and_b32_e32 v4, 3, v4
	v_cndmask_b32_e32 v4, v5, v4, vcc_lo
	s_delay_alu instid0(VALU_DEP_3) | instskip(NEXT) | instid1(VALU_DEP_2)
	v_lshl_add_u32 v5, v8, 23, 0x37800000
	v_lshlrev_b32_e32 v4, 21, v4
	s_delay_alu instid0(VALU_DEP_1)
	v_or3_b32 v8, v3, v5, v4
.LBB135_1450:
	s_or_b32 exec_lo, exec_lo, s12
	s_mov_b32 s9, 0
	s_branch .LBB135_1456
.LBB135_1451:
	s_mov_b32 s9, -1
                                        ; implicit-def: $vgpr8
	s_branch .LBB135_1462
.LBB135_1452:
	s_or_saveexec_b32 s13, s13
	v_mov_b32_e32 v8, 0x7f800001
	s_xor_b32 exec_lo, exec_lo, s13
	s_cbranch_execz .LBB135_1436
.LBB135_1453:
	v_cmp_ne_u16_e32 vcc_lo, 0, v3
	v_mov_b32_e32 v8, 0
	s_and_not1_b32 s12, s12, exec_lo
	s_and_b32 s14, vcc_lo, exec_lo
	s_delay_alu instid0(SALU_CYCLE_1)
	s_or_b32 s12, s12, s14
	s_or_b32 exec_lo, exec_lo, s13
	s_and_saveexec_b32 s13, s12
	s_cbranch_execnz .LBB135_1437
	s_branch .LBB135_1438
.LBB135_1454:
	s_mov_b32 s9, -1
                                        ; implicit-def: $vgpr8
	s_branch .LBB135_1459
.LBB135_1455:
	s_mov_b32 s9, -1
                                        ; implicit-def: $vgpr8
.LBB135_1456:
	s_delay_alu instid0(SALU_CYCLE_1)
	s_and_b32 vcc_lo, exec_lo, s9
	s_cbranch_vccz .LBB135_1458
; %bb.1457:
	global_load_u8 v3, v[6:7], off
	s_wait_loadcnt 0x0
	v_lshlrev_b32_e32 v3, 24, v3
	s_delay_alu instid0(VALU_DEP_1) | instskip(NEXT) | instid1(VALU_DEP_1)
	v_and_b32_e32 v4, 0x7f000000, v3
	v_clz_i32_u32_e32 v5, v4
	v_cmp_ne_u32_e32 vcc_lo, 0, v4
	v_add_nc_u32_e32 v9, 0x1000000, v4
	s_delay_alu instid0(VALU_DEP_3) | instskip(NEXT) | instid1(VALU_DEP_1)
	v_min_u32_e32 v5, 32, v5
	v_sub_nc_u32_e64 v5, v5, 4 clamp
	s_delay_alu instid0(VALU_DEP_1) | instskip(NEXT) | instid1(VALU_DEP_1)
	v_dual_lshlrev_b32 v8, v5, v4 :: v_dual_lshlrev_b32 v5, 23, v5
	v_lshrrev_b32_e32 v8, 4, v8
	s_delay_alu instid0(VALU_DEP_1) | instskip(SKIP_1) | instid1(VALU_DEP_2)
	v_sub_nc_u32_e32 v5, v8, v5
	v_ashrrev_i32_e32 v8, 8, v9
	v_add_nc_u32_e32 v5, 0x3c000000, v5
	s_delay_alu instid0(VALU_DEP_1) | instskip(NEXT) | instid1(VALU_DEP_1)
	v_and_or_b32 v5, 0x7f800000, v8, v5
	v_cndmask_b32_e32 v4, 0, v5, vcc_lo
	s_delay_alu instid0(VALU_DEP_1)
	v_and_or_b32 v8, 0x80000000, v3, v4
.LBB135_1458:
	s_mov_b32 s9, 0
.LBB135_1459:
	s_delay_alu instid0(SALU_CYCLE_1)
	s_and_not1_b32 vcc_lo, exec_lo, s9
	s_cbranch_vccnz .LBB135_1461
; %bb.1460:
	global_load_u8 v3, v[6:7], off
	s_wait_loadcnt 0x0
	v_lshlrev_b32_e32 v4, 25, v3
	v_lshlrev_b16 v3, 8, v3
	s_delay_alu instid0(VALU_DEP_1) | instskip(SKIP_1) | instid1(VALU_DEP_2)
	v_and_or_b32 v8, 0x7f00, v3, 0.5
	v_bfe_i32 v3, v3, 0, 16
	v_add_f32_e32 v8, -0.5, v8
	v_lshrrev_b32_e32 v5, 4, v4
	v_cmp_gt_u32_e32 vcc_lo, 0x8000000, v4
	s_delay_alu instid0(VALU_DEP_2) | instskip(NEXT) | instid1(VALU_DEP_1)
	v_or_b32_e32 v5, 0x70000000, v5
	v_mul_f32_e32 v5, 0x7800000, v5
	s_delay_alu instid0(VALU_DEP_1) | instskip(NEXT) | instid1(VALU_DEP_1)
	v_cndmask_b32_e32 v4, v5, v8, vcc_lo
	v_and_or_b32 v8, 0x80000000, v3, v4
.LBB135_1461:
	s_mov_b32 s9, 0
	s_mov_b32 s12, -1
.LBB135_1462:
	s_and_not1_b32 vcc_lo, exec_lo, s9
	s_mov_b32 s9, 0
	s_cbranch_vccnz .LBB135_1473
; %bb.1463:
	s_cmp_gt_i32 s7, 14
	s_cbranch_scc0 .LBB135_1466
; %bb.1464:
	s_cmp_eq_u32 s7, 15
	s_cbranch_scc0 .LBB135_1469
; %bb.1465:
	global_load_u16 v3, v[6:7], off
	s_mov_b32 s8, 0
	s_mov_b32 s12, -1
	s_wait_loadcnt 0x0
	v_lshlrev_b32_e32 v8, 16, v3
	s_branch .LBB135_1471
.LBB135_1466:
	s_mov_b32 s9, -1
	s_branch .LBB135_1470
.LBB135_1467:
	s_or_saveexec_b32 s12, s12
	v_mov_b32_e32 v8, 0x7f800001
	s_xor_b32 exec_lo, exec_lo, s12
	s_cbranch_execz .LBB135_1448
.LBB135_1468:
	v_cmp_ne_u16_e32 vcc_lo, 0, v3
	v_mov_b32_e32 v8, 0
	s_and_not1_b32 s9, s9, exec_lo
	s_and_b32 s13, vcc_lo, exec_lo
	s_delay_alu instid0(SALU_CYCLE_1)
	s_or_b32 s9, s9, s13
	s_or_b32 exec_lo, exec_lo, s12
	s_and_saveexec_b32 s12, s9
	s_cbranch_execnz .LBB135_1449
	s_branch .LBB135_1450
.LBB135_1469:
	s_mov_b32 s8, -1
.LBB135_1470:
                                        ; implicit-def: $vgpr8
.LBB135_1471:
	s_and_b32 vcc_lo, exec_lo, s9
	s_mov_b32 s9, 0
	s_cbranch_vccz .LBB135_1473
; %bb.1472:
	s_cmp_lg_u32 s7, 11
	s_mov_b32 s9, -1
	s_cselect_b32 s7, -1, 0
	s_and_not1_b32 s8, s8, exec_lo
	s_and_b32 s7, s7, exec_lo
	s_delay_alu instid0(SALU_CYCLE_1)
	s_or_b32 s8, s8, s7
.LBB135_1473:
	v_mov_b32_e32 v9, 0
.LBB135_1474:
	s_mov_b32 s7, 0
.LBB135_1475:
	s_and_not1_b32 s13, s40, exec_lo
	s_and_b32 s8, s8, exec_lo
	s_and_b32 s12, s12, exec_lo
	;; [unrolled: 1-line block ×4, first 2 shown]
	s_or_b32 s40, s13, s8
	s_wait_xcnt 0x0
	s_or_b32 exec_lo, exec_lo, s6
	s_and_saveexec_b32 s6, s40
	s_cbranch_execz .LBB135_1401
.LBB135_1476:
	s_or_b32 s1, s1, exec_lo
	s_and_not1_b32 s14, s14, exec_lo
	s_trap 2
	s_or_b32 exec_lo, exec_lo, s6
	s_and_saveexec_b32 s6, s14
	s_delay_alu instid0(SALU_CYCLE_1)
	s_xor_b32 s6, exec_lo, s6
	s_cbranch_execnz .LBB135_1402
.LBB135_1477:
	s_or_b32 exec_lo, exec_lo, s6
	s_and_saveexec_b32 s6, s7
	s_cbranch_execz .LBB135_1525
.LBB135_1478:
	s_sext_i32_i16 s7, s0
	s_delay_alu instid0(SALU_CYCLE_1)
	s_cmp_lt_i32 s7, 5
	s_cbranch_scc1 .LBB135_1483
; %bb.1479:
	s_cmp_lt_i32 s7, 8
	s_cbranch_scc1 .LBB135_1484
; %bb.1480:
	s_cmp_lt_i32 s7, 9
	s_cbranch_scc1 .LBB135_1485
; %bb.1481:
	s_cmp_gt_i32 s7, 9
	s_cbranch_scc0 .LBB135_1486
; %bb.1482:
	s_wait_loadcnt 0x0
	global_load_b128 v[8:11], v[6:7], off
	s_mov_b32 s7, 0
	s_wait_loadcnt 0x0
	v_cvt_f32_f64_e32 v8, v[8:9]
	v_cvt_f32_f64_e32 v9, v[10:11]
	s_branch .LBB135_1487
.LBB135_1483:
                                        ; implicit-def: $vgpr9
	s_branch .LBB135_1505
.LBB135_1484:
                                        ; implicit-def: $vgpr9
	s_branch .LBB135_1493
.LBB135_1485:
	s_mov_b32 s7, -1
                                        ; implicit-def: $vgpr9
	s_branch .LBB135_1490
.LBB135_1486:
	s_mov_b32 s7, -1
                                        ; implicit-def: $vgpr9
.LBB135_1487:
	s_delay_alu instid0(SALU_CYCLE_1)
	s_and_not1_b32 vcc_lo, exec_lo, s7
	s_cbranch_vccnz .LBB135_1489
; %bb.1488:
	s_wait_loadcnt 0x0
	global_load_b64 v[8:9], v[6:7], off
.LBB135_1489:
	s_mov_b32 s7, 0
.LBB135_1490:
	s_delay_alu instid0(SALU_CYCLE_1)
	s_and_not1_b32 vcc_lo, exec_lo, s7
	s_cbranch_vccnz .LBB135_1492
; %bb.1491:
	global_load_b32 v3, v[6:7], off
	s_wait_loadcnt 0x0
	v_lshrrev_b32_e32 v4, 16, v3
	v_cvt_f32_f16_e32 v8, v3
	s_delay_alu instid0(VALU_DEP_2)
	v_cvt_f32_f16_e32 v9, v4
.LBB135_1492:
	s_cbranch_execnz .LBB135_1504
.LBB135_1493:
	s_sext_i32_i16 s7, s0
	s_delay_alu instid0(SALU_CYCLE_1)
	s_cmp_lt_i32 s7, 6
	s_cbranch_scc1 .LBB135_1496
; %bb.1494:
	s_cmp_gt_i32 s7, 6
	s_cbranch_scc0 .LBB135_1497
; %bb.1495:
	s_wait_loadcnt 0x0
	global_load_b64 v[4:5], v[6:7], off
	s_mov_b32 s7, 0
	s_wait_loadcnt 0x0
	v_cvt_f32_f64_e32 v8, v[4:5]
	s_branch .LBB135_1498
.LBB135_1496:
	s_mov_b32 s7, -1
                                        ; implicit-def: $vgpr8
	s_branch .LBB135_1501
.LBB135_1497:
	s_mov_b32 s7, -1
                                        ; implicit-def: $vgpr8
.LBB135_1498:
	s_delay_alu instid0(SALU_CYCLE_1)
	s_and_not1_b32 vcc_lo, exec_lo, s7
	s_cbranch_vccnz .LBB135_1500
; %bb.1499:
	s_wait_loadcnt 0x0
	global_load_b32 v8, v[6:7], off
.LBB135_1500:
	s_mov_b32 s7, 0
.LBB135_1501:
	s_delay_alu instid0(SALU_CYCLE_1)
	s_and_not1_b32 vcc_lo, exec_lo, s7
	s_cbranch_vccnz .LBB135_1503
; %bb.1502:
	global_load_u16 v3, v[6:7], off
	s_wait_loadcnt 0x0
	v_cvt_f32_f16_e32 v8, v3
.LBB135_1503:
	s_wait_loadcnt 0x0
	v_mov_b32_e32 v9, 0
.LBB135_1504:
	s_cbranch_execnz .LBB135_1524
.LBB135_1505:
	s_sext_i32_i16 s7, s0
	s_delay_alu instid0(SALU_CYCLE_1)
	s_cmp_lt_i32 s7, 2
	s_cbranch_scc1 .LBB135_1509
; %bb.1506:
	s_cmp_lt_i32 s7, 3
	s_cbranch_scc1 .LBB135_1510
; %bb.1507:
	s_cmp_gt_i32 s7, 3
	s_cbranch_scc0 .LBB135_1511
; %bb.1508:
	s_wait_loadcnt 0x0
	global_load_b64 v[4:5], v[6:7], off
	s_mov_b32 s7, 0
	s_wait_loadcnt 0x0
	v_xor_b32_e32 v3, v4, v5
	v_cls_i32_e32 v8, v5
	s_delay_alu instid0(VALU_DEP_2) | instskip(NEXT) | instid1(VALU_DEP_1)
	v_ashrrev_i32_e32 v3, 31, v3
	v_add_nc_u32_e32 v3, 32, v3
	s_delay_alu instid0(VALU_DEP_1) | instskip(NEXT) | instid1(VALU_DEP_1)
	v_add_min_u32_e64 v3, v8, -1, v3
	v_lshlrev_b64_e32 v[4:5], v3, v[4:5]
	v_sub_nc_u32_e32 v3, 32, v3
	s_delay_alu instid0(VALU_DEP_2) | instskip(NEXT) | instid1(VALU_DEP_1)
	v_min_u32_e32 v4, 1, v4
	v_or_b32_e32 v4, v5, v4
	s_delay_alu instid0(VALU_DEP_1) | instskip(NEXT) | instid1(VALU_DEP_1)
	v_cvt_f32_i32_e32 v4, v4
	v_ldexp_f32 v8, v4, v3
	s_branch .LBB135_1512
.LBB135_1509:
                                        ; implicit-def: $vgpr8
	s_branch .LBB135_1518
.LBB135_1510:
	s_mov_b32 s7, -1
                                        ; implicit-def: $vgpr8
	s_branch .LBB135_1515
.LBB135_1511:
	s_mov_b32 s7, -1
                                        ; implicit-def: $vgpr8
.LBB135_1512:
	s_delay_alu instid0(SALU_CYCLE_1)
	s_and_not1_b32 vcc_lo, exec_lo, s7
	s_cbranch_vccnz .LBB135_1514
; %bb.1513:
	global_load_b32 v3, v[6:7], off
	s_wait_loadcnt 0x0
	v_cvt_f32_i32_e32 v8, v3
.LBB135_1514:
	s_mov_b32 s7, 0
.LBB135_1515:
	s_delay_alu instid0(SALU_CYCLE_1)
	s_and_not1_b32 vcc_lo, exec_lo, s7
	s_cbranch_vccnz .LBB135_1517
; %bb.1516:
	global_load_i16 v3, v[6:7], off
	s_wait_loadcnt 0x0
	v_cvt_f32_i32_e32 v8, v3
.LBB135_1517:
	s_cbranch_execnz .LBB135_1523
.LBB135_1518:
	s_sext_i32_i16 s0, s0
	s_delay_alu instid0(SALU_CYCLE_1)
	s_cmp_gt_i32 s0, 0
	s_mov_b32 s0, 0
	s_cbranch_scc0 .LBB135_1520
; %bb.1519:
	global_load_i8 v3, v[6:7], off
	s_wait_loadcnt 0x0
	v_cvt_f32_i32_e32 v8, v3
	s_branch .LBB135_1521
.LBB135_1520:
	s_mov_b32 s0, -1
                                        ; implicit-def: $vgpr8
.LBB135_1521:
	s_delay_alu instid0(SALU_CYCLE_1)
	s_and_not1_b32 vcc_lo, exec_lo, s0
	s_cbranch_vccnz .LBB135_1523
; %bb.1522:
	global_load_u8 v3, v[6:7], off
	s_wait_loadcnt 0x0
	v_cvt_f32_ubyte0_e32 v8, v3
.LBB135_1523:
	s_wait_loadcnt 0x0
	v_mov_b32_e32 v9, 0
.LBB135_1524:
	s_or_b32 s12, s12, exec_lo
.LBB135_1525:
	s_wait_xcnt 0x0
	s_or_b32 exec_lo, exec_lo, s6
	s_mov_b32 s0, 0
	s_mov_b32 s9, 0
                                        ; implicit-def: $sgpr6
                                        ; implicit-def: $sgpr7
                                        ; implicit-def: $vgpr4_vgpr5
	s_and_saveexec_b32 s8, s12
	s_cbranch_execz .LBB135_1536
; %bb.1526:
	s_and_not1_b32 vcc_lo, exec_lo, s10
	s_cbranch_vccnz .LBB135_1540
; %bb.1527:
	s_wait_loadcnt 0x0
	s_delay_alu instid0(VALU_DEP_2) | instskip(NEXT) | instid1(VALU_DEP_2)
	v_cmp_neq_f32_e32 vcc_lo, v0, v8
	v_cmp_neq_f32_e64 s0, v1, v9
	s_or_b32 s6, vcc_lo, s0
	s_cbranch_execnz .LBB135_1529
.LBB135_1528:
	s_wait_loadcnt 0x0
	s_delay_alu instid0(VALU_DEP_1) | instskip(NEXT) | instid1(VALU_DEP_3)
	v_cmp_eq_f32_e32 vcc_lo, v1, v9
	v_cmp_eq_f32_e64 s0, v0, v8
	s_and_not1_b32 s6, s6, exec_lo
	s_and_b32 s0, s0, vcc_lo
	s_delay_alu instid0(SALU_CYCLE_1) | instskip(NEXT) | instid1(SALU_CYCLE_1)
	s_and_b32 s0, s0, exec_lo
	s_or_b32 s6, s6, s0
.LBB135_1529:
	v_mov_b32_e32 v3, 0
	s_and_b32 s7, s11, 0xff
	s_delay_alu instid0(SALU_CYCLE_1) | instskip(SKIP_1) | instid1(VALU_DEP_1)
	s_cmp_lt_i32 s7, 11
	s_wait_loadcnt 0x0
	v_add_nc_u64_e32 v[4:5], s[4:5], v[2:3]
	s_cbranch_scc1 .LBB135_1539
; %bb.1530:
	s_and_b32 s4, 0xffff, s7
	s_mov_b32 s5, -1
	s_cmp_gt_i32 s4, 25
	s_mov_b32 s0, s39
	s_cbranch_scc0 .LBB135_1568
; %bb.1531:
	s_cmp_gt_i32 s4, 28
	s_mov_b32 s0, s39
	s_cbranch_scc0 .LBB135_1552
; %bb.1532:
	;; [unrolled: 4-line block ×4, first 2 shown]
	s_cmp_eq_u32 s4, 46
	s_mov_b32 s0, -1
	s_cbranch_scc0 .LBB135_1541
; %bb.1535:
	v_cndmask_b32_e64 v0, 0, 1.0, s6
	s_mov_b32 s0, 0
	s_mov_b32 s5, 0
	s_delay_alu instid0(VALU_DEP_1) | instskip(NEXT) | instid1(VALU_DEP_1)
	v_bfe_u32 v1, v0, 16, 1
	v_add3_u32 v0, v0, v1, 0x7fff
	s_delay_alu instid0(VALU_DEP_1)
	v_lshrrev_b32_e32 v0, 16, v0
	global_store_b32 v[4:5], v0, off
	s_branch .LBB135_1542
.LBB135_1536:
	s_or_b32 exec_lo, exec_lo, s8
	s_and_saveexec_b32 s4, s39
	s_cbranch_execnz .LBB135_1610
.LBB135_1537:
	s_or_b32 exec_lo, exec_lo, s4
	s_and_saveexec_b32 s4, s0
	s_delay_alu instid0(SALU_CYCLE_1)
	s_xor_b32 s0, exec_lo, s4
	s_cbranch_execz .LBB135_1611
.LBB135_1538:
	s_wait_loadcnt 0x0
	v_cndmask_b32_e64 v0, 0, 1, s6
	global_store_b8 v[4:5], v0, off
	s_wait_xcnt 0x0
	s_or_b32 exec_lo, exec_lo, s0
	s_and_saveexec_b32 s0, s9
	s_delay_alu instid0(SALU_CYCLE_1)
	s_xor_b32 s0, exec_lo, s0
	s_cbranch_execz .LBB135_1649
	s_branch .LBB135_1612
.LBB135_1539:
	s_mov_b32 s10, 0
	s_mov_b32 s5, -1
	s_mov_b32 s0, s39
	s_branch .LBB135_1609
.LBB135_1540:
                                        ; implicit-def: $sgpr6
	s_branch .LBB135_1528
.LBB135_1541:
	s_mov_b32 s5, 0
.LBB135_1542:
	s_delay_alu instid0(SALU_CYCLE_1)
	s_and_b32 vcc_lo, exec_lo, s5
	s_cbranch_vccz .LBB135_1547
; %bb.1543:
	s_cmp_eq_u32 s4, 44
	s_mov_b32 s0, -1
	s_cbranch_scc0 .LBB135_1547
; %bb.1544:
	v_cndmask_b32_e64 v2, 0, 1.0, s6
	s_mov_b32 s5, exec_lo
	s_wait_xcnt 0x0
	s_delay_alu instid0(VALU_DEP_1) | instskip(NEXT) | instid1(VALU_DEP_1)
	v_dual_mov_b32 v1, 0xff :: v_dual_lshrrev_b32 v0, 23, v2
	v_cmpx_ne_u32_e32 0xff, v0
; %bb.1545:
	v_and_b32_e32 v1, 0x400000, v2
	v_and_or_b32 v2, 0x3fffff, v2, v0
	s_delay_alu instid0(VALU_DEP_2) | instskip(NEXT) | instid1(VALU_DEP_2)
	v_cmp_ne_u32_e32 vcc_lo, 0, v1
	v_cmp_ne_u32_e64 s0, 0, v2
	s_and_b32 s0, vcc_lo, s0
	s_delay_alu instid0(SALU_CYCLE_1) | instskip(NEXT) | instid1(VALU_DEP_1)
	v_cndmask_b32_e64 v1, 0, 1, s0
	v_add_nc_u32_e32 v1, v0, v1
; %bb.1546:
	s_or_b32 exec_lo, exec_lo, s5
	s_mov_b32 s0, 0
	global_store_b8 v[4:5], v1, off
.LBB135_1547:
	s_mov_b32 s5, 0
.LBB135_1548:
	s_delay_alu instid0(SALU_CYCLE_1)
	s_and_b32 vcc_lo, exec_lo, s5
	s_cbranch_vccz .LBB135_1551
; %bb.1549:
	s_cmp_eq_u32 s4, 29
	s_mov_b32 s0, -1
	s_cbranch_scc0 .LBB135_1551
; %bb.1550:
	s_mov_b32 s0, 0
	s_wait_xcnt 0x0
	v_cndmask_b32_e64 v0, 0, 1, s6
	v_mov_b32_e32 v1, s0
	s_mov_b32 s5, 0
	global_store_b64 v[4:5], v[0:1], off
	s_branch .LBB135_1552
.LBB135_1551:
	s_mov_b32 s5, 0
.LBB135_1552:
	s_delay_alu instid0(SALU_CYCLE_1)
	s_and_b32 vcc_lo, exec_lo, s5
	s_cbranch_vccz .LBB135_1567
; %bb.1553:
	s_cmp_lt_i32 s4, 27
	s_mov_b32 s5, -1
	s_cbranch_scc1 .LBB135_1559
; %bb.1554:
	s_cmp_gt_i32 s4, 27
	s_cbranch_scc0 .LBB135_1556
; %bb.1555:
	s_wait_xcnt 0x0
	v_cndmask_b32_e64 v0, 0, 1, s6
	s_mov_b32 s5, 0
	global_store_b32 v[4:5], v0, off
.LBB135_1556:
	s_and_not1_b32 vcc_lo, exec_lo, s5
	s_cbranch_vccnz .LBB135_1558
; %bb.1557:
	s_wait_xcnt 0x0
	v_cndmask_b32_e64 v0, 0, 1, s6
	global_store_b16 v[4:5], v0, off
.LBB135_1558:
	s_mov_b32 s5, 0
.LBB135_1559:
	s_delay_alu instid0(SALU_CYCLE_1)
	s_and_not1_b32 vcc_lo, exec_lo, s5
	s_cbranch_vccnz .LBB135_1567
; %bb.1560:
	s_wait_xcnt 0x0
	v_cndmask_b32_e64 v1, 0, 1.0, s6
	v_mov_b32_e32 v2, 0x80
	s_mov_b32 s5, exec_lo
	s_delay_alu instid0(VALU_DEP_2)
	v_cmpx_gt_u32_e32 0x43800000, v1
	s_cbranch_execz .LBB135_1566
; %bb.1561:
	s_mov_b32 s10, exec_lo
                                        ; implicit-def: $vgpr0
	v_cmpx_lt_u32_e32 0x3bffffff, v1
	s_xor_b32 s10, exec_lo, s10
	s_cbranch_execz .LBB135_1708
; %bb.1562:
	v_bfe_u32 v0, v1, 20, 1
	s_mov_b32 s9, exec_lo
	s_delay_alu instid0(VALU_DEP_1) | instskip(NEXT) | instid1(VALU_DEP_1)
	v_add3_u32 v0, v1, v0, 0x487ffff
                                        ; implicit-def: $vgpr1
	v_lshrrev_b32_e32 v0, 20, v0
	s_and_not1_saveexec_b32 s10, s10
	s_cbranch_execnz .LBB135_1709
.LBB135_1563:
	s_or_b32 exec_lo, exec_lo, s10
	v_mov_b32_e32 v2, 0
	s_and_saveexec_b32 s10, s9
.LBB135_1564:
	v_mov_b32_e32 v2, v0
.LBB135_1565:
	s_or_b32 exec_lo, exec_lo, s10
.LBB135_1566:
	s_delay_alu instid0(SALU_CYCLE_1)
	s_or_b32 exec_lo, exec_lo, s5
	global_store_b8 v[4:5], v2, off
.LBB135_1567:
	s_mov_b32 s5, 0
.LBB135_1568:
	s_delay_alu instid0(SALU_CYCLE_1)
	s_and_b32 vcc_lo, exec_lo, s5
	s_mov_b32 s5, 0
	s_cbranch_vccz .LBB135_1608
; %bb.1569:
	s_cmp_gt_i32 s4, 22
	s_mov_b32 s9, -1
	s_cbranch_scc0 .LBB135_1601
; %bb.1570:
	s_cmp_lt_i32 s4, 24
	s_cbranch_scc1 .LBB135_1590
; %bb.1571:
	s_cmp_gt_i32 s4, 24
	s_cbranch_scc0 .LBB135_1579
; %bb.1572:
	s_wait_xcnt 0x0
	v_cndmask_b32_e64 v1, 0, 1.0, s6
	v_mov_b32_e32 v2, 0x80
	s_mov_b32 s9, exec_lo
	s_delay_alu instid0(VALU_DEP_2)
	v_cmpx_gt_u32_e32 0x47800000, v1
	s_cbranch_execz .LBB135_1578
; %bb.1573:
	s_mov_b32 s10, 0
	s_mov_b32 s11, exec_lo
                                        ; implicit-def: $vgpr0
	v_cmpx_lt_u32_e32 0x37ffffff, v1
	s_xor_b32 s11, exec_lo, s11
	s_cbranch_execz .LBB135_1839
; %bb.1574:
	v_bfe_u32 v0, v1, 21, 1
	s_mov_b32 s10, exec_lo
	s_delay_alu instid0(VALU_DEP_1) | instskip(NEXT) | instid1(VALU_DEP_1)
	v_add3_u32 v0, v1, v0, 0x88fffff
                                        ; implicit-def: $vgpr1
	v_lshrrev_b32_e32 v0, 21, v0
	s_and_not1_saveexec_b32 s11, s11
	s_cbranch_execnz .LBB135_1840
.LBB135_1575:
	s_or_b32 exec_lo, exec_lo, s11
	v_mov_b32_e32 v2, 0
	s_and_saveexec_b32 s11, s10
.LBB135_1576:
	v_mov_b32_e32 v2, v0
.LBB135_1577:
	s_or_b32 exec_lo, exec_lo, s11
.LBB135_1578:
	s_delay_alu instid0(SALU_CYCLE_1)
	s_or_b32 exec_lo, exec_lo, s9
	s_mov_b32 s9, 0
	global_store_b8 v[4:5], v2, off
.LBB135_1579:
	s_and_b32 vcc_lo, exec_lo, s9
	s_cbranch_vccz .LBB135_1589
; %bb.1580:
	s_wait_xcnt 0x0
	v_cndmask_b32_e64 v1, 0, 1.0, s6
	s_mov_b32 s9, exec_lo
                                        ; implicit-def: $vgpr0
	s_delay_alu instid0(VALU_DEP_1)
	v_cmpx_gt_u32_e32 0x43f00000, v1
	s_xor_b32 s9, exec_lo, s9
	s_cbranch_execz .LBB135_1586
; %bb.1581:
	s_mov_b32 s10, exec_lo
                                        ; implicit-def: $vgpr0
	v_cmpx_lt_u32_e32 0x3c7fffff, v1
	s_xor_b32 s10, exec_lo, s10
; %bb.1582:
	v_bfe_u32 v0, v1, 20, 1
	s_delay_alu instid0(VALU_DEP_1) | instskip(NEXT) | instid1(VALU_DEP_1)
	v_add3_u32 v0, v1, v0, 0x407ffff
	v_and_b32_e32 v1, 0xff00000, v0
	v_lshrrev_b32_e32 v0, 20, v0
	s_delay_alu instid0(VALU_DEP_2) | instskip(NEXT) | instid1(VALU_DEP_2)
	v_cmp_ne_u32_e32 vcc_lo, 0x7f00000, v1
                                        ; implicit-def: $vgpr1
	v_cndmask_b32_e32 v0, 0x7e, v0, vcc_lo
; %bb.1583:
	s_and_not1_saveexec_b32 s10, s10
; %bb.1584:
	v_add_f32_e32 v0, 0x46800000, v1
; %bb.1585:
	s_or_b32 exec_lo, exec_lo, s10
                                        ; implicit-def: $vgpr1
.LBB135_1586:
	s_and_not1_saveexec_b32 s9, s9
; %bb.1587:
	v_mov_b32_e32 v0, 0x7f
	v_cmp_lt_u32_e32 vcc_lo, 0x7f800000, v1
	s_delay_alu instid0(VALU_DEP_2)
	v_cndmask_b32_e32 v0, 0x7e, v0, vcc_lo
; %bb.1588:
	s_or_b32 exec_lo, exec_lo, s9
	global_store_b8 v[4:5], v0, off
.LBB135_1589:
	s_mov_b32 s9, 0
.LBB135_1590:
	s_delay_alu instid0(SALU_CYCLE_1)
	s_and_not1_b32 vcc_lo, exec_lo, s9
	s_cbranch_vccnz .LBB135_1600
; %bb.1591:
	s_wait_xcnt 0x0
	v_cndmask_b32_e64 v1, 0, 1.0, s6
	s_mov_b32 s9, exec_lo
                                        ; implicit-def: $vgpr0
	s_delay_alu instid0(VALU_DEP_1)
	v_cmpx_gt_u32_e32 0x47800000, v1
	s_xor_b32 s9, exec_lo, s9
	s_cbranch_execz .LBB135_1597
; %bb.1592:
	s_mov_b32 s10, exec_lo
                                        ; implicit-def: $vgpr0
	v_cmpx_lt_u32_e32 0x387fffff, v1
	s_xor_b32 s10, exec_lo, s10
; %bb.1593:
	v_bfe_u32 v0, v1, 21, 1
	s_delay_alu instid0(VALU_DEP_1) | instskip(NEXT) | instid1(VALU_DEP_1)
	v_add3_u32 v0, v1, v0, 0x80fffff
                                        ; implicit-def: $vgpr1
	v_lshrrev_b32_e32 v0, 21, v0
; %bb.1594:
	s_and_not1_saveexec_b32 s10, s10
; %bb.1595:
	v_add_f32_e32 v0, 0x43000000, v1
; %bb.1596:
	s_or_b32 exec_lo, exec_lo, s10
                                        ; implicit-def: $vgpr1
.LBB135_1597:
	s_and_not1_saveexec_b32 s9, s9
; %bb.1598:
	v_mov_b32_e32 v0, 0x7f
	v_cmp_lt_u32_e32 vcc_lo, 0x7f800000, v1
	s_delay_alu instid0(VALU_DEP_2)
	v_cndmask_b32_e32 v0, 0x7c, v0, vcc_lo
; %bb.1599:
	s_or_b32 exec_lo, exec_lo, s9
	global_store_b8 v[4:5], v0, off
.LBB135_1600:
	s_mov_b32 s9, 0
.LBB135_1601:
	s_delay_alu instid0(SALU_CYCLE_1)
	s_and_not1_b32 vcc_lo, exec_lo, s9
	s_mov_b32 s10, 0
	s_cbranch_vccnz .LBB135_1609
; %bb.1602:
	s_cmp_gt_i32 s4, 14
	s_mov_b32 s9, -1
	s_cbranch_scc0 .LBB135_1606
; %bb.1603:
	s_cmp_eq_u32 s4, 15
	s_mov_b32 s0, -1
	s_cbranch_scc0 .LBB135_1605
; %bb.1604:
	s_wait_xcnt 0x0
	v_cndmask_b32_e64 v0, 0, 1.0, s6
	s_mov_b32 s0, 0
	s_delay_alu instid0(VALU_DEP_1) | instskip(NEXT) | instid1(VALU_DEP_1)
	v_bfe_u32 v1, v0, 16, 1
	v_add3_u32 v0, v0, v1, 0x7fff
	global_store_d16_hi_b16 v[4:5], v0, off
.LBB135_1605:
	s_mov_b32 s9, 0
.LBB135_1606:
	s_delay_alu instid0(SALU_CYCLE_1)
	s_and_b32 vcc_lo, exec_lo, s9
	s_cbranch_vccz .LBB135_1609
; %bb.1607:
	s_cmp_lg_u32 s4, 11
	s_mov_b32 s10, -1
	s_cselect_b32 s4, -1, 0
	s_and_not1_b32 s0, s0, exec_lo
	s_and_b32 s4, s4, exec_lo
	s_delay_alu instid0(SALU_CYCLE_1)
	s_or_b32 s0, s0, s4
	s_branch .LBB135_1609
.LBB135_1608:
	s_mov_b32 s10, 0
.LBB135_1609:
	s_and_b32 s9, s5, exec_lo
	s_and_not1_b32 s4, s39, exec_lo
	s_and_b32 s5, s0, exec_lo
	s_and_b32 s0, s10, exec_lo
	s_or_b32 s39, s4, s5
	s_wait_xcnt 0x0
	s_or_b32 exec_lo, exec_lo, s8
	s_and_saveexec_b32 s4, s39
	s_cbranch_execz .LBB135_1537
.LBB135_1610:
	s_or_b32 s1, s1, exec_lo
	s_and_not1_b32 s0, s0, exec_lo
	s_trap 2
	s_or_b32 exec_lo, exec_lo, s4
	s_and_saveexec_b32 s4, s0
	s_delay_alu instid0(SALU_CYCLE_1)
	s_xor_b32 s0, exec_lo, s4
	s_cbranch_execnz .LBB135_1538
.LBB135_1611:
	s_or_b32 exec_lo, exec_lo, s0
	s_and_saveexec_b32 s0, s9
	s_delay_alu instid0(SALU_CYCLE_1)
	s_xor_b32 s0, exec_lo, s0
	s_cbranch_execz .LBB135_1649
.LBB135_1612:
	s_sext_i32_i16 s5, s7
	s_mov_b32 s4, -1
	s_cmp_lt_i32 s5, 5
	s_cbranch_scc1 .LBB135_1633
; %bb.1613:
	s_cmp_lt_i32 s5, 8
	s_cbranch_scc1 .LBB135_1623
; %bb.1614:
	;; [unrolled: 3-line block ×3, first 2 shown]
	s_cmp_gt_i32 s5, 9
	s_cbranch_scc0 .LBB135_1617
; %bb.1616:
	s_wait_loadcnt 0x0
	v_cndmask_b32_e64 v0, 0, 1, s6
	v_mov_b32_e32 v2, 0
	s_mov_b32 s4, 0
	s_delay_alu instid0(VALU_DEP_2) | instskip(NEXT) | instid1(VALU_DEP_2)
	v_cvt_f64_u32_e32 v[0:1], v0
	v_mov_b32_e32 v3, v2
	global_store_b128 v[4:5], v[0:3], off
.LBB135_1617:
	s_and_not1_b32 vcc_lo, exec_lo, s4
	s_cbranch_vccnz .LBB135_1619
; %bb.1618:
	s_wait_loadcnt 0x0
	v_cndmask_b32_e64 v0, 0, 1.0, s6
	v_mov_b32_e32 v1, 0
	global_store_b64 v[4:5], v[0:1], off
.LBB135_1619:
	s_mov_b32 s4, 0
.LBB135_1620:
	s_delay_alu instid0(SALU_CYCLE_1)
	s_and_not1_b32 vcc_lo, exec_lo, s4
	s_cbranch_vccnz .LBB135_1622
; %bb.1621:
	s_wait_loadcnt 0x0
	v_cndmask_b32_e64 v0, 0, 1.0, s6
	s_delay_alu instid0(VALU_DEP_1) | instskip(NEXT) | instid1(VALU_DEP_1)
	v_cvt_f16_f32_e32 v0, v0
	v_and_b32_e32 v0, 0xffff, v0
	global_store_b32 v[4:5], v0, off
.LBB135_1622:
	s_mov_b32 s4, 0
.LBB135_1623:
	s_delay_alu instid0(SALU_CYCLE_1)
	s_and_not1_b32 vcc_lo, exec_lo, s4
	s_cbranch_vccnz .LBB135_1632
; %bb.1624:
	s_sext_i32_i16 s5, s7
	s_mov_b32 s4, -1
	s_cmp_lt_i32 s5, 6
	s_cbranch_scc1 .LBB135_1630
; %bb.1625:
	s_cmp_gt_i32 s5, 6
	s_cbranch_scc0 .LBB135_1627
; %bb.1626:
	s_wait_loadcnt 0x0
	v_cndmask_b32_e64 v0, 0, 1, s6
	s_mov_b32 s4, 0
	s_delay_alu instid0(VALU_DEP_1)
	v_cvt_f64_u32_e32 v[0:1], v0
	global_store_b64 v[4:5], v[0:1], off
.LBB135_1627:
	s_and_not1_b32 vcc_lo, exec_lo, s4
	s_cbranch_vccnz .LBB135_1629
; %bb.1628:
	s_wait_loadcnt 0x0
	v_cndmask_b32_e64 v0, 0, 1.0, s6
	global_store_b32 v[4:5], v0, off
.LBB135_1629:
	s_mov_b32 s4, 0
.LBB135_1630:
	s_delay_alu instid0(SALU_CYCLE_1)
	s_and_not1_b32 vcc_lo, exec_lo, s4
	s_cbranch_vccnz .LBB135_1632
; %bb.1631:
	s_wait_loadcnt 0x0
	v_cndmask_b32_e64 v0, 0, 1.0, s6
	s_delay_alu instid0(VALU_DEP_1)
	v_cvt_f16_f32_e32 v0, v0
	global_store_b16 v[4:5], v0, off
.LBB135_1632:
	s_mov_b32 s4, 0
.LBB135_1633:
	s_delay_alu instid0(SALU_CYCLE_1)
	s_and_not1_b32 vcc_lo, exec_lo, s4
	s_cbranch_vccnz .LBB135_1649
; %bb.1634:
	s_sext_i32_i16 s5, s7
	s_mov_b32 s4, -1
	s_cmp_lt_i32 s5, 2
	s_cbranch_scc1 .LBB135_1644
; %bb.1635:
	s_cmp_lt_i32 s5, 3
	s_cbranch_scc1 .LBB135_1641
; %bb.1636:
	s_cmp_gt_i32 s5, 3
	s_cbranch_scc0 .LBB135_1638
; %bb.1637:
	s_mov_b32 s4, 0
	s_wait_loadcnt 0x0
	v_cndmask_b32_e64 v0, 0, 1, s6
	v_mov_b32_e32 v1, s4
	global_store_b64 v[4:5], v[0:1], off
.LBB135_1638:
	s_and_not1_b32 vcc_lo, exec_lo, s4
	s_cbranch_vccnz .LBB135_1640
; %bb.1639:
	s_wait_loadcnt 0x0
	v_cndmask_b32_e64 v0, 0, 1, s6
	global_store_b32 v[4:5], v0, off
.LBB135_1640:
	s_mov_b32 s4, 0
.LBB135_1641:
	s_delay_alu instid0(SALU_CYCLE_1)
	s_and_not1_b32 vcc_lo, exec_lo, s4
	s_cbranch_vccnz .LBB135_1643
; %bb.1642:
	s_wait_loadcnt 0x0
	v_cndmask_b32_e64 v0, 0, 1, s6
	global_store_b16 v[4:5], v0, off
.LBB135_1643:
	s_mov_b32 s4, 0
.LBB135_1644:
	s_delay_alu instid0(SALU_CYCLE_1)
	s_and_not1_b32 vcc_lo, exec_lo, s4
	s_cbranch_vccnz .LBB135_1649
; %bb.1645:
	s_wait_loadcnt 0x0
	v_cndmask_b32_e64 v0, 0, 1, s6
	s_sext_i32_i16 s4, s7
	s_delay_alu instid0(SALU_CYCLE_1)
	s_cmp_gt_i32 s4, 0
	s_mov_b32 s4, -1
	s_cbranch_scc0 .LBB135_1647
; %bb.1646:
	s_mov_b32 s4, 0
	global_store_b8 v[4:5], v0, off
.LBB135_1647:
	s_and_not1_b32 vcc_lo, exec_lo, s4
	s_cbranch_vccnz .LBB135_1649
; %bb.1648:
	global_store_b8 v[4:5], v0, off
.LBB135_1649:
	s_wait_xcnt 0x0
	s_or_b32 exec_lo, exec_lo, s0
	s_delay_alu instid0(SALU_CYCLE_1)
	s_and_b32 s10, s1, exec_lo
                                        ; implicit-def: $vgpr1
                                        ; implicit-def: $vgpr0
.LBB135_1650:
	s_or_saveexec_b32 s11, s33
	s_mov_b32 s0, 0
                                        ; implicit-def: $sgpr6
                                        ; implicit-def: $vgpr2_vgpr3
                                        ; implicit-def: $sgpr7
	s_xor_b32 exec_lo, exec_lo, s11
	s_cbranch_execz .LBB135_2796
; %bb.1651:
	v_cndmask_b32_e64 v3, 0, 1, s31
	s_and_not1_b32 vcc_lo, exec_lo, s31
	s_cbranch_vccnz .LBB135_1657
; %bb.1652:
	s_cmp_lg_u32 s28, 0
	s_mov_b32 s4, 0
	s_cbranch_scc0 .LBB135_1661
; %bb.1653:
	s_min_u32 s5, s29, 15
	s_wait_loadcnt 0x0
	v_dual_mov_b32 v6, 0 :: v_dual_mov_b32 v2, v0
	v_dual_mov_b32 v22, 0 :: v_dual_mov_b32 v20, 0
	s_add_co_i32 s6, s5, 1
	s_mov_b64 s[0:1], 0xffffffffffffffe8
	s_and_b32 s6, s6, 30
	s_add_nc_u64 s[0:1], s[2:3], s[0:1]
.LBB135_1654:                           ; =>This Inner Loop Header: Depth=1
	s_clause 0x1
	s_load_b128 s[12:15], s[0:1], 0x1c
	s_load_b64 s[8:9], s[0:1], 0x2c
	s_add_co_i32 s6, s6, -2
	s_delay_alu instid0(SALU_CYCLE_1) | instskip(SKIP_2) | instid1(VALU_DEP_1)
	s_cmp_lg_u32 s6, 0
	s_wait_kmcnt 0x0
	v_mul_hi_u32 v4, s13, v2
	v_add_nc_u32_e32 v4, v2, v4
	s_delay_alu instid0(VALU_DEP_1) | instskip(NEXT) | instid1(VALU_DEP_1)
	v_lshrrev_b32_e32 v4, s14, v4
	v_mul_hi_u32 v5, s8, v4
	v_mul_lo_u32 v7, v4, s12
	s_clause 0x1
	s_load_b128 s[16:19], s[0:1], 0xdc
	s_load_b64 s[12:13], s[0:1], 0xec
	s_wait_xcnt 0x0
	s_add_nc_u64 s[0:1], s[0:1], 24
	s_delay_alu instid0(VALU_DEP_1) | instskip(NEXT) | instid1(VALU_DEP_1)
	v_dual_add_nc_u32 v5, v4, v5 :: v_dual_sub_nc_u32 v7, v2, v7
	v_lshrrev_b32_e32 v2, s9, v5
	s_wait_kmcnt 0x0
	s_delay_alu instid0(VALU_DEP_2) | instskip(NEXT) | instid1(VALU_DEP_2)
	v_mad_u32 v6, v7, s16, v6
	v_mul_lo_u32 v5, v2, s15
	v_mad_u32 v8, v7, s18, v20
	v_mad_u32 v7, v7, s17, v22
	s_delay_alu instid0(VALU_DEP_3) | instskip(NEXT) | instid1(VALU_DEP_1)
	v_sub_nc_u32_e32 v4, v4, v5
	v_mad_u32 v6, v4, s19, v6
	s_delay_alu instid0(VALU_DEP_4) | instskip(NEXT) | instid1(VALU_DEP_4)
	v_mad_u32 v20, v4, s13, v8
	v_mad_u32 v22, v4, s12, v7
	s_cbranch_scc1 .LBB135_1654
; %bb.1655:
	s_bitcmp1_b32 s5, 0
	s_cselect_b32 s5, -1, 0
	s_delay_alu instid0(SALU_CYCLE_1)
	s_and_b32 vcc_lo, exec_lo, s5
	s_cbranch_vccnz .LBB135_1658
; %bb.1656:
	s_clause 0x1
	s_load_b96 s[12:14], s[0:1], 0x1c
	s_load_b96 s[16:18], s[0:1], 0xdc
	s_wait_kmcnt 0x0
	v_mul_hi_u32 v4, s13, v2
	s_delay_alu instid0(VALU_DEP_1) | instskip(NEXT) | instid1(VALU_DEP_1)
	v_add_nc_u32_e32 v4, v2, v4
	v_lshrrev_b32_e32 v4, s14, v4
	s_delay_alu instid0(VALU_DEP_1) | instskip(NEXT) | instid1(VALU_DEP_1)
	v_mul_lo_u32 v4, v4, s12
	v_sub_nc_u32_e32 v2, v2, v4
	s_delay_alu instid0(VALU_DEP_1)
	v_mad_u32 v6, v2, s16, v6
	v_mad_u32 v22, v2, s17, v22
	;; [unrolled: 1-line block ×3, first 2 shown]
	s_and_not1_b32 vcc_lo, exec_lo, s4
	s_cbranch_vccz .LBB135_1659
	s_branch .LBB135_1662
.LBB135_1657:
	s_mov_b32 s4, -1
                                        ; implicit-def: $vgpr20
                                        ; implicit-def: $vgpr22
                                        ; implicit-def: $vgpr6
.LBB135_1658:
	s_delay_alu instid0(SALU_CYCLE_1)
	s_and_not1_b32 vcc_lo, exec_lo, s4
	s_cbranch_vccnz .LBB135_1662
.LBB135_1659:
	s_clause 0x1
	s_load_b96 s[4:6], s[2:3], 0x4
	s_load_b96 s[12:14], s[2:3], 0xc4
	s_cmp_lt_u32 s28, 2
	s_wait_loadcnt 0x0
	s_wait_kmcnt 0x0
	v_mul_hi_u32 v2, s5, v0
	s_delay_alu instid0(VALU_DEP_1) | instskip(NEXT) | instid1(VALU_DEP_1)
	v_add_nc_u32_e32 v2, v0, v2
	v_lshrrev_b32_e32 v2, s6, v2
	s_delay_alu instid0(VALU_DEP_1) | instskip(NEXT) | instid1(VALU_DEP_1)
	v_mul_lo_u32 v4, v2, s4
	v_sub_nc_u32_e32 v4, v0, v4
	s_delay_alu instid0(VALU_DEP_1)
	v_mul_lo_u32 v6, v4, s12
	v_mul_lo_u32 v20, v4, s14
	;; [unrolled: 1-line block ×3, first 2 shown]
	s_cbranch_scc1 .LBB135_1662
; %bb.1660:
	s_clause 0x1
	s_load_b96 s[4:6], s[2:3], 0x10
	s_load_b96 s[12:14], s[2:3], 0xd0
	s_wait_kmcnt 0x0
	v_mul_hi_u32 v4, s5, v2
	s_delay_alu instid0(VALU_DEP_1) | instskip(NEXT) | instid1(VALU_DEP_1)
	v_add_nc_u32_e32 v4, v2, v4
	v_lshrrev_b32_e32 v4, s6, v4
	s_delay_alu instid0(VALU_DEP_1) | instskip(NEXT) | instid1(VALU_DEP_1)
	v_mul_lo_u32 v4, v4, s4
	v_sub_nc_u32_e32 v2, v2, v4
	s_delay_alu instid0(VALU_DEP_1)
	v_mad_u32 v6, v2, s12, v6
	v_mad_u32 v22, v2, s13, v22
	;; [unrolled: 1-line block ×3, first 2 shown]
	s_branch .LBB135_1662
.LBB135_1661:
	v_dual_mov_b32 v20, 0 :: v_dual_mov_b32 v22, 0
	v_mov_b32_e32 v6, 0
	s_and_not1_b32 vcc_lo, exec_lo, s4
	s_cbranch_vccz .LBB135_1659
.LBB135_1662:
	v_cmp_ne_u32_e32 vcc_lo, 1, v3
	s_wait_loadcnt 0x0
	v_add_nc_u32_e32 v2, 0x80, v0
	s_cbranch_vccnz .LBB135_1668
; %bb.1663:
	s_cmp_lg_u32 s28, 0
	s_mov_b32 s4, 0
	s_cbranch_scc0 .LBB135_1672
; %bb.1664:
	s_min_u32 s5, s29, 15
	v_dual_mov_b32 v4, 0 :: v_dual_mov_b32 v5, v2
	v_dual_mov_b32 v18, 0 :: v_dual_mov_b32 v16, 0
	s_add_co_i32 s6, s5, 1
	s_mov_b64 s[0:1], 0xffffffffffffffe8
	s_and_b32 s6, s6, 30
	s_add_nc_u64 s[0:1], s[2:3], s[0:1]
.LBB135_1665:                           ; =>This Inner Loop Header: Depth=1
	s_clause 0x1
	s_load_b128 s[12:15], s[0:1], 0x1c
	s_load_b64 s[8:9], s[0:1], 0x2c
	s_add_co_i32 s6, s6, -2
	s_delay_alu instid0(SALU_CYCLE_1) | instskip(SKIP_2) | instid1(VALU_DEP_1)
	s_cmp_lg_u32 s6, 0
	s_wait_kmcnt 0x0
	v_mul_hi_u32 v7, s13, v5
	v_add_nc_u32_e32 v7, v5, v7
	s_delay_alu instid0(VALU_DEP_1) | instskip(NEXT) | instid1(VALU_DEP_1)
	v_lshrrev_b32_e32 v7, s14, v7
	v_mul_hi_u32 v8, s8, v7
	v_mul_lo_u32 v9, v7, s12
	s_clause 0x1
	s_load_b128 s[16:19], s[0:1], 0xdc
	s_load_b64 s[12:13], s[0:1], 0xec
	s_wait_xcnt 0x0
	s_add_nc_u64 s[0:1], s[0:1], 24
	s_delay_alu instid0(VALU_DEP_1) | instskip(NEXT) | instid1(VALU_DEP_1)
	v_dual_add_nc_u32 v8, v7, v8 :: v_dual_sub_nc_u32 v9, v5, v9
	v_lshrrev_b32_e32 v5, s9, v8
	s_wait_kmcnt 0x0
	s_delay_alu instid0(VALU_DEP_2) | instskip(NEXT) | instid1(VALU_DEP_2)
	v_mad_u32 v4, v9, s16, v4
	v_mul_lo_u32 v8, v5, s15
	v_mad_u32 v10, v9, s18, v16
	v_mad_u32 v9, v9, s17, v18
	s_delay_alu instid0(VALU_DEP_3) | instskip(NEXT) | instid1(VALU_DEP_1)
	v_sub_nc_u32_e32 v7, v7, v8
	v_mad_u32 v4, v7, s19, v4
	s_delay_alu instid0(VALU_DEP_4) | instskip(NEXT) | instid1(VALU_DEP_4)
	v_mad_u32 v16, v7, s13, v10
	v_mad_u32 v18, v7, s12, v9
	s_cbranch_scc1 .LBB135_1665
; %bb.1666:
	s_bitcmp1_b32 s5, 0
	s_cselect_b32 s5, -1, 0
	s_delay_alu instid0(SALU_CYCLE_1)
	s_and_b32 vcc_lo, exec_lo, s5
	s_cbranch_vccnz .LBB135_1669
; %bb.1667:
	s_clause 0x1
	s_load_b96 s[12:14], s[0:1], 0x1c
	s_load_b96 s[16:18], s[0:1], 0xdc
	s_wait_kmcnt 0x0
	v_mul_hi_u32 v7, s13, v5
	s_delay_alu instid0(VALU_DEP_1) | instskip(NEXT) | instid1(VALU_DEP_1)
	v_add_nc_u32_e32 v7, v5, v7
	v_lshrrev_b32_e32 v7, s14, v7
	s_delay_alu instid0(VALU_DEP_1) | instskip(NEXT) | instid1(VALU_DEP_1)
	v_mul_lo_u32 v7, v7, s12
	v_sub_nc_u32_e32 v5, v5, v7
	s_delay_alu instid0(VALU_DEP_1)
	v_mad_u32 v4, v5, s16, v4
	v_mad_u32 v18, v5, s17, v18
	;; [unrolled: 1-line block ×3, first 2 shown]
	s_and_not1_b32 vcc_lo, exec_lo, s4
	s_cbranch_vccz .LBB135_1670
	s_branch .LBB135_1673
.LBB135_1668:
	s_mov_b32 s4, -1
                                        ; implicit-def: $vgpr16
                                        ; implicit-def: $vgpr18
                                        ; implicit-def: $vgpr4
.LBB135_1669:
	s_delay_alu instid0(SALU_CYCLE_1)
	s_and_not1_b32 vcc_lo, exec_lo, s4
	s_cbranch_vccnz .LBB135_1673
.LBB135_1670:
	s_clause 0x1
	s_load_b96 s[4:6], s[2:3], 0x4
	s_load_b96 s[12:14], s[2:3], 0xc4
	s_cmp_lt_u32 s28, 2
	s_wait_kmcnt 0x0
	v_mul_hi_u32 v4, s5, v2
	s_delay_alu instid0(VALU_DEP_1) | instskip(NEXT) | instid1(VALU_DEP_1)
	v_add_nc_u32_e32 v4, v2, v4
	v_lshrrev_b32_e32 v5, s6, v4
	s_delay_alu instid0(VALU_DEP_1) | instskip(NEXT) | instid1(VALU_DEP_1)
	v_mul_lo_u32 v4, v5, s4
	v_sub_nc_u32_e32 v2, v2, v4
	s_delay_alu instid0(VALU_DEP_1)
	v_mul_lo_u32 v4, v2, s12
	v_mul_lo_u32 v16, v2, s14
	;; [unrolled: 1-line block ×3, first 2 shown]
	s_cbranch_scc1 .LBB135_1673
; %bb.1671:
	s_clause 0x1
	s_load_b96 s[4:6], s[2:3], 0x10
	s_load_b96 s[12:14], s[2:3], 0xd0
	s_wait_kmcnt 0x0
	v_mul_hi_u32 v2, s5, v5
	s_delay_alu instid0(VALU_DEP_1) | instskip(NEXT) | instid1(VALU_DEP_1)
	v_add_nc_u32_e32 v2, v5, v2
	v_lshrrev_b32_e32 v2, s6, v2
	s_delay_alu instid0(VALU_DEP_1) | instskip(NEXT) | instid1(VALU_DEP_1)
	v_mul_lo_u32 v2, v2, s4
	v_sub_nc_u32_e32 v2, v5, v2
	s_delay_alu instid0(VALU_DEP_1)
	v_mad_u32 v4, v2, s12, v4
	v_mad_u32 v18, v2, s13, v18
	;; [unrolled: 1-line block ×3, first 2 shown]
	s_branch .LBB135_1673
.LBB135_1672:
	v_dual_mov_b32 v16, 0 :: v_dual_mov_b32 v18, 0
	v_mov_b32_e32 v4, 0
	s_and_not1_b32 vcc_lo, exec_lo, s4
	s_cbranch_vccz .LBB135_1670
.LBB135_1673:
	v_cmp_ne_u32_e32 vcc_lo, 1, v3
	v_add_nc_u32_e32 v0, 0x100, v0
	s_cbranch_vccnz .LBB135_1679
; %bb.1674:
	s_cmp_lg_u32 s28, 0
	s_mov_b32 s4, 0
	s_cbranch_scc0 .LBB135_1683
; %bb.1675:
	s_min_u32 s5, s29, 15
	v_dual_mov_b32 v2, 0 :: v_dual_mov_b32 v5, v0
	v_dual_mov_b32 v14, 0 :: v_dual_mov_b32 v12, 0
	s_add_co_i32 s6, s5, 1
	s_mov_b64 s[0:1], 0xffffffffffffffe8
	s_and_b32 s6, s6, 30
	s_add_nc_u64 s[0:1], s[2:3], s[0:1]
.LBB135_1676:                           ; =>This Inner Loop Header: Depth=1
	s_clause 0x1
	s_load_b128 s[12:15], s[0:1], 0x1c
	s_load_b64 s[8:9], s[0:1], 0x2c
	s_add_co_i32 s6, s6, -2
	s_delay_alu instid0(SALU_CYCLE_1) | instskip(SKIP_2) | instid1(VALU_DEP_1)
	s_cmp_lg_u32 s6, 0
	s_wait_kmcnt 0x0
	v_mul_hi_u32 v7, s13, v5
	v_add_nc_u32_e32 v7, v5, v7
	s_delay_alu instid0(VALU_DEP_1) | instskip(NEXT) | instid1(VALU_DEP_1)
	v_lshrrev_b32_e32 v7, s14, v7
	v_mul_hi_u32 v8, s8, v7
	v_mul_lo_u32 v9, v7, s12
	s_clause 0x1
	s_load_b128 s[16:19], s[0:1], 0xdc
	s_load_b64 s[12:13], s[0:1], 0xec
	s_wait_xcnt 0x0
	s_add_nc_u64 s[0:1], s[0:1], 24
	s_delay_alu instid0(VALU_DEP_1) | instskip(NEXT) | instid1(VALU_DEP_1)
	v_dual_add_nc_u32 v8, v7, v8 :: v_dual_sub_nc_u32 v9, v5, v9
	v_lshrrev_b32_e32 v5, s9, v8
	s_wait_kmcnt 0x0
	s_delay_alu instid0(VALU_DEP_2) | instskip(NEXT) | instid1(VALU_DEP_2)
	v_mad_u32 v2, v9, s16, v2
	v_mul_lo_u32 v8, v5, s15
	v_mad_u32 v10, v9, s18, v12
	v_mad_u32 v9, v9, s17, v14
	s_delay_alu instid0(VALU_DEP_3) | instskip(NEXT) | instid1(VALU_DEP_1)
	v_sub_nc_u32_e32 v7, v7, v8
	v_mad_u32 v2, v7, s19, v2
	s_delay_alu instid0(VALU_DEP_4) | instskip(NEXT) | instid1(VALU_DEP_4)
	v_mad_u32 v12, v7, s13, v10
	v_mad_u32 v14, v7, s12, v9
	s_cbranch_scc1 .LBB135_1676
; %bb.1677:
	s_bitcmp1_b32 s5, 0
	s_cselect_b32 s5, -1, 0
	s_delay_alu instid0(SALU_CYCLE_1)
	s_and_b32 vcc_lo, exec_lo, s5
	s_cbranch_vccnz .LBB135_1680
; %bb.1678:
	s_clause 0x1
	s_load_b96 s[12:14], s[0:1], 0x1c
	s_load_b96 s[16:18], s[0:1], 0xdc
	s_wait_kmcnt 0x0
	v_mul_hi_u32 v7, s13, v5
	s_delay_alu instid0(VALU_DEP_1) | instskip(NEXT) | instid1(VALU_DEP_1)
	v_add_nc_u32_e32 v7, v5, v7
	v_lshrrev_b32_e32 v7, s14, v7
	s_delay_alu instid0(VALU_DEP_1) | instskip(NEXT) | instid1(VALU_DEP_1)
	v_mul_lo_u32 v7, v7, s12
	v_sub_nc_u32_e32 v5, v5, v7
	s_delay_alu instid0(VALU_DEP_1)
	v_mad_u32 v2, v5, s16, v2
	v_mad_u32 v14, v5, s17, v14
	;; [unrolled: 1-line block ×3, first 2 shown]
	s_and_not1_b32 vcc_lo, exec_lo, s4
	s_cbranch_vccz .LBB135_1681
	s_branch .LBB135_1684
.LBB135_1679:
	s_mov_b32 s4, -1
                                        ; implicit-def: $vgpr12
                                        ; implicit-def: $vgpr14
                                        ; implicit-def: $vgpr2
.LBB135_1680:
	s_delay_alu instid0(SALU_CYCLE_1)
	s_and_not1_b32 vcc_lo, exec_lo, s4
	s_cbranch_vccnz .LBB135_1684
.LBB135_1681:
	s_clause 0x1
	s_load_b96 s[4:6], s[2:3], 0x4
	s_load_b96 s[12:14], s[2:3], 0xc4
	s_cmp_lt_u32 s28, 2
	s_wait_kmcnt 0x0
	v_mul_hi_u32 v2, s5, v0
	s_delay_alu instid0(VALU_DEP_1) | instskip(NEXT) | instid1(VALU_DEP_1)
	v_add_nc_u32_e32 v2, v0, v2
	v_lshrrev_b32_e32 v5, s6, v2
	s_delay_alu instid0(VALU_DEP_1) | instskip(NEXT) | instid1(VALU_DEP_1)
	v_mul_lo_u32 v2, v5, s4
	v_sub_nc_u32_e32 v0, v0, v2
	s_delay_alu instid0(VALU_DEP_1)
	v_mul_lo_u32 v2, v0, s12
	v_mul_lo_u32 v12, v0, s14
	;; [unrolled: 1-line block ×3, first 2 shown]
	s_cbranch_scc1 .LBB135_1684
; %bb.1682:
	s_clause 0x1
	s_load_b96 s[4:6], s[2:3], 0x10
	s_load_b96 s[12:14], s[2:3], 0xd0
	s_wait_kmcnt 0x0
	v_mul_hi_u32 v0, s5, v5
	s_delay_alu instid0(VALU_DEP_1) | instskip(NEXT) | instid1(VALU_DEP_1)
	v_add_nc_u32_e32 v0, v5, v0
	v_lshrrev_b32_e32 v0, s6, v0
	s_delay_alu instid0(VALU_DEP_1) | instskip(NEXT) | instid1(VALU_DEP_1)
	v_mul_lo_u32 v0, v0, s4
	v_sub_nc_u32_e32 v0, v5, v0
	s_delay_alu instid0(VALU_DEP_1)
	v_mad_u32 v2, v0, s12, v2
	v_mad_u32 v14, v0, s13, v14
	;; [unrolled: 1-line block ×3, first 2 shown]
	s_branch .LBB135_1684
.LBB135_1683:
	v_dual_mov_b32 v12, 0 :: v_dual_mov_b32 v14, 0
	v_mov_b32_e32 v2, 0
	s_and_not1_b32 vcc_lo, exec_lo, s4
	s_cbranch_vccz .LBB135_1681
.LBB135_1684:
	v_cmp_ne_u32_e32 vcc_lo, 1, v3
	s_cbranch_vccnz .LBB135_1690
; %bb.1685:
	s_cmp_lg_u32 s28, 0
	s_mov_b32 s4, 0
	s_cbranch_scc0 .LBB135_1694
; %bb.1686:
	s_min_u32 s5, s29, 15
	v_dual_mov_b32 v0, 0 :: v_dual_mov_b32 v3, v1
	v_dual_mov_b32 v10, 0 :: v_dual_mov_b32 v8, 0
	s_add_co_i32 s6, s5, 1
	s_mov_b64 s[0:1], 0xffffffffffffffe8
	s_and_b32 s6, s6, 30
	s_add_nc_u64 s[0:1], s[2:3], s[0:1]
.LBB135_1687:                           ; =>This Inner Loop Header: Depth=1
	s_clause 0x1
	s_load_b128 s[12:15], s[0:1], 0x1c
	s_load_b64 s[8:9], s[0:1], 0x2c
	s_add_co_i32 s6, s6, -2
	s_delay_alu instid0(SALU_CYCLE_1) | instskip(SKIP_2) | instid1(VALU_DEP_1)
	s_cmp_lg_u32 s6, 0
	s_wait_kmcnt 0x0
	v_mul_hi_u32 v5, s13, v3
	v_add_nc_u32_e32 v5, v3, v5
	s_delay_alu instid0(VALU_DEP_1) | instskip(NEXT) | instid1(VALU_DEP_1)
	v_lshrrev_b32_e32 v5, s14, v5
	v_mul_hi_u32 v7, s8, v5
	v_mul_lo_u32 v9, v5, s12
	s_clause 0x1
	s_load_b128 s[16:19], s[0:1], 0xdc
	s_load_b64 s[12:13], s[0:1], 0xec
	s_wait_xcnt 0x0
	s_add_nc_u64 s[0:1], s[0:1], 24
	s_delay_alu instid0(VALU_DEP_1) | instskip(NEXT) | instid1(VALU_DEP_1)
	v_dual_add_nc_u32 v7, v5, v7 :: v_dual_sub_nc_u32 v9, v3, v9
	v_lshrrev_b32_e32 v3, s9, v7
	s_wait_kmcnt 0x0
	s_delay_alu instid0(VALU_DEP_2) | instskip(NEXT) | instid1(VALU_DEP_2)
	v_mad_u32 v0, v9, s16, v0
	v_mul_lo_u32 v7, v3, s15
	v_mad_u32 v8, v9, s18, v8
	v_mad_u32 v9, v9, s17, v10
	s_delay_alu instid0(VALU_DEP_3) | instskip(NEXT) | instid1(VALU_DEP_1)
	v_sub_nc_u32_e32 v5, v5, v7
	v_mad_u32 v0, v5, s19, v0
	s_delay_alu instid0(VALU_DEP_4) | instskip(NEXT) | instid1(VALU_DEP_4)
	v_mad_u32 v8, v5, s13, v8
	v_mad_u32 v10, v5, s12, v9
	s_cbranch_scc1 .LBB135_1687
; %bb.1688:
	s_bitcmp1_b32 s5, 0
	s_cselect_b32 s5, -1, 0
	s_delay_alu instid0(SALU_CYCLE_1)
	s_and_b32 vcc_lo, exec_lo, s5
	s_cbranch_vccnz .LBB135_1691
; %bb.1689:
	s_clause 0x1
	s_load_b96 s[12:14], s[0:1], 0x1c
	s_load_b96 s[16:18], s[0:1], 0xdc
	s_wait_kmcnt 0x0
	v_mul_hi_u32 v5, s13, v3
	s_delay_alu instid0(VALU_DEP_1) | instskip(NEXT) | instid1(VALU_DEP_1)
	v_add_nc_u32_e32 v5, v3, v5
	v_lshrrev_b32_e32 v5, s14, v5
	s_delay_alu instid0(VALU_DEP_1) | instskip(NEXT) | instid1(VALU_DEP_1)
	v_mul_lo_u32 v5, v5, s12
	v_sub_nc_u32_e32 v3, v3, v5
	s_delay_alu instid0(VALU_DEP_1)
	v_mad_u32 v0, v3, s16, v0
	v_mad_u32 v10, v3, s17, v10
	;; [unrolled: 1-line block ×3, first 2 shown]
	s_and_not1_b32 vcc_lo, exec_lo, s4
	s_cbranch_vccz .LBB135_1692
	s_branch .LBB135_1695
.LBB135_1690:
	s_mov_b32 s4, -1
                                        ; implicit-def: $vgpr8
                                        ; implicit-def: $vgpr10
                                        ; implicit-def: $vgpr0
.LBB135_1691:
	s_delay_alu instid0(SALU_CYCLE_1)
	s_and_not1_b32 vcc_lo, exec_lo, s4
	s_cbranch_vccnz .LBB135_1695
.LBB135_1692:
	s_clause 0x1
	s_load_b96 s[4:6], s[2:3], 0x4
	s_load_b96 s[12:14], s[2:3], 0xc4
	s_cmp_lt_u32 s28, 2
	s_wait_kmcnt 0x0
	v_mul_hi_u32 v0, s5, v1
	s_delay_alu instid0(VALU_DEP_1) | instskip(NEXT) | instid1(VALU_DEP_1)
	v_add_nc_u32_e32 v0, v1, v0
	v_lshrrev_b32_e32 v3, s6, v0
	s_delay_alu instid0(VALU_DEP_1) | instskip(NEXT) | instid1(VALU_DEP_1)
	v_mul_lo_u32 v0, v3, s4
	v_sub_nc_u32_e32 v1, v1, v0
	s_delay_alu instid0(VALU_DEP_1)
	v_mul_lo_u32 v0, v1, s12
	v_mul_lo_u32 v8, v1, s14
	;; [unrolled: 1-line block ×3, first 2 shown]
	s_cbranch_scc1 .LBB135_1695
; %bb.1693:
	s_clause 0x1
	s_load_b96 s[4:6], s[2:3], 0x10
	s_load_b96 s[12:14], s[2:3], 0xd0
	s_wait_kmcnt 0x0
	v_mul_hi_u32 v1, s5, v3
	s_delay_alu instid0(VALU_DEP_1) | instskip(NEXT) | instid1(VALU_DEP_1)
	v_add_nc_u32_e32 v1, v3, v1
	v_lshrrev_b32_e32 v1, s6, v1
	s_delay_alu instid0(VALU_DEP_1) | instskip(NEXT) | instid1(VALU_DEP_1)
	v_mul_lo_u32 v1, v1, s4
	v_sub_nc_u32_e32 v1, v3, v1
	s_delay_alu instid0(VALU_DEP_1)
	v_mad_u32 v0, v1, s12, v0
	v_mad_u32 v10, v1, s13, v10
	;; [unrolled: 1-line block ×3, first 2 shown]
	s_branch .LBB135_1695
.LBB135_1694:
	v_dual_mov_b32 v8, 0 :: v_dual_mov_b32 v10, 0
	v_mov_b32_e32 v0, 0
	s_and_not1_b32 vcc_lo, exec_lo, s4
	s_cbranch_vccz .LBB135_1692
.LBB135_1695:
	v_mov_b32_e32 v23, 0
	s_load_b128 s[4:7], s[2:3], 0x188
	global_load_u8 v1, v23, s[2:3] offset:421
	s_wait_kmcnt 0x0
	v_add_nc_u64_e32 v[24:25], s[6:7], v[22:23]
	s_wait_loadcnt 0x0
	v_and_b32_e32 v3, 0xffff, v1
	v_readfirstlane_b32 s14, v1
	s_delay_alu instid0(VALU_DEP_2)
	v_cmp_gt_i32_e32 vcc_lo, 11, v3
	s_cbranch_vccnz .LBB135_1702
; %bb.1696:
	s_and_b32 s0, 0xffff, s14
	s_mov_b32 s8, 0
	s_cmp_gt_i32 s0, 25
	s_cbranch_scc0 .LBB135_1704
; %bb.1697:
	s_cmp_gt_i32 s0, 28
	s_cbranch_scc0 .LBB135_1705
; %bb.1698:
	s_cmp_gt_i32 s0, 43
	s_cbranch_scc0 .LBB135_1706
; %bb.1699:
	s_cmp_gt_i32 s0, 45
	s_cbranch_scc0 .LBB135_1707
; %bb.1700:
	s_cmp_eq_u32 s0, 46
	s_mov_b32 s12, 0
	s_cbranch_scc0 .LBB135_1710
; %bb.1701:
	global_load_b32 v1, v[24:25], off
	s_mov_b32 s1, 0
	s_mov_b32 s9, -1
	s_wait_loadcnt 0x0
	s_wait_xcnt 0x1
	v_and_b32_e32 v23, 0xffff0000, v1
	v_lshlrev_b32_e32 v22, 16, v1
	s_branch .LBB135_1712
.LBB135_1702:
	s_mov_b32 s9, 0
	s_mov_b32 s1, s10
                                        ; implicit-def: $vgpr23
	s_cbranch_execnz .LBB135_1778
.LBB135_1703:
	s_and_not1_b32 vcc_lo, exec_lo, s9
	s_cbranch_vccz .LBB135_1825
	s_branch .LBB135_2793
.LBB135_1704:
	s_mov_b32 s9, 0
	s_mov_b32 s1, 0
                                        ; implicit-def: $vgpr23
	s_cbranch_execnz .LBB135_1742
	s_branch .LBB135_1774
.LBB135_1705:
	s_mov_b32 s9, 0
	s_mov_b32 s1, 0
                                        ; implicit-def: $vgpr23
	s_cbranch_execnz .LBB135_1724
	s_branch .LBB135_1741
.LBB135_1706:
	s_mov_b32 s12, -1
	s_mov_b32 s9, 0
	s_mov_b32 s1, 0
                                        ; implicit-def: $vgpr23
	s_branch .LBB135_1718
.LBB135_1707:
	s_mov_b32 s12, -1
	s_mov_b32 s9, 0
	s_mov_b32 s1, 0
	s_branch .LBB135_1711
.LBB135_1708:
	s_and_not1_saveexec_b32 s10, s10
	s_cbranch_execz .LBB135_1563
.LBB135_1709:
	v_add_f32_e32 v0, 0x46000000, v1
	s_and_not1_b32 s9, s9, exec_lo
	s_delay_alu instid0(VALU_DEP_1) | instskip(NEXT) | instid1(VALU_DEP_1)
	v_and_b32_e32 v0, 0xff, v0
	v_cmp_ne_u32_e32 vcc_lo, 0, v0
	s_and_b32 s11, vcc_lo, exec_lo
	s_delay_alu instid0(SALU_CYCLE_1)
	s_or_b32 s9, s9, s11
	s_or_b32 exec_lo, exec_lo, s10
	v_mov_b32_e32 v2, 0
	s_and_saveexec_b32 s10, s9
	s_cbranch_execnz .LBB135_1564
	s_branch .LBB135_1565
.LBB135_1710:
	s_mov_b32 s1, -1
	s_mov_b32 s9, 0
.LBB135_1711:
                                        ; implicit-def: $vgpr23
.LBB135_1712:
	s_and_b32 vcc_lo, exec_lo, s12
	s_cbranch_vccz .LBB135_1717
; %bb.1713:
	s_cmp_eq_u32 s0, 44
	s_cbranch_scc0 .LBB135_1715
; %bb.1714:
	global_load_u8 v1, v[24:25], off
	s_mov_b32 s1, 0
	s_mov_b32 s9, -1
	s_wait_loadcnt 0x0
	v_lshlrev_b32_e32 v3, 23, v1
	v_cmp_ne_u32_e32 vcc_lo, 0xff, v1
	s_delay_alu instid0(VALU_DEP_2) | instskip(SKIP_1) | instid1(VALU_DEP_2)
	v_cndmask_b32_e32 v3, 0x7f800001, v3, vcc_lo
	v_cmp_ne_u32_e32 vcc_lo, 0, v1
	v_cndmask_b32_e32 v22, 0x400000, v3, vcc_lo
	s_branch .LBB135_1716
.LBB135_1715:
	s_mov_b32 s1, -1
                                        ; implicit-def: $vgpr22
.LBB135_1716:
	s_wait_xcnt 0x0
	v_mov_b32_e32 v23, 0
.LBB135_1717:
	s_mov_b32 s12, 0
.LBB135_1718:
	s_delay_alu instid0(SALU_CYCLE_1)
	s_and_b32 vcc_lo, exec_lo, s12
	s_cbranch_vccz .LBB135_1723
; %bb.1719:
	s_cmp_eq_u32 s0, 29
	s_cbranch_scc0 .LBB135_1721
; %bb.1720:
	global_load_b64 v[22:23], v[24:25], off
	s_mov_b32 s1, 0
	s_mov_b32 s9, -1
	s_wait_loadcnt 0x0
	v_clz_i32_u32_e32 v1, v23
	s_delay_alu instid0(VALU_DEP_1) | instskip(NEXT) | instid1(VALU_DEP_1)
	v_min_u32_e32 v1, 32, v1
	v_lshlrev_b64_e32 v[22:23], v1, v[22:23]
	v_sub_nc_u32_e32 v1, 32, v1
	s_delay_alu instid0(VALU_DEP_2) | instskip(NEXT) | instid1(VALU_DEP_1)
	v_min_u32_e32 v3, 1, v22
	v_or_b32_e32 v3, v23, v3
	s_delay_alu instid0(VALU_DEP_1) | instskip(NEXT) | instid1(VALU_DEP_1)
	v_cvt_f32_u32_e32 v3, v3
	v_ldexp_f32 v22, v3, v1
	s_branch .LBB135_1722
.LBB135_1721:
	s_mov_b32 s1, -1
                                        ; implicit-def: $vgpr22
.LBB135_1722:
	s_wait_xcnt 0x0
	v_mov_b32_e32 v23, 0
.LBB135_1723:
	s_branch .LBB135_1741
.LBB135_1724:
	s_cmp_lt_i32 s0, 27
	s_cbranch_scc1 .LBB135_1727
; %bb.1725:
	s_cmp_gt_i32 s0, 27
	s_cbranch_scc0 .LBB135_1728
; %bb.1726:
	global_load_b32 v1, v[24:25], off
	s_mov_b32 s9, 0
	s_wait_loadcnt 0x0
	v_cvt_f32_u32_e32 v22, v1
	s_branch .LBB135_1729
.LBB135_1727:
	s_mov_b32 s9, -1
                                        ; implicit-def: $vgpr22
	s_branch .LBB135_1732
.LBB135_1728:
	s_mov_b32 s9, -1
                                        ; implicit-def: $vgpr22
.LBB135_1729:
	s_delay_alu instid0(SALU_CYCLE_1)
	s_and_not1_b32 vcc_lo, exec_lo, s9
	s_cbranch_vccnz .LBB135_1731
; %bb.1730:
	global_load_u16 v1, v[24:25], off
	s_wait_loadcnt 0x0
	v_cvt_f32_u32_e32 v22, v1
.LBB135_1731:
	s_mov_b32 s9, 0
.LBB135_1732:
	s_delay_alu instid0(SALU_CYCLE_1)
	s_and_not1_b32 vcc_lo, exec_lo, s9
	s_cbranch_vccnz .LBB135_1740
; %bb.1733:
	global_load_u8 v1, v[24:25], off
	s_mov_b32 s9, 0
	s_mov_b32 s12, exec_lo
	s_wait_loadcnt 0x0
	v_cmpx_lt_i16_e32 0x7f, v1
	s_xor_b32 s12, exec_lo, s12
	s_cbranch_execz .LBB135_1753
; %bb.1734:
	s_mov_b32 s9, -1
	s_mov_b32 s13, exec_lo
	v_cmpx_eq_u16_e32 0x80, v1
; %bb.1735:
	s_xor_b32 s9, exec_lo, -1
; %bb.1736:
	s_or_b32 exec_lo, exec_lo, s13
	s_delay_alu instid0(SALU_CYCLE_1)
	s_and_b32 s9, s9, exec_lo
	s_or_saveexec_b32 s12, s12
	v_mov_b32_e32 v22, 0x7f800001
	s_xor_b32 exec_lo, exec_lo, s12
	s_cbranch_execnz .LBB135_1754
.LBB135_1737:
	s_or_b32 exec_lo, exec_lo, s12
	s_and_saveexec_b32 s12, s9
	s_cbranch_execz .LBB135_1739
.LBB135_1738:
	v_and_b32_e32 v3, 0xffff, v1
	s_delay_alu instid0(VALU_DEP_1) | instskip(SKIP_1) | instid1(VALU_DEP_2)
	v_dual_lshlrev_b32 v1, 24, v1 :: v_dual_bitop2_b32 v5, 7, v3 bitop3:0x40
	v_bfe_u32 v11, v3, 3, 4
	v_and_b32_e32 v1, 0x80000000, v1
	s_delay_alu instid0(VALU_DEP_3) | instskip(NEXT) | instid1(VALU_DEP_3)
	v_clz_i32_u32_e32 v7, v5
	v_cmp_eq_u32_e32 vcc_lo, 0, v11
	s_delay_alu instid0(VALU_DEP_2) | instskip(NEXT) | instid1(VALU_DEP_1)
	v_min_u32_e32 v7, 32, v7
	v_subrev_nc_u32_e32 v9, 28, v7
	v_sub_nc_u32_e32 v7, 29, v7
	s_delay_alu instid0(VALU_DEP_2) | instskip(NEXT) | instid1(VALU_DEP_2)
	v_lshlrev_b32_e32 v3, v9, v3
	v_cndmask_b32_e32 v7, v11, v7, vcc_lo
	s_delay_alu instid0(VALU_DEP_2) | instskip(NEXT) | instid1(VALU_DEP_1)
	v_and_b32_e32 v3, 7, v3
	v_cndmask_b32_e32 v3, v5, v3, vcc_lo
	s_delay_alu instid0(VALU_DEP_3) | instskip(NEXT) | instid1(VALU_DEP_2)
	v_lshl_add_u32 v5, v7, 23, 0x3b800000
	v_lshlrev_b32_e32 v3, 20, v3
	s_delay_alu instid0(VALU_DEP_1)
	v_or3_b32 v22, v1, v5, v3
.LBB135_1739:
	s_or_b32 exec_lo, exec_lo, s12
.LBB135_1740:
	s_wait_xcnt 0x0
	v_mov_b32_e32 v23, 0
	s_mov_b32 s9, -1
.LBB135_1741:
	s_branch .LBB135_1774
.LBB135_1742:
	s_cmp_gt_i32 s0, 22
	s_cbranch_scc0 .LBB135_1752
; %bb.1743:
	s_cmp_lt_i32 s0, 24
	s_cbranch_scc1 .LBB135_1755
; %bb.1744:
	s_cmp_gt_i32 s0, 24
	s_cbranch_scc0 .LBB135_1756
; %bb.1745:
	global_load_u8 v1, v[24:25], off
	s_mov_b32 s9, exec_lo
	s_wait_loadcnt 0x0
	v_cmpx_lt_i16_e32 0x7f, v1
	s_xor_b32 s9, exec_lo, s9
	s_cbranch_execz .LBB135_1767
; %bb.1746:
	s_mov_b32 s8, -1
	s_mov_b32 s12, exec_lo
	v_cmpx_eq_u16_e32 0x80, v1
; %bb.1747:
	s_xor_b32 s8, exec_lo, -1
; %bb.1748:
	s_or_b32 exec_lo, exec_lo, s12
	s_delay_alu instid0(SALU_CYCLE_1)
	s_and_b32 s8, s8, exec_lo
	s_or_saveexec_b32 s9, s9
	v_mov_b32_e32 v22, 0x7f800001
	s_xor_b32 exec_lo, exec_lo, s9
	s_cbranch_execnz .LBB135_1768
.LBB135_1749:
	s_or_b32 exec_lo, exec_lo, s9
	s_and_saveexec_b32 s9, s8
	s_cbranch_execz .LBB135_1751
.LBB135_1750:
	v_and_b32_e32 v3, 0xffff, v1
	s_delay_alu instid0(VALU_DEP_1) | instskip(SKIP_1) | instid1(VALU_DEP_2)
	v_dual_lshlrev_b32 v1, 24, v1 :: v_dual_bitop2_b32 v5, 3, v3 bitop3:0x40
	v_bfe_u32 v11, v3, 2, 5
	v_and_b32_e32 v1, 0x80000000, v1
	s_delay_alu instid0(VALU_DEP_3) | instskip(NEXT) | instid1(VALU_DEP_3)
	v_clz_i32_u32_e32 v7, v5
	v_cmp_eq_u32_e32 vcc_lo, 0, v11
	s_delay_alu instid0(VALU_DEP_2) | instskip(NEXT) | instid1(VALU_DEP_1)
	v_min_u32_e32 v7, 32, v7
	v_subrev_nc_u32_e32 v9, 29, v7
	v_sub_nc_u32_e32 v7, 30, v7
	s_delay_alu instid0(VALU_DEP_2) | instskip(NEXT) | instid1(VALU_DEP_2)
	v_lshlrev_b32_e32 v3, v9, v3
	v_cndmask_b32_e32 v7, v11, v7, vcc_lo
	s_delay_alu instid0(VALU_DEP_2) | instskip(NEXT) | instid1(VALU_DEP_1)
	v_and_b32_e32 v3, 3, v3
	v_cndmask_b32_e32 v3, v5, v3, vcc_lo
	s_delay_alu instid0(VALU_DEP_3) | instskip(NEXT) | instid1(VALU_DEP_2)
	v_lshl_add_u32 v5, v7, 23, 0x37800000
	v_lshlrev_b32_e32 v3, 21, v3
	s_delay_alu instid0(VALU_DEP_1)
	v_or3_b32 v22, v1, v5, v3
.LBB135_1751:
	s_or_b32 exec_lo, exec_lo, s9
	s_mov_b32 s8, 0
	s_branch .LBB135_1757
.LBB135_1752:
                                        ; implicit-def: $vgpr22
	s_mov_b32 s8, 0
	s_branch .LBB135_1763
.LBB135_1753:
	s_or_saveexec_b32 s12, s12
	v_mov_b32_e32 v22, 0x7f800001
	s_xor_b32 exec_lo, exec_lo, s12
	s_cbranch_execz .LBB135_1737
.LBB135_1754:
	v_cmp_ne_u16_e32 vcc_lo, 0, v1
	v_mov_b32_e32 v22, 0
	s_and_not1_b32 s9, s9, exec_lo
	s_and_b32 s13, vcc_lo, exec_lo
	s_delay_alu instid0(SALU_CYCLE_1)
	s_or_b32 s9, s9, s13
	s_or_b32 exec_lo, exec_lo, s12
	s_and_saveexec_b32 s12, s9
	s_cbranch_execnz .LBB135_1738
	s_branch .LBB135_1739
.LBB135_1755:
	s_mov_b32 s8, -1
                                        ; implicit-def: $vgpr22
	s_branch .LBB135_1760
.LBB135_1756:
	s_mov_b32 s8, -1
                                        ; implicit-def: $vgpr22
.LBB135_1757:
	s_delay_alu instid0(SALU_CYCLE_1)
	s_and_b32 vcc_lo, exec_lo, s8
	s_cbranch_vccz .LBB135_1759
; %bb.1758:
	global_load_u8 v1, v[24:25], off
	s_wait_loadcnt 0x0
	v_lshlrev_b32_e32 v1, 24, v1
	s_delay_alu instid0(VALU_DEP_1) | instskip(NEXT) | instid1(VALU_DEP_1)
	v_and_b32_e32 v3, 0x7f000000, v1
	v_clz_i32_u32_e32 v5, v3
	v_add_nc_u32_e32 v9, 0x1000000, v3
	v_cmp_ne_u32_e32 vcc_lo, 0, v3
	s_delay_alu instid0(VALU_DEP_3) | instskip(NEXT) | instid1(VALU_DEP_1)
	v_min_u32_e32 v5, 32, v5
	v_sub_nc_u32_e64 v5, v5, 4 clamp
	s_delay_alu instid0(VALU_DEP_1) | instskip(NEXT) | instid1(VALU_DEP_1)
	v_dual_lshlrev_b32 v7, v5, v3 :: v_dual_lshlrev_b32 v5, 23, v5
	v_lshrrev_b32_e32 v7, 4, v7
	s_delay_alu instid0(VALU_DEP_1) | instskip(SKIP_1) | instid1(VALU_DEP_2)
	v_sub_nc_u32_e32 v5, v7, v5
	v_ashrrev_i32_e32 v7, 8, v9
	v_add_nc_u32_e32 v5, 0x3c000000, v5
	s_delay_alu instid0(VALU_DEP_1) | instskip(NEXT) | instid1(VALU_DEP_1)
	v_and_or_b32 v5, 0x7f800000, v7, v5
	v_cndmask_b32_e32 v3, 0, v5, vcc_lo
	s_delay_alu instid0(VALU_DEP_1)
	v_and_or_b32 v22, 0x80000000, v1, v3
.LBB135_1759:
	s_mov_b32 s8, 0
.LBB135_1760:
	s_delay_alu instid0(SALU_CYCLE_1)
	s_and_not1_b32 vcc_lo, exec_lo, s8
	s_cbranch_vccnz .LBB135_1762
; %bb.1761:
	global_load_u8 v1, v[24:25], off
	s_wait_loadcnt 0x0
	v_lshlrev_b32_e32 v3, 25, v1
	v_lshlrev_b16 v1, 8, v1
	s_delay_alu instid0(VALU_DEP_1) | instskip(SKIP_1) | instid1(VALU_DEP_2)
	v_and_or_b32 v7, 0x7f00, v1, 0.5
	v_bfe_i32 v1, v1, 0, 16
	v_add_f32_e32 v7, -0.5, v7
	v_lshrrev_b32_e32 v5, 4, v3
	v_cmp_gt_u32_e32 vcc_lo, 0x8000000, v3
	s_delay_alu instid0(VALU_DEP_2) | instskip(NEXT) | instid1(VALU_DEP_1)
	v_or_b32_e32 v5, 0x70000000, v5
	v_mul_f32_e32 v5, 0x7800000, v5
	s_delay_alu instid0(VALU_DEP_1) | instskip(NEXT) | instid1(VALU_DEP_1)
	v_cndmask_b32_e32 v3, v5, v7, vcc_lo
	v_and_or_b32 v22, 0x80000000, v1, v3
.LBB135_1762:
	s_mov_b32 s9, -1
	s_mov_b32 s8, 0
	s_cbranch_execnz .LBB135_1773
.LBB135_1763:
	s_cmp_gt_i32 s0, 14
	s_cbranch_scc0 .LBB135_1766
; %bb.1764:
	s_cmp_eq_u32 s0, 15
	s_cbranch_scc0 .LBB135_1769
; %bb.1765:
	global_load_u16 v1, v[24:25], off
	s_mov_b32 s1, 0
	s_mov_b32 s9, -1
	s_wait_loadcnt 0x0
	v_lshlrev_b32_e32 v22, 16, v1
	s_branch .LBB135_1771
.LBB135_1766:
	s_mov_b32 s8, -1
	s_branch .LBB135_1770
.LBB135_1767:
	s_or_saveexec_b32 s9, s9
	v_mov_b32_e32 v22, 0x7f800001
	s_xor_b32 exec_lo, exec_lo, s9
	s_cbranch_execz .LBB135_1749
.LBB135_1768:
	v_cmp_ne_u16_e32 vcc_lo, 0, v1
	v_mov_b32_e32 v22, 0
	s_and_not1_b32 s8, s8, exec_lo
	s_and_b32 s12, vcc_lo, exec_lo
	s_delay_alu instid0(SALU_CYCLE_1)
	s_or_b32 s8, s8, s12
	s_or_b32 exec_lo, exec_lo, s9
	s_and_saveexec_b32 s9, s8
	s_cbranch_execnz .LBB135_1750
	s_branch .LBB135_1751
.LBB135_1769:
	s_mov_b32 s1, -1
.LBB135_1770:
                                        ; implicit-def: $vgpr22
.LBB135_1771:
	s_and_b32 vcc_lo, exec_lo, s8
	s_mov_b32 s8, 0
	s_cbranch_vccz .LBB135_1773
; %bb.1772:
	s_cmp_lg_u32 s0, 11
	s_mov_b32 s8, -1
	s_cselect_b32 s1, -1, 0
.LBB135_1773:
	s_wait_xcnt 0x0
	v_mov_b32_e32 v23, 0
.LBB135_1774:
	s_and_b32 vcc_lo, exec_lo, s1
	s_mov_b32 s1, s10
	s_cbranch_vccnz .LBB135_1837
; %bb.1775:
	s_and_not1_b32 vcc_lo, exec_lo, s8
	s_cbranch_vccnz .LBB135_1777
.LBB135_1776:
	global_load_u8 v1, v[24:25], off
	s_wait_xcnt 0x1
	v_mov_b32_e32 v23, 0
	s_mov_b32 s9, -1
	s_wait_loadcnt 0x0
	v_cmp_ne_u16_e32 vcc_lo, 0, v1
	v_cndmask_b32_e64 v22, 0, 1.0, vcc_lo
.LBB135_1777:
	s_branch .LBB135_1703
.LBB135_1778:
	s_and_b32 s0, 0xffff, s14
	s_delay_alu instid0(SALU_CYCLE_1)
	s_cmp_lt_i32 s0, 5
	s_cbranch_scc1 .LBB135_1783
; %bb.1779:
	s_cmp_lt_i32 s0, 8
	s_cbranch_scc1 .LBB135_1785
; %bb.1780:
	;; [unrolled: 3-line block ×3, first 2 shown]
	s_cmp_gt_i32 s0, 9
	s_cbranch_scc0 .LBB135_1787
; %bb.1782:
	global_load_b128 v[26:29], v[24:25], off
	s_mov_b32 s8, 0
	s_wait_loadcnt 0x0
	v_cvt_f32_f64_e32 v22, v[26:27]
	s_wait_xcnt 0x1
	v_cvt_f32_f64_e32 v23, v[28:29]
	s_branch .LBB135_1788
.LBB135_1783:
                                        ; implicit-def: $vgpr23
	s_branch .LBB135_1806
.LBB135_1784:
	s_branch .LBB135_1825
.LBB135_1785:
                                        ; implicit-def: $vgpr23
	s_branch .LBB135_1794
.LBB135_1786:
	s_mov_b32 s8, -1
                                        ; implicit-def: $vgpr23
	s_branch .LBB135_1791
.LBB135_1787:
	s_mov_b32 s8, -1
                                        ; implicit-def: $vgpr23
.LBB135_1788:
	s_delay_alu instid0(SALU_CYCLE_1)
	s_and_not1_b32 vcc_lo, exec_lo, s8
	s_cbranch_vccnz .LBB135_1790
; %bb.1789:
	global_load_b64 v[22:23], v[24:25], off
.LBB135_1790:
	s_mov_b32 s8, 0
.LBB135_1791:
	s_delay_alu instid0(SALU_CYCLE_1)
	s_and_not1_b32 vcc_lo, exec_lo, s8
	s_cbranch_vccnz .LBB135_1793
; %bb.1792:
	global_load_b32 v1, v[24:25], off
	s_wait_loadcnt 0x0
	v_lshrrev_b32_e32 v3, 16, v1
	v_cvt_f32_f16_e32 v22, v1
	s_wait_xcnt 0x1
	s_delay_alu instid0(VALU_DEP_2)
	v_cvt_f32_f16_e32 v23, v3
.LBB135_1793:
	s_cbranch_execnz .LBB135_1805
.LBB135_1794:
	s_cmp_lt_i32 s0, 6
	s_cbranch_scc1 .LBB135_1797
; %bb.1795:
	s_cmp_gt_i32 s0, 6
	s_cbranch_scc0 .LBB135_1798
; %bb.1796:
	s_wait_loadcnt 0x0
	global_load_b64 v[22:23], v[24:25], off
	s_mov_b32 s8, 0
	s_wait_loadcnt 0x0
	v_cvt_f32_f64_e32 v22, v[22:23]
	s_branch .LBB135_1799
.LBB135_1797:
	s_mov_b32 s8, -1
                                        ; implicit-def: $vgpr22
	s_branch .LBB135_1802
.LBB135_1798:
	s_mov_b32 s8, -1
                                        ; implicit-def: $vgpr22
.LBB135_1799:
	s_delay_alu instid0(SALU_CYCLE_1)
	s_and_not1_b32 vcc_lo, exec_lo, s8
	s_cbranch_vccnz .LBB135_1801
; %bb.1800:
	s_wait_loadcnt 0x0
	global_load_b32 v22, v[24:25], off
.LBB135_1801:
	s_mov_b32 s8, 0
.LBB135_1802:
	s_delay_alu instid0(SALU_CYCLE_1)
	s_and_not1_b32 vcc_lo, exec_lo, s8
	s_cbranch_vccnz .LBB135_1804
; %bb.1803:
	global_load_u16 v1, v[24:25], off
	s_wait_loadcnt 0x0
	v_cvt_f32_f16_e32 v22, v1
.LBB135_1804:
	s_wait_loadcnt 0x0
	v_mov_b32_e32 v23, 0
.LBB135_1805:
	s_cbranch_execnz .LBB135_1784
.LBB135_1806:
	s_cmp_lt_i32 s0, 2
	s_cbranch_scc1 .LBB135_1810
; %bb.1807:
	s_cmp_lt_i32 s0, 3
	s_cbranch_scc1 .LBB135_1811
; %bb.1808:
	s_cmp_gt_i32 s0, 3
	s_cbranch_scc0 .LBB135_1812
; %bb.1809:
	s_wait_loadcnt 0x0
	global_load_b64 v[22:23], v[24:25], off
	s_mov_b32 s8, 0
	s_wait_loadcnt 0x0
	v_xor_b32_e32 v1, v22, v23
	v_cls_i32_e32 v3, v23
	s_delay_alu instid0(VALU_DEP_2) | instskip(NEXT) | instid1(VALU_DEP_1)
	v_ashrrev_i32_e32 v1, 31, v1
	v_add_nc_u32_e32 v1, 32, v1
	s_delay_alu instid0(VALU_DEP_1) | instskip(NEXT) | instid1(VALU_DEP_1)
	v_add_min_u32_e64 v1, v3, -1, v1
	v_lshlrev_b64_e32 v[22:23], v1, v[22:23]
	v_sub_nc_u32_e32 v1, 32, v1
	s_delay_alu instid0(VALU_DEP_2) | instskip(NEXT) | instid1(VALU_DEP_1)
	v_min_u32_e32 v3, 1, v22
	v_or_b32_e32 v3, v23, v3
	s_delay_alu instid0(VALU_DEP_1) | instskip(NEXT) | instid1(VALU_DEP_1)
	v_cvt_f32_i32_e32 v3, v3
	v_ldexp_f32 v22, v3, v1
	s_branch .LBB135_1813
.LBB135_1810:
                                        ; implicit-def: $vgpr22
	s_branch .LBB135_1819
.LBB135_1811:
	s_mov_b32 s8, -1
                                        ; implicit-def: $vgpr22
	s_branch .LBB135_1816
.LBB135_1812:
	s_mov_b32 s8, -1
                                        ; implicit-def: $vgpr22
.LBB135_1813:
	s_delay_alu instid0(SALU_CYCLE_1)
	s_and_not1_b32 vcc_lo, exec_lo, s8
	s_cbranch_vccnz .LBB135_1815
; %bb.1814:
	global_load_b32 v1, v[24:25], off
	s_wait_loadcnt 0x0
	v_cvt_f32_i32_e32 v22, v1
.LBB135_1815:
	s_mov_b32 s8, 0
.LBB135_1816:
	s_delay_alu instid0(SALU_CYCLE_1)
	s_and_not1_b32 vcc_lo, exec_lo, s8
	s_cbranch_vccnz .LBB135_1818
; %bb.1817:
	global_load_i16 v1, v[24:25], off
	s_wait_loadcnt 0x0
	v_cvt_f32_i32_e32 v22, v1
.LBB135_1818:
	s_cbranch_execnz .LBB135_1824
.LBB135_1819:
	s_cmp_gt_i32 s0, 0
	s_mov_b32 s0, 0
	s_cbranch_scc0 .LBB135_1821
; %bb.1820:
	global_load_i8 v1, v[24:25], off
	s_wait_loadcnt 0x0
	v_cvt_f32_i32_e32 v22, v1
	s_branch .LBB135_1822
.LBB135_1821:
	s_mov_b32 s0, -1
                                        ; implicit-def: $vgpr22
.LBB135_1822:
	s_delay_alu instid0(SALU_CYCLE_1)
	s_and_not1_b32 vcc_lo, exec_lo, s0
	s_cbranch_vccnz .LBB135_1824
; %bb.1823:
	global_load_u8 v1, v[24:25], off
	s_wait_loadcnt 0x0
	v_cvt_f32_ubyte0_e32 v22, v1
.LBB135_1824:
	s_wait_loadcnt 0x0
	v_mov_b32_e32 v23, 0
.LBB135_1825:
	v_mov_b32_e32 v21, 0
	s_load_b64 s[8:9], s[2:3], 0x198
	global_load_u8 v1, v21, s[2:3] offset:422
	s_wait_kmcnt 0x0
	v_add_nc_u64_e32 v[20:21], s[8:9], v[20:21]
	s_wait_loadcnt 0x0
	v_and_b32_e32 v3, 0xffff, v1
	v_readfirstlane_b32 s16, v1
	s_delay_alu instid0(VALU_DEP_2)
	v_cmp_gt_i32_e32 vcc_lo, 11, v3
	s_cbranch_vccnz .LBB135_1832
; %bb.1826:
	s_and_b32 s0, 0xffff, s16
	s_mov_b32 s13, 0
	s_cmp_gt_i32 s0, 25
	s_cbranch_scc0 .LBB135_1834
; %bb.1827:
	s_cmp_gt_i32 s0, 28
	s_cbranch_scc0 .LBB135_1835
; %bb.1828:
	;; [unrolled: 3-line block ×4, first 2 shown]
	s_cmp_eq_u32 s0, 46
	s_mov_b32 s17, 0
	s_cbranch_scc0 .LBB135_1841
; %bb.1831:
	global_load_b32 v1, v[20:21], off
	s_mov_b32 s12, 0
	s_mov_b32 s15, -1
	s_wait_loadcnt 0x0
	v_and_b32_e32 v25, 0xffff0000, v1
	v_lshlrev_b32_e32 v24, 16, v1
	s_branch .LBB135_1843
.LBB135_1832:
	s_mov_b32 s15, 0
                                        ; implicit-def: $vgpr25
	s_cbranch_execnz .LBB135_1911
.LBB135_1833:
	s_and_not1_b32 vcc_lo, exec_lo, s15
	s_cbranch_vccnz .LBB135_2793
	s_branch .LBB135_1960
.LBB135_1834:
	s_mov_b32 s15, 0
	s_mov_b32 s12, 0
                                        ; implicit-def: $vgpr25
	s_cbranch_execnz .LBB135_1874
	s_branch .LBB135_1907
.LBB135_1835:
	s_mov_b32 s17, -1
	s_mov_b32 s15, 0
	s_mov_b32 s12, 0
                                        ; implicit-def: $vgpr25
	s_branch .LBB135_1855
.LBB135_1836:
	s_mov_b32 s17, -1
	s_mov_b32 s15, 0
	s_mov_b32 s12, 0
                                        ; implicit-def: $vgpr25
	s_branch .LBB135_1849
.LBB135_1837:
	s_or_b32 s1, s10, exec_lo
	s_trap 2
	s_cbranch_execz .LBB135_1776
	s_branch .LBB135_1777
.LBB135_1838:
	s_mov_b32 s17, -1
	s_mov_b32 s15, 0
	s_mov_b32 s12, 0
	s_branch .LBB135_1842
.LBB135_1839:
	s_and_not1_saveexec_b32 s11, s11
	s_cbranch_execz .LBB135_1575
.LBB135_1840:
	v_add_f32_e32 v0, 0x42800000, v1
	s_and_not1_b32 s10, s10, exec_lo
	s_delay_alu instid0(VALU_DEP_1) | instskip(NEXT) | instid1(VALU_DEP_1)
	v_and_b32_e32 v0, 0xff, v0
	v_cmp_ne_u32_e32 vcc_lo, 0, v0
	s_and_b32 s12, vcc_lo, exec_lo
	s_delay_alu instid0(SALU_CYCLE_1)
	s_or_b32 s10, s10, s12
	s_or_b32 exec_lo, exec_lo, s11
	v_mov_b32_e32 v2, 0
	s_and_saveexec_b32 s11, s10
	s_cbranch_execnz .LBB135_1576
	s_branch .LBB135_1577
.LBB135_1841:
	s_mov_b32 s12, -1
	s_mov_b32 s15, 0
.LBB135_1842:
                                        ; implicit-def: $vgpr25
.LBB135_1843:
	s_and_b32 vcc_lo, exec_lo, s17
	s_cbranch_vccz .LBB135_1848
; %bb.1844:
	s_cmp_eq_u32 s0, 44
	s_cbranch_scc0 .LBB135_1846
; %bb.1845:
	global_load_u8 v1, v[20:21], off
	s_mov_b32 s12, 0
	s_mov_b32 s15, -1
	s_wait_loadcnt 0x0
	v_lshlrev_b32_e32 v3, 23, v1
	v_cmp_ne_u32_e32 vcc_lo, 0xff, v1
	s_delay_alu instid0(VALU_DEP_2) | instskip(SKIP_1) | instid1(VALU_DEP_2)
	v_cndmask_b32_e32 v3, 0x7f800001, v3, vcc_lo
	v_cmp_ne_u32_e32 vcc_lo, 0, v1
	v_cndmask_b32_e32 v24, 0x400000, v3, vcc_lo
	s_branch .LBB135_1847
.LBB135_1846:
	s_mov_b32 s12, -1
                                        ; implicit-def: $vgpr24
.LBB135_1847:
	v_mov_b32_e32 v25, 0
.LBB135_1848:
	s_mov_b32 s17, 0
.LBB135_1849:
	s_delay_alu instid0(SALU_CYCLE_1)
	s_and_b32 vcc_lo, exec_lo, s17
	s_cbranch_vccz .LBB135_1854
; %bb.1850:
	s_cmp_eq_u32 s0, 29
	s_cbranch_scc0 .LBB135_1852
; %bb.1851:
	global_load_b64 v[24:25], v[20:21], off
	s_mov_b32 s12, 0
	s_mov_b32 s15, -1
	s_wait_loadcnt 0x0
	v_clz_i32_u32_e32 v1, v25
	s_delay_alu instid0(VALU_DEP_1) | instskip(NEXT) | instid1(VALU_DEP_1)
	v_min_u32_e32 v1, 32, v1
	v_lshlrev_b64_e32 v[24:25], v1, v[24:25]
	v_sub_nc_u32_e32 v1, 32, v1
	s_delay_alu instid0(VALU_DEP_2) | instskip(NEXT) | instid1(VALU_DEP_1)
	v_min_u32_e32 v3, 1, v24
	v_or_b32_e32 v3, v25, v3
	s_delay_alu instid0(VALU_DEP_1) | instskip(NEXT) | instid1(VALU_DEP_1)
	v_cvt_f32_u32_e32 v3, v3
	v_ldexp_f32 v24, v3, v1
	s_branch .LBB135_1853
.LBB135_1852:
	s_mov_b32 s12, -1
                                        ; implicit-def: $vgpr24
.LBB135_1853:
	v_mov_b32_e32 v25, 0
.LBB135_1854:
	s_mov_b32 s17, 0
.LBB135_1855:
	s_delay_alu instid0(SALU_CYCLE_1)
	s_and_b32 vcc_lo, exec_lo, s17
	s_cbranch_vccz .LBB135_1873
; %bb.1856:
	s_cmp_lt_i32 s0, 27
	s_cbranch_scc1 .LBB135_1859
; %bb.1857:
	s_cmp_gt_i32 s0, 27
	s_cbranch_scc0 .LBB135_1860
; %bb.1858:
	global_load_b32 v1, v[20:21], off
	s_mov_b32 s15, 0
	s_wait_loadcnt 0x0
	v_cvt_f32_u32_e32 v24, v1
	s_branch .LBB135_1861
.LBB135_1859:
	s_mov_b32 s15, -1
                                        ; implicit-def: $vgpr24
	s_branch .LBB135_1864
.LBB135_1860:
	s_mov_b32 s15, -1
                                        ; implicit-def: $vgpr24
.LBB135_1861:
	s_delay_alu instid0(SALU_CYCLE_1)
	s_and_not1_b32 vcc_lo, exec_lo, s15
	s_cbranch_vccnz .LBB135_1863
; %bb.1862:
	global_load_u16 v1, v[20:21], off
	s_wait_loadcnt 0x0
	v_cvt_f32_u32_e32 v24, v1
.LBB135_1863:
	s_mov_b32 s15, 0
.LBB135_1864:
	s_delay_alu instid0(SALU_CYCLE_1)
	s_and_not1_b32 vcc_lo, exec_lo, s15
	s_cbranch_vccnz .LBB135_1872
; %bb.1865:
	global_load_u8 v1, v[20:21], off
	s_mov_b32 s15, 0
	s_mov_b32 s17, exec_lo
	s_wait_loadcnt 0x0
	v_cmpx_lt_i16_e32 0x7f, v1
	s_xor_b32 s17, exec_lo, s17
	s_cbranch_execz .LBB135_1885
; %bb.1866:
	s_mov_b32 s15, -1
	s_mov_b32 s18, exec_lo
	v_cmpx_eq_u16_e32 0x80, v1
; %bb.1867:
	s_xor_b32 s15, exec_lo, -1
; %bb.1868:
	s_or_b32 exec_lo, exec_lo, s18
	s_delay_alu instid0(SALU_CYCLE_1)
	s_and_b32 s15, s15, exec_lo
	s_or_saveexec_b32 s17, s17
	v_mov_b32_e32 v24, 0x7f800001
	s_xor_b32 exec_lo, exec_lo, s17
	s_cbranch_execnz .LBB135_1886
.LBB135_1869:
	s_or_b32 exec_lo, exec_lo, s17
	s_and_saveexec_b32 s17, s15
	s_cbranch_execz .LBB135_1871
.LBB135_1870:
	v_and_b32_e32 v3, 0xffff, v1
	s_delay_alu instid0(VALU_DEP_1) | instskip(SKIP_1) | instid1(VALU_DEP_2)
	v_dual_lshlrev_b32 v1, 24, v1 :: v_dual_bitop2_b32 v5, 7, v3 bitop3:0x40
	v_bfe_u32 v11, v3, 3, 4
	v_and_b32_e32 v1, 0x80000000, v1
	s_delay_alu instid0(VALU_DEP_3) | instskip(NEXT) | instid1(VALU_DEP_3)
	v_clz_i32_u32_e32 v7, v5
	v_cmp_eq_u32_e32 vcc_lo, 0, v11
	s_delay_alu instid0(VALU_DEP_2) | instskip(NEXT) | instid1(VALU_DEP_1)
	v_min_u32_e32 v7, 32, v7
	v_subrev_nc_u32_e32 v9, 28, v7
	v_sub_nc_u32_e32 v7, 29, v7
	s_delay_alu instid0(VALU_DEP_2) | instskip(NEXT) | instid1(VALU_DEP_2)
	v_lshlrev_b32_e32 v3, v9, v3
	v_cndmask_b32_e32 v7, v11, v7, vcc_lo
	s_delay_alu instid0(VALU_DEP_2) | instskip(NEXT) | instid1(VALU_DEP_1)
	v_and_b32_e32 v3, 7, v3
	v_cndmask_b32_e32 v3, v5, v3, vcc_lo
	s_delay_alu instid0(VALU_DEP_3) | instskip(NEXT) | instid1(VALU_DEP_2)
	v_lshl_add_u32 v5, v7, 23, 0x3b800000
	v_lshlrev_b32_e32 v3, 20, v3
	s_delay_alu instid0(VALU_DEP_1)
	v_or3_b32 v24, v1, v5, v3
.LBB135_1871:
	s_or_b32 exec_lo, exec_lo, s17
.LBB135_1872:
	v_mov_b32_e32 v25, 0
	s_mov_b32 s15, -1
.LBB135_1873:
	s_branch .LBB135_1907
.LBB135_1874:
	s_cmp_gt_i32 s0, 22
	s_cbranch_scc0 .LBB135_1884
; %bb.1875:
	s_cmp_lt_i32 s0, 24
	s_cbranch_scc1 .LBB135_1887
; %bb.1876:
	s_cmp_gt_i32 s0, 24
	s_cbranch_scc0 .LBB135_1888
; %bb.1877:
	global_load_u8 v1, v[20:21], off
	s_mov_b32 s15, exec_lo
	s_wait_loadcnt 0x0
	v_cmpx_lt_i16_e32 0x7f, v1
	s_xor_b32 s15, exec_lo, s15
	s_cbranch_execz .LBB135_1900
; %bb.1878:
	s_mov_b32 s13, -1
	s_mov_b32 s17, exec_lo
	v_cmpx_eq_u16_e32 0x80, v1
; %bb.1879:
	s_xor_b32 s13, exec_lo, -1
; %bb.1880:
	s_or_b32 exec_lo, exec_lo, s17
	s_delay_alu instid0(SALU_CYCLE_1)
	s_and_b32 s13, s13, exec_lo
	s_or_saveexec_b32 s15, s15
	v_mov_b32_e32 v24, 0x7f800001
	s_xor_b32 exec_lo, exec_lo, s15
	s_cbranch_execnz .LBB135_1901
.LBB135_1881:
	s_or_b32 exec_lo, exec_lo, s15
	s_and_saveexec_b32 s15, s13
	s_cbranch_execz .LBB135_1883
.LBB135_1882:
	v_and_b32_e32 v3, 0xffff, v1
	s_delay_alu instid0(VALU_DEP_1) | instskip(SKIP_1) | instid1(VALU_DEP_2)
	v_dual_lshlrev_b32 v1, 24, v1 :: v_dual_bitop2_b32 v5, 3, v3 bitop3:0x40
	v_bfe_u32 v11, v3, 2, 5
	v_and_b32_e32 v1, 0x80000000, v1
	s_delay_alu instid0(VALU_DEP_3) | instskip(NEXT) | instid1(VALU_DEP_3)
	v_clz_i32_u32_e32 v7, v5
	v_cmp_eq_u32_e32 vcc_lo, 0, v11
	s_delay_alu instid0(VALU_DEP_2) | instskip(NEXT) | instid1(VALU_DEP_1)
	v_min_u32_e32 v7, 32, v7
	v_subrev_nc_u32_e32 v9, 29, v7
	v_sub_nc_u32_e32 v7, 30, v7
	s_delay_alu instid0(VALU_DEP_2) | instskip(NEXT) | instid1(VALU_DEP_2)
	v_lshlrev_b32_e32 v3, v9, v3
	v_cndmask_b32_e32 v7, v11, v7, vcc_lo
	s_delay_alu instid0(VALU_DEP_2) | instskip(NEXT) | instid1(VALU_DEP_1)
	v_and_b32_e32 v3, 3, v3
	v_cndmask_b32_e32 v3, v5, v3, vcc_lo
	s_delay_alu instid0(VALU_DEP_3) | instskip(NEXT) | instid1(VALU_DEP_2)
	v_lshl_add_u32 v5, v7, 23, 0x37800000
	v_lshlrev_b32_e32 v3, 21, v3
	s_delay_alu instid0(VALU_DEP_1)
	v_or3_b32 v24, v1, v5, v3
.LBB135_1883:
	s_or_b32 exec_lo, exec_lo, s15
	s_mov_b32 s13, 0
	s_branch .LBB135_1889
.LBB135_1884:
	s_mov_b32 s13, -1
                                        ; implicit-def: $vgpr24
	s_branch .LBB135_1895
.LBB135_1885:
	s_or_saveexec_b32 s17, s17
	v_mov_b32_e32 v24, 0x7f800001
	s_xor_b32 exec_lo, exec_lo, s17
	s_cbranch_execz .LBB135_1869
.LBB135_1886:
	v_cmp_ne_u16_e32 vcc_lo, 0, v1
	v_mov_b32_e32 v24, 0
	s_and_not1_b32 s15, s15, exec_lo
	s_and_b32 s18, vcc_lo, exec_lo
	s_delay_alu instid0(SALU_CYCLE_1)
	s_or_b32 s15, s15, s18
	s_or_b32 exec_lo, exec_lo, s17
	s_and_saveexec_b32 s17, s15
	s_cbranch_execnz .LBB135_1870
	s_branch .LBB135_1871
.LBB135_1887:
	s_mov_b32 s13, -1
                                        ; implicit-def: $vgpr24
	s_branch .LBB135_1892
.LBB135_1888:
	s_mov_b32 s13, -1
                                        ; implicit-def: $vgpr24
.LBB135_1889:
	s_delay_alu instid0(SALU_CYCLE_1)
	s_and_b32 vcc_lo, exec_lo, s13
	s_cbranch_vccz .LBB135_1891
; %bb.1890:
	global_load_u8 v1, v[20:21], off
	s_wait_loadcnt 0x0
	v_lshlrev_b32_e32 v1, 24, v1
	s_delay_alu instid0(VALU_DEP_1) | instskip(NEXT) | instid1(VALU_DEP_1)
	v_and_b32_e32 v3, 0x7f000000, v1
	v_clz_i32_u32_e32 v5, v3
	v_add_nc_u32_e32 v9, 0x1000000, v3
	v_cmp_ne_u32_e32 vcc_lo, 0, v3
	s_delay_alu instid0(VALU_DEP_3) | instskip(NEXT) | instid1(VALU_DEP_1)
	v_min_u32_e32 v5, 32, v5
	v_sub_nc_u32_e64 v5, v5, 4 clamp
	s_delay_alu instid0(VALU_DEP_1) | instskip(NEXT) | instid1(VALU_DEP_1)
	v_dual_lshlrev_b32 v7, v5, v3 :: v_dual_lshlrev_b32 v5, 23, v5
	v_lshrrev_b32_e32 v7, 4, v7
	s_delay_alu instid0(VALU_DEP_1) | instskip(SKIP_1) | instid1(VALU_DEP_2)
	v_sub_nc_u32_e32 v5, v7, v5
	v_ashrrev_i32_e32 v7, 8, v9
	v_add_nc_u32_e32 v5, 0x3c000000, v5
	s_delay_alu instid0(VALU_DEP_1) | instskip(NEXT) | instid1(VALU_DEP_1)
	v_and_or_b32 v5, 0x7f800000, v7, v5
	v_cndmask_b32_e32 v3, 0, v5, vcc_lo
	s_delay_alu instid0(VALU_DEP_1)
	v_and_or_b32 v24, 0x80000000, v1, v3
.LBB135_1891:
	s_mov_b32 s13, 0
.LBB135_1892:
	s_delay_alu instid0(SALU_CYCLE_1)
	s_and_not1_b32 vcc_lo, exec_lo, s13
	s_cbranch_vccnz .LBB135_1894
; %bb.1893:
	global_load_u8 v1, v[20:21], off
	s_wait_loadcnt 0x0
	v_lshlrev_b32_e32 v3, 25, v1
	v_lshlrev_b16 v1, 8, v1
	s_delay_alu instid0(VALU_DEP_1) | instskip(SKIP_1) | instid1(VALU_DEP_2)
	v_and_or_b32 v7, 0x7f00, v1, 0.5
	v_bfe_i32 v1, v1, 0, 16
	v_add_f32_e32 v7, -0.5, v7
	v_lshrrev_b32_e32 v5, 4, v3
	v_cmp_gt_u32_e32 vcc_lo, 0x8000000, v3
	s_delay_alu instid0(VALU_DEP_2) | instskip(NEXT) | instid1(VALU_DEP_1)
	v_or_b32_e32 v5, 0x70000000, v5
	v_mul_f32_e32 v5, 0x7800000, v5
	s_delay_alu instid0(VALU_DEP_1) | instskip(NEXT) | instid1(VALU_DEP_1)
	v_cndmask_b32_e32 v3, v5, v7, vcc_lo
	v_and_or_b32 v24, 0x80000000, v1, v3
.LBB135_1894:
	s_mov_b32 s13, 0
	s_mov_b32 s15, -1
.LBB135_1895:
	s_and_not1_b32 vcc_lo, exec_lo, s13
	s_mov_b32 s13, 0
	s_cbranch_vccnz .LBB135_1906
; %bb.1896:
	s_cmp_gt_i32 s0, 14
	s_cbranch_scc0 .LBB135_1899
; %bb.1897:
	s_cmp_eq_u32 s0, 15
	s_cbranch_scc0 .LBB135_1902
; %bb.1898:
	global_load_u16 v1, v[20:21], off
	s_mov_b32 s12, 0
	s_mov_b32 s15, -1
	s_wait_loadcnt 0x0
	v_lshlrev_b32_e32 v24, 16, v1
	s_branch .LBB135_1904
.LBB135_1899:
	s_mov_b32 s13, -1
	s_branch .LBB135_1903
.LBB135_1900:
	s_or_saveexec_b32 s15, s15
	v_mov_b32_e32 v24, 0x7f800001
	s_xor_b32 exec_lo, exec_lo, s15
	s_cbranch_execz .LBB135_1881
.LBB135_1901:
	v_cmp_ne_u16_e32 vcc_lo, 0, v1
	v_mov_b32_e32 v24, 0
	s_and_not1_b32 s13, s13, exec_lo
	s_and_b32 s17, vcc_lo, exec_lo
	s_delay_alu instid0(SALU_CYCLE_1)
	s_or_b32 s13, s13, s17
	s_or_b32 exec_lo, exec_lo, s15
	s_and_saveexec_b32 s15, s13
	s_cbranch_execnz .LBB135_1882
	s_branch .LBB135_1883
.LBB135_1902:
	s_mov_b32 s12, -1
.LBB135_1903:
                                        ; implicit-def: $vgpr24
.LBB135_1904:
	s_and_b32 vcc_lo, exec_lo, s13
	s_mov_b32 s13, 0
	s_cbranch_vccz .LBB135_1906
; %bb.1905:
	s_cmp_lg_u32 s0, 11
	s_mov_b32 s13, -1
	s_cselect_b32 s12, -1, 0
.LBB135_1906:
	v_mov_b32_e32 v25, 0
.LBB135_1907:
	s_and_b32 vcc_lo, exec_lo, s12
	s_cbranch_vccnz .LBB135_1988
; %bb.1908:
	s_and_not1_b32 vcc_lo, exec_lo, s13
	s_cbranch_vccnz .LBB135_1910
.LBB135_1909:
	global_load_u8 v1, v[20:21], off
	v_mov_b32_e32 v25, 0
	s_mov_b32 s15, -1
	s_wait_loadcnt 0x0
	v_cmp_ne_u16_e32 vcc_lo, 0, v1
	v_cndmask_b32_e64 v24, 0, 1.0, vcc_lo
.LBB135_1910:
	s_branch .LBB135_1833
.LBB135_1911:
	s_and_b32 s0, 0xffff, s16
	s_delay_alu instid0(SALU_CYCLE_1)
	s_cmp_lt_i32 s0, 5
	s_cbranch_scc1 .LBB135_1916
; %bb.1912:
	s_cmp_lt_i32 s0, 8
	s_cbranch_scc1 .LBB135_1918
; %bb.1913:
	;; [unrolled: 3-line block ×3, first 2 shown]
	s_cmp_gt_i32 s0, 9
	s_cbranch_scc0 .LBB135_1920
; %bb.1915:
	global_load_b128 v[24:27], v[20:21], off
	s_mov_b32 s12, 0
	s_wait_loadcnt 0x0
	v_cvt_f32_f64_e32 v24, v[24:25]
	v_cvt_f32_f64_e32 v25, v[26:27]
	s_branch .LBB135_1921
.LBB135_1916:
                                        ; implicit-def: $vgpr25
	s_branch .LBB135_1940
.LBB135_1917:
	s_branch .LBB135_1960
.LBB135_1918:
	s_mov_b32 s12, -1
                                        ; implicit-def: $vgpr25
	s_branch .LBB135_1927
.LBB135_1919:
	s_mov_b32 s12, -1
                                        ; implicit-def: $vgpr25
	s_branch .LBB135_1924
.LBB135_1920:
	s_mov_b32 s12, -1
                                        ; implicit-def: $vgpr25
.LBB135_1921:
	s_delay_alu instid0(SALU_CYCLE_1)
	s_and_not1_b32 vcc_lo, exec_lo, s12
	s_cbranch_vccnz .LBB135_1923
; %bb.1922:
	global_load_b64 v[24:25], v[20:21], off
.LBB135_1923:
	s_mov_b32 s12, 0
.LBB135_1924:
	s_delay_alu instid0(SALU_CYCLE_1)
	s_and_not1_b32 vcc_lo, exec_lo, s12
	s_cbranch_vccnz .LBB135_1926
; %bb.1925:
	global_load_b32 v1, v[20:21], off
	s_wait_loadcnt 0x0
	v_lshrrev_b32_e32 v3, 16, v1
	v_cvt_f32_f16_e32 v24, v1
	s_delay_alu instid0(VALU_DEP_2)
	v_cvt_f32_f16_e32 v25, v3
.LBB135_1926:
	s_mov_b32 s12, 0
.LBB135_1927:
	s_delay_alu instid0(SALU_CYCLE_1)
	s_and_not1_b32 vcc_lo, exec_lo, s12
	s_cbranch_vccnz .LBB135_1939
; %bb.1928:
	s_cmp_lt_i32 s0, 6
	s_cbranch_scc1 .LBB135_1931
; %bb.1929:
	s_cmp_gt_i32 s0, 6
	s_cbranch_scc0 .LBB135_1932
; %bb.1930:
	s_wait_loadcnt 0x0
	global_load_b64 v[24:25], v[20:21], off
	s_mov_b32 s12, 0
	s_wait_loadcnt 0x0
	v_cvt_f32_f64_e32 v24, v[24:25]
	s_branch .LBB135_1933
.LBB135_1931:
	s_mov_b32 s12, -1
                                        ; implicit-def: $vgpr24
	s_branch .LBB135_1936
.LBB135_1932:
	s_mov_b32 s12, -1
                                        ; implicit-def: $vgpr24
.LBB135_1933:
	s_delay_alu instid0(SALU_CYCLE_1)
	s_and_not1_b32 vcc_lo, exec_lo, s12
	s_cbranch_vccnz .LBB135_1935
; %bb.1934:
	s_wait_loadcnt 0x0
	global_load_b32 v24, v[20:21], off
.LBB135_1935:
	s_mov_b32 s12, 0
.LBB135_1936:
	s_delay_alu instid0(SALU_CYCLE_1)
	s_and_not1_b32 vcc_lo, exec_lo, s12
	s_cbranch_vccnz .LBB135_1938
; %bb.1937:
	global_load_u16 v1, v[20:21], off
	s_wait_loadcnt 0x0
	v_cvt_f32_f16_e32 v24, v1
.LBB135_1938:
	s_wait_loadcnt 0x0
	v_mov_b32_e32 v25, 0
.LBB135_1939:
	s_cbranch_execnz .LBB135_1917
.LBB135_1940:
	s_cmp_lt_i32 s0, 2
	s_cbranch_scc1 .LBB135_1944
; %bb.1941:
	s_cmp_lt_i32 s0, 3
	s_cbranch_scc1 .LBB135_1945
; %bb.1942:
	s_cmp_gt_i32 s0, 3
	s_cbranch_scc0 .LBB135_1946
; %bb.1943:
	s_wait_loadcnt 0x0
	global_load_b64 v[24:25], v[20:21], off
	s_mov_b32 s12, 0
	s_wait_loadcnt 0x0
	v_xor_b32_e32 v1, v24, v25
	v_cls_i32_e32 v3, v25
	s_delay_alu instid0(VALU_DEP_2) | instskip(NEXT) | instid1(VALU_DEP_1)
	v_ashrrev_i32_e32 v1, 31, v1
	v_add_nc_u32_e32 v1, 32, v1
	s_delay_alu instid0(VALU_DEP_1) | instskip(NEXT) | instid1(VALU_DEP_1)
	v_add_min_u32_e64 v1, v3, -1, v1
	v_lshlrev_b64_e32 v[24:25], v1, v[24:25]
	v_sub_nc_u32_e32 v1, 32, v1
	s_delay_alu instid0(VALU_DEP_2) | instskip(NEXT) | instid1(VALU_DEP_1)
	v_min_u32_e32 v3, 1, v24
	v_or_b32_e32 v3, v25, v3
	s_delay_alu instid0(VALU_DEP_1) | instskip(NEXT) | instid1(VALU_DEP_1)
	v_cvt_f32_i32_e32 v3, v3
	v_ldexp_f32 v24, v3, v1
	s_branch .LBB135_1947
.LBB135_1944:
	s_mov_b32 s12, -1
                                        ; implicit-def: $vgpr24
	s_branch .LBB135_1953
.LBB135_1945:
	s_mov_b32 s12, -1
                                        ; implicit-def: $vgpr24
	s_branch .LBB135_1950
.LBB135_1946:
	s_mov_b32 s12, -1
                                        ; implicit-def: $vgpr24
.LBB135_1947:
	s_delay_alu instid0(SALU_CYCLE_1)
	s_and_not1_b32 vcc_lo, exec_lo, s12
	s_cbranch_vccnz .LBB135_1949
; %bb.1948:
	global_load_b32 v1, v[20:21], off
	s_wait_loadcnt 0x0
	v_cvt_f32_i32_e32 v24, v1
.LBB135_1949:
	s_mov_b32 s12, 0
.LBB135_1950:
	s_delay_alu instid0(SALU_CYCLE_1)
	s_and_not1_b32 vcc_lo, exec_lo, s12
	s_cbranch_vccnz .LBB135_1952
; %bb.1951:
	global_load_i16 v1, v[20:21], off
	s_wait_loadcnt 0x0
	v_cvt_f32_i32_e32 v24, v1
.LBB135_1952:
	s_mov_b32 s12, 0
.LBB135_1953:
	s_delay_alu instid0(SALU_CYCLE_1)
	s_and_not1_b32 vcc_lo, exec_lo, s12
	s_cbranch_vccnz .LBB135_1959
; %bb.1954:
	s_cmp_gt_i32 s0, 0
	s_mov_b32 s0, 0
	s_cbranch_scc0 .LBB135_1956
; %bb.1955:
	global_load_i8 v1, v[20:21], off
	s_wait_loadcnt 0x0
	v_cvt_f32_i32_e32 v24, v1
	s_branch .LBB135_1957
.LBB135_1956:
	s_mov_b32 s0, -1
                                        ; implicit-def: $vgpr24
.LBB135_1957:
	s_delay_alu instid0(SALU_CYCLE_1)
	s_and_not1_b32 vcc_lo, exec_lo, s0
	s_cbranch_vccnz .LBB135_1959
; %bb.1958:
	global_load_u8 v1, v[20:21], off
	s_wait_loadcnt 0x0
	v_cvt_f32_ubyte0_e32 v24, v1
.LBB135_1959:
	s_wait_loadcnt 0x0
	v_mov_b32_e32 v25, 0
.LBB135_1960:
	s_load_b32 s0, s[2:3], 0x1a0
	s_mov_b32 s15, 0
	s_wait_kmcnt 0x0
	s_cmp_lg_u32 s0, 0
	s_cselect_b32 s13, -1, 0
	s_delay_alu instid0(SALU_CYCLE_1)
	s_and_b32 vcc_lo, exec_lo, s13
	s_cbranch_vccz .LBB135_1972
; %bb.1961:
	s_wait_loadcnt 0x0
	s_delay_alu instid0(VALU_DEP_2) | instskip(NEXT) | instid1(VALU_DEP_2)
	v_cmp_neq_f32_e32 vcc_lo, v22, v24
	v_cmp_neq_f32_e64 s0, v23, v25
	s_or_b32 s12, vcc_lo, s0
	s_and_not1_b32 vcc_lo, exec_lo, s15
	s_cbranch_vccnz .LBB135_1963
.LBB135_1962:
	s_wait_loadcnt 0x0
	s_delay_alu instid0(VALU_DEP_1) | instskip(NEXT) | instid1(VALU_DEP_3)
	v_cmp_eq_f32_e32 vcc_lo, v23, v25
	v_cmp_eq_f32_e64 s0, v22, v24
	s_and_not1_b32 s12, s12, exec_lo
	s_and_b32 s0, s0, vcc_lo
	s_delay_alu instid0(SALU_CYCLE_1) | instskip(NEXT) | instid1(SALU_CYCLE_1)
	s_and_b32 s0, s0, exec_lo
	s_or_b32 s12, s12, s0
.LBB135_1963:
	v_mov_b32_e32 v19, 0
	s_and_b32 s15, 0xffff, s14
	s_delay_alu instid0(SALU_CYCLE_1) | instskip(NEXT) | instid1(VALU_DEP_1)
	s_cmp_lt_i32 s15, 11
	v_add_nc_u64_e32 v[20:21], s[6:7], v[18:19]
	s_cbranch_scc1 .LBB135_1970
; %bb.1964:
	s_cmp_gt_i32 s15, 25
	s_mov_b32 s14, 0
	s_cbranch_scc0 .LBB135_1973
; %bb.1965:
	s_cmp_gt_i32 s15, 28
	s_cbranch_scc0 .LBB135_1984
; %bb.1966:
	s_cmp_gt_i32 s15, 43
	;; [unrolled: 3-line block ×3, first 2 shown]
	s_cbranch_scc0 .LBB135_1989
; %bb.1968:
	s_cmp_eq_u32 s15, 46
	s_mov_b32 s18, 0
	s_cbranch_scc0 .LBB135_2043
; %bb.1969:
	global_load_b32 v1, v[20:21], off
	s_mov_b32 s0, 0
	s_mov_b32 s17, -1
	s_wait_loadcnt 0x0
	v_and_b32_e32 v19, 0xffff0000, v1
	v_lshlrev_b32_e32 v18, 16, v1
	s_branch .LBB135_2045
.LBB135_1970:
	s_mov_b32 s17, 0
                                        ; implicit-def: $vgpr19
	s_cbranch_execnz .LBB135_1978
.LBB135_1971:
	s_and_not1_b32 vcc_lo, exec_lo, s17
	s_cbranch_vccnz .LBB135_2793
	s_branch .LBB135_2032
.LBB135_1972:
                                        ; implicit-def: $sgpr12
	s_branch .LBB135_1962
.LBB135_1973:
	s_mov_b32 s17, 0
	s_mov_b32 s0, 0
                                        ; implicit-def: $vgpr19
	s_cbranch_execnz .LBB135_2077
.LBB135_1974:
	s_and_b32 vcc_lo, exec_lo, s0
	s_cbranch_vccnz .LBB135_2110
.LBB135_1975:
	s_and_not1_b32 vcc_lo, exec_lo, s14
	s_cbranch_vccnz .LBB135_1977
.LBB135_1976:
	global_load_u8 v1, v[20:21], off
	v_mov_b32_e32 v19, 0
	s_mov_b32 s17, -1
	s_wait_loadcnt 0x0
	v_cmp_ne_u16_e32 vcc_lo, 0, v1
	v_cndmask_b32_e64 v18, 0, 1.0, vcc_lo
.LBB135_1977:
	s_branch .LBB135_1971
.LBB135_1978:
	s_cmp_lt_i32 s15, 5
	s_cbranch_scc1 .LBB135_1983
; %bb.1979:
	s_cmp_lt_i32 s15, 8
	s_cbranch_scc1 .LBB135_1985
; %bb.1980:
	;; [unrolled: 3-line block ×3, first 2 shown]
	s_cmp_gt_i32 s15, 9
	s_cbranch_scc0 .LBB135_1990
; %bb.1982:
	s_wait_loadcnt 0x0
	global_load_b128 v[22:25], v[20:21], off
	s_mov_b32 s0, 0
	s_wait_loadcnt 0x0
	v_cvt_f32_f64_e32 v18, v[22:23]
	v_cvt_f32_f64_e32 v19, v[24:25]
	s_branch .LBB135_1991
.LBB135_1983:
	s_mov_b32 s0, -1
                                        ; implicit-def: $vgpr19
	s_branch .LBB135_2010
.LBB135_1984:
	s_mov_b32 s18, -1
	s_mov_b32 s17, 0
	s_mov_b32 s0, 0
                                        ; implicit-def: $vgpr19
	s_branch .LBB135_2058
.LBB135_1985:
	s_mov_b32 s0, -1
                                        ; implicit-def: $vgpr19
	s_branch .LBB135_1997
.LBB135_1986:
	s_mov_b32 s18, -1
	s_mov_b32 s17, 0
	s_mov_b32 s0, 0
                                        ; implicit-def: $vgpr19
	s_branch .LBB135_2052
.LBB135_1987:
	s_mov_b32 s0, -1
                                        ; implicit-def: $vgpr19
	s_branch .LBB135_1994
.LBB135_1988:
	s_or_b32 s1, s1, exec_lo
	s_trap 2
	s_cbranch_execz .LBB135_1909
	s_branch .LBB135_1910
.LBB135_1989:
	s_mov_b32 s18, -1
	s_mov_b32 s17, 0
	s_mov_b32 s0, 0
	s_branch .LBB135_2044
.LBB135_1990:
	s_mov_b32 s0, -1
                                        ; implicit-def: $vgpr19
.LBB135_1991:
	s_delay_alu instid0(SALU_CYCLE_1)
	s_and_not1_b32 vcc_lo, exec_lo, s0
	s_cbranch_vccnz .LBB135_1993
; %bb.1992:
	global_load_b64 v[18:19], v[20:21], off
.LBB135_1993:
	s_mov_b32 s0, 0
.LBB135_1994:
	s_delay_alu instid0(SALU_CYCLE_1)
	s_and_not1_b32 vcc_lo, exec_lo, s0
	s_cbranch_vccnz .LBB135_1996
; %bb.1995:
	global_load_b32 v1, v[20:21], off
	s_wait_loadcnt 0x0
	v_lshrrev_b32_e32 v3, 16, v1
	v_cvt_f32_f16_e32 v18, v1
	s_delay_alu instid0(VALU_DEP_2)
	v_cvt_f32_f16_e32 v19, v3
.LBB135_1996:
	s_mov_b32 s0, 0
.LBB135_1997:
	s_delay_alu instid0(SALU_CYCLE_1)
	s_and_not1_b32 vcc_lo, exec_lo, s0
	s_cbranch_vccnz .LBB135_2009
; %bb.1998:
	s_cmp_lt_i32 s15, 6
	s_cbranch_scc1 .LBB135_2001
; %bb.1999:
	s_cmp_gt_i32 s15, 6
	s_cbranch_scc0 .LBB135_2002
; %bb.2000:
	s_wait_loadcnt 0x0
	global_load_b64 v[18:19], v[20:21], off
	s_mov_b32 s0, 0
	s_wait_loadcnt 0x0
	v_cvt_f32_f64_e32 v18, v[18:19]
	s_branch .LBB135_2003
.LBB135_2001:
	s_mov_b32 s0, -1
                                        ; implicit-def: $vgpr18
	s_branch .LBB135_2006
.LBB135_2002:
	s_mov_b32 s0, -1
                                        ; implicit-def: $vgpr18
.LBB135_2003:
	s_delay_alu instid0(SALU_CYCLE_1)
	s_and_not1_b32 vcc_lo, exec_lo, s0
	s_cbranch_vccnz .LBB135_2005
; %bb.2004:
	s_wait_loadcnt 0x0
	global_load_b32 v18, v[20:21], off
.LBB135_2005:
	s_mov_b32 s0, 0
.LBB135_2006:
	s_delay_alu instid0(SALU_CYCLE_1)
	s_and_not1_b32 vcc_lo, exec_lo, s0
	s_cbranch_vccnz .LBB135_2008
; %bb.2007:
	global_load_u16 v1, v[20:21], off
	s_wait_loadcnt 0x0
	v_cvt_f32_f16_e32 v18, v1
.LBB135_2008:
	s_wait_loadcnt 0x0
	v_mov_b32_e32 v19, 0
.LBB135_2009:
	s_mov_b32 s0, 0
.LBB135_2010:
	s_delay_alu instid0(SALU_CYCLE_1)
	s_and_not1_b32 vcc_lo, exec_lo, s0
	s_cbranch_vccnz .LBB135_2031
; %bb.2011:
	s_cmp_lt_i32 s15, 2
	s_cbranch_scc1 .LBB135_2015
; %bb.2012:
	s_cmp_lt_i32 s15, 3
	s_cbranch_scc1 .LBB135_2016
; %bb.2013:
	s_cmp_gt_i32 s15, 3
	s_cbranch_scc0 .LBB135_2017
; %bb.2014:
	s_wait_loadcnt 0x0
	global_load_b64 v[18:19], v[20:21], off
	s_mov_b32 s0, 0
	s_wait_loadcnt 0x0
	v_xor_b32_e32 v1, v18, v19
	v_cls_i32_e32 v3, v19
	s_delay_alu instid0(VALU_DEP_2) | instskip(NEXT) | instid1(VALU_DEP_1)
	v_ashrrev_i32_e32 v1, 31, v1
	v_add_nc_u32_e32 v1, 32, v1
	s_delay_alu instid0(VALU_DEP_1) | instskip(NEXT) | instid1(VALU_DEP_1)
	v_add_min_u32_e64 v1, v3, -1, v1
	v_lshlrev_b64_e32 v[18:19], v1, v[18:19]
	v_sub_nc_u32_e32 v1, 32, v1
	s_delay_alu instid0(VALU_DEP_2) | instskip(NEXT) | instid1(VALU_DEP_1)
	v_min_u32_e32 v3, 1, v18
	v_or_b32_e32 v3, v19, v3
	s_delay_alu instid0(VALU_DEP_1) | instskip(NEXT) | instid1(VALU_DEP_1)
	v_cvt_f32_i32_e32 v3, v3
	v_ldexp_f32 v18, v3, v1
	s_branch .LBB135_2018
.LBB135_2015:
	s_mov_b32 s0, -1
                                        ; implicit-def: $vgpr18
	s_branch .LBB135_2024
.LBB135_2016:
	s_mov_b32 s0, -1
                                        ; implicit-def: $vgpr18
	s_branch .LBB135_2021
.LBB135_2017:
	s_mov_b32 s0, -1
                                        ; implicit-def: $vgpr18
.LBB135_2018:
	s_delay_alu instid0(SALU_CYCLE_1)
	s_and_not1_b32 vcc_lo, exec_lo, s0
	s_cbranch_vccnz .LBB135_2020
; %bb.2019:
	global_load_b32 v1, v[20:21], off
	s_wait_loadcnt 0x0
	v_cvt_f32_i32_e32 v18, v1
.LBB135_2020:
	s_mov_b32 s0, 0
.LBB135_2021:
	s_delay_alu instid0(SALU_CYCLE_1)
	s_and_not1_b32 vcc_lo, exec_lo, s0
	s_cbranch_vccnz .LBB135_2023
; %bb.2022:
	global_load_i16 v1, v[20:21], off
	s_wait_loadcnt 0x0
	v_cvt_f32_i32_e32 v18, v1
.LBB135_2023:
	s_mov_b32 s0, 0
.LBB135_2024:
	s_delay_alu instid0(SALU_CYCLE_1)
	s_and_not1_b32 vcc_lo, exec_lo, s0
	s_cbranch_vccnz .LBB135_2030
; %bb.2025:
	s_cmp_gt_i32 s15, 0
	s_mov_b32 s0, 0
	s_cbranch_scc0 .LBB135_2027
; %bb.2026:
	global_load_i8 v1, v[20:21], off
	s_wait_loadcnt 0x0
	v_cvt_f32_i32_e32 v18, v1
	s_branch .LBB135_2028
.LBB135_2027:
	s_mov_b32 s0, -1
                                        ; implicit-def: $vgpr18
.LBB135_2028:
	s_delay_alu instid0(SALU_CYCLE_1)
	s_and_not1_b32 vcc_lo, exec_lo, s0
	s_cbranch_vccnz .LBB135_2030
; %bb.2029:
	global_load_u8 v1, v[20:21], off
	s_wait_loadcnt 0x0
	v_cvt_f32_ubyte0_e32 v18, v1
.LBB135_2030:
	s_wait_loadcnt 0x0
	v_mov_b32_e32 v19, 0
.LBB135_2031:
.LBB135_2032:
	v_mov_b32_e32 v17, 0
	s_and_b32 s16, 0xffff, s16
	s_delay_alu instid0(SALU_CYCLE_1) | instskip(NEXT) | instid1(VALU_DEP_1)
	s_cmp_lt_i32 s16, 11
	v_add_nc_u64_e32 v[16:17], s[8:9], v[16:17]
	s_cbranch_scc1 .LBB135_2039
; %bb.2033:
	s_cmp_gt_i32 s16, 25
	s_mov_b32 s14, 0
	s_cbranch_scc0 .LBB135_2040
; %bb.2034:
	s_cmp_gt_i32 s16, 28
	s_cbranch_scc0 .LBB135_2041
; %bb.2035:
	s_cmp_gt_i32 s16, 43
	;; [unrolled: 3-line block ×3, first 2 shown]
	s_cbranch_scc0 .LBB135_2048
; %bb.2037:
	s_cmp_eq_u32 s16, 46
	s_mov_b32 s18, 0
	s_cbranch_scc0 .LBB135_2111
; %bb.2038:
	global_load_b32 v1, v[16:17], off
	s_mov_b32 s0, 0
	s_mov_b32 s17, -1
	s_wait_loadcnt 0x0
	s_wait_xcnt 0x1
	v_and_b32_e32 v21, 0xffff0000, v1
	v_lshlrev_b32_e32 v20, 16, v1
	s_branch .LBB135_2113
.LBB135_2039:
	s_mov_b32 s0, -1
	s_mov_b32 s17, 0
                                        ; implicit-def: $vgpr21
	s_branch .LBB135_2159
.LBB135_2040:
	s_mov_b32 s18, -1
	s_mov_b32 s17, 0
	s_mov_b32 s0, 0
                                        ; implicit-def: $vgpr21
	s_branch .LBB135_2144
.LBB135_2041:
	s_mov_b32 s18, -1
	s_mov_b32 s17, 0
	s_mov_b32 s0, 0
                                        ; implicit-def: $vgpr21
	s_branch .LBB135_2125
.LBB135_2042:
	s_mov_b32 s18, -1
	s_mov_b32 s17, 0
	s_mov_b32 s0, 0
                                        ; implicit-def: $vgpr21
	s_branch .LBB135_2119
.LBB135_2043:
	s_mov_b32 s0, -1
	s_mov_b32 s17, 0
.LBB135_2044:
                                        ; implicit-def: $vgpr19
.LBB135_2045:
	s_and_b32 vcc_lo, exec_lo, s18
	s_cbranch_vccz .LBB135_2051
; %bb.2046:
	s_cmp_eq_u32 s15, 44
	s_cbranch_scc0 .LBB135_2049
; %bb.2047:
	global_load_u8 v1, v[20:21], off
	s_mov_b32 s0, 0
	s_mov_b32 s17, -1
	s_wait_loadcnt 0x0
	v_lshlrev_b32_e32 v3, 23, v1
	v_cmp_ne_u32_e32 vcc_lo, 0xff, v1
	s_delay_alu instid0(VALU_DEP_2) | instskip(SKIP_1) | instid1(VALU_DEP_2)
	v_cndmask_b32_e32 v3, 0x7f800001, v3, vcc_lo
	v_cmp_ne_u32_e32 vcc_lo, 0, v1
	v_cndmask_b32_e32 v18, 0x400000, v3, vcc_lo
	s_branch .LBB135_2050
.LBB135_2048:
	s_mov_b32 s18, -1
	s_mov_b32 s17, 0
	s_mov_b32 s0, 0
	s_branch .LBB135_2112
.LBB135_2049:
	s_mov_b32 s0, -1
                                        ; implicit-def: $vgpr18
.LBB135_2050:
	v_mov_b32_e32 v19, 0
.LBB135_2051:
	s_mov_b32 s18, 0
.LBB135_2052:
	s_delay_alu instid0(SALU_CYCLE_1)
	s_and_b32 vcc_lo, exec_lo, s18
	s_cbranch_vccz .LBB135_2057
; %bb.2053:
	s_cmp_eq_u32 s15, 29
	s_cbranch_scc0 .LBB135_2055
; %bb.2054:
	global_load_b64 v[18:19], v[20:21], off
	s_mov_b32 s0, 0
	s_mov_b32 s17, -1
	s_wait_loadcnt 0x0
	v_clz_i32_u32_e32 v1, v19
	s_delay_alu instid0(VALU_DEP_1) | instskip(NEXT) | instid1(VALU_DEP_1)
	v_min_u32_e32 v1, 32, v1
	v_lshlrev_b64_e32 v[18:19], v1, v[18:19]
	v_sub_nc_u32_e32 v1, 32, v1
	s_delay_alu instid0(VALU_DEP_2) | instskip(NEXT) | instid1(VALU_DEP_1)
	v_min_u32_e32 v3, 1, v18
	v_or_b32_e32 v3, v19, v3
	s_delay_alu instid0(VALU_DEP_1) | instskip(NEXT) | instid1(VALU_DEP_1)
	v_cvt_f32_u32_e32 v3, v3
	v_ldexp_f32 v18, v3, v1
	s_branch .LBB135_2056
.LBB135_2055:
	s_mov_b32 s0, -1
                                        ; implicit-def: $vgpr18
.LBB135_2056:
	v_mov_b32_e32 v19, 0
.LBB135_2057:
	s_mov_b32 s18, 0
.LBB135_2058:
	s_delay_alu instid0(SALU_CYCLE_1)
	s_and_b32 vcc_lo, exec_lo, s18
	s_cbranch_vccz .LBB135_2076
; %bb.2059:
	s_cmp_lt_i32 s15, 27
	s_cbranch_scc1 .LBB135_2062
; %bb.2060:
	s_cmp_gt_i32 s15, 27
	s_cbranch_scc0 .LBB135_2063
; %bb.2061:
	global_load_b32 v1, v[20:21], off
	s_mov_b32 s17, 0
	s_wait_loadcnt 0x0
	v_cvt_f32_u32_e32 v18, v1
	s_branch .LBB135_2064
.LBB135_2062:
	s_mov_b32 s17, -1
                                        ; implicit-def: $vgpr18
	s_branch .LBB135_2067
.LBB135_2063:
	s_mov_b32 s17, -1
                                        ; implicit-def: $vgpr18
.LBB135_2064:
	s_delay_alu instid0(SALU_CYCLE_1)
	s_and_not1_b32 vcc_lo, exec_lo, s17
	s_cbranch_vccnz .LBB135_2066
; %bb.2065:
	global_load_u16 v1, v[20:21], off
	s_wait_loadcnt 0x0
	v_cvt_f32_u32_e32 v18, v1
.LBB135_2066:
	s_mov_b32 s17, 0
.LBB135_2067:
	s_delay_alu instid0(SALU_CYCLE_1)
	s_and_not1_b32 vcc_lo, exec_lo, s17
	s_cbranch_vccnz .LBB135_2075
; %bb.2068:
	global_load_u8 v1, v[20:21], off
	s_mov_b32 s17, 0
	s_mov_b32 s18, exec_lo
	s_wait_loadcnt 0x0
	v_cmpx_lt_i16_e32 0x7f, v1
	s_xor_b32 s18, exec_lo, s18
	s_cbranch_execz .LBB135_2088
; %bb.2069:
	s_mov_b32 s17, -1
	s_mov_b32 s19, exec_lo
	v_cmpx_eq_u16_e32 0x80, v1
; %bb.2070:
	s_xor_b32 s17, exec_lo, -1
; %bb.2071:
	s_or_b32 exec_lo, exec_lo, s19
	s_delay_alu instid0(SALU_CYCLE_1)
	s_and_b32 s17, s17, exec_lo
	s_or_saveexec_b32 s18, s18
	v_mov_b32_e32 v18, 0x7f800001
	s_xor_b32 exec_lo, exec_lo, s18
	s_cbranch_execnz .LBB135_2089
.LBB135_2072:
	s_or_b32 exec_lo, exec_lo, s18
	s_and_saveexec_b32 s18, s17
	s_cbranch_execz .LBB135_2074
.LBB135_2073:
	v_and_b32_e32 v3, 0xffff, v1
	s_delay_alu instid0(VALU_DEP_1) | instskip(SKIP_1) | instid1(VALU_DEP_2)
	v_dual_lshlrev_b32 v1, 24, v1 :: v_dual_bitop2_b32 v5, 7, v3 bitop3:0x40
	v_bfe_u32 v11, v3, 3, 4
	v_and_b32_e32 v1, 0x80000000, v1
	s_delay_alu instid0(VALU_DEP_3) | instskip(NEXT) | instid1(VALU_DEP_3)
	v_clz_i32_u32_e32 v7, v5
	v_cmp_eq_u32_e32 vcc_lo, 0, v11
	s_delay_alu instid0(VALU_DEP_2) | instskip(NEXT) | instid1(VALU_DEP_1)
	v_min_u32_e32 v7, 32, v7
	v_subrev_nc_u32_e32 v9, 28, v7
	v_sub_nc_u32_e32 v7, 29, v7
	s_delay_alu instid0(VALU_DEP_2) | instskip(NEXT) | instid1(VALU_DEP_2)
	v_lshlrev_b32_e32 v3, v9, v3
	v_cndmask_b32_e32 v7, v11, v7, vcc_lo
	s_delay_alu instid0(VALU_DEP_2) | instskip(NEXT) | instid1(VALU_DEP_1)
	v_and_b32_e32 v3, 7, v3
	v_cndmask_b32_e32 v3, v5, v3, vcc_lo
	s_delay_alu instid0(VALU_DEP_3) | instskip(NEXT) | instid1(VALU_DEP_2)
	v_lshl_add_u32 v5, v7, 23, 0x3b800000
	v_lshlrev_b32_e32 v3, 20, v3
	s_delay_alu instid0(VALU_DEP_1)
	v_or3_b32 v18, v1, v5, v3
.LBB135_2074:
	s_or_b32 exec_lo, exec_lo, s18
.LBB135_2075:
	v_mov_b32_e32 v19, 0
	s_mov_b32 s17, -1
.LBB135_2076:
	s_branch .LBB135_1974
.LBB135_2077:
	s_cmp_gt_i32 s15, 22
	s_cbranch_scc0 .LBB135_2087
; %bb.2078:
	s_cmp_lt_i32 s15, 24
	s_cbranch_scc1 .LBB135_2090
; %bb.2079:
	s_cmp_gt_i32 s15, 24
	s_cbranch_scc0 .LBB135_2091
; %bb.2080:
	global_load_u8 v1, v[20:21], off
	s_mov_b32 s17, exec_lo
	s_wait_loadcnt 0x0
	v_cmpx_lt_i16_e32 0x7f, v1
	s_xor_b32 s17, exec_lo, s17
	s_cbranch_execz .LBB135_2103
; %bb.2081:
	s_mov_b32 s14, -1
	s_mov_b32 s18, exec_lo
	v_cmpx_eq_u16_e32 0x80, v1
; %bb.2082:
	s_xor_b32 s14, exec_lo, -1
; %bb.2083:
	s_or_b32 exec_lo, exec_lo, s18
	s_delay_alu instid0(SALU_CYCLE_1)
	s_and_b32 s14, s14, exec_lo
	s_or_saveexec_b32 s17, s17
	v_mov_b32_e32 v18, 0x7f800001
	s_xor_b32 exec_lo, exec_lo, s17
	s_cbranch_execnz .LBB135_2104
.LBB135_2084:
	s_or_b32 exec_lo, exec_lo, s17
	s_and_saveexec_b32 s17, s14
	s_cbranch_execz .LBB135_2086
.LBB135_2085:
	v_and_b32_e32 v3, 0xffff, v1
	s_delay_alu instid0(VALU_DEP_1) | instskip(SKIP_1) | instid1(VALU_DEP_2)
	v_dual_lshlrev_b32 v1, 24, v1 :: v_dual_bitop2_b32 v5, 3, v3 bitop3:0x40
	v_bfe_u32 v11, v3, 2, 5
	v_and_b32_e32 v1, 0x80000000, v1
	s_delay_alu instid0(VALU_DEP_3) | instskip(NEXT) | instid1(VALU_DEP_3)
	v_clz_i32_u32_e32 v7, v5
	v_cmp_eq_u32_e32 vcc_lo, 0, v11
	s_delay_alu instid0(VALU_DEP_2) | instskip(NEXT) | instid1(VALU_DEP_1)
	v_min_u32_e32 v7, 32, v7
	v_subrev_nc_u32_e32 v9, 29, v7
	v_sub_nc_u32_e32 v7, 30, v7
	s_delay_alu instid0(VALU_DEP_2) | instskip(NEXT) | instid1(VALU_DEP_2)
	v_lshlrev_b32_e32 v3, v9, v3
	v_cndmask_b32_e32 v7, v11, v7, vcc_lo
	s_delay_alu instid0(VALU_DEP_2) | instskip(NEXT) | instid1(VALU_DEP_1)
	v_and_b32_e32 v3, 3, v3
	v_cndmask_b32_e32 v3, v5, v3, vcc_lo
	s_delay_alu instid0(VALU_DEP_3) | instskip(NEXT) | instid1(VALU_DEP_2)
	v_lshl_add_u32 v5, v7, 23, 0x37800000
	v_lshlrev_b32_e32 v3, 21, v3
	s_delay_alu instid0(VALU_DEP_1)
	v_or3_b32 v18, v1, v5, v3
.LBB135_2086:
	s_or_b32 exec_lo, exec_lo, s17
	s_mov_b32 s14, 0
	s_branch .LBB135_2092
.LBB135_2087:
	s_mov_b32 s14, -1
                                        ; implicit-def: $vgpr18
	s_branch .LBB135_2098
.LBB135_2088:
	s_or_saveexec_b32 s18, s18
	v_mov_b32_e32 v18, 0x7f800001
	s_xor_b32 exec_lo, exec_lo, s18
	s_cbranch_execz .LBB135_2072
.LBB135_2089:
	v_cmp_ne_u16_e32 vcc_lo, 0, v1
	v_mov_b32_e32 v18, 0
	s_and_not1_b32 s17, s17, exec_lo
	s_and_b32 s19, vcc_lo, exec_lo
	s_delay_alu instid0(SALU_CYCLE_1)
	s_or_b32 s17, s17, s19
	s_or_b32 exec_lo, exec_lo, s18
	s_and_saveexec_b32 s18, s17
	s_cbranch_execnz .LBB135_2073
	s_branch .LBB135_2074
.LBB135_2090:
	s_mov_b32 s14, -1
                                        ; implicit-def: $vgpr18
	s_branch .LBB135_2095
.LBB135_2091:
	s_mov_b32 s14, -1
                                        ; implicit-def: $vgpr18
.LBB135_2092:
	s_delay_alu instid0(SALU_CYCLE_1)
	s_and_b32 vcc_lo, exec_lo, s14
	s_cbranch_vccz .LBB135_2094
; %bb.2093:
	global_load_u8 v1, v[20:21], off
	s_wait_loadcnt 0x0
	v_lshlrev_b32_e32 v1, 24, v1
	s_delay_alu instid0(VALU_DEP_1) | instskip(NEXT) | instid1(VALU_DEP_1)
	v_and_b32_e32 v3, 0x7f000000, v1
	v_clz_i32_u32_e32 v5, v3
	v_add_nc_u32_e32 v9, 0x1000000, v3
	v_cmp_ne_u32_e32 vcc_lo, 0, v3
	s_delay_alu instid0(VALU_DEP_3) | instskip(NEXT) | instid1(VALU_DEP_1)
	v_min_u32_e32 v5, 32, v5
	v_sub_nc_u32_e64 v5, v5, 4 clamp
	s_delay_alu instid0(VALU_DEP_1) | instskip(NEXT) | instid1(VALU_DEP_1)
	v_dual_lshlrev_b32 v7, v5, v3 :: v_dual_lshlrev_b32 v5, 23, v5
	v_lshrrev_b32_e32 v7, 4, v7
	s_delay_alu instid0(VALU_DEP_1) | instskip(SKIP_1) | instid1(VALU_DEP_2)
	v_sub_nc_u32_e32 v5, v7, v5
	v_ashrrev_i32_e32 v7, 8, v9
	v_add_nc_u32_e32 v5, 0x3c000000, v5
	s_delay_alu instid0(VALU_DEP_1) | instskip(NEXT) | instid1(VALU_DEP_1)
	v_and_or_b32 v5, 0x7f800000, v7, v5
	v_cndmask_b32_e32 v3, 0, v5, vcc_lo
	s_delay_alu instid0(VALU_DEP_1)
	v_and_or_b32 v18, 0x80000000, v1, v3
.LBB135_2094:
	s_mov_b32 s14, 0
.LBB135_2095:
	s_delay_alu instid0(SALU_CYCLE_1)
	s_and_not1_b32 vcc_lo, exec_lo, s14
	s_cbranch_vccnz .LBB135_2097
; %bb.2096:
	global_load_u8 v1, v[20:21], off
	s_wait_loadcnt 0x0
	v_lshlrev_b32_e32 v3, 25, v1
	v_lshlrev_b16 v1, 8, v1
	s_delay_alu instid0(VALU_DEP_1) | instskip(SKIP_1) | instid1(VALU_DEP_2)
	v_and_or_b32 v7, 0x7f00, v1, 0.5
	v_bfe_i32 v1, v1, 0, 16
	v_add_f32_e32 v7, -0.5, v7
	v_lshrrev_b32_e32 v5, 4, v3
	v_cmp_gt_u32_e32 vcc_lo, 0x8000000, v3
	s_delay_alu instid0(VALU_DEP_2) | instskip(NEXT) | instid1(VALU_DEP_1)
	v_or_b32_e32 v5, 0x70000000, v5
	v_mul_f32_e32 v5, 0x7800000, v5
	s_delay_alu instid0(VALU_DEP_1) | instskip(NEXT) | instid1(VALU_DEP_1)
	v_cndmask_b32_e32 v3, v5, v7, vcc_lo
	v_and_or_b32 v18, 0x80000000, v1, v3
.LBB135_2097:
	s_mov_b32 s14, 0
	s_mov_b32 s17, -1
.LBB135_2098:
	s_and_not1_b32 vcc_lo, exec_lo, s14
	s_mov_b32 s14, 0
	s_cbranch_vccnz .LBB135_2109
; %bb.2099:
	s_cmp_gt_i32 s15, 14
	s_cbranch_scc0 .LBB135_2102
; %bb.2100:
	s_cmp_eq_u32 s15, 15
	s_cbranch_scc0 .LBB135_2105
; %bb.2101:
	global_load_u16 v1, v[20:21], off
	s_mov_b32 s0, 0
	s_mov_b32 s17, -1
	s_wait_loadcnt 0x0
	v_lshlrev_b32_e32 v18, 16, v1
	s_branch .LBB135_2107
.LBB135_2102:
	s_mov_b32 s14, -1
	s_branch .LBB135_2106
.LBB135_2103:
	s_or_saveexec_b32 s17, s17
	v_mov_b32_e32 v18, 0x7f800001
	s_xor_b32 exec_lo, exec_lo, s17
	s_cbranch_execz .LBB135_2084
.LBB135_2104:
	v_cmp_ne_u16_e32 vcc_lo, 0, v1
	v_mov_b32_e32 v18, 0
	s_and_not1_b32 s14, s14, exec_lo
	s_and_b32 s18, vcc_lo, exec_lo
	s_delay_alu instid0(SALU_CYCLE_1)
	s_or_b32 s14, s14, s18
	s_or_b32 exec_lo, exec_lo, s17
	s_and_saveexec_b32 s17, s14
	s_cbranch_execnz .LBB135_2085
	s_branch .LBB135_2086
.LBB135_2105:
	s_mov_b32 s0, -1
.LBB135_2106:
                                        ; implicit-def: $vgpr18
.LBB135_2107:
	s_and_b32 vcc_lo, exec_lo, s14
	s_mov_b32 s14, 0
	s_cbranch_vccz .LBB135_2109
; %bb.2108:
	s_cmp_lg_u32 s15, 11
	s_mov_b32 s14, -1
	s_cselect_b32 s0, -1, 0
.LBB135_2109:
	v_mov_b32_e32 v19, 0
	s_and_b32 vcc_lo, exec_lo, s0
	s_cbranch_vccz .LBB135_1975
.LBB135_2110:
	s_or_b32 s1, s1, exec_lo
	s_trap 2
	s_cbranch_execz .LBB135_1976
	s_branch .LBB135_1977
.LBB135_2111:
	s_mov_b32 s0, -1
	s_mov_b32 s17, 0
.LBB135_2112:
                                        ; implicit-def: $vgpr21
.LBB135_2113:
	s_and_b32 vcc_lo, exec_lo, s18
	s_cbranch_vccz .LBB135_2118
; %bb.2114:
	s_cmp_eq_u32 s16, 44
	s_cbranch_scc0 .LBB135_2116
; %bb.2115:
	global_load_u8 v1, v[16:17], off
	s_mov_b32 s0, 0
	s_mov_b32 s17, -1
	s_wait_loadcnt 0x0
	v_lshlrev_b32_e32 v3, 23, v1
	v_cmp_ne_u32_e32 vcc_lo, 0xff, v1
	s_delay_alu instid0(VALU_DEP_2) | instskip(SKIP_2) | instid1(VALU_DEP_2)
	v_cndmask_b32_e32 v3, 0x7f800001, v3, vcc_lo
	v_cmp_ne_u32_e32 vcc_lo, 0, v1
	s_wait_xcnt 0x1
	v_cndmask_b32_e32 v20, 0x400000, v3, vcc_lo
	s_branch .LBB135_2117
.LBB135_2116:
	s_mov_b32 s0, -1
                                        ; implicit-def: $vgpr20
.LBB135_2117:
	s_wait_xcnt 0x0
	v_mov_b32_e32 v21, 0
.LBB135_2118:
	s_mov_b32 s18, 0
.LBB135_2119:
	s_delay_alu instid0(SALU_CYCLE_1)
	s_and_b32 vcc_lo, exec_lo, s18
	s_cbranch_vccz .LBB135_2124
; %bb.2120:
	s_cmp_eq_u32 s16, 29
	s_cbranch_scc0 .LBB135_2122
; %bb.2121:
	global_load_b64 v[20:21], v[16:17], off
	s_mov_b32 s0, 0
	s_mov_b32 s17, -1
	s_wait_loadcnt 0x0
	v_clz_i32_u32_e32 v1, v21
	s_delay_alu instid0(VALU_DEP_1) | instskip(NEXT) | instid1(VALU_DEP_1)
	v_min_u32_e32 v1, 32, v1
	v_lshlrev_b64_e32 v[20:21], v1, v[20:21]
	v_sub_nc_u32_e32 v1, 32, v1
	s_delay_alu instid0(VALU_DEP_2) | instskip(NEXT) | instid1(VALU_DEP_1)
	v_min_u32_e32 v3, 1, v20
	v_or_b32_e32 v3, v21, v3
	s_delay_alu instid0(VALU_DEP_1) | instskip(NEXT) | instid1(VALU_DEP_1)
	v_cvt_f32_u32_e32 v3, v3
	v_ldexp_f32 v20, v3, v1
	s_branch .LBB135_2123
.LBB135_2122:
	s_mov_b32 s0, -1
                                        ; implicit-def: $vgpr20
.LBB135_2123:
	s_wait_xcnt 0x0
	v_mov_b32_e32 v21, 0
.LBB135_2124:
	s_mov_b32 s18, 0
.LBB135_2125:
	s_delay_alu instid0(SALU_CYCLE_1)
	s_and_b32 vcc_lo, exec_lo, s18
	s_cbranch_vccz .LBB135_2143
; %bb.2126:
	s_cmp_lt_i32 s16, 27
	s_cbranch_scc1 .LBB135_2129
; %bb.2127:
	s_cmp_gt_i32 s16, 27
	s_cbranch_scc0 .LBB135_2130
; %bb.2128:
	global_load_b32 v1, v[16:17], off
	s_mov_b32 s17, 0
	s_wait_loadcnt 0x0
	s_wait_xcnt 0x1
	v_cvt_f32_u32_e32 v20, v1
	s_branch .LBB135_2131
.LBB135_2129:
	s_mov_b32 s17, -1
                                        ; implicit-def: $vgpr20
	s_branch .LBB135_2134
.LBB135_2130:
	s_mov_b32 s17, -1
                                        ; implicit-def: $vgpr20
.LBB135_2131:
	s_delay_alu instid0(SALU_CYCLE_1)
	s_and_not1_b32 vcc_lo, exec_lo, s17
	s_cbranch_vccnz .LBB135_2133
; %bb.2132:
	global_load_u16 v1, v[16:17], off
	s_wait_loadcnt 0x0
	s_wait_xcnt 0x1
	v_cvt_f32_u32_e32 v20, v1
.LBB135_2133:
	s_mov_b32 s17, 0
.LBB135_2134:
	s_delay_alu instid0(SALU_CYCLE_1)
	s_and_not1_b32 vcc_lo, exec_lo, s17
	s_cbranch_vccnz .LBB135_2142
; %bb.2135:
	global_load_u8 v1, v[16:17], off
	s_mov_b32 s17, 0
	s_mov_b32 s18, exec_lo
	s_wait_loadcnt 0x0
	v_cmpx_lt_i16_e32 0x7f, v1
	s_xor_b32 s18, exec_lo, s18
	s_cbranch_execz .LBB135_2168
; %bb.2136:
	s_mov_b32 s17, -1
	s_mov_b32 s19, exec_lo
	v_cmpx_eq_u16_e32 0x80, v1
; %bb.2137:
	s_xor_b32 s17, exec_lo, -1
; %bb.2138:
	s_or_b32 exec_lo, exec_lo, s19
	s_delay_alu instid0(SALU_CYCLE_1)
	s_and_b32 s17, s17, exec_lo
	s_or_saveexec_b32 s18, s18
	v_mov_b32_e32 v20, 0x7f800001
	s_xor_b32 exec_lo, exec_lo, s18
	s_cbranch_execnz .LBB135_2169
.LBB135_2139:
	s_or_b32 exec_lo, exec_lo, s18
	s_and_saveexec_b32 s18, s17
	s_cbranch_execz .LBB135_2141
.LBB135_2140:
	v_and_b32_e32 v3, 0xffff, v1
	s_delay_alu instid0(VALU_DEP_1) | instskip(SKIP_1) | instid1(VALU_DEP_2)
	v_dual_lshlrev_b32 v1, 24, v1 :: v_dual_bitop2_b32 v5, 7, v3 bitop3:0x40
	v_bfe_u32 v11, v3, 3, 4
	v_and_b32_e32 v1, 0x80000000, v1
	s_delay_alu instid0(VALU_DEP_3) | instskip(NEXT) | instid1(VALU_DEP_3)
	v_clz_i32_u32_e32 v7, v5
	v_cmp_eq_u32_e32 vcc_lo, 0, v11
	s_delay_alu instid0(VALU_DEP_2) | instskip(NEXT) | instid1(VALU_DEP_1)
	v_min_u32_e32 v7, 32, v7
	v_subrev_nc_u32_e32 v9, 28, v7
	v_sub_nc_u32_e32 v7, 29, v7
	s_delay_alu instid0(VALU_DEP_2) | instskip(NEXT) | instid1(VALU_DEP_2)
	v_lshlrev_b32_e32 v3, v9, v3
	v_cndmask_b32_e32 v7, v11, v7, vcc_lo
	s_delay_alu instid0(VALU_DEP_2) | instskip(NEXT) | instid1(VALU_DEP_1)
	v_and_b32_e32 v3, 7, v3
	v_cndmask_b32_e32 v3, v5, v3, vcc_lo
	s_delay_alu instid0(VALU_DEP_3) | instskip(NEXT) | instid1(VALU_DEP_2)
	v_lshl_add_u32 v5, v7, 23, 0x3b800000
	v_lshlrev_b32_e32 v3, 20, v3
	s_delay_alu instid0(VALU_DEP_1)
	v_or3_b32 v20, v1, v5, v3
.LBB135_2141:
	s_or_b32 exec_lo, exec_lo, s18
.LBB135_2142:
	s_wait_xcnt 0x0
	v_mov_b32_e32 v21, 0
	s_mov_b32 s17, -1
.LBB135_2143:
	s_mov_b32 s18, 0
.LBB135_2144:
	s_delay_alu instid0(SALU_CYCLE_1)
	s_and_b32 vcc_lo, exec_lo, s18
	s_cbranch_vccz .LBB135_2155
; %bb.2145:
	s_cmp_gt_i32 s16, 22
	s_cbranch_scc0 .LBB135_2166
; %bb.2146:
	s_cmp_lt_i32 s16, 24
	s_cbranch_scc1 .LBB135_2170
; %bb.2147:
	s_cmp_gt_i32 s16, 24
	s_cbranch_scc0 .LBB135_2172
; %bb.2148:
	global_load_u8 v1, v[16:17], off
	s_mov_b32 s17, exec_lo
	s_wait_loadcnt 0x0
	v_cmpx_lt_i16_e32 0x7f, v1
	s_xor_b32 s17, exec_lo, s17
	s_cbranch_execz .LBB135_2184
; %bb.2149:
	s_mov_b32 s14, -1
	s_mov_b32 s18, exec_lo
	v_cmpx_eq_u16_e32 0x80, v1
; %bb.2150:
	s_xor_b32 s14, exec_lo, -1
; %bb.2151:
	s_or_b32 exec_lo, exec_lo, s18
	s_delay_alu instid0(SALU_CYCLE_1)
	s_and_b32 s14, s14, exec_lo
	s_or_saveexec_b32 s17, s17
	v_mov_b32_e32 v20, 0x7f800001
	s_xor_b32 exec_lo, exec_lo, s17
	s_cbranch_execnz .LBB135_2185
.LBB135_2152:
	s_or_b32 exec_lo, exec_lo, s17
	s_and_saveexec_b32 s17, s14
	s_cbranch_execz .LBB135_2154
.LBB135_2153:
	v_and_b32_e32 v3, 0xffff, v1
	s_delay_alu instid0(VALU_DEP_1) | instskip(SKIP_1) | instid1(VALU_DEP_2)
	v_dual_lshlrev_b32 v1, 24, v1 :: v_dual_bitop2_b32 v5, 3, v3 bitop3:0x40
	v_bfe_u32 v11, v3, 2, 5
	v_and_b32_e32 v1, 0x80000000, v1
	s_delay_alu instid0(VALU_DEP_3) | instskip(NEXT) | instid1(VALU_DEP_3)
	v_clz_i32_u32_e32 v7, v5
	v_cmp_eq_u32_e32 vcc_lo, 0, v11
	s_delay_alu instid0(VALU_DEP_2) | instskip(NEXT) | instid1(VALU_DEP_1)
	v_min_u32_e32 v7, 32, v7
	v_subrev_nc_u32_e32 v9, 29, v7
	v_sub_nc_u32_e32 v7, 30, v7
	s_delay_alu instid0(VALU_DEP_2) | instskip(NEXT) | instid1(VALU_DEP_2)
	v_lshlrev_b32_e32 v3, v9, v3
	v_cndmask_b32_e32 v7, v11, v7, vcc_lo
	s_delay_alu instid0(VALU_DEP_2) | instskip(NEXT) | instid1(VALU_DEP_1)
	v_and_b32_e32 v3, 3, v3
	v_cndmask_b32_e32 v3, v5, v3, vcc_lo
	s_delay_alu instid0(VALU_DEP_3) | instskip(NEXT) | instid1(VALU_DEP_2)
	v_lshl_add_u32 v5, v7, 23, 0x37800000
	v_lshlrev_b32_e32 v3, 21, v3
	s_delay_alu instid0(VALU_DEP_1)
	v_or3_b32 v20, v1, v5, v3
.LBB135_2154:
	s_or_b32 exec_lo, exec_lo, s17
	s_mov_b32 s14, 0
	s_branch .LBB135_2173
.LBB135_2155:
	s_and_b32 vcc_lo, exec_lo, s0
	s_cbranch_vccnz .LBB135_2203
.LBB135_2156:
	s_and_not1_b32 vcc_lo, exec_lo, s14
	s_cbranch_vccnz .LBB135_2158
.LBB135_2157:
	global_load_u8 v1, v[16:17], off
	s_wait_xcnt 0x1
	v_mov_b32_e32 v21, 0
	s_mov_b32 s17, -1
	s_wait_loadcnt 0x0
	v_cmp_ne_u16_e32 vcc_lo, 0, v1
	v_cndmask_b32_e64 v20, 0, 1.0, vcc_lo
.LBB135_2158:
	s_mov_b32 s0, 0
.LBB135_2159:
	s_delay_alu instid0(SALU_CYCLE_1)
	s_and_b32 vcc_lo, exec_lo, s0
	s_cbranch_vccz .LBB135_2234
; %bb.2160:
	s_cmp_lt_i32 s16, 5
	s_cbranch_scc1 .LBB135_2165
; %bb.2161:
	s_cmp_lt_i32 s16, 8
	s_cbranch_scc1 .LBB135_2167
	;; [unrolled: 3-line block ×3, first 2 shown]
; %bb.2163:
	s_cmp_gt_i32 s16, 9
	s_cbranch_scc0 .LBB135_2186
; %bb.2164:
	global_load_b128 v[20:23], v[16:17], off
	s_mov_b32 s0, 0
	s_wait_loadcnt 0x0
	v_cvt_f32_f64_e32 v20, v[20:21]
	v_cvt_f32_f64_e32 v21, v[22:23]
	s_branch .LBB135_2187
.LBB135_2165:
	s_mov_b32 s0, -1
                                        ; implicit-def: $vgpr21
	s_branch .LBB135_2212
.LBB135_2166:
	s_mov_b32 s14, -1
                                        ; implicit-def: $vgpr20
	s_branch .LBB135_2179
.LBB135_2167:
	s_mov_b32 s0, -1
                                        ; implicit-def: $vgpr21
	s_branch .LBB135_2193
.LBB135_2168:
	s_or_saveexec_b32 s18, s18
	v_mov_b32_e32 v20, 0x7f800001
	s_xor_b32 exec_lo, exec_lo, s18
	s_cbranch_execz .LBB135_2139
.LBB135_2169:
	v_cmp_ne_u16_e32 vcc_lo, 0, v1
	v_mov_b32_e32 v20, 0
	s_and_not1_b32 s17, s17, exec_lo
	s_and_b32 s19, vcc_lo, exec_lo
	s_delay_alu instid0(SALU_CYCLE_1)
	s_or_b32 s17, s17, s19
	s_or_b32 exec_lo, exec_lo, s18
	s_and_saveexec_b32 s18, s17
	s_cbranch_execnz .LBB135_2140
	s_branch .LBB135_2141
.LBB135_2170:
	s_mov_b32 s14, -1
                                        ; implicit-def: $vgpr20
	s_branch .LBB135_2176
.LBB135_2171:
	s_mov_b32 s0, -1
                                        ; implicit-def: $vgpr21
	s_branch .LBB135_2190
.LBB135_2172:
	s_mov_b32 s14, -1
                                        ; implicit-def: $vgpr20
.LBB135_2173:
	s_delay_alu instid0(SALU_CYCLE_1)
	s_and_b32 vcc_lo, exec_lo, s14
	s_cbranch_vccz .LBB135_2175
; %bb.2174:
	global_load_u8 v1, v[16:17], off
	s_wait_loadcnt 0x0
	v_lshlrev_b32_e32 v1, 24, v1
	s_delay_alu instid0(VALU_DEP_1) | instskip(NEXT) | instid1(VALU_DEP_1)
	v_and_b32_e32 v3, 0x7f000000, v1
	v_clz_i32_u32_e32 v5, v3
	v_add_nc_u32_e32 v9, 0x1000000, v3
	v_cmp_ne_u32_e32 vcc_lo, 0, v3
	s_delay_alu instid0(VALU_DEP_3) | instskip(NEXT) | instid1(VALU_DEP_1)
	v_min_u32_e32 v5, 32, v5
	v_sub_nc_u32_e64 v5, v5, 4 clamp
	s_delay_alu instid0(VALU_DEP_1) | instskip(NEXT) | instid1(VALU_DEP_1)
	v_dual_lshlrev_b32 v7, v5, v3 :: v_dual_lshlrev_b32 v5, 23, v5
	v_lshrrev_b32_e32 v7, 4, v7
	s_delay_alu instid0(VALU_DEP_1) | instskip(SKIP_1) | instid1(VALU_DEP_2)
	v_sub_nc_u32_e32 v5, v7, v5
	v_ashrrev_i32_e32 v7, 8, v9
	v_add_nc_u32_e32 v5, 0x3c000000, v5
	s_delay_alu instid0(VALU_DEP_1) | instskip(NEXT) | instid1(VALU_DEP_1)
	v_and_or_b32 v5, 0x7f800000, v7, v5
	v_cndmask_b32_e32 v3, 0, v5, vcc_lo
	s_wait_xcnt 0x1
	s_delay_alu instid0(VALU_DEP_1)
	v_and_or_b32 v20, 0x80000000, v1, v3
.LBB135_2175:
	s_mov_b32 s14, 0
.LBB135_2176:
	s_delay_alu instid0(SALU_CYCLE_1)
	s_and_not1_b32 vcc_lo, exec_lo, s14
	s_cbranch_vccnz .LBB135_2178
; %bb.2177:
	global_load_u8 v1, v[16:17], off
	s_wait_loadcnt 0x0
	v_lshlrev_b32_e32 v3, 25, v1
	v_lshlrev_b16 v1, 8, v1
	s_delay_alu instid0(VALU_DEP_1) | instskip(SKIP_1) | instid1(VALU_DEP_2)
	v_and_or_b32 v7, 0x7f00, v1, 0.5
	v_bfe_i32 v1, v1, 0, 16
	v_add_f32_e32 v7, -0.5, v7
	v_lshrrev_b32_e32 v5, 4, v3
	v_cmp_gt_u32_e32 vcc_lo, 0x8000000, v3
	s_delay_alu instid0(VALU_DEP_2) | instskip(NEXT) | instid1(VALU_DEP_1)
	v_or_b32_e32 v5, 0x70000000, v5
	v_mul_f32_e32 v5, 0x7800000, v5
	s_delay_alu instid0(VALU_DEP_1) | instskip(SKIP_1) | instid1(VALU_DEP_1)
	v_cndmask_b32_e32 v3, v5, v7, vcc_lo
	s_wait_xcnt 0x1
	v_and_or_b32 v20, 0x80000000, v1, v3
.LBB135_2178:
	s_mov_b32 s14, 0
	s_mov_b32 s17, -1
.LBB135_2179:
	s_and_not1_b32 vcc_lo, exec_lo, s14
	s_mov_b32 s14, 0
	s_cbranch_vccnz .LBB135_2202
; %bb.2180:
	s_cmp_gt_i32 s16, 14
	s_cbranch_scc0 .LBB135_2183
; %bb.2181:
	s_cmp_eq_u32 s16, 15
	s_cbranch_scc0 .LBB135_2198
; %bb.2182:
	global_load_u16 v1, v[16:17], off
	s_mov_b32 s0, 0
	s_mov_b32 s17, -1
	s_wait_loadcnt 0x0
	s_wait_xcnt 0x1
	v_lshlrev_b32_e32 v20, 16, v1
	s_branch .LBB135_2200
.LBB135_2183:
	s_mov_b32 s14, -1
	s_branch .LBB135_2199
.LBB135_2184:
	s_or_saveexec_b32 s17, s17
	v_mov_b32_e32 v20, 0x7f800001
	s_xor_b32 exec_lo, exec_lo, s17
	s_cbranch_execz .LBB135_2152
.LBB135_2185:
	v_cmp_ne_u16_e32 vcc_lo, 0, v1
	v_mov_b32_e32 v20, 0
	s_and_not1_b32 s14, s14, exec_lo
	s_and_b32 s18, vcc_lo, exec_lo
	s_delay_alu instid0(SALU_CYCLE_1)
	s_or_b32 s14, s14, s18
	s_or_b32 exec_lo, exec_lo, s17
	s_and_saveexec_b32 s17, s14
	s_cbranch_execnz .LBB135_2153
	s_branch .LBB135_2154
.LBB135_2186:
	s_mov_b32 s0, -1
                                        ; implicit-def: $vgpr21
.LBB135_2187:
	s_delay_alu instid0(SALU_CYCLE_1)
	s_and_not1_b32 vcc_lo, exec_lo, s0
	s_cbranch_vccnz .LBB135_2189
; %bb.2188:
	global_load_b64 v[20:21], v[16:17], off
.LBB135_2189:
	s_mov_b32 s0, 0
.LBB135_2190:
	s_delay_alu instid0(SALU_CYCLE_1)
	s_and_not1_b32 vcc_lo, exec_lo, s0
	s_cbranch_vccnz .LBB135_2192
; %bb.2191:
	global_load_b32 v1, v[16:17], off
	s_wait_loadcnt 0x0
	v_lshrrev_b32_e32 v3, 16, v1
	s_wait_xcnt 0x1
	v_cvt_f32_f16_e32 v20, v1
	s_delay_alu instid0(VALU_DEP_2)
	v_cvt_f32_f16_e32 v21, v3
.LBB135_2192:
	s_mov_b32 s0, 0
.LBB135_2193:
	s_delay_alu instid0(SALU_CYCLE_1)
	s_and_not1_b32 vcc_lo, exec_lo, s0
	s_cbranch_vccnz .LBB135_2211
; %bb.2194:
	s_cmp_lt_i32 s16, 6
	s_cbranch_scc1 .LBB135_2197
; %bb.2195:
	s_cmp_gt_i32 s16, 6
	s_cbranch_scc0 .LBB135_2204
; %bb.2196:
	s_wait_loadcnt 0x0
	global_load_b64 v[20:21], v[16:17], off
	s_mov_b32 s0, 0
	s_wait_loadcnt 0x0
	v_cvt_f32_f64_e32 v20, v[20:21]
	s_branch .LBB135_2205
.LBB135_2197:
	s_mov_b32 s0, -1
                                        ; implicit-def: $vgpr20
	s_branch .LBB135_2208
.LBB135_2198:
	s_mov_b32 s0, -1
.LBB135_2199:
                                        ; implicit-def: $vgpr20
.LBB135_2200:
	s_and_b32 vcc_lo, exec_lo, s14
	s_mov_b32 s14, 0
	s_cbranch_vccz .LBB135_2202
; %bb.2201:
	s_cmp_lg_u32 s16, 11
	s_mov_b32 s14, -1
	s_cselect_b32 s0, -1, 0
.LBB135_2202:
	s_wait_xcnt 0x0
	v_mov_b32_e32 v21, 0
	s_and_b32 vcc_lo, exec_lo, s0
	s_cbranch_vccz .LBB135_2156
.LBB135_2203:
	s_or_b32 s1, s1, exec_lo
	s_trap 2
	s_cbranch_execz .LBB135_2157
	s_branch .LBB135_2158
.LBB135_2204:
	s_mov_b32 s0, -1
                                        ; implicit-def: $vgpr20
.LBB135_2205:
	s_delay_alu instid0(SALU_CYCLE_1)
	s_and_not1_b32 vcc_lo, exec_lo, s0
	s_cbranch_vccnz .LBB135_2207
; %bb.2206:
	s_wait_loadcnt 0x0
	global_load_b32 v20, v[16:17], off
.LBB135_2207:
	s_mov_b32 s0, 0
.LBB135_2208:
	s_delay_alu instid0(SALU_CYCLE_1)
	s_and_not1_b32 vcc_lo, exec_lo, s0
	s_cbranch_vccnz .LBB135_2210
; %bb.2209:
	global_load_u16 v1, v[16:17], off
	s_wait_loadcnt 0x0
	s_wait_xcnt 0x1
	v_cvt_f32_f16_e32 v20, v1
.LBB135_2210:
	s_wait_loadcnt 0x0
	v_mov_b32_e32 v21, 0
.LBB135_2211:
	s_mov_b32 s0, 0
.LBB135_2212:
	s_delay_alu instid0(SALU_CYCLE_1)
	s_and_not1_b32 vcc_lo, exec_lo, s0
	s_cbranch_vccnz .LBB135_2233
; %bb.2213:
	s_cmp_lt_i32 s16, 2
	s_cbranch_scc1 .LBB135_2217
; %bb.2214:
	s_cmp_lt_i32 s16, 3
	s_cbranch_scc1 .LBB135_2218
; %bb.2215:
	s_cmp_gt_i32 s16, 3
	s_cbranch_scc0 .LBB135_2219
; %bb.2216:
	s_wait_loadcnt 0x0
	global_load_b64 v[20:21], v[16:17], off
	s_mov_b32 s0, 0
	s_wait_loadcnt 0x0
	v_xor_b32_e32 v1, v20, v21
	v_cls_i32_e32 v3, v21
	s_delay_alu instid0(VALU_DEP_2) | instskip(NEXT) | instid1(VALU_DEP_1)
	v_ashrrev_i32_e32 v1, 31, v1
	v_add_nc_u32_e32 v1, 32, v1
	s_delay_alu instid0(VALU_DEP_1) | instskip(NEXT) | instid1(VALU_DEP_1)
	v_add_min_u32_e64 v1, v3, -1, v1
	v_lshlrev_b64_e32 v[20:21], v1, v[20:21]
	v_sub_nc_u32_e32 v1, 32, v1
	s_delay_alu instid0(VALU_DEP_2) | instskip(NEXT) | instid1(VALU_DEP_1)
	v_min_u32_e32 v3, 1, v20
	v_or_b32_e32 v3, v21, v3
	s_delay_alu instid0(VALU_DEP_1) | instskip(NEXT) | instid1(VALU_DEP_1)
	v_cvt_f32_i32_e32 v3, v3
	v_ldexp_f32 v20, v3, v1
	s_branch .LBB135_2220
.LBB135_2217:
	s_mov_b32 s0, -1
                                        ; implicit-def: $vgpr20
	s_branch .LBB135_2226
.LBB135_2218:
	s_mov_b32 s0, -1
                                        ; implicit-def: $vgpr20
	s_branch .LBB135_2223
.LBB135_2219:
	s_mov_b32 s0, -1
                                        ; implicit-def: $vgpr20
.LBB135_2220:
	s_delay_alu instid0(SALU_CYCLE_1)
	s_and_not1_b32 vcc_lo, exec_lo, s0
	s_cbranch_vccnz .LBB135_2222
; %bb.2221:
	global_load_b32 v1, v[16:17], off
	s_wait_loadcnt 0x0
	s_wait_xcnt 0x1
	v_cvt_f32_i32_e32 v20, v1
.LBB135_2222:
	s_mov_b32 s0, 0
.LBB135_2223:
	s_delay_alu instid0(SALU_CYCLE_1)
	s_and_not1_b32 vcc_lo, exec_lo, s0
	s_cbranch_vccnz .LBB135_2225
; %bb.2224:
	global_load_i16 v1, v[16:17], off
	s_wait_loadcnt 0x0
	s_wait_xcnt 0x1
	v_cvt_f32_i32_e32 v20, v1
.LBB135_2225:
	s_mov_b32 s0, 0
.LBB135_2226:
	s_delay_alu instid0(SALU_CYCLE_1)
	s_and_not1_b32 vcc_lo, exec_lo, s0
	s_cbranch_vccnz .LBB135_2232
; %bb.2227:
	s_cmp_gt_i32 s16, 0
	s_mov_b32 s0, 0
	s_cbranch_scc0 .LBB135_2229
; %bb.2228:
	global_load_i8 v1, v[16:17], off
	s_wait_loadcnt 0x0
	s_wait_xcnt 0x1
	v_cvt_f32_i32_e32 v20, v1
	s_branch .LBB135_2230
.LBB135_2229:
	s_mov_b32 s0, -1
                                        ; implicit-def: $vgpr20
.LBB135_2230:
	s_delay_alu instid0(SALU_CYCLE_1)
	s_and_not1_b32 vcc_lo, exec_lo, s0
	s_cbranch_vccnz .LBB135_2232
; %bb.2231:
	global_load_u8 v1, v[16:17], off
	s_wait_loadcnt 0x0
	s_wait_xcnt 0x1
	v_cvt_f32_ubyte0_e32 v20, v1
.LBB135_2232:
	s_wait_loadcnt 0x0
	v_mov_b32_e32 v21, 0
.LBB135_2233:
	s_mov_b32 s17, -1
.LBB135_2234:
	s_delay_alu instid0(SALU_CYCLE_1)
	s_and_not1_b32 vcc_lo, exec_lo, s17
	s_cbranch_vccnz .LBB135_2793
; %bb.2235:
	s_and_b32 vcc_lo, exec_lo, s13
	s_cbranch_vccz .LBB135_2237
; %bb.2236:
	s_wait_loadcnt 0x0
	s_delay_alu instid0(VALU_DEP_1) | instskip(NEXT) | instid1(VALU_DEP_2)
	v_cmp_neq_f32_e32 vcc_lo, v18, v20
	v_cmp_neq_f32_e64 s0, v19, v21
	s_or_b32 s14, vcc_lo, s0
	s_mov_b32 s0, 0
	s_branch .LBB135_2238
.LBB135_2237:
	s_mov_b32 s0, -1
                                        ; implicit-def: $sgpr14
.LBB135_2238:
	s_delay_alu instid0(SALU_CYCLE_1)
	s_and_not1_b32 vcc_lo, exec_lo, s0
	s_cbranch_vccnz .LBB135_2240
; %bb.2239:
	s_wait_loadcnt 0x0
	s_delay_alu instid0(VALU_DEP_1) | instskip(NEXT) | instid1(VALU_DEP_2)
	v_cmp_eq_f32_e32 vcc_lo, v19, v21
	v_cmp_eq_f32_e64 s0, v18, v20
	s_and_not1_b32 s14, s14, exec_lo
	s_and_b32 s0, s0, vcc_lo
	s_delay_alu instid0(SALU_CYCLE_1) | instskip(NEXT) | instid1(SALU_CYCLE_1)
	s_and_b32 s0, s0, exec_lo
	s_or_b32 s14, s14, s0
.LBB135_2240:
	v_mov_b32_e32 v15, 0
	s_cmp_lt_i32 s15, 11
	s_wait_xcnt 0x0
	s_delay_alu instid0(VALU_DEP_1)
	v_add_nc_u64_e32 v[16:17], s[6:7], v[14:15]
	s_cbranch_scc1 .LBB135_2247
; %bb.2241:
	s_cmp_gt_i32 s15, 25
	s_mov_b32 s17, 0
	s_cbranch_scc0 .LBB135_2248
; %bb.2242:
	s_cmp_gt_i32 s15, 28
	s_cbranch_scc0 .LBB135_2249
; %bb.2243:
	s_cmp_gt_i32 s15, 43
	;; [unrolled: 3-line block ×3, first 2 shown]
	s_cbranch_scc0 .LBB135_2251
; %bb.2245:
	s_cmp_eq_u32 s15, 46
	s_mov_b32 s19, 0
	s_cbranch_scc0 .LBB135_2252
; %bb.2246:
	global_load_b32 v1, v[16:17], off
	s_mov_b32 s0, 0
	s_mov_b32 s18, -1
	s_wait_loadcnt 0x0
	v_and_b32_e32 v15, 0xffff0000, v1
	v_lshlrev_b32_e32 v14, 16, v1
	s_branch .LBB135_2254
.LBB135_2247:
	s_mov_b32 s0, -1
	s_mov_b32 s18, 0
                                        ; implicit-def: $vgpr15
	s_branch .LBB135_2300
.LBB135_2248:
	s_mov_b32 s19, -1
	s_mov_b32 s18, 0
	s_mov_b32 s0, 0
                                        ; implicit-def: $vgpr15
	s_branch .LBB135_2285
.LBB135_2249:
	s_mov_b32 s19, -1
	s_mov_b32 s18, 0
	s_mov_b32 s0, 0
                                        ; implicit-def: $vgpr15
	s_branch .LBB135_2266
.LBB135_2250:
	s_mov_b32 s19, -1
	s_mov_b32 s18, 0
	s_mov_b32 s0, 0
                                        ; implicit-def: $vgpr15
	s_branch .LBB135_2260
.LBB135_2251:
	s_mov_b32 s19, -1
	s_mov_b32 s18, 0
	s_mov_b32 s0, 0
	s_branch .LBB135_2253
.LBB135_2252:
	s_mov_b32 s0, -1
	s_mov_b32 s18, 0
.LBB135_2253:
                                        ; implicit-def: $vgpr15
.LBB135_2254:
	s_and_b32 vcc_lo, exec_lo, s19
	s_cbranch_vccz .LBB135_2259
; %bb.2255:
	s_cmp_eq_u32 s15, 44
	s_cbranch_scc0 .LBB135_2257
; %bb.2256:
	global_load_u8 v1, v[16:17], off
	s_mov_b32 s0, 0
	s_mov_b32 s18, -1
	s_wait_loadcnt 0x0
	v_lshlrev_b32_e32 v3, 23, v1
	v_cmp_ne_u32_e32 vcc_lo, 0xff, v1
	s_delay_alu instid0(VALU_DEP_2) | instskip(SKIP_1) | instid1(VALU_DEP_2)
	v_cndmask_b32_e32 v3, 0x7f800001, v3, vcc_lo
	v_cmp_ne_u32_e32 vcc_lo, 0, v1
	v_cndmask_b32_e32 v14, 0x400000, v3, vcc_lo
	s_branch .LBB135_2258
.LBB135_2257:
	s_mov_b32 s0, -1
                                        ; implicit-def: $vgpr14
.LBB135_2258:
	v_mov_b32_e32 v15, 0
.LBB135_2259:
	s_mov_b32 s19, 0
.LBB135_2260:
	s_delay_alu instid0(SALU_CYCLE_1)
	s_and_b32 vcc_lo, exec_lo, s19
	s_cbranch_vccz .LBB135_2265
; %bb.2261:
	s_cmp_eq_u32 s15, 29
	s_cbranch_scc0 .LBB135_2263
; %bb.2262:
	global_load_b64 v[14:15], v[16:17], off
	s_mov_b32 s0, 0
	s_mov_b32 s18, -1
	s_wait_loadcnt 0x0
	v_clz_i32_u32_e32 v1, v15
	s_delay_alu instid0(VALU_DEP_1) | instskip(NEXT) | instid1(VALU_DEP_1)
	v_min_u32_e32 v1, 32, v1
	v_lshlrev_b64_e32 v[14:15], v1, v[14:15]
	v_sub_nc_u32_e32 v1, 32, v1
	s_delay_alu instid0(VALU_DEP_2) | instskip(NEXT) | instid1(VALU_DEP_1)
	v_min_u32_e32 v3, 1, v14
	v_or_b32_e32 v3, v15, v3
	s_delay_alu instid0(VALU_DEP_1) | instskip(NEXT) | instid1(VALU_DEP_1)
	v_cvt_f32_u32_e32 v3, v3
	v_ldexp_f32 v14, v3, v1
	s_branch .LBB135_2264
.LBB135_2263:
	s_mov_b32 s0, -1
                                        ; implicit-def: $vgpr14
.LBB135_2264:
	v_mov_b32_e32 v15, 0
.LBB135_2265:
	s_mov_b32 s19, 0
.LBB135_2266:
	s_delay_alu instid0(SALU_CYCLE_1)
	s_and_b32 vcc_lo, exec_lo, s19
	s_cbranch_vccz .LBB135_2284
; %bb.2267:
	s_cmp_lt_i32 s15, 27
	s_cbranch_scc1 .LBB135_2270
; %bb.2268:
	s_cmp_gt_i32 s15, 27
	s_cbranch_scc0 .LBB135_2271
; %bb.2269:
	global_load_b32 v1, v[16:17], off
	s_mov_b32 s18, 0
	s_wait_loadcnt 0x0
	v_cvt_f32_u32_e32 v14, v1
	s_branch .LBB135_2272
.LBB135_2270:
	s_mov_b32 s18, -1
                                        ; implicit-def: $vgpr14
	s_branch .LBB135_2275
.LBB135_2271:
	s_mov_b32 s18, -1
                                        ; implicit-def: $vgpr14
.LBB135_2272:
	s_delay_alu instid0(SALU_CYCLE_1)
	s_and_not1_b32 vcc_lo, exec_lo, s18
	s_cbranch_vccnz .LBB135_2274
; %bb.2273:
	global_load_u16 v1, v[16:17], off
	s_wait_loadcnt 0x0
	v_cvt_f32_u32_e32 v14, v1
.LBB135_2274:
	s_mov_b32 s18, 0
.LBB135_2275:
	s_delay_alu instid0(SALU_CYCLE_1)
	s_and_not1_b32 vcc_lo, exec_lo, s18
	s_cbranch_vccnz .LBB135_2283
; %bb.2276:
	global_load_u8 v1, v[16:17], off
	s_mov_b32 s18, 0
	s_mov_b32 s19, exec_lo
	s_wait_loadcnt 0x0
	v_cmpx_lt_i16_e32 0x7f, v1
	s_xor_b32 s19, exec_lo, s19
	s_cbranch_execz .LBB135_2309
; %bb.2277:
	s_mov_b32 s18, -1
	s_mov_b32 s20, exec_lo
	v_cmpx_eq_u16_e32 0x80, v1
; %bb.2278:
	s_xor_b32 s18, exec_lo, -1
; %bb.2279:
	s_or_b32 exec_lo, exec_lo, s20
	s_delay_alu instid0(SALU_CYCLE_1)
	s_and_b32 s18, s18, exec_lo
	s_or_saveexec_b32 s19, s19
	v_mov_b32_e32 v14, 0x7f800001
	s_xor_b32 exec_lo, exec_lo, s19
	s_cbranch_execnz .LBB135_2310
.LBB135_2280:
	s_or_b32 exec_lo, exec_lo, s19
	s_and_saveexec_b32 s19, s18
	s_cbranch_execz .LBB135_2282
.LBB135_2281:
	v_and_b32_e32 v3, 0xffff, v1
	s_delay_alu instid0(VALU_DEP_1) | instskip(SKIP_1) | instid1(VALU_DEP_2)
	v_dual_lshlrev_b32 v1, 24, v1 :: v_dual_bitop2_b32 v5, 7, v3 bitop3:0x40
	v_bfe_u32 v11, v3, 3, 4
	v_and_b32_e32 v1, 0x80000000, v1
	s_delay_alu instid0(VALU_DEP_3) | instskip(NEXT) | instid1(VALU_DEP_3)
	v_clz_i32_u32_e32 v7, v5
	v_cmp_eq_u32_e32 vcc_lo, 0, v11
	s_delay_alu instid0(VALU_DEP_2) | instskip(NEXT) | instid1(VALU_DEP_1)
	v_min_u32_e32 v7, 32, v7
	v_subrev_nc_u32_e32 v9, 28, v7
	v_sub_nc_u32_e32 v7, 29, v7
	s_delay_alu instid0(VALU_DEP_2) | instskip(NEXT) | instid1(VALU_DEP_2)
	v_lshlrev_b32_e32 v3, v9, v3
	v_cndmask_b32_e32 v7, v11, v7, vcc_lo
	s_delay_alu instid0(VALU_DEP_2) | instskip(NEXT) | instid1(VALU_DEP_1)
	v_and_b32_e32 v3, 7, v3
	v_cndmask_b32_e32 v3, v5, v3, vcc_lo
	s_delay_alu instid0(VALU_DEP_3) | instskip(NEXT) | instid1(VALU_DEP_2)
	v_lshl_add_u32 v5, v7, 23, 0x3b800000
	v_lshlrev_b32_e32 v3, 20, v3
	s_delay_alu instid0(VALU_DEP_1)
	v_or3_b32 v14, v1, v5, v3
.LBB135_2282:
	s_or_b32 exec_lo, exec_lo, s19
.LBB135_2283:
	v_mov_b32_e32 v15, 0
	s_mov_b32 s18, -1
.LBB135_2284:
	s_mov_b32 s19, 0
.LBB135_2285:
	s_delay_alu instid0(SALU_CYCLE_1)
	s_and_b32 vcc_lo, exec_lo, s19
	s_cbranch_vccz .LBB135_2296
; %bb.2286:
	s_cmp_gt_i32 s15, 22
	s_cbranch_scc0 .LBB135_2307
; %bb.2287:
	s_cmp_lt_i32 s15, 24
	s_cbranch_scc1 .LBB135_2311
; %bb.2288:
	s_cmp_gt_i32 s15, 24
	s_cbranch_scc0 .LBB135_2313
; %bb.2289:
	global_load_u8 v1, v[16:17], off
	s_mov_b32 s18, exec_lo
	s_wait_loadcnt 0x0
	v_cmpx_lt_i16_e32 0x7f, v1
	s_xor_b32 s18, exec_lo, s18
	s_cbranch_execz .LBB135_2325
; %bb.2290:
	s_mov_b32 s17, -1
	s_mov_b32 s19, exec_lo
	v_cmpx_eq_u16_e32 0x80, v1
; %bb.2291:
	s_xor_b32 s17, exec_lo, -1
; %bb.2292:
	s_or_b32 exec_lo, exec_lo, s19
	s_delay_alu instid0(SALU_CYCLE_1)
	s_and_b32 s17, s17, exec_lo
	s_or_saveexec_b32 s18, s18
	v_mov_b32_e32 v14, 0x7f800001
	s_xor_b32 exec_lo, exec_lo, s18
	s_cbranch_execnz .LBB135_2326
.LBB135_2293:
	s_or_b32 exec_lo, exec_lo, s18
	s_and_saveexec_b32 s18, s17
	s_cbranch_execz .LBB135_2295
.LBB135_2294:
	v_and_b32_e32 v3, 0xffff, v1
	s_delay_alu instid0(VALU_DEP_1) | instskip(SKIP_1) | instid1(VALU_DEP_2)
	v_dual_lshlrev_b32 v1, 24, v1 :: v_dual_bitop2_b32 v5, 3, v3 bitop3:0x40
	v_bfe_u32 v11, v3, 2, 5
	v_and_b32_e32 v1, 0x80000000, v1
	s_delay_alu instid0(VALU_DEP_3) | instskip(NEXT) | instid1(VALU_DEP_3)
	v_clz_i32_u32_e32 v7, v5
	v_cmp_eq_u32_e32 vcc_lo, 0, v11
	s_delay_alu instid0(VALU_DEP_2) | instskip(NEXT) | instid1(VALU_DEP_1)
	v_min_u32_e32 v7, 32, v7
	v_subrev_nc_u32_e32 v9, 29, v7
	v_sub_nc_u32_e32 v7, 30, v7
	s_delay_alu instid0(VALU_DEP_2) | instskip(NEXT) | instid1(VALU_DEP_2)
	v_lshlrev_b32_e32 v3, v9, v3
	v_cndmask_b32_e32 v7, v11, v7, vcc_lo
	s_delay_alu instid0(VALU_DEP_2) | instskip(NEXT) | instid1(VALU_DEP_1)
	v_and_b32_e32 v3, 3, v3
	v_cndmask_b32_e32 v3, v5, v3, vcc_lo
	s_delay_alu instid0(VALU_DEP_3) | instskip(NEXT) | instid1(VALU_DEP_2)
	v_lshl_add_u32 v5, v7, 23, 0x37800000
	v_lshlrev_b32_e32 v3, 21, v3
	s_delay_alu instid0(VALU_DEP_1)
	v_or3_b32 v14, v1, v5, v3
.LBB135_2295:
	s_or_b32 exec_lo, exec_lo, s18
	s_mov_b32 s17, 0
	s_branch .LBB135_2314
.LBB135_2296:
	s_and_b32 vcc_lo, exec_lo, s0
	s_cbranch_vccnz .LBB135_2344
.LBB135_2297:
	s_and_not1_b32 vcc_lo, exec_lo, s17
	s_cbranch_vccnz .LBB135_2299
.LBB135_2298:
	global_load_u8 v1, v[16:17], off
	v_mov_b32_e32 v15, 0
	s_mov_b32 s18, -1
	s_wait_loadcnt 0x0
	v_cmp_ne_u16_e32 vcc_lo, 0, v1
	v_cndmask_b32_e64 v14, 0, 1.0, vcc_lo
.LBB135_2299:
	s_mov_b32 s0, 0
.LBB135_2300:
	s_delay_alu instid0(SALU_CYCLE_1)
	s_and_b32 vcc_lo, exec_lo, s0
	s_cbranch_vccz .LBB135_2375
; %bb.2301:
	s_cmp_lt_i32 s15, 5
	s_cbranch_scc1 .LBB135_2306
; %bb.2302:
	s_cmp_lt_i32 s15, 8
	s_cbranch_scc1 .LBB135_2308
	;; [unrolled: 3-line block ×3, first 2 shown]
; %bb.2304:
	s_cmp_gt_i32 s15, 9
	s_cbranch_scc0 .LBB135_2327
; %bb.2305:
	s_wait_loadcnt 0x0
	global_load_b128 v[18:21], v[16:17], off
	s_mov_b32 s0, 0
	s_wait_loadcnt 0x0
	v_cvt_f32_f64_e32 v14, v[18:19]
	v_cvt_f32_f64_e32 v15, v[20:21]
	s_branch .LBB135_2328
.LBB135_2306:
	s_mov_b32 s0, -1
                                        ; implicit-def: $vgpr15
	s_branch .LBB135_2353
.LBB135_2307:
	s_mov_b32 s17, -1
                                        ; implicit-def: $vgpr14
	s_branch .LBB135_2320
.LBB135_2308:
	s_mov_b32 s0, -1
                                        ; implicit-def: $vgpr15
	s_branch .LBB135_2334
.LBB135_2309:
	s_or_saveexec_b32 s19, s19
	v_mov_b32_e32 v14, 0x7f800001
	s_xor_b32 exec_lo, exec_lo, s19
	s_cbranch_execz .LBB135_2280
.LBB135_2310:
	v_cmp_ne_u16_e32 vcc_lo, 0, v1
	v_mov_b32_e32 v14, 0
	s_and_not1_b32 s18, s18, exec_lo
	s_and_b32 s20, vcc_lo, exec_lo
	s_delay_alu instid0(SALU_CYCLE_1)
	s_or_b32 s18, s18, s20
	s_or_b32 exec_lo, exec_lo, s19
	s_and_saveexec_b32 s19, s18
	s_cbranch_execnz .LBB135_2281
	s_branch .LBB135_2282
.LBB135_2311:
	s_mov_b32 s17, -1
                                        ; implicit-def: $vgpr14
	s_branch .LBB135_2317
.LBB135_2312:
	s_mov_b32 s0, -1
                                        ; implicit-def: $vgpr15
	s_branch .LBB135_2331
.LBB135_2313:
	s_mov_b32 s17, -1
                                        ; implicit-def: $vgpr14
.LBB135_2314:
	s_delay_alu instid0(SALU_CYCLE_1)
	s_and_b32 vcc_lo, exec_lo, s17
	s_cbranch_vccz .LBB135_2316
; %bb.2315:
	global_load_u8 v1, v[16:17], off
	s_wait_loadcnt 0x0
	v_lshlrev_b32_e32 v1, 24, v1
	s_delay_alu instid0(VALU_DEP_1) | instskip(NEXT) | instid1(VALU_DEP_1)
	v_and_b32_e32 v3, 0x7f000000, v1
	v_clz_i32_u32_e32 v5, v3
	v_add_nc_u32_e32 v9, 0x1000000, v3
	v_cmp_ne_u32_e32 vcc_lo, 0, v3
	s_delay_alu instid0(VALU_DEP_3) | instskip(NEXT) | instid1(VALU_DEP_1)
	v_min_u32_e32 v5, 32, v5
	v_sub_nc_u32_e64 v5, v5, 4 clamp
	s_delay_alu instid0(VALU_DEP_1) | instskip(NEXT) | instid1(VALU_DEP_1)
	v_dual_lshlrev_b32 v7, v5, v3 :: v_dual_lshlrev_b32 v5, 23, v5
	v_lshrrev_b32_e32 v7, 4, v7
	s_delay_alu instid0(VALU_DEP_1) | instskip(SKIP_1) | instid1(VALU_DEP_2)
	v_sub_nc_u32_e32 v5, v7, v5
	v_ashrrev_i32_e32 v7, 8, v9
	v_add_nc_u32_e32 v5, 0x3c000000, v5
	s_delay_alu instid0(VALU_DEP_1) | instskip(NEXT) | instid1(VALU_DEP_1)
	v_and_or_b32 v5, 0x7f800000, v7, v5
	v_cndmask_b32_e32 v3, 0, v5, vcc_lo
	s_delay_alu instid0(VALU_DEP_1)
	v_and_or_b32 v14, 0x80000000, v1, v3
.LBB135_2316:
	s_mov_b32 s17, 0
.LBB135_2317:
	s_delay_alu instid0(SALU_CYCLE_1)
	s_and_not1_b32 vcc_lo, exec_lo, s17
	s_cbranch_vccnz .LBB135_2319
; %bb.2318:
	global_load_u8 v1, v[16:17], off
	s_wait_loadcnt 0x0
	v_lshlrev_b32_e32 v3, 25, v1
	v_lshlrev_b16 v1, 8, v1
	s_delay_alu instid0(VALU_DEP_1) | instskip(SKIP_1) | instid1(VALU_DEP_2)
	v_and_or_b32 v7, 0x7f00, v1, 0.5
	v_bfe_i32 v1, v1, 0, 16
	v_add_f32_e32 v7, -0.5, v7
	v_lshrrev_b32_e32 v5, 4, v3
	v_cmp_gt_u32_e32 vcc_lo, 0x8000000, v3
	s_delay_alu instid0(VALU_DEP_2) | instskip(NEXT) | instid1(VALU_DEP_1)
	v_or_b32_e32 v5, 0x70000000, v5
	v_mul_f32_e32 v5, 0x7800000, v5
	s_delay_alu instid0(VALU_DEP_1) | instskip(NEXT) | instid1(VALU_DEP_1)
	v_cndmask_b32_e32 v3, v5, v7, vcc_lo
	v_and_or_b32 v14, 0x80000000, v1, v3
.LBB135_2319:
	s_mov_b32 s17, 0
	s_mov_b32 s18, -1
.LBB135_2320:
	s_and_not1_b32 vcc_lo, exec_lo, s17
	s_mov_b32 s17, 0
	s_cbranch_vccnz .LBB135_2343
; %bb.2321:
	s_cmp_gt_i32 s15, 14
	s_cbranch_scc0 .LBB135_2324
; %bb.2322:
	s_cmp_eq_u32 s15, 15
	s_cbranch_scc0 .LBB135_2339
; %bb.2323:
	global_load_u16 v1, v[16:17], off
	s_mov_b32 s0, 0
	s_mov_b32 s18, -1
	s_wait_loadcnt 0x0
	v_lshlrev_b32_e32 v14, 16, v1
	s_branch .LBB135_2341
.LBB135_2324:
	s_mov_b32 s17, -1
	s_branch .LBB135_2340
.LBB135_2325:
	s_or_saveexec_b32 s18, s18
	v_mov_b32_e32 v14, 0x7f800001
	s_xor_b32 exec_lo, exec_lo, s18
	s_cbranch_execz .LBB135_2293
.LBB135_2326:
	v_cmp_ne_u16_e32 vcc_lo, 0, v1
	v_mov_b32_e32 v14, 0
	s_and_not1_b32 s17, s17, exec_lo
	s_and_b32 s19, vcc_lo, exec_lo
	s_delay_alu instid0(SALU_CYCLE_1)
	s_or_b32 s17, s17, s19
	s_or_b32 exec_lo, exec_lo, s18
	s_and_saveexec_b32 s18, s17
	s_cbranch_execnz .LBB135_2294
	s_branch .LBB135_2295
.LBB135_2327:
	s_mov_b32 s0, -1
                                        ; implicit-def: $vgpr15
.LBB135_2328:
	s_delay_alu instid0(SALU_CYCLE_1)
	s_and_not1_b32 vcc_lo, exec_lo, s0
	s_cbranch_vccnz .LBB135_2330
; %bb.2329:
	global_load_b64 v[14:15], v[16:17], off
.LBB135_2330:
	s_mov_b32 s0, 0
.LBB135_2331:
	s_delay_alu instid0(SALU_CYCLE_1)
	s_and_not1_b32 vcc_lo, exec_lo, s0
	s_cbranch_vccnz .LBB135_2333
; %bb.2332:
	global_load_b32 v1, v[16:17], off
	s_wait_loadcnt 0x0
	v_lshrrev_b32_e32 v3, 16, v1
	v_cvt_f32_f16_e32 v14, v1
	s_delay_alu instid0(VALU_DEP_2)
	v_cvt_f32_f16_e32 v15, v3
.LBB135_2333:
	s_mov_b32 s0, 0
.LBB135_2334:
	s_delay_alu instid0(SALU_CYCLE_1)
	s_and_not1_b32 vcc_lo, exec_lo, s0
	s_cbranch_vccnz .LBB135_2352
; %bb.2335:
	s_cmp_lt_i32 s15, 6
	s_cbranch_scc1 .LBB135_2338
; %bb.2336:
	s_cmp_gt_i32 s15, 6
	s_cbranch_scc0 .LBB135_2345
; %bb.2337:
	s_wait_loadcnt 0x0
	global_load_b64 v[14:15], v[16:17], off
	s_mov_b32 s0, 0
	s_wait_loadcnt 0x0
	v_cvt_f32_f64_e32 v14, v[14:15]
	s_branch .LBB135_2346
.LBB135_2338:
	s_mov_b32 s0, -1
                                        ; implicit-def: $vgpr14
	s_branch .LBB135_2349
.LBB135_2339:
	s_mov_b32 s0, -1
.LBB135_2340:
                                        ; implicit-def: $vgpr14
.LBB135_2341:
	s_and_b32 vcc_lo, exec_lo, s17
	s_mov_b32 s17, 0
	s_cbranch_vccz .LBB135_2343
; %bb.2342:
	s_cmp_lg_u32 s15, 11
	s_mov_b32 s17, -1
	s_cselect_b32 s0, -1, 0
.LBB135_2343:
	v_mov_b32_e32 v15, 0
	s_and_b32 vcc_lo, exec_lo, s0
	s_cbranch_vccz .LBB135_2297
.LBB135_2344:
	s_or_b32 s1, s1, exec_lo
	s_trap 2
	s_cbranch_execz .LBB135_2298
	s_branch .LBB135_2299
.LBB135_2345:
	s_mov_b32 s0, -1
                                        ; implicit-def: $vgpr14
.LBB135_2346:
	s_delay_alu instid0(SALU_CYCLE_1)
	s_and_not1_b32 vcc_lo, exec_lo, s0
	s_cbranch_vccnz .LBB135_2348
; %bb.2347:
	s_wait_loadcnt 0x0
	global_load_b32 v14, v[16:17], off
.LBB135_2348:
	s_mov_b32 s0, 0
.LBB135_2349:
	s_delay_alu instid0(SALU_CYCLE_1)
	s_and_not1_b32 vcc_lo, exec_lo, s0
	s_cbranch_vccnz .LBB135_2351
; %bb.2350:
	global_load_u16 v1, v[16:17], off
	s_wait_loadcnt 0x0
	v_cvt_f32_f16_e32 v14, v1
.LBB135_2351:
	s_wait_loadcnt 0x0
	v_mov_b32_e32 v15, 0
.LBB135_2352:
	s_mov_b32 s0, 0
.LBB135_2353:
	s_delay_alu instid0(SALU_CYCLE_1)
	s_and_not1_b32 vcc_lo, exec_lo, s0
	s_cbranch_vccnz .LBB135_2374
; %bb.2354:
	s_cmp_lt_i32 s15, 2
	s_cbranch_scc1 .LBB135_2358
; %bb.2355:
	s_cmp_lt_i32 s15, 3
	s_cbranch_scc1 .LBB135_2359
; %bb.2356:
	s_cmp_gt_i32 s15, 3
	s_cbranch_scc0 .LBB135_2360
; %bb.2357:
	s_wait_loadcnt 0x0
	global_load_b64 v[14:15], v[16:17], off
	s_mov_b32 s0, 0
	s_wait_loadcnt 0x0
	v_xor_b32_e32 v1, v14, v15
	v_cls_i32_e32 v3, v15
	s_delay_alu instid0(VALU_DEP_2) | instskip(NEXT) | instid1(VALU_DEP_1)
	v_ashrrev_i32_e32 v1, 31, v1
	v_add_nc_u32_e32 v1, 32, v1
	s_delay_alu instid0(VALU_DEP_1) | instskip(NEXT) | instid1(VALU_DEP_1)
	v_add_min_u32_e64 v1, v3, -1, v1
	v_lshlrev_b64_e32 v[14:15], v1, v[14:15]
	v_sub_nc_u32_e32 v1, 32, v1
	s_delay_alu instid0(VALU_DEP_2) | instskip(NEXT) | instid1(VALU_DEP_1)
	v_min_u32_e32 v3, 1, v14
	v_or_b32_e32 v3, v15, v3
	s_delay_alu instid0(VALU_DEP_1) | instskip(NEXT) | instid1(VALU_DEP_1)
	v_cvt_f32_i32_e32 v3, v3
	v_ldexp_f32 v14, v3, v1
	s_branch .LBB135_2361
.LBB135_2358:
	s_mov_b32 s0, -1
                                        ; implicit-def: $vgpr14
	s_branch .LBB135_2367
.LBB135_2359:
	s_mov_b32 s0, -1
                                        ; implicit-def: $vgpr14
	s_branch .LBB135_2364
.LBB135_2360:
	s_mov_b32 s0, -1
                                        ; implicit-def: $vgpr14
.LBB135_2361:
	s_delay_alu instid0(SALU_CYCLE_1)
	s_and_not1_b32 vcc_lo, exec_lo, s0
	s_cbranch_vccnz .LBB135_2363
; %bb.2362:
	global_load_b32 v1, v[16:17], off
	s_wait_loadcnt 0x0
	v_cvt_f32_i32_e32 v14, v1
.LBB135_2363:
	s_mov_b32 s0, 0
.LBB135_2364:
	s_delay_alu instid0(SALU_CYCLE_1)
	s_and_not1_b32 vcc_lo, exec_lo, s0
	s_cbranch_vccnz .LBB135_2366
; %bb.2365:
	global_load_i16 v1, v[16:17], off
	s_wait_loadcnt 0x0
	v_cvt_f32_i32_e32 v14, v1
.LBB135_2366:
	s_mov_b32 s0, 0
.LBB135_2367:
	s_delay_alu instid0(SALU_CYCLE_1)
	s_and_not1_b32 vcc_lo, exec_lo, s0
	s_cbranch_vccnz .LBB135_2373
; %bb.2368:
	s_cmp_gt_i32 s15, 0
	s_mov_b32 s0, 0
	s_cbranch_scc0 .LBB135_2370
; %bb.2369:
	global_load_i8 v1, v[16:17], off
	s_wait_loadcnt 0x0
	v_cvt_f32_i32_e32 v14, v1
	s_branch .LBB135_2371
.LBB135_2370:
	s_mov_b32 s0, -1
                                        ; implicit-def: $vgpr14
.LBB135_2371:
	s_delay_alu instid0(SALU_CYCLE_1)
	s_and_not1_b32 vcc_lo, exec_lo, s0
	s_cbranch_vccnz .LBB135_2373
; %bb.2372:
	global_load_u8 v1, v[16:17], off
	s_wait_loadcnt 0x0
	v_cvt_f32_ubyte0_e32 v14, v1
.LBB135_2373:
	s_wait_loadcnt 0x0
	v_mov_b32_e32 v15, 0
.LBB135_2374:
	s_mov_b32 s18, -1
.LBB135_2375:
	s_delay_alu instid0(SALU_CYCLE_1)
	s_and_not1_b32 vcc_lo, exec_lo, s18
	s_cbranch_vccnz .LBB135_2793
; %bb.2376:
	v_mov_b32_e32 v13, 0
	s_cmp_lt_i32 s16, 11
	s_delay_alu instid0(VALU_DEP_1)
	v_add_nc_u64_e32 v[12:13], s[8:9], v[12:13]
	s_cbranch_scc1 .LBB135_2383
; %bb.2377:
	s_cmp_gt_i32 s16, 25
	s_mov_b32 s17, 0
	s_cbranch_scc0 .LBB135_2384
; %bb.2378:
	s_cmp_gt_i32 s16, 28
	s_cbranch_scc0 .LBB135_2385
; %bb.2379:
	s_cmp_gt_i32 s16, 43
	;; [unrolled: 3-line block ×3, first 2 shown]
	s_cbranch_scc0 .LBB135_2387
; %bb.2381:
	s_cmp_eq_u32 s16, 46
	s_mov_b32 s19, 0
	s_cbranch_scc0 .LBB135_2390
; %bb.2382:
	global_load_b32 v1, v[12:13], off
	s_mov_b32 s0, 0
	s_mov_b32 s18, -1
	s_wait_loadcnt 0x0
	s_wait_xcnt 0x1
	v_and_b32_e32 v17, 0xffff0000, v1
	v_lshlrev_b32_e32 v16, 16, v1
	s_branch .LBB135_2392
.LBB135_2383:
	s_mov_b32 s0, -1
	s_mov_b32 s18, 0
                                        ; implicit-def: $vgpr17
	s_branch .LBB135_2438
.LBB135_2384:
	s_mov_b32 s19, -1
	s_mov_b32 s18, 0
	s_mov_b32 s0, 0
                                        ; implicit-def: $vgpr17
	s_branch .LBB135_2423
.LBB135_2385:
	s_mov_b32 s19, -1
	s_mov_b32 s18, 0
	s_mov_b32 s0, 0
                                        ; implicit-def: $vgpr17
	s_branch .LBB135_2404
.LBB135_2386:
	s_mov_b32 s19, -1
	s_mov_b32 s18, 0
	s_mov_b32 s0, 0
                                        ; implicit-def: $vgpr17
	s_branch .LBB135_2398
.LBB135_2387:
	s_mov_b32 s19, -1
	s_mov_b32 s18, 0
	s_mov_b32 s0, 0
	s_branch .LBB135_2391
.LBB135_2388:
	s_and_not1_saveexec_b32 s53, s53
	s_cbranch_execz .LBB135_1164
.LBB135_2389:
	v_add_f32_e32 v1, 0x42800000, v4
	s_and_not1_b32 s52, s52, exec_lo
	s_delay_alu instid0(VALU_DEP_1) | instskip(NEXT) | instid1(VALU_DEP_1)
	v_and_b32_e32 v1, 0xff, v1
	v_cmp_ne_u32_e32 vcc_lo, 0, v1
	s_and_b32 s54, vcc_lo, exec_lo
	s_delay_alu instid0(SALU_CYCLE_1)
	s_or_b32 s52, s52, s54
	s_or_b32 exec_lo, exec_lo, s53
	v_mov_b32_e32 v5, 0
	s_and_saveexec_b32 s53, s52
	s_cbranch_execnz .LBB135_1165
	s_branch .LBB135_1166
.LBB135_2390:
	s_mov_b32 s0, -1
	s_mov_b32 s18, 0
.LBB135_2391:
                                        ; implicit-def: $vgpr17
.LBB135_2392:
	s_and_b32 vcc_lo, exec_lo, s19
	s_cbranch_vccz .LBB135_2397
; %bb.2393:
	s_cmp_eq_u32 s16, 44
	s_cbranch_scc0 .LBB135_2395
; %bb.2394:
	global_load_u8 v1, v[12:13], off
	s_mov_b32 s0, 0
	s_mov_b32 s18, -1
	s_wait_loadcnt 0x0
	v_lshlrev_b32_e32 v3, 23, v1
	v_cmp_ne_u32_e32 vcc_lo, 0xff, v1
	s_delay_alu instid0(VALU_DEP_2) | instskip(SKIP_2) | instid1(VALU_DEP_2)
	v_cndmask_b32_e32 v3, 0x7f800001, v3, vcc_lo
	v_cmp_ne_u32_e32 vcc_lo, 0, v1
	s_wait_xcnt 0x1
	v_cndmask_b32_e32 v16, 0x400000, v3, vcc_lo
	s_branch .LBB135_2396
.LBB135_2395:
	s_mov_b32 s0, -1
                                        ; implicit-def: $vgpr16
.LBB135_2396:
	s_wait_xcnt 0x0
	v_mov_b32_e32 v17, 0
.LBB135_2397:
	s_mov_b32 s19, 0
.LBB135_2398:
	s_delay_alu instid0(SALU_CYCLE_1)
	s_and_b32 vcc_lo, exec_lo, s19
	s_cbranch_vccz .LBB135_2403
; %bb.2399:
	s_cmp_eq_u32 s16, 29
	s_cbranch_scc0 .LBB135_2401
; %bb.2400:
	global_load_b64 v[16:17], v[12:13], off
	s_mov_b32 s0, 0
	s_mov_b32 s18, -1
	s_wait_loadcnt 0x0
	v_clz_i32_u32_e32 v1, v17
	s_delay_alu instid0(VALU_DEP_1) | instskip(NEXT) | instid1(VALU_DEP_1)
	v_min_u32_e32 v1, 32, v1
	v_lshlrev_b64_e32 v[16:17], v1, v[16:17]
	v_sub_nc_u32_e32 v1, 32, v1
	s_delay_alu instid0(VALU_DEP_2) | instskip(NEXT) | instid1(VALU_DEP_1)
	v_min_u32_e32 v3, 1, v16
	v_or_b32_e32 v3, v17, v3
	s_delay_alu instid0(VALU_DEP_1) | instskip(NEXT) | instid1(VALU_DEP_1)
	v_cvt_f32_u32_e32 v3, v3
	v_ldexp_f32 v16, v3, v1
	s_branch .LBB135_2402
.LBB135_2401:
	s_mov_b32 s0, -1
                                        ; implicit-def: $vgpr16
.LBB135_2402:
	s_wait_xcnt 0x0
	v_mov_b32_e32 v17, 0
.LBB135_2403:
	s_mov_b32 s19, 0
.LBB135_2404:
	s_delay_alu instid0(SALU_CYCLE_1)
	s_and_b32 vcc_lo, exec_lo, s19
	s_cbranch_vccz .LBB135_2422
; %bb.2405:
	s_cmp_lt_i32 s16, 27
	s_cbranch_scc1 .LBB135_2408
; %bb.2406:
	s_cmp_gt_i32 s16, 27
	s_cbranch_scc0 .LBB135_2409
; %bb.2407:
	global_load_b32 v1, v[12:13], off
	s_mov_b32 s18, 0
	s_wait_loadcnt 0x0
	s_wait_xcnt 0x1
	v_cvt_f32_u32_e32 v16, v1
	s_branch .LBB135_2410
.LBB135_2408:
	s_mov_b32 s18, -1
                                        ; implicit-def: $vgpr16
	s_branch .LBB135_2413
.LBB135_2409:
	s_mov_b32 s18, -1
                                        ; implicit-def: $vgpr16
.LBB135_2410:
	s_delay_alu instid0(SALU_CYCLE_1)
	s_and_not1_b32 vcc_lo, exec_lo, s18
	s_cbranch_vccnz .LBB135_2412
; %bb.2411:
	global_load_u16 v1, v[12:13], off
	s_wait_loadcnt 0x0
	s_wait_xcnt 0x1
	v_cvt_f32_u32_e32 v16, v1
.LBB135_2412:
	s_mov_b32 s18, 0
.LBB135_2413:
	s_delay_alu instid0(SALU_CYCLE_1)
	s_and_not1_b32 vcc_lo, exec_lo, s18
	s_cbranch_vccnz .LBB135_2421
; %bb.2414:
	global_load_u8 v1, v[12:13], off
	s_mov_b32 s18, 0
	s_mov_b32 s19, exec_lo
	s_wait_loadcnt 0x0
	v_cmpx_lt_i16_e32 0x7f, v1
	s_xor_b32 s19, exec_lo, s19
	s_cbranch_execz .LBB135_2447
; %bb.2415:
	s_mov_b32 s18, -1
	s_mov_b32 s20, exec_lo
	v_cmpx_eq_u16_e32 0x80, v1
; %bb.2416:
	s_xor_b32 s18, exec_lo, -1
; %bb.2417:
	s_or_b32 exec_lo, exec_lo, s20
	s_delay_alu instid0(SALU_CYCLE_1)
	s_and_b32 s18, s18, exec_lo
	s_or_saveexec_b32 s19, s19
	v_mov_b32_e32 v16, 0x7f800001
	s_xor_b32 exec_lo, exec_lo, s19
	s_cbranch_execnz .LBB135_2448
.LBB135_2418:
	s_or_b32 exec_lo, exec_lo, s19
	s_and_saveexec_b32 s19, s18
	s_cbranch_execz .LBB135_2420
.LBB135_2419:
	v_and_b32_e32 v3, 0xffff, v1
	s_delay_alu instid0(VALU_DEP_1) | instskip(SKIP_1) | instid1(VALU_DEP_2)
	v_dual_lshlrev_b32 v1, 24, v1 :: v_dual_bitop2_b32 v5, 7, v3 bitop3:0x40
	v_bfe_u32 v11, v3, 3, 4
	v_and_b32_e32 v1, 0x80000000, v1
	s_delay_alu instid0(VALU_DEP_3) | instskip(NEXT) | instid1(VALU_DEP_3)
	v_clz_i32_u32_e32 v7, v5
	v_cmp_eq_u32_e32 vcc_lo, 0, v11
	s_delay_alu instid0(VALU_DEP_2) | instskip(NEXT) | instid1(VALU_DEP_1)
	v_min_u32_e32 v7, 32, v7
	v_subrev_nc_u32_e32 v9, 28, v7
	v_sub_nc_u32_e32 v7, 29, v7
	s_delay_alu instid0(VALU_DEP_2) | instskip(NEXT) | instid1(VALU_DEP_2)
	v_lshlrev_b32_e32 v3, v9, v3
	v_cndmask_b32_e32 v7, v11, v7, vcc_lo
	s_delay_alu instid0(VALU_DEP_2) | instskip(NEXT) | instid1(VALU_DEP_1)
	v_and_b32_e32 v3, 7, v3
	v_cndmask_b32_e32 v3, v5, v3, vcc_lo
	s_delay_alu instid0(VALU_DEP_3) | instskip(NEXT) | instid1(VALU_DEP_2)
	v_lshl_add_u32 v5, v7, 23, 0x3b800000
	v_lshlrev_b32_e32 v3, 20, v3
	s_delay_alu instid0(VALU_DEP_1)
	v_or3_b32 v16, v1, v5, v3
.LBB135_2420:
	s_or_b32 exec_lo, exec_lo, s19
.LBB135_2421:
	s_wait_xcnt 0x0
	v_mov_b32_e32 v17, 0
	s_mov_b32 s18, -1
.LBB135_2422:
	s_mov_b32 s19, 0
.LBB135_2423:
	s_delay_alu instid0(SALU_CYCLE_1)
	s_and_b32 vcc_lo, exec_lo, s19
	s_cbranch_vccz .LBB135_2434
; %bb.2424:
	s_cmp_gt_i32 s16, 22
	s_cbranch_scc0 .LBB135_2445
; %bb.2425:
	s_cmp_lt_i32 s16, 24
	s_cbranch_scc1 .LBB135_2449
; %bb.2426:
	s_cmp_gt_i32 s16, 24
	s_cbranch_scc0 .LBB135_2451
; %bb.2427:
	global_load_u8 v1, v[12:13], off
	s_mov_b32 s18, exec_lo
	s_wait_loadcnt 0x0
	v_cmpx_lt_i16_e32 0x7f, v1
	s_xor_b32 s18, exec_lo, s18
	s_cbranch_execz .LBB135_2463
; %bb.2428:
	s_mov_b32 s17, -1
	s_mov_b32 s19, exec_lo
	v_cmpx_eq_u16_e32 0x80, v1
; %bb.2429:
	s_xor_b32 s17, exec_lo, -1
; %bb.2430:
	s_or_b32 exec_lo, exec_lo, s19
	s_delay_alu instid0(SALU_CYCLE_1)
	s_and_b32 s17, s17, exec_lo
	s_or_saveexec_b32 s18, s18
	v_mov_b32_e32 v16, 0x7f800001
	s_xor_b32 exec_lo, exec_lo, s18
	s_cbranch_execnz .LBB135_2464
.LBB135_2431:
	s_or_b32 exec_lo, exec_lo, s18
	s_and_saveexec_b32 s18, s17
	s_cbranch_execz .LBB135_2433
.LBB135_2432:
	v_and_b32_e32 v3, 0xffff, v1
	s_delay_alu instid0(VALU_DEP_1) | instskip(SKIP_1) | instid1(VALU_DEP_2)
	v_dual_lshlrev_b32 v1, 24, v1 :: v_dual_bitop2_b32 v5, 3, v3 bitop3:0x40
	v_bfe_u32 v11, v3, 2, 5
	v_and_b32_e32 v1, 0x80000000, v1
	s_delay_alu instid0(VALU_DEP_3) | instskip(NEXT) | instid1(VALU_DEP_3)
	v_clz_i32_u32_e32 v7, v5
	v_cmp_eq_u32_e32 vcc_lo, 0, v11
	s_delay_alu instid0(VALU_DEP_2) | instskip(NEXT) | instid1(VALU_DEP_1)
	v_min_u32_e32 v7, 32, v7
	v_subrev_nc_u32_e32 v9, 29, v7
	v_sub_nc_u32_e32 v7, 30, v7
	s_delay_alu instid0(VALU_DEP_2) | instskip(NEXT) | instid1(VALU_DEP_2)
	v_lshlrev_b32_e32 v3, v9, v3
	v_cndmask_b32_e32 v7, v11, v7, vcc_lo
	s_delay_alu instid0(VALU_DEP_2) | instskip(NEXT) | instid1(VALU_DEP_1)
	v_and_b32_e32 v3, 3, v3
	v_cndmask_b32_e32 v3, v5, v3, vcc_lo
	s_delay_alu instid0(VALU_DEP_3) | instskip(NEXT) | instid1(VALU_DEP_2)
	v_lshl_add_u32 v5, v7, 23, 0x37800000
	v_lshlrev_b32_e32 v3, 21, v3
	s_delay_alu instid0(VALU_DEP_1)
	v_or3_b32 v16, v1, v5, v3
.LBB135_2433:
	s_or_b32 exec_lo, exec_lo, s18
	s_mov_b32 s17, 0
	s_branch .LBB135_2452
.LBB135_2434:
	s_and_b32 vcc_lo, exec_lo, s0
	s_cbranch_vccnz .LBB135_2482
.LBB135_2435:
	s_and_not1_b32 vcc_lo, exec_lo, s17
	s_cbranch_vccnz .LBB135_2437
.LBB135_2436:
	global_load_u8 v1, v[12:13], off
	s_wait_xcnt 0x1
	v_mov_b32_e32 v17, 0
	s_mov_b32 s18, -1
	s_wait_loadcnt 0x0
	v_cmp_ne_u16_e32 vcc_lo, 0, v1
	v_cndmask_b32_e64 v16, 0, 1.0, vcc_lo
.LBB135_2437:
	s_mov_b32 s0, 0
.LBB135_2438:
	s_delay_alu instid0(SALU_CYCLE_1)
	s_and_b32 vcc_lo, exec_lo, s0
	s_cbranch_vccz .LBB135_2513
; %bb.2439:
	s_cmp_lt_i32 s16, 5
	s_cbranch_scc1 .LBB135_2444
; %bb.2440:
	s_cmp_lt_i32 s16, 8
	s_cbranch_scc1 .LBB135_2446
	;; [unrolled: 3-line block ×3, first 2 shown]
; %bb.2442:
	s_cmp_gt_i32 s16, 9
	s_cbranch_scc0 .LBB135_2465
; %bb.2443:
	s_wait_loadcnt 0x0
	global_load_b128 v[16:19], v[12:13], off
	s_mov_b32 s0, 0
	s_wait_loadcnt 0x0
	v_cvt_f32_f64_e32 v16, v[16:17]
	v_cvt_f32_f64_e32 v17, v[18:19]
	s_branch .LBB135_2466
.LBB135_2444:
	s_mov_b32 s0, -1
                                        ; implicit-def: $vgpr17
	s_branch .LBB135_2491
.LBB135_2445:
	s_mov_b32 s17, -1
                                        ; implicit-def: $vgpr16
	s_branch .LBB135_2458
.LBB135_2446:
	s_mov_b32 s0, -1
                                        ; implicit-def: $vgpr17
	s_branch .LBB135_2472
.LBB135_2447:
	s_or_saveexec_b32 s19, s19
	v_mov_b32_e32 v16, 0x7f800001
	s_xor_b32 exec_lo, exec_lo, s19
	s_cbranch_execz .LBB135_2418
.LBB135_2448:
	v_cmp_ne_u16_e32 vcc_lo, 0, v1
	v_mov_b32_e32 v16, 0
	s_and_not1_b32 s18, s18, exec_lo
	s_and_b32 s20, vcc_lo, exec_lo
	s_delay_alu instid0(SALU_CYCLE_1)
	s_or_b32 s18, s18, s20
	s_or_b32 exec_lo, exec_lo, s19
	s_and_saveexec_b32 s19, s18
	s_cbranch_execnz .LBB135_2419
	s_branch .LBB135_2420
.LBB135_2449:
	s_mov_b32 s17, -1
                                        ; implicit-def: $vgpr16
	s_branch .LBB135_2455
.LBB135_2450:
	s_mov_b32 s0, -1
                                        ; implicit-def: $vgpr17
	s_branch .LBB135_2469
.LBB135_2451:
	s_mov_b32 s17, -1
                                        ; implicit-def: $vgpr16
.LBB135_2452:
	s_delay_alu instid0(SALU_CYCLE_1)
	s_and_b32 vcc_lo, exec_lo, s17
	s_cbranch_vccz .LBB135_2454
; %bb.2453:
	global_load_u8 v1, v[12:13], off
	s_wait_loadcnt 0x0
	v_lshlrev_b32_e32 v1, 24, v1
	s_delay_alu instid0(VALU_DEP_1) | instskip(NEXT) | instid1(VALU_DEP_1)
	v_and_b32_e32 v3, 0x7f000000, v1
	v_clz_i32_u32_e32 v5, v3
	v_add_nc_u32_e32 v9, 0x1000000, v3
	v_cmp_ne_u32_e32 vcc_lo, 0, v3
	s_delay_alu instid0(VALU_DEP_3) | instskip(NEXT) | instid1(VALU_DEP_1)
	v_min_u32_e32 v5, 32, v5
	v_sub_nc_u32_e64 v5, v5, 4 clamp
	s_delay_alu instid0(VALU_DEP_1) | instskip(NEXT) | instid1(VALU_DEP_1)
	v_dual_lshlrev_b32 v7, v5, v3 :: v_dual_lshlrev_b32 v5, 23, v5
	v_lshrrev_b32_e32 v7, 4, v7
	s_delay_alu instid0(VALU_DEP_1) | instskip(SKIP_1) | instid1(VALU_DEP_2)
	v_sub_nc_u32_e32 v5, v7, v5
	v_ashrrev_i32_e32 v7, 8, v9
	v_add_nc_u32_e32 v5, 0x3c000000, v5
	s_delay_alu instid0(VALU_DEP_1) | instskip(NEXT) | instid1(VALU_DEP_1)
	v_and_or_b32 v5, 0x7f800000, v7, v5
	v_cndmask_b32_e32 v3, 0, v5, vcc_lo
	s_wait_xcnt 0x1
	s_delay_alu instid0(VALU_DEP_1)
	v_and_or_b32 v16, 0x80000000, v1, v3
.LBB135_2454:
	s_mov_b32 s17, 0
.LBB135_2455:
	s_delay_alu instid0(SALU_CYCLE_1)
	s_and_not1_b32 vcc_lo, exec_lo, s17
	s_cbranch_vccnz .LBB135_2457
; %bb.2456:
	global_load_u8 v1, v[12:13], off
	s_wait_loadcnt 0x0
	v_lshlrev_b32_e32 v3, 25, v1
	v_lshlrev_b16 v1, 8, v1
	s_delay_alu instid0(VALU_DEP_1) | instskip(SKIP_1) | instid1(VALU_DEP_2)
	v_and_or_b32 v7, 0x7f00, v1, 0.5
	v_bfe_i32 v1, v1, 0, 16
	v_add_f32_e32 v7, -0.5, v7
	v_lshrrev_b32_e32 v5, 4, v3
	v_cmp_gt_u32_e32 vcc_lo, 0x8000000, v3
	s_delay_alu instid0(VALU_DEP_2) | instskip(NEXT) | instid1(VALU_DEP_1)
	v_or_b32_e32 v5, 0x70000000, v5
	v_mul_f32_e32 v5, 0x7800000, v5
	s_delay_alu instid0(VALU_DEP_1) | instskip(SKIP_1) | instid1(VALU_DEP_1)
	v_cndmask_b32_e32 v3, v5, v7, vcc_lo
	s_wait_xcnt 0x1
	v_and_or_b32 v16, 0x80000000, v1, v3
.LBB135_2457:
	s_mov_b32 s17, 0
	s_mov_b32 s18, -1
.LBB135_2458:
	s_and_not1_b32 vcc_lo, exec_lo, s17
	s_mov_b32 s17, 0
	s_cbranch_vccnz .LBB135_2481
; %bb.2459:
	s_cmp_gt_i32 s16, 14
	s_cbranch_scc0 .LBB135_2462
; %bb.2460:
	s_cmp_eq_u32 s16, 15
	s_cbranch_scc0 .LBB135_2477
; %bb.2461:
	global_load_u16 v1, v[12:13], off
	s_mov_b32 s0, 0
	s_mov_b32 s18, -1
	s_wait_loadcnt 0x0
	s_wait_xcnt 0x1
	v_lshlrev_b32_e32 v16, 16, v1
	s_branch .LBB135_2479
.LBB135_2462:
	s_mov_b32 s17, -1
	s_branch .LBB135_2478
.LBB135_2463:
	s_or_saveexec_b32 s18, s18
	v_mov_b32_e32 v16, 0x7f800001
	s_xor_b32 exec_lo, exec_lo, s18
	s_cbranch_execz .LBB135_2431
.LBB135_2464:
	v_cmp_ne_u16_e32 vcc_lo, 0, v1
	v_mov_b32_e32 v16, 0
	s_and_not1_b32 s17, s17, exec_lo
	s_and_b32 s19, vcc_lo, exec_lo
	s_delay_alu instid0(SALU_CYCLE_1)
	s_or_b32 s17, s17, s19
	s_or_b32 exec_lo, exec_lo, s18
	s_and_saveexec_b32 s18, s17
	s_cbranch_execnz .LBB135_2432
	s_branch .LBB135_2433
.LBB135_2465:
	s_mov_b32 s0, -1
                                        ; implicit-def: $vgpr17
.LBB135_2466:
	s_delay_alu instid0(SALU_CYCLE_1)
	s_and_not1_b32 vcc_lo, exec_lo, s0
	s_cbranch_vccnz .LBB135_2468
; %bb.2467:
	global_load_b64 v[16:17], v[12:13], off
.LBB135_2468:
	s_mov_b32 s0, 0
.LBB135_2469:
	s_delay_alu instid0(SALU_CYCLE_1)
	s_and_not1_b32 vcc_lo, exec_lo, s0
	s_cbranch_vccnz .LBB135_2471
; %bb.2470:
	global_load_b32 v1, v[12:13], off
	s_wait_loadcnt 0x0
	v_lshrrev_b32_e32 v3, 16, v1
	s_wait_xcnt 0x1
	v_cvt_f32_f16_e32 v16, v1
	s_delay_alu instid0(VALU_DEP_2)
	v_cvt_f32_f16_e32 v17, v3
.LBB135_2471:
	s_mov_b32 s0, 0
.LBB135_2472:
	s_delay_alu instid0(SALU_CYCLE_1)
	s_and_not1_b32 vcc_lo, exec_lo, s0
	s_cbranch_vccnz .LBB135_2490
; %bb.2473:
	s_cmp_lt_i32 s16, 6
	s_cbranch_scc1 .LBB135_2476
; %bb.2474:
	s_cmp_gt_i32 s16, 6
	s_cbranch_scc0 .LBB135_2483
; %bb.2475:
	s_wait_loadcnt 0x0
	global_load_b64 v[16:17], v[12:13], off
	s_mov_b32 s0, 0
	s_wait_loadcnt 0x0
	v_cvt_f32_f64_e32 v16, v[16:17]
	s_branch .LBB135_2484
.LBB135_2476:
	s_mov_b32 s0, -1
                                        ; implicit-def: $vgpr16
	s_branch .LBB135_2487
.LBB135_2477:
	s_mov_b32 s0, -1
.LBB135_2478:
                                        ; implicit-def: $vgpr16
.LBB135_2479:
	s_and_b32 vcc_lo, exec_lo, s17
	s_mov_b32 s17, 0
	s_cbranch_vccz .LBB135_2481
; %bb.2480:
	s_cmp_lg_u32 s16, 11
	s_mov_b32 s17, -1
	s_cselect_b32 s0, -1, 0
.LBB135_2481:
	s_wait_xcnt 0x0
	v_mov_b32_e32 v17, 0
	s_and_b32 vcc_lo, exec_lo, s0
	s_cbranch_vccz .LBB135_2435
.LBB135_2482:
	s_or_b32 s1, s1, exec_lo
	s_trap 2
	s_cbranch_execz .LBB135_2436
	s_branch .LBB135_2437
.LBB135_2483:
	s_mov_b32 s0, -1
                                        ; implicit-def: $vgpr16
.LBB135_2484:
	s_delay_alu instid0(SALU_CYCLE_1)
	s_and_not1_b32 vcc_lo, exec_lo, s0
	s_cbranch_vccnz .LBB135_2486
; %bb.2485:
	s_wait_loadcnt 0x0
	global_load_b32 v16, v[12:13], off
.LBB135_2486:
	s_mov_b32 s0, 0
.LBB135_2487:
	s_delay_alu instid0(SALU_CYCLE_1)
	s_and_not1_b32 vcc_lo, exec_lo, s0
	s_cbranch_vccnz .LBB135_2489
; %bb.2488:
	global_load_u16 v1, v[12:13], off
	s_wait_loadcnt 0x0
	s_wait_xcnt 0x1
	v_cvt_f32_f16_e32 v16, v1
.LBB135_2489:
	s_wait_loadcnt 0x0
	v_mov_b32_e32 v17, 0
.LBB135_2490:
	s_mov_b32 s0, 0
.LBB135_2491:
	s_delay_alu instid0(SALU_CYCLE_1)
	s_and_not1_b32 vcc_lo, exec_lo, s0
	s_cbranch_vccnz .LBB135_2512
; %bb.2492:
	s_cmp_lt_i32 s16, 2
	s_cbranch_scc1 .LBB135_2496
; %bb.2493:
	s_cmp_lt_i32 s16, 3
	s_cbranch_scc1 .LBB135_2497
; %bb.2494:
	s_cmp_gt_i32 s16, 3
	s_cbranch_scc0 .LBB135_2498
; %bb.2495:
	s_wait_loadcnt 0x0
	global_load_b64 v[16:17], v[12:13], off
	s_mov_b32 s0, 0
	s_wait_loadcnt 0x0
	v_xor_b32_e32 v1, v16, v17
	v_cls_i32_e32 v3, v17
	s_delay_alu instid0(VALU_DEP_2) | instskip(NEXT) | instid1(VALU_DEP_1)
	v_ashrrev_i32_e32 v1, 31, v1
	v_add_nc_u32_e32 v1, 32, v1
	s_delay_alu instid0(VALU_DEP_1) | instskip(NEXT) | instid1(VALU_DEP_1)
	v_add_min_u32_e64 v1, v3, -1, v1
	v_lshlrev_b64_e32 v[16:17], v1, v[16:17]
	v_sub_nc_u32_e32 v1, 32, v1
	s_delay_alu instid0(VALU_DEP_2) | instskip(NEXT) | instid1(VALU_DEP_1)
	v_min_u32_e32 v3, 1, v16
	v_or_b32_e32 v3, v17, v3
	s_delay_alu instid0(VALU_DEP_1) | instskip(NEXT) | instid1(VALU_DEP_1)
	v_cvt_f32_i32_e32 v3, v3
	v_ldexp_f32 v16, v3, v1
	s_branch .LBB135_2499
.LBB135_2496:
	s_mov_b32 s0, -1
                                        ; implicit-def: $vgpr16
	s_branch .LBB135_2505
.LBB135_2497:
	s_mov_b32 s0, -1
                                        ; implicit-def: $vgpr16
	s_branch .LBB135_2502
.LBB135_2498:
	s_mov_b32 s0, -1
                                        ; implicit-def: $vgpr16
.LBB135_2499:
	s_delay_alu instid0(SALU_CYCLE_1)
	s_and_not1_b32 vcc_lo, exec_lo, s0
	s_cbranch_vccnz .LBB135_2501
; %bb.2500:
	global_load_b32 v1, v[12:13], off
	s_wait_loadcnt 0x0
	s_wait_xcnt 0x1
	v_cvt_f32_i32_e32 v16, v1
.LBB135_2501:
	s_mov_b32 s0, 0
.LBB135_2502:
	s_delay_alu instid0(SALU_CYCLE_1)
	s_and_not1_b32 vcc_lo, exec_lo, s0
	s_cbranch_vccnz .LBB135_2504
; %bb.2503:
	global_load_i16 v1, v[12:13], off
	s_wait_loadcnt 0x0
	s_wait_xcnt 0x1
	v_cvt_f32_i32_e32 v16, v1
.LBB135_2504:
	s_mov_b32 s0, 0
.LBB135_2505:
	s_delay_alu instid0(SALU_CYCLE_1)
	s_and_not1_b32 vcc_lo, exec_lo, s0
	s_cbranch_vccnz .LBB135_2511
; %bb.2506:
	s_cmp_gt_i32 s16, 0
	s_mov_b32 s0, 0
	s_cbranch_scc0 .LBB135_2508
; %bb.2507:
	global_load_i8 v1, v[12:13], off
	s_wait_loadcnt 0x0
	s_wait_xcnt 0x1
	v_cvt_f32_i32_e32 v16, v1
	s_branch .LBB135_2509
.LBB135_2508:
	s_mov_b32 s0, -1
                                        ; implicit-def: $vgpr16
.LBB135_2509:
	s_delay_alu instid0(SALU_CYCLE_1)
	s_and_not1_b32 vcc_lo, exec_lo, s0
	s_cbranch_vccnz .LBB135_2511
; %bb.2510:
	global_load_u8 v1, v[12:13], off
	s_wait_loadcnt 0x0
	s_wait_xcnt 0x1
	v_cvt_f32_ubyte0_e32 v16, v1
.LBB135_2511:
	s_wait_loadcnt 0x0
	v_mov_b32_e32 v17, 0
.LBB135_2512:
	s_mov_b32 s18, -1
.LBB135_2513:
	s_delay_alu instid0(SALU_CYCLE_1)
	s_and_not1_b32 vcc_lo, exec_lo, s18
	s_cbranch_vccnz .LBB135_2793
; %bb.2514:
	s_and_b32 vcc_lo, exec_lo, s13
	s_cbranch_vccz .LBB135_2516
; %bb.2515:
	s_wait_loadcnt 0x0
	s_delay_alu instid0(VALU_DEP_1) | instskip(NEXT) | instid1(VALU_DEP_2)
	v_cmp_neq_f32_e32 vcc_lo, v14, v16
	v_cmp_neq_f32_e64 s0, v15, v17
	s_or_b32 s17, vcc_lo, s0
	s_mov_b32 s0, 0
	s_branch .LBB135_2517
.LBB135_2516:
	s_mov_b32 s0, -1
                                        ; implicit-def: $sgpr17
.LBB135_2517:
	s_delay_alu instid0(SALU_CYCLE_1)
	s_and_not1_b32 vcc_lo, exec_lo, s0
	s_cbranch_vccnz .LBB135_2519
; %bb.2518:
	s_wait_loadcnt 0x0
	s_delay_alu instid0(VALU_DEP_1) | instskip(NEXT) | instid1(VALU_DEP_2)
	v_cmp_eq_f32_e32 vcc_lo, v15, v17
	v_cmp_eq_f32_e64 s0, v14, v16
	s_and_not1_b32 s17, s17, exec_lo
	s_and_b32 s0, s0, vcc_lo
	s_delay_alu instid0(SALU_CYCLE_1) | instskip(NEXT) | instid1(SALU_CYCLE_1)
	s_and_b32 s0, s0, exec_lo
	s_or_b32 s17, s17, s0
.LBB135_2519:
	v_mov_b32_e32 v11, 0
	s_cmp_lt_i32 s15, 11
	s_wait_xcnt 0x0
	s_delay_alu instid0(VALU_DEP_1)
	v_add_nc_u64_e32 v[12:13], s[6:7], v[10:11]
	s_cbranch_scc1 .LBB135_2526
; %bb.2520:
	s_cmp_gt_i32 s15, 25
	s_mov_b32 s6, 0
	s_cbranch_scc0 .LBB135_2527
; %bb.2521:
	s_cmp_gt_i32 s15, 28
	s_cbranch_scc0 .LBB135_2528
; %bb.2522:
	s_cmp_gt_i32 s15, 43
	;; [unrolled: 3-line block ×3, first 2 shown]
	s_cbranch_scc0 .LBB135_2530
; %bb.2524:
	s_cmp_eq_u32 s15, 46
	s_mov_b32 s18, 0
	s_cbranch_scc0 .LBB135_2531
; %bb.2525:
	global_load_b32 v1, v[12:13], off
	s_mov_b32 s0, 0
	s_mov_b32 s7, -1
	s_wait_loadcnt 0x0
	v_and_b32_e32 v11, 0xffff0000, v1
	v_lshlrev_b32_e32 v10, 16, v1
	s_branch .LBB135_2533
.LBB135_2526:
	s_mov_b32 s0, -1
	s_mov_b32 s7, 0
                                        ; implicit-def: $vgpr11
	s_branch .LBB135_2579
.LBB135_2527:
	s_mov_b32 s18, -1
	s_mov_b32 s7, 0
	s_mov_b32 s0, 0
                                        ; implicit-def: $vgpr11
	s_branch .LBB135_2564
.LBB135_2528:
	s_mov_b32 s18, -1
	s_mov_b32 s7, 0
	s_mov_b32 s0, 0
                                        ; implicit-def: $vgpr11
	s_branch .LBB135_2545
.LBB135_2529:
	s_mov_b32 s18, -1
	s_mov_b32 s7, 0
	s_mov_b32 s0, 0
                                        ; implicit-def: $vgpr11
	s_branch .LBB135_2539
.LBB135_2530:
	s_mov_b32 s18, -1
	s_mov_b32 s7, 0
	s_mov_b32 s0, 0
	s_branch .LBB135_2532
.LBB135_2531:
	s_mov_b32 s0, -1
	s_mov_b32 s7, 0
.LBB135_2532:
                                        ; implicit-def: $vgpr11
.LBB135_2533:
	s_and_b32 vcc_lo, exec_lo, s18
	s_cbranch_vccz .LBB135_2538
; %bb.2534:
	s_cmp_eq_u32 s15, 44
	s_cbranch_scc0 .LBB135_2536
; %bb.2535:
	global_load_u8 v1, v[12:13], off
	s_mov_b32 s0, 0
	s_mov_b32 s7, -1
	s_wait_loadcnt 0x0
	v_lshlrev_b32_e32 v3, 23, v1
	v_cmp_ne_u32_e32 vcc_lo, 0xff, v1
	s_delay_alu instid0(VALU_DEP_2) | instskip(SKIP_1) | instid1(VALU_DEP_2)
	v_cndmask_b32_e32 v3, 0x7f800001, v3, vcc_lo
	v_cmp_ne_u32_e32 vcc_lo, 0, v1
	v_cndmask_b32_e32 v10, 0x400000, v3, vcc_lo
	s_branch .LBB135_2537
.LBB135_2536:
	s_mov_b32 s0, -1
                                        ; implicit-def: $vgpr10
.LBB135_2537:
	v_mov_b32_e32 v11, 0
.LBB135_2538:
	s_mov_b32 s18, 0
.LBB135_2539:
	s_delay_alu instid0(SALU_CYCLE_1)
	s_and_b32 vcc_lo, exec_lo, s18
	s_cbranch_vccz .LBB135_2544
; %bb.2540:
	s_cmp_eq_u32 s15, 29
	s_cbranch_scc0 .LBB135_2542
; %bb.2541:
	global_load_b64 v[10:11], v[12:13], off
	s_mov_b32 s0, 0
	s_mov_b32 s7, -1
	s_wait_loadcnt 0x0
	v_clz_i32_u32_e32 v1, v11
	s_delay_alu instid0(VALU_DEP_1) | instskip(NEXT) | instid1(VALU_DEP_1)
	v_min_u32_e32 v1, 32, v1
	v_lshlrev_b64_e32 v[10:11], v1, v[10:11]
	v_sub_nc_u32_e32 v1, 32, v1
	s_delay_alu instid0(VALU_DEP_2) | instskip(NEXT) | instid1(VALU_DEP_1)
	v_min_u32_e32 v3, 1, v10
	v_or_b32_e32 v3, v11, v3
	s_delay_alu instid0(VALU_DEP_1) | instskip(NEXT) | instid1(VALU_DEP_1)
	v_cvt_f32_u32_e32 v3, v3
	v_ldexp_f32 v10, v3, v1
	s_branch .LBB135_2543
.LBB135_2542:
	s_mov_b32 s0, -1
                                        ; implicit-def: $vgpr10
.LBB135_2543:
	v_mov_b32_e32 v11, 0
.LBB135_2544:
	s_mov_b32 s18, 0
.LBB135_2545:
	s_delay_alu instid0(SALU_CYCLE_1)
	s_and_b32 vcc_lo, exec_lo, s18
	s_cbranch_vccz .LBB135_2563
; %bb.2546:
	s_cmp_lt_i32 s15, 27
	s_cbranch_scc1 .LBB135_2549
; %bb.2547:
	s_cmp_gt_i32 s15, 27
	s_cbranch_scc0 .LBB135_2550
; %bb.2548:
	global_load_b32 v1, v[12:13], off
	s_mov_b32 s7, 0
	s_wait_loadcnt 0x0
	v_cvt_f32_u32_e32 v10, v1
	s_branch .LBB135_2551
.LBB135_2549:
	s_mov_b32 s7, -1
                                        ; implicit-def: $vgpr10
	s_branch .LBB135_2554
.LBB135_2550:
	s_mov_b32 s7, -1
                                        ; implicit-def: $vgpr10
.LBB135_2551:
	s_delay_alu instid0(SALU_CYCLE_1)
	s_and_not1_b32 vcc_lo, exec_lo, s7
	s_cbranch_vccnz .LBB135_2553
; %bb.2552:
	global_load_u16 v1, v[12:13], off
	s_wait_loadcnt 0x0
	v_cvt_f32_u32_e32 v10, v1
.LBB135_2553:
	s_mov_b32 s7, 0
.LBB135_2554:
	s_delay_alu instid0(SALU_CYCLE_1)
	s_and_not1_b32 vcc_lo, exec_lo, s7
	s_cbranch_vccnz .LBB135_2562
; %bb.2555:
	global_load_u8 v1, v[12:13], off
	s_mov_b32 s7, 0
	s_mov_b32 s18, exec_lo
	s_wait_loadcnt 0x0
	v_cmpx_lt_i16_e32 0x7f, v1
	s_xor_b32 s18, exec_lo, s18
	s_cbranch_execz .LBB135_2588
; %bb.2556:
	s_mov_b32 s7, -1
	s_mov_b32 s19, exec_lo
	v_cmpx_eq_u16_e32 0x80, v1
; %bb.2557:
	s_xor_b32 s7, exec_lo, -1
; %bb.2558:
	s_or_b32 exec_lo, exec_lo, s19
	s_delay_alu instid0(SALU_CYCLE_1)
	s_and_b32 s7, s7, exec_lo
	s_or_saveexec_b32 s18, s18
	v_mov_b32_e32 v10, 0x7f800001
	s_xor_b32 exec_lo, exec_lo, s18
	s_cbranch_execnz .LBB135_2589
.LBB135_2559:
	s_or_b32 exec_lo, exec_lo, s18
	s_and_saveexec_b32 s18, s7
	s_cbranch_execz .LBB135_2561
.LBB135_2560:
	v_and_b32_e32 v3, 0xffff, v1
	s_delay_alu instid0(VALU_DEP_1) | instskip(SKIP_1) | instid1(VALU_DEP_2)
	v_dual_lshlrev_b32 v1, 24, v1 :: v_dual_bitop2_b32 v5, 7, v3 bitop3:0x40
	v_bfe_u32 v10, v3, 3, 4
	v_and_b32_e32 v1, 0x80000000, v1
	s_delay_alu instid0(VALU_DEP_3) | instskip(NEXT) | instid1(VALU_DEP_3)
	v_clz_i32_u32_e32 v7, v5
	v_cmp_eq_u32_e32 vcc_lo, 0, v10
	s_delay_alu instid0(VALU_DEP_2) | instskip(NEXT) | instid1(VALU_DEP_1)
	v_min_u32_e32 v7, 32, v7
	v_subrev_nc_u32_e32 v9, 28, v7
	v_sub_nc_u32_e32 v7, 29, v7
	s_delay_alu instid0(VALU_DEP_2) | instskip(NEXT) | instid1(VALU_DEP_2)
	v_lshlrev_b32_e32 v3, v9, v3
	v_cndmask_b32_e32 v7, v10, v7, vcc_lo
	s_delay_alu instid0(VALU_DEP_2) | instskip(NEXT) | instid1(VALU_DEP_1)
	v_and_b32_e32 v3, 7, v3
	v_cndmask_b32_e32 v3, v5, v3, vcc_lo
	s_delay_alu instid0(VALU_DEP_3) | instskip(NEXT) | instid1(VALU_DEP_2)
	v_lshl_add_u32 v5, v7, 23, 0x3b800000
	v_lshlrev_b32_e32 v3, 20, v3
	s_delay_alu instid0(VALU_DEP_1)
	v_or3_b32 v10, v1, v5, v3
.LBB135_2561:
	s_or_b32 exec_lo, exec_lo, s18
.LBB135_2562:
	v_mov_b32_e32 v11, 0
	s_mov_b32 s7, -1
.LBB135_2563:
	s_mov_b32 s18, 0
.LBB135_2564:
	s_delay_alu instid0(SALU_CYCLE_1)
	s_and_b32 vcc_lo, exec_lo, s18
	s_cbranch_vccz .LBB135_2575
; %bb.2565:
	s_cmp_gt_i32 s15, 22
	s_cbranch_scc0 .LBB135_2586
; %bb.2566:
	s_cmp_lt_i32 s15, 24
	s_cbranch_scc1 .LBB135_2590
; %bb.2567:
	s_cmp_gt_i32 s15, 24
	s_cbranch_scc0 .LBB135_2592
; %bb.2568:
	global_load_u8 v1, v[12:13], off
	s_mov_b32 s7, exec_lo
	s_wait_loadcnt 0x0
	v_cmpx_lt_i16_e32 0x7f, v1
	s_xor_b32 s7, exec_lo, s7
	s_cbranch_execz .LBB135_2604
; %bb.2569:
	s_mov_b32 s6, -1
	s_mov_b32 s18, exec_lo
	v_cmpx_eq_u16_e32 0x80, v1
; %bb.2570:
	s_xor_b32 s6, exec_lo, -1
; %bb.2571:
	s_or_b32 exec_lo, exec_lo, s18
	s_delay_alu instid0(SALU_CYCLE_1)
	s_and_b32 s6, s6, exec_lo
	s_or_saveexec_b32 s7, s7
	v_mov_b32_e32 v10, 0x7f800001
	s_xor_b32 exec_lo, exec_lo, s7
	s_cbranch_execnz .LBB135_2605
.LBB135_2572:
	s_or_b32 exec_lo, exec_lo, s7
	s_and_saveexec_b32 s7, s6
	s_cbranch_execz .LBB135_2574
.LBB135_2573:
	v_and_b32_e32 v3, 0xffff, v1
	s_delay_alu instid0(VALU_DEP_1) | instskip(SKIP_1) | instid1(VALU_DEP_2)
	v_dual_lshlrev_b32 v1, 24, v1 :: v_dual_bitop2_b32 v5, 3, v3 bitop3:0x40
	v_bfe_u32 v10, v3, 2, 5
	v_and_b32_e32 v1, 0x80000000, v1
	s_delay_alu instid0(VALU_DEP_3) | instskip(NEXT) | instid1(VALU_DEP_3)
	v_clz_i32_u32_e32 v7, v5
	v_cmp_eq_u32_e32 vcc_lo, 0, v10
	s_delay_alu instid0(VALU_DEP_2) | instskip(NEXT) | instid1(VALU_DEP_1)
	v_min_u32_e32 v7, 32, v7
	v_subrev_nc_u32_e32 v9, 29, v7
	v_sub_nc_u32_e32 v7, 30, v7
	s_delay_alu instid0(VALU_DEP_2) | instskip(NEXT) | instid1(VALU_DEP_2)
	v_lshlrev_b32_e32 v3, v9, v3
	v_cndmask_b32_e32 v7, v10, v7, vcc_lo
	s_delay_alu instid0(VALU_DEP_2) | instskip(NEXT) | instid1(VALU_DEP_1)
	v_and_b32_e32 v3, 3, v3
	v_cndmask_b32_e32 v3, v5, v3, vcc_lo
	s_delay_alu instid0(VALU_DEP_3) | instskip(NEXT) | instid1(VALU_DEP_2)
	v_lshl_add_u32 v5, v7, 23, 0x37800000
	v_lshlrev_b32_e32 v3, 21, v3
	s_delay_alu instid0(VALU_DEP_1)
	v_or3_b32 v10, v1, v5, v3
.LBB135_2574:
	s_or_b32 exec_lo, exec_lo, s7
	s_mov_b32 s6, 0
	s_branch .LBB135_2593
.LBB135_2575:
	s_and_b32 vcc_lo, exec_lo, s0
	s_cbranch_vccnz .LBB135_2623
.LBB135_2576:
	s_and_not1_b32 vcc_lo, exec_lo, s6
	s_cbranch_vccnz .LBB135_2578
.LBB135_2577:
	global_load_u8 v1, v[12:13], off
	v_mov_b32_e32 v11, 0
	s_mov_b32 s7, -1
	s_wait_loadcnt 0x0
	v_cmp_ne_u16_e32 vcc_lo, 0, v1
	v_cndmask_b32_e64 v10, 0, 1.0, vcc_lo
.LBB135_2578:
	s_mov_b32 s0, 0
.LBB135_2579:
	s_delay_alu instid0(SALU_CYCLE_1)
	s_and_b32 vcc_lo, exec_lo, s0
	s_cbranch_vccz .LBB135_2654
; %bb.2580:
	s_cmp_lt_i32 s15, 5
	s_cbranch_scc1 .LBB135_2585
; %bb.2581:
	s_cmp_lt_i32 s15, 8
	s_cbranch_scc1 .LBB135_2587
	;; [unrolled: 3-line block ×3, first 2 shown]
; %bb.2583:
	s_cmp_gt_i32 s15, 9
	s_cbranch_scc0 .LBB135_2606
; %bb.2584:
	s_wait_loadcnt 0x0
	global_load_b128 v[14:17], v[12:13], off
	s_mov_b32 s0, 0
	s_wait_loadcnt 0x0
	v_cvt_f32_f64_e32 v10, v[14:15]
	v_cvt_f32_f64_e32 v11, v[16:17]
	s_branch .LBB135_2607
.LBB135_2585:
	s_mov_b32 s0, -1
                                        ; implicit-def: $vgpr11
	s_branch .LBB135_2632
.LBB135_2586:
	s_mov_b32 s6, -1
                                        ; implicit-def: $vgpr10
	s_branch .LBB135_2599
.LBB135_2587:
	s_mov_b32 s0, -1
                                        ; implicit-def: $vgpr11
	s_branch .LBB135_2613
.LBB135_2588:
	s_or_saveexec_b32 s18, s18
	v_mov_b32_e32 v10, 0x7f800001
	s_xor_b32 exec_lo, exec_lo, s18
	s_cbranch_execz .LBB135_2559
.LBB135_2589:
	v_cmp_ne_u16_e32 vcc_lo, 0, v1
	v_mov_b32_e32 v10, 0
	s_and_not1_b32 s7, s7, exec_lo
	s_and_b32 s19, vcc_lo, exec_lo
	s_delay_alu instid0(SALU_CYCLE_1)
	s_or_b32 s7, s7, s19
	s_or_b32 exec_lo, exec_lo, s18
	s_and_saveexec_b32 s18, s7
	s_cbranch_execnz .LBB135_2560
	s_branch .LBB135_2561
.LBB135_2590:
	s_mov_b32 s6, -1
                                        ; implicit-def: $vgpr10
	s_branch .LBB135_2596
.LBB135_2591:
	s_mov_b32 s0, -1
                                        ; implicit-def: $vgpr11
	s_branch .LBB135_2610
.LBB135_2592:
	s_mov_b32 s6, -1
                                        ; implicit-def: $vgpr10
.LBB135_2593:
	s_delay_alu instid0(SALU_CYCLE_1)
	s_and_b32 vcc_lo, exec_lo, s6
	s_cbranch_vccz .LBB135_2595
; %bb.2594:
	global_load_u8 v1, v[12:13], off
	s_wait_loadcnt 0x0
	v_lshlrev_b32_e32 v1, 24, v1
	s_delay_alu instid0(VALU_DEP_1) | instskip(NEXT) | instid1(VALU_DEP_1)
	v_and_b32_e32 v3, 0x7f000000, v1
	v_clz_i32_u32_e32 v5, v3
	v_add_nc_u32_e32 v9, 0x1000000, v3
	v_cmp_ne_u32_e32 vcc_lo, 0, v3
	s_delay_alu instid0(VALU_DEP_3) | instskip(NEXT) | instid1(VALU_DEP_1)
	v_min_u32_e32 v5, 32, v5
	v_sub_nc_u32_e64 v5, v5, 4 clamp
	s_delay_alu instid0(VALU_DEP_1) | instskip(NEXT) | instid1(VALU_DEP_1)
	v_dual_lshlrev_b32 v7, v5, v3 :: v_dual_lshlrev_b32 v5, 23, v5
	v_lshrrev_b32_e32 v7, 4, v7
	s_delay_alu instid0(VALU_DEP_1) | instskip(SKIP_1) | instid1(VALU_DEP_2)
	v_sub_nc_u32_e32 v5, v7, v5
	v_ashrrev_i32_e32 v7, 8, v9
	v_add_nc_u32_e32 v5, 0x3c000000, v5
	s_delay_alu instid0(VALU_DEP_1) | instskip(NEXT) | instid1(VALU_DEP_1)
	v_and_or_b32 v5, 0x7f800000, v7, v5
	v_cndmask_b32_e32 v3, 0, v5, vcc_lo
	s_delay_alu instid0(VALU_DEP_1)
	v_and_or_b32 v10, 0x80000000, v1, v3
.LBB135_2595:
	s_mov_b32 s6, 0
.LBB135_2596:
	s_delay_alu instid0(SALU_CYCLE_1)
	s_and_not1_b32 vcc_lo, exec_lo, s6
	s_cbranch_vccnz .LBB135_2598
; %bb.2597:
	global_load_u8 v1, v[12:13], off
	s_wait_loadcnt 0x0
	v_lshlrev_b32_e32 v3, 25, v1
	v_lshlrev_b16 v1, 8, v1
	s_delay_alu instid0(VALU_DEP_1) | instskip(SKIP_1) | instid1(VALU_DEP_2)
	v_and_or_b32 v7, 0x7f00, v1, 0.5
	v_bfe_i32 v1, v1, 0, 16
	v_add_f32_e32 v7, -0.5, v7
	v_lshrrev_b32_e32 v5, 4, v3
	v_cmp_gt_u32_e32 vcc_lo, 0x8000000, v3
	s_delay_alu instid0(VALU_DEP_2) | instskip(NEXT) | instid1(VALU_DEP_1)
	v_or_b32_e32 v5, 0x70000000, v5
	v_mul_f32_e32 v5, 0x7800000, v5
	s_delay_alu instid0(VALU_DEP_1) | instskip(NEXT) | instid1(VALU_DEP_1)
	v_cndmask_b32_e32 v3, v5, v7, vcc_lo
	v_and_or_b32 v10, 0x80000000, v1, v3
.LBB135_2598:
	s_mov_b32 s6, 0
	s_mov_b32 s7, -1
.LBB135_2599:
	s_and_not1_b32 vcc_lo, exec_lo, s6
	s_mov_b32 s6, 0
	s_cbranch_vccnz .LBB135_2622
; %bb.2600:
	s_cmp_gt_i32 s15, 14
	s_cbranch_scc0 .LBB135_2603
; %bb.2601:
	s_cmp_eq_u32 s15, 15
	s_cbranch_scc0 .LBB135_2618
; %bb.2602:
	global_load_u16 v1, v[12:13], off
	s_mov_b32 s0, 0
	s_mov_b32 s7, -1
	s_wait_loadcnt 0x0
	v_lshlrev_b32_e32 v10, 16, v1
	s_branch .LBB135_2620
.LBB135_2603:
	s_mov_b32 s6, -1
	s_branch .LBB135_2619
.LBB135_2604:
	s_or_saveexec_b32 s7, s7
	v_mov_b32_e32 v10, 0x7f800001
	s_xor_b32 exec_lo, exec_lo, s7
	s_cbranch_execz .LBB135_2572
.LBB135_2605:
	v_cmp_ne_u16_e32 vcc_lo, 0, v1
	v_mov_b32_e32 v10, 0
	s_and_not1_b32 s6, s6, exec_lo
	s_and_b32 s18, vcc_lo, exec_lo
	s_delay_alu instid0(SALU_CYCLE_1)
	s_or_b32 s6, s6, s18
	s_or_b32 exec_lo, exec_lo, s7
	s_and_saveexec_b32 s7, s6
	s_cbranch_execnz .LBB135_2573
	s_branch .LBB135_2574
.LBB135_2606:
	s_mov_b32 s0, -1
                                        ; implicit-def: $vgpr11
.LBB135_2607:
	s_delay_alu instid0(SALU_CYCLE_1)
	s_and_not1_b32 vcc_lo, exec_lo, s0
	s_cbranch_vccnz .LBB135_2609
; %bb.2608:
	global_load_b64 v[10:11], v[12:13], off
.LBB135_2609:
	s_mov_b32 s0, 0
.LBB135_2610:
	s_delay_alu instid0(SALU_CYCLE_1)
	s_and_not1_b32 vcc_lo, exec_lo, s0
	s_cbranch_vccnz .LBB135_2612
; %bb.2611:
	global_load_b32 v1, v[12:13], off
	s_wait_loadcnt 0x0
	v_lshrrev_b32_e32 v3, 16, v1
	v_cvt_f32_f16_e32 v10, v1
	s_delay_alu instid0(VALU_DEP_2)
	v_cvt_f32_f16_e32 v11, v3
.LBB135_2612:
	s_mov_b32 s0, 0
.LBB135_2613:
	s_delay_alu instid0(SALU_CYCLE_1)
	s_and_not1_b32 vcc_lo, exec_lo, s0
	s_cbranch_vccnz .LBB135_2631
; %bb.2614:
	s_cmp_lt_i32 s15, 6
	s_cbranch_scc1 .LBB135_2617
; %bb.2615:
	s_cmp_gt_i32 s15, 6
	s_cbranch_scc0 .LBB135_2624
; %bb.2616:
	s_wait_loadcnt 0x0
	global_load_b64 v[10:11], v[12:13], off
	s_mov_b32 s0, 0
	s_wait_loadcnt 0x0
	v_cvt_f32_f64_e32 v10, v[10:11]
	s_branch .LBB135_2625
.LBB135_2617:
	s_mov_b32 s0, -1
                                        ; implicit-def: $vgpr10
	s_branch .LBB135_2628
.LBB135_2618:
	s_mov_b32 s0, -1
.LBB135_2619:
                                        ; implicit-def: $vgpr10
.LBB135_2620:
	s_and_b32 vcc_lo, exec_lo, s6
	s_mov_b32 s6, 0
	s_cbranch_vccz .LBB135_2622
; %bb.2621:
	s_cmp_lg_u32 s15, 11
	s_mov_b32 s6, -1
	s_cselect_b32 s0, -1, 0
.LBB135_2622:
	v_mov_b32_e32 v11, 0
	s_and_b32 vcc_lo, exec_lo, s0
	s_cbranch_vccz .LBB135_2576
.LBB135_2623:
	s_or_b32 s1, s1, exec_lo
	s_trap 2
	s_cbranch_execz .LBB135_2577
	s_branch .LBB135_2578
.LBB135_2624:
	s_mov_b32 s0, -1
                                        ; implicit-def: $vgpr10
.LBB135_2625:
	s_delay_alu instid0(SALU_CYCLE_1)
	s_and_not1_b32 vcc_lo, exec_lo, s0
	s_cbranch_vccnz .LBB135_2627
; %bb.2626:
	s_wait_loadcnt 0x0
	global_load_b32 v10, v[12:13], off
.LBB135_2627:
	s_mov_b32 s0, 0
.LBB135_2628:
	s_delay_alu instid0(SALU_CYCLE_1)
	s_and_not1_b32 vcc_lo, exec_lo, s0
	s_cbranch_vccnz .LBB135_2630
; %bb.2629:
	global_load_u16 v1, v[12:13], off
	s_wait_loadcnt 0x0
	v_cvt_f32_f16_e32 v10, v1
.LBB135_2630:
	s_wait_loadcnt 0x0
	v_mov_b32_e32 v11, 0
.LBB135_2631:
	s_mov_b32 s0, 0
.LBB135_2632:
	s_delay_alu instid0(SALU_CYCLE_1)
	s_and_not1_b32 vcc_lo, exec_lo, s0
	s_cbranch_vccnz .LBB135_2653
; %bb.2633:
	s_cmp_lt_i32 s15, 2
	s_cbranch_scc1 .LBB135_2637
; %bb.2634:
	s_cmp_lt_i32 s15, 3
	s_cbranch_scc1 .LBB135_2638
; %bb.2635:
	s_cmp_gt_i32 s15, 3
	s_cbranch_scc0 .LBB135_2639
; %bb.2636:
	s_wait_loadcnt 0x0
	global_load_b64 v[10:11], v[12:13], off
	s_mov_b32 s0, 0
	s_wait_loadcnt 0x0
	v_xor_b32_e32 v1, v10, v11
	v_cls_i32_e32 v3, v11
	s_delay_alu instid0(VALU_DEP_2) | instskip(NEXT) | instid1(VALU_DEP_1)
	v_ashrrev_i32_e32 v1, 31, v1
	v_add_nc_u32_e32 v1, 32, v1
	s_delay_alu instid0(VALU_DEP_1) | instskip(NEXT) | instid1(VALU_DEP_1)
	v_add_min_u32_e64 v1, v3, -1, v1
	v_lshlrev_b64_e32 v[10:11], v1, v[10:11]
	v_sub_nc_u32_e32 v1, 32, v1
	s_delay_alu instid0(VALU_DEP_2) | instskip(NEXT) | instid1(VALU_DEP_1)
	v_min_u32_e32 v3, 1, v10
	v_or_b32_e32 v3, v11, v3
	s_delay_alu instid0(VALU_DEP_1) | instskip(NEXT) | instid1(VALU_DEP_1)
	v_cvt_f32_i32_e32 v3, v3
	v_ldexp_f32 v10, v3, v1
	s_branch .LBB135_2640
.LBB135_2637:
	s_mov_b32 s0, -1
                                        ; implicit-def: $vgpr10
	s_branch .LBB135_2646
.LBB135_2638:
	s_mov_b32 s0, -1
                                        ; implicit-def: $vgpr10
	s_branch .LBB135_2643
.LBB135_2639:
	s_mov_b32 s0, -1
                                        ; implicit-def: $vgpr10
.LBB135_2640:
	s_delay_alu instid0(SALU_CYCLE_1)
	s_and_not1_b32 vcc_lo, exec_lo, s0
	s_cbranch_vccnz .LBB135_2642
; %bb.2641:
	global_load_b32 v1, v[12:13], off
	s_wait_loadcnt 0x0
	v_cvt_f32_i32_e32 v10, v1
.LBB135_2642:
	s_mov_b32 s0, 0
.LBB135_2643:
	s_delay_alu instid0(SALU_CYCLE_1)
	s_and_not1_b32 vcc_lo, exec_lo, s0
	s_cbranch_vccnz .LBB135_2645
; %bb.2644:
	global_load_i16 v1, v[12:13], off
	s_wait_loadcnt 0x0
	v_cvt_f32_i32_e32 v10, v1
.LBB135_2645:
	s_mov_b32 s0, 0
.LBB135_2646:
	s_delay_alu instid0(SALU_CYCLE_1)
	s_and_not1_b32 vcc_lo, exec_lo, s0
	s_cbranch_vccnz .LBB135_2652
; %bb.2647:
	s_cmp_gt_i32 s15, 0
	s_mov_b32 s0, 0
	s_cbranch_scc0 .LBB135_2649
; %bb.2648:
	global_load_i8 v1, v[12:13], off
	s_wait_loadcnt 0x0
	v_cvt_f32_i32_e32 v10, v1
	s_branch .LBB135_2650
.LBB135_2649:
	s_mov_b32 s0, -1
                                        ; implicit-def: $vgpr10
.LBB135_2650:
	s_delay_alu instid0(SALU_CYCLE_1)
	s_and_not1_b32 vcc_lo, exec_lo, s0
	s_cbranch_vccnz .LBB135_2652
; %bb.2651:
	global_load_u8 v1, v[12:13], off
	s_wait_loadcnt 0x0
	v_cvt_f32_ubyte0_e32 v10, v1
.LBB135_2652:
	s_wait_loadcnt 0x0
	v_mov_b32_e32 v11, 0
.LBB135_2653:
	s_mov_b32 s7, -1
.LBB135_2654:
	s_delay_alu instid0(SALU_CYCLE_1)
	s_and_not1_b32 vcc_lo, exec_lo, s7
	s_cbranch_vccnz .LBB135_2793
; %bb.2655:
	v_mov_b32_e32 v9, 0
	s_cmp_lt_i32 s16, 11
	s_delay_alu instid0(VALU_DEP_1)
	v_add_nc_u64_e32 v[8:9], s[8:9], v[8:9]
	s_cbranch_scc1 .LBB135_2662
; %bb.2656:
	s_cmp_gt_i32 s16, 25
	s_mov_b32 s6, 0
	s_cbranch_scc0 .LBB135_2663
; %bb.2657:
	s_cmp_gt_i32 s16, 28
	s_cbranch_scc0 .LBB135_2664
; %bb.2658:
	s_cmp_gt_i32 s16, 43
	;; [unrolled: 3-line block ×3, first 2 shown]
	s_cbranch_scc0 .LBB135_2666
; %bb.2660:
	s_cmp_eq_u32 s16, 46
	s_mov_b32 s8, 0
	s_cbranch_scc0 .LBB135_2667
; %bb.2661:
	global_load_b32 v1, v[8:9], off
	s_mov_b32 s0, 0
	s_mov_b32 s7, -1
	s_wait_loadcnt 0x0
	s_wait_xcnt 0x1
	v_and_b32_e32 v13, 0xffff0000, v1
	v_lshlrev_b32_e32 v12, 16, v1
	s_branch .LBB135_2669
.LBB135_2662:
	s_mov_b32 s0, -1
	s_mov_b32 s7, 0
                                        ; implicit-def: $vgpr13
	s_branch .LBB135_2715
.LBB135_2663:
	s_mov_b32 s8, -1
	s_mov_b32 s7, 0
	s_mov_b32 s0, 0
                                        ; implicit-def: $vgpr13
	s_branch .LBB135_2700
.LBB135_2664:
	s_mov_b32 s8, -1
	s_mov_b32 s7, 0
	s_mov_b32 s0, 0
                                        ; implicit-def: $vgpr13
	s_branch .LBB135_2681
.LBB135_2665:
	s_mov_b32 s8, -1
	s_mov_b32 s7, 0
	s_mov_b32 s0, 0
                                        ; implicit-def: $vgpr13
	s_branch .LBB135_2675
.LBB135_2666:
	s_mov_b32 s8, -1
	s_mov_b32 s7, 0
	s_mov_b32 s0, 0
	s_branch .LBB135_2668
.LBB135_2667:
	s_mov_b32 s0, -1
	s_mov_b32 s7, 0
.LBB135_2668:
                                        ; implicit-def: $vgpr13
.LBB135_2669:
	s_and_b32 vcc_lo, exec_lo, s8
	s_cbranch_vccz .LBB135_2674
; %bb.2670:
	s_cmp_eq_u32 s16, 44
	s_cbranch_scc0 .LBB135_2672
; %bb.2671:
	global_load_u8 v1, v[8:9], off
	s_mov_b32 s0, 0
	s_mov_b32 s7, -1
	s_wait_loadcnt 0x0
	v_lshlrev_b32_e32 v3, 23, v1
	v_cmp_ne_u32_e32 vcc_lo, 0xff, v1
	s_delay_alu instid0(VALU_DEP_2) | instskip(SKIP_2) | instid1(VALU_DEP_2)
	v_cndmask_b32_e32 v3, 0x7f800001, v3, vcc_lo
	v_cmp_ne_u32_e32 vcc_lo, 0, v1
	s_wait_xcnt 0x1
	v_cndmask_b32_e32 v12, 0x400000, v3, vcc_lo
	s_branch .LBB135_2673
.LBB135_2672:
	s_mov_b32 s0, -1
                                        ; implicit-def: $vgpr12
.LBB135_2673:
	s_wait_xcnt 0x0
	v_mov_b32_e32 v13, 0
.LBB135_2674:
	s_mov_b32 s8, 0
.LBB135_2675:
	s_delay_alu instid0(SALU_CYCLE_1)
	s_and_b32 vcc_lo, exec_lo, s8
	s_cbranch_vccz .LBB135_2680
; %bb.2676:
	s_cmp_eq_u32 s16, 29
	s_cbranch_scc0 .LBB135_2678
; %bb.2677:
	global_load_b64 v[12:13], v[8:9], off
	s_mov_b32 s0, 0
	s_mov_b32 s7, -1
	s_wait_loadcnt 0x0
	v_clz_i32_u32_e32 v1, v13
	s_delay_alu instid0(VALU_DEP_1) | instskip(NEXT) | instid1(VALU_DEP_1)
	v_min_u32_e32 v1, 32, v1
	v_lshlrev_b64_e32 v[12:13], v1, v[12:13]
	v_sub_nc_u32_e32 v1, 32, v1
	s_delay_alu instid0(VALU_DEP_2) | instskip(NEXT) | instid1(VALU_DEP_1)
	v_min_u32_e32 v3, 1, v12
	v_or_b32_e32 v3, v13, v3
	s_delay_alu instid0(VALU_DEP_1) | instskip(NEXT) | instid1(VALU_DEP_1)
	v_cvt_f32_u32_e32 v3, v3
	v_ldexp_f32 v12, v3, v1
	s_branch .LBB135_2679
.LBB135_2678:
	s_mov_b32 s0, -1
                                        ; implicit-def: $vgpr12
.LBB135_2679:
	s_wait_xcnt 0x0
	v_mov_b32_e32 v13, 0
.LBB135_2680:
	s_mov_b32 s8, 0
.LBB135_2681:
	s_delay_alu instid0(SALU_CYCLE_1)
	s_and_b32 vcc_lo, exec_lo, s8
	s_cbranch_vccz .LBB135_2699
; %bb.2682:
	s_cmp_lt_i32 s16, 27
	s_cbranch_scc1 .LBB135_2685
; %bb.2683:
	s_cmp_gt_i32 s16, 27
	s_cbranch_scc0 .LBB135_2686
; %bb.2684:
	global_load_b32 v1, v[8:9], off
	s_mov_b32 s7, 0
	s_wait_loadcnt 0x0
	s_wait_xcnt 0x1
	v_cvt_f32_u32_e32 v12, v1
	s_branch .LBB135_2687
.LBB135_2685:
	s_mov_b32 s7, -1
                                        ; implicit-def: $vgpr12
	s_branch .LBB135_2690
.LBB135_2686:
	s_mov_b32 s7, -1
                                        ; implicit-def: $vgpr12
.LBB135_2687:
	s_delay_alu instid0(SALU_CYCLE_1)
	s_and_not1_b32 vcc_lo, exec_lo, s7
	s_cbranch_vccnz .LBB135_2689
; %bb.2688:
	global_load_u16 v1, v[8:9], off
	s_wait_loadcnt 0x0
	s_wait_xcnt 0x1
	v_cvt_f32_u32_e32 v12, v1
.LBB135_2689:
	s_mov_b32 s7, 0
.LBB135_2690:
	s_delay_alu instid0(SALU_CYCLE_1)
	s_and_not1_b32 vcc_lo, exec_lo, s7
	s_cbranch_vccnz .LBB135_2698
; %bb.2691:
	global_load_u8 v1, v[8:9], off
	s_mov_b32 s7, 0
	s_mov_b32 s8, exec_lo
	s_wait_loadcnt 0x0
	v_cmpx_lt_i16_e32 0x7f, v1
	s_xor_b32 s8, exec_lo, s8
	s_cbranch_execz .LBB135_2724
; %bb.2692:
	s_mov_b32 s7, -1
	s_mov_b32 s9, exec_lo
	v_cmpx_eq_u16_e32 0x80, v1
; %bb.2693:
	s_xor_b32 s7, exec_lo, -1
; %bb.2694:
	s_or_b32 exec_lo, exec_lo, s9
	s_delay_alu instid0(SALU_CYCLE_1)
	s_and_b32 s7, s7, exec_lo
	s_or_saveexec_b32 s8, s8
	v_mov_b32_e32 v12, 0x7f800001
	s_xor_b32 exec_lo, exec_lo, s8
	s_cbranch_execnz .LBB135_2725
.LBB135_2695:
	s_or_b32 exec_lo, exec_lo, s8
	s_and_saveexec_b32 s8, s7
	s_cbranch_execz .LBB135_2697
.LBB135_2696:
	v_and_b32_e32 v3, 0xffff, v1
	s_delay_alu instid0(VALU_DEP_1) | instskip(SKIP_1) | instid1(VALU_DEP_2)
	v_dual_lshlrev_b32 v1, 24, v1 :: v_dual_bitop2_b32 v5, 7, v3 bitop3:0x40
	v_bfe_u32 v13, v3, 3, 4
	v_and_b32_e32 v1, 0x80000000, v1
	s_delay_alu instid0(VALU_DEP_3) | instskip(NEXT) | instid1(VALU_DEP_3)
	v_clz_i32_u32_e32 v7, v5
	v_cmp_eq_u32_e32 vcc_lo, 0, v13
	s_delay_alu instid0(VALU_DEP_2) | instskip(NEXT) | instid1(VALU_DEP_1)
	v_min_u32_e32 v7, 32, v7
	v_subrev_nc_u32_e32 v12, 28, v7
	v_sub_nc_u32_e32 v7, 29, v7
	s_delay_alu instid0(VALU_DEP_2) | instskip(NEXT) | instid1(VALU_DEP_2)
	v_lshlrev_b32_e32 v3, v12, v3
	v_cndmask_b32_e32 v7, v13, v7, vcc_lo
	s_delay_alu instid0(VALU_DEP_2) | instskip(NEXT) | instid1(VALU_DEP_1)
	v_and_b32_e32 v3, 7, v3
	v_cndmask_b32_e32 v3, v5, v3, vcc_lo
	s_delay_alu instid0(VALU_DEP_3) | instskip(NEXT) | instid1(VALU_DEP_2)
	v_lshl_add_u32 v5, v7, 23, 0x3b800000
	v_lshlrev_b32_e32 v3, 20, v3
	s_delay_alu instid0(VALU_DEP_1)
	v_or3_b32 v12, v1, v5, v3
.LBB135_2697:
	s_or_b32 exec_lo, exec_lo, s8
.LBB135_2698:
	s_wait_xcnt 0x0
	v_mov_b32_e32 v13, 0
	s_mov_b32 s7, -1
.LBB135_2699:
	s_mov_b32 s8, 0
.LBB135_2700:
	s_delay_alu instid0(SALU_CYCLE_1)
	s_and_b32 vcc_lo, exec_lo, s8
	s_cbranch_vccz .LBB135_2711
; %bb.2701:
	s_cmp_gt_i32 s16, 22
	s_cbranch_scc0 .LBB135_2722
; %bb.2702:
	s_cmp_lt_i32 s16, 24
	s_cbranch_scc1 .LBB135_2726
; %bb.2703:
	s_cmp_gt_i32 s16, 24
	s_cbranch_scc0 .LBB135_2728
; %bb.2704:
	global_load_u8 v1, v[8:9], off
	s_mov_b32 s7, exec_lo
	s_wait_loadcnt 0x0
	v_cmpx_lt_i16_e32 0x7f, v1
	s_xor_b32 s7, exec_lo, s7
	s_cbranch_execz .LBB135_2740
; %bb.2705:
	s_mov_b32 s6, -1
	s_mov_b32 s8, exec_lo
	v_cmpx_eq_u16_e32 0x80, v1
; %bb.2706:
	s_xor_b32 s6, exec_lo, -1
; %bb.2707:
	s_or_b32 exec_lo, exec_lo, s8
	s_delay_alu instid0(SALU_CYCLE_1)
	s_and_b32 s6, s6, exec_lo
	s_or_saveexec_b32 s7, s7
	v_mov_b32_e32 v12, 0x7f800001
	s_xor_b32 exec_lo, exec_lo, s7
	s_cbranch_execnz .LBB135_2741
.LBB135_2708:
	s_or_b32 exec_lo, exec_lo, s7
	s_and_saveexec_b32 s7, s6
	s_cbranch_execz .LBB135_2710
.LBB135_2709:
	v_and_b32_e32 v3, 0xffff, v1
	s_delay_alu instid0(VALU_DEP_1) | instskip(SKIP_1) | instid1(VALU_DEP_2)
	v_dual_lshlrev_b32 v1, 24, v1 :: v_dual_bitop2_b32 v5, 3, v3 bitop3:0x40
	v_bfe_u32 v13, v3, 2, 5
	v_and_b32_e32 v1, 0x80000000, v1
	s_delay_alu instid0(VALU_DEP_3) | instskip(NEXT) | instid1(VALU_DEP_3)
	v_clz_i32_u32_e32 v7, v5
	v_cmp_eq_u32_e32 vcc_lo, 0, v13
	s_delay_alu instid0(VALU_DEP_2) | instskip(NEXT) | instid1(VALU_DEP_1)
	v_min_u32_e32 v7, 32, v7
	v_subrev_nc_u32_e32 v12, 29, v7
	v_sub_nc_u32_e32 v7, 30, v7
	s_delay_alu instid0(VALU_DEP_2) | instskip(NEXT) | instid1(VALU_DEP_2)
	v_lshlrev_b32_e32 v3, v12, v3
	v_cndmask_b32_e32 v7, v13, v7, vcc_lo
	s_delay_alu instid0(VALU_DEP_2) | instskip(NEXT) | instid1(VALU_DEP_1)
	v_and_b32_e32 v3, 3, v3
	v_cndmask_b32_e32 v3, v5, v3, vcc_lo
	s_delay_alu instid0(VALU_DEP_3) | instskip(NEXT) | instid1(VALU_DEP_2)
	v_lshl_add_u32 v5, v7, 23, 0x37800000
	v_lshlrev_b32_e32 v3, 21, v3
	s_delay_alu instid0(VALU_DEP_1)
	v_or3_b32 v12, v1, v5, v3
.LBB135_2710:
	s_or_b32 exec_lo, exec_lo, s7
	s_mov_b32 s6, 0
	s_branch .LBB135_2729
.LBB135_2711:
	s_and_b32 vcc_lo, exec_lo, s0
	s_cbranch_vccnz .LBB135_2759
.LBB135_2712:
	s_and_not1_b32 vcc_lo, exec_lo, s6
	s_cbranch_vccnz .LBB135_2714
.LBB135_2713:
	global_load_u8 v1, v[8:9], off
	s_wait_xcnt 0x1
	v_mov_b32_e32 v13, 0
	s_mov_b32 s7, -1
	s_wait_loadcnt 0x0
	v_cmp_ne_u16_e32 vcc_lo, 0, v1
	v_cndmask_b32_e64 v12, 0, 1.0, vcc_lo
.LBB135_2714:
	s_mov_b32 s0, 0
.LBB135_2715:
	s_delay_alu instid0(SALU_CYCLE_1)
	s_and_b32 vcc_lo, exec_lo, s0
	s_cbranch_vccz .LBB135_2790
; %bb.2716:
	s_cmp_lt_i32 s16, 5
	s_cbranch_scc1 .LBB135_2721
; %bb.2717:
	s_cmp_lt_i32 s16, 8
	s_cbranch_scc1 .LBB135_2723
	;; [unrolled: 3-line block ×3, first 2 shown]
; %bb.2719:
	s_cmp_gt_i32 s16, 9
	s_cbranch_scc0 .LBB135_2742
; %bb.2720:
	s_wait_loadcnt 0x0
	global_load_b128 v[12:15], v[8:9], off
	s_mov_b32 s0, 0
	s_wait_loadcnt 0x0
	v_cvt_f32_f64_e32 v12, v[12:13]
	v_cvt_f32_f64_e32 v13, v[14:15]
	s_branch .LBB135_2743
.LBB135_2721:
	s_mov_b32 s0, -1
                                        ; implicit-def: $vgpr13
	s_branch .LBB135_2768
.LBB135_2722:
	s_mov_b32 s6, -1
                                        ; implicit-def: $vgpr12
	s_branch .LBB135_2735
.LBB135_2723:
	s_mov_b32 s0, -1
                                        ; implicit-def: $vgpr13
	s_branch .LBB135_2749
.LBB135_2724:
	s_or_saveexec_b32 s8, s8
	v_mov_b32_e32 v12, 0x7f800001
	s_xor_b32 exec_lo, exec_lo, s8
	s_cbranch_execz .LBB135_2695
.LBB135_2725:
	v_cmp_ne_u16_e32 vcc_lo, 0, v1
	v_mov_b32_e32 v12, 0
	s_and_not1_b32 s7, s7, exec_lo
	s_and_b32 s9, vcc_lo, exec_lo
	s_delay_alu instid0(SALU_CYCLE_1)
	s_or_b32 s7, s7, s9
	s_or_b32 exec_lo, exec_lo, s8
	s_and_saveexec_b32 s8, s7
	s_cbranch_execnz .LBB135_2696
	s_branch .LBB135_2697
.LBB135_2726:
	s_mov_b32 s6, -1
                                        ; implicit-def: $vgpr12
	s_branch .LBB135_2732
.LBB135_2727:
	s_mov_b32 s0, -1
                                        ; implicit-def: $vgpr13
	s_branch .LBB135_2746
.LBB135_2728:
	s_mov_b32 s6, -1
                                        ; implicit-def: $vgpr12
.LBB135_2729:
	s_delay_alu instid0(SALU_CYCLE_1)
	s_and_b32 vcc_lo, exec_lo, s6
	s_cbranch_vccz .LBB135_2731
; %bb.2730:
	global_load_u8 v1, v[8:9], off
	s_wait_loadcnt 0x0
	v_lshlrev_b32_e32 v1, 24, v1
	s_delay_alu instid0(VALU_DEP_1) | instskip(NEXT) | instid1(VALU_DEP_1)
	v_and_b32_e32 v3, 0x7f000000, v1
	v_clz_i32_u32_e32 v5, v3
	v_cmp_ne_u32_e32 vcc_lo, 0, v3
	s_wait_xcnt 0x1
	v_add_nc_u32_e32 v12, 0x1000000, v3
	s_delay_alu instid0(VALU_DEP_3) | instskip(NEXT) | instid1(VALU_DEP_1)
	v_min_u32_e32 v5, 32, v5
	v_sub_nc_u32_e64 v5, v5, 4 clamp
	s_delay_alu instid0(VALU_DEP_1) | instskip(NEXT) | instid1(VALU_DEP_1)
	v_dual_lshlrev_b32 v7, v5, v3 :: v_dual_lshlrev_b32 v5, 23, v5
	v_lshrrev_b32_e32 v7, 4, v7
	s_delay_alu instid0(VALU_DEP_1) | instskip(NEXT) | instid1(VALU_DEP_1)
	v_dual_sub_nc_u32 v5, v7, v5 :: v_dual_ashrrev_i32 v7, 8, v12
	v_add_nc_u32_e32 v5, 0x3c000000, v5
	s_delay_alu instid0(VALU_DEP_1) | instskip(NEXT) | instid1(VALU_DEP_1)
	v_and_or_b32 v5, 0x7f800000, v7, v5
	v_cndmask_b32_e32 v3, 0, v5, vcc_lo
	s_delay_alu instid0(VALU_DEP_1)
	v_and_or_b32 v12, 0x80000000, v1, v3
.LBB135_2731:
	s_mov_b32 s6, 0
.LBB135_2732:
	s_delay_alu instid0(SALU_CYCLE_1)
	s_and_not1_b32 vcc_lo, exec_lo, s6
	s_cbranch_vccnz .LBB135_2734
; %bb.2733:
	global_load_u8 v1, v[8:9], off
	s_wait_loadcnt 0x0
	v_lshlrev_b32_e32 v3, 25, v1
	v_lshlrev_b16 v1, 8, v1
	s_delay_alu instid0(VALU_DEP_1) | instskip(SKIP_1) | instid1(VALU_DEP_2)
	v_and_or_b32 v7, 0x7f00, v1, 0.5
	v_bfe_i32 v1, v1, 0, 16
	v_add_f32_e32 v7, -0.5, v7
	v_lshrrev_b32_e32 v5, 4, v3
	v_cmp_gt_u32_e32 vcc_lo, 0x8000000, v3
	s_delay_alu instid0(VALU_DEP_2) | instskip(NEXT) | instid1(VALU_DEP_1)
	v_or_b32_e32 v5, 0x70000000, v5
	v_mul_f32_e32 v5, 0x7800000, v5
	s_delay_alu instid0(VALU_DEP_1) | instskip(SKIP_1) | instid1(VALU_DEP_1)
	v_cndmask_b32_e32 v3, v5, v7, vcc_lo
	s_wait_xcnt 0x1
	v_and_or_b32 v12, 0x80000000, v1, v3
.LBB135_2734:
	s_mov_b32 s6, 0
	s_mov_b32 s7, -1
.LBB135_2735:
	s_and_not1_b32 vcc_lo, exec_lo, s6
	s_mov_b32 s6, 0
	s_cbranch_vccnz .LBB135_2758
; %bb.2736:
	s_cmp_gt_i32 s16, 14
	s_cbranch_scc0 .LBB135_2739
; %bb.2737:
	s_cmp_eq_u32 s16, 15
	s_cbranch_scc0 .LBB135_2754
; %bb.2738:
	global_load_u16 v1, v[8:9], off
	s_mov_b32 s0, 0
	s_mov_b32 s7, -1
	s_wait_loadcnt 0x0
	s_wait_xcnt 0x1
	v_lshlrev_b32_e32 v12, 16, v1
	s_branch .LBB135_2756
.LBB135_2739:
	s_mov_b32 s6, -1
	s_branch .LBB135_2755
.LBB135_2740:
	s_or_saveexec_b32 s7, s7
	v_mov_b32_e32 v12, 0x7f800001
	s_xor_b32 exec_lo, exec_lo, s7
	s_cbranch_execz .LBB135_2708
.LBB135_2741:
	v_cmp_ne_u16_e32 vcc_lo, 0, v1
	v_mov_b32_e32 v12, 0
	s_and_not1_b32 s6, s6, exec_lo
	s_and_b32 s8, vcc_lo, exec_lo
	s_delay_alu instid0(SALU_CYCLE_1)
	s_or_b32 s6, s6, s8
	s_or_b32 exec_lo, exec_lo, s7
	s_and_saveexec_b32 s7, s6
	s_cbranch_execnz .LBB135_2709
	s_branch .LBB135_2710
.LBB135_2742:
	s_mov_b32 s0, -1
                                        ; implicit-def: $vgpr13
.LBB135_2743:
	s_delay_alu instid0(SALU_CYCLE_1)
	s_and_not1_b32 vcc_lo, exec_lo, s0
	s_cbranch_vccnz .LBB135_2745
; %bb.2744:
	global_load_b64 v[12:13], v[8:9], off
.LBB135_2745:
	s_mov_b32 s0, 0
.LBB135_2746:
	s_delay_alu instid0(SALU_CYCLE_1)
	s_and_not1_b32 vcc_lo, exec_lo, s0
	s_cbranch_vccnz .LBB135_2748
; %bb.2747:
	global_load_b32 v1, v[8:9], off
	s_wait_loadcnt 0x0
	v_lshrrev_b32_e32 v3, 16, v1
	s_wait_xcnt 0x1
	v_cvt_f32_f16_e32 v12, v1
	s_delay_alu instid0(VALU_DEP_2)
	v_cvt_f32_f16_e32 v13, v3
.LBB135_2748:
	s_mov_b32 s0, 0
.LBB135_2749:
	s_delay_alu instid0(SALU_CYCLE_1)
	s_and_not1_b32 vcc_lo, exec_lo, s0
	s_cbranch_vccnz .LBB135_2767
; %bb.2750:
	s_cmp_lt_i32 s16, 6
	s_cbranch_scc1 .LBB135_2753
; %bb.2751:
	s_cmp_gt_i32 s16, 6
	s_cbranch_scc0 .LBB135_2760
; %bb.2752:
	s_wait_loadcnt 0x0
	global_load_b64 v[12:13], v[8:9], off
	s_mov_b32 s0, 0
	s_wait_loadcnt 0x0
	v_cvt_f32_f64_e32 v12, v[12:13]
	s_branch .LBB135_2761
.LBB135_2753:
	s_mov_b32 s0, -1
                                        ; implicit-def: $vgpr12
	s_branch .LBB135_2764
.LBB135_2754:
	s_mov_b32 s0, -1
.LBB135_2755:
                                        ; implicit-def: $vgpr12
.LBB135_2756:
	s_and_b32 vcc_lo, exec_lo, s6
	s_mov_b32 s6, 0
	s_cbranch_vccz .LBB135_2758
; %bb.2757:
	s_cmp_lg_u32 s16, 11
	s_mov_b32 s6, -1
	s_cselect_b32 s0, -1, 0
.LBB135_2758:
	s_wait_xcnt 0x0
	v_mov_b32_e32 v13, 0
	s_and_b32 vcc_lo, exec_lo, s0
	s_cbranch_vccz .LBB135_2712
.LBB135_2759:
	s_or_b32 s1, s1, exec_lo
	s_trap 2
	s_cbranch_execz .LBB135_2713
	s_branch .LBB135_2714
.LBB135_2760:
	s_mov_b32 s0, -1
                                        ; implicit-def: $vgpr12
.LBB135_2761:
	s_delay_alu instid0(SALU_CYCLE_1)
	s_and_not1_b32 vcc_lo, exec_lo, s0
	s_cbranch_vccnz .LBB135_2763
; %bb.2762:
	s_wait_loadcnt 0x0
	global_load_b32 v12, v[8:9], off
.LBB135_2763:
	s_mov_b32 s0, 0
.LBB135_2764:
	s_delay_alu instid0(SALU_CYCLE_1)
	s_and_not1_b32 vcc_lo, exec_lo, s0
	s_cbranch_vccnz .LBB135_2766
; %bb.2765:
	global_load_u16 v1, v[8:9], off
	s_wait_loadcnt 0x0
	s_wait_xcnt 0x1
	v_cvt_f32_f16_e32 v12, v1
.LBB135_2766:
	s_wait_loadcnt 0x0
	v_mov_b32_e32 v13, 0
.LBB135_2767:
	s_mov_b32 s0, 0
.LBB135_2768:
	s_delay_alu instid0(SALU_CYCLE_1)
	s_and_not1_b32 vcc_lo, exec_lo, s0
	s_cbranch_vccnz .LBB135_2789
; %bb.2769:
	s_cmp_lt_i32 s16, 2
	s_cbranch_scc1 .LBB135_2773
; %bb.2770:
	s_cmp_lt_i32 s16, 3
	s_cbranch_scc1 .LBB135_2774
; %bb.2771:
	s_cmp_gt_i32 s16, 3
	s_cbranch_scc0 .LBB135_2775
; %bb.2772:
	s_wait_loadcnt 0x0
	global_load_b64 v[12:13], v[8:9], off
	s_mov_b32 s0, 0
	s_wait_loadcnt 0x0
	v_xor_b32_e32 v1, v12, v13
	v_cls_i32_e32 v3, v13
	s_delay_alu instid0(VALU_DEP_2) | instskip(NEXT) | instid1(VALU_DEP_1)
	v_ashrrev_i32_e32 v1, 31, v1
	v_add_nc_u32_e32 v1, 32, v1
	s_delay_alu instid0(VALU_DEP_1) | instskip(NEXT) | instid1(VALU_DEP_1)
	v_add_min_u32_e64 v1, v3, -1, v1
	v_lshlrev_b64_e32 v[12:13], v1, v[12:13]
	v_sub_nc_u32_e32 v1, 32, v1
	s_delay_alu instid0(VALU_DEP_2) | instskip(NEXT) | instid1(VALU_DEP_1)
	v_min_u32_e32 v3, 1, v12
	v_or_b32_e32 v3, v13, v3
	s_delay_alu instid0(VALU_DEP_1) | instskip(NEXT) | instid1(VALU_DEP_1)
	v_cvt_f32_i32_e32 v3, v3
	v_ldexp_f32 v12, v3, v1
	s_branch .LBB135_2776
.LBB135_2773:
	s_mov_b32 s0, -1
                                        ; implicit-def: $vgpr12
	s_branch .LBB135_2782
.LBB135_2774:
	s_mov_b32 s0, -1
                                        ; implicit-def: $vgpr12
	s_branch .LBB135_2779
.LBB135_2775:
	s_mov_b32 s0, -1
                                        ; implicit-def: $vgpr12
.LBB135_2776:
	s_delay_alu instid0(SALU_CYCLE_1)
	s_and_not1_b32 vcc_lo, exec_lo, s0
	s_cbranch_vccnz .LBB135_2778
; %bb.2777:
	global_load_b32 v1, v[8:9], off
	s_wait_loadcnt 0x0
	s_wait_xcnt 0x1
	v_cvt_f32_i32_e32 v12, v1
.LBB135_2778:
	s_mov_b32 s0, 0
.LBB135_2779:
	s_delay_alu instid0(SALU_CYCLE_1)
	s_and_not1_b32 vcc_lo, exec_lo, s0
	s_cbranch_vccnz .LBB135_2781
; %bb.2780:
	global_load_i16 v1, v[8:9], off
	s_wait_loadcnt 0x0
	s_wait_xcnt 0x1
	v_cvt_f32_i32_e32 v12, v1
.LBB135_2781:
	s_mov_b32 s0, 0
.LBB135_2782:
	s_delay_alu instid0(SALU_CYCLE_1)
	s_and_not1_b32 vcc_lo, exec_lo, s0
	s_cbranch_vccnz .LBB135_2788
; %bb.2783:
	s_cmp_gt_i32 s16, 0
	s_mov_b32 s0, 0
	s_cbranch_scc0 .LBB135_2785
; %bb.2784:
	global_load_i8 v1, v[8:9], off
	s_wait_loadcnt 0x0
	s_wait_xcnt 0x1
	v_cvt_f32_i32_e32 v12, v1
	s_branch .LBB135_2786
.LBB135_2785:
	s_mov_b32 s0, -1
                                        ; implicit-def: $vgpr12
.LBB135_2786:
	s_delay_alu instid0(SALU_CYCLE_1)
	s_and_not1_b32 vcc_lo, exec_lo, s0
	s_cbranch_vccnz .LBB135_2788
; %bb.2787:
	global_load_u8 v1, v[8:9], off
	s_wait_loadcnt 0x0
	s_wait_xcnt 0x1
	v_cvt_f32_ubyte0_e32 v12, v1
.LBB135_2788:
	s_wait_loadcnt 0x0
	v_mov_b32_e32 v13, 0
.LBB135_2789:
	s_mov_b32 s7, -1
.LBB135_2790:
	s_delay_alu instid0(SALU_CYCLE_1)
	s_and_not1_b32 vcc_lo, exec_lo, s7
	s_cbranch_vccnz .LBB135_2793
; %bb.2791:
	s_and_b32 vcc_lo, exec_lo, s13
	s_cbranch_vccz .LBB135_2839
; %bb.2792:
	s_wait_loadcnt 0x0
	s_delay_alu instid0(VALU_DEP_1) | instskip(NEXT) | instid1(VALU_DEP_2)
	v_cmp_neq_f32_e32 vcc_lo, v10, v12
	v_cmp_neq_f32_e64 s0, v11, v13
	s_or_b32 s6, vcc_lo, s0
	s_mov_b32 s0, 0
	s_branch .LBB135_2840
.LBB135_2793:
	s_mov_b32 s0, 0
	s_wait_xcnt 0x0
	s_mov_b32 s3, 0
                                        ; implicit-def: $sgpr6
.LBB135_2794:
                                        ; implicit-def: $vgpr2_vgpr3
                                        ; implicit-def: $sgpr7
.LBB135_2795:
	s_and_not1_b32 s2, s10, exec_lo
	s_and_b32 s1, s1, exec_lo
	s_and_b32 s0, s0, exec_lo
	;; [unrolled: 1-line block ×3, first 2 shown]
	s_or_b32 s10, s2, s1
.LBB135_2796:
	s_wait_xcnt 0x0
	s_or_b32 exec_lo, exec_lo, s11
	s_and_saveexec_b32 s1, s10
	s_cbranch_execz .LBB135_2799
; %bb.2797:
	; divergent unreachable
	s_or_b32 exec_lo, exec_lo, s1
	s_and_saveexec_b32 s1, s30
	s_delay_alu instid0(SALU_CYCLE_1)
	s_xor_b32 s1, exec_lo, s1
	s_cbranch_execnz .LBB135_2800
.LBB135_2798:
	s_or_b32 exec_lo, exec_lo, s1
	s_and_saveexec_b32 s1, s0
	s_cbranch_execnz .LBB135_2801
	s_branch .LBB135_2838
.LBB135_2799:
	s_or_b32 exec_lo, exec_lo, s1
	s_and_saveexec_b32 s1, s30
	s_delay_alu instid0(SALU_CYCLE_1)
	s_xor_b32 s1, exec_lo, s1
	s_cbranch_execz .LBB135_2798
.LBB135_2800:
	s_wait_loadcnt 0x0
	v_cndmask_b32_e64 v0, 0, 1, s6
	global_store_b8 v[2:3], v0, off
	s_wait_xcnt 0x0
	s_or_b32 exec_lo, exec_lo, s1
	s_and_saveexec_b32 s1, s0
	s_cbranch_execz .LBB135_2838
.LBB135_2801:
	s_sext_i32_i16 s1, s7
	s_mov_b32 s0, -1
	s_cmp_lt_i32 s1, 5
	s_cbranch_scc1 .LBB135_2822
; %bb.2802:
	s_cmp_lt_i32 s1, 8
	s_cbranch_scc1 .LBB135_2812
; %bb.2803:
	;; [unrolled: 3-line block ×3, first 2 shown]
	s_cmp_gt_i32 s1, 9
	s_cbranch_scc0 .LBB135_2806
; %bb.2805:
	s_wait_loadcnt 0x0
	v_cndmask_b32_e64 v0, 0, 1, s6
	v_mov_b32_e32 v6, 0
	s_mov_b32 s0, 0
	s_delay_alu instid0(VALU_DEP_2) | instskip(NEXT) | instid1(VALU_DEP_2)
	v_cvt_f64_u32_e32 v[4:5], v0
	v_mov_b32_e32 v7, v6
	global_store_b128 v[2:3], v[4:7], off
.LBB135_2806:
	s_and_not1_b32 vcc_lo, exec_lo, s0
	s_cbranch_vccnz .LBB135_2808
; %bb.2807:
	s_wait_loadcnt 0x0
	v_cndmask_b32_e64 v0, 0, 1.0, s6
	v_mov_b32_e32 v1, 0
	global_store_b64 v[2:3], v[0:1], off
.LBB135_2808:
	s_mov_b32 s0, 0
.LBB135_2809:
	s_delay_alu instid0(SALU_CYCLE_1)
	s_and_not1_b32 vcc_lo, exec_lo, s0
	s_cbranch_vccnz .LBB135_2811
; %bb.2810:
	s_wait_loadcnt 0x0
	v_cndmask_b32_e64 v0, 0, 1.0, s6
	s_delay_alu instid0(VALU_DEP_1) | instskip(NEXT) | instid1(VALU_DEP_1)
	v_cvt_f16_f32_e32 v0, v0
	v_and_b32_e32 v0, 0xffff, v0
	global_store_b32 v[2:3], v0, off
.LBB135_2811:
	s_mov_b32 s0, 0
.LBB135_2812:
	s_delay_alu instid0(SALU_CYCLE_1)
	s_and_not1_b32 vcc_lo, exec_lo, s0
	s_cbranch_vccnz .LBB135_2821
; %bb.2813:
	s_sext_i32_i16 s1, s7
	s_mov_b32 s0, -1
	s_cmp_lt_i32 s1, 6
	s_cbranch_scc1 .LBB135_2819
; %bb.2814:
	s_cmp_gt_i32 s1, 6
	s_cbranch_scc0 .LBB135_2816
; %bb.2815:
	s_wait_loadcnt 0x0
	v_cndmask_b32_e64 v0, 0, 1, s6
	s_mov_b32 s0, 0
	s_delay_alu instid0(VALU_DEP_1)
	v_cvt_f64_u32_e32 v[0:1], v0
	global_store_b64 v[2:3], v[0:1], off
.LBB135_2816:
	s_and_not1_b32 vcc_lo, exec_lo, s0
	s_cbranch_vccnz .LBB135_2818
; %bb.2817:
	s_wait_loadcnt 0x0
	v_cndmask_b32_e64 v0, 0, 1.0, s6
	global_store_b32 v[2:3], v0, off
.LBB135_2818:
	s_mov_b32 s0, 0
.LBB135_2819:
	s_delay_alu instid0(SALU_CYCLE_1)
	s_and_not1_b32 vcc_lo, exec_lo, s0
	s_cbranch_vccnz .LBB135_2821
; %bb.2820:
	s_wait_loadcnt 0x0
	v_cndmask_b32_e64 v0, 0, 1.0, s6
	s_delay_alu instid0(VALU_DEP_1)
	v_cvt_f16_f32_e32 v0, v0
	global_store_b16 v[2:3], v0, off
.LBB135_2821:
	s_mov_b32 s0, 0
.LBB135_2822:
	s_delay_alu instid0(SALU_CYCLE_1)
	s_and_not1_b32 vcc_lo, exec_lo, s0
	s_cbranch_vccnz .LBB135_2838
; %bb.2823:
	s_sext_i32_i16 s1, s7
	s_mov_b32 s0, -1
	s_cmp_lt_i32 s1, 2
	s_cbranch_scc1 .LBB135_2833
; %bb.2824:
	s_cmp_lt_i32 s1, 3
	s_cbranch_scc1 .LBB135_2830
; %bb.2825:
	s_cmp_gt_i32 s1, 3
	s_cbranch_scc0 .LBB135_2827
; %bb.2826:
	s_mov_b32 s0, 0
	s_wait_loadcnt 0x0
	v_cndmask_b32_e64 v0, 0, 1, s6
	v_mov_b32_e32 v1, s0
	global_store_b64 v[2:3], v[0:1], off
.LBB135_2827:
	s_and_not1_b32 vcc_lo, exec_lo, s0
	s_cbranch_vccnz .LBB135_2829
; %bb.2828:
	s_wait_loadcnt 0x0
	v_cndmask_b32_e64 v0, 0, 1, s6
	global_store_b32 v[2:3], v0, off
.LBB135_2829:
	s_mov_b32 s0, 0
.LBB135_2830:
	s_delay_alu instid0(SALU_CYCLE_1)
	s_and_not1_b32 vcc_lo, exec_lo, s0
	s_cbranch_vccnz .LBB135_2832
; %bb.2831:
	s_wait_loadcnt 0x0
	v_cndmask_b32_e64 v0, 0, 1, s6
	global_store_b16 v[2:3], v0, off
.LBB135_2832:
	s_mov_b32 s0, 0
.LBB135_2833:
	s_delay_alu instid0(SALU_CYCLE_1)
	s_and_not1_b32 vcc_lo, exec_lo, s0
	s_cbranch_vccnz .LBB135_2838
; %bb.2834:
	s_sext_i32_i16 s0, s7
	s_delay_alu instid0(SALU_CYCLE_1)
	s_cmp_gt_i32 s0, 0
	s_mov_b32 s0, -1
	s_cbranch_scc0 .LBB135_2836
; %bb.2835:
	s_wait_loadcnt 0x0
	v_cndmask_b32_e64 v0, 0, 1, s6
	s_mov_b32 s0, 0
	global_store_b8 v[2:3], v0, off
.LBB135_2836:
	s_and_not1_b32 vcc_lo, exec_lo, s0
	s_cbranch_vccnz .LBB135_2838
; %bb.2837:
	s_wait_loadcnt 0x0
	v_cndmask_b32_e64 v0, 0, 1, s6
	global_store_b8 v[2:3], v0, off
	s_endpgm
.LBB135_2838:
	s_endpgm
.LBB135_2839:
	s_mov_b32 s0, -1
                                        ; implicit-def: $sgpr6
.LBB135_2840:
	s_delay_alu instid0(SALU_CYCLE_1)
	s_and_not1_b32 vcc_lo, exec_lo, s0
	s_cbranch_vccnz .LBB135_2842
; %bb.2841:
	s_wait_loadcnt 0x0
	s_delay_alu instid0(VALU_DEP_1) | instskip(NEXT) | instid1(VALU_DEP_2)
	v_cmp_eq_f32_e32 vcc_lo, v11, v13
	v_cmp_eq_f32_e64 s0, v10, v12
	s_and_not1_b32 s6, s6, exec_lo
	s_and_b32 s0, s0, vcc_lo
	s_delay_alu instid0(SALU_CYCLE_1) | instskip(NEXT) | instid1(SALU_CYCLE_1)
	s_and_b32 s0, s0, exec_lo
	s_or_b32 s6, s6, s0
.LBB135_2842:
	s_load_b32 s0, s[2:3], 0x1a4
	v_mov_b32_e32 v7, 0
	s_delay_alu instid0(VALU_DEP_1) | instskip(SKIP_2) | instid1(SALU_CYCLE_1)
	v_add_nc_u64_e32 v[6:7], s[4:5], v[6:7]
	s_wait_kmcnt 0x0
	s_and_b32 s7, s0, 0xff
	s_cmp_lt_i32 s7, 11
	s_cbranch_scc1 .LBB135_2920
; %bb.2843:
	s_and_b32 s2, 0xffff, s7
	s_mov_b32 s9, -1
	s_mov_b32 s3, 0
	s_cmp_gt_i32 s2, 25
	s_mov_b32 s8, 0
	s_mov_b32 s0, 0
	s_cbranch_scc0 .LBB135_2876
; %bb.2844:
	s_cmp_gt_i32 s2, 28
	s_cbranch_scc0 .LBB135_2859
; %bb.2845:
	s_cmp_gt_i32 s2, 43
	;; [unrolled: 3-line block ×3, first 2 shown]
	s_cbranch_scc0 .LBB135_2849
; %bb.2847:
	s_mov_b32 s0, -1
	s_mov_b32 s9, 0
	s_cmp_eq_u32 s2, 46
	s_cbranch_scc0 .LBB135_2849
; %bb.2848:
	v_cndmask_b32_e64 v1, 0, 1.0, s12
	s_mov_b32 s0, 0
	s_mov_b32 s8, -1
	s_delay_alu instid0(VALU_DEP_1) | instskip(NEXT) | instid1(VALU_DEP_1)
	v_bfe_u32 v3, v1, 16, 1
	v_add3_u32 v1, v1, v3, 0x7fff
	s_delay_alu instid0(VALU_DEP_1)
	v_lshrrev_b32_e32 v1, 16, v1
	global_store_b32 v[6:7], v1, off
.LBB135_2849:
	s_and_b32 vcc_lo, exec_lo, s9
	s_cbranch_vccz .LBB135_2854
; %bb.2850:
	s_cmp_eq_u32 s2, 44
	s_mov_b32 s0, -1
	s_cbranch_scc0 .LBB135_2854
; %bb.2851:
	v_cndmask_b32_e64 v5, 0, 1.0, s12
	v_mov_b32_e32 v3, 0xff
	s_mov_b32 s8, exec_lo
	s_wait_xcnt 0x0
	s_delay_alu instid0(VALU_DEP_2) | instskip(NEXT) | instid1(VALU_DEP_1)
	v_lshrrev_b32_e32 v1, 23, v5
	v_cmpx_ne_u32_e32 0xff, v1
; %bb.2852:
	v_and_b32_e32 v3, 0x400000, v5
	v_and_or_b32 v5, 0x3fffff, v5, v1
	s_delay_alu instid0(VALU_DEP_2) | instskip(NEXT) | instid1(VALU_DEP_2)
	v_cmp_ne_u32_e32 vcc_lo, 0, v3
	v_cmp_ne_u32_e64 s0, 0, v5
	s_and_b32 s0, vcc_lo, s0
	s_delay_alu instid0(SALU_CYCLE_1) | instskip(NEXT) | instid1(VALU_DEP_1)
	v_cndmask_b32_e64 v3, 0, 1, s0
	v_add_nc_u32_e32 v3, v1, v3
; %bb.2853:
	s_or_b32 exec_lo, exec_lo, s8
	s_mov_b32 s0, 0
	s_mov_b32 s8, -1
	global_store_b8 v[6:7], v3, off
.LBB135_2854:
	s_mov_b32 s9, 0
.LBB135_2855:
	s_delay_alu instid0(SALU_CYCLE_1)
	s_and_b32 vcc_lo, exec_lo, s9
	s_cbranch_vccz .LBB135_2858
; %bb.2856:
	s_cmp_eq_u32 s2, 29
	s_mov_b32 s0, -1
	s_cbranch_scc0 .LBB135_2858
; %bb.2857:
	s_mov_b32 s0, 0
	v_cndmask_b32_e64 v8, 0, 1, s12
	v_mov_b32_e32 v9, s0
	s_mov_b32 s8, -1
	global_store_b64 v[6:7], v[8:9], off
.LBB135_2858:
	s_mov_b32 s9, 0
.LBB135_2859:
	s_delay_alu instid0(SALU_CYCLE_1)
	s_and_b32 vcc_lo, exec_lo, s9
	s_cbranch_vccz .LBB135_2875
; %bb.2860:
	s_cmp_lt_i32 s2, 27
	s_mov_b32 s8, -1
	s_cbranch_scc1 .LBB135_2866
; %bb.2861:
	s_cmp_gt_i32 s2, 27
	s_cbranch_scc0 .LBB135_2863
; %bb.2862:
	s_wait_xcnt 0x0
	v_cndmask_b32_e64 v1, 0, 1, s12
	s_mov_b32 s8, 0
	global_store_b32 v[6:7], v1, off
.LBB135_2863:
	s_and_not1_b32 vcc_lo, exec_lo, s8
	s_cbranch_vccnz .LBB135_2865
; %bb.2864:
	s_wait_xcnt 0x0
	v_cndmask_b32_e64 v1, 0, 1, s12
	global_store_b16 v[6:7], v1, off
.LBB135_2865:
	s_mov_b32 s8, 0
.LBB135_2866:
	s_delay_alu instid0(SALU_CYCLE_1)
	s_and_not1_b32 vcc_lo, exec_lo, s8
	s_cbranch_vccnz .LBB135_2874
; %bb.2867:
	s_wait_xcnt 0x0
	v_cndmask_b32_e64 v3, 0, 1.0, s12
	v_mov_b32_e32 v5, 0x80
	s_mov_b32 s8, exec_lo
	s_delay_alu instid0(VALU_DEP_2)
	v_cmpx_gt_u32_e32 0x43800000, v3
	s_cbranch_execz .LBB135_2873
; %bb.2868:
	s_mov_b32 s9, 0
	s_mov_b32 s13, exec_lo
                                        ; implicit-def: $vgpr1
	v_cmpx_lt_u32_e32 0x3bffffff, v3
	s_xor_b32 s13, exec_lo, s13
	s_cbranch_execz .LBB135_3277
; %bb.2869:
	v_bfe_u32 v1, v3, 20, 1
	s_mov_b32 s9, exec_lo
	s_delay_alu instid0(VALU_DEP_1) | instskip(NEXT) | instid1(VALU_DEP_1)
	v_add3_u32 v1, v3, v1, 0x487ffff
                                        ; implicit-def: $vgpr3
	v_lshrrev_b32_e32 v1, 20, v1
	s_and_not1_saveexec_b32 s13, s13
	s_cbranch_execnz .LBB135_3278
.LBB135_2870:
	s_or_b32 exec_lo, exec_lo, s13
	v_mov_b32_e32 v5, 0
	s_and_saveexec_b32 s13, s9
.LBB135_2871:
	v_mov_b32_e32 v5, v1
.LBB135_2872:
	s_or_b32 exec_lo, exec_lo, s13
.LBB135_2873:
	s_delay_alu instid0(SALU_CYCLE_1)
	s_or_b32 exec_lo, exec_lo, s8
	global_store_b8 v[6:7], v5, off
.LBB135_2874:
	s_mov_b32 s8, -1
.LBB135_2875:
	s_mov_b32 s9, 0
.LBB135_2876:
	s_delay_alu instid0(SALU_CYCLE_1)
	s_and_b32 vcc_lo, exec_lo, s9
	s_cbranch_vccz .LBB135_2916
; %bb.2877:
	s_cmp_gt_i32 s2, 22
	s_mov_b32 s3, -1
	s_cbranch_scc0 .LBB135_2909
; %bb.2878:
	s_cmp_lt_i32 s2, 24
	s_cbranch_scc1 .LBB135_2898
; %bb.2879:
	s_cmp_gt_i32 s2, 24
	s_cbranch_scc0 .LBB135_2887
; %bb.2880:
	s_wait_xcnt 0x0
	v_cndmask_b32_e64 v3, 0, 1.0, s12
	v_mov_b32_e32 v5, 0x80
	s_mov_b32 s3, exec_lo
	s_delay_alu instid0(VALU_DEP_2)
	v_cmpx_gt_u32_e32 0x47800000, v3
	s_cbranch_execz .LBB135_2886
; %bb.2881:
	s_mov_b32 s8, 0
	s_mov_b32 s9, exec_lo
                                        ; implicit-def: $vgpr1
	v_cmpx_lt_u32_e32 0x37ffffff, v3
	s_xor_b32 s9, exec_lo, s9
	s_cbranch_execz .LBB135_3280
; %bb.2882:
	v_bfe_u32 v1, v3, 21, 1
	s_mov_b32 s8, exec_lo
	s_delay_alu instid0(VALU_DEP_1) | instskip(NEXT) | instid1(VALU_DEP_1)
	v_add3_u32 v1, v3, v1, 0x88fffff
                                        ; implicit-def: $vgpr3
	v_lshrrev_b32_e32 v1, 21, v1
	s_and_not1_saveexec_b32 s9, s9
	s_cbranch_execnz .LBB135_3281
.LBB135_2883:
	s_or_b32 exec_lo, exec_lo, s9
	v_mov_b32_e32 v5, 0
	s_and_saveexec_b32 s9, s8
.LBB135_2884:
	v_mov_b32_e32 v5, v1
.LBB135_2885:
	s_or_b32 exec_lo, exec_lo, s9
.LBB135_2886:
	s_delay_alu instid0(SALU_CYCLE_1)
	s_or_b32 exec_lo, exec_lo, s3
	s_mov_b32 s3, 0
	global_store_b8 v[6:7], v5, off
.LBB135_2887:
	s_and_b32 vcc_lo, exec_lo, s3
	s_cbranch_vccz .LBB135_2897
; %bb.2888:
	s_wait_xcnt 0x0
	v_cndmask_b32_e64 v3, 0, 1.0, s12
	s_mov_b32 s3, exec_lo
                                        ; implicit-def: $vgpr1
	s_delay_alu instid0(VALU_DEP_1)
	v_cmpx_gt_u32_e32 0x43f00000, v3
	s_xor_b32 s3, exec_lo, s3
	s_cbranch_execz .LBB135_2894
; %bb.2889:
	s_mov_b32 s8, exec_lo
                                        ; implicit-def: $vgpr1
	v_cmpx_lt_u32_e32 0x3c7fffff, v3
	s_xor_b32 s8, exec_lo, s8
; %bb.2890:
	v_bfe_u32 v1, v3, 20, 1
	s_delay_alu instid0(VALU_DEP_1) | instskip(NEXT) | instid1(VALU_DEP_1)
	v_add3_u32 v1, v3, v1, 0x407ffff
	v_and_b32_e32 v3, 0xff00000, v1
	v_lshrrev_b32_e32 v1, 20, v1
	s_delay_alu instid0(VALU_DEP_2) | instskip(NEXT) | instid1(VALU_DEP_2)
	v_cmp_ne_u32_e32 vcc_lo, 0x7f00000, v3
                                        ; implicit-def: $vgpr3
	v_cndmask_b32_e32 v1, 0x7e, v1, vcc_lo
; %bb.2891:
	s_and_not1_saveexec_b32 s8, s8
; %bb.2892:
	v_add_f32_e32 v1, 0x46800000, v3
; %bb.2893:
	s_or_b32 exec_lo, exec_lo, s8
                                        ; implicit-def: $vgpr3
.LBB135_2894:
	s_and_not1_saveexec_b32 s3, s3
; %bb.2895:
	v_mov_b32_e32 v1, 0x7f
	v_cmp_lt_u32_e32 vcc_lo, 0x7f800000, v3
	s_delay_alu instid0(VALU_DEP_2)
	v_cndmask_b32_e32 v1, 0x7e, v1, vcc_lo
; %bb.2896:
	s_or_b32 exec_lo, exec_lo, s3
	global_store_b8 v[6:7], v1, off
.LBB135_2897:
	s_mov_b32 s3, 0
.LBB135_2898:
	s_delay_alu instid0(SALU_CYCLE_1)
	s_and_not1_b32 vcc_lo, exec_lo, s3
	s_cbranch_vccnz .LBB135_2908
; %bb.2899:
	s_wait_xcnt 0x0
	v_cndmask_b32_e64 v3, 0, 1.0, s12
	s_mov_b32 s3, exec_lo
                                        ; implicit-def: $vgpr1
	s_delay_alu instid0(VALU_DEP_1)
	v_cmpx_gt_u32_e32 0x47800000, v3
	s_xor_b32 s3, exec_lo, s3
	s_cbranch_execz .LBB135_2905
; %bb.2900:
	s_mov_b32 s8, exec_lo
                                        ; implicit-def: $vgpr1
	v_cmpx_lt_u32_e32 0x387fffff, v3
	s_xor_b32 s8, exec_lo, s8
; %bb.2901:
	v_bfe_u32 v1, v3, 21, 1
	s_delay_alu instid0(VALU_DEP_1) | instskip(NEXT) | instid1(VALU_DEP_1)
	v_add3_u32 v1, v3, v1, 0x80fffff
                                        ; implicit-def: $vgpr3
	v_lshrrev_b32_e32 v1, 21, v1
; %bb.2902:
	s_and_not1_saveexec_b32 s8, s8
; %bb.2903:
	v_add_f32_e32 v1, 0x43000000, v3
; %bb.2904:
	s_or_b32 exec_lo, exec_lo, s8
                                        ; implicit-def: $vgpr3
.LBB135_2905:
	s_and_not1_saveexec_b32 s3, s3
; %bb.2906:
	v_mov_b32_e32 v1, 0x7f
	v_cmp_lt_u32_e32 vcc_lo, 0x7f800000, v3
	s_delay_alu instid0(VALU_DEP_2)
	v_cndmask_b32_e32 v1, 0x7c, v1, vcc_lo
; %bb.2907:
	s_or_b32 exec_lo, exec_lo, s3
	global_store_b8 v[6:7], v1, off
.LBB135_2908:
	s_mov_b32 s3, 0
	s_mov_b32 s8, -1
.LBB135_2909:
	s_and_not1_b32 vcc_lo, exec_lo, s3
	s_mov_b32 s3, 0
	s_cbranch_vccnz .LBB135_2916
; %bb.2910:
	s_cmp_gt_i32 s2, 14
	s_mov_b32 s3, -1
	s_cbranch_scc0 .LBB135_2914
; %bb.2911:
	s_cmp_eq_u32 s2, 15
	s_mov_b32 s0, -1
	s_cbranch_scc0 .LBB135_2913
; %bb.2912:
	s_wait_xcnt 0x0
	v_cndmask_b32_e64 v1, 0, 1.0, s12
	s_mov_b32 s0, 0
	s_mov_b32 s8, -1
	s_delay_alu instid0(VALU_DEP_1) | instskip(NEXT) | instid1(VALU_DEP_1)
	v_bfe_u32 v3, v1, 16, 1
	v_add3_u32 v1, v1, v3, 0x7fff
	global_store_d16_hi_b16 v[6:7], v1, off
.LBB135_2913:
	s_mov_b32 s3, 0
.LBB135_2914:
	s_delay_alu instid0(SALU_CYCLE_1)
	s_and_b32 vcc_lo, exec_lo, s3
	s_mov_b32 s3, 0
	s_cbranch_vccz .LBB135_2916
; %bb.2915:
	s_cmp_lg_u32 s2, 11
	s_mov_b32 s3, -1
	s_cselect_b32 s0, -1, 0
.LBB135_2916:
	s_delay_alu instid0(SALU_CYCLE_1)
	s_and_b32 vcc_lo, exec_lo, s0
	s_cbranch_vccnz .LBB135_3279
; %bb.2917:
	s_and_not1_b32 vcc_lo, exec_lo, s3
	s_cbranch_vccnz .LBB135_2919
.LBB135_2918:
	s_wait_xcnt 0x0
	v_cndmask_b32_e64 v1, 0, 1, s12
	s_mov_b32 s8, -1
	global_store_b8 v[6:7], v1, off
.LBB135_2919:
	s_mov_b32 s0, 0
	s_branch .LBB135_2921
.LBB135_2920:
	s_mov_b32 s0, -1
	s_mov_b32 s8, 0
.LBB135_2921:
	s_and_b32 vcc_lo, exec_lo, s0
	s_cbranch_vccz .LBB135_2960
; %bb.2922:
	s_and_b32 s0, 0xffff, s7
	s_mov_b32 s2, -1
	s_cmp_lt_i32 s0, 5
	s_cbranch_scc1 .LBB135_2943
; %bb.2923:
	s_cmp_lt_i32 s0, 8
	s_cbranch_scc1 .LBB135_2933
; %bb.2924:
	s_cmp_lt_i32 s0, 9
	s_cbranch_scc1 .LBB135_2930
; %bb.2925:
	s_cmp_gt_i32 s0, 9
	s_cbranch_scc0 .LBB135_2927
; %bb.2926:
	s_wait_xcnt 0x0
	v_cndmask_b32_e64 v1, 0, 1, s12
	s_wait_loadcnt 0x0
	v_mov_b32_e32 v10, 0
	s_mov_b32 s2, 0
	s_delay_alu instid0(VALU_DEP_2) | instskip(NEXT) | instid1(VALU_DEP_2)
	v_cvt_f64_u32_e32 v[8:9], v1
	v_mov_b32_e32 v11, v10
	global_store_b128 v[6:7], v[8:11], off
.LBB135_2927:
	s_and_not1_b32 vcc_lo, exec_lo, s2
	s_cbranch_vccnz .LBB135_2929
; %bb.2928:
	s_wait_xcnt 0x0
	v_cndmask_b32_e64 v8, 0, 1.0, s12
	v_mov_b32_e32 v9, 0
	global_store_b64 v[6:7], v[8:9], off
.LBB135_2929:
	s_mov_b32 s2, 0
.LBB135_2930:
	s_delay_alu instid0(SALU_CYCLE_1)
	s_and_not1_b32 vcc_lo, exec_lo, s2
	s_cbranch_vccnz .LBB135_2932
; %bb.2931:
	s_wait_xcnt 0x0
	v_cndmask_b32_e64 v1, 0, 1.0, s12
	s_delay_alu instid0(VALU_DEP_1) | instskip(NEXT) | instid1(VALU_DEP_1)
	v_cvt_f16_f32_e32 v1, v1
	v_and_b32_e32 v1, 0xffff, v1
	global_store_b32 v[6:7], v1, off
.LBB135_2932:
	s_mov_b32 s2, 0
.LBB135_2933:
	s_delay_alu instid0(SALU_CYCLE_1)
	s_and_not1_b32 vcc_lo, exec_lo, s2
	s_cbranch_vccnz .LBB135_2942
; %bb.2934:
	s_cmp_lt_i32 s0, 6
	s_mov_b32 s2, -1
	s_cbranch_scc1 .LBB135_2940
; %bb.2935:
	s_cmp_gt_i32 s0, 6
	s_cbranch_scc0 .LBB135_2937
; %bb.2936:
	s_wait_xcnt 0x0
	v_cndmask_b32_e64 v1, 0, 1, s12
	s_mov_b32 s2, 0
	s_delay_alu instid0(VALU_DEP_1)
	v_cvt_f64_u32_e32 v[8:9], v1
	global_store_b64 v[6:7], v[8:9], off
.LBB135_2937:
	s_and_not1_b32 vcc_lo, exec_lo, s2
	s_cbranch_vccnz .LBB135_2939
; %bb.2938:
	s_wait_xcnt 0x0
	v_cndmask_b32_e64 v1, 0, 1.0, s12
	global_store_b32 v[6:7], v1, off
.LBB135_2939:
	s_mov_b32 s2, 0
.LBB135_2940:
	s_delay_alu instid0(SALU_CYCLE_1)
	s_and_not1_b32 vcc_lo, exec_lo, s2
	s_cbranch_vccnz .LBB135_2942
; %bb.2941:
	s_wait_xcnt 0x0
	v_cndmask_b32_e64 v1, 0, 1.0, s12
	s_delay_alu instid0(VALU_DEP_1)
	v_cvt_f16_f32_e32 v1, v1
	global_store_b16 v[6:7], v1, off
.LBB135_2942:
	s_mov_b32 s2, 0
.LBB135_2943:
	s_delay_alu instid0(SALU_CYCLE_1)
	s_and_not1_b32 vcc_lo, exec_lo, s2
	s_cbranch_vccnz .LBB135_2959
; %bb.2944:
	s_cmp_lt_i32 s0, 2
	s_mov_b32 s2, -1
	s_cbranch_scc1 .LBB135_2954
; %bb.2945:
	s_cmp_lt_i32 s0, 3
	s_cbranch_scc1 .LBB135_2951
; %bb.2946:
	s_cmp_gt_i32 s0, 3
	s_cbranch_scc0 .LBB135_2948
; %bb.2947:
	s_mov_b32 s2, 0
	s_wait_xcnt 0x0
	v_cndmask_b32_e64 v8, 0, 1, s12
	v_mov_b32_e32 v9, s2
	global_store_b64 v[6:7], v[8:9], off
.LBB135_2948:
	s_and_not1_b32 vcc_lo, exec_lo, s2
	s_cbranch_vccnz .LBB135_2950
; %bb.2949:
	s_wait_xcnt 0x0
	v_cndmask_b32_e64 v1, 0, 1, s12
	global_store_b32 v[6:7], v1, off
.LBB135_2950:
	s_mov_b32 s2, 0
.LBB135_2951:
	s_delay_alu instid0(SALU_CYCLE_1)
	s_and_not1_b32 vcc_lo, exec_lo, s2
	s_cbranch_vccnz .LBB135_2953
; %bb.2952:
	s_wait_xcnt 0x0
	v_cndmask_b32_e64 v1, 0, 1, s12
	global_store_b16 v[6:7], v1, off
.LBB135_2953:
	s_mov_b32 s2, 0
.LBB135_2954:
	s_delay_alu instid0(SALU_CYCLE_1)
	s_and_not1_b32 vcc_lo, exec_lo, s2
	s_cbranch_vccnz .LBB135_2959
; %bb.2955:
	s_wait_xcnt 0x0
	v_cndmask_b32_e64 v1, 0, 1, s12
	s_cmp_gt_i32 s0, 0
	s_mov_b32 s0, -1
	s_cbranch_scc0 .LBB135_2957
; %bb.2956:
	s_mov_b32 s0, 0
	global_store_b8 v[6:7], v1, off
.LBB135_2957:
	s_and_not1_b32 vcc_lo, exec_lo, s0
	s_cbranch_vccnz .LBB135_2959
; %bb.2958:
	global_store_b8 v[6:7], v1, off
.LBB135_2959:
	s_mov_b32 s8, -1
.LBB135_2960:
	s_delay_alu instid0(SALU_CYCLE_1)
	s_and_not1_b32 vcc_lo, exec_lo, s8
	s_cbranch_vccnz .LBB135_3275
; %bb.2961:
	s_wait_xcnt 0x0
	v_mov_b32_e32 v5, 0
	s_and_b32 s2, 0xffff, s7
	s_delay_alu instid0(SALU_CYCLE_1) | instskip(NEXT) | instid1(VALU_DEP_1)
	s_cmp_lt_i32 s2, 11
	v_add_nc_u64_e32 v[4:5], s[4:5], v[4:5]
	s_cbranch_scc1 .LBB135_3039
; %bb.2962:
	s_mov_b32 s9, -1
	s_mov_b32 s3, 0
	s_cmp_gt_i32 s2, 25
	s_mov_b32 s8, 0
	s_mov_b32 s0, 0
	s_cbranch_scc0 .LBB135_2995
; %bb.2963:
	s_cmp_gt_i32 s2, 28
	s_cbranch_scc0 .LBB135_2978
; %bb.2964:
	s_cmp_gt_i32 s2, 43
	;; [unrolled: 3-line block ×3, first 2 shown]
	s_cbranch_scc0 .LBB135_2968
; %bb.2966:
	s_mov_b32 s0, -1
	s_mov_b32 s9, 0
	s_cmp_eq_u32 s2, 46
	s_cbranch_scc0 .LBB135_2968
; %bb.2967:
	v_cndmask_b32_e64 v1, 0, 1.0, s14
	s_mov_b32 s0, 0
	s_mov_b32 s8, -1
	s_delay_alu instid0(VALU_DEP_1) | instskip(NEXT) | instid1(VALU_DEP_1)
	v_bfe_u32 v3, v1, 16, 1
	v_add3_u32 v1, v1, v3, 0x7fff
	s_delay_alu instid0(VALU_DEP_1)
	v_lshrrev_b32_e32 v1, 16, v1
	global_store_b32 v[4:5], v1, off
.LBB135_2968:
	s_and_b32 vcc_lo, exec_lo, s9
	s_cbranch_vccz .LBB135_2973
; %bb.2969:
	s_cmp_eq_u32 s2, 44
	s_mov_b32 s0, -1
	s_cbranch_scc0 .LBB135_2973
; %bb.2970:
	v_cndmask_b32_e64 v6, 0, 1.0, s14
	v_mov_b32_e32 v3, 0xff
	s_mov_b32 s8, exec_lo
	s_wait_xcnt 0x0
	s_delay_alu instid0(VALU_DEP_2) | instskip(NEXT) | instid1(VALU_DEP_1)
	v_lshrrev_b32_e32 v1, 23, v6
	v_cmpx_ne_u32_e32 0xff, v1
; %bb.2971:
	v_and_b32_e32 v3, 0x400000, v6
	v_and_or_b32 v6, 0x3fffff, v6, v1
	s_delay_alu instid0(VALU_DEP_2) | instskip(NEXT) | instid1(VALU_DEP_2)
	v_cmp_ne_u32_e32 vcc_lo, 0, v3
	v_cmp_ne_u32_e64 s0, 0, v6
	s_and_b32 s0, vcc_lo, s0
	s_delay_alu instid0(SALU_CYCLE_1) | instskip(NEXT) | instid1(VALU_DEP_1)
	v_cndmask_b32_e64 v3, 0, 1, s0
	v_add_nc_u32_e32 v3, v1, v3
; %bb.2972:
	s_or_b32 exec_lo, exec_lo, s8
	s_mov_b32 s0, 0
	s_mov_b32 s8, -1
	global_store_b8 v[4:5], v3, off
.LBB135_2973:
	s_mov_b32 s9, 0
.LBB135_2974:
	s_delay_alu instid0(SALU_CYCLE_1)
	s_and_b32 vcc_lo, exec_lo, s9
	s_cbranch_vccz .LBB135_2977
; %bb.2975:
	s_cmp_eq_u32 s2, 29
	s_mov_b32 s0, -1
	s_cbranch_scc0 .LBB135_2977
; %bb.2976:
	s_mov_b32 s0, 0
	v_cndmask_b32_e64 v6, 0, 1, s14
	v_mov_b32_e32 v7, s0
	s_mov_b32 s8, -1
	global_store_b64 v[4:5], v[6:7], off
.LBB135_2977:
	s_mov_b32 s9, 0
.LBB135_2978:
	s_delay_alu instid0(SALU_CYCLE_1)
	s_and_b32 vcc_lo, exec_lo, s9
	s_cbranch_vccz .LBB135_2994
; %bb.2979:
	s_cmp_lt_i32 s2, 27
	s_mov_b32 s8, -1
	s_cbranch_scc1 .LBB135_2985
; %bb.2980:
	s_cmp_gt_i32 s2, 27
	s_cbranch_scc0 .LBB135_2982
; %bb.2981:
	s_wait_xcnt 0x0
	v_cndmask_b32_e64 v1, 0, 1, s14
	s_mov_b32 s8, 0
	global_store_b32 v[4:5], v1, off
.LBB135_2982:
	s_and_not1_b32 vcc_lo, exec_lo, s8
	s_cbranch_vccnz .LBB135_2984
; %bb.2983:
	s_wait_xcnt 0x0
	v_cndmask_b32_e64 v1, 0, 1, s14
	global_store_b16 v[4:5], v1, off
.LBB135_2984:
	s_mov_b32 s8, 0
.LBB135_2985:
	s_delay_alu instid0(SALU_CYCLE_1)
	s_and_not1_b32 vcc_lo, exec_lo, s8
	s_cbranch_vccnz .LBB135_2993
; %bb.2986:
	s_wait_xcnt 0x0
	v_cndmask_b32_e64 v3, 0, 1.0, s14
	v_mov_b32_e32 v6, 0x80
	s_mov_b32 s8, exec_lo
	s_delay_alu instid0(VALU_DEP_2)
	v_cmpx_gt_u32_e32 0x43800000, v3
	s_cbranch_execz .LBB135_2992
; %bb.2987:
	s_mov_b32 s9, 0
	s_mov_b32 s12, exec_lo
                                        ; implicit-def: $vgpr1
	v_cmpx_lt_u32_e32 0x3bffffff, v3
	s_xor_b32 s12, exec_lo, s12
	s_cbranch_execz .LBB135_3282
; %bb.2988:
	v_bfe_u32 v1, v3, 20, 1
	s_mov_b32 s9, exec_lo
	s_delay_alu instid0(VALU_DEP_1) | instskip(NEXT) | instid1(VALU_DEP_1)
	v_add3_u32 v1, v3, v1, 0x487ffff
                                        ; implicit-def: $vgpr3
	v_lshrrev_b32_e32 v1, 20, v1
	s_and_not1_saveexec_b32 s12, s12
	s_cbranch_execnz .LBB135_3283
.LBB135_2989:
	s_or_b32 exec_lo, exec_lo, s12
	v_mov_b32_e32 v6, 0
	s_and_saveexec_b32 s12, s9
.LBB135_2990:
	v_mov_b32_e32 v6, v1
.LBB135_2991:
	s_or_b32 exec_lo, exec_lo, s12
.LBB135_2992:
	s_delay_alu instid0(SALU_CYCLE_1)
	s_or_b32 exec_lo, exec_lo, s8
	global_store_b8 v[4:5], v6, off
.LBB135_2993:
	s_mov_b32 s8, -1
.LBB135_2994:
	s_mov_b32 s9, 0
.LBB135_2995:
	s_delay_alu instid0(SALU_CYCLE_1)
	s_and_b32 vcc_lo, exec_lo, s9
	s_cbranch_vccz .LBB135_3035
; %bb.2996:
	s_cmp_gt_i32 s2, 22
	s_mov_b32 s3, -1
	s_cbranch_scc0 .LBB135_3028
; %bb.2997:
	s_cmp_lt_i32 s2, 24
	s_cbranch_scc1 .LBB135_3017
; %bb.2998:
	s_cmp_gt_i32 s2, 24
	s_cbranch_scc0 .LBB135_3006
; %bb.2999:
	s_wait_xcnt 0x0
	v_cndmask_b32_e64 v3, 0, 1.0, s14
	v_mov_b32_e32 v6, 0x80
	s_mov_b32 s3, exec_lo
	s_delay_alu instid0(VALU_DEP_2)
	v_cmpx_gt_u32_e32 0x47800000, v3
	s_cbranch_execz .LBB135_3005
; %bb.3000:
	s_mov_b32 s8, 0
	s_mov_b32 s9, exec_lo
                                        ; implicit-def: $vgpr1
	v_cmpx_lt_u32_e32 0x37ffffff, v3
	s_xor_b32 s9, exec_lo, s9
	s_cbranch_execz .LBB135_3285
; %bb.3001:
	v_bfe_u32 v1, v3, 21, 1
	s_mov_b32 s8, exec_lo
	s_delay_alu instid0(VALU_DEP_1) | instskip(NEXT) | instid1(VALU_DEP_1)
	v_add3_u32 v1, v3, v1, 0x88fffff
                                        ; implicit-def: $vgpr3
	v_lshrrev_b32_e32 v1, 21, v1
	s_and_not1_saveexec_b32 s9, s9
	s_cbranch_execnz .LBB135_3286
.LBB135_3002:
	s_or_b32 exec_lo, exec_lo, s9
	v_mov_b32_e32 v6, 0
	s_and_saveexec_b32 s9, s8
.LBB135_3003:
	v_mov_b32_e32 v6, v1
.LBB135_3004:
	s_or_b32 exec_lo, exec_lo, s9
.LBB135_3005:
	s_delay_alu instid0(SALU_CYCLE_1)
	s_or_b32 exec_lo, exec_lo, s3
	s_mov_b32 s3, 0
	global_store_b8 v[4:5], v6, off
.LBB135_3006:
	s_and_b32 vcc_lo, exec_lo, s3
	s_cbranch_vccz .LBB135_3016
; %bb.3007:
	s_wait_xcnt 0x0
	v_cndmask_b32_e64 v3, 0, 1.0, s14
	s_mov_b32 s3, exec_lo
                                        ; implicit-def: $vgpr1
	s_delay_alu instid0(VALU_DEP_1)
	v_cmpx_gt_u32_e32 0x43f00000, v3
	s_xor_b32 s3, exec_lo, s3
	s_cbranch_execz .LBB135_3013
; %bb.3008:
	s_mov_b32 s8, exec_lo
                                        ; implicit-def: $vgpr1
	v_cmpx_lt_u32_e32 0x3c7fffff, v3
	s_xor_b32 s8, exec_lo, s8
; %bb.3009:
	v_bfe_u32 v1, v3, 20, 1
	s_delay_alu instid0(VALU_DEP_1) | instskip(NEXT) | instid1(VALU_DEP_1)
	v_add3_u32 v1, v3, v1, 0x407ffff
	v_and_b32_e32 v3, 0xff00000, v1
	v_lshrrev_b32_e32 v1, 20, v1
	s_delay_alu instid0(VALU_DEP_2) | instskip(NEXT) | instid1(VALU_DEP_2)
	v_cmp_ne_u32_e32 vcc_lo, 0x7f00000, v3
                                        ; implicit-def: $vgpr3
	v_cndmask_b32_e32 v1, 0x7e, v1, vcc_lo
; %bb.3010:
	s_and_not1_saveexec_b32 s8, s8
; %bb.3011:
	v_add_f32_e32 v1, 0x46800000, v3
; %bb.3012:
	s_or_b32 exec_lo, exec_lo, s8
                                        ; implicit-def: $vgpr3
.LBB135_3013:
	s_and_not1_saveexec_b32 s3, s3
; %bb.3014:
	v_mov_b32_e32 v1, 0x7f
	v_cmp_lt_u32_e32 vcc_lo, 0x7f800000, v3
	s_delay_alu instid0(VALU_DEP_2)
	v_cndmask_b32_e32 v1, 0x7e, v1, vcc_lo
; %bb.3015:
	s_or_b32 exec_lo, exec_lo, s3
	global_store_b8 v[4:5], v1, off
.LBB135_3016:
	s_mov_b32 s3, 0
.LBB135_3017:
	s_delay_alu instid0(SALU_CYCLE_1)
	s_and_not1_b32 vcc_lo, exec_lo, s3
	s_cbranch_vccnz .LBB135_3027
; %bb.3018:
	s_wait_xcnt 0x0
	v_cndmask_b32_e64 v3, 0, 1.0, s14
	s_mov_b32 s3, exec_lo
                                        ; implicit-def: $vgpr1
	s_delay_alu instid0(VALU_DEP_1)
	v_cmpx_gt_u32_e32 0x47800000, v3
	s_xor_b32 s3, exec_lo, s3
	s_cbranch_execz .LBB135_3024
; %bb.3019:
	s_mov_b32 s8, exec_lo
                                        ; implicit-def: $vgpr1
	v_cmpx_lt_u32_e32 0x387fffff, v3
	s_xor_b32 s8, exec_lo, s8
; %bb.3020:
	v_bfe_u32 v1, v3, 21, 1
	s_delay_alu instid0(VALU_DEP_1) | instskip(NEXT) | instid1(VALU_DEP_1)
	v_add3_u32 v1, v3, v1, 0x80fffff
                                        ; implicit-def: $vgpr3
	v_lshrrev_b32_e32 v1, 21, v1
; %bb.3021:
	s_and_not1_saveexec_b32 s8, s8
; %bb.3022:
	v_add_f32_e32 v1, 0x43000000, v3
; %bb.3023:
	s_or_b32 exec_lo, exec_lo, s8
                                        ; implicit-def: $vgpr3
.LBB135_3024:
	s_and_not1_saveexec_b32 s3, s3
; %bb.3025:
	v_mov_b32_e32 v1, 0x7f
	v_cmp_lt_u32_e32 vcc_lo, 0x7f800000, v3
	s_delay_alu instid0(VALU_DEP_2)
	v_cndmask_b32_e32 v1, 0x7c, v1, vcc_lo
; %bb.3026:
	s_or_b32 exec_lo, exec_lo, s3
	global_store_b8 v[4:5], v1, off
.LBB135_3027:
	s_mov_b32 s3, 0
	s_mov_b32 s8, -1
.LBB135_3028:
	s_and_not1_b32 vcc_lo, exec_lo, s3
	s_mov_b32 s3, 0
	s_cbranch_vccnz .LBB135_3035
; %bb.3029:
	s_cmp_gt_i32 s2, 14
	s_mov_b32 s3, -1
	s_cbranch_scc0 .LBB135_3033
; %bb.3030:
	s_cmp_eq_u32 s2, 15
	s_mov_b32 s0, -1
	s_cbranch_scc0 .LBB135_3032
; %bb.3031:
	s_wait_xcnt 0x0
	v_cndmask_b32_e64 v1, 0, 1.0, s14
	s_mov_b32 s0, 0
	s_mov_b32 s8, -1
	s_delay_alu instid0(VALU_DEP_1) | instskip(NEXT) | instid1(VALU_DEP_1)
	v_bfe_u32 v3, v1, 16, 1
	v_add3_u32 v1, v1, v3, 0x7fff
	global_store_d16_hi_b16 v[4:5], v1, off
.LBB135_3032:
	s_mov_b32 s3, 0
.LBB135_3033:
	s_delay_alu instid0(SALU_CYCLE_1)
	s_and_b32 vcc_lo, exec_lo, s3
	s_mov_b32 s3, 0
	s_cbranch_vccz .LBB135_3035
; %bb.3034:
	s_cmp_lg_u32 s2, 11
	s_mov_b32 s3, -1
	s_cselect_b32 s0, -1, 0
.LBB135_3035:
	s_delay_alu instid0(SALU_CYCLE_1)
	s_and_b32 vcc_lo, exec_lo, s0
	s_cbranch_vccnz .LBB135_3284
; %bb.3036:
	s_and_not1_b32 vcc_lo, exec_lo, s3
	s_cbranch_vccnz .LBB135_3038
.LBB135_3037:
	s_wait_xcnt 0x0
	v_cndmask_b32_e64 v1, 0, 1, s14
	s_mov_b32 s8, -1
	global_store_b8 v[4:5], v1, off
.LBB135_3038:
	s_mov_b32 s0, 0
	s_branch .LBB135_3040
.LBB135_3039:
	s_mov_b32 s0, -1
	s_mov_b32 s8, 0
.LBB135_3040:
	s_and_b32 vcc_lo, exec_lo, s0
	s_cbranch_vccz .LBB135_3079
; %bb.3041:
	s_cmp_lt_i32 s2, 5
	s_mov_b32 s0, -1
	s_cbranch_scc1 .LBB135_3062
; %bb.3042:
	s_cmp_lt_i32 s2, 8
	s_cbranch_scc1 .LBB135_3052
; %bb.3043:
	s_cmp_lt_i32 s2, 9
	s_cbranch_scc1 .LBB135_3049
; %bb.3044:
	s_cmp_gt_i32 s2, 9
	s_cbranch_scc0 .LBB135_3046
; %bb.3045:
	s_wait_xcnt 0x0
	v_cndmask_b32_e64 v1, 0, 1, s14
	v_mov_b32_e32 v8, 0
	s_mov_b32 s0, 0
	s_delay_alu instid0(VALU_DEP_2) | instskip(NEXT) | instid1(VALU_DEP_2)
	v_cvt_f64_u32_e32 v[6:7], v1
	v_mov_b32_e32 v9, v8
	global_store_b128 v[4:5], v[6:9], off
.LBB135_3046:
	s_and_not1_b32 vcc_lo, exec_lo, s0
	s_cbranch_vccnz .LBB135_3048
; %bb.3047:
	s_wait_xcnt 0x0
	v_cndmask_b32_e64 v6, 0, 1.0, s14
	v_mov_b32_e32 v7, 0
	global_store_b64 v[4:5], v[6:7], off
.LBB135_3048:
	s_mov_b32 s0, 0
.LBB135_3049:
	s_delay_alu instid0(SALU_CYCLE_1)
	s_and_not1_b32 vcc_lo, exec_lo, s0
	s_cbranch_vccnz .LBB135_3051
; %bb.3050:
	s_wait_xcnt 0x0
	v_cndmask_b32_e64 v1, 0, 1.0, s14
	s_delay_alu instid0(VALU_DEP_1) | instskip(NEXT) | instid1(VALU_DEP_1)
	v_cvt_f16_f32_e32 v1, v1
	v_and_b32_e32 v1, 0xffff, v1
	global_store_b32 v[4:5], v1, off
.LBB135_3051:
	s_mov_b32 s0, 0
.LBB135_3052:
	s_delay_alu instid0(SALU_CYCLE_1)
	s_and_not1_b32 vcc_lo, exec_lo, s0
	s_cbranch_vccnz .LBB135_3061
; %bb.3053:
	s_cmp_lt_i32 s2, 6
	s_mov_b32 s0, -1
	s_cbranch_scc1 .LBB135_3059
; %bb.3054:
	s_cmp_gt_i32 s2, 6
	s_cbranch_scc0 .LBB135_3056
; %bb.3055:
	s_wait_xcnt 0x0
	v_cndmask_b32_e64 v1, 0, 1, s14
	s_mov_b32 s0, 0
	s_delay_alu instid0(VALU_DEP_1)
	v_cvt_f64_u32_e32 v[6:7], v1
	global_store_b64 v[4:5], v[6:7], off
.LBB135_3056:
	s_and_not1_b32 vcc_lo, exec_lo, s0
	s_cbranch_vccnz .LBB135_3058
; %bb.3057:
	s_wait_xcnt 0x0
	v_cndmask_b32_e64 v1, 0, 1.0, s14
	global_store_b32 v[4:5], v1, off
.LBB135_3058:
	s_mov_b32 s0, 0
.LBB135_3059:
	s_delay_alu instid0(SALU_CYCLE_1)
	s_and_not1_b32 vcc_lo, exec_lo, s0
	s_cbranch_vccnz .LBB135_3061
; %bb.3060:
	s_wait_xcnt 0x0
	v_cndmask_b32_e64 v1, 0, 1.0, s14
	s_delay_alu instid0(VALU_DEP_1)
	v_cvt_f16_f32_e32 v1, v1
	global_store_b16 v[4:5], v1, off
.LBB135_3061:
	s_mov_b32 s0, 0
.LBB135_3062:
	s_delay_alu instid0(SALU_CYCLE_1)
	s_and_not1_b32 vcc_lo, exec_lo, s0
	s_cbranch_vccnz .LBB135_3078
; %bb.3063:
	s_cmp_lt_i32 s2, 2
	s_mov_b32 s0, -1
	s_cbranch_scc1 .LBB135_3073
; %bb.3064:
	s_cmp_lt_i32 s2, 3
	s_cbranch_scc1 .LBB135_3070
; %bb.3065:
	s_cmp_gt_i32 s2, 3
	s_cbranch_scc0 .LBB135_3067
; %bb.3066:
	s_mov_b32 s0, 0
	s_wait_xcnt 0x0
	v_cndmask_b32_e64 v6, 0, 1, s14
	v_mov_b32_e32 v7, s0
	global_store_b64 v[4:5], v[6:7], off
.LBB135_3067:
	s_and_not1_b32 vcc_lo, exec_lo, s0
	s_cbranch_vccnz .LBB135_3069
; %bb.3068:
	s_wait_xcnt 0x0
	v_cndmask_b32_e64 v1, 0, 1, s14
	global_store_b32 v[4:5], v1, off
.LBB135_3069:
	s_mov_b32 s0, 0
.LBB135_3070:
	s_delay_alu instid0(SALU_CYCLE_1)
	s_and_not1_b32 vcc_lo, exec_lo, s0
	s_cbranch_vccnz .LBB135_3072
; %bb.3071:
	s_wait_xcnt 0x0
	v_cndmask_b32_e64 v1, 0, 1, s14
	global_store_b16 v[4:5], v1, off
.LBB135_3072:
	s_mov_b32 s0, 0
.LBB135_3073:
	s_delay_alu instid0(SALU_CYCLE_1)
	s_and_not1_b32 vcc_lo, exec_lo, s0
	s_cbranch_vccnz .LBB135_3078
; %bb.3074:
	s_wait_xcnt 0x0
	v_cndmask_b32_e64 v1, 0, 1, s14
	s_cmp_gt_i32 s2, 0
	s_mov_b32 s0, -1
	s_cbranch_scc0 .LBB135_3076
; %bb.3075:
	s_mov_b32 s0, 0
	global_store_b8 v[4:5], v1, off
.LBB135_3076:
	s_and_not1_b32 vcc_lo, exec_lo, s0
	s_cbranch_vccnz .LBB135_3078
; %bb.3077:
	global_store_b8 v[4:5], v1, off
.LBB135_3078:
	s_mov_b32 s8, -1
.LBB135_3079:
	s_delay_alu instid0(SALU_CYCLE_1)
	s_and_not1_b32 vcc_lo, exec_lo, s8
	s_cbranch_vccnz .LBB135_3275
; %bb.3080:
	s_wait_xcnt 0x0
	v_mov_b32_e32 v3, 0
	s_cmp_lt_i32 s2, 11
	s_delay_alu instid0(VALU_DEP_1)
	v_add_nc_u64_e32 v[2:3], s[4:5], v[2:3]
	s_cbranch_scc1 .LBB135_3158
; %bb.3081:
	s_mov_b32 s9, -1
	s_mov_b32 s3, 0
	s_cmp_gt_i32 s2, 25
	s_mov_b32 s8, 0
	s_mov_b32 s0, 0
	s_cbranch_scc0 .LBB135_3114
; %bb.3082:
	s_cmp_gt_i32 s2, 28
	s_cbranch_scc0 .LBB135_3097
; %bb.3083:
	s_cmp_gt_i32 s2, 43
	;; [unrolled: 3-line block ×3, first 2 shown]
	s_cbranch_scc0 .LBB135_3087
; %bb.3085:
	s_mov_b32 s0, -1
	s_mov_b32 s9, 0
	s_cmp_eq_u32 s2, 46
	s_cbranch_scc0 .LBB135_3087
; %bb.3086:
	v_cndmask_b32_e64 v1, 0, 1.0, s17
	s_mov_b32 s0, 0
	s_mov_b32 s8, -1
	s_delay_alu instid0(VALU_DEP_1) | instskip(NEXT) | instid1(VALU_DEP_1)
	v_bfe_u32 v4, v1, 16, 1
	v_add3_u32 v1, v1, v4, 0x7fff
	s_delay_alu instid0(VALU_DEP_1)
	v_lshrrev_b32_e32 v1, 16, v1
	global_store_b32 v[2:3], v1, off
.LBB135_3087:
	s_and_b32 vcc_lo, exec_lo, s9
	s_cbranch_vccz .LBB135_3092
; %bb.3088:
	s_cmp_eq_u32 s2, 44
	s_mov_b32 s0, -1
	s_cbranch_scc0 .LBB135_3092
; %bb.3089:
	v_cndmask_b32_e64 v5, 0, 1.0, s17
	s_mov_b32 s8, exec_lo
	s_wait_xcnt 0x0
	s_delay_alu instid0(VALU_DEP_1) | instskip(NEXT) | instid1(VALU_DEP_1)
	v_dual_mov_b32 v4, 0xff :: v_dual_lshrrev_b32 v1, 23, v5
	v_cmpx_ne_u32_e32 0xff, v1
; %bb.3090:
	v_and_b32_e32 v4, 0x400000, v5
	v_and_or_b32 v5, 0x3fffff, v5, v1
	s_delay_alu instid0(VALU_DEP_2) | instskip(NEXT) | instid1(VALU_DEP_2)
	v_cmp_ne_u32_e32 vcc_lo, 0, v4
	v_cmp_ne_u32_e64 s0, 0, v5
	s_and_b32 s0, vcc_lo, s0
	s_delay_alu instid0(SALU_CYCLE_1) | instskip(NEXT) | instid1(VALU_DEP_1)
	v_cndmask_b32_e64 v4, 0, 1, s0
	v_add_nc_u32_e32 v4, v1, v4
; %bb.3091:
	s_or_b32 exec_lo, exec_lo, s8
	s_mov_b32 s0, 0
	s_mov_b32 s8, -1
	global_store_b8 v[2:3], v4, off
.LBB135_3092:
	s_mov_b32 s9, 0
.LBB135_3093:
	s_delay_alu instid0(SALU_CYCLE_1)
	s_and_b32 vcc_lo, exec_lo, s9
	s_cbranch_vccz .LBB135_3096
; %bb.3094:
	s_cmp_eq_u32 s2, 29
	s_mov_b32 s0, -1
	s_cbranch_scc0 .LBB135_3096
; %bb.3095:
	s_mov_b32 s0, 0
	s_wait_xcnt 0x0
	v_cndmask_b32_e64 v4, 0, 1, s17
	v_mov_b32_e32 v5, s0
	s_mov_b32 s8, -1
	global_store_b64 v[2:3], v[4:5], off
.LBB135_3096:
	s_mov_b32 s9, 0
.LBB135_3097:
	s_delay_alu instid0(SALU_CYCLE_1)
	s_and_b32 vcc_lo, exec_lo, s9
	s_cbranch_vccz .LBB135_3113
; %bb.3098:
	s_cmp_lt_i32 s2, 27
	s_mov_b32 s8, -1
	s_cbranch_scc1 .LBB135_3104
; %bb.3099:
	s_cmp_gt_i32 s2, 27
	s_cbranch_scc0 .LBB135_3101
; %bb.3100:
	s_wait_xcnt 0x0
	v_cndmask_b32_e64 v1, 0, 1, s17
	s_mov_b32 s8, 0
	global_store_b32 v[2:3], v1, off
.LBB135_3101:
	s_and_not1_b32 vcc_lo, exec_lo, s8
	s_cbranch_vccnz .LBB135_3103
; %bb.3102:
	s_wait_xcnt 0x0
	v_cndmask_b32_e64 v1, 0, 1, s17
	global_store_b16 v[2:3], v1, off
.LBB135_3103:
	s_mov_b32 s8, 0
.LBB135_3104:
	s_delay_alu instid0(SALU_CYCLE_1)
	s_and_not1_b32 vcc_lo, exec_lo, s8
	s_cbranch_vccnz .LBB135_3112
; %bb.3105:
	s_wait_xcnt 0x0
	v_cndmask_b32_e64 v4, 0, 1.0, s17
	v_mov_b32_e32 v5, 0x80
	s_mov_b32 s8, exec_lo
	s_delay_alu instid0(VALU_DEP_2)
	v_cmpx_gt_u32_e32 0x43800000, v4
	s_cbranch_execz .LBB135_3111
; %bb.3106:
	s_mov_b32 s9, 0
	s_mov_b32 s12, exec_lo
                                        ; implicit-def: $vgpr1
	v_cmpx_lt_u32_e32 0x3bffffff, v4
	s_xor_b32 s12, exec_lo, s12
	s_cbranch_execz .LBB135_3287
; %bb.3107:
	v_bfe_u32 v1, v4, 20, 1
	s_mov_b32 s9, exec_lo
	s_delay_alu instid0(VALU_DEP_1) | instskip(NEXT) | instid1(VALU_DEP_1)
	v_add3_u32 v1, v4, v1, 0x487ffff
                                        ; implicit-def: $vgpr4
	v_lshrrev_b32_e32 v1, 20, v1
	s_and_not1_saveexec_b32 s12, s12
	s_cbranch_execnz .LBB135_3288
.LBB135_3108:
	s_or_b32 exec_lo, exec_lo, s12
	v_mov_b32_e32 v5, 0
	s_and_saveexec_b32 s12, s9
.LBB135_3109:
	v_mov_b32_e32 v5, v1
.LBB135_3110:
	s_or_b32 exec_lo, exec_lo, s12
.LBB135_3111:
	s_delay_alu instid0(SALU_CYCLE_1)
	s_or_b32 exec_lo, exec_lo, s8
	global_store_b8 v[2:3], v5, off
.LBB135_3112:
	s_mov_b32 s8, -1
.LBB135_3113:
	s_mov_b32 s9, 0
.LBB135_3114:
	s_delay_alu instid0(SALU_CYCLE_1)
	s_and_b32 vcc_lo, exec_lo, s9
	s_cbranch_vccz .LBB135_3154
; %bb.3115:
	s_cmp_gt_i32 s2, 22
	s_mov_b32 s3, -1
	s_cbranch_scc0 .LBB135_3147
; %bb.3116:
	s_cmp_lt_i32 s2, 24
	s_cbranch_scc1 .LBB135_3136
; %bb.3117:
	s_cmp_gt_i32 s2, 24
	s_cbranch_scc0 .LBB135_3125
; %bb.3118:
	s_wait_xcnt 0x0
	v_cndmask_b32_e64 v4, 0, 1.0, s17
	v_mov_b32_e32 v5, 0x80
	s_mov_b32 s3, exec_lo
	s_delay_alu instid0(VALU_DEP_2)
	v_cmpx_gt_u32_e32 0x47800000, v4
	s_cbranch_execz .LBB135_3124
; %bb.3119:
	s_mov_b32 s8, 0
	s_mov_b32 s9, exec_lo
                                        ; implicit-def: $vgpr1
	v_cmpx_lt_u32_e32 0x37ffffff, v4
	s_xor_b32 s9, exec_lo, s9
	s_cbranch_execz .LBB135_3290
; %bb.3120:
	v_bfe_u32 v1, v4, 21, 1
	s_mov_b32 s8, exec_lo
	s_delay_alu instid0(VALU_DEP_1) | instskip(NEXT) | instid1(VALU_DEP_1)
	v_add3_u32 v1, v4, v1, 0x88fffff
                                        ; implicit-def: $vgpr4
	v_lshrrev_b32_e32 v1, 21, v1
	s_and_not1_saveexec_b32 s9, s9
	s_cbranch_execnz .LBB135_3291
.LBB135_3121:
	s_or_b32 exec_lo, exec_lo, s9
	v_mov_b32_e32 v5, 0
	s_and_saveexec_b32 s9, s8
.LBB135_3122:
	v_mov_b32_e32 v5, v1
.LBB135_3123:
	s_or_b32 exec_lo, exec_lo, s9
.LBB135_3124:
	s_delay_alu instid0(SALU_CYCLE_1)
	s_or_b32 exec_lo, exec_lo, s3
	s_mov_b32 s3, 0
	global_store_b8 v[2:3], v5, off
.LBB135_3125:
	s_and_b32 vcc_lo, exec_lo, s3
	s_cbranch_vccz .LBB135_3135
; %bb.3126:
	s_wait_xcnt 0x0
	v_cndmask_b32_e64 v4, 0, 1.0, s17
	s_mov_b32 s3, exec_lo
                                        ; implicit-def: $vgpr1
	s_delay_alu instid0(VALU_DEP_1)
	v_cmpx_gt_u32_e32 0x43f00000, v4
	s_xor_b32 s3, exec_lo, s3
	s_cbranch_execz .LBB135_3132
; %bb.3127:
	s_mov_b32 s8, exec_lo
                                        ; implicit-def: $vgpr1
	v_cmpx_lt_u32_e32 0x3c7fffff, v4
	s_xor_b32 s8, exec_lo, s8
; %bb.3128:
	v_bfe_u32 v1, v4, 20, 1
	s_delay_alu instid0(VALU_DEP_1) | instskip(NEXT) | instid1(VALU_DEP_1)
	v_add3_u32 v1, v4, v1, 0x407ffff
	v_and_b32_e32 v4, 0xff00000, v1
	v_lshrrev_b32_e32 v1, 20, v1
	s_delay_alu instid0(VALU_DEP_2) | instskip(NEXT) | instid1(VALU_DEP_2)
	v_cmp_ne_u32_e32 vcc_lo, 0x7f00000, v4
                                        ; implicit-def: $vgpr4
	v_cndmask_b32_e32 v1, 0x7e, v1, vcc_lo
; %bb.3129:
	s_and_not1_saveexec_b32 s8, s8
; %bb.3130:
	v_add_f32_e32 v1, 0x46800000, v4
; %bb.3131:
	s_or_b32 exec_lo, exec_lo, s8
                                        ; implicit-def: $vgpr4
.LBB135_3132:
	s_and_not1_saveexec_b32 s3, s3
; %bb.3133:
	v_mov_b32_e32 v1, 0x7f
	v_cmp_lt_u32_e32 vcc_lo, 0x7f800000, v4
	s_delay_alu instid0(VALU_DEP_2)
	v_cndmask_b32_e32 v1, 0x7e, v1, vcc_lo
; %bb.3134:
	s_or_b32 exec_lo, exec_lo, s3
	global_store_b8 v[2:3], v1, off
.LBB135_3135:
	s_mov_b32 s3, 0
.LBB135_3136:
	s_delay_alu instid0(SALU_CYCLE_1)
	s_and_not1_b32 vcc_lo, exec_lo, s3
	s_cbranch_vccnz .LBB135_3146
; %bb.3137:
	s_wait_xcnt 0x0
	v_cndmask_b32_e64 v4, 0, 1.0, s17
	s_mov_b32 s3, exec_lo
                                        ; implicit-def: $vgpr1
	s_delay_alu instid0(VALU_DEP_1)
	v_cmpx_gt_u32_e32 0x47800000, v4
	s_xor_b32 s3, exec_lo, s3
	s_cbranch_execz .LBB135_3143
; %bb.3138:
	s_mov_b32 s8, exec_lo
                                        ; implicit-def: $vgpr1
	v_cmpx_lt_u32_e32 0x387fffff, v4
	s_xor_b32 s8, exec_lo, s8
; %bb.3139:
	v_bfe_u32 v1, v4, 21, 1
	s_delay_alu instid0(VALU_DEP_1) | instskip(NEXT) | instid1(VALU_DEP_1)
	v_add3_u32 v1, v4, v1, 0x80fffff
                                        ; implicit-def: $vgpr4
	v_lshrrev_b32_e32 v1, 21, v1
; %bb.3140:
	s_and_not1_saveexec_b32 s8, s8
; %bb.3141:
	v_add_f32_e32 v1, 0x43000000, v4
; %bb.3142:
	s_or_b32 exec_lo, exec_lo, s8
                                        ; implicit-def: $vgpr4
.LBB135_3143:
	s_and_not1_saveexec_b32 s3, s3
; %bb.3144:
	v_mov_b32_e32 v1, 0x7f
	v_cmp_lt_u32_e32 vcc_lo, 0x7f800000, v4
	s_delay_alu instid0(VALU_DEP_2)
	v_cndmask_b32_e32 v1, 0x7c, v1, vcc_lo
; %bb.3145:
	s_or_b32 exec_lo, exec_lo, s3
	global_store_b8 v[2:3], v1, off
.LBB135_3146:
	s_mov_b32 s3, 0
	s_mov_b32 s8, -1
.LBB135_3147:
	s_and_not1_b32 vcc_lo, exec_lo, s3
	s_mov_b32 s3, 0
	s_cbranch_vccnz .LBB135_3154
; %bb.3148:
	s_cmp_gt_i32 s2, 14
	s_mov_b32 s3, -1
	s_cbranch_scc0 .LBB135_3152
; %bb.3149:
	s_cmp_eq_u32 s2, 15
	s_mov_b32 s0, -1
	s_cbranch_scc0 .LBB135_3151
; %bb.3150:
	s_wait_xcnt 0x0
	v_cndmask_b32_e64 v1, 0, 1.0, s17
	s_mov_b32 s0, 0
	s_mov_b32 s8, -1
	s_delay_alu instid0(VALU_DEP_1) | instskip(NEXT) | instid1(VALU_DEP_1)
	v_bfe_u32 v4, v1, 16, 1
	v_add3_u32 v1, v1, v4, 0x7fff
	global_store_d16_hi_b16 v[2:3], v1, off
.LBB135_3151:
	s_mov_b32 s3, 0
.LBB135_3152:
	s_delay_alu instid0(SALU_CYCLE_1)
	s_and_b32 vcc_lo, exec_lo, s3
	s_mov_b32 s3, 0
	s_cbranch_vccz .LBB135_3154
; %bb.3153:
	s_cmp_lg_u32 s2, 11
	s_mov_b32 s3, -1
	s_cselect_b32 s0, -1, 0
.LBB135_3154:
	s_delay_alu instid0(SALU_CYCLE_1)
	s_and_b32 vcc_lo, exec_lo, s0
	s_cbranch_vccnz .LBB135_3289
; %bb.3155:
	s_and_not1_b32 vcc_lo, exec_lo, s3
	s_cbranch_vccnz .LBB135_3157
.LBB135_3156:
	s_wait_xcnt 0x0
	v_cndmask_b32_e64 v1, 0, 1, s17
	s_mov_b32 s8, -1
	global_store_b8 v[2:3], v1, off
.LBB135_3157:
	s_mov_b32 s0, 0
	s_branch .LBB135_3159
.LBB135_3158:
	s_mov_b32 s0, -1
	s_mov_b32 s8, 0
.LBB135_3159:
	s_and_b32 vcc_lo, exec_lo, s0
	s_cbranch_vccz .LBB135_3198
; %bb.3160:
	s_cmp_lt_i32 s2, 5
	s_mov_b32 s0, -1
	s_cbranch_scc1 .LBB135_3181
; %bb.3161:
	s_cmp_lt_i32 s2, 8
	s_cbranch_scc1 .LBB135_3171
; %bb.3162:
	s_cmp_lt_i32 s2, 9
	s_cbranch_scc1 .LBB135_3168
; %bb.3163:
	s_cmp_gt_i32 s2, 9
	s_cbranch_scc0 .LBB135_3165
; %bb.3164:
	s_wait_xcnt 0x0
	v_cndmask_b32_e64 v1, 0, 1, s17
	v_mov_b32_e32 v6, 0
	s_mov_b32 s0, 0
	s_delay_alu instid0(VALU_DEP_2) | instskip(NEXT) | instid1(VALU_DEP_2)
	v_cvt_f64_u32_e32 v[4:5], v1
	v_mov_b32_e32 v7, v6
	global_store_b128 v[2:3], v[4:7], off
.LBB135_3165:
	s_and_not1_b32 vcc_lo, exec_lo, s0
	s_cbranch_vccnz .LBB135_3167
; %bb.3166:
	s_wait_xcnt 0x0
	v_cndmask_b32_e64 v4, 0, 1.0, s17
	v_mov_b32_e32 v5, 0
	global_store_b64 v[2:3], v[4:5], off
.LBB135_3167:
	s_mov_b32 s0, 0
.LBB135_3168:
	s_delay_alu instid0(SALU_CYCLE_1)
	s_and_not1_b32 vcc_lo, exec_lo, s0
	s_cbranch_vccnz .LBB135_3170
; %bb.3169:
	s_wait_xcnt 0x0
	v_cndmask_b32_e64 v1, 0, 1.0, s17
	s_delay_alu instid0(VALU_DEP_1) | instskip(NEXT) | instid1(VALU_DEP_1)
	v_cvt_f16_f32_e32 v1, v1
	v_and_b32_e32 v1, 0xffff, v1
	global_store_b32 v[2:3], v1, off
.LBB135_3170:
	s_mov_b32 s0, 0
.LBB135_3171:
	s_delay_alu instid0(SALU_CYCLE_1)
	s_and_not1_b32 vcc_lo, exec_lo, s0
	s_cbranch_vccnz .LBB135_3180
; %bb.3172:
	s_cmp_lt_i32 s2, 6
	s_mov_b32 s0, -1
	s_cbranch_scc1 .LBB135_3178
; %bb.3173:
	s_cmp_gt_i32 s2, 6
	s_cbranch_scc0 .LBB135_3175
; %bb.3174:
	s_wait_xcnt 0x0
	v_cndmask_b32_e64 v1, 0, 1, s17
	s_mov_b32 s0, 0
	s_delay_alu instid0(VALU_DEP_1)
	v_cvt_f64_u32_e32 v[4:5], v1
	global_store_b64 v[2:3], v[4:5], off
.LBB135_3175:
	s_and_not1_b32 vcc_lo, exec_lo, s0
	s_cbranch_vccnz .LBB135_3177
; %bb.3176:
	s_wait_xcnt 0x0
	v_cndmask_b32_e64 v1, 0, 1.0, s17
	global_store_b32 v[2:3], v1, off
.LBB135_3177:
	s_mov_b32 s0, 0
.LBB135_3178:
	s_delay_alu instid0(SALU_CYCLE_1)
	s_and_not1_b32 vcc_lo, exec_lo, s0
	s_cbranch_vccnz .LBB135_3180
; %bb.3179:
	s_wait_xcnt 0x0
	v_cndmask_b32_e64 v1, 0, 1.0, s17
	s_delay_alu instid0(VALU_DEP_1)
	v_cvt_f16_f32_e32 v1, v1
	global_store_b16 v[2:3], v1, off
.LBB135_3180:
	s_mov_b32 s0, 0
.LBB135_3181:
	s_delay_alu instid0(SALU_CYCLE_1)
	s_and_not1_b32 vcc_lo, exec_lo, s0
	s_cbranch_vccnz .LBB135_3197
; %bb.3182:
	s_cmp_lt_i32 s2, 2
	s_mov_b32 s0, -1
	s_cbranch_scc1 .LBB135_3192
; %bb.3183:
	s_cmp_lt_i32 s2, 3
	s_cbranch_scc1 .LBB135_3189
; %bb.3184:
	s_cmp_gt_i32 s2, 3
	s_cbranch_scc0 .LBB135_3186
; %bb.3185:
	s_mov_b32 s0, 0
	s_wait_xcnt 0x0
	v_cndmask_b32_e64 v4, 0, 1, s17
	v_mov_b32_e32 v5, s0
	global_store_b64 v[2:3], v[4:5], off
.LBB135_3186:
	s_and_not1_b32 vcc_lo, exec_lo, s0
	s_cbranch_vccnz .LBB135_3188
; %bb.3187:
	s_wait_xcnt 0x0
	v_cndmask_b32_e64 v1, 0, 1, s17
	global_store_b32 v[2:3], v1, off
.LBB135_3188:
	s_mov_b32 s0, 0
.LBB135_3189:
	s_delay_alu instid0(SALU_CYCLE_1)
	s_and_not1_b32 vcc_lo, exec_lo, s0
	s_cbranch_vccnz .LBB135_3191
; %bb.3190:
	s_wait_xcnt 0x0
	v_cndmask_b32_e64 v1, 0, 1, s17
	global_store_b16 v[2:3], v1, off
.LBB135_3191:
	s_mov_b32 s0, 0
.LBB135_3192:
	s_delay_alu instid0(SALU_CYCLE_1)
	s_and_not1_b32 vcc_lo, exec_lo, s0
	s_cbranch_vccnz .LBB135_3197
; %bb.3193:
	s_cmp_gt_i32 s2, 0
	s_mov_b32 s0, -1
	s_cbranch_scc0 .LBB135_3195
; %bb.3194:
	s_wait_xcnt 0x0
	v_cndmask_b32_e64 v1, 0, 1, s17
	s_mov_b32 s0, 0
	global_store_b8 v[2:3], v1, off
.LBB135_3195:
	s_and_not1_b32 vcc_lo, exec_lo, s0
	s_cbranch_vccnz .LBB135_3197
; %bb.3196:
	s_wait_xcnt 0x0
	v_cndmask_b32_e64 v1, 0, 1, s17
	global_store_b8 v[2:3], v1, off
.LBB135_3197:
	s_mov_b32 s8, -1
.LBB135_3198:
	s_delay_alu instid0(SALU_CYCLE_1)
	s_and_not1_b32 vcc_lo, exec_lo, s8
	s_cbranch_vccnz .LBB135_3275
; %bb.3199:
	s_wait_xcnt 0x0
	v_mov_b32_e32 v1, 0
	s_cmp_lt_i32 s2, 11
	s_delay_alu instid0(VALU_DEP_1)
	v_add_nc_u64_e32 v[2:3], s[4:5], v[0:1]
	s_cbranch_scc1 .LBB135_3276
; %bb.3200:
	s_mov_b32 s4, -1
	s_mov_b32 s3, 0
	s_cmp_gt_i32 s2, 25
	s_mov_b32 s0, 0
	s_cbranch_scc0 .LBB135_3233
; %bb.3201:
	s_cmp_gt_i32 s2, 28
	s_cbranch_scc0 .LBB135_3217
; %bb.3202:
	s_cmp_gt_i32 s2, 43
	;; [unrolled: 3-line block ×3, first 2 shown]
	s_cbranch_scc0 .LBB135_3207
; %bb.3204:
	s_cmp_eq_u32 s2, 46
	s_mov_b32 s0, -1
	s_cbranch_scc0 .LBB135_3206
; %bb.3205:
	v_cndmask_b32_e64 v0, 0, 1.0, s6
	s_mov_b32 s0, 0
	s_delay_alu instid0(VALU_DEP_1) | instskip(NEXT) | instid1(VALU_DEP_1)
	v_bfe_u32 v1, v0, 16, 1
	v_add3_u32 v0, v0, v1, 0x7fff
	s_delay_alu instid0(VALU_DEP_1)
	v_lshrrev_b32_e32 v0, 16, v0
	global_store_b32 v[2:3], v0, off
.LBB135_3206:
	s_mov_b32 s4, 0
.LBB135_3207:
	s_delay_alu instid0(SALU_CYCLE_1)
	s_and_b32 vcc_lo, exec_lo, s4
	s_cbranch_vccz .LBB135_3212
; %bb.3208:
	s_cmp_eq_u32 s2, 44
	s_mov_b32 s0, -1
	s_cbranch_scc0 .LBB135_3212
; %bb.3209:
	v_cndmask_b32_e64 v4, 0, 1.0, s6
	s_mov_b32 s4, exec_lo
	s_wait_xcnt 0x0
	s_delay_alu instid0(VALU_DEP_1) | instskip(NEXT) | instid1(VALU_DEP_1)
	v_dual_mov_b32 v1, 0xff :: v_dual_lshrrev_b32 v0, 23, v4
	v_cmpx_ne_u32_e32 0xff, v0
; %bb.3210:
	v_and_b32_e32 v1, 0x400000, v4
	v_and_or_b32 v4, 0x3fffff, v4, v0
	s_delay_alu instid0(VALU_DEP_2) | instskip(NEXT) | instid1(VALU_DEP_2)
	v_cmp_ne_u32_e32 vcc_lo, 0, v1
	v_cmp_ne_u32_e64 s0, 0, v4
	s_and_b32 s0, vcc_lo, s0
	s_delay_alu instid0(SALU_CYCLE_1) | instskip(NEXT) | instid1(VALU_DEP_1)
	v_cndmask_b32_e64 v1, 0, 1, s0
	v_add_nc_u32_e32 v1, v0, v1
; %bb.3211:
	s_or_b32 exec_lo, exec_lo, s4
	s_mov_b32 s0, 0
	global_store_b8 v[2:3], v1, off
.LBB135_3212:
	s_mov_b32 s4, 0
.LBB135_3213:
	s_delay_alu instid0(SALU_CYCLE_1)
	s_and_b32 vcc_lo, exec_lo, s4
	s_cbranch_vccz .LBB135_3216
; %bb.3214:
	s_cmp_eq_u32 s2, 29
	s_mov_b32 s0, -1
	s_cbranch_scc0 .LBB135_3216
; %bb.3215:
	s_mov_b32 s0, 0
	s_wait_xcnt 0x0
	v_cndmask_b32_e64 v0, 0, 1, s6
	v_mov_b32_e32 v1, s0
	global_store_b64 v[2:3], v[0:1], off
.LBB135_3216:
	s_mov_b32 s4, 0
.LBB135_3217:
	s_delay_alu instid0(SALU_CYCLE_1)
	s_and_b32 vcc_lo, exec_lo, s4
	s_cbranch_vccz .LBB135_3232
; %bb.3218:
	s_cmp_lt_i32 s2, 27
	s_mov_b32 s4, -1
	s_cbranch_scc1 .LBB135_3224
; %bb.3219:
	s_wait_xcnt 0x0
	v_cndmask_b32_e64 v0, 0, 1, s6
	s_cmp_gt_i32 s2, 27
	s_cbranch_scc0 .LBB135_3221
; %bb.3220:
	s_mov_b32 s4, 0
	global_store_b32 v[2:3], v0, off
.LBB135_3221:
	s_and_not1_b32 vcc_lo, exec_lo, s4
	s_cbranch_vccnz .LBB135_3223
; %bb.3222:
	global_store_b16 v[2:3], v0, off
.LBB135_3223:
	s_mov_b32 s4, 0
.LBB135_3224:
	s_delay_alu instid0(SALU_CYCLE_1)
	s_and_not1_b32 vcc_lo, exec_lo, s4
	s_cbranch_vccnz .LBB135_3232
; %bb.3225:
	s_wait_xcnt 0x0
	v_cndmask_b32_e64 v1, 0, 1.0, s6
	v_mov_b32_e32 v4, 0x80
	s_mov_b32 s4, exec_lo
	s_delay_alu instid0(VALU_DEP_2)
	v_cmpx_gt_u32_e32 0x43800000, v1
	s_cbranch_execz .LBB135_3231
; %bb.3226:
	s_mov_b32 s5, 0
	s_mov_b32 s8, exec_lo
                                        ; implicit-def: $vgpr0
	v_cmpx_lt_u32_e32 0x3bffffff, v1
	s_xor_b32 s8, exec_lo, s8
	s_cbranch_execz .LBB135_3292
; %bb.3227:
	v_bfe_u32 v0, v1, 20, 1
	s_mov_b32 s5, exec_lo
	s_delay_alu instid0(VALU_DEP_1) | instskip(NEXT) | instid1(VALU_DEP_1)
	v_add3_u32 v0, v1, v0, 0x487ffff
                                        ; implicit-def: $vgpr1
	v_lshrrev_b32_e32 v0, 20, v0
	s_and_not1_saveexec_b32 s8, s8
	s_cbranch_execnz .LBB135_3293
.LBB135_3228:
	s_or_b32 exec_lo, exec_lo, s8
	v_mov_b32_e32 v4, 0
	s_and_saveexec_b32 s8, s5
.LBB135_3229:
	v_mov_b32_e32 v4, v0
.LBB135_3230:
	s_or_b32 exec_lo, exec_lo, s8
.LBB135_3231:
	s_delay_alu instid0(SALU_CYCLE_1)
	s_or_b32 exec_lo, exec_lo, s4
	global_store_b8 v[2:3], v4, off
.LBB135_3232:
	s_mov_b32 s4, 0
.LBB135_3233:
	s_delay_alu instid0(SALU_CYCLE_1)
	s_and_b32 vcc_lo, exec_lo, s4
	s_cbranch_vccz .LBB135_3273
; %bb.3234:
	s_cmp_gt_i32 s2, 22
	s_mov_b32 s3, -1
	s_cbranch_scc0 .LBB135_3266
; %bb.3235:
	s_cmp_lt_i32 s2, 24
	s_cbranch_scc1 .LBB135_3255
; %bb.3236:
	s_cmp_gt_i32 s2, 24
	s_cbranch_scc0 .LBB135_3244
; %bb.3237:
	s_wait_xcnt 0x0
	v_cndmask_b32_e64 v1, 0, 1.0, s6
	v_mov_b32_e32 v4, 0x80
	s_mov_b32 s3, exec_lo
	s_delay_alu instid0(VALU_DEP_2)
	v_cmpx_gt_u32_e32 0x47800000, v1
	s_cbranch_execz .LBB135_3243
; %bb.3238:
	s_mov_b32 s4, 0
	s_mov_b32 s5, exec_lo
                                        ; implicit-def: $vgpr0
	v_cmpx_lt_u32_e32 0x37ffffff, v1
	s_xor_b32 s5, exec_lo, s5
	s_cbranch_execz .LBB135_3295
; %bb.3239:
	v_bfe_u32 v0, v1, 21, 1
	s_mov_b32 s4, exec_lo
	s_delay_alu instid0(VALU_DEP_1) | instskip(NEXT) | instid1(VALU_DEP_1)
	v_add3_u32 v0, v1, v0, 0x88fffff
                                        ; implicit-def: $vgpr1
	v_lshrrev_b32_e32 v0, 21, v0
	s_and_not1_saveexec_b32 s5, s5
	s_cbranch_execnz .LBB135_3296
.LBB135_3240:
	s_or_b32 exec_lo, exec_lo, s5
	v_mov_b32_e32 v4, 0
	s_and_saveexec_b32 s5, s4
.LBB135_3241:
	v_mov_b32_e32 v4, v0
.LBB135_3242:
	s_or_b32 exec_lo, exec_lo, s5
.LBB135_3243:
	s_delay_alu instid0(SALU_CYCLE_1)
	s_or_b32 exec_lo, exec_lo, s3
	s_mov_b32 s3, 0
	global_store_b8 v[2:3], v4, off
.LBB135_3244:
	s_and_b32 vcc_lo, exec_lo, s3
	s_cbranch_vccz .LBB135_3254
; %bb.3245:
	s_wait_xcnt 0x0
	v_cndmask_b32_e64 v1, 0, 1.0, s6
	s_mov_b32 s3, exec_lo
                                        ; implicit-def: $vgpr0
	s_delay_alu instid0(VALU_DEP_1)
	v_cmpx_gt_u32_e32 0x43f00000, v1
	s_xor_b32 s3, exec_lo, s3
	s_cbranch_execz .LBB135_3251
; %bb.3246:
	s_mov_b32 s4, exec_lo
                                        ; implicit-def: $vgpr0
	v_cmpx_lt_u32_e32 0x3c7fffff, v1
	s_xor_b32 s4, exec_lo, s4
; %bb.3247:
	v_bfe_u32 v0, v1, 20, 1
	s_delay_alu instid0(VALU_DEP_1) | instskip(NEXT) | instid1(VALU_DEP_1)
	v_add3_u32 v0, v1, v0, 0x407ffff
	v_and_b32_e32 v1, 0xff00000, v0
	v_lshrrev_b32_e32 v0, 20, v0
	s_delay_alu instid0(VALU_DEP_2) | instskip(NEXT) | instid1(VALU_DEP_2)
	v_cmp_ne_u32_e32 vcc_lo, 0x7f00000, v1
                                        ; implicit-def: $vgpr1
	v_cndmask_b32_e32 v0, 0x7e, v0, vcc_lo
; %bb.3248:
	s_and_not1_saveexec_b32 s4, s4
; %bb.3249:
	v_add_f32_e32 v0, 0x46800000, v1
; %bb.3250:
	s_or_b32 exec_lo, exec_lo, s4
                                        ; implicit-def: $vgpr1
.LBB135_3251:
	s_and_not1_saveexec_b32 s3, s3
; %bb.3252:
	v_mov_b32_e32 v0, 0x7f
	v_cmp_lt_u32_e32 vcc_lo, 0x7f800000, v1
	s_delay_alu instid0(VALU_DEP_2)
	v_cndmask_b32_e32 v0, 0x7e, v0, vcc_lo
; %bb.3253:
	s_or_b32 exec_lo, exec_lo, s3
	global_store_b8 v[2:3], v0, off
.LBB135_3254:
	s_mov_b32 s3, 0
.LBB135_3255:
	s_delay_alu instid0(SALU_CYCLE_1)
	s_and_not1_b32 vcc_lo, exec_lo, s3
	s_cbranch_vccnz .LBB135_3265
; %bb.3256:
	s_wait_xcnt 0x0
	v_cndmask_b32_e64 v1, 0, 1.0, s6
	s_mov_b32 s3, exec_lo
                                        ; implicit-def: $vgpr0
	s_delay_alu instid0(VALU_DEP_1)
	v_cmpx_gt_u32_e32 0x47800000, v1
	s_xor_b32 s3, exec_lo, s3
	s_cbranch_execz .LBB135_3262
; %bb.3257:
	s_mov_b32 s4, exec_lo
                                        ; implicit-def: $vgpr0
	v_cmpx_lt_u32_e32 0x387fffff, v1
	s_xor_b32 s4, exec_lo, s4
; %bb.3258:
	v_bfe_u32 v0, v1, 21, 1
	s_delay_alu instid0(VALU_DEP_1) | instskip(NEXT) | instid1(VALU_DEP_1)
	v_add3_u32 v0, v1, v0, 0x80fffff
                                        ; implicit-def: $vgpr1
	v_lshrrev_b32_e32 v0, 21, v0
; %bb.3259:
	s_and_not1_saveexec_b32 s4, s4
; %bb.3260:
	v_add_f32_e32 v0, 0x43000000, v1
; %bb.3261:
	s_or_b32 exec_lo, exec_lo, s4
                                        ; implicit-def: $vgpr1
.LBB135_3262:
	s_and_not1_saveexec_b32 s3, s3
; %bb.3263:
	v_mov_b32_e32 v0, 0x7f
	v_cmp_lt_u32_e32 vcc_lo, 0x7f800000, v1
	s_delay_alu instid0(VALU_DEP_2)
	v_cndmask_b32_e32 v0, 0x7c, v0, vcc_lo
; %bb.3264:
	s_or_b32 exec_lo, exec_lo, s3
	global_store_b8 v[2:3], v0, off
.LBB135_3265:
	s_mov_b32 s3, 0
.LBB135_3266:
	s_delay_alu instid0(SALU_CYCLE_1)
	s_and_not1_b32 vcc_lo, exec_lo, s3
	s_mov_b32 s3, 0
	s_cbranch_vccnz .LBB135_3273
; %bb.3267:
	s_cmp_gt_i32 s2, 14
	s_mov_b32 s3, -1
	s_cbranch_scc0 .LBB135_3271
; %bb.3268:
	s_cmp_eq_u32 s2, 15
	s_mov_b32 s0, -1
	s_cbranch_scc0 .LBB135_3270
; %bb.3269:
	s_wait_xcnt 0x0
	v_cndmask_b32_e64 v0, 0, 1.0, s6
	s_mov_b32 s0, 0
	s_delay_alu instid0(VALU_DEP_1) | instskip(NEXT) | instid1(VALU_DEP_1)
	v_bfe_u32 v1, v0, 16, 1
	v_add3_u32 v0, v0, v1, 0x7fff
	global_store_d16_hi_b16 v[2:3], v0, off
.LBB135_3270:
	s_mov_b32 s3, 0
.LBB135_3271:
	s_delay_alu instid0(SALU_CYCLE_1)
	s_and_b32 vcc_lo, exec_lo, s3
	s_mov_b32 s3, 0
	s_cbranch_vccz .LBB135_3273
; %bb.3272:
	s_cmp_lg_u32 s2, 11
	s_mov_b32 s3, -1
	s_cselect_b32 s0, -1, 0
.LBB135_3273:
	s_delay_alu instid0(SALU_CYCLE_1)
	s_and_b32 vcc_lo, exec_lo, s0
	s_cbranch_vccnz .LBB135_3294
.LBB135_3274:
	s_mov_b32 s0, 0
	s_branch .LBB135_2795
.LBB135_3275:
	s_mov_b32 s0, 0
	s_mov_b32 s3, 0
	s_branch .LBB135_2794
.LBB135_3276:
	s_mov_b32 s3, 0
	s_mov_b32 s0, -1
	s_branch .LBB135_2795
.LBB135_3277:
	s_and_not1_saveexec_b32 s13, s13
	s_cbranch_execz .LBB135_2870
.LBB135_3278:
	v_add_f32_e32 v1, 0x46000000, v3
	s_and_not1_b32 s9, s9, exec_lo
	s_delay_alu instid0(VALU_DEP_1) | instskip(NEXT) | instid1(VALU_DEP_1)
	v_and_b32_e32 v1, 0xff, v1
	v_cmp_ne_u32_e32 vcc_lo, 0, v1
	s_and_b32 s15, vcc_lo, exec_lo
	s_delay_alu instid0(SALU_CYCLE_1)
	s_or_b32 s9, s9, s15
	s_or_b32 exec_lo, exec_lo, s13
	v_mov_b32_e32 v5, 0
	s_and_saveexec_b32 s13, s9
	s_cbranch_execnz .LBB135_2871
	s_branch .LBB135_2872
.LBB135_3279:
	s_or_b32 s1, s1, exec_lo
	s_trap 2
	s_cbranch_execz .LBB135_2918
	s_branch .LBB135_2919
.LBB135_3280:
	s_and_not1_saveexec_b32 s9, s9
	s_cbranch_execz .LBB135_2883
.LBB135_3281:
	v_add_f32_e32 v1, 0x42800000, v3
	s_and_not1_b32 s8, s8, exec_lo
	s_delay_alu instid0(VALU_DEP_1) | instskip(NEXT) | instid1(VALU_DEP_1)
	v_and_b32_e32 v1, 0xff, v1
	v_cmp_ne_u32_e32 vcc_lo, 0, v1
	s_and_b32 s13, vcc_lo, exec_lo
	s_delay_alu instid0(SALU_CYCLE_1)
	s_or_b32 s8, s8, s13
	s_or_b32 exec_lo, exec_lo, s9
	v_mov_b32_e32 v5, 0
	s_and_saveexec_b32 s9, s8
	s_cbranch_execnz .LBB135_2884
	s_branch .LBB135_2885
.LBB135_3282:
	s_and_not1_saveexec_b32 s12, s12
	s_cbranch_execz .LBB135_2989
.LBB135_3283:
	v_add_f32_e32 v1, 0x46000000, v3
	s_and_not1_b32 s9, s9, exec_lo
	s_delay_alu instid0(VALU_DEP_1) | instskip(NEXT) | instid1(VALU_DEP_1)
	v_and_b32_e32 v1, 0xff, v1
	v_cmp_ne_u32_e32 vcc_lo, 0, v1
	s_and_b32 s13, vcc_lo, exec_lo
	s_delay_alu instid0(SALU_CYCLE_1)
	s_or_b32 s9, s9, s13
	s_or_b32 exec_lo, exec_lo, s12
	v_mov_b32_e32 v6, 0
	s_and_saveexec_b32 s12, s9
	s_cbranch_execnz .LBB135_2990
	s_branch .LBB135_2991
.LBB135_3284:
	s_or_b32 s1, s1, exec_lo
	s_trap 2
	s_cbranch_execz .LBB135_3037
	s_branch .LBB135_3038
.LBB135_3285:
	s_and_not1_saveexec_b32 s9, s9
	s_cbranch_execz .LBB135_3002
.LBB135_3286:
	v_add_f32_e32 v1, 0x42800000, v3
	s_and_not1_b32 s8, s8, exec_lo
	s_delay_alu instid0(VALU_DEP_1) | instskip(NEXT) | instid1(VALU_DEP_1)
	v_and_b32_e32 v1, 0xff, v1
	v_cmp_ne_u32_e32 vcc_lo, 0, v1
	s_and_b32 s12, vcc_lo, exec_lo
	s_delay_alu instid0(SALU_CYCLE_1)
	s_or_b32 s8, s8, s12
	s_or_b32 exec_lo, exec_lo, s9
	v_mov_b32_e32 v6, 0
	s_and_saveexec_b32 s9, s8
	s_cbranch_execnz .LBB135_3003
	s_branch .LBB135_3004
.LBB135_3287:
	s_and_not1_saveexec_b32 s12, s12
	s_cbranch_execz .LBB135_3108
.LBB135_3288:
	v_add_f32_e32 v1, 0x46000000, v4
	s_and_not1_b32 s9, s9, exec_lo
	s_delay_alu instid0(VALU_DEP_1) | instskip(NEXT) | instid1(VALU_DEP_1)
	v_and_b32_e32 v1, 0xff, v1
	v_cmp_ne_u32_e32 vcc_lo, 0, v1
	s_and_b32 s13, vcc_lo, exec_lo
	s_delay_alu instid0(SALU_CYCLE_1)
	s_or_b32 s9, s9, s13
	s_or_b32 exec_lo, exec_lo, s12
	v_mov_b32_e32 v5, 0
	s_and_saveexec_b32 s12, s9
	s_cbranch_execnz .LBB135_3109
	s_branch .LBB135_3110
.LBB135_3289:
	s_or_b32 s1, s1, exec_lo
	s_trap 2
	s_cbranch_execz .LBB135_3156
	s_branch .LBB135_3157
.LBB135_3290:
	s_and_not1_saveexec_b32 s9, s9
	s_cbranch_execz .LBB135_3121
.LBB135_3291:
	v_add_f32_e32 v1, 0x42800000, v4
	s_and_not1_b32 s8, s8, exec_lo
	s_delay_alu instid0(VALU_DEP_1) | instskip(NEXT) | instid1(VALU_DEP_1)
	v_and_b32_e32 v1, 0xff, v1
	v_cmp_ne_u32_e32 vcc_lo, 0, v1
	s_and_b32 s12, vcc_lo, exec_lo
	s_delay_alu instid0(SALU_CYCLE_1)
	s_or_b32 s8, s8, s12
	s_or_b32 exec_lo, exec_lo, s9
	v_mov_b32_e32 v5, 0
	s_and_saveexec_b32 s9, s8
	s_cbranch_execnz .LBB135_3122
	s_branch .LBB135_3123
.LBB135_3292:
	s_and_not1_saveexec_b32 s8, s8
	s_cbranch_execz .LBB135_3228
.LBB135_3293:
	v_add_f32_e32 v0, 0x46000000, v1
	s_and_not1_b32 s5, s5, exec_lo
	s_delay_alu instid0(VALU_DEP_1) | instskip(NEXT) | instid1(VALU_DEP_1)
	v_and_b32_e32 v0, 0xff, v0
	v_cmp_ne_u32_e32 vcc_lo, 0, v0
	s_and_b32 s9, vcc_lo, exec_lo
	s_delay_alu instid0(SALU_CYCLE_1)
	s_or_b32 s5, s5, s9
	s_or_b32 exec_lo, exec_lo, s8
	v_mov_b32_e32 v4, 0
	s_and_saveexec_b32 s8, s5
	s_cbranch_execnz .LBB135_3229
	s_branch .LBB135_3230
.LBB135_3294:
	s_mov_b32 s3, 0
	s_or_b32 s1, s1, exec_lo
	s_trap 2
	s_branch .LBB135_3274
.LBB135_3295:
	s_and_not1_saveexec_b32 s5, s5
	s_cbranch_execz .LBB135_3240
.LBB135_3296:
	v_add_f32_e32 v0, 0x42800000, v1
	s_and_not1_b32 s4, s4, exec_lo
	s_delay_alu instid0(VALU_DEP_1) | instskip(NEXT) | instid1(VALU_DEP_1)
	v_and_b32_e32 v0, 0xff, v0
	v_cmp_ne_u32_e32 vcc_lo, 0, v0
	s_and_b32 s8, vcc_lo, exec_lo
	s_delay_alu instid0(SALU_CYCLE_1)
	s_or_b32 s4, s4, s8
	s_or_b32 exec_lo, exec_lo, s5
	v_mov_b32_e32 v4, 0
	s_and_saveexec_b32 s5, s4
	s_cbranch_execnz .LBB135_3241
	s_branch .LBB135_3242
	.section	.rodata,"a",@progbits
	.p2align	6, 0x0
	.amdhsa_kernel _ZN2at6native32elementwise_kernel_manual_unrollILi128ELi4EZNS0_15gpu_kernel_implINS0_13BinaryFunctorIN3c107complexIfEES6_bNS0_12_GLOBAL__N_116CompareEqFunctorIS6_EEEEEEvRNS_18TensorIteratorBaseERKT_EUlibE0_EEviT1_
		.amdhsa_group_segment_fixed_size 0
		.amdhsa_private_segment_fixed_size 0
		.amdhsa_kernarg_size 432
		.amdhsa_user_sgpr_count 2
		.amdhsa_user_sgpr_dispatch_ptr 0
		.amdhsa_user_sgpr_queue_ptr 0
		.amdhsa_user_sgpr_kernarg_segment_ptr 1
		.amdhsa_user_sgpr_dispatch_id 0
		.amdhsa_user_sgpr_kernarg_preload_length 0
		.amdhsa_user_sgpr_kernarg_preload_offset 0
		.amdhsa_user_sgpr_private_segment_size 0
		.amdhsa_wavefront_size32 1
		.amdhsa_uses_dynamic_stack 0
		.amdhsa_enable_private_segment 0
		.amdhsa_system_sgpr_workgroup_id_x 1
		.amdhsa_system_sgpr_workgroup_id_y 0
		.amdhsa_system_sgpr_workgroup_id_z 0
		.amdhsa_system_sgpr_workgroup_info 0
		.amdhsa_system_vgpr_workitem_id 0
		.amdhsa_next_free_vgpr 30
		.amdhsa_next_free_sgpr 62
		.amdhsa_named_barrier_count 0
		.amdhsa_reserve_vcc 1
		.amdhsa_float_round_mode_32 0
		.amdhsa_float_round_mode_16_64 0
		.amdhsa_float_denorm_mode_32 3
		.amdhsa_float_denorm_mode_16_64 3
		.amdhsa_fp16_overflow 0
		.amdhsa_memory_ordered 1
		.amdhsa_forward_progress 1
		.amdhsa_inst_pref_size 255
		.amdhsa_round_robin_scheduling 0
		.amdhsa_exception_fp_ieee_invalid_op 0
		.amdhsa_exception_fp_denorm_src 0
		.amdhsa_exception_fp_ieee_div_zero 0
		.amdhsa_exception_fp_ieee_overflow 0
		.amdhsa_exception_fp_ieee_underflow 0
		.amdhsa_exception_fp_ieee_inexact 0
		.amdhsa_exception_int_div_zero 0
	.end_amdhsa_kernel
	.section	.text._ZN2at6native32elementwise_kernel_manual_unrollILi128ELi4EZNS0_15gpu_kernel_implINS0_13BinaryFunctorIN3c107complexIfEES6_bNS0_12_GLOBAL__N_116CompareEqFunctorIS6_EEEEEEvRNS_18TensorIteratorBaseERKT_EUlibE0_EEviT1_,"axG",@progbits,_ZN2at6native32elementwise_kernel_manual_unrollILi128ELi4EZNS0_15gpu_kernel_implINS0_13BinaryFunctorIN3c107complexIfEES6_bNS0_12_GLOBAL__N_116CompareEqFunctorIS6_EEEEEEvRNS_18TensorIteratorBaseERKT_EUlibE0_EEviT1_,comdat
.Lfunc_end135:
	.size	_ZN2at6native32elementwise_kernel_manual_unrollILi128ELi4EZNS0_15gpu_kernel_implINS0_13BinaryFunctorIN3c107complexIfEES6_bNS0_12_GLOBAL__N_116CompareEqFunctorIS6_EEEEEEvRNS_18TensorIteratorBaseERKT_EUlibE0_EEviT1_, .Lfunc_end135-_ZN2at6native32elementwise_kernel_manual_unrollILi128ELi4EZNS0_15gpu_kernel_implINS0_13BinaryFunctorIN3c107complexIfEES6_bNS0_12_GLOBAL__N_116CompareEqFunctorIS6_EEEEEEvRNS_18TensorIteratorBaseERKT_EUlibE0_EEviT1_
                                        ; -- End function
	.set _ZN2at6native32elementwise_kernel_manual_unrollILi128ELi4EZNS0_15gpu_kernel_implINS0_13BinaryFunctorIN3c107complexIfEES6_bNS0_12_GLOBAL__N_116CompareEqFunctorIS6_EEEEEEvRNS_18TensorIteratorBaseERKT_EUlibE0_EEviT1_.num_vgpr, 30
	.set _ZN2at6native32elementwise_kernel_manual_unrollILi128ELi4EZNS0_15gpu_kernel_implINS0_13BinaryFunctorIN3c107complexIfEES6_bNS0_12_GLOBAL__N_116CompareEqFunctorIS6_EEEEEEvRNS_18TensorIteratorBaseERKT_EUlibE0_EEviT1_.num_agpr, 0
	.set _ZN2at6native32elementwise_kernel_manual_unrollILi128ELi4EZNS0_15gpu_kernel_implINS0_13BinaryFunctorIN3c107complexIfEES6_bNS0_12_GLOBAL__N_116CompareEqFunctorIS6_EEEEEEvRNS_18TensorIteratorBaseERKT_EUlibE0_EEviT1_.numbered_sgpr, 62
	.set _ZN2at6native32elementwise_kernel_manual_unrollILi128ELi4EZNS0_15gpu_kernel_implINS0_13BinaryFunctorIN3c107complexIfEES6_bNS0_12_GLOBAL__N_116CompareEqFunctorIS6_EEEEEEvRNS_18TensorIteratorBaseERKT_EUlibE0_EEviT1_.num_named_barrier, 0
	.set _ZN2at6native32elementwise_kernel_manual_unrollILi128ELi4EZNS0_15gpu_kernel_implINS0_13BinaryFunctorIN3c107complexIfEES6_bNS0_12_GLOBAL__N_116CompareEqFunctorIS6_EEEEEEvRNS_18TensorIteratorBaseERKT_EUlibE0_EEviT1_.private_seg_size, 0
	.set _ZN2at6native32elementwise_kernel_manual_unrollILi128ELi4EZNS0_15gpu_kernel_implINS0_13BinaryFunctorIN3c107complexIfEES6_bNS0_12_GLOBAL__N_116CompareEqFunctorIS6_EEEEEEvRNS_18TensorIteratorBaseERKT_EUlibE0_EEviT1_.uses_vcc, 1
	.set _ZN2at6native32elementwise_kernel_manual_unrollILi128ELi4EZNS0_15gpu_kernel_implINS0_13BinaryFunctorIN3c107complexIfEES6_bNS0_12_GLOBAL__N_116CompareEqFunctorIS6_EEEEEEvRNS_18TensorIteratorBaseERKT_EUlibE0_EEviT1_.uses_flat_scratch, 0
	.set _ZN2at6native32elementwise_kernel_manual_unrollILi128ELi4EZNS0_15gpu_kernel_implINS0_13BinaryFunctorIN3c107complexIfEES6_bNS0_12_GLOBAL__N_116CompareEqFunctorIS6_EEEEEEvRNS_18TensorIteratorBaseERKT_EUlibE0_EEviT1_.has_dyn_sized_stack, 0
	.set _ZN2at6native32elementwise_kernel_manual_unrollILi128ELi4EZNS0_15gpu_kernel_implINS0_13BinaryFunctorIN3c107complexIfEES6_bNS0_12_GLOBAL__N_116CompareEqFunctorIS6_EEEEEEvRNS_18TensorIteratorBaseERKT_EUlibE0_EEviT1_.has_recursion, 0
	.set _ZN2at6native32elementwise_kernel_manual_unrollILi128ELi4EZNS0_15gpu_kernel_implINS0_13BinaryFunctorIN3c107complexIfEES6_bNS0_12_GLOBAL__N_116CompareEqFunctorIS6_EEEEEEvRNS_18TensorIteratorBaseERKT_EUlibE0_EEviT1_.has_indirect_call, 0
	.section	.AMDGPU.csdata,"",@progbits
; Kernel info:
; codeLenInByte = 60600
; TotalNumSgprs: 64
; NumVgprs: 30
; ScratchSize: 0
; MemoryBound: 1
; FloatMode: 240
; IeeeMode: 1
; LDSByteSize: 0 bytes/workgroup (compile time only)
; SGPRBlocks: 0
; VGPRBlocks: 1
; NumSGPRsForWavesPerEU: 64
; NumVGPRsForWavesPerEU: 30
; NamedBarCnt: 0
; Occupancy: 16
; WaveLimiterHint : 1
; COMPUTE_PGM_RSRC2:SCRATCH_EN: 0
; COMPUTE_PGM_RSRC2:USER_SGPR: 2
; COMPUTE_PGM_RSRC2:TRAP_HANDLER: 0
; COMPUTE_PGM_RSRC2:TGID_X_EN: 1
; COMPUTE_PGM_RSRC2:TGID_Y_EN: 0
; COMPUTE_PGM_RSRC2:TGID_Z_EN: 0
; COMPUTE_PGM_RSRC2:TIDIG_COMP_CNT: 0
	.section	.text._ZN2at6native29vectorized_elementwise_kernelILi16ENS0_13AUnaryFunctorIN3c107complexIfEES5_bNS0_12_GLOBAL__N_116CompareEqFunctorIS5_EEEESt5arrayIPcLm2EEEEviT0_T1_,"axG",@progbits,_ZN2at6native29vectorized_elementwise_kernelILi16ENS0_13AUnaryFunctorIN3c107complexIfEES5_bNS0_12_GLOBAL__N_116CompareEqFunctorIS5_EEEESt5arrayIPcLm2EEEEviT0_T1_,comdat
	.globl	_ZN2at6native29vectorized_elementwise_kernelILi16ENS0_13AUnaryFunctorIN3c107complexIfEES5_bNS0_12_GLOBAL__N_116CompareEqFunctorIS5_EEEESt5arrayIPcLm2EEEEviT0_T1_ ; -- Begin function _ZN2at6native29vectorized_elementwise_kernelILi16ENS0_13AUnaryFunctorIN3c107complexIfEES5_bNS0_12_GLOBAL__N_116CompareEqFunctorIS5_EEEESt5arrayIPcLm2EEEEviT0_T1_
	.p2align	8
	.type	_ZN2at6native29vectorized_elementwise_kernelILi16ENS0_13AUnaryFunctorIN3c107complexIfEES5_bNS0_12_GLOBAL__N_116CompareEqFunctorIS5_EEEESt5arrayIPcLm2EEEEviT0_T1_,@function
_ZN2at6native29vectorized_elementwise_kernelILi16ENS0_13AUnaryFunctorIN3c107complexIfEES5_bNS0_12_GLOBAL__N_116CompareEqFunctorIS5_EEEESt5arrayIPcLm2EEEEviT0_T1_: ; @_ZN2at6native29vectorized_elementwise_kernelILi16ENS0_13AUnaryFunctorIN3c107complexIfEES5_bNS0_12_GLOBAL__N_116CompareEqFunctorIS5_EEEESt5arrayIPcLm2EEEEviT0_T1_
; %bb.0:
	s_clause 0x3
	s_load_b32 s3, s[0:1], 0x0
	s_load_b32 s11, s[0:1], 0x8
	s_load_b64 s[8:9], s[0:1], 0x10
	s_load_b128 s[4:7], s[0:1], 0x18
	s_wait_xcnt 0x0
	s_bfe_u32 s0, ttmp6, 0x4000c
	s_and_b32 s1, ttmp6, 15
	s_add_co_i32 s0, s0, 1
	s_getreg_b32 s2, hwreg(HW_REG_IB_STS2, 6, 4)
	s_mul_i32 s0, ttmp9, s0
	s_delay_alu instid0(SALU_CYCLE_1) | instskip(SKIP_2) | instid1(SALU_CYCLE_1)
	s_add_co_i32 s1, s1, s0
	s_cmp_eq_u32 s2, 0
	s_cselect_b32 s0, ttmp9, s1
	s_lshl_b32 s2, s0, 12
	s_mov_b32 s0, -1
	s_wait_kmcnt 0x0
	s_sub_co_i32 s10, s3, s2
	s_delay_alu instid0(SALU_CYCLE_1)
	s_cmp_gt_i32 s10, 0xfff
	s_cbranch_scc0 .LBB136_50
; %bb.1:
	s_ashr_i32 s3, s2, 31
	v_lshlrev_b32_e32 v1, 7, v0
	s_lshl_b64 s[0:1], s[2:3], 3
	s_cmp_lg_u32 s11, 0
	s_add_nc_u64 s[0:1], s[6:7], s[0:1]
	s_cselect_b32 s12, -1, 0
	s_clause 0x7
	global_load_b128 v[18:21], v1, s[0:1] offset:48
	global_load_b128 v[22:25], v1, s[0:1] offset:32
	;; [unrolled: 1-line block ×3, first 2 shown]
	global_load_b128 v[30:33], v1, s[0:1]
	global_load_b128 v[2:5], v1, s[0:1] offset:112
	global_load_b128 v[6:9], v1, s[0:1] offset:96
	;; [unrolled: 1-line block ×4, first 2 shown]
	s_and_b32 vcc_lo, exec_lo, s12
	s_cbranch_vccz .LBB136_196
; %bb.2:
	s_wait_loadcnt 0x4
	v_cmp_neq_f32_e32 vcc_lo, s8, v30
	s_wait_xcnt 0x0
	v_cmp_neq_f32_e64 s0, s9, v31
	s_or_b32 s1, vcc_lo, s0
	s_cbranch_execnz .LBB136_4
.LBB136_3:
	s_wait_loadcnt 0x4
	v_cmp_eq_f32_e32 vcc_lo, s8, v30
	v_cmp_eq_f32_e64 s0, s9, v31
	s_and_not1_b32 s1, s1, exec_lo
	s_and_b32 s0, vcc_lo, s0
	s_delay_alu instid0(SALU_CYCLE_1) | instskip(NEXT) | instid1(SALU_CYCLE_1)
	s_and_b32 s0, s0, exec_lo
	s_or_b32 s1, s1, s0
.LBB136_4:
	v_cndmask_b32_e64 v1, 0, 1, s12
	s_and_not1_b32 vcc_lo, exec_lo, s12
	s_cbranch_vccnz .LBB136_197
; %bb.5:
	s_wait_loadcnt 0x4
	v_cmp_neq_f32_e32 vcc_lo, s8, v32
	v_cmp_neq_f32_e64 s0, s9, v33
	s_or_b32 s12, vcc_lo, s0
	s_cbranch_execnz .LBB136_7
.LBB136_6:
	s_wait_loadcnt 0x4
	v_cmp_eq_f32_e32 vcc_lo, s8, v32
	v_cmp_eq_f32_e64 s0, s9, v33
	s_and_not1_b32 s12, s12, exec_lo
	s_and_b32 s0, vcc_lo, s0
	s_delay_alu instid0(SALU_CYCLE_1) | instskip(NEXT) | instid1(SALU_CYCLE_1)
	s_and_b32 s0, s0, exec_lo
	s_or_b32 s12, s12, s0
.LBB136_7:
	v_cmp_ne_u32_e32 vcc_lo, 1, v1
	s_cbranch_vccnz .LBB136_198
; %bb.8:
	s_wait_loadcnt 0x5
	v_cmp_neq_f32_e32 vcc_lo, s8, v26
	v_cmp_neq_f32_e64 s0, s9, v27
	s_or_b32 s13, vcc_lo, s0
	s_cbranch_execnz .LBB136_10
.LBB136_9:
	s_wait_loadcnt 0x5
	v_cmp_eq_f32_e32 vcc_lo, s8, v26
	v_cmp_eq_f32_e64 s0, s9, v27
	s_and_not1_b32 s13, s13, exec_lo
	s_and_b32 s0, vcc_lo, s0
	s_delay_alu instid0(SALU_CYCLE_1) | instskip(NEXT) | instid1(SALU_CYCLE_1)
	s_and_b32 s0, s0, exec_lo
	s_or_b32 s13, s13, s0
.LBB136_10:
	v_cmp_ne_u32_e32 vcc_lo, 1, v1
	s_cbranch_vccnz .LBB136_199
; %bb.11:
	s_wait_loadcnt 0x5
	v_cmp_neq_f32_e32 vcc_lo, s8, v28
	v_cmp_neq_f32_e64 s0, s9, v29
	s_or_b32 s14, vcc_lo, s0
	s_cbranch_execnz .LBB136_13
.LBB136_12:
	s_wait_loadcnt 0x5
	v_cmp_eq_f32_e32 vcc_lo, s8, v28
	v_cmp_eq_f32_e64 s0, s9, v29
	s_and_not1_b32 s14, s14, exec_lo
	s_and_b32 s0, vcc_lo, s0
	s_delay_alu instid0(SALU_CYCLE_1) | instskip(NEXT) | instid1(SALU_CYCLE_1)
	s_and_b32 s0, s0, exec_lo
	s_or_b32 s14, s14, s0
.LBB136_13:
	v_cmp_ne_u32_e32 vcc_lo, 1, v1
	s_cbranch_vccnz .LBB136_200
; %bb.14:
	s_wait_loadcnt 0x6
	v_cmp_neq_f32_e32 vcc_lo, s8, v22
	v_cmp_neq_f32_e64 s0, s9, v23
	s_or_b32 s15, vcc_lo, s0
	s_cbranch_execnz .LBB136_16
.LBB136_15:
	s_wait_loadcnt 0x6
	v_cmp_eq_f32_e32 vcc_lo, s8, v22
	v_cmp_eq_f32_e64 s0, s9, v23
	s_and_not1_b32 s15, s15, exec_lo
	s_and_b32 s0, vcc_lo, s0
	s_delay_alu instid0(SALU_CYCLE_1) | instskip(NEXT) | instid1(SALU_CYCLE_1)
	s_and_b32 s0, s0, exec_lo
	s_or_b32 s15, s15, s0
.LBB136_16:
	v_cmp_ne_u32_e32 vcc_lo, 1, v1
	s_cbranch_vccnz .LBB136_201
; %bb.17:
	s_wait_loadcnt 0x6
	v_cmp_neq_f32_e32 vcc_lo, s8, v24
	v_cmp_neq_f32_e64 s0, s9, v25
	s_or_b32 s16, vcc_lo, s0
	s_cbranch_execnz .LBB136_19
.LBB136_18:
	s_wait_loadcnt 0x6
	v_cmp_eq_f32_e32 vcc_lo, s8, v24
	v_cmp_eq_f32_e64 s0, s9, v25
	s_and_not1_b32 s16, s16, exec_lo
	s_and_b32 s0, vcc_lo, s0
	s_delay_alu instid0(SALU_CYCLE_1) | instskip(NEXT) | instid1(SALU_CYCLE_1)
	s_and_b32 s0, s0, exec_lo
	s_or_b32 s16, s16, s0
.LBB136_19:
	v_cmp_ne_u32_e32 vcc_lo, 1, v1
	s_cbranch_vccnz .LBB136_202
; %bb.20:
	s_wait_loadcnt 0x7
	v_cmp_neq_f32_e32 vcc_lo, s8, v18
	v_cmp_neq_f32_e64 s0, s9, v19
	s_or_b32 s17, vcc_lo, s0
	s_cbranch_execnz .LBB136_22
.LBB136_21:
	s_wait_loadcnt 0x7
	v_cmp_eq_f32_e32 vcc_lo, s8, v18
	v_cmp_eq_f32_e64 s0, s9, v19
	s_and_not1_b32 s17, s17, exec_lo
	s_and_b32 s0, vcc_lo, s0
	s_delay_alu instid0(SALU_CYCLE_1) | instskip(NEXT) | instid1(SALU_CYCLE_1)
	s_and_b32 s0, s0, exec_lo
	s_or_b32 s17, s17, s0
.LBB136_22:
	v_cmp_ne_u32_e32 vcc_lo, 1, v1
	s_cbranch_vccnz .LBB136_203
; %bb.23:
	s_wait_loadcnt 0x7
	v_cmp_neq_f32_e32 vcc_lo, s8, v20
	v_cmp_neq_f32_e64 s0, s9, v21
	s_or_b32 s19, vcc_lo, s0
	s_cbranch_execnz .LBB136_25
.LBB136_24:
	s_wait_loadcnt 0x7
	v_cmp_eq_f32_e32 vcc_lo, s8, v20
	v_cmp_eq_f32_e64 s0, s9, v21
	s_and_not1_b32 s18, s19, exec_lo
	s_and_b32 s0, vcc_lo, s0
	s_delay_alu instid0(SALU_CYCLE_1) | instskip(NEXT) | instid1(SALU_CYCLE_1)
	s_and_b32 s0, s0, exec_lo
	s_or_b32 s19, s18, s0
.LBB136_25:
	v_cmp_ne_u32_e32 vcc_lo, 1, v1
	s_cbranch_vccnz .LBB136_204
; %bb.26:
	s_wait_loadcnt 0x0
	v_cmp_neq_f32_e32 vcc_lo, s8, v14
	v_cmp_neq_f32_e64 s0, s9, v15
	s_or_b32 s18, vcc_lo, s0
	s_cbranch_execnz .LBB136_28
.LBB136_27:
	s_wait_loadcnt 0x0
	v_cmp_eq_f32_e32 vcc_lo, s8, v14
	v_cmp_eq_f32_e64 s0, s9, v15
	s_and_not1_b32 s18, s18, exec_lo
	s_and_b32 s0, vcc_lo, s0
	s_delay_alu instid0(SALU_CYCLE_1) | instskip(NEXT) | instid1(SALU_CYCLE_1)
	s_and_b32 s0, s0, exec_lo
	s_or_b32 s18, s18, s0
.LBB136_28:
	v_cmp_ne_u32_e32 vcc_lo, 1, v1
	s_cbranch_vccnz .LBB136_205
; %bb.29:
	s_wait_loadcnt 0x0
	v_cmp_neq_f32_e32 vcc_lo, s8, v16
	v_cmp_neq_f32_e64 s0, s9, v17
	s_or_b32 s20, vcc_lo, s0
	s_cbranch_execnz .LBB136_31
.LBB136_30:
	s_wait_loadcnt 0x0
	v_cmp_eq_f32_e32 vcc_lo, s8, v16
	v_cmp_eq_f32_e64 s0, s9, v17
	s_and_not1_b32 s20, s20, exec_lo
	s_and_b32 s0, vcc_lo, s0
	s_delay_alu instid0(SALU_CYCLE_1) | instskip(NEXT) | instid1(SALU_CYCLE_1)
	s_and_b32 s0, s0, exec_lo
	s_or_b32 s20, s20, s0
.LBB136_31:
	v_cmp_ne_u32_e32 vcc_lo, 1, v1
	s_cbranch_vccnz .LBB136_206
; %bb.32:
	s_wait_loadcnt 0x1
	v_cmp_neq_f32_e32 vcc_lo, s8, v10
	v_cmp_neq_f32_e64 s0, s9, v11
	s_or_b32 s21, vcc_lo, s0
	s_cbranch_execnz .LBB136_34
.LBB136_33:
	s_wait_loadcnt 0x1
	v_cmp_eq_f32_e32 vcc_lo, s8, v10
	v_cmp_eq_f32_e64 s0, s9, v11
	s_and_not1_b32 s21, s21, exec_lo
	s_and_b32 s0, vcc_lo, s0
	s_delay_alu instid0(SALU_CYCLE_1) | instskip(NEXT) | instid1(SALU_CYCLE_1)
	s_and_b32 s0, s0, exec_lo
	s_or_b32 s21, s21, s0
.LBB136_34:
	v_cmp_ne_u32_e32 vcc_lo, 1, v1
	s_cbranch_vccnz .LBB136_207
; %bb.35:
	s_wait_loadcnt 0x1
	v_cmp_neq_f32_e32 vcc_lo, s8, v12
	v_cmp_neq_f32_e64 s0, s9, v13
	s_or_b32 s22, vcc_lo, s0
	s_cbranch_execnz .LBB136_37
.LBB136_36:
	s_wait_loadcnt 0x1
	v_cmp_eq_f32_e32 vcc_lo, s8, v12
	v_cmp_eq_f32_e64 s0, s9, v13
	s_and_not1_b32 s22, s22, exec_lo
	s_and_b32 s0, vcc_lo, s0
	s_delay_alu instid0(SALU_CYCLE_1) | instskip(NEXT) | instid1(SALU_CYCLE_1)
	s_and_b32 s0, s0, exec_lo
	s_or_b32 s22, s22, s0
.LBB136_37:
	v_cmp_ne_u32_e32 vcc_lo, 1, v1
	s_cbranch_vccnz .LBB136_208
; %bb.38:
	s_wait_loadcnt 0x2
	v_cmp_neq_f32_e32 vcc_lo, s8, v6
	v_cmp_neq_f32_e64 s0, s9, v7
	s_or_b32 s23, vcc_lo, s0
	s_cbranch_execnz .LBB136_40
.LBB136_39:
	s_wait_loadcnt 0x2
	v_cmp_eq_f32_e32 vcc_lo, s8, v6
	v_cmp_eq_f32_e64 s0, s9, v7
	s_and_not1_b32 s23, s23, exec_lo
	s_and_b32 s0, vcc_lo, s0
	s_delay_alu instid0(SALU_CYCLE_1) | instskip(NEXT) | instid1(SALU_CYCLE_1)
	s_and_b32 s0, s0, exec_lo
	s_or_b32 s23, s23, s0
.LBB136_40:
	v_cmp_ne_u32_e32 vcc_lo, 1, v1
	s_cbranch_vccnz .LBB136_209
; %bb.41:
	s_wait_loadcnt 0x2
	v_cmp_neq_f32_e32 vcc_lo, s8, v8
	v_cmp_neq_f32_e64 s0, s9, v9
	s_or_b32 s24, vcc_lo, s0
	s_cbranch_execnz .LBB136_43
.LBB136_42:
	s_wait_loadcnt 0x2
	v_cmp_eq_f32_e32 vcc_lo, s8, v8
	v_cmp_eq_f32_e64 s0, s9, v9
	s_and_not1_b32 s24, s24, exec_lo
	s_and_b32 s0, vcc_lo, s0
	s_delay_alu instid0(SALU_CYCLE_1) | instskip(NEXT) | instid1(SALU_CYCLE_1)
	s_and_b32 s0, s0, exec_lo
	s_or_b32 s24, s24, s0
.LBB136_43:
	v_cmp_ne_u32_e32 vcc_lo, 1, v1
	s_cbranch_vccnz .LBB136_210
; %bb.44:
	s_wait_loadcnt 0x3
	v_cmp_neq_f32_e32 vcc_lo, s8, v2
	v_cmp_neq_f32_e64 s0, s9, v3
	s_or_b32 s25, vcc_lo, s0
	s_cbranch_execnz .LBB136_46
.LBB136_45:
	s_wait_loadcnt 0x3
	v_cmp_eq_f32_e32 vcc_lo, s8, v2
	v_cmp_eq_f32_e64 s0, s9, v3
	s_and_not1_b32 s25, s25, exec_lo
	s_and_b32 s0, vcc_lo, s0
	s_delay_alu instid0(SALU_CYCLE_1) | instskip(NEXT) | instid1(SALU_CYCLE_1)
	s_and_b32 s0, s0, exec_lo
	s_or_b32 s25, s25, s0
.LBB136_46:
	v_cmp_ne_u32_e32 vcc_lo, 1, v1
	s_cbranch_vccnz .LBB136_211
; %bb.47:
	s_wait_loadcnt 0x3
	v_cmp_neq_f32_e32 vcc_lo, s8, v4
	v_cmp_neq_f32_e64 s0, s9, v5
	s_or_b32 s26, vcc_lo, s0
	s_cbranch_execnz .LBB136_49
.LBB136_48:
	s_wait_loadcnt 0x3
	v_cmp_eq_f32_e32 vcc_lo, s8, v4
	v_cmp_eq_f32_e64 s0, s9, v5
	s_and_not1_b32 s26, s26, exec_lo
	s_and_b32 s0, vcc_lo, s0
	s_delay_alu instid0(SALU_CYCLE_1) | instskip(NEXT) | instid1(SALU_CYCLE_1)
	s_and_b32 s0, s0, exec_lo
	s_or_b32 s26, s26, s0
.LBB136_49:
	v_cndmask_b32_e64 v1, 0, 1, s16
	s_wait_loadcnt 0x3
	v_cndmask_b32_e64 v2, 0, 1, s19
	v_cndmask_b32_e64 v4, 0, 1, s12
	;; [unrolled: 1-line block ×4, first 2 shown]
	v_lshlrev_b16 v1, 8, v1
	v_lshlrev_b16 v2, 8, v2
	s_wait_loadcnt 0x2
	v_cndmask_b32_e64 v6, 0, 1, s1
	v_lshlrev_b16 v4, 8, v4
	v_cndmask_b32_e64 v7, 0, 1, s26
	v_cndmask_b32_e64 v8, 0, 1, s20
	v_or_b32_e32 v2, v5, v2
	v_or_b32_e32 v1, v3, v1
	;; [unrolled: 1-line block ×3, first 2 shown]
	v_cndmask_b32_e64 v4, 0, 1, s14
	v_cndmask_b32_e64 v5, 0, 1, s24
	s_wait_loadcnt 0x1
	v_cndmask_b32_e64 v10, 0, 1, s22
	v_cndmask_b32_e64 v9, 0, 1, s23
	v_and_b32_e32 v6, 0xffff, v3
	v_lshlrev_b16 v3, 8, v4
	v_cndmask_b32_e64 v4, 0, 1, s13
	v_lshlrev_b16 v5, 8, v5
	v_lshlrev_b16 v7, 8, v7
	v_cndmask_b32_e64 v11, 0, 1, s25
	v_lshlrev_b16 v8, 8, v8
	v_cndmask_b32_e64 v12, 0, 1, s18
	;; [unrolled: 2-line block ×3, first 2 shown]
	v_or_b32_e32 v3, v4, v3
	v_or_b32_e32 v4, v9, v5
	;; [unrolled: 1-line block ×5, first 2 shown]
	s_add_nc_u64 s[12:13], s[4:5], s[2:3]
	v_and_b32_e32 v4, 0xffff, v4
	v_lshlrev_b32_e32 v5, 16, v5
	v_and_b32_e32 v7, 0xffff, v7
	v_dual_lshlrev_b32 v8, 16, v8 :: v_dual_lshlrev_b32 v9, 16, v3
	v_lshlrev_b32_e32 v2, 16, v2
	v_and_b32_e32 v1, 0xffff, v1
	v_or_b32_e32 v5, v4, v5
	s_delay_alu instid0(VALU_DEP_4) | instskip(SKIP_1) | instid1(VALU_DEP_3)
	v_or_b32_e32 v4, v7, v8
	s_mov_b32 s0, 0
	v_or_b32_e32 v3, v1, v2
	v_or_b32_e32 v2, v6, v9
	global_store_b128 v0, v[2:5], s[12:13] scale_offset
.LBB136_50:
	s_and_b32 vcc_lo, exec_lo, s0
	s_cbranch_vccz .LBB136_195
; %bb.51:
	v_cmp_gt_i32_e64 s0, s10, v0
	v_dual_mov_b32 v28, 0 :: v_dual_bitop2_b32 v1, s2, v0 bitop3:0x54
	v_or_b32_e32 v34, 0x100, v0
	v_dual_mov_b32 v35, v0 :: v_dual_mov_b32 v32, 0
	v_mov_b32_e32 v33, 0
	s_wait_xcnt 0x0
	s_and_saveexec_b32 s1, s0
	s_cbranch_execz .LBB136_53
; %bb.52:
	global_load_b64 v[32:33], v1, s[6:7] scale_offset
	v_or_b32_e32 v35, 0x100, v0
.LBB136_53:
	s_wait_xcnt 0x0
	s_or_b32 exec_lo, exec_lo, s1
	v_mov_b32_e32 v29, 0
	s_mov_b32 s1, exec_lo
	v_cmpx_gt_i32_e64 s10, v35
	s_cbranch_execz .LBB136_55
; %bb.54:
	v_add_nc_u32_e32 v2, s2, v35
	v_add_nc_u32_e32 v35, 0x100, v35
	global_load_b64 v[28:29], v2, s[6:7] scale_offset
.LBB136_55:
	s_wait_xcnt 0x0
	s_or_b32 exec_lo, exec_lo, s1
	v_dual_mov_b32 v26, 0 :: v_dual_mov_b32 v30, 0
	v_mov_b32_e32 v31, 0
	s_mov_b32 s1, exec_lo
	v_cmpx_gt_i32_e64 s10, v35
	s_cbranch_execz .LBB136_57
; %bb.56:
	v_add_nc_u32_e32 v2, s2, v35
	v_add_nc_u32_e32 v35, 0x100, v35
	global_load_b64 v[30:31], v2, s[6:7] scale_offset
.LBB136_57:
	s_wait_xcnt 0x0
	s_or_b32 exec_lo, exec_lo, s1
	v_mov_b32_e32 v27, 0
	s_mov_b32 s1, exec_lo
	v_cmpx_gt_i32_e64 s10, v35
	s_cbranch_execz .LBB136_59
; %bb.58:
	v_add_nc_u32_e32 v2, s2, v35
	v_add_nc_u32_e32 v35, 0x100, v35
	global_load_b64 v[26:27], v2, s[6:7] scale_offset
.LBB136_59:
	s_wait_xcnt 0x0
	s_or_b32 exec_lo, exec_lo, s1
	v_dual_mov_b32 v22, 0 :: v_dual_mov_b32 v24, 0
	v_mov_b32_e32 v25, 0
	s_mov_b32 s1, exec_lo
	v_cmpx_gt_i32_e64 s10, v35
	s_cbranch_execz .LBB136_61
; %bb.60:
	v_add_nc_u32_e32 v2, s2, v35
	v_add_nc_u32_e32 v35, 0x100, v35
	global_load_b64 v[24:25], v2, s[6:7] scale_offset
.LBB136_61:
	s_wait_xcnt 0x0
	s_or_b32 exec_lo, exec_lo, s1
	v_mov_b32_e32 v23, 0
	s_mov_b32 s1, exec_lo
	v_cmpx_gt_i32_e64 s10, v35
	s_cbranch_execz .LBB136_63
; %bb.62:
	v_add_nc_u32_e32 v2, s2, v35
	v_add_nc_u32_e32 v35, 0x100, v35
	global_load_b64 v[22:23], v2, s[6:7] scale_offset
.LBB136_63:
	s_wait_xcnt 0x0
	s_or_b32 exec_lo, exec_lo, s1
	v_dual_mov_b32 v18, 0 :: v_dual_mov_b32 v20, 0
	v_mov_b32_e32 v21, 0
	s_mov_b32 s1, exec_lo
	v_cmpx_gt_i32_e64 s10, v35
	s_cbranch_execz .LBB136_65
; %bb.64:
	v_add_nc_u32_e32 v2, s2, v35
	v_add_nc_u32_e32 v35, 0x100, v35
	global_load_b64 v[20:21], v2, s[6:7] scale_offset
.LBB136_65:
	s_wait_xcnt 0x0
	s_or_b32 exec_lo, exec_lo, s1
	v_mov_b32_e32 v19, 0
	s_mov_b32 s1, exec_lo
	v_cmpx_gt_i32_e64 s10, v35
	s_cbranch_execz .LBB136_67
; %bb.66:
	v_add_nc_u32_e32 v2, s2, v35
	v_add_nc_u32_e32 v35, 0x100, v35
	global_load_b64 v[18:19], v2, s[6:7] scale_offset
.LBB136_67:
	s_wait_xcnt 0x0
	s_or_b32 exec_lo, exec_lo, s1
	s_wait_loadcnt 0x0
	v_dual_mov_b32 v14, 0 :: v_dual_mov_b32 v16, 0
	v_mov_b32_e32 v17, 0
	s_mov_b32 s1, exec_lo
	v_cmpx_gt_i32_e64 s10, v35
	s_cbranch_execz .LBB136_69
; %bb.68:
	v_add_nc_u32_e32 v2, s2, v35
	v_add_nc_u32_e32 v35, 0x100, v35
	global_load_b64 v[16:17], v2, s[6:7] scale_offset
.LBB136_69:
	s_wait_xcnt 0x0
	s_or_b32 exec_lo, exec_lo, s1
	v_mov_b32_e32 v15, 0
	s_mov_b32 s1, exec_lo
	v_cmpx_gt_i32_e64 s10, v35
	s_cbranch_execz .LBB136_71
; %bb.70:
	v_add_nc_u32_e32 v2, s2, v35
	v_add_nc_u32_e32 v35, 0x100, v35
	global_load_b64 v[14:15], v2, s[6:7] scale_offset
.LBB136_71:
	s_wait_xcnt 0x0
	s_or_b32 exec_lo, exec_lo, s1
	v_dual_mov_b32 v10, 0 :: v_dual_mov_b32 v12, 0
	v_mov_b32_e32 v13, 0
	s_mov_b32 s1, exec_lo
	v_cmpx_gt_i32_e64 s10, v35
	s_cbranch_execz .LBB136_73
; %bb.72:
	v_add_nc_u32_e32 v2, s2, v35
	v_add_nc_u32_e32 v35, 0x100, v35
	global_load_b64 v[12:13], v2, s[6:7] scale_offset
.LBB136_73:
	s_wait_xcnt 0x0
	s_or_b32 exec_lo, exec_lo, s1
	v_mov_b32_e32 v11, 0
	s_mov_b32 s1, exec_lo
	v_cmpx_gt_i32_e64 s10, v35
	s_cbranch_execz .LBB136_75
; %bb.74:
	v_add_nc_u32_e32 v2, s2, v35
	v_add_nc_u32_e32 v35, 0x100, v35
	global_load_b64 v[10:11], v2, s[6:7] scale_offset
.LBB136_75:
	s_wait_xcnt 0x0
	s_or_b32 exec_lo, exec_lo, s1
	;; [unrolled: 23-line block ×3, first 2 shown]
	v_dual_mov_b32 v2, 0 :: v_dual_mov_b32 v4, 0
	v_mov_b32_e32 v5, 0
	s_mov_b32 s1, exec_lo
	v_cmpx_gt_i32_e64 s10, v35
	s_cbranch_execz .LBB136_81
; %bb.80:
	v_add_nc_u32_e32 v3, s2, v35
	v_add_nc_u32_e32 v35, 0x100, v35
	global_load_b64 v[4:5], v3, s[6:7] scale_offset
.LBB136_81:
	s_wait_xcnt 0x0
	s_or_b32 exec_lo, exec_lo, s1
	v_mov_b32_e32 v3, 0
	s_mov_b32 s1, exec_lo
	v_cmpx_gt_i32_e64 s10, v35
	s_cbranch_execz .LBB136_83
; %bb.82:
	v_add_nc_u32_e32 v2, s2, v35
	global_load_b64 v[2:3], v2, s[6:7] scale_offset
.LBB136_83:
	s_wait_xcnt 0x0
	s_or_b32 exec_lo, exec_lo, s1
	s_cmp_lg_u32 s11, 0
                                        ; implicit-def: $vgpr35
	s_cselect_b32 s3, -1, 0
	s_and_saveexec_b32 s6, s0
	s_cbranch_execz .LBB136_88
; %bb.84:
	s_and_b32 vcc_lo, exec_lo, s3
	s_cbranch_vccz .LBB136_212
; %bb.85:
	v_cmp_neq_f32_e32 vcc_lo, s8, v32
	v_cmp_neq_f32_e64 s1, s9, v33
	s_or_b32 s7, vcc_lo, s1
	s_cbranch_execnz .LBB136_87
.LBB136_86:
	v_cmp_eq_f32_e32 vcc_lo, s8, v32
	v_cmp_eq_f32_e64 s1, s9, v33
	s_and_not1_b32 s7, s7, exec_lo
	s_and_b32 s1, vcc_lo, s1
	s_delay_alu instid0(SALU_CYCLE_1) | instskip(NEXT) | instid1(SALU_CYCLE_1)
	s_and_b32 s1, s1, exec_lo
	s_or_b32 s7, s7, s1
.LBB136_87:
	s_delay_alu instid0(SALU_CYCLE_1)
	v_cndmask_b32_e64 v35, 0, 1, s7
.LBB136_88:
	s_or_b32 exec_lo, exec_lo, s6
	v_cndmask_b32_e64 v33, 0, 1, s3
	s_mov_b32 s6, exec_lo
                                        ; implicit-def: $vgpr32
	v_cmpx_gt_i32_e64 s10, v34
	s_cbranch_execz .LBB136_93
; %bb.89:
	s_and_not1_b32 vcc_lo, exec_lo, s3
	s_cbranch_vccnz .LBB136_213
; %bb.90:
	v_cmp_neq_f32_e32 vcc_lo, s8, v28
	v_cmp_neq_f32_e64 s1, s9, v29
	s_or_b32 s3, vcc_lo, s1
	s_cbranch_execnz .LBB136_92
.LBB136_91:
	v_cmp_eq_f32_e32 vcc_lo, s8, v28
	v_cmp_eq_f32_e64 s1, s9, v29
	s_and_not1_b32 s3, s3, exec_lo
	s_and_b32 s1, vcc_lo, s1
	s_delay_alu instid0(SALU_CYCLE_1) | instskip(NEXT) | instid1(SALU_CYCLE_1)
	s_and_b32 s1, s1, exec_lo
	s_or_b32 s3, s3, s1
.LBB136_92:
	s_delay_alu instid0(SALU_CYCLE_1)
	v_cndmask_b32_e64 v32, 0, 1, s3
.LBB136_93:
	s_or_b32 exec_lo, exec_lo, s6
	v_or_b32_e32 v28, 0x200, v0
	s_delay_alu instid0(VALU_DEP_1)
	v_cmp_gt_i32_e32 vcc_lo, s10, v28
                                        ; implicit-def: $vgpr28
	s_and_saveexec_b32 s3, vcc_lo
	s_cbranch_execz .LBB136_98
; %bb.94:
	v_cmp_ne_u32_e32 vcc_lo, 1, v33
	s_cbranch_vccnz .LBB136_214
; %bb.95:
	v_cmp_neq_f32_e32 vcc_lo, s8, v30
	v_cmp_neq_f32_e64 s1, s9, v31
	s_or_b32 s6, vcc_lo, s1
	s_cbranch_execnz .LBB136_97
.LBB136_96:
	v_cmp_eq_f32_e32 vcc_lo, s8, v30
	v_cmp_eq_f32_e64 s1, s9, v31
	s_and_not1_b32 s6, s6, exec_lo
	s_and_b32 s1, vcc_lo, s1
	s_delay_alu instid0(SALU_CYCLE_1) | instskip(NEXT) | instid1(SALU_CYCLE_1)
	s_and_b32 s1, s1, exec_lo
	s_or_b32 s6, s6, s1
.LBB136_97:
	s_delay_alu instid0(SALU_CYCLE_1)
	v_cndmask_b32_e64 v28, 0, 1, s6
.LBB136_98:
	s_or_b32 exec_lo, exec_lo, s3
	v_or_b32_e32 v29, 0x300, v0
	s_delay_alu instid0(VALU_DEP_1)
	v_cmp_gt_i32_e32 vcc_lo, s10, v29
                                        ; implicit-def: $vgpr29
	s_and_saveexec_b32 s3, vcc_lo
	s_cbranch_execz .LBB136_103
; %bb.99:
	v_cmp_ne_u32_e32 vcc_lo, 1, v33
	s_cbranch_vccnz .LBB136_215
; %bb.100:
	v_cmp_neq_f32_e32 vcc_lo, s8, v26
	v_cmp_neq_f32_e64 s1, s9, v27
	s_or_b32 s6, vcc_lo, s1
	s_cbranch_execnz .LBB136_102
.LBB136_101:
	v_cmp_eq_f32_e32 vcc_lo, s8, v26
	v_cmp_eq_f32_e64 s1, s9, v27
	s_and_not1_b32 s6, s6, exec_lo
	s_and_b32 s1, vcc_lo, s1
	s_delay_alu instid0(SALU_CYCLE_1) | instskip(NEXT) | instid1(SALU_CYCLE_1)
	s_and_b32 s1, s1, exec_lo
	s_or_b32 s6, s6, s1
.LBB136_102:
	s_delay_alu instid0(SALU_CYCLE_1)
	v_cndmask_b32_e64 v29, 0, 1, s6
.LBB136_103:
	s_or_b32 exec_lo, exec_lo, s3
	v_or_b32_e32 v26, 0x400, v0
	s_delay_alu instid0(VALU_DEP_1)
	v_cmp_gt_i32_e32 vcc_lo, s10, v26
                                        ; implicit-def: $vgpr26
	s_and_saveexec_b32 s3, vcc_lo
	s_cbranch_execz .LBB136_108
; %bb.104:
	v_cmp_ne_u32_e32 vcc_lo, 1, v33
	s_cbranch_vccnz .LBB136_216
; %bb.105:
	v_cmp_neq_f32_e32 vcc_lo, s8, v24
	v_cmp_neq_f32_e64 s1, s9, v25
	s_or_b32 s6, vcc_lo, s1
	s_cbranch_execnz .LBB136_107
.LBB136_106:
	v_cmp_eq_f32_e32 vcc_lo, s8, v24
	v_cmp_eq_f32_e64 s1, s9, v25
	s_and_not1_b32 s6, s6, exec_lo
	s_and_b32 s1, vcc_lo, s1
	s_delay_alu instid0(SALU_CYCLE_1) | instskip(NEXT) | instid1(SALU_CYCLE_1)
	s_and_b32 s1, s1, exec_lo
	s_or_b32 s6, s6, s1
.LBB136_107:
	s_delay_alu instid0(SALU_CYCLE_1)
	v_cndmask_b32_e64 v26, 0, 1, s6
.LBB136_108:
	s_or_b32 exec_lo, exec_lo, s3
	v_or_b32_e32 v24, 0x500, v0
	s_delay_alu instid0(VALU_DEP_1)
	v_cmp_gt_i32_e32 vcc_lo, s10, v24
                                        ; implicit-def: $vgpr24
	s_and_saveexec_b32 s3, vcc_lo
	s_cbranch_execz .LBB136_113
; %bb.109:
	v_cmp_ne_u32_e32 vcc_lo, 1, v33
	s_cbranch_vccnz .LBB136_217
; %bb.110:
	v_cmp_neq_f32_e32 vcc_lo, s8, v22
	v_cmp_neq_f32_e64 s1, s9, v23
	s_or_b32 s6, vcc_lo, s1
	s_cbranch_execnz .LBB136_112
.LBB136_111:
	v_cmp_eq_f32_e32 vcc_lo, s8, v22
	v_cmp_eq_f32_e64 s1, s9, v23
	s_and_not1_b32 s6, s6, exec_lo
	s_and_b32 s1, vcc_lo, s1
	s_delay_alu instid0(SALU_CYCLE_1) | instskip(NEXT) | instid1(SALU_CYCLE_1)
	s_and_b32 s1, s1, exec_lo
	s_or_b32 s6, s6, s1
.LBB136_112:
	s_delay_alu instid0(SALU_CYCLE_1)
	v_cndmask_b32_e64 v24, 0, 1, s6
.LBB136_113:
	s_or_b32 exec_lo, exec_lo, s3
	v_or_b32_e32 v22, 0x600, v0
	s_delay_alu instid0(VALU_DEP_1)
	v_cmp_gt_i32_e32 vcc_lo, s10, v22
                                        ; implicit-def: $vgpr22
	s_and_saveexec_b32 s3, vcc_lo
	s_cbranch_execz .LBB136_118
; %bb.114:
	v_cmp_ne_u32_e32 vcc_lo, 1, v33
	s_cbranch_vccnz .LBB136_218
; %bb.115:
	v_cmp_neq_f32_e32 vcc_lo, s8, v20
	v_cmp_neq_f32_e64 s1, s9, v21
	s_or_b32 s6, vcc_lo, s1
	s_cbranch_execnz .LBB136_117
.LBB136_116:
	v_cmp_eq_f32_e32 vcc_lo, s8, v20
	v_cmp_eq_f32_e64 s1, s9, v21
	s_and_not1_b32 s6, s6, exec_lo
	s_and_b32 s1, vcc_lo, s1
	s_delay_alu instid0(SALU_CYCLE_1) | instskip(NEXT) | instid1(SALU_CYCLE_1)
	s_and_b32 s1, s1, exec_lo
	s_or_b32 s6, s6, s1
.LBB136_117:
	s_delay_alu instid0(SALU_CYCLE_1)
	v_cndmask_b32_e64 v22, 0, 1, s6
.LBB136_118:
	s_or_b32 exec_lo, exec_lo, s3
	v_or_b32_e32 v20, 0x700, v0
	s_delay_alu instid0(VALU_DEP_1)
	v_cmp_gt_i32_e32 vcc_lo, s10, v20
                                        ; implicit-def: $vgpr20
	s_and_saveexec_b32 s3, vcc_lo
	s_cbranch_execz .LBB136_123
; %bb.119:
	v_cmp_ne_u32_e32 vcc_lo, 1, v33
	s_cbranch_vccnz .LBB136_219
; %bb.120:
	v_cmp_neq_f32_e32 vcc_lo, s8, v18
	v_cmp_neq_f32_e64 s1, s9, v19
	s_or_b32 s6, vcc_lo, s1
	s_cbranch_execnz .LBB136_122
.LBB136_121:
	v_cmp_eq_f32_e32 vcc_lo, s8, v18
	v_cmp_eq_f32_e64 s1, s9, v19
	s_and_not1_b32 s6, s6, exec_lo
	s_and_b32 s1, vcc_lo, s1
	s_delay_alu instid0(SALU_CYCLE_1) | instskip(NEXT) | instid1(SALU_CYCLE_1)
	s_and_b32 s1, s1, exec_lo
	s_or_b32 s6, s6, s1
.LBB136_122:
	s_delay_alu instid0(SALU_CYCLE_1)
	v_cndmask_b32_e64 v20, 0, 1, s6
.LBB136_123:
	s_or_b32 exec_lo, exec_lo, s3
	v_or_b32_e32 v18, 0x800, v0
	s_delay_alu instid0(VALU_DEP_1)
	v_cmp_gt_i32_e32 vcc_lo, s10, v18
                                        ; implicit-def: $vgpr18
	s_and_saveexec_b32 s3, vcc_lo
	s_cbranch_execz .LBB136_128
; %bb.124:
	v_cmp_ne_u32_e32 vcc_lo, 1, v33
	s_cbranch_vccnz .LBB136_220
; %bb.125:
	s_wait_loadcnt 0x0
	v_cmp_neq_f32_e32 vcc_lo, s8, v16
	v_cmp_neq_f32_e64 s1, s9, v17
	s_or_b32 s6, vcc_lo, s1
	s_cbranch_execnz .LBB136_127
.LBB136_126:
	s_wait_loadcnt 0x0
	v_cmp_eq_f32_e32 vcc_lo, s8, v16
	v_cmp_eq_f32_e64 s1, s9, v17
	s_and_not1_b32 s6, s6, exec_lo
	s_and_b32 s1, vcc_lo, s1
	s_delay_alu instid0(SALU_CYCLE_1) | instskip(NEXT) | instid1(SALU_CYCLE_1)
	s_and_b32 s1, s1, exec_lo
	s_or_b32 s6, s6, s1
.LBB136_127:
	s_delay_alu instid0(SALU_CYCLE_1)
	v_cndmask_b32_e64 v18, 0, 1, s6
.LBB136_128:
	s_or_b32 exec_lo, exec_lo, s3
	s_wait_loadcnt 0x0
	v_or_b32_e32 v16, 0x900, v0
	s_delay_alu instid0(VALU_DEP_1)
	v_cmp_gt_i32_e32 vcc_lo, s10, v16
                                        ; implicit-def: $vgpr16
	s_and_saveexec_b32 s3, vcc_lo
	s_cbranch_execz .LBB136_133
; %bb.129:
	v_cmp_ne_u32_e32 vcc_lo, 1, v33
	s_cbranch_vccnz .LBB136_221
; %bb.130:
	v_cmp_neq_f32_e32 vcc_lo, s8, v14
	v_cmp_neq_f32_e64 s1, s9, v15
	s_or_b32 s6, vcc_lo, s1
	s_cbranch_execnz .LBB136_132
.LBB136_131:
	v_cmp_eq_f32_e32 vcc_lo, s8, v14
	v_cmp_eq_f32_e64 s1, s9, v15
	s_and_not1_b32 s6, s6, exec_lo
	s_and_b32 s1, vcc_lo, s1
	s_delay_alu instid0(SALU_CYCLE_1) | instskip(NEXT) | instid1(SALU_CYCLE_1)
	s_and_b32 s1, s1, exec_lo
	s_or_b32 s6, s6, s1
.LBB136_132:
	s_delay_alu instid0(SALU_CYCLE_1)
	v_cndmask_b32_e64 v16, 0, 1, s6
.LBB136_133:
	s_or_b32 exec_lo, exec_lo, s3
	v_or_b32_e32 v14, 0xa00, v0
	s_delay_alu instid0(VALU_DEP_1)
	v_cmp_gt_i32_e32 vcc_lo, s10, v14
                                        ; implicit-def: $vgpr14
	s_and_saveexec_b32 s3, vcc_lo
	s_cbranch_execz .LBB136_138
; %bb.134:
	v_cmp_ne_u32_e32 vcc_lo, 1, v33
	s_cbranch_vccnz .LBB136_222
; %bb.135:
	v_cmp_neq_f32_e32 vcc_lo, s8, v12
	v_cmp_neq_f32_e64 s1, s9, v13
	s_or_b32 s6, vcc_lo, s1
	s_cbranch_execnz .LBB136_137
.LBB136_136:
	v_cmp_eq_f32_e32 vcc_lo, s8, v12
	v_cmp_eq_f32_e64 s1, s9, v13
	s_and_not1_b32 s6, s6, exec_lo
	s_and_b32 s1, vcc_lo, s1
	s_delay_alu instid0(SALU_CYCLE_1) | instskip(NEXT) | instid1(SALU_CYCLE_1)
	s_and_b32 s1, s1, exec_lo
	s_or_b32 s6, s6, s1
.LBB136_137:
	s_delay_alu instid0(SALU_CYCLE_1)
	v_cndmask_b32_e64 v14, 0, 1, s6
.LBB136_138:
	s_or_b32 exec_lo, exec_lo, s3
	v_or_b32_e32 v12, 0xb00, v0
	s_delay_alu instid0(VALU_DEP_1)
	v_cmp_gt_i32_e32 vcc_lo, s10, v12
                                        ; implicit-def: $vgpr12
	s_and_saveexec_b32 s3, vcc_lo
	s_cbranch_execz .LBB136_143
; %bb.139:
	v_cmp_ne_u32_e32 vcc_lo, 1, v33
	s_cbranch_vccnz .LBB136_223
; %bb.140:
	v_cmp_neq_f32_e32 vcc_lo, s8, v10
	v_cmp_neq_f32_e64 s1, s9, v11
	s_or_b32 s6, vcc_lo, s1
	s_cbranch_execnz .LBB136_142
.LBB136_141:
	v_cmp_eq_f32_e32 vcc_lo, s8, v10
	v_cmp_eq_f32_e64 s1, s9, v11
	s_and_not1_b32 s6, s6, exec_lo
	s_and_b32 s1, vcc_lo, s1
	s_delay_alu instid0(SALU_CYCLE_1) | instskip(NEXT) | instid1(SALU_CYCLE_1)
	s_and_b32 s1, s1, exec_lo
	s_or_b32 s6, s6, s1
.LBB136_142:
	s_delay_alu instid0(SALU_CYCLE_1)
	v_cndmask_b32_e64 v12, 0, 1, s6
.LBB136_143:
	s_or_b32 exec_lo, exec_lo, s3
	v_or_b32_e32 v10, 0xc00, v0
	s_delay_alu instid0(VALU_DEP_1)
	v_cmp_gt_i32_e32 vcc_lo, s10, v10
                                        ; implicit-def: $vgpr10
	s_and_saveexec_b32 s3, vcc_lo
	s_cbranch_execz .LBB136_148
; %bb.144:
	v_cmp_ne_u32_e32 vcc_lo, 1, v33
	s_cbranch_vccnz .LBB136_224
; %bb.145:
	v_cmp_neq_f32_e32 vcc_lo, s8, v8
	v_cmp_neq_f32_e64 s1, s9, v9
	s_or_b32 s6, vcc_lo, s1
	s_cbranch_execnz .LBB136_147
.LBB136_146:
	v_cmp_eq_f32_e32 vcc_lo, s8, v8
	v_cmp_eq_f32_e64 s1, s9, v9
	s_and_not1_b32 s6, s6, exec_lo
	s_and_b32 s1, vcc_lo, s1
	s_delay_alu instid0(SALU_CYCLE_1) | instskip(NEXT) | instid1(SALU_CYCLE_1)
	s_and_b32 s1, s1, exec_lo
	s_or_b32 s6, s6, s1
.LBB136_147:
	s_delay_alu instid0(SALU_CYCLE_1)
	v_cndmask_b32_e64 v10, 0, 1, s6
.LBB136_148:
	s_or_b32 exec_lo, exec_lo, s3
	v_or_b32_e32 v8, 0xd00, v0
	s_delay_alu instid0(VALU_DEP_1)
	v_cmp_gt_i32_e32 vcc_lo, s10, v8
                                        ; implicit-def: $vgpr8
	s_and_saveexec_b32 s3, vcc_lo
	s_cbranch_execz .LBB136_153
; %bb.149:
	v_cmp_ne_u32_e32 vcc_lo, 1, v33
	s_cbranch_vccnz .LBB136_225
; %bb.150:
	v_cmp_neq_f32_e32 vcc_lo, s8, v6
	v_cmp_neq_f32_e64 s1, s9, v7
	s_or_b32 s6, vcc_lo, s1
	s_cbranch_execnz .LBB136_152
.LBB136_151:
	v_cmp_eq_f32_e32 vcc_lo, s8, v6
	v_cmp_eq_f32_e64 s1, s9, v7
	s_and_not1_b32 s6, s6, exec_lo
	s_and_b32 s1, vcc_lo, s1
	s_delay_alu instid0(SALU_CYCLE_1) | instskip(NEXT) | instid1(SALU_CYCLE_1)
	s_and_b32 s1, s1, exec_lo
	s_or_b32 s6, s6, s1
.LBB136_152:
	s_delay_alu instid0(SALU_CYCLE_1)
	v_cndmask_b32_e64 v8, 0, 1, s6
.LBB136_153:
	s_or_b32 exec_lo, exec_lo, s3
	v_or_b32_e32 v6, 0xe00, v0
	s_delay_alu instid0(VALU_DEP_1)
	v_cmp_gt_i32_e32 vcc_lo, s10, v6
                                        ; implicit-def: $vgpr6
	s_and_saveexec_b32 s3, vcc_lo
	s_cbranch_execz .LBB136_158
; %bb.154:
	v_cmp_ne_u32_e32 vcc_lo, 1, v33
	s_cbranch_vccnz .LBB136_226
; %bb.155:
	v_cmp_neq_f32_e32 vcc_lo, s8, v4
	v_cmp_neq_f32_e64 s1, s9, v5
	s_or_b32 s6, vcc_lo, s1
	s_cbranch_execnz .LBB136_157
.LBB136_156:
	v_cmp_eq_f32_e32 vcc_lo, s8, v4
	v_cmp_eq_f32_e64 s1, s9, v5
	s_and_not1_b32 s6, s6, exec_lo
	s_and_b32 s1, vcc_lo, s1
	s_delay_alu instid0(SALU_CYCLE_1) | instskip(NEXT) | instid1(SALU_CYCLE_1)
	s_and_b32 s1, s1, exec_lo
	s_or_b32 s6, s6, s1
.LBB136_157:
	s_delay_alu instid0(SALU_CYCLE_1)
	v_cndmask_b32_e64 v6, 0, 1, s6
.LBB136_158:
	s_or_b32 exec_lo, exec_lo, s3
	v_or_b32_e32 v4, 0xf00, v0
	s_delay_alu instid0(VALU_DEP_1)
	v_cmp_gt_i32_e32 vcc_lo, s10, v4
                                        ; implicit-def: $vgpr4
	s_and_saveexec_b32 s3, vcc_lo
	s_cbranch_execz .LBB136_163
; %bb.159:
	v_cmp_ne_u32_e32 vcc_lo, 1, v33
	s_cbranch_vccnz .LBB136_227
; %bb.160:
	v_cmp_neq_f32_e32 vcc_lo, s8, v2
	v_cmp_neq_f32_e64 s1, s9, v3
	s_or_b32 s6, vcc_lo, s1
	s_cbranch_execnz .LBB136_162
.LBB136_161:
	v_cmp_eq_f32_e32 vcc_lo, s8, v2
	v_cmp_eq_f32_e64 s1, s9, v3
	s_and_not1_b32 s6, s6, exec_lo
	s_and_b32 s1, vcc_lo, s1
	s_delay_alu instid0(SALU_CYCLE_1) | instskip(NEXT) | instid1(SALU_CYCLE_1)
	s_and_b32 s1, s1, exec_lo
	s_or_b32 s6, s6, s1
.LBB136_162:
	s_delay_alu instid0(SALU_CYCLE_1)
	v_cndmask_b32_e64 v4, 0, 1, s6
.LBB136_163:
	s_or_b32 exec_lo, exec_lo, s3
	s_and_saveexec_b32 s1, s0
	s_delay_alu instid0(SALU_CYCLE_1)
	s_xor_b32 s0, exec_lo, s1
	s_cbranch_execz .LBB136_165
; %bb.164:
	v_mov_b32_e32 v0, v34
	global_store_b8 v1, v35, s[4:5]
.LBB136_165:
	s_wait_xcnt 0x0
	s_or_b32 exec_lo, exec_lo, s0
	s_delay_alu instid0(SALU_CYCLE_1)
	s_mov_b32 s0, exec_lo
	v_cmpx_gt_i32_e64 s10, v0
	s_cbranch_execnz .LBB136_181
; %bb.166:
	s_or_b32 exec_lo, exec_lo, s0
	s_delay_alu instid0(SALU_CYCLE_1)
	s_mov_b32 s0, exec_lo
	v_cmpx_gt_i32_e64 s10, v0
	s_cbranch_execnz .LBB136_182
.LBB136_167:
	s_or_b32 exec_lo, exec_lo, s0
	s_delay_alu instid0(SALU_CYCLE_1)
	s_mov_b32 s0, exec_lo
	v_cmpx_gt_i32_e64 s10, v0
	s_cbranch_execnz .LBB136_183
.LBB136_168:
	s_or_b32 exec_lo, exec_lo, s0
	s_delay_alu instid0(SALU_CYCLE_1)
	s_mov_b32 s0, exec_lo
	v_cmpx_gt_i32_e64 s10, v0
	s_cbranch_execnz .LBB136_184
.LBB136_169:
	s_or_b32 exec_lo, exec_lo, s0
	s_delay_alu instid0(SALU_CYCLE_1)
	s_mov_b32 s0, exec_lo
	v_cmpx_gt_i32_e64 s10, v0
	s_cbranch_execnz .LBB136_185
.LBB136_170:
	s_or_b32 exec_lo, exec_lo, s0
	s_delay_alu instid0(SALU_CYCLE_1)
	s_mov_b32 s0, exec_lo
	v_cmpx_gt_i32_e64 s10, v0
	s_cbranch_execnz .LBB136_186
.LBB136_171:
	s_or_b32 exec_lo, exec_lo, s0
	s_delay_alu instid0(SALU_CYCLE_1)
	s_mov_b32 s0, exec_lo
	v_cmpx_gt_i32_e64 s10, v0
	s_cbranch_execnz .LBB136_187
.LBB136_172:
	s_or_b32 exec_lo, exec_lo, s0
	s_delay_alu instid0(SALU_CYCLE_1)
	s_mov_b32 s0, exec_lo
	v_cmpx_gt_i32_e64 s10, v0
	s_cbranch_execnz .LBB136_188
.LBB136_173:
	s_or_b32 exec_lo, exec_lo, s0
	s_delay_alu instid0(SALU_CYCLE_1)
	s_mov_b32 s0, exec_lo
	v_cmpx_gt_i32_e64 s10, v0
	s_cbranch_execnz .LBB136_189
.LBB136_174:
	s_or_b32 exec_lo, exec_lo, s0
	s_delay_alu instid0(SALU_CYCLE_1)
	s_mov_b32 s0, exec_lo
	v_cmpx_gt_i32_e64 s10, v0
	s_cbranch_execnz .LBB136_190
.LBB136_175:
	s_or_b32 exec_lo, exec_lo, s0
	s_delay_alu instid0(SALU_CYCLE_1)
	s_mov_b32 s0, exec_lo
	v_cmpx_gt_i32_e64 s10, v0
	s_cbranch_execnz .LBB136_191
.LBB136_176:
	s_or_b32 exec_lo, exec_lo, s0
	s_delay_alu instid0(SALU_CYCLE_1)
	s_mov_b32 s0, exec_lo
	v_cmpx_gt_i32_e64 s10, v0
	s_cbranch_execnz .LBB136_192
.LBB136_177:
	s_or_b32 exec_lo, exec_lo, s0
	s_delay_alu instid0(SALU_CYCLE_1)
	s_mov_b32 s0, exec_lo
	v_cmpx_gt_i32_e64 s10, v0
	s_cbranch_execnz .LBB136_193
.LBB136_178:
	s_or_b32 exec_lo, exec_lo, s0
	s_delay_alu instid0(SALU_CYCLE_1)
	s_mov_b32 s0, exec_lo
	v_cmpx_gt_i32_e64 s10, v0
	s_cbranch_execnz .LBB136_194
.LBB136_179:
	s_or_b32 exec_lo, exec_lo, s0
	s_delay_alu instid0(SALU_CYCLE_1)
	s_mov_b32 s0, exec_lo
	v_cmpx_gt_i32_e64 s10, v0
	s_cbranch_execz .LBB136_195
.LBB136_180:
	v_add_nc_u32_e32 v0, s2, v0
	global_store_b8 v0, v4, s[4:5]
	s_endpgm
.LBB136_181:
	v_add_nc_u32_e32 v1, s2, v0
	v_add_nc_u32_e32 v0, 0x100, v0
	global_store_b8 v1, v32, s[4:5]
	s_wait_xcnt 0x0
	s_or_b32 exec_lo, exec_lo, s0
	s_delay_alu instid0(SALU_CYCLE_1)
	s_mov_b32 s0, exec_lo
	v_cmpx_gt_i32_e64 s10, v0
	s_cbranch_execz .LBB136_167
.LBB136_182:
	v_add_nc_u32_e32 v1, s2, v0
	v_add_nc_u32_e32 v0, 0x100, v0
	global_store_b8 v1, v28, s[4:5]
	s_wait_xcnt 0x0
	s_or_b32 exec_lo, exec_lo, s0
	s_delay_alu instid0(SALU_CYCLE_1)
	s_mov_b32 s0, exec_lo
	v_cmpx_gt_i32_e64 s10, v0
	s_cbranch_execz .LBB136_168
.LBB136_183:
	v_add_nc_u32_e32 v1, s2, v0
	v_add_nc_u32_e32 v0, 0x100, v0
	global_store_b8 v1, v29, s[4:5]
	s_wait_xcnt 0x0
	s_or_b32 exec_lo, exec_lo, s0
	s_delay_alu instid0(SALU_CYCLE_1)
	s_mov_b32 s0, exec_lo
	v_cmpx_gt_i32_e64 s10, v0
	s_cbranch_execz .LBB136_169
.LBB136_184:
	v_add_nc_u32_e32 v1, s2, v0
	v_add_nc_u32_e32 v0, 0x100, v0
	global_store_b8 v1, v26, s[4:5]
	s_wait_xcnt 0x0
	s_or_b32 exec_lo, exec_lo, s0
	s_delay_alu instid0(SALU_CYCLE_1)
	s_mov_b32 s0, exec_lo
	v_cmpx_gt_i32_e64 s10, v0
	s_cbranch_execz .LBB136_170
.LBB136_185:
	v_add_nc_u32_e32 v1, s2, v0
	v_add_nc_u32_e32 v0, 0x100, v0
	global_store_b8 v1, v24, s[4:5]
	s_wait_xcnt 0x0
	s_or_b32 exec_lo, exec_lo, s0
	s_delay_alu instid0(SALU_CYCLE_1)
	s_mov_b32 s0, exec_lo
	v_cmpx_gt_i32_e64 s10, v0
	s_cbranch_execz .LBB136_171
.LBB136_186:
	v_add_nc_u32_e32 v1, s2, v0
	v_add_nc_u32_e32 v0, 0x100, v0
	global_store_b8 v1, v22, s[4:5]
	s_wait_xcnt 0x0
	s_or_b32 exec_lo, exec_lo, s0
	s_delay_alu instid0(SALU_CYCLE_1)
	s_mov_b32 s0, exec_lo
	v_cmpx_gt_i32_e64 s10, v0
	s_cbranch_execz .LBB136_172
.LBB136_187:
	v_add_nc_u32_e32 v1, s2, v0
	v_add_nc_u32_e32 v0, 0x100, v0
	global_store_b8 v1, v20, s[4:5]
	s_wait_xcnt 0x0
	s_or_b32 exec_lo, exec_lo, s0
	s_delay_alu instid0(SALU_CYCLE_1)
	s_mov_b32 s0, exec_lo
	v_cmpx_gt_i32_e64 s10, v0
	s_cbranch_execz .LBB136_173
.LBB136_188:
	v_add_nc_u32_e32 v1, s2, v0
	v_add_nc_u32_e32 v0, 0x100, v0
	global_store_b8 v1, v18, s[4:5]
	s_wait_xcnt 0x0
	s_or_b32 exec_lo, exec_lo, s0
	s_delay_alu instid0(SALU_CYCLE_1)
	s_mov_b32 s0, exec_lo
	v_cmpx_gt_i32_e64 s10, v0
	s_cbranch_execz .LBB136_174
.LBB136_189:
	v_add_nc_u32_e32 v1, s2, v0
	v_add_nc_u32_e32 v0, 0x100, v0
	global_store_b8 v1, v16, s[4:5]
	s_wait_xcnt 0x0
	s_or_b32 exec_lo, exec_lo, s0
	s_delay_alu instid0(SALU_CYCLE_1)
	s_mov_b32 s0, exec_lo
	v_cmpx_gt_i32_e64 s10, v0
	s_cbranch_execz .LBB136_175
.LBB136_190:
	v_add_nc_u32_e32 v1, s2, v0
	v_add_nc_u32_e32 v0, 0x100, v0
	global_store_b8 v1, v14, s[4:5]
	s_wait_xcnt 0x0
	s_or_b32 exec_lo, exec_lo, s0
	s_delay_alu instid0(SALU_CYCLE_1)
	s_mov_b32 s0, exec_lo
	v_cmpx_gt_i32_e64 s10, v0
	s_cbranch_execz .LBB136_176
.LBB136_191:
	v_add_nc_u32_e32 v1, s2, v0
	v_add_nc_u32_e32 v0, 0x100, v0
	global_store_b8 v1, v12, s[4:5]
	s_wait_xcnt 0x0
	s_or_b32 exec_lo, exec_lo, s0
	s_delay_alu instid0(SALU_CYCLE_1)
	s_mov_b32 s0, exec_lo
	v_cmpx_gt_i32_e64 s10, v0
	s_cbranch_execz .LBB136_177
.LBB136_192:
	v_add_nc_u32_e32 v1, s2, v0
	v_add_nc_u32_e32 v0, 0x100, v0
	global_store_b8 v1, v10, s[4:5]
	s_wait_xcnt 0x0
	s_or_b32 exec_lo, exec_lo, s0
	s_delay_alu instid0(SALU_CYCLE_1)
	s_mov_b32 s0, exec_lo
	v_cmpx_gt_i32_e64 s10, v0
	s_cbranch_execz .LBB136_178
.LBB136_193:
	v_add_nc_u32_e32 v1, s2, v0
	v_add_nc_u32_e32 v0, 0x100, v0
	global_store_b8 v1, v8, s[4:5]
	s_wait_xcnt 0x0
	s_or_b32 exec_lo, exec_lo, s0
	s_delay_alu instid0(SALU_CYCLE_1)
	s_mov_b32 s0, exec_lo
	v_cmpx_gt_i32_e64 s10, v0
	s_cbranch_execz .LBB136_179
.LBB136_194:
	v_add_nc_u32_e32 v1, s2, v0
	v_add_nc_u32_e32 v0, 0x100, v0
	global_store_b8 v1, v6, s[4:5]
	s_wait_xcnt 0x0
	s_or_b32 exec_lo, exec_lo, s0
	s_delay_alu instid0(SALU_CYCLE_1)
	s_mov_b32 s0, exec_lo
	v_cmpx_gt_i32_e64 s10, v0
	s_cbranch_execnz .LBB136_180
.LBB136_195:
	s_endpgm
.LBB136_196:
	s_wait_xcnt 0x0
                                        ; implicit-def: $sgpr1
	s_branch .LBB136_3
.LBB136_197:
                                        ; implicit-def: $sgpr12
	s_branch .LBB136_6
.LBB136_198:
                                        ; implicit-def: $sgpr13
	s_branch .LBB136_9
.LBB136_199:
                                        ; implicit-def: $sgpr14
	s_branch .LBB136_12
.LBB136_200:
                                        ; implicit-def: $sgpr15
	s_branch .LBB136_15
.LBB136_201:
                                        ; implicit-def: $sgpr16
	s_branch .LBB136_18
.LBB136_202:
                                        ; implicit-def: $sgpr17
	s_branch .LBB136_21
.LBB136_203:
                                        ; implicit-def: $sgpr19
	s_branch .LBB136_24
.LBB136_204:
                                        ; implicit-def: $sgpr18
	s_branch .LBB136_27
.LBB136_205:
                                        ; implicit-def: $sgpr20
	s_branch .LBB136_30
.LBB136_206:
                                        ; implicit-def: $sgpr21
	s_branch .LBB136_33
.LBB136_207:
                                        ; implicit-def: $sgpr22
	s_branch .LBB136_36
.LBB136_208:
                                        ; implicit-def: $sgpr23
	s_branch .LBB136_39
.LBB136_209:
                                        ; implicit-def: $sgpr24
	s_branch .LBB136_42
.LBB136_210:
                                        ; implicit-def: $sgpr25
	s_branch .LBB136_45
.LBB136_211:
                                        ; implicit-def: $sgpr26
	s_branch .LBB136_48
.LBB136_212:
                                        ; implicit-def: $sgpr7
	s_branch .LBB136_86
.LBB136_213:
                                        ; implicit-def: $sgpr3
	s_branch .LBB136_91
.LBB136_214:
                                        ; implicit-def: $sgpr6
	s_branch .LBB136_96
.LBB136_215:
                                        ; implicit-def: $sgpr6
	s_branch .LBB136_101
.LBB136_216:
                                        ; implicit-def: $sgpr6
	s_branch .LBB136_106
.LBB136_217:
                                        ; implicit-def: $sgpr6
	s_branch .LBB136_111
.LBB136_218:
                                        ; implicit-def: $sgpr6
	s_branch .LBB136_116
.LBB136_219:
                                        ; implicit-def: $sgpr6
	s_branch .LBB136_121
.LBB136_220:
                                        ; implicit-def: $sgpr6
	s_branch .LBB136_126
.LBB136_221:
                                        ; implicit-def: $sgpr6
	s_branch .LBB136_131
.LBB136_222:
                                        ; implicit-def: $sgpr6
	s_branch .LBB136_136
.LBB136_223:
                                        ; implicit-def: $sgpr6
	s_branch .LBB136_141
.LBB136_224:
                                        ; implicit-def: $sgpr6
	s_branch .LBB136_146
.LBB136_225:
                                        ; implicit-def: $sgpr6
	s_branch .LBB136_151
.LBB136_226:
                                        ; implicit-def: $sgpr6
	s_branch .LBB136_156
.LBB136_227:
                                        ; implicit-def: $sgpr6
	s_branch .LBB136_161
	.section	.rodata,"a",@progbits
	.p2align	6, 0x0
	.amdhsa_kernel _ZN2at6native29vectorized_elementwise_kernelILi16ENS0_13AUnaryFunctorIN3c107complexIfEES5_bNS0_12_GLOBAL__N_116CompareEqFunctorIS5_EEEESt5arrayIPcLm2EEEEviT0_T1_
		.amdhsa_group_segment_fixed_size 0
		.amdhsa_private_segment_fixed_size 0
		.amdhsa_kernarg_size 40
		.amdhsa_user_sgpr_count 2
		.amdhsa_user_sgpr_dispatch_ptr 0
		.amdhsa_user_sgpr_queue_ptr 0
		.amdhsa_user_sgpr_kernarg_segment_ptr 1
		.amdhsa_user_sgpr_dispatch_id 0
		.amdhsa_user_sgpr_kernarg_preload_length 0
		.amdhsa_user_sgpr_kernarg_preload_offset 0
		.amdhsa_user_sgpr_private_segment_size 0
		.amdhsa_wavefront_size32 1
		.amdhsa_uses_dynamic_stack 0
		.amdhsa_enable_private_segment 0
		.amdhsa_system_sgpr_workgroup_id_x 1
		.amdhsa_system_sgpr_workgroup_id_y 0
		.amdhsa_system_sgpr_workgroup_id_z 0
		.amdhsa_system_sgpr_workgroup_info 0
		.amdhsa_system_vgpr_workitem_id 0
		.amdhsa_next_free_vgpr 36
		.amdhsa_next_free_sgpr 27
		.amdhsa_named_barrier_count 0
		.amdhsa_reserve_vcc 1
		.amdhsa_float_round_mode_32 0
		.amdhsa_float_round_mode_16_64 0
		.amdhsa_float_denorm_mode_32 3
		.amdhsa_float_denorm_mode_16_64 3
		.amdhsa_fp16_overflow 0
		.amdhsa_memory_ordered 1
		.amdhsa_forward_progress 1
		.amdhsa_inst_pref_size 43
		.amdhsa_round_robin_scheduling 0
		.amdhsa_exception_fp_ieee_invalid_op 0
		.amdhsa_exception_fp_denorm_src 0
		.amdhsa_exception_fp_ieee_div_zero 0
		.amdhsa_exception_fp_ieee_overflow 0
		.amdhsa_exception_fp_ieee_underflow 0
		.amdhsa_exception_fp_ieee_inexact 0
		.amdhsa_exception_int_div_zero 0
	.end_amdhsa_kernel
	.section	.text._ZN2at6native29vectorized_elementwise_kernelILi16ENS0_13AUnaryFunctorIN3c107complexIfEES5_bNS0_12_GLOBAL__N_116CompareEqFunctorIS5_EEEESt5arrayIPcLm2EEEEviT0_T1_,"axG",@progbits,_ZN2at6native29vectorized_elementwise_kernelILi16ENS0_13AUnaryFunctorIN3c107complexIfEES5_bNS0_12_GLOBAL__N_116CompareEqFunctorIS5_EEEESt5arrayIPcLm2EEEEviT0_T1_,comdat
.Lfunc_end136:
	.size	_ZN2at6native29vectorized_elementwise_kernelILi16ENS0_13AUnaryFunctorIN3c107complexIfEES5_bNS0_12_GLOBAL__N_116CompareEqFunctorIS5_EEEESt5arrayIPcLm2EEEEviT0_T1_, .Lfunc_end136-_ZN2at6native29vectorized_elementwise_kernelILi16ENS0_13AUnaryFunctorIN3c107complexIfEES5_bNS0_12_GLOBAL__N_116CompareEqFunctorIS5_EEEESt5arrayIPcLm2EEEEviT0_T1_
                                        ; -- End function
	.set _ZN2at6native29vectorized_elementwise_kernelILi16ENS0_13AUnaryFunctorIN3c107complexIfEES5_bNS0_12_GLOBAL__N_116CompareEqFunctorIS5_EEEESt5arrayIPcLm2EEEEviT0_T1_.num_vgpr, 36
	.set _ZN2at6native29vectorized_elementwise_kernelILi16ENS0_13AUnaryFunctorIN3c107complexIfEES5_bNS0_12_GLOBAL__N_116CompareEqFunctorIS5_EEEESt5arrayIPcLm2EEEEviT0_T1_.num_agpr, 0
	.set _ZN2at6native29vectorized_elementwise_kernelILi16ENS0_13AUnaryFunctorIN3c107complexIfEES5_bNS0_12_GLOBAL__N_116CompareEqFunctorIS5_EEEESt5arrayIPcLm2EEEEviT0_T1_.numbered_sgpr, 27
	.set _ZN2at6native29vectorized_elementwise_kernelILi16ENS0_13AUnaryFunctorIN3c107complexIfEES5_bNS0_12_GLOBAL__N_116CompareEqFunctorIS5_EEEESt5arrayIPcLm2EEEEviT0_T1_.num_named_barrier, 0
	.set _ZN2at6native29vectorized_elementwise_kernelILi16ENS0_13AUnaryFunctorIN3c107complexIfEES5_bNS0_12_GLOBAL__N_116CompareEqFunctorIS5_EEEESt5arrayIPcLm2EEEEviT0_T1_.private_seg_size, 0
	.set _ZN2at6native29vectorized_elementwise_kernelILi16ENS0_13AUnaryFunctorIN3c107complexIfEES5_bNS0_12_GLOBAL__N_116CompareEqFunctorIS5_EEEESt5arrayIPcLm2EEEEviT0_T1_.uses_vcc, 1
	.set _ZN2at6native29vectorized_elementwise_kernelILi16ENS0_13AUnaryFunctorIN3c107complexIfEES5_bNS0_12_GLOBAL__N_116CompareEqFunctorIS5_EEEESt5arrayIPcLm2EEEEviT0_T1_.uses_flat_scratch, 0
	.set _ZN2at6native29vectorized_elementwise_kernelILi16ENS0_13AUnaryFunctorIN3c107complexIfEES5_bNS0_12_GLOBAL__N_116CompareEqFunctorIS5_EEEESt5arrayIPcLm2EEEEviT0_T1_.has_dyn_sized_stack, 0
	.set _ZN2at6native29vectorized_elementwise_kernelILi16ENS0_13AUnaryFunctorIN3c107complexIfEES5_bNS0_12_GLOBAL__N_116CompareEqFunctorIS5_EEEESt5arrayIPcLm2EEEEviT0_T1_.has_recursion, 0
	.set _ZN2at6native29vectorized_elementwise_kernelILi16ENS0_13AUnaryFunctorIN3c107complexIfEES5_bNS0_12_GLOBAL__N_116CompareEqFunctorIS5_EEEESt5arrayIPcLm2EEEEviT0_T1_.has_indirect_call, 0
	.section	.AMDGPU.csdata,"",@progbits
; Kernel info:
; codeLenInByte = 5496
; TotalNumSgprs: 29
; NumVgprs: 36
; ScratchSize: 0
; MemoryBound: 1
; FloatMode: 240
; IeeeMode: 1
; LDSByteSize: 0 bytes/workgroup (compile time only)
; SGPRBlocks: 0
; VGPRBlocks: 2
; NumSGPRsForWavesPerEU: 29
; NumVGPRsForWavesPerEU: 36
; NamedBarCnt: 0
; Occupancy: 16
; WaveLimiterHint : 0
; COMPUTE_PGM_RSRC2:SCRATCH_EN: 0
; COMPUTE_PGM_RSRC2:USER_SGPR: 2
; COMPUTE_PGM_RSRC2:TRAP_HANDLER: 0
; COMPUTE_PGM_RSRC2:TGID_X_EN: 1
; COMPUTE_PGM_RSRC2:TGID_Y_EN: 0
; COMPUTE_PGM_RSRC2:TGID_Z_EN: 0
; COMPUTE_PGM_RSRC2:TIDIG_COMP_CNT: 0
	.section	.text._ZN2at6native29vectorized_elementwise_kernelILi8ENS0_13AUnaryFunctorIN3c107complexIfEES5_bNS0_12_GLOBAL__N_116CompareEqFunctorIS5_EEEESt5arrayIPcLm2EEEEviT0_T1_,"axG",@progbits,_ZN2at6native29vectorized_elementwise_kernelILi8ENS0_13AUnaryFunctorIN3c107complexIfEES5_bNS0_12_GLOBAL__N_116CompareEqFunctorIS5_EEEESt5arrayIPcLm2EEEEviT0_T1_,comdat
	.globl	_ZN2at6native29vectorized_elementwise_kernelILi8ENS0_13AUnaryFunctorIN3c107complexIfEES5_bNS0_12_GLOBAL__N_116CompareEqFunctorIS5_EEEESt5arrayIPcLm2EEEEviT0_T1_ ; -- Begin function _ZN2at6native29vectorized_elementwise_kernelILi8ENS0_13AUnaryFunctorIN3c107complexIfEES5_bNS0_12_GLOBAL__N_116CompareEqFunctorIS5_EEEESt5arrayIPcLm2EEEEviT0_T1_
	.p2align	8
	.type	_ZN2at6native29vectorized_elementwise_kernelILi8ENS0_13AUnaryFunctorIN3c107complexIfEES5_bNS0_12_GLOBAL__N_116CompareEqFunctorIS5_EEEESt5arrayIPcLm2EEEEviT0_T1_,@function
_ZN2at6native29vectorized_elementwise_kernelILi8ENS0_13AUnaryFunctorIN3c107complexIfEES5_bNS0_12_GLOBAL__N_116CompareEqFunctorIS5_EEEESt5arrayIPcLm2EEEEviT0_T1_: ; @_ZN2at6native29vectorized_elementwise_kernelILi8ENS0_13AUnaryFunctorIN3c107complexIfEES5_bNS0_12_GLOBAL__N_116CompareEqFunctorIS5_EEEESt5arrayIPcLm2EEEEviT0_T1_
; %bb.0:
	s_clause 0x3
	s_load_b32 s3, s[0:1], 0x0
	s_load_b32 s11, s[0:1], 0x8
	s_load_b64 s[8:9], s[0:1], 0x10
	s_load_b128 s[4:7], s[0:1], 0x18
	s_wait_xcnt 0x0
	s_bfe_u32 s0, ttmp6, 0x4000c
	s_and_b32 s1, ttmp6, 15
	s_add_co_i32 s0, s0, 1
	s_getreg_b32 s2, hwreg(HW_REG_IB_STS2, 6, 4)
	s_mul_i32 s0, ttmp9, s0
	s_delay_alu instid0(SALU_CYCLE_1) | instskip(SKIP_2) | instid1(SALU_CYCLE_1)
	s_add_co_i32 s1, s1, s0
	s_cmp_eq_u32 s2, 0
	s_cselect_b32 s0, ttmp9, s1
	s_lshl_b32 s2, s0, 12
	s_mov_b32 s0, -1
	s_wait_kmcnt 0x0
	s_sub_co_i32 s10, s3, s2
	s_delay_alu instid0(SALU_CYCLE_1)
	s_cmp_gt_i32 s10, 0xfff
	s_cbranch_scc0 .LBB137_50
; %bb.1:
	s_ashr_i32 s3, s2, 31
	v_lshlrev_b32_e32 v1, 6, v0
	s_lshl_b64 s[0:1], s[2:3], 3
	s_cmp_lg_u32 s11, 0
	s_add_nc_u64 s[0:1], s[6:7], s[0:1]
	s_cselect_b32 s12, -1, 0
	s_clause 0x7
	global_load_b128 v[18:21], v1, s[0:1] offset:48
	global_load_b128 v[22:25], v1, s[0:1] offset:32
	;; [unrolled: 1-line block ×3, first 2 shown]
	global_load_b128 v[30:33], v1, s[0:1]
	global_load_b128 v[2:5], v1, s[0:1] offset:16432
	global_load_b128 v[6:9], v1, s[0:1] offset:16416
	;; [unrolled: 1-line block ×4, first 2 shown]
	s_and_b32 vcc_lo, exec_lo, s12
	s_cbranch_vccz .LBB137_196
; %bb.2:
	s_wait_loadcnt 0x4
	v_cmp_neq_f32_e32 vcc_lo, s8, v30
	s_wait_xcnt 0x0
	v_cmp_neq_f32_e64 s0, s9, v31
	s_or_b32 s1, vcc_lo, s0
	s_cbranch_execnz .LBB137_4
.LBB137_3:
	s_wait_loadcnt 0x4
	v_cmp_eq_f32_e32 vcc_lo, s8, v30
	v_cmp_eq_f32_e64 s0, s9, v31
	s_and_not1_b32 s1, s1, exec_lo
	s_and_b32 s0, vcc_lo, s0
	s_delay_alu instid0(SALU_CYCLE_1) | instskip(NEXT) | instid1(SALU_CYCLE_1)
	s_and_b32 s0, s0, exec_lo
	s_or_b32 s1, s1, s0
.LBB137_4:
	v_cndmask_b32_e64 v1, 0, 1, s12
	s_and_not1_b32 vcc_lo, exec_lo, s12
	s_cbranch_vccnz .LBB137_197
; %bb.5:
	s_wait_loadcnt 0x4
	v_cmp_neq_f32_e32 vcc_lo, s8, v32
	v_cmp_neq_f32_e64 s0, s9, v33
	s_or_b32 s12, vcc_lo, s0
	s_cbranch_execnz .LBB137_7
.LBB137_6:
	s_wait_loadcnt 0x4
	v_cmp_eq_f32_e32 vcc_lo, s8, v32
	v_cmp_eq_f32_e64 s0, s9, v33
	s_and_not1_b32 s12, s12, exec_lo
	s_and_b32 s0, vcc_lo, s0
	s_delay_alu instid0(SALU_CYCLE_1) | instskip(NEXT) | instid1(SALU_CYCLE_1)
	s_and_b32 s0, s0, exec_lo
	s_or_b32 s12, s12, s0
.LBB137_7:
	v_cmp_ne_u32_e32 vcc_lo, 1, v1
	s_cbranch_vccnz .LBB137_198
; %bb.8:
	s_wait_loadcnt 0x5
	v_cmp_neq_f32_e32 vcc_lo, s8, v26
	v_cmp_neq_f32_e64 s0, s9, v27
	s_or_b32 s13, vcc_lo, s0
	s_cbranch_execnz .LBB137_10
.LBB137_9:
	s_wait_loadcnt 0x5
	v_cmp_eq_f32_e32 vcc_lo, s8, v26
	v_cmp_eq_f32_e64 s0, s9, v27
	s_and_not1_b32 s13, s13, exec_lo
	s_and_b32 s0, vcc_lo, s0
	s_delay_alu instid0(SALU_CYCLE_1) | instskip(NEXT) | instid1(SALU_CYCLE_1)
	s_and_b32 s0, s0, exec_lo
	s_or_b32 s13, s13, s0
.LBB137_10:
	v_cmp_ne_u32_e32 vcc_lo, 1, v1
	s_cbranch_vccnz .LBB137_199
; %bb.11:
	s_wait_loadcnt 0x5
	v_cmp_neq_f32_e32 vcc_lo, s8, v28
	v_cmp_neq_f32_e64 s0, s9, v29
	s_or_b32 s14, vcc_lo, s0
	s_cbranch_execnz .LBB137_13
.LBB137_12:
	s_wait_loadcnt 0x5
	v_cmp_eq_f32_e32 vcc_lo, s8, v28
	v_cmp_eq_f32_e64 s0, s9, v29
	s_and_not1_b32 s14, s14, exec_lo
	s_and_b32 s0, vcc_lo, s0
	s_delay_alu instid0(SALU_CYCLE_1) | instskip(NEXT) | instid1(SALU_CYCLE_1)
	s_and_b32 s0, s0, exec_lo
	s_or_b32 s14, s14, s0
.LBB137_13:
	v_cmp_ne_u32_e32 vcc_lo, 1, v1
	s_cbranch_vccnz .LBB137_200
; %bb.14:
	s_wait_loadcnt 0x6
	v_cmp_neq_f32_e32 vcc_lo, s8, v22
	v_cmp_neq_f32_e64 s0, s9, v23
	s_or_b32 s15, vcc_lo, s0
	s_cbranch_execnz .LBB137_16
.LBB137_15:
	s_wait_loadcnt 0x6
	v_cmp_eq_f32_e32 vcc_lo, s8, v22
	v_cmp_eq_f32_e64 s0, s9, v23
	s_and_not1_b32 s15, s15, exec_lo
	s_and_b32 s0, vcc_lo, s0
	s_delay_alu instid0(SALU_CYCLE_1) | instskip(NEXT) | instid1(SALU_CYCLE_1)
	s_and_b32 s0, s0, exec_lo
	s_or_b32 s15, s15, s0
.LBB137_16:
	v_cmp_ne_u32_e32 vcc_lo, 1, v1
	s_cbranch_vccnz .LBB137_201
; %bb.17:
	s_wait_loadcnt 0x6
	v_cmp_neq_f32_e32 vcc_lo, s8, v24
	v_cmp_neq_f32_e64 s0, s9, v25
	s_or_b32 s16, vcc_lo, s0
	s_cbranch_execnz .LBB137_19
.LBB137_18:
	s_wait_loadcnt 0x6
	v_cmp_eq_f32_e32 vcc_lo, s8, v24
	v_cmp_eq_f32_e64 s0, s9, v25
	s_and_not1_b32 s16, s16, exec_lo
	s_and_b32 s0, vcc_lo, s0
	s_delay_alu instid0(SALU_CYCLE_1) | instskip(NEXT) | instid1(SALU_CYCLE_1)
	s_and_b32 s0, s0, exec_lo
	s_or_b32 s16, s16, s0
.LBB137_19:
	v_cmp_ne_u32_e32 vcc_lo, 1, v1
	s_cbranch_vccnz .LBB137_202
; %bb.20:
	s_wait_loadcnt 0x7
	v_cmp_neq_f32_e32 vcc_lo, s8, v18
	v_cmp_neq_f32_e64 s0, s9, v19
	s_or_b32 s17, vcc_lo, s0
	s_cbranch_execnz .LBB137_22
.LBB137_21:
	s_wait_loadcnt 0x7
	v_cmp_eq_f32_e32 vcc_lo, s8, v18
	v_cmp_eq_f32_e64 s0, s9, v19
	s_and_not1_b32 s17, s17, exec_lo
	s_and_b32 s0, vcc_lo, s0
	s_delay_alu instid0(SALU_CYCLE_1) | instskip(NEXT) | instid1(SALU_CYCLE_1)
	s_and_b32 s0, s0, exec_lo
	s_or_b32 s17, s17, s0
.LBB137_22:
	v_cmp_ne_u32_e32 vcc_lo, 1, v1
	s_cbranch_vccnz .LBB137_203
; %bb.23:
	s_wait_loadcnt 0x7
	v_cmp_neq_f32_e32 vcc_lo, s8, v20
	v_cmp_neq_f32_e64 s0, s9, v21
	s_or_b32 s18, vcc_lo, s0
	s_cbranch_execnz .LBB137_25
.LBB137_24:
	s_wait_loadcnt 0x7
	v_cmp_eq_f32_e32 vcc_lo, s8, v20
	v_cmp_eq_f32_e64 s0, s9, v21
	s_and_not1_b32 s18, s18, exec_lo
	s_and_b32 s0, vcc_lo, s0
	s_delay_alu instid0(SALU_CYCLE_1) | instskip(NEXT) | instid1(SALU_CYCLE_1)
	s_and_b32 s0, s0, exec_lo
	s_or_b32 s18, s18, s0
.LBB137_25:
	v_cmp_ne_u32_e32 vcc_lo, 1, v1
	s_cbranch_vccnz .LBB137_204
; %bb.26:
	s_wait_loadcnt 0x0
	v_cmp_neq_f32_e32 vcc_lo, s8, v14
	v_cmp_neq_f32_e64 s0, s9, v15
	s_or_b32 s19, vcc_lo, s0
	s_cbranch_execnz .LBB137_28
.LBB137_27:
	s_wait_loadcnt 0x0
	v_cmp_eq_f32_e32 vcc_lo, s8, v14
	v_cmp_eq_f32_e64 s0, s9, v15
	s_and_not1_b32 s19, s19, exec_lo
	s_and_b32 s0, vcc_lo, s0
	s_delay_alu instid0(SALU_CYCLE_1) | instskip(NEXT) | instid1(SALU_CYCLE_1)
	s_and_b32 s0, s0, exec_lo
	s_or_b32 s19, s19, s0
.LBB137_28:
	v_cmp_ne_u32_e32 vcc_lo, 1, v1
	s_cbranch_vccnz .LBB137_205
; %bb.29:
	s_wait_loadcnt 0x0
	v_cmp_neq_f32_e32 vcc_lo, s8, v16
	v_cmp_neq_f32_e64 s0, s9, v17
	s_or_b32 s20, vcc_lo, s0
	s_cbranch_execnz .LBB137_31
.LBB137_30:
	s_wait_loadcnt 0x0
	v_cmp_eq_f32_e32 vcc_lo, s8, v16
	v_cmp_eq_f32_e64 s0, s9, v17
	s_and_not1_b32 s20, s20, exec_lo
	s_and_b32 s0, vcc_lo, s0
	s_delay_alu instid0(SALU_CYCLE_1) | instskip(NEXT) | instid1(SALU_CYCLE_1)
	s_and_b32 s0, s0, exec_lo
	s_or_b32 s20, s20, s0
.LBB137_31:
	v_cmp_ne_u32_e32 vcc_lo, 1, v1
	s_cbranch_vccnz .LBB137_206
; %bb.32:
	s_wait_loadcnt 0x1
	v_cmp_neq_f32_e32 vcc_lo, s8, v10
	v_cmp_neq_f32_e64 s0, s9, v11
	s_or_b32 s21, vcc_lo, s0
	s_cbranch_execnz .LBB137_34
.LBB137_33:
	s_wait_loadcnt 0x1
	v_cmp_eq_f32_e32 vcc_lo, s8, v10
	v_cmp_eq_f32_e64 s0, s9, v11
	s_and_not1_b32 s21, s21, exec_lo
	s_and_b32 s0, vcc_lo, s0
	s_delay_alu instid0(SALU_CYCLE_1) | instskip(NEXT) | instid1(SALU_CYCLE_1)
	s_and_b32 s0, s0, exec_lo
	s_or_b32 s21, s21, s0
.LBB137_34:
	v_cmp_ne_u32_e32 vcc_lo, 1, v1
	s_cbranch_vccnz .LBB137_207
; %bb.35:
	s_wait_loadcnt 0x1
	v_cmp_neq_f32_e32 vcc_lo, s8, v12
	v_cmp_neq_f32_e64 s0, s9, v13
	s_or_b32 s22, vcc_lo, s0
	s_cbranch_execnz .LBB137_37
.LBB137_36:
	s_wait_loadcnt 0x1
	v_cmp_eq_f32_e32 vcc_lo, s8, v12
	v_cmp_eq_f32_e64 s0, s9, v13
	s_and_not1_b32 s22, s22, exec_lo
	s_and_b32 s0, vcc_lo, s0
	s_delay_alu instid0(SALU_CYCLE_1) | instskip(NEXT) | instid1(SALU_CYCLE_1)
	s_and_b32 s0, s0, exec_lo
	s_or_b32 s22, s22, s0
.LBB137_37:
	v_cmp_ne_u32_e32 vcc_lo, 1, v1
	s_cbranch_vccnz .LBB137_208
; %bb.38:
	s_wait_loadcnt 0x2
	v_cmp_neq_f32_e32 vcc_lo, s8, v6
	v_cmp_neq_f32_e64 s0, s9, v7
	s_or_b32 s23, vcc_lo, s0
	s_cbranch_execnz .LBB137_40
.LBB137_39:
	s_wait_loadcnt 0x2
	v_cmp_eq_f32_e32 vcc_lo, s8, v6
	v_cmp_eq_f32_e64 s0, s9, v7
	s_and_not1_b32 s23, s23, exec_lo
	s_and_b32 s0, vcc_lo, s0
	s_delay_alu instid0(SALU_CYCLE_1) | instskip(NEXT) | instid1(SALU_CYCLE_1)
	s_and_b32 s0, s0, exec_lo
	s_or_b32 s23, s23, s0
.LBB137_40:
	v_cmp_ne_u32_e32 vcc_lo, 1, v1
	s_cbranch_vccnz .LBB137_209
; %bb.41:
	s_wait_loadcnt 0x2
	v_cmp_neq_f32_e32 vcc_lo, s8, v8
	v_cmp_neq_f32_e64 s0, s9, v9
	s_or_b32 s24, vcc_lo, s0
	s_cbranch_execnz .LBB137_43
.LBB137_42:
	s_wait_loadcnt 0x2
	v_cmp_eq_f32_e32 vcc_lo, s8, v8
	v_cmp_eq_f32_e64 s0, s9, v9
	s_and_not1_b32 s24, s24, exec_lo
	s_and_b32 s0, vcc_lo, s0
	s_delay_alu instid0(SALU_CYCLE_1) | instskip(NEXT) | instid1(SALU_CYCLE_1)
	s_and_b32 s0, s0, exec_lo
	s_or_b32 s24, s24, s0
.LBB137_43:
	v_cmp_ne_u32_e32 vcc_lo, 1, v1
	s_cbranch_vccnz .LBB137_210
; %bb.44:
	s_wait_loadcnt 0x3
	v_cmp_neq_f32_e32 vcc_lo, s8, v2
	v_cmp_neq_f32_e64 s0, s9, v3
	s_or_b32 s25, vcc_lo, s0
	s_cbranch_execnz .LBB137_46
.LBB137_45:
	s_wait_loadcnt 0x3
	v_cmp_eq_f32_e32 vcc_lo, s8, v2
	v_cmp_eq_f32_e64 s0, s9, v3
	s_and_not1_b32 s25, s25, exec_lo
	s_and_b32 s0, vcc_lo, s0
	s_delay_alu instid0(SALU_CYCLE_1) | instskip(NEXT) | instid1(SALU_CYCLE_1)
	s_and_b32 s0, s0, exec_lo
	s_or_b32 s25, s25, s0
.LBB137_46:
	v_cmp_ne_u32_e32 vcc_lo, 1, v1
	s_cbranch_vccnz .LBB137_211
; %bb.47:
	s_wait_loadcnt 0x3
	v_cmp_neq_f32_e32 vcc_lo, s8, v4
	v_cmp_neq_f32_e64 s0, s9, v5
	s_or_b32 s26, vcc_lo, s0
	s_cbranch_execnz .LBB137_49
.LBB137_48:
	s_wait_loadcnt 0x3
	v_cmp_eq_f32_e32 vcc_lo, s8, v4
	v_cmp_eq_f32_e64 s0, s9, v5
	s_and_not1_b32 s26, s26, exec_lo
	s_and_b32 s0, vcc_lo, s0
	s_delay_alu instid0(SALU_CYCLE_1) | instskip(NEXT) | instid1(SALU_CYCLE_1)
	s_and_b32 s0, s0, exec_lo
	s_or_b32 s26, s26, s0
.LBB137_49:
	v_cndmask_b32_e64 v1, 0, 0x100, s20
	s_wait_loadcnt 0x3
	v_cndmask_b32_e64 v2, 0, 1, s19
	v_cndmask_b32_e64 v4, 0, 0x100, s12
	v_cndmask_b32_e64 v5, 0, 1, s1
	v_cndmask_b32_e64 v3, 0, 0x10000, s21
	s_wait_loadcnt 0x2
	v_cndmask_b32_e64 v9, 0, 0x1000000, s14
	v_or_b32_e32 v1, v1, v2
	v_cndmask_b32_e64 v2, 0, 0x1000000, s22
	v_or_b32_e32 v4, v4, v5
	v_cndmask_b32_e64 v5, 0, 0x10000, s13
	v_or3_b32 v6, 0, 0, 0
	v_cndmask_b32_e64 v7, 0, 1, s23
	v_cndmask_b32_e64 v8, 0, 0x100, s24
	s_wait_loadcnt 0x1
	v_cndmask_b32_e64 v10, 0, 1, s15
	v_cndmask_b32_e64 v11, 0, 0x100, s16
	v_or3_b32 v1, v1, v3, v2
	v_or3_b32 v2, v4, v5, v9
	;; [unrolled: 1-line block ×3, first 2 shown]
	v_cndmask_b32_e64 v5, 0, 0x10000, s17
	v_or3_b32 v3, v6, v10, v11
	v_cndmask_b32_e64 v6, 0, 0x1000000, s18
	v_or3_b32 v2, v2, 0, 0
	v_cndmask_b32_e64 v4, 0, 0x10000, s25
	v_cndmask_b32_e64 v8, 0, 0x1000000, s26
	v_or3_b32 v1, v1, 0, 0
	v_or3_b32 v3, v3, v5, v6
	;; [unrolled: 1-line block ×3, first 2 shown]
	s_add_nc_u64 s[12:13], s[4:5], s[2:3]
	v_or3_b32 v5, v7, v4, v8
	v_or3_b32 v4, v1, 0, 0
	s_mov_b32 s0, 0
	s_clause 0x1
	global_store_b64 v0, v[2:3], s[12:13] scale_offset
	global_store_b64 v0, v[4:5], s[12:13] offset:2048 scale_offset
.LBB137_50:
	s_and_b32 vcc_lo, exec_lo, s0
	s_cbranch_vccz .LBB137_195
; %bb.51:
	v_cmp_gt_i32_e64 s0, s10, v0
	v_dual_mov_b32 v28, 0 :: v_dual_bitop2_b32 v1, s2, v0 bitop3:0x54
	v_or_b32_e32 v34, 0x100, v0
	v_dual_mov_b32 v35, v0 :: v_dual_mov_b32 v32, 0
	v_mov_b32_e32 v33, 0
	s_wait_xcnt 0x0
	s_and_saveexec_b32 s1, s0
	s_cbranch_execz .LBB137_53
; %bb.52:
	global_load_b64 v[32:33], v1, s[6:7] scale_offset
	v_or_b32_e32 v35, 0x100, v0
.LBB137_53:
	s_wait_xcnt 0x0
	s_or_b32 exec_lo, exec_lo, s1
	v_mov_b32_e32 v29, 0
	s_mov_b32 s1, exec_lo
	v_cmpx_gt_i32_e64 s10, v35
	s_cbranch_execz .LBB137_55
; %bb.54:
	v_add_nc_u32_e32 v2, s2, v35
	v_add_nc_u32_e32 v35, 0x100, v35
	global_load_b64 v[28:29], v2, s[6:7] scale_offset
.LBB137_55:
	s_wait_xcnt 0x0
	s_or_b32 exec_lo, exec_lo, s1
	v_dual_mov_b32 v26, 0 :: v_dual_mov_b32 v30, 0
	v_mov_b32_e32 v31, 0
	s_mov_b32 s1, exec_lo
	v_cmpx_gt_i32_e64 s10, v35
	s_cbranch_execz .LBB137_57
; %bb.56:
	v_add_nc_u32_e32 v2, s2, v35
	v_add_nc_u32_e32 v35, 0x100, v35
	global_load_b64 v[30:31], v2, s[6:7] scale_offset
.LBB137_57:
	s_wait_xcnt 0x0
	s_or_b32 exec_lo, exec_lo, s1
	v_mov_b32_e32 v27, 0
	s_mov_b32 s1, exec_lo
	v_cmpx_gt_i32_e64 s10, v35
	s_cbranch_execz .LBB137_59
; %bb.58:
	v_add_nc_u32_e32 v2, s2, v35
	v_add_nc_u32_e32 v35, 0x100, v35
	global_load_b64 v[26:27], v2, s[6:7] scale_offset
.LBB137_59:
	s_wait_xcnt 0x0
	s_or_b32 exec_lo, exec_lo, s1
	v_dual_mov_b32 v22, 0 :: v_dual_mov_b32 v24, 0
	v_mov_b32_e32 v25, 0
	s_mov_b32 s1, exec_lo
	v_cmpx_gt_i32_e64 s10, v35
	s_cbranch_execz .LBB137_61
; %bb.60:
	v_add_nc_u32_e32 v2, s2, v35
	v_add_nc_u32_e32 v35, 0x100, v35
	global_load_b64 v[24:25], v2, s[6:7] scale_offset
.LBB137_61:
	;; [unrolled: 23-line block ×3, first 2 shown]
	s_wait_xcnt 0x0
	s_or_b32 exec_lo, exec_lo, s1
	v_mov_b32_e32 v19, 0
	s_mov_b32 s1, exec_lo
	v_cmpx_gt_i32_e64 s10, v35
	s_cbranch_execz .LBB137_67
; %bb.66:
	v_add_nc_u32_e32 v2, s2, v35
	v_add_nc_u32_e32 v35, 0x100, v35
	global_load_b64 v[18:19], v2, s[6:7] scale_offset
.LBB137_67:
	s_wait_xcnt 0x0
	s_or_b32 exec_lo, exec_lo, s1
	s_wait_loadcnt 0x0
	v_dual_mov_b32 v14, 0 :: v_dual_mov_b32 v16, 0
	v_mov_b32_e32 v17, 0
	s_mov_b32 s1, exec_lo
	v_cmpx_gt_i32_e64 s10, v35
	s_cbranch_execz .LBB137_69
; %bb.68:
	v_add_nc_u32_e32 v2, s2, v35
	v_add_nc_u32_e32 v35, 0x100, v35
	global_load_b64 v[16:17], v2, s[6:7] scale_offset
.LBB137_69:
	s_wait_xcnt 0x0
	s_or_b32 exec_lo, exec_lo, s1
	v_mov_b32_e32 v15, 0
	s_mov_b32 s1, exec_lo
	v_cmpx_gt_i32_e64 s10, v35
	s_cbranch_execz .LBB137_71
; %bb.70:
	v_add_nc_u32_e32 v2, s2, v35
	v_add_nc_u32_e32 v35, 0x100, v35
	global_load_b64 v[14:15], v2, s[6:7] scale_offset
.LBB137_71:
	s_wait_xcnt 0x0
	s_or_b32 exec_lo, exec_lo, s1
	v_dual_mov_b32 v10, 0 :: v_dual_mov_b32 v12, 0
	v_mov_b32_e32 v13, 0
	s_mov_b32 s1, exec_lo
	v_cmpx_gt_i32_e64 s10, v35
	s_cbranch_execz .LBB137_73
; %bb.72:
	v_add_nc_u32_e32 v2, s2, v35
	v_add_nc_u32_e32 v35, 0x100, v35
	global_load_b64 v[12:13], v2, s[6:7] scale_offset
.LBB137_73:
	s_wait_xcnt 0x0
	s_or_b32 exec_lo, exec_lo, s1
	v_mov_b32_e32 v11, 0
	s_mov_b32 s1, exec_lo
	v_cmpx_gt_i32_e64 s10, v35
	s_cbranch_execz .LBB137_75
; %bb.74:
	v_add_nc_u32_e32 v2, s2, v35
	v_add_nc_u32_e32 v35, 0x100, v35
	global_load_b64 v[10:11], v2, s[6:7] scale_offset
.LBB137_75:
	s_wait_xcnt 0x0
	s_or_b32 exec_lo, exec_lo, s1
	;; [unrolled: 23-line block ×3, first 2 shown]
	v_dual_mov_b32 v2, 0 :: v_dual_mov_b32 v4, 0
	v_mov_b32_e32 v5, 0
	s_mov_b32 s1, exec_lo
	v_cmpx_gt_i32_e64 s10, v35
	s_cbranch_execz .LBB137_81
; %bb.80:
	v_add_nc_u32_e32 v3, s2, v35
	v_add_nc_u32_e32 v35, 0x100, v35
	global_load_b64 v[4:5], v3, s[6:7] scale_offset
.LBB137_81:
	s_wait_xcnt 0x0
	s_or_b32 exec_lo, exec_lo, s1
	v_mov_b32_e32 v3, 0
	s_mov_b32 s1, exec_lo
	v_cmpx_gt_i32_e64 s10, v35
	s_cbranch_execz .LBB137_83
; %bb.82:
	v_add_nc_u32_e32 v2, s2, v35
	global_load_b64 v[2:3], v2, s[6:7] scale_offset
.LBB137_83:
	s_wait_xcnt 0x0
	s_or_b32 exec_lo, exec_lo, s1
	s_cmp_lg_u32 s11, 0
                                        ; implicit-def: $vgpr35
	s_cselect_b32 s3, -1, 0
	s_and_saveexec_b32 s6, s0
	s_cbranch_execz .LBB137_88
; %bb.84:
	s_and_b32 vcc_lo, exec_lo, s3
	s_cbranch_vccz .LBB137_212
; %bb.85:
	v_cmp_neq_f32_e32 vcc_lo, s8, v32
	v_cmp_neq_f32_e64 s1, s9, v33
	s_or_b32 s7, vcc_lo, s1
	s_cbranch_execnz .LBB137_87
.LBB137_86:
	v_cmp_eq_f32_e32 vcc_lo, s8, v32
	v_cmp_eq_f32_e64 s1, s9, v33
	s_and_not1_b32 s7, s7, exec_lo
	s_and_b32 s1, vcc_lo, s1
	s_delay_alu instid0(SALU_CYCLE_1) | instskip(NEXT) | instid1(SALU_CYCLE_1)
	s_and_b32 s1, s1, exec_lo
	s_or_b32 s7, s7, s1
.LBB137_87:
	s_delay_alu instid0(SALU_CYCLE_1)
	v_cndmask_b32_e64 v35, 0, 1, s7
.LBB137_88:
	s_or_b32 exec_lo, exec_lo, s6
	v_cndmask_b32_e64 v33, 0, 1, s3
	s_mov_b32 s6, exec_lo
                                        ; implicit-def: $vgpr32
	v_cmpx_gt_i32_e64 s10, v34
	s_cbranch_execz .LBB137_93
; %bb.89:
	s_and_not1_b32 vcc_lo, exec_lo, s3
	s_cbranch_vccnz .LBB137_213
; %bb.90:
	v_cmp_neq_f32_e32 vcc_lo, s8, v28
	v_cmp_neq_f32_e64 s1, s9, v29
	s_or_b32 s3, vcc_lo, s1
	s_cbranch_execnz .LBB137_92
.LBB137_91:
	v_cmp_eq_f32_e32 vcc_lo, s8, v28
	v_cmp_eq_f32_e64 s1, s9, v29
	s_and_not1_b32 s3, s3, exec_lo
	s_and_b32 s1, vcc_lo, s1
	s_delay_alu instid0(SALU_CYCLE_1) | instskip(NEXT) | instid1(SALU_CYCLE_1)
	s_and_b32 s1, s1, exec_lo
	s_or_b32 s3, s3, s1
.LBB137_92:
	s_delay_alu instid0(SALU_CYCLE_1)
	v_cndmask_b32_e64 v32, 0, 1, s3
.LBB137_93:
	s_or_b32 exec_lo, exec_lo, s6
	v_or_b32_e32 v28, 0x200, v0
	s_delay_alu instid0(VALU_DEP_1)
	v_cmp_gt_i32_e32 vcc_lo, s10, v28
                                        ; implicit-def: $vgpr28
	s_and_saveexec_b32 s3, vcc_lo
	s_cbranch_execz .LBB137_98
; %bb.94:
	v_cmp_ne_u32_e32 vcc_lo, 1, v33
	s_cbranch_vccnz .LBB137_214
; %bb.95:
	v_cmp_neq_f32_e32 vcc_lo, s8, v30
	v_cmp_neq_f32_e64 s1, s9, v31
	s_or_b32 s6, vcc_lo, s1
	s_cbranch_execnz .LBB137_97
.LBB137_96:
	v_cmp_eq_f32_e32 vcc_lo, s8, v30
	v_cmp_eq_f32_e64 s1, s9, v31
	s_and_not1_b32 s6, s6, exec_lo
	s_and_b32 s1, vcc_lo, s1
	s_delay_alu instid0(SALU_CYCLE_1) | instskip(NEXT) | instid1(SALU_CYCLE_1)
	s_and_b32 s1, s1, exec_lo
	s_or_b32 s6, s6, s1
.LBB137_97:
	s_delay_alu instid0(SALU_CYCLE_1)
	v_cndmask_b32_e64 v28, 0, 1, s6
.LBB137_98:
	s_or_b32 exec_lo, exec_lo, s3
	v_or_b32_e32 v29, 0x300, v0
	s_delay_alu instid0(VALU_DEP_1)
	v_cmp_gt_i32_e32 vcc_lo, s10, v29
                                        ; implicit-def: $vgpr29
	s_and_saveexec_b32 s3, vcc_lo
	s_cbranch_execz .LBB137_103
; %bb.99:
	v_cmp_ne_u32_e32 vcc_lo, 1, v33
	s_cbranch_vccnz .LBB137_215
; %bb.100:
	v_cmp_neq_f32_e32 vcc_lo, s8, v26
	v_cmp_neq_f32_e64 s1, s9, v27
	s_or_b32 s6, vcc_lo, s1
	s_cbranch_execnz .LBB137_102
.LBB137_101:
	v_cmp_eq_f32_e32 vcc_lo, s8, v26
	v_cmp_eq_f32_e64 s1, s9, v27
	s_and_not1_b32 s6, s6, exec_lo
	s_and_b32 s1, vcc_lo, s1
	s_delay_alu instid0(SALU_CYCLE_1) | instskip(NEXT) | instid1(SALU_CYCLE_1)
	s_and_b32 s1, s1, exec_lo
	s_or_b32 s6, s6, s1
.LBB137_102:
	s_delay_alu instid0(SALU_CYCLE_1)
	v_cndmask_b32_e64 v29, 0, 1, s6
.LBB137_103:
	s_or_b32 exec_lo, exec_lo, s3
	v_or_b32_e32 v26, 0x400, v0
	s_delay_alu instid0(VALU_DEP_1)
	v_cmp_gt_i32_e32 vcc_lo, s10, v26
                                        ; implicit-def: $vgpr26
	s_and_saveexec_b32 s3, vcc_lo
	s_cbranch_execz .LBB137_108
; %bb.104:
	v_cmp_ne_u32_e32 vcc_lo, 1, v33
	s_cbranch_vccnz .LBB137_216
; %bb.105:
	v_cmp_neq_f32_e32 vcc_lo, s8, v24
	v_cmp_neq_f32_e64 s1, s9, v25
	s_or_b32 s6, vcc_lo, s1
	s_cbranch_execnz .LBB137_107
.LBB137_106:
	v_cmp_eq_f32_e32 vcc_lo, s8, v24
	v_cmp_eq_f32_e64 s1, s9, v25
	s_and_not1_b32 s6, s6, exec_lo
	s_and_b32 s1, vcc_lo, s1
	s_delay_alu instid0(SALU_CYCLE_1) | instskip(NEXT) | instid1(SALU_CYCLE_1)
	s_and_b32 s1, s1, exec_lo
	s_or_b32 s6, s6, s1
.LBB137_107:
	s_delay_alu instid0(SALU_CYCLE_1)
	v_cndmask_b32_e64 v26, 0, 1, s6
.LBB137_108:
	s_or_b32 exec_lo, exec_lo, s3
	v_or_b32_e32 v24, 0x500, v0
	s_delay_alu instid0(VALU_DEP_1)
	v_cmp_gt_i32_e32 vcc_lo, s10, v24
                                        ; implicit-def: $vgpr24
	s_and_saveexec_b32 s3, vcc_lo
	s_cbranch_execz .LBB137_113
; %bb.109:
	v_cmp_ne_u32_e32 vcc_lo, 1, v33
	s_cbranch_vccnz .LBB137_217
; %bb.110:
	v_cmp_neq_f32_e32 vcc_lo, s8, v22
	v_cmp_neq_f32_e64 s1, s9, v23
	s_or_b32 s6, vcc_lo, s1
	s_cbranch_execnz .LBB137_112
.LBB137_111:
	v_cmp_eq_f32_e32 vcc_lo, s8, v22
	v_cmp_eq_f32_e64 s1, s9, v23
	s_and_not1_b32 s6, s6, exec_lo
	s_and_b32 s1, vcc_lo, s1
	s_delay_alu instid0(SALU_CYCLE_1) | instskip(NEXT) | instid1(SALU_CYCLE_1)
	s_and_b32 s1, s1, exec_lo
	s_or_b32 s6, s6, s1
.LBB137_112:
	s_delay_alu instid0(SALU_CYCLE_1)
	v_cndmask_b32_e64 v24, 0, 1, s6
.LBB137_113:
	s_or_b32 exec_lo, exec_lo, s3
	v_or_b32_e32 v22, 0x600, v0
	s_delay_alu instid0(VALU_DEP_1)
	v_cmp_gt_i32_e32 vcc_lo, s10, v22
                                        ; implicit-def: $vgpr22
	s_and_saveexec_b32 s3, vcc_lo
	s_cbranch_execz .LBB137_118
; %bb.114:
	v_cmp_ne_u32_e32 vcc_lo, 1, v33
	s_cbranch_vccnz .LBB137_218
; %bb.115:
	v_cmp_neq_f32_e32 vcc_lo, s8, v20
	v_cmp_neq_f32_e64 s1, s9, v21
	s_or_b32 s6, vcc_lo, s1
	s_cbranch_execnz .LBB137_117
.LBB137_116:
	v_cmp_eq_f32_e32 vcc_lo, s8, v20
	v_cmp_eq_f32_e64 s1, s9, v21
	s_and_not1_b32 s6, s6, exec_lo
	s_and_b32 s1, vcc_lo, s1
	s_delay_alu instid0(SALU_CYCLE_1) | instskip(NEXT) | instid1(SALU_CYCLE_1)
	s_and_b32 s1, s1, exec_lo
	s_or_b32 s6, s6, s1
.LBB137_117:
	s_delay_alu instid0(SALU_CYCLE_1)
	v_cndmask_b32_e64 v22, 0, 1, s6
.LBB137_118:
	s_or_b32 exec_lo, exec_lo, s3
	v_or_b32_e32 v20, 0x700, v0
	s_delay_alu instid0(VALU_DEP_1)
	v_cmp_gt_i32_e32 vcc_lo, s10, v20
                                        ; implicit-def: $vgpr20
	s_and_saveexec_b32 s3, vcc_lo
	s_cbranch_execz .LBB137_123
; %bb.119:
	v_cmp_ne_u32_e32 vcc_lo, 1, v33
	s_cbranch_vccnz .LBB137_219
; %bb.120:
	v_cmp_neq_f32_e32 vcc_lo, s8, v18
	v_cmp_neq_f32_e64 s1, s9, v19
	s_or_b32 s6, vcc_lo, s1
	s_cbranch_execnz .LBB137_122
.LBB137_121:
	v_cmp_eq_f32_e32 vcc_lo, s8, v18
	v_cmp_eq_f32_e64 s1, s9, v19
	s_and_not1_b32 s6, s6, exec_lo
	s_and_b32 s1, vcc_lo, s1
	s_delay_alu instid0(SALU_CYCLE_1) | instskip(NEXT) | instid1(SALU_CYCLE_1)
	s_and_b32 s1, s1, exec_lo
	s_or_b32 s6, s6, s1
.LBB137_122:
	s_delay_alu instid0(SALU_CYCLE_1)
	v_cndmask_b32_e64 v20, 0, 1, s6
.LBB137_123:
	s_or_b32 exec_lo, exec_lo, s3
	v_or_b32_e32 v18, 0x800, v0
	s_delay_alu instid0(VALU_DEP_1)
	v_cmp_gt_i32_e32 vcc_lo, s10, v18
                                        ; implicit-def: $vgpr18
	s_and_saveexec_b32 s3, vcc_lo
	s_cbranch_execz .LBB137_128
; %bb.124:
	v_cmp_ne_u32_e32 vcc_lo, 1, v33
	s_cbranch_vccnz .LBB137_220
; %bb.125:
	s_wait_loadcnt 0x0
	v_cmp_neq_f32_e32 vcc_lo, s8, v16
	v_cmp_neq_f32_e64 s1, s9, v17
	s_or_b32 s6, vcc_lo, s1
	s_cbranch_execnz .LBB137_127
.LBB137_126:
	s_wait_loadcnt 0x0
	v_cmp_eq_f32_e32 vcc_lo, s8, v16
	v_cmp_eq_f32_e64 s1, s9, v17
	s_and_not1_b32 s6, s6, exec_lo
	s_and_b32 s1, vcc_lo, s1
	s_delay_alu instid0(SALU_CYCLE_1) | instskip(NEXT) | instid1(SALU_CYCLE_1)
	s_and_b32 s1, s1, exec_lo
	s_or_b32 s6, s6, s1
.LBB137_127:
	s_delay_alu instid0(SALU_CYCLE_1)
	v_cndmask_b32_e64 v18, 0, 1, s6
.LBB137_128:
	s_or_b32 exec_lo, exec_lo, s3
	s_wait_loadcnt 0x0
	v_or_b32_e32 v16, 0x900, v0
	s_delay_alu instid0(VALU_DEP_1)
	v_cmp_gt_i32_e32 vcc_lo, s10, v16
                                        ; implicit-def: $vgpr16
	s_and_saveexec_b32 s3, vcc_lo
	s_cbranch_execz .LBB137_133
; %bb.129:
	v_cmp_ne_u32_e32 vcc_lo, 1, v33
	s_cbranch_vccnz .LBB137_221
; %bb.130:
	v_cmp_neq_f32_e32 vcc_lo, s8, v14
	v_cmp_neq_f32_e64 s1, s9, v15
	s_or_b32 s6, vcc_lo, s1
	s_cbranch_execnz .LBB137_132
.LBB137_131:
	v_cmp_eq_f32_e32 vcc_lo, s8, v14
	v_cmp_eq_f32_e64 s1, s9, v15
	s_and_not1_b32 s6, s6, exec_lo
	s_and_b32 s1, vcc_lo, s1
	s_delay_alu instid0(SALU_CYCLE_1) | instskip(NEXT) | instid1(SALU_CYCLE_1)
	s_and_b32 s1, s1, exec_lo
	s_or_b32 s6, s6, s1
.LBB137_132:
	s_delay_alu instid0(SALU_CYCLE_1)
	v_cndmask_b32_e64 v16, 0, 1, s6
.LBB137_133:
	s_or_b32 exec_lo, exec_lo, s3
	v_or_b32_e32 v14, 0xa00, v0
	s_delay_alu instid0(VALU_DEP_1)
	v_cmp_gt_i32_e32 vcc_lo, s10, v14
                                        ; implicit-def: $vgpr14
	s_and_saveexec_b32 s3, vcc_lo
	s_cbranch_execz .LBB137_138
; %bb.134:
	v_cmp_ne_u32_e32 vcc_lo, 1, v33
	s_cbranch_vccnz .LBB137_222
; %bb.135:
	v_cmp_neq_f32_e32 vcc_lo, s8, v12
	v_cmp_neq_f32_e64 s1, s9, v13
	s_or_b32 s6, vcc_lo, s1
	s_cbranch_execnz .LBB137_137
.LBB137_136:
	v_cmp_eq_f32_e32 vcc_lo, s8, v12
	v_cmp_eq_f32_e64 s1, s9, v13
	s_and_not1_b32 s6, s6, exec_lo
	s_and_b32 s1, vcc_lo, s1
	s_delay_alu instid0(SALU_CYCLE_1) | instskip(NEXT) | instid1(SALU_CYCLE_1)
	s_and_b32 s1, s1, exec_lo
	s_or_b32 s6, s6, s1
.LBB137_137:
	s_delay_alu instid0(SALU_CYCLE_1)
	v_cndmask_b32_e64 v14, 0, 1, s6
.LBB137_138:
	s_or_b32 exec_lo, exec_lo, s3
	v_or_b32_e32 v12, 0xb00, v0
	s_delay_alu instid0(VALU_DEP_1)
	v_cmp_gt_i32_e32 vcc_lo, s10, v12
                                        ; implicit-def: $vgpr12
	s_and_saveexec_b32 s3, vcc_lo
	s_cbranch_execz .LBB137_143
; %bb.139:
	v_cmp_ne_u32_e32 vcc_lo, 1, v33
	s_cbranch_vccnz .LBB137_223
; %bb.140:
	v_cmp_neq_f32_e32 vcc_lo, s8, v10
	v_cmp_neq_f32_e64 s1, s9, v11
	s_or_b32 s6, vcc_lo, s1
	s_cbranch_execnz .LBB137_142
.LBB137_141:
	v_cmp_eq_f32_e32 vcc_lo, s8, v10
	v_cmp_eq_f32_e64 s1, s9, v11
	s_and_not1_b32 s6, s6, exec_lo
	s_and_b32 s1, vcc_lo, s1
	s_delay_alu instid0(SALU_CYCLE_1) | instskip(NEXT) | instid1(SALU_CYCLE_1)
	s_and_b32 s1, s1, exec_lo
	s_or_b32 s6, s6, s1
.LBB137_142:
	s_delay_alu instid0(SALU_CYCLE_1)
	v_cndmask_b32_e64 v12, 0, 1, s6
.LBB137_143:
	s_or_b32 exec_lo, exec_lo, s3
	v_or_b32_e32 v10, 0xc00, v0
	s_delay_alu instid0(VALU_DEP_1)
	v_cmp_gt_i32_e32 vcc_lo, s10, v10
                                        ; implicit-def: $vgpr10
	s_and_saveexec_b32 s3, vcc_lo
	s_cbranch_execz .LBB137_148
; %bb.144:
	v_cmp_ne_u32_e32 vcc_lo, 1, v33
	s_cbranch_vccnz .LBB137_224
; %bb.145:
	v_cmp_neq_f32_e32 vcc_lo, s8, v8
	v_cmp_neq_f32_e64 s1, s9, v9
	s_or_b32 s6, vcc_lo, s1
	s_cbranch_execnz .LBB137_147
.LBB137_146:
	v_cmp_eq_f32_e32 vcc_lo, s8, v8
	v_cmp_eq_f32_e64 s1, s9, v9
	s_and_not1_b32 s6, s6, exec_lo
	s_and_b32 s1, vcc_lo, s1
	s_delay_alu instid0(SALU_CYCLE_1) | instskip(NEXT) | instid1(SALU_CYCLE_1)
	s_and_b32 s1, s1, exec_lo
	s_or_b32 s6, s6, s1
.LBB137_147:
	s_delay_alu instid0(SALU_CYCLE_1)
	v_cndmask_b32_e64 v10, 0, 1, s6
.LBB137_148:
	s_or_b32 exec_lo, exec_lo, s3
	v_or_b32_e32 v8, 0xd00, v0
	s_delay_alu instid0(VALU_DEP_1)
	v_cmp_gt_i32_e32 vcc_lo, s10, v8
                                        ; implicit-def: $vgpr8
	s_and_saveexec_b32 s3, vcc_lo
	s_cbranch_execz .LBB137_153
; %bb.149:
	v_cmp_ne_u32_e32 vcc_lo, 1, v33
	s_cbranch_vccnz .LBB137_225
; %bb.150:
	v_cmp_neq_f32_e32 vcc_lo, s8, v6
	v_cmp_neq_f32_e64 s1, s9, v7
	s_or_b32 s6, vcc_lo, s1
	s_cbranch_execnz .LBB137_152
.LBB137_151:
	v_cmp_eq_f32_e32 vcc_lo, s8, v6
	v_cmp_eq_f32_e64 s1, s9, v7
	s_and_not1_b32 s6, s6, exec_lo
	s_and_b32 s1, vcc_lo, s1
	s_delay_alu instid0(SALU_CYCLE_1) | instskip(NEXT) | instid1(SALU_CYCLE_1)
	s_and_b32 s1, s1, exec_lo
	s_or_b32 s6, s6, s1
.LBB137_152:
	s_delay_alu instid0(SALU_CYCLE_1)
	v_cndmask_b32_e64 v8, 0, 1, s6
.LBB137_153:
	s_or_b32 exec_lo, exec_lo, s3
	v_or_b32_e32 v6, 0xe00, v0
	s_delay_alu instid0(VALU_DEP_1)
	v_cmp_gt_i32_e32 vcc_lo, s10, v6
                                        ; implicit-def: $vgpr6
	s_and_saveexec_b32 s3, vcc_lo
	s_cbranch_execz .LBB137_158
; %bb.154:
	v_cmp_ne_u32_e32 vcc_lo, 1, v33
	s_cbranch_vccnz .LBB137_226
; %bb.155:
	v_cmp_neq_f32_e32 vcc_lo, s8, v4
	v_cmp_neq_f32_e64 s1, s9, v5
	s_or_b32 s6, vcc_lo, s1
	s_cbranch_execnz .LBB137_157
.LBB137_156:
	v_cmp_eq_f32_e32 vcc_lo, s8, v4
	v_cmp_eq_f32_e64 s1, s9, v5
	s_and_not1_b32 s6, s6, exec_lo
	s_and_b32 s1, vcc_lo, s1
	s_delay_alu instid0(SALU_CYCLE_1) | instskip(NEXT) | instid1(SALU_CYCLE_1)
	s_and_b32 s1, s1, exec_lo
	s_or_b32 s6, s6, s1
.LBB137_157:
	s_delay_alu instid0(SALU_CYCLE_1)
	v_cndmask_b32_e64 v6, 0, 1, s6
.LBB137_158:
	s_or_b32 exec_lo, exec_lo, s3
	v_or_b32_e32 v4, 0xf00, v0
	s_delay_alu instid0(VALU_DEP_1)
	v_cmp_gt_i32_e32 vcc_lo, s10, v4
                                        ; implicit-def: $vgpr4
	s_and_saveexec_b32 s3, vcc_lo
	s_cbranch_execz .LBB137_163
; %bb.159:
	v_cmp_ne_u32_e32 vcc_lo, 1, v33
	s_cbranch_vccnz .LBB137_227
; %bb.160:
	v_cmp_neq_f32_e32 vcc_lo, s8, v2
	v_cmp_neq_f32_e64 s1, s9, v3
	s_or_b32 s6, vcc_lo, s1
	s_cbranch_execnz .LBB137_162
.LBB137_161:
	v_cmp_eq_f32_e32 vcc_lo, s8, v2
	v_cmp_eq_f32_e64 s1, s9, v3
	s_and_not1_b32 s6, s6, exec_lo
	s_and_b32 s1, vcc_lo, s1
	s_delay_alu instid0(SALU_CYCLE_1) | instskip(NEXT) | instid1(SALU_CYCLE_1)
	s_and_b32 s1, s1, exec_lo
	s_or_b32 s6, s6, s1
.LBB137_162:
	s_delay_alu instid0(SALU_CYCLE_1)
	v_cndmask_b32_e64 v4, 0, 1, s6
.LBB137_163:
	s_or_b32 exec_lo, exec_lo, s3
	s_and_saveexec_b32 s1, s0
	s_delay_alu instid0(SALU_CYCLE_1)
	s_xor_b32 s0, exec_lo, s1
	s_cbranch_execz .LBB137_165
; %bb.164:
	v_mov_b32_e32 v0, v34
	global_store_b8 v1, v35, s[4:5]
.LBB137_165:
	s_wait_xcnt 0x0
	s_or_b32 exec_lo, exec_lo, s0
	s_delay_alu instid0(SALU_CYCLE_1)
	s_mov_b32 s0, exec_lo
	v_cmpx_gt_i32_e64 s10, v0
	s_cbranch_execnz .LBB137_181
; %bb.166:
	s_or_b32 exec_lo, exec_lo, s0
	s_delay_alu instid0(SALU_CYCLE_1)
	s_mov_b32 s0, exec_lo
	v_cmpx_gt_i32_e64 s10, v0
	s_cbranch_execnz .LBB137_182
.LBB137_167:
	s_or_b32 exec_lo, exec_lo, s0
	s_delay_alu instid0(SALU_CYCLE_1)
	s_mov_b32 s0, exec_lo
	v_cmpx_gt_i32_e64 s10, v0
	s_cbranch_execnz .LBB137_183
.LBB137_168:
	s_or_b32 exec_lo, exec_lo, s0
	s_delay_alu instid0(SALU_CYCLE_1)
	s_mov_b32 s0, exec_lo
	v_cmpx_gt_i32_e64 s10, v0
	s_cbranch_execnz .LBB137_184
.LBB137_169:
	s_or_b32 exec_lo, exec_lo, s0
	s_delay_alu instid0(SALU_CYCLE_1)
	s_mov_b32 s0, exec_lo
	v_cmpx_gt_i32_e64 s10, v0
	s_cbranch_execnz .LBB137_185
.LBB137_170:
	s_or_b32 exec_lo, exec_lo, s0
	s_delay_alu instid0(SALU_CYCLE_1)
	s_mov_b32 s0, exec_lo
	v_cmpx_gt_i32_e64 s10, v0
	s_cbranch_execnz .LBB137_186
.LBB137_171:
	s_or_b32 exec_lo, exec_lo, s0
	s_delay_alu instid0(SALU_CYCLE_1)
	s_mov_b32 s0, exec_lo
	v_cmpx_gt_i32_e64 s10, v0
	s_cbranch_execnz .LBB137_187
.LBB137_172:
	s_or_b32 exec_lo, exec_lo, s0
	s_delay_alu instid0(SALU_CYCLE_1)
	s_mov_b32 s0, exec_lo
	v_cmpx_gt_i32_e64 s10, v0
	s_cbranch_execnz .LBB137_188
.LBB137_173:
	s_or_b32 exec_lo, exec_lo, s0
	s_delay_alu instid0(SALU_CYCLE_1)
	s_mov_b32 s0, exec_lo
	v_cmpx_gt_i32_e64 s10, v0
	s_cbranch_execnz .LBB137_189
.LBB137_174:
	s_or_b32 exec_lo, exec_lo, s0
	s_delay_alu instid0(SALU_CYCLE_1)
	s_mov_b32 s0, exec_lo
	v_cmpx_gt_i32_e64 s10, v0
	s_cbranch_execnz .LBB137_190
.LBB137_175:
	s_or_b32 exec_lo, exec_lo, s0
	s_delay_alu instid0(SALU_CYCLE_1)
	s_mov_b32 s0, exec_lo
	v_cmpx_gt_i32_e64 s10, v0
	s_cbranch_execnz .LBB137_191
.LBB137_176:
	s_or_b32 exec_lo, exec_lo, s0
	s_delay_alu instid0(SALU_CYCLE_1)
	s_mov_b32 s0, exec_lo
	v_cmpx_gt_i32_e64 s10, v0
	s_cbranch_execnz .LBB137_192
.LBB137_177:
	s_or_b32 exec_lo, exec_lo, s0
	s_delay_alu instid0(SALU_CYCLE_1)
	s_mov_b32 s0, exec_lo
	v_cmpx_gt_i32_e64 s10, v0
	s_cbranch_execnz .LBB137_193
.LBB137_178:
	s_or_b32 exec_lo, exec_lo, s0
	s_delay_alu instid0(SALU_CYCLE_1)
	s_mov_b32 s0, exec_lo
	v_cmpx_gt_i32_e64 s10, v0
	s_cbranch_execnz .LBB137_194
.LBB137_179:
	s_or_b32 exec_lo, exec_lo, s0
	s_delay_alu instid0(SALU_CYCLE_1)
	s_mov_b32 s0, exec_lo
	v_cmpx_gt_i32_e64 s10, v0
	s_cbranch_execz .LBB137_195
.LBB137_180:
	v_add_nc_u32_e32 v0, s2, v0
	global_store_b8 v0, v4, s[4:5]
	s_endpgm
.LBB137_181:
	v_add_nc_u32_e32 v1, s2, v0
	v_add_nc_u32_e32 v0, 0x100, v0
	global_store_b8 v1, v32, s[4:5]
	s_wait_xcnt 0x0
	s_or_b32 exec_lo, exec_lo, s0
	s_delay_alu instid0(SALU_CYCLE_1)
	s_mov_b32 s0, exec_lo
	v_cmpx_gt_i32_e64 s10, v0
	s_cbranch_execz .LBB137_167
.LBB137_182:
	v_add_nc_u32_e32 v1, s2, v0
	v_add_nc_u32_e32 v0, 0x100, v0
	global_store_b8 v1, v28, s[4:5]
	s_wait_xcnt 0x0
	s_or_b32 exec_lo, exec_lo, s0
	s_delay_alu instid0(SALU_CYCLE_1)
	s_mov_b32 s0, exec_lo
	v_cmpx_gt_i32_e64 s10, v0
	s_cbranch_execz .LBB137_168
.LBB137_183:
	v_add_nc_u32_e32 v1, s2, v0
	v_add_nc_u32_e32 v0, 0x100, v0
	global_store_b8 v1, v29, s[4:5]
	s_wait_xcnt 0x0
	s_or_b32 exec_lo, exec_lo, s0
	s_delay_alu instid0(SALU_CYCLE_1)
	s_mov_b32 s0, exec_lo
	v_cmpx_gt_i32_e64 s10, v0
	s_cbranch_execz .LBB137_169
.LBB137_184:
	v_add_nc_u32_e32 v1, s2, v0
	v_add_nc_u32_e32 v0, 0x100, v0
	global_store_b8 v1, v26, s[4:5]
	s_wait_xcnt 0x0
	s_or_b32 exec_lo, exec_lo, s0
	s_delay_alu instid0(SALU_CYCLE_1)
	s_mov_b32 s0, exec_lo
	v_cmpx_gt_i32_e64 s10, v0
	s_cbranch_execz .LBB137_170
.LBB137_185:
	v_add_nc_u32_e32 v1, s2, v0
	v_add_nc_u32_e32 v0, 0x100, v0
	global_store_b8 v1, v24, s[4:5]
	s_wait_xcnt 0x0
	s_or_b32 exec_lo, exec_lo, s0
	s_delay_alu instid0(SALU_CYCLE_1)
	s_mov_b32 s0, exec_lo
	v_cmpx_gt_i32_e64 s10, v0
	s_cbranch_execz .LBB137_171
.LBB137_186:
	v_add_nc_u32_e32 v1, s2, v0
	v_add_nc_u32_e32 v0, 0x100, v0
	global_store_b8 v1, v22, s[4:5]
	s_wait_xcnt 0x0
	s_or_b32 exec_lo, exec_lo, s0
	s_delay_alu instid0(SALU_CYCLE_1)
	s_mov_b32 s0, exec_lo
	v_cmpx_gt_i32_e64 s10, v0
	s_cbranch_execz .LBB137_172
.LBB137_187:
	v_add_nc_u32_e32 v1, s2, v0
	v_add_nc_u32_e32 v0, 0x100, v0
	global_store_b8 v1, v20, s[4:5]
	s_wait_xcnt 0x0
	s_or_b32 exec_lo, exec_lo, s0
	s_delay_alu instid0(SALU_CYCLE_1)
	s_mov_b32 s0, exec_lo
	v_cmpx_gt_i32_e64 s10, v0
	s_cbranch_execz .LBB137_173
.LBB137_188:
	v_add_nc_u32_e32 v1, s2, v0
	v_add_nc_u32_e32 v0, 0x100, v0
	global_store_b8 v1, v18, s[4:5]
	s_wait_xcnt 0x0
	s_or_b32 exec_lo, exec_lo, s0
	s_delay_alu instid0(SALU_CYCLE_1)
	s_mov_b32 s0, exec_lo
	v_cmpx_gt_i32_e64 s10, v0
	s_cbranch_execz .LBB137_174
.LBB137_189:
	v_add_nc_u32_e32 v1, s2, v0
	v_add_nc_u32_e32 v0, 0x100, v0
	global_store_b8 v1, v16, s[4:5]
	s_wait_xcnt 0x0
	s_or_b32 exec_lo, exec_lo, s0
	s_delay_alu instid0(SALU_CYCLE_1)
	s_mov_b32 s0, exec_lo
	v_cmpx_gt_i32_e64 s10, v0
	s_cbranch_execz .LBB137_175
.LBB137_190:
	v_add_nc_u32_e32 v1, s2, v0
	v_add_nc_u32_e32 v0, 0x100, v0
	global_store_b8 v1, v14, s[4:5]
	s_wait_xcnt 0x0
	s_or_b32 exec_lo, exec_lo, s0
	s_delay_alu instid0(SALU_CYCLE_1)
	s_mov_b32 s0, exec_lo
	v_cmpx_gt_i32_e64 s10, v0
	s_cbranch_execz .LBB137_176
.LBB137_191:
	v_add_nc_u32_e32 v1, s2, v0
	v_add_nc_u32_e32 v0, 0x100, v0
	global_store_b8 v1, v12, s[4:5]
	s_wait_xcnt 0x0
	s_or_b32 exec_lo, exec_lo, s0
	s_delay_alu instid0(SALU_CYCLE_1)
	s_mov_b32 s0, exec_lo
	v_cmpx_gt_i32_e64 s10, v0
	s_cbranch_execz .LBB137_177
.LBB137_192:
	v_add_nc_u32_e32 v1, s2, v0
	v_add_nc_u32_e32 v0, 0x100, v0
	global_store_b8 v1, v10, s[4:5]
	s_wait_xcnt 0x0
	s_or_b32 exec_lo, exec_lo, s0
	s_delay_alu instid0(SALU_CYCLE_1)
	s_mov_b32 s0, exec_lo
	v_cmpx_gt_i32_e64 s10, v0
	s_cbranch_execz .LBB137_178
.LBB137_193:
	v_add_nc_u32_e32 v1, s2, v0
	v_add_nc_u32_e32 v0, 0x100, v0
	global_store_b8 v1, v8, s[4:5]
	s_wait_xcnt 0x0
	s_or_b32 exec_lo, exec_lo, s0
	s_delay_alu instid0(SALU_CYCLE_1)
	s_mov_b32 s0, exec_lo
	v_cmpx_gt_i32_e64 s10, v0
	s_cbranch_execz .LBB137_179
.LBB137_194:
	v_add_nc_u32_e32 v1, s2, v0
	v_add_nc_u32_e32 v0, 0x100, v0
	global_store_b8 v1, v6, s[4:5]
	s_wait_xcnt 0x0
	s_or_b32 exec_lo, exec_lo, s0
	s_delay_alu instid0(SALU_CYCLE_1)
	s_mov_b32 s0, exec_lo
	v_cmpx_gt_i32_e64 s10, v0
	s_cbranch_execnz .LBB137_180
.LBB137_195:
	s_endpgm
.LBB137_196:
	s_wait_xcnt 0x0
                                        ; implicit-def: $sgpr1
	s_branch .LBB137_3
.LBB137_197:
                                        ; implicit-def: $sgpr12
	s_branch .LBB137_6
.LBB137_198:
                                        ; implicit-def: $sgpr13
	s_branch .LBB137_9
.LBB137_199:
                                        ; implicit-def: $sgpr14
	s_branch .LBB137_12
.LBB137_200:
                                        ; implicit-def: $sgpr15
	s_branch .LBB137_15
.LBB137_201:
                                        ; implicit-def: $sgpr16
	s_branch .LBB137_18
.LBB137_202:
                                        ; implicit-def: $sgpr17
	s_branch .LBB137_21
.LBB137_203:
                                        ; implicit-def: $sgpr18
	s_branch .LBB137_24
.LBB137_204:
                                        ; implicit-def: $sgpr19
	s_branch .LBB137_27
.LBB137_205:
                                        ; implicit-def: $sgpr20
	s_branch .LBB137_30
.LBB137_206:
                                        ; implicit-def: $sgpr21
	s_branch .LBB137_33
.LBB137_207:
                                        ; implicit-def: $sgpr22
	s_branch .LBB137_36
.LBB137_208:
                                        ; implicit-def: $sgpr23
	s_branch .LBB137_39
.LBB137_209:
                                        ; implicit-def: $sgpr24
	s_branch .LBB137_42
.LBB137_210:
                                        ; implicit-def: $sgpr25
	s_branch .LBB137_45
.LBB137_211:
                                        ; implicit-def: $sgpr26
	s_branch .LBB137_48
.LBB137_212:
                                        ; implicit-def: $sgpr7
	s_branch .LBB137_86
.LBB137_213:
                                        ; implicit-def: $sgpr3
	s_branch .LBB137_91
.LBB137_214:
                                        ; implicit-def: $sgpr6
	s_branch .LBB137_96
.LBB137_215:
                                        ; implicit-def: $sgpr6
	s_branch .LBB137_101
.LBB137_216:
                                        ; implicit-def: $sgpr6
	s_branch .LBB137_106
.LBB137_217:
                                        ; implicit-def: $sgpr6
	s_branch .LBB137_111
.LBB137_218:
                                        ; implicit-def: $sgpr6
	s_branch .LBB137_116
.LBB137_219:
                                        ; implicit-def: $sgpr6
	s_branch .LBB137_121
.LBB137_220:
                                        ; implicit-def: $sgpr6
	s_branch .LBB137_126
.LBB137_221:
                                        ; implicit-def: $sgpr6
	s_branch .LBB137_131
.LBB137_222:
                                        ; implicit-def: $sgpr6
	s_branch .LBB137_136
.LBB137_223:
                                        ; implicit-def: $sgpr6
	s_branch .LBB137_141
.LBB137_224:
                                        ; implicit-def: $sgpr6
	s_branch .LBB137_146
.LBB137_225:
                                        ; implicit-def: $sgpr6
	s_branch .LBB137_151
.LBB137_226:
                                        ; implicit-def: $sgpr6
	s_branch .LBB137_156
.LBB137_227:
                                        ; implicit-def: $sgpr6
	s_branch .LBB137_161
	.section	.rodata,"a",@progbits
	.p2align	6, 0x0
	.amdhsa_kernel _ZN2at6native29vectorized_elementwise_kernelILi8ENS0_13AUnaryFunctorIN3c107complexIfEES5_bNS0_12_GLOBAL__N_116CompareEqFunctorIS5_EEEESt5arrayIPcLm2EEEEviT0_T1_
		.amdhsa_group_segment_fixed_size 0
		.amdhsa_private_segment_fixed_size 0
		.amdhsa_kernarg_size 40
		.amdhsa_user_sgpr_count 2
		.amdhsa_user_sgpr_dispatch_ptr 0
		.amdhsa_user_sgpr_queue_ptr 0
		.amdhsa_user_sgpr_kernarg_segment_ptr 1
		.amdhsa_user_sgpr_dispatch_id 0
		.amdhsa_user_sgpr_kernarg_preload_length 0
		.amdhsa_user_sgpr_kernarg_preload_offset 0
		.amdhsa_user_sgpr_private_segment_size 0
		.amdhsa_wavefront_size32 1
		.amdhsa_uses_dynamic_stack 0
		.amdhsa_enable_private_segment 0
		.amdhsa_system_sgpr_workgroup_id_x 1
		.amdhsa_system_sgpr_workgroup_id_y 0
		.amdhsa_system_sgpr_workgroup_id_z 0
		.amdhsa_system_sgpr_workgroup_info 0
		.amdhsa_system_vgpr_workitem_id 0
		.amdhsa_next_free_vgpr 36
		.amdhsa_next_free_sgpr 27
		.amdhsa_named_barrier_count 0
		.amdhsa_reserve_vcc 1
		.amdhsa_float_round_mode_32 0
		.amdhsa_float_round_mode_16_64 0
		.amdhsa_float_denorm_mode_32 3
		.amdhsa_float_denorm_mode_16_64 3
		.amdhsa_fp16_overflow 0
		.amdhsa_memory_ordered 1
		.amdhsa_forward_progress 1
		.amdhsa_inst_pref_size 43
		.amdhsa_round_robin_scheduling 0
		.amdhsa_exception_fp_ieee_invalid_op 0
		.amdhsa_exception_fp_denorm_src 0
		.amdhsa_exception_fp_ieee_div_zero 0
		.amdhsa_exception_fp_ieee_overflow 0
		.amdhsa_exception_fp_ieee_underflow 0
		.amdhsa_exception_fp_ieee_inexact 0
		.amdhsa_exception_int_div_zero 0
	.end_amdhsa_kernel
	.section	.text._ZN2at6native29vectorized_elementwise_kernelILi8ENS0_13AUnaryFunctorIN3c107complexIfEES5_bNS0_12_GLOBAL__N_116CompareEqFunctorIS5_EEEESt5arrayIPcLm2EEEEviT0_T1_,"axG",@progbits,_ZN2at6native29vectorized_elementwise_kernelILi8ENS0_13AUnaryFunctorIN3c107complexIfEES5_bNS0_12_GLOBAL__N_116CompareEqFunctorIS5_EEEESt5arrayIPcLm2EEEEviT0_T1_,comdat
.Lfunc_end137:
	.size	_ZN2at6native29vectorized_elementwise_kernelILi8ENS0_13AUnaryFunctorIN3c107complexIfEES5_bNS0_12_GLOBAL__N_116CompareEqFunctorIS5_EEEESt5arrayIPcLm2EEEEviT0_T1_, .Lfunc_end137-_ZN2at6native29vectorized_elementwise_kernelILi8ENS0_13AUnaryFunctorIN3c107complexIfEES5_bNS0_12_GLOBAL__N_116CompareEqFunctorIS5_EEEESt5arrayIPcLm2EEEEviT0_T1_
                                        ; -- End function
	.set _ZN2at6native29vectorized_elementwise_kernelILi8ENS0_13AUnaryFunctorIN3c107complexIfEES5_bNS0_12_GLOBAL__N_116CompareEqFunctorIS5_EEEESt5arrayIPcLm2EEEEviT0_T1_.num_vgpr, 36
	.set _ZN2at6native29vectorized_elementwise_kernelILi8ENS0_13AUnaryFunctorIN3c107complexIfEES5_bNS0_12_GLOBAL__N_116CompareEqFunctorIS5_EEEESt5arrayIPcLm2EEEEviT0_T1_.num_agpr, 0
	.set _ZN2at6native29vectorized_elementwise_kernelILi8ENS0_13AUnaryFunctorIN3c107complexIfEES5_bNS0_12_GLOBAL__N_116CompareEqFunctorIS5_EEEESt5arrayIPcLm2EEEEviT0_T1_.numbered_sgpr, 27
	.set _ZN2at6native29vectorized_elementwise_kernelILi8ENS0_13AUnaryFunctorIN3c107complexIfEES5_bNS0_12_GLOBAL__N_116CompareEqFunctorIS5_EEEESt5arrayIPcLm2EEEEviT0_T1_.num_named_barrier, 0
	.set _ZN2at6native29vectorized_elementwise_kernelILi8ENS0_13AUnaryFunctorIN3c107complexIfEES5_bNS0_12_GLOBAL__N_116CompareEqFunctorIS5_EEEESt5arrayIPcLm2EEEEviT0_T1_.private_seg_size, 0
	.set _ZN2at6native29vectorized_elementwise_kernelILi8ENS0_13AUnaryFunctorIN3c107complexIfEES5_bNS0_12_GLOBAL__N_116CompareEqFunctorIS5_EEEESt5arrayIPcLm2EEEEviT0_T1_.uses_vcc, 1
	.set _ZN2at6native29vectorized_elementwise_kernelILi8ENS0_13AUnaryFunctorIN3c107complexIfEES5_bNS0_12_GLOBAL__N_116CompareEqFunctorIS5_EEEESt5arrayIPcLm2EEEEviT0_T1_.uses_flat_scratch, 0
	.set _ZN2at6native29vectorized_elementwise_kernelILi8ENS0_13AUnaryFunctorIN3c107complexIfEES5_bNS0_12_GLOBAL__N_116CompareEqFunctorIS5_EEEESt5arrayIPcLm2EEEEviT0_T1_.has_dyn_sized_stack, 0
	.set _ZN2at6native29vectorized_elementwise_kernelILi8ENS0_13AUnaryFunctorIN3c107complexIfEES5_bNS0_12_GLOBAL__N_116CompareEqFunctorIS5_EEEESt5arrayIPcLm2EEEEviT0_T1_.has_recursion, 0
	.set _ZN2at6native29vectorized_elementwise_kernelILi8ENS0_13AUnaryFunctorIN3c107complexIfEES5_bNS0_12_GLOBAL__N_116CompareEqFunctorIS5_EEEESt5arrayIPcLm2EEEEviT0_T1_.has_indirect_call, 0
	.section	.AMDGPU.csdata,"",@progbits
; Kernel info:
; codeLenInByte = 5488
; TotalNumSgprs: 29
; NumVgprs: 36
; ScratchSize: 0
; MemoryBound: 1
; FloatMode: 240
; IeeeMode: 1
; LDSByteSize: 0 bytes/workgroup (compile time only)
; SGPRBlocks: 0
; VGPRBlocks: 2
; NumSGPRsForWavesPerEU: 29
; NumVGPRsForWavesPerEU: 36
; NamedBarCnt: 0
; Occupancy: 16
; WaveLimiterHint : 1
; COMPUTE_PGM_RSRC2:SCRATCH_EN: 0
; COMPUTE_PGM_RSRC2:USER_SGPR: 2
; COMPUTE_PGM_RSRC2:TRAP_HANDLER: 0
; COMPUTE_PGM_RSRC2:TGID_X_EN: 1
; COMPUTE_PGM_RSRC2:TGID_Y_EN: 0
; COMPUTE_PGM_RSRC2:TGID_Z_EN: 0
; COMPUTE_PGM_RSRC2:TIDIG_COMP_CNT: 0
	.section	.text._ZN2at6native29vectorized_elementwise_kernelILi4ENS0_13AUnaryFunctorIN3c107complexIfEES5_bNS0_12_GLOBAL__N_116CompareEqFunctorIS5_EEEESt5arrayIPcLm2EEEEviT0_T1_,"axG",@progbits,_ZN2at6native29vectorized_elementwise_kernelILi4ENS0_13AUnaryFunctorIN3c107complexIfEES5_bNS0_12_GLOBAL__N_116CompareEqFunctorIS5_EEEESt5arrayIPcLm2EEEEviT0_T1_,comdat
	.globl	_ZN2at6native29vectorized_elementwise_kernelILi4ENS0_13AUnaryFunctorIN3c107complexIfEES5_bNS0_12_GLOBAL__N_116CompareEqFunctorIS5_EEEESt5arrayIPcLm2EEEEviT0_T1_ ; -- Begin function _ZN2at6native29vectorized_elementwise_kernelILi4ENS0_13AUnaryFunctorIN3c107complexIfEES5_bNS0_12_GLOBAL__N_116CompareEqFunctorIS5_EEEESt5arrayIPcLm2EEEEviT0_T1_
	.p2align	8
	.type	_ZN2at6native29vectorized_elementwise_kernelILi4ENS0_13AUnaryFunctorIN3c107complexIfEES5_bNS0_12_GLOBAL__N_116CompareEqFunctorIS5_EEEESt5arrayIPcLm2EEEEviT0_T1_,@function
_ZN2at6native29vectorized_elementwise_kernelILi4ENS0_13AUnaryFunctorIN3c107complexIfEES5_bNS0_12_GLOBAL__N_116CompareEqFunctorIS5_EEEESt5arrayIPcLm2EEEEviT0_T1_: ; @_ZN2at6native29vectorized_elementwise_kernelILi4ENS0_13AUnaryFunctorIN3c107complexIfEES5_bNS0_12_GLOBAL__N_116CompareEqFunctorIS5_EEEESt5arrayIPcLm2EEEEviT0_T1_
; %bb.0:
	s_clause 0x3
	s_load_b32 s3, s[0:1], 0x0
	s_load_b32 s11, s[0:1], 0x8
	s_load_b64 s[8:9], s[0:1], 0x10
	s_load_b128 s[4:7], s[0:1], 0x18
	s_wait_xcnt 0x0
	s_bfe_u32 s0, ttmp6, 0x4000c
	s_and_b32 s1, ttmp6, 15
	s_add_co_i32 s0, s0, 1
	s_getreg_b32 s2, hwreg(HW_REG_IB_STS2, 6, 4)
	s_mul_i32 s0, ttmp9, s0
	s_delay_alu instid0(SALU_CYCLE_1) | instskip(SKIP_2) | instid1(SALU_CYCLE_1)
	s_add_co_i32 s1, s1, s0
	s_cmp_eq_u32 s2, 0
	s_cselect_b32 s0, ttmp9, s1
	s_lshl_b32 s2, s0, 12
	s_mov_b32 s0, -1
	s_wait_kmcnt 0x0
	s_sub_co_i32 s10, s3, s2
	s_delay_alu instid0(SALU_CYCLE_1)
	s_cmp_gt_i32 s10, 0xfff
	s_cbranch_scc0 .LBB138_50
; %bb.1:
	s_ashr_i32 s3, s2, 31
	v_lshlrev_b32_e32 v1, 5, v0
	s_lshl_b64 s[0:1], s[2:3], 3
	s_cmp_lg_u32 s11, 0
	s_add_nc_u64 s[0:1], s[6:7], s[0:1]
	s_cselect_b32 s12, -1, 0
	s_clause 0x7
	global_load_b128 v[26:29], v1, s[0:1] offset:16
	global_load_b128 v[30:33], v1, s[0:1]
	global_load_b128 v[18:21], v1, s[0:1] offset:8208
	global_load_b128 v[22:25], v1, s[0:1] offset:8192
	global_load_b128 v[10:13], v1, s[0:1] offset:16400
	global_load_b128 v[14:17], v1, s[0:1] offset:16384
	global_load_b128 v[2:5], v1, s[0:1] offset:24592
	global_load_b128 v[6:9], v1, s[0:1] offset:24576
	s_and_b32 vcc_lo, exec_lo, s12
	s_cbranch_vccz .LBB138_196
; %bb.2:
	s_wait_loadcnt 0x6
	v_cmp_neq_f32_e32 vcc_lo, s8, v30
	s_wait_xcnt 0x0
	v_cmp_neq_f32_e64 s0, s9, v31
	s_or_b32 s1, vcc_lo, s0
	s_cbranch_execnz .LBB138_4
.LBB138_3:
	s_wait_loadcnt 0x6
	v_cmp_eq_f32_e32 vcc_lo, s8, v30
	v_cmp_eq_f32_e64 s0, s9, v31
	s_and_not1_b32 s1, s1, exec_lo
	s_and_b32 s0, vcc_lo, s0
	s_delay_alu instid0(SALU_CYCLE_1) | instskip(NEXT) | instid1(SALU_CYCLE_1)
	s_and_b32 s0, s0, exec_lo
	s_or_b32 s1, s1, s0
.LBB138_4:
	v_cndmask_b32_e64 v1, 0, 1, s12
	s_and_not1_b32 vcc_lo, exec_lo, s12
	s_cbranch_vccnz .LBB138_197
; %bb.5:
	s_wait_loadcnt 0x6
	v_cmp_neq_f32_e32 vcc_lo, s8, v32
	v_cmp_neq_f32_e64 s0, s9, v33
	s_or_b32 s12, vcc_lo, s0
	s_cbranch_execnz .LBB138_7
.LBB138_6:
	s_wait_loadcnt 0x6
	v_cmp_eq_f32_e32 vcc_lo, s8, v32
	v_cmp_eq_f32_e64 s0, s9, v33
	s_and_not1_b32 s12, s12, exec_lo
	s_and_b32 s0, vcc_lo, s0
	s_delay_alu instid0(SALU_CYCLE_1) | instskip(NEXT) | instid1(SALU_CYCLE_1)
	s_and_b32 s0, s0, exec_lo
	s_or_b32 s12, s12, s0
.LBB138_7:
	v_cmp_ne_u32_e32 vcc_lo, 1, v1
	s_cbranch_vccnz .LBB138_198
; %bb.8:
	s_wait_loadcnt 0x7
	v_cmp_neq_f32_e32 vcc_lo, s8, v26
	v_cmp_neq_f32_e64 s0, s9, v27
	s_or_b32 s13, vcc_lo, s0
	s_cbranch_execnz .LBB138_10
.LBB138_9:
	s_wait_loadcnt 0x7
	v_cmp_eq_f32_e32 vcc_lo, s8, v26
	v_cmp_eq_f32_e64 s0, s9, v27
	s_and_not1_b32 s13, s13, exec_lo
	s_and_b32 s0, vcc_lo, s0
	s_delay_alu instid0(SALU_CYCLE_1) | instskip(NEXT) | instid1(SALU_CYCLE_1)
	s_and_b32 s0, s0, exec_lo
	s_or_b32 s13, s13, s0
.LBB138_10:
	v_cmp_ne_u32_e32 vcc_lo, 1, v1
	s_cbranch_vccnz .LBB138_199
; %bb.11:
	s_wait_loadcnt 0x7
	v_cmp_neq_f32_e32 vcc_lo, s8, v28
	v_cmp_neq_f32_e64 s0, s9, v29
	s_or_b32 s14, vcc_lo, s0
	s_cbranch_execnz .LBB138_13
.LBB138_12:
	s_wait_loadcnt 0x7
	v_cmp_eq_f32_e32 vcc_lo, s8, v28
	v_cmp_eq_f32_e64 s0, s9, v29
	s_and_not1_b32 s14, s14, exec_lo
	s_and_b32 s0, vcc_lo, s0
	s_delay_alu instid0(SALU_CYCLE_1) | instskip(NEXT) | instid1(SALU_CYCLE_1)
	s_and_b32 s0, s0, exec_lo
	s_or_b32 s14, s14, s0
.LBB138_13:
	v_cmp_ne_u32_e32 vcc_lo, 1, v1
	s_cbranch_vccnz .LBB138_200
; %bb.14:
	s_wait_loadcnt 0x4
	v_cmp_neq_f32_e32 vcc_lo, s8, v22
	v_cmp_neq_f32_e64 s0, s9, v23
	s_or_b32 s15, vcc_lo, s0
	s_cbranch_execnz .LBB138_16
.LBB138_15:
	s_wait_loadcnt 0x4
	v_cmp_eq_f32_e32 vcc_lo, s8, v22
	v_cmp_eq_f32_e64 s0, s9, v23
	s_and_not1_b32 s15, s15, exec_lo
	s_and_b32 s0, vcc_lo, s0
	s_delay_alu instid0(SALU_CYCLE_1) | instskip(NEXT) | instid1(SALU_CYCLE_1)
	s_and_b32 s0, s0, exec_lo
	s_or_b32 s15, s15, s0
.LBB138_16:
	v_cmp_ne_u32_e32 vcc_lo, 1, v1
	s_cbranch_vccnz .LBB138_201
; %bb.17:
	s_wait_loadcnt 0x4
	v_cmp_neq_f32_e32 vcc_lo, s8, v24
	v_cmp_neq_f32_e64 s0, s9, v25
	s_or_b32 s16, vcc_lo, s0
	s_cbranch_execnz .LBB138_19
.LBB138_18:
	s_wait_loadcnt 0x4
	v_cmp_eq_f32_e32 vcc_lo, s8, v24
	v_cmp_eq_f32_e64 s0, s9, v25
	s_and_not1_b32 s16, s16, exec_lo
	s_and_b32 s0, vcc_lo, s0
	s_delay_alu instid0(SALU_CYCLE_1) | instskip(NEXT) | instid1(SALU_CYCLE_1)
	s_and_b32 s0, s0, exec_lo
	s_or_b32 s16, s16, s0
.LBB138_19:
	v_cmp_ne_u32_e32 vcc_lo, 1, v1
	s_cbranch_vccnz .LBB138_202
; %bb.20:
	s_wait_loadcnt 0x5
	v_cmp_neq_f32_e32 vcc_lo, s8, v18
	v_cmp_neq_f32_e64 s0, s9, v19
	s_or_b32 s17, vcc_lo, s0
	s_cbranch_execnz .LBB138_22
.LBB138_21:
	s_wait_loadcnt 0x5
	v_cmp_eq_f32_e32 vcc_lo, s8, v18
	v_cmp_eq_f32_e64 s0, s9, v19
	s_and_not1_b32 s17, s17, exec_lo
	s_and_b32 s0, vcc_lo, s0
	s_delay_alu instid0(SALU_CYCLE_1) | instskip(NEXT) | instid1(SALU_CYCLE_1)
	s_and_b32 s0, s0, exec_lo
	s_or_b32 s17, s17, s0
.LBB138_22:
	v_cmp_ne_u32_e32 vcc_lo, 1, v1
	s_cbranch_vccnz .LBB138_203
; %bb.23:
	s_wait_loadcnt 0x5
	v_cmp_neq_f32_e32 vcc_lo, s8, v20
	v_cmp_neq_f32_e64 s0, s9, v21
	s_or_b32 s18, vcc_lo, s0
	s_cbranch_execnz .LBB138_25
.LBB138_24:
	s_wait_loadcnt 0x5
	v_cmp_eq_f32_e32 vcc_lo, s8, v20
	v_cmp_eq_f32_e64 s0, s9, v21
	s_and_not1_b32 s18, s18, exec_lo
	s_and_b32 s0, vcc_lo, s0
	s_delay_alu instid0(SALU_CYCLE_1) | instskip(NEXT) | instid1(SALU_CYCLE_1)
	s_and_b32 s0, s0, exec_lo
	s_or_b32 s18, s18, s0
.LBB138_25:
	v_cmp_ne_u32_e32 vcc_lo, 1, v1
	s_cbranch_vccnz .LBB138_204
; %bb.26:
	s_wait_loadcnt 0x2
	v_cmp_neq_f32_e32 vcc_lo, s8, v14
	v_cmp_neq_f32_e64 s0, s9, v15
	s_or_b32 s19, vcc_lo, s0
	s_cbranch_execnz .LBB138_28
.LBB138_27:
	s_wait_loadcnt 0x2
	v_cmp_eq_f32_e32 vcc_lo, s8, v14
	v_cmp_eq_f32_e64 s0, s9, v15
	s_and_not1_b32 s19, s19, exec_lo
	s_and_b32 s0, vcc_lo, s0
	s_delay_alu instid0(SALU_CYCLE_1) | instskip(NEXT) | instid1(SALU_CYCLE_1)
	s_and_b32 s0, s0, exec_lo
	s_or_b32 s19, s19, s0
.LBB138_28:
	v_cmp_ne_u32_e32 vcc_lo, 1, v1
	s_cbranch_vccnz .LBB138_205
; %bb.29:
	s_wait_loadcnt 0x2
	v_cmp_neq_f32_e32 vcc_lo, s8, v16
	v_cmp_neq_f32_e64 s0, s9, v17
	s_or_b32 s20, vcc_lo, s0
	s_cbranch_execnz .LBB138_31
.LBB138_30:
	s_wait_loadcnt 0x2
	v_cmp_eq_f32_e32 vcc_lo, s8, v16
	v_cmp_eq_f32_e64 s0, s9, v17
	s_and_not1_b32 s20, s20, exec_lo
	s_and_b32 s0, vcc_lo, s0
	s_delay_alu instid0(SALU_CYCLE_1) | instskip(NEXT) | instid1(SALU_CYCLE_1)
	s_and_b32 s0, s0, exec_lo
	s_or_b32 s20, s20, s0
.LBB138_31:
	v_cmp_ne_u32_e32 vcc_lo, 1, v1
	s_cbranch_vccnz .LBB138_206
; %bb.32:
	s_wait_loadcnt 0x3
	v_cmp_neq_f32_e32 vcc_lo, s8, v10
	v_cmp_neq_f32_e64 s0, s9, v11
	s_or_b32 s21, vcc_lo, s0
	s_cbranch_execnz .LBB138_34
.LBB138_33:
	s_wait_loadcnt 0x3
	v_cmp_eq_f32_e32 vcc_lo, s8, v10
	v_cmp_eq_f32_e64 s0, s9, v11
	s_and_not1_b32 s21, s21, exec_lo
	s_and_b32 s0, vcc_lo, s0
	s_delay_alu instid0(SALU_CYCLE_1) | instskip(NEXT) | instid1(SALU_CYCLE_1)
	s_and_b32 s0, s0, exec_lo
	s_or_b32 s21, s21, s0
.LBB138_34:
	v_cmp_ne_u32_e32 vcc_lo, 1, v1
	s_cbranch_vccnz .LBB138_207
; %bb.35:
	s_wait_loadcnt 0x3
	v_cmp_neq_f32_e32 vcc_lo, s8, v12
	v_cmp_neq_f32_e64 s0, s9, v13
	s_or_b32 s22, vcc_lo, s0
	s_cbranch_execnz .LBB138_37
.LBB138_36:
	s_wait_loadcnt 0x3
	v_cmp_eq_f32_e32 vcc_lo, s8, v12
	v_cmp_eq_f32_e64 s0, s9, v13
	s_and_not1_b32 s22, s22, exec_lo
	s_and_b32 s0, vcc_lo, s0
	s_delay_alu instid0(SALU_CYCLE_1) | instskip(NEXT) | instid1(SALU_CYCLE_1)
	s_and_b32 s0, s0, exec_lo
	s_or_b32 s22, s22, s0
.LBB138_37:
	v_cmp_ne_u32_e32 vcc_lo, 1, v1
	s_cbranch_vccnz .LBB138_208
; %bb.38:
	s_wait_loadcnt 0x0
	v_cmp_neq_f32_e32 vcc_lo, s8, v6
	v_cmp_neq_f32_e64 s0, s9, v7
	s_or_b32 s23, vcc_lo, s0
	s_cbranch_execnz .LBB138_40
.LBB138_39:
	s_wait_loadcnt 0x0
	v_cmp_eq_f32_e32 vcc_lo, s8, v6
	v_cmp_eq_f32_e64 s0, s9, v7
	s_and_not1_b32 s23, s23, exec_lo
	s_and_b32 s0, vcc_lo, s0
	s_delay_alu instid0(SALU_CYCLE_1) | instskip(NEXT) | instid1(SALU_CYCLE_1)
	s_and_b32 s0, s0, exec_lo
	s_or_b32 s23, s23, s0
.LBB138_40:
	v_cmp_ne_u32_e32 vcc_lo, 1, v1
	s_cbranch_vccnz .LBB138_209
; %bb.41:
	s_wait_loadcnt 0x0
	v_cmp_neq_f32_e32 vcc_lo, s8, v8
	v_cmp_neq_f32_e64 s0, s9, v9
	s_or_b32 s24, vcc_lo, s0
	s_cbranch_execnz .LBB138_43
.LBB138_42:
	s_wait_loadcnt 0x0
	v_cmp_eq_f32_e32 vcc_lo, s8, v8
	v_cmp_eq_f32_e64 s0, s9, v9
	s_and_not1_b32 s24, s24, exec_lo
	s_and_b32 s0, vcc_lo, s0
	s_delay_alu instid0(SALU_CYCLE_1) | instskip(NEXT) | instid1(SALU_CYCLE_1)
	s_and_b32 s0, s0, exec_lo
	s_or_b32 s24, s24, s0
.LBB138_43:
	v_cmp_ne_u32_e32 vcc_lo, 1, v1
	s_cbranch_vccnz .LBB138_210
; %bb.44:
	s_wait_loadcnt 0x1
	v_cmp_neq_f32_e32 vcc_lo, s8, v2
	v_cmp_neq_f32_e64 s0, s9, v3
	s_or_b32 s25, vcc_lo, s0
	s_cbranch_execnz .LBB138_46
.LBB138_45:
	s_wait_loadcnt 0x1
	v_cmp_eq_f32_e32 vcc_lo, s8, v2
	v_cmp_eq_f32_e64 s0, s9, v3
	s_and_not1_b32 s25, s25, exec_lo
	s_and_b32 s0, vcc_lo, s0
	s_delay_alu instid0(SALU_CYCLE_1) | instskip(NEXT) | instid1(SALU_CYCLE_1)
	s_and_b32 s0, s0, exec_lo
	s_or_b32 s25, s25, s0
.LBB138_46:
	v_cmp_ne_u32_e32 vcc_lo, 1, v1
	s_cbranch_vccnz .LBB138_211
; %bb.47:
	s_wait_loadcnt 0x1
	v_cmp_neq_f32_e32 vcc_lo, s8, v4
	v_cmp_neq_f32_e64 s0, s9, v5
	s_or_b32 s26, vcc_lo, s0
	s_cbranch_execnz .LBB138_49
.LBB138_48:
	s_wait_loadcnt 0x1
	v_cmp_eq_f32_e32 vcc_lo, s8, v4
	v_cmp_eq_f32_e64 s0, s9, v5
	s_and_not1_b32 s26, s26, exec_lo
	s_and_b32 s0, vcc_lo, s0
	s_delay_alu instid0(SALU_CYCLE_1) | instskip(NEXT) | instid1(SALU_CYCLE_1)
	s_and_b32 s0, s0, exec_lo
	s_or_b32 s26, s26, s0
.LBB138_49:
	v_cndmask_b32_e64 v1, 0, 0x100, s24
	s_wait_loadcnt 0x1
	v_cndmask_b32_e64 v2, 0, 1, s23
	v_cndmask_b32_e64 v3, 0, 0x100, s20
	v_cndmask_b32_e64 v4, 0, 1, s19
	s_wait_loadcnt 0x0
	v_cndmask_b32_e64 v6, 0, 0x100, s12
	v_cndmask_b32_e64 v7, 0, 1, s1
	v_or_b32_e32 v1, v1, v2
	v_cndmask_b32_e64 v10, 0, 0x1000000, s14
	v_or_b32_e32 v2, v3, v4
	v_cndmask_b32_e64 v3, 0, 0x100, s16
	v_cndmask_b32_e64 v4, 0, 1, s15
	v_or_b32_e32 v6, v6, v7
	v_cndmask_b32_e64 v7, 0, 0x10000, s13
	v_cndmask_b32_e64 v11, 0, 0x1000000, s18
	;; [unrolled: 1-line block ×3, first 2 shown]
	v_or_b32_e32 v3, v3, v4
	v_cndmask_b32_e64 v4, 0, 0x10000, s17
	v_cndmask_b32_e64 v9, 0, 0x1000000, s22
	;; [unrolled: 1-line block ×4, first 2 shown]
	v_or3_b32 v6, v6, v7, v10
	v_or3_b32 v3, v3, v4, v11
	;; [unrolled: 1-line block ×3, first 2 shown]
	s_add_nc_u64 s[12:13], s[4:5], s[2:3]
	v_or3_b32 v1, v1, v5, v12
	s_mov_b32 s0, 0
	s_clause 0x3
	global_store_b32 v0, v6, s[12:13] scale_offset
	global_store_b32 v0, v3, s[12:13] offset:1024 scale_offset
	global_store_b32 v0, v2, s[12:13] offset:2048 scale_offset
	;; [unrolled: 1-line block ×3, first 2 shown]
.LBB138_50:
	s_and_b32 vcc_lo, exec_lo, s0
	s_cbranch_vccz .LBB138_195
; %bb.51:
	v_cmp_gt_i32_e64 s0, s10, v0
	s_wait_xcnt 0x0
	v_dual_mov_b32 v28, 0 :: v_dual_bitop2_b32 v1, s2, v0 bitop3:0x54
	v_or_b32_e32 v34, 0x100, v0
	v_dual_mov_b32 v35, v0 :: v_dual_mov_b32 v32, 0
	v_mov_b32_e32 v33, 0
	s_and_saveexec_b32 s1, s0
	s_cbranch_execz .LBB138_53
; %bb.52:
	global_load_b64 v[32:33], v1, s[6:7] scale_offset
	v_or_b32_e32 v35, 0x100, v0
.LBB138_53:
	s_wait_xcnt 0x0
	s_or_b32 exec_lo, exec_lo, s1
	v_mov_b32_e32 v29, 0
	s_mov_b32 s1, exec_lo
	v_cmpx_gt_i32_e64 s10, v35
	s_cbranch_execz .LBB138_55
; %bb.54:
	v_add_nc_u32_e32 v2, s2, v35
	v_add_nc_u32_e32 v35, 0x100, v35
	global_load_b64 v[28:29], v2, s[6:7] scale_offset
.LBB138_55:
	s_wait_xcnt 0x0
	s_or_b32 exec_lo, exec_lo, s1
	v_dual_mov_b32 v26, 0 :: v_dual_mov_b32 v30, 0
	v_mov_b32_e32 v31, 0
	s_mov_b32 s1, exec_lo
	v_cmpx_gt_i32_e64 s10, v35
	s_cbranch_execz .LBB138_57
; %bb.56:
	v_add_nc_u32_e32 v2, s2, v35
	v_add_nc_u32_e32 v35, 0x100, v35
	global_load_b64 v[30:31], v2, s[6:7] scale_offset
.LBB138_57:
	s_wait_xcnt 0x0
	s_or_b32 exec_lo, exec_lo, s1
	v_mov_b32_e32 v27, 0
	s_mov_b32 s1, exec_lo
	v_cmpx_gt_i32_e64 s10, v35
	s_cbranch_execz .LBB138_59
; %bb.58:
	v_add_nc_u32_e32 v2, s2, v35
	v_add_nc_u32_e32 v35, 0x100, v35
	global_load_b64 v[26:27], v2, s[6:7] scale_offset
.LBB138_59:
	s_wait_xcnt 0x0
	s_or_b32 exec_lo, exec_lo, s1
	v_dual_mov_b32 v22, 0 :: v_dual_mov_b32 v24, 0
	v_mov_b32_e32 v25, 0
	s_mov_b32 s1, exec_lo
	v_cmpx_gt_i32_e64 s10, v35
	s_cbranch_execz .LBB138_61
; %bb.60:
	v_add_nc_u32_e32 v2, s2, v35
	v_add_nc_u32_e32 v35, 0x100, v35
	global_load_b64 v[24:25], v2, s[6:7] scale_offset
.LBB138_61:
	;; [unrolled: 23-line block ×7, first 2 shown]
	s_wait_xcnt 0x0
	s_or_b32 exec_lo, exec_lo, s1
	v_mov_b32_e32 v3, 0
	s_mov_b32 s1, exec_lo
	v_cmpx_gt_i32_e64 s10, v35
	s_cbranch_execz .LBB138_83
; %bb.82:
	v_add_nc_u32_e32 v2, s2, v35
	global_load_b64 v[2:3], v2, s[6:7] scale_offset
.LBB138_83:
	s_wait_xcnt 0x0
	s_or_b32 exec_lo, exec_lo, s1
	s_cmp_lg_u32 s11, 0
                                        ; implicit-def: $vgpr35
	s_cselect_b32 s3, -1, 0
	s_and_saveexec_b32 s6, s0
	s_cbranch_execz .LBB138_88
; %bb.84:
	s_and_b32 vcc_lo, exec_lo, s3
	s_cbranch_vccz .LBB138_212
; %bb.85:
	s_wait_loadcnt 0x0
	v_cmp_neq_f32_e32 vcc_lo, s8, v32
	v_cmp_neq_f32_e64 s1, s9, v33
	s_or_b32 s7, vcc_lo, s1
	s_cbranch_execnz .LBB138_87
.LBB138_86:
	s_wait_loadcnt 0x0
	v_cmp_eq_f32_e32 vcc_lo, s8, v32
	v_cmp_eq_f32_e64 s1, s9, v33
	s_and_not1_b32 s7, s7, exec_lo
	s_and_b32 s1, vcc_lo, s1
	s_delay_alu instid0(SALU_CYCLE_1) | instskip(NEXT) | instid1(SALU_CYCLE_1)
	s_and_b32 s1, s1, exec_lo
	s_or_b32 s7, s7, s1
.LBB138_87:
	s_delay_alu instid0(SALU_CYCLE_1)
	v_cndmask_b32_e64 v35, 0, 1, s7
.LBB138_88:
	s_or_b32 exec_lo, exec_lo, s6
	s_wait_loadcnt 0x0
	v_cndmask_b32_e64 v33, 0, 1, s3
	s_mov_b32 s6, exec_lo
                                        ; implicit-def: $vgpr32
	v_cmpx_gt_i32_e64 s10, v34
	s_cbranch_execz .LBB138_93
; %bb.89:
	s_and_not1_b32 vcc_lo, exec_lo, s3
	s_cbranch_vccnz .LBB138_213
; %bb.90:
	v_cmp_neq_f32_e32 vcc_lo, s8, v28
	v_cmp_neq_f32_e64 s1, s9, v29
	s_or_b32 s3, vcc_lo, s1
	s_cbranch_execnz .LBB138_92
.LBB138_91:
	v_cmp_eq_f32_e32 vcc_lo, s8, v28
	v_cmp_eq_f32_e64 s1, s9, v29
	s_and_not1_b32 s3, s3, exec_lo
	s_and_b32 s1, vcc_lo, s1
	s_delay_alu instid0(SALU_CYCLE_1) | instskip(NEXT) | instid1(SALU_CYCLE_1)
	s_and_b32 s1, s1, exec_lo
	s_or_b32 s3, s3, s1
.LBB138_92:
	s_delay_alu instid0(SALU_CYCLE_1)
	v_cndmask_b32_e64 v32, 0, 1, s3
.LBB138_93:
	s_or_b32 exec_lo, exec_lo, s6
	v_or_b32_e32 v28, 0x200, v0
	s_delay_alu instid0(VALU_DEP_1)
	v_cmp_gt_i32_e32 vcc_lo, s10, v28
                                        ; implicit-def: $vgpr28
	s_and_saveexec_b32 s3, vcc_lo
	s_cbranch_execz .LBB138_98
; %bb.94:
	v_cmp_ne_u32_e32 vcc_lo, 1, v33
	s_cbranch_vccnz .LBB138_214
; %bb.95:
	v_cmp_neq_f32_e32 vcc_lo, s8, v30
	v_cmp_neq_f32_e64 s1, s9, v31
	s_or_b32 s6, vcc_lo, s1
	s_cbranch_execnz .LBB138_97
.LBB138_96:
	v_cmp_eq_f32_e32 vcc_lo, s8, v30
	v_cmp_eq_f32_e64 s1, s9, v31
	s_and_not1_b32 s6, s6, exec_lo
	s_and_b32 s1, vcc_lo, s1
	s_delay_alu instid0(SALU_CYCLE_1) | instskip(NEXT) | instid1(SALU_CYCLE_1)
	s_and_b32 s1, s1, exec_lo
	s_or_b32 s6, s6, s1
.LBB138_97:
	s_delay_alu instid0(SALU_CYCLE_1)
	v_cndmask_b32_e64 v28, 0, 1, s6
.LBB138_98:
	s_or_b32 exec_lo, exec_lo, s3
	v_or_b32_e32 v29, 0x300, v0
	s_delay_alu instid0(VALU_DEP_1)
	v_cmp_gt_i32_e32 vcc_lo, s10, v29
                                        ; implicit-def: $vgpr29
	s_and_saveexec_b32 s3, vcc_lo
	s_cbranch_execz .LBB138_103
; %bb.99:
	v_cmp_ne_u32_e32 vcc_lo, 1, v33
	s_cbranch_vccnz .LBB138_215
; %bb.100:
	v_cmp_neq_f32_e32 vcc_lo, s8, v26
	v_cmp_neq_f32_e64 s1, s9, v27
	s_or_b32 s6, vcc_lo, s1
	s_cbranch_execnz .LBB138_102
.LBB138_101:
	v_cmp_eq_f32_e32 vcc_lo, s8, v26
	v_cmp_eq_f32_e64 s1, s9, v27
	s_and_not1_b32 s6, s6, exec_lo
	s_and_b32 s1, vcc_lo, s1
	s_delay_alu instid0(SALU_CYCLE_1) | instskip(NEXT) | instid1(SALU_CYCLE_1)
	s_and_b32 s1, s1, exec_lo
	s_or_b32 s6, s6, s1
.LBB138_102:
	s_delay_alu instid0(SALU_CYCLE_1)
	v_cndmask_b32_e64 v29, 0, 1, s6
.LBB138_103:
	s_or_b32 exec_lo, exec_lo, s3
	v_or_b32_e32 v26, 0x400, v0
	s_delay_alu instid0(VALU_DEP_1)
	v_cmp_gt_i32_e32 vcc_lo, s10, v26
                                        ; implicit-def: $vgpr26
	s_and_saveexec_b32 s3, vcc_lo
	s_cbranch_execz .LBB138_108
; %bb.104:
	v_cmp_ne_u32_e32 vcc_lo, 1, v33
	s_cbranch_vccnz .LBB138_216
; %bb.105:
	v_cmp_neq_f32_e32 vcc_lo, s8, v24
	v_cmp_neq_f32_e64 s1, s9, v25
	s_or_b32 s6, vcc_lo, s1
	s_cbranch_execnz .LBB138_107
.LBB138_106:
	v_cmp_eq_f32_e32 vcc_lo, s8, v24
	v_cmp_eq_f32_e64 s1, s9, v25
	s_and_not1_b32 s6, s6, exec_lo
	s_and_b32 s1, vcc_lo, s1
	s_delay_alu instid0(SALU_CYCLE_1) | instskip(NEXT) | instid1(SALU_CYCLE_1)
	s_and_b32 s1, s1, exec_lo
	s_or_b32 s6, s6, s1
.LBB138_107:
	s_delay_alu instid0(SALU_CYCLE_1)
	v_cndmask_b32_e64 v26, 0, 1, s6
.LBB138_108:
	s_or_b32 exec_lo, exec_lo, s3
	v_or_b32_e32 v24, 0x500, v0
	s_delay_alu instid0(VALU_DEP_1)
	v_cmp_gt_i32_e32 vcc_lo, s10, v24
                                        ; implicit-def: $vgpr24
	s_and_saveexec_b32 s3, vcc_lo
	s_cbranch_execz .LBB138_113
; %bb.109:
	v_cmp_ne_u32_e32 vcc_lo, 1, v33
	s_cbranch_vccnz .LBB138_217
; %bb.110:
	v_cmp_neq_f32_e32 vcc_lo, s8, v22
	v_cmp_neq_f32_e64 s1, s9, v23
	s_or_b32 s6, vcc_lo, s1
	s_cbranch_execnz .LBB138_112
.LBB138_111:
	v_cmp_eq_f32_e32 vcc_lo, s8, v22
	v_cmp_eq_f32_e64 s1, s9, v23
	s_and_not1_b32 s6, s6, exec_lo
	s_and_b32 s1, vcc_lo, s1
	s_delay_alu instid0(SALU_CYCLE_1) | instskip(NEXT) | instid1(SALU_CYCLE_1)
	s_and_b32 s1, s1, exec_lo
	s_or_b32 s6, s6, s1
.LBB138_112:
	s_delay_alu instid0(SALU_CYCLE_1)
	v_cndmask_b32_e64 v24, 0, 1, s6
.LBB138_113:
	s_or_b32 exec_lo, exec_lo, s3
	v_or_b32_e32 v22, 0x600, v0
	s_delay_alu instid0(VALU_DEP_1)
	v_cmp_gt_i32_e32 vcc_lo, s10, v22
                                        ; implicit-def: $vgpr22
	s_and_saveexec_b32 s3, vcc_lo
	s_cbranch_execz .LBB138_118
; %bb.114:
	v_cmp_ne_u32_e32 vcc_lo, 1, v33
	s_cbranch_vccnz .LBB138_218
; %bb.115:
	v_cmp_neq_f32_e32 vcc_lo, s8, v20
	v_cmp_neq_f32_e64 s1, s9, v21
	s_or_b32 s6, vcc_lo, s1
	s_cbranch_execnz .LBB138_117
.LBB138_116:
	v_cmp_eq_f32_e32 vcc_lo, s8, v20
	v_cmp_eq_f32_e64 s1, s9, v21
	s_and_not1_b32 s6, s6, exec_lo
	s_and_b32 s1, vcc_lo, s1
	s_delay_alu instid0(SALU_CYCLE_1) | instskip(NEXT) | instid1(SALU_CYCLE_1)
	s_and_b32 s1, s1, exec_lo
	s_or_b32 s6, s6, s1
.LBB138_117:
	s_delay_alu instid0(SALU_CYCLE_1)
	v_cndmask_b32_e64 v22, 0, 1, s6
.LBB138_118:
	s_or_b32 exec_lo, exec_lo, s3
	v_or_b32_e32 v20, 0x700, v0
	s_delay_alu instid0(VALU_DEP_1)
	v_cmp_gt_i32_e32 vcc_lo, s10, v20
                                        ; implicit-def: $vgpr20
	s_and_saveexec_b32 s3, vcc_lo
	s_cbranch_execz .LBB138_123
; %bb.119:
	v_cmp_ne_u32_e32 vcc_lo, 1, v33
	s_cbranch_vccnz .LBB138_219
; %bb.120:
	v_cmp_neq_f32_e32 vcc_lo, s8, v18
	v_cmp_neq_f32_e64 s1, s9, v19
	s_or_b32 s6, vcc_lo, s1
	s_cbranch_execnz .LBB138_122
.LBB138_121:
	v_cmp_eq_f32_e32 vcc_lo, s8, v18
	v_cmp_eq_f32_e64 s1, s9, v19
	s_and_not1_b32 s6, s6, exec_lo
	s_and_b32 s1, vcc_lo, s1
	s_delay_alu instid0(SALU_CYCLE_1) | instskip(NEXT) | instid1(SALU_CYCLE_1)
	s_and_b32 s1, s1, exec_lo
	s_or_b32 s6, s6, s1
.LBB138_122:
	s_delay_alu instid0(SALU_CYCLE_1)
	v_cndmask_b32_e64 v20, 0, 1, s6
.LBB138_123:
	s_or_b32 exec_lo, exec_lo, s3
	v_or_b32_e32 v18, 0x800, v0
	s_delay_alu instid0(VALU_DEP_1)
	v_cmp_gt_i32_e32 vcc_lo, s10, v18
                                        ; implicit-def: $vgpr18
	s_and_saveexec_b32 s3, vcc_lo
	s_cbranch_execz .LBB138_128
; %bb.124:
	v_cmp_ne_u32_e32 vcc_lo, 1, v33
	s_cbranch_vccnz .LBB138_220
; %bb.125:
	v_cmp_neq_f32_e32 vcc_lo, s8, v16
	v_cmp_neq_f32_e64 s1, s9, v17
	s_or_b32 s6, vcc_lo, s1
	s_cbranch_execnz .LBB138_127
.LBB138_126:
	v_cmp_eq_f32_e32 vcc_lo, s8, v16
	v_cmp_eq_f32_e64 s1, s9, v17
	s_and_not1_b32 s6, s6, exec_lo
	s_and_b32 s1, vcc_lo, s1
	s_delay_alu instid0(SALU_CYCLE_1) | instskip(NEXT) | instid1(SALU_CYCLE_1)
	s_and_b32 s1, s1, exec_lo
	s_or_b32 s6, s6, s1
.LBB138_127:
	s_delay_alu instid0(SALU_CYCLE_1)
	v_cndmask_b32_e64 v18, 0, 1, s6
.LBB138_128:
	s_or_b32 exec_lo, exec_lo, s3
	v_or_b32_e32 v16, 0x900, v0
	s_delay_alu instid0(VALU_DEP_1)
	v_cmp_gt_i32_e32 vcc_lo, s10, v16
                                        ; implicit-def: $vgpr16
	s_and_saveexec_b32 s3, vcc_lo
	s_cbranch_execz .LBB138_133
; %bb.129:
	v_cmp_ne_u32_e32 vcc_lo, 1, v33
	s_cbranch_vccnz .LBB138_221
; %bb.130:
	v_cmp_neq_f32_e32 vcc_lo, s8, v14
	v_cmp_neq_f32_e64 s1, s9, v15
	s_or_b32 s6, vcc_lo, s1
	s_cbranch_execnz .LBB138_132
.LBB138_131:
	v_cmp_eq_f32_e32 vcc_lo, s8, v14
	v_cmp_eq_f32_e64 s1, s9, v15
	s_and_not1_b32 s6, s6, exec_lo
	s_and_b32 s1, vcc_lo, s1
	s_delay_alu instid0(SALU_CYCLE_1) | instskip(NEXT) | instid1(SALU_CYCLE_1)
	s_and_b32 s1, s1, exec_lo
	s_or_b32 s6, s6, s1
.LBB138_132:
	s_delay_alu instid0(SALU_CYCLE_1)
	v_cndmask_b32_e64 v16, 0, 1, s6
.LBB138_133:
	s_or_b32 exec_lo, exec_lo, s3
	v_or_b32_e32 v14, 0xa00, v0
	s_delay_alu instid0(VALU_DEP_1)
	v_cmp_gt_i32_e32 vcc_lo, s10, v14
                                        ; implicit-def: $vgpr14
	s_and_saveexec_b32 s3, vcc_lo
	s_cbranch_execz .LBB138_138
; %bb.134:
	v_cmp_ne_u32_e32 vcc_lo, 1, v33
	s_cbranch_vccnz .LBB138_222
; %bb.135:
	v_cmp_neq_f32_e32 vcc_lo, s8, v12
	v_cmp_neq_f32_e64 s1, s9, v13
	s_or_b32 s6, vcc_lo, s1
	s_cbranch_execnz .LBB138_137
.LBB138_136:
	v_cmp_eq_f32_e32 vcc_lo, s8, v12
	v_cmp_eq_f32_e64 s1, s9, v13
	s_and_not1_b32 s6, s6, exec_lo
	s_and_b32 s1, vcc_lo, s1
	s_delay_alu instid0(SALU_CYCLE_1) | instskip(NEXT) | instid1(SALU_CYCLE_1)
	s_and_b32 s1, s1, exec_lo
	s_or_b32 s6, s6, s1
.LBB138_137:
	s_delay_alu instid0(SALU_CYCLE_1)
	v_cndmask_b32_e64 v14, 0, 1, s6
.LBB138_138:
	s_or_b32 exec_lo, exec_lo, s3
	v_or_b32_e32 v12, 0xb00, v0
	s_delay_alu instid0(VALU_DEP_1)
	v_cmp_gt_i32_e32 vcc_lo, s10, v12
                                        ; implicit-def: $vgpr12
	s_and_saveexec_b32 s3, vcc_lo
	s_cbranch_execz .LBB138_143
; %bb.139:
	v_cmp_ne_u32_e32 vcc_lo, 1, v33
	s_cbranch_vccnz .LBB138_223
; %bb.140:
	v_cmp_neq_f32_e32 vcc_lo, s8, v10
	v_cmp_neq_f32_e64 s1, s9, v11
	s_or_b32 s6, vcc_lo, s1
	s_cbranch_execnz .LBB138_142
.LBB138_141:
	v_cmp_eq_f32_e32 vcc_lo, s8, v10
	v_cmp_eq_f32_e64 s1, s9, v11
	s_and_not1_b32 s6, s6, exec_lo
	s_and_b32 s1, vcc_lo, s1
	s_delay_alu instid0(SALU_CYCLE_1) | instskip(NEXT) | instid1(SALU_CYCLE_1)
	s_and_b32 s1, s1, exec_lo
	s_or_b32 s6, s6, s1
.LBB138_142:
	s_delay_alu instid0(SALU_CYCLE_1)
	v_cndmask_b32_e64 v12, 0, 1, s6
.LBB138_143:
	s_or_b32 exec_lo, exec_lo, s3
	v_or_b32_e32 v10, 0xc00, v0
	s_delay_alu instid0(VALU_DEP_1)
	v_cmp_gt_i32_e32 vcc_lo, s10, v10
                                        ; implicit-def: $vgpr10
	s_and_saveexec_b32 s3, vcc_lo
	s_cbranch_execz .LBB138_148
; %bb.144:
	v_cmp_ne_u32_e32 vcc_lo, 1, v33
	s_cbranch_vccnz .LBB138_224
; %bb.145:
	v_cmp_neq_f32_e32 vcc_lo, s8, v8
	v_cmp_neq_f32_e64 s1, s9, v9
	s_or_b32 s6, vcc_lo, s1
	s_cbranch_execnz .LBB138_147
.LBB138_146:
	v_cmp_eq_f32_e32 vcc_lo, s8, v8
	v_cmp_eq_f32_e64 s1, s9, v9
	s_and_not1_b32 s6, s6, exec_lo
	s_and_b32 s1, vcc_lo, s1
	s_delay_alu instid0(SALU_CYCLE_1) | instskip(NEXT) | instid1(SALU_CYCLE_1)
	s_and_b32 s1, s1, exec_lo
	s_or_b32 s6, s6, s1
.LBB138_147:
	s_delay_alu instid0(SALU_CYCLE_1)
	v_cndmask_b32_e64 v10, 0, 1, s6
.LBB138_148:
	s_or_b32 exec_lo, exec_lo, s3
	v_or_b32_e32 v8, 0xd00, v0
	s_delay_alu instid0(VALU_DEP_1)
	v_cmp_gt_i32_e32 vcc_lo, s10, v8
                                        ; implicit-def: $vgpr8
	s_and_saveexec_b32 s3, vcc_lo
	s_cbranch_execz .LBB138_153
; %bb.149:
	v_cmp_ne_u32_e32 vcc_lo, 1, v33
	s_cbranch_vccnz .LBB138_225
; %bb.150:
	v_cmp_neq_f32_e32 vcc_lo, s8, v6
	v_cmp_neq_f32_e64 s1, s9, v7
	s_or_b32 s6, vcc_lo, s1
	s_cbranch_execnz .LBB138_152
.LBB138_151:
	v_cmp_eq_f32_e32 vcc_lo, s8, v6
	v_cmp_eq_f32_e64 s1, s9, v7
	s_and_not1_b32 s6, s6, exec_lo
	s_and_b32 s1, vcc_lo, s1
	s_delay_alu instid0(SALU_CYCLE_1) | instskip(NEXT) | instid1(SALU_CYCLE_1)
	s_and_b32 s1, s1, exec_lo
	s_or_b32 s6, s6, s1
.LBB138_152:
	s_delay_alu instid0(SALU_CYCLE_1)
	v_cndmask_b32_e64 v8, 0, 1, s6
.LBB138_153:
	s_or_b32 exec_lo, exec_lo, s3
	v_or_b32_e32 v6, 0xe00, v0
	s_delay_alu instid0(VALU_DEP_1)
	v_cmp_gt_i32_e32 vcc_lo, s10, v6
                                        ; implicit-def: $vgpr6
	s_and_saveexec_b32 s3, vcc_lo
	s_cbranch_execz .LBB138_158
; %bb.154:
	v_cmp_ne_u32_e32 vcc_lo, 1, v33
	s_cbranch_vccnz .LBB138_226
; %bb.155:
	v_cmp_neq_f32_e32 vcc_lo, s8, v4
	v_cmp_neq_f32_e64 s1, s9, v5
	s_or_b32 s6, vcc_lo, s1
	s_cbranch_execnz .LBB138_157
.LBB138_156:
	v_cmp_eq_f32_e32 vcc_lo, s8, v4
	v_cmp_eq_f32_e64 s1, s9, v5
	s_and_not1_b32 s6, s6, exec_lo
	s_and_b32 s1, vcc_lo, s1
	s_delay_alu instid0(SALU_CYCLE_1) | instskip(NEXT) | instid1(SALU_CYCLE_1)
	s_and_b32 s1, s1, exec_lo
	s_or_b32 s6, s6, s1
.LBB138_157:
	s_delay_alu instid0(SALU_CYCLE_1)
	v_cndmask_b32_e64 v6, 0, 1, s6
.LBB138_158:
	s_or_b32 exec_lo, exec_lo, s3
	v_or_b32_e32 v4, 0xf00, v0
	s_delay_alu instid0(VALU_DEP_1)
	v_cmp_gt_i32_e32 vcc_lo, s10, v4
                                        ; implicit-def: $vgpr4
	s_and_saveexec_b32 s3, vcc_lo
	s_cbranch_execz .LBB138_163
; %bb.159:
	v_cmp_ne_u32_e32 vcc_lo, 1, v33
	s_cbranch_vccnz .LBB138_227
; %bb.160:
	v_cmp_neq_f32_e32 vcc_lo, s8, v2
	v_cmp_neq_f32_e64 s1, s9, v3
	s_or_b32 s6, vcc_lo, s1
	s_cbranch_execnz .LBB138_162
.LBB138_161:
	v_cmp_eq_f32_e32 vcc_lo, s8, v2
	v_cmp_eq_f32_e64 s1, s9, v3
	s_and_not1_b32 s6, s6, exec_lo
	s_and_b32 s1, vcc_lo, s1
	s_delay_alu instid0(SALU_CYCLE_1) | instskip(NEXT) | instid1(SALU_CYCLE_1)
	s_and_b32 s1, s1, exec_lo
	s_or_b32 s6, s6, s1
.LBB138_162:
	s_delay_alu instid0(SALU_CYCLE_1)
	v_cndmask_b32_e64 v4, 0, 1, s6
.LBB138_163:
	s_or_b32 exec_lo, exec_lo, s3
	s_and_saveexec_b32 s1, s0
	s_delay_alu instid0(SALU_CYCLE_1)
	s_xor_b32 s0, exec_lo, s1
	s_cbranch_execz .LBB138_165
; %bb.164:
	v_mov_b32_e32 v0, v34
	global_store_b8 v1, v35, s[4:5]
.LBB138_165:
	s_wait_xcnt 0x0
	s_or_b32 exec_lo, exec_lo, s0
	s_delay_alu instid0(SALU_CYCLE_1)
	s_mov_b32 s0, exec_lo
	v_cmpx_gt_i32_e64 s10, v0
	s_cbranch_execnz .LBB138_181
; %bb.166:
	s_or_b32 exec_lo, exec_lo, s0
	s_delay_alu instid0(SALU_CYCLE_1)
	s_mov_b32 s0, exec_lo
	v_cmpx_gt_i32_e64 s10, v0
	s_cbranch_execnz .LBB138_182
.LBB138_167:
	s_or_b32 exec_lo, exec_lo, s0
	s_delay_alu instid0(SALU_CYCLE_1)
	s_mov_b32 s0, exec_lo
	v_cmpx_gt_i32_e64 s10, v0
	s_cbranch_execnz .LBB138_183
.LBB138_168:
	s_or_b32 exec_lo, exec_lo, s0
	s_delay_alu instid0(SALU_CYCLE_1)
	s_mov_b32 s0, exec_lo
	v_cmpx_gt_i32_e64 s10, v0
	s_cbranch_execnz .LBB138_184
.LBB138_169:
	s_or_b32 exec_lo, exec_lo, s0
	s_delay_alu instid0(SALU_CYCLE_1)
	s_mov_b32 s0, exec_lo
	v_cmpx_gt_i32_e64 s10, v0
	s_cbranch_execnz .LBB138_185
.LBB138_170:
	s_or_b32 exec_lo, exec_lo, s0
	s_delay_alu instid0(SALU_CYCLE_1)
	s_mov_b32 s0, exec_lo
	v_cmpx_gt_i32_e64 s10, v0
	s_cbranch_execnz .LBB138_186
.LBB138_171:
	s_or_b32 exec_lo, exec_lo, s0
	s_delay_alu instid0(SALU_CYCLE_1)
	s_mov_b32 s0, exec_lo
	v_cmpx_gt_i32_e64 s10, v0
	s_cbranch_execnz .LBB138_187
.LBB138_172:
	s_or_b32 exec_lo, exec_lo, s0
	s_delay_alu instid0(SALU_CYCLE_1)
	s_mov_b32 s0, exec_lo
	v_cmpx_gt_i32_e64 s10, v0
	s_cbranch_execnz .LBB138_188
.LBB138_173:
	s_or_b32 exec_lo, exec_lo, s0
	s_delay_alu instid0(SALU_CYCLE_1)
	s_mov_b32 s0, exec_lo
	v_cmpx_gt_i32_e64 s10, v0
	s_cbranch_execnz .LBB138_189
.LBB138_174:
	s_or_b32 exec_lo, exec_lo, s0
	s_delay_alu instid0(SALU_CYCLE_1)
	s_mov_b32 s0, exec_lo
	v_cmpx_gt_i32_e64 s10, v0
	s_cbranch_execnz .LBB138_190
.LBB138_175:
	s_or_b32 exec_lo, exec_lo, s0
	s_delay_alu instid0(SALU_CYCLE_1)
	s_mov_b32 s0, exec_lo
	v_cmpx_gt_i32_e64 s10, v0
	s_cbranch_execnz .LBB138_191
.LBB138_176:
	s_or_b32 exec_lo, exec_lo, s0
	s_delay_alu instid0(SALU_CYCLE_1)
	s_mov_b32 s0, exec_lo
	v_cmpx_gt_i32_e64 s10, v0
	s_cbranch_execnz .LBB138_192
.LBB138_177:
	s_or_b32 exec_lo, exec_lo, s0
	s_delay_alu instid0(SALU_CYCLE_1)
	s_mov_b32 s0, exec_lo
	v_cmpx_gt_i32_e64 s10, v0
	s_cbranch_execnz .LBB138_193
.LBB138_178:
	s_or_b32 exec_lo, exec_lo, s0
	s_delay_alu instid0(SALU_CYCLE_1)
	s_mov_b32 s0, exec_lo
	v_cmpx_gt_i32_e64 s10, v0
	s_cbranch_execnz .LBB138_194
.LBB138_179:
	s_or_b32 exec_lo, exec_lo, s0
	s_delay_alu instid0(SALU_CYCLE_1)
	s_mov_b32 s0, exec_lo
	v_cmpx_gt_i32_e64 s10, v0
	s_cbranch_execz .LBB138_195
.LBB138_180:
	v_add_nc_u32_e32 v0, s2, v0
	global_store_b8 v0, v4, s[4:5]
	s_endpgm
.LBB138_181:
	v_add_nc_u32_e32 v1, s2, v0
	v_add_nc_u32_e32 v0, 0x100, v0
	global_store_b8 v1, v32, s[4:5]
	s_wait_xcnt 0x0
	s_or_b32 exec_lo, exec_lo, s0
	s_delay_alu instid0(SALU_CYCLE_1)
	s_mov_b32 s0, exec_lo
	v_cmpx_gt_i32_e64 s10, v0
	s_cbranch_execz .LBB138_167
.LBB138_182:
	v_add_nc_u32_e32 v1, s2, v0
	v_add_nc_u32_e32 v0, 0x100, v0
	global_store_b8 v1, v28, s[4:5]
	s_wait_xcnt 0x0
	s_or_b32 exec_lo, exec_lo, s0
	s_delay_alu instid0(SALU_CYCLE_1)
	s_mov_b32 s0, exec_lo
	v_cmpx_gt_i32_e64 s10, v0
	s_cbranch_execz .LBB138_168
.LBB138_183:
	v_add_nc_u32_e32 v1, s2, v0
	v_add_nc_u32_e32 v0, 0x100, v0
	global_store_b8 v1, v29, s[4:5]
	s_wait_xcnt 0x0
	s_or_b32 exec_lo, exec_lo, s0
	s_delay_alu instid0(SALU_CYCLE_1)
	s_mov_b32 s0, exec_lo
	v_cmpx_gt_i32_e64 s10, v0
	s_cbranch_execz .LBB138_169
.LBB138_184:
	v_add_nc_u32_e32 v1, s2, v0
	v_add_nc_u32_e32 v0, 0x100, v0
	global_store_b8 v1, v26, s[4:5]
	s_wait_xcnt 0x0
	s_or_b32 exec_lo, exec_lo, s0
	s_delay_alu instid0(SALU_CYCLE_1)
	s_mov_b32 s0, exec_lo
	v_cmpx_gt_i32_e64 s10, v0
	s_cbranch_execz .LBB138_170
.LBB138_185:
	v_add_nc_u32_e32 v1, s2, v0
	v_add_nc_u32_e32 v0, 0x100, v0
	global_store_b8 v1, v24, s[4:5]
	s_wait_xcnt 0x0
	s_or_b32 exec_lo, exec_lo, s0
	s_delay_alu instid0(SALU_CYCLE_1)
	s_mov_b32 s0, exec_lo
	v_cmpx_gt_i32_e64 s10, v0
	s_cbranch_execz .LBB138_171
.LBB138_186:
	v_add_nc_u32_e32 v1, s2, v0
	v_add_nc_u32_e32 v0, 0x100, v0
	global_store_b8 v1, v22, s[4:5]
	s_wait_xcnt 0x0
	s_or_b32 exec_lo, exec_lo, s0
	s_delay_alu instid0(SALU_CYCLE_1)
	s_mov_b32 s0, exec_lo
	v_cmpx_gt_i32_e64 s10, v0
	s_cbranch_execz .LBB138_172
.LBB138_187:
	v_add_nc_u32_e32 v1, s2, v0
	v_add_nc_u32_e32 v0, 0x100, v0
	global_store_b8 v1, v20, s[4:5]
	s_wait_xcnt 0x0
	s_or_b32 exec_lo, exec_lo, s0
	s_delay_alu instid0(SALU_CYCLE_1)
	s_mov_b32 s0, exec_lo
	v_cmpx_gt_i32_e64 s10, v0
	s_cbranch_execz .LBB138_173
.LBB138_188:
	v_add_nc_u32_e32 v1, s2, v0
	v_add_nc_u32_e32 v0, 0x100, v0
	global_store_b8 v1, v18, s[4:5]
	s_wait_xcnt 0x0
	s_or_b32 exec_lo, exec_lo, s0
	s_delay_alu instid0(SALU_CYCLE_1)
	s_mov_b32 s0, exec_lo
	v_cmpx_gt_i32_e64 s10, v0
	s_cbranch_execz .LBB138_174
.LBB138_189:
	v_add_nc_u32_e32 v1, s2, v0
	v_add_nc_u32_e32 v0, 0x100, v0
	global_store_b8 v1, v16, s[4:5]
	s_wait_xcnt 0x0
	s_or_b32 exec_lo, exec_lo, s0
	s_delay_alu instid0(SALU_CYCLE_1)
	s_mov_b32 s0, exec_lo
	v_cmpx_gt_i32_e64 s10, v0
	s_cbranch_execz .LBB138_175
.LBB138_190:
	v_add_nc_u32_e32 v1, s2, v0
	v_add_nc_u32_e32 v0, 0x100, v0
	global_store_b8 v1, v14, s[4:5]
	s_wait_xcnt 0x0
	s_or_b32 exec_lo, exec_lo, s0
	s_delay_alu instid0(SALU_CYCLE_1)
	s_mov_b32 s0, exec_lo
	v_cmpx_gt_i32_e64 s10, v0
	s_cbranch_execz .LBB138_176
.LBB138_191:
	v_add_nc_u32_e32 v1, s2, v0
	v_add_nc_u32_e32 v0, 0x100, v0
	global_store_b8 v1, v12, s[4:5]
	s_wait_xcnt 0x0
	s_or_b32 exec_lo, exec_lo, s0
	s_delay_alu instid0(SALU_CYCLE_1)
	s_mov_b32 s0, exec_lo
	v_cmpx_gt_i32_e64 s10, v0
	s_cbranch_execz .LBB138_177
.LBB138_192:
	v_add_nc_u32_e32 v1, s2, v0
	v_add_nc_u32_e32 v0, 0x100, v0
	global_store_b8 v1, v10, s[4:5]
	s_wait_xcnt 0x0
	s_or_b32 exec_lo, exec_lo, s0
	s_delay_alu instid0(SALU_CYCLE_1)
	s_mov_b32 s0, exec_lo
	v_cmpx_gt_i32_e64 s10, v0
	s_cbranch_execz .LBB138_178
.LBB138_193:
	v_add_nc_u32_e32 v1, s2, v0
	v_add_nc_u32_e32 v0, 0x100, v0
	global_store_b8 v1, v8, s[4:5]
	s_wait_xcnt 0x0
	s_or_b32 exec_lo, exec_lo, s0
	s_delay_alu instid0(SALU_CYCLE_1)
	s_mov_b32 s0, exec_lo
	v_cmpx_gt_i32_e64 s10, v0
	s_cbranch_execz .LBB138_179
.LBB138_194:
	v_add_nc_u32_e32 v1, s2, v0
	v_add_nc_u32_e32 v0, 0x100, v0
	global_store_b8 v1, v6, s[4:5]
	s_wait_xcnt 0x0
	s_or_b32 exec_lo, exec_lo, s0
	s_delay_alu instid0(SALU_CYCLE_1)
	s_mov_b32 s0, exec_lo
	v_cmpx_gt_i32_e64 s10, v0
	s_cbranch_execnz .LBB138_180
.LBB138_195:
	s_endpgm
.LBB138_196:
	s_wait_xcnt 0x0
                                        ; implicit-def: $sgpr1
	s_branch .LBB138_3
.LBB138_197:
                                        ; implicit-def: $sgpr12
	s_branch .LBB138_6
.LBB138_198:
                                        ; implicit-def: $sgpr13
	s_branch .LBB138_9
.LBB138_199:
                                        ; implicit-def: $sgpr14
	s_branch .LBB138_12
.LBB138_200:
                                        ; implicit-def: $sgpr15
	s_branch .LBB138_15
.LBB138_201:
                                        ; implicit-def: $sgpr16
	s_branch .LBB138_18
.LBB138_202:
                                        ; implicit-def: $sgpr17
	s_branch .LBB138_21
.LBB138_203:
                                        ; implicit-def: $sgpr18
	s_branch .LBB138_24
.LBB138_204:
                                        ; implicit-def: $sgpr19
	s_branch .LBB138_27
.LBB138_205:
                                        ; implicit-def: $sgpr20
	s_branch .LBB138_30
.LBB138_206:
                                        ; implicit-def: $sgpr21
	s_branch .LBB138_33
.LBB138_207:
                                        ; implicit-def: $sgpr22
	s_branch .LBB138_36
.LBB138_208:
                                        ; implicit-def: $sgpr23
	s_branch .LBB138_39
.LBB138_209:
                                        ; implicit-def: $sgpr24
	s_branch .LBB138_42
.LBB138_210:
                                        ; implicit-def: $sgpr25
	s_branch .LBB138_45
.LBB138_211:
                                        ; implicit-def: $sgpr26
	s_branch .LBB138_48
.LBB138_212:
                                        ; implicit-def: $sgpr7
	s_branch .LBB138_86
.LBB138_213:
                                        ; implicit-def: $sgpr3
	s_branch .LBB138_91
.LBB138_214:
                                        ; implicit-def: $sgpr6
	s_branch .LBB138_96
.LBB138_215:
                                        ; implicit-def: $sgpr6
	s_branch .LBB138_101
.LBB138_216:
                                        ; implicit-def: $sgpr6
	s_branch .LBB138_106
.LBB138_217:
                                        ; implicit-def: $sgpr6
	s_branch .LBB138_111
.LBB138_218:
                                        ; implicit-def: $sgpr6
	s_branch .LBB138_116
.LBB138_219:
                                        ; implicit-def: $sgpr6
	s_branch .LBB138_121
.LBB138_220:
                                        ; implicit-def: $sgpr6
	s_branch .LBB138_126
.LBB138_221:
                                        ; implicit-def: $sgpr6
	s_branch .LBB138_131
.LBB138_222:
                                        ; implicit-def: $sgpr6
	s_branch .LBB138_136
.LBB138_223:
                                        ; implicit-def: $sgpr6
	s_branch .LBB138_141
.LBB138_224:
                                        ; implicit-def: $sgpr6
	s_branch .LBB138_146
.LBB138_225:
                                        ; implicit-def: $sgpr6
	s_branch .LBB138_151
.LBB138_226:
                                        ; implicit-def: $sgpr6
	s_branch .LBB138_156
.LBB138_227:
                                        ; implicit-def: $sgpr6
	s_branch .LBB138_161
	.section	.rodata,"a",@progbits
	.p2align	6, 0x0
	.amdhsa_kernel _ZN2at6native29vectorized_elementwise_kernelILi4ENS0_13AUnaryFunctorIN3c107complexIfEES5_bNS0_12_GLOBAL__N_116CompareEqFunctorIS5_EEEESt5arrayIPcLm2EEEEviT0_T1_
		.amdhsa_group_segment_fixed_size 0
		.amdhsa_private_segment_fixed_size 0
		.amdhsa_kernarg_size 40
		.amdhsa_user_sgpr_count 2
		.amdhsa_user_sgpr_dispatch_ptr 0
		.amdhsa_user_sgpr_queue_ptr 0
		.amdhsa_user_sgpr_kernarg_segment_ptr 1
		.amdhsa_user_sgpr_dispatch_id 0
		.amdhsa_user_sgpr_kernarg_preload_length 0
		.amdhsa_user_sgpr_kernarg_preload_offset 0
		.amdhsa_user_sgpr_private_segment_size 0
		.amdhsa_wavefront_size32 1
		.amdhsa_uses_dynamic_stack 0
		.amdhsa_enable_private_segment 0
		.amdhsa_system_sgpr_workgroup_id_x 1
		.amdhsa_system_sgpr_workgroup_id_y 0
		.amdhsa_system_sgpr_workgroup_id_z 0
		.amdhsa_system_sgpr_workgroup_info 0
		.amdhsa_system_vgpr_workitem_id 0
		.amdhsa_next_free_vgpr 36
		.amdhsa_next_free_sgpr 27
		.amdhsa_named_barrier_count 0
		.amdhsa_reserve_vcc 1
		.amdhsa_float_round_mode_32 0
		.amdhsa_float_round_mode_16_64 0
		.amdhsa_float_denorm_mode_32 3
		.amdhsa_float_denorm_mode_16_64 3
		.amdhsa_fp16_overflow 0
		.amdhsa_memory_ordered 1
		.amdhsa_forward_progress 1
		.amdhsa_inst_pref_size 43
		.amdhsa_round_robin_scheduling 0
		.amdhsa_exception_fp_ieee_invalid_op 0
		.amdhsa_exception_fp_denorm_src 0
		.amdhsa_exception_fp_ieee_div_zero 0
		.amdhsa_exception_fp_ieee_overflow 0
		.amdhsa_exception_fp_ieee_underflow 0
		.amdhsa_exception_fp_ieee_inexact 0
		.amdhsa_exception_int_div_zero 0
	.end_amdhsa_kernel
	.section	.text._ZN2at6native29vectorized_elementwise_kernelILi4ENS0_13AUnaryFunctorIN3c107complexIfEES5_bNS0_12_GLOBAL__N_116CompareEqFunctorIS5_EEEESt5arrayIPcLm2EEEEviT0_T1_,"axG",@progbits,_ZN2at6native29vectorized_elementwise_kernelILi4ENS0_13AUnaryFunctorIN3c107complexIfEES5_bNS0_12_GLOBAL__N_116CompareEqFunctorIS5_EEEESt5arrayIPcLm2EEEEviT0_T1_,comdat
.Lfunc_end138:
	.size	_ZN2at6native29vectorized_elementwise_kernelILi4ENS0_13AUnaryFunctorIN3c107complexIfEES5_bNS0_12_GLOBAL__N_116CompareEqFunctorIS5_EEEESt5arrayIPcLm2EEEEviT0_T1_, .Lfunc_end138-_ZN2at6native29vectorized_elementwise_kernelILi4ENS0_13AUnaryFunctorIN3c107complexIfEES5_bNS0_12_GLOBAL__N_116CompareEqFunctorIS5_EEEESt5arrayIPcLm2EEEEviT0_T1_
                                        ; -- End function
	.set _ZN2at6native29vectorized_elementwise_kernelILi4ENS0_13AUnaryFunctorIN3c107complexIfEES5_bNS0_12_GLOBAL__N_116CompareEqFunctorIS5_EEEESt5arrayIPcLm2EEEEviT0_T1_.num_vgpr, 36
	.set _ZN2at6native29vectorized_elementwise_kernelILi4ENS0_13AUnaryFunctorIN3c107complexIfEES5_bNS0_12_GLOBAL__N_116CompareEqFunctorIS5_EEEESt5arrayIPcLm2EEEEviT0_T1_.num_agpr, 0
	.set _ZN2at6native29vectorized_elementwise_kernelILi4ENS0_13AUnaryFunctorIN3c107complexIfEES5_bNS0_12_GLOBAL__N_116CompareEqFunctorIS5_EEEESt5arrayIPcLm2EEEEviT0_T1_.numbered_sgpr, 27
	.set _ZN2at6native29vectorized_elementwise_kernelILi4ENS0_13AUnaryFunctorIN3c107complexIfEES5_bNS0_12_GLOBAL__N_116CompareEqFunctorIS5_EEEESt5arrayIPcLm2EEEEviT0_T1_.num_named_barrier, 0
	.set _ZN2at6native29vectorized_elementwise_kernelILi4ENS0_13AUnaryFunctorIN3c107complexIfEES5_bNS0_12_GLOBAL__N_116CompareEqFunctorIS5_EEEESt5arrayIPcLm2EEEEviT0_T1_.private_seg_size, 0
	.set _ZN2at6native29vectorized_elementwise_kernelILi4ENS0_13AUnaryFunctorIN3c107complexIfEES5_bNS0_12_GLOBAL__N_116CompareEqFunctorIS5_EEEESt5arrayIPcLm2EEEEviT0_T1_.uses_vcc, 1
	.set _ZN2at6native29vectorized_elementwise_kernelILi4ENS0_13AUnaryFunctorIN3c107complexIfEES5_bNS0_12_GLOBAL__N_116CompareEqFunctorIS5_EEEESt5arrayIPcLm2EEEEviT0_T1_.uses_flat_scratch, 0
	.set _ZN2at6native29vectorized_elementwise_kernelILi4ENS0_13AUnaryFunctorIN3c107complexIfEES5_bNS0_12_GLOBAL__N_116CompareEqFunctorIS5_EEEESt5arrayIPcLm2EEEEviT0_T1_.has_dyn_sized_stack, 0
	.set _ZN2at6native29vectorized_elementwise_kernelILi4ENS0_13AUnaryFunctorIN3c107complexIfEES5_bNS0_12_GLOBAL__N_116CompareEqFunctorIS5_EEEESt5arrayIPcLm2EEEEviT0_T1_.has_recursion, 0
	.set _ZN2at6native29vectorized_elementwise_kernelILi4ENS0_13AUnaryFunctorIN3c107complexIfEES5_bNS0_12_GLOBAL__N_116CompareEqFunctorIS5_EEEESt5arrayIPcLm2EEEEviT0_T1_.has_indirect_call, 0
	.section	.AMDGPU.csdata,"",@progbits
; Kernel info:
; codeLenInByte = 5456
; TotalNumSgprs: 29
; NumVgprs: 36
; ScratchSize: 0
; MemoryBound: 0
; FloatMode: 240
; IeeeMode: 1
; LDSByteSize: 0 bytes/workgroup (compile time only)
; SGPRBlocks: 0
; VGPRBlocks: 2
; NumSGPRsForWavesPerEU: 29
; NumVGPRsForWavesPerEU: 36
; NamedBarCnt: 0
; Occupancy: 16
; WaveLimiterHint : 1
; COMPUTE_PGM_RSRC2:SCRATCH_EN: 0
; COMPUTE_PGM_RSRC2:USER_SGPR: 2
; COMPUTE_PGM_RSRC2:TRAP_HANDLER: 0
; COMPUTE_PGM_RSRC2:TGID_X_EN: 1
; COMPUTE_PGM_RSRC2:TGID_Y_EN: 0
; COMPUTE_PGM_RSRC2:TGID_Z_EN: 0
; COMPUTE_PGM_RSRC2:TIDIG_COMP_CNT: 0
	.section	.text._ZN2at6native29vectorized_elementwise_kernelILi2ENS0_13AUnaryFunctorIN3c107complexIfEES5_bNS0_12_GLOBAL__N_116CompareEqFunctorIS5_EEEESt5arrayIPcLm2EEEEviT0_T1_,"axG",@progbits,_ZN2at6native29vectorized_elementwise_kernelILi2ENS0_13AUnaryFunctorIN3c107complexIfEES5_bNS0_12_GLOBAL__N_116CompareEqFunctorIS5_EEEESt5arrayIPcLm2EEEEviT0_T1_,comdat
	.globl	_ZN2at6native29vectorized_elementwise_kernelILi2ENS0_13AUnaryFunctorIN3c107complexIfEES5_bNS0_12_GLOBAL__N_116CompareEqFunctorIS5_EEEESt5arrayIPcLm2EEEEviT0_T1_ ; -- Begin function _ZN2at6native29vectorized_elementwise_kernelILi2ENS0_13AUnaryFunctorIN3c107complexIfEES5_bNS0_12_GLOBAL__N_116CompareEqFunctorIS5_EEEESt5arrayIPcLm2EEEEviT0_T1_
	.p2align	8
	.type	_ZN2at6native29vectorized_elementwise_kernelILi2ENS0_13AUnaryFunctorIN3c107complexIfEES5_bNS0_12_GLOBAL__N_116CompareEqFunctorIS5_EEEESt5arrayIPcLm2EEEEviT0_T1_,@function
_ZN2at6native29vectorized_elementwise_kernelILi2ENS0_13AUnaryFunctorIN3c107complexIfEES5_bNS0_12_GLOBAL__N_116CompareEqFunctorIS5_EEEESt5arrayIPcLm2EEEEviT0_T1_: ; @_ZN2at6native29vectorized_elementwise_kernelILi2ENS0_13AUnaryFunctorIN3c107complexIfEES5_bNS0_12_GLOBAL__N_116CompareEqFunctorIS5_EEEESt5arrayIPcLm2EEEEviT0_T1_
; %bb.0:
	s_clause 0x3
	s_load_b32 s3, s[0:1], 0x0
	s_load_b32 s11, s[0:1], 0x8
	s_load_b64 s[8:9], s[0:1], 0x10
	s_load_b128 s[4:7], s[0:1], 0x18
	s_wait_xcnt 0x0
	s_bfe_u32 s0, ttmp6, 0x4000c
	s_and_b32 s1, ttmp6, 15
	s_add_co_i32 s0, s0, 1
	s_getreg_b32 s2, hwreg(HW_REG_IB_STS2, 6, 4)
	s_mul_i32 s0, ttmp9, s0
	s_delay_alu instid0(SALU_CYCLE_1) | instskip(SKIP_2) | instid1(SALU_CYCLE_1)
	s_add_co_i32 s1, s1, s0
	s_cmp_eq_u32 s2, 0
	s_cselect_b32 s0, ttmp9, s1
	s_lshl_b32 s2, s0, 12
	s_mov_b32 s0, -1
	s_wait_kmcnt 0x0
	s_sub_co_i32 s10, s3, s2
	s_delay_alu instid0(SALU_CYCLE_1)
	s_cmp_gt_i32 s10, 0xfff
	s_cbranch_scc0 .LBB139_50
; %bb.1:
	s_ashr_i32 s3, s2, 31
	s_delay_alu instid0(SALU_CYCLE_1)
	s_lshl_b64 s[0:1], s[2:3], 3
	s_cmp_lg_u32 s11, 0
	s_add_nc_u64 s[0:1], s[6:7], s[0:1]
	s_cselect_b32 s12, -1, 0
	s_clause 0x7
	global_load_b128 v[30:33], v0, s[0:1] scale_offset
	global_load_b128 v[26:29], v0, s[0:1] offset:4096 scale_offset
	global_load_b128 v[22:25], v0, s[0:1] offset:8192 scale_offset
	;; [unrolled: 1-line block ×7, first 2 shown]
	s_and_b32 vcc_lo, exec_lo, s12
	s_cbranch_vccz .LBB139_196
; %bb.2:
	s_wait_loadcnt 0x7
	v_cmp_neq_f32_e32 vcc_lo, s8, v30
	s_wait_xcnt 0x0
	v_cmp_neq_f32_e64 s0, s9, v31
	s_or_b32 s1, vcc_lo, s0
	s_cbranch_execnz .LBB139_4
.LBB139_3:
	s_wait_loadcnt 0x7
	v_cmp_eq_f32_e32 vcc_lo, s8, v30
	v_cmp_eq_f32_e64 s0, s9, v31
	s_and_not1_b32 s1, s1, exec_lo
	s_and_b32 s0, vcc_lo, s0
	s_delay_alu instid0(SALU_CYCLE_1) | instskip(NEXT) | instid1(SALU_CYCLE_1)
	s_and_b32 s0, s0, exec_lo
	s_or_b32 s1, s1, s0
.LBB139_4:
	v_cndmask_b32_e64 v1, 0, 1, s12
	s_and_not1_b32 vcc_lo, exec_lo, s12
	s_cbranch_vccnz .LBB139_197
; %bb.5:
	s_wait_loadcnt 0x7
	v_cmp_neq_f32_e32 vcc_lo, s8, v32
	v_cmp_neq_f32_e64 s0, s9, v33
	s_or_b32 s12, vcc_lo, s0
	s_cbranch_execnz .LBB139_7
.LBB139_6:
	s_wait_loadcnt 0x7
	v_cmp_eq_f32_e32 vcc_lo, s8, v32
	v_cmp_eq_f32_e64 s0, s9, v33
	s_and_not1_b32 s12, s12, exec_lo
	s_and_b32 s0, vcc_lo, s0
	s_delay_alu instid0(SALU_CYCLE_1) | instskip(NEXT) | instid1(SALU_CYCLE_1)
	s_and_b32 s0, s0, exec_lo
	s_or_b32 s12, s12, s0
.LBB139_7:
	v_cmp_ne_u32_e32 vcc_lo, 1, v1
	s_cbranch_vccnz .LBB139_198
; %bb.8:
	s_wait_loadcnt 0x6
	v_cmp_neq_f32_e32 vcc_lo, s8, v26
	v_cmp_neq_f32_e64 s0, s9, v27
	s_or_b32 s13, vcc_lo, s0
	s_cbranch_execnz .LBB139_10
.LBB139_9:
	s_wait_loadcnt 0x6
	v_cmp_eq_f32_e32 vcc_lo, s8, v26
	v_cmp_eq_f32_e64 s0, s9, v27
	s_and_not1_b32 s13, s13, exec_lo
	s_and_b32 s0, vcc_lo, s0
	s_delay_alu instid0(SALU_CYCLE_1) | instskip(NEXT) | instid1(SALU_CYCLE_1)
	s_and_b32 s0, s0, exec_lo
	s_or_b32 s13, s13, s0
.LBB139_10:
	v_cmp_ne_u32_e32 vcc_lo, 1, v1
	s_cbranch_vccnz .LBB139_199
; %bb.11:
	s_wait_loadcnt 0x6
	v_cmp_neq_f32_e32 vcc_lo, s8, v28
	v_cmp_neq_f32_e64 s0, s9, v29
	s_or_b32 s14, vcc_lo, s0
	s_cbranch_execnz .LBB139_13
.LBB139_12:
	s_wait_loadcnt 0x6
	v_cmp_eq_f32_e32 vcc_lo, s8, v28
	v_cmp_eq_f32_e64 s0, s9, v29
	s_and_not1_b32 s14, s14, exec_lo
	s_and_b32 s0, vcc_lo, s0
	s_delay_alu instid0(SALU_CYCLE_1) | instskip(NEXT) | instid1(SALU_CYCLE_1)
	s_and_b32 s0, s0, exec_lo
	s_or_b32 s14, s14, s0
.LBB139_13:
	v_cmp_ne_u32_e32 vcc_lo, 1, v1
	s_cbranch_vccnz .LBB139_200
; %bb.14:
	s_wait_loadcnt 0x5
	v_cmp_neq_f32_e32 vcc_lo, s8, v22
	v_cmp_neq_f32_e64 s0, s9, v23
	s_or_b32 s15, vcc_lo, s0
	s_cbranch_execnz .LBB139_16
.LBB139_15:
	s_wait_loadcnt 0x5
	v_cmp_eq_f32_e32 vcc_lo, s8, v22
	v_cmp_eq_f32_e64 s0, s9, v23
	s_and_not1_b32 s15, s15, exec_lo
	s_and_b32 s0, vcc_lo, s0
	s_delay_alu instid0(SALU_CYCLE_1) | instskip(NEXT) | instid1(SALU_CYCLE_1)
	s_and_b32 s0, s0, exec_lo
	s_or_b32 s15, s15, s0
.LBB139_16:
	v_cmp_ne_u32_e32 vcc_lo, 1, v1
	s_cbranch_vccnz .LBB139_201
; %bb.17:
	s_wait_loadcnt 0x5
	v_cmp_neq_f32_e32 vcc_lo, s8, v24
	v_cmp_neq_f32_e64 s0, s9, v25
	s_or_b32 s16, vcc_lo, s0
	s_cbranch_execnz .LBB139_19
.LBB139_18:
	s_wait_loadcnt 0x5
	v_cmp_eq_f32_e32 vcc_lo, s8, v24
	v_cmp_eq_f32_e64 s0, s9, v25
	s_and_not1_b32 s16, s16, exec_lo
	s_and_b32 s0, vcc_lo, s0
	s_delay_alu instid0(SALU_CYCLE_1) | instskip(NEXT) | instid1(SALU_CYCLE_1)
	s_and_b32 s0, s0, exec_lo
	s_or_b32 s16, s16, s0
.LBB139_19:
	v_cmp_ne_u32_e32 vcc_lo, 1, v1
	s_cbranch_vccnz .LBB139_202
; %bb.20:
	s_wait_loadcnt 0x4
	v_cmp_neq_f32_e32 vcc_lo, s8, v18
	v_cmp_neq_f32_e64 s0, s9, v19
	s_or_b32 s17, vcc_lo, s0
	s_cbranch_execnz .LBB139_22
.LBB139_21:
	s_wait_loadcnt 0x4
	v_cmp_eq_f32_e32 vcc_lo, s8, v18
	v_cmp_eq_f32_e64 s0, s9, v19
	s_and_not1_b32 s17, s17, exec_lo
	s_and_b32 s0, vcc_lo, s0
	s_delay_alu instid0(SALU_CYCLE_1) | instskip(NEXT) | instid1(SALU_CYCLE_1)
	s_and_b32 s0, s0, exec_lo
	s_or_b32 s17, s17, s0
.LBB139_22:
	v_cmp_ne_u32_e32 vcc_lo, 1, v1
	s_cbranch_vccnz .LBB139_203
; %bb.23:
	s_wait_loadcnt 0x4
	v_cmp_neq_f32_e32 vcc_lo, s8, v20
	v_cmp_neq_f32_e64 s0, s9, v21
	s_or_b32 s18, vcc_lo, s0
	s_cbranch_execnz .LBB139_25
.LBB139_24:
	s_wait_loadcnt 0x4
	v_cmp_eq_f32_e32 vcc_lo, s8, v20
	v_cmp_eq_f32_e64 s0, s9, v21
	s_and_not1_b32 s18, s18, exec_lo
	s_and_b32 s0, vcc_lo, s0
	s_delay_alu instid0(SALU_CYCLE_1) | instskip(NEXT) | instid1(SALU_CYCLE_1)
	s_and_b32 s0, s0, exec_lo
	s_or_b32 s18, s18, s0
.LBB139_25:
	v_cmp_ne_u32_e32 vcc_lo, 1, v1
	s_cbranch_vccnz .LBB139_204
; %bb.26:
	s_wait_loadcnt 0x3
	v_cmp_neq_f32_e32 vcc_lo, s8, v14
	v_cmp_neq_f32_e64 s0, s9, v15
	s_or_b32 s19, vcc_lo, s0
	s_cbranch_execnz .LBB139_28
.LBB139_27:
	s_wait_loadcnt 0x3
	v_cmp_eq_f32_e32 vcc_lo, s8, v14
	v_cmp_eq_f32_e64 s0, s9, v15
	s_and_not1_b32 s19, s19, exec_lo
	s_and_b32 s0, vcc_lo, s0
	s_delay_alu instid0(SALU_CYCLE_1) | instskip(NEXT) | instid1(SALU_CYCLE_1)
	s_and_b32 s0, s0, exec_lo
	s_or_b32 s19, s19, s0
.LBB139_28:
	v_cmp_ne_u32_e32 vcc_lo, 1, v1
	s_cbranch_vccnz .LBB139_205
; %bb.29:
	s_wait_loadcnt 0x3
	v_cmp_neq_f32_e32 vcc_lo, s8, v16
	v_cmp_neq_f32_e64 s0, s9, v17
	s_or_b32 s20, vcc_lo, s0
	s_cbranch_execnz .LBB139_31
.LBB139_30:
	s_wait_loadcnt 0x3
	v_cmp_eq_f32_e32 vcc_lo, s8, v16
	v_cmp_eq_f32_e64 s0, s9, v17
	s_and_not1_b32 s20, s20, exec_lo
	s_and_b32 s0, vcc_lo, s0
	s_delay_alu instid0(SALU_CYCLE_1) | instskip(NEXT) | instid1(SALU_CYCLE_1)
	s_and_b32 s0, s0, exec_lo
	s_or_b32 s20, s20, s0
.LBB139_31:
	v_cmp_ne_u32_e32 vcc_lo, 1, v1
	s_cbranch_vccnz .LBB139_206
; %bb.32:
	s_wait_loadcnt 0x2
	v_cmp_neq_f32_e32 vcc_lo, s8, v10
	v_cmp_neq_f32_e64 s0, s9, v11
	s_or_b32 s21, vcc_lo, s0
	s_cbranch_execnz .LBB139_34
.LBB139_33:
	s_wait_loadcnt 0x2
	v_cmp_eq_f32_e32 vcc_lo, s8, v10
	v_cmp_eq_f32_e64 s0, s9, v11
	s_and_not1_b32 s21, s21, exec_lo
	s_and_b32 s0, vcc_lo, s0
	s_delay_alu instid0(SALU_CYCLE_1) | instskip(NEXT) | instid1(SALU_CYCLE_1)
	s_and_b32 s0, s0, exec_lo
	s_or_b32 s21, s21, s0
.LBB139_34:
	v_cmp_ne_u32_e32 vcc_lo, 1, v1
	s_cbranch_vccnz .LBB139_207
; %bb.35:
	s_wait_loadcnt 0x2
	v_cmp_neq_f32_e32 vcc_lo, s8, v12
	v_cmp_neq_f32_e64 s0, s9, v13
	s_or_b32 s22, vcc_lo, s0
	s_cbranch_execnz .LBB139_37
.LBB139_36:
	s_wait_loadcnt 0x2
	v_cmp_eq_f32_e32 vcc_lo, s8, v12
	v_cmp_eq_f32_e64 s0, s9, v13
	s_and_not1_b32 s22, s22, exec_lo
	s_and_b32 s0, vcc_lo, s0
	s_delay_alu instid0(SALU_CYCLE_1) | instskip(NEXT) | instid1(SALU_CYCLE_1)
	s_and_b32 s0, s0, exec_lo
	s_or_b32 s22, s22, s0
.LBB139_37:
	v_cmp_ne_u32_e32 vcc_lo, 1, v1
	s_cbranch_vccnz .LBB139_208
; %bb.38:
	s_wait_loadcnt 0x1
	v_cmp_neq_f32_e32 vcc_lo, s8, v6
	v_cmp_neq_f32_e64 s0, s9, v7
	s_or_b32 s23, vcc_lo, s0
	s_cbranch_execnz .LBB139_40
.LBB139_39:
	s_wait_loadcnt 0x1
	v_cmp_eq_f32_e32 vcc_lo, s8, v6
	v_cmp_eq_f32_e64 s0, s9, v7
	s_and_not1_b32 s23, s23, exec_lo
	s_and_b32 s0, vcc_lo, s0
	s_delay_alu instid0(SALU_CYCLE_1) | instskip(NEXT) | instid1(SALU_CYCLE_1)
	s_and_b32 s0, s0, exec_lo
	s_or_b32 s23, s23, s0
.LBB139_40:
	v_cmp_ne_u32_e32 vcc_lo, 1, v1
	s_cbranch_vccnz .LBB139_209
; %bb.41:
	s_wait_loadcnt 0x1
	v_cmp_neq_f32_e32 vcc_lo, s8, v8
	v_cmp_neq_f32_e64 s0, s9, v9
	s_or_b32 s24, vcc_lo, s0
	s_cbranch_execnz .LBB139_43
.LBB139_42:
	s_wait_loadcnt 0x1
	v_cmp_eq_f32_e32 vcc_lo, s8, v8
	v_cmp_eq_f32_e64 s0, s9, v9
	s_and_not1_b32 s24, s24, exec_lo
	s_and_b32 s0, vcc_lo, s0
	s_delay_alu instid0(SALU_CYCLE_1) | instskip(NEXT) | instid1(SALU_CYCLE_1)
	s_and_b32 s0, s0, exec_lo
	s_or_b32 s24, s24, s0
.LBB139_43:
	v_cmp_ne_u32_e32 vcc_lo, 1, v1
	s_cbranch_vccnz .LBB139_210
; %bb.44:
	s_wait_loadcnt 0x0
	v_cmp_neq_f32_e32 vcc_lo, s8, v2
	v_cmp_neq_f32_e64 s0, s9, v3
	s_or_b32 s25, vcc_lo, s0
	s_cbranch_execnz .LBB139_46
.LBB139_45:
	s_wait_loadcnt 0x0
	v_cmp_eq_f32_e32 vcc_lo, s8, v2
	v_cmp_eq_f32_e64 s0, s9, v3
	s_and_not1_b32 s25, s25, exec_lo
	s_and_b32 s0, vcc_lo, s0
	s_delay_alu instid0(SALU_CYCLE_1) | instskip(NEXT) | instid1(SALU_CYCLE_1)
	s_and_b32 s0, s0, exec_lo
	s_or_b32 s25, s25, s0
.LBB139_46:
	v_cmp_ne_u32_e32 vcc_lo, 1, v1
	s_cbranch_vccnz .LBB139_211
; %bb.47:
	s_wait_loadcnt 0x0
	v_cmp_neq_f32_e32 vcc_lo, s8, v4
	v_cmp_neq_f32_e64 s0, s9, v5
	s_or_b32 s26, vcc_lo, s0
	s_cbranch_execnz .LBB139_49
.LBB139_48:
	s_wait_loadcnt 0x0
	v_cmp_eq_f32_e32 vcc_lo, s8, v4
	v_cmp_eq_f32_e64 s0, s9, v5
	s_and_not1_b32 s26, s26, exec_lo
	s_and_b32 s0, vcc_lo, s0
	s_delay_alu instid0(SALU_CYCLE_1) | instskip(NEXT) | instid1(SALU_CYCLE_1)
	s_and_b32 s0, s0, exec_lo
	s_or_b32 s26, s26, s0
.LBB139_49:
	v_cndmask_b32_e64 v1, 0, 1, s23
	s_wait_loadcnt 0x0
	v_cndmask_b32_e64 v2, 0, 0x100, s24
	v_cndmask_b32_e64 v3, 0, 1, s21
	;; [unrolled: 1-line block ×5, first 2 shown]
	v_or_b32_e32 v1, v2, v1
	v_cndmask_b32_e64 v9, 0, 1, s1
	v_or_b32_e32 v2, v4, v3
	v_cndmask_b32_e64 v4, 0, 1, s17
	;; [unrolled: 2-line block ×3, first 2 shown]
	v_cndmask_b32_e64 v10, 0, 0x100, s12
	v_cndmask_b32_e64 v8, 0, 1, s13
	;; [unrolled: 1-line block ×6, first 2 shown]
	v_or_b32_e32 v4, v5, v4
	v_cndmask_b32_e64 v5, 0, 0x100, s26
	v_or_b32_e32 v9, v10, v9
	v_or_b32_e32 v8, v11, v8
	;; [unrolled: 1-line block ×3, first 2 shown]
	s_mov_b32 s0, 0
	s_add_nc_u64 s[12:13], s[4:5], s[2:3]
	v_or_b32_e32 v5, v5, v7
	s_clause 0x7
	global_store_b16 v0, v9, s[12:13] scale_offset
	global_store_b16 v0, v8, s[12:13] offset:512 scale_offset
	global_store_b16 v0, v6, s[12:13] offset:1024 scale_offset
	global_store_b16 v0, v4, s[12:13] offset:1536 scale_offset
	global_store_b16 v0, v3, s[12:13] offset:2048 scale_offset
	global_store_b16 v0, v2, s[12:13] offset:2560 scale_offset
	global_store_b16 v0, v1, s[12:13] offset:3072 scale_offset
	global_store_b16 v0, v5, s[12:13] offset:3584 scale_offset
.LBB139_50:
	s_and_b32 vcc_lo, exec_lo, s0
	s_cbranch_vccz .LBB139_195
; %bb.51:
	v_cmp_gt_i32_e64 s0, s10, v0
	s_wait_xcnt 0x1
	v_dual_mov_b32 v28, 0 :: v_dual_bitop2_b32 v1, s2, v0 bitop3:0x54
	v_or_b32_e32 v34, 0x100, v0
	v_dual_mov_b32 v35, v0 :: v_dual_mov_b32 v32, 0
	v_mov_b32_e32 v33, 0
	s_wait_xcnt 0x0
	s_and_saveexec_b32 s1, s0
	s_cbranch_execz .LBB139_53
; %bb.52:
	global_load_b64 v[32:33], v1, s[6:7] scale_offset
	v_or_b32_e32 v35, 0x100, v0
.LBB139_53:
	s_wait_xcnt 0x0
	s_or_b32 exec_lo, exec_lo, s1
	v_mov_b32_e32 v29, 0
	s_mov_b32 s1, exec_lo
	v_cmpx_gt_i32_e64 s10, v35
	s_cbranch_execz .LBB139_55
; %bb.54:
	v_add_nc_u32_e32 v2, s2, v35
	v_add_nc_u32_e32 v35, 0x100, v35
	global_load_b64 v[28:29], v2, s[6:7] scale_offset
.LBB139_55:
	s_wait_xcnt 0x0
	s_or_b32 exec_lo, exec_lo, s1
	v_dual_mov_b32 v26, 0 :: v_dual_mov_b32 v30, 0
	v_mov_b32_e32 v31, 0
	s_mov_b32 s1, exec_lo
	v_cmpx_gt_i32_e64 s10, v35
	s_cbranch_execz .LBB139_57
; %bb.56:
	v_add_nc_u32_e32 v2, s2, v35
	v_add_nc_u32_e32 v35, 0x100, v35
	global_load_b64 v[30:31], v2, s[6:7] scale_offset
.LBB139_57:
	s_wait_xcnt 0x0
	s_or_b32 exec_lo, exec_lo, s1
	v_mov_b32_e32 v27, 0
	s_mov_b32 s1, exec_lo
	v_cmpx_gt_i32_e64 s10, v35
	s_cbranch_execz .LBB139_59
; %bb.58:
	v_add_nc_u32_e32 v2, s2, v35
	v_add_nc_u32_e32 v35, 0x100, v35
	global_load_b64 v[26:27], v2, s[6:7] scale_offset
.LBB139_59:
	s_wait_xcnt 0x0
	s_or_b32 exec_lo, exec_lo, s1
	v_dual_mov_b32 v22, 0 :: v_dual_mov_b32 v24, 0
	v_mov_b32_e32 v25, 0
	s_mov_b32 s1, exec_lo
	v_cmpx_gt_i32_e64 s10, v35
	s_cbranch_execz .LBB139_61
; %bb.60:
	v_add_nc_u32_e32 v2, s2, v35
	v_add_nc_u32_e32 v35, 0x100, v35
	global_load_b64 v[24:25], v2, s[6:7] scale_offset
.LBB139_61:
	;; [unrolled: 23-line block ×7, first 2 shown]
	s_wait_xcnt 0x0
	s_or_b32 exec_lo, exec_lo, s1
	v_mov_b32_e32 v3, 0
	s_mov_b32 s1, exec_lo
	v_cmpx_gt_i32_e64 s10, v35
	s_cbranch_execz .LBB139_83
; %bb.82:
	v_add_nc_u32_e32 v2, s2, v35
	global_load_b64 v[2:3], v2, s[6:7] scale_offset
.LBB139_83:
	s_wait_xcnt 0x0
	s_or_b32 exec_lo, exec_lo, s1
	s_cmp_lg_u32 s11, 0
                                        ; implicit-def: $vgpr35
	s_cselect_b32 s3, -1, 0
	s_and_saveexec_b32 s6, s0
	s_cbranch_execz .LBB139_88
; %bb.84:
	s_and_b32 vcc_lo, exec_lo, s3
	s_cbranch_vccz .LBB139_212
; %bb.85:
	s_wait_loadcnt 0x0
	v_cmp_neq_f32_e32 vcc_lo, s8, v32
	v_cmp_neq_f32_e64 s1, s9, v33
	s_or_b32 s7, vcc_lo, s1
	s_cbranch_execnz .LBB139_87
.LBB139_86:
	s_wait_loadcnt 0x0
	v_cmp_eq_f32_e32 vcc_lo, s8, v32
	v_cmp_eq_f32_e64 s1, s9, v33
	s_and_not1_b32 s7, s7, exec_lo
	s_and_b32 s1, vcc_lo, s1
	s_delay_alu instid0(SALU_CYCLE_1) | instskip(NEXT) | instid1(SALU_CYCLE_1)
	s_and_b32 s1, s1, exec_lo
	s_or_b32 s7, s7, s1
.LBB139_87:
	s_delay_alu instid0(SALU_CYCLE_1)
	v_cndmask_b32_e64 v35, 0, 1, s7
.LBB139_88:
	s_or_b32 exec_lo, exec_lo, s6
	s_wait_loadcnt 0x0
	v_cndmask_b32_e64 v33, 0, 1, s3
	s_mov_b32 s6, exec_lo
                                        ; implicit-def: $vgpr32
	v_cmpx_gt_i32_e64 s10, v34
	s_cbranch_execz .LBB139_93
; %bb.89:
	s_and_not1_b32 vcc_lo, exec_lo, s3
	s_cbranch_vccnz .LBB139_213
; %bb.90:
	v_cmp_neq_f32_e32 vcc_lo, s8, v28
	v_cmp_neq_f32_e64 s1, s9, v29
	s_or_b32 s3, vcc_lo, s1
	s_cbranch_execnz .LBB139_92
.LBB139_91:
	v_cmp_eq_f32_e32 vcc_lo, s8, v28
	v_cmp_eq_f32_e64 s1, s9, v29
	s_and_not1_b32 s3, s3, exec_lo
	s_and_b32 s1, vcc_lo, s1
	s_delay_alu instid0(SALU_CYCLE_1) | instskip(NEXT) | instid1(SALU_CYCLE_1)
	s_and_b32 s1, s1, exec_lo
	s_or_b32 s3, s3, s1
.LBB139_92:
	s_delay_alu instid0(SALU_CYCLE_1)
	v_cndmask_b32_e64 v32, 0, 1, s3
.LBB139_93:
	s_or_b32 exec_lo, exec_lo, s6
	v_or_b32_e32 v28, 0x200, v0
	s_delay_alu instid0(VALU_DEP_1)
	v_cmp_gt_i32_e32 vcc_lo, s10, v28
                                        ; implicit-def: $vgpr28
	s_and_saveexec_b32 s3, vcc_lo
	s_cbranch_execz .LBB139_98
; %bb.94:
	v_cmp_ne_u32_e32 vcc_lo, 1, v33
	s_cbranch_vccnz .LBB139_214
; %bb.95:
	v_cmp_neq_f32_e32 vcc_lo, s8, v30
	v_cmp_neq_f32_e64 s1, s9, v31
	s_or_b32 s6, vcc_lo, s1
	s_cbranch_execnz .LBB139_97
.LBB139_96:
	v_cmp_eq_f32_e32 vcc_lo, s8, v30
	v_cmp_eq_f32_e64 s1, s9, v31
	s_and_not1_b32 s6, s6, exec_lo
	s_and_b32 s1, vcc_lo, s1
	s_delay_alu instid0(SALU_CYCLE_1) | instskip(NEXT) | instid1(SALU_CYCLE_1)
	s_and_b32 s1, s1, exec_lo
	s_or_b32 s6, s6, s1
.LBB139_97:
	s_delay_alu instid0(SALU_CYCLE_1)
	v_cndmask_b32_e64 v28, 0, 1, s6
.LBB139_98:
	s_or_b32 exec_lo, exec_lo, s3
	v_or_b32_e32 v29, 0x300, v0
	s_delay_alu instid0(VALU_DEP_1)
	v_cmp_gt_i32_e32 vcc_lo, s10, v29
                                        ; implicit-def: $vgpr29
	s_and_saveexec_b32 s3, vcc_lo
	s_cbranch_execz .LBB139_103
; %bb.99:
	v_cmp_ne_u32_e32 vcc_lo, 1, v33
	s_cbranch_vccnz .LBB139_215
; %bb.100:
	v_cmp_neq_f32_e32 vcc_lo, s8, v26
	v_cmp_neq_f32_e64 s1, s9, v27
	s_or_b32 s6, vcc_lo, s1
	s_cbranch_execnz .LBB139_102
.LBB139_101:
	v_cmp_eq_f32_e32 vcc_lo, s8, v26
	v_cmp_eq_f32_e64 s1, s9, v27
	s_and_not1_b32 s6, s6, exec_lo
	s_and_b32 s1, vcc_lo, s1
	s_delay_alu instid0(SALU_CYCLE_1) | instskip(NEXT) | instid1(SALU_CYCLE_1)
	s_and_b32 s1, s1, exec_lo
	s_or_b32 s6, s6, s1
.LBB139_102:
	s_delay_alu instid0(SALU_CYCLE_1)
	v_cndmask_b32_e64 v29, 0, 1, s6
.LBB139_103:
	s_or_b32 exec_lo, exec_lo, s3
	v_or_b32_e32 v26, 0x400, v0
	s_delay_alu instid0(VALU_DEP_1)
	v_cmp_gt_i32_e32 vcc_lo, s10, v26
                                        ; implicit-def: $vgpr26
	s_and_saveexec_b32 s3, vcc_lo
	s_cbranch_execz .LBB139_108
; %bb.104:
	v_cmp_ne_u32_e32 vcc_lo, 1, v33
	s_cbranch_vccnz .LBB139_216
; %bb.105:
	v_cmp_neq_f32_e32 vcc_lo, s8, v24
	v_cmp_neq_f32_e64 s1, s9, v25
	s_or_b32 s6, vcc_lo, s1
	s_cbranch_execnz .LBB139_107
.LBB139_106:
	v_cmp_eq_f32_e32 vcc_lo, s8, v24
	v_cmp_eq_f32_e64 s1, s9, v25
	s_and_not1_b32 s6, s6, exec_lo
	s_and_b32 s1, vcc_lo, s1
	s_delay_alu instid0(SALU_CYCLE_1) | instskip(NEXT) | instid1(SALU_CYCLE_1)
	s_and_b32 s1, s1, exec_lo
	s_or_b32 s6, s6, s1
.LBB139_107:
	s_delay_alu instid0(SALU_CYCLE_1)
	v_cndmask_b32_e64 v26, 0, 1, s6
.LBB139_108:
	s_or_b32 exec_lo, exec_lo, s3
	v_or_b32_e32 v24, 0x500, v0
	s_delay_alu instid0(VALU_DEP_1)
	v_cmp_gt_i32_e32 vcc_lo, s10, v24
                                        ; implicit-def: $vgpr24
	s_and_saveexec_b32 s3, vcc_lo
	s_cbranch_execz .LBB139_113
; %bb.109:
	v_cmp_ne_u32_e32 vcc_lo, 1, v33
	s_cbranch_vccnz .LBB139_217
; %bb.110:
	v_cmp_neq_f32_e32 vcc_lo, s8, v22
	v_cmp_neq_f32_e64 s1, s9, v23
	s_or_b32 s6, vcc_lo, s1
	s_cbranch_execnz .LBB139_112
.LBB139_111:
	v_cmp_eq_f32_e32 vcc_lo, s8, v22
	v_cmp_eq_f32_e64 s1, s9, v23
	s_and_not1_b32 s6, s6, exec_lo
	s_and_b32 s1, vcc_lo, s1
	s_delay_alu instid0(SALU_CYCLE_1) | instskip(NEXT) | instid1(SALU_CYCLE_1)
	s_and_b32 s1, s1, exec_lo
	s_or_b32 s6, s6, s1
.LBB139_112:
	s_delay_alu instid0(SALU_CYCLE_1)
	v_cndmask_b32_e64 v24, 0, 1, s6
.LBB139_113:
	s_or_b32 exec_lo, exec_lo, s3
	v_or_b32_e32 v22, 0x600, v0
	s_delay_alu instid0(VALU_DEP_1)
	v_cmp_gt_i32_e32 vcc_lo, s10, v22
                                        ; implicit-def: $vgpr22
	s_and_saveexec_b32 s3, vcc_lo
	s_cbranch_execz .LBB139_118
; %bb.114:
	v_cmp_ne_u32_e32 vcc_lo, 1, v33
	s_cbranch_vccnz .LBB139_218
; %bb.115:
	v_cmp_neq_f32_e32 vcc_lo, s8, v20
	v_cmp_neq_f32_e64 s1, s9, v21
	s_or_b32 s6, vcc_lo, s1
	s_cbranch_execnz .LBB139_117
.LBB139_116:
	v_cmp_eq_f32_e32 vcc_lo, s8, v20
	v_cmp_eq_f32_e64 s1, s9, v21
	s_and_not1_b32 s6, s6, exec_lo
	s_and_b32 s1, vcc_lo, s1
	s_delay_alu instid0(SALU_CYCLE_1) | instskip(NEXT) | instid1(SALU_CYCLE_1)
	s_and_b32 s1, s1, exec_lo
	s_or_b32 s6, s6, s1
.LBB139_117:
	s_delay_alu instid0(SALU_CYCLE_1)
	v_cndmask_b32_e64 v22, 0, 1, s6
.LBB139_118:
	s_or_b32 exec_lo, exec_lo, s3
	v_or_b32_e32 v20, 0x700, v0
	s_delay_alu instid0(VALU_DEP_1)
	v_cmp_gt_i32_e32 vcc_lo, s10, v20
                                        ; implicit-def: $vgpr20
	s_and_saveexec_b32 s3, vcc_lo
	s_cbranch_execz .LBB139_123
; %bb.119:
	v_cmp_ne_u32_e32 vcc_lo, 1, v33
	s_cbranch_vccnz .LBB139_219
; %bb.120:
	v_cmp_neq_f32_e32 vcc_lo, s8, v18
	v_cmp_neq_f32_e64 s1, s9, v19
	s_or_b32 s6, vcc_lo, s1
	s_cbranch_execnz .LBB139_122
.LBB139_121:
	v_cmp_eq_f32_e32 vcc_lo, s8, v18
	v_cmp_eq_f32_e64 s1, s9, v19
	s_and_not1_b32 s6, s6, exec_lo
	s_and_b32 s1, vcc_lo, s1
	s_delay_alu instid0(SALU_CYCLE_1) | instskip(NEXT) | instid1(SALU_CYCLE_1)
	s_and_b32 s1, s1, exec_lo
	s_or_b32 s6, s6, s1
.LBB139_122:
	s_delay_alu instid0(SALU_CYCLE_1)
	v_cndmask_b32_e64 v20, 0, 1, s6
.LBB139_123:
	s_or_b32 exec_lo, exec_lo, s3
	v_or_b32_e32 v18, 0x800, v0
	s_delay_alu instid0(VALU_DEP_1)
	v_cmp_gt_i32_e32 vcc_lo, s10, v18
                                        ; implicit-def: $vgpr18
	s_and_saveexec_b32 s3, vcc_lo
	s_cbranch_execz .LBB139_128
; %bb.124:
	v_cmp_ne_u32_e32 vcc_lo, 1, v33
	s_cbranch_vccnz .LBB139_220
; %bb.125:
	v_cmp_neq_f32_e32 vcc_lo, s8, v16
	v_cmp_neq_f32_e64 s1, s9, v17
	s_or_b32 s6, vcc_lo, s1
	s_cbranch_execnz .LBB139_127
.LBB139_126:
	v_cmp_eq_f32_e32 vcc_lo, s8, v16
	v_cmp_eq_f32_e64 s1, s9, v17
	s_and_not1_b32 s6, s6, exec_lo
	s_and_b32 s1, vcc_lo, s1
	s_delay_alu instid0(SALU_CYCLE_1) | instskip(NEXT) | instid1(SALU_CYCLE_1)
	s_and_b32 s1, s1, exec_lo
	s_or_b32 s6, s6, s1
.LBB139_127:
	s_delay_alu instid0(SALU_CYCLE_1)
	v_cndmask_b32_e64 v18, 0, 1, s6
.LBB139_128:
	s_or_b32 exec_lo, exec_lo, s3
	v_or_b32_e32 v16, 0x900, v0
	s_delay_alu instid0(VALU_DEP_1)
	v_cmp_gt_i32_e32 vcc_lo, s10, v16
                                        ; implicit-def: $vgpr16
	s_and_saveexec_b32 s3, vcc_lo
	s_cbranch_execz .LBB139_133
; %bb.129:
	v_cmp_ne_u32_e32 vcc_lo, 1, v33
	s_cbranch_vccnz .LBB139_221
; %bb.130:
	v_cmp_neq_f32_e32 vcc_lo, s8, v14
	v_cmp_neq_f32_e64 s1, s9, v15
	s_or_b32 s6, vcc_lo, s1
	s_cbranch_execnz .LBB139_132
.LBB139_131:
	v_cmp_eq_f32_e32 vcc_lo, s8, v14
	v_cmp_eq_f32_e64 s1, s9, v15
	s_and_not1_b32 s6, s6, exec_lo
	s_and_b32 s1, vcc_lo, s1
	s_delay_alu instid0(SALU_CYCLE_1) | instskip(NEXT) | instid1(SALU_CYCLE_1)
	s_and_b32 s1, s1, exec_lo
	s_or_b32 s6, s6, s1
.LBB139_132:
	s_delay_alu instid0(SALU_CYCLE_1)
	v_cndmask_b32_e64 v16, 0, 1, s6
.LBB139_133:
	s_or_b32 exec_lo, exec_lo, s3
	v_or_b32_e32 v14, 0xa00, v0
	s_delay_alu instid0(VALU_DEP_1)
	v_cmp_gt_i32_e32 vcc_lo, s10, v14
                                        ; implicit-def: $vgpr14
	s_and_saveexec_b32 s3, vcc_lo
	s_cbranch_execz .LBB139_138
; %bb.134:
	v_cmp_ne_u32_e32 vcc_lo, 1, v33
	s_cbranch_vccnz .LBB139_222
; %bb.135:
	v_cmp_neq_f32_e32 vcc_lo, s8, v12
	v_cmp_neq_f32_e64 s1, s9, v13
	s_or_b32 s6, vcc_lo, s1
	s_cbranch_execnz .LBB139_137
.LBB139_136:
	v_cmp_eq_f32_e32 vcc_lo, s8, v12
	v_cmp_eq_f32_e64 s1, s9, v13
	s_and_not1_b32 s6, s6, exec_lo
	s_and_b32 s1, vcc_lo, s1
	s_delay_alu instid0(SALU_CYCLE_1) | instskip(NEXT) | instid1(SALU_CYCLE_1)
	s_and_b32 s1, s1, exec_lo
	s_or_b32 s6, s6, s1
.LBB139_137:
	s_delay_alu instid0(SALU_CYCLE_1)
	v_cndmask_b32_e64 v14, 0, 1, s6
.LBB139_138:
	s_or_b32 exec_lo, exec_lo, s3
	v_or_b32_e32 v12, 0xb00, v0
	s_delay_alu instid0(VALU_DEP_1)
	v_cmp_gt_i32_e32 vcc_lo, s10, v12
                                        ; implicit-def: $vgpr12
	s_and_saveexec_b32 s3, vcc_lo
	s_cbranch_execz .LBB139_143
; %bb.139:
	v_cmp_ne_u32_e32 vcc_lo, 1, v33
	s_cbranch_vccnz .LBB139_223
; %bb.140:
	v_cmp_neq_f32_e32 vcc_lo, s8, v10
	v_cmp_neq_f32_e64 s1, s9, v11
	s_or_b32 s6, vcc_lo, s1
	s_cbranch_execnz .LBB139_142
.LBB139_141:
	v_cmp_eq_f32_e32 vcc_lo, s8, v10
	v_cmp_eq_f32_e64 s1, s9, v11
	s_and_not1_b32 s6, s6, exec_lo
	s_and_b32 s1, vcc_lo, s1
	s_delay_alu instid0(SALU_CYCLE_1) | instskip(NEXT) | instid1(SALU_CYCLE_1)
	s_and_b32 s1, s1, exec_lo
	s_or_b32 s6, s6, s1
.LBB139_142:
	s_delay_alu instid0(SALU_CYCLE_1)
	v_cndmask_b32_e64 v12, 0, 1, s6
.LBB139_143:
	s_or_b32 exec_lo, exec_lo, s3
	v_or_b32_e32 v10, 0xc00, v0
	s_delay_alu instid0(VALU_DEP_1)
	v_cmp_gt_i32_e32 vcc_lo, s10, v10
                                        ; implicit-def: $vgpr10
	s_and_saveexec_b32 s3, vcc_lo
	s_cbranch_execz .LBB139_148
; %bb.144:
	v_cmp_ne_u32_e32 vcc_lo, 1, v33
	s_cbranch_vccnz .LBB139_224
; %bb.145:
	v_cmp_neq_f32_e32 vcc_lo, s8, v8
	v_cmp_neq_f32_e64 s1, s9, v9
	s_or_b32 s6, vcc_lo, s1
	s_cbranch_execnz .LBB139_147
.LBB139_146:
	v_cmp_eq_f32_e32 vcc_lo, s8, v8
	v_cmp_eq_f32_e64 s1, s9, v9
	s_and_not1_b32 s6, s6, exec_lo
	s_and_b32 s1, vcc_lo, s1
	s_delay_alu instid0(SALU_CYCLE_1) | instskip(NEXT) | instid1(SALU_CYCLE_1)
	s_and_b32 s1, s1, exec_lo
	s_or_b32 s6, s6, s1
.LBB139_147:
	s_delay_alu instid0(SALU_CYCLE_1)
	v_cndmask_b32_e64 v10, 0, 1, s6
.LBB139_148:
	s_or_b32 exec_lo, exec_lo, s3
	v_or_b32_e32 v8, 0xd00, v0
	s_delay_alu instid0(VALU_DEP_1)
	v_cmp_gt_i32_e32 vcc_lo, s10, v8
                                        ; implicit-def: $vgpr8
	s_and_saveexec_b32 s3, vcc_lo
	s_cbranch_execz .LBB139_153
; %bb.149:
	v_cmp_ne_u32_e32 vcc_lo, 1, v33
	s_cbranch_vccnz .LBB139_225
; %bb.150:
	v_cmp_neq_f32_e32 vcc_lo, s8, v6
	v_cmp_neq_f32_e64 s1, s9, v7
	s_or_b32 s6, vcc_lo, s1
	s_cbranch_execnz .LBB139_152
.LBB139_151:
	v_cmp_eq_f32_e32 vcc_lo, s8, v6
	v_cmp_eq_f32_e64 s1, s9, v7
	s_and_not1_b32 s6, s6, exec_lo
	s_and_b32 s1, vcc_lo, s1
	s_delay_alu instid0(SALU_CYCLE_1) | instskip(NEXT) | instid1(SALU_CYCLE_1)
	s_and_b32 s1, s1, exec_lo
	s_or_b32 s6, s6, s1
.LBB139_152:
	s_delay_alu instid0(SALU_CYCLE_1)
	v_cndmask_b32_e64 v8, 0, 1, s6
.LBB139_153:
	s_or_b32 exec_lo, exec_lo, s3
	v_or_b32_e32 v6, 0xe00, v0
	s_delay_alu instid0(VALU_DEP_1)
	v_cmp_gt_i32_e32 vcc_lo, s10, v6
                                        ; implicit-def: $vgpr6
	s_and_saveexec_b32 s3, vcc_lo
	s_cbranch_execz .LBB139_158
; %bb.154:
	v_cmp_ne_u32_e32 vcc_lo, 1, v33
	s_cbranch_vccnz .LBB139_226
; %bb.155:
	v_cmp_neq_f32_e32 vcc_lo, s8, v4
	v_cmp_neq_f32_e64 s1, s9, v5
	s_or_b32 s6, vcc_lo, s1
	s_cbranch_execnz .LBB139_157
.LBB139_156:
	v_cmp_eq_f32_e32 vcc_lo, s8, v4
	v_cmp_eq_f32_e64 s1, s9, v5
	s_and_not1_b32 s6, s6, exec_lo
	s_and_b32 s1, vcc_lo, s1
	s_delay_alu instid0(SALU_CYCLE_1) | instskip(NEXT) | instid1(SALU_CYCLE_1)
	s_and_b32 s1, s1, exec_lo
	s_or_b32 s6, s6, s1
.LBB139_157:
	s_delay_alu instid0(SALU_CYCLE_1)
	v_cndmask_b32_e64 v6, 0, 1, s6
.LBB139_158:
	s_or_b32 exec_lo, exec_lo, s3
	v_or_b32_e32 v4, 0xf00, v0
	s_delay_alu instid0(VALU_DEP_1)
	v_cmp_gt_i32_e32 vcc_lo, s10, v4
                                        ; implicit-def: $vgpr4
	s_and_saveexec_b32 s3, vcc_lo
	s_cbranch_execz .LBB139_163
; %bb.159:
	v_cmp_ne_u32_e32 vcc_lo, 1, v33
	s_cbranch_vccnz .LBB139_227
; %bb.160:
	v_cmp_neq_f32_e32 vcc_lo, s8, v2
	v_cmp_neq_f32_e64 s1, s9, v3
	s_or_b32 s6, vcc_lo, s1
	s_cbranch_execnz .LBB139_162
.LBB139_161:
	v_cmp_eq_f32_e32 vcc_lo, s8, v2
	v_cmp_eq_f32_e64 s1, s9, v3
	s_and_not1_b32 s6, s6, exec_lo
	s_and_b32 s1, vcc_lo, s1
	s_delay_alu instid0(SALU_CYCLE_1) | instskip(NEXT) | instid1(SALU_CYCLE_1)
	s_and_b32 s1, s1, exec_lo
	s_or_b32 s6, s6, s1
.LBB139_162:
	s_delay_alu instid0(SALU_CYCLE_1)
	v_cndmask_b32_e64 v4, 0, 1, s6
.LBB139_163:
	s_or_b32 exec_lo, exec_lo, s3
	s_and_saveexec_b32 s1, s0
	s_delay_alu instid0(SALU_CYCLE_1)
	s_xor_b32 s0, exec_lo, s1
	s_cbranch_execz .LBB139_165
; %bb.164:
	v_mov_b32_e32 v0, v34
	global_store_b8 v1, v35, s[4:5]
.LBB139_165:
	s_wait_xcnt 0x0
	s_or_b32 exec_lo, exec_lo, s0
	s_delay_alu instid0(SALU_CYCLE_1)
	s_mov_b32 s0, exec_lo
	v_cmpx_gt_i32_e64 s10, v0
	s_cbranch_execnz .LBB139_181
; %bb.166:
	s_or_b32 exec_lo, exec_lo, s0
	s_delay_alu instid0(SALU_CYCLE_1)
	s_mov_b32 s0, exec_lo
	v_cmpx_gt_i32_e64 s10, v0
	s_cbranch_execnz .LBB139_182
.LBB139_167:
	s_or_b32 exec_lo, exec_lo, s0
	s_delay_alu instid0(SALU_CYCLE_1)
	s_mov_b32 s0, exec_lo
	v_cmpx_gt_i32_e64 s10, v0
	s_cbranch_execnz .LBB139_183
.LBB139_168:
	s_or_b32 exec_lo, exec_lo, s0
	s_delay_alu instid0(SALU_CYCLE_1)
	s_mov_b32 s0, exec_lo
	v_cmpx_gt_i32_e64 s10, v0
	s_cbranch_execnz .LBB139_184
.LBB139_169:
	s_or_b32 exec_lo, exec_lo, s0
	s_delay_alu instid0(SALU_CYCLE_1)
	s_mov_b32 s0, exec_lo
	v_cmpx_gt_i32_e64 s10, v0
	s_cbranch_execnz .LBB139_185
.LBB139_170:
	s_or_b32 exec_lo, exec_lo, s0
	s_delay_alu instid0(SALU_CYCLE_1)
	s_mov_b32 s0, exec_lo
	v_cmpx_gt_i32_e64 s10, v0
	s_cbranch_execnz .LBB139_186
.LBB139_171:
	s_or_b32 exec_lo, exec_lo, s0
	s_delay_alu instid0(SALU_CYCLE_1)
	s_mov_b32 s0, exec_lo
	v_cmpx_gt_i32_e64 s10, v0
	s_cbranch_execnz .LBB139_187
.LBB139_172:
	s_or_b32 exec_lo, exec_lo, s0
	s_delay_alu instid0(SALU_CYCLE_1)
	s_mov_b32 s0, exec_lo
	v_cmpx_gt_i32_e64 s10, v0
	s_cbranch_execnz .LBB139_188
.LBB139_173:
	s_or_b32 exec_lo, exec_lo, s0
	s_delay_alu instid0(SALU_CYCLE_1)
	s_mov_b32 s0, exec_lo
	v_cmpx_gt_i32_e64 s10, v0
	s_cbranch_execnz .LBB139_189
.LBB139_174:
	s_or_b32 exec_lo, exec_lo, s0
	s_delay_alu instid0(SALU_CYCLE_1)
	s_mov_b32 s0, exec_lo
	v_cmpx_gt_i32_e64 s10, v0
	s_cbranch_execnz .LBB139_190
.LBB139_175:
	s_or_b32 exec_lo, exec_lo, s0
	s_delay_alu instid0(SALU_CYCLE_1)
	s_mov_b32 s0, exec_lo
	v_cmpx_gt_i32_e64 s10, v0
	s_cbranch_execnz .LBB139_191
.LBB139_176:
	s_or_b32 exec_lo, exec_lo, s0
	s_delay_alu instid0(SALU_CYCLE_1)
	s_mov_b32 s0, exec_lo
	v_cmpx_gt_i32_e64 s10, v0
	s_cbranch_execnz .LBB139_192
.LBB139_177:
	s_or_b32 exec_lo, exec_lo, s0
	s_delay_alu instid0(SALU_CYCLE_1)
	s_mov_b32 s0, exec_lo
	v_cmpx_gt_i32_e64 s10, v0
	s_cbranch_execnz .LBB139_193
.LBB139_178:
	s_or_b32 exec_lo, exec_lo, s0
	s_delay_alu instid0(SALU_CYCLE_1)
	s_mov_b32 s0, exec_lo
	v_cmpx_gt_i32_e64 s10, v0
	s_cbranch_execnz .LBB139_194
.LBB139_179:
	s_or_b32 exec_lo, exec_lo, s0
	s_delay_alu instid0(SALU_CYCLE_1)
	s_mov_b32 s0, exec_lo
	v_cmpx_gt_i32_e64 s10, v0
	s_cbranch_execz .LBB139_195
.LBB139_180:
	v_add_nc_u32_e32 v0, s2, v0
	global_store_b8 v0, v4, s[4:5]
	s_endpgm
.LBB139_181:
	v_add_nc_u32_e32 v1, s2, v0
	v_add_nc_u32_e32 v0, 0x100, v0
	global_store_b8 v1, v32, s[4:5]
	s_wait_xcnt 0x0
	s_or_b32 exec_lo, exec_lo, s0
	s_delay_alu instid0(SALU_CYCLE_1)
	s_mov_b32 s0, exec_lo
	v_cmpx_gt_i32_e64 s10, v0
	s_cbranch_execz .LBB139_167
.LBB139_182:
	v_add_nc_u32_e32 v1, s2, v0
	v_add_nc_u32_e32 v0, 0x100, v0
	global_store_b8 v1, v28, s[4:5]
	s_wait_xcnt 0x0
	s_or_b32 exec_lo, exec_lo, s0
	s_delay_alu instid0(SALU_CYCLE_1)
	s_mov_b32 s0, exec_lo
	v_cmpx_gt_i32_e64 s10, v0
	s_cbranch_execz .LBB139_168
.LBB139_183:
	v_add_nc_u32_e32 v1, s2, v0
	v_add_nc_u32_e32 v0, 0x100, v0
	global_store_b8 v1, v29, s[4:5]
	s_wait_xcnt 0x0
	s_or_b32 exec_lo, exec_lo, s0
	s_delay_alu instid0(SALU_CYCLE_1)
	s_mov_b32 s0, exec_lo
	v_cmpx_gt_i32_e64 s10, v0
	s_cbranch_execz .LBB139_169
.LBB139_184:
	v_add_nc_u32_e32 v1, s2, v0
	v_add_nc_u32_e32 v0, 0x100, v0
	global_store_b8 v1, v26, s[4:5]
	s_wait_xcnt 0x0
	s_or_b32 exec_lo, exec_lo, s0
	s_delay_alu instid0(SALU_CYCLE_1)
	s_mov_b32 s0, exec_lo
	v_cmpx_gt_i32_e64 s10, v0
	s_cbranch_execz .LBB139_170
.LBB139_185:
	v_add_nc_u32_e32 v1, s2, v0
	v_add_nc_u32_e32 v0, 0x100, v0
	global_store_b8 v1, v24, s[4:5]
	s_wait_xcnt 0x0
	s_or_b32 exec_lo, exec_lo, s0
	s_delay_alu instid0(SALU_CYCLE_1)
	s_mov_b32 s0, exec_lo
	v_cmpx_gt_i32_e64 s10, v0
	s_cbranch_execz .LBB139_171
.LBB139_186:
	v_add_nc_u32_e32 v1, s2, v0
	v_add_nc_u32_e32 v0, 0x100, v0
	global_store_b8 v1, v22, s[4:5]
	s_wait_xcnt 0x0
	s_or_b32 exec_lo, exec_lo, s0
	s_delay_alu instid0(SALU_CYCLE_1)
	s_mov_b32 s0, exec_lo
	v_cmpx_gt_i32_e64 s10, v0
	s_cbranch_execz .LBB139_172
.LBB139_187:
	v_add_nc_u32_e32 v1, s2, v0
	v_add_nc_u32_e32 v0, 0x100, v0
	global_store_b8 v1, v20, s[4:5]
	s_wait_xcnt 0x0
	s_or_b32 exec_lo, exec_lo, s0
	s_delay_alu instid0(SALU_CYCLE_1)
	s_mov_b32 s0, exec_lo
	v_cmpx_gt_i32_e64 s10, v0
	s_cbranch_execz .LBB139_173
.LBB139_188:
	v_add_nc_u32_e32 v1, s2, v0
	v_add_nc_u32_e32 v0, 0x100, v0
	global_store_b8 v1, v18, s[4:5]
	s_wait_xcnt 0x0
	s_or_b32 exec_lo, exec_lo, s0
	s_delay_alu instid0(SALU_CYCLE_1)
	s_mov_b32 s0, exec_lo
	v_cmpx_gt_i32_e64 s10, v0
	s_cbranch_execz .LBB139_174
.LBB139_189:
	v_add_nc_u32_e32 v1, s2, v0
	v_add_nc_u32_e32 v0, 0x100, v0
	global_store_b8 v1, v16, s[4:5]
	s_wait_xcnt 0x0
	s_or_b32 exec_lo, exec_lo, s0
	s_delay_alu instid0(SALU_CYCLE_1)
	s_mov_b32 s0, exec_lo
	v_cmpx_gt_i32_e64 s10, v0
	s_cbranch_execz .LBB139_175
.LBB139_190:
	v_add_nc_u32_e32 v1, s2, v0
	v_add_nc_u32_e32 v0, 0x100, v0
	global_store_b8 v1, v14, s[4:5]
	s_wait_xcnt 0x0
	s_or_b32 exec_lo, exec_lo, s0
	s_delay_alu instid0(SALU_CYCLE_1)
	s_mov_b32 s0, exec_lo
	v_cmpx_gt_i32_e64 s10, v0
	s_cbranch_execz .LBB139_176
.LBB139_191:
	v_add_nc_u32_e32 v1, s2, v0
	v_add_nc_u32_e32 v0, 0x100, v0
	global_store_b8 v1, v12, s[4:5]
	s_wait_xcnt 0x0
	s_or_b32 exec_lo, exec_lo, s0
	s_delay_alu instid0(SALU_CYCLE_1)
	s_mov_b32 s0, exec_lo
	v_cmpx_gt_i32_e64 s10, v0
	s_cbranch_execz .LBB139_177
.LBB139_192:
	v_add_nc_u32_e32 v1, s2, v0
	v_add_nc_u32_e32 v0, 0x100, v0
	global_store_b8 v1, v10, s[4:5]
	s_wait_xcnt 0x0
	s_or_b32 exec_lo, exec_lo, s0
	s_delay_alu instid0(SALU_CYCLE_1)
	s_mov_b32 s0, exec_lo
	v_cmpx_gt_i32_e64 s10, v0
	s_cbranch_execz .LBB139_178
.LBB139_193:
	v_add_nc_u32_e32 v1, s2, v0
	v_add_nc_u32_e32 v0, 0x100, v0
	global_store_b8 v1, v8, s[4:5]
	s_wait_xcnt 0x0
	s_or_b32 exec_lo, exec_lo, s0
	s_delay_alu instid0(SALU_CYCLE_1)
	s_mov_b32 s0, exec_lo
	v_cmpx_gt_i32_e64 s10, v0
	s_cbranch_execz .LBB139_179
.LBB139_194:
	v_add_nc_u32_e32 v1, s2, v0
	v_add_nc_u32_e32 v0, 0x100, v0
	global_store_b8 v1, v6, s[4:5]
	s_wait_xcnt 0x0
	s_or_b32 exec_lo, exec_lo, s0
	s_delay_alu instid0(SALU_CYCLE_1)
	s_mov_b32 s0, exec_lo
	v_cmpx_gt_i32_e64 s10, v0
	s_cbranch_execnz .LBB139_180
.LBB139_195:
	s_endpgm
.LBB139_196:
	s_wait_xcnt 0x0
                                        ; implicit-def: $sgpr1
	s_branch .LBB139_3
.LBB139_197:
                                        ; implicit-def: $sgpr12
	s_branch .LBB139_6
.LBB139_198:
                                        ; implicit-def: $sgpr13
	s_branch .LBB139_9
.LBB139_199:
                                        ; implicit-def: $sgpr14
	s_branch .LBB139_12
.LBB139_200:
                                        ; implicit-def: $sgpr15
	s_branch .LBB139_15
.LBB139_201:
                                        ; implicit-def: $sgpr16
	s_branch .LBB139_18
.LBB139_202:
                                        ; implicit-def: $sgpr17
	s_branch .LBB139_21
.LBB139_203:
                                        ; implicit-def: $sgpr18
	s_branch .LBB139_24
.LBB139_204:
                                        ; implicit-def: $sgpr19
	s_branch .LBB139_27
.LBB139_205:
                                        ; implicit-def: $sgpr20
	s_branch .LBB139_30
.LBB139_206:
                                        ; implicit-def: $sgpr21
	s_branch .LBB139_33
.LBB139_207:
                                        ; implicit-def: $sgpr22
	s_branch .LBB139_36
.LBB139_208:
                                        ; implicit-def: $sgpr23
	s_branch .LBB139_39
.LBB139_209:
                                        ; implicit-def: $sgpr24
	s_branch .LBB139_42
.LBB139_210:
                                        ; implicit-def: $sgpr25
	s_branch .LBB139_45
.LBB139_211:
                                        ; implicit-def: $sgpr26
	s_branch .LBB139_48
.LBB139_212:
                                        ; implicit-def: $sgpr7
	s_branch .LBB139_86
.LBB139_213:
                                        ; implicit-def: $sgpr3
	s_branch .LBB139_91
.LBB139_214:
                                        ; implicit-def: $sgpr6
	s_branch .LBB139_96
.LBB139_215:
                                        ; implicit-def: $sgpr6
	s_branch .LBB139_101
.LBB139_216:
                                        ; implicit-def: $sgpr6
	s_branch .LBB139_106
.LBB139_217:
                                        ; implicit-def: $sgpr6
	s_branch .LBB139_111
.LBB139_218:
                                        ; implicit-def: $sgpr6
	s_branch .LBB139_116
.LBB139_219:
                                        ; implicit-def: $sgpr6
	s_branch .LBB139_121
.LBB139_220:
                                        ; implicit-def: $sgpr6
	s_branch .LBB139_126
.LBB139_221:
                                        ; implicit-def: $sgpr6
	s_branch .LBB139_131
.LBB139_222:
                                        ; implicit-def: $sgpr6
	s_branch .LBB139_136
.LBB139_223:
                                        ; implicit-def: $sgpr6
	s_branch .LBB139_141
.LBB139_224:
                                        ; implicit-def: $sgpr6
	s_branch .LBB139_146
.LBB139_225:
                                        ; implicit-def: $sgpr6
	s_branch .LBB139_151
.LBB139_226:
                                        ; implicit-def: $sgpr6
	s_branch .LBB139_156
.LBB139_227:
                                        ; implicit-def: $sgpr6
	s_branch .LBB139_161
	.section	.rodata,"a",@progbits
	.p2align	6, 0x0
	.amdhsa_kernel _ZN2at6native29vectorized_elementwise_kernelILi2ENS0_13AUnaryFunctorIN3c107complexIfEES5_bNS0_12_GLOBAL__N_116CompareEqFunctorIS5_EEEESt5arrayIPcLm2EEEEviT0_T1_
		.amdhsa_group_segment_fixed_size 0
		.amdhsa_private_segment_fixed_size 0
		.amdhsa_kernarg_size 40
		.amdhsa_user_sgpr_count 2
		.amdhsa_user_sgpr_dispatch_ptr 0
		.amdhsa_user_sgpr_queue_ptr 0
		.amdhsa_user_sgpr_kernarg_segment_ptr 1
		.amdhsa_user_sgpr_dispatch_id 0
		.amdhsa_user_sgpr_kernarg_preload_length 0
		.amdhsa_user_sgpr_kernarg_preload_offset 0
		.amdhsa_user_sgpr_private_segment_size 0
		.amdhsa_wavefront_size32 1
		.amdhsa_uses_dynamic_stack 0
		.amdhsa_enable_private_segment 0
		.amdhsa_system_sgpr_workgroup_id_x 1
		.amdhsa_system_sgpr_workgroup_id_y 0
		.amdhsa_system_sgpr_workgroup_id_z 0
		.amdhsa_system_sgpr_workgroup_info 0
		.amdhsa_system_vgpr_workitem_id 0
		.amdhsa_next_free_vgpr 36
		.amdhsa_next_free_sgpr 27
		.amdhsa_named_barrier_count 0
		.amdhsa_reserve_vcc 1
		.amdhsa_float_round_mode_32 0
		.amdhsa_float_round_mode_16_64 0
		.amdhsa_float_denorm_mode_32 3
		.amdhsa_float_denorm_mode_16_64 3
		.amdhsa_fp16_overflow 0
		.amdhsa_memory_ordered 1
		.amdhsa_forward_progress 1
		.amdhsa_inst_pref_size 43
		.amdhsa_round_robin_scheduling 0
		.amdhsa_exception_fp_ieee_invalid_op 0
		.amdhsa_exception_fp_denorm_src 0
		.amdhsa_exception_fp_ieee_div_zero 0
		.amdhsa_exception_fp_ieee_overflow 0
		.amdhsa_exception_fp_ieee_underflow 0
		.amdhsa_exception_fp_ieee_inexact 0
		.amdhsa_exception_int_div_zero 0
	.end_amdhsa_kernel
	.section	.text._ZN2at6native29vectorized_elementwise_kernelILi2ENS0_13AUnaryFunctorIN3c107complexIfEES5_bNS0_12_GLOBAL__N_116CompareEqFunctorIS5_EEEESt5arrayIPcLm2EEEEviT0_T1_,"axG",@progbits,_ZN2at6native29vectorized_elementwise_kernelILi2ENS0_13AUnaryFunctorIN3c107complexIfEES5_bNS0_12_GLOBAL__N_116CompareEqFunctorIS5_EEEESt5arrayIPcLm2EEEEviT0_T1_,comdat
.Lfunc_end139:
	.size	_ZN2at6native29vectorized_elementwise_kernelILi2ENS0_13AUnaryFunctorIN3c107complexIfEES5_bNS0_12_GLOBAL__N_116CompareEqFunctorIS5_EEEESt5arrayIPcLm2EEEEviT0_T1_, .Lfunc_end139-_ZN2at6native29vectorized_elementwise_kernelILi2ENS0_13AUnaryFunctorIN3c107complexIfEES5_bNS0_12_GLOBAL__N_116CompareEqFunctorIS5_EEEESt5arrayIPcLm2EEEEviT0_T1_
                                        ; -- End function
	.set _ZN2at6native29vectorized_elementwise_kernelILi2ENS0_13AUnaryFunctorIN3c107complexIfEES5_bNS0_12_GLOBAL__N_116CompareEqFunctorIS5_EEEESt5arrayIPcLm2EEEEviT0_T1_.num_vgpr, 36
	.set _ZN2at6native29vectorized_elementwise_kernelILi2ENS0_13AUnaryFunctorIN3c107complexIfEES5_bNS0_12_GLOBAL__N_116CompareEqFunctorIS5_EEEESt5arrayIPcLm2EEEEviT0_T1_.num_agpr, 0
	.set _ZN2at6native29vectorized_elementwise_kernelILi2ENS0_13AUnaryFunctorIN3c107complexIfEES5_bNS0_12_GLOBAL__N_116CompareEqFunctorIS5_EEEESt5arrayIPcLm2EEEEviT0_T1_.numbered_sgpr, 27
	.set _ZN2at6native29vectorized_elementwise_kernelILi2ENS0_13AUnaryFunctorIN3c107complexIfEES5_bNS0_12_GLOBAL__N_116CompareEqFunctorIS5_EEEESt5arrayIPcLm2EEEEviT0_T1_.num_named_barrier, 0
	.set _ZN2at6native29vectorized_elementwise_kernelILi2ENS0_13AUnaryFunctorIN3c107complexIfEES5_bNS0_12_GLOBAL__N_116CompareEqFunctorIS5_EEEESt5arrayIPcLm2EEEEviT0_T1_.private_seg_size, 0
	.set _ZN2at6native29vectorized_elementwise_kernelILi2ENS0_13AUnaryFunctorIN3c107complexIfEES5_bNS0_12_GLOBAL__N_116CompareEqFunctorIS5_EEEESt5arrayIPcLm2EEEEviT0_T1_.uses_vcc, 1
	.set _ZN2at6native29vectorized_elementwise_kernelILi2ENS0_13AUnaryFunctorIN3c107complexIfEES5_bNS0_12_GLOBAL__N_116CompareEqFunctorIS5_EEEESt5arrayIPcLm2EEEEviT0_T1_.uses_flat_scratch, 0
	.set _ZN2at6native29vectorized_elementwise_kernelILi2ENS0_13AUnaryFunctorIN3c107complexIfEES5_bNS0_12_GLOBAL__N_116CompareEqFunctorIS5_EEEESt5arrayIPcLm2EEEEviT0_T1_.has_dyn_sized_stack, 0
	.set _ZN2at6native29vectorized_elementwise_kernelILi2ENS0_13AUnaryFunctorIN3c107complexIfEES5_bNS0_12_GLOBAL__N_116CompareEqFunctorIS5_EEEESt5arrayIPcLm2EEEEviT0_T1_.has_recursion, 0
	.set _ZN2at6native29vectorized_elementwise_kernelILi2ENS0_13AUnaryFunctorIN3c107complexIfEES5_bNS0_12_GLOBAL__N_116CompareEqFunctorIS5_EEEESt5arrayIPcLm2EEEEviT0_T1_.has_indirect_call, 0
	.section	.AMDGPU.csdata,"",@progbits
; Kernel info:
; codeLenInByte = 5472
; TotalNumSgprs: 29
; NumVgprs: 36
; ScratchSize: 0
; MemoryBound: 0
; FloatMode: 240
; IeeeMode: 1
; LDSByteSize: 0 bytes/workgroup (compile time only)
; SGPRBlocks: 0
; VGPRBlocks: 2
; NumSGPRsForWavesPerEU: 29
; NumVGPRsForWavesPerEU: 36
; NamedBarCnt: 0
; Occupancy: 16
; WaveLimiterHint : 1
; COMPUTE_PGM_RSRC2:SCRATCH_EN: 0
; COMPUTE_PGM_RSRC2:USER_SGPR: 2
; COMPUTE_PGM_RSRC2:TRAP_HANDLER: 0
; COMPUTE_PGM_RSRC2:TGID_X_EN: 1
; COMPUTE_PGM_RSRC2:TGID_Y_EN: 0
; COMPUTE_PGM_RSRC2:TGID_Z_EN: 0
; COMPUTE_PGM_RSRC2:TIDIG_COMP_CNT: 0
	.section	.text._ZN2at6native27unrolled_elementwise_kernelINS0_13AUnaryFunctorIN3c107complexIfEES5_bNS0_12_GLOBAL__N_116CompareEqFunctorIS5_EEEESt5arrayIPcLm2EELi4E23TrivialOffsetCalculatorILi1EjESE_NS0_6memory15LoadWithoutCastENSF_16StoreWithoutCastEEEviT_T0_T2_T3_T4_T5_,"axG",@progbits,_ZN2at6native27unrolled_elementwise_kernelINS0_13AUnaryFunctorIN3c107complexIfEES5_bNS0_12_GLOBAL__N_116CompareEqFunctorIS5_EEEESt5arrayIPcLm2EELi4E23TrivialOffsetCalculatorILi1EjESE_NS0_6memory15LoadWithoutCastENSF_16StoreWithoutCastEEEviT_T0_T2_T3_T4_T5_,comdat
	.globl	_ZN2at6native27unrolled_elementwise_kernelINS0_13AUnaryFunctorIN3c107complexIfEES5_bNS0_12_GLOBAL__N_116CompareEqFunctorIS5_EEEESt5arrayIPcLm2EELi4E23TrivialOffsetCalculatorILi1EjESE_NS0_6memory15LoadWithoutCastENSF_16StoreWithoutCastEEEviT_T0_T2_T3_T4_T5_ ; -- Begin function _ZN2at6native27unrolled_elementwise_kernelINS0_13AUnaryFunctorIN3c107complexIfEES5_bNS0_12_GLOBAL__N_116CompareEqFunctorIS5_EEEESt5arrayIPcLm2EELi4E23TrivialOffsetCalculatorILi1EjESE_NS0_6memory15LoadWithoutCastENSF_16StoreWithoutCastEEEviT_T0_T2_T3_T4_T5_
	.p2align	8
	.type	_ZN2at6native27unrolled_elementwise_kernelINS0_13AUnaryFunctorIN3c107complexIfEES5_bNS0_12_GLOBAL__N_116CompareEqFunctorIS5_EEEESt5arrayIPcLm2EELi4E23TrivialOffsetCalculatorILi1EjESE_NS0_6memory15LoadWithoutCastENSF_16StoreWithoutCastEEEviT_T0_T2_T3_T4_T5_,@function
_ZN2at6native27unrolled_elementwise_kernelINS0_13AUnaryFunctorIN3c107complexIfEES5_bNS0_12_GLOBAL__N_116CompareEqFunctorIS5_EEEESt5arrayIPcLm2EELi4E23TrivialOffsetCalculatorILi1EjESE_NS0_6memory15LoadWithoutCastENSF_16StoreWithoutCastEEEviT_T0_T2_T3_T4_T5_: ; @_ZN2at6native27unrolled_elementwise_kernelINS0_13AUnaryFunctorIN3c107complexIfEES5_bNS0_12_GLOBAL__N_116CompareEqFunctorIS5_EEEESt5arrayIPcLm2EELi4E23TrivialOffsetCalculatorILi1EjESE_NS0_6memory15LoadWithoutCastENSF_16StoreWithoutCastEEEviT_T0_T2_T3_T4_T5_
; %bb.0:
	s_clause 0x1
	s_load_b32 s2, s[0:1], 0x0
	s_load_b128 s[4:7], s[0:1], 0x18
	s_bfe_u32 s8, ttmp6, 0x4000c
	s_and_b32 s3, ttmp6, 15
	s_add_co_i32 s8, s8, 1
	s_getreg_b32 s9, hwreg(HW_REG_IB_STS2, 6, 4)
	s_mul_i32 s8, ttmp9, s8
	v_dual_mov_b32 v4, 0 :: v_dual_mov_b32 v8, 0
	s_add_co_i32 s3, s3, s8
	s_cmp_eq_u32 s9, 0
	v_or_b32_e32 v1, 0x100, v0
	s_cselect_b32 s3, ttmp9, s3
	v_mov_b32_e32 v9, 0
	s_lshl_b32 s3, s3, 10
	s_delay_alu instid0(SALU_CYCLE_1) | instskip(SKIP_2) | instid1(SALU_CYCLE_1)
	v_dual_mov_b32 v11, v0 :: v_dual_bitop2_b32 v10, s3, v0 bitop3:0x54
	s_wait_kmcnt 0x0
	s_sub_co_i32 s10, s2, s3
	v_cmp_gt_i32_e64 s2, s10, v0
	s_and_saveexec_b32 s8, s2
	s_cbranch_execz .LBB140_2
; %bb.1:
	global_load_b64 v[8:9], v10, s[6:7] scale_offset
	v_or_b32_e32 v11, 0x100, v0
.LBB140_2:
	s_wait_xcnt 0x0
	s_or_b32 exec_lo, exec_lo, s8
	v_mov_b32_e32 v5, 0
	s_mov_b32 s8, exec_lo
	v_cmpx_gt_i32_e64 s10, v11
	s_cbranch_execz .LBB140_4
; %bb.3:
	v_add_nc_u32_e32 v2, s3, v11
	v_add_nc_u32_e32 v11, 0x100, v11
	global_load_b64 v[4:5], v2, s[6:7] scale_offset
.LBB140_4:
	s_wait_xcnt 0x0
	s_or_b32 exec_lo, exec_lo, s8
	s_load_b64 s[8:9], s[0:1], 0x10
	v_dual_mov_b32 v2, 0 :: v_dual_mov_b32 v6, 0
	v_mov_b32_e32 v7, 0
	s_mov_b32 s11, exec_lo
	v_cmpx_gt_i32_e64 s10, v11
	s_cbranch_execz .LBB140_6
; %bb.5:
	v_add_nc_u32_e32 v3, s3, v11
	v_add_nc_u32_e32 v11, 0x100, v11
	global_load_b64 v[6:7], v3, s[6:7] scale_offset
.LBB140_6:
	s_wait_xcnt 0x0
	s_or_b32 exec_lo, exec_lo, s11
	s_load_b32 s0, s[0:1], 0x8
	v_mov_b32_e32 v3, 0
	s_wait_xcnt 0x0
	s_mov_b32 s1, exec_lo
	v_cmpx_gt_i32_e64 s10, v11
	s_cbranch_execz .LBB140_8
; %bb.7:
	v_add_nc_u32_e32 v2, s3, v11
	global_load_b64 v[2:3], v2, s[6:7] scale_offset
.LBB140_8:
	s_wait_xcnt 0x0
	s_or_b32 exec_lo, exec_lo, s1
	v_mov_b32_e32 v11, 0
	s_wait_kmcnt 0x0
	s_cmp_lg_u32 s0, 0
	s_cselect_b32 s1, -1, 0
	s_and_saveexec_b32 s6, s2
	s_cbranch_execz .LBB140_13
; %bb.9:
	s_and_b32 vcc_lo, exec_lo, s1
	s_cbranch_vccz .LBB140_37
; %bb.10:
	s_wait_loadcnt 0x0
	v_cmp_neq_f32_e32 vcc_lo, s8, v8
	v_cmp_neq_f32_e64 s0, s9, v9
	s_or_b32 s7, vcc_lo, s0
	s_cbranch_execnz .LBB140_12
.LBB140_11:
	s_wait_loadcnt 0x0
	v_cmp_eq_f32_e32 vcc_lo, s8, v8
	v_cmp_eq_f32_e64 s0, s9, v9
	s_and_not1_b32 s7, s7, exec_lo
	s_and_b32 s0, vcc_lo, s0
	s_delay_alu instid0(SALU_CYCLE_1) | instskip(NEXT) | instid1(SALU_CYCLE_1)
	s_and_b32 s0, s0, exec_lo
	s_or_b32 s7, s7, s0
.LBB140_12:
	s_delay_alu instid0(SALU_CYCLE_1)
	v_cndmask_b32_e64 v11, 0, 1, s7
.LBB140_13:
	s_or_b32 exec_lo, exec_lo, s6
	s_wait_loadcnt 0x0
	v_cndmask_b32_e64 v8, 0, 1, s1
	s_mov_b32 s6, exec_lo
	v_cmpx_gt_i32_e64 s10, v1
	s_cbranch_execz .LBB140_18
; %bb.14:
	s_and_not1_b32 vcc_lo, exec_lo, s1
	s_cbranch_vccnz .LBB140_38
; %bb.15:
	v_cmp_neq_f32_e32 vcc_lo, s8, v4
	v_cmp_neq_f32_e64 s0, s9, v5
	s_or_b32 s1, vcc_lo, s0
	s_cbranch_execnz .LBB140_17
.LBB140_16:
	v_cmp_eq_f32_e32 vcc_lo, s8, v4
	v_cmp_eq_f32_e64 s0, s9, v5
	s_and_not1_b32 s1, s1, exec_lo
	s_and_b32 s0, vcc_lo, s0
	s_delay_alu instid0(SALU_CYCLE_1) | instskip(NEXT) | instid1(SALU_CYCLE_1)
	s_and_b32 s0, s0, exec_lo
	s_or_b32 s1, s1, s0
.LBB140_17:
	s_delay_alu instid0(SALU_CYCLE_1) | instskip(NEXT) | instid1(VALU_DEP_1)
	v_cndmask_b32_e64 v4, 0, 1, s1
	v_lshlrev_b16 v4, 8, v4
	s_delay_alu instid0(VALU_DEP_1) | instskip(NEXT) | instid1(VALU_DEP_1)
	v_or_b32_e32 v4, v11, v4
	v_and_b32_e32 v11, 0xffff, v4
.LBB140_18:
	s_or_b32 exec_lo, exec_lo, s6
	v_or_b32_e32 v4, 0x200, v0
	s_mov_b32 s1, exec_lo
	s_delay_alu instid0(VALU_DEP_1)
	v_cmpx_gt_i32_e64 s10, v4
	s_cbranch_execz .LBB140_23
; %bb.19:
	v_cmp_ne_u32_e32 vcc_lo, 1, v8
	s_cbranch_vccnz .LBB140_39
; %bb.20:
	v_cmp_neq_f32_e32 vcc_lo, s8, v6
	v_cmp_neq_f32_e64 s0, s9, v7
	s_or_b32 s6, vcc_lo, s0
	s_cbranch_execnz .LBB140_22
.LBB140_21:
	v_cmp_eq_f32_e32 vcc_lo, s8, v6
	v_cmp_eq_f32_e64 s0, s9, v7
	s_and_not1_b32 s6, s6, exec_lo
	s_and_b32 s0, vcc_lo, s0
	s_delay_alu instid0(SALU_CYCLE_1) | instskip(NEXT) | instid1(SALU_CYCLE_1)
	s_and_b32 s0, s0, exec_lo
	s_or_b32 s6, s6, s0
.LBB140_22:
	s_delay_alu instid0(SALU_CYCLE_1) | instskip(NEXT) | instid1(VALU_DEP_1)
	v_cndmask_b32_e64 v4, 0, 1, s6
	v_lshl_or_b32 v11, v4, 16, v11
.LBB140_23:
	s_or_b32 exec_lo, exec_lo, s1
	v_or_b32_e32 v4, 0x300, v0
	s_mov_b32 s1, exec_lo
	s_delay_alu instid0(VALU_DEP_1)
	v_cmpx_gt_i32_e64 s10, v4
	s_cbranch_execz .LBB140_28
; %bb.24:
	v_cmp_ne_u32_e32 vcc_lo, 1, v8
	s_cbranch_vccnz .LBB140_40
; %bb.25:
	v_cmp_neq_f32_e32 vcc_lo, s8, v2
	v_cmp_neq_f32_e64 s0, s9, v3
	s_or_b32 s6, vcc_lo, s0
	s_cbranch_execnz .LBB140_27
.LBB140_26:
	v_cmp_eq_f32_e32 vcc_lo, s8, v2
	v_cmp_eq_f32_e64 s0, s9, v3
	s_and_not1_b32 s6, s6, exec_lo
	s_and_b32 s0, vcc_lo, s0
	s_delay_alu instid0(SALU_CYCLE_1) | instskip(NEXT) | instid1(SALU_CYCLE_1)
	s_and_b32 s0, s0, exec_lo
	s_or_b32 s6, s6, s0
.LBB140_27:
	s_delay_alu instid0(SALU_CYCLE_1) | instskip(SKIP_1) | instid1(VALU_DEP_2)
	v_cndmask_b32_e64 v2, 0, 1, s6
	v_lshrrev_b32_e32 v3, 16, v11
	v_lshlrev_b16 v2, 8, v2
	s_delay_alu instid0(VALU_DEP_1) | instskip(NEXT) | instid1(VALU_DEP_1)
	v_or_b32_e32 v2, v3, v2
	v_lshlrev_b32_e32 v2, 16, v2
	s_delay_alu instid0(VALU_DEP_1)
	v_and_or_b32 v11, 0xffff, v11, v2
.LBB140_28:
	s_or_b32 exec_lo, exec_lo, s1
	s_and_saveexec_b32 s0, s2
	s_delay_alu instid0(SALU_CYCLE_1)
	s_xor_b32 s0, exec_lo, s0
	s_cbranch_execz .LBB140_30
; %bb.29:
	v_mov_b32_e32 v0, v1
	global_store_b8 v10, v11, s[4:5]
.LBB140_30:
	s_wait_xcnt 0x0
	s_or_b32 exec_lo, exec_lo, s0
	s_delay_alu instid0(SALU_CYCLE_1)
	s_mov_b32 s0, exec_lo
	v_cmpx_gt_i32_e64 s10, v0
	s_cbranch_execnz .LBB140_34
; %bb.31:
	s_or_b32 exec_lo, exec_lo, s0
	s_delay_alu instid0(SALU_CYCLE_1)
	s_mov_b32 s0, exec_lo
	v_cmpx_gt_i32_e64 s10, v0
	s_cbranch_execnz .LBB140_35
.LBB140_32:
	s_or_b32 exec_lo, exec_lo, s0
	s_delay_alu instid0(SALU_CYCLE_1)
	s_mov_b32 s0, exec_lo
	v_cmpx_gt_i32_e64 s10, v0
	s_cbranch_execnz .LBB140_36
.LBB140_33:
	s_endpgm
.LBB140_34:
	v_add_nc_u32_e32 v1, 0x100, v0
	v_dual_add_nc_u32 v2, s3, v0 :: v_dual_lshrrev_b32 v3, 8, v11
	s_delay_alu instid0(VALU_DEP_2) | instskip(SKIP_3) | instid1(SALU_CYCLE_1)
	v_mov_b32_e32 v0, v1
	global_store_b8 v2, v3, s[4:5]
	s_wait_xcnt 0x0
	s_or_b32 exec_lo, exec_lo, s0
	s_mov_b32 s0, exec_lo
	v_cmpx_gt_i32_e64 s10, v0
	s_cbranch_execz .LBB140_32
.LBB140_35:
	v_add_nc_u32_e32 v1, 0x100, v0
	s_delay_alu instid0(VALU_DEP_1) | instskip(SKIP_3) | instid1(SALU_CYCLE_1)
	v_dual_add_nc_u32 v2, s3, v0 :: v_dual_mov_b32 v0, v1
	global_store_d16_hi_b8 v2, v11, s[4:5]
	s_wait_xcnt 0x0
	s_or_b32 exec_lo, exec_lo, s0
	s_mov_b32 s0, exec_lo
	v_cmpx_gt_i32_e64 s10, v0
	s_cbranch_execz .LBB140_33
.LBB140_36:
	v_dual_add_nc_u32 v0, s3, v0 :: v_dual_lshrrev_b32 v1, 24, v11
	global_store_b8 v0, v1, s[4:5]
	s_endpgm
.LBB140_37:
                                        ; implicit-def: $sgpr7
	s_branch .LBB140_11
.LBB140_38:
                                        ; implicit-def: $sgpr1
	s_branch .LBB140_16
.LBB140_39:
                                        ; implicit-def: $sgpr6
	s_branch .LBB140_21
.LBB140_40:
                                        ; implicit-def: $sgpr6
	s_branch .LBB140_26
	.section	.rodata,"a",@progbits
	.p2align	6, 0x0
	.amdhsa_kernel _ZN2at6native27unrolled_elementwise_kernelINS0_13AUnaryFunctorIN3c107complexIfEES5_bNS0_12_GLOBAL__N_116CompareEqFunctorIS5_EEEESt5arrayIPcLm2EELi4E23TrivialOffsetCalculatorILi1EjESE_NS0_6memory15LoadWithoutCastENSF_16StoreWithoutCastEEEviT_T0_T2_T3_T4_T5_
		.amdhsa_group_segment_fixed_size 0
		.amdhsa_private_segment_fixed_size 0
		.amdhsa_kernarg_size 44
		.amdhsa_user_sgpr_count 2
		.amdhsa_user_sgpr_dispatch_ptr 0
		.amdhsa_user_sgpr_queue_ptr 0
		.amdhsa_user_sgpr_kernarg_segment_ptr 1
		.amdhsa_user_sgpr_dispatch_id 0
		.amdhsa_user_sgpr_kernarg_preload_length 0
		.amdhsa_user_sgpr_kernarg_preload_offset 0
		.amdhsa_user_sgpr_private_segment_size 0
		.amdhsa_wavefront_size32 1
		.amdhsa_uses_dynamic_stack 0
		.amdhsa_enable_private_segment 0
		.amdhsa_system_sgpr_workgroup_id_x 1
		.amdhsa_system_sgpr_workgroup_id_y 0
		.amdhsa_system_sgpr_workgroup_id_z 0
		.amdhsa_system_sgpr_workgroup_info 0
		.amdhsa_system_vgpr_workitem_id 0
		.amdhsa_next_free_vgpr 12
		.amdhsa_next_free_sgpr 12
		.amdhsa_named_barrier_count 0
		.amdhsa_reserve_vcc 1
		.amdhsa_float_round_mode_32 0
		.amdhsa_float_round_mode_16_64 0
		.amdhsa_float_denorm_mode_32 3
		.amdhsa_float_denorm_mode_16_64 3
		.amdhsa_fp16_overflow 0
		.amdhsa_memory_ordered 1
		.amdhsa_forward_progress 1
		.amdhsa_inst_pref_size 9
		.amdhsa_round_robin_scheduling 0
		.amdhsa_exception_fp_ieee_invalid_op 0
		.amdhsa_exception_fp_denorm_src 0
		.amdhsa_exception_fp_ieee_div_zero 0
		.amdhsa_exception_fp_ieee_overflow 0
		.amdhsa_exception_fp_ieee_underflow 0
		.amdhsa_exception_fp_ieee_inexact 0
		.amdhsa_exception_int_div_zero 0
	.end_amdhsa_kernel
	.section	.text._ZN2at6native27unrolled_elementwise_kernelINS0_13AUnaryFunctorIN3c107complexIfEES5_bNS0_12_GLOBAL__N_116CompareEqFunctorIS5_EEEESt5arrayIPcLm2EELi4E23TrivialOffsetCalculatorILi1EjESE_NS0_6memory15LoadWithoutCastENSF_16StoreWithoutCastEEEviT_T0_T2_T3_T4_T5_,"axG",@progbits,_ZN2at6native27unrolled_elementwise_kernelINS0_13AUnaryFunctorIN3c107complexIfEES5_bNS0_12_GLOBAL__N_116CompareEqFunctorIS5_EEEESt5arrayIPcLm2EELi4E23TrivialOffsetCalculatorILi1EjESE_NS0_6memory15LoadWithoutCastENSF_16StoreWithoutCastEEEviT_T0_T2_T3_T4_T5_,comdat
.Lfunc_end140:
	.size	_ZN2at6native27unrolled_elementwise_kernelINS0_13AUnaryFunctorIN3c107complexIfEES5_bNS0_12_GLOBAL__N_116CompareEqFunctorIS5_EEEESt5arrayIPcLm2EELi4E23TrivialOffsetCalculatorILi1EjESE_NS0_6memory15LoadWithoutCastENSF_16StoreWithoutCastEEEviT_T0_T2_T3_T4_T5_, .Lfunc_end140-_ZN2at6native27unrolled_elementwise_kernelINS0_13AUnaryFunctorIN3c107complexIfEES5_bNS0_12_GLOBAL__N_116CompareEqFunctorIS5_EEEESt5arrayIPcLm2EELi4E23TrivialOffsetCalculatorILi1EjESE_NS0_6memory15LoadWithoutCastENSF_16StoreWithoutCastEEEviT_T0_T2_T3_T4_T5_
                                        ; -- End function
	.set _ZN2at6native27unrolled_elementwise_kernelINS0_13AUnaryFunctorIN3c107complexIfEES5_bNS0_12_GLOBAL__N_116CompareEqFunctorIS5_EEEESt5arrayIPcLm2EELi4E23TrivialOffsetCalculatorILi1EjESE_NS0_6memory15LoadWithoutCastENSF_16StoreWithoutCastEEEviT_T0_T2_T3_T4_T5_.num_vgpr, 12
	.set _ZN2at6native27unrolled_elementwise_kernelINS0_13AUnaryFunctorIN3c107complexIfEES5_bNS0_12_GLOBAL__N_116CompareEqFunctorIS5_EEEESt5arrayIPcLm2EELi4E23TrivialOffsetCalculatorILi1EjESE_NS0_6memory15LoadWithoutCastENSF_16StoreWithoutCastEEEviT_T0_T2_T3_T4_T5_.num_agpr, 0
	.set _ZN2at6native27unrolled_elementwise_kernelINS0_13AUnaryFunctorIN3c107complexIfEES5_bNS0_12_GLOBAL__N_116CompareEqFunctorIS5_EEEESt5arrayIPcLm2EELi4E23TrivialOffsetCalculatorILi1EjESE_NS0_6memory15LoadWithoutCastENSF_16StoreWithoutCastEEEviT_T0_T2_T3_T4_T5_.numbered_sgpr, 12
	.set _ZN2at6native27unrolled_elementwise_kernelINS0_13AUnaryFunctorIN3c107complexIfEES5_bNS0_12_GLOBAL__N_116CompareEqFunctorIS5_EEEESt5arrayIPcLm2EELi4E23TrivialOffsetCalculatorILi1EjESE_NS0_6memory15LoadWithoutCastENSF_16StoreWithoutCastEEEviT_T0_T2_T3_T4_T5_.num_named_barrier, 0
	.set _ZN2at6native27unrolled_elementwise_kernelINS0_13AUnaryFunctorIN3c107complexIfEES5_bNS0_12_GLOBAL__N_116CompareEqFunctorIS5_EEEESt5arrayIPcLm2EELi4E23TrivialOffsetCalculatorILi1EjESE_NS0_6memory15LoadWithoutCastENSF_16StoreWithoutCastEEEviT_T0_T2_T3_T4_T5_.private_seg_size, 0
	.set _ZN2at6native27unrolled_elementwise_kernelINS0_13AUnaryFunctorIN3c107complexIfEES5_bNS0_12_GLOBAL__N_116CompareEqFunctorIS5_EEEESt5arrayIPcLm2EELi4E23TrivialOffsetCalculatorILi1EjESE_NS0_6memory15LoadWithoutCastENSF_16StoreWithoutCastEEEviT_T0_T2_T3_T4_T5_.uses_vcc, 1
	.set _ZN2at6native27unrolled_elementwise_kernelINS0_13AUnaryFunctorIN3c107complexIfEES5_bNS0_12_GLOBAL__N_116CompareEqFunctorIS5_EEEESt5arrayIPcLm2EELi4E23TrivialOffsetCalculatorILi1EjESE_NS0_6memory15LoadWithoutCastENSF_16StoreWithoutCastEEEviT_T0_T2_T3_T4_T5_.uses_flat_scratch, 0
	.set _ZN2at6native27unrolled_elementwise_kernelINS0_13AUnaryFunctorIN3c107complexIfEES5_bNS0_12_GLOBAL__N_116CompareEqFunctorIS5_EEEESt5arrayIPcLm2EELi4E23TrivialOffsetCalculatorILi1EjESE_NS0_6memory15LoadWithoutCastENSF_16StoreWithoutCastEEEviT_T0_T2_T3_T4_T5_.has_dyn_sized_stack, 0
	.set _ZN2at6native27unrolled_elementwise_kernelINS0_13AUnaryFunctorIN3c107complexIfEES5_bNS0_12_GLOBAL__N_116CompareEqFunctorIS5_EEEESt5arrayIPcLm2EELi4E23TrivialOffsetCalculatorILi1EjESE_NS0_6memory15LoadWithoutCastENSF_16StoreWithoutCastEEEviT_T0_T2_T3_T4_T5_.has_recursion, 0
	.set _ZN2at6native27unrolled_elementwise_kernelINS0_13AUnaryFunctorIN3c107complexIfEES5_bNS0_12_GLOBAL__N_116CompareEqFunctorIS5_EEEESt5arrayIPcLm2EELi4E23TrivialOffsetCalculatorILi1EjESE_NS0_6memory15LoadWithoutCastENSF_16StoreWithoutCastEEEviT_T0_T2_T3_T4_T5_.has_indirect_call, 0
	.section	.AMDGPU.csdata,"",@progbits
; Kernel info:
; codeLenInByte = 1104
; TotalNumSgprs: 14
; NumVgprs: 12
; ScratchSize: 0
; MemoryBound: 0
; FloatMode: 240
; IeeeMode: 1
; LDSByteSize: 0 bytes/workgroup (compile time only)
; SGPRBlocks: 0
; VGPRBlocks: 0
; NumSGPRsForWavesPerEU: 14
; NumVGPRsForWavesPerEU: 12
; NamedBarCnt: 0
; Occupancy: 16
; WaveLimiterHint : 0
; COMPUTE_PGM_RSRC2:SCRATCH_EN: 0
; COMPUTE_PGM_RSRC2:USER_SGPR: 2
; COMPUTE_PGM_RSRC2:TRAP_HANDLER: 0
; COMPUTE_PGM_RSRC2:TGID_X_EN: 1
; COMPUTE_PGM_RSRC2:TGID_Y_EN: 0
; COMPUTE_PGM_RSRC2:TGID_Z_EN: 0
; COMPUTE_PGM_RSRC2:TIDIG_COMP_CNT: 0
	.section	.text._ZN2at6native32elementwise_kernel_manual_unrollILi128ELi8EZNS0_22gpu_kernel_impl_nocastINS0_13AUnaryFunctorIN3c107complexIfEES6_bNS0_12_GLOBAL__N_116CompareEqFunctorIS6_EEEEEEvRNS_18TensorIteratorBaseERKT_EUlibE_EEviT1_,"axG",@progbits,_ZN2at6native32elementwise_kernel_manual_unrollILi128ELi8EZNS0_22gpu_kernel_impl_nocastINS0_13AUnaryFunctorIN3c107complexIfEES6_bNS0_12_GLOBAL__N_116CompareEqFunctorIS6_EEEEEEvRNS_18TensorIteratorBaseERKT_EUlibE_EEviT1_,comdat
	.globl	_ZN2at6native32elementwise_kernel_manual_unrollILi128ELi8EZNS0_22gpu_kernel_impl_nocastINS0_13AUnaryFunctorIN3c107complexIfEES6_bNS0_12_GLOBAL__N_116CompareEqFunctorIS6_EEEEEEvRNS_18TensorIteratorBaseERKT_EUlibE_EEviT1_ ; -- Begin function _ZN2at6native32elementwise_kernel_manual_unrollILi128ELi8EZNS0_22gpu_kernel_impl_nocastINS0_13AUnaryFunctorIN3c107complexIfEES6_bNS0_12_GLOBAL__N_116CompareEqFunctorIS6_EEEEEEvRNS_18TensorIteratorBaseERKT_EUlibE_EEviT1_
	.p2align	8
	.type	_ZN2at6native32elementwise_kernel_manual_unrollILi128ELi8EZNS0_22gpu_kernel_impl_nocastINS0_13AUnaryFunctorIN3c107complexIfEES6_bNS0_12_GLOBAL__N_116CompareEqFunctorIS6_EEEEEEvRNS_18TensorIteratorBaseERKT_EUlibE_EEviT1_,@function
_ZN2at6native32elementwise_kernel_manual_unrollILi128ELi8EZNS0_22gpu_kernel_impl_nocastINS0_13AUnaryFunctorIN3c107complexIfEES6_bNS0_12_GLOBAL__N_116CompareEqFunctorIS6_EEEEEEvRNS_18TensorIteratorBaseERKT_EUlibE_EEviT1_: ; @_ZN2at6native32elementwise_kernel_manual_unrollILi128ELi8EZNS0_22gpu_kernel_impl_nocastINS0_13AUnaryFunctorIN3c107complexIfEES6_bNS0_12_GLOBAL__N_116CompareEqFunctorIS6_EEEEEEvRNS_18TensorIteratorBaseERKT_EUlibE_EEviT1_
; %bb.0:
	s_clause 0x1
	s_load_b32 s30, s[0:1], 0x8
	s_load_b32 s36, s[0:1], 0x0
	s_bfe_u32 s2, ttmp6, 0x4000c
	s_and_b32 s3, ttmp6, 15
	s_add_co_i32 s2, s2, 1
	s_getreg_b32 s4, hwreg(HW_REG_IB_STS2, 6, 4)
	s_mul_i32 s2, ttmp9, s2
	s_mov_b32 s19, 0
	s_add_co_i32 s3, s3, s2
	s_cmp_eq_u32 s4, 0
	s_cselect_b32 s2, ttmp9, s3
	s_delay_alu instid0(SALU_CYCLE_1) | instskip(SKIP_3) | instid1(VALU_DEP_1)
	v_lshl_or_b32 v0, s2, 10, v0
	s_add_nc_u64 s[2:3], s[0:1], 8
	s_wait_xcnt 0x0
	s_mov_b32 s0, exec_lo
	v_or_b32_e32 v16, 0x380, v0
	s_wait_kmcnt 0x0
	s_add_co_i32 s31, s30, -1
	s_delay_alu instid0(SALU_CYCLE_1)
	s_cmp_gt_u32 s31, 1
	s_cselect_b32 s33, -1, 0
	v_cmpx_le_i32_e64 s36, v16
	s_xor_b32 s34, exec_lo, s0
	s_cbranch_execz .LBB141_161
; %bb.1:
	s_clause 0x5
	s_load_b128 s[8:11], s[2:3], 0x4
	s_load_b64 s[0:1], s[2:3], 0x14
	s_load_b32 s21, s[2:3], 0x158
	s_load_b64 s[16:17], s[2:3], 0x160
	s_load_b128 s[12:15], s[2:3], 0xc4
	s_load_b128 s[4:7], s[2:3], 0x148
	s_cmp_lg_u32 s30, 0
	s_add_nc_u64 s[22:23], s[2:3], 0xc4
	s_cselect_b32 s38, -1, 0
	s_min_u32 s37, s31, 15
	s_cmp_gt_u32 s30, 1
	s_mov_b32 s39, exec_lo
	s_cselect_b32 s35, -1, 0
	s_wait_kmcnt 0x0
	s_mov_b32 s18, s9
	s_mov_b32 s20, s0
	s_cmp_lg_u32 s21, 0
	s_mov_b32 s21, s19
	s_cselect_b32 s9, -1, 0
	v_cmpx_gt_i32_e64 s36, v0
	s_cbranch_execnz .LBB141_9
; %bb.2:
	s_or_b32 exec_lo, exec_lo, s39
	s_delay_alu instid0(SALU_CYCLE_1)
	s_mov_b32 s39, exec_lo
	v_cmpx_gt_i32_e64 s36, v0
	s_cbranch_execnz .LBB141_27
.LBB141_3:
	s_or_b32 exec_lo, exec_lo, s39
	s_delay_alu instid0(SALU_CYCLE_1)
	s_mov_b32 s39, exec_lo
	v_cmpx_gt_i32_e64 s36, v0
	s_cbranch_execnz .LBB141_46
.LBB141_4:
	s_or_b32 exec_lo, exec_lo, s39
	s_delay_alu instid0(SALU_CYCLE_1)
	s_mov_b32 s39, exec_lo
	v_cmpx_gt_i32_e64 s36, v0
	s_cbranch_execnz .LBB141_65
.LBB141_5:
	s_or_b32 exec_lo, exec_lo, s39
	s_delay_alu instid0(SALU_CYCLE_1)
	s_mov_b32 s39, exec_lo
	v_cmpx_gt_i32_e64 s36, v0
	s_cbranch_execnz .LBB141_84
.LBB141_6:
	s_or_b32 exec_lo, exec_lo, s39
	s_delay_alu instid0(SALU_CYCLE_1)
	s_mov_b32 s39, exec_lo
	v_cmpx_gt_i32_e64 s36, v0
	s_cbranch_execnz .LBB141_103
.LBB141_7:
	s_or_b32 exec_lo, exec_lo, s39
	s_delay_alu instid0(SALU_CYCLE_1)
	s_mov_b32 s39, exec_lo
	v_cmpx_gt_i32_e64 s36, v0
	s_cbranch_execnz .LBB141_122
.LBB141_8:
	s_or_b32 exec_lo, exec_lo, s39
	s_delay_alu instid0(SALU_CYCLE_1)
	s_mov_b32 s28, exec_lo
	v_cmpx_gt_i32_e64 s36, v0
	s_cbranch_execnz .LBB141_141
	s_branch .LBB141_160
.LBB141_9:
	s_and_not1_b32 vcc_lo, exec_lo, s33
	s_cbranch_vccnz .LBB141_14
; %bb.10:
	s_and_not1_b32 vcc_lo, exec_lo, s38
	s_cbranch_vccnz .LBB141_15
; %bb.11:
	s_add_co_i32 s0, s37, 1
	s_cmp_eq_u32 s31, 2
	s_cbranch_scc1 .LBB141_16
; %bb.12:
	v_dual_mov_b32 v2, 0 :: v_dual_mov_b32 v3, 0
	v_mov_b32_e32 v1, v0
	s_and_b32 s24, s0, 28
	s_mov_b32 s25, 0
	s_mov_b64 s[26:27], s[2:3]
	s_mov_b64 s[28:29], s[22:23]
.LBB141_13:                             ; =>This Inner Loop Header: Depth=1
	s_clause 0x1
	s_load_b256 s[40:47], s[26:27], 0x4
	s_load_b128 s[56:59], s[26:27], 0x24
	s_load_b256 s[48:55], s[28:29], 0x0
	s_add_co_i32 s25, s25, 4
	s_wait_xcnt 0x0
	s_add_nc_u64 s[26:27], s[26:27], 48
	s_cmp_lg_u32 s24, s25
	s_add_nc_u64 s[28:29], s[28:29], 32
	s_wait_kmcnt 0x0
	v_mul_hi_u32 v4, s41, v1
	s_delay_alu instid0(VALU_DEP_1) | instskip(NEXT) | instid1(VALU_DEP_1)
	v_add_nc_u32_e32 v4, v1, v4
	v_lshrrev_b32_e32 v4, s42, v4
	s_delay_alu instid0(VALU_DEP_1) | instskip(NEXT) | instid1(VALU_DEP_1)
	v_mul_hi_u32 v5, s44, v4
	v_add_nc_u32_e32 v5, v4, v5
	s_delay_alu instid0(VALU_DEP_1) | instskip(NEXT) | instid1(VALU_DEP_1)
	v_lshrrev_b32_e32 v5, s45, v5
	v_mul_hi_u32 v6, s47, v5
	s_delay_alu instid0(VALU_DEP_1) | instskip(SKIP_1) | instid1(VALU_DEP_1)
	v_add_nc_u32_e32 v6, v5, v6
	v_mul_lo_u32 v7, v4, s40
	v_sub_nc_u32_e32 v1, v1, v7
	v_mul_lo_u32 v7, v5, s43
	s_delay_alu instid0(VALU_DEP_4) | instskip(NEXT) | instid1(VALU_DEP_3)
	v_lshrrev_b32_e32 v6, s56, v6
	v_mad_u32 v3, v1, s49, v3
	v_mad_u32 v1, v1, s48, v2
	s_delay_alu instid0(VALU_DEP_4) | instskip(NEXT) | instid1(VALU_DEP_4)
	v_sub_nc_u32_e32 v2, v4, v7
	v_mul_hi_u32 v8, s58, v6
	v_mul_lo_u32 v4, v6, s46
	s_delay_alu instid0(VALU_DEP_3) | instskip(SKIP_1) | instid1(VALU_DEP_4)
	v_mad_u32 v3, v2, s51, v3
	v_mad_u32 v2, v2, s50, v1
	v_add_nc_u32_e32 v7, v6, v8
	s_delay_alu instid0(VALU_DEP_1) | instskip(NEXT) | instid1(VALU_DEP_1)
	v_dual_sub_nc_u32 v4, v5, v4 :: v_dual_lshrrev_b32 v1, s59, v7
	v_mad_u32 v3, v4, s53, v3
	s_delay_alu instid0(VALU_DEP_4) | instskip(NEXT) | instid1(VALU_DEP_3)
	v_mad_u32 v2, v4, s52, v2
	v_mul_lo_u32 v5, v1, s57
	s_delay_alu instid0(VALU_DEP_1) | instskip(NEXT) | instid1(VALU_DEP_1)
	v_sub_nc_u32_e32 v4, v6, v5
	v_mad_u32 v3, v4, s55, v3
	s_delay_alu instid0(VALU_DEP_4)
	v_mad_u32 v2, v4, s54, v2
	s_cbranch_scc1 .LBB141_13
	s_branch .LBB141_17
.LBB141_14:
                                        ; implicit-def: $vgpr3
	s_branch .LBB141_21
.LBB141_15:
	v_dual_mov_b32 v3, 0 :: v_dual_mov_b32 v2, 0
	s_branch .LBB141_20
.LBB141_16:
	v_mov_b64_e32 v[2:3], 0
	v_mov_b32_e32 v1, v0
	s_mov_b32 s24, 0
.LBB141_17:
	s_and_b32 s0, s0, 3
	s_mov_b32 s25, 0
	s_cmp_eq_u32 s0, 0
	s_cbranch_scc1 .LBB141_20
; %bb.18:
	s_lshl_b32 s26, s24, 3
	s_mov_b32 s27, s25
	s_mul_u64 s[28:29], s[24:25], 12
	s_add_nc_u64 s[26:27], s[2:3], s[26:27]
	s_delay_alu instid0(SALU_CYCLE_1)
	s_add_nc_u64 s[24:25], s[26:27], 0xc4
	s_add_nc_u64 s[26:27], s[2:3], s[28:29]
.LBB141_19:                             ; =>This Inner Loop Header: Depth=1
	s_load_b96 s[40:42], s[26:27], 0x4
	s_load_b64 s[28:29], s[24:25], 0x0
	s_add_co_i32 s0, s0, -1
	s_wait_xcnt 0x0
	s_add_nc_u64 s[26:27], s[26:27], 12
	s_cmp_lg_u32 s0, 0
	s_add_nc_u64 s[24:25], s[24:25], 8
	s_wait_kmcnt 0x0
	v_mul_hi_u32 v4, s41, v1
	s_delay_alu instid0(VALU_DEP_1) | instskip(NEXT) | instid1(VALU_DEP_1)
	v_add_nc_u32_e32 v4, v1, v4
	v_lshrrev_b32_e32 v4, s42, v4
	s_delay_alu instid0(VALU_DEP_1) | instskip(NEXT) | instid1(VALU_DEP_1)
	v_mul_lo_u32 v5, v4, s40
	v_sub_nc_u32_e32 v1, v1, v5
	s_delay_alu instid0(VALU_DEP_1)
	v_mad_u32 v3, v1, s29, v3
	v_mad_u32 v2, v1, s28, v2
	v_mov_b32_e32 v1, v4
	s_cbranch_scc1 .LBB141_19
.LBB141_20:
	s_cbranch_execnz .LBB141_23
.LBB141_21:
	v_mov_b32_e32 v1, 0
	s_and_not1_b32 vcc_lo, exec_lo, s35
	s_delay_alu instid0(VALU_DEP_1) | instskip(NEXT) | instid1(VALU_DEP_1)
	v_mul_u64_e32 v[2:3], s[18:19], v[0:1]
	v_add_nc_u32_e32 v2, v0, v3
	s_delay_alu instid0(VALU_DEP_1) | instskip(NEXT) | instid1(VALU_DEP_1)
	v_lshrrev_b32_e32 v4, s10, v2
	v_mul_lo_u32 v2, v4, s8
	s_delay_alu instid0(VALU_DEP_1) | instskip(NEXT) | instid1(VALU_DEP_1)
	v_sub_nc_u32_e32 v2, v0, v2
	v_mul_lo_u32 v3, v2, s13
	v_mul_lo_u32 v2, v2, s12
	s_cbranch_vccnz .LBB141_23
; %bb.22:
	v_mov_b32_e32 v5, v1
	s_delay_alu instid0(VALU_DEP_1) | instskip(NEXT) | instid1(VALU_DEP_1)
	v_mul_u64_e32 v[6:7], s[20:21], v[4:5]
	v_add_nc_u32_e32 v1, v4, v7
	s_delay_alu instid0(VALU_DEP_1) | instskip(NEXT) | instid1(VALU_DEP_1)
	v_lshrrev_b32_e32 v1, s1, v1
	v_mul_lo_u32 v1, v1, s11
	s_delay_alu instid0(VALU_DEP_1) | instskip(NEXT) | instid1(VALU_DEP_1)
	v_sub_nc_u32_e32 v1, v4, v1
	v_mad_u32 v2, v1, s14, v2
	v_mad_u32 v3, v1, s15, v3
.LBB141_23:
	global_load_b64 v[4:5], v3, s[6:7]
	s_and_b32 vcc_lo, exec_lo, s9
	s_cbranch_vccz .LBB141_33
; %bb.24:
	s_wait_loadcnt 0x0
	v_cmp_neq_f32_e32 vcc_lo, s16, v4
	v_cmp_neq_f32_e64 s0, s17, v5
	s_or_b32 s24, vcc_lo, s0
	s_cbranch_execnz .LBB141_26
.LBB141_25:
	s_wait_loadcnt 0x0
	v_cmp_eq_f32_e32 vcc_lo, s16, v4
	v_cmp_eq_f32_e64 s0, s17, v5
	s_and_not1_b32 s24, s24, exec_lo
	s_and_b32 s0, vcc_lo, s0
	s_delay_alu instid0(SALU_CYCLE_1) | instskip(NEXT) | instid1(SALU_CYCLE_1)
	s_and_b32 s0, s0, exec_lo
	s_or_b32 s24, s24, s0
.LBB141_26:
	s_delay_alu instid0(SALU_CYCLE_1) | instskip(SKIP_4) | instid1(SALU_CYCLE_1)
	v_cndmask_b32_e64 v1, 0, 1, s24
	v_add_nc_u32_e32 v0, 0x80, v0
	global_store_b8 v2, v1, s[4:5]
	s_wait_xcnt 0x0
	s_or_b32 exec_lo, exec_lo, s39
	s_mov_b32 s39, exec_lo
	v_cmpx_gt_i32_e64 s36, v0
	s_cbranch_execz .LBB141_3
.LBB141_27:
	s_and_not1_b32 vcc_lo, exec_lo, s33
	s_cbranch_vccnz .LBB141_32
; %bb.28:
	s_and_not1_b32 vcc_lo, exec_lo, s38
	s_cbranch_vccnz .LBB141_34
; %bb.29:
	s_add_co_i32 s0, s37, 1
	s_cmp_eq_u32 s31, 2
	s_cbranch_scc1 .LBB141_35
; %bb.30:
	v_dual_mov_b32 v2, 0 :: v_dual_mov_b32 v3, 0
	v_mov_b32_e32 v1, v0
	s_and_b32 s24, s0, 28
	s_mov_b32 s25, 0
	s_mov_b64 s[26:27], s[2:3]
	s_mov_b64 s[28:29], s[22:23]
.LBB141_31:                             ; =>This Inner Loop Header: Depth=1
	s_clause 0x1
	s_load_b256 s[40:47], s[26:27], 0x4
	s_load_b128 s[56:59], s[26:27], 0x24
	s_load_b256 s[48:55], s[28:29], 0x0
	s_add_co_i32 s25, s25, 4
	s_wait_xcnt 0x0
	s_add_nc_u64 s[26:27], s[26:27], 48
	s_cmp_eq_u32 s24, s25
	s_add_nc_u64 s[28:29], s[28:29], 32
	s_wait_loadcnt 0x0
	s_wait_kmcnt 0x0
	v_mul_hi_u32 v4, s41, v1
	s_delay_alu instid0(VALU_DEP_1) | instskip(NEXT) | instid1(VALU_DEP_1)
	v_add_nc_u32_e32 v4, v1, v4
	v_lshrrev_b32_e32 v4, s42, v4
	s_delay_alu instid0(VALU_DEP_1) | instskip(NEXT) | instid1(VALU_DEP_1)
	v_mul_hi_u32 v5, s44, v4
	v_add_nc_u32_e32 v5, v4, v5
	s_delay_alu instid0(VALU_DEP_1) | instskip(NEXT) | instid1(VALU_DEP_1)
	v_lshrrev_b32_e32 v5, s45, v5
	v_mul_hi_u32 v6, s47, v5
	s_delay_alu instid0(VALU_DEP_1) | instskip(SKIP_1) | instid1(VALU_DEP_1)
	v_add_nc_u32_e32 v6, v5, v6
	v_mul_lo_u32 v7, v4, s40
	v_sub_nc_u32_e32 v1, v1, v7
	v_mul_lo_u32 v7, v5, s43
	s_delay_alu instid0(VALU_DEP_4) | instskip(NEXT) | instid1(VALU_DEP_3)
	v_lshrrev_b32_e32 v6, s56, v6
	v_mad_u32 v3, v1, s49, v3
	v_mad_u32 v1, v1, s48, v2
	s_delay_alu instid0(VALU_DEP_4) | instskip(NEXT) | instid1(VALU_DEP_4)
	v_sub_nc_u32_e32 v2, v4, v7
	v_mul_hi_u32 v8, s58, v6
	v_mul_lo_u32 v4, v6, s46
	s_delay_alu instid0(VALU_DEP_3) | instskip(SKIP_1) | instid1(VALU_DEP_4)
	v_mad_u32 v3, v2, s51, v3
	v_mad_u32 v2, v2, s50, v1
	v_add_nc_u32_e32 v7, v6, v8
	s_delay_alu instid0(VALU_DEP_1) | instskip(NEXT) | instid1(VALU_DEP_1)
	v_dual_sub_nc_u32 v4, v5, v4 :: v_dual_lshrrev_b32 v1, s59, v7
	v_mad_u32 v3, v4, s53, v3
	s_delay_alu instid0(VALU_DEP_4) | instskip(NEXT) | instid1(VALU_DEP_3)
	v_mad_u32 v2, v4, s52, v2
	v_mul_lo_u32 v5, v1, s57
	s_delay_alu instid0(VALU_DEP_1) | instskip(NEXT) | instid1(VALU_DEP_1)
	v_sub_nc_u32_e32 v4, v6, v5
	v_mad_u32 v3, v4, s55, v3
	s_delay_alu instid0(VALU_DEP_4)
	v_mad_u32 v2, v4, s54, v2
	s_cbranch_scc0 .LBB141_31
	s_branch .LBB141_36
.LBB141_32:
                                        ; implicit-def: $vgpr3
	s_branch .LBB141_40
.LBB141_33:
                                        ; implicit-def: $sgpr24
	s_branch .LBB141_25
.LBB141_34:
	v_dual_mov_b32 v3, 0 :: v_dual_mov_b32 v2, 0
	s_branch .LBB141_39
.LBB141_35:
	v_mov_b64_e32 v[2:3], 0
	v_mov_b32_e32 v1, v0
	s_mov_b32 s24, 0
.LBB141_36:
	s_and_b32 s0, s0, 3
	s_mov_b32 s25, 0
	s_cmp_eq_u32 s0, 0
	s_cbranch_scc1 .LBB141_39
; %bb.37:
	s_lshl_b32 s26, s24, 3
	s_mov_b32 s27, s25
	s_mul_u64 s[28:29], s[24:25], 12
	s_add_nc_u64 s[26:27], s[2:3], s[26:27]
	s_delay_alu instid0(SALU_CYCLE_1)
	s_add_nc_u64 s[24:25], s[26:27], 0xc4
	s_add_nc_u64 s[26:27], s[2:3], s[28:29]
.LBB141_38:                             ; =>This Inner Loop Header: Depth=1
	s_load_b96 s[40:42], s[26:27], 0x4
	s_load_b64 s[28:29], s[24:25], 0x0
	s_add_co_i32 s0, s0, -1
	s_wait_xcnt 0x0
	s_add_nc_u64 s[26:27], s[26:27], 12
	s_cmp_lg_u32 s0, 0
	s_add_nc_u64 s[24:25], s[24:25], 8
	s_wait_loadcnt 0x0
	s_wait_kmcnt 0x0
	v_mul_hi_u32 v4, s41, v1
	s_delay_alu instid0(VALU_DEP_1) | instskip(NEXT) | instid1(VALU_DEP_1)
	v_add_nc_u32_e32 v4, v1, v4
	v_lshrrev_b32_e32 v4, s42, v4
	s_delay_alu instid0(VALU_DEP_1) | instskip(NEXT) | instid1(VALU_DEP_1)
	v_mul_lo_u32 v5, v4, s40
	v_sub_nc_u32_e32 v1, v1, v5
	s_delay_alu instid0(VALU_DEP_1)
	v_mad_u32 v3, v1, s29, v3
	v_mad_u32 v2, v1, s28, v2
	v_mov_b32_e32 v1, v4
	s_cbranch_scc1 .LBB141_38
.LBB141_39:
	s_cbranch_execnz .LBB141_42
.LBB141_40:
	v_mov_b32_e32 v1, 0
	s_and_not1_b32 vcc_lo, exec_lo, s35
	s_delay_alu instid0(VALU_DEP_1) | instskip(NEXT) | instid1(VALU_DEP_1)
	v_mul_u64_e32 v[2:3], s[18:19], v[0:1]
	v_add_nc_u32_e32 v2, v0, v3
	s_wait_loadcnt 0x0
	s_delay_alu instid0(VALU_DEP_1) | instskip(NEXT) | instid1(VALU_DEP_1)
	v_lshrrev_b32_e32 v4, s10, v2
	v_mul_lo_u32 v2, v4, s8
	s_delay_alu instid0(VALU_DEP_1) | instskip(NEXT) | instid1(VALU_DEP_1)
	v_sub_nc_u32_e32 v2, v0, v2
	v_mul_lo_u32 v3, v2, s13
	v_mul_lo_u32 v2, v2, s12
	s_cbranch_vccnz .LBB141_42
; %bb.41:
	v_mov_b32_e32 v5, v1
	s_delay_alu instid0(VALU_DEP_1) | instskip(NEXT) | instid1(VALU_DEP_1)
	v_mul_u64_e32 v[6:7], s[20:21], v[4:5]
	v_add_nc_u32_e32 v1, v4, v7
	s_delay_alu instid0(VALU_DEP_1) | instskip(NEXT) | instid1(VALU_DEP_1)
	v_lshrrev_b32_e32 v1, s1, v1
	v_mul_lo_u32 v1, v1, s11
	s_delay_alu instid0(VALU_DEP_1) | instskip(NEXT) | instid1(VALU_DEP_1)
	v_sub_nc_u32_e32 v1, v4, v1
	v_mad_u32 v2, v1, s14, v2
	v_mad_u32 v3, v1, s15, v3
.LBB141_42:
	s_wait_loadcnt 0x0
	global_load_b64 v[4:5], v3, s[6:7]
	s_and_not1_b32 vcc_lo, exec_lo, s9
	s_cbranch_vccnz .LBB141_52
; %bb.43:
	s_wait_loadcnt 0x0
	v_cmp_neq_f32_e32 vcc_lo, s16, v4
	v_cmp_neq_f32_e64 s0, s17, v5
	s_or_b32 s24, vcc_lo, s0
	s_cbranch_execnz .LBB141_45
.LBB141_44:
	s_wait_loadcnt 0x0
	v_cmp_eq_f32_e32 vcc_lo, s16, v4
	v_cmp_eq_f32_e64 s0, s17, v5
	s_and_not1_b32 s24, s24, exec_lo
	s_and_b32 s0, vcc_lo, s0
	s_delay_alu instid0(SALU_CYCLE_1) | instskip(NEXT) | instid1(SALU_CYCLE_1)
	s_and_b32 s0, s0, exec_lo
	s_or_b32 s24, s24, s0
.LBB141_45:
	s_delay_alu instid0(SALU_CYCLE_1) | instskip(SKIP_4) | instid1(SALU_CYCLE_1)
	v_cndmask_b32_e64 v1, 0, 1, s24
	v_add_nc_u32_e32 v0, 0x80, v0
	global_store_b8 v2, v1, s[4:5]
	s_wait_xcnt 0x0
	s_or_b32 exec_lo, exec_lo, s39
	s_mov_b32 s39, exec_lo
	v_cmpx_gt_i32_e64 s36, v0
	s_cbranch_execz .LBB141_4
.LBB141_46:
	s_and_not1_b32 vcc_lo, exec_lo, s33
	s_cbranch_vccnz .LBB141_51
; %bb.47:
	s_and_not1_b32 vcc_lo, exec_lo, s38
	s_cbranch_vccnz .LBB141_53
; %bb.48:
	s_add_co_i32 s0, s37, 1
	s_cmp_eq_u32 s31, 2
	s_cbranch_scc1 .LBB141_54
; %bb.49:
	v_dual_mov_b32 v2, 0 :: v_dual_mov_b32 v3, 0
	v_mov_b32_e32 v1, v0
	s_and_b32 s24, s0, 28
	s_mov_b32 s25, 0
	s_mov_b64 s[26:27], s[2:3]
	s_mov_b64 s[28:29], s[22:23]
.LBB141_50:                             ; =>This Inner Loop Header: Depth=1
	s_clause 0x1
	s_load_b256 s[40:47], s[26:27], 0x4
	s_load_b128 s[56:59], s[26:27], 0x24
	s_load_b256 s[48:55], s[28:29], 0x0
	s_add_co_i32 s25, s25, 4
	s_wait_xcnt 0x0
	s_add_nc_u64 s[26:27], s[26:27], 48
	s_cmp_eq_u32 s24, s25
	s_add_nc_u64 s[28:29], s[28:29], 32
	s_wait_loadcnt 0x0
	s_wait_kmcnt 0x0
	v_mul_hi_u32 v4, s41, v1
	s_delay_alu instid0(VALU_DEP_1) | instskip(NEXT) | instid1(VALU_DEP_1)
	v_add_nc_u32_e32 v4, v1, v4
	v_lshrrev_b32_e32 v4, s42, v4
	s_delay_alu instid0(VALU_DEP_1) | instskip(NEXT) | instid1(VALU_DEP_1)
	v_mul_hi_u32 v5, s44, v4
	v_add_nc_u32_e32 v5, v4, v5
	s_delay_alu instid0(VALU_DEP_1) | instskip(NEXT) | instid1(VALU_DEP_1)
	v_lshrrev_b32_e32 v5, s45, v5
	v_mul_hi_u32 v6, s47, v5
	s_delay_alu instid0(VALU_DEP_1) | instskip(SKIP_1) | instid1(VALU_DEP_1)
	v_add_nc_u32_e32 v6, v5, v6
	v_mul_lo_u32 v7, v4, s40
	v_sub_nc_u32_e32 v1, v1, v7
	v_mul_lo_u32 v7, v5, s43
	s_delay_alu instid0(VALU_DEP_4) | instskip(NEXT) | instid1(VALU_DEP_3)
	v_lshrrev_b32_e32 v6, s56, v6
	v_mad_u32 v3, v1, s49, v3
	v_mad_u32 v1, v1, s48, v2
	s_delay_alu instid0(VALU_DEP_4) | instskip(NEXT) | instid1(VALU_DEP_4)
	v_sub_nc_u32_e32 v2, v4, v7
	v_mul_hi_u32 v8, s58, v6
	v_mul_lo_u32 v4, v6, s46
	s_delay_alu instid0(VALU_DEP_3) | instskip(SKIP_1) | instid1(VALU_DEP_4)
	v_mad_u32 v3, v2, s51, v3
	v_mad_u32 v2, v2, s50, v1
	v_add_nc_u32_e32 v7, v6, v8
	s_delay_alu instid0(VALU_DEP_1) | instskip(NEXT) | instid1(VALU_DEP_1)
	v_dual_sub_nc_u32 v4, v5, v4 :: v_dual_lshrrev_b32 v1, s59, v7
	v_mad_u32 v3, v4, s53, v3
	s_delay_alu instid0(VALU_DEP_4) | instskip(NEXT) | instid1(VALU_DEP_3)
	v_mad_u32 v2, v4, s52, v2
	v_mul_lo_u32 v5, v1, s57
	s_delay_alu instid0(VALU_DEP_1) | instskip(NEXT) | instid1(VALU_DEP_1)
	v_sub_nc_u32_e32 v4, v6, v5
	v_mad_u32 v3, v4, s55, v3
	s_delay_alu instid0(VALU_DEP_4)
	v_mad_u32 v2, v4, s54, v2
	s_cbranch_scc0 .LBB141_50
	s_branch .LBB141_55
.LBB141_51:
                                        ; implicit-def: $vgpr3
	s_branch .LBB141_59
.LBB141_52:
                                        ; implicit-def: $sgpr24
	s_branch .LBB141_44
.LBB141_53:
	v_dual_mov_b32 v3, 0 :: v_dual_mov_b32 v2, 0
	s_branch .LBB141_58
.LBB141_54:
	v_mov_b64_e32 v[2:3], 0
	v_mov_b32_e32 v1, v0
	s_mov_b32 s24, 0
.LBB141_55:
	s_and_b32 s0, s0, 3
	s_mov_b32 s25, 0
	s_cmp_eq_u32 s0, 0
	s_cbranch_scc1 .LBB141_58
; %bb.56:
	s_lshl_b32 s26, s24, 3
	s_mov_b32 s27, s25
	s_mul_u64 s[28:29], s[24:25], 12
	s_add_nc_u64 s[26:27], s[2:3], s[26:27]
	s_delay_alu instid0(SALU_CYCLE_1)
	s_add_nc_u64 s[24:25], s[26:27], 0xc4
	s_add_nc_u64 s[26:27], s[2:3], s[28:29]
.LBB141_57:                             ; =>This Inner Loop Header: Depth=1
	s_load_b96 s[40:42], s[26:27], 0x4
	s_load_b64 s[28:29], s[24:25], 0x0
	s_add_co_i32 s0, s0, -1
	s_wait_xcnt 0x0
	s_add_nc_u64 s[26:27], s[26:27], 12
	s_cmp_lg_u32 s0, 0
	s_add_nc_u64 s[24:25], s[24:25], 8
	s_wait_loadcnt 0x0
	s_wait_kmcnt 0x0
	v_mul_hi_u32 v4, s41, v1
	s_delay_alu instid0(VALU_DEP_1) | instskip(NEXT) | instid1(VALU_DEP_1)
	v_add_nc_u32_e32 v4, v1, v4
	v_lshrrev_b32_e32 v4, s42, v4
	s_delay_alu instid0(VALU_DEP_1) | instskip(NEXT) | instid1(VALU_DEP_1)
	v_mul_lo_u32 v5, v4, s40
	v_sub_nc_u32_e32 v1, v1, v5
	s_delay_alu instid0(VALU_DEP_1)
	v_mad_u32 v3, v1, s29, v3
	v_mad_u32 v2, v1, s28, v2
	v_mov_b32_e32 v1, v4
	s_cbranch_scc1 .LBB141_57
.LBB141_58:
	s_cbranch_execnz .LBB141_61
.LBB141_59:
	v_mov_b32_e32 v1, 0
	s_and_not1_b32 vcc_lo, exec_lo, s35
	s_delay_alu instid0(VALU_DEP_1) | instskip(NEXT) | instid1(VALU_DEP_1)
	v_mul_u64_e32 v[2:3], s[18:19], v[0:1]
	v_add_nc_u32_e32 v2, v0, v3
	s_wait_loadcnt 0x0
	s_delay_alu instid0(VALU_DEP_1) | instskip(NEXT) | instid1(VALU_DEP_1)
	v_lshrrev_b32_e32 v4, s10, v2
	v_mul_lo_u32 v2, v4, s8
	s_delay_alu instid0(VALU_DEP_1) | instskip(NEXT) | instid1(VALU_DEP_1)
	v_sub_nc_u32_e32 v2, v0, v2
	v_mul_lo_u32 v3, v2, s13
	v_mul_lo_u32 v2, v2, s12
	s_cbranch_vccnz .LBB141_61
; %bb.60:
	v_mov_b32_e32 v5, v1
	s_delay_alu instid0(VALU_DEP_1) | instskip(NEXT) | instid1(VALU_DEP_1)
	v_mul_u64_e32 v[6:7], s[20:21], v[4:5]
	v_add_nc_u32_e32 v1, v4, v7
	s_delay_alu instid0(VALU_DEP_1) | instskip(NEXT) | instid1(VALU_DEP_1)
	v_lshrrev_b32_e32 v1, s1, v1
	v_mul_lo_u32 v1, v1, s11
	s_delay_alu instid0(VALU_DEP_1) | instskip(NEXT) | instid1(VALU_DEP_1)
	v_sub_nc_u32_e32 v1, v4, v1
	v_mad_u32 v2, v1, s14, v2
	v_mad_u32 v3, v1, s15, v3
.LBB141_61:
	s_wait_loadcnt 0x0
	global_load_b64 v[4:5], v3, s[6:7]
	s_and_not1_b32 vcc_lo, exec_lo, s9
	s_cbranch_vccnz .LBB141_71
; %bb.62:
	s_wait_loadcnt 0x0
	v_cmp_neq_f32_e32 vcc_lo, s16, v4
	v_cmp_neq_f32_e64 s0, s17, v5
	s_or_b32 s24, vcc_lo, s0
	s_cbranch_execnz .LBB141_64
.LBB141_63:
	s_wait_loadcnt 0x0
	v_cmp_eq_f32_e32 vcc_lo, s16, v4
	v_cmp_eq_f32_e64 s0, s17, v5
	s_and_not1_b32 s24, s24, exec_lo
	s_and_b32 s0, vcc_lo, s0
	s_delay_alu instid0(SALU_CYCLE_1) | instskip(NEXT) | instid1(SALU_CYCLE_1)
	s_and_b32 s0, s0, exec_lo
	s_or_b32 s24, s24, s0
.LBB141_64:
	s_delay_alu instid0(SALU_CYCLE_1) | instskip(SKIP_4) | instid1(SALU_CYCLE_1)
	v_cndmask_b32_e64 v1, 0, 1, s24
	v_add_nc_u32_e32 v0, 0x80, v0
	global_store_b8 v2, v1, s[4:5]
	s_wait_xcnt 0x0
	s_or_b32 exec_lo, exec_lo, s39
	s_mov_b32 s39, exec_lo
	v_cmpx_gt_i32_e64 s36, v0
	s_cbranch_execz .LBB141_5
.LBB141_65:
	s_and_not1_b32 vcc_lo, exec_lo, s33
	s_cbranch_vccnz .LBB141_70
; %bb.66:
	s_and_not1_b32 vcc_lo, exec_lo, s38
	s_cbranch_vccnz .LBB141_72
; %bb.67:
	s_add_co_i32 s0, s37, 1
	s_cmp_eq_u32 s31, 2
	s_cbranch_scc1 .LBB141_73
; %bb.68:
	v_dual_mov_b32 v2, 0 :: v_dual_mov_b32 v3, 0
	v_mov_b32_e32 v1, v0
	s_and_b32 s24, s0, 28
	s_mov_b32 s25, 0
	s_mov_b64 s[26:27], s[2:3]
	s_mov_b64 s[28:29], s[22:23]
.LBB141_69:                             ; =>This Inner Loop Header: Depth=1
	s_clause 0x1
	s_load_b256 s[40:47], s[26:27], 0x4
	s_load_b128 s[56:59], s[26:27], 0x24
	s_load_b256 s[48:55], s[28:29], 0x0
	s_add_co_i32 s25, s25, 4
	s_wait_xcnt 0x0
	s_add_nc_u64 s[26:27], s[26:27], 48
	s_cmp_eq_u32 s24, s25
	s_add_nc_u64 s[28:29], s[28:29], 32
	s_wait_loadcnt 0x0
	s_wait_kmcnt 0x0
	v_mul_hi_u32 v4, s41, v1
	s_delay_alu instid0(VALU_DEP_1) | instskip(NEXT) | instid1(VALU_DEP_1)
	v_add_nc_u32_e32 v4, v1, v4
	v_lshrrev_b32_e32 v4, s42, v4
	s_delay_alu instid0(VALU_DEP_1) | instskip(NEXT) | instid1(VALU_DEP_1)
	v_mul_hi_u32 v5, s44, v4
	v_add_nc_u32_e32 v5, v4, v5
	s_delay_alu instid0(VALU_DEP_1) | instskip(NEXT) | instid1(VALU_DEP_1)
	v_lshrrev_b32_e32 v5, s45, v5
	v_mul_hi_u32 v6, s47, v5
	s_delay_alu instid0(VALU_DEP_1) | instskip(SKIP_1) | instid1(VALU_DEP_1)
	v_add_nc_u32_e32 v6, v5, v6
	v_mul_lo_u32 v7, v4, s40
	v_sub_nc_u32_e32 v1, v1, v7
	v_mul_lo_u32 v7, v5, s43
	s_delay_alu instid0(VALU_DEP_4) | instskip(NEXT) | instid1(VALU_DEP_3)
	v_lshrrev_b32_e32 v6, s56, v6
	v_mad_u32 v3, v1, s49, v3
	v_mad_u32 v1, v1, s48, v2
	s_delay_alu instid0(VALU_DEP_4) | instskip(NEXT) | instid1(VALU_DEP_4)
	v_sub_nc_u32_e32 v2, v4, v7
	v_mul_hi_u32 v8, s58, v6
	v_mul_lo_u32 v4, v6, s46
	s_delay_alu instid0(VALU_DEP_3) | instskip(SKIP_1) | instid1(VALU_DEP_4)
	v_mad_u32 v3, v2, s51, v3
	v_mad_u32 v2, v2, s50, v1
	v_add_nc_u32_e32 v7, v6, v8
	s_delay_alu instid0(VALU_DEP_1) | instskip(NEXT) | instid1(VALU_DEP_1)
	v_dual_sub_nc_u32 v4, v5, v4 :: v_dual_lshrrev_b32 v1, s59, v7
	v_mad_u32 v3, v4, s53, v3
	s_delay_alu instid0(VALU_DEP_4) | instskip(NEXT) | instid1(VALU_DEP_3)
	v_mad_u32 v2, v4, s52, v2
	v_mul_lo_u32 v5, v1, s57
	s_delay_alu instid0(VALU_DEP_1) | instskip(NEXT) | instid1(VALU_DEP_1)
	v_sub_nc_u32_e32 v4, v6, v5
	v_mad_u32 v3, v4, s55, v3
	s_delay_alu instid0(VALU_DEP_4)
	v_mad_u32 v2, v4, s54, v2
	s_cbranch_scc0 .LBB141_69
	s_branch .LBB141_74
.LBB141_70:
                                        ; implicit-def: $vgpr3
	s_branch .LBB141_78
.LBB141_71:
                                        ; implicit-def: $sgpr24
	s_branch .LBB141_63
.LBB141_72:
	v_dual_mov_b32 v3, 0 :: v_dual_mov_b32 v2, 0
	s_branch .LBB141_77
.LBB141_73:
	v_mov_b64_e32 v[2:3], 0
	v_mov_b32_e32 v1, v0
	s_mov_b32 s24, 0
.LBB141_74:
	s_and_b32 s0, s0, 3
	s_mov_b32 s25, 0
	s_cmp_eq_u32 s0, 0
	s_cbranch_scc1 .LBB141_77
; %bb.75:
	s_lshl_b32 s26, s24, 3
	s_mov_b32 s27, s25
	s_mul_u64 s[28:29], s[24:25], 12
	s_add_nc_u64 s[26:27], s[2:3], s[26:27]
	s_delay_alu instid0(SALU_CYCLE_1)
	s_add_nc_u64 s[24:25], s[26:27], 0xc4
	s_add_nc_u64 s[26:27], s[2:3], s[28:29]
.LBB141_76:                             ; =>This Inner Loop Header: Depth=1
	s_load_b96 s[40:42], s[26:27], 0x4
	s_load_b64 s[28:29], s[24:25], 0x0
	s_add_co_i32 s0, s0, -1
	s_wait_xcnt 0x0
	s_add_nc_u64 s[26:27], s[26:27], 12
	s_cmp_lg_u32 s0, 0
	s_add_nc_u64 s[24:25], s[24:25], 8
	s_wait_loadcnt 0x0
	s_wait_kmcnt 0x0
	v_mul_hi_u32 v4, s41, v1
	s_delay_alu instid0(VALU_DEP_1) | instskip(NEXT) | instid1(VALU_DEP_1)
	v_add_nc_u32_e32 v4, v1, v4
	v_lshrrev_b32_e32 v4, s42, v4
	s_delay_alu instid0(VALU_DEP_1) | instskip(NEXT) | instid1(VALU_DEP_1)
	v_mul_lo_u32 v5, v4, s40
	v_sub_nc_u32_e32 v1, v1, v5
	s_delay_alu instid0(VALU_DEP_1)
	v_mad_u32 v3, v1, s29, v3
	v_mad_u32 v2, v1, s28, v2
	v_mov_b32_e32 v1, v4
	s_cbranch_scc1 .LBB141_76
.LBB141_77:
	s_cbranch_execnz .LBB141_80
.LBB141_78:
	v_mov_b32_e32 v1, 0
	s_and_not1_b32 vcc_lo, exec_lo, s35
	s_delay_alu instid0(VALU_DEP_1) | instskip(NEXT) | instid1(VALU_DEP_1)
	v_mul_u64_e32 v[2:3], s[18:19], v[0:1]
	v_add_nc_u32_e32 v2, v0, v3
	s_wait_loadcnt 0x0
	s_delay_alu instid0(VALU_DEP_1) | instskip(NEXT) | instid1(VALU_DEP_1)
	v_lshrrev_b32_e32 v4, s10, v2
	v_mul_lo_u32 v2, v4, s8
	s_delay_alu instid0(VALU_DEP_1) | instskip(NEXT) | instid1(VALU_DEP_1)
	v_sub_nc_u32_e32 v2, v0, v2
	v_mul_lo_u32 v3, v2, s13
	v_mul_lo_u32 v2, v2, s12
	s_cbranch_vccnz .LBB141_80
; %bb.79:
	v_mov_b32_e32 v5, v1
	s_delay_alu instid0(VALU_DEP_1) | instskip(NEXT) | instid1(VALU_DEP_1)
	v_mul_u64_e32 v[6:7], s[20:21], v[4:5]
	v_add_nc_u32_e32 v1, v4, v7
	s_delay_alu instid0(VALU_DEP_1) | instskip(NEXT) | instid1(VALU_DEP_1)
	v_lshrrev_b32_e32 v1, s1, v1
	v_mul_lo_u32 v1, v1, s11
	s_delay_alu instid0(VALU_DEP_1) | instskip(NEXT) | instid1(VALU_DEP_1)
	v_sub_nc_u32_e32 v1, v4, v1
	v_mad_u32 v2, v1, s14, v2
	v_mad_u32 v3, v1, s15, v3
.LBB141_80:
	s_wait_loadcnt 0x0
	global_load_b64 v[4:5], v3, s[6:7]
	s_and_not1_b32 vcc_lo, exec_lo, s9
	s_cbranch_vccnz .LBB141_90
; %bb.81:
	s_wait_loadcnt 0x0
	v_cmp_neq_f32_e32 vcc_lo, s16, v4
	v_cmp_neq_f32_e64 s0, s17, v5
	s_or_b32 s24, vcc_lo, s0
	s_cbranch_execnz .LBB141_83
.LBB141_82:
	s_wait_loadcnt 0x0
	v_cmp_eq_f32_e32 vcc_lo, s16, v4
	v_cmp_eq_f32_e64 s0, s17, v5
	s_and_not1_b32 s24, s24, exec_lo
	s_and_b32 s0, vcc_lo, s0
	s_delay_alu instid0(SALU_CYCLE_1) | instskip(NEXT) | instid1(SALU_CYCLE_1)
	s_and_b32 s0, s0, exec_lo
	s_or_b32 s24, s24, s0
.LBB141_83:
	s_delay_alu instid0(SALU_CYCLE_1) | instskip(SKIP_4) | instid1(SALU_CYCLE_1)
	v_cndmask_b32_e64 v1, 0, 1, s24
	v_add_nc_u32_e32 v0, 0x80, v0
	global_store_b8 v2, v1, s[4:5]
	s_wait_xcnt 0x0
	s_or_b32 exec_lo, exec_lo, s39
	s_mov_b32 s39, exec_lo
	v_cmpx_gt_i32_e64 s36, v0
	s_cbranch_execz .LBB141_6
.LBB141_84:
	s_and_not1_b32 vcc_lo, exec_lo, s33
	s_cbranch_vccnz .LBB141_89
; %bb.85:
	s_and_not1_b32 vcc_lo, exec_lo, s38
	s_cbranch_vccnz .LBB141_91
; %bb.86:
	s_add_co_i32 s0, s37, 1
	s_cmp_eq_u32 s31, 2
	s_cbranch_scc1 .LBB141_92
; %bb.87:
	v_dual_mov_b32 v2, 0 :: v_dual_mov_b32 v3, 0
	v_mov_b32_e32 v1, v0
	s_and_b32 s24, s0, 28
	s_mov_b32 s25, 0
	s_mov_b64 s[26:27], s[2:3]
	s_mov_b64 s[28:29], s[22:23]
.LBB141_88:                             ; =>This Inner Loop Header: Depth=1
	s_clause 0x1
	s_load_b256 s[40:47], s[26:27], 0x4
	s_load_b128 s[56:59], s[26:27], 0x24
	s_load_b256 s[48:55], s[28:29], 0x0
	s_add_co_i32 s25, s25, 4
	s_wait_xcnt 0x0
	s_add_nc_u64 s[26:27], s[26:27], 48
	s_cmp_eq_u32 s24, s25
	s_add_nc_u64 s[28:29], s[28:29], 32
	s_wait_loadcnt 0x0
	s_wait_kmcnt 0x0
	v_mul_hi_u32 v4, s41, v1
	s_delay_alu instid0(VALU_DEP_1) | instskip(NEXT) | instid1(VALU_DEP_1)
	v_add_nc_u32_e32 v4, v1, v4
	v_lshrrev_b32_e32 v4, s42, v4
	s_delay_alu instid0(VALU_DEP_1) | instskip(NEXT) | instid1(VALU_DEP_1)
	v_mul_hi_u32 v5, s44, v4
	v_add_nc_u32_e32 v5, v4, v5
	s_delay_alu instid0(VALU_DEP_1) | instskip(NEXT) | instid1(VALU_DEP_1)
	v_lshrrev_b32_e32 v5, s45, v5
	v_mul_hi_u32 v6, s47, v5
	s_delay_alu instid0(VALU_DEP_1) | instskip(SKIP_1) | instid1(VALU_DEP_1)
	v_add_nc_u32_e32 v6, v5, v6
	v_mul_lo_u32 v7, v4, s40
	v_sub_nc_u32_e32 v1, v1, v7
	v_mul_lo_u32 v7, v5, s43
	s_delay_alu instid0(VALU_DEP_4) | instskip(NEXT) | instid1(VALU_DEP_3)
	v_lshrrev_b32_e32 v6, s56, v6
	v_mad_u32 v3, v1, s49, v3
	v_mad_u32 v1, v1, s48, v2
	s_delay_alu instid0(VALU_DEP_4) | instskip(NEXT) | instid1(VALU_DEP_4)
	v_sub_nc_u32_e32 v2, v4, v7
	v_mul_hi_u32 v8, s58, v6
	v_mul_lo_u32 v4, v6, s46
	s_delay_alu instid0(VALU_DEP_3) | instskip(SKIP_1) | instid1(VALU_DEP_4)
	v_mad_u32 v3, v2, s51, v3
	v_mad_u32 v2, v2, s50, v1
	v_add_nc_u32_e32 v7, v6, v8
	s_delay_alu instid0(VALU_DEP_1) | instskip(NEXT) | instid1(VALU_DEP_1)
	v_dual_sub_nc_u32 v4, v5, v4 :: v_dual_lshrrev_b32 v1, s59, v7
	v_mad_u32 v3, v4, s53, v3
	s_delay_alu instid0(VALU_DEP_4) | instskip(NEXT) | instid1(VALU_DEP_3)
	v_mad_u32 v2, v4, s52, v2
	v_mul_lo_u32 v5, v1, s57
	s_delay_alu instid0(VALU_DEP_1) | instskip(NEXT) | instid1(VALU_DEP_1)
	v_sub_nc_u32_e32 v4, v6, v5
	v_mad_u32 v3, v4, s55, v3
	s_delay_alu instid0(VALU_DEP_4)
	v_mad_u32 v2, v4, s54, v2
	s_cbranch_scc0 .LBB141_88
	s_branch .LBB141_93
.LBB141_89:
                                        ; implicit-def: $vgpr3
	s_branch .LBB141_97
.LBB141_90:
                                        ; implicit-def: $sgpr24
	s_branch .LBB141_82
.LBB141_91:
	v_dual_mov_b32 v3, 0 :: v_dual_mov_b32 v2, 0
	s_branch .LBB141_96
.LBB141_92:
	v_mov_b64_e32 v[2:3], 0
	v_mov_b32_e32 v1, v0
	s_mov_b32 s24, 0
.LBB141_93:
	s_and_b32 s0, s0, 3
	s_mov_b32 s25, 0
	s_cmp_eq_u32 s0, 0
	s_cbranch_scc1 .LBB141_96
; %bb.94:
	s_lshl_b32 s26, s24, 3
	s_mov_b32 s27, s25
	s_mul_u64 s[28:29], s[24:25], 12
	s_add_nc_u64 s[26:27], s[2:3], s[26:27]
	s_delay_alu instid0(SALU_CYCLE_1)
	s_add_nc_u64 s[24:25], s[26:27], 0xc4
	s_add_nc_u64 s[26:27], s[2:3], s[28:29]
.LBB141_95:                             ; =>This Inner Loop Header: Depth=1
	s_load_b96 s[40:42], s[26:27], 0x4
	s_load_b64 s[28:29], s[24:25], 0x0
	s_add_co_i32 s0, s0, -1
	s_wait_xcnt 0x0
	s_add_nc_u64 s[26:27], s[26:27], 12
	s_cmp_lg_u32 s0, 0
	s_add_nc_u64 s[24:25], s[24:25], 8
	s_wait_loadcnt 0x0
	s_wait_kmcnt 0x0
	v_mul_hi_u32 v4, s41, v1
	s_delay_alu instid0(VALU_DEP_1) | instskip(NEXT) | instid1(VALU_DEP_1)
	v_add_nc_u32_e32 v4, v1, v4
	v_lshrrev_b32_e32 v4, s42, v4
	s_delay_alu instid0(VALU_DEP_1) | instskip(NEXT) | instid1(VALU_DEP_1)
	v_mul_lo_u32 v5, v4, s40
	v_sub_nc_u32_e32 v1, v1, v5
	s_delay_alu instid0(VALU_DEP_1)
	v_mad_u32 v3, v1, s29, v3
	v_mad_u32 v2, v1, s28, v2
	v_mov_b32_e32 v1, v4
	s_cbranch_scc1 .LBB141_95
.LBB141_96:
	s_cbranch_execnz .LBB141_99
.LBB141_97:
	v_mov_b32_e32 v1, 0
	s_and_not1_b32 vcc_lo, exec_lo, s35
	s_delay_alu instid0(VALU_DEP_1) | instskip(NEXT) | instid1(VALU_DEP_1)
	v_mul_u64_e32 v[2:3], s[18:19], v[0:1]
	v_add_nc_u32_e32 v2, v0, v3
	s_wait_loadcnt 0x0
	s_delay_alu instid0(VALU_DEP_1) | instskip(NEXT) | instid1(VALU_DEP_1)
	v_lshrrev_b32_e32 v4, s10, v2
	v_mul_lo_u32 v2, v4, s8
	s_delay_alu instid0(VALU_DEP_1) | instskip(NEXT) | instid1(VALU_DEP_1)
	v_sub_nc_u32_e32 v2, v0, v2
	v_mul_lo_u32 v3, v2, s13
	v_mul_lo_u32 v2, v2, s12
	s_cbranch_vccnz .LBB141_99
; %bb.98:
	v_mov_b32_e32 v5, v1
	s_delay_alu instid0(VALU_DEP_1) | instskip(NEXT) | instid1(VALU_DEP_1)
	v_mul_u64_e32 v[6:7], s[20:21], v[4:5]
	v_add_nc_u32_e32 v1, v4, v7
	s_delay_alu instid0(VALU_DEP_1) | instskip(NEXT) | instid1(VALU_DEP_1)
	v_lshrrev_b32_e32 v1, s1, v1
	v_mul_lo_u32 v1, v1, s11
	s_delay_alu instid0(VALU_DEP_1) | instskip(NEXT) | instid1(VALU_DEP_1)
	v_sub_nc_u32_e32 v1, v4, v1
	v_mad_u32 v2, v1, s14, v2
	v_mad_u32 v3, v1, s15, v3
.LBB141_99:
	s_wait_loadcnt 0x0
	global_load_b64 v[4:5], v3, s[6:7]
	s_and_not1_b32 vcc_lo, exec_lo, s9
	s_cbranch_vccnz .LBB141_109
; %bb.100:
	s_wait_loadcnt 0x0
	v_cmp_neq_f32_e32 vcc_lo, s16, v4
	v_cmp_neq_f32_e64 s0, s17, v5
	s_or_b32 s24, vcc_lo, s0
	s_cbranch_execnz .LBB141_102
.LBB141_101:
	s_wait_loadcnt 0x0
	v_cmp_eq_f32_e32 vcc_lo, s16, v4
	v_cmp_eq_f32_e64 s0, s17, v5
	s_and_not1_b32 s24, s24, exec_lo
	s_and_b32 s0, vcc_lo, s0
	s_delay_alu instid0(SALU_CYCLE_1) | instskip(NEXT) | instid1(SALU_CYCLE_1)
	s_and_b32 s0, s0, exec_lo
	s_or_b32 s24, s24, s0
.LBB141_102:
	s_delay_alu instid0(SALU_CYCLE_1) | instskip(SKIP_4) | instid1(SALU_CYCLE_1)
	v_cndmask_b32_e64 v1, 0, 1, s24
	v_add_nc_u32_e32 v0, 0x80, v0
	global_store_b8 v2, v1, s[4:5]
	s_wait_xcnt 0x0
	s_or_b32 exec_lo, exec_lo, s39
	s_mov_b32 s39, exec_lo
	v_cmpx_gt_i32_e64 s36, v0
	s_cbranch_execz .LBB141_7
.LBB141_103:
	s_and_not1_b32 vcc_lo, exec_lo, s33
	s_cbranch_vccnz .LBB141_108
; %bb.104:
	s_and_not1_b32 vcc_lo, exec_lo, s38
	s_cbranch_vccnz .LBB141_110
; %bb.105:
	s_add_co_i32 s0, s37, 1
	s_cmp_eq_u32 s31, 2
	s_cbranch_scc1 .LBB141_111
; %bb.106:
	v_dual_mov_b32 v2, 0 :: v_dual_mov_b32 v3, 0
	v_mov_b32_e32 v1, v0
	s_and_b32 s24, s0, 28
	s_mov_b32 s25, 0
	s_mov_b64 s[26:27], s[2:3]
	s_mov_b64 s[28:29], s[22:23]
.LBB141_107:                            ; =>This Inner Loop Header: Depth=1
	s_clause 0x1
	s_load_b256 s[40:47], s[26:27], 0x4
	s_load_b128 s[56:59], s[26:27], 0x24
	s_load_b256 s[48:55], s[28:29], 0x0
	s_add_co_i32 s25, s25, 4
	s_wait_xcnt 0x0
	s_add_nc_u64 s[26:27], s[26:27], 48
	s_cmp_eq_u32 s24, s25
	s_add_nc_u64 s[28:29], s[28:29], 32
	s_wait_loadcnt 0x0
	s_wait_kmcnt 0x0
	v_mul_hi_u32 v4, s41, v1
	s_delay_alu instid0(VALU_DEP_1) | instskip(NEXT) | instid1(VALU_DEP_1)
	v_add_nc_u32_e32 v4, v1, v4
	v_lshrrev_b32_e32 v4, s42, v4
	s_delay_alu instid0(VALU_DEP_1) | instskip(NEXT) | instid1(VALU_DEP_1)
	v_mul_hi_u32 v5, s44, v4
	v_add_nc_u32_e32 v5, v4, v5
	s_delay_alu instid0(VALU_DEP_1) | instskip(NEXT) | instid1(VALU_DEP_1)
	v_lshrrev_b32_e32 v5, s45, v5
	v_mul_hi_u32 v6, s47, v5
	s_delay_alu instid0(VALU_DEP_1) | instskip(SKIP_1) | instid1(VALU_DEP_1)
	v_add_nc_u32_e32 v6, v5, v6
	v_mul_lo_u32 v7, v4, s40
	v_sub_nc_u32_e32 v1, v1, v7
	v_mul_lo_u32 v7, v5, s43
	s_delay_alu instid0(VALU_DEP_4) | instskip(NEXT) | instid1(VALU_DEP_3)
	v_lshrrev_b32_e32 v6, s56, v6
	v_mad_u32 v3, v1, s49, v3
	v_mad_u32 v1, v1, s48, v2
	s_delay_alu instid0(VALU_DEP_4) | instskip(NEXT) | instid1(VALU_DEP_4)
	v_sub_nc_u32_e32 v2, v4, v7
	v_mul_hi_u32 v8, s58, v6
	v_mul_lo_u32 v4, v6, s46
	s_delay_alu instid0(VALU_DEP_3) | instskip(SKIP_1) | instid1(VALU_DEP_4)
	v_mad_u32 v3, v2, s51, v3
	v_mad_u32 v2, v2, s50, v1
	v_add_nc_u32_e32 v7, v6, v8
	s_delay_alu instid0(VALU_DEP_1) | instskip(NEXT) | instid1(VALU_DEP_1)
	v_dual_sub_nc_u32 v4, v5, v4 :: v_dual_lshrrev_b32 v1, s59, v7
	v_mad_u32 v3, v4, s53, v3
	s_delay_alu instid0(VALU_DEP_4) | instskip(NEXT) | instid1(VALU_DEP_3)
	v_mad_u32 v2, v4, s52, v2
	v_mul_lo_u32 v5, v1, s57
	s_delay_alu instid0(VALU_DEP_1) | instskip(NEXT) | instid1(VALU_DEP_1)
	v_sub_nc_u32_e32 v4, v6, v5
	v_mad_u32 v3, v4, s55, v3
	s_delay_alu instid0(VALU_DEP_4)
	v_mad_u32 v2, v4, s54, v2
	s_cbranch_scc0 .LBB141_107
	s_branch .LBB141_112
.LBB141_108:
                                        ; implicit-def: $vgpr3
	s_branch .LBB141_116
.LBB141_109:
                                        ; implicit-def: $sgpr24
	s_branch .LBB141_101
.LBB141_110:
	v_dual_mov_b32 v3, 0 :: v_dual_mov_b32 v2, 0
	s_branch .LBB141_115
.LBB141_111:
	v_mov_b64_e32 v[2:3], 0
	v_mov_b32_e32 v1, v0
	s_mov_b32 s24, 0
.LBB141_112:
	s_and_b32 s0, s0, 3
	s_mov_b32 s25, 0
	s_cmp_eq_u32 s0, 0
	s_cbranch_scc1 .LBB141_115
; %bb.113:
	s_lshl_b32 s26, s24, 3
	s_mov_b32 s27, s25
	s_mul_u64 s[28:29], s[24:25], 12
	s_add_nc_u64 s[26:27], s[2:3], s[26:27]
	s_delay_alu instid0(SALU_CYCLE_1)
	s_add_nc_u64 s[24:25], s[26:27], 0xc4
	s_add_nc_u64 s[26:27], s[2:3], s[28:29]
.LBB141_114:                            ; =>This Inner Loop Header: Depth=1
	s_load_b96 s[40:42], s[26:27], 0x4
	s_load_b64 s[28:29], s[24:25], 0x0
	s_add_co_i32 s0, s0, -1
	s_wait_xcnt 0x0
	s_add_nc_u64 s[26:27], s[26:27], 12
	s_cmp_lg_u32 s0, 0
	s_add_nc_u64 s[24:25], s[24:25], 8
	s_wait_loadcnt 0x0
	s_wait_kmcnt 0x0
	v_mul_hi_u32 v4, s41, v1
	s_delay_alu instid0(VALU_DEP_1) | instskip(NEXT) | instid1(VALU_DEP_1)
	v_add_nc_u32_e32 v4, v1, v4
	v_lshrrev_b32_e32 v4, s42, v4
	s_delay_alu instid0(VALU_DEP_1) | instskip(NEXT) | instid1(VALU_DEP_1)
	v_mul_lo_u32 v5, v4, s40
	v_sub_nc_u32_e32 v1, v1, v5
	s_delay_alu instid0(VALU_DEP_1)
	v_mad_u32 v3, v1, s29, v3
	v_mad_u32 v2, v1, s28, v2
	v_mov_b32_e32 v1, v4
	s_cbranch_scc1 .LBB141_114
.LBB141_115:
	s_cbranch_execnz .LBB141_118
.LBB141_116:
	v_mov_b32_e32 v1, 0
	s_and_not1_b32 vcc_lo, exec_lo, s35
	s_delay_alu instid0(VALU_DEP_1) | instskip(NEXT) | instid1(VALU_DEP_1)
	v_mul_u64_e32 v[2:3], s[18:19], v[0:1]
	v_add_nc_u32_e32 v2, v0, v3
	s_wait_loadcnt 0x0
	s_delay_alu instid0(VALU_DEP_1) | instskip(NEXT) | instid1(VALU_DEP_1)
	v_lshrrev_b32_e32 v4, s10, v2
	v_mul_lo_u32 v2, v4, s8
	s_delay_alu instid0(VALU_DEP_1) | instskip(NEXT) | instid1(VALU_DEP_1)
	v_sub_nc_u32_e32 v2, v0, v2
	v_mul_lo_u32 v3, v2, s13
	v_mul_lo_u32 v2, v2, s12
	s_cbranch_vccnz .LBB141_118
; %bb.117:
	v_mov_b32_e32 v5, v1
	s_delay_alu instid0(VALU_DEP_1) | instskip(NEXT) | instid1(VALU_DEP_1)
	v_mul_u64_e32 v[6:7], s[20:21], v[4:5]
	v_add_nc_u32_e32 v1, v4, v7
	s_delay_alu instid0(VALU_DEP_1) | instskip(NEXT) | instid1(VALU_DEP_1)
	v_lshrrev_b32_e32 v1, s1, v1
	v_mul_lo_u32 v1, v1, s11
	s_delay_alu instid0(VALU_DEP_1) | instskip(NEXT) | instid1(VALU_DEP_1)
	v_sub_nc_u32_e32 v1, v4, v1
	v_mad_u32 v2, v1, s14, v2
	v_mad_u32 v3, v1, s15, v3
.LBB141_118:
	s_wait_loadcnt 0x0
	global_load_b64 v[4:5], v3, s[6:7]
	s_and_not1_b32 vcc_lo, exec_lo, s9
	s_cbranch_vccnz .LBB141_128
; %bb.119:
	s_wait_loadcnt 0x0
	v_cmp_neq_f32_e32 vcc_lo, s16, v4
	v_cmp_neq_f32_e64 s0, s17, v5
	s_or_b32 s24, vcc_lo, s0
	s_cbranch_execnz .LBB141_121
.LBB141_120:
	s_wait_loadcnt 0x0
	v_cmp_eq_f32_e32 vcc_lo, s16, v4
	v_cmp_eq_f32_e64 s0, s17, v5
	s_and_not1_b32 s24, s24, exec_lo
	s_and_b32 s0, vcc_lo, s0
	s_delay_alu instid0(SALU_CYCLE_1) | instskip(NEXT) | instid1(SALU_CYCLE_1)
	s_and_b32 s0, s0, exec_lo
	s_or_b32 s24, s24, s0
.LBB141_121:
	s_delay_alu instid0(SALU_CYCLE_1) | instskip(SKIP_4) | instid1(SALU_CYCLE_1)
	v_cndmask_b32_e64 v1, 0, 1, s24
	v_add_nc_u32_e32 v0, 0x80, v0
	global_store_b8 v2, v1, s[4:5]
	s_wait_xcnt 0x0
	s_or_b32 exec_lo, exec_lo, s39
	s_mov_b32 s39, exec_lo
	v_cmpx_gt_i32_e64 s36, v0
	s_cbranch_execz .LBB141_8
.LBB141_122:
	s_and_not1_b32 vcc_lo, exec_lo, s33
	s_cbranch_vccnz .LBB141_127
; %bb.123:
	s_and_not1_b32 vcc_lo, exec_lo, s38
	s_cbranch_vccnz .LBB141_129
; %bb.124:
	s_add_co_i32 s0, s37, 1
	s_cmp_eq_u32 s31, 2
	s_cbranch_scc1 .LBB141_130
; %bb.125:
	v_dual_mov_b32 v2, 0 :: v_dual_mov_b32 v3, 0
	v_mov_b32_e32 v1, v0
	s_and_b32 s24, s0, 28
	s_mov_b32 s25, 0
	s_mov_b64 s[26:27], s[2:3]
	s_mov_b64 s[28:29], s[22:23]
.LBB141_126:                            ; =>This Inner Loop Header: Depth=1
	s_clause 0x1
	s_load_b256 s[40:47], s[26:27], 0x4
	s_load_b128 s[56:59], s[26:27], 0x24
	s_load_b256 s[48:55], s[28:29], 0x0
	s_add_co_i32 s25, s25, 4
	s_wait_xcnt 0x0
	s_add_nc_u64 s[26:27], s[26:27], 48
	s_cmp_eq_u32 s24, s25
	s_add_nc_u64 s[28:29], s[28:29], 32
	s_wait_loadcnt 0x0
	s_wait_kmcnt 0x0
	v_mul_hi_u32 v4, s41, v1
	s_delay_alu instid0(VALU_DEP_1) | instskip(NEXT) | instid1(VALU_DEP_1)
	v_add_nc_u32_e32 v4, v1, v4
	v_lshrrev_b32_e32 v4, s42, v4
	s_delay_alu instid0(VALU_DEP_1) | instskip(NEXT) | instid1(VALU_DEP_1)
	v_mul_hi_u32 v5, s44, v4
	v_add_nc_u32_e32 v5, v4, v5
	s_delay_alu instid0(VALU_DEP_1) | instskip(NEXT) | instid1(VALU_DEP_1)
	v_lshrrev_b32_e32 v5, s45, v5
	v_mul_hi_u32 v6, s47, v5
	s_delay_alu instid0(VALU_DEP_1) | instskip(SKIP_1) | instid1(VALU_DEP_1)
	v_add_nc_u32_e32 v6, v5, v6
	v_mul_lo_u32 v7, v4, s40
	v_sub_nc_u32_e32 v1, v1, v7
	v_mul_lo_u32 v7, v5, s43
	s_delay_alu instid0(VALU_DEP_4) | instskip(NEXT) | instid1(VALU_DEP_3)
	v_lshrrev_b32_e32 v6, s56, v6
	v_mad_u32 v3, v1, s49, v3
	v_mad_u32 v1, v1, s48, v2
	s_delay_alu instid0(VALU_DEP_4) | instskip(NEXT) | instid1(VALU_DEP_4)
	v_sub_nc_u32_e32 v2, v4, v7
	v_mul_hi_u32 v8, s58, v6
	v_mul_lo_u32 v4, v6, s46
	s_delay_alu instid0(VALU_DEP_3) | instskip(SKIP_1) | instid1(VALU_DEP_4)
	v_mad_u32 v3, v2, s51, v3
	v_mad_u32 v2, v2, s50, v1
	v_add_nc_u32_e32 v7, v6, v8
	s_delay_alu instid0(VALU_DEP_1) | instskip(NEXT) | instid1(VALU_DEP_1)
	v_dual_sub_nc_u32 v4, v5, v4 :: v_dual_lshrrev_b32 v1, s59, v7
	v_mad_u32 v3, v4, s53, v3
	s_delay_alu instid0(VALU_DEP_4) | instskip(NEXT) | instid1(VALU_DEP_3)
	v_mad_u32 v2, v4, s52, v2
	v_mul_lo_u32 v5, v1, s57
	s_delay_alu instid0(VALU_DEP_1) | instskip(NEXT) | instid1(VALU_DEP_1)
	v_sub_nc_u32_e32 v4, v6, v5
	v_mad_u32 v3, v4, s55, v3
	s_delay_alu instid0(VALU_DEP_4)
	v_mad_u32 v2, v4, s54, v2
	s_cbranch_scc0 .LBB141_126
	s_branch .LBB141_131
.LBB141_127:
                                        ; implicit-def: $vgpr3
	s_branch .LBB141_135
.LBB141_128:
                                        ; implicit-def: $sgpr24
	s_branch .LBB141_120
.LBB141_129:
	v_dual_mov_b32 v3, 0 :: v_dual_mov_b32 v2, 0
	s_branch .LBB141_134
.LBB141_130:
	v_mov_b64_e32 v[2:3], 0
	v_mov_b32_e32 v1, v0
	s_mov_b32 s24, 0
.LBB141_131:
	s_and_b32 s0, s0, 3
	s_mov_b32 s25, 0
	s_cmp_eq_u32 s0, 0
	s_cbranch_scc1 .LBB141_134
; %bb.132:
	s_lshl_b32 s26, s24, 3
	s_mov_b32 s27, s25
	s_mul_u64 s[28:29], s[24:25], 12
	s_add_nc_u64 s[26:27], s[2:3], s[26:27]
	s_delay_alu instid0(SALU_CYCLE_1)
	s_add_nc_u64 s[24:25], s[26:27], 0xc4
	s_add_nc_u64 s[26:27], s[2:3], s[28:29]
.LBB141_133:                            ; =>This Inner Loop Header: Depth=1
	s_load_b96 s[40:42], s[26:27], 0x4
	s_load_b64 s[28:29], s[24:25], 0x0
	s_add_co_i32 s0, s0, -1
	s_wait_xcnt 0x0
	s_add_nc_u64 s[26:27], s[26:27], 12
	s_cmp_lg_u32 s0, 0
	s_add_nc_u64 s[24:25], s[24:25], 8
	s_wait_loadcnt 0x0
	s_wait_kmcnt 0x0
	v_mul_hi_u32 v4, s41, v1
	s_delay_alu instid0(VALU_DEP_1) | instskip(NEXT) | instid1(VALU_DEP_1)
	v_add_nc_u32_e32 v4, v1, v4
	v_lshrrev_b32_e32 v4, s42, v4
	s_delay_alu instid0(VALU_DEP_1) | instskip(NEXT) | instid1(VALU_DEP_1)
	v_mul_lo_u32 v5, v4, s40
	v_sub_nc_u32_e32 v1, v1, v5
	s_delay_alu instid0(VALU_DEP_1)
	v_mad_u32 v3, v1, s29, v3
	v_mad_u32 v2, v1, s28, v2
	v_mov_b32_e32 v1, v4
	s_cbranch_scc1 .LBB141_133
.LBB141_134:
	s_cbranch_execnz .LBB141_137
.LBB141_135:
	v_mov_b32_e32 v1, 0
	s_and_not1_b32 vcc_lo, exec_lo, s35
	s_delay_alu instid0(VALU_DEP_1) | instskip(NEXT) | instid1(VALU_DEP_1)
	v_mul_u64_e32 v[2:3], s[18:19], v[0:1]
	v_add_nc_u32_e32 v2, v0, v3
	s_wait_loadcnt 0x0
	s_delay_alu instid0(VALU_DEP_1) | instskip(NEXT) | instid1(VALU_DEP_1)
	v_lshrrev_b32_e32 v4, s10, v2
	v_mul_lo_u32 v2, v4, s8
	s_delay_alu instid0(VALU_DEP_1) | instskip(NEXT) | instid1(VALU_DEP_1)
	v_sub_nc_u32_e32 v2, v0, v2
	v_mul_lo_u32 v3, v2, s13
	v_mul_lo_u32 v2, v2, s12
	s_cbranch_vccnz .LBB141_137
; %bb.136:
	v_mov_b32_e32 v5, v1
	s_delay_alu instid0(VALU_DEP_1) | instskip(NEXT) | instid1(VALU_DEP_1)
	v_mul_u64_e32 v[6:7], s[20:21], v[4:5]
	v_add_nc_u32_e32 v1, v4, v7
	s_delay_alu instid0(VALU_DEP_1) | instskip(NEXT) | instid1(VALU_DEP_1)
	v_lshrrev_b32_e32 v1, s1, v1
	v_mul_lo_u32 v1, v1, s11
	s_delay_alu instid0(VALU_DEP_1) | instskip(NEXT) | instid1(VALU_DEP_1)
	v_sub_nc_u32_e32 v1, v4, v1
	v_mad_u32 v2, v1, s14, v2
	v_mad_u32 v3, v1, s15, v3
.LBB141_137:
	s_wait_loadcnt 0x0
	global_load_b64 v[4:5], v3, s[6:7]
	s_and_not1_b32 vcc_lo, exec_lo, s9
	s_cbranch_vccnz .LBB141_147
; %bb.138:
	s_wait_loadcnt 0x0
	v_cmp_neq_f32_e32 vcc_lo, s16, v4
	v_cmp_neq_f32_e64 s0, s17, v5
	s_or_b32 s24, vcc_lo, s0
	s_cbranch_execnz .LBB141_140
.LBB141_139:
	s_wait_loadcnt 0x0
	v_cmp_eq_f32_e32 vcc_lo, s16, v4
	v_cmp_eq_f32_e64 s0, s17, v5
	s_and_not1_b32 s24, s24, exec_lo
	s_and_b32 s0, vcc_lo, s0
	s_delay_alu instid0(SALU_CYCLE_1) | instskip(NEXT) | instid1(SALU_CYCLE_1)
	s_and_b32 s0, s0, exec_lo
	s_or_b32 s24, s24, s0
.LBB141_140:
	s_delay_alu instid0(SALU_CYCLE_1) | instskip(SKIP_4) | instid1(SALU_CYCLE_1)
	v_cndmask_b32_e64 v1, 0, 1, s24
	v_add_nc_u32_e32 v0, 0x80, v0
	global_store_b8 v2, v1, s[4:5]
	s_wait_xcnt 0x0
	s_or_b32 exec_lo, exec_lo, s39
	s_mov_b32 s28, exec_lo
	v_cmpx_gt_i32_e64 s36, v0
	s_cbranch_execz .LBB141_160
.LBB141_141:
	s_and_not1_b32 vcc_lo, exec_lo, s33
	s_cbranch_vccnz .LBB141_146
; %bb.142:
	s_and_not1_b32 vcc_lo, exec_lo, s38
	s_cbranch_vccnz .LBB141_148
; %bb.143:
	s_add_co_i32 s37, s37, 1
	s_cmp_eq_u32 s31, 2
	s_cbranch_scc1 .LBB141_149
; %bb.144:
	v_dual_mov_b32 v2, 0 :: v_dual_mov_b32 v3, 0
	v_mov_b32_e32 v1, v0
	s_and_b32 s24, s37, 28
	s_mov_b32 s0, 0
	s_mov_b64 s[26:27], s[2:3]
.LBB141_145:                            ; =>This Inner Loop Header: Depth=1
	s_clause 0x1
	s_load_b256 s[40:47], s[26:27], 0x4
	s_load_b128 s[56:59], s[26:27], 0x24
	s_load_b256 s[48:55], s[22:23], 0x0
	s_add_co_i32 s0, s0, 4
	s_wait_xcnt 0x0
	s_add_nc_u64 s[26:27], s[26:27], 48
	s_cmp_eq_u32 s24, s0
	s_add_nc_u64 s[22:23], s[22:23], 32
	s_wait_loadcnt 0x0
	s_wait_kmcnt 0x0
	v_mul_hi_u32 v4, s41, v1
	s_delay_alu instid0(VALU_DEP_1) | instskip(NEXT) | instid1(VALU_DEP_1)
	v_add_nc_u32_e32 v4, v1, v4
	v_lshrrev_b32_e32 v4, s42, v4
	s_delay_alu instid0(VALU_DEP_1) | instskip(NEXT) | instid1(VALU_DEP_1)
	v_mul_hi_u32 v5, s44, v4
	v_add_nc_u32_e32 v5, v4, v5
	s_delay_alu instid0(VALU_DEP_1) | instskip(NEXT) | instid1(VALU_DEP_1)
	v_lshrrev_b32_e32 v5, s45, v5
	v_mul_hi_u32 v6, s47, v5
	s_delay_alu instid0(VALU_DEP_1) | instskip(SKIP_1) | instid1(VALU_DEP_1)
	v_add_nc_u32_e32 v6, v5, v6
	v_mul_lo_u32 v7, v4, s40
	v_sub_nc_u32_e32 v1, v1, v7
	v_mul_lo_u32 v7, v5, s43
	s_delay_alu instid0(VALU_DEP_4) | instskip(NEXT) | instid1(VALU_DEP_3)
	v_lshrrev_b32_e32 v6, s56, v6
	v_mad_u32 v3, v1, s49, v3
	v_mad_u32 v1, v1, s48, v2
	s_delay_alu instid0(VALU_DEP_4) | instskip(NEXT) | instid1(VALU_DEP_4)
	v_sub_nc_u32_e32 v2, v4, v7
	v_mul_hi_u32 v8, s58, v6
	v_mul_lo_u32 v4, v6, s46
	s_delay_alu instid0(VALU_DEP_3) | instskip(SKIP_1) | instid1(VALU_DEP_4)
	v_mad_u32 v3, v2, s51, v3
	v_mad_u32 v2, v2, s50, v1
	v_add_nc_u32_e32 v7, v6, v8
	s_delay_alu instid0(VALU_DEP_1) | instskip(NEXT) | instid1(VALU_DEP_1)
	v_dual_sub_nc_u32 v4, v5, v4 :: v_dual_lshrrev_b32 v1, s59, v7
	v_mad_u32 v3, v4, s53, v3
	s_delay_alu instid0(VALU_DEP_4) | instskip(NEXT) | instid1(VALU_DEP_3)
	v_mad_u32 v2, v4, s52, v2
	v_mul_lo_u32 v5, v1, s57
	s_delay_alu instid0(VALU_DEP_1) | instskip(NEXT) | instid1(VALU_DEP_1)
	v_sub_nc_u32_e32 v4, v6, v5
	v_mad_u32 v3, v4, s55, v3
	s_delay_alu instid0(VALU_DEP_4)
	v_mad_u32 v2, v4, s54, v2
	s_cbranch_scc0 .LBB141_145
	s_branch .LBB141_150
.LBB141_146:
                                        ; implicit-def: $vgpr3
	s_branch .LBB141_154
.LBB141_147:
                                        ; implicit-def: $sgpr24
	s_branch .LBB141_139
.LBB141_148:
	v_dual_mov_b32 v3, 0 :: v_dual_mov_b32 v2, 0
	s_branch .LBB141_153
.LBB141_149:
	v_mov_b64_e32 v[2:3], 0
	v_mov_b32_e32 v1, v0
	s_mov_b32 s24, 0
.LBB141_150:
	s_and_b32 s0, s37, 3
	s_mov_b32 s25, 0
	s_cmp_eq_u32 s0, 0
	s_cbranch_scc1 .LBB141_153
; %bb.151:
	s_lshl_b32 s22, s24, 3
	s_mov_b32 s23, s25
	s_mul_u64 s[24:25], s[24:25], 12
	s_add_nc_u64 s[22:23], s[2:3], s[22:23]
	s_add_nc_u64 s[24:25], s[2:3], s[24:25]
	;; [unrolled: 1-line block ×3, first 2 shown]
.LBB141_152:                            ; =>This Inner Loop Header: Depth=1
	s_load_b96 s[36:38], s[24:25], 0x4
	s_load_b64 s[26:27], s[22:23], 0x0
	s_add_co_i32 s0, s0, -1
	s_wait_xcnt 0x0
	s_add_nc_u64 s[24:25], s[24:25], 12
	s_cmp_lg_u32 s0, 0
	s_add_nc_u64 s[22:23], s[22:23], 8
	s_wait_loadcnt 0x0
	s_wait_kmcnt 0x0
	v_mul_hi_u32 v4, s37, v1
	s_delay_alu instid0(VALU_DEP_1) | instskip(NEXT) | instid1(VALU_DEP_1)
	v_add_nc_u32_e32 v4, v1, v4
	v_lshrrev_b32_e32 v4, s38, v4
	s_delay_alu instid0(VALU_DEP_1) | instskip(NEXT) | instid1(VALU_DEP_1)
	v_mul_lo_u32 v5, v4, s36
	v_sub_nc_u32_e32 v1, v1, v5
	s_delay_alu instid0(VALU_DEP_1)
	v_mad_u32 v3, v1, s27, v3
	v_mad_u32 v2, v1, s26, v2
	v_mov_b32_e32 v1, v4
	s_cbranch_scc1 .LBB141_152
.LBB141_153:
	s_cbranch_execnz .LBB141_156
.LBB141_154:
	v_mov_b32_e32 v1, 0
	s_and_not1_b32 vcc_lo, exec_lo, s35
	s_delay_alu instid0(VALU_DEP_1) | instskip(NEXT) | instid1(VALU_DEP_1)
	v_mul_u64_e32 v[2:3], s[18:19], v[0:1]
	v_add_nc_u32_e32 v2, v0, v3
	s_wait_loadcnt 0x0
	s_delay_alu instid0(VALU_DEP_1) | instskip(NEXT) | instid1(VALU_DEP_1)
	v_lshrrev_b32_e32 v4, s10, v2
	v_mul_lo_u32 v2, v4, s8
	s_delay_alu instid0(VALU_DEP_1) | instskip(NEXT) | instid1(VALU_DEP_1)
	v_sub_nc_u32_e32 v0, v0, v2
	v_mul_lo_u32 v3, v0, s13
	v_mul_lo_u32 v2, v0, s12
	s_cbranch_vccnz .LBB141_156
; %bb.155:
	v_mov_b32_e32 v5, v1
	s_delay_alu instid0(VALU_DEP_1) | instskip(NEXT) | instid1(VALU_DEP_1)
	v_mul_u64_e32 v[0:1], s[20:21], v[4:5]
	v_add_nc_u32_e32 v0, v4, v1
	s_delay_alu instid0(VALU_DEP_1) | instskip(NEXT) | instid1(VALU_DEP_1)
	v_lshrrev_b32_e32 v0, s1, v0
	v_mul_lo_u32 v0, v0, s11
	s_delay_alu instid0(VALU_DEP_1) | instskip(NEXT) | instid1(VALU_DEP_1)
	v_sub_nc_u32_e32 v0, v4, v0
	v_mad_u32 v2, v0, s14, v2
	v_mad_u32 v3, v0, s15, v3
.LBB141_156:
	global_load_b64 v[0:1], v3, s[6:7]
	s_and_not1_b32 vcc_lo, exec_lo, s9
	s_cbranch_vccnz .LBB141_170
; %bb.157:
	s_wait_loadcnt 0x0
	v_cmp_neq_f32_e32 vcc_lo, s16, v0
	v_cmp_neq_f32_e64 s0, s17, v1
	s_or_b32 s1, vcc_lo, s0
	s_cbranch_execnz .LBB141_159
.LBB141_158:
	s_wait_loadcnt 0x0
	v_cmp_eq_f32_e32 vcc_lo, s16, v0
	v_cmp_eq_f32_e64 s0, s17, v1
	s_and_not1_b32 s1, s1, exec_lo
	s_and_b32 s0, vcc_lo, s0
	s_delay_alu instid0(SALU_CYCLE_1) | instskip(NEXT) | instid1(SALU_CYCLE_1)
	s_and_b32 s0, s0, exec_lo
	s_or_b32 s1, s1, s0
.LBB141_159:
	s_wait_loadcnt 0x0
	v_cndmask_b32_e64 v0, 0, 1, s1
	global_store_b8 v2, v0, s[4:5]
.LBB141_160:
	s_wait_xcnt 0x0
	s_or_b32 exec_lo, exec_lo, s28
                                        ; implicit-def: $vgpr16
                                        ; implicit-def: $vgpr0
.LBB141_161:
	s_and_not1_saveexec_b32 s0, s34
	s_cbranch_execz .LBB141_168
; %bb.162:
	v_cndmask_b32_e64 v14, 0, 1, s33
	s_and_not1_b32 vcc_lo, exec_lo, s33
	s_cbranch_vccnz .LBB141_169
; %bb.163:
	s_cmp_lg_u32 s30, 0
	s_mov_b32 s8, 0
	s_cbranch_scc0 .LBB141_171
; %bb.164:
	s_min_u32 s1, s31, 15
	s_delay_alu instid0(SALU_CYCLE_1)
	s_add_co_i32 s1, s1, 1
	s_cmp_eq_u32 s31, 2
	s_cbranch_scc1 .LBB141_172
; %bb.165:
	v_dual_mov_b32 v2, 0 :: v_dual_mov_b32 v3, 0
	v_mov_b32_e32 v1, v0
	s_and_b32 s0, s1, 28
	s_add_nc_u64 s[4:5], s[2:3], 0xc4
	s_mov_b32 s9, 0
	s_mov_b64 s[6:7], s[2:3]
.LBB141_166:                            ; =>This Inner Loop Header: Depth=1
	s_clause 0x1
	s_load_b256 s[12:19], s[6:7], 0x4
	s_load_b128 s[36:39], s[6:7], 0x24
	s_load_b256 s[20:27], s[4:5], 0x0
	s_add_co_i32 s9, s9, 4
	s_wait_xcnt 0x0
	s_add_nc_u64 s[6:7], s[6:7], 48
	s_cmp_lg_u32 s0, s9
	s_add_nc_u64 s[4:5], s[4:5], 32
	s_wait_loadcnt 0x0
	s_wait_kmcnt 0x0
	v_mul_hi_u32 v4, s13, v1
	s_delay_alu instid0(VALU_DEP_1) | instskip(NEXT) | instid1(VALU_DEP_1)
	v_add_nc_u32_e32 v4, v1, v4
	v_lshrrev_b32_e32 v4, s14, v4
	s_delay_alu instid0(VALU_DEP_1) | instskip(NEXT) | instid1(VALU_DEP_1)
	v_mul_hi_u32 v5, s16, v4
	v_add_nc_u32_e32 v5, v4, v5
	s_delay_alu instid0(VALU_DEP_1) | instskip(NEXT) | instid1(VALU_DEP_1)
	v_lshrrev_b32_e32 v5, s17, v5
	v_mul_hi_u32 v6, s19, v5
	s_delay_alu instid0(VALU_DEP_1) | instskip(SKIP_1) | instid1(VALU_DEP_1)
	v_add_nc_u32_e32 v6, v5, v6
	v_mul_lo_u32 v7, v4, s12
	v_sub_nc_u32_e32 v1, v1, v7
	v_mul_lo_u32 v7, v5, s15
	s_delay_alu instid0(VALU_DEP_4) | instskip(NEXT) | instid1(VALU_DEP_3)
	v_lshrrev_b32_e32 v6, s36, v6
	v_mad_u32 v3, v1, s21, v3
	v_mad_u32 v1, v1, s20, v2
	s_delay_alu instid0(VALU_DEP_4) | instskip(NEXT) | instid1(VALU_DEP_4)
	v_sub_nc_u32_e32 v2, v4, v7
	v_mul_hi_u32 v8, s38, v6
	v_mul_lo_u32 v4, v6, s18
	s_delay_alu instid0(VALU_DEP_3) | instskip(SKIP_1) | instid1(VALU_DEP_4)
	v_mad_u32 v3, v2, s23, v3
	v_mad_u32 v2, v2, s22, v1
	v_add_nc_u32_e32 v7, v6, v8
	s_delay_alu instid0(VALU_DEP_1) | instskip(NEXT) | instid1(VALU_DEP_1)
	v_dual_sub_nc_u32 v4, v5, v4 :: v_dual_lshrrev_b32 v1, s39, v7
	v_mad_u32 v3, v4, s25, v3
	s_delay_alu instid0(VALU_DEP_4) | instskip(NEXT) | instid1(VALU_DEP_3)
	v_mad_u32 v2, v4, s24, v2
	v_mul_lo_u32 v5, v1, s37
	s_delay_alu instid0(VALU_DEP_1) | instskip(NEXT) | instid1(VALU_DEP_1)
	v_sub_nc_u32_e32 v4, v6, v5
	v_mad_u32 v3, v4, s27, v3
	s_delay_alu instid0(VALU_DEP_4)
	v_mad_u32 v2, v4, s26, v2
	s_cbranch_scc1 .LBB141_166
; %bb.167:
	s_and_b32 s6, s1, 3
	s_mov_b32 s1, 0
	s_cmp_eq_u32 s6, 0
	s_cbranch_scc0 .LBB141_173
	s_branch .LBB141_175
.LBB141_168:
	s_endpgm
.LBB141_169:
	s_mov_b32 s8, -1
                                        ; implicit-def: $vgpr3
	s_branch .LBB141_175
.LBB141_170:
                                        ; implicit-def: $sgpr1
	s_branch .LBB141_158
.LBB141_171:
	v_dual_mov_b32 v3, 0 :: v_dual_mov_b32 v2, 0
	s_branch .LBB141_175
.LBB141_172:
	v_mov_b64_e32 v[2:3], 0
	v_mov_b32_e32 v1, v0
	s_mov_b32 s0, 0
	s_and_b32 s6, s1, 3
	s_mov_b32 s1, 0
	s_cmp_eq_u32 s6, 0
	s_cbranch_scc1 .LBB141_175
.LBB141_173:
	s_lshl_b32 s4, s0, 3
	s_mov_b32 s5, s1
	s_mul_u64 s[10:11], s[0:1], 12
	s_add_nc_u64 s[4:5], s[2:3], s[4:5]
	s_delay_alu instid0(SALU_CYCLE_1)
	s_add_nc_u64 s[0:1], s[4:5], 0xc4
	s_add_nc_u64 s[4:5], s[2:3], s[10:11]
.LBB141_174:                            ; =>This Inner Loop Header: Depth=1
	s_load_b96 s[12:14], s[4:5], 0x4
	s_load_b64 s[10:11], s[0:1], 0x0
	s_add_co_i32 s6, s6, -1
	s_wait_xcnt 0x0
	s_add_nc_u64 s[4:5], s[4:5], 12
	s_cmp_lg_u32 s6, 0
	s_add_nc_u64 s[0:1], s[0:1], 8
	s_wait_loadcnt 0x0
	s_wait_kmcnt 0x0
	v_mul_hi_u32 v4, s13, v1
	s_delay_alu instid0(VALU_DEP_1) | instskip(NEXT) | instid1(VALU_DEP_1)
	v_add_nc_u32_e32 v4, v1, v4
	v_lshrrev_b32_e32 v4, s14, v4
	s_delay_alu instid0(VALU_DEP_1) | instskip(NEXT) | instid1(VALU_DEP_1)
	v_mul_lo_u32 v5, v4, s12
	v_sub_nc_u32_e32 v1, v1, v5
	s_delay_alu instid0(VALU_DEP_1)
	v_mad_u32 v3, v1, s11, v3
	v_mad_u32 v2, v1, s10, v2
	v_mov_b32_e32 v1, v4
	s_cbranch_scc1 .LBB141_174
.LBB141_175:
	s_and_not1_b32 vcc_lo, exec_lo, s8
	s_cbranch_vccnz .LBB141_178
; %bb.176:
	s_clause 0x1
	s_load_b96 s[4:6], s[2:3], 0x4
	s_load_b64 s[0:1], s[2:3], 0xc4
	s_cmp_lt_u32 s30, 2
	s_wait_kmcnt 0x0
	v_mul_hi_u32 v1, s5, v0
	s_delay_alu instid0(VALU_DEP_1) | instskip(NEXT) | instid1(VALU_DEP_1)
	v_add_nc_u32_e32 v1, v0, v1
	v_lshrrev_b32_e32 v1, s6, v1
	s_delay_alu instid0(VALU_DEP_1) | instskip(NEXT) | instid1(VALU_DEP_1)
	v_mul_lo_u32 v2, v1, s4
	v_sub_nc_u32_e32 v2, v0, v2
	s_delay_alu instid0(VALU_DEP_1)
	v_mul_lo_u32 v3, v2, s1
	v_mul_lo_u32 v2, v2, s0
	s_cbranch_scc1 .LBB141_178
; %bb.177:
	s_clause 0x1
	s_load_b96 s[4:6], s[2:3], 0x10
	s_load_b64 s[0:1], s[2:3], 0xcc
	s_wait_loadcnt 0x0
	s_wait_kmcnt 0x0
	v_mul_hi_u32 v4, s5, v1
	s_delay_alu instid0(VALU_DEP_1) | instskip(NEXT) | instid1(VALU_DEP_1)
	v_add_nc_u32_e32 v4, v1, v4
	v_lshrrev_b32_e32 v4, s6, v4
	s_delay_alu instid0(VALU_DEP_1) | instskip(NEXT) | instid1(VALU_DEP_1)
	v_mul_lo_u32 v4, v4, s4
	v_sub_nc_u32_e32 v1, v1, v4
	s_delay_alu instid0(VALU_DEP_1)
	v_mad_u32 v2, v1, s0, v2
	v_mad_u32 v3, v1, s1, v3
.LBB141_178:
	v_cmp_ne_u32_e32 vcc_lo, 1, v14
	v_add_nc_u32_e32 v1, 0x80, v0
	s_cbranch_vccnz .LBB141_184
; %bb.179:
	s_cmp_lg_u32 s30, 0
	s_mov_b32 s8, 0
	s_cbranch_scc0 .LBB141_185
; %bb.180:
	s_min_u32 s1, s31, 15
	s_delay_alu instid0(SALU_CYCLE_1)
	s_add_co_i32 s1, s1, 1
	s_cmp_eq_u32 s31, 2
	s_cbranch_scc1 .LBB141_186
; %bb.181:
	s_wait_loadcnt 0x0
	v_dual_mov_b32 v4, 0 :: v_dual_mov_b32 v5, 0
	v_mov_b32_e32 v6, v1
	s_and_b32 s0, s1, 28
	s_add_nc_u64 s[4:5], s[2:3], 0xc4
	s_mov_b32 s9, 0
	s_mov_b64 s[6:7], s[2:3]
.LBB141_182:                            ; =>This Inner Loop Header: Depth=1
	s_clause 0x1
	s_load_b256 s[12:19], s[6:7], 0x4
	s_load_b128 s[36:39], s[6:7], 0x24
	s_load_b256 s[20:27], s[4:5], 0x0
	s_add_co_i32 s9, s9, 4
	s_wait_xcnt 0x0
	s_add_nc_u64 s[6:7], s[6:7], 48
	s_cmp_lg_u32 s0, s9
	s_add_nc_u64 s[4:5], s[4:5], 32
	s_wait_kmcnt 0x0
	v_mul_hi_u32 v7, s13, v6
	s_delay_alu instid0(VALU_DEP_1) | instskip(NEXT) | instid1(VALU_DEP_1)
	v_add_nc_u32_e32 v7, v6, v7
	v_lshrrev_b32_e32 v7, s14, v7
	s_delay_alu instid0(VALU_DEP_1) | instskip(NEXT) | instid1(VALU_DEP_1)
	v_mul_hi_u32 v8, s16, v7
	v_add_nc_u32_e32 v8, v7, v8
	s_delay_alu instid0(VALU_DEP_1) | instskip(NEXT) | instid1(VALU_DEP_1)
	v_lshrrev_b32_e32 v8, s17, v8
	v_mul_hi_u32 v9, s19, v8
	s_delay_alu instid0(VALU_DEP_1) | instskip(SKIP_1) | instid1(VALU_DEP_1)
	v_add_nc_u32_e32 v9, v8, v9
	v_mul_lo_u32 v10, v7, s12
	v_sub_nc_u32_e32 v6, v6, v10
	v_mul_lo_u32 v10, v8, s15
	s_delay_alu instid0(VALU_DEP_4) | instskip(NEXT) | instid1(VALU_DEP_3)
	v_lshrrev_b32_e32 v9, s36, v9
	v_mad_u32 v5, v6, s21, v5
	v_mad_u32 v4, v6, s20, v4
	s_delay_alu instid0(VALU_DEP_4) | instskip(NEXT) | instid1(VALU_DEP_4)
	v_sub_nc_u32_e32 v6, v7, v10
	v_mul_hi_u32 v11, s38, v9
	v_mul_lo_u32 v7, v9, s18
	s_delay_alu instid0(VALU_DEP_3) | instskip(SKIP_1) | instid1(VALU_DEP_4)
	v_mad_u32 v5, v6, s23, v5
	v_mad_u32 v4, v6, s22, v4
	v_add_nc_u32_e32 v10, v9, v11
	s_delay_alu instid0(VALU_DEP_1) | instskip(NEXT) | instid1(VALU_DEP_1)
	v_dual_sub_nc_u32 v7, v8, v7 :: v_dual_lshrrev_b32 v6, s39, v10
	v_mad_u32 v5, v7, s25, v5
	s_delay_alu instid0(VALU_DEP_4) | instskip(NEXT) | instid1(VALU_DEP_3)
	v_mad_u32 v4, v7, s24, v4
	v_mul_lo_u32 v8, v6, s37
	s_delay_alu instid0(VALU_DEP_1) | instskip(NEXT) | instid1(VALU_DEP_1)
	v_sub_nc_u32_e32 v7, v9, v8
	v_mad_u32 v5, v7, s27, v5
	s_delay_alu instid0(VALU_DEP_4)
	v_mad_u32 v4, v7, s26, v4
	s_cbranch_scc1 .LBB141_182
; %bb.183:
	s_and_b32 s6, s1, 3
	s_mov_b32 s1, 0
	s_cmp_eq_u32 s6, 0
	s_cbranch_scc0 .LBB141_187
	s_branch .LBB141_189
.LBB141_184:
	s_mov_b32 s8, -1
                                        ; implicit-def: $vgpr5
	s_branch .LBB141_189
.LBB141_185:
	s_wait_loadcnt 0x0
	v_dual_mov_b32 v5, 0 :: v_dual_mov_b32 v4, 0
	s_branch .LBB141_189
.LBB141_186:
	s_wait_loadcnt 0x0
	v_mov_b64_e32 v[4:5], 0
	v_mov_b32_e32 v6, v1
	s_mov_b32 s0, 0
	s_and_b32 s6, s1, 3
	s_mov_b32 s1, 0
	s_cmp_eq_u32 s6, 0
	s_cbranch_scc1 .LBB141_189
.LBB141_187:
	s_lshl_b32 s4, s0, 3
	s_mov_b32 s5, s1
	s_mul_u64 s[10:11], s[0:1], 12
	s_add_nc_u64 s[4:5], s[2:3], s[4:5]
	s_delay_alu instid0(SALU_CYCLE_1)
	s_add_nc_u64 s[0:1], s[4:5], 0xc4
	s_add_nc_u64 s[4:5], s[2:3], s[10:11]
.LBB141_188:                            ; =>This Inner Loop Header: Depth=1
	s_load_b96 s[12:14], s[4:5], 0x4
	s_load_b64 s[10:11], s[0:1], 0x0
	s_add_co_i32 s6, s6, -1
	s_wait_xcnt 0x0
	s_add_nc_u64 s[4:5], s[4:5], 12
	s_cmp_lg_u32 s6, 0
	s_add_nc_u64 s[0:1], s[0:1], 8
	s_wait_kmcnt 0x0
	v_mul_hi_u32 v7, s13, v6
	s_delay_alu instid0(VALU_DEP_1) | instskip(NEXT) | instid1(VALU_DEP_1)
	v_add_nc_u32_e32 v7, v6, v7
	v_lshrrev_b32_e32 v7, s14, v7
	s_delay_alu instid0(VALU_DEP_1) | instskip(NEXT) | instid1(VALU_DEP_1)
	v_mul_lo_u32 v8, v7, s12
	v_sub_nc_u32_e32 v6, v6, v8
	s_delay_alu instid0(VALU_DEP_1)
	v_mad_u32 v5, v6, s11, v5
	v_mad_u32 v4, v6, s10, v4
	v_mov_b32_e32 v6, v7
	s_cbranch_scc1 .LBB141_188
.LBB141_189:
	s_and_not1_b32 vcc_lo, exec_lo, s8
	s_cbranch_vccnz .LBB141_192
; %bb.190:
	s_clause 0x1
	s_load_b96 s[4:6], s[2:3], 0x4
	s_load_b64 s[0:1], s[2:3], 0xc4
	s_cmp_lt_u32 s30, 2
	s_wait_loadcnt 0x0
	s_wait_kmcnt 0x0
	v_mul_hi_u32 v4, s5, v1
	s_delay_alu instid0(VALU_DEP_1) | instskip(NEXT) | instid1(VALU_DEP_1)
	v_add_nc_u32_e32 v4, v1, v4
	v_lshrrev_b32_e32 v6, s6, v4
	s_delay_alu instid0(VALU_DEP_1) | instskip(NEXT) | instid1(VALU_DEP_1)
	v_mul_lo_u32 v4, v6, s4
	v_sub_nc_u32_e32 v1, v1, v4
	s_delay_alu instid0(VALU_DEP_1)
	v_mul_lo_u32 v5, v1, s1
	v_mul_lo_u32 v4, v1, s0
	s_cbranch_scc1 .LBB141_192
; %bb.191:
	s_clause 0x1
	s_load_b96 s[4:6], s[2:3], 0x10
	s_load_b64 s[0:1], s[2:3], 0xcc
	s_wait_kmcnt 0x0
	v_mul_hi_u32 v1, s5, v6
	s_delay_alu instid0(VALU_DEP_1) | instskip(NEXT) | instid1(VALU_DEP_1)
	v_add_nc_u32_e32 v1, v6, v1
	v_lshrrev_b32_e32 v1, s6, v1
	s_delay_alu instid0(VALU_DEP_1) | instskip(NEXT) | instid1(VALU_DEP_1)
	v_mul_lo_u32 v1, v1, s4
	v_sub_nc_u32_e32 v1, v6, v1
	s_delay_alu instid0(VALU_DEP_1)
	v_mad_u32 v4, v1, s0, v4
	v_mad_u32 v5, v1, s1, v5
.LBB141_192:
	v_cmp_ne_u32_e32 vcc_lo, 1, v14
	v_add_nc_u32_e32 v1, 0x100, v0
	s_cbranch_vccnz .LBB141_198
; %bb.193:
	s_cmp_lg_u32 s30, 0
	s_mov_b32 s8, 0
	s_cbranch_scc0 .LBB141_199
; %bb.194:
	s_min_u32 s1, s31, 15
	s_delay_alu instid0(SALU_CYCLE_1)
	s_add_co_i32 s1, s1, 1
	s_cmp_eq_u32 s31, 2
	s_cbranch_scc1 .LBB141_200
; %bb.195:
	v_dual_mov_b32 v6, 0 :: v_dual_mov_b32 v7, 0
	v_mov_b32_e32 v8, v1
	s_and_b32 s0, s1, 28
	s_add_nc_u64 s[4:5], s[2:3], 0xc4
	s_mov_b32 s9, 0
	s_mov_b64 s[6:7], s[2:3]
.LBB141_196:                            ; =>This Inner Loop Header: Depth=1
	s_clause 0x1
	s_load_b256 s[12:19], s[6:7], 0x4
	s_load_b128 s[36:39], s[6:7], 0x24
	s_load_b256 s[20:27], s[4:5], 0x0
	s_add_co_i32 s9, s9, 4
	s_wait_xcnt 0x0
	s_add_nc_u64 s[6:7], s[6:7], 48
	s_cmp_lg_u32 s0, s9
	s_add_nc_u64 s[4:5], s[4:5], 32
	s_wait_kmcnt 0x0
	v_mul_hi_u32 v9, s13, v8
	s_delay_alu instid0(VALU_DEP_1) | instskip(NEXT) | instid1(VALU_DEP_1)
	v_add_nc_u32_e32 v9, v8, v9
	v_lshrrev_b32_e32 v9, s14, v9
	s_delay_alu instid0(VALU_DEP_1) | instskip(NEXT) | instid1(VALU_DEP_1)
	v_mul_hi_u32 v10, s16, v9
	v_add_nc_u32_e32 v10, v9, v10
	s_delay_alu instid0(VALU_DEP_1) | instskip(NEXT) | instid1(VALU_DEP_1)
	v_lshrrev_b32_e32 v10, s17, v10
	v_mul_hi_u32 v11, s19, v10
	s_delay_alu instid0(VALU_DEP_1) | instskip(SKIP_1) | instid1(VALU_DEP_1)
	v_add_nc_u32_e32 v11, v10, v11
	v_mul_lo_u32 v12, v9, s12
	v_sub_nc_u32_e32 v8, v8, v12
	v_mul_lo_u32 v12, v10, s15
	s_delay_alu instid0(VALU_DEP_4) | instskip(NEXT) | instid1(VALU_DEP_3)
	v_lshrrev_b32_e32 v11, s36, v11
	v_mad_u32 v7, v8, s21, v7
	v_mad_u32 v6, v8, s20, v6
	s_delay_alu instid0(VALU_DEP_4) | instskip(NEXT) | instid1(VALU_DEP_4)
	v_sub_nc_u32_e32 v8, v9, v12
	v_mul_hi_u32 v13, s38, v11
	v_mul_lo_u32 v9, v11, s18
	s_delay_alu instid0(VALU_DEP_3) | instskip(SKIP_1) | instid1(VALU_DEP_4)
	v_mad_u32 v7, v8, s23, v7
	v_mad_u32 v6, v8, s22, v6
	v_add_nc_u32_e32 v12, v11, v13
	s_delay_alu instid0(VALU_DEP_1) | instskip(NEXT) | instid1(VALU_DEP_1)
	v_dual_sub_nc_u32 v9, v10, v9 :: v_dual_lshrrev_b32 v8, s39, v12
	v_mad_u32 v7, v9, s25, v7
	s_delay_alu instid0(VALU_DEP_4) | instskip(NEXT) | instid1(VALU_DEP_3)
	v_mad_u32 v6, v9, s24, v6
	v_mul_lo_u32 v10, v8, s37
	s_delay_alu instid0(VALU_DEP_1) | instskip(NEXT) | instid1(VALU_DEP_1)
	v_sub_nc_u32_e32 v9, v11, v10
	v_mad_u32 v7, v9, s27, v7
	s_delay_alu instid0(VALU_DEP_4)
	v_mad_u32 v6, v9, s26, v6
	s_cbranch_scc1 .LBB141_196
; %bb.197:
	s_and_b32 s6, s1, 3
	s_mov_b32 s1, 0
	s_cmp_eq_u32 s6, 0
	s_cbranch_scc0 .LBB141_201
	s_branch .LBB141_203
.LBB141_198:
	s_mov_b32 s8, -1
                                        ; implicit-def: $vgpr7
	s_branch .LBB141_203
.LBB141_199:
	v_dual_mov_b32 v7, 0 :: v_dual_mov_b32 v6, 0
	s_branch .LBB141_203
.LBB141_200:
	v_mov_b64_e32 v[6:7], 0
	v_mov_b32_e32 v8, v1
	s_mov_b32 s0, 0
	s_and_b32 s6, s1, 3
	s_mov_b32 s1, 0
	s_cmp_eq_u32 s6, 0
	s_cbranch_scc1 .LBB141_203
.LBB141_201:
	s_lshl_b32 s4, s0, 3
	s_mov_b32 s5, s1
	s_mul_u64 s[10:11], s[0:1], 12
	s_add_nc_u64 s[4:5], s[2:3], s[4:5]
	s_delay_alu instid0(SALU_CYCLE_1)
	s_add_nc_u64 s[0:1], s[4:5], 0xc4
	s_add_nc_u64 s[4:5], s[2:3], s[10:11]
.LBB141_202:                            ; =>This Inner Loop Header: Depth=1
	s_load_b96 s[12:14], s[4:5], 0x4
	s_load_b64 s[10:11], s[0:1], 0x0
	s_add_co_i32 s6, s6, -1
	s_wait_xcnt 0x0
	s_add_nc_u64 s[4:5], s[4:5], 12
	s_cmp_lg_u32 s6, 0
	s_add_nc_u64 s[0:1], s[0:1], 8
	s_wait_kmcnt 0x0
	v_mul_hi_u32 v9, s13, v8
	s_delay_alu instid0(VALU_DEP_1) | instskip(NEXT) | instid1(VALU_DEP_1)
	v_add_nc_u32_e32 v9, v8, v9
	v_lshrrev_b32_e32 v9, s14, v9
	s_delay_alu instid0(VALU_DEP_1) | instskip(NEXT) | instid1(VALU_DEP_1)
	v_mul_lo_u32 v10, v9, s12
	v_sub_nc_u32_e32 v8, v8, v10
	s_delay_alu instid0(VALU_DEP_1)
	v_mad_u32 v7, v8, s11, v7
	v_mad_u32 v6, v8, s10, v6
	v_mov_b32_e32 v8, v9
	s_cbranch_scc1 .LBB141_202
.LBB141_203:
	s_and_not1_b32 vcc_lo, exec_lo, s8
	s_cbranch_vccnz .LBB141_206
; %bb.204:
	s_clause 0x1
	s_load_b96 s[4:6], s[2:3], 0x4
	s_load_b64 s[0:1], s[2:3], 0xc4
	s_cmp_lt_u32 s30, 2
	s_wait_kmcnt 0x0
	v_mul_hi_u32 v6, s5, v1
	s_delay_alu instid0(VALU_DEP_1) | instskip(NEXT) | instid1(VALU_DEP_1)
	v_add_nc_u32_e32 v6, v1, v6
	v_lshrrev_b32_e32 v8, s6, v6
	s_delay_alu instid0(VALU_DEP_1) | instskip(NEXT) | instid1(VALU_DEP_1)
	v_mul_lo_u32 v6, v8, s4
	v_sub_nc_u32_e32 v1, v1, v6
	s_delay_alu instid0(VALU_DEP_1)
	v_mul_lo_u32 v7, v1, s1
	v_mul_lo_u32 v6, v1, s0
	s_cbranch_scc1 .LBB141_206
; %bb.205:
	s_clause 0x1
	s_load_b96 s[4:6], s[2:3], 0x10
	s_load_b64 s[0:1], s[2:3], 0xcc
	s_wait_kmcnt 0x0
	v_mul_hi_u32 v1, s5, v8
	s_delay_alu instid0(VALU_DEP_1) | instskip(NEXT) | instid1(VALU_DEP_1)
	v_add_nc_u32_e32 v1, v8, v1
	v_lshrrev_b32_e32 v1, s6, v1
	s_delay_alu instid0(VALU_DEP_1) | instskip(NEXT) | instid1(VALU_DEP_1)
	v_mul_lo_u32 v1, v1, s4
	v_sub_nc_u32_e32 v1, v8, v1
	s_delay_alu instid0(VALU_DEP_1)
	v_mad_u32 v6, v1, s0, v6
	v_mad_u32 v7, v1, s1, v7
.LBB141_206:
	v_cmp_ne_u32_e32 vcc_lo, 1, v14
	v_add_nc_u32_e32 v1, 0x180, v0
	s_cbranch_vccnz .LBB141_212
; %bb.207:
	s_cmp_lg_u32 s30, 0
	s_mov_b32 s8, 0
	s_cbranch_scc0 .LBB141_213
; %bb.208:
	s_min_u32 s1, s31, 15
	s_delay_alu instid0(SALU_CYCLE_1)
	s_add_co_i32 s1, s1, 1
	s_cmp_eq_u32 s31, 2
	s_cbranch_scc1 .LBB141_214
; %bb.209:
	v_dual_mov_b32 v8, 0 :: v_dual_mov_b32 v9, 0
	v_mov_b32_e32 v10, v1
	s_and_b32 s0, s1, 28
	s_add_nc_u64 s[4:5], s[2:3], 0xc4
	s_mov_b32 s9, 0
	s_mov_b64 s[6:7], s[2:3]
.LBB141_210:                            ; =>This Inner Loop Header: Depth=1
	s_clause 0x1
	s_load_b256 s[12:19], s[6:7], 0x4
	s_load_b128 s[36:39], s[6:7], 0x24
	s_load_b256 s[20:27], s[4:5], 0x0
	s_add_co_i32 s9, s9, 4
	s_wait_xcnt 0x0
	s_add_nc_u64 s[6:7], s[6:7], 48
	s_cmp_lg_u32 s0, s9
	s_add_nc_u64 s[4:5], s[4:5], 32
	s_wait_kmcnt 0x0
	v_mul_hi_u32 v11, s13, v10
	s_delay_alu instid0(VALU_DEP_1) | instskip(NEXT) | instid1(VALU_DEP_1)
	v_add_nc_u32_e32 v11, v10, v11
	v_lshrrev_b32_e32 v11, s14, v11
	s_delay_alu instid0(VALU_DEP_1) | instskip(NEXT) | instid1(VALU_DEP_1)
	v_mul_hi_u32 v12, s16, v11
	v_add_nc_u32_e32 v12, v11, v12
	s_delay_alu instid0(VALU_DEP_1) | instskip(NEXT) | instid1(VALU_DEP_1)
	v_lshrrev_b32_e32 v12, s17, v12
	v_mul_hi_u32 v13, s19, v12
	s_delay_alu instid0(VALU_DEP_1) | instskip(SKIP_1) | instid1(VALU_DEP_1)
	v_add_nc_u32_e32 v13, v12, v13
	v_mul_lo_u32 v15, v11, s12
	v_sub_nc_u32_e32 v10, v10, v15
	v_mul_lo_u32 v15, v12, s15
	s_delay_alu instid0(VALU_DEP_4) | instskip(NEXT) | instid1(VALU_DEP_3)
	v_lshrrev_b32_e32 v13, s36, v13
	v_mad_u32 v9, v10, s21, v9
	v_mad_u32 v8, v10, s20, v8
	s_delay_alu instid0(VALU_DEP_4) | instskip(NEXT) | instid1(VALU_DEP_4)
	v_sub_nc_u32_e32 v10, v11, v15
	v_mul_hi_u32 v17, s38, v13
	v_mul_lo_u32 v11, v13, s18
	s_delay_alu instid0(VALU_DEP_3) | instskip(SKIP_1) | instid1(VALU_DEP_3)
	v_mad_u32 v9, v10, s23, v9
	v_mad_u32 v8, v10, s22, v8
	v_dual_add_nc_u32 v15, v13, v17 :: v_dual_sub_nc_u32 v11, v12, v11
	s_delay_alu instid0(VALU_DEP_1) | instskip(NEXT) | instid1(VALU_DEP_2)
	v_lshrrev_b32_e32 v10, s39, v15
	v_mad_u32 v9, v11, s25, v9
	s_delay_alu instid0(VALU_DEP_4) | instskip(NEXT) | instid1(VALU_DEP_3)
	v_mad_u32 v8, v11, s24, v8
	v_mul_lo_u32 v12, v10, s37
	s_delay_alu instid0(VALU_DEP_1) | instskip(NEXT) | instid1(VALU_DEP_1)
	v_sub_nc_u32_e32 v11, v13, v12
	v_mad_u32 v9, v11, s27, v9
	s_delay_alu instid0(VALU_DEP_4)
	v_mad_u32 v8, v11, s26, v8
	s_cbranch_scc1 .LBB141_210
; %bb.211:
	s_and_b32 s6, s1, 3
	s_mov_b32 s1, 0
	s_cmp_eq_u32 s6, 0
	s_cbranch_scc0 .LBB141_215
	s_branch .LBB141_217
.LBB141_212:
	s_mov_b32 s8, -1
                                        ; implicit-def: $vgpr9
	s_branch .LBB141_217
.LBB141_213:
	v_dual_mov_b32 v9, 0 :: v_dual_mov_b32 v8, 0
	s_branch .LBB141_217
.LBB141_214:
	v_mov_b64_e32 v[8:9], 0
	v_mov_b32_e32 v10, v1
	s_mov_b32 s0, 0
	s_and_b32 s6, s1, 3
	s_mov_b32 s1, 0
	s_cmp_eq_u32 s6, 0
	s_cbranch_scc1 .LBB141_217
.LBB141_215:
	s_lshl_b32 s4, s0, 3
	s_mov_b32 s5, s1
	s_mul_u64 s[10:11], s[0:1], 12
	s_add_nc_u64 s[4:5], s[2:3], s[4:5]
	s_delay_alu instid0(SALU_CYCLE_1)
	s_add_nc_u64 s[0:1], s[4:5], 0xc4
	s_add_nc_u64 s[4:5], s[2:3], s[10:11]
.LBB141_216:                            ; =>This Inner Loop Header: Depth=1
	s_load_b96 s[12:14], s[4:5], 0x4
	s_load_b64 s[10:11], s[0:1], 0x0
	s_add_co_i32 s6, s6, -1
	s_wait_xcnt 0x0
	s_add_nc_u64 s[4:5], s[4:5], 12
	s_cmp_lg_u32 s6, 0
	s_add_nc_u64 s[0:1], s[0:1], 8
	s_wait_kmcnt 0x0
	v_mul_hi_u32 v11, s13, v10
	s_delay_alu instid0(VALU_DEP_1) | instskip(NEXT) | instid1(VALU_DEP_1)
	v_add_nc_u32_e32 v11, v10, v11
	v_lshrrev_b32_e32 v11, s14, v11
	s_delay_alu instid0(VALU_DEP_1) | instskip(NEXT) | instid1(VALU_DEP_1)
	v_mul_lo_u32 v12, v11, s12
	v_sub_nc_u32_e32 v10, v10, v12
	s_delay_alu instid0(VALU_DEP_1)
	v_mad_u32 v9, v10, s11, v9
	v_mad_u32 v8, v10, s10, v8
	v_mov_b32_e32 v10, v11
	s_cbranch_scc1 .LBB141_216
.LBB141_217:
	s_and_not1_b32 vcc_lo, exec_lo, s8
	s_cbranch_vccnz .LBB141_220
; %bb.218:
	s_clause 0x1
	s_load_b96 s[4:6], s[2:3], 0x4
	s_load_b64 s[0:1], s[2:3], 0xc4
	s_cmp_lt_u32 s30, 2
	s_wait_kmcnt 0x0
	v_mul_hi_u32 v8, s5, v1
	s_delay_alu instid0(VALU_DEP_1) | instskip(NEXT) | instid1(VALU_DEP_1)
	v_add_nc_u32_e32 v8, v1, v8
	v_lshrrev_b32_e32 v10, s6, v8
	s_delay_alu instid0(VALU_DEP_1) | instskip(NEXT) | instid1(VALU_DEP_1)
	v_mul_lo_u32 v8, v10, s4
	v_sub_nc_u32_e32 v1, v1, v8
	s_delay_alu instid0(VALU_DEP_1)
	v_mul_lo_u32 v9, v1, s1
	v_mul_lo_u32 v8, v1, s0
	s_cbranch_scc1 .LBB141_220
; %bb.219:
	s_clause 0x1
	s_load_b96 s[4:6], s[2:3], 0x10
	s_load_b64 s[0:1], s[2:3], 0xcc
	s_wait_kmcnt 0x0
	v_mul_hi_u32 v1, s5, v10
	s_delay_alu instid0(VALU_DEP_1) | instskip(NEXT) | instid1(VALU_DEP_1)
	v_add_nc_u32_e32 v1, v10, v1
	v_lshrrev_b32_e32 v1, s6, v1
	s_delay_alu instid0(VALU_DEP_1) | instskip(NEXT) | instid1(VALU_DEP_1)
	v_mul_lo_u32 v1, v1, s4
	v_sub_nc_u32_e32 v1, v10, v1
	s_delay_alu instid0(VALU_DEP_1)
	v_mad_u32 v8, v1, s0, v8
	v_mad_u32 v9, v1, s1, v9
.LBB141_220:
	v_cmp_ne_u32_e32 vcc_lo, 1, v14
	v_add_nc_u32_e32 v1, 0x200, v0
	s_cbranch_vccnz .LBB141_226
; %bb.221:
	s_cmp_lg_u32 s30, 0
	s_mov_b32 s8, 0
	s_cbranch_scc0 .LBB141_227
; %bb.222:
	s_min_u32 s1, s31, 15
	s_delay_alu instid0(SALU_CYCLE_1)
	s_add_co_i32 s1, s1, 1
	s_cmp_eq_u32 s31, 2
	s_cbranch_scc1 .LBB141_228
; %bb.223:
	v_dual_mov_b32 v10, 0 :: v_dual_mov_b32 v11, 0
	v_mov_b32_e32 v12, v1
	s_and_b32 s0, s1, 28
	s_add_nc_u64 s[4:5], s[2:3], 0xc4
	s_mov_b32 s9, 0
	s_mov_b64 s[6:7], s[2:3]
.LBB141_224:                            ; =>This Inner Loop Header: Depth=1
	s_clause 0x1
	s_load_b256 s[12:19], s[6:7], 0x4
	s_load_b128 s[36:39], s[6:7], 0x24
	s_load_b256 s[20:27], s[4:5], 0x0
	s_add_co_i32 s9, s9, 4
	s_wait_xcnt 0x0
	s_add_nc_u64 s[6:7], s[6:7], 48
	s_cmp_lg_u32 s0, s9
	s_add_nc_u64 s[4:5], s[4:5], 32
	s_wait_kmcnt 0x0
	v_mul_hi_u32 v13, s13, v12
	s_delay_alu instid0(VALU_DEP_1) | instskip(NEXT) | instid1(VALU_DEP_1)
	v_add_nc_u32_e32 v13, v12, v13
	v_lshrrev_b32_e32 v13, s14, v13
	s_delay_alu instid0(VALU_DEP_1) | instskip(NEXT) | instid1(VALU_DEP_1)
	v_mul_lo_u32 v18, v13, s12
	v_sub_nc_u32_e32 v12, v12, v18
	v_mul_hi_u32 v15, s16, v13
	s_delay_alu instid0(VALU_DEP_2) | instskip(SKIP_1) | instid1(VALU_DEP_3)
	v_mad_u32 v11, v12, s21, v11
	v_mad_u32 v10, v12, s20, v10
	v_add_nc_u32_e32 v15, v13, v15
	s_delay_alu instid0(VALU_DEP_1) | instskip(NEXT) | instid1(VALU_DEP_1)
	v_lshrrev_b32_e32 v15, s17, v15
	v_mul_hi_u32 v17, s19, v15
	v_mul_lo_u32 v18, v15, s15
	s_delay_alu instid0(VALU_DEP_1) | instskip(NEXT) | instid1(VALU_DEP_1)
	v_dual_add_nc_u32 v17, v15, v17 :: v_dual_sub_nc_u32 v12, v13, v18
	v_lshrrev_b32_e32 v17, s36, v17
	s_delay_alu instid0(VALU_DEP_2) | instskip(SKIP_1) | instid1(VALU_DEP_3)
	v_mad_u32 v11, v12, s23, v11
	v_mad_u32 v10, v12, s22, v10
	v_mul_hi_u32 v19, s38, v17
	v_mul_lo_u32 v13, v17, s18
	s_delay_alu instid0(VALU_DEP_1) | instskip(NEXT) | instid1(VALU_DEP_1)
	v_dual_add_nc_u32 v18, v17, v19 :: v_dual_sub_nc_u32 v13, v15, v13
	v_lshrrev_b32_e32 v12, s39, v18
	s_delay_alu instid0(VALU_DEP_2) | instskip(SKIP_1) | instid1(VALU_DEP_3)
	v_mad_u32 v11, v13, s25, v11
	v_mad_u32 v10, v13, s24, v10
	v_mul_lo_u32 v15, v12, s37
	s_delay_alu instid0(VALU_DEP_1) | instskip(NEXT) | instid1(VALU_DEP_1)
	v_sub_nc_u32_e32 v13, v17, v15
	v_mad_u32 v11, v13, s27, v11
	s_delay_alu instid0(VALU_DEP_4)
	v_mad_u32 v10, v13, s26, v10
	s_cbranch_scc1 .LBB141_224
; %bb.225:
	s_and_b32 s6, s1, 3
	s_mov_b32 s1, 0
	s_cmp_eq_u32 s6, 0
	s_cbranch_scc0 .LBB141_229
	s_branch .LBB141_231
.LBB141_226:
	s_mov_b32 s8, -1
                                        ; implicit-def: $vgpr11
	s_branch .LBB141_231
.LBB141_227:
	v_dual_mov_b32 v11, 0 :: v_dual_mov_b32 v10, 0
	s_branch .LBB141_231
.LBB141_228:
	v_mov_b64_e32 v[10:11], 0
	v_mov_b32_e32 v12, v1
	s_mov_b32 s0, 0
	s_and_b32 s6, s1, 3
	s_mov_b32 s1, 0
	s_cmp_eq_u32 s6, 0
	s_cbranch_scc1 .LBB141_231
.LBB141_229:
	s_lshl_b32 s4, s0, 3
	s_mov_b32 s5, s1
	s_mul_u64 s[10:11], s[0:1], 12
	s_add_nc_u64 s[4:5], s[2:3], s[4:5]
	s_delay_alu instid0(SALU_CYCLE_1)
	s_add_nc_u64 s[0:1], s[4:5], 0xc4
	s_add_nc_u64 s[4:5], s[2:3], s[10:11]
.LBB141_230:                            ; =>This Inner Loop Header: Depth=1
	s_load_b96 s[12:14], s[4:5], 0x4
	s_load_b64 s[10:11], s[0:1], 0x0
	s_add_co_i32 s6, s6, -1
	s_wait_xcnt 0x0
	s_add_nc_u64 s[4:5], s[4:5], 12
	s_cmp_lg_u32 s6, 0
	s_add_nc_u64 s[0:1], s[0:1], 8
	s_wait_kmcnt 0x0
	v_mul_hi_u32 v13, s13, v12
	s_delay_alu instid0(VALU_DEP_1) | instskip(NEXT) | instid1(VALU_DEP_1)
	v_add_nc_u32_e32 v13, v12, v13
	v_lshrrev_b32_e32 v13, s14, v13
	s_delay_alu instid0(VALU_DEP_1) | instskip(NEXT) | instid1(VALU_DEP_1)
	v_mul_lo_u32 v15, v13, s12
	v_sub_nc_u32_e32 v12, v12, v15
	s_delay_alu instid0(VALU_DEP_1)
	v_mad_u32 v11, v12, s11, v11
	v_mad_u32 v10, v12, s10, v10
	v_mov_b32_e32 v12, v13
	s_cbranch_scc1 .LBB141_230
.LBB141_231:
	s_and_not1_b32 vcc_lo, exec_lo, s8
	s_cbranch_vccnz .LBB141_234
; %bb.232:
	s_clause 0x1
	s_load_b96 s[4:6], s[2:3], 0x4
	s_load_b64 s[0:1], s[2:3], 0xc4
	s_cmp_lt_u32 s30, 2
	s_wait_kmcnt 0x0
	v_mul_hi_u32 v10, s5, v1
	s_delay_alu instid0(VALU_DEP_1) | instskip(NEXT) | instid1(VALU_DEP_1)
	v_add_nc_u32_e32 v10, v1, v10
	v_lshrrev_b32_e32 v12, s6, v10
	s_delay_alu instid0(VALU_DEP_1) | instskip(NEXT) | instid1(VALU_DEP_1)
	v_mul_lo_u32 v10, v12, s4
	v_sub_nc_u32_e32 v1, v1, v10
	s_delay_alu instid0(VALU_DEP_1)
	v_mul_lo_u32 v11, v1, s1
	v_mul_lo_u32 v10, v1, s0
	s_cbranch_scc1 .LBB141_234
; %bb.233:
	s_clause 0x1
	s_load_b96 s[4:6], s[2:3], 0x10
	s_load_b64 s[0:1], s[2:3], 0xcc
	s_wait_kmcnt 0x0
	v_mul_hi_u32 v1, s5, v12
	s_delay_alu instid0(VALU_DEP_1) | instskip(NEXT) | instid1(VALU_DEP_1)
	v_add_nc_u32_e32 v1, v12, v1
	v_lshrrev_b32_e32 v1, s6, v1
	s_delay_alu instid0(VALU_DEP_1) | instskip(NEXT) | instid1(VALU_DEP_1)
	v_mul_lo_u32 v1, v1, s4
	v_sub_nc_u32_e32 v1, v12, v1
	s_delay_alu instid0(VALU_DEP_1)
	v_mad_u32 v10, v1, s0, v10
	v_mad_u32 v11, v1, s1, v11
.LBB141_234:
	v_cmp_ne_u32_e32 vcc_lo, 1, v14
	v_add_nc_u32_e32 v1, 0x280, v0
	s_cbranch_vccnz .LBB141_240
; %bb.235:
	s_cmp_lg_u32 s30, 0
	s_mov_b32 s8, 0
	s_cbranch_scc0 .LBB141_241
; %bb.236:
	s_min_u32 s1, s31, 15
	s_delay_alu instid0(SALU_CYCLE_1)
	s_add_co_i32 s1, s1, 1
	s_cmp_eq_u32 s31, 2
	s_cbranch_scc1 .LBB141_242
; %bb.237:
	v_dual_mov_b32 v12, 0 :: v_dual_mov_b32 v13, 0
	v_mov_b32_e32 v15, v1
	s_and_b32 s0, s1, 28
	s_add_nc_u64 s[4:5], s[2:3], 0xc4
	s_mov_b32 s9, 0
	s_mov_b64 s[6:7], s[2:3]
.LBB141_238:                            ; =>This Inner Loop Header: Depth=1
	s_clause 0x1
	s_load_b256 s[12:19], s[6:7], 0x4
	s_load_b128 s[36:39], s[6:7], 0x24
	s_load_b256 s[20:27], s[4:5], 0x0
	s_add_co_i32 s9, s9, 4
	s_wait_xcnt 0x0
	s_add_nc_u64 s[6:7], s[6:7], 48
	s_cmp_lg_u32 s0, s9
	s_add_nc_u64 s[4:5], s[4:5], 32
	s_wait_kmcnt 0x0
	v_mul_hi_u32 v17, s13, v15
	s_delay_alu instid0(VALU_DEP_1) | instskip(NEXT) | instid1(VALU_DEP_1)
	v_add_nc_u32_e32 v17, v15, v17
	v_lshrrev_b32_e32 v17, s14, v17
	s_delay_alu instid0(VALU_DEP_1) | instskip(NEXT) | instid1(VALU_DEP_1)
	v_mul_hi_u32 v18, s16, v17
	v_add_nc_u32_e32 v18, v17, v18
	s_delay_alu instid0(VALU_DEP_1) | instskip(NEXT) | instid1(VALU_DEP_1)
	v_lshrrev_b32_e32 v18, s17, v18
	v_mul_hi_u32 v19, s19, v18
	s_delay_alu instid0(VALU_DEP_1) | instskip(SKIP_1) | instid1(VALU_DEP_1)
	v_add_nc_u32_e32 v19, v18, v19
	v_mul_lo_u32 v20, v17, s12
	v_sub_nc_u32_e32 v15, v15, v20
	v_mul_lo_u32 v20, v18, s15
	s_delay_alu instid0(VALU_DEP_4) | instskip(NEXT) | instid1(VALU_DEP_3)
	v_lshrrev_b32_e32 v19, s36, v19
	v_mad_u32 v13, v15, s21, v13
	v_mad_u32 v12, v15, s20, v12
	s_delay_alu instid0(VALU_DEP_4) | instskip(NEXT) | instid1(VALU_DEP_4)
	v_sub_nc_u32_e32 v15, v17, v20
	v_mul_hi_u32 v21, s38, v19
	v_mul_lo_u32 v17, v19, s18
	s_delay_alu instid0(VALU_DEP_3) | instskip(SKIP_1) | instid1(VALU_DEP_4)
	v_mad_u32 v13, v15, s23, v13
	v_mad_u32 v12, v15, s22, v12
	v_add_nc_u32_e32 v20, v19, v21
	s_delay_alu instid0(VALU_DEP_1) | instskip(NEXT) | instid1(VALU_DEP_1)
	v_dual_sub_nc_u32 v17, v18, v17 :: v_dual_lshrrev_b32 v15, s39, v20
	v_mad_u32 v13, v17, s25, v13
	s_delay_alu instid0(VALU_DEP_4) | instskip(NEXT) | instid1(VALU_DEP_3)
	v_mad_u32 v12, v17, s24, v12
	v_mul_lo_u32 v18, v15, s37
	s_delay_alu instid0(VALU_DEP_1) | instskip(NEXT) | instid1(VALU_DEP_1)
	v_sub_nc_u32_e32 v17, v19, v18
	v_mad_u32 v13, v17, s27, v13
	s_delay_alu instid0(VALU_DEP_4)
	v_mad_u32 v12, v17, s26, v12
	s_cbranch_scc1 .LBB141_238
; %bb.239:
	s_and_b32 s6, s1, 3
	s_mov_b32 s1, 0
	s_cmp_eq_u32 s6, 0
	s_cbranch_scc0 .LBB141_243
	s_branch .LBB141_245
.LBB141_240:
	s_mov_b32 s8, -1
                                        ; implicit-def: $vgpr13
	s_branch .LBB141_245
.LBB141_241:
	v_dual_mov_b32 v13, 0 :: v_dual_mov_b32 v12, 0
	s_branch .LBB141_245
.LBB141_242:
	v_mov_b64_e32 v[12:13], 0
	v_mov_b32_e32 v15, v1
	s_mov_b32 s0, 0
	s_and_b32 s6, s1, 3
	s_mov_b32 s1, 0
	s_cmp_eq_u32 s6, 0
	s_cbranch_scc1 .LBB141_245
.LBB141_243:
	s_lshl_b32 s4, s0, 3
	s_mov_b32 s5, s1
	s_mul_u64 s[10:11], s[0:1], 12
	s_add_nc_u64 s[4:5], s[2:3], s[4:5]
	s_delay_alu instid0(SALU_CYCLE_1)
	s_add_nc_u64 s[0:1], s[4:5], 0xc4
	s_add_nc_u64 s[4:5], s[2:3], s[10:11]
.LBB141_244:                            ; =>This Inner Loop Header: Depth=1
	s_load_b96 s[12:14], s[4:5], 0x4
	s_load_b64 s[10:11], s[0:1], 0x0
	s_add_co_i32 s6, s6, -1
	s_wait_xcnt 0x0
	s_add_nc_u64 s[4:5], s[4:5], 12
	s_cmp_lg_u32 s6, 0
	s_add_nc_u64 s[0:1], s[0:1], 8
	s_wait_kmcnt 0x0
	v_mul_hi_u32 v17, s13, v15
	s_delay_alu instid0(VALU_DEP_1) | instskip(NEXT) | instid1(VALU_DEP_1)
	v_add_nc_u32_e32 v17, v15, v17
	v_lshrrev_b32_e32 v17, s14, v17
	s_delay_alu instid0(VALU_DEP_1) | instskip(NEXT) | instid1(VALU_DEP_1)
	v_mul_lo_u32 v18, v17, s12
	v_sub_nc_u32_e32 v15, v15, v18
	s_delay_alu instid0(VALU_DEP_1)
	v_mad_u32 v13, v15, s11, v13
	v_mad_u32 v12, v15, s10, v12
	v_mov_b32_e32 v15, v17
	s_cbranch_scc1 .LBB141_244
.LBB141_245:
	s_and_not1_b32 vcc_lo, exec_lo, s8
	s_cbranch_vccnz .LBB141_248
; %bb.246:
	s_clause 0x1
	s_load_b96 s[4:6], s[2:3], 0x4
	s_load_b64 s[0:1], s[2:3], 0xc4
	s_cmp_lt_u32 s30, 2
	s_wait_kmcnt 0x0
	v_mul_hi_u32 v12, s5, v1
	s_delay_alu instid0(VALU_DEP_1) | instskip(NEXT) | instid1(VALU_DEP_1)
	v_add_nc_u32_e32 v12, v1, v12
	v_lshrrev_b32_e32 v15, s6, v12
	s_delay_alu instid0(VALU_DEP_1) | instskip(NEXT) | instid1(VALU_DEP_1)
	v_mul_lo_u32 v12, v15, s4
	v_sub_nc_u32_e32 v1, v1, v12
	s_delay_alu instid0(VALU_DEP_1)
	v_mul_lo_u32 v13, v1, s1
	v_mul_lo_u32 v12, v1, s0
	s_cbranch_scc1 .LBB141_248
; %bb.247:
	s_clause 0x1
	s_load_b96 s[4:6], s[2:3], 0x10
	s_load_b64 s[0:1], s[2:3], 0xcc
	s_wait_kmcnt 0x0
	v_mul_hi_u32 v1, s5, v15
	s_delay_alu instid0(VALU_DEP_1) | instskip(NEXT) | instid1(VALU_DEP_1)
	v_add_nc_u32_e32 v1, v15, v1
	v_lshrrev_b32_e32 v1, s6, v1
	s_delay_alu instid0(VALU_DEP_1) | instskip(NEXT) | instid1(VALU_DEP_1)
	v_mul_lo_u32 v1, v1, s4
	v_sub_nc_u32_e32 v1, v15, v1
	s_delay_alu instid0(VALU_DEP_1)
	v_mad_u32 v12, v1, s0, v12
	v_mad_u32 v13, v1, s1, v13
.LBB141_248:
	v_cmp_ne_u32_e32 vcc_lo, 1, v14
	v_add_nc_u32_e32 v15, 0x300, v0
	s_cbranch_vccnz .LBB141_254
; %bb.249:
	s_cmp_lg_u32 s30, 0
	s_mov_b32 s8, 0
	s_cbranch_scc0 .LBB141_255
; %bb.250:
	s_min_u32 s1, s31, 15
	s_delay_alu instid0(SALU_CYCLE_1)
	s_add_co_i32 s1, s1, 1
	s_cmp_eq_u32 s31, 2
	s_cbranch_scc1 .LBB141_256
; %bb.251:
	v_dual_mov_b32 v0, 0 :: v_dual_mov_b32 v1, 0
	v_mov_b32_e32 v17, v15
	s_and_b32 s0, s1, 28
	s_add_nc_u64 s[4:5], s[2:3], 0xc4
	s_mov_b32 s9, 0
	s_mov_b64 s[6:7], s[2:3]
.LBB141_252:                            ; =>This Inner Loop Header: Depth=1
	s_clause 0x1
	s_load_b256 s[12:19], s[6:7], 0x4
	s_load_b128 s[36:39], s[6:7], 0x24
	s_load_b256 s[20:27], s[4:5], 0x0
	s_add_co_i32 s9, s9, 4
	s_wait_xcnt 0x0
	s_add_nc_u64 s[6:7], s[6:7], 48
	s_cmp_lg_u32 s0, s9
	s_add_nc_u64 s[4:5], s[4:5], 32
	s_wait_kmcnt 0x0
	v_mul_hi_u32 v18, s13, v17
	s_delay_alu instid0(VALU_DEP_1) | instskip(NEXT) | instid1(VALU_DEP_1)
	v_add_nc_u32_e32 v18, v17, v18
	v_lshrrev_b32_e32 v18, s14, v18
	s_delay_alu instid0(VALU_DEP_1) | instskip(NEXT) | instid1(VALU_DEP_1)
	v_mul_hi_u32 v19, s16, v18
	v_add_nc_u32_e32 v19, v18, v19
	s_delay_alu instid0(VALU_DEP_1) | instskip(NEXT) | instid1(VALU_DEP_1)
	v_lshrrev_b32_e32 v19, s17, v19
	v_mul_hi_u32 v20, s19, v19
	s_delay_alu instid0(VALU_DEP_1) | instskip(SKIP_1) | instid1(VALU_DEP_1)
	v_add_nc_u32_e32 v20, v19, v20
	v_mul_lo_u32 v21, v18, s12
	v_sub_nc_u32_e32 v17, v17, v21
	v_mul_lo_u32 v21, v19, s15
	s_delay_alu instid0(VALU_DEP_4) | instskip(NEXT) | instid1(VALU_DEP_3)
	v_lshrrev_b32_e32 v20, s36, v20
	v_mad_u32 v1, v17, s21, v1
	v_mad_u32 v0, v17, s20, v0
	s_delay_alu instid0(VALU_DEP_4) | instskip(NEXT) | instid1(VALU_DEP_4)
	v_sub_nc_u32_e32 v17, v18, v21
	v_mul_hi_u32 v22, s38, v20
	v_mul_lo_u32 v18, v20, s18
	s_delay_alu instid0(VALU_DEP_3) | instskip(SKIP_1) | instid1(VALU_DEP_4)
	v_mad_u32 v1, v17, s23, v1
	v_mad_u32 v0, v17, s22, v0
	v_add_nc_u32_e32 v21, v20, v22
	s_delay_alu instid0(VALU_DEP_1) | instskip(NEXT) | instid1(VALU_DEP_1)
	v_dual_sub_nc_u32 v18, v19, v18 :: v_dual_lshrrev_b32 v17, s39, v21
	v_mad_u32 v1, v18, s25, v1
	s_delay_alu instid0(VALU_DEP_4) | instskip(NEXT) | instid1(VALU_DEP_3)
	v_mad_u32 v0, v18, s24, v0
	v_mul_lo_u32 v19, v17, s37
	s_delay_alu instid0(VALU_DEP_1) | instskip(NEXT) | instid1(VALU_DEP_1)
	v_sub_nc_u32_e32 v18, v20, v19
	v_mad_u32 v1, v18, s27, v1
	s_delay_alu instid0(VALU_DEP_4)
	v_mad_u32 v0, v18, s26, v0
	s_cbranch_scc1 .LBB141_252
; %bb.253:
	s_and_b32 s6, s1, 3
	s_mov_b32 s1, 0
	s_cmp_eq_u32 s6, 0
	s_cbranch_scc0 .LBB141_257
	s_branch .LBB141_259
.LBB141_254:
	s_mov_b32 s8, -1
                                        ; implicit-def: $vgpr1
	s_branch .LBB141_259
.LBB141_255:
	v_dual_mov_b32 v1, 0 :: v_dual_mov_b32 v0, 0
	s_branch .LBB141_259
.LBB141_256:
	v_mov_b64_e32 v[0:1], 0
	v_mov_b32_e32 v17, v15
	s_mov_b32 s0, 0
	s_and_b32 s6, s1, 3
	s_mov_b32 s1, 0
	s_cmp_eq_u32 s6, 0
	s_cbranch_scc1 .LBB141_259
.LBB141_257:
	s_lshl_b32 s4, s0, 3
	s_mov_b32 s5, s1
	s_mul_u64 s[10:11], s[0:1], 12
	s_add_nc_u64 s[4:5], s[2:3], s[4:5]
	s_delay_alu instid0(SALU_CYCLE_1)
	s_add_nc_u64 s[0:1], s[4:5], 0xc4
	s_add_nc_u64 s[4:5], s[2:3], s[10:11]
.LBB141_258:                            ; =>This Inner Loop Header: Depth=1
	s_load_b96 s[12:14], s[4:5], 0x4
	s_load_b64 s[10:11], s[0:1], 0x0
	s_add_co_i32 s6, s6, -1
	s_wait_xcnt 0x0
	s_add_nc_u64 s[4:5], s[4:5], 12
	s_cmp_lg_u32 s6, 0
	s_add_nc_u64 s[0:1], s[0:1], 8
	s_wait_kmcnt 0x0
	v_mul_hi_u32 v18, s13, v17
	s_delay_alu instid0(VALU_DEP_1) | instskip(NEXT) | instid1(VALU_DEP_1)
	v_add_nc_u32_e32 v18, v17, v18
	v_lshrrev_b32_e32 v18, s14, v18
	s_delay_alu instid0(VALU_DEP_1) | instskip(NEXT) | instid1(VALU_DEP_1)
	v_mul_lo_u32 v19, v18, s12
	v_sub_nc_u32_e32 v17, v17, v19
	s_delay_alu instid0(VALU_DEP_1)
	v_mad_u32 v1, v17, s11, v1
	v_mad_u32 v0, v17, s10, v0
	v_mov_b32_e32 v17, v18
	s_cbranch_scc1 .LBB141_258
.LBB141_259:
	s_and_not1_b32 vcc_lo, exec_lo, s8
	s_cbranch_vccnz .LBB141_262
; %bb.260:
	s_clause 0x1
	s_load_b96 s[4:6], s[2:3], 0x4
	s_load_b64 s[0:1], s[2:3], 0xc4
	s_cmp_lt_u32 s30, 2
	s_wait_kmcnt 0x0
	v_mul_hi_u32 v0, s5, v15
	s_delay_alu instid0(VALU_DEP_1) | instskip(NEXT) | instid1(VALU_DEP_1)
	v_add_nc_u32_e32 v0, v15, v0
	v_lshrrev_b32_e32 v17, s6, v0
	s_delay_alu instid0(VALU_DEP_1) | instskip(NEXT) | instid1(VALU_DEP_1)
	v_mul_lo_u32 v0, v17, s4
	v_sub_nc_u32_e32 v0, v15, v0
	s_delay_alu instid0(VALU_DEP_1)
	v_mul_lo_u32 v1, v0, s1
	v_mul_lo_u32 v0, v0, s0
	s_cbranch_scc1 .LBB141_262
; %bb.261:
	s_clause 0x1
	s_load_b96 s[4:6], s[2:3], 0x10
	s_load_b64 s[0:1], s[2:3], 0xcc
	s_wait_kmcnt 0x0
	v_mul_hi_u32 v15, s5, v17
	s_delay_alu instid0(VALU_DEP_1) | instskip(NEXT) | instid1(VALU_DEP_1)
	v_add_nc_u32_e32 v15, v17, v15
	v_lshrrev_b32_e32 v15, s6, v15
	s_delay_alu instid0(VALU_DEP_1) | instskip(NEXT) | instid1(VALU_DEP_1)
	v_mul_lo_u32 v15, v15, s4
	v_sub_nc_u32_e32 v15, v17, v15
	s_delay_alu instid0(VALU_DEP_1)
	v_mad_u32 v0, v15, s0, v0
	v_mad_u32 v1, v15, s1, v1
.LBB141_262:
	v_cmp_ne_u32_e32 vcc_lo, 1, v14
	s_cbranch_vccnz .LBB141_268
; %bb.263:
	s_cmp_lg_u32 s30, 0
	s_mov_b32 s8, 0
	s_cbranch_scc0 .LBB141_269
; %bb.264:
	s_min_u32 s1, s31, 15
	s_delay_alu instid0(SALU_CYCLE_1)
	s_add_co_i32 s1, s1, 1
	s_cmp_eq_u32 s31, 2
	s_cbranch_scc1 .LBB141_270
; %bb.265:
	v_dual_mov_b32 v14, 0 :: v_dual_mov_b32 v15, 0
	v_mov_b32_e32 v17, v16
	s_and_b32 s0, s1, 28
	s_add_nc_u64 s[4:5], s[2:3], 0xc4
	s_mov_b32 s9, 0
	s_mov_b64 s[6:7], s[2:3]
.LBB141_266:                            ; =>This Inner Loop Header: Depth=1
	s_clause 0x1
	s_load_b256 s[12:19], s[6:7], 0x4
	s_load_b128 s[36:39], s[6:7], 0x24
	s_load_b256 s[20:27], s[4:5], 0x0
	s_add_co_i32 s9, s9, 4
	s_wait_xcnt 0x0
	s_add_nc_u64 s[6:7], s[6:7], 48
	s_cmp_lg_u32 s0, s9
	s_add_nc_u64 s[4:5], s[4:5], 32
	s_wait_kmcnt 0x0
	v_mul_hi_u32 v18, s13, v17
	s_delay_alu instid0(VALU_DEP_1) | instskip(NEXT) | instid1(VALU_DEP_1)
	v_add_nc_u32_e32 v18, v17, v18
	v_lshrrev_b32_e32 v18, s14, v18
	s_delay_alu instid0(VALU_DEP_1) | instskip(NEXT) | instid1(VALU_DEP_1)
	v_mul_hi_u32 v19, s16, v18
	v_add_nc_u32_e32 v19, v18, v19
	s_delay_alu instid0(VALU_DEP_1) | instskip(NEXT) | instid1(VALU_DEP_1)
	v_lshrrev_b32_e32 v19, s17, v19
	v_mul_hi_u32 v20, s19, v19
	s_delay_alu instid0(VALU_DEP_1) | instskip(SKIP_1) | instid1(VALU_DEP_1)
	v_add_nc_u32_e32 v20, v19, v20
	v_mul_lo_u32 v21, v18, s12
	v_sub_nc_u32_e32 v17, v17, v21
	v_mul_lo_u32 v21, v19, s15
	s_delay_alu instid0(VALU_DEP_4) | instskip(NEXT) | instid1(VALU_DEP_3)
	v_lshrrev_b32_e32 v20, s36, v20
	v_mad_u32 v15, v17, s21, v15
	v_mad_u32 v14, v17, s20, v14
	s_delay_alu instid0(VALU_DEP_4) | instskip(NEXT) | instid1(VALU_DEP_4)
	v_sub_nc_u32_e32 v17, v18, v21
	v_mul_hi_u32 v22, s38, v20
	v_mul_lo_u32 v18, v20, s18
	s_delay_alu instid0(VALU_DEP_3) | instskip(SKIP_1) | instid1(VALU_DEP_4)
	v_mad_u32 v15, v17, s23, v15
	v_mad_u32 v14, v17, s22, v14
	v_add_nc_u32_e32 v21, v20, v22
	s_delay_alu instid0(VALU_DEP_1) | instskip(NEXT) | instid1(VALU_DEP_1)
	v_dual_sub_nc_u32 v18, v19, v18 :: v_dual_lshrrev_b32 v17, s39, v21
	v_mad_u32 v15, v18, s25, v15
	s_delay_alu instid0(VALU_DEP_4) | instskip(NEXT) | instid1(VALU_DEP_3)
	v_mad_u32 v14, v18, s24, v14
	v_mul_lo_u32 v19, v17, s37
	s_delay_alu instid0(VALU_DEP_1) | instskip(NEXT) | instid1(VALU_DEP_1)
	v_sub_nc_u32_e32 v18, v20, v19
	v_mad_u32 v15, v18, s27, v15
	s_delay_alu instid0(VALU_DEP_4)
	v_mad_u32 v14, v18, s26, v14
	s_cbranch_scc1 .LBB141_266
; %bb.267:
	s_and_b32 s6, s1, 3
	s_mov_b32 s1, 0
	s_cmp_eq_u32 s6, 0
	s_cbranch_scc0 .LBB141_271
	s_branch .LBB141_273
.LBB141_268:
	s_mov_b32 s8, -1
                                        ; implicit-def: $vgpr15
	s_branch .LBB141_273
.LBB141_269:
	v_dual_mov_b32 v15, 0 :: v_dual_mov_b32 v14, 0
	s_branch .LBB141_273
.LBB141_270:
	v_mov_b64_e32 v[14:15], 0
	v_mov_b32_e32 v17, v16
	s_mov_b32 s0, 0
	s_and_b32 s6, s1, 3
	s_mov_b32 s1, 0
	s_cmp_eq_u32 s6, 0
	s_cbranch_scc1 .LBB141_273
.LBB141_271:
	s_lshl_b32 s4, s0, 3
	s_mov_b32 s5, s1
	s_mul_u64 s[10:11], s[0:1], 12
	s_add_nc_u64 s[4:5], s[2:3], s[4:5]
	s_delay_alu instid0(SALU_CYCLE_1)
	s_add_nc_u64 s[0:1], s[4:5], 0xc4
	s_add_nc_u64 s[4:5], s[2:3], s[10:11]
.LBB141_272:                            ; =>This Inner Loop Header: Depth=1
	s_load_b96 s[12:14], s[4:5], 0x4
	s_load_b64 s[10:11], s[0:1], 0x0
	s_add_co_i32 s6, s6, -1
	s_wait_xcnt 0x0
	s_add_nc_u64 s[4:5], s[4:5], 12
	s_cmp_lg_u32 s6, 0
	s_add_nc_u64 s[0:1], s[0:1], 8
	s_wait_kmcnt 0x0
	v_mul_hi_u32 v18, s13, v17
	s_delay_alu instid0(VALU_DEP_1) | instskip(NEXT) | instid1(VALU_DEP_1)
	v_add_nc_u32_e32 v18, v17, v18
	v_lshrrev_b32_e32 v18, s14, v18
	s_delay_alu instid0(VALU_DEP_1) | instskip(NEXT) | instid1(VALU_DEP_1)
	v_mul_lo_u32 v19, v18, s12
	v_sub_nc_u32_e32 v17, v17, v19
	s_delay_alu instid0(VALU_DEP_1)
	v_mad_u32 v15, v17, s11, v15
	v_mad_u32 v14, v17, s10, v14
	v_mov_b32_e32 v17, v18
	s_cbranch_scc1 .LBB141_272
.LBB141_273:
	s_and_not1_b32 vcc_lo, exec_lo, s8
	s_cbranch_vccnz .LBB141_276
; %bb.274:
	s_clause 0x1
	s_load_b96 s[4:6], s[2:3], 0x4
	s_load_b64 s[0:1], s[2:3], 0xc4
	s_cmp_lt_u32 s30, 2
	s_wait_kmcnt 0x0
	v_mul_hi_u32 v14, s5, v16
	s_delay_alu instid0(VALU_DEP_1) | instskip(NEXT) | instid1(VALU_DEP_1)
	v_add_nc_u32_e32 v14, v16, v14
	v_lshrrev_b32_e32 v17, s6, v14
	s_delay_alu instid0(VALU_DEP_1) | instskip(NEXT) | instid1(VALU_DEP_1)
	v_mul_lo_u32 v14, v17, s4
	v_sub_nc_u32_e32 v14, v16, v14
	s_delay_alu instid0(VALU_DEP_1)
	v_mul_lo_u32 v15, v14, s1
	v_mul_lo_u32 v14, v14, s0
	s_cbranch_scc1 .LBB141_276
; %bb.275:
	s_clause 0x1
	s_load_b96 s[4:6], s[2:3], 0x10
	s_load_b64 s[0:1], s[2:3], 0xcc
	s_wait_kmcnt 0x0
	v_mul_hi_u32 v16, s5, v17
	s_delay_alu instid0(VALU_DEP_1) | instskip(NEXT) | instid1(VALU_DEP_1)
	v_add_nc_u32_e32 v16, v17, v16
	v_lshrrev_b32_e32 v16, s6, v16
	s_delay_alu instid0(VALU_DEP_1) | instskip(NEXT) | instid1(VALU_DEP_1)
	v_mul_lo_u32 v16, v16, s4
	v_sub_nc_u32_e32 v16, v17, v16
	s_delay_alu instid0(VALU_DEP_1)
	v_mad_u32 v14, v16, s0, v14
	v_mad_u32 v15, v16, s1, v15
.LBB141_276:
	s_clause 0x1
	s_load_b128 s[4:7], s[2:3], 0x148
	s_load_b32 s0, s[2:3], 0x158
	s_mov_b32 s9, 0
	s_wait_xcnt 0x0
	s_load_b64 s[2:3], s[2:3], 0x160
	s_wait_kmcnt 0x0
	global_load_b64 v[16:17], v3, s[6:7]
	s_cmp_lg_u32 s0, 0
	s_cselect_b32 s8, -1, 0
	s_delay_alu instid0(SALU_CYCLE_1)
	s_and_b32 vcc_lo, exec_lo, s8
	s_cbranch_vccz .LBB141_301
; %bb.277:
	s_wait_loadcnt 0x0
	v_cmp_neq_f32_e32 vcc_lo, s2, v16
	v_cmp_neq_f32_e64 s0, s3, v17
	s_or_b32 s1, vcc_lo, s0
	s_and_not1_b32 vcc_lo, exec_lo, s9
	s_cbranch_vccnz .LBB141_279
.LBB141_278:
	s_wait_loadcnt 0x0
	v_cmp_eq_f32_e32 vcc_lo, s2, v16
	v_cmp_eq_f32_e64 s0, s3, v17
	s_and_not1_b32 s1, s1, exec_lo
	s_and_b32 s0, vcc_lo, s0
	s_delay_alu instid0(SALU_CYCLE_1) | instskip(NEXT) | instid1(SALU_CYCLE_1)
	s_and_b32 s0, s0, exec_lo
	s_or_b32 s1, s1, s0
.LBB141_279:
	s_wait_loadcnt 0x0
	global_load_b64 v[16:17], v5, s[6:7]
	s_and_b32 vcc_lo, exec_lo, s8
	s_cbranch_vccz .LBB141_302
; %bb.280:
	s_wait_loadcnt 0x0
	v_cmp_neq_f32_e32 vcc_lo, s2, v16
	v_cmp_neq_f32_e64 s0, s3, v17
	s_or_b32 s9, vcc_lo, s0
	s_cbranch_execnz .LBB141_282
.LBB141_281:
	s_wait_loadcnt 0x0
	v_cmp_eq_f32_e32 vcc_lo, s2, v16
	v_cmp_eq_f32_e64 s0, s3, v17
	s_and_not1_b32 s9, s9, exec_lo
	s_and_b32 s0, vcc_lo, s0
	s_delay_alu instid0(SALU_CYCLE_1) | instskip(NEXT) | instid1(SALU_CYCLE_1)
	s_and_b32 s0, s0, exec_lo
	s_or_b32 s9, s9, s0
.LBB141_282:
	s_wait_loadcnt 0x0
	global_load_b64 v[16:17], v7, s[6:7]
	s_and_b32 vcc_lo, exec_lo, s8
	s_cbranch_vccz .LBB141_303
; %bb.283:
	s_wait_loadcnt 0x0
	v_cmp_neq_f32_e32 vcc_lo, s2, v16
	v_cmp_neq_f32_e64 s0, s3, v17
	s_or_b32 s10, vcc_lo, s0
	s_cbranch_execnz .LBB141_285
.LBB141_284:
	s_wait_loadcnt 0x0
	v_cmp_eq_f32_e32 vcc_lo, s2, v16
	v_cmp_eq_f32_e64 s0, s3, v17
	s_and_not1_b32 s10, s10, exec_lo
	s_and_b32 s0, vcc_lo, s0
	s_delay_alu instid0(SALU_CYCLE_1) | instskip(NEXT) | instid1(SALU_CYCLE_1)
	s_and_b32 s0, s0, exec_lo
	s_or_b32 s10, s10, s0
.LBB141_285:
	s_wait_loadcnt 0x0
	global_load_b64 v[16:17], v9, s[6:7]
	s_and_b32 vcc_lo, exec_lo, s8
	s_cbranch_vccz .LBB141_304
; %bb.286:
	s_wait_loadcnt 0x0
	v_cmp_neq_f32_e32 vcc_lo, s2, v16
	v_cmp_neq_f32_e64 s0, s3, v17
	s_or_b32 s11, vcc_lo, s0
	s_cbranch_execnz .LBB141_288
.LBB141_287:
	s_wait_loadcnt 0x0
	v_cmp_eq_f32_e32 vcc_lo, s2, v16
	v_cmp_eq_f32_e64 s0, s3, v17
	s_and_not1_b32 s11, s11, exec_lo
	s_and_b32 s0, vcc_lo, s0
	s_delay_alu instid0(SALU_CYCLE_1) | instskip(NEXT) | instid1(SALU_CYCLE_1)
	s_and_b32 s0, s0, exec_lo
	s_or_b32 s11, s11, s0
.LBB141_288:
	s_wait_loadcnt 0x0
	global_load_b64 v[16:17], v11, s[6:7]
	s_and_b32 vcc_lo, exec_lo, s8
	s_cbranch_vccz .LBB141_305
; %bb.289:
	s_wait_loadcnt 0x0
	v_cmp_neq_f32_e32 vcc_lo, s2, v16
	v_cmp_neq_f32_e64 s0, s3, v17
	s_or_b32 s12, vcc_lo, s0
	s_cbranch_execnz .LBB141_291
.LBB141_290:
	s_wait_loadcnt 0x0
	v_cmp_eq_f32_e32 vcc_lo, s2, v16
	v_cmp_eq_f32_e64 s0, s3, v17
	s_and_not1_b32 s12, s12, exec_lo
	s_and_b32 s0, vcc_lo, s0
	s_delay_alu instid0(SALU_CYCLE_1) | instskip(NEXT) | instid1(SALU_CYCLE_1)
	s_and_b32 s0, s0, exec_lo
	s_or_b32 s12, s12, s0
.LBB141_291:
	s_wait_loadcnt 0x0
	global_load_b64 v[16:17], v13, s[6:7]
	s_and_b32 vcc_lo, exec_lo, s8
	s_cbranch_vccz .LBB141_306
; %bb.292:
	s_wait_loadcnt 0x0
	v_cmp_neq_f32_e32 vcc_lo, s2, v16
	v_cmp_neq_f32_e64 s0, s3, v17
	s_or_b32 s13, vcc_lo, s0
	s_cbranch_execnz .LBB141_294
.LBB141_293:
	s_wait_loadcnt 0x0
	v_cmp_eq_f32_e32 vcc_lo, s2, v16
	v_cmp_eq_f32_e64 s0, s3, v17
	s_and_not1_b32 s13, s13, exec_lo
	s_and_b32 s0, vcc_lo, s0
	s_delay_alu instid0(SALU_CYCLE_1) | instskip(NEXT) | instid1(SALU_CYCLE_1)
	s_and_b32 s0, s0, exec_lo
	s_or_b32 s13, s13, s0
.LBB141_294:
	s_wait_loadcnt 0x0
	global_load_b64 v[16:17], v1, s[6:7]
	s_and_b32 vcc_lo, exec_lo, s8
	s_cbranch_vccz .LBB141_307
; %bb.295:
	s_wait_loadcnt 0x0
	v_cmp_neq_f32_e32 vcc_lo, s2, v16
	v_cmp_neq_f32_e64 s0, s3, v17
	s_or_b32 s14, vcc_lo, s0
	s_cbranch_execnz .LBB141_297
.LBB141_296:
	s_wait_loadcnt 0x0
	v_cmp_eq_f32_e32 vcc_lo, s2, v16
	v_cmp_eq_f32_e64 s0, s3, v17
	s_and_not1_b32 s14, s14, exec_lo
	s_and_b32 s0, vcc_lo, s0
	s_delay_alu instid0(SALU_CYCLE_1) | instskip(NEXT) | instid1(SALU_CYCLE_1)
	s_and_b32 s0, s0, exec_lo
	s_or_b32 s14, s14, s0
.LBB141_297:
	s_wait_loadcnt 0x0
	global_load_b64 v[16:17], v15, s[6:7]
	s_and_b32 vcc_lo, exec_lo, s8
	s_cbranch_vccz .LBB141_308
; %bb.298:
	s_wait_loadcnt 0x0
	v_cmp_neq_f32_e32 vcc_lo, s2, v16
	v_cmp_neq_f32_e64 s0, s3, v17
	s_wait_xcnt 0x0
	s_or_b32 s6, vcc_lo, s0
	s_cbranch_execnz .LBB141_300
.LBB141_299:
	s_wait_loadcnt 0x0
	v_cmp_eq_f32_e32 vcc_lo, s2, v16
	v_cmp_eq_f32_e64 s0, s3, v17
	s_and_not1_b32 s2, s6, exec_lo
	s_and_b32 s0, vcc_lo, s0
	s_delay_alu instid0(SALU_CYCLE_1)
	s_and_b32 s0, s0, exec_lo
	s_wait_xcnt 0x0
	s_or_b32 s6, s2, s0
.LBB141_300:
	s_wait_xcnt 0x5
	v_cndmask_b32_e64 v7, 0, 1, s1
	s_wait_xcnt 0x4
	v_cndmask_b32_e64 v9, 0, 1, s9
	;; [unrolled: 2-line block ×4, first 2 shown]
	v_cndmask_b32_e64 v5, 0, 1, s12
	s_wait_xcnt 0x1
	v_cndmask_b32_e64 v1, 0, 1, s14
	v_cndmask_b32_e64 v3, 0, 1, s13
	s_wait_xcnt 0x0
	v_cndmask_b32_e64 v15, 0, 1, s6
	s_clause 0x7
	global_store_b8 v2, v7, s[4:5]
	global_store_b8 v4, v9, s[4:5]
	;; [unrolled: 1-line block ×8, first 2 shown]
	s_endpgm
.LBB141_301:
                                        ; implicit-def: $sgpr1
	s_branch .LBB141_278
.LBB141_302:
                                        ; implicit-def: $sgpr9
	s_branch .LBB141_281
.LBB141_303:
                                        ; implicit-def: $sgpr10
	s_branch .LBB141_284
.LBB141_304:
                                        ; implicit-def: $sgpr11
	s_branch .LBB141_287
.LBB141_305:
                                        ; implicit-def: $sgpr12
	s_branch .LBB141_290
.LBB141_306:
                                        ; implicit-def: $sgpr13
	s_branch .LBB141_293
.LBB141_307:
                                        ; implicit-def: $sgpr14
	s_branch .LBB141_296
.LBB141_308:
                                        ; implicit-def: $sgpr6
	s_branch .LBB141_299
	.section	.rodata,"a",@progbits
	.p2align	6, 0x0
	.amdhsa_kernel _ZN2at6native32elementwise_kernel_manual_unrollILi128ELi8EZNS0_22gpu_kernel_impl_nocastINS0_13AUnaryFunctorIN3c107complexIfEES6_bNS0_12_GLOBAL__N_116CompareEqFunctorIS6_EEEEEEvRNS_18TensorIteratorBaseERKT_EUlibE_EEviT1_
		.amdhsa_group_segment_fixed_size 0
		.amdhsa_private_segment_fixed_size 0
		.amdhsa_kernarg_size 368
		.amdhsa_user_sgpr_count 2
		.amdhsa_user_sgpr_dispatch_ptr 0
		.amdhsa_user_sgpr_queue_ptr 0
		.amdhsa_user_sgpr_kernarg_segment_ptr 1
		.amdhsa_user_sgpr_dispatch_id 0
		.amdhsa_user_sgpr_kernarg_preload_length 0
		.amdhsa_user_sgpr_kernarg_preload_offset 0
		.amdhsa_user_sgpr_private_segment_size 0
		.amdhsa_wavefront_size32 1
		.amdhsa_uses_dynamic_stack 0
		.amdhsa_enable_private_segment 0
		.amdhsa_system_sgpr_workgroup_id_x 1
		.amdhsa_system_sgpr_workgroup_id_y 0
		.amdhsa_system_sgpr_workgroup_id_z 0
		.amdhsa_system_sgpr_workgroup_info 0
		.amdhsa_system_vgpr_workitem_id 0
		.amdhsa_next_free_vgpr 23
		.amdhsa_next_free_sgpr 60
		.amdhsa_named_barrier_count 0
		.amdhsa_reserve_vcc 1
		.amdhsa_float_round_mode_32 0
		.amdhsa_float_round_mode_16_64 0
		.amdhsa_float_denorm_mode_32 3
		.amdhsa_float_denorm_mode_16_64 3
		.amdhsa_fp16_overflow 0
		.amdhsa_memory_ordered 1
		.amdhsa_forward_progress 1
		.amdhsa_inst_pref_size 107
		.amdhsa_round_robin_scheduling 0
		.amdhsa_exception_fp_ieee_invalid_op 0
		.amdhsa_exception_fp_denorm_src 0
		.amdhsa_exception_fp_ieee_div_zero 0
		.amdhsa_exception_fp_ieee_overflow 0
		.amdhsa_exception_fp_ieee_underflow 0
		.amdhsa_exception_fp_ieee_inexact 0
		.amdhsa_exception_int_div_zero 0
	.end_amdhsa_kernel
	.section	.text._ZN2at6native32elementwise_kernel_manual_unrollILi128ELi8EZNS0_22gpu_kernel_impl_nocastINS0_13AUnaryFunctorIN3c107complexIfEES6_bNS0_12_GLOBAL__N_116CompareEqFunctorIS6_EEEEEEvRNS_18TensorIteratorBaseERKT_EUlibE_EEviT1_,"axG",@progbits,_ZN2at6native32elementwise_kernel_manual_unrollILi128ELi8EZNS0_22gpu_kernel_impl_nocastINS0_13AUnaryFunctorIN3c107complexIfEES6_bNS0_12_GLOBAL__N_116CompareEqFunctorIS6_EEEEEEvRNS_18TensorIteratorBaseERKT_EUlibE_EEviT1_,comdat
.Lfunc_end141:
	.size	_ZN2at6native32elementwise_kernel_manual_unrollILi128ELi8EZNS0_22gpu_kernel_impl_nocastINS0_13AUnaryFunctorIN3c107complexIfEES6_bNS0_12_GLOBAL__N_116CompareEqFunctorIS6_EEEEEEvRNS_18TensorIteratorBaseERKT_EUlibE_EEviT1_, .Lfunc_end141-_ZN2at6native32elementwise_kernel_manual_unrollILi128ELi8EZNS0_22gpu_kernel_impl_nocastINS0_13AUnaryFunctorIN3c107complexIfEES6_bNS0_12_GLOBAL__N_116CompareEqFunctorIS6_EEEEEEvRNS_18TensorIteratorBaseERKT_EUlibE_EEviT1_
                                        ; -- End function
	.set _ZN2at6native32elementwise_kernel_manual_unrollILi128ELi8EZNS0_22gpu_kernel_impl_nocastINS0_13AUnaryFunctorIN3c107complexIfEES6_bNS0_12_GLOBAL__N_116CompareEqFunctorIS6_EEEEEEvRNS_18TensorIteratorBaseERKT_EUlibE_EEviT1_.num_vgpr, 23
	.set _ZN2at6native32elementwise_kernel_manual_unrollILi128ELi8EZNS0_22gpu_kernel_impl_nocastINS0_13AUnaryFunctorIN3c107complexIfEES6_bNS0_12_GLOBAL__N_116CompareEqFunctorIS6_EEEEEEvRNS_18TensorIteratorBaseERKT_EUlibE_EEviT1_.num_agpr, 0
	.set _ZN2at6native32elementwise_kernel_manual_unrollILi128ELi8EZNS0_22gpu_kernel_impl_nocastINS0_13AUnaryFunctorIN3c107complexIfEES6_bNS0_12_GLOBAL__N_116CompareEqFunctorIS6_EEEEEEvRNS_18TensorIteratorBaseERKT_EUlibE_EEviT1_.numbered_sgpr, 60
	.set _ZN2at6native32elementwise_kernel_manual_unrollILi128ELi8EZNS0_22gpu_kernel_impl_nocastINS0_13AUnaryFunctorIN3c107complexIfEES6_bNS0_12_GLOBAL__N_116CompareEqFunctorIS6_EEEEEEvRNS_18TensorIteratorBaseERKT_EUlibE_EEviT1_.num_named_barrier, 0
	.set _ZN2at6native32elementwise_kernel_manual_unrollILi128ELi8EZNS0_22gpu_kernel_impl_nocastINS0_13AUnaryFunctorIN3c107complexIfEES6_bNS0_12_GLOBAL__N_116CompareEqFunctorIS6_EEEEEEvRNS_18TensorIteratorBaseERKT_EUlibE_EEviT1_.private_seg_size, 0
	.set _ZN2at6native32elementwise_kernel_manual_unrollILi128ELi8EZNS0_22gpu_kernel_impl_nocastINS0_13AUnaryFunctorIN3c107complexIfEES6_bNS0_12_GLOBAL__N_116CompareEqFunctorIS6_EEEEEEvRNS_18TensorIteratorBaseERKT_EUlibE_EEviT1_.uses_vcc, 1
	.set _ZN2at6native32elementwise_kernel_manual_unrollILi128ELi8EZNS0_22gpu_kernel_impl_nocastINS0_13AUnaryFunctorIN3c107complexIfEES6_bNS0_12_GLOBAL__N_116CompareEqFunctorIS6_EEEEEEvRNS_18TensorIteratorBaseERKT_EUlibE_EEviT1_.uses_flat_scratch, 0
	.set _ZN2at6native32elementwise_kernel_manual_unrollILi128ELi8EZNS0_22gpu_kernel_impl_nocastINS0_13AUnaryFunctorIN3c107complexIfEES6_bNS0_12_GLOBAL__N_116CompareEqFunctorIS6_EEEEEEvRNS_18TensorIteratorBaseERKT_EUlibE_EEviT1_.has_dyn_sized_stack, 0
	.set _ZN2at6native32elementwise_kernel_manual_unrollILi128ELi8EZNS0_22gpu_kernel_impl_nocastINS0_13AUnaryFunctorIN3c107complexIfEES6_bNS0_12_GLOBAL__N_116CompareEqFunctorIS6_EEEEEEvRNS_18TensorIteratorBaseERKT_EUlibE_EEviT1_.has_recursion, 0
	.set _ZN2at6native32elementwise_kernel_manual_unrollILi128ELi8EZNS0_22gpu_kernel_impl_nocastINS0_13AUnaryFunctorIN3c107complexIfEES6_bNS0_12_GLOBAL__N_116CompareEqFunctorIS6_EEEEEEvRNS_18TensorIteratorBaseERKT_EUlibE_EEviT1_.has_indirect_call, 0
	.section	.AMDGPU.csdata,"",@progbits
; Kernel info:
; codeLenInByte = 13676
; TotalNumSgprs: 62
; NumVgprs: 23
; ScratchSize: 0
; MemoryBound: 0
; FloatMode: 240
; IeeeMode: 1
; LDSByteSize: 0 bytes/workgroup (compile time only)
; SGPRBlocks: 0
; VGPRBlocks: 1
; NumSGPRsForWavesPerEU: 62
; NumVGPRsForWavesPerEU: 23
; NamedBarCnt: 0
; Occupancy: 16
; WaveLimiterHint : 1
; COMPUTE_PGM_RSRC2:SCRATCH_EN: 0
; COMPUTE_PGM_RSRC2:USER_SGPR: 2
; COMPUTE_PGM_RSRC2:TRAP_HANDLER: 0
; COMPUTE_PGM_RSRC2:TGID_X_EN: 1
; COMPUTE_PGM_RSRC2:TGID_Y_EN: 0
; COMPUTE_PGM_RSRC2:TGID_Z_EN: 0
; COMPUTE_PGM_RSRC2:TIDIG_COMP_CNT: 0
	.section	.text._ZN2at6native32elementwise_kernel_manual_unrollILi128ELi4EZNS0_15gpu_kernel_implINS0_13AUnaryFunctorIN3c107complexIfEES6_bNS0_12_GLOBAL__N_116CompareEqFunctorIS6_EEEEEEvRNS_18TensorIteratorBaseERKT_EUlibE_EEviT1_,"axG",@progbits,_ZN2at6native32elementwise_kernel_manual_unrollILi128ELi4EZNS0_15gpu_kernel_implINS0_13AUnaryFunctorIN3c107complexIfEES6_bNS0_12_GLOBAL__N_116CompareEqFunctorIS6_EEEEEEvRNS_18TensorIteratorBaseERKT_EUlibE_EEviT1_,comdat
	.globl	_ZN2at6native32elementwise_kernel_manual_unrollILi128ELi4EZNS0_15gpu_kernel_implINS0_13AUnaryFunctorIN3c107complexIfEES6_bNS0_12_GLOBAL__N_116CompareEqFunctorIS6_EEEEEEvRNS_18TensorIteratorBaseERKT_EUlibE_EEviT1_ ; -- Begin function _ZN2at6native32elementwise_kernel_manual_unrollILi128ELi4EZNS0_15gpu_kernel_implINS0_13AUnaryFunctorIN3c107complexIfEES6_bNS0_12_GLOBAL__N_116CompareEqFunctorIS6_EEEEEEvRNS_18TensorIteratorBaseERKT_EUlibE_EEviT1_
	.p2align	8
	.type	_ZN2at6native32elementwise_kernel_manual_unrollILi128ELi4EZNS0_15gpu_kernel_implINS0_13AUnaryFunctorIN3c107complexIfEES6_bNS0_12_GLOBAL__N_116CompareEqFunctorIS6_EEEEEEvRNS_18TensorIteratorBaseERKT_EUlibE_EEviT1_,@function
_ZN2at6native32elementwise_kernel_manual_unrollILi128ELi4EZNS0_15gpu_kernel_implINS0_13AUnaryFunctorIN3c107complexIfEES6_bNS0_12_GLOBAL__N_116CompareEqFunctorIS6_EEEEEEvRNS_18TensorIteratorBaseERKT_EUlibE_EEviT1_: ; @_ZN2at6native32elementwise_kernel_manual_unrollILi128ELi4EZNS0_15gpu_kernel_implINS0_13AUnaryFunctorIN3c107complexIfEES6_bNS0_12_GLOBAL__N_116CompareEqFunctorIS6_EEEEEEvRNS_18TensorIteratorBaseERKT_EUlibE_EEviT1_
; %bb.0:
	s_clause 0x1
	s_load_b96 s[12:14], s[0:1], 0x28
	s_load_b96 s[8:10], s[0:1], 0x18
	s_bfe_u32 s2, ttmp6, 0x4000c
	s_clause 0x1
	s_load_b32 s15, s[0:1], 0x0
	s_load_b128 s[4:7], s[0:1], 0x8
	s_add_co_i32 s2, s2, 1
	s_and_b32 s3, ttmp6, 15
	s_wait_xcnt 0x0
	s_mul_i32 s0, ttmp9, s2
	s_getreg_b32 s11, hwreg(HW_REG_IB_STS2, 6, 4)
	s_add_co_i32 s3, s3, s0
	s_mov_b32 s1, 0
	s_wait_kmcnt 0x0
	s_bfe_u32 s2, s14, 0x80008
	s_cmp_eq_u32 s11, 0
	s_mov_b32 s11, 0
	s_cselect_b32 s0, ttmp9, s3
	s_delay_alu instid0(SALU_CYCLE_1) | instskip(SKIP_1) | instid1(VALU_DEP_1)
	v_lshl_or_b32 v6, s0, 9, v0
	s_mov_b32 s0, exec_lo
	v_or_b32_e32 v0, 0x180, v6
	s_delay_alu instid0(VALU_DEP_1)
	v_cmpx_le_i32_e64 s15, v0
	s_xor_b32 s3, exec_lo, s0
	s_cbranch_execz .LBB142_1067
; %bb.1:
	s_cmp_lg_u32 s10, 0
	s_mov_b32 s19, 0
	s_cselect_b32 s11, -1, 0
	s_mov_b32 s21, -1
	s_mov_b32 s17, 0
	s_mov_b32 s16, 0
	s_mov_b32 s18, exec_lo
	v_cmpx_gt_i32_e64 s15, v6
	s_cbranch_execz .LBB142_260
; %bb.2:
	v_mul_lo_u32 v0, v6, s9
	s_and_b32 s0, 0xffff, s2
	s_delay_alu instid0(SALU_CYCLE_1) | instskip(NEXT) | instid1(VALU_DEP_1)
	s_cmp_lt_i32 s0, 11
	v_ashrrev_i32_e32 v1, 31, v0
	s_delay_alu instid0(VALU_DEP_1)
	v_add_nc_u64_e32 v[0:1], s[6:7], v[0:1]
	s_cbranch_scc1 .LBB142_9
; %bb.3:
	s_cmp_gt_i32 s0, 25
	s_cbranch_scc0 .LBB142_21
; %bb.4:
	s_cmp_gt_i32 s0, 28
	s_cbranch_scc0 .LBB142_25
; %bb.5:
	s_cmp_gt_i32 s0, 43
	s_cbranch_scc0 .LBB142_27
; %bb.6:
	s_cmp_gt_i32 s0, 45
	s_cbranch_scc0 .LBB142_29
; %bb.7:
	s_cmp_eq_u32 s0, 46
	s_mov_b32 s20, 0
	s_cbranch_scc0 .LBB142_31
; %bb.8:
	global_load_b32 v2, v[0:1], off
	s_mov_b32 s16, -1
	s_wait_loadcnt 0x0
	v_and_b32_e32 v3, 0xffff0000, v2
	v_lshlrev_b32_e32 v2, 16, v2
	s_branch .LBB142_33
.LBB142_9:
                                        ; implicit-def: $vgpr3
	s_cbranch_execnz .LBB142_208
.LBB142_10:
	s_and_not1_b32 vcc_lo, exec_lo, s16
	s_cbranch_vccnz .LBB142_257
.LBB142_11:
	s_and_b32 vcc_lo, exec_lo, s11
	s_cbranch_vccz .LBB142_24
; %bb.12:
	s_wait_loadcnt 0x0
	s_delay_alu instid0(VALU_DEP_2) | instskip(NEXT) | instid1(VALU_DEP_2)
	v_cmp_neq_f32_e32 vcc_lo, s12, v2
	v_cmp_neq_f32_e64 s0, s13, v3
	s_or_b32 s16, vcc_lo, s0
	s_cbranch_execnz .LBB142_14
.LBB142_13:
	s_wait_loadcnt 0x0
	s_delay_alu instid0(VALU_DEP_1) | instskip(NEXT) | instid1(VALU_DEP_3)
	v_cmp_eq_f32_e32 vcc_lo, s13, v3
	v_cmp_eq_f32_e64 s0, s12, v2
	s_and_not1_b32 s16, s16, exec_lo
	s_and_b32 s0, s0, vcc_lo
	s_delay_alu instid0(SALU_CYCLE_1) | instskip(NEXT) | instid1(SALU_CYCLE_1)
	s_and_b32 s0, s0, exec_lo
	s_or_b32 s16, s16, s0
.LBB142_14:
	s_wait_xcnt 0x0
	v_mul_lo_u32 v0, v6, s8
	s_and_b32 s20, s14, 0xff
	s_delay_alu instid0(SALU_CYCLE_1) | instskip(NEXT) | instid1(VALU_DEP_1)
	s_cmp_lt_i32 s20, 11
	v_ashrrev_i32_e32 v1, 31, v0
	s_delay_alu instid0(VALU_DEP_1)
	v_add_nc_u64_e32 v[0:1], s[4:5], v[0:1]
	s_cbranch_scc1 .LBB142_22
; %bb.15:
	s_and_b32 s21, 0xffff, s20
	s_delay_alu instid0(SALU_CYCLE_1)
	s_cmp_gt_i32 s21, 25
	s_cbranch_scc0 .LBB142_26
; %bb.16:
	s_cmp_gt_i32 s21, 28
	s_cbranch_scc0 .LBB142_28
; %bb.17:
	s_cmp_gt_i32 s21, 43
	s_cbranch_scc0 .LBB142_30
; %bb.18:
	s_cmp_gt_i32 s21, 45
	s_cbranch_scc0 .LBB142_36
; %bb.19:
	s_mov_b32 s23, 0
	s_mov_b32 s0, -1
	s_cmp_eq_u32 s21, 46
	s_mov_b32 s22, 0
	s_cbranch_scc0 .LBB142_37
; %bb.20:
	s_wait_loadcnt 0x0
	v_cndmask_b32_e64 v2, 0, 1.0, s16
	s_mov_b32 s22, -1
	s_mov_b32 s0, 0
	s_delay_alu instid0(VALU_DEP_1) | instskip(NEXT) | instid1(VALU_DEP_1)
	v_bfe_u32 v3, v2, 16, 1
	v_add3_u32 v2, v2, v3, 0x7fff
	s_delay_alu instid0(VALU_DEP_1)
	v_lshrrev_b32_e32 v2, 16, v2
	global_store_b32 v[0:1], v2, off
	s_branch .LBB142_37
.LBB142_21:
                                        ; implicit-def: $vgpr3
	s_cbranch_execnz .LBB142_173
	s_branch .LBB142_207
.LBB142_22:
	s_mov_b32 s0, 0
	s_mov_b32 s22, 0
	s_cbranch_execnz .LBB142_106
.LBB142_23:
	s_and_not1_b32 vcc_lo, exec_lo, s22
	s_cbranch_vccnz .LBB142_258
	s_branch .LBB142_144
.LBB142_24:
                                        ; implicit-def: $sgpr16
	s_branch .LBB142_13
.LBB142_25:
	s_mov_b32 s20, -1
                                        ; implicit-def: $vgpr3
	s_branch .LBB142_154
.LBB142_26:
	s_mov_b32 s23, -1
	s_mov_b32 s0, 0
	s_mov_b32 s22, 0
	s_branch .LBB142_64
.LBB142_27:
	s_mov_b32 s20, -1
                                        ; implicit-def: $vgpr3
	s_branch .LBB142_148
.LBB142_28:
	s_mov_b32 s23, -1
	s_mov_b32 s0, 0
	s_mov_b32 s22, 0
	s_branch .LBB142_47
.LBB142_29:
	s_mov_b32 s20, -1
	s_branch .LBB142_32
.LBB142_30:
	s_mov_b32 s23, -1
	s_mov_b32 s0, 0
	s_mov_b32 s22, 0
	s_branch .LBB142_43
.LBB142_31:
	s_mov_b32 s17, -1
.LBB142_32:
                                        ; implicit-def: $vgpr3
.LBB142_33:
	s_and_b32 vcc_lo, exec_lo, s20
	s_cbranch_vccz .LBB142_147
; %bb.34:
	s_cmp_eq_u32 s0, 44
	s_cbranch_scc0 .LBB142_145
; %bb.35:
	global_load_u8 v2, v[0:1], off
	s_mov_b32 s17, 0
	s_mov_b32 s16, -1
	s_wait_loadcnt 0x0
	v_lshlrev_b32_e32 v3, 23, v2
	v_cmp_ne_u32_e32 vcc_lo, 0xff, v2
	s_delay_alu instid0(VALU_DEP_2) | instskip(SKIP_1) | instid1(VALU_DEP_2)
	v_cndmask_b32_e32 v3, 0x7f800001, v3, vcc_lo
	v_cmp_ne_u32_e32 vcc_lo, 0, v2
	v_cndmask_b32_e32 v2, 0x400000, v3, vcc_lo
	s_branch .LBB142_146
.LBB142_36:
	s_mov_b32 s23, -1
	s_mov_b32 s0, 0
	s_mov_b32 s22, 0
.LBB142_37:
	s_and_b32 vcc_lo, exec_lo, s23
	s_cbranch_vccz .LBB142_42
; %bb.38:
	s_cmp_eq_u32 s21, 44
	s_mov_b32 s0, -1
	s_cbranch_scc0 .LBB142_42
; %bb.39:
	v_cndmask_b32_e64 v4, 0, 1.0, s16
	s_mov_b32 s22, exec_lo
	s_wait_loadcnt 0x0
	s_delay_alu instid0(VALU_DEP_1) | instskip(NEXT) | instid1(VALU_DEP_1)
	v_dual_mov_b32 v3, 0xff :: v_dual_lshrrev_b32 v2, 23, v4
	v_cmpx_ne_u32_e32 0xff, v2
; %bb.40:
	v_and_b32_e32 v3, 0x400000, v4
	v_and_or_b32 v4, 0x3fffff, v4, v2
	s_delay_alu instid0(VALU_DEP_2) | instskip(NEXT) | instid1(VALU_DEP_2)
	v_cmp_ne_u32_e32 vcc_lo, 0, v3
	v_cmp_ne_u32_e64 s0, 0, v4
	s_and_b32 s0, vcc_lo, s0
	s_delay_alu instid0(SALU_CYCLE_1) | instskip(NEXT) | instid1(VALU_DEP_1)
	v_cndmask_b32_e64 v3, 0, 1, s0
	v_add_nc_u32_e32 v3, v2, v3
; %bb.41:
	s_or_b32 exec_lo, exec_lo, s22
	s_mov_b32 s22, -1
	s_mov_b32 s0, 0
	global_store_b8 v[0:1], v3, off
.LBB142_42:
	s_mov_b32 s23, 0
.LBB142_43:
	s_delay_alu instid0(SALU_CYCLE_1)
	s_and_b32 vcc_lo, exec_lo, s23
	s_cbranch_vccz .LBB142_46
; %bb.44:
	s_cmp_eq_u32 s21, 29
	s_mov_b32 s0, -1
	s_cbranch_scc0 .LBB142_46
; %bb.45:
	s_mov_b32 s0, 0
	s_wait_loadcnt 0x0
	v_cndmask_b32_e64 v2, 0, 1, s16
	v_mov_b32_e32 v3, s0
	s_mov_b32 s22, -1
	s_mov_b32 s23, 0
	global_store_b64 v[0:1], v[2:3], off
	s_branch .LBB142_47
.LBB142_46:
	s_mov_b32 s23, 0
.LBB142_47:
	s_delay_alu instid0(SALU_CYCLE_1)
	s_and_b32 vcc_lo, exec_lo, s23
	s_cbranch_vccz .LBB142_63
; %bb.48:
	s_cmp_lt_i32 s21, 27
	s_mov_b32 s22, -1
	s_cbranch_scc1 .LBB142_54
; %bb.49:
	s_cmp_gt_i32 s21, 27
	s_cbranch_scc0 .LBB142_51
; %bb.50:
	s_wait_loadcnt 0x0
	v_cndmask_b32_e64 v2, 0, 1, s16
	s_mov_b32 s22, 0
	global_store_b32 v[0:1], v2, off
.LBB142_51:
	s_and_not1_b32 vcc_lo, exec_lo, s22
	s_cbranch_vccnz .LBB142_53
; %bb.52:
	s_wait_loadcnt 0x0
	v_cndmask_b32_e64 v2, 0, 1, s16
	global_store_b16 v[0:1], v2, off
.LBB142_53:
	s_mov_b32 s22, 0
.LBB142_54:
	s_delay_alu instid0(SALU_CYCLE_1)
	s_and_not1_b32 vcc_lo, exec_lo, s22
	s_cbranch_vccnz .LBB142_62
; %bb.55:
	s_wait_loadcnt 0x0
	v_cndmask_b32_e64 v3, 0, 1.0, s16
	v_mov_b32_e32 v4, 0x80
	s_mov_b32 s22, exec_lo
	s_delay_alu instid0(VALU_DEP_2)
	v_cmpx_gt_u32_e32 0x43800000, v3
	s_cbranch_execz .LBB142_61
; %bb.56:
	s_mov_b32 s23, 0
	s_mov_b32 s24, exec_lo
                                        ; implicit-def: $vgpr2
	v_cmpx_lt_u32_e32 0x3bffffff, v3
	s_xor_b32 s24, exec_lo, s24
	s_cbranch_execz .LBB142_291
; %bb.57:
	v_bfe_u32 v2, v3, 20, 1
	s_mov_b32 s23, exec_lo
	s_delay_alu instid0(VALU_DEP_1) | instskip(NEXT) | instid1(VALU_DEP_1)
	v_add3_u32 v2, v3, v2, 0x487ffff
                                        ; implicit-def: $vgpr3
	v_lshrrev_b32_e32 v2, 20, v2
	s_and_not1_saveexec_b32 s24, s24
	s_cbranch_execnz .LBB142_292
.LBB142_58:
	s_or_b32 exec_lo, exec_lo, s24
	v_mov_b32_e32 v4, 0
	s_and_saveexec_b32 s24, s23
.LBB142_59:
	v_mov_b32_e32 v4, v2
.LBB142_60:
	s_or_b32 exec_lo, exec_lo, s24
.LBB142_61:
	s_delay_alu instid0(SALU_CYCLE_1)
	s_or_b32 exec_lo, exec_lo, s22
	global_store_b8 v[0:1], v4, off
.LBB142_62:
	s_mov_b32 s22, -1
.LBB142_63:
	s_mov_b32 s23, 0
.LBB142_64:
	s_delay_alu instid0(SALU_CYCLE_1)
	s_and_b32 vcc_lo, exec_lo, s23
	s_cbranch_vccz .LBB142_105
; %bb.65:
	s_cmp_gt_i32 s21, 22
	s_mov_b32 s23, -1
	s_cbranch_scc0 .LBB142_97
; %bb.66:
	s_cmp_lt_i32 s21, 24
	s_mov_b32 s22, -1
	s_cbranch_scc1 .LBB142_86
; %bb.67:
	s_cmp_gt_i32 s21, 24
	s_cbranch_scc0 .LBB142_75
; %bb.68:
	s_wait_loadcnt 0x0
	v_cndmask_b32_e64 v3, 0, 1.0, s16
	v_mov_b32_e32 v4, 0x80
	s_mov_b32 s22, exec_lo
	s_delay_alu instid0(VALU_DEP_2)
	v_cmpx_gt_u32_e32 0x47800000, v3
	s_cbranch_execz .LBB142_74
; %bb.69:
	s_mov_b32 s23, 0
	s_mov_b32 s24, exec_lo
                                        ; implicit-def: $vgpr2
	v_cmpx_lt_u32_e32 0x37ffffff, v3
	s_xor_b32 s24, exec_lo, s24
	s_cbranch_execz .LBB142_295
; %bb.70:
	v_bfe_u32 v2, v3, 21, 1
	s_mov_b32 s23, exec_lo
	s_delay_alu instid0(VALU_DEP_1) | instskip(NEXT) | instid1(VALU_DEP_1)
	v_add3_u32 v2, v3, v2, 0x88fffff
                                        ; implicit-def: $vgpr3
	v_lshrrev_b32_e32 v2, 21, v2
	s_and_not1_saveexec_b32 s24, s24
	s_cbranch_execnz .LBB142_296
.LBB142_71:
	s_or_b32 exec_lo, exec_lo, s24
	v_mov_b32_e32 v4, 0
	s_and_saveexec_b32 s24, s23
.LBB142_72:
	v_mov_b32_e32 v4, v2
.LBB142_73:
	s_or_b32 exec_lo, exec_lo, s24
.LBB142_74:
	s_delay_alu instid0(SALU_CYCLE_1)
	s_or_b32 exec_lo, exec_lo, s22
	s_mov_b32 s22, 0
	global_store_b8 v[0:1], v4, off
.LBB142_75:
	s_and_b32 vcc_lo, exec_lo, s22
	s_cbranch_vccz .LBB142_85
; %bb.76:
	s_wait_loadcnt 0x0
	v_cndmask_b32_e64 v3, 0, 1.0, s16
	s_mov_b32 s22, exec_lo
                                        ; implicit-def: $vgpr2
	s_delay_alu instid0(VALU_DEP_1)
	v_cmpx_gt_u32_e32 0x43f00000, v3
	s_xor_b32 s22, exec_lo, s22
	s_cbranch_execz .LBB142_82
; %bb.77:
	s_mov_b32 s23, exec_lo
                                        ; implicit-def: $vgpr2
	v_cmpx_lt_u32_e32 0x3c7fffff, v3
	s_xor_b32 s23, exec_lo, s23
; %bb.78:
	v_bfe_u32 v2, v3, 20, 1
	s_delay_alu instid0(VALU_DEP_1) | instskip(NEXT) | instid1(VALU_DEP_1)
	v_add3_u32 v2, v3, v2, 0x407ffff
	v_and_b32_e32 v3, 0xff00000, v2
	v_lshrrev_b32_e32 v2, 20, v2
	s_delay_alu instid0(VALU_DEP_2) | instskip(NEXT) | instid1(VALU_DEP_2)
	v_cmp_ne_u32_e32 vcc_lo, 0x7f00000, v3
                                        ; implicit-def: $vgpr3
	v_cndmask_b32_e32 v2, 0x7e, v2, vcc_lo
; %bb.79:
	s_and_not1_saveexec_b32 s23, s23
; %bb.80:
	v_add_f32_e32 v2, 0x46800000, v3
; %bb.81:
	s_or_b32 exec_lo, exec_lo, s23
                                        ; implicit-def: $vgpr3
.LBB142_82:
	s_and_not1_saveexec_b32 s22, s22
; %bb.83:
	v_mov_b32_e32 v2, 0x7f
	v_cmp_lt_u32_e32 vcc_lo, 0x7f800000, v3
	s_delay_alu instid0(VALU_DEP_2)
	v_cndmask_b32_e32 v2, 0x7e, v2, vcc_lo
; %bb.84:
	s_or_b32 exec_lo, exec_lo, s22
	global_store_b8 v[0:1], v2, off
.LBB142_85:
	s_mov_b32 s22, 0
.LBB142_86:
	s_delay_alu instid0(SALU_CYCLE_1)
	s_and_not1_b32 vcc_lo, exec_lo, s22
	s_cbranch_vccnz .LBB142_96
; %bb.87:
	s_wait_loadcnt 0x0
	v_cndmask_b32_e64 v3, 0, 1.0, s16
	s_mov_b32 s22, exec_lo
                                        ; implicit-def: $vgpr2
	s_delay_alu instid0(VALU_DEP_1)
	v_cmpx_gt_u32_e32 0x47800000, v3
	s_xor_b32 s22, exec_lo, s22
	s_cbranch_execz .LBB142_93
; %bb.88:
	s_mov_b32 s23, exec_lo
                                        ; implicit-def: $vgpr2
	v_cmpx_lt_u32_e32 0x387fffff, v3
	s_xor_b32 s23, exec_lo, s23
; %bb.89:
	v_bfe_u32 v2, v3, 21, 1
	s_delay_alu instid0(VALU_DEP_1) | instskip(NEXT) | instid1(VALU_DEP_1)
	v_add3_u32 v2, v3, v2, 0x80fffff
                                        ; implicit-def: $vgpr3
	v_lshrrev_b32_e32 v2, 21, v2
; %bb.90:
	s_and_not1_saveexec_b32 s23, s23
; %bb.91:
	v_add_f32_e32 v2, 0x43000000, v3
; %bb.92:
	s_or_b32 exec_lo, exec_lo, s23
                                        ; implicit-def: $vgpr3
.LBB142_93:
	s_and_not1_saveexec_b32 s22, s22
; %bb.94:
	v_mov_b32_e32 v2, 0x7f
	v_cmp_lt_u32_e32 vcc_lo, 0x7f800000, v3
	s_delay_alu instid0(VALU_DEP_2)
	v_cndmask_b32_e32 v2, 0x7c, v2, vcc_lo
; %bb.95:
	s_or_b32 exec_lo, exec_lo, s22
	global_store_b8 v[0:1], v2, off
.LBB142_96:
	s_mov_b32 s23, 0
	s_mov_b32 s22, -1
.LBB142_97:
	s_and_not1_b32 vcc_lo, exec_lo, s23
	s_cbranch_vccnz .LBB142_105
; %bb.98:
	s_cmp_gt_i32 s21, 14
	s_mov_b32 s23, -1
	s_cbranch_scc0 .LBB142_102
; %bb.99:
	s_cmp_eq_u32 s21, 15
	s_mov_b32 s0, -1
	s_cbranch_scc0 .LBB142_101
; %bb.100:
	s_wait_loadcnt 0x0
	v_cndmask_b32_e64 v2, 0, 1.0, s16
	s_mov_b32 s22, -1
	s_mov_b32 s0, 0
	s_delay_alu instid0(VALU_DEP_1) | instskip(NEXT) | instid1(VALU_DEP_1)
	v_bfe_u32 v3, v2, 16, 1
	v_add3_u32 v2, v2, v3, 0x7fff
	global_store_d16_hi_b16 v[0:1], v2, off
.LBB142_101:
	s_mov_b32 s23, 0
.LBB142_102:
	s_delay_alu instid0(SALU_CYCLE_1)
	s_and_b32 vcc_lo, exec_lo, s23
	s_cbranch_vccz .LBB142_105
; %bb.103:
	s_cmp_eq_u32 s21, 11
	s_mov_b32 s0, -1
	s_cbranch_scc0 .LBB142_105
; %bb.104:
	s_wait_loadcnt 0x0
	v_cndmask_b32_e64 v2, 0, 1, s16
	s_mov_b32 s22, -1
	s_mov_b32 s0, 0
	global_store_b8 v[0:1], v2, off
.LBB142_105:
	s_branch .LBB142_23
.LBB142_106:
	s_and_b32 s20, 0xffff, s20
	s_mov_b32 s21, -1
	s_cmp_lt_i32 s20, 5
	s_cbranch_scc1 .LBB142_127
; %bb.107:
	s_cmp_lt_i32 s20, 8
	s_cbranch_scc1 .LBB142_117
; %bb.108:
	;; [unrolled: 3-line block ×3, first 2 shown]
	s_cmp_gt_i32 s20, 9
	s_cbranch_scc0 .LBB142_111
; %bb.110:
	s_wait_loadcnt 0x0
	v_cndmask_b32_e64 v2, 0, 1, s16
	v_mov_b32_e32 v4, 0
	s_mov_b32 s21, 0
	s_delay_alu instid0(VALU_DEP_2) | instskip(NEXT) | instid1(VALU_DEP_2)
	v_cvt_f64_u32_e32 v[2:3], v2
	v_mov_b32_e32 v5, v4
	global_store_b128 v[0:1], v[2:5], off
.LBB142_111:
	s_and_not1_b32 vcc_lo, exec_lo, s21
	s_cbranch_vccnz .LBB142_113
; %bb.112:
	s_wait_loadcnt 0x0
	v_cndmask_b32_e64 v2, 0, 1.0, s16
	v_mov_b32_e32 v3, 0
	global_store_b64 v[0:1], v[2:3], off
.LBB142_113:
	s_mov_b32 s21, 0
.LBB142_114:
	s_delay_alu instid0(SALU_CYCLE_1)
	s_and_not1_b32 vcc_lo, exec_lo, s21
	s_cbranch_vccnz .LBB142_116
; %bb.115:
	s_wait_loadcnt 0x0
	v_cndmask_b32_e64 v2, 0, 1.0, s16
	s_delay_alu instid0(VALU_DEP_1) | instskip(NEXT) | instid1(VALU_DEP_1)
	v_cvt_f16_f32_e32 v2, v2
	v_and_b32_e32 v2, 0xffff, v2
	global_store_b32 v[0:1], v2, off
.LBB142_116:
	s_mov_b32 s21, 0
.LBB142_117:
	s_delay_alu instid0(SALU_CYCLE_1)
	s_and_not1_b32 vcc_lo, exec_lo, s21
	s_cbranch_vccnz .LBB142_126
; %bb.118:
	s_cmp_lt_i32 s20, 6
	s_mov_b32 s21, -1
	s_cbranch_scc1 .LBB142_124
; %bb.119:
	s_cmp_gt_i32 s20, 6
	s_cbranch_scc0 .LBB142_121
; %bb.120:
	s_wait_loadcnt 0x0
	v_cndmask_b32_e64 v2, 0, 1, s16
	s_mov_b32 s21, 0
	s_delay_alu instid0(VALU_DEP_1)
	v_cvt_f64_u32_e32 v[2:3], v2
	global_store_b64 v[0:1], v[2:3], off
.LBB142_121:
	s_and_not1_b32 vcc_lo, exec_lo, s21
	s_cbranch_vccnz .LBB142_123
; %bb.122:
	s_wait_loadcnt 0x0
	v_cndmask_b32_e64 v2, 0, 1.0, s16
	global_store_b32 v[0:1], v2, off
.LBB142_123:
	s_mov_b32 s21, 0
.LBB142_124:
	s_delay_alu instid0(SALU_CYCLE_1)
	s_and_not1_b32 vcc_lo, exec_lo, s21
	s_cbranch_vccnz .LBB142_126
; %bb.125:
	s_wait_loadcnt 0x0
	v_cndmask_b32_e64 v2, 0, 1.0, s16
	s_delay_alu instid0(VALU_DEP_1)
	v_cvt_f16_f32_e32 v2, v2
	global_store_b16 v[0:1], v2, off
.LBB142_126:
	s_mov_b32 s21, 0
.LBB142_127:
	s_delay_alu instid0(SALU_CYCLE_1)
	s_and_not1_b32 vcc_lo, exec_lo, s21
	s_cbranch_vccnz .LBB142_143
; %bb.128:
	s_cmp_lt_i32 s20, 2
	s_mov_b32 s21, -1
	s_cbranch_scc1 .LBB142_138
; %bb.129:
	s_cmp_lt_i32 s20, 3
	s_cbranch_scc1 .LBB142_135
; %bb.130:
	s_cmp_gt_i32 s20, 3
	s_cbranch_scc0 .LBB142_132
; %bb.131:
	s_mov_b32 s21, 0
	s_wait_loadcnt 0x0
	v_cndmask_b32_e64 v2, 0, 1, s16
	v_mov_b32_e32 v3, s21
	global_store_b64 v[0:1], v[2:3], off
.LBB142_132:
	s_and_not1_b32 vcc_lo, exec_lo, s21
	s_cbranch_vccnz .LBB142_134
; %bb.133:
	s_wait_loadcnt 0x0
	v_cndmask_b32_e64 v2, 0, 1, s16
	global_store_b32 v[0:1], v2, off
.LBB142_134:
	s_mov_b32 s21, 0
.LBB142_135:
	s_delay_alu instid0(SALU_CYCLE_1)
	s_and_not1_b32 vcc_lo, exec_lo, s21
	s_cbranch_vccnz .LBB142_137
; %bb.136:
	s_wait_loadcnt 0x0
	v_cndmask_b32_e64 v2, 0, 1, s16
	global_store_b16 v[0:1], v2, off
.LBB142_137:
	s_mov_b32 s21, 0
.LBB142_138:
	s_delay_alu instid0(SALU_CYCLE_1)
	s_and_not1_b32 vcc_lo, exec_lo, s21
	s_cbranch_vccnz .LBB142_143
; %bb.139:
	s_wait_loadcnt 0x0
	v_cndmask_b32_e64 v2, 0, 1, s16
	s_cmp_gt_i32 s20, 0
	s_mov_b32 s16, -1
	s_cbranch_scc0 .LBB142_141
; %bb.140:
	s_mov_b32 s16, 0
	global_store_b8 v[0:1], v2, off
.LBB142_141:
	s_and_not1_b32 vcc_lo, exec_lo, s16
	s_cbranch_vccnz .LBB142_143
; %bb.142:
	global_store_b8 v[0:1], v2, off
.LBB142_143:
.LBB142_144:
	v_add_nc_u32_e32 v6, 0x80, v6
	s_mov_b32 s20, -1
	s_branch .LBB142_259
.LBB142_145:
	s_mov_b32 s17, -1
                                        ; implicit-def: $vgpr2
.LBB142_146:
	v_mov_b32_e32 v3, 0
.LBB142_147:
	s_mov_b32 s20, 0
.LBB142_148:
	s_delay_alu instid0(SALU_CYCLE_1)
	s_and_b32 vcc_lo, exec_lo, s20
	s_cbranch_vccz .LBB142_153
; %bb.149:
	s_cmp_eq_u32 s0, 29
	s_cbranch_scc0 .LBB142_151
; %bb.150:
	global_load_b64 v[2:3], v[0:1], off
	s_mov_b32 s16, -1
	s_mov_b32 s17, 0
	s_wait_loadcnt 0x0
	v_clz_i32_u32_e32 v4, v3
	s_delay_alu instid0(VALU_DEP_1) | instskip(NEXT) | instid1(VALU_DEP_1)
	v_min_u32_e32 v4, 32, v4
	v_lshlrev_b64_e32 v[2:3], v4, v[2:3]
	s_delay_alu instid0(VALU_DEP_1) | instskip(NEXT) | instid1(VALU_DEP_1)
	v_min_u32_e32 v2, 1, v2
	v_dual_sub_nc_u32 v3, 32, v4 :: v_dual_bitop2_b32 v2, v3, v2 bitop3:0x54
	s_delay_alu instid0(VALU_DEP_1) | instskip(NEXT) | instid1(VALU_DEP_1)
	v_cvt_f32_u32_e32 v2, v2
	v_ldexp_f32 v2, v2, v3
	s_branch .LBB142_152
.LBB142_151:
	s_mov_b32 s17, -1
                                        ; implicit-def: $vgpr2
.LBB142_152:
	v_mov_b32_e32 v3, 0
.LBB142_153:
	s_mov_b32 s20, 0
.LBB142_154:
	s_delay_alu instid0(SALU_CYCLE_1)
	s_and_b32 vcc_lo, exec_lo, s20
	s_cbranch_vccz .LBB142_172
; %bb.155:
	s_cmp_lt_i32 s0, 27
	s_cbranch_scc1 .LBB142_158
; %bb.156:
	s_cmp_gt_i32 s0, 27
	s_cbranch_scc0 .LBB142_159
; %bb.157:
	global_load_b32 v2, v[0:1], off
	s_mov_b32 s16, 0
	s_wait_loadcnt 0x0
	v_cvt_f32_u32_e32 v2, v2
	s_branch .LBB142_160
.LBB142_158:
	s_mov_b32 s16, -1
                                        ; implicit-def: $vgpr2
	s_branch .LBB142_163
.LBB142_159:
	s_mov_b32 s16, -1
                                        ; implicit-def: $vgpr2
.LBB142_160:
	s_delay_alu instid0(SALU_CYCLE_1)
	s_and_not1_b32 vcc_lo, exec_lo, s16
	s_cbranch_vccnz .LBB142_162
; %bb.161:
	global_load_u16 v2, v[0:1], off
	s_wait_loadcnt 0x0
	v_cvt_f32_u32_e32 v2, v2
.LBB142_162:
	s_mov_b32 s16, 0
.LBB142_163:
	s_delay_alu instid0(SALU_CYCLE_1)
	s_and_not1_b32 vcc_lo, exec_lo, s16
	s_cbranch_vccnz .LBB142_171
; %bb.164:
	global_load_u8 v3, v[0:1], off
	s_mov_b32 s16, 0
	s_mov_b32 s20, exec_lo
	s_wait_loadcnt 0x0
	v_cmpx_lt_i16_e32 0x7f, v3
	s_xor_b32 s20, exec_lo, s20
	s_cbranch_execz .LBB142_184
; %bb.165:
	s_mov_b32 s16, -1
	s_mov_b32 s21, exec_lo
	v_cmpx_eq_u16_e32 0x80, v3
; %bb.166:
	s_xor_b32 s16, exec_lo, -1
; %bb.167:
	s_or_b32 exec_lo, exec_lo, s21
	s_delay_alu instid0(SALU_CYCLE_1)
	s_and_b32 s16, s16, exec_lo
	s_or_saveexec_b32 s20, s20
	v_mov_b32_e32 v2, 0x7f800001
	s_xor_b32 exec_lo, exec_lo, s20
	s_cbranch_execnz .LBB142_185
.LBB142_168:
	s_or_b32 exec_lo, exec_lo, s20
	s_and_saveexec_b32 s20, s16
	s_cbranch_execz .LBB142_170
.LBB142_169:
	v_and_b32_e32 v2, 0xffff, v3
	s_delay_alu instid0(VALU_DEP_1) | instskip(SKIP_1) | instid1(VALU_DEP_2)
	v_and_b32_e32 v4, 7, v2
	v_bfe_u32 v8, v2, 3, 4
	v_clz_i32_u32_e32 v5, v4
	s_delay_alu instid0(VALU_DEP_2) | instskip(NEXT) | instid1(VALU_DEP_2)
	v_cmp_eq_u32_e32 vcc_lo, 0, v8
	v_min_u32_e32 v5, 32, v5
	s_delay_alu instid0(VALU_DEP_1) | instskip(NEXT) | instid1(VALU_DEP_1)
	v_subrev_nc_u32_e32 v7, 28, v5
	v_dual_lshlrev_b32 v2, v7, v2 :: v_dual_sub_nc_u32 v5, 29, v5
	s_delay_alu instid0(VALU_DEP_1) | instskip(NEXT) | instid1(VALU_DEP_2)
	v_dual_lshlrev_b32 v3, 24, v3 :: v_dual_bitop2_b32 v2, 7, v2 bitop3:0x40
	v_cndmask_b32_e32 v5, v8, v5, vcc_lo
	s_delay_alu instid0(VALU_DEP_2) | instskip(NEXT) | instid1(VALU_DEP_3)
	v_cndmask_b32_e32 v2, v4, v2, vcc_lo
	v_and_b32_e32 v3, 0x80000000, v3
	s_delay_alu instid0(VALU_DEP_3) | instskip(NEXT) | instid1(VALU_DEP_3)
	v_lshl_add_u32 v4, v5, 23, 0x3b800000
	v_lshlrev_b32_e32 v2, 20, v2
	s_delay_alu instid0(VALU_DEP_1)
	v_or3_b32 v2, v3, v4, v2
.LBB142_170:
	s_or_b32 exec_lo, exec_lo, s20
.LBB142_171:
	v_mov_b32_e32 v3, 0
	s_mov_b32 s16, -1
.LBB142_172:
	s_branch .LBB142_207
.LBB142_173:
	s_cmp_gt_i32 s0, 22
	s_cbranch_scc0 .LBB142_183
; %bb.174:
	s_cmp_lt_i32 s0, 24
	s_cbranch_scc1 .LBB142_186
; %bb.175:
	s_cmp_gt_i32 s0, 24
	s_cbranch_scc0 .LBB142_187
; %bb.176:
	global_load_u8 v3, v[0:1], off
	s_mov_b32 s16, 0
	s_mov_b32 s20, exec_lo
	s_wait_loadcnt 0x0
	v_cmpx_lt_i16_e32 0x7f, v3
	s_xor_b32 s20, exec_lo, s20
	s_cbranch_execz .LBB142_198
; %bb.177:
	s_mov_b32 s16, -1
	s_mov_b32 s21, exec_lo
	v_cmpx_eq_u16_e32 0x80, v3
; %bb.178:
	s_xor_b32 s16, exec_lo, -1
; %bb.179:
	s_or_b32 exec_lo, exec_lo, s21
	s_delay_alu instid0(SALU_CYCLE_1)
	s_and_b32 s16, s16, exec_lo
	s_or_saveexec_b32 s20, s20
	v_mov_b32_e32 v2, 0x7f800001
	s_xor_b32 exec_lo, exec_lo, s20
	s_cbranch_execnz .LBB142_199
.LBB142_180:
	s_or_b32 exec_lo, exec_lo, s20
	s_and_saveexec_b32 s20, s16
	s_cbranch_execz .LBB142_182
.LBB142_181:
	v_and_b32_e32 v2, 0xffff, v3
	s_delay_alu instid0(VALU_DEP_1) | instskip(SKIP_1) | instid1(VALU_DEP_2)
	v_and_b32_e32 v4, 3, v2
	v_bfe_u32 v8, v2, 2, 5
	v_clz_i32_u32_e32 v5, v4
	s_delay_alu instid0(VALU_DEP_2) | instskip(NEXT) | instid1(VALU_DEP_2)
	v_cmp_eq_u32_e32 vcc_lo, 0, v8
	v_min_u32_e32 v5, 32, v5
	s_delay_alu instid0(VALU_DEP_1) | instskip(NEXT) | instid1(VALU_DEP_1)
	v_subrev_nc_u32_e32 v7, 29, v5
	v_dual_lshlrev_b32 v2, v7, v2 :: v_dual_sub_nc_u32 v5, 30, v5
	s_delay_alu instid0(VALU_DEP_1) | instskip(NEXT) | instid1(VALU_DEP_2)
	v_dual_lshlrev_b32 v3, 24, v3 :: v_dual_bitop2_b32 v2, 3, v2 bitop3:0x40
	v_cndmask_b32_e32 v5, v8, v5, vcc_lo
	s_delay_alu instid0(VALU_DEP_2) | instskip(NEXT) | instid1(VALU_DEP_3)
	v_cndmask_b32_e32 v2, v4, v2, vcc_lo
	v_and_b32_e32 v3, 0x80000000, v3
	s_delay_alu instid0(VALU_DEP_3) | instskip(NEXT) | instid1(VALU_DEP_3)
	v_lshl_add_u32 v4, v5, 23, 0x37800000
	v_lshlrev_b32_e32 v2, 21, v2
	s_delay_alu instid0(VALU_DEP_1)
	v_or3_b32 v2, v3, v4, v2
.LBB142_182:
	s_or_b32 exec_lo, exec_lo, s20
	s_mov_b32 s16, 0
	s_branch .LBB142_188
.LBB142_183:
                                        ; implicit-def: $vgpr2
	s_branch .LBB142_194
.LBB142_184:
	s_or_saveexec_b32 s20, s20
	v_mov_b32_e32 v2, 0x7f800001
	s_xor_b32 exec_lo, exec_lo, s20
	s_cbranch_execz .LBB142_168
.LBB142_185:
	v_cmp_ne_u16_e32 vcc_lo, 0, v3
	v_mov_b32_e32 v2, 0
	s_and_not1_b32 s16, s16, exec_lo
	s_and_b32 s21, vcc_lo, exec_lo
	s_delay_alu instid0(SALU_CYCLE_1)
	s_or_b32 s16, s16, s21
	s_or_b32 exec_lo, exec_lo, s20
	s_and_saveexec_b32 s20, s16
	s_cbranch_execnz .LBB142_169
	s_branch .LBB142_170
.LBB142_186:
	s_mov_b32 s16, -1
                                        ; implicit-def: $vgpr2
	s_branch .LBB142_191
.LBB142_187:
	s_mov_b32 s16, -1
                                        ; implicit-def: $vgpr2
.LBB142_188:
	s_delay_alu instid0(SALU_CYCLE_1)
	s_and_b32 vcc_lo, exec_lo, s16
	s_cbranch_vccz .LBB142_190
; %bb.189:
	global_load_u8 v2, v[0:1], off
	s_wait_loadcnt 0x0
	v_lshlrev_b32_e32 v2, 24, v2
	s_delay_alu instid0(VALU_DEP_1) | instskip(NEXT) | instid1(VALU_DEP_1)
	v_and_b32_e32 v3, 0x7f000000, v2
	v_clz_i32_u32_e32 v4, v3
	v_add_nc_u32_e32 v7, 0x1000000, v3
	v_cmp_ne_u32_e32 vcc_lo, 0, v3
	s_delay_alu instid0(VALU_DEP_3) | instskip(NEXT) | instid1(VALU_DEP_1)
	v_min_u32_e32 v4, 32, v4
	v_sub_nc_u32_e64 v4, v4, 4 clamp
	s_delay_alu instid0(VALU_DEP_1) | instskip(NEXT) | instid1(VALU_DEP_1)
	v_dual_lshlrev_b32 v5, v4, v3 :: v_dual_lshlrev_b32 v4, 23, v4
	v_lshrrev_b32_e32 v5, 4, v5
	s_delay_alu instid0(VALU_DEP_1) | instskip(NEXT) | instid1(VALU_DEP_1)
	v_dual_sub_nc_u32 v4, v5, v4 :: v_dual_ashrrev_i32 v5, 8, v7
	v_add_nc_u32_e32 v4, 0x3c000000, v4
	s_delay_alu instid0(VALU_DEP_1) | instskip(NEXT) | instid1(VALU_DEP_1)
	v_and_or_b32 v4, 0x7f800000, v5, v4
	v_cndmask_b32_e32 v3, 0, v4, vcc_lo
	s_delay_alu instid0(VALU_DEP_1)
	v_and_or_b32 v2, 0x80000000, v2, v3
.LBB142_190:
	s_mov_b32 s16, 0
.LBB142_191:
	s_delay_alu instid0(SALU_CYCLE_1)
	s_and_not1_b32 vcc_lo, exec_lo, s16
	s_cbranch_vccnz .LBB142_193
; %bb.192:
	global_load_u8 v2, v[0:1], off
	s_wait_loadcnt 0x0
	v_lshlrev_b32_e32 v3, 25, v2
	v_lshlrev_b16 v2, 8, v2
	s_delay_alu instid0(VALU_DEP_1) | instskip(SKIP_1) | instid1(VALU_DEP_2)
	v_and_or_b32 v5, 0x7f00, v2, 0.5
	v_bfe_i32 v2, v2, 0, 16
	v_dual_add_f32 v5, -0.5, v5 :: v_dual_lshrrev_b32 v4, 4, v3
	v_cmp_gt_u32_e32 vcc_lo, 0x8000000, v3
	s_delay_alu instid0(VALU_DEP_2) | instskip(NEXT) | instid1(VALU_DEP_1)
	v_or_b32_e32 v4, 0x70000000, v4
	v_mul_f32_e32 v4, 0x7800000, v4
	s_delay_alu instid0(VALU_DEP_1) | instskip(NEXT) | instid1(VALU_DEP_1)
	v_cndmask_b32_e32 v3, v4, v5, vcc_lo
	v_and_or_b32 v2, 0x80000000, v2, v3
.LBB142_193:
	s_mov_b32 s16, -1
	s_cbranch_execnz .LBB142_206
.LBB142_194:
	s_cmp_gt_i32 s0, 14
	s_cbranch_scc0 .LBB142_197
; %bb.195:
	s_cmp_eq_u32 s0, 15
	s_cbranch_scc0 .LBB142_200
; %bb.196:
	global_load_u16 v2, v[0:1], off
	s_mov_b32 s16, -1
	s_mov_b32 s17, 0
	s_wait_loadcnt 0x0
	v_lshlrev_b32_e32 v2, 16, v2
	s_branch .LBB142_201
.LBB142_197:
	s_mov_b32 s20, -1
                                        ; implicit-def: $vgpr2
	s_branch .LBB142_202
.LBB142_198:
	s_or_saveexec_b32 s20, s20
	v_mov_b32_e32 v2, 0x7f800001
	s_xor_b32 exec_lo, exec_lo, s20
	s_cbranch_execz .LBB142_180
.LBB142_199:
	v_cmp_ne_u16_e32 vcc_lo, 0, v3
	v_mov_b32_e32 v2, 0
	s_and_not1_b32 s16, s16, exec_lo
	s_and_b32 s21, vcc_lo, exec_lo
	s_delay_alu instid0(SALU_CYCLE_1)
	s_or_b32 s16, s16, s21
	s_or_b32 exec_lo, exec_lo, s20
	s_and_saveexec_b32 s20, s16
	s_cbranch_execnz .LBB142_181
	s_branch .LBB142_182
.LBB142_200:
	s_mov_b32 s17, -1
                                        ; implicit-def: $vgpr2
.LBB142_201:
	s_mov_b32 s20, 0
.LBB142_202:
	s_delay_alu instid0(SALU_CYCLE_1)
	s_and_b32 vcc_lo, exec_lo, s20
	s_cbranch_vccz .LBB142_206
; %bb.203:
	s_cmp_eq_u32 s0, 11
	s_cbranch_scc0 .LBB142_205
; %bb.204:
	global_load_u8 v2, v[0:1], off
	s_mov_b32 s17, 0
	s_mov_b32 s16, -1
	v_mov_b32_e32 v3, 0
	s_wait_loadcnt 0x0
	v_cmp_ne_u16_e32 vcc_lo, 0, v2
	v_cndmask_b32_e64 v2, 0, 1.0, vcc_lo
	s_branch .LBB142_207
.LBB142_205:
	s_mov_b32 s17, -1
                                        ; implicit-def: $vgpr2
.LBB142_206:
	v_mov_b32_e32 v3, 0
.LBB142_207:
	s_branch .LBB142_10
.LBB142_208:
	s_cmp_lt_i32 s0, 5
	s_cbranch_scc1 .LBB142_213
; %bb.209:
	s_cmp_lt_i32 s0, 8
	s_cbranch_scc1 .LBB142_214
; %bb.210:
	;; [unrolled: 3-line block ×3, first 2 shown]
	s_cmp_gt_i32 s0, 9
	s_cbranch_scc0 .LBB142_216
; %bb.212:
	global_load_b128 v[2:5], v[0:1], off
	s_mov_b32 s16, 0
	s_wait_loadcnt 0x0
	v_cvt_f32_f64_e32 v2, v[2:3]
	v_cvt_f32_f64_e32 v3, v[4:5]
	s_branch .LBB142_217
.LBB142_213:
                                        ; implicit-def: $vgpr3
	s_branch .LBB142_236
.LBB142_214:
	s_mov_b32 s16, -1
                                        ; implicit-def: $vgpr3
	s_branch .LBB142_223
.LBB142_215:
	s_mov_b32 s16, -1
                                        ; implicit-def: $vgpr3
	s_branch .LBB142_220
.LBB142_216:
	s_mov_b32 s16, -1
                                        ; implicit-def: $vgpr3
.LBB142_217:
	s_delay_alu instid0(SALU_CYCLE_1)
	s_and_not1_b32 vcc_lo, exec_lo, s16
	s_cbranch_vccnz .LBB142_219
; %bb.218:
	global_load_b64 v[2:3], v[0:1], off
.LBB142_219:
	s_mov_b32 s16, 0
.LBB142_220:
	s_delay_alu instid0(SALU_CYCLE_1)
	s_and_not1_b32 vcc_lo, exec_lo, s16
	s_cbranch_vccnz .LBB142_222
; %bb.221:
	s_wait_loadcnt 0x0
	global_load_b32 v2, v[0:1], off
	s_wait_loadcnt 0x0
	v_lshrrev_b32_e32 v3, 16, v2
	v_cvt_f32_f16_e32 v2, v2
	s_delay_alu instid0(VALU_DEP_2)
	v_cvt_f32_f16_e32 v3, v3
.LBB142_222:
	s_mov_b32 s16, 0
.LBB142_223:
	s_delay_alu instid0(SALU_CYCLE_1)
	s_and_not1_b32 vcc_lo, exec_lo, s16
	s_cbranch_vccnz .LBB142_235
; %bb.224:
	s_cmp_lt_i32 s0, 6
	s_cbranch_scc1 .LBB142_227
; %bb.225:
	s_cmp_gt_i32 s0, 6
	s_cbranch_scc0 .LBB142_228
; %bb.226:
	s_wait_loadcnt 0x0
	global_load_b64 v[2:3], v[0:1], off
	s_mov_b32 s16, 0
	s_wait_loadcnt 0x0
	v_cvt_f32_f64_e32 v2, v[2:3]
	s_branch .LBB142_229
.LBB142_227:
	s_mov_b32 s16, -1
                                        ; implicit-def: $vgpr2
	s_branch .LBB142_232
.LBB142_228:
	s_mov_b32 s16, -1
                                        ; implicit-def: $vgpr2
.LBB142_229:
	s_delay_alu instid0(SALU_CYCLE_1)
	s_and_not1_b32 vcc_lo, exec_lo, s16
	s_cbranch_vccnz .LBB142_231
; %bb.230:
	s_wait_loadcnt 0x0
	global_load_b32 v2, v[0:1], off
.LBB142_231:
	s_mov_b32 s16, 0
.LBB142_232:
	s_delay_alu instid0(SALU_CYCLE_1)
	s_and_not1_b32 vcc_lo, exec_lo, s16
	s_cbranch_vccnz .LBB142_234
; %bb.233:
	s_wait_loadcnt 0x0
	global_load_u16 v2, v[0:1], off
	s_wait_loadcnt 0x0
	v_cvt_f32_f16_e32 v2, v2
.LBB142_234:
	s_wait_loadcnt 0x0
	v_mov_b32_e32 v3, 0
.LBB142_235:
	s_cbranch_execnz .LBB142_256
.LBB142_236:
	s_cmp_lt_i32 s0, 2
	s_cbranch_scc1 .LBB142_240
; %bb.237:
	s_cmp_lt_i32 s0, 3
	s_cbranch_scc1 .LBB142_241
; %bb.238:
	s_cmp_gt_i32 s0, 3
	s_cbranch_scc0 .LBB142_242
; %bb.239:
	s_wait_loadcnt 0x0
	global_load_b64 v[2:3], v[0:1], off
	s_mov_b32 s16, 0
	s_wait_loadcnt 0x0
	v_xor_b32_e32 v4, v2, v3
	v_cls_i32_e32 v5, v3
	s_delay_alu instid0(VALU_DEP_2) | instskip(NEXT) | instid1(VALU_DEP_1)
	v_ashrrev_i32_e32 v4, 31, v4
	v_add_nc_u32_e32 v4, 32, v4
	s_delay_alu instid0(VALU_DEP_1) | instskip(NEXT) | instid1(VALU_DEP_1)
	v_add_min_u32_e64 v4, v5, -1, v4
	v_lshlrev_b64_e32 v[2:3], v4, v[2:3]
	s_delay_alu instid0(VALU_DEP_1) | instskip(NEXT) | instid1(VALU_DEP_1)
	v_min_u32_e32 v2, 1, v2
	v_dual_sub_nc_u32 v3, 32, v4 :: v_dual_bitop2_b32 v2, v3, v2 bitop3:0x54
	s_delay_alu instid0(VALU_DEP_1) | instskip(NEXT) | instid1(VALU_DEP_1)
	v_cvt_f32_i32_e32 v2, v2
	v_ldexp_f32 v2, v2, v3
	s_branch .LBB142_243
.LBB142_240:
	s_mov_b32 s16, -1
                                        ; implicit-def: $vgpr2
	s_branch .LBB142_249
.LBB142_241:
	s_mov_b32 s16, -1
                                        ; implicit-def: $vgpr2
	s_branch .LBB142_246
.LBB142_242:
	s_mov_b32 s16, -1
                                        ; implicit-def: $vgpr2
.LBB142_243:
	s_delay_alu instid0(SALU_CYCLE_1)
	s_and_not1_b32 vcc_lo, exec_lo, s16
	s_cbranch_vccnz .LBB142_245
; %bb.244:
	s_wait_loadcnt 0x0
	global_load_b32 v2, v[0:1], off
	s_wait_loadcnt 0x0
	v_cvt_f32_i32_e32 v2, v2
.LBB142_245:
	s_mov_b32 s16, 0
.LBB142_246:
	s_delay_alu instid0(SALU_CYCLE_1)
	s_and_not1_b32 vcc_lo, exec_lo, s16
	s_cbranch_vccnz .LBB142_248
; %bb.247:
	s_wait_loadcnt 0x0
	global_load_i16 v2, v[0:1], off
	s_wait_loadcnt 0x0
	v_cvt_f32_i32_e32 v2, v2
.LBB142_248:
	s_mov_b32 s16, 0
.LBB142_249:
	s_delay_alu instid0(SALU_CYCLE_1)
	s_and_not1_b32 vcc_lo, exec_lo, s16
	s_cbranch_vccnz .LBB142_255
; %bb.250:
	s_cmp_gt_i32 s0, 0
	s_mov_b32 s0, 0
	s_cbranch_scc0 .LBB142_252
; %bb.251:
	s_wait_loadcnt 0x0
	global_load_i8 v2, v[0:1], off
	s_wait_loadcnt 0x0
	v_cvt_f32_i32_e32 v2, v2
	s_branch .LBB142_253
.LBB142_252:
	s_mov_b32 s0, -1
                                        ; implicit-def: $vgpr2
.LBB142_253:
	s_delay_alu instid0(SALU_CYCLE_1)
	s_and_not1_b32 vcc_lo, exec_lo, s0
	s_cbranch_vccnz .LBB142_255
; %bb.254:
	global_load_u8 v0, v[0:1], off
	s_wait_loadcnt 0x0
	v_cvt_f32_ubyte0_e32 v2, v0
.LBB142_255:
	s_wait_loadcnt 0x0
	v_mov_b32_e32 v3, 0
.LBB142_256:
	s_branch .LBB142_11
.LBB142_257:
	s_mov_b32 s0, 0
.LBB142_258:
	s_mov_b32 s20, 0
                                        ; implicit-def: $vgpr6
.LBB142_259:
	s_and_b32 s16, s0, exec_lo
	s_and_b32 s17, s17, exec_lo
	s_or_not1_b32 s21, s20, exec_lo
.LBB142_260:
	s_wait_xcnt 0x0
	s_or_b32 exec_lo, exec_lo, s18
	s_mov_b32 s20, 0
	s_mov_b32 s0, 0
                                        ; implicit-def: $vgpr0_vgpr1
                                        ; implicit-def: $vgpr3
	s_and_saveexec_b32 s18, s21
	s_cbranch_execz .LBB142_269
; %bb.261:
	s_mov_b32 s0, -1
	s_mov_b32 s19, s17
	s_mov_b32 s20, s16
	s_mov_b32 s21, exec_lo
	v_cmpx_gt_i32_e64 s15, v6
	s_cbranch_execz .LBB142_532
; %bb.262:
	v_mul_lo_u32 v0, v6, s9
	s_and_b32 s0, 0xffff, s2
	s_delay_alu instid0(SALU_CYCLE_1) | instskip(NEXT) | instid1(VALU_DEP_1)
	s_cmp_lt_i32 s0, 11
	v_ashrrev_i32_e32 v1, 31, v0
	s_delay_alu instid0(VALU_DEP_1)
	v_add_nc_u64_e32 v[0:1], s[6:7], v[0:1]
	s_cbranch_scc1 .LBB142_272
; %bb.263:
	s_cmp_gt_i32 s0, 25
	s_cbranch_scc0 .LBB142_284
; %bb.264:
	s_cmp_gt_i32 s0, 28
	s_cbranch_scc0 .LBB142_287
	;; [unrolled: 3-line block ×4, first 2 shown]
; %bb.267:
	s_cmp_eq_u32 s0, 46
	s_mov_b32 s22, 0
	s_cbranch_scc0 .LBB142_297
; %bb.268:
	s_wait_loadcnt 0x0
	global_load_b32 v2, v[0:1], off
	s_mov_b32 s20, -1
	s_mov_b32 s19, 0
	s_wait_loadcnt 0x0
	v_and_b32_e32 v3, 0xffff0000, v2
	v_lshlrev_b32_e32 v2, 16, v2
	s_branch .LBB142_299
.LBB142_269:
	s_or_b32 exec_lo, exec_lo, s18
	s_mov_b32 s15, 0
	s_and_saveexec_b32 s18, s17
	s_cbranch_execnz .LBB142_893
.LBB142_270:
	s_or_b32 exec_lo, exec_lo, s18
	s_and_saveexec_b32 s17, s19
	s_delay_alu instid0(SALU_CYCLE_1)
	s_xor_b32 s17, exec_lo, s17
	s_cbranch_execz .LBB142_894
.LBB142_271:
	s_wait_loadcnt 0x0
	global_load_u8 v2, v[0:1], off
	v_mov_b32_e32 v3, 0
	s_or_b32 s0, s0, exec_lo
	s_wait_loadcnt 0x0
	v_cmp_ne_u16_e32 vcc_lo, 0, v2
	v_cndmask_b32_e64 v2, 0, 1.0, vcc_lo
	s_wait_xcnt 0x0
	s_or_b32 exec_lo, exec_lo, s17
	s_and_saveexec_b32 s17, s20
	s_cbranch_execz .LBB142_942
	s_branch .LBB142_895
.LBB142_272:
	s_mov_b32 s20, 0
	s_mov_b32 s19, s17
                                        ; implicit-def: $vgpr3
	s_cbranch_execnz .LBB142_479
.LBB142_273:
	s_and_not1_b32 vcc_lo, exec_lo, s20
	s_cbranch_vccnz .LBB142_529
.LBB142_274:
	s_and_not1_b32 vcc_lo, exec_lo, s11
	s_cbranch_vccnz .LBB142_286
; %bb.275:
	s_wait_loadcnt 0x0
	s_delay_alu instid0(VALU_DEP_2) | instskip(NEXT) | instid1(VALU_DEP_2)
	v_cmp_neq_f32_e32 vcc_lo, s12, v2
	v_cmp_neq_f32_e64 s0, s13, v3
	s_or_b32 s20, vcc_lo, s0
	s_cbranch_execnz .LBB142_277
.LBB142_276:
	s_wait_loadcnt 0x0
	s_delay_alu instid0(VALU_DEP_1) | instskip(NEXT) | instid1(VALU_DEP_3)
	v_cmp_eq_f32_e32 vcc_lo, s13, v3
	v_cmp_eq_f32_e64 s0, s12, v2
	s_and_not1_b32 s20, s20, exec_lo
	s_and_b32 s0, s0, vcc_lo
	s_delay_alu instid0(SALU_CYCLE_1) | instskip(NEXT) | instid1(SALU_CYCLE_1)
	s_and_b32 s0, s0, exec_lo
	s_or_b32 s20, s20, s0
.LBB142_277:
	s_wait_xcnt 0x0
	v_mul_lo_u32 v0, v6, s8
	s_and_b32 s22, s14, 0xff
	s_delay_alu instid0(SALU_CYCLE_1) | instskip(NEXT) | instid1(VALU_DEP_1)
	s_cmp_lt_i32 s22, 11
	v_ashrrev_i32_e32 v1, 31, v0
	s_delay_alu instid0(VALU_DEP_1)
	v_add_nc_u64_e32 v[0:1], s[4:5], v[0:1]
	s_cbranch_scc1 .LBB142_285
; %bb.278:
	s_and_b32 s23, 0xffff, s22
	s_delay_alu instid0(SALU_CYCLE_1)
	s_cmp_gt_i32 s23, 25
	s_cbranch_scc0 .LBB142_288
; %bb.279:
	s_cmp_gt_i32 s23, 28
	s_cbranch_scc0 .LBB142_290
; %bb.280:
	;; [unrolled: 3-line block ×4, first 2 shown]
	s_mov_b32 s25, 0
	s_mov_b32 s0, -1
	s_cmp_eq_u32 s23, 46
	s_mov_b32 s24, 0
	s_cbranch_scc0 .LBB142_303
; %bb.283:
	s_wait_loadcnt 0x0
	v_cndmask_b32_e64 v2, 0, 1.0, s20
	s_mov_b32 s24, -1
	s_mov_b32 s0, 0
	s_delay_alu instid0(VALU_DEP_1) | instskip(NEXT) | instid1(VALU_DEP_1)
	v_bfe_u32 v3, v2, 16, 1
	v_add3_u32 v2, v2, v3, 0x7fff
	s_delay_alu instid0(VALU_DEP_1)
	v_lshrrev_b32_e32 v2, 16, v2
	global_store_b32 v[0:1], v2, off
	s_branch .LBB142_303
.LBB142_284:
	s_mov_b32 s22, -1
	s_mov_b32 s20, 0
	s_mov_b32 s19, s17
                                        ; implicit-def: $vgpr3
	s_branch .LBB142_442
.LBB142_285:
	s_mov_b32 s23, -1
	s_mov_b32 s24, 0
	s_mov_b32 s0, s16
	s_branch .LBB142_372
.LBB142_286:
                                        ; implicit-def: $sgpr20
	s_branch .LBB142_276
.LBB142_287:
	s_mov_b32 s22, -1
	s_mov_b32 s20, 0
	s_mov_b32 s19, s17
                                        ; implicit-def: $vgpr3
	s_branch .LBB142_423
.LBB142_288:
	s_mov_b32 s25, -1
	s_mov_b32 s24, 0
	s_mov_b32 s0, s16
	s_branch .LBB142_330
.LBB142_289:
	s_mov_b32 s22, -1
	s_mov_b32 s20, 0
	s_mov_b32 s19, s17
                                        ; implicit-def: $vgpr3
	s_branch .LBB142_417
.LBB142_290:
	s_mov_b32 s25, -1
	s_mov_b32 s24, 0
	s_mov_b32 s0, s16
	s_branch .LBB142_313
.LBB142_291:
	s_and_not1_saveexec_b32 s24, s24
	s_cbranch_execz .LBB142_58
.LBB142_292:
	v_add_f32_e32 v2, 0x46000000, v3
	s_and_not1_b32 s23, s23, exec_lo
	s_delay_alu instid0(VALU_DEP_1) | instskip(NEXT) | instid1(VALU_DEP_1)
	v_and_b32_e32 v2, 0xff, v2
	v_cmp_ne_u32_e32 vcc_lo, 0, v2
	s_and_b32 s25, vcc_lo, exec_lo
	s_delay_alu instid0(SALU_CYCLE_1)
	s_or_b32 s23, s23, s25
	s_or_b32 exec_lo, exec_lo, s24
	v_mov_b32_e32 v4, 0
	s_and_saveexec_b32 s24, s23
	s_cbranch_execnz .LBB142_59
	s_branch .LBB142_60
.LBB142_293:
	s_mov_b32 s22, -1
	s_mov_b32 s20, 0
	s_mov_b32 s19, s17
	s_branch .LBB142_298
.LBB142_294:
	s_mov_b32 s25, -1
	s_mov_b32 s24, 0
	s_mov_b32 s0, s16
	s_branch .LBB142_309
.LBB142_295:
	s_and_not1_saveexec_b32 s24, s24
	s_cbranch_execz .LBB142_71
.LBB142_296:
	v_add_f32_e32 v2, 0x42800000, v3
	s_and_not1_b32 s23, s23, exec_lo
	s_delay_alu instid0(VALU_DEP_1) | instskip(NEXT) | instid1(VALU_DEP_1)
	v_and_b32_e32 v2, 0xff, v2
	v_cmp_ne_u32_e32 vcc_lo, 0, v2
	s_and_b32 s25, vcc_lo, exec_lo
	s_delay_alu instid0(SALU_CYCLE_1)
	s_or_b32 s23, s23, s25
	s_or_b32 exec_lo, exec_lo, s24
	v_mov_b32_e32 v4, 0
	s_and_saveexec_b32 s24, s23
	s_cbranch_execnz .LBB142_72
	s_branch .LBB142_73
.LBB142_297:
	s_mov_b32 s19, -1
	s_mov_b32 s20, 0
.LBB142_298:
                                        ; implicit-def: $vgpr3
.LBB142_299:
	s_and_b32 vcc_lo, exec_lo, s22
	s_cbranch_vccz .LBB142_416
; %bb.300:
	s_cmp_eq_u32 s0, 44
	s_cbranch_scc0 .LBB142_414
; %bb.301:
	s_wait_loadcnt 0x0
	global_load_u8 v2, v[0:1], off
	s_mov_b32 s19, 0
	s_mov_b32 s20, -1
	s_wait_loadcnt 0x0
	v_lshlrev_b32_e32 v3, 23, v2
	v_cmp_ne_u32_e32 vcc_lo, 0xff, v2
	s_delay_alu instid0(VALU_DEP_2) | instskip(SKIP_1) | instid1(VALU_DEP_2)
	v_cndmask_b32_e32 v3, 0x7f800001, v3, vcc_lo
	v_cmp_ne_u32_e32 vcc_lo, 0, v2
	v_cndmask_b32_e32 v2, 0x400000, v3, vcc_lo
	s_branch .LBB142_415
.LBB142_302:
	s_mov_b32 s25, -1
	s_mov_b32 s24, 0
	s_mov_b32 s0, s16
.LBB142_303:
	s_and_b32 vcc_lo, exec_lo, s25
	s_cbranch_vccz .LBB142_308
; %bb.304:
	s_cmp_eq_u32 s23, 44
	s_mov_b32 s0, -1
	s_cbranch_scc0 .LBB142_308
; %bb.305:
	v_cndmask_b32_e64 v4, 0, 1.0, s20
	s_mov_b32 s24, exec_lo
	s_wait_loadcnt 0x0
	s_delay_alu instid0(VALU_DEP_1) | instskip(NEXT) | instid1(VALU_DEP_1)
	v_dual_mov_b32 v3, 0xff :: v_dual_lshrrev_b32 v2, 23, v4
	v_cmpx_ne_u32_e32 0xff, v2
; %bb.306:
	v_and_b32_e32 v3, 0x400000, v4
	v_and_or_b32 v4, 0x3fffff, v4, v2
	s_delay_alu instid0(VALU_DEP_2) | instskip(NEXT) | instid1(VALU_DEP_2)
	v_cmp_ne_u32_e32 vcc_lo, 0, v3
	v_cmp_ne_u32_e64 s0, 0, v4
	s_and_b32 s0, vcc_lo, s0
	s_delay_alu instid0(SALU_CYCLE_1) | instskip(NEXT) | instid1(VALU_DEP_1)
	v_cndmask_b32_e64 v3, 0, 1, s0
	v_add_nc_u32_e32 v3, v2, v3
; %bb.307:
	s_or_b32 exec_lo, exec_lo, s24
	s_mov_b32 s24, -1
	s_mov_b32 s0, 0
	global_store_b8 v[0:1], v3, off
.LBB142_308:
	s_mov_b32 s25, 0
.LBB142_309:
	s_delay_alu instid0(SALU_CYCLE_1)
	s_and_b32 vcc_lo, exec_lo, s25
	s_cbranch_vccz .LBB142_312
; %bb.310:
	s_cmp_eq_u32 s23, 29
	s_mov_b32 s0, -1
	s_cbranch_scc0 .LBB142_312
; %bb.311:
	s_mov_b32 s0, 0
	s_wait_loadcnt 0x0
	v_cndmask_b32_e64 v2, 0, 1, s20
	v_mov_b32_e32 v3, s0
	s_mov_b32 s24, -1
	s_mov_b32 s25, 0
	global_store_b64 v[0:1], v[2:3], off
	s_branch .LBB142_313
.LBB142_312:
	s_mov_b32 s25, 0
.LBB142_313:
	s_delay_alu instid0(SALU_CYCLE_1)
	s_and_b32 vcc_lo, exec_lo, s25
	s_cbranch_vccz .LBB142_329
; %bb.314:
	s_cmp_lt_i32 s23, 27
	s_mov_b32 s24, -1
	s_cbranch_scc1 .LBB142_320
; %bb.315:
	s_cmp_gt_i32 s23, 27
	s_cbranch_scc0 .LBB142_317
; %bb.316:
	s_wait_loadcnt 0x0
	v_cndmask_b32_e64 v2, 0, 1, s20
	s_mov_b32 s24, 0
	global_store_b32 v[0:1], v2, off
.LBB142_317:
	s_and_not1_b32 vcc_lo, exec_lo, s24
	s_cbranch_vccnz .LBB142_319
; %bb.318:
	s_wait_loadcnt 0x0
	v_cndmask_b32_e64 v2, 0, 1, s20
	global_store_b16 v[0:1], v2, off
.LBB142_319:
	s_mov_b32 s24, 0
.LBB142_320:
	s_delay_alu instid0(SALU_CYCLE_1)
	s_and_not1_b32 vcc_lo, exec_lo, s24
	s_cbranch_vccnz .LBB142_328
; %bb.321:
	s_wait_loadcnt 0x0
	v_cndmask_b32_e64 v3, 0, 1.0, s20
	v_mov_b32_e32 v4, 0x80
	s_mov_b32 s24, exec_lo
	s_delay_alu instid0(VALU_DEP_2)
	v_cmpx_gt_u32_e32 0x43800000, v3
	s_cbranch_execz .LBB142_327
; %bb.322:
	s_mov_b32 s25, 0
	s_mov_b32 s26, exec_lo
                                        ; implicit-def: $vgpr2
	v_cmpx_lt_u32_e32 0x3bffffff, v3
	s_xor_b32 s26, exec_lo, s26
	s_cbranch_execz .LBB142_545
; %bb.323:
	v_bfe_u32 v2, v3, 20, 1
	s_mov_b32 s25, exec_lo
	s_delay_alu instid0(VALU_DEP_1) | instskip(NEXT) | instid1(VALU_DEP_1)
	v_add3_u32 v2, v3, v2, 0x487ffff
                                        ; implicit-def: $vgpr3
	v_lshrrev_b32_e32 v2, 20, v2
	s_and_not1_saveexec_b32 s26, s26
	s_cbranch_execnz .LBB142_546
.LBB142_324:
	s_or_b32 exec_lo, exec_lo, s26
	v_mov_b32_e32 v4, 0
	s_and_saveexec_b32 s26, s25
.LBB142_325:
	v_mov_b32_e32 v4, v2
.LBB142_326:
	s_or_b32 exec_lo, exec_lo, s26
.LBB142_327:
	s_delay_alu instid0(SALU_CYCLE_1)
	s_or_b32 exec_lo, exec_lo, s24
	global_store_b8 v[0:1], v4, off
.LBB142_328:
	s_mov_b32 s24, -1
.LBB142_329:
	s_mov_b32 s25, 0
.LBB142_330:
	s_delay_alu instid0(SALU_CYCLE_1)
	s_and_b32 vcc_lo, exec_lo, s25
	s_cbranch_vccz .LBB142_371
; %bb.331:
	s_cmp_gt_i32 s23, 22
	s_mov_b32 s25, -1
	s_cbranch_scc0 .LBB142_363
; %bb.332:
	s_cmp_lt_i32 s23, 24
	s_mov_b32 s24, -1
	s_cbranch_scc1 .LBB142_352
; %bb.333:
	s_cmp_gt_i32 s23, 24
	s_cbranch_scc0 .LBB142_341
; %bb.334:
	s_wait_loadcnt 0x0
	v_cndmask_b32_e64 v3, 0, 1.0, s20
	v_mov_b32_e32 v4, 0x80
	s_mov_b32 s24, exec_lo
	s_delay_alu instid0(VALU_DEP_2)
	v_cmpx_gt_u32_e32 0x47800000, v3
	s_cbranch_execz .LBB142_340
; %bb.335:
	s_mov_b32 s25, 0
	s_mov_b32 s26, exec_lo
                                        ; implicit-def: $vgpr2
	v_cmpx_lt_u32_e32 0x37ffffff, v3
	s_xor_b32 s26, exec_lo, s26
	s_cbranch_execz .LBB142_548
; %bb.336:
	v_bfe_u32 v2, v3, 21, 1
	s_mov_b32 s25, exec_lo
	s_delay_alu instid0(VALU_DEP_1) | instskip(NEXT) | instid1(VALU_DEP_1)
	v_add3_u32 v2, v3, v2, 0x88fffff
                                        ; implicit-def: $vgpr3
	v_lshrrev_b32_e32 v2, 21, v2
	s_and_not1_saveexec_b32 s26, s26
	s_cbranch_execnz .LBB142_549
.LBB142_337:
	s_or_b32 exec_lo, exec_lo, s26
	v_mov_b32_e32 v4, 0
	s_and_saveexec_b32 s26, s25
.LBB142_338:
	v_mov_b32_e32 v4, v2
.LBB142_339:
	s_or_b32 exec_lo, exec_lo, s26
.LBB142_340:
	s_delay_alu instid0(SALU_CYCLE_1)
	s_or_b32 exec_lo, exec_lo, s24
	s_mov_b32 s24, 0
	global_store_b8 v[0:1], v4, off
.LBB142_341:
	s_and_b32 vcc_lo, exec_lo, s24
	s_cbranch_vccz .LBB142_351
; %bb.342:
	s_wait_loadcnt 0x0
	v_cndmask_b32_e64 v3, 0, 1.0, s20
	s_mov_b32 s24, exec_lo
                                        ; implicit-def: $vgpr2
	s_delay_alu instid0(VALU_DEP_1)
	v_cmpx_gt_u32_e32 0x43f00000, v3
	s_xor_b32 s24, exec_lo, s24
	s_cbranch_execz .LBB142_348
; %bb.343:
	s_mov_b32 s25, exec_lo
                                        ; implicit-def: $vgpr2
	v_cmpx_lt_u32_e32 0x3c7fffff, v3
	s_xor_b32 s25, exec_lo, s25
; %bb.344:
	v_bfe_u32 v2, v3, 20, 1
	s_delay_alu instid0(VALU_DEP_1) | instskip(NEXT) | instid1(VALU_DEP_1)
	v_add3_u32 v2, v3, v2, 0x407ffff
	v_and_b32_e32 v3, 0xff00000, v2
	v_lshrrev_b32_e32 v2, 20, v2
	s_delay_alu instid0(VALU_DEP_2) | instskip(NEXT) | instid1(VALU_DEP_2)
	v_cmp_ne_u32_e32 vcc_lo, 0x7f00000, v3
                                        ; implicit-def: $vgpr3
	v_cndmask_b32_e32 v2, 0x7e, v2, vcc_lo
; %bb.345:
	s_and_not1_saveexec_b32 s25, s25
; %bb.346:
	v_add_f32_e32 v2, 0x46800000, v3
; %bb.347:
	s_or_b32 exec_lo, exec_lo, s25
                                        ; implicit-def: $vgpr3
.LBB142_348:
	s_and_not1_saveexec_b32 s24, s24
; %bb.349:
	v_mov_b32_e32 v2, 0x7f
	v_cmp_lt_u32_e32 vcc_lo, 0x7f800000, v3
	s_delay_alu instid0(VALU_DEP_2)
	v_cndmask_b32_e32 v2, 0x7e, v2, vcc_lo
; %bb.350:
	s_or_b32 exec_lo, exec_lo, s24
	global_store_b8 v[0:1], v2, off
.LBB142_351:
	s_mov_b32 s24, 0
.LBB142_352:
	s_delay_alu instid0(SALU_CYCLE_1)
	s_and_not1_b32 vcc_lo, exec_lo, s24
	s_cbranch_vccnz .LBB142_362
; %bb.353:
	s_wait_loadcnt 0x0
	v_cndmask_b32_e64 v3, 0, 1.0, s20
	s_mov_b32 s24, exec_lo
                                        ; implicit-def: $vgpr2
	s_delay_alu instid0(VALU_DEP_1)
	v_cmpx_gt_u32_e32 0x47800000, v3
	s_xor_b32 s24, exec_lo, s24
	s_cbranch_execz .LBB142_359
; %bb.354:
	s_mov_b32 s25, exec_lo
                                        ; implicit-def: $vgpr2
	v_cmpx_lt_u32_e32 0x387fffff, v3
	s_xor_b32 s25, exec_lo, s25
; %bb.355:
	v_bfe_u32 v2, v3, 21, 1
	s_delay_alu instid0(VALU_DEP_1) | instskip(NEXT) | instid1(VALU_DEP_1)
	v_add3_u32 v2, v3, v2, 0x80fffff
                                        ; implicit-def: $vgpr3
	v_lshrrev_b32_e32 v2, 21, v2
; %bb.356:
	s_and_not1_saveexec_b32 s25, s25
; %bb.357:
	v_add_f32_e32 v2, 0x43000000, v3
; %bb.358:
	s_or_b32 exec_lo, exec_lo, s25
                                        ; implicit-def: $vgpr3
.LBB142_359:
	s_and_not1_saveexec_b32 s24, s24
; %bb.360:
	v_mov_b32_e32 v2, 0x7f
	v_cmp_lt_u32_e32 vcc_lo, 0x7f800000, v3
	s_delay_alu instid0(VALU_DEP_2)
	v_cndmask_b32_e32 v2, 0x7c, v2, vcc_lo
; %bb.361:
	s_or_b32 exec_lo, exec_lo, s24
	global_store_b8 v[0:1], v2, off
.LBB142_362:
	s_mov_b32 s25, 0
	s_mov_b32 s24, -1
.LBB142_363:
	s_and_not1_b32 vcc_lo, exec_lo, s25
	s_cbranch_vccnz .LBB142_371
; %bb.364:
	s_cmp_gt_i32 s23, 14
	s_mov_b32 s25, -1
	s_cbranch_scc0 .LBB142_368
; %bb.365:
	s_cmp_eq_u32 s23, 15
	s_mov_b32 s0, -1
	s_cbranch_scc0 .LBB142_367
; %bb.366:
	s_wait_loadcnt 0x0
	v_cndmask_b32_e64 v2, 0, 1.0, s20
	s_mov_b32 s24, -1
	s_mov_b32 s0, 0
	s_delay_alu instid0(VALU_DEP_1) | instskip(NEXT) | instid1(VALU_DEP_1)
	v_bfe_u32 v3, v2, 16, 1
	v_add3_u32 v2, v2, v3, 0x7fff
	global_store_d16_hi_b16 v[0:1], v2, off
.LBB142_367:
	s_mov_b32 s25, 0
.LBB142_368:
	s_delay_alu instid0(SALU_CYCLE_1)
	s_and_b32 vcc_lo, exec_lo, s25
	s_cbranch_vccz .LBB142_371
; %bb.369:
	s_cmp_eq_u32 s23, 11
	s_mov_b32 s0, -1
	s_cbranch_scc0 .LBB142_371
; %bb.370:
	s_wait_loadcnt 0x0
	v_cndmask_b32_e64 v2, 0, 1, s20
	s_mov_b32 s24, -1
	s_mov_b32 s0, 0
	global_store_b8 v[0:1], v2, off
.LBB142_371:
	s_mov_b32 s23, 0
.LBB142_372:
	s_delay_alu instid0(SALU_CYCLE_1)
	s_and_b32 vcc_lo, exec_lo, s23
	s_cbranch_vccz .LBB142_411
; %bb.373:
	s_and_b32 s22, 0xffff, s22
	s_mov_b32 s23, -1
	s_cmp_lt_i32 s22, 5
	s_cbranch_scc1 .LBB142_394
; %bb.374:
	s_cmp_lt_i32 s22, 8
	s_cbranch_scc1 .LBB142_384
; %bb.375:
	;; [unrolled: 3-line block ×3, first 2 shown]
	s_cmp_gt_i32 s22, 9
	s_cbranch_scc0 .LBB142_378
; %bb.377:
	s_wait_loadcnt 0x0
	v_cndmask_b32_e64 v2, 0, 1, s20
	v_mov_b32_e32 v4, 0
	s_mov_b32 s23, 0
	s_delay_alu instid0(VALU_DEP_2) | instskip(NEXT) | instid1(VALU_DEP_2)
	v_cvt_f64_u32_e32 v[2:3], v2
	v_mov_b32_e32 v5, v4
	global_store_b128 v[0:1], v[2:5], off
.LBB142_378:
	s_and_not1_b32 vcc_lo, exec_lo, s23
	s_cbranch_vccnz .LBB142_380
; %bb.379:
	s_wait_loadcnt 0x0
	v_cndmask_b32_e64 v2, 0, 1.0, s20
	v_mov_b32_e32 v3, 0
	global_store_b64 v[0:1], v[2:3], off
.LBB142_380:
	s_mov_b32 s23, 0
.LBB142_381:
	s_delay_alu instid0(SALU_CYCLE_1)
	s_and_not1_b32 vcc_lo, exec_lo, s23
	s_cbranch_vccnz .LBB142_383
; %bb.382:
	s_wait_loadcnt 0x0
	v_cndmask_b32_e64 v2, 0, 1.0, s20
	s_delay_alu instid0(VALU_DEP_1) | instskip(NEXT) | instid1(VALU_DEP_1)
	v_cvt_f16_f32_e32 v2, v2
	v_and_b32_e32 v2, 0xffff, v2
	global_store_b32 v[0:1], v2, off
.LBB142_383:
	s_mov_b32 s23, 0
.LBB142_384:
	s_delay_alu instid0(SALU_CYCLE_1)
	s_and_not1_b32 vcc_lo, exec_lo, s23
	s_cbranch_vccnz .LBB142_393
; %bb.385:
	s_cmp_lt_i32 s22, 6
	s_mov_b32 s23, -1
	s_cbranch_scc1 .LBB142_391
; %bb.386:
	s_cmp_gt_i32 s22, 6
	s_cbranch_scc0 .LBB142_388
; %bb.387:
	s_wait_loadcnt 0x0
	v_cndmask_b32_e64 v2, 0, 1, s20
	s_mov_b32 s23, 0
	s_delay_alu instid0(VALU_DEP_1)
	v_cvt_f64_u32_e32 v[2:3], v2
	global_store_b64 v[0:1], v[2:3], off
.LBB142_388:
	s_and_not1_b32 vcc_lo, exec_lo, s23
	s_cbranch_vccnz .LBB142_390
; %bb.389:
	s_wait_loadcnt 0x0
	v_cndmask_b32_e64 v2, 0, 1.0, s20
	global_store_b32 v[0:1], v2, off
.LBB142_390:
	s_mov_b32 s23, 0
.LBB142_391:
	s_delay_alu instid0(SALU_CYCLE_1)
	s_and_not1_b32 vcc_lo, exec_lo, s23
	s_cbranch_vccnz .LBB142_393
; %bb.392:
	s_wait_loadcnt 0x0
	v_cndmask_b32_e64 v2, 0, 1.0, s20
	s_delay_alu instid0(VALU_DEP_1)
	v_cvt_f16_f32_e32 v2, v2
	global_store_b16 v[0:1], v2, off
.LBB142_393:
	s_mov_b32 s23, 0
.LBB142_394:
	s_delay_alu instid0(SALU_CYCLE_1)
	s_and_not1_b32 vcc_lo, exec_lo, s23
	s_cbranch_vccnz .LBB142_410
; %bb.395:
	s_cmp_lt_i32 s22, 2
	s_mov_b32 s23, -1
	s_cbranch_scc1 .LBB142_405
; %bb.396:
	s_cmp_lt_i32 s22, 3
	s_cbranch_scc1 .LBB142_402
; %bb.397:
	s_cmp_gt_i32 s22, 3
	s_cbranch_scc0 .LBB142_399
; %bb.398:
	s_mov_b32 s23, 0
	s_wait_loadcnt 0x0
	v_cndmask_b32_e64 v2, 0, 1, s20
	v_mov_b32_e32 v3, s23
	global_store_b64 v[0:1], v[2:3], off
.LBB142_399:
	s_and_not1_b32 vcc_lo, exec_lo, s23
	s_cbranch_vccnz .LBB142_401
; %bb.400:
	s_wait_loadcnt 0x0
	v_cndmask_b32_e64 v2, 0, 1, s20
	global_store_b32 v[0:1], v2, off
.LBB142_401:
	s_mov_b32 s23, 0
.LBB142_402:
	s_delay_alu instid0(SALU_CYCLE_1)
	s_and_not1_b32 vcc_lo, exec_lo, s23
	s_cbranch_vccnz .LBB142_404
; %bb.403:
	s_wait_loadcnt 0x0
	v_cndmask_b32_e64 v2, 0, 1, s20
	global_store_b16 v[0:1], v2, off
.LBB142_404:
	s_mov_b32 s23, 0
.LBB142_405:
	s_delay_alu instid0(SALU_CYCLE_1)
	s_and_not1_b32 vcc_lo, exec_lo, s23
	s_cbranch_vccnz .LBB142_410
; %bb.406:
	s_wait_loadcnt 0x0
	v_cndmask_b32_e64 v2, 0, 1, s20
	s_cmp_gt_i32 s22, 0
	s_mov_b32 s20, -1
	s_cbranch_scc0 .LBB142_408
; %bb.407:
	s_mov_b32 s20, 0
	global_store_b8 v[0:1], v2, off
.LBB142_408:
	s_and_not1_b32 vcc_lo, exec_lo, s20
	s_cbranch_vccnz .LBB142_410
; %bb.409:
	global_store_b8 v[0:1], v2, off
.LBB142_410:
	s_mov_b32 s24, -1
.LBB142_411:
	s_delay_alu instid0(SALU_CYCLE_1)
	s_and_not1_b32 vcc_lo, exec_lo, s24
	s_cbranch_vccnz .LBB142_413
; %bb.412:
	v_add_nc_u32_e32 v6, 0x80, v6
	s_mov_b32 s22, -1
	s_branch .LBB142_531
.LBB142_413:
	s_mov_b32 s22, 0
	s_branch .LBB142_530
.LBB142_414:
	s_mov_b32 s19, -1
                                        ; implicit-def: $vgpr2
.LBB142_415:
	s_wait_loadcnt 0x0
	v_mov_b32_e32 v3, 0
.LBB142_416:
	s_mov_b32 s22, 0
.LBB142_417:
	s_delay_alu instid0(SALU_CYCLE_1)
	s_and_b32 vcc_lo, exec_lo, s22
	s_cbranch_vccz .LBB142_422
; %bb.418:
	s_cmp_eq_u32 s0, 29
	s_cbranch_scc0 .LBB142_420
; %bb.419:
	s_wait_loadcnt 0x0
	global_load_b64 v[2:3], v[0:1], off
	s_mov_b32 s20, -1
	s_mov_b32 s19, 0
	s_wait_loadcnt 0x0
	v_clz_i32_u32_e32 v4, v3
	s_delay_alu instid0(VALU_DEP_1) | instskip(NEXT) | instid1(VALU_DEP_1)
	v_min_u32_e32 v4, 32, v4
	v_lshlrev_b64_e32 v[2:3], v4, v[2:3]
	s_delay_alu instid0(VALU_DEP_1) | instskip(NEXT) | instid1(VALU_DEP_1)
	v_min_u32_e32 v2, 1, v2
	v_dual_sub_nc_u32 v3, 32, v4 :: v_dual_bitop2_b32 v2, v3, v2 bitop3:0x54
	s_delay_alu instid0(VALU_DEP_1) | instskip(NEXT) | instid1(VALU_DEP_1)
	v_cvt_f32_u32_e32 v2, v2
	v_ldexp_f32 v2, v2, v3
	s_branch .LBB142_421
.LBB142_420:
	s_mov_b32 s19, -1
                                        ; implicit-def: $vgpr2
.LBB142_421:
	s_wait_loadcnt 0x0
	v_mov_b32_e32 v3, 0
.LBB142_422:
	s_mov_b32 s22, 0
.LBB142_423:
	s_delay_alu instid0(SALU_CYCLE_1)
	s_and_b32 vcc_lo, exec_lo, s22
	s_cbranch_vccz .LBB142_441
; %bb.424:
	s_cmp_lt_i32 s0, 27
	s_cbranch_scc1 .LBB142_427
; %bb.425:
	s_cmp_gt_i32 s0, 27
	s_cbranch_scc0 .LBB142_428
; %bb.426:
	s_wait_loadcnt 0x0
	global_load_b32 v2, v[0:1], off
	s_mov_b32 s20, 0
	s_wait_loadcnt 0x0
	v_cvt_f32_u32_e32 v2, v2
	s_branch .LBB142_429
.LBB142_427:
	s_mov_b32 s20, -1
                                        ; implicit-def: $vgpr2
	s_branch .LBB142_432
.LBB142_428:
	s_mov_b32 s20, -1
                                        ; implicit-def: $vgpr2
.LBB142_429:
	s_delay_alu instid0(SALU_CYCLE_1)
	s_and_not1_b32 vcc_lo, exec_lo, s20
	s_cbranch_vccnz .LBB142_431
; %bb.430:
	s_wait_loadcnt 0x0
	global_load_u16 v2, v[0:1], off
	s_wait_loadcnt 0x0
	v_cvt_f32_u32_e32 v2, v2
.LBB142_431:
	s_mov_b32 s20, 0
.LBB142_432:
	s_delay_alu instid0(SALU_CYCLE_1)
	s_and_not1_b32 vcc_lo, exec_lo, s20
	s_cbranch_vccnz .LBB142_440
; %bb.433:
	s_wait_loadcnt 0x0
	global_load_u8 v3, v[0:1], off
	s_mov_b32 s20, 0
	s_mov_b32 s22, exec_lo
	s_wait_loadcnt 0x0
	v_cmpx_lt_i16_e32 0x7f, v3
	s_xor_b32 s22, exec_lo, s22
	s_cbranch_execz .LBB142_454
; %bb.434:
	s_mov_b32 s20, -1
	s_mov_b32 s23, exec_lo
	v_cmpx_eq_u16_e32 0x80, v3
; %bb.435:
	s_xor_b32 s20, exec_lo, -1
; %bb.436:
	s_or_b32 exec_lo, exec_lo, s23
	s_delay_alu instid0(SALU_CYCLE_1)
	s_and_b32 s20, s20, exec_lo
	s_or_saveexec_b32 s22, s22
	v_mov_b32_e32 v2, 0x7f800001
	s_xor_b32 exec_lo, exec_lo, s22
	s_cbranch_execnz .LBB142_455
.LBB142_437:
	s_or_b32 exec_lo, exec_lo, s22
	s_and_saveexec_b32 s22, s20
	s_cbranch_execz .LBB142_439
.LBB142_438:
	v_and_b32_e32 v2, 0xffff, v3
	s_delay_alu instid0(VALU_DEP_1) | instskip(SKIP_1) | instid1(VALU_DEP_2)
	v_and_b32_e32 v4, 7, v2
	v_bfe_u32 v8, v2, 3, 4
	v_clz_i32_u32_e32 v5, v4
	s_delay_alu instid0(VALU_DEP_2) | instskip(NEXT) | instid1(VALU_DEP_2)
	v_cmp_eq_u32_e32 vcc_lo, 0, v8
	v_min_u32_e32 v5, 32, v5
	s_delay_alu instid0(VALU_DEP_1) | instskip(NEXT) | instid1(VALU_DEP_1)
	v_subrev_nc_u32_e32 v7, 28, v5
	v_dual_lshlrev_b32 v2, v7, v2 :: v_dual_sub_nc_u32 v5, 29, v5
	s_delay_alu instid0(VALU_DEP_1) | instskip(NEXT) | instid1(VALU_DEP_2)
	v_dual_lshlrev_b32 v3, 24, v3 :: v_dual_bitop2_b32 v2, 7, v2 bitop3:0x40
	v_cndmask_b32_e32 v5, v8, v5, vcc_lo
	s_delay_alu instid0(VALU_DEP_2) | instskip(NEXT) | instid1(VALU_DEP_3)
	v_cndmask_b32_e32 v2, v4, v2, vcc_lo
	v_and_b32_e32 v3, 0x80000000, v3
	s_delay_alu instid0(VALU_DEP_3) | instskip(NEXT) | instid1(VALU_DEP_3)
	v_lshl_add_u32 v4, v5, 23, 0x3b800000
	v_lshlrev_b32_e32 v2, 20, v2
	s_delay_alu instid0(VALU_DEP_1)
	v_or3_b32 v2, v3, v4, v2
.LBB142_439:
	s_or_b32 exec_lo, exec_lo, s22
.LBB142_440:
	s_wait_loadcnt 0x0
	v_mov_b32_e32 v3, 0
	s_mov_b32 s20, -1
.LBB142_441:
	s_mov_b32 s22, 0
.LBB142_442:
	s_delay_alu instid0(SALU_CYCLE_1)
	s_and_b32 vcc_lo, exec_lo, s22
	s_cbranch_vccz .LBB142_478
; %bb.443:
	s_cmp_gt_i32 s0, 22
	s_cbranch_scc0 .LBB142_453
; %bb.444:
	s_cmp_lt_i32 s0, 24
	s_cbranch_scc1 .LBB142_456
; %bb.445:
	s_cmp_gt_i32 s0, 24
	s_cbranch_scc0 .LBB142_457
; %bb.446:
	s_wait_loadcnt 0x0
	global_load_u8 v3, v[0:1], off
	s_mov_b32 s20, 0
	s_mov_b32 s22, exec_lo
	s_wait_loadcnt 0x0
	v_cmpx_lt_i16_e32 0x7f, v3
	s_xor_b32 s22, exec_lo, s22
	s_cbranch_execz .LBB142_469
; %bb.447:
	s_mov_b32 s20, -1
	s_mov_b32 s23, exec_lo
	v_cmpx_eq_u16_e32 0x80, v3
; %bb.448:
	s_xor_b32 s20, exec_lo, -1
; %bb.449:
	s_or_b32 exec_lo, exec_lo, s23
	s_delay_alu instid0(SALU_CYCLE_1)
	s_and_b32 s20, s20, exec_lo
	s_or_saveexec_b32 s22, s22
	v_mov_b32_e32 v2, 0x7f800001
	s_xor_b32 exec_lo, exec_lo, s22
	s_cbranch_execnz .LBB142_470
.LBB142_450:
	s_or_b32 exec_lo, exec_lo, s22
	s_and_saveexec_b32 s22, s20
	s_cbranch_execz .LBB142_452
.LBB142_451:
	v_and_b32_e32 v2, 0xffff, v3
	s_delay_alu instid0(VALU_DEP_1) | instskip(SKIP_1) | instid1(VALU_DEP_2)
	v_and_b32_e32 v4, 3, v2
	v_bfe_u32 v8, v2, 2, 5
	v_clz_i32_u32_e32 v5, v4
	s_delay_alu instid0(VALU_DEP_2) | instskip(NEXT) | instid1(VALU_DEP_2)
	v_cmp_eq_u32_e32 vcc_lo, 0, v8
	v_min_u32_e32 v5, 32, v5
	s_delay_alu instid0(VALU_DEP_1) | instskip(NEXT) | instid1(VALU_DEP_1)
	v_subrev_nc_u32_e32 v7, 29, v5
	v_dual_lshlrev_b32 v2, v7, v2 :: v_dual_sub_nc_u32 v5, 30, v5
	s_delay_alu instid0(VALU_DEP_1) | instskip(NEXT) | instid1(VALU_DEP_2)
	v_dual_lshlrev_b32 v3, 24, v3 :: v_dual_bitop2_b32 v2, 3, v2 bitop3:0x40
	v_cndmask_b32_e32 v5, v8, v5, vcc_lo
	s_delay_alu instid0(VALU_DEP_2) | instskip(NEXT) | instid1(VALU_DEP_3)
	v_cndmask_b32_e32 v2, v4, v2, vcc_lo
	v_and_b32_e32 v3, 0x80000000, v3
	s_delay_alu instid0(VALU_DEP_3) | instskip(NEXT) | instid1(VALU_DEP_3)
	v_lshl_add_u32 v4, v5, 23, 0x37800000
	v_lshlrev_b32_e32 v2, 21, v2
	s_delay_alu instid0(VALU_DEP_1)
	v_or3_b32 v2, v3, v4, v2
.LBB142_452:
	s_or_b32 exec_lo, exec_lo, s22
	s_mov_b32 s20, 0
	s_branch .LBB142_458
.LBB142_453:
	s_mov_b32 s22, -1
                                        ; implicit-def: $vgpr2
	s_branch .LBB142_464
.LBB142_454:
	s_or_saveexec_b32 s22, s22
	v_mov_b32_e32 v2, 0x7f800001
	s_xor_b32 exec_lo, exec_lo, s22
	s_cbranch_execz .LBB142_437
.LBB142_455:
	v_cmp_ne_u16_e32 vcc_lo, 0, v3
	v_mov_b32_e32 v2, 0
	s_and_not1_b32 s20, s20, exec_lo
	s_and_b32 s23, vcc_lo, exec_lo
	s_delay_alu instid0(SALU_CYCLE_1)
	s_or_b32 s20, s20, s23
	s_or_b32 exec_lo, exec_lo, s22
	s_and_saveexec_b32 s22, s20
	s_cbranch_execnz .LBB142_438
	s_branch .LBB142_439
.LBB142_456:
	s_mov_b32 s20, -1
                                        ; implicit-def: $vgpr2
	s_branch .LBB142_461
.LBB142_457:
	s_mov_b32 s20, -1
                                        ; implicit-def: $vgpr2
.LBB142_458:
	s_delay_alu instid0(SALU_CYCLE_1)
	s_and_b32 vcc_lo, exec_lo, s20
	s_cbranch_vccz .LBB142_460
; %bb.459:
	s_wait_loadcnt 0x0
	global_load_u8 v2, v[0:1], off
	s_wait_loadcnt 0x0
	v_lshlrev_b32_e32 v2, 24, v2
	s_delay_alu instid0(VALU_DEP_1) | instskip(NEXT) | instid1(VALU_DEP_1)
	v_and_b32_e32 v3, 0x7f000000, v2
	v_clz_i32_u32_e32 v4, v3
	v_add_nc_u32_e32 v7, 0x1000000, v3
	v_cmp_ne_u32_e32 vcc_lo, 0, v3
	s_delay_alu instid0(VALU_DEP_3) | instskip(NEXT) | instid1(VALU_DEP_1)
	v_min_u32_e32 v4, 32, v4
	v_sub_nc_u32_e64 v4, v4, 4 clamp
	s_delay_alu instid0(VALU_DEP_1) | instskip(NEXT) | instid1(VALU_DEP_1)
	v_dual_lshlrev_b32 v5, v4, v3 :: v_dual_lshlrev_b32 v4, 23, v4
	v_lshrrev_b32_e32 v5, 4, v5
	s_delay_alu instid0(VALU_DEP_1) | instskip(NEXT) | instid1(VALU_DEP_1)
	v_dual_sub_nc_u32 v4, v5, v4 :: v_dual_ashrrev_i32 v5, 8, v7
	v_add_nc_u32_e32 v4, 0x3c000000, v4
	s_delay_alu instid0(VALU_DEP_1) | instskip(NEXT) | instid1(VALU_DEP_1)
	v_and_or_b32 v4, 0x7f800000, v5, v4
	v_cndmask_b32_e32 v3, 0, v4, vcc_lo
	s_delay_alu instid0(VALU_DEP_1)
	v_and_or_b32 v2, 0x80000000, v2, v3
.LBB142_460:
	s_mov_b32 s20, 0
.LBB142_461:
	s_delay_alu instid0(SALU_CYCLE_1)
	s_and_not1_b32 vcc_lo, exec_lo, s20
	s_cbranch_vccnz .LBB142_463
; %bb.462:
	s_wait_loadcnt 0x0
	global_load_u8 v2, v[0:1], off
	s_wait_loadcnt 0x0
	v_lshlrev_b32_e32 v3, 25, v2
	v_lshlrev_b16 v2, 8, v2
	s_delay_alu instid0(VALU_DEP_1) | instskip(SKIP_1) | instid1(VALU_DEP_2)
	v_and_or_b32 v5, 0x7f00, v2, 0.5
	v_bfe_i32 v2, v2, 0, 16
	v_dual_add_f32 v5, -0.5, v5 :: v_dual_lshrrev_b32 v4, 4, v3
	v_cmp_gt_u32_e32 vcc_lo, 0x8000000, v3
	s_delay_alu instid0(VALU_DEP_2) | instskip(NEXT) | instid1(VALU_DEP_1)
	v_or_b32_e32 v4, 0x70000000, v4
	v_mul_f32_e32 v4, 0x7800000, v4
	s_delay_alu instid0(VALU_DEP_1) | instskip(NEXT) | instid1(VALU_DEP_1)
	v_cndmask_b32_e32 v3, v4, v5, vcc_lo
	v_and_or_b32 v2, 0x80000000, v2, v3
.LBB142_463:
	s_mov_b32 s22, 0
	s_mov_b32 s20, -1
.LBB142_464:
	s_and_not1_b32 vcc_lo, exec_lo, s22
	s_cbranch_vccnz .LBB142_477
; %bb.465:
	s_cmp_gt_i32 s0, 14
	s_cbranch_scc0 .LBB142_468
; %bb.466:
	s_cmp_eq_u32 s0, 15
	s_cbranch_scc0 .LBB142_471
; %bb.467:
	s_wait_loadcnt 0x0
	global_load_u16 v2, v[0:1], off
	s_mov_b32 s20, -1
	s_mov_b32 s19, 0
	s_wait_loadcnt 0x0
	v_lshlrev_b32_e32 v2, 16, v2
	s_branch .LBB142_472
.LBB142_468:
	s_mov_b32 s22, -1
                                        ; implicit-def: $vgpr2
	s_branch .LBB142_473
.LBB142_469:
	s_or_saveexec_b32 s22, s22
	v_mov_b32_e32 v2, 0x7f800001
	s_xor_b32 exec_lo, exec_lo, s22
	s_cbranch_execz .LBB142_450
.LBB142_470:
	v_cmp_ne_u16_e32 vcc_lo, 0, v3
	v_mov_b32_e32 v2, 0
	s_and_not1_b32 s20, s20, exec_lo
	s_and_b32 s23, vcc_lo, exec_lo
	s_delay_alu instid0(SALU_CYCLE_1)
	s_or_b32 s20, s20, s23
	s_or_b32 exec_lo, exec_lo, s22
	s_and_saveexec_b32 s22, s20
	s_cbranch_execnz .LBB142_451
	s_branch .LBB142_452
.LBB142_471:
	s_mov_b32 s19, -1
                                        ; implicit-def: $vgpr2
.LBB142_472:
	s_mov_b32 s22, 0
.LBB142_473:
	s_delay_alu instid0(SALU_CYCLE_1)
	s_and_b32 vcc_lo, exec_lo, s22
	s_cbranch_vccz .LBB142_477
; %bb.474:
	s_cmp_eq_u32 s0, 11
	s_cbranch_scc0 .LBB142_476
; %bb.475:
	s_wait_loadcnt 0x0
	global_load_u8 v2, v[0:1], off
	s_mov_b32 s19, 0
	s_mov_b32 s20, -1
	v_mov_b32_e32 v3, 0
	s_wait_loadcnt 0x0
	v_cmp_ne_u16_e32 vcc_lo, 0, v2
	v_cndmask_b32_e64 v2, 0, 1.0, vcc_lo
	s_branch .LBB142_478
.LBB142_476:
	s_mov_b32 s19, -1
                                        ; implicit-def: $vgpr2
.LBB142_477:
	s_wait_loadcnt 0x0
	v_mov_b32_e32 v3, 0
.LBB142_478:
	s_branch .LBB142_273
.LBB142_479:
	s_cmp_lt_i32 s0, 5
	s_cbranch_scc1 .LBB142_484
; %bb.480:
	s_cmp_lt_i32 s0, 8
	s_cbranch_scc1 .LBB142_485
; %bb.481:
	;; [unrolled: 3-line block ×3, first 2 shown]
	s_cmp_gt_i32 s0, 9
	s_cbranch_scc0 .LBB142_487
; %bb.483:
	s_wait_loadcnt 0x0
	global_load_b128 v[2:5], v[0:1], off
	s_mov_b32 s20, 0
	s_wait_loadcnt 0x0
	v_cvt_f32_f64_e32 v2, v[2:3]
	v_cvt_f32_f64_e32 v3, v[4:5]
	s_branch .LBB142_488
.LBB142_484:
	s_mov_b32 s20, -1
                                        ; implicit-def: $vgpr3
	s_branch .LBB142_507
.LBB142_485:
	s_mov_b32 s20, -1
                                        ; implicit-def: $vgpr3
	s_branch .LBB142_494
.LBB142_486:
	s_mov_b32 s20, -1
                                        ; implicit-def: $vgpr3
	s_branch .LBB142_491
.LBB142_487:
	s_mov_b32 s20, -1
                                        ; implicit-def: $vgpr3
.LBB142_488:
	s_delay_alu instid0(SALU_CYCLE_1)
	s_and_not1_b32 vcc_lo, exec_lo, s20
	s_cbranch_vccnz .LBB142_490
; %bb.489:
	s_wait_loadcnt 0x0
	global_load_b64 v[2:3], v[0:1], off
.LBB142_490:
	s_mov_b32 s20, 0
.LBB142_491:
	s_delay_alu instid0(SALU_CYCLE_1)
	s_and_not1_b32 vcc_lo, exec_lo, s20
	s_cbranch_vccnz .LBB142_493
; %bb.492:
	s_wait_loadcnt 0x0
	global_load_b32 v2, v[0:1], off
	s_wait_loadcnt 0x0
	v_lshrrev_b32_e32 v3, 16, v2
	v_cvt_f32_f16_e32 v2, v2
	s_delay_alu instid0(VALU_DEP_2)
	v_cvt_f32_f16_e32 v3, v3
.LBB142_493:
	s_mov_b32 s20, 0
.LBB142_494:
	s_delay_alu instid0(SALU_CYCLE_1)
	s_and_not1_b32 vcc_lo, exec_lo, s20
	s_cbranch_vccnz .LBB142_506
; %bb.495:
	s_cmp_lt_i32 s0, 6
	s_cbranch_scc1 .LBB142_498
; %bb.496:
	s_cmp_gt_i32 s0, 6
	s_cbranch_scc0 .LBB142_499
; %bb.497:
	s_wait_loadcnt 0x0
	global_load_b64 v[2:3], v[0:1], off
	s_mov_b32 s20, 0
	s_wait_loadcnt 0x0
	v_cvt_f32_f64_e32 v2, v[2:3]
	s_branch .LBB142_500
.LBB142_498:
	s_mov_b32 s20, -1
                                        ; implicit-def: $vgpr2
	s_branch .LBB142_503
.LBB142_499:
	s_mov_b32 s20, -1
                                        ; implicit-def: $vgpr2
.LBB142_500:
	s_delay_alu instid0(SALU_CYCLE_1)
	s_and_not1_b32 vcc_lo, exec_lo, s20
	s_cbranch_vccnz .LBB142_502
; %bb.501:
	s_wait_loadcnt 0x0
	global_load_b32 v2, v[0:1], off
.LBB142_502:
	s_mov_b32 s20, 0
.LBB142_503:
	s_delay_alu instid0(SALU_CYCLE_1)
	s_and_not1_b32 vcc_lo, exec_lo, s20
	s_cbranch_vccnz .LBB142_505
; %bb.504:
	s_wait_loadcnt 0x0
	global_load_u16 v2, v[0:1], off
	s_wait_loadcnt 0x0
	v_cvt_f32_f16_e32 v2, v2
.LBB142_505:
	s_wait_loadcnt 0x0
	v_mov_b32_e32 v3, 0
.LBB142_506:
	s_mov_b32 s20, 0
.LBB142_507:
	s_delay_alu instid0(SALU_CYCLE_1)
	s_and_not1_b32 vcc_lo, exec_lo, s20
	s_cbranch_vccnz .LBB142_528
; %bb.508:
	s_cmp_lt_i32 s0, 2
	s_cbranch_scc1 .LBB142_512
; %bb.509:
	s_cmp_lt_i32 s0, 3
	s_cbranch_scc1 .LBB142_513
; %bb.510:
	s_cmp_gt_i32 s0, 3
	s_cbranch_scc0 .LBB142_514
; %bb.511:
	s_wait_loadcnt 0x0
	global_load_b64 v[2:3], v[0:1], off
	s_mov_b32 s20, 0
	s_wait_loadcnt 0x0
	v_xor_b32_e32 v4, v2, v3
	v_cls_i32_e32 v5, v3
	s_delay_alu instid0(VALU_DEP_2) | instskip(NEXT) | instid1(VALU_DEP_1)
	v_ashrrev_i32_e32 v4, 31, v4
	v_add_nc_u32_e32 v4, 32, v4
	s_delay_alu instid0(VALU_DEP_1) | instskip(NEXT) | instid1(VALU_DEP_1)
	v_add_min_u32_e64 v4, v5, -1, v4
	v_lshlrev_b64_e32 v[2:3], v4, v[2:3]
	s_delay_alu instid0(VALU_DEP_1) | instskip(NEXT) | instid1(VALU_DEP_1)
	v_min_u32_e32 v2, 1, v2
	v_dual_sub_nc_u32 v3, 32, v4 :: v_dual_bitop2_b32 v2, v3, v2 bitop3:0x54
	s_delay_alu instid0(VALU_DEP_1) | instskip(NEXT) | instid1(VALU_DEP_1)
	v_cvt_f32_i32_e32 v2, v2
	v_ldexp_f32 v2, v2, v3
	s_branch .LBB142_515
.LBB142_512:
	s_mov_b32 s20, -1
                                        ; implicit-def: $vgpr2
	s_branch .LBB142_521
.LBB142_513:
	s_mov_b32 s20, -1
                                        ; implicit-def: $vgpr2
	s_branch .LBB142_518
.LBB142_514:
	s_mov_b32 s20, -1
                                        ; implicit-def: $vgpr2
.LBB142_515:
	s_delay_alu instid0(SALU_CYCLE_1)
	s_and_not1_b32 vcc_lo, exec_lo, s20
	s_cbranch_vccnz .LBB142_517
; %bb.516:
	s_wait_loadcnt 0x0
	global_load_b32 v2, v[0:1], off
	s_wait_loadcnt 0x0
	v_cvt_f32_i32_e32 v2, v2
.LBB142_517:
	s_mov_b32 s20, 0
.LBB142_518:
	s_delay_alu instid0(SALU_CYCLE_1)
	s_and_not1_b32 vcc_lo, exec_lo, s20
	s_cbranch_vccnz .LBB142_520
; %bb.519:
	s_wait_loadcnt 0x0
	global_load_i16 v2, v[0:1], off
	s_wait_loadcnt 0x0
	v_cvt_f32_i32_e32 v2, v2
.LBB142_520:
	s_mov_b32 s20, 0
.LBB142_521:
	s_delay_alu instid0(SALU_CYCLE_1)
	s_and_not1_b32 vcc_lo, exec_lo, s20
	s_cbranch_vccnz .LBB142_527
; %bb.522:
	s_cmp_gt_i32 s0, 0
	s_mov_b32 s0, 0
	s_cbranch_scc0 .LBB142_524
; %bb.523:
	s_wait_loadcnt 0x0
	global_load_i8 v2, v[0:1], off
	s_wait_loadcnt 0x0
	v_cvt_f32_i32_e32 v2, v2
	s_branch .LBB142_525
.LBB142_524:
	s_mov_b32 s0, -1
                                        ; implicit-def: $vgpr2
.LBB142_525:
	s_delay_alu instid0(SALU_CYCLE_1)
	s_and_not1_b32 vcc_lo, exec_lo, s0
	s_cbranch_vccnz .LBB142_527
; %bb.526:
	global_load_u8 v0, v[0:1], off
	s_wait_loadcnt 0x0
	v_cvt_f32_ubyte0_e32 v2, v0
.LBB142_527:
	s_wait_loadcnt 0x0
	v_mov_b32_e32 v3, 0
.LBB142_528:
	s_branch .LBB142_274
.LBB142_529:
	s_mov_b32 s22, 0
	s_mov_b32 s0, s16
.LBB142_530:
                                        ; implicit-def: $vgpr6
.LBB142_531:
	s_and_not1_b32 s20, s16, exec_lo
	s_and_b32 s0, s0, exec_lo
	s_and_not1_b32 s23, s17, exec_lo
	s_and_b32 s19, s19, exec_lo
	s_or_b32 s20, s20, s0
	s_or_b32 s19, s23, s19
	s_or_not1_b32 s0, s22, exec_lo
.LBB142_532:
	s_wait_xcnt 0x0
	s_or_b32 exec_lo, exec_lo, s21
	s_mov_b32 s22, 0
	s_mov_b32 s23, 0
	;; [unrolled: 1-line block ×3, first 2 shown]
                                        ; implicit-def: $vgpr0_vgpr1
                                        ; implicit-def: $vgpr3
	s_and_saveexec_b32 s21, s0
	s_cbranch_execz .LBB142_892
; %bb.533:
	s_mov_b32 s24, -1
	s_mov_b32 s0, s19
	s_mov_b32 s23, s20
	s_mov_b32 s22, exec_lo
	v_cmpx_gt_i32_e64 s15, v6
	s_cbranch_execz .LBB142_803
; %bb.534:
	v_mul_lo_u32 v0, v6, s9
	s_and_b32 s0, 0xffff, s2
	s_delay_alu instid0(SALU_CYCLE_1) | instskip(NEXT) | instid1(VALU_DEP_1)
	s_cmp_lt_i32 s0, 11
	v_ashrrev_i32_e32 v1, 31, v0
	s_delay_alu instid0(VALU_DEP_1)
	v_add_nc_u64_e32 v[0:1], s[6:7], v[0:1]
	s_cbranch_scc1 .LBB142_541
; %bb.535:
	s_cmp_gt_i32 s0, 25
	s_cbranch_scc0 .LBB142_542
; %bb.536:
	s_cmp_gt_i32 s0, 28
	s_cbranch_scc0 .LBB142_543
	;; [unrolled: 3-line block ×4, first 2 shown]
; %bb.539:
	s_cmp_eq_u32 s0, 46
	s_mov_b32 s25, 0
	s_cbranch_scc0 .LBB142_550
; %bb.540:
	s_wait_loadcnt 0x0
	global_load_b32 v2, v[0:1], off
	s_mov_b32 s23, 0
	s_wait_loadcnt 0x0
	v_and_b32_e32 v3, 0xffff0000, v2
	v_lshlrev_b32_e32 v2, 16, v2
	s_branch .LBB142_552
.LBB142_541:
	s_mov_b32 s25, -1
	s_mov_b32 s24, 0
	s_mov_b32 s23, s19
                                        ; implicit-def: $vgpr3
	s_branch .LBB142_620
.LBB142_542:
	s_mov_b32 s25, -1
	s_mov_b32 s24, 0
	s_mov_b32 s23, s19
                                        ; implicit-def: $vgpr3
	s_branch .LBB142_583
.LBB142_543:
	s_mov_b32 s25, -1
	s_mov_b32 s24, 0
	s_mov_b32 s23, s19
                                        ; implicit-def: $vgpr3
	s_branch .LBB142_564
.LBB142_544:
	s_mov_b32 s25, -1
	s_mov_b32 s24, 0
	s_mov_b32 s23, s19
                                        ; implicit-def: $vgpr3
	s_branch .LBB142_558
.LBB142_545:
	s_and_not1_saveexec_b32 s26, s26
	s_cbranch_execz .LBB142_324
.LBB142_546:
	v_add_f32_e32 v2, 0x46000000, v3
	s_and_not1_b32 s25, s25, exec_lo
	s_delay_alu instid0(VALU_DEP_1) | instskip(NEXT) | instid1(VALU_DEP_1)
	v_and_b32_e32 v2, 0xff, v2
	v_cmp_ne_u32_e32 vcc_lo, 0, v2
	s_and_b32 s27, vcc_lo, exec_lo
	s_delay_alu instid0(SALU_CYCLE_1)
	s_or_b32 s25, s25, s27
	s_or_b32 exec_lo, exec_lo, s26
	v_mov_b32_e32 v4, 0
	s_and_saveexec_b32 s26, s25
	s_cbranch_execnz .LBB142_325
	s_branch .LBB142_326
.LBB142_547:
	s_mov_b32 s25, -1
	s_mov_b32 s24, 0
	s_mov_b32 s23, s19
	s_branch .LBB142_551
.LBB142_548:
	s_and_not1_saveexec_b32 s26, s26
	s_cbranch_execz .LBB142_337
.LBB142_549:
	v_add_f32_e32 v2, 0x42800000, v3
	s_and_not1_b32 s25, s25, exec_lo
	s_delay_alu instid0(VALU_DEP_1) | instskip(NEXT) | instid1(VALU_DEP_1)
	v_and_b32_e32 v2, 0xff, v2
	v_cmp_ne_u32_e32 vcc_lo, 0, v2
	s_and_b32 s27, vcc_lo, exec_lo
	s_delay_alu instid0(SALU_CYCLE_1)
	s_or_b32 s25, s25, s27
	s_or_b32 exec_lo, exec_lo, s26
	v_mov_b32_e32 v4, 0
	s_and_saveexec_b32 s26, s25
	s_cbranch_execnz .LBB142_338
	s_branch .LBB142_339
.LBB142_550:
	s_mov_b32 s23, -1
	s_mov_b32 s24, 0
.LBB142_551:
                                        ; implicit-def: $vgpr3
.LBB142_552:
	s_and_b32 vcc_lo, exec_lo, s25
	s_cbranch_vccz .LBB142_557
; %bb.553:
	s_cmp_eq_u32 s0, 44
	s_cbranch_scc0 .LBB142_555
; %bb.554:
	s_wait_loadcnt 0x0
	global_load_u8 v2, v[0:1], off
	s_mov_b32 s23, 0
	s_mov_b32 s24, -1
	s_wait_loadcnt 0x0
	v_lshlrev_b32_e32 v3, 23, v2
	v_cmp_ne_u32_e32 vcc_lo, 0xff, v2
	s_delay_alu instid0(VALU_DEP_2) | instskip(SKIP_1) | instid1(VALU_DEP_2)
	v_cndmask_b32_e32 v3, 0x7f800001, v3, vcc_lo
	v_cmp_ne_u32_e32 vcc_lo, 0, v2
	v_cndmask_b32_e32 v2, 0x400000, v3, vcc_lo
	s_branch .LBB142_556
.LBB142_555:
	s_mov_b32 s23, -1
                                        ; implicit-def: $vgpr2
.LBB142_556:
	s_wait_loadcnt 0x0
	v_mov_b32_e32 v3, 0
.LBB142_557:
	s_mov_b32 s25, 0
.LBB142_558:
	s_delay_alu instid0(SALU_CYCLE_1)
	s_and_b32 vcc_lo, exec_lo, s25
	s_cbranch_vccz .LBB142_563
; %bb.559:
	s_cmp_eq_u32 s0, 29
	s_cbranch_scc0 .LBB142_561
; %bb.560:
	s_wait_loadcnt 0x0
	global_load_b64 v[2:3], v[0:1], off
	s_mov_b32 s24, -1
	s_mov_b32 s23, 0
	s_wait_loadcnt 0x0
	v_clz_i32_u32_e32 v4, v3
	s_delay_alu instid0(VALU_DEP_1) | instskip(NEXT) | instid1(VALU_DEP_1)
	v_min_u32_e32 v4, 32, v4
	v_lshlrev_b64_e32 v[2:3], v4, v[2:3]
	s_delay_alu instid0(VALU_DEP_1) | instskip(NEXT) | instid1(VALU_DEP_1)
	v_min_u32_e32 v2, 1, v2
	v_dual_sub_nc_u32 v3, 32, v4 :: v_dual_bitop2_b32 v2, v3, v2 bitop3:0x54
	s_delay_alu instid0(VALU_DEP_1) | instskip(NEXT) | instid1(VALU_DEP_1)
	v_cvt_f32_u32_e32 v2, v2
	v_ldexp_f32 v2, v2, v3
	s_branch .LBB142_562
.LBB142_561:
	s_mov_b32 s23, -1
                                        ; implicit-def: $vgpr2
.LBB142_562:
	s_wait_loadcnt 0x0
	v_mov_b32_e32 v3, 0
.LBB142_563:
	s_mov_b32 s25, 0
.LBB142_564:
	s_delay_alu instid0(SALU_CYCLE_1)
	s_and_b32 vcc_lo, exec_lo, s25
	s_cbranch_vccz .LBB142_582
; %bb.565:
	s_cmp_lt_i32 s0, 27
	s_cbranch_scc1 .LBB142_568
; %bb.566:
	s_cmp_gt_i32 s0, 27
	s_cbranch_scc0 .LBB142_569
; %bb.567:
	s_wait_loadcnt 0x0
	global_load_b32 v2, v[0:1], off
	s_mov_b32 s24, 0
	s_wait_loadcnt 0x0
	v_cvt_f32_u32_e32 v2, v2
	s_branch .LBB142_570
.LBB142_568:
	s_mov_b32 s24, -1
                                        ; implicit-def: $vgpr2
	s_branch .LBB142_573
.LBB142_569:
	s_mov_b32 s24, -1
                                        ; implicit-def: $vgpr2
.LBB142_570:
	s_delay_alu instid0(SALU_CYCLE_1)
	s_and_not1_b32 vcc_lo, exec_lo, s24
	s_cbranch_vccnz .LBB142_572
; %bb.571:
	s_wait_loadcnt 0x0
	global_load_u16 v2, v[0:1], off
	s_wait_loadcnt 0x0
	v_cvt_f32_u32_e32 v2, v2
.LBB142_572:
	s_mov_b32 s24, 0
.LBB142_573:
	s_delay_alu instid0(SALU_CYCLE_1)
	s_and_not1_b32 vcc_lo, exec_lo, s24
	s_cbranch_vccnz .LBB142_581
; %bb.574:
	s_wait_loadcnt 0x0
	global_load_u8 v3, v[0:1], off
	s_mov_b32 s24, 0
	s_mov_b32 s25, exec_lo
	s_wait_loadcnt 0x0
	v_cmpx_lt_i16_e32 0x7f, v3
	s_xor_b32 s25, exec_lo, s25
	s_cbranch_execz .LBB142_595
; %bb.575:
	s_mov_b32 s24, -1
	s_mov_b32 s26, exec_lo
	v_cmpx_eq_u16_e32 0x80, v3
; %bb.576:
	s_xor_b32 s24, exec_lo, -1
; %bb.577:
	s_or_b32 exec_lo, exec_lo, s26
	s_delay_alu instid0(SALU_CYCLE_1)
	s_and_b32 s24, s24, exec_lo
	s_or_saveexec_b32 s25, s25
	v_mov_b32_e32 v2, 0x7f800001
	s_xor_b32 exec_lo, exec_lo, s25
	s_cbranch_execnz .LBB142_596
.LBB142_578:
	s_or_b32 exec_lo, exec_lo, s25
	s_and_saveexec_b32 s25, s24
	s_cbranch_execz .LBB142_580
.LBB142_579:
	v_and_b32_e32 v2, 0xffff, v3
	s_delay_alu instid0(VALU_DEP_1) | instskip(SKIP_1) | instid1(VALU_DEP_2)
	v_and_b32_e32 v4, 7, v2
	v_bfe_u32 v8, v2, 3, 4
	v_clz_i32_u32_e32 v5, v4
	s_delay_alu instid0(VALU_DEP_2) | instskip(NEXT) | instid1(VALU_DEP_2)
	v_cmp_eq_u32_e32 vcc_lo, 0, v8
	v_min_u32_e32 v5, 32, v5
	s_delay_alu instid0(VALU_DEP_1) | instskip(NEXT) | instid1(VALU_DEP_1)
	v_subrev_nc_u32_e32 v7, 28, v5
	v_dual_lshlrev_b32 v2, v7, v2 :: v_dual_sub_nc_u32 v5, 29, v5
	s_delay_alu instid0(VALU_DEP_1) | instskip(NEXT) | instid1(VALU_DEP_2)
	v_dual_lshlrev_b32 v3, 24, v3 :: v_dual_bitop2_b32 v2, 7, v2 bitop3:0x40
	v_cndmask_b32_e32 v5, v8, v5, vcc_lo
	s_delay_alu instid0(VALU_DEP_2) | instskip(NEXT) | instid1(VALU_DEP_3)
	v_cndmask_b32_e32 v2, v4, v2, vcc_lo
	v_and_b32_e32 v3, 0x80000000, v3
	s_delay_alu instid0(VALU_DEP_3) | instskip(NEXT) | instid1(VALU_DEP_3)
	v_lshl_add_u32 v4, v5, 23, 0x3b800000
	v_lshlrev_b32_e32 v2, 20, v2
	s_delay_alu instid0(VALU_DEP_1)
	v_or3_b32 v2, v3, v4, v2
.LBB142_580:
	s_or_b32 exec_lo, exec_lo, s25
.LBB142_581:
	s_wait_loadcnt 0x0
	v_mov_b32_e32 v3, 0
	s_mov_b32 s24, -1
.LBB142_582:
	s_mov_b32 s25, 0
.LBB142_583:
	s_delay_alu instid0(SALU_CYCLE_1)
	s_and_b32 vcc_lo, exec_lo, s25
	s_cbranch_vccz .LBB142_619
; %bb.584:
	s_cmp_gt_i32 s0, 22
	s_cbranch_scc0 .LBB142_594
; %bb.585:
	s_cmp_lt_i32 s0, 24
	s_cbranch_scc1 .LBB142_597
; %bb.586:
	s_cmp_gt_i32 s0, 24
	s_cbranch_scc0 .LBB142_598
; %bb.587:
	s_wait_loadcnt 0x0
	global_load_u8 v3, v[0:1], off
	s_mov_b32 s24, 0
	s_mov_b32 s25, exec_lo
	s_wait_loadcnt 0x0
	v_cmpx_lt_i16_e32 0x7f, v3
	s_xor_b32 s25, exec_lo, s25
	s_cbranch_execz .LBB142_610
; %bb.588:
	s_mov_b32 s24, -1
	s_mov_b32 s26, exec_lo
	v_cmpx_eq_u16_e32 0x80, v3
; %bb.589:
	s_xor_b32 s24, exec_lo, -1
; %bb.590:
	s_or_b32 exec_lo, exec_lo, s26
	s_delay_alu instid0(SALU_CYCLE_1)
	s_and_b32 s24, s24, exec_lo
	s_or_saveexec_b32 s25, s25
	v_mov_b32_e32 v2, 0x7f800001
	s_xor_b32 exec_lo, exec_lo, s25
	s_cbranch_execnz .LBB142_611
.LBB142_591:
	s_or_b32 exec_lo, exec_lo, s25
	s_and_saveexec_b32 s25, s24
	s_cbranch_execz .LBB142_593
.LBB142_592:
	v_and_b32_e32 v2, 0xffff, v3
	s_delay_alu instid0(VALU_DEP_1) | instskip(SKIP_1) | instid1(VALU_DEP_2)
	v_and_b32_e32 v4, 3, v2
	v_bfe_u32 v8, v2, 2, 5
	v_clz_i32_u32_e32 v5, v4
	s_delay_alu instid0(VALU_DEP_2) | instskip(NEXT) | instid1(VALU_DEP_2)
	v_cmp_eq_u32_e32 vcc_lo, 0, v8
	v_min_u32_e32 v5, 32, v5
	s_delay_alu instid0(VALU_DEP_1) | instskip(NEXT) | instid1(VALU_DEP_1)
	v_subrev_nc_u32_e32 v7, 29, v5
	v_dual_lshlrev_b32 v2, v7, v2 :: v_dual_sub_nc_u32 v5, 30, v5
	s_delay_alu instid0(VALU_DEP_1) | instskip(NEXT) | instid1(VALU_DEP_2)
	v_dual_lshlrev_b32 v3, 24, v3 :: v_dual_bitop2_b32 v2, 3, v2 bitop3:0x40
	v_cndmask_b32_e32 v5, v8, v5, vcc_lo
	s_delay_alu instid0(VALU_DEP_2) | instskip(NEXT) | instid1(VALU_DEP_3)
	v_cndmask_b32_e32 v2, v4, v2, vcc_lo
	v_and_b32_e32 v3, 0x80000000, v3
	s_delay_alu instid0(VALU_DEP_3) | instskip(NEXT) | instid1(VALU_DEP_3)
	v_lshl_add_u32 v4, v5, 23, 0x37800000
	v_lshlrev_b32_e32 v2, 21, v2
	s_delay_alu instid0(VALU_DEP_1)
	v_or3_b32 v2, v3, v4, v2
.LBB142_593:
	s_or_b32 exec_lo, exec_lo, s25
	s_mov_b32 s24, 0
	s_branch .LBB142_599
.LBB142_594:
	s_mov_b32 s25, -1
                                        ; implicit-def: $vgpr2
	s_branch .LBB142_605
.LBB142_595:
	s_or_saveexec_b32 s25, s25
	v_mov_b32_e32 v2, 0x7f800001
	s_xor_b32 exec_lo, exec_lo, s25
	s_cbranch_execz .LBB142_578
.LBB142_596:
	v_cmp_ne_u16_e32 vcc_lo, 0, v3
	v_mov_b32_e32 v2, 0
	s_and_not1_b32 s24, s24, exec_lo
	s_and_b32 s26, vcc_lo, exec_lo
	s_delay_alu instid0(SALU_CYCLE_1)
	s_or_b32 s24, s24, s26
	s_or_b32 exec_lo, exec_lo, s25
	s_and_saveexec_b32 s25, s24
	s_cbranch_execnz .LBB142_579
	s_branch .LBB142_580
.LBB142_597:
	s_mov_b32 s24, -1
                                        ; implicit-def: $vgpr2
	s_branch .LBB142_602
.LBB142_598:
	s_mov_b32 s24, -1
                                        ; implicit-def: $vgpr2
.LBB142_599:
	s_delay_alu instid0(SALU_CYCLE_1)
	s_and_b32 vcc_lo, exec_lo, s24
	s_cbranch_vccz .LBB142_601
; %bb.600:
	s_wait_loadcnt 0x0
	global_load_u8 v2, v[0:1], off
	s_wait_loadcnt 0x0
	v_lshlrev_b32_e32 v2, 24, v2
	s_delay_alu instid0(VALU_DEP_1) | instskip(NEXT) | instid1(VALU_DEP_1)
	v_and_b32_e32 v3, 0x7f000000, v2
	v_clz_i32_u32_e32 v4, v3
	v_add_nc_u32_e32 v7, 0x1000000, v3
	v_cmp_ne_u32_e32 vcc_lo, 0, v3
	s_delay_alu instid0(VALU_DEP_3) | instskip(NEXT) | instid1(VALU_DEP_1)
	v_min_u32_e32 v4, 32, v4
	v_sub_nc_u32_e64 v4, v4, 4 clamp
	s_delay_alu instid0(VALU_DEP_1) | instskip(NEXT) | instid1(VALU_DEP_1)
	v_dual_lshlrev_b32 v5, v4, v3 :: v_dual_lshlrev_b32 v4, 23, v4
	v_lshrrev_b32_e32 v5, 4, v5
	s_delay_alu instid0(VALU_DEP_1) | instskip(NEXT) | instid1(VALU_DEP_1)
	v_dual_sub_nc_u32 v4, v5, v4 :: v_dual_ashrrev_i32 v5, 8, v7
	v_add_nc_u32_e32 v4, 0x3c000000, v4
	s_delay_alu instid0(VALU_DEP_1) | instskip(NEXT) | instid1(VALU_DEP_1)
	v_and_or_b32 v4, 0x7f800000, v5, v4
	v_cndmask_b32_e32 v3, 0, v4, vcc_lo
	s_delay_alu instid0(VALU_DEP_1)
	v_and_or_b32 v2, 0x80000000, v2, v3
.LBB142_601:
	s_mov_b32 s24, 0
.LBB142_602:
	s_delay_alu instid0(SALU_CYCLE_1)
	s_and_not1_b32 vcc_lo, exec_lo, s24
	s_cbranch_vccnz .LBB142_604
; %bb.603:
	s_wait_loadcnt 0x0
	global_load_u8 v2, v[0:1], off
	s_wait_loadcnt 0x0
	v_lshlrev_b32_e32 v3, 25, v2
	v_lshlrev_b16 v2, 8, v2
	s_delay_alu instid0(VALU_DEP_1) | instskip(SKIP_1) | instid1(VALU_DEP_2)
	v_and_or_b32 v5, 0x7f00, v2, 0.5
	v_bfe_i32 v2, v2, 0, 16
	v_dual_add_f32 v5, -0.5, v5 :: v_dual_lshrrev_b32 v4, 4, v3
	v_cmp_gt_u32_e32 vcc_lo, 0x8000000, v3
	s_delay_alu instid0(VALU_DEP_2) | instskip(NEXT) | instid1(VALU_DEP_1)
	v_or_b32_e32 v4, 0x70000000, v4
	v_mul_f32_e32 v4, 0x7800000, v4
	s_delay_alu instid0(VALU_DEP_1) | instskip(NEXT) | instid1(VALU_DEP_1)
	v_cndmask_b32_e32 v3, v4, v5, vcc_lo
	v_and_or_b32 v2, 0x80000000, v2, v3
.LBB142_604:
	s_mov_b32 s25, 0
	s_mov_b32 s24, -1
.LBB142_605:
	s_and_not1_b32 vcc_lo, exec_lo, s25
	s_cbranch_vccnz .LBB142_618
; %bb.606:
	s_cmp_gt_i32 s0, 14
	s_cbranch_scc0 .LBB142_609
; %bb.607:
	s_cmp_eq_u32 s0, 15
	s_cbranch_scc0 .LBB142_612
; %bb.608:
	s_wait_loadcnt 0x0
	global_load_u16 v2, v[0:1], off
	s_mov_b32 s24, -1
	s_mov_b32 s23, 0
	s_wait_loadcnt 0x0
	v_lshlrev_b32_e32 v2, 16, v2
	s_branch .LBB142_613
.LBB142_609:
	s_mov_b32 s25, -1
                                        ; implicit-def: $vgpr2
	s_branch .LBB142_614
.LBB142_610:
	s_or_saveexec_b32 s25, s25
	v_mov_b32_e32 v2, 0x7f800001
	s_xor_b32 exec_lo, exec_lo, s25
	s_cbranch_execz .LBB142_591
.LBB142_611:
	v_cmp_ne_u16_e32 vcc_lo, 0, v3
	v_mov_b32_e32 v2, 0
	s_and_not1_b32 s24, s24, exec_lo
	s_and_b32 s26, vcc_lo, exec_lo
	s_delay_alu instid0(SALU_CYCLE_1)
	s_or_b32 s24, s24, s26
	s_or_b32 exec_lo, exec_lo, s25
	s_and_saveexec_b32 s25, s24
	s_cbranch_execnz .LBB142_592
	s_branch .LBB142_593
.LBB142_612:
	s_mov_b32 s23, -1
                                        ; implicit-def: $vgpr2
.LBB142_613:
	s_mov_b32 s25, 0
.LBB142_614:
	s_delay_alu instid0(SALU_CYCLE_1)
	s_and_b32 vcc_lo, exec_lo, s25
	s_cbranch_vccz .LBB142_618
; %bb.615:
	s_cmp_eq_u32 s0, 11
	s_cbranch_scc0 .LBB142_617
; %bb.616:
	s_wait_loadcnt 0x0
	global_load_u8 v2, v[0:1], off
	s_mov_b32 s23, 0
	s_mov_b32 s24, -1
	v_mov_b32_e32 v3, 0
	s_wait_loadcnt 0x0
	v_cmp_ne_u16_e32 vcc_lo, 0, v2
	v_cndmask_b32_e64 v2, 0, 1.0, vcc_lo
	s_branch .LBB142_619
.LBB142_617:
	s_mov_b32 s23, -1
                                        ; implicit-def: $vgpr2
.LBB142_618:
	s_wait_loadcnt 0x0
	v_mov_b32_e32 v3, 0
.LBB142_619:
	s_mov_b32 s25, 0
.LBB142_620:
	s_delay_alu instid0(SALU_CYCLE_1)
	s_and_b32 vcc_lo, exec_lo, s25
	s_cbranch_vccz .LBB142_671
; %bb.621:
	s_cmp_lt_i32 s0, 5
	s_cbranch_scc1 .LBB142_626
; %bb.622:
	s_cmp_lt_i32 s0, 8
	s_cbranch_scc1 .LBB142_627
	;; [unrolled: 3-line block ×3, first 2 shown]
; %bb.624:
	s_cmp_gt_i32 s0, 9
	s_cbranch_scc0 .LBB142_629
; %bb.625:
	s_wait_loadcnt 0x0
	global_load_b128 v[2:5], v[0:1], off
	s_mov_b32 s24, 0
	s_wait_loadcnt 0x0
	v_cvt_f32_f64_e32 v2, v[2:3]
	v_cvt_f32_f64_e32 v3, v[4:5]
	s_branch .LBB142_630
.LBB142_626:
	s_mov_b32 s24, -1
                                        ; implicit-def: $vgpr3
	s_branch .LBB142_649
.LBB142_627:
	s_mov_b32 s24, -1
                                        ; implicit-def: $vgpr3
	s_branch .LBB142_636
.LBB142_628:
	s_mov_b32 s24, -1
                                        ; implicit-def: $vgpr3
	s_branch .LBB142_633
.LBB142_629:
	s_mov_b32 s24, -1
                                        ; implicit-def: $vgpr3
.LBB142_630:
	s_delay_alu instid0(SALU_CYCLE_1)
	s_and_not1_b32 vcc_lo, exec_lo, s24
	s_cbranch_vccnz .LBB142_632
; %bb.631:
	s_wait_loadcnt 0x0
	global_load_b64 v[2:3], v[0:1], off
.LBB142_632:
	s_mov_b32 s24, 0
.LBB142_633:
	s_delay_alu instid0(SALU_CYCLE_1)
	s_and_not1_b32 vcc_lo, exec_lo, s24
	s_cbranch_vccnz .LBB142_635
; %bb.634:
	s_wait_loadcnt 0x0
	global_load_b32 v2, v[0:1], off
	s_wait_loadcnt 0x0
	v_lshrrev_b32_e32 v3, 16, v2
	v_cvt_f32_f16_e32 v2, v2
	s_delay_alu instid0(VALU_DEP_2)
	v_cvt_f32_f16_e32 v3, v3
.LBB142_635:
	s_mov_b32 s24, 0
.LBB142_636:
	s_delay_alu instid0(SALU_CYCLE_1)
	s_and_not1_b32 vcc_lo, exec_lo, s24
	s_cbranch_vccnz .LBB142_648
; %bb.637:
	s_cmp_lt_i32 s0, 6
	s_cbranch_scc1 .LBB142_640
; %bb.638:
	s_cmp_gt_i32 s0, 6
	s_cbranch_scc0 .LBB142_641
; %bb.639:
	s_wait_loadcnt 0x0
	global_load_b64 v[2:3], v[0:1], off
	s_mov_b32 s24, 0
	s_wait_loadcnt 0x0
	v_cvt_f32_f64_e32 v2, v[2:3]
	s_branch .LBB142_642
.LBB142_640:
	s_mov_b32 s24, -1
                                        ; implicit-def: $vgpr2
	s_branch .LBB142_645
.LBB142_641:
	s_mov_b32 s24, -1
                                        ; implicit-def: $vgpr2
.LBB142_642:
	s_delay_alu instid0(SALU_CYCLE_1)
	s_and_not1_b32 vcc_lo, exec_lo, s24
	s_cbranch_vccnz .LBB142_644
; %bb.643:
	s_wait_loadcnt 0x0
	global_load_b32 v2, v[0:1], off
.LBB142_644:
	s_mov_b32 s24, 0
.LBB142_645:
	s_delay_alu instid0(SALU_CYCLE_1)
	s_and_not1_b32 vcc_lo, exec_lo, s24
	s_cbranch_vccnz .LBB142_647
; %bb.646:
	s_wait_loadcnt 0x0
	global_load_u16 v2, v[0:1], off
	s_wait_loadcnt 0x0
	v_cvt_f32_f16_e32 v2, v2
.LBB142_647:
	s_wait_loadcnt 0x0
	v_mov_b32_e32 v3, 0
.LBB142_648:
	s_mov_b32 s24, 0
.LBB142_649:
	s_delay_alu instid0(SALU_CYCLE_1)
	s_and_not1_b32 vcc_lo, exec_lo, s24
	s_cbranch_vccnz .LBB142_670
; %bb.650:
	s_cmp_lt_i32 s0, 2
	s_cbranch_scc1 .LBB142_654
; %bb.651:
	s_cmp_lt_i32 s0, 3
	s_cbranch_scc1 .LBB142_655
; %bb.652:
	s_cmp_gt_i32 s0, 3
	s_cbranch_scc0 .LBB142_656
; %bb.653:
	s_wait_loadcnt 0x0
	global_load_b64 v[2:3], v[0:1], off
	s_mov_b32 s24, 0
	s_wait_loadcnt 0x0
	v_xor_b32_e32 v4, v2, v3
	v_cls_i32_e32 v5, v3
	s_delay_alu instid0(VALU_DEP_2) | instskip(NEXT) | instid1(VALU_DEP_1)
	v_ashrrev_i32_e32 v4, 31, v4
	v_add_nc_u32_e32 v4, 32, v4
	s_delay_alu instid0(VALU_DEP_1) | instskip(NEXT) | instid1(VALU_DEP_1)
	v_add_min_u32_e64 v4, v5, -1, v4
	v_lshlrev_b64_e32 v[2:3], v4, v[2:3]
	s_delay_alu instid0(VALU_DEP_1) | instskip(NEXT) | instid1(VALU_DEP_1)
	v_min_u32_e32 v2, 1, v2
	v_dual_sub_nc_u32 v3, 32, v4 :: v_dual_bitop2_b32 v2, v3, v2 bitop3:0x54
	s_delay_alu instid0(VALU_DEP_1) | instskip(NEXT) | instid1(VALU_DEP_1)
	v_cvt_f32_i32_e32 v2, v2
	v_ldexp_f32 v2, v2, v3
	s_branch .LBB142_657
.LBB142_654:
	s_mov_b32 s24, -1
                                        ; implicit-def: $vgpr2
	s_branch .LBB142_663
.LBB142_655:
	s_mov_b32 s24, -1
                                        ; implicit-def: $vgpr2
	s_branch .LBB142_660
.LBB142_656:
	s_mov_b32 s24, -1
                                        ; implicit-def: $vgpr2
.LBB142_657:
	s_delay_alu instid0(SALU_CYCLE_1)
	s_and_not1_b32 vcc_lo, exec_lo, s24
	s_cbranch_vccnz .LBB142_659
; %bb.658:
	s_wait_loadcnt 0x0
	global_load_b32 v2, v[0:1], off
	s_wait_loadcnt 0x0
	v_cvt_f32_i32_e32 v2, v2
.LBB142_659:
	s_mov_b32 s24, 0
.LBB142_660:
	s_delay_alu instid0(SALU_CYCLE_1)
	s_and_not1_b32 vcc_lo, exec_lo, s24
	s_cbranch_vccnz .LBB142_662
; %bb.661:
	s_wait_loadcnt 0x0
	global_load_i16 v2, v[0:1], off
	s_wait_loadcnt 0x0
	v_cvt_f32_i32_e32 v2, v2
.LBB142_662:
	s_mov_b32 s24, 0
.LBB142_663:
	s_delay_alu instid0(SALU_CYCLE_1)
	s_and_not1_b32 vcc_lo, exec_lo, s24
	s_cbranch_vccnz .LBB142_669
; %bb.664:
	s_cmp_gt_i32 s0, 0
	s_mov_b32 s0, 0
	s_cbranch_scc0 .LBB142_666
; %bb.665:
	s_wait_loadcnt 0x0
	global_load_i8 v2, v[0:1], off
	s_wait_loadcnt 0x0
	v_cvt_f32_i32_e32 v2, v2
	s_branch .LBB142_667
.LBB142_666:
	s_mov_b32 s0, -1
                                        ; implicit-def: $vgpr2
.LBB142_667:
	s_delay_alu instid0(SALU_CYCLE_1)
	s_and_not1_b32 vcc_lo, exec_lo, s0
	s_cbranch_vccnz .LBB142_669
; %bb.668:
	global_load_u8 v0, v[0:1], off
	s_wait_loadcnt 0x0
	v_cvt_f32_ubyte0_e32 v2, v0
.LBB142_669:
	s_wait_loadcnt 0x0
	v_mov_b32_e32 v3, 0
.LBB142_670:
	s_mov_b32 s24, -1
.LBB142_671:
	s_delay_alu instid0(SALU_CYCLE_1)
	s_and_not1_b32 vcc_lo, exec_lo, s24
	s_cbranch_vccnz .LBB142_674
; %bb.672:
	s_and_not1_b32 vcc_lo, exec_lo, s11
	s_cbranch_vccnz .LBB142_675
; %bb.673:
	s_wait_loadcnt 0x0
	s_delay_alu instid0(VALU_DEP_2) | instskip(NEXT) | instid1(VALU_DEP_2)
	v_cmp_neq_f32_e32 vcc_lo, s12, v2
	v_cmp_neq_f32_e64 s0, s13, v3
	s_or_b32 s24, vcc_lo, s0
	s_mov_b32 s0, 0
	s_branch .LBB142_676
.LBB142_674:
	s_mov_b32 s24, 0
	s_mov_b32 s0, s20
	s_branch .LBB142_801
.LBB142_675:
	s_mov_b32 s0, -1
                                        ; implicit-def: $sgpr24
.LBB142_676:
	s_delay_alu instid0(SALU_CYCLE_1)
	s_and_not1_b32 vcc_lo, exec_lo, s0
	s_cbranch_vccnz .LBB142_678
; %bb.677:
	s_wait_loadcnt 0x0
	s_delay_alu instid0(VALU_DEP_1) | instskip(NEXT) | instid1(VALU_DEP_3)
	v_cmp_eq_f32_e32 vcc_lo, s13, v3
	v_cmp_eq_f32_e64 s0, s12, v2
	s_and_not1_b32 s24, s24, exec_lo
	s_and_b32 s0, s0, vcc_lo
	s_delay_alu instid0(SALU_CYCLE_1) | instskip(NEXT) | instid1(SALU_CYCLE_1)
	s_and_b32 s0, s0, exec_lo
	s_or_b32 s24, s24, s0
.LBB142_678:
	s_wait_xcnt 0x0
	v_mul_lo_u32 v0, v6, s8
	s_and_b32 s25, s14, 0xff
	s_delay_alu instid0(SALU_CYCLE_1) | instskip(NEXT) | instid1(VALU_DEP_1)
	s_cmp_lt_i32 s25, 11
	v_ashrrev_i32_e32 v1, 31, v0
	s_delay_alu instid0(VALU_DEP_1)
	v_add_nc_u64_e32 v[0:1], s[4:5], v[0:1]
	s_cbranch_scc1 .LBB142_685
; %bb.679:
	s_and_b32 s26, 0xffff, s25
	s_delay_alu instid0(SALU_CYCLE_1)
	s_cmp_gt_i32 s26, 25
	s_cbranch_scc0 .LBB142_686
; %bb.680:
	s_cmp_gt_i32 s26, 28
	s_cbranch_scc0 .LBB142_687
; %bb.681:
	;; [unrolled: 3-line block ×4, first 2 shown]
	s_mov_b32 s28, 0
	s_mov_b32 s0, -1
	s_cmp_eq_u32 s26, 46
	s_mov_b32 s27, 0
	s_cbranch_scc0 .LBB142_690
; %bb.684:
	s_wait_loadcnt 0x0
	v_cndmask_b32_e64 v2, 0, 1.0, s24
	s_mov_b32 s27, -1
	s_mov_b32 s0, 0
	s_delay_alu instid0(VALU_DEP_1) | instskip(NEXT) | instid1(VALU_DEP_1)
	v_bfe_u32 v3, v2, 16, 1
	v_add3_u32 v2, v2, v3, 0x7fff
	s_delay_alu instid0(VALU_DEP_1)
	v_lshrrev_b32_e32 v2, 16, v2
	global_store_b32 v[0:1], v2, off
	s_branch .LBB142_690
.LBB142_685:
	s_mov_b32 s26, -1
	s_mov_b32 s27, 0
	s_mov_b32 s0, s20
	s_branch .LBB142_759
.LBB142_686:
	s_mov_b32 s28, -1
	s_mov_b32 s27, 0
	s_mov_b32 s0, s20
	s_branch .LBB142_717
.LBB142_687:
	s_mov_b32 s28, -1
	s_mov_b32 s27, 0
	s_mov_b32 s0, s20
	s_branch .LBB142_700
.LBB142_688:
	s_mov_b32 s28, -1
	s_mov_b32 s27, 0
	s_mov_b32 s0, s20
	s_branch .LBB142_696
.LBB142_689:
	s_mov_b32 s28, -1
	s_mov_b32 s27, 0
	s_mov_b32 s0, s20
.LBB142_690:
	s_and_b32 vcc_lo, exec_lo, s28
	s_cbranch_vccz .LBB142_695
; %bb.691:
	s_cmp_eq_u32 s26, 44
	s_mov_b32 s0, -1
	s_cbranch_scc0 .LBB142_695
; %bb.692:
	v_cndmask_b32_e64 v4, 0, 1.0, s24
	s_mov_b32 s27, exec_lo
	s_wait_loadcnt 0x0
	s_delay_alu instid0(VALU_DEP_1) | instskip(NEXT) | instid1(VALU_DEP_1)
	v_dual_mov_b32 v3, 0xff :: v_dual_lshrrev_b32 v2, 23, v4
	v_cmpx_ne_u32_e32 0xff, v2
; %bb.693:
	v_and_b32_e32 v3, 0x400000, v4
	v_and_or_b32 v4, 0x3fffff, v4, v2
	s_delay_alu instid0(VALU_DEP_2) | instskip(NEXT) | instid1(VALU_DEP_2)
	v_cmp_ne_u32_e32 vcc_lo, 0, v3
	v_cmp_ne_u32_e64 s0, 0, v4
	s_and_b32 s0, vcc_lo, s0
	s_delay_alu instid0(SALU_CYCLE_1) | instskip(NEXT) | instid1(VALU_DEP_1)
	v_cndmask_b32_e64 v3, 0, 1, s0
	v_add_nc_u32_e32 v3, v2, v3
; %bb.694:
	s_or_b32 exec_lo, exec_lo, s27
	s_mov_b32 s27, -1
	s_mov_b32 s0, 0
	global_store_b8 v[0:1], v3, off
.LBB142_695:
	s_mov_b32 s28, 0
.LBB142_696:
	s_delay_alu instid0(SALU_CYCLE_1)
	s_and_b32 vcc_lo, exec_lo, s28
	s_cbranch_vccz .LBB142_699
; %bb.697:
	s_cmp_eq_u32 s26, 29
	s_mov_b32 s0, -1
	s_cbranch_scc0 .LBB142_699
; %bb.698:
	s_mov_b32 s0, 0
	s_wait_loadcnt 0x0
	v_cndmask_b32_e64 v2, 0, 1, s24
	v_mov_b32_e32 v3, s0
	s_mov_b32 s27, -1
	s_mov_b32 s28, 0
	global_store_b64 v[0:1], v[2:3], off
	s_branch .LBB142_700
.LBB142_699:
	s_mov_b32 s28, 0
.LBB142_700:
	s_delay_alu instid0(SALU_CYCLE_1)
	s_and_b32 vcc_lo, exec_lo, s28
	s_cbranch_vccz .LBB142_716
; %bb.701:
	s_cmp_lt_i32 s26, 27
	s_mov_b32 s27, -1
	s_cbranch_scc1 .LBB142_707
; %bb.702:
	s_cmp_gt_i32 s26, 27
	s_cbranch_scc0 .LBB142_704
; %bb.703:
	s_wait_loadcnt 0x0
	v_cndmask_b32_e64 v2, 0, 1, s24
	s_mov_b32 s27, 0
	global_store_b32 v[0:1], v2, off
.LBB142_704:
	s_and_not1_b32 vcc_lo, exec_lo, s27
	s_cbranch_vccnz .LBB142_706
; %bb.705:
	s_wait_loadcnt 0x0
	v_cndmask_b32_e64 v2, 0, 1, s24
	global_store_b16 v[0:1], v2, off
.LBB142_706:
	s_mov_b32 s27, 0
.LBB142_707:
	s_delay_alu instid0(SALU_CYCLE_1)
	s_and_not1_b32 vcc_lo, exec_lo, s27
	s_cbranch_vccnz .LBB142_715
; %bb.708:
	s_wait_loadcnt 0x0
	v_cndmask_b32_e64 v3, 0, 1.0, s24
	v_mov_b32_e32 v4, 0x80
	s_mov_b32 s27, exec_lo
	s_delay_alu instid0(VALU_DEP_2)
	v_cmpx_gt_u32_e32 0x43800000, v3
	s_cbranch_execz .LBB142_714
; %bb.709:
	s_mov_b32 s28, 0
	s_mov_b32 s29, exec_lo
                                        ; implicit-def: $vgpr2
	v_cmpx_lt_u32_e32 0x3bffffff, v3
	s_xor_b32 s29, exec_lo, s29
	s_cbranch_execz .LBB142_816
; %bb.710:
	v_bfe_u32 v2, v3, 20, 1
	s_mov_b32 s28, exec_lo
	s_delay_alu instid0(VALU_DEP_1) | instskip(NEXT) | instid1(VALU_DEP_1)
	v_add3_u32 v2, v3, v2, 0x487ffff
                                        ; implicit-def: $vgpr3
	v_lshrrev_b32_e32 v2, 20, v2
	s_and_not1_saveexec_b32 s29, s29
	s_cbranch_execnz .LBB142_817
.LBB142_711:
	s_or_b32 exec_lo, exec_lo, s29
	v_mov_b32_e32 v4, 0
	s_and_saveexec_b32 s29, s28
.LBB142_712:
	v_mov_b32_e32 v4, v2
.LBB142_713:
	s_or_b32 exec_lo, exec_lo, s29
.LBB142_714:
	s_delay_alu instid0(SALU_CYCLE_1)
	s_or_b32 exec_lo, exec_lo, s27
	global_store_b8 v[0:1], v4, off
.LBB142_715:
	s_mov_b32 s27, -1
.LBB142_716:
	s_mov_b32 s28, 0
.LBB142_717:
	s_delay_alu instid0(SALU_CYCLE_1)
	s_and_b32 vcc_lo, exec_lo, s28
	s_cbranch_vccz .LBB142_758
; %bb.718:
	s_cmp_gt_i32 s26, 22
	s_mov_b32 s28, -1
	s_cbranch_scc0 .LBB142_750
; %bb.719:
	s_cmp_lt_i32 s26, 24
	s_mov_b32 s27, -1
	s_cbranch_scc1 .LBB142_739
; %bb.720:
	s_cmp_gt_i32 s26, 24
	s_cbranch_scc0 .LBB142_728
; %bb.721:
	s_wait_loadcnt 0x0
	v_cndmask_b32_e64 v3, 0, 1.0, s24
	v_mov_b32_e32 v4, 0x80
	s_mov_b32 s27, exec_lo
	s_delay_alu instid0(VALU_DEP_2)
	v_cmpx_gt_u32_e32 0x47800000, v3
	s_cbranch_execz .LBB142_727
; %bb.722:
	s_mov_b32 s28, 0
	s_mov_b32 s29, exec_lo
                                        ; implicit-def: $vgpr2
	v_cmpx_lt_u32_e32 0x37ffffff, v3
	s_xor_b32 s29, exec_lo, s29
	s_cbranch_execz .LBB142_819
; %bb.723:
	v_bfe_u32 v2, v3, 21, 1
	s_mov_b32 s28, exec_lo
	s_delay_alu instid0(VALU_DEP_1) | instskip(NEXT) | instid1(VALU_DEP_1)
	v_add3_u32 v2, v3, v2, 0x88fffff
                                        ; implicit-def: $vgpr3
	v_lshrrev_b32_e32 v2, 21, v2
	s_and_not1_saveexec_b32 s29, s29
	s_cbranch_execnz .LBB142_820
.LBB142_724:
	s_or_b32 exec_lo, exec_lo, s29
	v_mov_b32_e32 v4, 0
	s_and_saveexec_b32 s29, s28
.LBB142_725:
	v_mov_b32_e32 v4, v2
.LBB142_726:
	s_or_b32 exec_lo, exec_lo, s29
.LBB142_727:
	s_delay_alu instid0(SALU_CYCLE_1)
	s_or_b32 exec_lo, exec_lo, s27
	s_mov_b32 s27, 0
	global_store_b8 v[0:1], v4, off
.LBB142_728:
	s_and_b32 vcc_lo, exec_lo, s27
	s_cbranch_vccz .LBB142_738
; %bb.729:
	s_wait_loadcnt 0x0
	v_cndmask_b32_e64 v3, 0, 1.0, s24
	s_mov_b32 s27, exec_lo
                                        ; implicit-def: $vgpr2
	s_delay_alu instid0(VALU_DEP_1)
	v_cmpx_gt_u32_e32 0x43f00000, v3
	s_xor_b32 s27, exec_lo, s27
	s_cbranch_execz .LBB142_735
; %bb.730:
	s_mov_b32 s28, exec_lo
                                        ; implicit-def: $vgpr2
	v_cmpx_lt_u32_e32 0x3c7fffff, v3
	s_xor_b32 s28, exec_lo, s28
; %bb.731:
	v_bfe_u32 v2, v3, 20, 1
	s_delay_alu instid0(VALU_DEP_1) | instskip(NEXT) | instid1(VALU_DEP_1)
	v_add3_u32 v2, v3, v2, 0x407ffff
	v_and_b32_e32 v3, 0xff00000, v2
	v_lshrrev_b32_e32 v2, 20, v2
	s_delay_alu instid0(VALU_DEP_2) | instskip(NEXT) | instid1(VALU_DEP_2)
	v_cmp_ne_u32_e32 vcc_lo, 0x7f00000, v3
                                        ; implicit-def: $vgpr3
	v_cndmask_b32_e32 v2, 0x7e, v2, vcc_lo
; %bb.732:
	s_and_not1_saveexec_b32 s28, s28
; %bb.733:
	v_add_f32_e32 v2, 0x46800000, v3
; %bb.734:
	s_or_b32 exec_lo, exec_lo, s28
                                        ; implicit-def: $vgpr3
.LBB142_735:
	s_and_not1_saveexec_b32 s27, s27
; %bb.736:
	v_mov_b32_e32 v2, 0x7f
	v_cmp_lt_u32_e32 vcc_lo, 0x7f800000, v3
	s_delay_alu instid0(VALU_DEP_2)
	v_cndmask_b32_e32 v2, 0x7e, v2, vcc_lo
; %bb.737:
	s_or_b32 exec_lo, exec_lo, s27
	global_store_b8 v[0:1], v2, off
.LBB142_738:
	s_mov_b32 s27, 0
.LBB142_739:
	s_delay_alu instid0(SALU_CYCLE_1)
	s_and_not1_b32 vcc_lo, exec_lo, s27
	s_cbranch_vccnz .LBB142_749
; %bb.740:
	s_wait_loadcnt 0x0
	v_cndmask_b32_e64 v3, 0, 1.0, s24
	s_mov_b32 s27, exec_lo
                                        ; implicit-def: $vgpr2
	s_delay_alu instid0(VALU_DEP_1)
	v_cmpx_gt_u32_e32 0x47800000, v3
	s_xor_b32 s27, exec_lo, s27
	s_cbranch_execz .LBB142_746
; %bb.741:
	s_mov_b32 s28, exec_lo
                                        ; implicit-def: $vgpr2
	v_cmpx_lt_u32_e32 0x387fffff, v3
	s_xor_b32 s28, exec_lo, s28
; %bb.742:
	v_bfe_u32 v2, v3, 21, 1
	s_delay_alu instid0(VALU_DEP_1) | instskip(NEXT) | instid1(VALU_DEP_1)
	v_add3_u32 v2, v3, v2, 0x80fffff
                                        ; implicit-def: $vgpr3
	v_lshrrev_b32_e32 v2, 21, v2
; %bb.743:
	s_and_not1_saveexec_b32 s28, s28
; %bb.744:
	v_add_f32_e32 v2, 0x43000000, v3
; %bb.745:
	s_or_b32 exec_lo, exec_lo, s28
                                        ; implicit-def: $vgpr3
.LBB142_746:
	s_and_not1_saveexec_b32 s27, s27
; %bb.747:
	v_mov_b32_e32 v2, 0x7f
	v_cmp_lt_u32_e32 vcc_lo, 0x7f800000, v3
	s_delay_alu instid0(VALU_DEP_2)
	v_cndmask_b32_e32 v2, 0x7c, v2, vcc_lo
; %bb.748:
	s_or_b32 exec_lo, exec_lo, s27
	global_store_b8 v[0:1], v2, off
.LBB142_749:
	s_mov_b32 s28, 0
	s_mov_b32 s27, -1
.LBB142_750:
	s_and_not1_b32 vcc_lo, exec_lo, s28
	s_cbranch_vccnz .LBB142_758
; %bb.751:
	s_cmp_gt_i32 s26, 14
	s_mov_b32 s28, -1
	s_cbranch_scc0 .LBB142_755
; %bb.752:
	s_cmp_eq_u32 s26, 15
	s_mov_b32 s0, -1
	s_cbranch_scc0 .LBB142_754
; %bb.753:
	s_wait_loadcnt 0x0
	v_cndmask_b32_e64 v2, 0, 1.0, s24
	s_mov_b32 s27, -1
	s_mov_b32 s0, 0
	s_delay_alu instid0(VALU_DEP_1) | instskip(NEXT) | instid1(VALU_DEP_1)
	v_bfe_u32 v3, v2, 16, 1
	v_add3_u32 v2, v2, v3, 0x7fff
	global_store_d16_hi_b16 v[0:1], v2, off
.LBB142_754:
	s_mov_b32 s28, 0
.LBB142_755:
	s_delay_alu instid0(SALU_CYCLE_1)
	s_and_b32 vcc_lo, exec_lo, s28
	s_cbranch_vccz .LBB142_758
; %bb.756:
	s_cmp_eq_u32 s26, 11
	s_mov_b32 s0, -1
	s_cbranch_scc0 .LBB142_758
; %bb.757:
	s_wait_loadcnt 0x0
	v_cndmask_b32_e64 v2, 0, 1, s24
	s_mov_b32 s27, -1
	s_mov_b32 s0, 0
	global_store_b8 v[0:1], v2, off
.LBB142_758:
	s_mov_b32 s26, 0
.LBB142_759:
	s_delay_alu instid0(SALU_CYCLE_1)
	s_and_b32 vcc_lo, exec_lo, s26
	s_cbranch_vccz .LBB142_798
; %bb.760:
	s_and_b32 s25, 0xffff, s25
	s_mov_b32 s26, -1
	s_cmp_lt_i32 s25, 5
	s_cbranch_scc1 .LBB142_781
; %bb.761:
	s_cmp_lt_i32 s25, 8
	s_cbranch_scc1 .LBB142_771
; %bb.762:
	s_cmp_lt_i32 s25, 9
	s_cbranch_scc1 .LBB142_768
; %bb.763:
	s_cmp_gt_i32 s25, 9
	s_cbranch_scc0 .LBB142_765
; %bb.764:
	s_wait_loadcnt 0x0
	v_cndmask_b32_e64 v2, 0, 1, s24
	v_mov_b32_e32 v4, 0
	s_mov_b32 s26, 0
	s_delay_alu instid0(VALU_DEP_2) | instskip(NEXT) | instid1(VALU_DEP_2)
	v_cvt_f64_u32_e32 v[2:3], v2
	v_mov_b32_e32 v5, v4
	global_store_b128 v[0:1], v[2:5], off
.LBB142_765:
	s_and_not1_b32 vcc_lo, exec_lo, s26
	s_cbranch_vccnz .LBB142_767
; %bb.766:
	s_wait_loadcnt 0x0
	v_cndmask_b32_e64 v2, 0, 1.0, s24
	v_mov_b32_e32 v3, 0
	global_store_b64 v[0:1], v[2:3], off
.LBB142_767:
	s_mov_b32 s26, 0
.LBB142_768:
	s_delay_alu instid0(SALU_CYCLE_1)
	s_and_not1_b32 vcc_lo, exec_lo, s26
	s_cbranch_vccnz .LBB142_770
; %bb.769:
	s_wait_loadcnt 0x0
	v_cndmask_b32_e64 v2, 0, 1.0, s24
	s_delay_alu instid0(VALU_DEP_1) | instskip(NEXT) | instid1(VALU_DEP_1)
	v_cvt_f16_f32_e32 v2, v2
	v_and_b32_e32 v2, 0xffff, v2
	global_store_b32 v[0:1], v2, off
.LBB142_770:
	s_mov_b32 s26, 0
.LBB142_771:
	s_delay_alu instid0(SALU_CYCLE_1)
	s_and_not1_b32 vcc_lo, exec_lo, s26
	s_cbranch_vccnz .LBB142_780
; %bb.772:
	s_cmp_lt_i32 s25, 6
	s_mov_b32 s26, -1
	s_cbranch_scc1 .LBB142_778
; %bb.773:
	s_cmp_gt_i32 s25, 6
	s_cbranch_scc0 .LBB142_775
; %bb.774:
	s_wait_loadcnt 0x0
	v_cndmask_b32_e64 v2, 0, 1, s24
	s_mov_b32 s26, 0
	s_delay_alu instid0(VALU_DEP_1)
	v_cvt_f64_u32_e32 v[2:3], v2
	global_store_b64 v[0:1], v[2:3], off
.LBB142_775:
	s_and_not1_b32 vcc_lo, exec_lo, s26
	s_cbranch_vccnz .LBB142_777
; %bb.776:
	s_wait_loadcnt 0x0
	v_cndmask_b32_e64 v2, 0, 1.0, s24
	global_store_b32 v[0:1], v2, off
.LBB142_777:
	s_mov_b32 s26, 0
.LBB142_778:
	s_delay_alu instid0(SALU_CYCLE_1)
	s_and_not1_b32 vcc_lo, exec_lo, s26
	s_cbranch_vccnz .LBB142_780
; %bb.779:
	s_wait_loadcnt 0x0
	v_cndmask_b32_e64 v2, 0, 1.0, s24
	s_delay_alu instid0(VALU_DEP_1)
	v_cvt_f16_f32_e32 v2, v2
	global_store_b16 v[0:1], v2, off
.LBB142_780:
	s_mov_b32 s26, 0
.LBB142_781:
	s_delay_alu instid0(SALU_CYCLE_1)
	s_and_not1_b32 vcc_lo, exec_lo, s26
	s_cbranch_vccnz .LBB142_797
; %bb.782:
	s_cmp_lt_i32 s25, 2
	s_mov_b32 s26, -1
	s_cbranch_scc1 .LBB142_792
; %bb.783:
	s_cmp_lt_i32 s25, 3
	s_cbranch_scc1 .LBB142_789
; %bb.784:
	s_cmp_gt_i32 s25, 3
	s_cbranch_scc0 .LBB142_786
; %bb.785:
	s_mov_b32 s26, 0
	s_wait_loadcnt 0x0
	v_cndmask_b32_e64 v2, 0, 1, s24
	v_mov_b32_e32 v3, s26
	global_store_b64 v[0:1], v[2:3], off
.LBB142_786:
	s_and_not1_b32 vcc_lo, exec_lo, s26
	s_cbranch_vccnz .LBB142_788
; %bb.787:
	s_wait_loadcnt 0x0
	v_cndmask_b32_e64 v2, 0, 1, s24
	global_store_b32 v[0:1], v2, off
.LBB142_788:
	s_mov_b32 s26, 0
.LBB142_789:
	s_delay_alu instid0(SALU_CYCLE_1)
	s_and_not1_b32 vcc_lo, exec_lo, s26
	s_cbranch_vccnz .LBB142_791
; %bb.790:
	s_wait_loadcnt 0x0
	v_cndmask_b32_e64 v2, 0, 1, s24
	global_store_b16 v[0:1], v2, off
.LBB142_791:
	s_mov_b32 s26, 0
.LBB142_792:
	s_delay_alu instid0(SALU_CYCLE_1)
	s_and_not1_b32 vcc_lo, exec_lo, s26
	s_cbranch_vccnz .LBB142_797
; %bb.793:
	s_wait_loadcnt 0x0
	v_cndmask_b32_e64 v2, 0, 1, s24
	s_cmp_gt_i32 s25, 0
	s_mov_b32 s24, -1
	s_cbranch_scc0 .LBB142_795
; %bb.794:
	s_mov_b32 s24, 0
	global_store_b8 v[0:1], v2, off
.LBB142_795:
	s_and_not1_b32 vcc_lo, exec_lo, s24
	s_cbranch_vccnz .LBB142_797
; %bb.796:
	global_store_b8 v[0:1], v2, off
.LBB142_797:
	s_mov_b32 s27, -1
.LBB142_798:
	s_delay_alu instid0(SALU_CYCLE_1)
	s_and_not1_b32 vcc_lo, exec_lo, s27
	s_cbranch_vccnz .LBB142_800
; %bb.799:
	v_add_nc_u32_e32 v6, 0x80, v6
	s_mov_b32 s24, -1
	s_branch .LBB142_802
.LBB142_800:
	s_mov_b32 s24, 0
.LBB142_801:
                                        ; implicit-def: $vgpr6
.LBB142_802:
	s_and_not1_b32 s25, s20, exec_lo
	s_and_b32 s0, s0, exec_lo
	s_and_not1_b32 s26, s19, exec_lo
	s_and_b32 s27, s23, exec_lo
	s_or_b32 s23, s25, s0
	s_or_b32 s0, s26, s27
	s_or_not1_b32 s24, s24, exec_lo
.LBB142_803:
	s_wait_xcnt 0x0
	s_or_b32 exec_lo, exec_lo, s22
	s_mov_b32 s25, 0
	s_mov_b32 s26, 0
	s_mov_b32 s27, 0
                                        ; implicit-def: $vgpr0_vgpr1
                                        ; implicit-def: $vgpr3
	s_and_saveexec_b32 s22, s24
	s_cbranch_execz .LBB142_891
; %bb.804:
	v_cmp_gt_i32_e32 vcc_lo, s15, v6
	s_mov_b32 s24, 0
	s_mov_b32 s25, s0
	;; [unrolled: 1-line block ×3, first 2 shown]
                                        ; implicit-def: $vgpr0_vgpr1
                                        ; implicit-def: $vgpr3
	s_and_saveexec_b32 s15, vcc_lo
	s_cbranch_execz .LBB142_890
; %bb.805:
	v_mul_lo_u32 v0, v6, s9
	s_and_b32 s24, 0xffff, s2
	s_delay_alu instid0(SALU_CYCLE_1) | instskip(NEXT) | instid1(VALU_DEP_1)
	s_cmp_lt_i32 s24, 11
	v_ashrrev_i32_e32 v1, 31, v0
	s_delay_alu instid0(VALU_DEP_1)
	v_add_nc_u64_e32 v[0:1], s[6:7], v[0:1]
	s_cbranch_scc1 .LBB142_812
; %bb.806:
	s_cmp_gt_i32 s24, 25
	s_cbranch_scc0 .LBB142_813
; %bb.807:
	s_cmp_gt_i32 s24, 28
	s_cbranch_scc0 .LBB142_814
	;; [unrolled: 3-line block ×4, first 2 shown]
; %bb.810:
	s_cmp_eq_u32 s24, 46
	s_cbranch_scc0 .LBB142_821
; %bb.811:
	s_wait_loadcnt 0x0
	global_load_b32 v2, v[0:1], off
	s_mov_b32 s25, 0
	s_mov_b32 s27, -1
	s_wait_loadcnt 0x0
	v_and_b32_e32 v3, 0xffff0000, v2
	v_lshlrev_b32_e32 v2, 16, v2
	s_branch .LBB142_823
.LBB142_812:
	s_mov_b32 s24, -1
	s_mov_b32 s25, s0
                                        ; implicit-def: $vgpr3
	s_branch .LBB142_889
.LBB142_813:
	s_mov_b32 s28, -1
	s_mov_b32 s25, s0
                                        ; implicit-def: $vgpr3
	s_branch .LBB142_854
.LBB142_814:
	s_mov_b32 s28, -1
	s_mov_b32 s25, s0
                                        ; implicit-def: $vgpr3
	s_branch .LBB142_835
.LBB142_815:
	s_mov_b32 s28, -1
	s_mov_b32 s25, s0
                                        ; implicit-def: $vgpr3
	s_branch .LBB142_829
.LBB142_816:
	s_and_not1_saveexec_b32 s29, s29
	s_cbranch_execz .LBB142_711
.LBB142_817:
	v_add_f32_e32 v2, 0x46000000, v3
	s_and_not1_b32 s28, s28, exec_lo
	s_delay_alu instid0(VALU_DEP_1) | instskip(NEXT) | instid1(VALU_DEP_1)
	v_and_b32_e32 v2, 0xff, v2
	v_cmp_ne_u32_e32 vcc_lo, 0, v2
	s_and_b32 s30, vcc_lo, exec_lo
	s_delay_alu instid0(SALU_CYCLE_1)
	s_or_b32 s28, s28, s30
	s_or_b32 exec_lo, exec_lo, s29
	v_mov_b32_e32 v4, 0
	s_and_saveexec_b32 s29, s28
	s_cbranch_execnz .LBB142_712
	s_branch .LBB142_713
.LBB142_818:
	s_mov_b32 s28, -1
	s_mov_b32 s25, s0
	s_branch .LBB142_822
.LBB142_819:
	s_and_not1_saveexec_b32 s29, s29
	s_cbranch_execz .LBB142_724
.LBB142_820:
	v_add_f32_e32 v2, 0x42800000, v3
	s_and_not1_b32 s28, s28, exec_lo
	s_delay_alu instid0(VALU_DEP_1) | instskip(NEXT) | instid1(VALU_DEP_1)
	v_and_b32_e32 v2, 0xff, v2
	v_cmp_ne_u32_e32 vcc_lo, 0, v2
	s_and_b32 s30, vcc_lo, exec_lo
	s_delay_alu instid0(SALU_CYCLE_1)
	s_or_b32 s28, s28, s30
	s_or_b32 exec_lo, exec_lo, s29
	v_mov_b32_e32 v4, 0
	s_and_saveexec_b32 s29, s28
	s_cbranch_execnz .LBB142_725
	s_branch .LBB142_726
.LBB142_821:
	s_mov_b32 s25, -1
.LBB142_822:
                                        ; implicit-def: $vgpr3
.LBB142_823:
	s_and_b32 vcc_lo, exec_lo, s28
	s_cbranch_vccz .LBB142_828
; %bb.824:
	s_cmp_eq_u32 s24, 44
	s_cbranch_scc0 .LBB142_826
; %bb.825:
	s_wait_loadcnt 0x0
	global_load_u8 v2, v[0:1], off
	s_mov_b32 s25, 0
	s_mov_b32 s27, -1
	s_wait_loadcnt 0x0
	v_lshlrev_b32_e32 v3, 23, v2
	v_cmp_ne_u32_e32 vcc_lo, 0xff, v2
	s_delay_alu instid0(VALU_DEP_2) | instskip(SKIP_1) | instid1(VALU_DEP_2)
	v_cndmask_b32_e32 v3, 0x7f800001, v3, vcc_lo
	v_cmp_ne_u32_e32 vcc_lo, 0, v2
	v_cndmask_b32_e32 v2, 0x400000, v3, vcc_lo
	s_branch .LBB142_827
.LBB142_826:
	s_mov_b32 s25, -1
                                        ; implicit-def: $vgpr2
.LBB142_827:
	s_wait_loadcnt 0x0
	v_mov_b32_e32 v3, 0
.LBB142_828:
	s_mov_b32 s28, 0
.LBB142_829:
	s_delay_alu instid0(SALU_CYCLE_1)
	s_and_b32 vcc_lo, exec_lo, s28
	s_cbranch_vccz .LBB142_834
; %bb.830:
	s_cmp_eq_u32 s24, 29
	s_cbranch_scc0 .LBB142_832
; %bb.831:
	s_wait_loadcnt 0x0
	global_load_b64 v[2:3], v[0:1], off
	s_mov_b32 s25, 0
	s_mov_b32 s27, -1
	s_wait_loadcnt 0x0
	v_clz_i32_u32_e32 v4, v3
	s_delay_alu instid0(VALU_DEP_1) | instskip(NEXT) | instid1(VALU_DEP_1)
	v_min_u32_e32 v4, 32, v4
	v_lshlrev_b64_e32 v[2:3], v4, v[2:3]
	s_delay_alu instid0(VALU_DEP_1) | instskip(NEXT) | instid1(VALU_DEP_1)
	v_min_u32_e32 v2, 1, v2
	v_dual_sub_nc_u32 v3, 32, v4 :: v_dual_bitop2_b32 v2, v3, v2 bitop3:0x54
	s_delay_alu instid0(VALU_DEP_1) | instskip(NEXT) | instid1(VALU_DEP_1)
	v_cvt_f32_u32_e32 v2, v2
	v_ldexp_f32 v2, v2, v3
	s_branch .LBB142_833
.LBB142_832:
	s_mov_b32 s25, -1
                                        ; implicit-def: $vgpr2
.LBB142_833:
	s_wait_loadcnt 0x0
	v_mov_b32_e32 v3, 0
.LBB142_834:
	s_mov_b32 s28, 0
.LBB142_835:
	s_delay_alu instid0(SALU_CYCLE_1)
	s_and_b32 vcc_lo, exec_lo, s28
	s_cbranch_vccz .LBB142_853
; %bb.836:
	s_cmp_lt_i32 s24, 27
	s_cbranch_scc1 .LBB142_839
; %bb.837:
	s_cmp_gt_i32 s24, 27
	s_cbranch_scc0 .LBB142_840
; %bb.838:
	s_wait_loadcnt 0x0
	global_load_b32 v2, v[0:1], off
	s_mov_b32 s27, 0
	s_wait_loadcnt 0x0
	v_cvt_f32_u32_e32 v2, v2
	s_branch .LBB142_841
.LBB142_839:
	s_mov_b32 s27, -1
                                        ; implicit-def: $vgpr2
	s_branch .LBB142_844
.LBB142_840:
	s_mov_b32 s27, -1
                                        ; implicit-def: $vgpr2
.LBB142_841:
	s_delay_alu instid0(SALU_CYCLE_1)
	s_and_not1_b32 vcc_lo, exec_lo, s27
	s_cbranch_vccnz .LBB142_843
; %bb.842:
	s_wait_loadcnt 0x0
	global_load_u16 v2, v[0:1], off
	s_wait_loadcnt 0x0
	v_cvt_f32_u32_e32 v2, v2
.LBB142_843:
	s_mov_b32 s27, 0
.LBB142_844:
	s_delay_alu instid0(SALU_CYCLE_1)
	s_and_not1_b32 vcc_lo, exec_lo, s27
	s_cbranch_vccnz .LBB142_852
; %bb.845:
	s_wait_loadcnt 0x0
	global_load_u8 v3, v[0:1], off
	s_mov_b32 s27, 0
	s_mov_b32 s28, exec_lo
	s_wait_loadcnt 0x0
	v_cmpx_lt_i16_e32 0x7f, v3
	s_xor_b32 s28, exec_lo, s28
	s_cbranch_execz .LBB142_866
; %bb.846:
	s_mov_b32 s27, -1
	s_mov_b32 s29, exec_lo
	v_cmpx_eq_u16_e32 0x80, v3
; %bb.847:
	s_xor_b32 s27, exec_lo, -1
; %bb.848:
	s_or_b32 exec_lo, exec_lo, s29
	s_delay_alu instid0(SALU_CYCLE_1)
	s_and_b32 s27, s27, exec_lo
	s_or_saveexec_b32 s28, s28
	v_mov_b32_e32 v2, 0x7f800001
	s_xor_b32 exec_lo, exec_lo, s28
	s_cbranch_execnz .LBB142_867
.LBB142_849:
	s_or_b32 exec_lo, exec_lo, s28
	s_and_saveexec_b32 s28, s27
	s_cbranch_execz .LBB142_851
.LBB142_850:
	v_and_b32_e32 v2, 0xffff, v3
	s_delay_alu instid0(VALU_DEP_1) | instskip(SKIP_1) | instid1(VALU_DEP_2)
	v_and_b32_e32 v4, 7, v2
	v_bfe_u32 v8, v2, 3, 4
	v_clz_i32_u32_e32 v5, v4
	s_delay_alu instid0(VALU_DEP_2) | instskip(NEXT) | instid1(VALU_DEP_2)
	v_cmp_eq_u32_e32 vcc_lo, 0, v8
	v_min_u32_e32 v5, 32, v5
	s_delay_alu instid0(VALU_DEP_1) | instskip(NEXT) | instid1(VALU_DEP_1)
	v_subrev_nc_u32_e32 v7, 28, v5
	v_dual_lshlrev_b32 v2, v7, v2 :: v_dual_sub_nc_u32 v5, 29, v5
	s_delay_alu instid0(VALU_DEP_1) | instskip(NEXT) | instid1(VALU_DEP_2)
	v_dual_lshlrev_b32 v3, 24, v3 :: v_dual_bitop2_b32 v2, 7, v2 bitop3:0x40
	v_cndmask_b32_e32 v5, v8, v5, vcc_lo
	s_delay_alu instid0(VALU_DEP_2) | instskip(NEXT) | instid1(VALU_DEP_3)
	v_cndmask_b32_e32 v2, v4, v2, vcc_lo
	v_and_b32_e32 v3, 0x80000000, v3
	s_delay_alu instid0(VALU_DEP_3) | instskip(NEXT) | instid1(VALU_DEP_3)
	v_lshl_add_u32 v4, v5, 23, 0x3b800000
	v_lshlrev_b32_e32 v2, 20, v2
	s_delay_alu instid0(VALU_DEP_1)
	v_or3_b32 v2, v3, v4, v2
.LBB142_851:
	s_or_b32 exec_lo, exec_lo, s28
.LBB142_852:
	s_wait_loadcnt 0x0
	v_mov_b32_e32 v3, 0
	s_mov_b32 s27, -1
.LBB142_853:
	s_mov_b32 s28, 0
.LBB142_854:
	s_delay_alu instid0(SALU_CYCLE_1)
	s_and_b32 vcc_lo, exec_lo, s28
	s_cbranch_vccz .LBB142_888
; %bb.855:
	s_cmp_gt_i32 s24, 22
	s_cbranch_scc0 .LBB142_865
; %bb.856:
	s_cmp_lt_i32 s24, 24
	s_cbranch_scc1 .LBB142_868
; %bb.857:
	s_cmp_gt_i32 s24, 24
	s_cbranch_scc0 .LBB142_869
; %bb.858:
	s_wait_loadcnt 0x0
	global_load_u8 v3, v[0:1], off
	s_mov_b32 s27, exec_lo
	s_wait_loadcnt 0x0
	v_cmpx_lt_i16_e32 0x7f, v3
	s_xor_b32 s27, exec_lo, s27
	s_cbranch_execz .LBB142_881
; %bb.859:
	s_mov_b32 s26, -1
	s_mov_b32 s28, exec_lo
	v_cmpx_eq_u16_e32 0x80, v3
; %bb.860:
	s_xor_b32 s26, exec_lo, -1
; %bb.861:
	s_or_b32 exec_lo, exec_lo, s28
	s_delay_alu instid0(SALU_CYCLE_1)
	s_and_b32 s26, s26, exec_lo
	s_or_saveexec_b32 s27, s27
	v_mov_b32_e32 v2, 0x7f800001
	s_xor_b32 exec_lo, exec_lo, s27
	s_cbranch_execnz .LBB142_882
.LBB142_862:
	s_or_b32 exec_lo, exec_lo, s27
	s_and_saveexec_b32 s27, s26
	s_cbranch_execz .LBB142_864
.LBB142_863:
	v_and_b32_e32 v2, 0xffff, v3
	s_delay_alu instid0(VALU_DEP_1) | instskip(SKIP_1) | instid1(VALU_DEP_2)
	v_and_b32_e32 v4, 3, v2
	v_bfe_u32 v8, v2, 2, 5
	v_clz_i32_u32_e32 v5, v4
	s_delay_alu instid0(VALU_DEP_2) | instskip(NEXT) | instid1(VALU_DEP_2)
	v_cmp_eq_u32_e32 vcc_lo, 0, v8
	v_min_u32_e32 v5, 32, v5
	s_delay_alu instid0(VALU_DEP_1) | instskip(NEXT) | instid1(VALU_DEP_1)
	v_subrev_nc_u32_e32 v7, 29, v5
	v_dual_lshlrev_b32 v2, v7, v2 :: v_dual_sub_nc_u32 v5, 30, v5
	s_delay_alu instid0(VALU_DEP_1) | instskip(NEXT) | instid1(VALU_DEP_2)
	v_dual_lshlrev_b32 v3, 24, v3 :: v_dual_bitop2_b32 v2, 3, v2 bitop3:0x40
	v_cndmask_b32_e32 v5, v8, v5, vcc_lo
	s_delay_alu instid0(VALU_DEP_2) | instskip(NEXT) | instid1(VALU_DEP_3)
	v_cndmask_b32_e32 v2, v4, v2, vcc_lo
	v_and_b32_e32 v3, 0x80000000, v3
	s_delay_alu instid0(VALU_DEP_3) | instskip(NEXT) | instid1(VALU_DEP_3)
	v_lshl_add_u32 v4, v5, 23, 0x37800000
	v_lshlrev_b32_e32 v2, 21, v2
	s_delay_alu instid0(VALU_DEP_1)
	v_or3_b32 v2, v3, v4, v2
.LBB142_864:
	s_or_b32 exec_lo, exec_lo, s27
	s_mov_b32 s26, 0
	s_branch .LBB142_870
.LBB142_865:
	s_mov_b32 s26, -1
                                        ; implicit-def: $vgpr2
	s_branch .LBB142_876
.LBB142_866:
	s_or_saveexec_b32 s28, s28
	v_mov_b32_e32 v2, 0x7f800001
	s_xor_b32 exec_lo, exec_lo, s28
	s_cbranch_execz .LBB142_849
.LBB142_867:
	v_cmp_ne_u16_e32 vcc_lo, 0, v3
	v_mov_b32_e32 v2, 0
	s_and_not1_b32 s27, s27, exec_lo
	s_and_b32 s29, vcc_lo, exec_lo
	s_delay_alu instid0(SALU_CYCLE_1)
	s_or_b32 s27, s27, s29
	s_or_b32 exec_lo, exec_lo, s28
	s_and_saveexec_b32 s28, s27
	s_cbranch_execnz .LBB142_850
	s_branch .LBB142_851
.LBB142_868:
	s_mov_b32 s26, -1
                                        ; implicit-def: $vgpr2
	s_branch .LBB142_873
.LBB142_869:
	s_mov_b32 s26, -1
                                        ; implicit-def: $vgpr2
.LBB142_870:
	s_delay_alu instid0(SALU_CYCLE_1)
	s_and_b32 vcc_lo, exec_lo, s26
	s_cbranch_vccz .LBB142_872
; %bb.871:
	s_wait_loadcnt 0x0
	global_load_u8 v2, v[0:1], off
	s_wait_loadcnt 0x0
	v_lshlrev_b32_e32 v2, 24, v2
	s_delay_alu instid0(VALU_DEP_1) | instskip(NEXT) | instid1(VALU_DEP_1)
	v_and_b32_e32 v3, 0x7f000000, v2
	v_clz_i32_u32_e32 v4, v3
	v_add_nc_u32_e32 v7, 0x1000000, v3
	v_cmp_ne_u32_e32 vcc_lo, 0, v3
	s_delay_alu instid0(VALU_DEP_3) | instskip(NEXT) | instid1(VALU_DEP_1)
	v_min_u32_e32 v4, 32, v4
	v_sub_nc_u32_e64 v4, v4, 4 clamp
	s_delay_alu instid0(VALU_DEP_1) | instskip(NEXT) | instid1(VALU_DEP_1)
	v_dual_lshlrev_b32 v5, v4, v3 :: v_dual_lshlrev_b32 v4, 23, v4
	v_lshrrev_b32_e32 v5, 4, v5
	s_delay_alu instid0(VALU_DEP_1) | instskip(NEXT) | instid1(VALU_DEP_1)
	v_dual_sub_nc_u32 v4, v5, v4 :: v_dual_ashrrev_i32 v5, 8, v7
	v_add_nc_u32_e32 v4, 0x3c000000, v4
	s_delay_alu instid0(VALU_DEP_1) | instskip(NEXT) | instid1(VALU_DEP_1)
	v_and_or_b32 v4, 0x7f800000, v5, v4
	v_cndmask_b32_e32 v3, 0, v4, vcc_lo
	s_delay_alu instid0(VALU_DEP_1)
	v_and_or_b32 v2, 0x80000000, v2, v3
.LBB142_872:
	s_mov_b32 s26, 0
.LBB142_873:
	s_delay_alu instid0(SALU_CYCLE_1)
	s_and_not1_b32 vcc_lo, exec_lo, s26
	s_cbranch_vccnz .LBB142_875
; %bb.874:
	s_wait_loadcnt 0x0
	global_load_u8 v2, v[0:1], off
	s_wait_loadcnt 0x0
	v_lshlrev_b32_e32 v3, 25, v2
	v_lshlrev_b16 v2, 8, v2
	s_delay_alu instid0(VALU_DEP_1) | instskip(SKIP_1) | instid1(VALU_DEP_2)
	v_and_or_b32 v5, 0x7f00, v2, 0.5
	v_bfe_i32 v2, v2, 0, 16
	v_dual_add_f32 v5, -0.5, v5 :: v_dual_lshrrev_b32 v4, 4, v3
	v_cmp_gt_u32_e32 vcc_lo, 0x8000000, v3
	s_delay_alu instid0(VALU_DEP_2) | instskip(NEXT) | instid1(VALU_DEP_1)
	v_or_b32_e32 v4, 0x70000000, v4
	v_mul_f32_e32 v4, 0x7800000, v4
	s_delay_alu instid0(VALU_DEP_1) | instskip(NEXT) | instid1(VALU_DEP_1)
	v_cndmask_b32_e32 v3, v4, v5, vcc_lo
	v_and_or_b32 v2, 0x80000000, v2, v3
.LBB142_875:
	s_mov_b32 s26, 0
	s_mov_b32 s27, -1
.LBB142_876:
	s_and_not1_b32 vcc_lo, exec_lo, s26
	s_mov_b32 s26, 0
	s_cbranch_vccnz .LBB142_887
; %bb.877:
	s_cmp_gt_i32 s24, 14
	s_cbranch_scc0 .LBB142_880
; %bb.878:
	s_cmp_eq_u32 s24, 15
	s_cbranch_scc0 .LBB142_883
; %bb.879:
	s_wait_loadcnt 0x0
	global_load_u16 v2, v[0:1], off
	s_mov_b32 s25, 0
	s_mov_b32 s27, -1
	s_wait_loadcnt 0x0
	v_lshlrev_b32_e32 v2, 16, v2
	s_branch .LBB142_885
.LBB142_880:
	s_mov_b32 s26, -1
	s_branch .LBB142_884
.LBB142_881:
	s_or_saveexec_b32 s27, s27
	v_mov_b32_e32 v2, 0x7f800001
	s_xor_b32 exec_lo, exec_lo, s27
	s_cbranch_execz .LBB142_862
.LBB142_882:
	v_cmp_ne_u16_e32 vcc_lo, 0, v3
	v_mov_b32_e32 v2, 0
	s_and_not1_b32 s26, s26, exec_lo
	s_and_b32 s28, vcc_lo, exec_lo
	s_delay_alu instid0(SALU_CYCLE_1)
	s_or_b32 s26, s26, s28
	s_or_b32 exec_lo, exec_lo, s27
	s_and_saveexec_b32 s27, s26
	s_cbranch_execnz .LBB142_863
	s_branch .LBB142_864
.LBB142_883:
	s_mov_b32 s25, -1
.LBB142_884:
                                        ; implicit-def: $vgpr2
.LBB142_885:
	s_and_b32 vcc_lo, exec_lo, s26
	s_mov_b32 s26, 0
	s_cbranch_vccz .LBB142_887
; %bb.886:
	s_cmp_lg_u32 s24, 11
	s_mov_b32 s26, -1
	s_cselect_b32 s24, -1, 0
	s_and_not1_b32 s25, s25, exec_lo
	s_and_b32 s24, s24, exec_lo
	s_delay_alu instid0(SALU_CYCLE_1)
	s_or_b32 s25, s25, s24
.LBB142_887:
	s_wait_loadcnt 0x0
	v_mov_b32_e32 v3, 0
.LBB142_888:
	s_mov_b32 s24, 0
.LBB142_889:
	s_and_not1_b32 s29, s0, exec_lo
	s_and_b32 s25, s25, exec_lo
	s_and_b32 s27, s27, exec_lo
	;; [unrolled: 1-line block ×4, first 2 shown]
	s_or_b32 s25, s29, s25
.LBB142_890:
	s_wait_xcnt 0x0
	s_or_b32 exec_lo, exec_lo, s15
	s_delay_alu instid0(SALU_CYCLE_1)
	s_and_not1_b32 s0, s0, exec_lo
	s_and_b32 s15, s25, exec_lo
	s_and_b32 s27, s27, exec_lo
	;; [unrolled: 1-line block ×4, first 2 shown]
	s_or_b32 s0, s0, s15
.LBB142_891:
	s_or_b32 exec_lo, exec_lo, s22
	s_delay_alu instid0(SALU_CYCLE_1)
	s_and_not1_b32 s15, s20, exec_lo
	s_and_b32 s20, s23, exec_lo
	s_and_b32 s0, s0, exec_lo
	s_or_b32 s20, s15, s20
	s_and_not1_b32 s15, s19, exec_lo
	s_and_b32 s24, s27, exec_lo
	s_and_b32 s23, s26, exec_lo
	;; [unrolled: 1-line block ×3, first 2 shown]
	s_or_b32 s19, s15, s0
.LBB142_892:
	s_or_b32 exec_lo, exec_lo, s21
	s_delay_alu instid0(SALU_CYCLE_1)
	s_and_not1_b32 s0, s16, exec_lo
	s_and_b32 s15, s20, exec_lo
	s_and_b32 s20, s23, exec_lo
	s_or_b32 s16, s0, s15
	s_and_not1_b32 s15, s17, exec_lo
	s_and_b32 s17, s19, exec_lo
	s_and_b32 s0, s24, exec_lo
	;; [unrolled: 1-line block ×3, first 2 shown]
	s_or_b32 s17, s15, s17
	s_or_b32 exec_lo, exec_lo, s18
	s_mov_b32 s15, 0
	s_and_saveexec_b32 s18, s17
	s_cbranch_execz .LBB142_270
.LBB142_893:
	s_mov_b32 s15, exec_lo
	s_and_not1_b32 s19, s19, exec_lo
	s_trap 2
	s_or_b32 exec_lo, exec_lo, s18
	s_and_saveexec_b32 s17, s19
	s_delay_alu instid0(SALU_CYCLE_1)
	s_xor_b32 s17, exec_lo, s17
	s_cbranch_execnz .LBB142_271
.LBB142_894:
	s_or_b32 exec_lo, exec_lo, s17
	s_and_saveexec_b32 s17, s20
	s_cbranch_execz .LBB142_942
.LBB142_895:
	s_sext_i32_i16 s18, s2
	s_delay_alu instid0(SALU_CYCLE_1)
	s_cmp_lt_i32 s18, 5
	s_cbranch_scc1 .LBB142_900
; %bb.896:
	s_cmp_lt_i32 s18, 8
	s_cbranch_scc1 .LBB142_901
; %bb.897:
	;; [unrolled: 3-line block ×3, first 2 shown]
	s_cmp_gt_i32 s18, 9
	s_cbranch_scc0 .LBB142_903
; %bb.899:
	s_wait_loadcnt 0x0
	global_load_b128 v[2:5], v[0:1], off
	s_mov_b32 s18, 0
	s_wait_loadcnt 0x0
	v_cvt_f32_f64_e32 v2, v[2:3]
	v_cvt_f32_f64_e32 v3, v[4:5]
	s_branch .LBB142_904
.LBB142_900:
                                        ; implicit-def: $vgpr3
	s_branch .LBB142_922
.LBB142_901:
                                        ; implicit-def: $vgpr3
	s_branch .LBB142_910
.LBB142_902:
	s_mov_b32 s18, -1
                                        ; implicit-def: $vgpr3
	s_branch .LBB142_907
.LBB142_903:
	s_mov_b32 s18, -1
                                        ; implicit-def: $vgpr3
.LBB142_904:
	s_delay_alu instid0(SALU_CYCLE_1)
	s_and_not1_b32 vcc_lo, exec_lo, s18
	s_cbranch_vccnz .LBB142_906
; %bb.905:
	s_wait_loadcnt 0x0
	global_load_b64 v[2:3], v[0:1], off
.LBB142_906:
	s_mov_b32 s18, 0
.LBB142_907:
	s_delay_alu instid0(SALU_CYCLE_1)
	s_and_not1_b32 vcc_lo, exec_lo, s18
	s_cbranch_vccnz .LBB142_909
; %bb.908:
	s_wait_loadcnt 0x0
	global_load_b32 v2, v[0:1], off
	s_wait_loadcnt 0x0
	v_lshrrev_b32_e32 v3, 16, v2
	v_cvt_f32_f16_e32 v2, v2
	s_delay_alu instid0(VALU_DEP_2)
	v_cvt_f32_f16_e32 v3, v3
.LBB142_909:
	s_cbranch_execnz .LBB142_921
.LBB142_910:
	s_sext_i32_i16 s18, s2
	s_delay_alu instid0(SALU_CYCLE_1)
	s_cmp_lt_i32 s18, 6
	s_cbranch_scc1 .LBB142_913
; %bb.911:
	s_cmp_gt_i32 s18, 6
	s_cbranch_scc0 .LBB142_914
; %bb.912:
	s_wait_loadcnt 0x0
	global_load_b64 v[2:3], v[0:1], off
	s_mov_b32 s18, 0
	s_wait_loadcnt 0x0
	v_cvt_f32_f64_e32 v2, v[2:3]
	s_branch .LBB142_915
.LBB142_913:
	s_mov_b32 s18, -1
                                        ; implicit-def: $vgpr2
	s_branch .LBB142_918
.LBB142_914:
	s_mov_b32 s18, -1
                                        ; implicit-def: $vgpr2
.LBB142_915:
	s_delay_alu instid0(SALU_CYCLE_1)
	s_and_not1_b32 vcc_lo, exec_lo, s18
	s_cbranch_vccnz .LBB142_917
; %bb.916:
	s_wait_loadcnt 0x0
	global_load_b32 v2, v[0:1], off
.LBB142_917:
	s_mov_b32 s18, 0
.LBB142_918:
	s_delay_alu instid0(SALU_CYCLE_1)
	s_and_not1_b32 vcc_lo, exec_lo, s18
	s_cbranch_vccnz .LBB142_920
; %bb.919:
	s_wait_loadcnt 0x0
	global_load_u16 v2, v[0:1], off
	s_wait_loadcnt 0x0
	v_cvt_f32_f16_e32 v2, v2
.LBB142_920:
	s_wait_loadcnt 0x0
	v_mov_b32_e32 v3, 0
.LBB142_921:
	s_cbranch_execnz .LBB142_941
.LBB142_922:
	s_sext_i32_i16 s18, s2
	s_delay_alu instid0(SALU_CYCLE_1)
	s_cmp_lt_i32 s18, 2
	s_cbranch_scc1 .LBB142_926
; %bb.923:
	s_cmp_lt_i32 s18, 3
	s_cbranch_scc1 .LBB142_927
; %bb.924:
	s_cmp_gt_i32 s18, 3
	s_cbranch_scc0 .LBB142_928
; %bb.925:
	s_wait_loadcnt 0x0
	global_load_b64 v[2:3], v[0:1], off
	s_mov_b32 s18, 0
	s_wait_loadcnt 0x0
	v_xor_b32_e32 v4, v2, v3
	v_cls_i32_e32 v5, v3
	s_delay_alu instid0(VALU_DEP_2) | instskip(NEXT) | instid1(VALU_DEP_1)
	v_ashrrev_i32_e32 v4, 31, v4
	v_add_nc_u32_e32 v4, 32, v4
	s_delay_alu instid0(VALU_DEP_1) | instskip(NEXT) | instid1(VALU_DEP_1)
	v_add_min_u32_e64 v4, v5, -1, v4
	v_lshlrev_b64_e32 v[2:3], v4, v[2:3]
	s_delay_alu instid0(VALU_DEP_1) | instskip(NEXT) | instid1(VALU_DEP_1)
	v_min_u32_e32 v2, 1, v2
	v_dual_sub_nc_u32 v3, 32, v4 :: v_dual_bitop2_b32 v2, v3, v2 bitop3:0x54
	s_delay_alu instid0(VALU_DEP_1) | instskip(NEXT) | instid1(VALU_DEP_1)
	v_cvt_f32_i32_e32 v2, v2
	v_ldexp_f32 v2, v2, v3
	s_branch .LBB142_929
.LBB142_926:
                                        ; implicit-def: $vgpr2
	s_branch .LBB142_935
.LBB142_927:
	s_mov_b32 s18, -1
                                        ; implicit-def: $vgpr2
	s_branch .LBB142_932
.LBB142_928:
	s_mov_b32 s18, -1
                                        ; implicit-def: $vgpr2
.LBB142_929:
	s_delay_alu instid0(SALU_CYCLE_1)
	s_and_not1_b32 vcc_lo, exec_lo, s18
	s_cbranch_vccnz .LBB142_931
; %bb.930:
	s_wait_loadcnt 0x0
	global_load_b32 v2, v[0:1], off
	s_wait_loadcnt 0x0
	v_cvt_f32_i32_e32 v2, v2
.LBB142_931:
	s_mov_b32 s18, 0
.LBB142_932:
	s_delay_alu instid0(SALU_CYCLE_1)
	s_and_not1_b32 vcc_lo, exec_lo, s18
	s_cbranch_vccnz .LBB142_934
; %bb.933:
	s_wait_loadcnt 0x0
	global_load_i16 v2, v[0:1], off
	s_wait_loadcnt 0x0
	v_cvt_f32_i32_e32 v2, v2
.LBB142_934:
	s_cbranch_execnz .LBB142_940
.LBB142_935:
	s_sext_i32_i16 s18, s2
	s_delay_alu instid0(SALU_CYCLE_1)
	s_cmp_gt_i32 s18, 0
	s_mov_b32 s18, 0
	s_cbranch_scc0 .LBB142_937
; %bb.936:
	s_wait_loadcnt 0x0
	global_load_i8 v2, v[0:1], off
	s_wait_loadcnt 0x0
	v_cvt_f32_i32_e32 v2, v2
	s_branch .LBB142_938
.LBB142_937:
	s_mov_b32 s18, -1
                                        ; implicit-def: $vgpr2
.LBB142_938:
	s_delay_alu instid0(SALU_CYCLE_1)
	s_and_not1_b32 vcc_lo, exec_lo, s18
	s_cbranch_vccnz .LBB142_940
; %bb.939:
	global_load_u8 v0, v[0:1], off
	s_wait_loadcnt 0x0
	v_cvt_f32_ubyte0_e32 v2, v0
.LBB142_940:
	s_wait_loadcnt 0x0
	v_mov_b32_e32 v3, 0
.LBB142_941:
	s_or_b32 s0, s0, exec_lo
.LBB142_942:
	s_wait_xcnt 0x0
	s_or_b32 exec_lo, exec_lo, s17
	s_mov_b32 s21, 0
	s_mov_b32 s20, 0
                                        ; implicit-def: $sgpr17
                                        ; implicit-def: $sgpr18
                                        ; implicit-def: $vgpr0_vgpr1
	s_and_saveexec_b32 s19, s0
	s_cbranch_execz .LBB142_953
; %bb.943:
	s_and_not1_b32 vcc_lo, exec_lo, s11
	s_cbranch_vccnz .LBB142_957
; %bb.944:
	s_wait_loadcnt 0x0
	s_delay_alu instid0(VALU_DEP_2) | instskip(NEXT) | instid1(VALU_DEP_2)
	v_cmp_neq_f32_e32 vcc_lo, s12, v2
	v_cmp_neq_f32_e64 s0, s13, v3
	s_or_b32 s17, vcc_lo, s0
	s_cbranch_execnz .LBB142_946
.LBB142_945:
	s_wait_loadcnt 0x0
	s_delay_alu instid0(VALU_DEP_1) | instskip(NEXT) | instid1(VALU_DEP_3)
	v_cmp_eq_f32_e32 vcc_lo, s13, v3
	v_cmp_eq_f32_e64 s0, s12, v2
	s_and_not1_b32 s11, s17, exec_lo
	s_and_b32 s0, s0, vcc_lo
	s_delay_alu instid0(SALU_CYCLE_1) | instskip(NEXT) | instid1(SALU_CYCLE_1)
	s_and_b32 s0, s0, exec_lo
	s_or_b32 s17, s11, s0
.LBB142_946:
	v_mul_lo_u32 v0, v6, s8
	s_and_b32 s18, s14, 0xff
	s_delay_alu instid0(SALU_CYCLE_1) | instskip(NEXT) | instid1(VALU_DEP_1)
	s_cmp_lt_i32 s18, 11
	v_ashrrev_i32_e32 v1, 31, v0
	s_delay_alu instid0(VALU_DEP_1)
	v_add_nc_u64_e32 v[0:1], s[4:5], v[0:1]
	s_cbranch_scc1 .LBB142_956
; %bb.947:
	s_and_b32 s11, 0xffff, s18
	s_mov_b32 s20, -1
	s_cmp_gt_i32 s11, 25
	s_mov_b32 s0, s16
	s_cbranch_scc0 .LBB142_985
; %bb.948:
	s_cmp_gt_i32 s11, 28
	s_mov_b32 s0, s16
	s_cbranch_scc0 .LBB142_969
; %bb.949:
	;; [unrolled: 4-line block ×4, first 2 shown]
	s_cmp_eq_u32 s11, 46
	s_mov_b32 s0, -1
	s_cbranch_scc0 .LBB142_958
; %bb.952:
	s_wait_loadcnt 0x0
	v_cndmask_b32_e64 v2, 0, 1.0, s17
	s_mov_b32 s0, 0
	s_mov_b32 s20, 0
	s_delay_alu instid0(VALU_DEP_1) | instskip(NEXT) | instid1(VALU_DEP_1)
	v_bfe_u32 v3, v2, 16, 1
	v_add3_u32 v2, v2, v3, 0x7fff
	s_delay_alu instid0(VALU_DEP_1)
	v_lshrrev_b32_e32 v2, 16, v2
	global_store_b32 v[0:1], v2, off
	s_branch .LBB142_959
.LBB142_953:
	s_or_b32 exec_lo, exec_lo, s19
	s_and_saveexec_b32 s0, s16
	s_cbranch_execnz .LBB142_1027
.LBB142_954:
	s_or_b32 exec_lo, exec_lo, s0
	s_and_saveexec_b32 s0, s21
	s_delay_alu instid0(SALU_CYCLE_1)
	s_xor_b32 s0, exec_lo, s0
	s_cbranch_execz .LBB142_1028
.LBB142_955:
	s_wait_loadcnt 0x0
	v_cndmask_b32_e64 v2, 0, 1, s17
	global_store_b8 v[0:1], v2, off
	s_wait_xcnt 0x0
	s_or_b32 exec_lo, exec_lo, s0
	s_and_saveexec_b32 s0, s20
	s_delay_alu instid0(SALU_CYCLE_1)
	s_xor_b32 s0, exec_lo, s0
	s_cbranch_execz .LBB142_1066
	s_branch .LBB142_1029
.LBB142_956:
	s_mov_b32 s20, -1
	s_mov_b32 s0, s16
	s_branch .LBB142_1026
.LBB142_957:
                                        ; implicit-def: $sgpr17
	s_branch .LBB142_945
.LBB142_958:
	s_mov_b32 s20, 0
.LBB142_959:
	s_delay_alu instid0(SALU_CYCLE_1)
	s_and_b32 vcc_lo, exec_lo, s20
	s_cbranch_vccz .LBB142_964
; %bb.960:
	s_cmp_eq_u32 s11, 44
	s_mov_b32 s0, -1
	s_cbranch_scc0 .LBB142_964
; %bb.961:
	v_cndmask_b32_e64 v4, 0, 1.0, s17
	s_mov_b32 s20, exec_lo
	s_wait_loadcnt 0x0
	s_delay_alu instid0(VALU_DEP_1) | instskip(NEXT) | instid1(VALU_DEP_1)
	v_dual_mov_b32 v3, 0xff :: v_dual_lshrrev_b32 v2, 23, v4
	v_cmpx_ne_u32_e32 0xff, v2
; %bb.962:
	v_and_b32_e32 v3, 0x400000, v4
	v_and_or_b32 v4, 0x3fffff, v4, v2
	s_delay_alu instid0(VALU_DEP_2) | instskip(NEXT) | instid1(VALU_DEP_2)
	v_cmp_ne_u32_e32 vcc_lo, 0, v3
	v_cmp_ne_u32_e64 s0, 0, v4
	s_and_b32 s0, vcc_lo, s0
	s_delay_alu instid0(SALU_CYCLE_1) | instskip(NEXT) | instid1(VALU_DEP_1)
	v_cndmask_b32_e64 v3, 0, 1, s0
	v_add_nc_u32_e32 v3, v2, v3
; %bb.963:
	s_or_b32 exec_lo, exec_lo, s20
	s_mov_b32 s0, 0
	global_store_b8 v[0:1], v3, off
.LBB142_964:
	s_mov_b32 s20, 0
.LBB142_965:
	s_delay_alu instid0(SALU_CYCLE_1)
	s_and_b32 vcc_lo, exec_lo, s20
	s_cbranch_vccz .LBB142_968
; %bb.966:
	s_cmp_eq_u32 s11, 29
	s_mov_b32 s0, -1
	s_cbranch_scc0 .LBB142_968
; %bb.967:
	s_mov_b32 s0, 0
	s_wait_loadcnt 0x0
	v_cndmask_b32_e64 v2, 0, 1, s17
	v_mov_b32_e32 v3, s0
	s_mov_b32 s20, 0
	global_store_b64 v[0:1], v[2:3], off
	s_branch .LBB142_969
.LBB142_968:
	s_mov_b32 s20, 0
.LBB142_969:
	s_delay_alu instid0(SALU_CYCLE_1)
	s_and_b32 vcc_lo, exec_lo, s20
	s_cbranch_vccz .LBB142_984
; %bb.970:
	s_cmp_lt_i32 s11, 27
	s_mov_b32 s20, -1
	s_cbranch_scc1 .LBB142_976
; %bb.971:
	s_wait_loadcnt 0x0
	v_cndmask_b32_e64 v2, 0, 1, s17
	s_cmp_gt_i32 s11, 27
	s_cbranch_scc0 .LBB142_973
; %bb.972:
	s_mov_b32 s20, 0
	global_store_b32 v[0:1], v2, off
.LBB142_973:
	s_and_not1_b32 vcc_lo, exec_lo, s20
	s_cbranch_vccnz .LBB142_975
; %bb.974:
	global_store_b16 v[0:1], v2, off
.LBB142_975:
	s_mov_b32 s20, 0
.LBB142_976:
	s_delay_alu instid0(SALU_CYCLE_1)
	s_and_not1_b32 vcc_lo, exec_lo, s20
	s_cbranch_vccnz .LBB142_984
; %bb.977:
	s_wait_loadcnt 0x0
	v_cndmask_b32_e64 v3, 0, 1.0, s17
	v_mov_b32_e32 v4, 0x80
	s_mov_b32 s20, exec_lo
	s_delay_alu instid0(VALU_DEP_2)
	v_cmpx_gt_u32_e32 0x43800000, v3
	s_cbranch_execz .LBB142_983
; %bb.978:
	s_mov_b32 s22, exec_lo
                                        ; implicit-def: $vgpr2
	v_cmpx_lt_u32_e32 0x3bffffff, v3
	s_xor_b32 s22, exec_lo, s22
	s_cbranch_execz .LBB142_1081
; %bb.979:
	v_bfe_u32 v2, v3, 20, 1
	s_mov_b32 s21, exec_lo
	s_delay_alu instid0(VALU_DEP_1) | instskip(NEXT) | instid1(VALU_DEP_1)
	v_add3_u32 v2, v3, v2, 0x487ffff
                                        ; implicit-def: $vgpr3
	v_lshrrev_b32_e32 v2, 20, v2
	s_and_not1_saveexec_b32 s22, s22
	s_cbranch_execnz .LBB142_1082
.LBB142_980:
	s_or_b32 exec_lo, exec_lo, s22
	v_mov_b32_e32 v4, 0
	s_and_saveexec_b32 s22, s21
.LBB142_981:
	v_mov_b32_e32 v4, v2
.LBB142_982:
	s_or_b32 exec_lo, exec_lo, s22
.LBB142_983:
	s_delay_alu instid0(SALU_CYCLE_1)
	s_or_b32 exec_lo, exec_lo, s20
	global_store_b8 v[0:1], v4, off
.LBB142_984:
	s_mov_b32 s20, 0
.LBB142_985:
	s_delay_alu instid0(SALU_CYCLE_1)
	s_and_b32 vcc_lo, exec_lo, s20
	s_mov_b32 s20, 0
	s_cbranch_vccz .LBB142_1025
; %bb.986:
	s_cmp_gt_i32 s11, 22
	s_mov_b32 s21, -1
	s_cbranch_scc0 .LBB142_1018
; %bb.987:
	s_cmp_lt_i32 s11, 24
	s_cbranch_scc1 .LBB142_1007
; %bb.988:
	s_cmp_gt_i32 s11, 24
	s_cbranch_scc0 .LBB142_996
; %bb.989:
	s_wait_loadcnt 0x0
	v_cndmask_b32_e64 v3, 0, 1.0, s17
	v_mov_b32_e32 v4, 0x80
	s_mov_b32 s21, exec_lo
	s_delay_alu instid0(VALU_DEP_2)
	v_cmpx_gt_u32_e32 0x47800000, v3
	s_cbranch_execz .LBB142_995
; %bb.990:
	s_mov_b32 s22, 0
	s_mov_b32 s23, exec_lo
                                        ; implicit-def: $vgpr2
	v_cmpx_lt_u32_e32 0x37ffffff, v3
	s_xor_b32 s23, exec_lo, s23
	s_cbranch_execz .LBB142_1216
; %bb.991:
	v_bfe_u32 v2, v3, 21, 1
	s_mov_b32 s22, exec_lo
	s_delay_alu instid0(VALU_DEP_1) | instskip(NEXT) | instid1(VALU_DEP_1)
	v_add3_u32 v2, v3, v2, 0x88fffff
                                        ; implicit-def: $vgpr3
	v_lshrrev_b32_e32 v2, 21, v2
	s_and_not1_saveexec_b32 s23, s23
	s_cbranch_execnz .LBB142_1217
.LBB142_992:
	s_or_b32 exec_lo, exec_lo, s23
	v_mov_b32_e32 v4, 0
	s_and_saveexec_b32 s23, s22
.LBB142_993:
	v_mov_b32_e32 v4, v2
.LBB142_994:
	s_or_b32 exec_lo, exec_lo, s23
.LBB142_995:
	s_delay_alu instid0(SALU_CYCLE_1)
	s_or_b32 exec_lo, exec_lo, s21
	s_mov_b32 s21, 0
	global_store_b8 v[0:1], v4, off
.LBB142_996:
	s_and_b32 vcc_lo, exec_lo, s21
	s_cbranch_vccz .LBB142_1006
; %bb.997:
	s_wait_loadcnt 0x0
	v_cndmask_b32_e64 v3, 0, 1.0, s17
	s_mov_b32 s21, exec_lo
                                        ; implicit-def: $vgpr2
	s_delay_alu instid0(VALU_DEP_1)
	v_cmpx_gt_u32_e32 0x43f00000, v3
	s_xor_b32 s21, exec_lo, s21
	s_cbranch_execz .LBB142_1003
; %bb.998:
	s_mov_b32 s22, exec_lo
                                        ; implicit-def: $vgpr2
	v_cmpx_lt_u32_e32 0x3c7fffff, v3
	s_xor_b32 s22, exec_lo, s22
; %bb.999:
	v_bfe_u32 v2, v3, 20, 1
	s_delay_alu instid0(VALU_DEP_1) | instskip(NEXT) | instid1(VALU_DEP_1)
	v_add3_u32 v2, v3, v2, 0x407ffff
	v_and_b32_e32 v3, 0xff00000, v2
	v_lshrrev_b32_e32 v2, 20, v2
	s_delay_alu instid0(VALU_DEP_2) | instskip(NEXT) | instid1(VALU_DEP_2)
	v_cmp_ne_u32_e32 vcc_lo, 0x7f00000, v3
                                        ; implicit-def: $vgpr3
	v_cndmask_b32_e32 v2, 0x7e, v2, vcc_lo
; %bb.1000:
	s_and_not1_saveexec_b32 s22, s22
; %bb.1001:
	v_add_f32_e32 v2, 0x46800000, v3
; %bb.1002:
	s_or_b32 exec_lo, exec_lo, s22
                                        ; implicit-def: $vgpr3
.LBB142_1003:
	s_and_not1_saveexec_b32 s21, s21
; %bb.1004:
	v_mov_b32_e32 v2, 0x7f
	v_cmp_lt_u32_e32 vcc_lo, 0x7f800000, v3
	s_delay_alu instid0(VALU_DEP_2)
	v_cndmask_b32_e32 v2, 0x7e, v2, vcc_lo
; %bb.1005:
	s_or_b32 exec_lo, exec_lo, s21
	global_store_b8 v[0:1], v2, off
.LBB142_1006:
	s_mov_b32 s21, 0
.LBB142_1007:
	s_delay_alu instid0(SALU_CYCLE_1)
	s_and_not1_b32 vcc_lo, exec_lo, s21
	s_cbranch_vccnz .LBB142_1017
; %bb.1008:
	s_wait_loadcnt 0x0
	v_cndmask_b32_e64 v3, 0, 1.0, s17
	s_mov_b32 s21, exec_lo
                                        ; implicit-def: $vgpr2
	s_delay_alu instid0(VALU_DEP_1)
	v_cmpx_gt_u32_e32 0x47800000, v3
	s_xor_b32 s21, exec_lo, s21
	s_cbranch_execz .LBB142_1014
; %bb.1009:
	s_mov_b32 s22, exec_lo
                                        ; implicit-def: $vgpr2
	v_cmpx_lt_u32_e32 0x387fffff, v3
	s_xor_b32 s22, exec_lo, s22
; %bb.1010:
	v_bfe_u32 v2, v3, 21, 1
	s_delay_alu instid0(VALU_DEP_1) | instskip(NEXT) | instid1(VALU_DEP_1)
	v_add3_u32 v2, v3, v2, 0x80fffff
                                        ; implicit-def: $vgpr3
	v_lshrrev_b32_e32 v2, 21, v2
; %bb.1011:
	s_and_not1_saveexec_b32 s22, s22
; %bb.1012:
	v_add_f32_e32 v2, 0x43000000, v3
; %bb.1013:
	s_or_b32 exec_lo, exec_lo, s22
                                        ; implicit-def: $vgpr3
.LBB142_1014:
	s_and_not1_saveexec_b32 s21, s21
; %bb.1015:
	v_mov_b32_e32 v2, 0x7f
	v_cmp_lt_u32_e32 vcc_lo, 0x7f800000, v3
	s_delay_alu instid0(VALU_DEP_2)
	v_cndmask_b32_e32 v2, 0x7c, v2, vcc_lo
; %bb.1016:
	s_or_b32 exec_lo, exec_lo, s21
	global_store_b8 v[0:1], v2, off
.LBB142_1017:
	s_mov_b32 s21, 0
.LBB142_1018:
	s_delay_alu instid0(SALU_CYCLE_1)
	s_and_not1_b32 vcc_lo, exec_lo, s21
	s_mov_b32 s21, 0
	s_cbranch_vccnz .LBB142_1026
; %bb.1019:
	s_cmp_gt_i32 s11, 14
	s_mov_b32 s21, -1
	s_cbranch_scc0 .LBB142_1023
; %bb.1020:
	s_cmp_eq_u32 s11, 15
	s_mov_b32 s0, -1
	s_cbranch_scc0 .LBB142_1022
; %bb.1021:
	s_wait_loadcnt 0x0
	v_cndmask_b32_e64 v2, 0, 1.0, s17
	s_mov_b32 s0, 0
	s_delay_alu instid0(VALU_DEP_1) | instskip(NEXT) | instid1(VALU_DEP_1)
	v_bfe_u32 v3, v2, 16, 1
	v_add3_u32 v2, v2, v3, 0x7fff
	global_store_d16_hi_b16 v[0:1], v2, off
.LBB142_1022:
	s_mov_b32 s21, 0
.LBB142_1023:
	s_delay_alu instid0(SALU_CYCLE_1)
	s_and_b32 vcc_lo, exec_lo, s21
	s_mov_b32 s21, 0
	s_cbranch_vccz .LBB142_1026
; %bb.1024:
	s_cmp_lg_u32 s11, 11
	s_mov_b32 s21, -1
	s_cselect_b32 s11, -1, 0
	s_and_not1_b32 s0, s0, exec_lo
	s_and_b32 s11, s11, exec_lo
	s_delay_alu instid0(SALU_CYCLE_1)
	s_or_b32 s0, s0, s11
	s_branch .LBB142_1026
.LBB142_1025:
	s_mov_b32 s21, 0
.LBB142_1026:
	s_and_not1_b32 s11, s16, exec_lo
	s_and_b32 s0, s0, exec_lo
	s_and_b32 s20, s20, exec_lo
	;; [unrolled: 1-line block ×3, first 2 shown]
	s_or_b32 s16, s11, s0
	s_wait_xcnt 0x0
	s_or_b32 exec_lo, exec_lo, s19
	s_and_saveexec_b32 s0, s16
	s_cbranch_execz .LBB142_954
.LBB142_1027:
	s_or_b32 s15, s15, exec_lo
	s_and_not1_b32 s21, s21, exec_lo
	s_trap 2
	s_or_b32 exec_lo, exec_lo, s0
	s_and_saveexec_b32 s0, s21
	s_delay_alu instid0(SALU_CYCLE_1)
	s_xor_b32 s0, exec_lo, s0
	s_cbranch_execnz .LBB142_955
.LBB142_1028:
	s_or_b32 exec_lo, exec_lo, s0
	s_and_saveexec_b32 s0, s20
	s_delay_alu instid0(SALU_CYCLE_1)
	s_xor_b32 s0, exec_lo, s0
	s_cbranch_execz .LBB142_1066
.LBB142_1029:
	s_sext_i32_i16 s16, s18
	s_mov_b32 s11, -1
	s_cmp_lt_i32 s16, 5
	s_cbranch_scc1 .LBB142_1050
; %bb.1030:
	s_cmp_lt_i32 s16, 8
	s_cbranch_scc1 .LBB142_1040
; %bb.1031:
	;; [unrolled: 3-line block ×3, first 2 shown]
	s_cmp_gt_i32 s16, 9
	s_cbranch_scc0 .LBB142_1034
; %bb.1033:
	s_wait_loadcnt 0x0
	v_cndmask_b32_e64 v2, 0, 1, s17
	v_mov_b32_e32 v4, 0
	s_mov_b32 s11, 0
	s_delay_alu instid0(VALU_DEP_2) | instskip(NEXT) | instid1(VALU_DEP_2)
	v_cvt_f64_u32_e32 v[2:3], v2
	v_mov_b32_e32 v5, v4
	global_store_b128 v[0:1], v[2:5], off
.LBB142_1034:
	s_and_not1_b32 vcc_lo, exec_lo, s11
	s_cbranch_vccnz .LBB142_1036
; %bb.1035:
	s_wait_loadcnt 0x0
	v_cndmask_b32_e64 v2, 0, 1.0, s17
	v_mov_b32_e32 v3, 0
	global_store_b64 v[0:1], v[2:3], off
.LBB142_1036:
	s_mov_b32 s11, 0
.LBB142_1037:
	s_delay_alu instid0(SALU_CYCLE_1)
	s_and_not1_b32 vcc_lo, exec_lo, s11
	s_cbranch_vccnz .LBB142_1039
; %bb.1038:
	s_wait_loadcnt 0x0
	v_cndmask_b32_e64 v2, 0, 1.0, s17
	s_delay_alu instid0(VALU_DEP_1) | instskip(NEXT) | instid1(VALU_DEP_1)
	v_cvt_f16_f32_e32 v2, v2
	v_and_b32_e32 v2, 0xffff, v2
	global_store_b32 v[0:1], v2, off
.LBB142_1039:
	s_mov_b32 s11, 0
.LBB142_1040:
	s_delay_alu instid0(SALU_CYCLE_1)
	s_and_not1_b32 vcc_lo, exec_lo, s11
	s_cbranch_vccnz .LBB142_1049
; %bb.1041:
	s_sext_i32_i16 s16, s18
	s_mov_b32 s11, -1
	s_cmp_lt_i32 s16, 6
	s_cbranch_scc1 .LBB142_1047
; %bb.1042:
	s_cmp_gt_i32 s16, 6
	s_cbranch_scc0 .LBB142_1044
; %bb.1043:
	s_wait_loadcnt 0x0
	v_cndmask_b32_e64 v2, 0, 1, s17
	s_mov_b32 s11, 0
	s_delay_alu instid0(VALU_DEP_1)
	v_cvt_f64_u32_e32 v[2:3], v2
	global_store_b64 v[0:1], v[2:3], off
.LBB142_1044:
	s_and_not1_b32 vcc_lo, exec_lo, s11
	s_cbranch_vccnz .LBB142_1046
; %bb.1045:
	s_wait_loadcnt 0x0
	v_cndmask_b32_e64 v2, 0, 1.0, s17
	global_store_b32 v[0:1], v2, off
.LBB142_1046:
	s_mov_b32 s11, 0
.LBB142_1047:
	s_delay_alu instid0(SALU_CYCLE_1)
	s_and_not1_b32 vcc_lo, exec_lo, s11
	s_cbranch_vccnz .LBB142_1049
; %bb.1048:
	s_wait_loadcnt 0x0
	v_cndmask_b32_e64 v2, 0, 1.0, s17
	s_delay_alu instid0(VALU_DEP_1)
	v_cvt_f16_f32_e32 v2, v2
	global_store_b16 v[0:1], v2, off
.LBB142_1049:
	s_mov_b32 s11, 0
.LBB142_1050:
	s_delay_alu instid0(SALU_CYCLE_1)
	s_and_not1_b32 vcc_lo, exec_lo, s11
	s_cbranch_vccnz .LBB142_1066
; %bb.1051:
	s_sext_i32_i16 s16, s18
	s_mov_b32 s11, -1
	s_cmp_lt_i32 s16, 2
	s_cbranch_scc1 .LBB142_1061
; %bb.1052:
	s_cmp_lt_i32 s16, 3
	s_cbranch_scc1 .LBB142_1058
; %bb.1053:
	s_cmp_gt_i32 s16, 3
	s_cbranch_scc0 .LBB142_1055
; %bb.1054:
	s_mov_b32 s11, 0
	s_wait_loadcnt 0x0
	v_cndmask_b32_e64 v2, 0, 1, s17
	v_mov_b32_e32 v3, s11
	global_store_b64 v[0:1], v[2:3], off
.LBB142_1055:
	s_and_not1_b32 vcc_lo, exec_lo, s11
	s_cbranch_vccnz .LBB142_1057
; %bb.1056:
	s_wait_loadcnt 0x0
	v_cndmask_b32_e64 v2, 0, 1, s17
	global_store_b32 v[0:1], v2, off
.LBB142_1057:
	s_mov_b32 s11, 0
.LBB142_1058:
	s_delay_alu instid0(SALU_CYCLE_1)
	s_and_not1_b32 vcc_lo, exec_lo, s11
	s_cbranch_vccnz .LBB142_1060
; %bb.1059:
	s_wait_loadcnt 0x0
	v_cndmask_b32_e64 v2, 0, 1, s17
	global_store_b16 v[0:1], v2, off
.LBB142_1060:
	s_mov_b32 s11, 0
.LBB142_1061:
	s_delay_alu instid0(SALU_CYCLE_1)
	s_and_not1_b32 vcc_lo, exec_lo, s11
	s_cbranch_vccnz .LBB142_1066
; %bb.1062:
	s_wait_loadcnt 0x0
	v_cndmask_b32_e64 v2, 0, 1, s17
	s_sext_i32_i16 s11, s18
	s_delay_alu instid0(SALU_CYCLE_1)
	s_cmp_gt_i32 s11, 0
	s_mov_b32 s11, -1
	s_cbranch_scc0 .LBB142_1064
; %bb.1063:
	s_mov_b32 s11, 0
	global_store_b8 v[0:1], v2, off
.LBB142_1064:
	s_and_not1_b32 vcc_lo, exec_lo, s11
	s_cbranch_vccnz .LBB142_1066
; %bb.1065:
	global_store_b8 v[0:1], v2, off
.LBB142_1066:
	s_wait_xcnt 0x0
	s_or_b32 exec_lo, exec_lo, s0
	s_delay_alu instid0(SALU_CYCLE_1)
	s_and_b32 s11, s15, exec_lo
                                        ; implicit-def: $vgpr6
.LBB142_1067:
	s_or_saveexec_b32 s3, s3
	s_mov_b32 s0, 0
                                        ; implicit-def: $sgpr15
                                        ; implicit-def: $sgpr17
                                        ; implicit-def: $vgpr0_vgpr1
	s_xor_b32 exec_lo, exec_lo, s3
	s_cbranch_execz .LBB142_1621
; %bb.1068:
	v_mul_lo_u32 v0, s9, v6
	s_and_b32 s2, 0xffff, s2
	s_delay_alu instid0(SALU_CYCLE_1) | instskip(NEXT) | instid1(VALU_DEP_1)
	s_cmp_lt_i32 s2, 11
	v_ashrrev_i32_e32 v1, 31, v0
	s_wait_loadcnt 0x0
	s_delay_alu instid0(VALU_DEP_1)
	v_add_nc_u64_e32 v[2:3], s[6:7], v[0:1]
	s_cbranch_scc1 .LBB142_1075
; %bb.1069:
	s_cmp_gt_i32 s2, 25
	s_mov_b32 s15, 0
	s_cbranch_scc0 .LBB142_1077
; %bb.1070:
	s_cmp_gt_i32 s2, 28
	s_cbranch_scc0 .LBB142_1078
; %bb.1071:
	s_cmp_gt_i32 s2, 43
	;; [unrolled: 3-line block ×3, first 2 shown]
	s_cbranch_scc0 .LBB142_1080
; %bb.1073:
	s_cmp_eq_u32 s2, 46
	s_cbranch_scc0 .LBB142_1083
; %bb.1074:
	global_load_b32 v1, v[2:3], off
	s_mov_b32 s16, -1
	s_wait_loadcnt 0x0
	v_and_b32_e32 v5, 0xffff0000, v1
	v_lshlrev_b32_e32 v4, 16, v1
	s_branch .LBB142_1085
.LBB142_1075:
	s_mov_b32 s16, 0
	s_mov_b32 s1, s11
                                        ; implicit-def: $vgpr5
	s_cbranch_execnz .LBB142_1151
.LBB142_1076:
	s_and_not1_b32 vcc_lo, exec_lo, s16
	s_cbranch_vccz .LBB142_1198
	s_branch .LBB142_1618
.LBB142_1077:
	s_mov_b32 s16, 0
                                        ; implicit-def: $vgpr5
	s_cbranch_execnz .LBB142_1115
	s_branch .LBB142_1147
.LBB142_1078:
	s_mov_b32 s16, 0
                                        ; implicit-def: $vgpr5
	s_cbranch_execnz .LBB142_1097
	s_branch .LBB142_1114
.LBB142_1079:
	s_mov_b32 s1, -1
	s_mov_b32 s16, 0
                                        ; implicit-def: $vgpr5
	s_branch .LBB142_1091
.LBB142_1080:
	s_mov_b32 s1, -1
	s_branch .LBB142_1084
.LBB142_1081:
	s_and_not1_saveexec_b32 s22, s22
	s_cbranch_execz .LBB142_980
.LBB142_1082:
	v_add_f32_e32 v2, 0x46000000, v3
	s_and_not1_b32 s21, s21, exec_lo
	s_delay_alu instid0(VALU_DEP_1) | instskip(NEXT) | instid1(VALU_DEP_1)
	v_and_b32_e32 v2, 0xff, v2
	v_cmp_ne_u32_e32 vcc_lo, 0, v2
	s_and_b32 s23, vcc_lo, exec_lo
	s_delay_alu instid0(SALU_CYCLE_1)
	s_or_b32 s21, s21, s23
	s_or_b32 exec_lo, exec_lo, s22
	v_mov_b32_e32 v4, 0
	s_and_saveexec_b32 s22, s21
	s_cbranch_execnz .LBB142_981
	s_branch .LBB142_982
.LBB142_1083:
	s_mov_b32 s0, -1
.LBB142_1084:
	s_mov_b32 s16, 0
                                        ; implicit-def: $vgpr5
.LBB142_1085:
	s_and_b32 vcc_lo, exec_lo, s1
	s_cbranch_vccz .LBB142_1090
; %bb.1086:
	s_cmp_eq_u32 s2, 44
	s_cbranch_scc0 .LBB142_1088
; %bb.1087:
	global_load_u8 v1, v[2:3], off
	s_mov_b32 s0, 0
	s_mov_b32 s16, -1
	s_wait_loadcnt 0x0
	v_lshlrev_b32_e32 v4, 23, v1
	v_cmp_ne_u32_e32 vcc_lo, 0xff, v1
	s_delay_alu instid0(VALU_DEP_2) | instskip(SKIP_1) | instid1(VALU_DEP_2)
	v_cndmask_b32_e32 v4, 0x7f800001, v4, vcc_lo
	v_cmp_ne_u32_e32 vcc_lo, 0, v1
	v_cndmask_b32_e32 v4, 0x400000, v4, vcc_lo
	s_branch .LBB142_1089
.LBB142_1088:
	s_mov_b32 s0, -1
                                        ; implicit-def: $vgpr4
.LBB142_1089:
	v_mov_b32_e32 v5, 0
.LBB142_1090:
	s_mov_b32 s1, 0
.LBB142_1091:
	s_delay_alu instid0(SALU_CYCLE_1)
	s_and_b32 vcc_lo, exec_lo, s1
	s_cbranch_vccz .LBB142_1096
; %bb.1092:
	s_cmp_eq_u32 s2, 29
	s_cbranch_scc0 .LBB142_1094
; %bb.1093:
	global_load_b64 v[4:5], v[2:3], off
	s_mov_b32 s0, 0
	s_mov_b32 s16, -1
	s_wait_loadcnt 0x0
	v_clz_i32_u32_e32 v1, v5
	s_delay_alu instid0(VALU_DEP_1) | instskip(NEXT) | instid1(VALU_DEP_1)
	v_min_u32_e32 v1, 32, v1
	v_lshlrev_b64_e32 v[4:5], v1, v[4:5]
	v_sub_nc_u32_e32 v1, 32, v1
	s_delay_alu instid0(VALU_DEP_2) | instskip(NEXT) | instid1(VALU_DEP_1)
	v_min_u32_e32 v4, 1, v4
	v_or_b32_e32 v4, v5, v4
	s_delay_alu instid0(VALU_DEP_1) | instskip(NEXT) | instid1(VALU_DEP_1)
	v_cvt_f32_u32_e32 v4, v4
	v_ldexp_f32 v4, v4, v1
	s_branch .LBB142_1095
.LBB142_1094:
	s_mov_b32 s0, -1
                                        ; implicit-def: $vgpr4
.LBB142_1095:
	v_mov_b32_e32 v5, 0
.LBB142_1096:
	s_branch .LBB142_1114
.LBB142_1097:
	s_cmp_lt_i32 s2, 27
	s_cbranch_scc1 .LBB142_1100
; %bb.1098:
	s_cmp_gt_i32 s2, 27
	s_cbranch_scc0 .LBB142_1101
; %bb.1099:
	global_load_b32 v1, v[2:3], off
	s_mov_b32 s1, 0
	s_wait_loadcnt 0x0
	v_cvt_f32_u32_e32 v4, v1
	s_branch .LBB142_1102
.LBB142_1100:
	s_mov_b32 s1, -1
                                        ; implicit-def: $vgpr4
	s_branch .LBB142_1105
.LBB142_1101:
	s_mov_b32 s1, -1
                                        ; implicit-def: $vgpr4
.LBB142_1102:
	s_delay_alu instid0(SALU_CYCLE_1)
	s_and_not1_b32 vcc_lo, exec_lo, s1
	s_cbranch_vccnz .LBB142_1104
; %bb.1103:
	global_load_u16 v1, v[2:3], off
	s_wait_loadcnt 0x0
	v_cvt_f32_u32_e32 v4, v1
.LBB142_1104:
	s_mov_b32 s1, 0
.LBB142_1105:
	s_delay_alu instid0(SALU_CYCLE_1)
	s_and_not1_b32 vcc_lo, exec_lo, s1
	s_cbranch_vccnz .LBB142_1113
; %bb.1106:
	global_load_u8 v1, v[2:3], off
	s_mov_b32 s1, 0
	s_mov_b32 s16, exec_lo
	s_wait_loadcnt 0x0
	v_cmpx_lt_i16_e32 0x7f, v1
	s_xor_b32 s16, exec_lo, s16
	s_cbranch_execz .LBB142_1126
; %bb.1107:
	s_mov_b32 s1, -1
	s_mov_b32 s17, exec_lo
	v_cmpx_eq_u16_e32 0x80, v1
; %bb.1108:
	s_xor_b32 s1, exec_lo, -1
; %bb.1109:
	s_or_b32 exec_lo, exec_lo, s17
	s_delay_alu instid0(SALU_CYCLE_1)
	s_and_b32 s1, s1, exec_lo
	s_or_saveexec_b32 s16, s16
	v_mov_b32_e32 v4, 0x7f800001
	s_xor_b32 exec_lo, exec_lo, s16
	s_cbranch_execnz .LBB142_1127
.LBB142_1110:
	s_or_b32 exec_lo, exec_lo, s16
	s_and_saveexec_b32 s16, s1
	s_cbranch_execz .LBB142_1112
.LBB142_1111:
	v_and_b32_e32 v4, 0xffff, v1
	s_delay_alu instid0(VALU_DEP_1) | instskip(SKIP_1) | instid1(VALU_DEP_2)
	v_and_b32_e32 v5, 7, v4
	v_bfe_u32 v9, v4, 3, 4
	v_clz_i32_u32_e32 v7, v5
	s_delay_alu instid0(VALU_DEP_2) | instskip(NEXT) | instid1(VALU_DEP_2)
	v_cmp_eq_u32_e32 vcc_lo, 0, v9
	v_min_u32_e32 v7, 32, v7
	s_delay_alu instid0(VALU_DEP_1) | instskip(NEXT) | instid1(VALU_DEP_1)
	v_subrev_nc_u32_e32 v8, 28, v7
	v_dual_lshlrev_b32 v4, v8, v4 :: v_dual_sub_nc_u32 v7, 29, v7
	s_delay_alu instid0(VALU_DEP_1) | instskip(NEXT) | instid1(VALU_DEP_2)
	v_dual_lshlrev_b32 v1, 24, v1 :: v_dual_bitop2_b32 v4, 7, v4 bitop3:0x40
	v_cndmask_b32_e32 v7, v9, v7, vcc_lo
	s_delay_alu instid0(VALU_DEP_2) | instskip(NEXT) | instid1(VALU_DEP_3)
	v_cndmask_b32_e32 v4, v5, v4, vcc_lo
	v_and_b32_e32 v1, 0x80000000, v1
	s_delay_alu instid0(VALU_DEP_3) | instskip(NEXT) | instid1(VALU_DEP_3)
	v_lshl_add_u32 v5, v7, 23, 0x3b800000
	v_lshlrev_b32_e32 v4, 20, v4
	s_delay_alu instid0(VALU_DEP_1)
	v_or3_b32 v4, v1, v5, v4
.LBB142_1112:
	s_or_b32 exec_lo, exec_lo, s16
.LBB142_1113:
	v_mov_b32_e32 v5, 0
	s_mov_b32 s16, -1
.LBB142_1114:
	s_branch .LBB142_1147
.LBB142_1115:
	s_cmp_gt_i32 s2, 22
	s_cbranch_scc0 .LBB142_1125
; %bb.1116:
	s_cmp_lt_i32 s2, 24
	s_cbranch_scc1 .LBB142_1128
; %bb.1117:
	s_cmp_gt_i32 s2, 24
	s_cbranch_scc0 .LBB142_1129
; %bb.1118:
	global_load_u8 v1, v[2:3], off
	s_mov_b32 s1, 0
	s_mov_b32 s15, exec_lo
	s_wait_loadcnt 0x0
	v_cmpx_lt_i16_e32 0x7f, v1
	s_xor_b32 s15, exec_lo, s15
	s_cbranch_execz .LBB142_1140
; %bb.1119:
	s_mov_b32 s1, -1
	s_mov_b32 s16, exec_lo
	v_cmpx_eq_u16_e32 0x80, v1
; %bb.1120:
	s_xor_b32 s1, exec_lo, -1
; %bb.1121:
	s_or_b32 exec_lo, exec_lo, s16
	s_delay_alu instid0(SALU_CYCLE_1)
	s_and_b32 s1, s1, exec_lo
	s_or_saveexec_b32 s15, s15
	v_mov_b32_e32 v4, 0x7f800001
	s_xor_b32 exec_lo, exec_lo, s15
	s_cbranch_execnz .LBB142_1141
.LBB142_1122:
	s_or_b32 exec_lo, exec_lo, s15
	s_and_saveexec_b32 s15, s1
	s_cbranch_execz .LBB142_1124
.LBB142_1123:
	v_and_b32_e32 v4, 0xffff, v1
	s_delay_alu instid0(VALU_DEP_1) | instskip(SKIP_1) | instid1(VALU_DEP_2)
	v_and_b32_e32 v5, 3, v4
	v_bfe_u32 v9, v4, 2, 5
	v_clz_i32_u32_e32 v7, v5
	s_delay_alu instid0(VALU_DEP_2) | instskip(NEXT) | instid1(VALU_DEP_2)
	v_cmp_eq_u32_e32 vcc_lo, 0, v9
	v_min_u32_e32 v7, 32, v7
	s_delay_alu instid0(VALU_DEP_1) | instskip(NEXT) | instid1(VALU_DEP_1)
	v_subrev_nc_u32_e32 v8, 29, v7
	v_dual_lshlrev_b32 v4, v8, v4 :: v_dual_sub_nc_u32 v7, 30, v7
	s_delay_alu instid0(VALU_DEP_1) | instskip(NEXT) | instid1(VALU_DEP_2)
	v_dual_lshlrev_b32 v1, 24, v1 :: v_dual_bitop2_b32 v4, 3, v4 bitop3:0x40
	v_cndmask_b32_e32 v7, v9, v7, vcc_lo
	s_delay_alu instid0(VALU_DEP_2) | instskip(NEXT) | instid1(VALU_DEP_3)
	v_cndmask_b32_e32 v4, v5, v4, vcc_lo
	v_and_b32_e32 v1, 0x80000000, v1
	s_delay_alu instid0(VALU_DEP_3) | instskip(NEXT) | instid1(VALU_DEP_3)
	v_lshl_add_u32 v5, v7, 23, 0x37800000
	v_lshlrev_b32_e32 v4, 21, v4
	s_delay_alu instid0(VALU_DEP_1)
	v_or3_b32 v4, v1, v5, v4
.LBB142_1124:
	s_or_b32 exec_lo, exec_lo, s15
	s_mov_b32 s1, 0
	s_branch .LBB142_1130
.LBB142_1125:
                                        ; implicit-def: $vgpr4
	s_mov_b32 s15, 0
	s_branch .LBB142_1136
.LBB142_1126:
	s_or_saveexec_b32 s16, s16
	v_mov_b32_e32 v4, 0x7f800001
	s_xor_b32 exec_lo, exec_lo, s16
	s_cbranch_execz .LBB142_1110
.LBB142_1127:
	v_cmp_ne_u16_e32 vcc_lo, 0, v1
	v_mov_b32_e32 v4, 0
	s_and_not1_b32 s1, s1, exec_lo
	s_and_b32 s17, vcc_lo, exec_lo
	s_delay_alu instid0(SALU_CYCLE_1)
	s_or_b32 s1, s1, s17
	s_or_b32 exec_lo, exec_lo, s16
	s_and_saveexec_b32 s16, s1
	s_cbranch_execnz .LBB142_1111
	s_branch .LBB142_1112
.LBB142_1128:
	s_mov_b32 s1, -1
                                        ; implicit-def: $vgpr4
	s_branch .LBB142_1133
.LBB142_1129:
	s_mov_b32 s1, -1
                                        ; implicit-def: $vgpr4
.LBB142_1130:
	s_delay_alu instid0(SALU_CYCLE_1)
	s_and_b32 vcc_lo, exec_lo, s1
	s_cbranch_vccz .LBB142_1132
; %bb.1131:
	global_load_u8 v1, v[2:3], off
	s_wait_loadcnt 0x0
	v_lshlrev_b32_e32 v1, 24, v1
	s_delay_alu instid0(VALU_DEP_1) | instskip(NEXT) | instid1(VALU_DEP_1)
	v_and_b32_e32 v4, 0x7f000000, v1
	v_clz_i32_u32_e32 v5, v4
	v_add_nc_u32_e32 v8, 0x1000000, v4
	v_cmp_ne_u32_e32 vcc_lo, 0, v4
	s_delay_alu instid0(VALU_DEP_3) | instskip(NEXT) | instid1(VALU_DEP_1)
	v_min_u32_e32 v5, 32, v5
	v_sub_nc_u32_e64 v5, v5, 4 clamp
	s_delay_alu instid0(VALU_DEP_1) | instskip(NEXT) | instid1(VALU_DEP_1)
	v_dual_lshlrev_b32 v7, v5, v4 :: v_dual_lshlrev_b32 v5, 23, v5
	v_lshrrev_b32_e32 v7, 4, v7
	s_delay_alu instid0(VALU_DEP_1) | instskip(NEXT) | instid1(VALU_DEP_1)
	v_dual_sub_nc_u32 v5, v7, v5 :: v_dual_ashrrev_i32 v7, 8, v8
	v_add_nc_u32_e32 v5, 0x3c000000, v5
	s_delay_alu instid0(VALU_DEP_1) | instskip(NEXT) | instid1(VALU_DEP_1)
	v_and_or_b32 v5, 0x7f800000, v7, v5
	v_cndmask_b32_e32 v4, 0, v5, vcc_lo
	s_delay_alu instid0(VALU_DEP_1)
	v_and_or_b32 v4, 0x80000000, v1, v4
.LBB142_1132:
	s_mov_b32 s1, 0
.LBB142_1133:
	s_delay_alu instid0(SALU_CYCLE_1)
	s_and_not1_b32 vcc_lo, exec_lo, s1
	s_cbranch_vccnz .LBB142_1135
; %bb.1134:
	global_load_u8 v1, v[2:3], off
	s_wait_loadcnt 0x0
	v_lshlrev_b32_e32 v4, 25, v1
	v_lshlrev_b16 v1, 8, v1
	s_delay_alu instid0(VALU_DEP_1) | instskip(SKIP_1) | instid1(VALU_DEP_2)
	v_and_or_b32 v7, 0x7f00, v1, 0.5
	v_bfe_i32 v1, v1, 0, 16
	v_dual_add_f32 v7, -0.5, v7 :: v_dual_lshrrev_b32 v5, 4, v4
	v_cmp_gt_u32_e32 vcc_lo, 0x8000000, v4
	s_delay_alu instid0(VALU_DEP_2) | instskip(NEXT) | instid1(VALU_DEP_1)
	v_or_b32_e32 v5, 0x70000000, v5
	v_mul_f32_e32 v5, 0x7800000, v5
	s_delay_alu instid0(VALU_DEP_1) | instskip(NEXT) | instid1(VALU_DEP_1)
	v_cndmask_b32_e32 v4, v5, v7, vcc_lo
	v_and_or_b32 v4, 0x80000000, v1, v4
.LBB142_1135:
	s_mov_b32 s16, -1
	s_mov_b32 s15, 0
	s_cbranch_execnz .LBB142_1146
.LBB142_1136:
	s_cmp_gt_i32 s2, 14
	s_cbranch_scc0 .LBB142_1139
; %bb.1137:
	s_cmp_eq_u32 s2, 15
	s_cbranch_scc0 .LBB142_1142
; %bb.1138:
	global_load_u16 v1, v[2:3], off
	s_mov_b32 s0, 0
	s_mov_b32 s16, -1
	s_wait_loadcnt 0x0
	v_lshlrev_b32_e32 v4, 16, v1
	s_branch .LBB142_1143
.LBB142_1139:
	s_mov_b32 s1, -1
                                        ; implicit-def: $vgpr4
	s_branch .LBB142_1144
.LBB142_1140:
	s_or_saveexec_b32 s15, s15
	v_mov_b32_e32 v4, 0x7f800001
	s_xor_b32 exec_lo, exec_lo, s15
	s_cbranch_execz .LBB142_1122
.LBB142_1141:
	v_cmp_ne_u16_e32 vcc_lo, 0, v1
	v_mov_b32_e32 v4, 0
	s_and_not1_b32 s1, s1, exec_lo
	s_and_b32 s16, vcc_lo, exec_lo
	s_delay_alu instid0(SALU_CYCLE_1)
	s_or_b32 s1, s1, s16
	s_or_b32 exec_lo, exec_lo, s15
	s_and_saveexec_b32 s15, s1
	s_cbranch_execnz .LBB142_1123
	s_branch .LBB142_1124
.LBB142_1142:
	s_mov_b32 s0, -1
                                        ; implicit-def: $vgpr4
.LBB142_1143:
	s_mov_b32 s1, 0
.LBB142_1144:
	s_delay_alu instid0(SALU_CYCLE_1)
	s_and_b32 vcc_lo, exec_lo, s1
	s_cbranch_vccz .LBB142_1146
; %bb.1145:
	s_cmp_lg_u32 s2, 11
	s_mov_b32 s15, -1
	s_cselect_b32 s0, -1, 0
.LBB142_1146:
	v_mov_b32_e32 v5, 0
.LBB142_1147:
	s_and_b32 vcc_lo, exec_lo, s0
	s_mov_b32 s1, s11
	s_cbranch_vccnz .LBB142_1214
; %bb.1148:
	s_and_not1_b32 vcc_lo, exec_lo, s15
	s_cbranch_vccnz .LBB142_1150
.LBB142_1149:
	global_load_u8 v1, v[2:3], off
	v_mov_b32_e32 v5, 0
	s_mov_b32 s16, -1
	s_wait_loadcnt 0x0
	v_cmp_ne_u16_e32 vcc_lo, 0, v1
	v_cndmask_b32_e64 v4, 0, 1.0, vcc_lo
.LBB142_1150:
	s_branch .LBB142_1076
.LBB142_1151:
	s_cmp_lt_i32 s2, 5
	s_cbranch_scc1 .LBB142_1156
; %bb.1152:
	s_cmp_lt_i32 s2, 8
	s_cbranch_scc1 .LBB142_1158
; %bb.1153:
	;; [unrolled: 3-line block ×3, first 2 shown]
	s_cmp_gt_i32 s2, 9
	s_cbranch_scc0 .LBB142_1160
; %bb.1155:
	global_load_b128 v[8:11], v[2:3], off
	s_mov_b32 s0, 0
	s_wait_loadcnt 0x0
	v_cvt_f32_f64_e32 v4, v[8:9]
	v_cvt_f32_f64_e32 v5, v[10:11]
	s_branch .LBB142_1161
.LBB142_1156:
                                        ; implicit-def: $vgpr5
	s_branch .LBB142_1179
.LBB142_1157:
	s_branch .LBB142_1198
.LBB142_1158:
                                        ; implicit-def: $vgpr5
	s_branch .LBB142_1167
.LBB142_1159:
	s_mov_b32 s0, -1
                                        ; implicit-def: $vgpr5
	s_branch .LBB142_1164
.LBB142_1160:
	s_mov_b32 s0, -1
                                        ; implicit-def: $vgpr5
.LBB142_1161:
	s_delay_alu instid0(SALU_CYCLE_1)
	s_and_not1_b32 vcc_lo, exec_lo, s0
	s_cbranch_vccnz .LBB142_1163
; %bb.1162:
	global_load_b64 v[4:5], v[2:3], off
.LBB142_1163:
	s_mov_b32 s0, 0
.LBB142_1164:
	s_delay_alu instid0(SALU_CYCLE_1)
	s_and_not1_b32 vcc_lo, exec_lo, s0
	s_cbranch_vccnz .LBB142_1166
; %bb.1165:
	global_load_b32 v1, v[2:3], off
	s_wait_loadcnt 0x0
	v_lshrrev_b32_e32 v4, 16, v1
	s_delay_alu instid0(VALU_DEP_1)
	v_cvt_f32_f16_e32 v5, v4
	v_cvt_f32_f16_e32 v4, v1
.LBB142_1166:
	s_cbranch_execnz .LBB142_1178
.LBB142_1167:
	s_cmp_lt_i32 s2, 6
	s_cbranch_scc1 .LBB142_1170
; %bb.1168:
	s_cmp_gt_i32 s2, 6
	s_cbranch_scc0 .LBB142_1171
; %bb.1169:
	s_wait_loadcnt 0x0
	global_load_b64 v[4:5], v[2:3], off
	s_mov_b32 s0, 0
	s_wait_loadcnt 0x0
	v_cvt_f32_f64_e32 v4, v[4:5]
	s_branch .LBB142_1172
.LBB142_1170:
	s_mov_b32 s0, -1
                                        ; implicit-def: $vgpr4
	s_branch .LBB142_1175
.LBB142_1171:
	s_mov_b32 s0, -1
                                        ; implicit-def: $vgpr4
.LBB142_1172:
	s_delay_alu instid0(SALU_CYCLE_1)
	s_and_not1_b32 vcc_lo, exec_lo, s0
	s_cbranch_vccnz .LBB142_1174
; %bb.1173:
	s_wait_loadcnt 0x0
	global_load_b32 v4, v[2:3], off
.LBB142_1174:
	s_mov_b32 s0, 0
.LBB142_1175:
	s_delay_alu instid0(SALU_CYCLE_1)
	s_and_not1_b32 vcc_lo, exec_lo, s0
	s_cbranch_vccnz .LBB142_1177
; %bb.1176:
	global_load_u16 v1, v[2:3], off
	s_wait_loadcnt 0x0
	v_cvt_f32_f16_e32 v4, v1
.LBB142_1177:
	s_wait_loadcnt 0x0
	v_mov_b32_e32 v5, 0
.LBB142_1178:
	s_cbranch_execnz .LBB142_1157
.LBB142_1179:
	s_cmp_lt_i32 s2, 2
	s_cbranch_scc1 .LBB142_1183
; %bb.1180:
	s_cmp_lt_i32 s2, 3
	s_cbranch_scc1 .LBB142_1184
; %bb.1181:
	s_cmp_gt_i32 s2, 3
	s_cbranch_scc0 .LBB142_1185
; %bb.1182:
	s_wait_loadcnt 0x0
	global_load_b64 v[4:5], v[2:3], off
	s_mov_b32 s0, 0
	s_wait_loadcnt 0x0
	v_xor_b32_e32 v1, v4, v5
	v_cls_i32_e32 v7, v5
	s_delay_alu instid0(VALU_DEP_2) | instskip(NEXT) | instid1(VALU_DEP_1)
	v_ashrrev_i32_e32 v1, 31, v1
	v_add_nc_u32_e32 v1, 32, v1
	s_delay_alu instid0(VALU_DEP_1) | instskip(NEXT) | instid1(VALU_DEP_1)
	v_add_min_u32_e64 v1, v7, -1, v1
	v_lshlrev_b64_e32 v[4:5], v1, v[4:5]
	v_sub_nc_u32_e32 v1, 32, v1
	s_delay_alu instid0(VALU_DEP_2) | instskip(NEXT) | instid1(VALU_DEP_1)
	v_min_u32_e32 v4, 1, v4
	v_or_b32_e32 v4, v5, v4
	s_delay_alu instid0(VALU_DEP_1) | instskip(NEXT) | instid1(VALU_DEP_1)
	v_cvt_f32_i32_e32 v4, v4
	v_ldexp_f32 v4, v4, v1
	s_branch .LBB142_1186
.LBB142_1183:
                                        ; implicit-def: $vgpr4
	s_branch .LBB142_1192
.LBB142_1184:
	s_mov_b32 s0, -1
                                        ; implicit-def: $vgpr4
	s_branch .LBB142_1189
.LBB142_1185:
	s_mov_b32 s0, -1
                                        ; implicit-def: $vgpr4
.LBB142_1186:
	s_delay_alu instid0(SALU_CYCLE_1)
	s_and_not1_b32 vcc_lo, exec_lo, s0
	s_cbranch_vccnz .LBB142_1188
; %bb.1187:
	global_load_b32 v1, v[2:3], off
	s_wait_loadcnt 0x0
	v_cvt_f32_i32_e32 v4, v1
.LBB142_1188:
	s_mov_b32 s0, 0
.LBB142_1189:
	s_delay_alu instid0(SALU_CYCLE_1)
	s_and_not1_b32 vcc_lo, exec_lo, s0
	s_cbranch_vccnz .LBB142_1191
; %bb.1190:
	global_load_i16 v1, v[2:3], off
	s_wait_loadcnt 0x0
	v_cvt_f32_i32_e32 v4, v1
.LBB142_1191:
	s_cbranch_execnz .LBB142_1197
.LBB142_1192:
	s_cmp_gt_i32 s2, 0
	s_mov_b32 s0, 0
	s_cbranch_scc0 .LBB142_1194
; %bb.1193:
	global_load_i8 v1, v[2:3], off
	s_wait_loadcnt 0x0
	v_cvt_f32_i32_e32 v4, v1
	s_branch .LBB142_1195
.LBB142_1194:
	s_mov_b32 s0, -1
                                        ; implicit-def: $vgpr4
.LBB142_1195:
	s_delay_alu instid0(SALU_CYCLE_1)
	s_and_not1_b32 vcc_lo, exec_lo, s0
	s_cbranch_vccnz .LBB142_1197
; %bb.1196:
	global_load_u8 v1, v[2:3], off
	s_wait_loadcnt 0x0
	v_cvt_f32_ubyte0_e32 v4, v1
.LBB142_1197:
	s_wait_loadcnt 0x0
	v_mov_b32_e32 v5, 0
.LBB142_1198:
	s_cmp_lg_u32 s10, 0
	s_mov_b32 s16, 0
	s_cselect_b32 s15, -1, 0
	s_delay_alu instid0(SALU_CYCLE_1)
	s_and_b32 vcc_lo, exec_lo, s15
	s_cbranch_vccz .LBB142_1210
; %bb.1199:
	s_wait_loadcnt 0x0
	s_delay_alu instid0(VALU_DEP_1) | instskip(NEXT) | instid1(VALU_DEP_2)
	v_cmp_neq_f32_e32 vcc_lo, s12, v4
	v_cmp_neq_f32_e64 s0, s13, v5
	s_or_b32 s10, vcc_lo, s0
	s_and_not1_b32 vcc_lo, exec_lo, s16
	s_cbranch_vccnz .LBB142_1201
.LBB142_1200:
	s_wait_loadcnt 0x0
	s_delay_alu instid0(VALU_DEP_1) | instskip(NEXT) | instid1(VALU_DEP_2)
	v_cmp_eq_f32_e32 vcc_lo, s13, v5
	v_cmp_eq_f32_e64 s0, s12, v4
	s_and_not1_b32 s10, s10, exec_lo
	s_and_b32 s0, s0, vcc_lo
	s_delay_alu instid0(SALU_CYCLE_1) | instskip(NEXT) | instid1(SALU_CYCLE_1)
	s_and_b32 s0, s0, exec_lo
	s_or_b32 s10, s10, s0
.LBB142_1201:
	s_lshl_b32 s17, s9, 7
	s_cmp_lt_i32 s2, 11
	v_add_nc_u32_e32 v0, s17, v0
	s_delay_alu instid0(VALU_DEP_1) | instskip(SKIP_1) | instid1(VALU_DEP_1)
	v_ashrrev_i32_e32 v1, 31, v0
	s_wait_xcnt 0x0
	v_add_nc_u64_e32 v[2:3], s[6:7], v[0:1]
	s_cbranch_scc1 .LBB142_1208
; %bb.1202:
	s_cmp_gt_i32 s2, 25
	s_mov_b32 s9, 0
	s_cbranch_scc0 .LBB142_1211
; %bb.1203:
	s_cmp_gt_i32 s2, 28
	s_cbranch_scc0 .LBB142_1212
; %bb.1204:
	s_cmp_gt_i32 s2, 43
	;; [unrolled: 3-line block ×3, first 2 shown]
	s_cbranch_scc0 .LBB142_1215
; %bb.1206:
	s_cmp_eq_u32 s2, 46
	s_mov_b32 s18, 0
	s_cbranch_scc0 .LBB142_1218
; %bb.1207:
	global_load_b32 v1, v[2:3], off
	s_mov_b32 s0, 0
	s_mov_b32 s16, -1
	s_wait_loadcnt 0x0
	v_and_b32_e32 v5, 0xffff0000, v1
	v_lshlrev_b32_e32 v4, 16, v1
	s_branch .LBB142_1220
.LBB142_1208:
	s_mov_b32 s16, 0
                                        ; implicit-def: $vgpr5
	s_cbranch_execnz .LBB142_1288
.LBB142_1209:
	s_and_not1_b32 vcc_lo, exec_lo, s16
	s_cbranch_vccnz .LBB142_1618
	s_branch .LBB142_1337
.LBB142_1210:
                                        ; implicit-def: $sgpr10
	s_branch .LBB142_1200
.LBB142_1211:
	s_mov_b32 s16, 0
	s_mov_b32 s0, 0
                                        ; implicit-def: $vgpr5
	s_cbranch_execnz .LBB142_1251
	s_branch .LBB142_1284
.LBB142_1212:
	s_mov_b32 s18, -1
	s_mov_b32 s16, 0
	s_mov_b32 s0, 0
                                        ; implicit-def: $vgpr5
	s_branch .LBB142_1232
.LBB142_1213:
	s_mov_b32 s18, -1
	s_mov_b32 s16, 0
	s_mov_b32 s0, 0
                                        ; implicit-def: $vgpr5
	s_branch .LBB142_1226
.LBB142_1214:
	s_or_b32 s1, s11, exec_lo
	s_trap 2
	s_cbranch_execz .LBB142_1149
	s_branch .LBB142_1150
.LBB142_1215:
	s_mov_b32 s18, -1
	s_mov_b32 s16, 0
	s_mov_b32 s0, 0
	s_branch .LBB142_1219
.LBB142_1216:
	s_and_not1_saveexec_b32 s23, s23
	s_cbranch_execz .LBB142_992
.LBB142_1217:
	v_add_f32_e32 v2, 0x42800000, v3
	s_and_not1_b32 s22, s22, exec_lo
	s_delay_alu instid0(VALU_DEP_1) | instskip(NEXT) | instid1(VALU_DEP_1)
	v_and_b32_e32 v2, 0xff, v2
	v_cmp_ne_u32_e32 vcc_lo, 0, v2
	s_and_b32 s24, vcc_lo, exec_lo
	s_delay_alu instid0(SALU_CYCLE_1)
	s_or_b32 s22, s22, s24
	s_or_b32 exec_lo, exec_lo, s23
	v_mov_b32_e32 v4, 0
	s_and_saveexec_b32 s23, s22
	s_cbranch_execnz .LBB142_993
	s_branch .LBB142_994
.LBB142_1218:
	s_mov_b32 s0, -1
	s_mov_b32 s16, 0
.LBB142_1219:
                                        ; implicit-def: $vgpr5
.LBB142_1220:
	s_and_b32 vcc_lo, exec_lo, s18
	s_cbranch_vccz .LBB142_1225
; %bb.1221:
	s_cmp_eq_u32 s2, 44
	s_cbranch_scc0 .LBB142_1223
; %bb.1222:
	global_load_u8 v1, v[2:3], off
	s_mov_b32 s0, 0
	s_mov_b32 s16, -1
	s_wait_loadcnt 0x0
	v_lshlrev_b32_e32 v4, 23, v1
	v_cmp_ne_u32_e32 vcc_lo, 0xff, v1
	s_delay_alu instid0(VALU_DEP_2) | instskip(SKIP_1) | instid1(VALU_DEP_2)
	v_cndmask_b32_e32 v4, 0x7f800001, v4, vcc_lo
	v_cmp_ne_u32_e32 vcc_lo, 0, v1
	v_cndmask_b32_e32 v4, 0x400000, v4, vcc_lo
	s_branch .LBB142_1224
.LBB142_1223:
	s_mov_b32 s0, -1
                                        ; implicit-def: $vgpr4
.LBB142_1224:
	s_wait_loadcnt 0x0
	v_mov_b32_e32 v5, 0
.LBB142_1225:
	s_mov_b32 s18, 0
.LBB142_1226:
	s_delay_alu instid0(SALU_CYCLE_1)
	s_and_b32 vcc_lo, exec_lo, s18
	s_cbranch_vccz .LBB142_1231
; %bb.1227:
	s_cmp_eq_u32 s2, 29
	s_cbranch_scc0 .LBB142_1229
; %bb.1228:
	s_wait_loadcnt 0x0
	global_load_b64 v[4:5], v[2:3], off
	s_mov_b32 s0, 0
	s_mov_b32 s16, -1
	s_wait_loadcnt 0x0
	v_clz_i32_u32_e32 v1, v5
	s_delay_alu instid0(VALU_DEP_1) | instskip(NEXT) | instid1(VALU_DEP_1)
	v_min_u32_e32 v1, 32, v1
	v_lshlrev_b64_e32 v[4:5], v1, v[4:5]
	v_sub_nc_u32_e32 v1, 32, v1
	s_delay_alu instid0(VALU_DEP_2) | instskip(NEXT) | instid1(VALU_DEP_1)
	v_min_u32_e32 v4, 1, v4
	v_or_b32_e32 v4, v5, v4
	s_delay_alu instid0(VALU_DEP_1) | instskip(NEXT) | instid1(VALU_DEP_1)
	v_cvt_f32_u32_e32 v4, v4
	v_ldexp_f32 v4, v4, v1
	s_branch .LBB142_1230
.LBB142_1229:
	s_mov_b32 s0, -1
                                        ; implicit-def: $vgpr4
.LBB142_1230:
	s_wait_loadcnt 0x0
	v_mov_b32_e32 v5, 0
.LBB142_1231:
	s_mov_b32 s18, 0
.LBB142_1232:
	s_delay_alu instid0(SALU_CYCLE_1)
	s_and_b32 vcc_lo, exec_lo, s18
	s_cbranch_vccz .LBB142_1250
; %bb.1233:
	s_cmp_lt_i32 s2, 27
	s_cbranch_scc1 .LBB142_1236
; %bb.1234:
	s_cmp_gt_i32 s2, 27
	s_cbranch_scc0 .LBB142_1237
; %bb.1235:
	global_load_b32 v1, v[2:3], off
	s_mov_b32 s16, 0
	s_wait_loadcnt 0x0
	v_cvt_f32_u32_e32 v4, v1
	s_branch .LBB142_1238
.LBB142_1236:
	s_mov_b32 s16, -1
                                        ; implicit-def: $vgpr4
	s_branch .LBB142_1241
.LBB142_1237:
	s_mov_b32 s16, -1
                                        ; implicit-def: $vgpr4
.LBB142_1238:
	s_delay_alu instid0(SALU_CYCLE_1)
	s_and_not1_b32 vcc_lo, exec_lo, s16
	s_cbranch_vccnz .LBB142_1240
; %bb.1239:
	global_load_u16 v1, v[2:3], off
	s_wait_loadcnt 0x0
	v_cvt_f32_u32_e32 v4, v1
.LBB142_1240:
	s_mov_b32 s16, 0
.LBB142_1241:
	s_delay_alu instid0(SALU_CYCLE_1)
	s_and_not1_b32 vcc_lo, exec_lo, s16
	s_cbranch_vccnz .LBB142_1249
; %bb.1242:
	global_load_u8 v1, v[2:3], off
	s_mov_b32 s16, 0
	s_mov_b32 s18, exec_lo
	s_wait_loadcnt 0x0
	v_cmpx_lt_i16_e32 0x7f, v1
	s_xor_b32 s18, exec_lo, s18
	s_cbranch_execz .LBB142_1262
; %bb.1243:
	s_mov_b32 s16, -1
	s_mov_b32 s19, exec_lo
	v_cmpx_eq_u16_e32 0x80, v1
; %bb.1244:
	s_xor_b32 s16, exec_lo, -1
; %bb.1245:
	s_or_b32 exec_lo, exec_lo, s19
	s_delay_alu instid0(SALU_CYCLE_1)
	s_and_b32 s16, s16, exec_lo
	s_or_saveexec_b32 s18, s18
	v_mov_b32_e32 v4, 0x7f800001
	s_xor_b32 exec_lo, exec_lo, s18
	s_cbranch_execnz .LBB142_1263
.LBB142_1246:
	s_or_b32 exec_lo, exec_lo, s18
	s_and_saveexec_b32 s18, s16
	s_cbranch_execz .LBB142_1248
.LBB142_1247:
	v_and_b32_e32 v4, 0xffff, v1
	s_delay_alu instid0(VALU_DEP_1) | instskip(SKIP_1) | instid1(VALU_DEP_2)
	v_and_b32_e32 v5, 7, v4
	v_bfe_u32 v9, v4, 3, 4
	v_clz_i32_u32_e32 v7, v5
	s_delay_alu instid0(VALU_DEP_2) | instskip(NEXT) | instid1(VALU_DEP_2)
	v_cmp_eq_u32_e32 vcc_lo, 0, v9
	v_min_u32_e32 v7, 32, v7
	s_delay_alu instid0(VALU_DEP_1) | instskip(NEXT) | instid1(VALU_DEP_1)
	v_subrev_nc_u32_e32 v8, 28, v7
	v_dual_lshlrev_b32 v4, v8, v4 :: v_dual_sub_nc_u32 v7, 29, v7
	s_delay_alu instid0(VALU_DEP_1) | instskip(NEXT) | instid1(VALU_DEP_2)
	v_dual_lshlrev_b32 v1, 24, v1 :: v_dual_bitop2_b32 v4, 7, v4 bitop3:0x40
	v_cndmask_b32_e32 v7, v9, v7, vcc_lo
	s_delay_alu instid0(VALU_DEP_2) | instskip(NEXT) | instid1(VALU_DEP_3)
	v_cndmask_b32_e32 v4, v5, v4, vcc_lo
	v_and_b32_e32 v1, 0x80000000, v1
	s_delay_alu instid0(VALU_DEP_3) | instskip(NEXT) | instid1(VALU_DEP_3)
	v_lshl_add_u32 v5, v7, 23, 0x3b800000
	v_lshlrev_b32_e32 v4, 20, v4
	s_delay_alu instid0(VALU_DEP_1)
	v_or3_b32 v4, v1, v5, v4
.LBB142_1248:
	s_or_b32 exec_lo, exec_lo, s18
.LBB142_1249:
	s_wait_loadcnt 0x0
	v_mov_b32_e32 v5, 0
	s_mov_b32 s16, -1
.LBB142_1250:
	s_branch .LBB142_1284
.LBB142_1251:
	s_cmp_gt_i32 s2, 22
	s_cbranch_scc0 .LBB142_1261
; %bb.1252:
	s_cmp_lt_i32 s2, 24
	s_cbranch_scc1 .LBB142_1264
; %bb.1253:
	s_cmp_gt_i32 s2, 24
	s_cbranch_scc0 .LBB142_1265
; %bb.1254:
	global_load_u8 v1, v[2:3], off
	s_mov_b32 s16, exec_lo
	s_wait_loadcnt 0x0
	v_cmpx_lt_i16_e32 0x7f, v1
	s_xor_b32 s16, exec_lo, s16
	s_cbranch_execz .LBB142_1277
; %bb.1255:
	s_mov_b32 s9, -1
	s_mov_b32 s18, exec_lo
	v_cmpx_eq_u16_e32 0x80, v1
; %bb.1256:
	s_xor_b32 s9, exec_lo, -1
; %bb.1257:
	s_or_b32 exec_lo, exec_lo, s18
	s_delay_alu instid0(SALU_CYCLE_1)
	s_and_b32 s9, s9, exec_lo
	s_or_saveexec_b32 s16, s16
	v_mov_b32_e32 v4, 0x7f800001
	s_xor_b32 exec_lo, exec_lo, s16
	s_cbranch_execnz .LBB142_1278
.LBB142_1258:
	s_or_b32 exec_lo, exec_lo, s16
	s_and_saveexec_b32 s16, s9
	s_cbranch_execz .LBB142_1260
.LBB142_1259:
	v_and_b32_e32 v4, 0xffff, v1
	s_delay_alu instid0(VALU_DEP_1) | instskip(SKIP_1) | instid1(VALU_DEP_2)
	v_and_b32_e32 v5, 3, v4
	v_bfe_u32 v9, v4, 2, 5
	v_clz_i32_u32_e32 v7, v5
	s_delay_alu instid0(VALU_DEP_2) | instskip(NEXT) | instid1(VALU_DEP_2)
	v_cmp_eq_u32_e32 vcc_lo, 0, v9
	v_min_u32_e32 v7, 32, v7
	s_delay_alu instid0(VALU_DEP_1) | instskip(NEXT) | instid1(VALU_DEP_1)
	v_subrev_nc_u32_e32 v8, 29, v7
	v_dual_lshlrev_b32 v4, v8, v4 :: v_dual_sub_nc_u32 v7, 30, v7
	s_delay_alu instid0(VALU_DEP_1) | instskip(NEXT) | instid1(VALU_DEP_2)
	v_dual_lshlrev_b32 v1, 24, v1 :: v_dual_bitop2_b32 v4, 3, v4 bitop3:0x40
	v_cndmask_b32_e32 v7, v9, v7, vcc_lo
	s_delay_alu instid0(VALU_DEP_2) | instskip(NEXT) | instid1(VALU_DEP_3)
	v_cndmask_b32_e32 v4, v5, v4, vcc_lo
	v_and_b32_e32 v1, 0x80000000, v1
	s_delay_alu instid0(VALU_DEP_3) | instskip(NEXT) | instid1(VALU_DEP_3)
	v_lshl_add_u32 v5, v7, 23, 0x37800000
	v_lshlrev_b32_e32 v4, 21, v4
	s_delay_alu instid0(VALU_DEP_1)
	v_or3_b32 v4, v1, v5, v4
.LBB142_1260:
	s_or_b32 exec_lo, exec_lo, s16
	s_mov_b32 s9, 0
	s_branch .LBB142_1266
.LBB142_1261:
	s_mov_b32 s9, -1
                                        ; implicit-def: $vgpr4
	s_branch .LBB142_1272
.LBB142_1262:
	s_or_saveexec_b32 s18, s18
	v_mov_b32_e32 v4, 0x7f800001
	s_xor_b32 exec_lo, exec_lo, s18
	s_cbranch_execz .LBB142_1246
.LBB142_1263:
	v_cmp_ne_u16_e32 vcc_lo, 0, v1
	v_mov_b32_e32 v4, 0
	s_and_not1_b32 s16, s16, exec_lo
	s_and_b32 s19, vcc_lo, exec_lo
	s_delay_alu instid0(SALU_CYCLE_1)
	s_or_b32 s16, s16, s19
	s_or_b32 exec_lo, exec_lo, s18
	s_and_saveexec_b32 s18, s16
	s_cbranch_execnz .LBB142_1247
	s_branch .LBB142_1248
.LBB142_1264:
	s_mov_b32 s9, -1
                                        ; implicit-def: $vgpr4
	s_branch .LBB142_1269
.LBB142_1265:
	s_mov_b32 s9, -1
                                        ; implicit-def: $vgpr4
.LBB142_1266:
	s_delay_alu instid0(SALU_CYCLE_1)
	s_and_b32 vcc_lo, exec_lo, s9
	s_cbranch_vccz .LBB142_1268
; %bb.1267:
	global_load_u8 v1, v[2:3], off
	s_wait_loadcnt 0x0
	v_lshlrev_b32_e32 v1, 24, v1
	s_delay_alu instid0(VALU_DEP_1) | instskip(NEXT) | instid1(VALU_DEP_1)
	v_and_b32_e32 v4, 0x7f000000, v1
	v_clz_i32_u32_e32 v5, v4
	v_add_nc_u32_e32 v8, 0x1000000, v4
	v_cmp_ne_u32_e32 vcc_lo, 0, v4
	s_delay_alu instid0(VALU_DEP_3) | instskip(NEXT) | instid1(VALU_DEP_1)
	v_min_u32_e32 v5, 32, v5
	v_sub_nc_u32_e64 v5, v5, 4 clamp
	s_delay_alu instid0(VALU_DEP_1) | instskip(NEXT) | instid1(VALU_DEP_1)
	v_dual_lshlrev_b32 v7, v5, v4 :: v_dual_lshlrev_b32 v5, 23, v5
	v_lshrrev_b32_e32 v7, 4, v7
	s_delay_alu instid0(VALU_DEP_1) | instskip(NEXT) | instid1(VALU_DEP_1)
	v_dual_sub_nc_u32 v5, v7, v5 :: v_dual_ashrrev_i32 v7, 8, v8
	v_add_nc_u32_e32 v5, 0x3c000000, v5
	s_delay_alu instid0(VALU_DEP_1) | instskip(NEXT) | instid1(VALU_DEP_1)
	v_and_or_b32 v5, 0x7f800000, v7, v5
	v_cndmask_b32_e32 v4, 0, v5, vcc_lo
	s_delay_alu instid0(VALU_DEP_1)
	v_and_or_b32 v4, 0x80000000, v1, v4
.LBB142_1268:
	s_mov_b32 s9, 0
.LBB142_1269:
	s_delay_alu instid0(SALU_CYCLE_1)
	s_and_not1_b32 vcc_lo, exec_lo, s9
	s_cbranch_vccnz .LBB142_1271
; %bb.1270:
	global_load_u8 v1, v[2:3], off
	s_wait_loadcnt 0x0
	v_lshlrev_b32_e32 v4, 25, v1
	v_lshlrev_b16 v1, 8, v1
	s_delay_alu instid0(VALU_DEP_1) | instskip(SKIP_1) | instid1(VALU_DEP_2)
	v_and_or_b32 v7, 0x7f00, v1, 0.5
	v_bfe_i32 v1, v1, 0, 16
	v_dual_add_f32 v7, -0.5, v7 :: v_dual_lshrrev_b32 v5, 4, v4
	v_cmp_gt_u32_e32 vcc_lo, 0x8000000, v4
	s_delay_alu instid0(VALU_DEP_2) | instskip(NEXT) | instid1(VALU_DEP_1)
	v_or_b32_e32 v5, 0x70000000, v5
	v_mul_f32_e32 v5, 0x7800000, v5
	s_delay_alu instid0(VALU_DEP_1) | instskip(NEXT) | instid1(VALU_DEP_1)
	v_cndmask_b32_e32 v4, v5, v7, vcc_lo
	v_and_or_b32 v4, 0x80000000, v1, v4
.LBB142_1271:
	s_mov_b32 s9, 0
	s_mov_b32 s16, -1
.LBB142_1272:
	s_and_not1_b32 vcc_lo, exec_lo, s9
	s_mov_b32 s9, 0
	s_cbranch_vccnz .LBB142_1283
; %bb.1273:
	s_cmp_gt_i32 s2, 14
	s_cbranch_scc0 .LBB142_1276
; %bb.1274:
	s_cmp_eq_u32 s2, 15
	s_cbranch_scc0 .LBB142_1279
; %bb.1275:
	global_load_u16 v1, v[2:3], off
	s_mov_b32 s0, 0
	s_mov_b32 s16, -1
	s_wait_loadcnt 0x0
	v_lshlrev_b32_e32 v4, 16, v1
	s_branch .LBB142_1281
.LBB142_1276:
	s_mov_b32 s9, -1
	s_branch .LBB142_1280
.LBB142_1277:
	s_or_saveexec_b32 s16, s16
	v_mov_b32_e32 v4, 0x7f800001
	s_xor_b32 exec_lo, exec_lo, s16
	s_cbranch_execz .LBB142_1258
.LBB142_1278:
	v_cmp_ne_u16_e32 vcc_lo, 0, v1
	v_mov_b32_e32 v4, 0
	s_and_not1_b32 s9, s9, exec_lo
	s_and_b32 s18, vcc_lo, exec_lo
	s_delay_alu instid0(SALU_CYCLE_1)
	s_or_b32 s9, s9, s18
	s_or_b32 exec_lo, exec_lo, s16
	s_and_saveexec_b32 s16, s9
	s_cbranch_execnz .LBB142_1259
	s_branch .LBB142_1260
.LBB142_1279:
	s_mov_b32 s0, -1
.LBB142_1280:
                                        ; implicit-def: $vgpr4
.LBB142_1281:
	s_and_b32 vcc_lo, exec_lo, s9
	s_mov_b32 s9, 0
	s_cbranch_vccz .LBB142_1283
; %bb.1282:
	s_cmp_lg_u32 s2, 11
	s_mov_b32 s9, -1
	s_cselect_b32 s0, -1, 0
.LBB142_1283:
	s_wait_loadcnt 0x0
	v_mov_b32_e32 v5, 0
.LBB142_1284:
	s_and_b32 vcc_lo, exec_lo, s0
	s_cbranch_vccnz .LBB142_1365
; %bb.1285:
	s_and_not1_b32 vcc_lo, exec_lo, s9
	s_cbranch_vccnz .LBB142_1287
.LBB142_1286:
	global_load_u8 v1, v[2:3], off
	s_wait_loadcnt 0x1
	v_mov_b32_e32 v5, 0
	s_mov_b32 s16, -1
	s_wait_loadcnt 0x0
	v_cmp_ne_u16_e32 vcc_lo, 0, v1
	v_cndmask_b32_e64 v4, 0, 1.0, vcc_lo
.LBB142_1287:
	s_branch .LBB142_1209
.LBB142_1288:
	s_cmp_lt_i32 s2, 5
	s_cbranch_scc1 .LBB142_1293
; %bb.1289:
	s_cmp_lt_i32 s2, 8
	s_cbranch_scc1 .LBB142_1295
; %bb.1290:
	;; [unrolled: 3-line block ×3, first 2 shown]
	s_cmp_gt_i32 s2, 9
	s_cbranch_scc0 .LBB142_1297
; %bb.1292:
	global_load_b128 v[8:11], v[2:3], off
	s_mov_b32 s0, 0
	s_wait_loadcnt 0x0
	v_cvt_f32_f64_e32 v4, v[8:9]
	v_cvt_f32_f64_e32 v5, v[10:11]
	s_branch .LBB142_1298
.LBB142_1293:
                                        ; implicit-def: $vgpr5
	s_branch .LBB142_1317
.LBB142_1294:
	s_branch .LBB142_1337
.LBB142_1295:
	s_mov_b32 s0, -1
                                        ; implicit-def: $vgpr5
	s_branch .LBB142_1304
.LBB142_1296:
	s_mov_b32 s0, -1
                                        ; implicit-def: $vgpr5
	s_branch .LBB142_1301
.LBB142_1297:
	s_mov_b32 s0, -1
                                        ; implicit-def: $vgpr5
.LBB142_1298:
	s_delay_alu instid0(SALU_CYCLE_1)
	s_and_not1_b32 vcc_lo, exec_lo, s0
	s_cbranch_vccnz .LBB142_1300
; %bb.1299:
	s_wait_loadcnt 0x0
	global_load_b64 v[4:5], v[2:3], off
.LBB142_1300:
	s_mov_b32 s0, 0
.LBB142_1301:
	s_delay_alu instid0(SALU_CYCLE_1)
	s_and_not1_b32 vcc_lo, exec_lo, s0
	s_cbranch_vccnz .LBB142_1303
; %bb.1302:
	global_load_b32 v1, v[2:3], off
	s_wait_loadcnt 0x0
	v_lshrrev_b32_e32 v4, 16, v1
	s_delay_alu instid0(VALU_DEP_1)
	v_cvt_f32_f16_e32 v5, v4
	v_cvt_f32_f16_e32 v4, v1
.LBB142_1303:
	s_mov_b32 s0, 0
.LBB142_1304:
	s_delay_alu instid0(SALU_CYCLE_1)
	s_and_not1_b32 vcc_lo, exec_lo, s0
	s_cbranch_vccnz .LBB142_1316
; %bb.1305:
	s_cmp_lt_i32 s2, 6
	s_cbranch_scc1 .LBB142_1308
; %bb.1306:
	s_cmp_gt_i32 s2, 6
	s_cbranch_scc0 .LBB142_1309
; %bb.1307:
	s_wait_loadcnt 0x0
	global_load_b64 v[4:5], v[2:3], off
	s_mov_b32 s0, 0
	s_wait_loadcnt 0x0
	v_cvt_f32_f64_e32 v4, v[4:5]
	s_branch .LBB142_1310
.LBB142_1308:
	s_mov_b32 s0, -1
                                        ; implicit-def: $vgpr4
	s_branch .LBB142_1313
.LBB142_1309:
	s_mov_b32 s0, -1
                                        ; implicit-def: $vgpr4
.LBB142_1310:
	s_delay_alu instid0(SALU_CYCLE_1)
	s_and_not1_b32 vcc_lo, exec_lo, s0
	s_cbranch_vccnz .LBB142_1312
; %bb.1311:
	s_wait_loadcnt 0x0
	global_load_b32 v4, v[2:3], off
.LBB142_1312:
	s_mov_b32 s0, 0
.LBB142_1313:
	s_delay_alu instid0(SALU_CYCLE_1)
	s_and_not1_b32 vcc_lo, exec_lo, s0
	s_cbranch_vccnz .LBB142_1315
; %bb.1314:
	global_load_u16 v1, v[2:3], off
	s_wait_loadcnt 0x0
	v_cvt_f32_f16_e32 v4, v1
.LBB142_1315:
	s_wait_loadcnt 0x0
	v_mov_b32_e32 v5, 0
.LBB142_1316:
	s_cbranch_execnz .LBB142_1294
.LBB142_1317:
	s_cmp_lt_i32 s2, 2
	s_cbranch_scc1 .LBB142_1321
; %bb.1318:
	s_cmp_lt_i32 s2, 3
	s_cbranch_scc1 .LBB142_1322
; %bb.1319:
	s_cmp_gt_i32 s2, 3
	s_cbranch_scc0 .LBB142_1323
; %bb.1320:
	s_wait_loadcnt 0x0
	global_load_b64 v[4:5], v[2:3], off
	s_mov_b32 s0, 0
	s_wait_loadcnt 0x0
	v_xor_b32_e32 v1, v4, v5
	v_cls_i32_e32 v7, v5
	s_delay_alu instid0(VALU_DEP_2) | instskip(NEXT) | instid1(VALU_DEP_1)
	v_ashrrev_i32_e32 v1, 31, v1
	v_add_nc_u32_e32 v1, 32, v1
	s_delay_alu instid0(VALU_DEP_1) | instskip(NEXT) | instid1(VALU_DEP_1)
	v_add_min_u32_e64 v1, v7, -1, v1
	v_lshlrev_b64_e32 v[4:5], v1, v[4:5]
	v_sub_nc_u32_e32 v1, 32, v1
	s_delay_alu instid0(VALU_DEP_2) | instskip(NEXT) | instid1(VALU_DEP_1)
	v_min_u32_e32 v4, 1, v4
	v_or_b32_e32 v4, v5, v4
	s_delay_alu instid0(VALU_DEP_1) | instskip(NEXT) | instid1(VALU_DEP_1)
	v_cvt_f32_i32_e32 v4, v4
	v_ldexp_f32 v4, v4, v1
	s_branch .LBB142_1324
.LBB142_1321:
	s_mov_b32 s0, -1
                                        ; implicit-def: $vgpr4
	s_branch .LBB142_1330
.LBB142_1322:
	s_mov_b32 s0, -1
                                        ; implicit-def: $vgpr4
	s_branch .LBB142_1327
.LBB142_1323:
	s_mov_b32 s0, -1
                                        ; implicit-def: $vgpr4
.LBB142_1324:
	s_delay_alu instid0(SALU_CYCLE_1)
	s_and_not1_b32 vcc_lo, exec_lo, s0
	s_cbranch_vccnz .LBB142_1326
; %bb.1325:
	global_load_b32 v1, v[2:3], off
	s_wait_loadcnt 0x0
	v_cvt_f32_i32_e32 v4, v1
.LBB142_1326:
	s_mov_b32 s0, 0
.LBB142_1327:
	s_delay_alu instid0(SALU_CYCLE_1)
	s_and_not1_b32 vcc_lo, exec_lo, s0
	s_cbranch_vccnz .LBB142_1329
; %bb.1328:
	global_load_i16 v1, v[2:3], off
	s_wait_loadcnt 0x0
	v_cvt_f32_i32_e32 v4, v1
.LBB142_1329:
	s_mov_b32 s0, 0
.LBB142_1330:
	s_delay_alu instid0(SALU_CYCLE_1)
	s_and_not1_b32 vcc_lo, exec_lo, s0
	s_cbranch_vccnz .LBB142_1336
; %bb.1331:
	s_cmp_gt_i32 s2, 0
	s_mov_b32 s0, 0
	s_cbranch_scc0 .LBB142_1333
; %bb.1332:
	global_load_i8 v1, v[2:3], off
	s_wait_loadcnt 0x0
	v_cvt_f32_i32_e32 v4, v1
	s_branch .LBB142_1334
.LBB142_1333:
	s_mov_b32 s0, -1
                                        ; implicit-def: $vgpr4
.LBB142_1334:
	s_delay_alu instid0(SALU_CYCLE_1)
	s_and_not1_b32 vcc_lo, exec_lo, s0
	s_cbranch_vccnz .LBB142_1336
; %bb.1335:
	global_load_u8 v1, v[2:3], off
	s_wait_loadcnt 0x0
	v_cvt_f32_ubyte0_e32 v4, v1
.LBB142_1336:
	s_wait_loadcnt 0x0
	v_mov_b32_e32 v5, 0
.LBB142_1337:
	s_and_b32 vcc_lo, exec_lo, s15
	s_cbranch_vccz .LBB142_1349
; %bb.1338:
	s_wait_loadcnt 0x0
	s_delay_alu instid0(VALU_DEP_1) | instskip(NEXT) | instid1(VALU_DEP_2)
	v_cmp_neq_f32_e32 vcc_lo, s12, v4
	v_cmp_neq_f32_e64 s0, s13, v5
	s_or_b32 s9, vcc_lo, s0
	s_cbranch_execnz .LBB142_1340
.LBB142_1339:
	s_wait_loadcnt 0x0
	s_delay_alu instid0(VALU_DEP_1) | instskip(NEXT) | instid1(VALU_DEP_2)
	v_cmp_eq_f32_e32 vcc_lo, s13, v5
	v_cmp_eq_f32_e64 s0, s12, v4
	s_and_not1_b32 s9, s9, exec_lo
	s_and_b32 s0, s0, vcc_lo
	s_delay_alu instid0(SALU_CYCLE_1) | instskip(NEXT) | instid1(SALU_CYCLE_1)
	s_and_b32 s0, s0, exec_lo
	s_or_b32 s9, s9, s0
.LBB142_1340:
	v_add_nc_u32_e32 v0, s17, v0
	s_cmp_lt_i32 s2, 11
	s_delay_alu instid0(VALU_DEP_1) | instskip(SKIP_1) | instid1(VALU_DEP_1)
	v_ashrrev_i32_e32 v1, 31, v0
	s_wait_xcnt 0x0
	v_add_nc_u64_e32 v[2:3], s[6:7], v[0:1]
	s_cbranch_scc1 .LBB142_1347
; %bb.1341:
	s_cmp_gt_i32 s2, 25
	s_mov_b32 s16, 0
	s_cbranch_scc0 .LBB142_1350
; %bb.1342:
	s_cmp_gt_i32 s2, 28
	s_cbranch_scc0 .LBB142_1361
; %bb.1343:
	s_cmp_gt_i32 s2, 43
	;; [unrolled: 3-line block ×3, first 2 shown]
	s_cbranch_scc0 .LBB142_1366
; %bb.1345:
	s_cmp_eq_u32 s2, 46
	s_mov_b32 s19, 0
	s_cbranch_scc0 .LBB142_1424
; %bb.1346:
	global_load_b32 v1, v[2:3], off
	s_mov_b32 s0, 0
	s_mov_b32 s18, -1
	s_wait_loadcnt 0x0
	v_and_b32_e32 v5, 0xffff0000, v1
	v_lshlrev_b32_e32 v4, 16, v1
	s_branch .LBB142_1426
.LBB142_1347:
	s_mov_b32 s18, 0
                                        ; implicit-def: $vgpr5
	s_cbranch_execnz .LBB142_1355
.LBB142_1348:
	s_and_not1_b32 vcc_lo, exec_lo, s18
	s_cbranch_vccnz .LBB142_1618
	s_branch .LBB142_1409
.LBB142_1349:
                                        ; implicit-def: $sgpr9
	s_branch .LBB142_1339
.LBB142_1350:
	s_mov_b32 s18, 0
	s_mov_b32 s0, 0
                                        ; implicit-def: $vgpr5
	s_cbranch_execnz .LBB142_1458
.LBB142_1351:
	s_and_b32 vcc_lo, exec_lo, s0
	s_cbranch_vccnz .LBB142_1491
.LBB142_1352:
	s_and_not1_b32 vcc_lo, exec_lo, s16
	s_cbranch_vccnz .LBB142_1354
.LBB142_1353:
	global_load_u8 v1, v[2:3], off
	s_wait_loadcnt 0x1
	v_mov_b32_e32 v5, 0
	s_mov_b32 s18, -1
	s_wait_loadcnt 0x0
	v_cmp_ne_u16_e32 vcc_lo, 0, v1
	v_cndmask_b32_e64 v4, 0, 1.0, vcc_lo
.LBB142_1354:
	s_branch .LBB142_1348
.LBB142_1355:
	s_cmp_lt_i32 s2, 5
	s_cbranch_scc1 .LBB142_1360
; %bb.1356:
	s_cmp_lt_i32 s2, 8
	s_cbranch_scc1 .LBB142_1362
; %bb.1357:
	;; [unrolled: 3-line block ×3, first 2 shown]
	s_cmp_gt_i32 s2, 9
	s_cbranch_scc0 .LBB142_1367
; %bb.1359:
	global_load_b128 v[8:11], v[2:3], off
	s_mov_b32 s0, 0
	s_wait_loadcnt 0x0
	v_cvt_f32_f64_e32 v4, v[8:9]
	v_cvt_f32_f64_e32 v5, v[10:11]
	s_branch .LBB142_1368
.LBB142_1360:
	s_mov_b32 s0, -1
                                        ; implicit-def: $vgpr5
	s_branch .LBB142_1387
.LBB142_1361:
	s_mov_b32 s19, -1
	s_mov_b32 s18, 0
	s_mov_b32 s0, 0
                                        ; implicit-def: $vgpr5
	s_branch .LBB142_1439
.LBB142_1362:
	s_mov_b32 s0, -1
                                        ; implicit-def: $vgpr5
	s_branch .LBB142_1374
.LBB142_1363:
	s_mov_b32 s19, -1
	s_mov_b32 s18, 0
	s_mov_b32 s0, 0
                                        ; implicit-def: $vgpr5
	s_branch .LBB142_1433
.LBB142_1364:
	s_mov_b32 s0, -1
                                        ; implicit-def: $vgpr5
	s_branch .LBB142_1371
.LBB142_1365:
	s_or_b32 s1, s1, exec_lo
	s_trap 2
	s_cbranch_execz .LBB142_1286
	s_branch .LBB142_1287
.LBB142_1366:
	s_mov_b32 s19, -1
	s_mov_b32 s18, 0
	s_mov_b32 s0, 0
	s_branch .LBB142_1425
.LBB142_1367:
	s_mov_b32 s0, -1
                                        ; implicit-def: $vgpr5
.LBB142_1368:
	s_delay_alu instid0(SALU_CYCLE_1)
	s_and_not1_b32 vcc_lo, exec_lo, s0
	s_cbranch_vccnz .LBB142_1370
; %bb.1369:
	s_wait_loadcnt 0x0
	global_load_b64 v[4:5], v[2:3], off
.LBB142_1370:
	s_mov_b32 s0, 0
.LBB142_1371:
	s_delay_alu instid0(SALU_CYCLE_1)
	s_and_not1_b32 vcc_lo, exec_lo, s0
	s_cbranch_vccnz .LBB142_1373
; %bb.1372:
	global_load_b32 v1, v[2:3], off
	s_wait_loadcnt 0x0
	v_lshrrev_b32_e32 v4, 16, v1
	s_delay_alu instid0(VALU_DEP_1)
	v_cvt_f32_f16_e32 v5, v4
	v_cvt_f32_f16_e32 v4, v1
.LBB142_1373:
	s_mov_b32 s0, 0
.LBB142_1374:
	s_delay_alu instid0(SALU_CYCLE_1)
	s_and_not1_b32 vcc_lo, exec_lo, s0
	s_cbranch_vccnz .LBB142_1386
; %bb.1375:
	s_cmp_lt_i32 s2, 6
	s_cbranch_scc1 .LBB142_1378
; %bb.1376:
	s_cmp_gt_i32 s2, 6
	s_cbranch_scc0 .LBB142_1379
; %bb.1377:
	s_wait_loadcnt 0x0
	global_load_b64 v[4:5], v[2:3], off
	s_mov_b32 s0, 0
	s_wait_loadcnt 0x0
	v_cvt_f32_f64_e32 v4, v[4:5]
	s_branch .LBB142_1380
.LBB142_1378:
	s_mov_b32 s0, -1
                                        ; implicit-def: $vgpr4
	s_branch .LBB142_1383
.LBB142_1379:
	s_mov_b32 s0, -1
                                        ; implicit-def: $vgpr4
.LBB142_1380:
	s_delay_alu instid0(SALU_CYCLE_1)
	s_and_not1_b32 vcc_lo, exec_lo, s0
	s_cbranch_vccnz .LBB142_1382
; %bb.1381:
	s_wait_loadcnt 0x0
	global_load_b32 v4, v[2:3], off
.LBB142_1382:
	s_mov_b32 s0, 0
.LBB142_1383:
	s_delay_alu instid0(SALU_CYCLE_1)
	s_and_not1_b32 vcc_lo, exec_lo, s0
	s_cbranch_vccnz .LBB142_1385
; %bb.1384:
	global_load_u16 v1, v[2:3], off
	s_wait_loadcnt 0x0
	v_cvt_f32_f16_e32 v4, v1
.LBB142_1385:
	s_wait_loadcnt 0x0
	v_mov_b32_e32 v5, 0
.LBB142_1386:
	s_mov_b32 s0, 0
.LBB142_1387:
	s_delay_alu instid0(SALU_CYCLE_1)
	s_and_not1_b32 vcc_lo, exec_lo, s0
	s_cbranch_vccnz .LBB142_1408
; %bb.1388:
	s_cmp_lt_i32 s2, 2
	s_cbranch_scc1 .LBB142_1392
; %bb.1389:
	s_cmp_lt_i32 s2, 3
	s_cbranch_scc1 .LBB142_1393
; %bb.1390:
	s_cmp_gt_i32 s2, 3
	s_cbranch_scc0 .LBB142_1394
; %bb.1391:
	s_wait_loadcnt 0x0
	global_load_b64 v[4:5], v[2:3], off
	s_mov_b32 s0, 0
	s_wait_loadcnt 0x0
	v_xor_b32_e32 v1, v4, v5
	v_cls_i32_e32 v7, v5
	s_delay_alu instid0(VALU_DEP_2) | instskip(NEXT) | instid1(VALU_DEP_1)
	v_ashrrev_i32_e32 v1, 31, v1
	v_add_nc_u32_e32 v1, 32, v1
	s_delay_alu instid0(VALU_DEP_1) | instskip(NEXT) | instid1(VALU_DEP_1)
	v_add_min_u32_e64 v1, v7, -1, v1
	v_lshlrev_b64_e32 v[4:5], v1, v[4:5]
	v_sub_nc_u32_e32 v1, 32, v1
	s_delay_alu instid0(VALU_DEP_2) | instskip(NEXT) | instid1(VALU_DEP_1)
	v_min_u32_e32 v4, 1, v4
	v_or_b32_e32 v4, v5, v4
	s_delay_alu instid0(VALU_DEP_1) | instskip(NEXT) | instid1(VALU_DEP_1)
	v_cvt_f32_i32_e32 v4, v4
	v_ldexp_f32 v4, v4, v1
	s_branch .LBB142_1395
.LBB142_1392:
	s_mov_b32 s0, -1
                                        ; implicit-def: $vgpr4
	s_branch .LBB142_1401
.LBB142_1393:
	s_mov_b32 s0, -1
                                        ; implicit-def: $vgpr4
	s_branch .LBB142_1398
.LBB142_1394:
	s_mov_b32 s0, -1
                                        ; implicit-def: $vgpr4
.LBB142_1395:
	s_delay_alu instid0(SALU_CYCLE_1)
	s_and_not1_b32 vcc_lo, exec_lo, s0
	s_cbranch_vccnz .LBB142_1397
; %bb.1396:
	global_load_b32 v1, v[2:3], off
	s_wait_loadcnt 0x0
	v_cvt_f32_i32_e32 v4, v1
.LBB142_1397:
	s_mov_b32 s0, 0
.LBB142_1398:
	s_delay_alu instid0(SALU_CYCLE_1)
	s_and_not1_b32 vcc_lo, exec_lo, s0
	s_cbranch_vccnz .LBB142_1400
; %bb.1399:
	global_load_i16 v1, v[2:3], off
	s_wait_loadcnt 0x0
	v_cvt_f32_i32_e32 v4, v1
.LBB142_1400:
	s_mov_b32 s0, 0
.LBB142_1401:
	s_delay_alu instid0(SALU_CYCLE_1)
	s_and_not1_b32 vcc_lo, exec_lo, s0
	s_cbranch_vccnz .LBB142_1407
; %bb.1402:
	s_cmp_gt_i32 s2, 0
	s_mov_b32 s0, 0
	s_cbranch_scc0 .LBB142_1404
; %bb.1403:
	global_load_i8 v1, v[2:3], off
	s_wait_loadcnt 0x0
	v_cvt_f32_i32_e32 v4, v1
	s_branch .LBB142_1405
.LBB142_1404:
	s_mov_b32 s0, -1
                                        ; implicit-def: $vgpr4
.LBB142_1405:
	s_delay_alu instid0(SALU_CYCLE_1)
	s_and_not1_b32 vcc_lo, exec_lo, s0
	s_cbranch_vccnz .LBB142_1407
; %bb.1406:
	global_load_u8 v1, v[2:3], off
	s_wait_loadcnt 0x0
	v_cvt_f32_ubyte0_e32 v4, v1
.LBB142_1407:
	s_wait_loadcnt 0x0
	v_mov_b32_e32 v5, 0
.LBB142_1408:
.LBB142_1409:
	s_and_b32 vcc_lo, exec_lo, s15
	s_cbranch_vccz .LBB142_1420
; %bb.1410:
	s_wait_loadcnt 0x0
	s_delay_alu instid0(VALU_DEP_1) | instskip(NEXT) | instid1(VALU_DEP_2)
	v_cmp_neq_f32_e32 vcc_lo, s12, v4
	v_cmp_neq_f32_e64 s0, s13, v5
	s_or_b32 s16, vcc_lo, s0
	s_cbranch_execnz .LBB142_1412
.LBB142_1411:
	s_wait_loadcnt 0x0
	s_delay_alu instid0(VALU_DEP_1) | instskip(NEXT) | instid1(VALU_DEP_2)
	v_cmp_eq_f32_e32 vcc_lo, s13, v5
	v_cmp_eq_f32_e64 s0, s12, v4
	s_and_not1_b32 s16, s16, exec_lo
	s_and_b32 s0, s0, vcc_lo
	s_delay_alu instid0(SALU_CYCLE_1) | instskip(NEXT) | instid1(SALU_CYCLE_1)
	s_and_b32 s0, s0, exec_lo
	s_or_b32 s16, s16, s0
.LBB142_1412:
	v_add_nc_u32_e32 v0, s17, v0
	s_cmp_lt_i32 s2, 11
	s_delay_alu instid0(VALU_DEP_1) | instskip(NEXT) | instid1(VALU_DEP_1)
	v_ashrrev_i32_e32 v1, 31, v0
	v_add_nc_u64_e32 v[0:1], s[6:7], v[0:1]
	s_cbranch_scc1 .LBB142_1419
; %bb.1413:
	s_cmp_gt_i32 s2, 25
	s_mov_b32 s6, 0
	s_cbranch_scc0 .LBB142_1421
; %bb.1414:
	s_cmp_gt_i32 s2, 28
	s_cbranch_scc0 .LBB142_1422
; %bb.1415:
	s_cmp_gt_i32 s2, 43
	;; [unrolled: 3-line block ×3, first 2 shown]
	s_cbranch_scc0 .LBB142_1429
; %bb.1417:
	s_cmp_eq_u32 s2, 46
	s_mov_b32 s17, 0
	s_cbranch_scc0 .LBB142_1492
; %bb.1418:
	global_load_b32 v2, v[0:1], off
	s_mov_b32 s0, 0
	s_mov_b32 s7, -1
	s_wait_loadcnt 0x0
	v_and_b32_e32 v3, 0xffff0000, v2
	v_lshlrev_b32_e32 v2, 16, v2
	s_branch .LBB142_1494
.LBB142_1419:
	s_mov_b32 s0, -1
	s_mov_b32 s7, 0
                                        ; implicit-def: $vgpr3
	s_branch .LBB142_1540
.LBB142_1420:
                                        ; implicit-def: $sgpr16
	s_branch .LBB142_1411
.LBB142_1421:
	s_mov_b32 s17, -1
	s_mov_b32 s7, 0
	s_mov_b32 s0, 0
                                        ; implicit-def: $vgpr3
	s_branch .LBB142_1525
.LBB142_1422:
	s_mov_b32 s17, -1
	s_mov_b32 s7, 0
	s_mov_b32 s0, 0
                                        ; implicit-def: $vgpr3
	s_branch .LBB142_1506
.LBB142_1423:
	s_mov_b32 s17, -1
	s_mov_b32 s7, 0
	s_mov_b32 s0, 0
                                        ; implicit-def: $vgpr3
	s_branch .LBB142_1500
.LBB142_1424:
	s_mov_b32 s0, -1
	s_mov_b32 s18, 0
.LBB142_1425:
                                        ; implicit-def: $vgpr5
.LBB142_1426:
	s_and_b32 vcc_lo, exec_lo, s19
	s_cbranch_vccz .LBB142_1432
; %bb.1427:
	s_cmp_eq_u32 s2, 44
	s_cbranch_scc0 .LBB142_1430
; %bb.1428:
	global_load_u8 v1, v[2:3], off
	s_mov_b32 s0, 0
	s_mov_b32 s18, -1
	s_wait_loadcnt 0x0
	v_lshlrev_b32_e32 v4, 23, v1
	v_cmp_ne_u32_e32 vcc_lo, 0xff, v1
	s_delay_alu instid0(VALU_DEP_2) | instskip(SKIP_1) | instid1(VALU_DEP_2)
	v_cndmask_b32_e32 v4, 0x7f800001, v4, vcc_lo
	v_cmp_ne_u32_e32 vcc_lo, 0, v1
	v_cndmask_b32_e32 v4, 0x400000, v4, vcc_lo
	s_branch .LBB142_1431
.LBB142_1429:
	s_mov_b32 s17, -1
	s_mov_b32 s7, 0
	s_mov_b32 s0, 0
	s_branch .LBB142_1493
.LBB142_1430:
	s_mov_b32 s0, -1
                                        ; implicit-def: $vgpr4
.LBB142_1431:
	s_wait_loadcnt 0x0
	v_mov_b32_e32 v5, 0
.LBB142_1432:
	s_mov_b32 s19, 0
.LBB142_1433:
	s_delay_alu instid0(SALU_CYCLE_1)
	s_and_b32 vcc_lo, exec_lo, s19
	s_cbranch_vccz .LBB142_1438
; %bb.1434:
	s_cmp_eq_u32 s2, 29
	s_cbranch_scc0 .LBB142_1436
; %bb.1435:
	s_wait_loadcnt 0x0
	global_load_b64 v[4:5], v[2:3], off
	s_mov_b32 s0, 0
	s_mov_b32 s18, -1
	s_wait_loadcnt 0x0
	v_clz_i32_u32_e32 v1, v5
	s_delay_alu instid0(VALU_DEP_1) | instskip(NEXT) | instid1(VALU_DEP_1)
	v_min_u32_e32 v1, 32, v1
	v_lshlrev_b64_e32 v[4:5], v1, v[4:5]
	v_sub_nc_u32_e32 v1, 32, v1
	s_delay_alu instid0(VALU_DEP_2) | instskip(NEXT) | instid1(VALU_DEP_1)
	v_min_u32_e32 v4, 1, v4
	v_or_b32_e32 v4, v5, v4
	s_delay_alu instid0(VALU_DEP_1) | instskip(NEXT) | instid1(VALU_DEP_1)
	v_cvt_f32_u32_e32 v4, v4
	v_ldexp_f32 v4, v4, v1
	s_branch .LBB142_1437
.LBB142_1436:
	s_mov_b32 s0, -1
                                        ; implicit-def: $vgpr4
.LBB142_1437:
	s_wait_loadcnt 0x0
	v_mov_b32_e32 v5, 0
.LBB142_1438:
	s_mov_b32 s19, 0
.LBB142_1439:
	s_delay_alu instid0(SALU_CYCLE_1)
	s_and_b32 vcc_lo, exec_lo, s19
	s_cbranch_vccz .LBB142_1457
; %bb.1440:
	s_cmp_lt_i32 s2, 27
	s_cbranch_scc1 .LBB142_1443
; %bb.1441:
	s_cmp_gt_i32 s2, 27
	s_cbranch_scc0 .LBB142_1444
; %bb.1442:
	global_load_b32 v1, v[2:3], off
	s_mov_b32 s18, 0
	s_wait_loadcnt 0x0
	v_cvt_f32_u32_e32 v4, v1
	s_branch .LBB142_1445
.LBB142_1443:
	s_mov_b32 s18, -1
                                        ; implicit-def: $vgpr4
	s_branch .LBB142_1448
.LBB142_1444:
	s_mov_b32 s18, -1
                                        ; implicit-def: $vgpr4
.LBB142_1445:
	s_delay_alu instid0(SALU_CYCLE_1)
	s_and_not1_b32 vcc_lo, exec_lo, s18
	s_cbranch_vccnz .LBB142_1447
; %bb.1446:
	global_load_u16 v1, v[2:3], off
	s_wait_loadcnt 0x0
	v_cvt_f32_u32_e32 v4, v1
.LBB142_1447:
	s_mov_b32 s18, 0
.LBB142_1448:
	s_delay_alu instid0(SALU_CYCLE_1)
	s_and_not1_b32 vcc_lo, exec_lo, s18
	s_cbranch_vccnz .LBB142_1456
; %bb.1449:
	global_load_u8 v1, v[2:3], off
	s_mov_b32 s18, 0
	s_mov_b32 s19, exec_lo
	s_wait_loadcnt 0x0
	v_cmpx_lt_i16_e32 0x7f, v1
	s_xor_b32 s19, exec_lo, s19
	s_cbranch_execz .LBB142_1469
; %bb.1450:
	s_mov_b32 s18, -1
	s_mov_b32 s20, exec_lo
	v_cmpx_eq_u16_e32 0x80, v1
; %bb.1451:
	s_xor_b32 s18, exec_lo, -1
; %bb.1452:
	s_or_b32 exec_lo, exec_lo, s20
	s_delay_alu instid0(SALU_CYCLE_1)
	s_and_b32 s18, s18, exec_lo
	s_or_saveexec_b32 s19, s19
	v_mov_b32_e32 v4, 0x7f800001
	s_xor_b32 exec_lo, exec_lo, s19
	s_cbranch_execnz .LBB142_1470
.LBB142_1453:
	s_or_b32 exec_lo, exec_lo, s19
	s_and_saveexec_b32 s19, s18
	s_cbranch_execz .LBB142_1455
.LBB142_1454:
	v_and_b32_e32 v4, 0xffff, v1
	s_delay_alu instid0(VALU_DEP_1) | instskip(SKIP_1) | instid1(VALU_DEP_2)
	v_and_b32_e32 v5, 7, v4
	v_bfe_u32 v9, v4, 3, 4
	v_clz_i32_u32_e32 v7, v5
	s_delay_alu instid0(VALU_DEP_2) | instskip(NEXT) | instid1(VALU_DEP_2)
	v_cmp_eq_u32_e32 vcc_lo, 0, v9
	v_min_u32_e32 v7, 32, v7
	s_delay_alu instid0(VALU_DEP_1) | instskip(NEXT) | instid1(VALU_DEP_1)
	v_subrev_nc_u32_e32 v8, 28, v7
	v_dual_lshlrev_b32 v4, v8, v4 :: v_dual_sub_nc_u32 v7, 29, v7
	s_delay_alu instid0(VALU_DEP_1) | instskip(NEXT) | instid1(VALU_DEP_2)
	v_dual_lshlrev_b32 v1, 24, v1 :: v_dual_bitop2_b32 v4, 7, v4 bitop3:0x40
	v_cndmask_b32_e32 v7, v9, v7, vcc_lo
	s_delay_alu instid0(VALU_DEP_2) | instskip(NEXT) | instid1(VALU_DEP_3)
	v_cndmask_b32_e32 v4, v5, v4, vcc_lo
	v_and_b32_e32 v1, 0x80000000, v1
	s_delay_alu instid0(VALU_DEP_3) | instskip(NEXT) | instid1(VALU_DEP_3)
	v_lshl_add_u32 v5, v7, 23, 0x3b800000
	v_lshlrev_b32_e32 v4, 20, v4
	s_delay_alu instid0(VALU_DEP_1)
	v_or3_b32 v4, v1, v5, v4
.LBB142_1455:
	s_or_b32 exec_lo, exec_lo, s19
.LBB142_1456:
	s_wait_loadcnt 0x0
	v_mov_b32_e32 v5, 0
	s_mov_b32 s18, -1
.LBB142_1457:
	s_branch .LBB142_1351
.LBB142_1458:
	s_cmp_gt_i32 s2, 22
	s_cbranch_scc0 .LBB142_1468
; %bb.1459:
	s_cmp_lt_i32 s2, 24
	s_cbranch_scc1 .LBB142_1471
; %bb.1460:
	s_cmp_gt_i32 s2, 24
	s_cbranch_scc0 .LBB142_1472
; %bb.1461:
	global_load_u8 v1, v[2:3], off
	s_mov_b32 s18, exec_lo
	s_wait_loadcnt 0x0
	v_cmpx_lt_i16_e32 0x7f, v1
	s_xor_b32 s18, exec_lo, s18
	s_cbranch_execz .LBB142_1484
; %bb.1462:
	s_mov_b32 s16, -1
	s_mov_b32 s19, exec_lo
	v_cmpx_eq_u16_e32 0x80, v1
; %bb.1463:
	s_xor_b32 s16, exec_lo, -1
; %bb.1464:
	s_or_b32 exec_lo, exec_lo, s19
	s_delay_alu instid0(SALU_CYCLE_1)
	s_and_b32 s16, s16, exec_lo
	s_or_saveexec_b32 s18, s18
	v_mov_b32_e32 v4, 0x7f800001
	s_xor_b32 exec_lo, exec_lo, s18
	s_cbranch_execnz .LBB142_1485
.LBB142_1465:
	s_or_b32 exec_lo, exec_lo, s18
	s_and_saveexec_b32 s18, s16
	s_cbranch_execz .LBB142_1467
.LBB142_1466:
	v_and_b32_e32 v4, 0xffff, v1
	s_delay_alu instid0(VALU_DEP_1) | instskip(SKIP_1) | instid1(VALU_DEP_2)
	v_and_b32_e32 v5, 3, v4
	v_bfe_u32 v9, v4, 2, 5
	v_clz_i32_u32_e32 v7, v5
	s_delay_alu instid0(VALU_DEP_2) | instskip(NEXT) | instid1(VALU_DEP_2)
	v_cmp_eq_u32_e32 vcc_lo, 0, v9
	v_min_u32_e32 v7, 32, v7
	s_delay_alu instid0(VALU_DEP_1) | instskip(NEXT) | instid1(VALU_DEP_1)
	v_subrev_nc_u32_e32 v8, 29, v7
	v_dual_lshlrev_b32 v4, v8, v4 :: v_dual_sub_nc_u32 v7, 30, v7
	s_delay_alu instid0(VALU_DEP_1) | instskip(NEXT) | instid1(VALU_DEP_2)
	v_dual_lshlrev_b32 v1, 24, v1 :: v_dual_bitop2_b32 v4, 3, v4 bitop3:0x40
	v_cndmask_b32_e32 v7, v9, v7, vcc_lo
	s_delay_alu instid0(VALU_DEP_2) | instskip(NEXT) | instid1(VALU_DEP_3)
	v_cndmask_b32_e32 v4, v5, v4, vcc_lo
	v_and_b32_e32 v1, 0x80000000, v1
	s_delay_alu instid0(VALU_DEP_3) | instskip(NEXT) | instid1(VALU_DEP_3)
	v_lshl_add_u32 v5, v7, 23, 0x37800000
	v_lshlrev_b32_e32 v4, 21, v4
	s_delay_alu instid0(VALU_DEP_1)
	v_or3_b32 v4, v1, v5, v4
.LBB142_1467:
	s_or_b32 exec_lo, exec_lo, s18
	s_mov_b32 s16, 0
	s_branch .LBB142_1473
.LBB142_1468:
	s_mov_b32 s16, -1
                                        ; implicit-def: $vgpr4
	s_branch .LBB142_1479
.LBB142_1469:
	s_or_saveexec_b32 s19, s19
	v_mov_b32_e32 v4, 0x7f800001
	s_xor_b32 exec_lo, exec_lo, s19
	s_cbranch_execz .LBB142_1453
.LBB142_1470:
	v_cmp_ne_u16_e32 vcc_lo, 0, v1
	v_mov_b32_e32 v4, 0
	s_and_not1_b32 s18, s18, exec_lo
	s_and_b32 s20, vcc_lo, exec_lo
	s_delay_alu instid0(SALU_CYCLE_1)
	s_or_b32 s18, s18, s20
	s_or_b32 exec_lo, exec_lo, s19
	s_and_saveexec_b32 s19, s18
	s_cbranch_execnz .LBB142_1454
	s_branch .LBB142_1455
.LBB142_1471:
	s_mov_b32 s16, -1
                                        ; implicit-def: $vgpr4
	s_branch .LBB142_1476
.LBB142_1472:
	s_mov_b32 s16, -1
                                        ; implicit-def: $vgpr4
.LBB142_1473:
	s_delay_alu instid0(SALU_CYCLE_1)
	s_and_b32 vcc_lo, exec_lo, s16
	s_cbranch_vccz .LBB142_1475
; %bb.1474:
	global_load_u8 v1, v[2:3], off
	s_wait_loadcnt 0x0
	v_lshlrev_b32_e32 v1, 24, v1
	s_delay_alu instid0(VALU_DEP_1) | instskip(NEXT) | instid1(VALU_DEP_1)
	v_and_b32_e32 v4, 0x7f000000, v1
	v_clz_i32_u32_e32 v5, v4
	v_add_nc_u32_e32 v8, 0x1000000, v4
	v_cmp_ne_u32_e32 vcc_lo, 0, v4
	s_delay_alu instid0(VALU_DEP_3) | instskip(NEXT) | instid1(VALU_DEP_1)
	v_min_u32_e32 v5, 32, v5
	v_sub_nc_u32_e64 v5, v5, 4 clamp
	s_delay_alu instid0(VALU_DEP_1) | instskip(NEXT) | instid1(VALU_DEP_1)
	v_dual_lshlrev_b32 v7, v5, v4 :: v_dual_lshlrev_b32 v5, 23, v5
	v_lshrrev_b32_e32 v7, 4, v7
	s_delay_alu instid0(VALU_DEP_1) | instskip(NEXT) | instid1(VALU_DEP_1)
	v_dual_sub_nc_u32 v5, v7, v5 :: v_dual_ashrrev_i32 v7, 8, v8
	v_add_nc_u32_e32 v5, 0x3c000000, v5
	s_delay_alu instid0(VALU_DEP_1) | instskip(NEXT) | instid1(VALU_DEP_1)
	v_and_or_b32 v5, 0x7f800000, v7, v5
	v_cndmask_b32_e32 v4, 0, v5, vcc_lo
	s_delay_alu instid0(VALU_DEP_1)
	v_and_or_b32 v4, 0x80000000, v1, v4
.LBB142_1475:
	s_mov_b32 s16, 0
.LBB142_1476:
	s_delay_alu instid0(SALU_CYCLE_1)
	s_and_not1_b32 vcc_lo, exec_lo, s16
	s_cbranch_vccnz .LBB142_1478
; %bb.1477:
	global_load_u8 v1, v[2:3], off
	s_wait_loadcnt 0x0
	v_lshlrev_b32_e32 v4, 25, v1
	v_lshlrev_b16 v1, 8, v1
	s_delay_alu instid0(VALU_DEP_1) | instskip(SKIP_1) | instid1(VALU_DEP_2)
	v_and_or_b32 v7, 0x7f00, v1, 0.5
	v_bfe_i32 v1, v1, 0, 16
	v_dual_add_f32 v7, -0.5, v7 :: v_dual_lshrrev_b32 v5, 4, v4
	v_cmp_gt_u32_e32 vcc_lo, 0x8000000, v4
	s_delay_alu instid0(VALU_DEP_2) | instskip(NEXT) | instid1(VALU_DEP_1)
	v_or_b32_e32 v5, 0x70000000, v5
	v_mul_f32_e32 v5, 0x7800000, v5
	s_delay_alu instid0(VALU_DEP_1) | instskip(NEXT) | instid1(VALU_DEP_1)
	v_cndmask_b32_e32 v4, v5, v7, vcc_lo
	v_and_or_b32 v4, 0x80000000, v1, v4
.LBB142_1478:
	s_mov_b32 s16, 0
	s_mov_b32 s18, -1
.LBB142_1479:
	s_and_not1_b32 vcc_lo, exec_lo, s16
	s_mov_b32 s16, 0
	s_cbranch_vccnz .LBB142_1490
; %bb.1480:
	s_cmp_gt_i32 s2, 14
	s_cbranch_scc0 .LBB142_1483
; %bb.1481:
	s_cmp_eq_u32 s2, 15
	s_cbranch_scc0 .LBB142_1486
; %bb.1482:
	global_load_u16 v1, v[2:3], off
	s_mov_b32 s0, 0
	s_mov_b32 s18, -1
	s_wait_loadcnt 0x0
	v_lshlrev_b32_e32 v4, 16, v1
	s_branch .LBB142_1488
.LBB142_1483:
	s_mov_b32 s16, -1
	s_branch .LBB142_1487
.LBB142_1484:
	s_or_saveexec_b32 s18, s18
	v_mov_b32_e32 v4, 0x7f800001
	s_xor_b32 exec_lo, exec_lo, s18
	s_cbranch_execz .LBB142_1465
.LBB142_1485:
	v_cmp_ne_u16_e32 vcc_lo, 0, v1
	v_mov_b32_e32 v4, 0
	s_and_not1_b32 s16, s16, exec_lo
	s_and_b32 s19, vcc_lo, exec_lo
	s_delay_alu instid0(SALU_CYCLE_1)
	s_or_b32 s16, s16, s19
	s_or_b32 exec_lo, exec_lo, s18
	s_and_saveexec_b32 s18, s16
	s_cbranch_execnz .LBB142_1466
	s_branch .LBB142_1467
.LBB142_1486:
	s_mov_b32 s0, -1
.LBB142_1487:
                                        ; implicit-def: $vgpr4
.LBB142_1488:
	s_and_b32 vcc_lo, exec_lo, s16
	s_mov_b32 s16, 0
	s_cbranch_vccz .LBB142_1490
; %bb.1489:
	s_cmp_lg_u32 s2, 11
	s_mov_b32 s16, -1
	s_cselect_b32 s0, -1, 0
.LBB142_1490:
	s_wait_loadcnt 0x0
	v_mov_b32_e32 v5, 0
	s_and_b32 vcc_lo, exec_lo, s0
	s_cbranch_vccz .LBB142_1352
.LBB142_1491:
	s_or_b32 s1, s1, exec_lo
	s_trap 2
	s_cbranch_execz .LBB142_1353
	s_branch .LBB142_1354
.LBB142_1492:
	s_mov_b32 s0, -1
	s_mov_b32 s7, 0
.LBB142_1493:
                                        ; implicit-def: $vgpr3
.LBB142_1494:
	s_and_b32 vcc_lo, exec_lo, s17
	s_cbranch_vccz .LBB142_1499
; %bb.1495:
	s_cmp_eq_u32 s2, 44
	s_cbranch_scc0 .LBB142_1497
; %bb.1496:
	global_load_u8 v2, v[0:1], off
	s_mov_b32 s0, 0
	s_mov_b32 s7, -1
	s_wait_loadcnt 0x0
	v_lshlrev_b32_e32 v3, 23, v2
	v_cmp_ne_u32_e32 vcc_lo, 0xff, v2
	s_delay_alu instid0(VALU_DEP_2) | instskip(SKIP_1) | instid1(VALU_DEP_2)
	v_cndmask_b32_e32 v3, 0x7f800001, v3, vcc_lo
	v_cmp_ne_u32_e32 vcc_lo, 0, v2
	v_cndmask_b32_e32 v2, 0x400000, v3, vcc_lo
	s_branch .LBB142_1498
.LBB142_1497:
	s_mov_b32 s0, -1
                                        ; implicit-def: $vgpr2
.LBB142_1498:
	s_wait_xcnt 0x0
	v_mov_b32_e32 v3, 0
.LBB142_1499:
	s_mov_b32 s17, 0
.LBB142_1500:
	s_delay_alu instid0(SALU_CYCLE_1)
	s_and_b32 vcc_lo, exec_lo, s17
	s_cbranch_vccz .LBB142_1505
; %bb.1501:
	s_cmp_eq_u32 s2, 29
	s_cbranch_scc0 .LBB142_1503
; %bb.1502:
	global_load_b64 v[2:3], v[0:1], off
	s_mov_b32 s0, 0
	s_mov_b32 s7, -1
	s_wait_loadcnt 0x0
	v_clz_i32_u32_e32 v4, v3
	s_delay_alu instid0(VALU_DEP_1) | instskip(NEXT) | instid1(VALU_DEP_1)
	v_min_u32_e32 v4, 32, v4
	v_lshlrev_b64_e32 v[2:3], v4, v[2:3]
	s_delay_alu instid0(VALU_DEP_1) | instskip(NEXT) | instid1(VALU_DEP_1)
	v_min_u32_e32 v2, 1, v2
	v_dual_sub_nc_u32 v3, 32, v4 :: v_dual_bitop2_b32 v2, v3, v2 bitop3:0x54
	s_delay_alu instid0(VALU_DEP_1) | instskip(NEXT) | instid1(VALU_DEP_1)
	v_cvt_f32_u32_e32 v2, v2
	v_ldexp_f32 v2, v2, v3
	s_branch .LBB142_1504
.LBB142_1503:
	s_mov_b32 s0, -1
                                        ; implicit-def: $vgpr2
.LBB142_1504:
	s_wait_xcnt 0x0
	v_mov_b32_e32 v3, 0
.LBB142_1505:
	s_mov_b32 s17, 0
.LBB142_1506:
	s_delay_alu instid0(SALU_CYCLE_1)
	s_and_b32 vcc_lo, exec_lo, s17
	s_cbranch_vccz .LBB142_1524
; %bb.1507:
	s_cmp_lt_i32 s2, 27
	s_cbranch_scc1 .LBB142_1510
; %bb.1508:
	s_cmp_gt_i32 s2, 27
	s_cbranch_scc0 .LBB142_1511
; %bb.1509:
	global_load_b32 v2, v[0:1], off
	s_mov_b32 s7, 0
	s_wait_loadcnt 0x0
	v_cvt_f32_u32_e32 v2, v2
	s_branch .LBB142_1512
.LBB142_1510:
	s_mov_b32 s7, -1
                                        ; implicit-def: $vgpr2
	s_branch .LBB142_1515
.LBB142_1511:
	s_mov_b32 s7, -1
                                        ; implicit-def: $vgpr2
.LBB142_1512:
	s_delay_alu instid0(SALU_CYCLE_1)
	s_and_not1_b32 vcc_lo, exec_lo, s7
	s_cbranch_vccnz .LBB142_1514
; %bb.1513:
	global_load_u16 v2, v[0:1], off
	s_wait_loadcnt 0x0
	v_cvt_f32_u32_e32 v2, v2
.LBB142_1514:
	s_mov_b32 s7, 0
.LBB142_1515:
	s_delay_alu instid0(SALU_CYCLE_1)
	s_and_not1_b32 vcc_lo, exec_lo, s7
	s_cbranch_vccnz .LBB142_1523
; %bb.1516:
	global_load_u8 v3, v[0:1], off
	s_mov_b32 s7, 0
	s_mov_b32 s17, exec_lo
	s_wait_loadcnt 0x0
	v_cmpx_lt_i16_e32 0x7f, v3
	s_xor_b32 s17, exec_lo, s17
	s_cbranch_execz .LBB142_1549
; %bb.1517:
	s_mov_b32 s7, -1
	s_mov_b32 s18, exec_lo
	v_cmpx_eq_u16_e32 0x80, v3
; %bb.1518:
	s_xor_b32 s7, exec_lo, -1
; %bb.1519:
	s_or_b32 exec_lo, exec_lo, s18
	s_delay_alu instid0(SALU_CYCLE_1)
	s_and_b32 s7, s7, exec_lo
	s_or_saveexec_b32 s17, s17
	v_mov_b32_e32 v2, 0x7f800001
	s_xor_b32 exec_lo, exec_lo, s17
	s_cbranch_execnz .LBB142_1550
.LBB142_1520:
	s_or_b32 exec_lo, exec_lo, s17
	s_and_saveexec_b32 s17, s7
	s_cbranch_execz .LBB142_1522
.LBB142_1521:
	v_and_b32_e32 v2, 0xffff, v3
	s_delay_alu instid0(VALU_DEP_1) | instskip(SKIP_1) | instid1(VALU_DEP_2)
	v_and_b32_e32 v4, 7, v2
	v_bfe_u32 v8, v2, 3, 4
	v_clz_i32_u32_e32 v5, v4
	s_delay_alu instid0(VALU_DEP_2) | instskip(NEXT) | instid1(VALU_DEP_2)
	v_cmp_eq_u32_e32 vcc_lo, 0, v8
	v_min_u32_e32 v5, 32, v5
	s_delay_alu instid0(VALU_DEP_1) | instskip(NEXT) | instid1(VALU_DEP_1)
	v_subrev_nc_u32_e32 v7, 28, v5
	v_dual_lshlrev_b32 v2, v7, v2 :: v_dual_sub_nc_u32 v5, 29, v5
	s_delay_alu instid0(VALU_DEP_1) | instskip(NEXT) | instid1(VALU_DEP_2)
	v_dual_lshlrev_b32 v3, 24, v3 :: v_dual_bitop2_b32 v2, 7, v2 bitop3:0x40
	v_cndmask_b32_e32 v5, v8, v5, vcc_lo
	s_delay_alu instid0(VALU_DEP_2) | instskip(NEXT) | instid1(VALU_DEP_3)
	v_cndmask_b32_e32 v2, v4, v2, vcc_lo
	v_and_b32_e32 v3, 0x80000000, v3
	s_delay_alu instid0(VALU_DEP_3) | instskip(NEXT) | instid1(VALU_DEP_3)
	v_lshl_add_u32 v4, v5, 23, 0x3b800000
	v_lshlrev_b32_e32 v2, 20, v2
	s_delay_alu instid0(VALU_DEP_1)
	v_or3_b32 v2, v3, v4, v2
.LBB142_1522:
	s_or_b32 exec_lo, exec_lo, s17
.LBB142_1523:
	s_wait_xcnt 0x0
	v_mov_b32_e32 v3, 0
	s_mov_b32 s7, -1
.LBB142_1524:
	s_mov_b32 s17, 0
.LBB142_1525:
	s_delay_alu instid0(SALU_CYCLE_1)
	s_and_b32 vcc_lo, exec_lo, s17
	s_cbranch_vccz .LBB142_1536
; %bb.1526:
	s_cmp_gt_i32 s2, 22
	s_cbranch_scc0 .LBB142_1547
; %bb.1527:
	s_cmp_lt_i32 s2, 24
	s_cbranch_scc1 .LBB142_1551
; %bb.1528:
	s_cmp_gt_i32 s2, 24
	s_cbranch_scc0 .LBB142_1553
; %bb.1529:
	global_load_u8 v3, v[0:1], off
	s_mov_b32 s7, exec_lo
	s_wait_loadcnt 0x0
	v_cmpx_lt_i16_e32 0x7f, v3
	s_xor_b32 s7, exec_lo, s7
	s_cbranch_execz .LBB142_1565
; %bb.1530:
	s_mov_b32 s6, -1
	s_mov_b32 s17, exec_lo
	v_cmpx_eq_u16_e32 0x80, v3
; %bb.1531:
	s_xor_b32 s6, exec_lo, -1
; %bb.1532:
	s_or_b32 exec_lo, exec_lo, s17
	s_delay_alu instid0(SALU_CYCLE_1)
	s_and_b32 s6, s6, exec_lo
	s_or_saveexec_b32 s7, s7
	v_mov_b32_e32 v2, 0x7f800001
	s_xor_b32 exec_lo, exec_lo, s7
	s_cbranch_execnz .LBB142_1566
.LBB142_1533:
	s_or_b32 exec_lo, exec_lo, s7
	s_and_saveexec_b32 s7, s6
	s_cbranch_execz .LBB142_1535
.LBB142_1534:
	v_and_b32_e32 v2, 0xffff, v3
	s_delay_alu instid0(VALU_DEP_1) | instskip(SKIP_1) | instid1(VALU_DEP_2)
	v_and_b32_e32 v4, 3, v2
	v_bfe_u32 v8, v2, 2, 5
	v_clz_i32_u32_e32 v5, v4
	s_delay_alu instid0(VALU_DEP_2) | instskip(NEXT) | instid1(VALU_DEP_2)
	v_cmp_eq_u32_e32 vcc_lo, 0, v8
	v_min_u32_e32 v5, 32, v5
	s_delay_alu instid0(VALU_DEP_1) | instskip(NEXT) | instid1(VALU_DEP_1)
	v_subrev_nc_u32_e32 v7, 29, v5
	v_dual_lshlrev_b32 v2, v7, v2 :: v_dual_sub_nc_u32 v5, 30, v5
	s_delay_alu instid0(VALU_DEP_1) | instskip(NEXT) | instid1(VALU_DEP_2)
	v_dual_lshlrev_b32 v3, 24, v3 :: v_dual_bitop2_b32 v2, 3, v2 bitop3:0x40
	v_cndmask_b32_e32 v5, v8, v5, vcc_lo
	s_delay_alu instid0(VALU_DEP_2) | instskip(NEXT) | instid1(VALU_DEP_3)
	v_cndmask_b32_e32 v2, v4, v2, vcc_lo
	v_and_b32_e32 v3, 0x80000000, v3
	s_delay_alu instid0(VALU_DEP_3) | instskip(NEXT) | instid1(VALU_DEP_3)
	v_lshl_add_u32 v4, v5, 23, 0x37800000
	v_lshlrev_b32_e32 v2, 21, v2
	s_delay_alu instid0(VALU_DEP_1)
	v_or3_b32 v2, v3, v4, v2
.LBB142_1535:
	s_or_b32 exec_lo, exec_lo, s7
	s_mov_b32 s6, 0
	s_branch .LBB142_1554
.LBB142_1536:
	s_and_b32 vcc_lo, exec_lo, s0
	s_cbranch_vccnz .LBB142_1584
.LBB142_1537:
	s_and_not1_b32 vcc_lo, exec_lo, s6
	s_cbranch_vccnz .LBB142_1539
.LBB142_1538:
	global_load_u8 v2, v[0:1], off
	v_mov_b32_e32 v3, 0
	s_mov_b32 s7, -1
	s_wait_loadcnt 0x0
	v_cmp_ne_u16_e32 vcc_lo, 0, v2
	v_cndmask_b32_e64 v2, 0, 1.0, vcc_lo
.LBB142_1539:
	s_mov_b32 s0, 0
.LBB142_1540:
	s_delay_alu instid0(SALU_CYCLE_1)
	s_and_b32 vcc_lo, exec_lo, s0
	s_cbranch_vccz .LBB142_1615
; %bb.1541:
	s_cmp_lt_i32 s2, 5
	s_cbranch_scc1 .LBB142_1546
; %bb.1542:
	s_cmp_lt_i32 s2, 8
	s_cbranch_scc1 .LBB142_1548
	;; [unrolled: 3-line block ×3, first 2 shown]
; %bb.1544:
	s_cmp_gt_i32 s2, 9
	s_cbranch_scc0 .LBB142_1567
; %bb.1545:
	s_wait_loadcnt 0x0
	global_load_b128 v[2:5], v[0:1], off
	s_mov_b32 s0, 0
	s_wait_loadcnt 0x0
	v_cvt_f32_f64_e32 v2, v[2:3]
	v_cvt_f32_f64_e32 v3, v[4:5]
	s_branch .LBB142_1568
.LBB142_1546:
	s_mov_b32 s0, -1
                                        ; implicit-def: $vgpr3
	s_branch .LBB142_1593
.LBB142_1547:
	s_mov_b32 s6, -1
                                        ; implicit-def: $vgpr2
	s_branch .LBB142_1560
.LBB142_1548:
	s_mov_b32 s0, -1
                                        ; implicit-def: $vgpr3
	s_branch .LBB142_1574
.LBB142_1549:
	s_or_saveexec_b32 s17, s17
	v_mov_b32_e32 v2, 0x7f800001
	s_xor_b32 exec_lo, exec_lo, s17
	s_cbranch_execz .LBB142_1520
.LBB142_1550:
	v_cmp_ne_u16_e32 vcc_lo, 0, v3
	v_mov_b32_e32 v2, 0
	s_and_not1_b32 s7, s7, exec_lo
	s_and_b32 s18, vcc_lo, exec_lo
	s_delay_alu instid0(SALU_CYCLE_1)
	s_or_b32 s7, s7, s18
	s_or_b32 exec_lo, exec_lo, s17
	s_and_saveexec_b32 s17, s7
	s_cbranch_execnz .LBB142_1521
	s_branch .LBB142_1522
.LBB142_1551:
	s_mov_b32 s6, -1
                                        ; implicit-def: $vgpr2
	s_branch .LBB142_1557
.LBB142_1552:
	s_mov_b32 s0, -1
                                        ; implicit-def: $vgpr3
	s_branch .LBB142_1571
.LBB142_1553:
	s_mov_b32 s6, -1
                                        ; implicit-def: $vgpr2
.LBB142_1554:
	s_delay_alu instid0(SALU_CYCLE_1)
	s_and_b32 vcc_lo, exec_lo, s6
	s_cbranch_vccz .LBB142_1556
; %bb.1555:
	global_load_u8 v2, v[0:1], off
	s_wait_loadcnt 0x0
	v_lshlrev_b32_e32 v2, 24, v2
	s_delay_alu instid0(VALU_DEP_1) | instskip(NEXT) | instid1(VALU_DEP_1)
	v_and_b32_e32 v3, 0x7f000000, v2
	v_clz_i32_u32_e32 v4, v3
	v_add_nc_u32_e32 v7, 0x1000000, v3
	v_cmp_ne_u32_e32 vcc_lo, 0, v3
	s_delay_alu instid0(VALU_DEP_3) | instskip(NEXT) | instid1(VALU_DEP_1)
	v_min_u32_e32 v4, 32, v4
	v_sub_nc_u32_e64 v4, v4, 4 clamp
	s_delay_alu instid0(VALU_DEP_1) | instskip(NEXT) | instid1(VALU_DEP_1)
	v_dual_lshlrev_b32 v5, v4, v3 :: v_dual_lshlrev_b32 v4, 23, v4
	v_lshrrev_b32_e32 v5, 4, v5
	s_delay_alu instid0(VALU_DEP_1) | instskip(NEXT) | instid1(VALU_DEP_1)
	v_dual_sub_nc_u32 v4, v5, v4 :: v_dual_ashrrev_i32 v5, 8, v7
	v_add_nc_u32_e32 v4, 0x3c000000, v4
	s_delay_alu instid0(VALU_DEP_1) | instskip(NEXT) | instid1(VALU_DEP_1)
	v_and_or_b32 v4, 0x7f800000, v5, v4
	v_cndmask_b32_e32 v3, 0, v4, vcc_lo
	s_delay_alu instid0(VALU_DEP_1)
	v_and_or_b32 v2, 0x80000000, v2, v3
.LBB142_1556:
	s_mov_b32 s6, 0
.LBB142_1557:
	s_delay_alu instid0(SALU_CYCLE_1)
	s_and_not1_b32 vcc_lo, exec_lo, s6
	s_cbranch_vccnz .LBB142_1559
; %bb.1558:
	global_load_u8 v2, v[0:1], off
	s_wait_loadcnt 0x0
	v_lshlrev_b32_e32 v3, 25, v2
	v_lshlrev_b16 v2, 8, v2
	s_delay_alu instid0(VALU_DEP_1) | instskip(SKIP_1) | instid1(VALU_DEP_2)
	v_and_or_b32 v5, 0x7f00, v2, 0.5
	v_bfe_i32 v2, v2, 0, 16
	v_dual_add_f32 v5, -0.5, v5 :: v_dual_lshrrev_b32 v4, 4, v3
	v_cmp_gt_u32_e32 vcc_lo, 0x8000000, v3
	s_delay_alu instid0(VALU_DEP_2) | instskip(NEXT) | instid1(VALU_DEP_1)
	v_or_b32_e32 v4, 0x70000000, v4
	v_mul_f32_e32 v4, 0x7800000, v4
	s_delay_alu instid0(VALU_DEP_1) | instskip(NEXT) | instid1(VALU_DEP_1)
	v_cndmask_b32_e32 v3, v4, v5, vcc_lo
	v_and_or_b32 v2, 0x80000000, v2, v3
.LBB142_1559:
	s_mov_b32 s6, 0
	s_mov_b32 s7, -1
.LBB142_1560:
	s_and_not1_b32 vcc_lo, exec_lo, s6
	s_mov_b32 s6, 0
	s_cbranch_vccnz .LBB142_1583
; %bb.1561:
	s_cmp_gt_i32 s2, 14
	s_cbranch_scc0 .LBB142_1564
; %bb.1562:
	s_cmp_eq_u32 s2, 15
	s_cbranch_scc0 .LBB142_1579
; %bb.1563:
	global_load_u16 v2, v[0:1], off
	s_mov_b32 s0, 0
	s_mov_b32 s7, -1
	s_wait_loadcnt 0x0
	v_lshlrev_b32_e32 v2, 16, v2
	s_branch .LBB142_1581
.LBB142_1564:
	s_mov_b32 s6, -1
	s_branch .LBB142_1580
.LBB142_1565:
	s_or_saveexec_b32 s7, s7
	v_mov_b32_e32 v2, 0x7f800001
	s_xor_b32 exec_lo, exec_lo, s7
	s_cbranch_execz .LBB142_1533
.LBB142_1566:
	v_cmp_ne_u16_e32 vcc_lo, 0, v3
	v_mov_b32_e32 v2, 0
	s_and_not1_b32 s6, s6, exec_lo
	s_and_b32 s17, vcc_lo, exec_lo
	s_delay_alu instid0(SALU_CYCLE_1)
	s_or_b32 s6, s6, s17
	s_or_b32 exec_lo, exec_lo, s7
	s_and_saveexec_b32 s7, s6
	s_cbranch_execnz .LBB142_1534
	s_branch .LBB142_1535
.LBB142_1567:
	s_mov_b32 s0, -1
                                        ; implicit-def: $vgpr3
.LBB142_1568:
	s_delay_alu instid0(SALU_CYCLE_1)
	s_and_not1_b32 vcc_lo, exec_lo, s0
	s_cbranch_vccnz .LBB142_1570
; %bb.1569:
	global_load_b64 v[2:3], v[0:1], off
.LBB142_1570:
	s_mov_b32 s0, 0
.LBB142_1571:
	s_delay_alu instid0(SALU_CYCLE_1)
	s_and_not1_b32 vcc_lo, exec_lo, s0
	s_cbranch_vccnz .LBB142_1573
; %bb.1572:
	s_wait_loadcnt 0x0
	global_load_b32 v2, v[0:1], off
	s_wait_loadcnt 0x0
	v_lshrrev_b32_e32 v3, 16, v2
	v_cvt_f32_f16_e32 v2, v2
	s_delay_alu instid0(VALU_DEP_2)
	v_cvt_f32_f16_e32 v3, v3
.LBB142_1573:
	s_mov_b32 s0, 0
.LBB142_1574:
	s_delay_alu instid0(SALU_CYCLE_1)
	s_and_not1_b32 vcc_lo, exec_lo, s0
	s_cbranch_vccnz .LBB142_1592
; %bb.1575:
	s_cmp_lt_i32 s2, 6
	s_cbranch_scc1 .LBB142_1578
; %bb.1576:
	s_cmp_gt_i32 s2, 6
	s_cbranch_scc0 .LBB142_1585
; %bb.1577:
	s_wait_loadcnt 0x0
	global_load_b64 v[2:3], v[0:1], off
	s_mov_b32 s0, 0
	s_wait_loadcnt 0x0
	v_cvt_f32_f64_e32 v2, v[2:3]
	s_branch .LBB142_1586
.LBB142_1578:
	s_mov_b32 s0, -1
                                        ; implicit-def: $vgpr2
	s_branch .LBB142_1589
.LBB142_1579:
	s_mov_b32 s0, -1
.LBB142_1580:
                                        ; implicit-def: $vgpr2
.LBB142_1581:
	s_and_b32 vcc_lo, exec_lo, s6
	s_mov_b32 s6, 0
	s_cbranch_vccz .LBB142_1583
; %bb.1582:
	s_cmp_lg_u32 s2, 11
	s_mov_b32 s6, -1
	s_cselect_b32 s0, -1, 0
.LBB142_1583:
	s_wait_xcnt 0x0
	v_mov_b32_e32 v3, 0
	s_and_b32 vcc_lo, exec_lo, s0
	s_cbranch_vccz .LBB142_1537
.LBB142_1584:
	s_or_b32 s1, s1, exec_lo
	s_trap 2
	s_cbranch_execz .LBB142_1538
	s_branch .LBB142_1539
.LBB142_1585:
	s_mov_b32 s0, -1
                                        ; implicit-def: $vgpr2
.LBB142_1586:
	s_delay_alu instid0(SALU_CYCLE_1)
	s_and_not1_b32 vcc_lo, exec_lo, s0
	s_cbranch_vccnz .LBB142_1588
; %bb.1587:
	s_wait_loadcnt 0x0
	global_load_b32 v2, v[0:1], off
.LBB142_1588:
	s_mov_b32 s0, 0
.LBB142_1589:
	s_delay_alu instid0(SALU_CYCLE_1)
	s_and_not1_b32 vcc_lo, exec_lo, s0
	s_cbranch_vccnz .LBB142_1591
; %bb.1590:
	s_wait_loadcnt 0x0
	global_load_u16 v2, v[0:1], off
	s_wait_loadcnt 0x0
	v_cvt_f32_f16_e32 v2, v2
.LBB142_1591:
	s_wait_loadcnt 0x0
	v_mov_b32_e32 v3, 0
.LBB142_1592:
	s_mov_b32 s0, 0
.LBB142_1593:
	s_delay_alu instid0(SALU_CYCLE_1)
	s_and_not1_b32 vcc_lo, exec_lo, s0
	s_cbranch_vccnz .LBB142_1614
; %bb.1594:
	s_cmp_lt_i32 s2, 2
	s_cbranch_scc1 .LBB142_1598
; %bb.1595:
	s_cmp_lt_i32 s2, 3
	s_cbranch_scc1 .LBB142_1599
; %bb.1596:
	s_cmp_gt_i32 s2, 3
	s_cbranch_scc0 .LBB142_1600
; %bb.1597:
	s_wait_loadcnt 0x0
	global_load_b64 v[2:3], v[0:1], off
	s_mov_b32 s0, 0
	s_wait_loadcnt 0x0
	v_xor_b32_e32 v4, v2, v3
	v_cls_i32_e32 v5, v3
	s_delay_alu instid0(VALU_DEP_2) | instskip(NEXT) | instid1(VALU_DEP_1)
	v_ashrrev_i32_e32 v4, 31, v4
	v_add_nc_u32_e32 v4, 32, v4
	s_delay_alu instid0(VALU_DEP_1) | instskip(NEXT) | instid1(VALU_DEP_1)
	v_add_min_u32_e64 v4, v5, -1, v4
	v_lshlrev_b64_e32 v[2:3], v4, v[2:3]
	s_delay_alu instid0(VALU_DEP_1) | instskip(NEXT) | instid1(VALU_DEP_1)
	v_min_u32_e32 v2, 1, v2
	v_dual_sub_nc_u32 v3, 32, v4 :: v_dual_bitop2_b32 v2, v3, v2 bitop3:0x54
	s_delay_alu instid0(VALU_DEP_1) | instskip(NEXT) | instid1(VALU_DEP_1)
	v_cvt_f32_i32_e32 v2, v2
	v_ldexp_f32 v2, v2, v3
	s_branch .LBB142_1601
.LBB142_1598:
	s_mov_b32 s0, -1
                                        ; implicit-def: $vgpr2
	s_branch .LBB142_1607
.LBB142_1599:
	s_mov_b32 s0, -1
                                        ; implicit-def: $vgpr2
	s_branch .LBB142_1604
.LBB142_1600:
	s_mov_b32 s0, -1
                                        ; implicit-def: $vgpr2
.LBB142_1601:
	s_delay_alu instid0(SALU_CYCLE_1)
	s_and_not1_b32 vcc_lo, exec_lo, s0
	s_cbranch_vccnz .LBB142_1603
; %bb.1602:
	s_wait_loadcnt 0x0
	global_load_b32 v2, v[0:1], off
	s_wait_loadcnt 0x0
	v_cvt_f32_i32_e32 v2, v2
.LBB142_1603:
	s_mov_b32 s0, 0
.LBB142_1604:
	s_delay_alu instid0(SALU_CYCLE_1)
	s_and_not1_b32 vcc_lo, exec_lo, s0
	s_cbranch_vccnz .LBB142_1606
; %bb.1605:
	s_wait_loadcnt 0x0
	global_load_i16 v2, v[0:1], off
	s_wait_loadcnt 0x0
	v_cvt_f32_i32_e32 v2, v2
.LBB142_1606:
	s_mov_b32 s0, 0
.LBB142_1607:
	s_delay_alu instid0(SALU_CYCLE_1)
	s_and_not1_b32 vcc_lo, exec_lo, s0
	s_cbranch_vccnz .LBB142_1613
; %bb.1608:
	s_cmp_gt_i32 s2, 0
	s_mov_b32 s0, 0
	s_cbranch_scc0 .LBB142_1610
; %bb.1609:
	s_wait_loadcnt 0x0
	global_load_i8 v2, v[0:1], off
	s_wait_loadcnt 0x0
	v_cvt_f32_i32_e32 v2, v2
	s_branch .LBB142_1611
.LBB142_1610:
	s_mov_b32 s0, -1
                                        ; implicit-def: $vgpr2
.LBB142_1611:
	s_delay_alu instid0(SALU_CYCLE_1)
	s_and_not1_b32 vcc_lo, exec_lo, s0
	s_cbranch_vccnz .LBB142_1613
; %bb.1612:
	global_load_u8 v0, v[0:1], off
	s_wait_loadcnt 0x0
	v_cvt_f32_ubyte0_e32 v2, v0
.LBB142_1613:
	s_wait_loadcnt 0x0
	v_mov_b32_e32 v3, 0
.LBB142_1614:
	s_mov_b32 s7, -1
.LBB142_1615:
	s_delay_alu instid0(SALU_CYCLE_1)
	s_and_not1_b32 vcc_lo, exec_lo, s7
	s_cbranch_vccnz .LBB142_1618
; %bb.1616:
	s_and_b32 vcc_lo, exec_lo, s15
	s_cbranch_vccz .LBB142_1664
; %bb.1617:
	s_wait_loadcnt 0x0
	s_delay_alu instid0(VALU_DEP_1) | instskip(NEXT) | instid1(VALU_DEP_2)
	v_cmp_neq_f32_e32 vcc_lo, s12, v2
	v_cmp_neq_f32_e64 s0, s13, v3
	s_or_b32 s15, vcc_lo, s0
	s_mov_b32 s0, 0
	s_branch .LBB142_1665
.LBB142_1618:
	s_mov_b32 s0, 0
	s_mov_b32 s4, 0
                                        ; implicit-def: $sgpr15
.LBB142_1619:
                                        ; implicit-def: $sgpr17
                                        ; implicit-def: $vgpr0_vgpr1
.LBB142_1620:
	s_and_not1_b32 s2, s11, exec_lo
	s_and_b32 s5, s1, exec_lo
	s_and_b32 s0, s0, exec_lo
	s_and_b32 s1, s4, exec_lo
	s_or_b32 s11, s2, s5
.LBB142_1621:
	s_wait_xcnt 0x0
	s_or_b32 exec_lo, exec_lo, s3
	s_and_saveexec_b32 s2, s11
	s_cbranch_execz .LBB142_1624
; %bb.1622:
	; divergent unreachable
	s_or_b32 exec_lo, exec_lo, s2
	s_and_saveexec_b32 s2, s1
	s_delay_alu instid0(SALU_CYCLE_1)
	s_xor_b32 s1, exec_lo, s2
	s_cbranch_execnz .LBB142_1625
.LBB142_1623:
	s_or_b32 exec_lo, exec_lo, s1
	s_and_saveexec_b32 s1, s0
	s_cbranch_execnz .LBB142_1626
	s_branch .LBB142_1663
.LBB142_1624:
	s_or_b32 exec_lo, exec_lo, s2
	s_and_saveexec_b32 s2, s1
	s_delay_alu instid0(SALU_CYCLE_1)
	s_xor_b32 s1, exec_lo, s2
	s_cbranch_execz .LBB142_1623
.LBB142_1625:
	s_wait_loadcnt 0x0
	v_cndmask_b32_e64 v2, 0, 1, s15
	global_store_b8 v[0:1], v2, off
	s_wait_xcnt 0x0
	s_or_b32 exec_lo, exec_lo, s1
	s_and_saveexec_b32 s1, s0
	s_cbranch_execz .LBB142_1663
.LBB142_1626:
	s_sext_i32_i16 s1, s17
	s_mov_b32 s0, -1
	s_cmp_lt_i32 s1, 5
	s_cbranch_scc1 .LBB142_1647
; %bb.1627:
	s_cmp_lt_i32 s1, 8
	s_cbranch_scc1 .LBB142_1637
; %bb.1628:
	;; [unrolled: 3-line block ×3, first 2 shown]
	s_cmp_gt_i32 s1, 9
	s_cbranch_scc0 .LBB142_1631
; %bb.1630:
	s_wait_loadcnt 0x0
	v_cndmask_b32_e64 v2, 0, 1, s15
	v_mov_b32_e32 v4, 0
	s_mov_b32 s0, 0
	s_delay_alu instid0(VALU_DEP_2) | instskip(NEXT) | instid1(VALU_DEP_2)
	v_cvt_f64_u32_e32 v[2:3], v2
	v_mov_b32_e32 v5, v4
	global_store_b128 v[0:1], v[2:5], off
.LBB142_1631:
	s_and_not1_b32 vcc_lo, exec_lo, s0
	s_cbranch_vccnz .LBB142_1633
; %bb.1632:
	s_wait_loadcnt 0x0
	v_cndmask_b32_e64 v2, 0, 1.0, s15
	v_mov_b32_e32 v3, 0
	global_store_b64 v[0:1], v[2:3], off
.LBB142_1633:
	s_mov_b32 s0, 0
.LBB142_1634:
	s_delay_alu instid0(SALU_CYCLE_1)
	s_and_not1_b32 vcc_lo, exec_lo, s0
	s_cbranch_vccnz .LBB142_1636
; %bb.1635:
	s_wait_loadcnt 0x0
	v_cndmask_b32_e64 v2, 0, 1.0, s15
	s_delay_alu instid0(VALU_DEP_1) | instskip(NEXT) | instid1(VALU_DEP_1)
	v_cvt_f16_f32_e32 v2, v2
	v_and_b32_e32 v2, 0xffff, v2
	global_store_b32 v[0:1], v2, off
.LBB142_1636:
	s_mov_b32 s0, 0
.LBB142_1637:
	s_delay_alu instid0(SALU_CYCLE_1)
	s_and_not1_b32 vcc_lo, exec_lo, s0
	s_cbranch_vccnz .LBB142_1646
; %bb.1638:
	s_sext_i32_i16 s1, s17
	s_mov_b32 s0, -1
	s_cmp_lt_i32 s1, 6
	s_cbranch_scc1 .LBB142_1644
; %bb.1639:
	s_cmp_gt_i32 s1, 6
	s_cbranch_scc0 .LBB142_1641
; %bb.1640:
	s_wait_loadcnt 0x0
	v_cndmask_b32_e64 v2, 0, 1, s15
	s_mov_b32 s0, 0
	s_delay_alu instid0(VALU_DEP_1)
	v_cvt_f64_u32_e32 v[2:3], v2
	global_store_b64 v[0:1], v[2:3], off
.LBB142_1641:
	s_and_not1_b32 vcc_lo, exec_lo, s0
	s_cbranch_vccnz .LBB142_1643
; %bb.1642:
	s_wait_loadcnt 0x0
	v_cndmask_b32_e64 v2, 0, 1.0, s15
	global_store_b32 v[0:1], v2, off
.LBB142_1643:
	s_mov_b32 s0, 0
.LBB142_1644:
	s_delay_alu instid0(SALU_CYCLE_1)
	s_and_not1_b32 vcc_lo, exec_lo, s0
	s_cbranch_vccnz .LBB142_1646
; %bb.1645:
	s_wait_loadcnt 0x0
	v_cndmask_b32_e64 v2, 0, 1.0, s15
	s_delay_alu instid0(VALU_DEP_1)
	v_cvt_f16_f32_e32 v2, v2
	global_store_b16 v[0:1], v2, off
.LBB142_1646:
	s_mov_b32 s0, 0
.LBB142_1647:
	s_delay_alu instid0(SALU_CYCLE_1)
	s_and_not1_b32 vcc_lo, exec_lo, s0
	s_cbranch_vccnz .LBB142_1663
; %bb.1648:
	s_sext_i32_i16 s1, s17
	s_mov_b32 s0, -1
	s_cmp_lt_i32 s1, 2
	s_cbranch_scc1 .LBB142_1658
; %bb.1649:
	s_cmp_lt_i32 s1, 3
	s_cbranch_scc1 .LBB142_1655
; %bb.1650:
	s_cmp_gt_i32 s1, 3
	s_cbranch_scc0 .LBB142_1652
; %bb.1651:
	s_mov_b32 s0, 0
	s_wait_loadcnt 0x0
	v_cndmask_b32_e64 v2, 0, 1, s15
	v_mov_b32_e32 v3, s0
	global_store_b64 v[0:1], v[2:3], off
.LBB142_1652:
	s_and_not1_b32 vcc_lo, exec_lo, s0
	s_cbranch_vccnz .LBB142_1654
; %bb.1653:
	s_wait_loadcnt 0x0
	v_cndmask_b32_e64 v2, 0, 1, s15
	global_store_b32 v[0:1], v2, off
.LBB142_1654:
	s_mov_b32 s0, 0
.LBB142_1655:
	s_delay_alu instid0(SALU_CYCLE_1)
	s_and_not1_b32 vcc_lo, exec_lo, s0
	s_cbranch_vccnz .LBB142_1657
; %bb.1656:
	s_wait_loadcnt 0x0
	v_cndmask_b32_e64 v2, 0, 1, s15
	global_store_b16 v[0:1], v2, off
.LBB142_1657:
	s_mov_b32 s0, 0
.LBB142_1658:
	s_delay_alu instid0(SALU_CYCLE_1)
	s_and_not1_b32 vcc_lo, exec_lo, s0
	s_cbranch_vccnz .LBB142_1663
; %bb.1659:
	s_wait_loadcnt 0x0
	v_cndmask_b32_e64 v2, 0, 1, s15
	s_sext_i32_i16 s0, s17
	s_delay_alu instid0(SALU_CYCLE_1)
	s_cmp_gt_i32 s0, 0
	s_mov_b32 s0, -1
	s_cbranch_scc0 .LBB142_1661
; %bb.1660:
	s_mov_b32 s0, 0
	global_store_b8 v[0:1], v2, off
.LBB142_1661:
	s_and_not1_b32 vcc_lo, exec_lo, s0
	s_cbranch_vccnz .LBB142_1663
; %bb.1662:
	global_store_b8 v[0:1], v2, off
	s_endpgm
.LBB142_1663:
	s_endpgm
.LBB142_1664:
	s_mov_b32 s0, -1
                                        ; implicit-def: $sgpr15
.LBB142_1665:
	s_delay_alu instid0(SALU_CYCLE_1)
	s_and_not1_b32 vcc_lo, exec_lo, s0
	s_cbranch_vccnz .LBB142_1667
; %bb.1666:
	s_wait_loadcnt 0x0
	s_delay_alu instid0(VALU_DEP_1) | instskip(NEXT) | instid1(VALU_DEP_2)
	v_cmp_eq_f32_e32 vcc_lo, s13, v3
	v_cmp_eq_f32_e64 s0, s12, v2
	s_and_not1_b32 s2, s15, exec_lo
	s_and_b32 s0, s0, vcc_lo
	s_delay_alu instid0(SALU_CYCLE_1) | instskip(NEXT) | instid1(SALU_CYCLE_1)
	s_and_b32 s0, s0, exec_lo
	s_or_b32 s15, s2, s0
.LBB142_1667:
	s_wait_xcnt 0x0
	v_mul_lo_u32 v0, s8, v6
	s_and_b32 s17, s14, 0xff
	s_delay_alu instid0(SALU_CYCLE_1) | instskip(NEXT) | instid1(VALU_DEP_1)
	s_cmp_lt_i32 s17, 11
	v_ashrrev_i32_e32 v1, 31, v0
	s_wait_loadcnt 0x0
	s_delay_alu instid0(VALU_DEP_1)
	v_add_nc_u64_e32 v[2:3], s[4:5], v[0:1]
	s_cbranch_scc1 .LBB142_1745
; %bb.1668:
	s_and_b32 s2, 0xffff, s17
	s_mov_b32 s12, -1
	s_mov_b32 s6, 0
	s_cmp_gt_i32 s2, 25
	s_mov_b32 s7, 0
	s_mov_b32 s0, 0
	s_cbranch_scc0 .LBB142_1701
; %bb.1669:
	s_cmp_gt_i32 s2, 28
	s_cbranch_scc0 .LBB142_1684
; %bb.1670:
	s_cmp_gt_i32 s2, 43
	;; [unrolled: 3-line block ×3, first 2 shown]
	s_cbranch_scc0 .LBB142_1674
; %bb.1672:
	s_mov_b32 s0, -1
	s_mov_b32 s12, 0
	s_cmp_eq_u32 s2, 46
	s_cbranch_scc0 .LBB142_1674
; %bb.1673:
	v_cndmask_b32_e64 v1, 0, 1.0, s10
	s_mov_b32 s0, 0
	s_mov_b32 s7, -1
	s_delay_alu instid0(VALU_DEP_1) | instskip(NEXT) | instid1(VALU_DEP_1)
	v_bfe_u32 v4, v1, 16, 1
	v_add3_u32 v1, v1, v4, 0x7fff
	s_delay_alu instid0(VALU_DEP_1)
	v_lshrrev_b32_e32 v1, 16, v1
	global_store_b32 v[2:3], v1, off
.LBB142_1674:
	s_and_b32 vcc_lo, exec_lo, s12
	s_cbranch_vccz .LBB142_1679
; %bb.1675:
	s_cmp_eq_u32 s2, 44
	s_mov_b32 s0, -1
	s_cbranch_scc0 .LBB142_1679
; %bb.1676:
	v_cndmask_b32_e64 v5, 0, 1.0, s10
	s_mov_b32 s7, exec_lo
	s_wait_xcnt 0x0
	s_delay_alu instid0(VALU_DEP_1) | instskip(NEXT) | instid1(VALU_DEP_1)
	v_dual_mov_b32 v4, 0xff :: v_dual_lshrrev_b32 v1, 23, v5
	v_cmpx_ne_u32_e32 0xff, v1
; %bb.1677:
	v_and_b32_e32 v4, 0x400000, v5
	v_and_or_b32 v5, 0x3fffff, v5, v1
	s_delay_alu instid0(VALU_DEP_2) | instskip(NEXT) | instid1(VALU_DEP_2)
	v_cmp_ne_u32_e32 vcc_lo, 0, v4
	v_cmp_ne_u32_e64 s0, 0, v5
	s_and_b32 s0, vcc_lo, s0
	s_delay_alu instid0(SALU_CYCLE_1) | instskip(NEXT) | instid1(VALU_DEP_1)
	v_cndmask_b32_e64 v4, 0, 1, s0
	v_add_nc_u32_e32 v4, v1, v4
; %bb.1678:
	s_or_b32 exec_lo, exec_lo, s7
	s_mov_b32 s0, 0
	s_mov_b32 s7, -1
	global_store_b8 v[2:3], v4, off
.LBB142_1679:
	s_mov_b32 s12, 0
.LBB142_1680:
	s_delay_alu instid0(SALU_CYCLE_1)
	s_and_b32 vcc_lo, exec_lo, s12
	s_cbranch_vccz .LBB142_1683
; %bb.1681:
	s_cmp_eq_u32 s2, 29
	s_mov_b32 s0, -1
	s_cbranch_scc0 .LBB142_1683
; %bb.1682:
	s_mov_b32 s0, 0
	s_wait_xcnt 0x0
	v_cndmask_b32_e64 v4, 0, 1, s10
	v_mov_b32_e32 v5, s0
	s_mov_b32 s7, -1
	global_store_b64 v[2:3], v[4:5], off
.LBB142_1683:
	s_mov_b32 s12, 0
.LBB142_1684:
	s_delay_alu instid0(SALU_CYCLE_1)
	s_and_b32 vcc_lo, exec_lo, s12
	s_cbranch_vccz .LBB142_1700
; %bb.1685:
	s_cmp_lt_i32 s2, 27
	s_mov_b32 s7, -1
	s_cbranch_scc1 .LBB142_1691
; %bb.1686:
	s_cmp_gt_i32 s2, 27
	s_cbranch_scc0 .LBB142_1688
; %bb.1687:
	s_wait_xcnt 0x0
	v_cndmask_b32_e64 v1, 0, 1, s10
	s_mov_b32 s7, 0
	global_store_b32 v[2:3], v1, off
.LBB142_1688:
	s_and_not1_b32 vcc_lo, exec_lo, s7
	s_cbranch_vccnz .LBB142_1690
; %bb.1689:
	s_wait_xcnt 0x0
	v_cndmask_b32_e64 v1, 0, 1, s10
	global_store_b16 v[2:3], v1, off
.LBB142_1690:
	s_mov_b32 s7, 0
.LBB142_1691:
	s_delay_alu instid0(SALU_CYCLE_1)
	s_and_not1_b32 vcc_lo, exec_lo, s7
	s_cbranch_vccnz .LBB142_1699
; %bb.1692:
	s_wait_xcnt 0x0
	v_cndmask_b32_e64 v4, 0, 1.0, s10
	v_mov_b32_e32 v5, 0x80
	s_mov_b32 s7, exec_lo
	s_delay_alu instid0(VALU_DEP_2)
	v_cmpx_gt_u32_e32 0x43800000, v4
	s_cbranch_execz .LBB142_1698
; %bb.1693:
	s_mov_b32 s12, 0
	s_mov_b32 s13, exec_lo
                                        ; implicit-def: $vgpr1
	v_cmpx_lt_u32_e32 0x3bffffff, v4
	s_xor_b32 s13, exec_lo, s13
	s_cbranch_execz .LBB142_2102
; %bb.1694:
	v_bfe_u32 v1, v4, 20, 1
	s_mov_b32 s12, exec_lo
	s_delay_alu instid0(VALU_DEP_1) | instskip(NEXT) | instid1(VALU_DEP_1)
	v_add3_u32 v1, v4, v1, 0x487ffff
                                        ; implicit-def: $vgpr4
	v_lshrrev_b32_e32 v1, 20, v1
	s_and_not1_saveexec_b32 s13, s13
	s_cbranch_execnz .LBB142_2103
.LBB142_1695:
	s_or_b32 exec_lo, exec_lo, s13
	v_mov_b32_e32 v5, 0
	s_and_saveexec_b32 s13, s12
.LBB142_1696:
	v_mov_b32_e32 v5, v1
.LBB142_1697:
	s_or_b32 exec_lo, exec_lo, s13
.LBB142_1698:
	s_delay_alu instid0(SALU_CYCLE_1)
	s_or_b32 exec_lo, exec_lo, s7
	global_store_b8 v[2:3], v5, off
.LBB142_1699:
	s_mov_b32 s7, -1
.LBB142_1700:
	s_mov_b32 s12, 0
.LBB142_1701:
	s_delay_alu instid0(SALU_CYCLE_1)
	s_and_b32 vcc_lo, exec_lo, s12
	s_cbranch_vccz .LBB142_1741
; %bb.1702:
	s_cmp_gt_i32 s2, 22
	s_mov_b32 s6, -1
	s_cbranch_scc0 .LBB142_1734
; %bb.1703:
	s_cmp_lt_i32 s2, 24
	s_cbranch_scc1 .LBB142_1723
; %bb.1704:
	s_cmp_gt_i32 s2, 24
	s_cbranch_scc0 .LBB142_1712
; %bb.1705:
	s_wait_xcnt 0x0
	v_cndmask_b32_e64 v4, 0, 1.0, s10
	v_mov_b32_e32 v5, 0x80
	s_mov_b32 s6, exec_lo
	s_delay_alu instid0(VALU_DEP_2)
	v_cmpx_gt_u32_e32 0x47800000, v4
	s_cbranch_execz .LBB142_1711
; %bb.1706:
	s_mov_b32 s7, 0
	s_mov_b32 s12, exec_lo
                                        ; implicit-def: $vgpr1
	v_cmpx_lt_u32_e32 0x37ffffff, v4
	s_xor_b32 s12, exec_lo, s12
	s_cbranch_execz .LBB142_2105
; %bb.1707:
	v_bfe_u32 v1, v4, 21, 1
	s_mov_b32 s7, exec_lo
	s_delay_alu instid0(VALU_DEP_1) | instskip(NEXT) | instid1(VALU_DEP_1)
	v_add3_u32 v1, v4, v1, 0x88fffff
                                        ; implicit-def: $vgpr4
	v_lshrrev_b32_e32 v1, 21, v1
	s_and_not1_saveexec_b32 s12, s12
	s_cbranch_execnz .LBB142_2106
.LBB142_1708:
	s_or_b32 exec_lo, exec_lo, s12
	v_mov_b32_e32 v5, 0
	s_and_saveexec_b32 s12, s7
.LBB142_1709:
	v_mov_b32_e32 v5, v1
.LBB142_1710:
	s_or_b32 exec_lo, exec_lo, s12
.LBB142_1711:
	s_delay_alu instid0(SALU_CYCLE_1)
	s_or_b32 exec_lo, exec_lo, s6
	s_mov_b32 s6, 0
	global_store_b8 v[2:3], v5, off
.LBB142_1712:
	s_and_b32 vcc_lo, exec_lo, s6
	s_cbranch_vccz .LBB142_1722
; %bb.1713:
	s_wait_xcnt 0x0
	v_cndmask_b32_e64 v4, 0, 1.0, s10
	s_mov_b32 s6, exec_lo
                                        ; implicit-def: $vgpr1
	s_delay_alu instid0(VALU_DEP_1)
	v_cmpx_gt_u32_e32 0x43f00000, v4
	s_xor_b32 s6, exec_lo, s6
	s_cbranch_execz .LBB142_1719
; %bb.1714:
	s_mov_b32 s7, exec_lo
                                        ; implicit-def: $vgpr1
	v_cmpx_lt_u32_e32 0x3c7fffff, v4
	s_xor_b32 s7, exec_lo, s7
; %bb.1715:
	v_bfe_u32 v1, v4, 20, 1
	s_delay_alu instid0(VALU_DEP_1) | instskip(NEXT) | instid1(VALU_DEP_1)
	v_add3_u32 v1, v4, v1, 0x407ffff
	v_and_b32_e32 v4, 0xff00000, v1
	v_lshrrev_b32_e32 v1, 20, v1
	s_delay_alu instid0(VALU_DEP_2) | instskip(NEXT) | instid1(VALU_DEP_2)
	v_cmp_ne_u32_e32 vcc_lo, 0x7f00000, v4
                                        ; implicit-def: $vgpr4
	v_cndmask_b32_e32 v1, 0x7e, v1, vcc_lo
; %bb.1716:
	s_and_not1_saveexec_b32 s7, s7
; %bb.1717:
	v_add_f32_e32 v1, 0x46800000, v4
; %bb.1718:
	s_or_b32 exec_lo, exec_lo, s7
                                        ; implicit-def: $vgpr4
.LBB142_1719:
	s_and_not1_saveexec_b32 s6, s6
; %bb.1720:
	v_mov_b32_e32 v1, 0x7f
	v_cmp_lt_u32_e32 vcc_lo, 0x7f800000, v4
	s_delay_alu instid0(VALU_DEP_2)
	v_cndmask_b32_e32 v1, 0x7e, v1, vcc_lo
; %bb.1721:
	s_or_b32 exec_lo, exec_lo, s6
	global_store_b8 v[2:3], v1, off
.LBB142_1722:
	s_mov_b32 s6, 0
.LBB142_1723:
	s_delay_alu instid0(SALU_CYCLE_1)
	s_and_not1_b32 vcc_lo, exec_lo, s6
	s_cbranch_vccnz .LBB142_1733
; %bb.1724:
	s_wait_xcnt 0x0
	v_cndmask_b32_e64 v4, 0, 1.0, s10
	s_mov_b32 s6, exec_lo
                                        ; implicit-def: $vgpr1
	s_delay_alu instid0(VALU_DEP_1)
	v_cmpx_gt_u32_e32 0x47800000, v4
	s_xor_b32 s6, exec_lo, s6
	s_cbranch_execz .LBB142_1730
; %bb.1725:
	s_mov_b32 s7, exec_lo
                                        ; implicit-def: $vgpr1
	v_cmpx_lt_u32_e32 0x387fffff, v4
	s_xor_b32 s7, exec_lo, s7
; %bb.1726:
	v_bfe_u32 v1, v4, 21, 1
	s_delay_alu instid0(VALU_DEP_1) | instskip(NEXT) | instid1(VALU_DEP_1)
	v_add3_u32 v1, v4, v1, 0x80fffff
                                        ; implicit-def: $vgpr4
	v_lshrrev_b32_e32 v1, 21, v1
; %bb.1727:
	s_and_not1_saveexec_b32 s7, s7
; %bb.1728:
	v_add_f32_e32 v1, 0x43000000, v4
; %bb.1729:
	s_or_b32 exec_lo, exec_lo, s7
                                        ; implicit-def: $vgpr4
.LBB142_1730:
	s_and_not1_saveexec_b32 s6, s6
; %bb.1731:
	v_mov_b32_e32 v1, 0x7f
	v_cmp_lt_u32_e32 vcc_lo, 0x7f800000, v4
	s_delay_alu instid0(VALU_DEP_2)
	v_cndmask_b32_e32 v1, 0x7c, v1, vcc_lo
; %bb.1732:
	s_or_b32 exec_lo, exec_lo, s6
	global_store_b8 v[2:3], v1, off
.LBB142_1733:
	s_mov_b32 s6, 0
	s_mov_b32 s7, -1
.LBB142_1734:
	s_and_not1_b32 vcc_lo, exec_lo, s6
	s_mov_b32 s6, 0
	s_cbranch_vccnz .LBB142_1741
; %bb.1735:
	s_cmp_gt_i32 s2, 14
	s_mov_b32 s6, -1
	s_cbranch_scc0 .LBB142_1739
; %bb.1736:
	s_cmp_eq_u32 s2, 15
	s_mov_b32 s0, -1
	s_cbranch_scc0 .LBB142_1738
; %bb.1737:
	s_wait_xcnt 0x0
	v_cndmask_b32_e64 v1, 0, 1.0, s10
	s_mov_b32 s0, 0
	s_mov_b32 s7, -1
	s_delay_alu instid0(VALU_DEP_1) | instskip(NEXT) | instid1(VALU_DEP_1)
	v_bfe_u32 v4, v1, 16, 1
	v_add3_u32 v1, v1, v4, 0x7fff
	global_store_d16_hi_b16 v[2:3], v1, off
.LBB142_1738:
	s_mov_b32 s6, 0
.LBB142_1739:
	s_delay_alu instid0(SALU_CYCLE_1)
	s_and_b32 vcc_lo, exec_lo, s6
	s_mov_b32 s6, 0
	s_cbranch_vccz .LBB142_1741
; %bb.1740:
	s_cmp_lg_u32 s2, 11
	s_mov_b32 s6, -1
	s_cselect_b32 s0, -1, 0
.LBB142_1741:
	s_delay_alu instid0(SALU_CYCLE_1)
	s_and_b32 vcc_lo, exec_lo, s0
	s_cbranch_vccnz .LBB142_2104
; %bb.1742:
	s_and_not1_b32 vcc_lo, exec_lo, s6
	s_cbranch_vccnz .LBB142_1744
.LBB142_1743:
	s_wait_xcnt 0x0
	v_cndmask_b32_e64 v1, 0, 1, s10
	s_mov_b32 s7, -1
	global_store_b8 v[2:3], v1, off
.LBB142_1744:
	s_mov_b32 s0, 0
	s_branch .LBB142_1746
.LBB142_1745:
	s_mov_b32 s0, -1
	s_mov_b32 s7, 0
.LBB142_1746:
	s_and_b32 vcc_lo, exec_lo, s0
	s_cbranch_vccz .LBB142_1785
; %bb.1747:
	s_and_b32 s0, 0xffff, s17
	s_mov_b32 s2, -1
	s_cmp_lt_i32 s0, 5
	s_cbranch_scc1 .LBB142_1768
; %bb.1748:
	s_cmp_lt_i32 s0, 8
	s_cbranch_scc1 .LBB142_1758
; %bb.1749:
	;; [unrolled: 3-line block ×3, first 2 shown]
	s_cmp_gt_i32 s0, 9
	s_cbranch_scc0 .LBB142_1752
; %bb.1751:
	s_wait_xcnt 0x0
	v_cndmask_b32_e64 v1, 0, 1, s10
	v_mov_b32_e32 v6, 0
	s_mov_b32 s2, 0
	s_delay_alu instid0(VALU_DEP_2) | instskip(NEXT) | instid1(VALU_DEP_2)
	v_cvt_f64_u32_e32 v[4:5], v1
	v_mov_b32_e32 v7, v6
	global_store_b128 v[2:3], v[4:7], off
.LBB142_1752:
	s_and_not1_b32 vcc_lo, exec_lo, s2
	s_cbranch_vccnz .LBB142_1754
; %bb.1753:
	s_wait_xcnt 0x0
	v_cndmask_b32_e64 v4, 0, 1.0, s10
	v_mov_b32_e32 v5, 0
	global_store_b64 v[2:3], v[4:5], off
.LBB142_1754:
	s_mov_b32 s2, 0
.LBB142_1755:
	s_delay_alu instid0(SALU_CYCLE_1)
	s_and_not1_b32 vcc_lo, exec_lo, s2
	s_cbranch_vccnz .LBB142_1757
; %bb.1756:
	s_wait_xcnt 0x0
	v_cndmask_b32_e64 v1, 0, 1.0, s10
	s_delay_alu instid0(VALU_DEP_1) | instskip(NEXT) | instid1(VALU_DEP_1)
	v_cvt_f16_f32_e32 v1, v1
	v_and_b32_e32 v1, 0xffff, v1
	global_store_b32 v[2:3], v1, off
.LBB142_1757:
	s_mov_b32 s2, 0
.LBB142_1758:
	s_delay_alu instid0(SALU_CYCLE_1)
	s_and_not1_b32 vcc_lo, exec_lo, s2
	s_cbranch_vccnz .LBB142_1767
; %bb.1759:
	s_cmp_lt_i32 s0, 6
	s_mov_b32 s2, -1
	s_cbranch_scc1 .LBB142_1765
; %bb.1760:
	s_cmp_gt_i32 s0, 6
	s_cbranch_scc0 .LBB142_1762
; %bb.1761:
	s_wait_xcnt 0x0
	v_cndmask_b32_e64 v1, 0, 1, s10
	s_mov_b32 s2, 0
	s_delay_alu instid0(VALU_DEP_1)
	v_cvt_f64_u32_e32 v[4:5], v1
	global_store_b64 v[2:3], v[4:5], off
.LBB142_1762:
	s_and_not1_b32 vcc_lo, exec_lo, s2
	s_cbranch_vccnz .LBB142_1764
; %bb.1763:
	s_wait_xcnt 0x0
	v_cndmask_b32_e64 v1, 0, 1.0, s10
	global_store_b32 v[2:3], v1, off
.LBB142_1764:
	s_mov_b32 s2, 0
.LBB142_1765:
	s_delay_alu instid0(SALU_CYCLE_1)
	s_and_not1_b32 vcc_lo, exec_lo, s2
	s_cbranch_vccnz .LBB142_1767
; %bb.1766:
	s_wait_xcnt 0x0
	v_cndmask_b32_e64 v1, 0, 1.0, s10
	s_delay_alu instid0(VALU_DEP_1)
	v_cvt_f16_f32_e32 v1, v1
	global_store_b16 v[2:3], v1, off
.LBB142_1767:
	s_mov_b32 s2, 0
.LBB142_1768:
	s_delay_alu instid0(SALU_CYCLE_1)
	s_and_not1_b32 vcc_lo, exec_lo, s2
	s_cbranch_vccnz .LBB142_1784
; %bb.1769:
	s_cmp_lt_i32 s0, 2
	s_mov_b32 s2, -1
	s_cbranch_scc1 .LBB142_1779
; %bb.1770:
	s_cmp_lt_i32 s0, 3
	s_cbranch_scc1 .LBB142_1776
; %bb.1771:
	s_cmp_gt_i32 s0, 3
	s_cbranch_scc0 .LBB142_1773
; %bb.1772:
	s_mov_b32 s2, 0
	s_wait_xcnt 0x0
	v_cndmask_b32_e64 v4, 0, 1, s10
	v_mov_b32_e32 v5, s2
	global_store_b64 v[2:3], v[4:5], off
.LBB142_1773:
	s_and_not1_b32 vcc_lo, exec_lo, s2
	s_cbranch_vccnz .LBB142_1775
; %bb.1774:
	s_wait_xcnt 0x0
	v_cndmask_b32_e64 v1, 0, 1, s10
	global_store_b32 v[2:3], v1, off
.LBB142_1775:
	s_mov_b32 s2, 0
.LBB142_1776:
	s_delay_alu instid0(SALU_CYCLE_1)
	s_and_not1_b32 vcc_lo, exec_lo, s2
	s_cbranch_vccnz .LBB142_1778
; %bb.1777:
	s_wait_xcnt 0x0
	v_cndmask_b32_e64 v1, 0, 1, s10
	global_store_b16 v[2:3], v1, off
.LBB142_1778:
	s_mov_b32 s2, 0
.LBB142_1779:
	s_delay_alu instid0(SALU_CYCLE_1)
	s_and_not1_b32 vcc_lo, exec_lo, s2
	s_cbranch_vccnz .LBB142_1784
; %bb.1780:
	s_wait_xcnt 0x0
	v_cndmask_b32_e64 v1, 0, 1, s10
	s_cmp_gt_i32 s0, 0
	s_mov_b32 s0, -1
	s_cbranch_scc0 .LBB142_1782
; %bb.1781:
	s_mov_b32 s0, 0
	global_store_b8 v[2:3], v1, off
.LBB142_1782:
	s_and_not1_b32 vcc_lo, exec_lo, s0
	s_cbranch_vccnz .LBB142_1784
; %bb.1783:
	global_store_b8 v[2:3], v1, off
.LBB142_1784:
	s_mov_b32 s7, -1
.LBB142_1785:
	s_delay_alu instid0(SALU_CYCLE_1)
	s_and_not1_b32 vcc_lo, exec_lo, s7
	s_cbranch_vccnz .LBB142_2100
; %bb.1786:
	s_lshl_b32 s2, s8, 7
	s_cmp_lt_i32 s17, 11
	v_add_nc_u32_e32 v0, s2, v0
	s_wait_xcnt 0x0
	s_delay_alu instid0(VALU_DEP_1) | instskip(NEXT) | instid1(VALU_DEP_1)
	v_ashrrev_i32_e32 v1, 31, v0
	v_add_nc_u64_e32 v[2:3], s[4:5], v[0:1]
	s_cbranch_scc1 .LBB142_1864
; %bb.1787:
	s_and_b32 s6, 0xffff, s17
	s_mov_b32 s10, -1
	s_mov_b32 s7, 0
	s_cmp_gt_i32 s6, 25
	s_mov_b32 s8, 0
	s_mov_b32 s0, 0
	s_cbranch_scc0 .LBB142_1820
; %bb.1788:
	s_cmp_gt_i32 s6, 28
	s_cbranch_scc0 .LBB142_1803
; %bb.1789:
	s_cmp_gt_i32 s6, 43
	;; [unrolled: 3-line block ×3, first 2 shown]
	s_cbranch_scc0 .LBB142_1793
; %bb.1791:
	s_mov_b32 s0, -1
	s_mov_b32 s10, 0
	s_cmp_eq_u32 s6, 46
	s_cbranch_scc0 .LBB142_1793
; %bb.1792:
	v_cndmask_b32_e64 v1, 0, 1.0, s9
	s_mov_b32 s0, 0
	s_mov_b32 s8, -1
	s_delay_alu instid0(VALU_DEP_1) | instskip(NEXT) | instid1(VALU_DEP_1)
	v_bfe_u32 v4, v1, 16, 1
	v_add3_u32 v1, v1, v4, 0x7fff
	s_delay_alu instid0(VALU_DEP_1)
	v_lshrrev_b32_e32 v1, 16, v1
	global_store_b32 v[2:3], v1, off
.LBB142_1793:
	s_and_b32 vcc_lo, exec_lo, s10
	s_cbranch_vccz .LBB142_1798
; %bb.1794:
	s_cmp_eq_u32 s6, 44
	s_mov_b32 s0, -1
	s_cbranch_scc0 .LBB142_1798
; %bb.1795:
	v_cndmask_b32_e64 v5, 0, 1.0, s9
	s_mov_b32 s8, exec_lo
	s_wait_xcnt 0x0
	s_delay_alu instid0(VALU_DEP_1) | instskip(NEXT) | instid1(VALU_DEP_1)
	v_dual_mov_b32 v4, 0xff :: v_dual_lshrrev_b32 v1, 23, v5
	v_cmpx_ne_u32_e32 0xff, v1
; %bb.1796:
	v_and_b32_e32 v4, 0x400000, v5
	v_and_or_b32 v5, 0x3fffff, v5, v1
	s_delay_alu instid0(VALU_DEP_2) | instskip(NEXT) | instid1(VALU_DEP_2)
	v_cmp_ne_u32_e32 vcc_lo, 0, v4
	v_cmp_ne_u32_e64 s0, 0, v5
	s_and_b32 s0, vcc_lo, s0
	s_delay_alu instid0(SALU_CYCLE_1) | instskip(NEXT) | instid1(VALU_DEP_1)
	v_cndmask_b32_e64 v4, 0, 1, s0
	v_add_nc_u32_e32 v4, v1, v4
; %bb.1797:
	s_or_b32 exec_lo, exec_lo, s8
	s_mov_b32 s0, 0
	s_mov_b32 s8, -1
	global_store_b8 v[2:3], v4, off
.LBB142_1798:
	s_mov_b32 s10, 0
.LBB142_1799:
	s_delay_alu instid0(SALU_CYCLE_1)
	s_and_b32 vcc_lo, exec_lo, s10
	s_cbranch_vccz .LBB142_1802
; %bb.1800:
	s_cmp_eq_u32 s6, 29
	s_mov_b32 s0, -1
	s_cbranch_scc0 .LBB142_1802
; %bb.1801:
	s_mov_b32 s0, 0
	s_wait_xcnt 0x0
	v_cndmask_b32_e64 v4, 0, 1, s9
	v_mov_b32_e32 v5, s0
	s_mov_b32 s8, -1
	global_store_b64 v[2:3], v[4:5], off
.LBB142_1802:
	s_mov_b32 s10, 0
.LBB142_1803:
	s_delay_alu instid0(SALU_CYCLE_1)
	s_and_b32 vcc_lo, exec_lo, s10
	s_cbranch_vccz .LBB142_1819
; %bb.1804:
	s_cmp_lt_i32 s6, 27
	s_mov_b32 s8, -1
	s_cbranch_scc1 .LBB142_1810
; %bb.1805:
	s_cmp_gt_i32 s6, 27
	s_cbranch_scc0 .LBB142_1807
; %bb.1806:
	s_wait_xcnt 0x0
	v_cndmask_b32_e64 v1, 0, 1, s9
	s_mov_b32 s8, 0
	global_store_b32 v[2:3], v1, off
.LBB142_1807:
	s_and_not1_b32 vcc_lo, exec_lo, s8
	s_cbranch_vccnz .LBB142_1809
; %bb.1808:
	s_wait_xcnt 0x0
	v_cndmask_b32_e64 v1, 0, 1, s9
	global_store_b16 v[2:3], v1, off
.LBB142_1809:
	s_mov_b32 s8, 0
.LBB142_1810:
	s_delay_alu instid0(SALU_CYCLE_1)
	s_and_not1_b32 vcc_lo, exec_lo, s8
	s_cbranch_vccnz .LBB142_1818
; %bb.1811:
	s_wait_xcnt 0x0
	v_cndmask_b32_e64 v4, 0, 1.0, s9
	v_mov_b32_e32 v5, 0x80
	s_mov_b32 s8, exec_lo
	s_delay_alu instid0(VALU_DEP_2)
	v_cmpx_gt_u32_e32 0x43800000, v4
	s_cbranch_execz .LBB142_1817
; %bb.1812:
	s_mov_b32 s10, 0
	s_mov_b32 s12, exec_lo
                                        ; implicit-def: $vgpr1
	v_cmpx_lt_u32_e32 0x3bffffff, v4
	s_xor_b32 s12, exec_lo, s12
	s_cbranch_execz .LBB142_2107
; %bb.1813:
	v_bfe_u32 v1, v4, 20, 1
	s_mov_b32 s10, exec_lo
	s_delay_alu instid0(VALU_DEP_1) | instskip(NEXT) | instid1(VALU_DEP_1)
	v_add3_u32 v1, v4, v1, 0x487ffff
                                        ; implicit-def: $vgpr4
	v_lshrrev_b32_e32 v1, 20, v1
	s_and_not1_saveexec_b32 s12, s12
	s_cbranch_execnz .LBB142_2108
.LBB142_1814:
	s_or_b32 exec_lo, exec_lo, s12
	v_mov_b32_e32 v5, 0
	s_and_saveexec_b32 s12, s10
.LBB142_1815:
	v_mov_b32_e32 v5, v1
.LBB142_1816:
	s_or_b32 exec_lo, exec_lo, s12
.LBB142_1817:
	s_delay_alu instid0(SALU_CYCLE_1)
	s_or_b32 exec_lo, exec_lo, s8
	global_store_b8 v[2:3], v5, off
.LBB142_1818:
	s_mov_b32 s8, -1
.LBB142_1819:
	s_mov_b32 s10, 0
.LBB142_1820:
	s_delay_alu instid0(SALU_CYCLE_1)
	s_and_b32 vcc_lo, exec_lo, s10
	s_cbranch_vccz .LBB142_1860
; %bb.1821:
	s_cmp_gt_i32 s6, 22
	s_mov_b32 s7, -1
	s_cbranch_scc0 .LBB142_1853
; %bb.1822:
	s_cmp_lt_i32 s6, 24
	s_cbranch_scc1 .LBB142_1842
; %bb.1823:
	s_cmp_gt_i32 s6, 24
	s_cbranch_scc0 .LBB142_1831
; %bb.1824:
	s_wait_xcnt 0x0
	v_cndmask_b32_e64 v4, 0, 1.0, s9
	v_mov_b32_e32 v5, 0x80
	s_mov_b32 s7, exec_lo
	s_delay_alu instid0(VALU_DEP_2)
	v_cmpx_gt_u32_e32 0x47800000, v4
	s_cbranch_execz .LBB142_1830
; %bb.1825:
	s_mov_b32 s8, 0
	s_mov_b32 s10, exec_lo
                                        ; implicit-def: $vgpr1
	v_cmpx_lt_u32_e32 0x37ffffff, v4
	s_xor_b32 s10, exec_lo, s10
	s_cbranch_execz .LBB142_2110
; %bb.1826:
	v_bfe_u32 v1, v4, 21, 1
	s_mov_b32 s8, exec_lo
	s_delay_alu instid0(VALU_DEP_1) | instskip(NEXT) | instid1(VALU_DEP_1)
	v_add3_u32 v1, v4, v1, 0x88fffff
                                        ; implicit-def: $vgpr4
	v_lshrrev_b32_e32 v1, 21, v1
	s_and_not1_saveexec_b32 s10, s10
	s_cbranch_execnz .LBB142_2111
.LBB142_1827:
	s_or_b32 exec_lo, exec_lo, s10
	v_mov_b32_e32 v5, 0
	s_and_saveexec_b32 s10, s8
.LBB142_1828:
	v_mov_b32_e32 v5, v1
.LBB142_1829:
	s_or_b32 exec_lo, exec_lo, s10
.LBB142_1830:
	s_delay_alu instid0(SALU_CYCLE_1)
	s_or_b32 exec_lo, exec_lo, s7
	s_mov_b32 s7, 0
	global_store_b8 v[2:3], v5, off
.LBB142_1831:
	s_and_b32 vcc_lo, exec_lo, s7
	s_cbranch_vccz .LBB142_1841
; %bb.1832:
	s_wait_xcnt 0x0
	v_cndmask_b32_e64 v4, 0, 1.0, s9
	s_mov_b32 s7, exec_lo
                                        ; implicit-def: $vgpr1
	s_delay_alu instid0(VALU_DEP_1)
	v_cmpx_gt_u32_e32 0x43f00000, v4
	s_xor_b32 s7, exec_lo, s7
	s_cbranch_execz .LBB142_1838
; %bb.1833:
	s_mov_b32 s8, exec_lo
                                        ; implicit-def: $vgpr1
	v_cmpx_lt_u32_e32 0x3c7fffff, v4
	s_xor_b32 s8, exec_lo, s8
; %bb.1834:
	v_bfe_u32 v1, v4, 20, 1
	s_delay_alu instid0(VALU_DEP_1) | instskip(NEXT) | instid1(VALU_DEP_1)
	v_add3_u32 v1, v4, v1, 0x407ffff
	v_and_b32_e32 v4, 0xff00000, v1
	v_lshrrev_b32_e32 v1, 20, v1
	s_delay_alu instid0(VALU_DEP_2) | instskip(NEXT) | instid1(VALU_DEP_2)
	v_cmp_ne_u32_e32 vcc_lo, 0x7f00000, v4
                                        ; implicit-def: $vgpr4
	v_cndmask_b32_e32 v1, 0x7e, v1, vcc_lo
; %bb.1835:
	s_and_not1_saveexec_b32 s8, s8
; %bb.1836:
	v_add_f32_e32 v1, 0x46800000, v4
; %bb.1837:
	s_or_b32 exec_lo, exec_lo, s8
                                        ; implicit-def: $vgpr4
.LBB142_1838:
	s_and_not1_saveexec_b32 s7, s7
; %bb.1839:
	v_mov_b32_e32 v1, 0x7f
	v_cmp_lt_u32_e32 vcc_lo, 0x7f800000, v4
	s_delay_alu instid0(VALU_DEP_2)
	v_cndmask_b32_e32 v1, 0x7e, v1, vcc_lo
; %bb.1840:
	s_or_b32 exec_lo, exec_lo, s7
	global_store_b8 v[2:3], v1, off
.LBB142_1841:
	s_mov_b32 s7, 0
.LBB142_1842:
	s_delay_alu instid0(SALU_CYCLE_1)
	s_and_not1_b32 vcc_lo, exec_lo, s7
	s_cbranch_vccnz .LBB142_1852
; %bb.1843:
	s_wait_xcnt 0x0
	v_cndmask_b32_e64 v4, 0, 1.0, s9
	s_mov_b32 s7, exec_lo
                                        ; implicit-def: $vgpr1
	s_delay_alu instid0(VALU_DEP_1)
	v_cmpx_gt_u32_e32 0x47800000, v4
	s_xor_b32 s7, exec_lo, s7
	s_cbranch_execz .LBB142_1849
; %bb.1844:
	s_mov_b32 s8, exec_lo
                                        ; implicit-def: $vgpr1
	v_cmpx_lt_u32_e32 0x387fffff, v4
	s_xor_b32 s8, exec_lo, s8
; %bb.1845:
	v_bfe_u32 v1, v4, 21, 1
	s_delay_alu instid0(VALU_DEP_1) | instskip(NEXT) | instid1(VALU_DEP_1)
	v_add3_u32 v1, v4, v1, 0x80fffff
                                        ; implicit-def: $vgpr4
	v_lshrrev_b32_e32 v1, 21, v1
; %bb.1846:
	s_and_not1_saveexec_b32 s8, s8
; %bb.1847:
	v_add_f32_e32 v1, 0x43000000, v4
; %bb.1848:
	s_or_b32 exec_lo, exec_lo, s8
                                        ; implicit-def: $vgpr4
.LBB142_1849:
	s_and_not1_saveexec_b32 s7, s7
; %bb.1850:
	v_mov_b32_e32 v1, 0x7f
	v_cmp_lt_u32_e32 vcc_lo, 0x7f800000, v4
	s_delay_alu instid0(VALU_DEP_2)
	v_cndmask_b32_e32 v1, 0x7c, v1, vcc_lo
; %bb.1851:
	s_or_b32 exec_lo, exec_lo, s7
	global_store_b8 v[2:3], v1, off
.LBB142_1852:
	s_mov_b32 s7, 0
	s_mov_b32 s8, -1
.LBB142_1853:
	s_and_not1_b32 vcc_lo, exec_lo, s7
	s_mov_b32 s7, 0
	s_cbranch_vccnz .LBB142_1860
; %bb.1854:
	s_cmp_gt_i32 s6, 14
	s_mov_b32 s7, -1
	s_cbranch_scc0 .LBB142_1858
; %bb.1855:
	s_cmp_eq_u32 s6, 15
	s_mov_b32 s0, -1
	s_cbranch_scc0 .LBB142_1857
; %bb.1856:
	s_wait_xcnt 0x0
	v_cndmask_b32_e64 v1, 0, 1.0, s9
	s_mov_b32 s0, 0
	s_mov_b32 s8, -1
	s_delay_alu instid0(VALU_DEP_1) | instskip(NEXT) | instid1(VALU_DEP_1)
	v_bfe_u32 v4, v1, 16, 1
	v_add3_u32 v1, v1, v4, 0x7fff
	global_store_d16_hi_b16 v[2:3], v1, off
.LBB142_1857:
	s_mov_b32 s7, 0
.LBB142_1858:
	s_delay_alu instid0(SALU_CYCLE_1)
	s_and_b32 vcc_lo, exec_lo, s7
	s_mov_b32 s7, 0
	s_cbranch_vccz .LBB142_1860
; %bb.1859:
	s_cmp_lg_u32 s6, 11
	s_mov_b32 s7, -1
	s_cselect_b32 s0, -1, 0
.LBB142_1860:
	s_delay_alu instid0(SALU_CYCLE_1)
	s_and_b32 vcc_lo, exec_lo, s0
	s_cbranch_vccnz .LBB142_2109
; %bb.1861:
	s_and_not1_b32 vcc_lo, exec_lo, s7
	s_cbranch_vccnz .LBB142_1863
.LBB142_1862:
	s_wait_xcnt 0x0
	v_cndmask_b32_e64 v1, 0, 1, s9
	s_mov_b32 s8, -1
	global_store_b8 v[2:3], v1, off
.LBB142_1863:
	s_mov_b32 s0, 0
	s_branch .LBB142_1865
.LBB142_1864:
	s_mov_b32 s0, -1
	s_mov_b32 s8, 0
.LBB142_1865:
	s_and_b32 vcc_lo, exec_lo, s0
	s_cbranch_vccz .LBB142_1904
; %bb.1866:
	s_and_b32 s0, 0xffff, s17
	s_mov_b32 s6, -1
	s_cmp_lt_i32 s0, 5
	s_cbranch_scc1 .LBB142_1887
; %bb.1867:
	s_cmp_lt_i32 s0, 8
	s_cbranch_scc1 .LBB142_1877
; %bb.1868:
	;; [unrolled: 3-line block ×3, first 2 shown]
	s_cmp_gt_i32 s0, 9
	s_cbranch_scc0 .LBB142_1871
; %bb.1870:
	s_wait_xcnt 0x0
	v_cndmask_b32_e64 v1, 0, 1, s9
	v_mov_b32_e32 v6, 0
	s_mov_b32 s6, 0
	s_delay_alu instid0(VALU_DEP_2) | instskip(NEXT) | instid1(VALU_DEP_2)
	v_cvt_f64_u32_e32 v[4:5], v1
	v_mov_b32_e32 v7, v6
	global_store_b128 v[2:3], v[4:7], off
.LBB142_1871:
	s_and_not1_b32 vcc_lo, exec_lo, s6
	s_cbranch_vccnz .LBB142_1873
; %bb.1872:
	s_wait_xcnt 0x0
	v_cndmask_b32_e64 v4, 0, 1.0, s9
	v_mov_b32_e32 v5, 0
	global_store_b64 v[2:3], v[4:5], off
.LBB142_1873:
	s_mov_b32 s6, 0
.LBB142_1874:
	s_delay_alu instid0(SALU_CYCLE_1)
	s_and_not1_b32 vcc_lo, exec_lo, s6
	s_cbranch_vccnz .LBB142_1876
; %bb.1875:
	s_wait_xcnt 0x0
	v_cndmask_b32_e64 v1, 0, 1.0, s9
	s_delay_alu instid0(VALU_DEP_1) | instskip(NEXT) | instid1(VALU_DEP_1)
	v_cvt_f16_f32_e32 v1, v1
	v_and_b32_e32 v1, 0xffff, v1
	global_store_b32 v[2:3], v1, off
.LBB142_1876:
	s_mov_b32 s6, 0
.LBB142_1877:
	s_delay_alu instid0(SALU_CYCLE_1)
	s_and_not1_b32 vcc_lo, exec_lo, s6
	s_cbranch_vccnz .LBB142_1886
; %bb.1878:
	s_cmp_lt_i32 s0, 6
	s_mov_b32 s6, -1
	s_cbranch_scc1 .LBB142_1884
; %bb.1879:
	s_cmp_gt_i32 s0, 6
	s_cbranch_scc0 .LBB142_1881
; %bb.1880:
	s_wait_xcnt 0x0
	v_cndmask_b32_e64 v1, 0, 1, s9
	s_mov_b32 s6, 0
	s_delay_alu instid0(VALU_DEP_1)
	v_cvt_f64_u32_e32 v[4:5], v1
	global_store_b64 v[2:3], v[4:5], off
.LBB142_1881:
	s_and_not1_b32 vcc_lo, exec_lo, s6
	s_cbranch_vccnz .LBB142_1883
; %bb.1882:
	s_wait_xcnt 0x0
	v_cndmask_b32_e64 v1, 0, 1.0, s9
	global_store_b32 v[2:3], v1, off
.LBB142_1883:
	s_mov_b32 s6, 0
.LBB142_1884:
	s_delay_alu instid0(SALU_CYCLE_1)
	s_and_not1_b32 vcc_lo, exec_lo, s6
	s_cbranch_vccnz .LBB142_1886
; %bb.1885:
	s_wait_xcnt 0x0
	v_cndmask_b32_e64 v1, 0, 1.0, s9
	s_delay_alu instid0(VALU_DEP_1)
	v_cvt_f16_f32_e32 v1, v1
	global_store_b16 v[2:3], v1, off
.LBB142_1886:
	s_mov_b32 s6, 0
.LBB142_1887:
	s_delay_alu instid0(SALU_CYCLE_1)
	s_and_not1_b32 vcc_lo, exec_lo, s6
	s_cbranch_vccnz .LBB142_1903
; %bb.1888:
	s_cmp_lt_i32 s0, 2
	s_mov_b32 s6, -1
	s_cbranch_scc1 .LBB142_1898
; %bb.1889:
	s_cmp_lt_i32 s0, 3
	s_cbranch_scc1 .LBB142_1895
; %bb.1890:
	s_cmp_gt_i32 s0, 3
	s_cbranch_scc0 .LBB142_1892
; %bb.1891:
	s_mov_b32 s6, 0
	s_wait_xcnt 0x0
	v_cndmask_b32_e64 v4, 0, 1, s9
	v_mov_b32_e32 v5, s6
	global_store_b64 v[2:3], v[4:5], off
.LBB142_1892:
	s_and_not1_b32 vcc_lo, exec_lo, s6
	s_cbranch_vccnz .LBB142_1894
; %bb.1893:
	s_wait_xcnt 0x0
	v_cndmask_b32_e64 v1, 0, 1, s9
	global_store_b32 v[2:3], v1, off
.LBB142_1894:
	s_mov_b32 s6, 0
.LBB142_1895:
	s_delay_alu instid0(SALU_CYCLE_1)
	s_and_not1_b32 vcc_lo, exec_lo, s6
	s_cbranch_vccnz .LBB142_1897
; %bb.1896:
	s_wait_xcnt 0x0
	v_cndmask_b32_e64 v1, 0, 1, s9
	global_store_b16 v[2:3], v1, off
.LBB142_1897:
	s_mov_b32 s6, 0
.LBB142_1898:
	s_delay_alu instid0(SALU_CYCLE_1)
	s_and_not1_b32 vcc_lo, exec_lo, s6
	s_cbranch_vccnz .LBB142_1903
; %bb.1899:
	s_wait_xcnt 0x0
	v_cndmask_b32_e64 v1, 0, 1, s9
	s_cmp_gt_i32 s0, 0
	s_mov_b32 s0, -1
	s_cbranch_scc0 .LBB142_1901
; %bb.1900:
	s_mov_b32 s0, 0
	global_store_b8 v[2:3], v1, off
.LBB142_1901:
	s_and_not1_b32 vcc_lo, exec_lo, s0
	s_cbranch_vccnz .LBB142_1903
; %bb.1902:
	global_store_b8 v[2:3], v1, off
.LBB142_1903:
	s_mov_b32 s8, -1
.LBB142_1904:
	s_delay_alu instid0(SALU_CYCLE_1)
	s_and_not1_b32 vcc_lo, exec_lo, s8
	s_cbranch_vccnz .LBB142_2100
; %bb.1905:
	v_add_nc_u32_e32 v0, s2, v0
	s_cmp_lt_i32 s17, 11
	s_wait_xcnt 0x0
	s_delay_alu instid0(VALU_DEP_1) | instskip(NEXT) | instid1(VALU_DEP_1)
	v_ashrrev_i32_e32 v1, 31, v0
	v_add_nc_u64_e32 v[2:3], s[4:5], v[0:1]
	s_cbranch_scc1 .LBB142_1983
; %bb.1906:
	s_and_b32 s6, 0xffff, s17
	s_mov_b32 s9, -1
	s_mov_b32 s7, 0
	s_cmp_gt_i32 s6, 25
	s_mov_b32 s8, 0
	s_mov_b32 s0, 0
	s_cbranch_scc0 .LBB142_1939
; %bb.1907:
	s_cmp_gt_i32 s6, 28
	s_cbranch_scc0 .LBB142_1922
; %bb.1908:
	s_cmp_gt_i32 s6, 43
	;; [unrolled: 3-line block ×3, first 2 shown]
	s_cbranch_scc0 .LBB142_1912
; %bb.1910:
	s_mov_b32 s0, -1
	s_mov_b32 s9, 0
	s_cmp_eq_u32 s6, 46
	s_cbranch_scc0 .LBB142_1912
; %bb.1911:
	v_cndmask_b32_e64 v1, 0, 1.0, s16
	s_mov_b32 s0, 0
	s_mov_b32 s8, -1
	s_delay_alu instid0(VALU_DEP_1) | instskip(NEXT) | instid1(VALU_DEP_1)
	v_bfe_u32 v4, v1, 16, 1
	v_add3_u32 v1, v1, v4, 0x7fff
	s_delay_alu instid0(VALU_DEP_1)
	v_lshrrev_b32_e32 v1, 16, v1
	global_store_b32 v[2:3], v1, off
.LBB142_1912:
	s_and_b32 vcc_lo, exec_lo, s9
	s_cbranch_vccz .LBB142_1917
; %bb.1913:
	s_cmp_eq_u32 s6, 44
	s_mov_b32 s0, -1
	s_cbranch_scc0 .LBB142_1917
; %bb.1914:
	v_cndmask_b32_e64 v5, 0, 1.0, s16
	s_mov_b32 s8, exec_lo
	s_wait_xcnt 0x0
	s_delay_alu instid0(VALU_DEP_1) | instskip(NEXT) | instid1(VALU_DEP_1)
	v_dual_mov_b32 v4, 0xff :: v_dual_lshrrev_b32 v1, 23, v5
	v_cmpx_ne_u32_e32 0xff, v1
; %bb.1915:
	v_and_b32_e32 v4, 0x400000, v5
	v_and_or_b32 v5, 0x3fffff, v5, v1
	s_delay_alu instid0(VALU_DEP_2) | instskip(NEXT) | instid1(VALU_DEP_2)
	v_cmp_ne_u32_e32 vcc_lo, 0, v4
	v_cmp_ne_u32_e64 s0, 0, v5
	s_and_b32 s0, vcc_lo, s0
	s_delay_alu instid0(SALU_CYCLE_1) | instskip(NEXT) | instid1(VALU_DEP_1)
	v_cndmask_b32_e64 v4, 0, 1, s0
	v_add_nc_u32_e32 v4, v1, v4
; %bb.1916:
	s_or_b32 exec_lo, exec_lo, s8
	s_mov_b32 s0, 0
	s_mov_b32 s8, -1
	global_store_b8 v[2:3], v4, off
.LBB142_1917:
	s_mov_b32 s9, 0
.LBB142_1918:
	s_delay_alu instid0(SALU_CYCLE_1)
	s_and_b32 vcc_lo, exec_lo, s9
	s_cbranch_vccz .LBB142_1921
; %bb.1919:
	s_cmp_eq_u32 s6, 29
	s_mov_b32 s0, -1
	s_cbranch_scc0 .LBB142_1921
; %bb.1920:
	s_mov_b32 s0, 0
	s_wait_xcnt 0x0
	v_cndmask_b32_e64 v4, 0, 1, s16
	v_mov_b32_e32 v5, s0
	s_mov_b32 s8, -1
	global_store_b64 v[2:3], v[4:5], off
.LBB142_1921:
	s_mov_b32 s9, 0
.LBB142_1922:
	s_delay_alu instid0(SALU_CYCLE_1)
	s_and_b32 vcc_lo, exec_lo, s9
	s_cbranch_vccz .LBB142_1938
; %bb.1923:
	s_cmp_lt_i32 s6, 27
	s_mov_b32 s8, -1
	s_cbranch_scc1 .LBB142_1929
; %bb.1924:
	s_cmp_gt_i32 s6, 27
	s_cbranch_scc0 .LBB142_1926
; %bb.1925:
	s_wait_xcnt 0x0
	v_cndmask_b32_e64 v1, 0, 1, s16
	s_mov_b32 s8, 0
	global_store_b32 v[2:3], v1, off
.LBB142_1926:
	s_and_not1_b32 vcc_lo, exec_lo, s8
	s_cbranch_vccnz .LBB142_1928
; %bb.1927:
	s_wait_xcnt 0x0
	v_cndmask_b32_e64 v1, 0, 1, s16
	global_store_b16 v[2:3], v1, off
.LBB142_1928:
	s_mov_b32 s8, 0
.LBB142_1929:
	s_delay_alu instid0(SALU_CYCLE_1)
	s_and_not1_b32 vcc_lo, exec_lo, s8
	s_cbranch_vccnz .LBB142_1937
; %bb.1930:
	s_wait_xcnt 0x0
	v_cndmask_b32_e64 v4, 0, 1.0, s16
	v_mov_b32_e32 v5, 0x80
	s_mov_b32 s8, exec_lo
	s_delay_alu instid0(VALU_DEP_2)
	v_cmpx_gt_u32_e32 0x43800000, v4
	s_cbranch_execz .LBB142_1936
; %bb.1931:
	s_mov_b32 s9, 0
	s_mov_b32 s10, exec_lo
                                        ; implicit-def: $vgpr1
	v_cmpx_lt_u32_e32 0x3bffffff, v4
	s_xor_b32 s10, exec_lo, s10
	s_cbranch_execz .LBB142_2112
; %bb.1932:
	v_bfe_u32 v1, v4, 20, 1
	s_mov_b32 s9, exec_lo
	s_delay_alu instid0(VALU_DEP_1) | instskip(NEXT) | instid1(VALU_DEP_1)
	v_add3_u32 v1, v4, v1, 0x487ffff
                                        ; implicit-def: $vgpr4
	v_lshrrev_b32_e32 v1, 20, v1
	s_and_not1_saveexec_b32 s10, s10
	s_cbranch_execnz .LBB142_2113
.LBB142_1933:
	s_or_b32 exec_lo, exec_lo, s10
	v_mov_b32_e32 v5, 0
	s_and_saveexec_b32 s10, s9
.LBB142_1934:
	v_mov_b32_e32 v5, v1
.LBB142_1935:
	s_or_b32 exec_lo, exec_lo, s10
.LBB142_1936:
	s_delay_alu instid0(SALU_CYCLE_1)
	s_or_b32 exec_lo, exec_lo, s8
	global_store_b8 v[2:3], v5, off
.LBB142_1937:
	s_mov_b32 s8, -1
.LBB142_1938:
	s_mov_b32 s9, 0
.LBB142_1939:
	s_delay_alu instid0(SALU_CYCLE_1)
	s_and_b32 vcc_lo, exec_lo, s9
	s_cbranch_vccz .LBB142_1979
; %bb.1940:
	s_cmp_gt_i32 s6, 22
	s_mov_b32 s7, -1
	s_cbranch_scc0 .LBB142_1972
; %bb.1941:
	s_cmp_lt_i32 s6, 24
	s_cbranch_scc1 .LBB142_1961
; %bb.1942:
	s_cmp_gt_i32 s6, 24
	s_cbranch_scc0 .LBB142_1950
; %bb.1943:
	s_wait_xcnt 0x0
	v_cndmask_b32_e64 v4, 0, 1.0, s16
	v_mov_b32_e32 v5, 0x80
	s_mov_b32 s7, exec_lo
	s_delay_alu instid0(VALU_DEP_2)
	v_cmpx_gt_u32_e32 0x47800000, v4
	s_cbranch_execz .LBB142_1949
; %bb.1944:
	s_mov_b32 s8, 0
	s_mov_b32 s9, exec_lo
                                        ; implicit-def: $vgpr1
	v_cmpx_lt_u32_e32 0x37ffffff, v4
	s_xor_b32 s9, exec_lo, s9
	s_cbranch_execz .LBB142_2115
; %bb.1945:
	v_bfe_u32 v1, v4, 21, 1
	s_mov_b32 s8, exec_lo
	s_delay_alu instid0(VALU_DEP_1) | instskip(NEXT) | instid1(VALU_DEP_1)
	v_add3_u32 v1, v4, v1, 0x88fffff
                                        ; implicit-def: $vgpr4
	v_lshrrev_b32_e32 v1, 21, v1
	s_and_not1_saveexec_b32 s9, s9
	s_cbranch_execnz .LBB142_2116
.LBB142_1946:
	s_or_b32 exec_lo, exec_lo, s9
	v_mov_b32_e32 v5, 0
	s_and_saveexec_b32 s9, s8
.LBB142_1947:
	v_mov_b32_e32 v5, v1
.LBB142_1948:
	s_or_b32 exec_lo, exec_lo, s9
.LBB142_1949:
	s_delay_alu instid0(SALU_CYCLE_1)
	s_or_b32 exec_lo, exec_lo, s7
	s_mov_b32 s7, 0
	global_store_b8 v[2:3], v5, off
.LBB142_1950:
	s_and_b32 vcc_lo, exec_lo, s7
	s_cbranch_vccz .LBB142_1960
; %bb.1951:
	s_wait_xcnt 0x0
	v_cndmask_b32_e64 v4, 0, 1.0, s16
	s_mov_b32 s7, exec_lo
                                        ; implicit-def: $vgpr1
	s_delay_alu instid0(VALU_DEP_1)
	v_cmpx_gt_u32_e32 0x43f00000, v4
	s_xor_b32 s7, exec_lo, s7
	s_cbranch_execz .LBB142_1957
; %bb.1952:
	s_mov_b32 s8, exec_lo
                                        ; implicit-def: $vgpr1
	v_cmpx_lt_u32_e32 0x3c7fffff, v4
	s_xor_b32 s8, exec_lo, s8
; %bb.1953:
	v_bfe_u32 v1, v4, 20, 1
	s_delay_alu instid0(VALU_DEP_1) | instskip(NEXT) | instid1(VALU_DEP_1)
	v_add3_u32 v1, v4, v1, 0x407ffff
	v_and_b32_e32 v4, 0xff00000, v1
	v_lshrrev_b32_e32 v1, 20, v1
	s_delay_alu instid0(VALU_DEP_2) | instskip(NEXT) | instid1(VALU_DEP_2)
	v_cmp_ne_u32_e32 vcc_lo, 0x7f00000, v4
                                        ; implicit-def: $vgpr4
	v_cndmask_b32_e32 v1, 0x7e, v1, vcc_lo
; %bb.1954:
	s_and_not1_saveexec_b32 s8, s8
; %bb.1955:
	v_add_f32_e32 v1, 0x46800000, v4
; %bb.1956:
	s_or_b32 exec_lo, exec_lo, s8
                                        ; implicit-def: $vgpr4
.LBB142_1957:
	s_and_not1_saveexec_b32 s7, s7
; %bb.1958:
	v_mov_b32_e32 v1, 0x7f
	v_cmp_lt_u32_e32 vcc_lo, 0x7f800000, v4
	s_delay_alu instid0(VALU_DEP_2)
	v_cndmask_b32_e32 v1, 0x7e, v1, vcc_lo
; %bb.1959:
	s_or_b32 exec_lo, exec_lo, s7
	global_store_b8 v[2:3], v1, off
.LBB142_1960:
	s_mov_b32 s7, 0
.LBB142_1961:
	s_delay_alu instid0(SALU_CYCLE_1)
	s_and_not1_b32 vcc_lo, exec_lo, s7
	s_cbranch_vccnz .LBB142_1971
; %bb.1962:
	s_wait_xcnt 0x0
	v_cndmask_b32_e64 v4, 0, 1.0, s16
	s_mov_b32 s7, exec_lo
                                        ; implicit-def: $vgpr1
	s_delay_alu instid0(VALU_DEP_1)
	v_cmpx_gt_u32_e32 0x47800000, v4
	s_xor_b32 s7, exec_lo, s7
	s_cbranch_execz .LBB142_1968
; %bb.1963:
	s_mov_b32 s8, exec_lo
                                        ; implicit-def: $vgpr1
	v_cmpx_lt_u32_e32 0x387fffff, v4
	s_xor_b32 s8, exec_lo, s8
; %bb.1964:
	v_bfe_u32 v1, v4, 21, 1
	s_delay_alu instid0(VALU_DEP_1) | instskip(NEXT) | instid1(VALU_DEP_1)
	v_add3_u32 v1, v4, v1, 0x80fffff
                                        ; implicit-def: $vgpr4
	v_lshrrev_b32_e32 v1, 21, v1
; %bb.1965:
	s_and_not1_saveexec_b32 s8, s8
; %bb.1966:
	v_add_f32_e32 v1, 0x43000000, v4
; %bb.1967:
	s_or_b32 exec_lo, exec_lo, s8
                                        ; implicit-def: $vgpr4
.LBB142_1968:
	s_and_not1_saveexec_b32 s7, s7
; %bb.1969:
	v_mov_b32_e32 v1, 0x7f
	v_cmp_lt_u32_e32 vcc_lo, 0x7f800000, v4
	s_delay_alu instid0(VALU_DEP_2)
	v_cndmask_b32_e32 v1, 0x7c, v1, vcc_lo
; %bb.1970:
	s_or_b32 exec_lo, exec_lo, s7
	global_store_b8 v[2:3], v1, off
.LBB142_1971:
	s_mov_b32 s7, 0
	s_mov_b32 s8, -1
.LBB142_1972:
	s_and_not1_b32 vcc_lo, exec_lo, s7
	s_mov_b32 s7, 0
	s_cbranch_vccnz .LBB142_1979
; %bb.1973:
	s_cmp_gt_i32 s6, 14
	s_mov_b32 s7, -1
	s_cbranch_scc0 .LBB142_1977
; %bb.1974:
	s_cmp_eq_u32 s6, 15
	s_mov_b32 s0, -1
	s_cbranch_scc0 .LBB142_1976
; %bb.1975:
	s_wait_xcnt 0x0
	v_cndmask_b32_e64 v1, 0, 1.0, s16
	s_mov_b32 s0, 0
	s_mov_b32 s8, -1
	s_delay_alu instid0(VALU_DEP_1) | instskip(NEXT) | instid1(VALU_DEP_1)
	v_bfe_u32 v4, v1, 16, 1
	v_add3_u32 v1, v1, v4, 0x7fff
	global_store_d16_hi_b16 v[2:3], v1, off
.LBB142_1976:
	s_mov_b32 s7, 0
.LBB142_1977:
	s_delay_alu instid0(SALU_CYCLE_1)
	s_and_b32 vcc_lo, exec_lo, s7
	s_mov_b32 s7, 0
	s_cbranch_vccz .LBB142_1979
; %bb.1978:
	s_cmp_lg_u32 s6, 11
	s_mov_b32 s7, -1
	s_cselect_b32 s0, -1, 0
.LBB142_1979:
	s_delay_alu instid0(SALU_CYCLE_1)
	s_and_b32 vcc_lo, exec_lo, s0
	s_cbranch_vccnz .LBB142_2114
; %bb.1980:
	s_and_not1_b32 vcc_lo, exec_lo, s7
	s_cbranch_vccnz .LBB142_1982
.LBB142_1981:
	s_wait_xcnt 0x0
	v_cndmask_b32_e64 v1, 0, 1, s16
	s_mov_b32 s8, -1
	global_store_b8 v[2:3], v1, off
.LBB142_1982:
	s_mov_b32 s0, 0
	s_branch .LBB142_1984
.LBB142_1983:
	s_mov_b32 s0, -1
	s_mov_b32 s8, 0
.LBB142_1984:
	s_and_b32 vcc_lo, exec_lo, s0
	s_cbranch_vccz .LBB142_2023
; %bb.1985:
	s_and_b32 s0, 0xffff, s17
	s_mov_b32 s6, -1
	s_cmp_lt_i32 s0, 5
	s_cbranch_scc1 .LBB142_2006
; %bb.1986:
	s_cmp_lt_i32 s0, 8
	s_cbranch_scc1 .LBB142_1996
; %bb.1987:
	;; [unrolled: 3-line block ×3, first 2 shown]
	s_cmp_gt_i32 s0, 9
	s_cbranch_scc0 .LBB142_1990
; %bb.1989:
	s_wait_xcnt 0x0
	v_cndmask_b32_e64 v1, 0, 1, s16
	v_mov_b32_e32 v6, 0
	s_mov_b32 s6, 0
	s_delay_alu instid0(VALU_DEP_2) | instskip(NEXT) | instid1(VALU_DEP_2)
	v_cvt_f64_u32_e32 v[4:5], v1
	v_mov_b32_e32 v7, v6
	global_store_b128 v[2:3], v[4:7], off
.LBB142_1990:
	s_and_not1_b32 vcc_lo, exec_lo, s6
	s_cbranch_vccnz .LBB142_1992
; %bb.1991:
	s_wait_xcnt 0x0
	v_cndmask_b32_e64 v4, 0, 1.0, s16
	v_mov_b32_e32 v5, 0
	global_store_b64 v[2:3], v[4:5], off
.LBB142_1992:
	s_mov_b32 s6, 0
.LBB142_1993:
	s_delay_alu instid0(SALU_CYCLE_1)
	s_and_not1_b32 vcc_lo, exec_lo, s6
	s_cbranch_vccnz .LBB142_1995
; %bb.1994:
	s_wait_xcnt 0x0
	v_cndmask_b32_e64 v1, 0, 1.0, s16
	s_delay_alu instid0(VALU_DEP_1) | instskip(NEXT) | instid1(VALU_DEP_1)
	v_cvt_f16_f32_e32 v1, v1
	v_and_b32_e32 v1, 0xffff, v1
	global_store_b32 v[2:3], v1, off
.LBB142_1995:
	s_mov_b32 s6, 0
.LBB142_1996:
	s_delay_alu instid0(SALU_CYCLE_1)
	s_and_not1_b32 vcc_lo, exec_lo, s6
	s_cbranch_vccnz .LBB142_2005
; %bb.1997:
	s_cmp_lt_i32 s0, 6
	s_mov_b32 s6, -1
	s_cbranch_scc1 .LBB142_2003
; %bb.1998:
	s_cmp_gt_i32 s0, 6
	s_cbranch_scc0 .LBB142_2000
; %bb.1999:
	s_wait_xcnt 0x0
	v_cndmask_b32_e64 v1, 0, 1, s16
	s_mov_b32 s6, 0
	s_delay_alu instid0(VALU_DEP_1)
	v_cvt_f64_u32_e32 v[4:5], v1
	global_store_b64 v[2:3], v[4:5], off
.LBB142_2000:
	s_and_not1_b32 vcc_lo, exec_lo, s6
	s_cbranch_vccnz .LBB142_2002
; %bb.2001:
	s_wait_xcnt 0x0
	v_cndmask_b32_e64 v1, 0, 1.0, s16
	global_store_b32 v[2:3], v1, off
.LBB142_2002:
	s_mov_b32 s6, 0
.LBB142_2003:
	s_delay_alu instid0(SALU_CYCLE_1)
	s_and_not1_b32 vcc_lo, exec_lo, s6
	s_cbranch_vccnz .LBB142_2005
; %bb.2004:
	s_wait_xcnt 0x0
	v_cndmask_b32_e64 v1, 0, 1.0, s16
	s_delay_alu instid0(VALU_DEP_1)
	v_cvt_f16_f32_e32 v1, v1
	global_store_b16 v[2:3], v1, off
.LBB142_2005:
	s_mov_b32 s6, 0
.LBB142_2006:
	s_delay_alu instid0(SALU_CYCLE_1)
	s_and_not1_b32 vcc_lo, exec_lo, s6
	s_cbranch_vccnz .LBB142_2022
; %bb.2007:
	s_cmp_lt_i32 s0, 2
	s_mov_b32 s6, -1
	s_cbranch_scc1 .LBB142_2017
; %bb.2008:
	s_cmp_lt_i32 s0, 3
	s_cbranch_scc1 .LBB142_2014
; %bb.2009:
	s_cmp_gt_i32 s0, 3
	s_cbranch_scc0 .LBB142_2011
; %bb.2010:
	s_mov_b32 s6, 0
	s_wait_xcnt 0x0
	v_cndmask_b32_e64 v4, 0, 1, s16
	v_mov_b32_e32 v5, s6
	global_store_b64 v[2:3], v[4:5], off
.LBB142_2011:
	s_and_not1_b32 vcc_lo, exec_lo, s6
	s_cbranch_vccnz .LBB142_2013
; %bb.2012:
	s_wait_xcnt 0x0
	v_cndmask_b32_e64 v1, 0, 1, s16
	global_store_b32 v[2:3], v1, off
.LBB142_2013:
	s_mov_b32 s6, 0
.LBB142_2014:
	s_delay_alu instid0(SALU_CYCLE_1)
	s_and_not1_b32 vcc_lo, exec_lo, s6
	s_cbranch_vccnz .LBB142_2016
; %bb.2015:
	s_wait_xcnt 0x0
	v_cndmask_b32_e64 v1, 0, 1, s16
	global_store_b16 v[2:3], v1, off
.LBB142_2016:
	s_mov_b32 s6, 0
.LBB142_2017:
	s_delay_alu instid0(SALU_CYCLE_1)
	s_and_not1_b32 vcc_lo, exec_lo, s6
	s_cbranch_vccnz .LBB142_2022
; %bb.2018:
	s_wait_xcnt 0x0
	v_cndmask_b32_e64 v1, 0, 1, s16
	s_cmp_gt_i32 s0, 0
	s_mov_b32 s0, -1
	s_cbranch_scc0 .LBB142_2020
; %bb.2019:
	s_mov_b32 s0, 0
	global_store_b8 v[2:3], v1, off
.LBB142_2020:
	s_and_not1_b32 vcc_lo, exec_lo, s0
	s_cbranch_vccnz .LBB142_2022
; %bb.2021:
	global_store_b8 v[2:3], v1, off
.LBB142_2022:
	s_mov_b32 s8, -1
.LBB142_2023:
	s_delay_alu instid0(SALU_CYCLE_1)
	s_and_not1_b32 vcc_lo, exec_lo, s8
	s_cbranch_vccnz .LBB142_2100
; %bb.2024:
	v_add_nc_u32_e32 v0, s2, v0
	s_cmp_lt_i32 s17, 11
	s_wait_xcnt 0x0
	s_delay_alu instid0(VALU_DEP_1) | instskip(NEXT) | instid1(VALU_DEP_1)
	v_ashrrev_i32_e32 v1, 31, v0
	v_add_nc_u64_e32 v[0:1], s[4:5], v[0:1]
	s_cbranch_scc1 .LBB142_2101
; %bb.2025:
	s_and_b32 s2, 0xffff, s17
	s_mov_b32 s5, -1
	s_mov_b32 s4, 0
	s_cmp_gt_i32 s2, 25
	s_mov_b32 s0, 0
	s_cbranch_scc0 .LBB142_2058
; %bb.2026:
	s_cmp_gt_i32 s2, 28
	s_cbranch_scc0 .LBB142_2042
; %bb.2027:
	s_cmp_gt_i32 s2, 43
	s_cbranch_scc0 .LBB142_2038
; %bb.2028:
	s_cmp_gt_i32 s2, 45
	s_cbranch_scc0 .LBB142_2032
; %bb.2029:
	s_cmp_eq_u32 s2, 46
	s_mov_b32 s0, -1
	s_cbranch_scc0 .LBB142_2031
; %bb.2030:
	v_cndmask_b32_e64 v2, 0, 1.0, s15
	s_mov_b32 s0, 0
	s_delay_alu instid0(VALU_DEP_1) | instskip(NEXT) | instid1(VALU_DEP_1)
	v_bfe_u32 v3, v2, 16, 1
	v_add3_u32 v2, v2, v3, 0x7fff
	s_delay_alu instid0(VALU_DEP_1)
	v_lshrrev_b32_e32 v2, 16, v2
	global_store_b32 v[0:1], v2, off
.LBB142_2031:
	s_mov_b32 s5, 0
.LBB142_2032:
	s_delay_alu instid0(SALU_CYCLE_1)
	s_and_b32 vcc_lo, exec_lo, s5
	s_cbranch_vccz .LBB142_2037
; %bb.2033:
	s_cmp_eq_u32 s2, 44
	s_mov_b32 s0, -1
	s_cbranch_scc0 .LBB142_2037
; %bb.2034:
	v_cndmask_b32_e64 v4, 0, 1.0, s15
	s_mov_b32 s5, exec_lo
	s_wait_xcnt 0x0
	s_delay_alu instid0(VALU_DEP_1) | instskip(NEXT) | instid1(VALU_DEP_1)
	v_dual_mov_b32 v3, 0xff :: v_dual_lshrrev_b32 v2, 23, v4
	v_cmpx_ne_u32_e32 0xff, v2
; %bb.2035:
	v_and_b32_e32 v3, 0x400000, v4
	v_and_or_b32 v4, 0x3fffff, v4, v2
	s_delay_alu instid0(VALU_DEP_2) | instskip(NEXT) | instid1(VALU_DEP_2)
	v_cmp_ne_u32_e32 vcc_lo, 0, v3
	v_cmp_ne_u32_e64 s0, 0, v4
	s_and_b32 s0, vcc_lo, s0
	s_delay_alu instid0(SALU_CYCLE_1) | instskip(NEXT) | instid1(VALU_DEP_1)
	v_cndmask_b32_e64 v3, 0, 1, s0
	v_add_nc_u32_e32 v3, v2, v3
; %bb.2036:
	s_or_b32 exec_lo, exec_lo, s5
	s_mov_b32 s0, 0
	global_store_b8 v[0:1], v3, off
.LBB142_2037:
	s_mov_b32 s5, 0
.LBB142_2038:
	s_delay_alu instid0(SALU_CYCLE_1)
	s_and_b32 vcc_lo, exec_lo, s5
	s_cbranch_vccz .LBB142_2041
; %bb.2039:
	s_cmp_eq_u32 s2, 29
	s_mov_b32 s0, -1
	s_cbranch_scc0 .LBB142_2041
; %bb.2040:
	s_mov_b32 s0, 0
	s_wait_xcnt 0x0
	v_cndmask_b32_e64 v2, 0, 1, s15
	v_mov_b32_e32 v3, s0
	global_store_b64 v[0:1], v[2:3], off
.LBB142_2041:
	s_mov_b32 s5, 0
.LBB142_2042:
	s_delay_alu instid0(SALU_CYCLE_1)
	s_and_b32 vcc_lo, exec_lo, s5
	s_cbranch_vccz .LBB142_2057
; %bb.2043:
	s_cmp_lt_i32 s2, 27
	s_mov_b32 s5, -1
	s_cbranch_scc1 .LBB142_2049
; %bb.2044:
	s_wait_xcnt 0x0
	v_cndmask_b32_e64 v2, 0, 1, s15
	s_cmp_gt_i32 s2, 27
	s_cbranch_scc0 .LBB142_2046
; %bb.2045:
	s_mov_b32 s5, 0
	global_store_b32 v[0:1], v2, off
.LBB142_2046:
	s_and_not1_b32 vcc_lo, exec_lo, s5
	s_cbranch_vccnz .LBB142_2048
; %bb.2047:
	global_store_b16 v[0:1], v2, off
.LBB142_2048:
	s_mov_b32 s5, 0
.LBB142_2049:
	s_delay_alu instid0(SALU_CYCLE_1)
	s_and_not1_b32 vcc_lo, exec_lo, s5
	s_cbranch_vccnz .LBB142_2057
; %bb.2050:
	s_wait_xcnt 0x0
	v_cndmask_b32_e64 v3, 0, 1.0, s15
	v_mov_b32_e32 v4, 0x80
	s_mov_b32 s5, exec_lo
	s_delay_alu instid0(VALU_DEP_2)
	v_cmpx_gt_u32_e32 0x43800000, v3
	s_cbranch_execz .LBB142_2056
; %bb.2051:
	s_mov_b32 s6, 0
	s_mov_b32 s7, exec_lo
                                        ; implicit-def: $vgpr2
	v_cmpx_lt_u32_e32 0x3bffffff, v3
	s_xor_b32 s7, exec_lo, s7
	s_cbranch_execz .LBB142_2117
; %bb.2052:
	v_bfe_u32 v2, v3, 20, 1
	s_mov_b32 s6, exec_lo
	s_delay_alu instid0(VALU_DEP_1) | instskip(NEXT) | instid1(VALU_DEP_1)
	v_add3_u32 v2, v3, v2, 0x487ffff
                                        ; implicit-def: $vgpr3
	v_lshrrev_b32_e32 v2, 20, v2
	s_and_not1_saveexec_b32 s7, s7
	s_cbranch_execnz .LBB142_2118
.LBB142_2053:
	s_or_b32 exec_lo, exec_lo, s7
	v_mov_b32_e32 v4, 0
	s_and_saveexec_b32 s7, s6
.LBB142_2054:
	v_mov_b32_e32 v4, v2
.LBB142_2055:
	s_or_b32 exec_lo, exec_lo, s7
.LBB142_2056:
	s_delay_alu instid0(SALU_CYCLE_1)
	s_or_b32 exec_lo, exec_lo, s5
	global_store_b8 v[0:1], v4, off
.LBB142_2057:
	s_mov_b32 s5, 0
.LBB142_2058:
	s_delay_alu instid0(SALU_CYCLE_1)
	s_and_b32 vcc_lo, exec_lo, s5
	s_cbranch_vccz .LBB142_2098
; %bb.2059:
	s_cmp_gt_i32 s2, 22
	s_mov_b32 s4, -1
	s_cbranch_scc0 .LBB142_2091
; %bb.2060:
	s_cmp_lt_i32 s2, 24
	s_cbranch_scc1 .LBB142_2080
; %bb.2061:
	s_cmp_gt_i32 s2, 24
	s_cbranch_scc0 .LBB142_2069
; %bb.2062:
	s_wait_xcnt 0x0
	v_cndmask_b32_e64 v3, 0, 1.0, s15
	v_mov_b32_e32 v4, 0x80
	s_mov_b32 s4, exec_lo
	s_delay_alu instid0(VALU_DEP_2)
	v_cmpx_gt_u32_e32 0x47800000, v3
	s_cbranch_execz .LBB142_2068
; %bb.2063:
	s_mov_b32 s5, 0
	s_mov_b32 s6, exec_lo
                                        ; implicit-def: $vgpr2
	v_cmpx_lt_u32_e32 0x37ffffff, v3
	s_xor_b32 s6, exec_lo, s6
	s_cbranch_execz .LBB142_2120
; %bb.2064:
	v_bfe_u32 v2, v3, 21, 1
	s_mov_b32 s5, exec_lo
	s_delay_alu instid0(VALU_DEP_1) | instskip(NEXT) | instid1(VALU_DEP_1)
	v_add3_u32 v2, v3, v2, 0x88fffff
                                        ; implicit-def: $vgpr3
	v_lshrrev_b32_e32 v2, 21, v2
	s_and_not1_saveexec_b32 s6, s6
	s_cbranch_execnz .LBB142_2121
.LBB142_2065:
	s_or_b32 exec_lo, exec_lo, s6
	v_mov_b32_e32 v4, 0
	s_and_saveexec_b32 s6, s5
.LBB142_2066:
	v_mov_b32_e32 v4, v2
.LBB142_2067:
	s_or_b32 exec_lo, exec_lo, s6
.LBB142_2068:
	s_delay_alu instid0(SALU_CYCLE_1)
	s_or_b32 exec_lo, exec_lo, s4
	s_mov_b32 s4, 0
	global_store_b8 v[0:1], v4, off
.LBB142_2069:
	s_and_b32 vcc_lo, exec_lo, s4
	s_cbranch_vccz .LBB142_2079
; %bb.2070:
	s_wait_xcnt 0x0
	v_cndmask_b32_e64 v3, 0, 1.0, s15
	s_mov_b32 s4, exec_lo
                                        ; implicit-def: $vgpr2
	s_delay_alu instid0(VALU_DEP_1)
	v_cmpx_gt_u32_e32 0x43f00000, v3
	s_xor_b32 s4, exec_lo, s4
	s_cbranch_execz .LBB142_2076
; %bb.2071:
	s_mov_b32 s5, exec_lo
                                        ; implicit-def: $vgpr2
	v_cmpx_lt_u32_e32 0x3c7fffff, v3
	s_xor_b32 s5, exec_lo, s5
; %bb.2072:
	v_bfe_u32 v2, v3, 20, 1
	s_delay_alu instid0(VALU_DEP_1) | instskip(NEXT) | instid1(VALU_DEP_1)
	v_add3_u32 v2, v3, v2, 0x407ffff
	v_and_b32_e32 v3, 0xff00000, v2
	v_lshrrev_b32_e32 v2, 20, v2
	s_delay_alu instid0(VALU_DEP_2) | instskip(NEXT) | instid1(VALU_DEP_2)
	v_cmp_ne_u32_e32 vcc_lo, 0x7f00000, v3
                                        ; implicit-def: $vgpr3
	v_cndmask_b32_e32 v2, 0x7e, v2, vcc_lo
; %bb.2073:
	s_and_not1_saveexec_b32 s5, s5
; %bb.2074:
	v_add_f32_e32 v2, 0x46800000, v3
; %bb.2075:
	s_or_b32 exec_lo, exec_lo, s5
                                        ; implicit-def: $vgpr3
.LBB142_2076:
	s_and_not1_saveexec_b32 s4, s4
; %bb.2077:
	v_mov_b32_e32 v2, 0x7f
	v_cmp_lt_u32_e32 vcc_lo, 0x7f800000, v3
	s_delay_alu instid0(VALU_DEP_2)
	v_cndmask_b32_e32 v2, 0x7e, v2, vcc_lo
; %bb.2078:
	s_or_b32 exec_lo, exec_lo, s4
	global_store_b8 v[0:1], v2, off
.LBB142_2079:
	s_mov_b32 s4, 0
.LBB142_2080:
	s_delay_alu instid0(SALU_CYCLE_1)
	s_and_not1_b32 vcc_lo, exec_lo, s4
	s_cbranch_vccnz .LBB142_2090
; %bb.2081:
	s_wait_xcnt 0x0
	v_cndmask_b32_e64 v3, 0, 1.0, s15
	s_mov_b32 s4, exec_lo
                                        ; implicit-def: $vgpr2
	s_delay_alu instid0(VALU_DEP_1)
	v_cmpx_gt_u32_e32 0x47800000, v3
	s_xor_b32 s4, exec_lo, s4
	s_cbranch_execz .LBB142_2087
; %bb.2082:
	s_mov_b32 s5, exec_lo
                                        ; implicit-def: $vgpr2
	v_cmpx_lt_u32_e32 0x387fffff, v3
	s_xor_b32 s5, exec_lo, s5
; %bb.2083:
	v_bfe_u32 v2, v3, 21, 1
	s_delay_alu instid0(VALU_DEP_1) | instskip(NEXT) | instid1(VALU_DEP_1)
	v_add3_u32 v2, v3, v2, 0x80fffff
                                        ; implicit-def: $vgpr3
	v_lshrrev_b32_e32 v2, 21, v2
; %bb.2084:
	s_and_not1_saveexec_b32 s5, s5
; %bb.2085:
	v_add_f32_e32 v2, 0x43000000, v3
; %bb.2086:
	s_or_b32 exec_lo, exec_lo, s5
                                        ; implicit-def: $vgpr3
.LBB142_2087:
	s_and_not1_saveexec_b32 s4, s4
; %bb.2088:
	v_mov_b32_e32 v2, 0x7f
	v_cmp_lt_u32_e32 vcc_lo, 0x7f800000, v3
	s_delay_alu instid0(VALU_DEP_2)
	v_cndmask_b32_e32 v2, 0x7c, v2, vcc_lo
; %bb.2089:
	s_or_b32 exec_lo, exec_lo, s4
	global_store_b8 v[0:1], v2, off
.LBB142_2090:
	s_mov_b32 s4, 0
.LBB142_2091:
	s_delay_alu instid0(SALU_CYCLE_1)
	s_and_not1_b32 vcc_lo, exec_lo, s4
	s_mov_b32 s4, 0
	s_cbranch_vccnz .LBB142_2098
; %bb.2092:
	s_cmp_gt_i32 s2, 14
	s_mov_b32 s4, -1
	s_cbranch_scc0 .LBB142_2096
; %bb.2093:
	s_cmp_eq_u32 s2, 15
	s_mov_b32 s0, -1
	s_cbranch_scc0 .LBB142_2095
; %bb.2094:
	s_wait_xcnt 0x0
	v_cndmask_b32_e64 v2, 0, 1.0, s15
	s_mov_b32 s0, 0
	s_delay_alu instid0(VALU_DEP_1) | instskip(NEXT) | instid1(VALU_DEP_1)
	v_bfe_u32 v3, v2, 16, 1
	v_add3_u32 v2, v2, v3, 0x7fff
	global_store_d16_hi_b16 v[0:1], v2, off
.LBB142_2095:
	s_mov_b32 s4, 0
.LBB142_2096:
	s_delay_alu instid0(SALU_CYCLE_1)
	s_and_b32 vcc_lo, exec_lo, s4
	s_mov_b32 s4, 0
	s_cbranch_vccz .LBB142_2098
; %bb.2097:
	s_cmp_lg_u32 s2, 11
	s_mov_b32 s4, -1
	s_cselect_b32 s0, -1, 0
.LBB142_2098:
	s_delay_alu instid0(SALU_CYCLE_1)
	s_and_b32 vcc_lo, exec_lo, s0
	s_cbranch_vccnz .LBB142_2119
.LBB142_2099:
	s_mov_b32 s0, 0
	s_branch .LBB142_1620
.LBB142_2100:
	s_mov_b32 s0, 0
	s_mov_b32 s4, 0
	s_branch .LBB142_1619
.LBB142_2101:
	s_mov_b32 s4, 0
	s_mov_b32 s0, -1
	s_branch .LBB142_1620
.LBB142_2102:
	s_and_not1_saveexec_b32 s13, s13
	s_cbranch_execz .LBB142_1695
.LBB142_2103:
	v_add_f32_e32 v1, 0x46000000, v4
	s_and_not1_b32 s12, s12, exec_lo
	s_delay_alu instid0(VALU_DEP_1) | instskip(NEXT) | instid1(VALU_DEP_1)
	v_and_b32_e32 v1, 0xff, v1
	v_cmp_ne_u32_e32 vcc_lo, 0, v1
	s_and_b32 s14, vcc_lo, exec_lo
	s_delay_alu instid0(SALU_CYCLE_1)
	s_or_b32 s12, s12, s14
	s_or_b32 exec_lo, exec_lo, s13
	v_mov_b32_e32 v5, 0
	s_and_saveexec_b32 s13, s12
	s_cbranch_execnz .LBB142_1696
	s_branch .LBB142_1697
.LBB142_2104:
	s_or_b32 s1, s1, exec_lo
	s_trap 2
	s_cbranch_execz .LBB142_1743
	s_branch .LBB142_1744
.LBB142_2105:
	s_and_not1_saveexec_b32 s12, s12
	s_cbranch_execz .LBB142_1708
.LBB142_2106:
	v_add_f32_e32 v1, 0x42800000, v4
	s_and_not1_b32 s7, s7, exec_lo
	s_delay_alu instid0(VALU_DEP_1) | instskip(NEXT) | instid1(VALU_DEP_1)
	v_and_b32_e32 v1, 0xff, v1
	v_cmp_ne_u32_e32 vcc_lo, 0, v1
	s_and_b32 s13, vcc_lo, exec_lo
	s_delay_alu instid0(SALU_CYCLE_1)
	s_or_b32 s7, s7, s13
	s_or_b32 exec_lo, exec_lo, s12
	v_mov_b32_e32 v5, 0
	s_and_saveexec_b32 s12, s7
	s_cbranch_execnz .LBB142_1709
	s_branch .LBB142_1710
.LBB142_2107:
	s_and_not1_saveexec_b32 s12, s12
	s_cbranch_execz .LBB142_1814
.LBB142_2108:
	v_add_f32_e32 v1, 0x46000000, v4
	s_and_not1_b32 s10, s10, exec_lo
	s_delay_alu instid0(VALU_DEP_1) | instskip(NEXT) | instid1(VALU_DEP_1)
	v_and_b32_e32 v1, 0xff, v1
	v_cmp_ne_u32_e32 vcc_lo, 0, v1
	s_and_b32 s13, vcc_lo, exec_lo
	s_delay_alu instid0(SALU_CYCLE_1)
	s_or_b32 s10, s10, s13
	s_or_b32 exec_lo, exec_lo, s12
	v_mov_b32_e32 v5, 0
	s_and_saveexec_b32 s12, s10
	s_cbranch_execnz .LBB142_1815
	s_branch .LBB142_1816
.LBB142_2109:
	s_or_b32 s1, s1, exec_lo
	s_trap 2
	s_cbranch_execz .LBB142_1862
	s_branch .LBB142_1863
.LBB142_2110:
	s_and_not1_saveexec_b32 s10, s10
	s_cbranch_execz .LBB142_1827
.LBB142_2111:
	v_add_f32_e32 v1, 0x42800000, v4
	s_and_not1_b32 s8, s8, exec_lo
	s_delay_alu instid0(VALU_DEP_1) | instskip(NEXT) | instid1(VALU_DEP_1)
	v_and_b32_e32 v1, 0xff, v1
	v_cmp_ne_u32_e32 vcc_lo, 0, v1
	s_and_b32 s12, vcc_lo, exec_lo
	s_delay_alu instid0(SALU_CYCLE_1)
	s_or_b32 s8, s8, s12
	s_or_b32 exec_lo, exec_lo, s10
	v_mov_b32_e32 v5, 0
	s_and_saveexec_b32 s10, s8
	s_cbranch_execnz .LBB142_1828
	s_branch .LBB142_1829
.LBB142_2112:
	s_and_not1_saveexec_b32 s10, s10
	s_cbranch_execz .LBB142_1933
.LBB142_2113:
	v_add_f32_e32 v1, 0x46000000, v4
	s_and_not1_b32 s9, s9, exec_lo
	s_delay_alu instid0(VALU_DEP_1) | instskip(NEXT) | instid1(VALU_DEP_1)
	v_and_b32_e32 v1, 0xff, v1
	v_cmp_ne_u32_e32 vcc_lo, 0, v1
	s_and_b32 s12, vcc_lo, exec_lo
	s_delay_alu instid0(SALU_CYCLE_1)
	s_or_b32 s9, s9, s12
	s_or_b32 exec_lo, exec_lo, s10
	v_mov_b32_e32 v5, 0
	s_and_saveexec_b32 s10, s9
	s_cbranch_execnz .LBB142_1934
	s_branch .LBB142_1935
.LBB142_2114:
	s_or_b32 s1, s1, exec_lo
	s_trap 2
	s_cbranch_execz .LBB142_1981
	s_branch .LBB142_1982
.LBB142_2115:
	s_and_not1_saveexec_b32 s9, s9
	s_cbranch_execz .LBB142_1946
.LBB142_2116:
	v_add_f32_e32 v1, 0x42800000, v4
	s_and_not1_b32 s8, s8, exec_lo
	s_delay_alu instid0(VALU_DEP_1) | instskip(NEXT) | instid1(VALU_DEP_1)
	v_and_b32_e32 v1, 0xff, v1
	v_cmp_ne_u32_e32 vcc_lo, 0, v1
	s_and_b32 s10, vcc_lo, exec_lo
	s_delay_alu instid0(SALU_CYCLE_1)
	s_or_b32 s8, s8, s10
	s_or_b32 exec_lo, exec_lo, s9
	v_mov_b32_e32 v5, 0
	s_and_saveexec_b32 s9, s8
	s_cbranch_execnz .LBB142_1947
	s_branch .LBB142_1948
.LBB142_2117:
	s_and_not1_saveexec_b32 s7, s7
	s_cbranch_execz .LBB142_2053
.LBB142_2118:
	v_add_f32_e32 v2, 0x46000000, v3
	s_and_not1_b32 s6, s6, exec_lo
	s_delay_alu instid0(VALU_DEP_1) | instskip(NEXT) | instid1(VALU_DEP_1)
	v_and_b32_e32 v2, 0xff, v2
	v_cmp_ne_u32_e32 vcc_lo, 0, v2
	s_and_b32 s8, vcc_lo, exec_lo
	s_delay_alu instid0(SALU_CYCLE_1)
	s_or_b32 s6, s6, s8
	s_or_b32 exec_lo, exec_lo, s7
	v_mov_b32_e32 v4, 0
	s_and_saveexec_b32 s7, s6
	s_cbranch_execnz .LBB142_2054
	s_branch .LBB142_2055
.LBB142_2119:
	s_mov_b32 s4, 0
	s_or_b32 s1, s1, exec_lo
	s_trap 2
	s_branch .LBB142_2099
.LBB142_2120:
	s_and_not1_saveexec_b32 s6, s6
	s_cbranch_execz .LBB142_2065
.LBB142_2121:
	v_add_f32_e32 v2, 0x42800000, v3
	s_and_not1_b32 s5, s5, exec_lo
	s_delay_alu instid0(VALU_DEP_1) | instskip(NEXT) | instid1(VALU_DEP_1)
	v_and_b32_e32 v2, 0xff, v2
	v_cmp_ne_u32_e32 vcc_lo, 0, v2
	s_and_b32 s7, vcc_lo, exec_lo
	s_delay_alu instid0(SALU_CYCLE_1)
	s_or_b32 s5, s5, s7
	s_or_b32 exec_lo, exec_lo, s6
	v_mov_b32_e32 v4, 0
	s_and_saveexec_b32 s6, s5
	s_cbranch_execnz .LBB142_2066
	s_branch .LBB142_2067
	.section	.rodata,"a",@progbits
	.p2align	6, 0x0
	.amdhsa_kernel _ZN2at6native32elementwise_kernel_manual_unrollILi128ELi4EZNS0_15gpu_kernel_implINS0_13AUnaryFunctorIN3c107complexIfEES6_bNS0_12_GLOBAL__N_116CompareEqFunctorIS6_EEEEEEvRNS_18TensorIteratorBaseERKT_EUlibE_EEviT1_
		.amdhsa_group_segment_fixed_size 0
		.amdhsa_private_segment_fixed_size 0
		.amdhsa_kernarg_size 56
		.amdhsa_user_sgpr_count 2
		.amdhsa_user_sgpr_dispatch_ptr 0
		.amdhsa_user_sgpr_queue_ptr 0
		.amdhsa_user_sgpr_kernarg_segment_ptr 1
		.amdhsa_user_sgpr_dispatch_id 0
		.amdhsa_user_sgpr_kernarg_preload_length 0
		.amdhsa_user_sgpr_kernarg_preload_offset 0
		.amdhsa_user_sgpr_private_segment_size 0
		.amdhsa_wavefront_size32 1
		.amdhsa_uses_dynamic_stack 0
		.amdhsa_enable_private_segment 0
		.amdhsa_system_sgpr_workgroup_id_x 1
		.amdhsa_system_sgpr_workgroup_id_y 0
		.amdhsa_system_sgpr_workgroup_id_z 0
		.amdhsa_system_sgpr_workgroup_info 0
		.amdhsa_system_vgpr_workitem_id 0
		.amdhsa_next_free_vgpr 12
		.amdhsa_next_free_sgpr 31
		.amdhsa_named_barrier_count 0
		.amdhsa_reserve_vcc 1
		.amdhsa_float_round_mode_32 0
		.amdhsa_float_round_mode_16_64 0
		.amdhsa_float_denorm_mode_32 3
		.amdhsa_float_denorm_mode_16_64 3
		.amdhsa_fp16_overflow 0
		.amdhsa_memory_ordered 1
		.amdhsa_forward_progress 1
		.amdhsa_inst_pref_size 255
		.amdhsa_round_robin_scheduling 0
		.amdhsa_exception_fp_ieee_invalid_op 0
		.amdhsa_exception_fp_denorm_src 0
		.amdhsa_exception_fp_ieee_div_zero 0
		.amdhsa_exception_fp_ieee_overflow 0
		.amdhsa_exception_fp_ieee_underflow 0
		.amdhsa_exception_fp_ieee_inexact 0
		.amdhsa_exception_int_div_zero 0
	.end_amdhsa_kernel
	.section	.text._ZN2at6native32elementwise_kernel_manual_unrollILi128ELi4EZNS0_15gpu_kernel_implINS0_13AUnaryFunctorIN3c107complexIfEES6_bNS0_12_GLOBAL__N_116CompareEqFunctorIS6_EEEEEEvRNS_18TensorIteratorBaseERKT_EUlibE_EEviT1_,"axG",@progbits,_ZN2at6native32elementwise_kernel_manual_unrollILi128ELi4EZNS0_15gpu_kernel_implINS0_13AUnaryFunctorIN3c107complexIfEES6_bNS0_12_GLOBAL__N_116CompareEqFunctorIS6_EEEEEEvRNS_18TensorIteratorBaseERKT_EUlibE_EEviT1_,comdat
.Lfunc_end142:
	.size	_ZN2at6native32elementwise_kernel_manual_unrollILi128ELi4EZNS0_15gpu_kernel_implINS0_13AUnaryFunctorIN3c107complexIfEES6_bNS0_12_GLOBAL__N_116CompareEqFunctorIS6_EEEEEEvRNS_18TensorIteratorBaseERKT_EUlibE_EEviT1_, .Lfunc_end142-_ZN2at6native32elementwise_kernel_manual_unrollILi128ELi4EZNS0_15gpu_kernel_implINS0_13AUnaryFunctorIN3c107complexIfEES6_bNS0_12_GLOBAL__N_116CompareEqFunctorIS6_EEEEEEvRNS_18TensorIteratorBaseERKT_EUlibE_EEviT1_
                                        ; -- End function
	.set _ZN2at6native32elementwise_kernel_manual_unrollILi128ELi4EZNS0_15gpu_kernel_implINS0_13AUnaryFunctorIN3c107complexIfEES6_bNS0_12_GLOBAL__N_116CompareEqFunctorIS6_EEEEEEvRNS_18TensorIteratorBaseERKT_EUlibE_EEviT1_.num_vgpr, 12
	.set _ZN2at6native32elementwise_kernel_manual_unrollILi128ELi4EZNS0_15gpu_kernel_implINS0_13AUnaryFunctorIN3c107complexIfEES6_bNS0_12_GLOBAL__N_116CompareEqFunctorIS6_EEEEEEvRNS_18TensorIteratorBaseERKT_EUlibE_EEviT1_.num_agpr, 0
	.set _ZN2at6native32elementwise_kernel_manual_unrollILi128ELi4EZNS0_15gpu_kernel_implINS0_13AUnaryFunctorIN3c107complexIfEES6_bNS0_12_GLOBAL__N_116CompareEqFunctorIS6_EEEEEEvRNS_18TensorIteratorBaseERKT_EUlibE_EEviT1_.numbered_sgpr, 31
	.set _ZN2at6native32elementwise_kernel_manual_unrollILi128ELi4EZNS0_15gpu_kernel_implINS0_13AUnaryFunctorIN3c107complexIfEES6_bNS0_12_GLOBAL__N_116CompareEqFunctorIS6_EEEEEEvRNS_18TensorIteratorBaseERKT_EUlibE_EEviT1_.num_named_barrier, 0
	.set _ZN2at6native32elementwise_kernel_manual_unrollILi128ELi4EZNS0_15gpu_kernel_implINS0_13AUnaryFunctorIN3c107complexIfEES6_bNS0_12_GLOBAL__N_116CompareEqFunctorIS6_EEEEEEvRNS_18TensorIteratorBaseERKT_EUlibE_EEviT1_.private_seg_size, 0
	.set _ZN2at6native32elementwise_kernel_manual_unrollILi128ELi4EZNS0_15gpu_kernel_implINS0_13AUnaryFunctorIN3c107complexIfEES6_bNS0_12_GLOBAL__N_116CompareEqFunctorIS6_EEEEEEvRNS_18TensorIteratorBaseERKT_EUlibE_EEviT1_.uses_vcc, 1
	.set _ZN2at6native32elementwise_kernel_manual_unrollILi128ELi4EZNS0_15gpu_kernel_implINS0_13AUnaryFunctorIN3c107complexIfEES6_bNS0_12_GLOBAL__N_116CompareEqFunctorIS6_EEEEEEvRNS_18TensorIteratorBaseERKT_EUlibE_EEviT1_.uses_flat_scratch, 0
	.set _ZN2at6native32elementwise_kernel_manual_unrollILi128ELi4EZNS0_15gpu_kernel_implINS0_13AUnaryFunctorIN3c107complexIfEES6_bNS0_12_GLOBAL__N_116CompareEqFunctorIS6_EEEEEEvRNS_18TensorIteratorBaseERKT_EUlibE_EEviT1_.has_dyn_sized_stack, 0
	.set _ZN2at6native32elementwise_kernel_manual_unrollILi128ELi4EZNS0_15gpu_kernel_implINS0_13AUnaryFunctorIN3c107complexIfEES6_bNS0_12_GLOBAL__N_116CompareEqFunctorIS6_EEEEEEvRNS_18TensorIteratorBaseERKT_EUlibE_EEviT1_.has_recursion, 0
	.set _ZN2at6native32elementwise_kernel_manual_unrollILi128ELi4EZNS0_15gpu_kernel_implINS0_13AUnaryFunctorIN3c107complexIfEES6_bNS0_12_GLOBAL__N_116CompareEqFunctorIS6_EEEEEEvRNS_18TensorIteratorBaseERKT_EUlibE_EEviT1_.has_indirect_call, 0
	.section	.AMDGPU.csdata,"",@progbits
; Kernel info:
; codeLenInByte = 37012
; TotalNumSgprs: 33
; NumVgprs: 12
; ScratchSize: 0
; MemoryBound: 1
; FloatMode: 240
; IeeeMode: 1
; LDSByteSize: 0 bytes/workgroup (compile time only)
; SGPRBlocks: 0
; VGPRBlocks: 0
; NumSGPRsForWavesPerEU: 33
; NumVGPRsForWavesPerEU: 12
; NamedBarCnt: 0
; Occupancy: 16
; WaveLimiterHint : 0
; COMPUTE_PGM_RSRC2:SCRATCH_EN: 0
; COMPUTE_PGM_RSRC2:USER_SGPR: 2
; COMPUTE_PGM_RSRC2:TRAP_HANDLER: 0
; COMPUTE_PGM_RSRC2:TGID_X_EN: 1
; COMPUTE_PGM_RSRC2:TGID_Y_EN: 0
; COMPUTE_PGM_RSRC2:TGID_Z_EN: 0
; COMPUTE_PGM_RSRC2:TIDIG_COMP_CNT: 0
	.section	.text._ZN2at6native32elementwise_kernel_manual_unrollILi128ELi4EZNS0_15gpu_kernel_implINS0_13AUnaryFunctorIN3c107complexIfEES6_bNS0_12_GLOBAL__N_116CompareEqFunctorIS6_EEEEEEvRNS_18TensorIteratorBaseERKT_EUlibE0_EEviT1_,"axG",@progbits,_ZN2at6native32elementwise_kernel_manual_unrollILi128ELi4EZNS0_15gpu_kernel_implINS0_13AUnaryFunctorIN3c107complexIfEES6_bNS0_12_GLOBAL__N_116CompareEqFunctorIS6_EEEEEEvRNS_18TensorIteratorBaseERKT_EUlibE0_EEviT1_,comdat
	.globl	_ZN2at6native32elementwise_kernel_manual_unrollILi128ELi4EZNS0_15gpu_kernel_implINS0_13AUnaryFunctorIN3c107complexIfEES6_bNS0_12_GLOBAL__N_116CompareEqFunctorIS6_EEEEEEvRNS_18TensorIteratorBaseERKT_EUlibE0_EEviT1_ ; -- Begin function _ZN2at6native32elementwise_kernel_manual_unrollILi128ELi4EZNS0_15gpu_kernel_implINS0_13AUnaryFunctorIN3c107complexIfEES6_bNS0_12_GLOBAL__N_116CompareEqFunctorIS6_EEEEEEvRNS_18TensorIteratorBaseERKT_EUlibE0_EEviT1_
	.p2align	8
	.type	_ZN2at6native32elementwise_kernel_manual_unrollILi128ELi4EZNS0_15gpu_kernel_implINS0_13AUnaryFunctorIN3c107complexIfEES6_bNS0_12_GLOBAL__N_116CompareEqFunctorIS6_EEEEEEvRNS_18TensorIteratorBaseERKT_EUlibE0_EEviT1_,@function
_ZN2at6native32elementwise_kernel_manual_unrollILi128ELi4EZNS0_15gpu_kernel_implINS0_13AUnaryFunctorIN3c107complexIfEES6_bNS0_12_GLOBAL__N_116CompareEqFunctorIS6_EEEEEEvRNS_18TensorIteratorBaseERKT_EUlibE0_EEviT1_: ; @_ZN2at6native32elementwise_kernel_manual_unrollILi128ELi4EZNS0_15gpu_kernel_implINS0_13AUnaryFunctorIN3c107complexIfEES6_bNS0_12_GLOBAL__N_116CompareEqFunctorIS6_EEEEEEvRNS_18TensorIteratorBaseERKT_EUlibE0_EEviT1_
; %bb.0:
	s_clause 0x1
	s_load_b32 s19, s[0:1], 0x8
	s_load_b32 s39, s[0:1], 0x0
	s_bfe_u32 s2, ttmp6, 0x4000c
	s_and_b32 s3, ttmp6, 15
	s_add_co_i32 s2, s2, 1
	s_getreg_b32 s4, hwreg(HW_REG_IB_STS2, 6, 4)
	s_mul_i32 s2, ttmp9, s2
	s_mov_b32 s34, 0
	s_add_co_i32 s3, s3, s2
	s_cmp_eq_u32 s4, 0
	s_mov_b32 s27, -1
	s_cselect_b32 s2, ttmp9, s3
	s_mov_b32 s10, 0
	v_lshl_or_b32 v0, s2, 9, v0
	s_add_nc_u64 s[2:3], s[0:1], 8
	s_wait_xcnt 0x0
	s_mov_b32 s0, exec_lo
	s_delay_alu instid0(VALU_DEP_1) | instskip(SKIP_2) | instid1(SALU_CYCLE_1)
	v_or_b32_e32 v9, 0x180, v0
	s_wait_kmcnt 0x0
	s_add_co_i32 s33, s19, -1
	s_cmp_gt_u32 s33, 1
	s_cselect_b32 s35, -1, 0
	v_cmpx_le_i32_e64 s39, v9
	s_xor_b32 s36, exec_lo, s0
	s_cbranch_execz .LBB143_1132
; %bb.1:
	s_clause 0x5
	s_load_b128 s[8:11], s[2:3], 0x4
	s_load_b96 s[16:18], s[2:3], 0x160
	s_load_b32 s22, s[2:3], 0x158
	s_load_b64 s[0:1], s[2:3], 0x14
	s_load_b128 s[12:15], s[2:3], 0xc4
	s_load_b128 s[4:7], s[2:3], 0x148
	s_cmp_lg_u32 s19, 0
	s_mov_b32 s21, 0
	s_cselect_b32 s41, -1, 0
	s_min_u32 s40, s33, 15
	s_cmp_gt_u32 s19, 1
	s_add_nc_u64 s[24:25], s[2:3], 0xc4
	s_cselect_b32 s38, -1, 0
	s_mov_b32 s23, s21
	s_mov_b32 s43, s21
	;; [unrolled: 1-line block ×3, first 2 shown]
	s_mov_b32 s44, exec_lo
	s_wait_kmcnt 0x0
	s_mov_b32 s20, s9
	s_bfe_u32 s37, s18, 0x80008
	s_cmp_lg_u32 s22, 0
	s_mov_b32 s22, s0
	s_cselect_b32 s9, -1, 0
	v_cmpx_gt_i32_e64 s39, v0
	s_cbranch_execz .LBB143_275
; %bb.2:
	s_and_not1_b32 vcc_lo, exec_lo, s35
	s_cbranch_vccnz .LBB143_8
; %bb.3:
	s_and_not1_b32 vcc_lo, exec_lo, s41
	s_cbranch_vccnz .LBB143_9
; %bb.4:
	s_add_co_i32 s0, s40, 1
	s_cmp_eq_u32 s33, 2
	s_cbranch_scc1 .LBB143_10
; %bb.5:
	v_dual_mov_b32 v2, 0 :: v_dual_mov_b32 v4, 0
	v_mov_b32_e32 v1, v0
	s_and_b32 s26, s0, 28
	s_mov_b32 s27, 0
	s_mov_b64 s[28:29], s[2:3]
	s_mov_b64 s[30:31], s[24:25]
.LBB143_6:                              ; =>This Inner Loop Header: Depth=1
	s_clause 0x1
	s_load_b256 s[48:55], s[28:29], 0x4
	s_load_b128 s[64:67], s[28:29], 0x24
	s_load_b256 s[56:63], s[30:31], 0x0
	s_add_co_i32 s27, s27, 4
	s_wait_xcnt 0x0
	s_add_nc_u64 s[28:29], s[28:29], 48
	s_cmp_lg_u32 s26, s27
	s_add_nc_u64 s[30:31], s[30:31], 32
	s_wait_kmcnt 0x0
	v_mul_hi_u32 v3, s49, v1
	s_delay_alu instid0(VALU_DEP_1) | instskip(NEXT) | instid1(VALU_DEP_1)
	v_add_nc_u32_e32 v3, v1, v3
	v_lshrrev_b32_e32 v3, s50, v3
	s_delay_alu instid0(VALU_DEP_1) | instskip(NEXT) | instid1(VALU_DEP_1)
	v_mul_hi_u32 v5, s52, v3
	v_add_nc_u32_e32 v5, v3, v5
	s_delay_alu instid0(VALU_DEP_1) | instskip(NEXT) | instid1(VALU_DEP_1)
	v_lshrrev_b32_e32 v5, s53, v5
	v_mul_hi_u32 v6, s55, v5
	s_delay_alu instid0(VALU_DEP_1) | instskip(SKIP_1) | instid1(VALU_DEP_1)
	v_add_nc_u32_e32 v6, v5, v6
	v_mul_lo_u32 v7, v3, s48
	v_sub_nc_u32_e32 v1, v1, v7
	v_mul_lo_u32 v7, v5, s51
	s_delay_alu instid0(VALU_DEP_4) | instskip(NEXT) | instid1(VALU_DEP_3)
	v_lshrrev_b32_e32 v6, s64, v6
	v_mad_u32 v4, v1, s57, v4
	v_mad_u32 v1, v1, s56, v2
	s_delay_alu instid0(VALU_DEP_4) | instskip(NEXT) | instid1(VALU_DEP_4)
	v_sub_nc_u32_e32 v2, v3, v7
	v_mul_hi_u32 v8, s66, v6
	v_mul_lo_u32 v3, v6, s54
	s_delay_alu instid0(VALU_DEP_3) | instskip(SKIP_1) | instid1(VALU_DEP_3)
	v_mad_u32 v4, v2, s59, v4
	v_mad_u32 v2, v2, s58, v1
	v_dual_add_nc_u32 v7, v6, v8 :: v_dual_sub_nc_u32 v3, v5, v3
	s_delay_alu instid0(VALU_DEP_1) | instskip(NEXT) | instid1(VALU_DEP_2)
	v_lshrrev_b32_e32 v1, s67, v7
	v_mad_u32 v4, v3, s61, v4
	s_delay_alu instid0(VALU_DEP_4) | instskip(NEXT) | instid1(VALU_DEP_3)
	v_mad_u32 v2, v3, s60, v2
	v_mul_lo_u32 v5, v1, s65
	s_delay_alu instid0(VALU_DEP_1) | instskip(NEXT) | instid1(VALU_DEP_1)
	v_sub_nc_u32_e32 v3, v6, v5
	v_mad_u32 v4, v3, s63, v4
	s_delay_alu instid0(VALU_DEP_4)
	v_mad_u32 v2, v3, s62, v2
	s_cbranch_scc1 .LBB143_6
; %bb.7:
	s_delay_alu instid0(VALU_DEP_2)
	v_mov_b32_e32 v3, v4
	s_and_b32 s0, s0, 3
	s_mov_b32 s27, 0
	s_cmp_eq_u32 s0, 0
	s_cbranch_scc0 .LBB143_11
	s_branch .LBB143_14
.LBB143_8:
                                        ; implicit-def: $vgpr4
                                        ; implicit-def: $vgpr2
	s_branch .LBB143_15
.LBB143_9:
	v_dual_mov_b32 v4, 0 :: v_dual_mov_b32 v2, 0
	s_branch .LBB143_14
.LBB143_10:
	v_mov_b64_e32 v[2:3], 0
	v_mov_b32_e32 v1, v0
	s_mov_b32 s26, 0
                                        ; implicit-def: $vgpr4
	s_and_b32 s0, s0, 3
	s_mov_b32 s27, 0
	s_cmp_eq_u32 s0, 0
	s_cbranch_scc1 .LBB143_14
.LBB143_11:
	s_lshl_b32 s28, s26, 3
	s_mov_b32 s29, s27
	s_mul_u64 s[30:31], s[26:27], 12
	s_add_nc_u64 s[28:29], s[2:3], s[28:29]
	s_delay_alu instid0(SALU_CYCLE_1)
	s_add_nc_u64 s[26:27], s[28:29], 0xc4
	s_add_nc_u64 s[28:29], s[2:3], s[30:31]
.LBB143_12:                             ; =>This Inner Loop Header: Depth=1
	s_load_b96 s[48:50], s[28:29], 0x4
	s_load_b64 s[30:31], s[26:27], 0x0
	s_add_co_i32 s0, s0, -1
	s_wait_xcnt 0x0
	s_add_nc_u64 s[28:29], s[28:29], 12
	s_cmp_lg_u32 s0, 0
	s_add_nc_u64 s[26:27], s[26:27], 8
	s_wait_kmcnt 0x0
	v_mul_hi_u32 v4, s49, v1
	s_delay_alu instid0(VALU_DEP_1) | instskip(NEXT) | instid1(VALU_DEP_1)
	v_add_nc_u32_e32 v4, v1, v4
	v_lshrrev_b32_e32 v4, s50, v4
	s_delay_alu instid0(VALU_DEP_1) | instskip(NEXT) | instid1(VALU_DEP_1)
	v_mul_lo_u32 v5, v4, s48
	v_sub_nc_u32_e32 v1, v1, v5
	s_delay_alu instid0(VALU_DEP_1)
	v_mad_u32 v3, v1, s31, v3
	v_mad_u32 v2, v1, s30, v2
	v_mov_b32_e32 v1, v4
	s_cbranch_scc1 .LBB143_12
; %bb.13:
	s_delay_alu instid0(VALU_DEP_3)
	v_mov_b32_e32 v4, v3
.LBB143_14:
	s_cbranch_execnz .LBB143_17
.LBB143_15:
	v_mov_b32_e32 v1, 0
	s_and_not1_b32 vcc_lo, exec_lo, s38
	s_delay_alu instid0(VALU_DEP_1) | instskip(NEXT) | instid1(VALU_DEP_1)
	v_mul_u64_e32 v[2:3], s[20:21], v[0:1]
	v_add_nc_u32_e32 v2, v0, v3
	s_delay_alu instid0(VALU_DEP_1) | instskip(NEXT) | instid1(VALU_DEP_1)
	v_lshrrev_b32_e32 v6, s10, v2
	v_mul_lo_u32 v2, v6, s8
	s_delay_alu instid0(VALU_DEP_1) | instskip(NEXT) | instid1(VALU_DEP_1)
	v_sub_nc_u32_e32 v2, v0, v2
	v_mul_lo_u32 v4, v2, s13
	v_mul_lo_u32 v2, v2, s12
	s_cbranch_vccnz .LBB143_17
; %bb.16:
	v_mov_b32_e32 v7, v1
	s_delay_alu instid0(VALU_DEP_1) | instskip(NEXT) | instid1(VALU_DEP_1)
	v_mul_u64_e32 v[8:9], s[22:23], v[6:7]
	v_add_nc_u32_e32 v1, v6, v9
	s_delay_alu instid0(VALU_DEP_1) | instskip(NEXT) | instid1(VALU_DEP_1)
	v_lshrrev_b32_e32 v1, s1, v1
	v_mul_lo_u32 v1, v1, s11
	s_delay_alu instid0(VALU_DEP_1) | instskip(NEXT) | instid1(VALU_DEP_1)
	v_sub_nc_u32_e32 v1, v6, v1
	v_mad_u32 v2, v1, s14, v2
	v_mad_u32 v4, v1, s15, v4
.LBB143_17:
	v_mov_b32_e32 v5, 0
	s_and_b32 s0, 0xffff, s37
	s_delay_alu instid0(SALU_CYCLE_1) | instskip(NEXT) | instid1(VALU_DEP_1)
	s_cmp_lt_i32 s0, 11
	v_add_nc_u64_e32 v[4:5], s[6:7], v[4:5]
	s_cbranch_scc1 .LBB143_24
; %bb.18:
	s_cmp_gt_i32 s0, 25
	s_cbranch_scc0 .LBB143_36
; %bb.19:
	s_cmp_gt_i32 s0, 28
	s_cbranch_scc0 .LBB143_40
	;; [unrolled: 3-line block ×4, first 2 shown]
; %bb.22:
	s_cmp_eq_u32 s0, 46
	s_mov_b32 s28, 0
	s_cbranch_scc0 .LBB143_46
; %bb.23:
	global_load_b32 v1, v[4:5], off
	s_mov_b32 s27, -1
	s_mov_b32 s26, 0
	s_wait_loadcnt 0x0
	v_and_b32_e32 v7, 0xffff0000, v1
	v_lshlrev_b32_e32 v6, 16, v1
	s_branch .LBB143_48
.LBB143_24:
	s_mov_b32 s26, 0
	s_mov_b32 s27, 0
                                        ; implicit-def: $vgpr7
	s_cbranch_execnz .LBB143_223
.LBB143_25:
	s_and_not1_b32 vcc_lo, exec_lo, s27
	s_cbranch_vccnz .LBB143_272
.LBB143_26:
	s_and_b32 vcc_lo, exec_lo, s9
	s_cbranch_vccz .LBB143_39
; %bb.27:
	s_wait_loadcnt 0x0
	s_delay_alu instid0(VALU_DEP_2) | instskip(NEXT) | instid1(VALU_DEP_2)
	v_cmp_neq_f32_e32 vcc_lo, s16, v6
	v_cmp_neq_f32_e64 s0, s17, v7
	s_or_b32 s27, vcc_lo, s0
	s_cbranch_execnz .LBB143_29
.LBB143_28:
	s_wait_loadcnt 0x0
	s_delay_alu instid0(VALU_DEP_1) | instskip(NEXT) | instid1(VALU_DEP_3)
	v_cmp_eq_f32_e32 vcc_lo, s17, v7
	v_cmp_eq_f32_e64 s0, s16, v6
	s_and_not1_b32 s27, s27, exec_lo
	s_and_b32 s0, s0, vcc_lo
	s_delay_alu instid0(SALU_CYCLE_1) | instskip(NEXT) | instid1(SALU_CYCLE_1)
	s_and_b32 s0, s0, exec_lo
	s_or_b32 s27, s27, s0
.LBB143_29:
	v_mov_b32_e32 v3, 0
	s_and_b32 s28, s18, 0xff
	s_delay_alu instid0(SALU_CYCLE_1) | instskip(NEXT) | instid1(VALU_DEP_1)
	s_cmp_lt_i32 s28, 11
	v_add_nc_u64_e32 v[2:3], s[4:5], v[2:3]
	s_cbranch_scc1 .LBB143_37
; %bb.30:
	s_and_b32 s29, 0xffff, s28
	s_delay_alu instid0(SALU_CYCLE_1)
	s_cmp_gt_i32 s29, 25
	s_cbranch_scc0 .LBB143_41
; %bb.31:
	s_cmp_gt_i32 s29, 28
	s_cbranch_scc0 .LBB143_43
; %bb.32:
	;; [unrolled: 3-line block ×4, first 2 shown]
	s_mov_b32 s31, 0
	s_mov_b32 s0, -1
	s_cmp_eq_u32 s29, 46
	s_mov_b32 s30, 0
	s_cbranch_scc0 .LBB143_52
; %bb.35:
	v_cndmask_b32_e64 v1, 0, 1.0, s27
	s_mov_b32 s30, -1
	s_mov_b32 s0, 0
	s_wait_xcnt 0x0
	s_delay_alu instid0(VALU_DEP_1) | instskip(NEXT) | instid1(VALU_DEP_1)
	v_bfe_u32 v4, v1, 16, 1
	v_add3_u32 v1, v1, v4, 0x7fff
	s_delay_alu instid0(VALU_DEP_1)
	v_lshrrev_b32_e32 v1, 16, v1
	global_store_b32 v[2:3], v1, off
	s_branch .LBB143_52
.LBB143_36:
	s_mov_b32 s26, 0
	s_mov_b32 s27, 0
                                        ; implicit-def: $vgpr7
	s_cbranch_execnz .LBB143_188
	s_branch .LBB143_222
.LBB143_37:
	s_mov_b32 s0, 0
	s_mov_b32 s30, 0
	s_cbranch_execnz .LBB143_121
.LBB143_38:
	s_and_not1_b32 vcc_lo, exec_lo, s30
	s_cbranch_vccz .LBB143_159
	s_branch .LBB143_273
.LBB143_39:
                                        ; implicit-def: $sgpr27
	s_branch .LBB143_28
.LBB143_40:
	s_mov_b32 s28, -1
	s_mov_b32 s26, 0
	s_mov_b32 s27, 0
                                        ; implicit-def: $vgpr7
	s_branch .LBB143_169
.LBB143_41:
	s_mov_b32 s31, -1
	s_mov_b32 s0, 0
	s_mov_b32 s30, 0
	s_branch .LBB143_79
.LBB143_42:
	s_mov_b32 s28, -1
	s_mov_b32 s26, 0
	s_mov_b32 s27, 0
                                        ; implicit-def: $vgpr7
	s_branch .LBB143_163
.LBB143_43:
	s_mov_b32 s31, -1
	s_mov_b32 s0, 0
	s_mov_b32 s30, 0
	s_branch .LBB143_62
.LBB143_44:
	s_mov_b32 s28, -1
	s_mov_b32 s26, 0
	s_branch .LBB143_47
.LBB143_45:
	s_mov_b32 s31, -1
	s_mov_b32 s0, 0
	s_mov_b32 s30, 0
	s_branch .LBB143_58
.LBB143_46:
	s_mov_b32 s26, -1
.LBB143_47:
	s_mov_b32 s27, 0
                                        ; implicit-def: $vgpr7
.LBB143_48:
	s_and_b32 vcc_lo, exec_lo, s28
	s_cbranch_vccz .LBB143_162
; %bb.49:
	s_cmp_eq_u32 s0, 44
	s_cbranch_scc0 .LBB143_160
; %bb.50:
	global_load_u8 v1, v[4:5], off
	s_mov_b32 s26, 0
	s_mov_b32 s27, -1
	s_wait_loadcnt 0x0
	v_lshlrev_b32_e32 v3, 23, v1
	v_cmp_ne_u32_e32 vcc_lo, 0xff, v1
	s_delay_alu instid0(VALU_DEP_2) | instskip(SKIP_1) | instid1(VALU_DEP_2)
	v_cndmask_b32_e32 v3, 0x7f800001, v3, vcc_lo
	v_cmp_ne_u32_e32 vcc_lo, 0, v1
	v_cndmask_b32_e32 v6, 0x400000, v3, vcc_lo
	s_branch .LBB143_161
.LBB143_51:
	s_mov_b32 s31, -1
	s_mov_b32 s0, 0
	s_mov_b32 s30, 0
.LBB143_52:
	s_and_b32 vcc_lo, exec_lo, s31
	s_cbranch_vccz .LBB143_57
; %bb.53:
	s_cmp_eq_u32 s29, 44
	s_mov_b32 s0, -1
	s_cbranch_scc0 .LBB143_57
; %bb.54:
	s_wait_xcnt 0x0
	v_cndmask_b32_e64 v5, 0, 1.0, s27
	s_mov_b32 s30, exec_lo
	s_delay_alu instid0(VALU_DEP_1) | instskip(NEXT) | instid1(VALU_DEP_1)
	v_dual_mov_b32 v4, 0xff :: v_dual_lshrrev_b32 v1, 23, v5
	v_cmpx_ne_u32_e32 0xff, v1
; %bb.55:
	v_and_b32_e32 v4, 0x400000, v5
	v_and_or_b32 v5, 0x3fffff, v5, v1
	s_delay_alu instid0(VALU_DEP_2) | instskip(NEXT) | instid1(VALU_DEP_2)
	v_cmp_ne_u32_e32 vcc_lo, 0, v4
	v_cmp_ne_u32_e64 s0, 0, v5
	s_and_b32 s0, vcc_lo, s0
	s_delay_alu instid0(SALU_CYCLE_1) | instskip(NEXT) | instid1(VALU_DEP_1)
	v_cndmask_b32_e64 v4, 0, 1, s0
	v_add_nc_u32_e32 v4, v1, v4
; %bb.56:
	s_or_b32 exec_lo, exec_lo, s30
	s_mov_b32 s30, -1
	s_mov_b32 s0, 0
	global_store_b8 v[2:3], v4, off
.LBB143_57:
	s_mov_b32 s31, 0
.LBB143_58:
	s_delay_alu instid0(SALU_CYCLE_1)
	s_and_b32 vcc_lo, exec_lo, s31
	s_cbranch_vccz .LBB143_61
; %bb.59:
	s_cmp_eq_u32 s29, 29
	s_mov_b32 s0, -1
	s_cbranch_scc0 .LBB143_61
; %bb.60:
	s_mov_b32 s0, 0
	s_wait_xcnt 0x0
	v_cndmask_b32_e64 v4, 0, 1, s27
	v_mov_b32_e32 v5, s0
	s_mov_b32 s30, -1
	s_mov_b32 s31, 0
	global_store_b64 v[2:3], v[4:5], off
	s_branch .LBB143_62
.LBB143_61:
	s_mov_b32 s31, 0
.LBB143_62:
	s_delay_alu instid0(SALU_CYCLE_1)
	s_and_b32 vcc_lo, exec_lo, s31
	s_cbranch_vccz .LBB143_78
; %bb.63:
	s_cmp_lt_i32 s29, 27
	s_mov_b32 s30, -1
	s_cbranch_scc1 .LBB143_69
; %bb.64:
	s_cmp_gt_i32 s29, 27
	s_cbranch_scc0 .LBB143_66
; %bb.65:
	s_wait_xcnt 0x0
	v_cndmask_b32_e64 v1, 0, 1, s27
	s_mov_b32 s30, 0
	global_store_b32 v[2:3], v1, off
.LBB143_66:
	s_and_not1_b32 vcc_lo, exec_lo, s30
	s_cbranch_vccnz .LBB143_68
; %bb.67:
	s_wait_xcnt 0x0
	v_cndmask_b32_e64 v1, 0, 1, s27
	global_store_b16 v[2:3], v1, off
.LBB143_68:
	s_mov_b32 s30, 0
.LBB143_69:
	s_delay_alu instid0(SALU_CYCLE_1)
	s_and_not1_b32 vcc_lo, exec_lo, s30
	s_cbranch_vccnz .LBB143_77
; %bb.70:
	s_wait_xcnt 0x0
	v_cndmask_b32_e64 v4, 0, 1.0, s27
	v_mov_b32_e32 v5, 0x80
	s_mov_b32 s30, exec_lo
	s_delay_alu instid0(VALU_DEP_2)
	v_cmpx_gt_u32_e32 0x43800000, v4
	s_cbranch_execz .LBB143_76
; %bb.71:
	s_mov_b32 s31, 0
	s_mov_b32 s42, exec_lo
                                        ; implicit-def: $vgpr1
	v_cmpx_lt_u32_e32 0x3bffffff, v4
	s_xor_b32 s42, exec_lo, s42
	s_cbranch_execz .LBB143_322
; %bb.72:
	v_bfe_u32 v1, v4, 20, 1
	s_mov_b32 s31, exec_lo
	s_delay_alu instid0(VALU_DEP_1) | instskip(NEXT) | instid1(VALU_DEP_1)
	v_add3_u32 v1, v4, v1, 0x487ffff
                                        ; implicit-def: $vgpr4
	v_lshrrev_b32_e32 v1, 20, v1
	s_and_not1_saveexec_b32 s42, s42
	s_cbranch_execnz .LBB143_323
.LBB143_73:
	s_or_b32 exec_lo, exec_lo, s42
	v_mov_b32_e32 v5, 0
	s_and_saveexec_b32 s42, s31
.LBB143_74:
	v_mov_b32_e32 v5, v1
.LBB143_75:
	s_or_b32 exec_lo, exec_lo, s42
.LBB143_76:
	s_delay_alu instid0(SALU_CYCLE_1)
	s_or_b32 exec_lo, exec_lo, s30
	global_store_b8 v[2:3], v5, off
.LBB143_77:
	s_mov_b32 s30, -1
.LBB143_78:
	s_mov_b32 s31, 0
.LBB143_79:
	s_delay_alu instid0(SALU_CYCLE_1)
	s_and_b32 vcc_lo, exec_lo, s31
	s_cbranch_vccz .LBB143_120
; %bb.80:
	s_cmp_gt_i32 s29, 22
	s_mov_b32 s31, -1
	s_cbranch_scc0 .LBB143_112
; %bb.81:
	s_cmp_lt_i32 s29, 24
	s_mov_b32 s30, -1
	s_cbranch_scc1 .LBB143_101
; %bb.82:
	s_cmp_gt_i32 s29, 24
	s_cbranch_scc0 .LBB143_90
; %bb.83:
	s_wait_xcnt 0x0
	v_cndmask_b32_e64 v4, 0, 1.0, s27
	v_mov_b32_e32 v5, 0x80
	s_mov_b32 s30, exec_lo
	s_delay_alu instid0(VALU_DEP_2)
	v_cmpx_gt_u32_e32 0x47800000, v4
	s_cbranch_execz .LBB143_89
; %bb.84:
	s_mov_b32 s31, 0
	s_mov_b32 s42, exec_lo
                                        ; implicit-def: $vgpr1
	v_cmpx_lt_u32_e32 0x37ffffff, v4
	s_xor_b32 s42, exec_lo, s42
	s_cbranch_execz .LBB143_326
; %bb.85:
	v_bfe_u32 v1, v4, 21, 1
	s_mov_b32 s31, exec_lo
	s_delay_alu instid0(VALU_DEP_1) | instskip(NEXT) | instid1(VALU_DEP_1)
	v_add3_u32 v1, v4, v1, 0x88fffff
                                        ; implicit-def: $vgpr4
	v_lshrrev_b32_e32 v1, 21, v1
	s_and_not1_saveexec_b32 s42, s42
	s_cbranch_execnz .LBB143_327
.LBB143_86:
	s_or_b32 exec_lo, exec_lo, s42
	v_mov_b32_e32 v5, 0
	s_and_saveexec_b32 s42, s31
.LBB143_87:
	v_mov_b32_e32 v5, v1
.LBB143_88:
	s_or_b32 exec_lo, exec_lo, s42
.LBB143_89:
	s_delay_alu instid0(SALU_CYCLE_1)
	s_or_b32 exec_lo, exec_lo, s30
	s_mov_b32 s30, 0
	global_store_b8 v[2:3], v5, off
.LBB143_90:
	s_and_b32 vcc_lo, exec_lo, s30
	s_cbranch_vccz .LBB143_100
; %bb.91:
	s_wait_xcnt 0x0
	v_cndmask_b32_e64 v4, 0, 1.0, s27
	s_mov_b32 s30, exec_lo
                                        ; implicit-def: $vgpr1
	s_delay_alu instid0(VALU_DEP_1)
	v_cmpx_gt_u32_e32 0x43f00000, v4
	s_xor_b32 s30, exec_lo, s30
	s_cbranch_execz .LBB143_97
; %bb.92:
	s_mov_b32 s31, exec_lo
                                        ; implicit-def: $vgpr1
	v_cmpx_lt_u32_e32 0x3c7fffff, v4
	s_xor_b32 s31, exec_lo, s31
; %bb.93:
	v_bfe_u32 v1, v4, 20, 1
	s_delay_alu instid0(VALU_DEP_1) | instskip(NEXT) | instid1(VALU_DEP_1)
	v_add3_u32 v1, v4, v1, 0x407ffff
	v_and_b32_e32 v4, 0xff00000, v1
	v_lshrrev_b32_e32 v1, 20, v1
	s_delay_alu instid0(VALU_DEP_2) | instskip(NEXT) | instid1(VALU_DEP_2)
	v_cmp_ne_u32_e32 vcc_lo, 0x7f00000, v4
                                        ; implicit-def: $vgpr4
	v_cndmask_b32_e32 v1, 0x7e, v1, vcc_lo
; %bb.94:
	s_and_not1_saveexec_b32 s31, s31
; %bb.95:
	v_add_f32_e32 v1, 0x46800000, v4
; %bb.96:
	s_or_b32 exec_lo, exec_lo, s31
                                        ; implicit-def: $vgpr4
.LBB143_97:
	s_and_not1_saveexec_b32 s30, s30
; %bb.98:
	v_mov_b32_e32 v1, 0x7f
	v_cmp_lt_u32_e32 vcc_lo, 0x7f800000, v4
	s_delay_alu instid0(VALU_DEP_2)
	v_cndmask_b32_e32 v1, 0x7e, v1, vcc_lo
; %bb.99:
	s_or_b32 exec_lo, exec_lo, s30
	global_store_b8 v[2:3], v1, off
.LBB143_100:
	s_mov_b32 s30, 0
.LBB143_101:
	s_delay_alu instid0(SALU_CYCLE_1)
	s_and_not1_b32 vcc_lo, exec_lo, s30
	s_cbranch_vccnz .LBB143_111
; %bb.102:
	s_wait_xcnt 0x0
	v_cndmask_b32_e64 v4, 0, 1.0, s27
	s_mov_b32 s30, exec_lo
                                        ; implicit-def: $vgpr1
	s_delay_alu instid0(VALU_DEP_1)
	v_cmpx_gt_u32_e32 0x47800000, v4
	s_xor_b32 s30, exec_lo, s30
	s_cbranch_execz .LBB143_108
; %bb.103:
	s_mov_b32 s31, exec_lo
                                        ; implicit-def: $vgpr1
	v_cmpx_lt_u32_e32 0x387fffff, v4
	s_xor_b32 s31, exec_lo, s31
; %bb.104:
	v_bfe_u32 v1, v4, 21, 1
	s_delay_alu instid0(VALU_DEP_1) | instskip(NEXT) | instid1(VALU_DEP_1)
	v_add3_u32 v1, v4, v1, 0x80fffff
                                        ; implicit-def: $vgpr4
	v_lshrrev_b32_e32 v1, 21, v1
; %bb.105:
	s_and_not1_saveexec_b32 s31, s31
; %bb.106:
	v_add_f32_e32 v1, 0x43000000, v4
; %bb.107:
	s_or_b32 exec_lo, exec_lo, s31
                                        ; implicit-def: $vgpr4
.LBB143_108:
	s_and_not1_saveexec_b32 s30, s30
; %bb.109:
	v_mov_b32_e32 v1, 0x7f
	v_cmp_lt_u32_e32 vcc_lo, 0x7f800000, v4
	s_delay_alu instid0(VALU_DEP_2)
	v_cndmask_b32_e32 v1, 0x7c, v1, vcc_lo
; %bb.110:
	s_or_b32 exec_lo, exec_lo, s30
	global_store_b8 v[2:3], v1, off
.LBB143_111:
	s_mov_b32 s31, 0
	s_mov_b32 s30, -1
.LBB143_112:
	s_and_not1_b32 vcc_lo, exec_lo, s31
	s_cbranch_vccnz .LBB143_120
; %bb.113:
	s_cmp_gt_i32 s29, 14
	s_mov_b32 s31, -1
	s_cbranch_scc0 .LBB143_117
; %bb.114:
	s_cmp_eq_u32 s29, 15
	s_mov_b32 s0, -1
	s_cbranch_scc0 .LBB143_116
; %bb.115:
	s_wait_xcnt 0x0
	v_cndmask_b32_e64 v1, 0, 1.0, s27
	s_mov_b32 s30, -1
	s_mov_b32 s0, 0
	s_delay_alu instid0(VALU_DEP_1) | instskip(NEXT) | instid1(VALU_DEP_1)
	v_bfe_u32 v4, v1, 16, 1
	v_add3_u32 v1, v1, v4, 0x7fff
	global_store_d16_hi_b16 v[2:3], v1, off
.LBB143_116:
	s_mov_b32 s31, 0
.LBB143_117:
	s_delay_alu instid0(SALU_CYCLE_1)
	s_and_b32 vcc_lo, exec_lo, s31
	s_cbranch_vccz .LBB143_120
; %bb.118:
	s_cmp_eq_u32 s29, 11
	s_mov_b32 s0, -1
	s_cbranch_scc0 .LBB143_120
; %bb.119:
	s_wait_xcnt 0x0
	v_cndmask_b32_e64 v1, 0, 1, s27
	s_mov_b32 s30, -1
	s_mov_b32 s0, 0
	global_store_b8 v[2:3], v1, off
.LBB143_120:
	s_branch .LBB143_38
.LBB143_121:
	s_and_b32 s28, 0xffff, s28
	s_mov_b32 s29, -1
	s_cmp_lt_i32 s28, 5
	s_cbranch_scc1 .LBB143_142
; %bb.122:
	s_cmp_lt_i32 s28, 8
	s_cbranch_scc1 .LBB143_132
; %bb.123:
	s_cmp_lt_i32 s28, 9
	s_cbranch_scc1 .LBB143_129
; %bb.124:
	s_cmp_gt_i32 s28, 9
	s_cbranch_scc0 .LBB143_126
; %bb.125:
	s_wait_xcnt 0x0
	v_cndmask_b32_e64 v1, 0, 1, s27
	s_wait_loadcnt 0x0
	v_mov_b32_e32 v6, 0
	s_mov_b32 s29, 0
	s_delay_alu instid0(VALU_DEP_2) | instskip(NEXT) | instid1(VALU_DEP_2)
	v_cvt_f64_u32_e32 v[4:5], v1
	v_mov_b32_e32 v7, v6
	global_store_b128 v[2:3], v[4:7], off
.LBB143_126:
	s_and_not1_b32 vcc_lo, exec_lo, s29
	s_cbranch_vccnz .LBB143_128
; %bb.127:
	s_wait_xcnt 0x0
	v_cndmask_b32_e64 v4, 0, 1.0, s27
	v_mov_b32_e32 v5, 0
	global_store_b64 v[2:3], v[4:5], off
.LBB143_128:
	s_mov_b32 s29, 0
.LBB143_129:
	s_delay_alu instid0(SALU_CYCLE_1)
	s_and_not1_b32 vcc_lo, exec_lo, s29
	s_cbranch_vccnz .LBB143_131
; %bb.130:
	s_wait_xcnt 0x0
	v_cndmask_b32_e64 v1, 0, 1.0, s27
	s_delay_alu instid0(VALU_DEP_1) | instskip(NEXT) | instid1(VALU_DEP_1)
	v_cvt_f16_f32_e32 v1, v1
	v_and_b32_e32 v1, 0xffff, v1
	global_store_b32 v[2:3], v1, off
.LBB143_131:
	s_mov_b32 s29, 0
.LBB143_132:
	s_delay_alu instid0(SALU_CYCLE_1)
	s_and_not1_b32 vcc_lo, exec_lo, s29
	s_cbranch_vccnz .LBB143_141
; %bb.133:
	s_cmp_lt_i32 s28, 6
	s_mov_b32 s29, -1
	s_cbranch_scc1 .LBB143_139
; %bb.134:
	s_cmp_gt_i32 s28, 6
	s_cbranch_scc0 .LBB143_136
; %bb.135:
	s_wait_xcnt 0x0
	v_cndmask_b32_e64 v1, 0, 1, s27
	s_mov_b32 s29, 0
	s_delay_alu instid0(VALU_DEP_1)
	v_cvt_f64_u32_e32 v[4:5], v1
	global_store_b64 v[2:3], v[4:5], off
.LBB143_136:
	s_and_not1_b32 vcc_lo, exec_lo, s29
	s_cbranch_vccnz .LBB143_138
; %bb.137:
	s_wait_xcnt 0x0
	v_cndmask_b32_e64 v1, 0, 1.0, s27
	global_store_b32 v[2:3], v1, off
.LBB143_138:
	s_mov_b32 s29, 0
.LBB143_139:
	s_delay_alu instid0(SALU_CYCLE_1)
	s_and_not1_b32 vcc_lo, exec_lo, s29
	s_cbranch_vccnz .LBB143_141
; %bb.140:
	s_wait_xcnt 0x0
	v_cndmask_b32_e64 v1, 0, 1.0, s27
	s_delay_alu instid0(VALU_DEP_1)
	v_cvt_f16_f32_e32 v1, v1
	global_store_b16 v[2:3], v1, off
.LBB143_141:
	s_mov_b32 s29, 0
.LBB143_142:
	s_delay_alu instid0(SALU_CYCLE_1)
	s_and_not1_b32 vcc_lo, exec_lo, s29
	s_cbranch_vccnz .LBB143_158
; %bb.143:
	s_cmp_lt_i32 s28, 2
	s_mov_b32 s29, -1
	s_cbranch_scc1 .LBB143_153
; %bb.144:
	s_cmp_lt_i32 s28, 3
	s_cbranch_scc1 .LBB143_150
; %bb.145:
	s_cmp_gt_i32 s28, 3
	s_cbranch_scc0 .LBB143_147
; %bb.146:
	s_mov_b32 s29, 0
	s_wait_xcnt 0x0
	v_cndmask_b32_e64 v4, 0, 1, s27
	v_mov_b32_e32 v5, s29
	global_store_b64 v[2:3], v[4:5], off
.LBB143_147:
	s_and_not1_b32 vcc_lo, exec_lo, s29
	s_cbranch_vccnz .LBB143_149
; %bb.148:
	s_wait_xcnt 0x0
	v_cndmask_b32_e64 v1, 0, 1, s27
	global_store_b32 v[2:3], v1, off
.LBB143_149:
	s_mov_b32 s29, 0
.LBB143_150:
	s_delay_alu instid0(SALU_CYCLE_1)
	s_and_not1_b32 vcc_lo, exec_lo, s29
	s_cbranch_vccnz .LBB143_152
; %bb.151:
	s_wait_xcnt 0x0
	v_cndmask_b32_e64 v1, 0, 1, s27
	global_store_b16 v[2:3], v1, off
.LBB143_152:
	s_mov_b32 s29, 0
.LBB143_153:
	s_delay_alu instid0(SALU_CYCLE_1)
	s_and_not1_b32 vcc_lo, exec_lo, s29
	s_cbranch_vccnz .LBB143_158
; %bb.154:
	s_cmp_gt_i32 s28, 0
	s_mov_b32 s28, -1
	s_cbranch_scc0 .LBB143_156
; %bb.155:
	s_wait_xcnt 0x0
	v_cndmask_b32_e64 v1, 0, 1, s27
	s_mov_b32 s28, 0
	global_store_b8 v[2:3], v1, off
.LBB143_156:
	s_and_not1_b32 vcc_lo, exec_lo, s28
	s_cbranch_vccnz .LBB143_158
; %bb.157:
	s_wait_xcnt 0x0
	v_cndmask_b32_e64 v1, 0, 1, s27
	global_store_b8 v[2:3], v1, off
.LBB143_158:
.LBB143_159:
	v_add_nc_u32_e32 v0, 0x80, v0
	s_mov_b32 s27, -1
	s_branch .LBB143_274
.LBB143_160:
	s_mov_b32 s26, -1
                                        ; implicit-def: $vgpr6
.LBB143_161:
	v_mov_b32_e32 v7, 0
.LBB143_162:
	s_mov_b32 s28, 0
.LBB143_163:
	s_delay_alu instid0(SALU_CYCLE_1)
	s_and_b32 vcc_lo, exec_lo, s28
	s_cbranch_vccz .LBB143_168
; %bb.164:
	s_cmp_eq_u32 s0, 29
	s_cbranch_scc0 .LBB143_166
; %bb.165:
	global_load_b64 v[6:7], v[4:5], off
	s_mov_b32 s27, -1
	s_mov_b32 s26, 0
	s_wait_loadcnt 0x0
	v_clz_i32_u32_e32 v1, v7
	s_delay_alu instid0(VALU_DEP_1) | instskip(NEXT) | instid1(VALU_DEP_1)
	v_min_u32_e32 v1, 32, v1
	v_lshlrev_b64_e32 v[6:7], v1, v[6:7]
	v_sub_nc_u32_e32 v1, 32, v1
	s_delay_alu instid0(VALU_DEP_2) | instskip(NEXT) | instid1(VALU_DEP_1)
	v_min_u32_e32 v3, 1, v6
	v_or_b32_e32 v3, v7, v3
	s_delay_alu instid0(VALU_DEP_1) | instskip(NEXT) | instid1(VALU_DEP_1)
	v_cvt_f32_u32_e32 v3, v3
	v_ldexp_f32 v6, v3, v1
	s_branch .LBB143_167
.LBB143_166:
	s_mov_b32 s26, -1
                                        ; implicit-def: $vgpr6
.LBB143_167:
	v_mov_b32_e32 v7, 0
.LBB143_168:
	s_mov_b32 s28, 0
.LBB143_169:
	s_delay_alu instid0(SALU_CYCLE_1)
	s_and_b32 vcc_lo, exec_lo, s28
	s_cbranch_vccz .LBB143_187
; %bb.170:
	s_cmp_lt_i32 s0, 27
	s_cbranch_scc1 .LBB143_173
; %bb.171:
	s_cmp_gt_i32 s0, 27
	s_cbranch_scc0 .LBB143_174
; %bb.172:
	global_load_b32 v1, v[4:5], off
	s_mov_b32 s27, 0
	s_wait_loadcnt 0x0
	v_cvt_f32_u32_e32 v6, v1
	s_branch .LBB143_175
.LBB143_173:
	s_mov_b32 s27, -1
                                        ; implicit-def: $vgpr6
	s_branch .LBB143_178
.LBB143_174:
	s_mov_b32 s27, -1
                                        ; implicit-def: $vgpr6
.LBB143_175:
	s_delay_alu instid0(SALU_CYCLE_1)
	s_and_not1_b32 vcc_lo, exec_lo, s27
	s_cbranch_vccnz .LBB143_177
; %bb.176:
	global_load_u16 v1, v[4:5], off
	s_wait_loadcnt 0x0
	v_cvt_f32_u32_e32 v6, v1
.LBB143_177:
	s_mov_b32 s27, 0
.LBB143_178:
	s_delay_alu instid0(SALU_CYCLE_1)
	s_and_not1_b32 vcc_lo, exec_lo, s27
	s_cbranch_vccnz .LBB143_186
; %bb.179:
	global_load_u8 v1, v[4:5], off
	s_mov_b32 s27, 0
	s_mov_b32 s28, exec_lo
	s_wait_loadcnt 0x0
	v_cmpx_lt_i16_e32 0x7f, v1
	s_xor_b32 s28, exec_lo, s28
	s_cbranch_execz .LBB143_199
; %bb.180:
	s_mov_b32 s27, -1
	s_mov_b32 s29, exec_lo
	v_cmpx_eq_u16_e32 0x80, v1
; %bb.181:
	s_xor_b32 s27, exec_lo, -1
; %bb.182:
	s_or_b32 exec_lo, exec_lo, s29
	s_delay_alu instid0(SALU_CYCLE_1)
	s_and_b32 s27, s27, exec_lo
	s_or_saveexec_b32 s28, s28
	v_mov_b32_e32 v6, 0x7f800001
	s_xor_b32 exec_lo, exec_lo, s28
	s_cbranch_execnz .LBB143_200
.LBB143_183:
	s_or_b32 exec_lo, exec_lo, s28
	s_and_saveexec_b32 s28, s27
	s_cbranch_execz .LBB143_185
.LBB143_184:
	v_and_b32_e32 v3, 0xffff, v1
	s_delay_alu instid0(VALU_DEP_1) | instskip(SKIP_1) | instid1(VALU_DEP_2)
	v_dual_lshlrev_b32 v1, 24, v1 :: v_dual_bitop2_b32 v6, 7, v3 bitop3:0x40
	v_bfe_u32 v9, v3, 3, 4
	v_and_b32_e32 v1, 0x80000000, v1
	s_delay_alu instid0(VALU_DEP_3) | instskip(NEXT) | instid1(VALU_DEP_3)
	v_clz_i32_u32_e32 v7, v6
	v_cmp_eq_u32_e32 vcc_lo, 0, v9
	s_delay_alu instid0(VALU_DEP_2) | instskip(NEXT) | instid1(VALU_DEP_1)
	v_min_u32_e32 v7, 32, v7
	v_subrev_nc_u32_e32 v8, 28, v7
	v_sub_nc_u32_e32 v7, 29, v7
	s_delay_alu instid0(VALU_DEP_2) | instskip(NEXT) | instid1(VALU_DEP_2)
	v_lshlrev_b32_e32 v3, v8, v3
	v_cndmask_b32_e32 v7, v9, v7, vcc_lo
	s_delay_alu instid0(VALU_DEP_2) | instskip(NEXT) | instid1(VALU_DEP_1)
	v_and_b32_e32 v3, 7, v3
	v_cndmask_b32_e32 v3, v6, v3, vcc_lo
	s_delay_alu instid0(VALU_DEP_3) | instskip(NEXT) | instid1(VALU_DEP_2)
	v_lshl_add_u32 v6, v7, 23, 0x3b800000
	v_lshlrev_b32_e32 v3, 20, v3
	s_delay_alu instid0(VALU_DEP_1)
	v_or3_b32 v6, v1, v6, v3
.LBB143_185:
	s_or_b32 exec_lo, exec_lo, s28
.LBB143_186:
	v_mov_b32_e32 v7, 0
	s_mov_b32 s27, -1
.LBB143_187:
	s_branch .LBB143_222
.LBB143_188:
	s_cmp_gt_i32 s0, 22
	s_cbranch_scc0 .LBB143_198
; %bb.189:
	s_cmp_lt_i32 s0, 24
	s_cbranch_scc1 .LBB143_201
; %bb.190:
	s_cmp_gt_i32 s0, 24
	s_cbranch_scc0 .LBB143_202
; %bb.191:
	global_load_u8 v1, v[4:5], off
	s_mov_b32 s27, 0
	s_mov_b32 s28, exec_lo
	s_wait_loadcnt 0x0
	v_cmpx_lt_i16_e32 0x7f, v1
	s_xor_b32 s28, exec_lo, s28
	s_cbranch_execz .LBB143_213
; %bb.192:
	s_mov_b32 s27, -1
	s_mov_b32 s29, exec_lo
	v_cmpx_eq_u16_e32 0x80, v1
; %bb.193:
	s_xor_b32 s27, exec_lo, -1
; %bb.194:
	s_or_b32 exec_lo, exec_lo, s29
	s_delay_alu instid0(SALU_CYCLE_1)
	s_and_b32 s27, s27, exec_lo
	s_or_saveexec_b32 s28, s28
	v_mov_b32_e32 v6, 0x7f800001
	s_xor_b32 exec_lo, exec_lo, s28
	s_cbranch_execnz .LBB143_214
.LBB143_195:
	s_or_b32 exec_lo, exec_lo, s28
	s_and_saveexec_b32 s28, s27
	s_cbranch_execz .LBB143_197
.LBB143_196:
	v_and_b32_e32 v3, 0xffff, v1
	s_delay_alu instid0(VALU_DEP_1) | instskip(SKIP_1) | instid1(VALU_DEP_2)
	v_dual_lshlrev_b32 v1, 24, v1 :: v_dual_bitop2_b32 v6, 3, v3 bitop3:0x40
	v_bfe_u32 v9, v3, 2, 5
	v_and_b32_e32 v1, 0x80000000, v1
	s_delay_alu instid0(VALU_DEP_3) | instskip(NEXT) | instid1(VALU_DEP_3)
	v_clz_i32_u32_e32 v7, v6
	v_cmp_eq_u32_e32 vcc_lo, 0, v9
	s_delay_alu instid0(VALU_DEP_2) | instskip(NEXT) | instid1(VALU_DEP_1)
	v_min_u32_e32 v7, 32, v7
	v_subrev_nc_u32_e32 v8, 29, v7
	v_sub_nc_u32_e32 v7, 30, v7
	s_delay_alu instid0(VALU_DEP_2) | instskip(NEXT) | instid1(VALU_DEP_2)
	v_lshlrev_b32_e32 v3, v8, v3
	v_cndmask_b32_e32 v7, v9, v7, vcc_lo
	s_delay_alu instid0(VALU_DEP_2) | instskip(NEXT) | instid1(VALU_DEP_1)
	v_and_b32_e32 v3, 3, v3
	v_cndmask_b32_e32 v3, v6, v3, vcc_lo
	s_delay_alu instid0(VALU_DEP_3) | instskip(NEXT) | instid1(VALU_DEP_2)
	v_lshl_add_u32 v6, v7, 23, 0x37800000
	v_lshlrev_b32_e32 v3, 21, v3
	s_delay_alu instid0(VALU_DEP_1)
	v_or3_b32 v6, v1, v6, v3
.LBB143_197:
	s_or_b32 exec_lo, exec_lo, s28
	s_mov_b32 s27, 0
	s_branch .LBB143_203
.LBB143_198:
                                        ; implicit-def: $vgpr6
	s_branch .LBB143_209
.LBB143_199:
	s_or_saveexec_b32 s28, s28
	v_mov_b32_e32 v6, 0x7f800001
	s_xor_b32 exec_lo, exec_lo, s28
	s_cbranch_execz .LBB143_183
.LBB143_200:
	v_cmp_ne_u16_e32 vcc_lo, 0, v1
	v_mov_b32_e32 v6, 0
	s_and_not1_b32 s27, s27, exec_lo
	s_and_b32 s29, vcc_lo, exec_lo
	s_delay_alu instid0(SALU_CYCLE_1)
	s_or_b32 s27, s27, s29
	s_or_b32 exec_lo, exec_lo, s28
	s_and_saveexec_b32 s28, s27
	s_cbranch_execnz .LBB143_184
	s_branch .LBB143_185
.LBB143_201:
	s_mov_b32 s27, -1
                                        ; implicit-def: $vgpr6
	s_branch .LBB143_206
.LBB143_202:
	s_mov_b32 s27, -1
                                        ; implicit-def: $vgpr6
.LBB143_203:
	s_delay_alu instid0(SALU_CYCLE_1)
	s_and_b32 vcc_lo, exec_lo, s27
	s_cbranch_vccz .LBB143_205
; %bb.204:
	global_load_u8 v1, v[4:5], off
	s_wait_loadcnt 0x0
	v_lshlrev_b32_e32 v1, 24, v1
	s_delay_alu instid0(VALU_DEP_1) | instskip(NEXT) | instid1(VALU_DEP_1)
	v_and_b32_e32 v3, 0x7f000000, v1
	v_clz_i32_u32_e32 v6, v3
	v_cmp_ne_u32_e32 vcc_lo, 0, v3
	v_add_nc_u32_e32 v8, 0x1000000, v3
	s_delay_alu instid0(VALU_DEP_3) | instskip(NEXT) | instid1(VALU_DEP_1)
	v_min_u32_e32 v6, 32, v6
	v_sub_nc_u32_e64 v6, v6, 4 clamp
	s_delay_alu instid0(VALU_DEP_1) | instskip(NEXT) | instid1(VALU_DEP_1)
	v_dual_lshlrev_b32 v7, v6, v3 :: v_dual_lshlrev_b32 v6, 23, v6
	v_lshrrev_b32_e32 v7, 4, v7
	s_delay_alu instid0(VALU_DEP_1) | instskip(NEXT) | instid1(VALU_DEP_1)
	v_dual_sub_nc_u32 v6, v7, v6 :: v_dual_ashrrev_i32 v7, 8, v8
	v_add_nc_u32_e32 v6, 0x3c000000, v6
	s_delay_alu instid0(VALU_DEP_1) | instskip(NEXT) | instid1(VALU_DEP_1)
	v_and_or_b32 v6, 0x7f800000, v7, v6
	v_cndmask_b32_e32 v3, 0, v6, vcc_lo
	s_delay_alu instid0(VALU_DEP_1)
	v_and_or_b32 v6, 0x80000000, v1, v3
.LBB143_205:
	s_mov_b32 s27, 0
.LBB143_206:
	s_delay_alu instid0(SALU_CYCLE_1)
	s_and_not1_b32 vcc_lo, exec_lo, s27
	s_cbranch_vccnz .LBB143_208
; %bb.207:
	global_load_u8 v1, v[4:5], off
	s_wait_loadcnt 0x0
	v_lshlrev_b32_e32 v3, 25, v1
	v_lshlrev_b16 v1, 8, v1
	s_delay_alu instid0(VALU_DEP_1) | instskip(SKIP_1) | instid1(VALU_DEP_2)
	v_and_or_b32 v7, 0x7f00, v1, 0.5
	v_bfe_i32 v1, v1, 0, 16
	v_add_f32_e32 v7, -0.5, v7
	v_lshrrev_b32_e32 v6, 4, v3
	v_cmp_gt_u32_e32 vcc_lo, 0x8000000, v3
	s_delay_alu instid0(VALU_DEP_2) | instskip(NEXT) | instid1(VALU_DEP_1)
	v_or_b32_e32 v6, 0x70000000, v6
	v_mul_f32_e32 v6, 0x7800000, v6
	s_delay_alu instid0(VALU_DEP_1) | instskip(NEXT) | instid1(VALU_DEP_1)
	v_cndmask_b32_e32 v3, v6, v7, vcc_lo
	v_and_or_b32 v6, 0x80000000, v1, v3
.LBB143_208:
	s_mov_b32 s27, -1
	s_cbranch_execnz .LBB143_221
.LBB143_209:
	s_cmp_gt_i32 s0, 14
	s_cbranch_scc0 .LBB143_212
; %bb.210:
	s_cmp_eq_u32 s0, 15
	s_cbranch_scc0 .LBB143_215
; %bb.211:
	global_load_u16 v1, v[4:5], off
	s_mov_b32 s27, -1
	s_mov_b32 s26, 0
	s_wait_loadcnt 0x0
	v_lshlrev_b32_e32 v6, 16, v1
	s_branch .LBB143_216
.LBB143_212:
	s_mov_b32 s28, -1
                                        ; implicit-def: $vgpr6
	s_branch .LBB143_217
.LBB143_213:
	s_or_saveexec_b32 s28, s28
	v_mov_b32_e32 v6, 0x7f800001
	s_xor_b32 exec_lo, exec_lo, s28
	s_cbranch_execz .LBB143_195
.LBB143_214:
	v_cmp_ne_u16_e32 vcc_lo, 0, v1
	v_mov_b32_e32 v6, 0
	s_and_not1_b32 s27, s27, exec_lo
	s_and_b32 s29, vcc_lo, exec_lo
	s_delay_alu instid0(SALU_CYCLE_1)
	s_or_b32 s27, s27, s29
	s_or_b32 exec_lo, exec_lo, s28
	s_and_saveexec_b32 s28, s27
	s_cbranch_execnz .LBB143_196
	s_branch .LBB143_197
.LBB143_215:
	s_mov_b32 s26, -1
                                        ; implicit-def: $vgpr6
.LBB143_216:
	s_mov_b32 s28, 0
.LBB143_217:
	s_delay_alu instid0(SALU_CYCLE_1)
	s_and_b32 vcc_lo, exec_lo, s28
	s_cbranch_vccz .LBB143_221
; %bb.218:
	s_cmp_eq_u32 s0, 11
	s_cbranch_scc0 .LBB143_220
; %bb.219:
	global_load_u8 v1, v[4:5], off
	s_mov_b32 s26, 0
	s_mov_b32 s27, -1
	v_mov_b32_e32 v7, 0
	s_wait_loadcnt 0x0
	v_cmp_ne_u16_e32 vcc_lo, 0, v1
	v_cndmask_b32_e64 v6, 0, 1.0, vcc_lo
	s_branch .LBB143_222
.LBB143_220:
	s_mov_b32 s26, -1
                                        ; implicit-def: $vgpr6
.LBB143_221:
	v_mov_b32_e32 v7, 0
.LBB143_222:
	s_branch .LBB143_25
.LBB143_223:
	s_cmp_lt_i32 s0, 5
	s_cbranch_scc1 .LBB143_228
; %bb.224:
	s_cmp_lt_i32 s0, 8
	s_cbranch_scc1 .LBB143_229
; %bb.225:
	;; [unrolled: 3-line block ×3, first 2 shown]
	s_cmp_gt_i32 s0, 9
	s_cbranch_scc0 .LBB143_231
; %bb.227:
	global_load_b128 v[6:9], v[4:5], off
	s_mov_b32 s27, 0
	s_wait_loadcnt 0x0
	v_cvt_f32_f64_e32 v6, v[6:7]
	v_cvt_f32_f64_e32 v7, v[8:9]
	s_branch .LBB143_232
.LBB143_228:
                                        ; implicit-def: $vgpr7
	s_branch .LBB143_251
.LBB143_229:
	s_mov_b32 s27, -1
                                        ; implicit-def: $vgpr7
	s_branch .LBB143_238
.LBB143_230:
	s_mov_b32 s27, -1
                                        ; implicit-def: $vgpr7
	s_branch .LBB143_235
.LBB143_231:
	s_mov_b32 s27, -1
                                        ; implicit-def: $vgpr7
.LBB143_232:
	s_delay_alu instid0(SALU_CYCLE_1)
	s_and_not1_b32 vcc_lo, exec_lo, s27
	s_cbranch_vccnz .LBB143_234
; %bb.233:
	global_load_b64 v[6:7], v[4:5], off
.LBB143_234:
	s_mov_b32 s27, 0
.LBB143_235:
	s_delay_alu instid0(SALU_CYCLE_1)
	s_and_not1_b32 vcc_lo, exec_lo, s27
	s_cbranch_vccnz .LBB143_237
; %bb.236:
	global_load_b32 v1, v[4:5], off
	s_wait_loadcnt 0x0
	v_lshrrev_b32_e32 v3, 16, v1
	v_cvt_f32_f16_e32 v6, v1
	s_delay_alu instid0(VALU_DEP_2)
	v_cvt_f32_f16_e32 v7, v3
.LBB143_237:
	s_mov_b32 s27, 0
.LBB143_238:
	s_delay_alu instid0(SALU_CYCLE_1)
	s_and_not1_b32 vcc_lo, exec_lo, s27
	s_cbranch_vccnz .LBB143_250
; %bb.239:
	s_cmp_lt_i32 s0, 6
	s_cbranch_scc1 .LBB143_242
; %bb.240:
	s_cmp_gt_i32 s0, 6
	s_cbranch_scc0 .LBB143_243
; %bb.241:
	s_wait_loadcnt 0x0
	global_load_b64 v[6:7], v[4:5], off
	s_mov_b32 s27, 0
	s_wait_loadcnt 0x0
	v_cvt_f32_f64_e32 v6, v[6:7]
	s_branch .LBB143_244
.LBB143_242:
	s_mov_b32 s27, -1
                                        ; implicit-def: $vgpr6
	s_branch .LBB143_247
.LBB143_243:
	s_mov_b32 s27, -1
                                        ; implicit-def: $vgpr6
.LBB143_244:
	s_delay_alu instid0(SALU_CYCLE_1)
	s_and_not1_b32 vcc_lo, exec_lo, s27
	s_cbranch_vccnz .LBB143_246
; %bb.245:
	s_wait_loadcnt 0x0
	global_load_b32 v6, v[4:5], off
.LBB143_246:
	s_mov_b32 s27, 0
.LBB143_247:
	s_delay_alu instid0(SALU_CYCLE_1)
	s_and_not1_b32 vcc_lo, exec_lo, s27
	s_cbranch_vccnz .LBB143_249
; %bb.248:
	global_load_u16 v1, v[4:5], off
	s_wait_loadcnt 0x0
	v_cvt_f32_f16_e32 v6, v1
.LBB143_249:
	s_wait_loadcnt 0x0
	v_mov_b32_e32 v7, 0
.LBB143_250:
	s_cbranch_execnz .LBB143_271
.LBB143_251:
	s_cmp_lt_i32 s0, 2
	s_cbranch_scc1 .LBB143_255
; %bb.252:
	s_cmp_lt_i32 s0, 3
	s_cbranch_scc1 .LBB143_256
; %bb.253:
	s_cmp_gt_i32 s0, 3
	s_cbranch_scc0 .LBB143_257
; %bb.254:
	s_wait_loadcnt 0x0
	global_load_b64 v[6:7], v[4:5], off
	s_mov_b32 s27, 0
	s_wait_loadcnt 0x0
	v_xor_b32_e32 v1, v6, v7
	v_cls_i32_e32 v3, v7
	s_delay_alu instid0(VALU_DEP_2) | instskip(NEXT) | instid1(VALU_DEP_1)
	v_ashrrev_i32_e32 v1, 31, v1
	v_add_nc_u32_e32 v1, 32, v1
	s_delay_alu instid0(VALU_DEP_1) | instskip(NEXT) | instid1(VALU_DEP_1)
	v_add_min_u32_e64 v1, v3, -1, v1
	v_lshlrev_b64_e32 v[6:7], v1, v[6:7]
	v_sub_nc_u32_e32 v1, 32, v1
	s_delay_alu instid0(VALU_DEP_2) | instskip(NEXT) | instid1(VALU_DEP_1)
	v_min_u32_e32 v3, 1, v6
	v_or_b32_e32 v3, v7, v3
	s_delay_alu instid0(VALU_DEP_1) | instskip(NEXT) | instid1(VALU_DEP_1)
	v_cvt_f32_i32_e32 v3, v3
	v_ldexp_f32 v6, v3, v1
	s_branch .LBB143_258
.LBB143_255:
	s_mov_b32 s27, -1
                                        ; implicit-def: $vgpr6
	s_branch .LBB143_264
.LBB143_256:
	s_mov_b32 s27, -1
                                        ; implicit-def: $vgpr6
	s_branch .LBB143_261
.LBB143_257:
	s_mov_b32 s27, -1
                                        ; implicit-def: $vgpr6
.LBB143_258:
	s_delay_alu instid0(SALU_CYCLE_1)
	s_and_not1_b32 vcc_lo, exec_lo, s27
	s_cbranch_vccnz .LBB143_260
; %bb.259:
	global_load_b32 v1, v[4:5], off
	s_wait_loadcnt 0x0
	v_cvt_f32_i32_e32 v6, v1
.LBB143_260:
	s_mov_b32 s27, 0
.LBB143_261:
	s_delay_alu instid0(SALU_CYCLE_1)
	s_and_not1_b32 vcc_lo, exec_lo, s27
	s_cbranch_vccnz .LBB143_263
; %bb.262:
	global_load_i16 v1, v[4:5], off
	s_wait_loadcnt 0x0
	v_cvt_f32_i32_e32 v6, v1
.LBB143_263:
	s_mov_b32 s27, 0
.LBB143_264:
	s_delay_alu instid0(SALU_CYCLE_1)
	s_and_not1_b32 vcc_lo, exec_lo, s27
	s_cbranch_vccnz .LBB143_270
; %bb.265:
	s_cmp_gt_i32 s0, 0
	s_mov_b32 s0, 0
	s_cbranch_scc0 .LBB143_267
; %bb.266:
	global_load_i8 v1, v[4:5], off
	s_wait_loadcnt 0x0
	v_cvt_f32_i32_e32 v6, v1
	s_branch .LBB143_268
.LBB143_267:
	s_mov_b32 s0, -1
                                        ; implicit-def: $vgpr6
.LBB143_268:
	s_delay_alu instid0(SALU_CYCLE_1)
	s_and_not1_b32 vcc_lo, exec_lo, s0
	s_cbranch_vccnz .LBB143_270
; %bb.269:
	global_load_u8 v1, v[4:5], off
	s_wait_loadcnt 0x0
	v_cvt_f32_ubyte0_e32 v6, v1
.LBB143_270:
	s_wait_loadcnt 0x0
	v_mov_b32_e32 v7, 0
.LBB143_271:
	s_branch .LBB143_26
.LBB143_272:
	s_mov_b32 s0, 0
.LBB143_273:
	s_mov_b32 s27, 0
                                        ; implicit-def: $vgpr0
.LBB143_274:
	s_and_b32 s42, s0, exec_lo
	s_and_b32 s43, s26, exec_lo
	s_or_not1_b32 s27, s27, exec_lo
.LBB143_275:
	s_wait_xcnt 0x0
	s_or_b32 exec_lo, exec_lo, s44
	s_mov_b32 s26, 0
	s_mov_b32 s0, 0
                                        ; implicit-def: $vgpr4_vgpr5
                                        ; implicit-def: $vgpr2
                                        ; implicit-def: $vgpr7
	s_and_saveexec_b32 s44, s27
	s_cbranch_execz .LBB143_283
; %bb.276:
	s_mov_b32 s0, -1
	s_mov_b32 s45, s43
	s_mov_b32 s46, s42
	s_mov_b32 s47, exec_lo
	v_cmpx_gt_i32_e64 s39, v0
	s_cbranch_execz .LBB143_563
; %bb.277:
	s_and_not1_b32 vcc_lo, exec_lo, s35
	s_cbranch_vccnz .LBB143_286
; %bb.278:
	s_and_not1_b32 vcc_lo, exec_lo, s41
	s_cbranch_vccnz .LBB143_287
; %bb.279:
	s_add_co_i32 s0, s40, 1
	s_cmp_eq_u32 s33, 2
	s_cbranch_scc1 .LBB143_288
; %bb.280:
	v_dual_mov_b32 v2, 0 :: v_dual_mov_b32 v4, 0
	v_mov_b32_e32 v1, v0
	s_and_b32 s26, s0, 28
	s_mov_b32 s27, 0
	s_mov_b64 s[28:29], s[2:3]
	s_mov_b64 s[30:31], s[24:25]
.LBB143_281:                            ; =>This Inner Loop Header: Depth=1
	s_clause 0x1
	s_load_b256 s[48:55], s[28:29], 0x4
	s_load_b128 s[64:67], s[28:29], 0x24
	s_load_b256 s[56:63], s[30:31], 0x0
	s_add_co_i32 s27, s27, 4
	s_wait_xcnt 0x0
	s_add_nc_u64 s[28:29], s[28:29], 48
	s_cmp_eq_u32 s26, s27
	s_add_nc_u64 s[30:31], s[30:31], 32
	s_wait_kmcnt 0x0
	v_mul_hi_u32 v3, s49, v1
	s_delay_alu instid0(VALU_DEP_1) | instskip(NEXT) | instid1(VALU_DEP_1)
	v_add_nc_u32_e32 v3, v1, v3
	v_lshrrev_b32_e32 v3, s50, v3
	s_delay_alu instid0(VALU_DEP_1) | instskip(NEXT) | instid1(VALU_DEP_1)
	v_mul_hi_u32 v5, s52, v3
	v_add_nc_u32_e32 v5, v3, v5
	s_delay_alu instid0(VALU_DEP_1) | instskip(SKIP_1) | instid1(VALU_DEP_1)
	v_lshrrev_b32_e32 v5, s53, v5
	s_wait_loadcnt 0x0
	v_mul_hi_u32 v6, s55, v5
	s_delay_alu instid0(VALU_DEP_1) | instskip(SKIP_1) | instid1(VALU_DEP_1)
	v_add_nc_u32_e32 v6, v5, v6
	v_mul_lo_u32 v7, v3, s48
	v_sub_nc_u32_e32 v1, v1, v7
	v_mul_lo_u32 v7, v5, s51
	s_delay_alu instid0(VALU_DEP_4) | instskip(NEXT) | instid1(VALU_DEP_3)
	v_lshrrev_b32_e32 v6, s64, v6
	v_mad_u32 v4, v1, s57, v4
	v_mad_u32 v1, v1, s56, v2
	s_delay_alu instid0(VALU_DEP_4) | instskip(NEXT) | instid1(VALU_DEP_4)
	v_sub_nc_u32_e32 v2, v3, v7
	v_mul_hi_u32 v8, s66, v6
	v_mul_lo_u32 v3, v6, s54
	s_delay_alu instid0(VALU_DEP_3) | instskip(SKIP_1) | instid1(VALU_DEP_3)
	v_mad_u32 v4, v2, s59, v4
	v_mad_u32 v2, v2, s58, v1
	v_dual_add_nc_u32 v7, v6, v8 :: v_dual_sub_nc_u32 v3, v5, v3
	s_delay_alu instid0(VALU_DEP_1) | instskip(NEXT) | instid1(VALU_DEP_2)
	v_lshrrev_b32_e32 v1, s67, v7
	v_mad_u32 v4, v3, s61, v4
	s_delay_alu instid0(VALU_DEP_4) | instskip(NEXT) | instid1(VALU_DEP_3)
	v_mad_u32 v2, v3, s60, v2
	v_mul_lo_u32 v5, v1, s65
	s_delay_alu instid0(VALU_DEP_1) | instskip(NEXT) | instid1(VALU_DEP_1)
	v_sub_nc_u32_e32 v3, v6, v5
	v_mad_u32 v4, v3, s63, v4
	s_delay_alu instid0(VALU_DEP_4)
	v_mad_u32 v2, v3, s62, v2
	s_cbranch_scc0 .LBB143_281
; %bb.282:
	s_delay_alu instid0(VALU_DEP_2)
	v_mov_b32_e32 v3, v4
	s_branch .LBB143_289
.LBB143_283:
	s_or_b32 exec_lo, exec_lo, s44
	s_mov_b32 s1, 0
	s_and_saveexec_b32 s6, s43
	s_cbranch_execnz .LBB143_958
.LBB143_284:
	s_or_b32 exec_lo, exec_lo, s6
	s_and_saveexec_b32 s6, s21
	s_delay_alu instid0(SALU_CYCLE_1)
	s_xor_b32 s6, exec_lo, s6
	s_cbranch_execz .LBB143_959
.LBB143_285:
	global_load_u8 v0, v[4:5], off
	s_wait_loadcnt 0x1
	v_mov_b32_e32 v7, 0
	s_or_b32 s0, s0, exec_lo
	s_wait_loadcnt 0x0
	v_cmp_ne_u16_e32 vcc_lo, 0, v0
	v_cndmask_b32_e64 v6, 0, 1.0, vcc_lo
	s_wait_xcnt 0x0
	s_or_b32 exec_lo, exec_lo, s6
	s_and_saveexec_b32 s6, s26
	s_cbranch_execz .LBB143_1007
	s_branch .LBB143_960
.LBB143_286:
                                        ; implicit-def: $vgpr4
                                        ; implicit-def: $vgpr2
	s_and_not1_b32 vcc_lo, exec_lo, s0
	s_cbranch_vccnz .LBB143_296
	s_branch .LBB143_294
.LBB143_287:
	v_dual_mov_b32 v4, 0 :: v_dual_mov_b32 v2, 0
	s_branch .LBB143_293
.LBB143_288:
	v_mov_b64_e32 v[2:3], 0
	v_mov_b32_e32 v1, v0
                                        ; implicit-def: $vgpr4
.LBB143_289:
	s_and_b32 s0, s0, 3
	s_mov_b32 s27, 0
	s_cmp_eq_u32 s0, 0
	s_cbranch_scc1 .LBB143_293
; %bb.290:
	s_lshl_b32 s28, s26, 3
	s_mov_b32 s29, s27
	s_mul_u64 s[30:31], s[26:27], 12
	s_add_nc_u64 s[28:29], s[2:3], s[28:29]
	s_delay_alu instid0(SALU_CYCLE_1)
	s_add_nc_u64 s[26:27], s[28:29], 0xc4
	s_add_nc_u64 s[28:29], s[2:3], s[30:31]
.LBB143_291:                            ; =>This Inner Loop Header: Depth=1
	s_load_b96 s[48:50], s[28:29], 0x4
	s_load_b64 s[30:31], s[26:27], 0x0
	s_add_co_i32 s0, s0, -1
	s_wait_xcnt 0x0
	s_add_nc_u64 s[28:29], s[28:29], 12
	s_cmp_lg_u32 s0, 0
	s_add_nc_u64 s[26:27], s[26:27], 8
	s_wait_kmcnt 0x0
	v_mul_hi_u32 v4, s49, v1
	s_delay_alu instid0(VALU_DEP_1) | instskip(NEXT) | instid1(VALU_DEP_1)
	v_add_nc_u32_e32 v4, v1, v4
	v_lshrrev_b32_e32 v4, s50, v4
	s_delay_alu instid0(VALU_DEP_1) | instskip(NEXT) | instid1(VALU_DEP_1)
	v_mul_lo_u32 v5, v4, s48
	v_sub_nc_u32_e32 v1, v1, v5
	s_delay_alu instid0(VALU_DEP_1)
	v_mad_u32 v3, v1, s31, v3
	v_mad_u32 v2, v1, s30, v2
	v_mov_b32_e32 v1, v4
	s_cbranch_scc1 .LBB143_291
; %bb.292:
	s_delay_alu instid0(VALU_DEP_3)
	v_mov_b32_e32 v4, v3
.LBB143_293:
	s_cbranch_execnz .LBB143_296
.LBB143_294:
	v_mov_b32_e32 v1, 0
	s_and_not1_b32 vcc_lo, exec_lo, s38
	s_delay_alu instid0(VALU_DEP_1) | instskip(NEXT) | instid1(VALU_DEP_1)
	v_mul_u64_e32 v[2:3], s[20:21], v[0:1]
	v_add_nc_u32_e32 v2, v0, v3
	s_wait_loadcnt 0x0
	s_delay_alu instid0(VALU_DEP_1) | instskip(NEXT) | instid1(VALU_DEP_1)
	v_lshrrev_b32_e32 v6, s10, v2
	v_mul_lo_u32 v2, v6, s8
	s_delay_alu instid0(VALU_DEP_1) | instskip(NEXT) | instid1(VALU_DEP_1)
	v_sub_nc_u32_e32 v2, v0, v2
	v_mul_lo_u32 v4, v2, s13
	v_mul_lo_u32 v2, v2, s12
	s_cbranch_vccnz .LBB143_296
; %bb.295:
	v_mov_b32_e32 v7, v1
	s_delay_alu instid0(VALU_DEP_1) | instskip(NEXT) | instid1(VALU_DEP_1)
	v_mul_u64_e32 v[8:9], s[22:23], v[6:7]
	v_add_nc_u32_e32 v1, v6, v9
	s_delay_alu instid0(VALU_DEP_1) | instskip(NEXT) | instid1(VALU_DEP_1)
	v_lshrrev_b32_e32 v1, s1, v1
	v_mul_lo_u32 v1, v1, s11
	s_delay_alu instid0(VALU_DEP_1) | instskip(NEXT) | instid1(VALU_DEP_1)
	v_sub_nc_u32_e32 v1, v6, v1
	v_mad_u32 v2, v1, s14, v2
	v_mad_u32 v4, v1, s15, v4
.LBB143_296:
	v_mov_b32_e32 v5, 0
	s_and_b32 s0, 0xffff, s37
	s_delay_alu instid0(SALU_CYCLE_1) | instskip(NEXT) | instid1(VALU_DEP_1)
	s_cmp_lt_i32 s0, 11
	v_add_nc_u64_e32 v[4:5], s[6:7], v[4:5]
	s_cbranch_scc1 .LBB143_303
; %bb.297:
	s_cmp_gt_i32 s0, 25
	s_cbranch_scc0 .LBB143_315
; %bb.298:
	s_cmp_gt_i32 s0, 28
	s_cbranch_scc0 .LBB143_318
	;; [unrolled: 3-line block ×4, first 2 shown]
; %bb.301:
	s_cmp_eq_u32 s0, 46
	s_mov_b32 s28, 0
	s_cbranch_scc0 .LBB143_328
; %bb.302:
	global_load_b32 v1, v[4:5], off
	s_mov_b32 s27, -1
	s_mov_b32 s26, 0
	s_wait_loadcnt 0x0
	v_and_b32_e32 v7, 0xffff0000, v1
	v_lshlrev_b32_e32 v6, 16, v1
	s_branch .LBB143_330
.LBB143_303:
	s_mov_b32 s27, 0
	s_mov_b32 s26, s43
                                        ; implicit-def: $vgpr7
	s_cbranch_execnz .LBB143_510
.LBB143_304:
	s_and_not1_b32 vcc_lo, exec_lo, s27
	s_cbranch_vccnz .LBB143_560
.LBB143_305:
	s_and_not1_b32 vcc_lo, exec_lo, s9
	s_cbranch_vccnz .LBB143_317
; %bb.306:
	s_wait_loadcnt 0x0
	s_delay_alu instid0(VALU_DEP_2) | instskip(NEXT) | instid1(VALU_DEP_2)
	v_cmp_neq_f32_e32 vcc_lo, s16, v6
	v_cmp_neq_f32_e64 s0, s17, v7
	s_or_b32 s27, vcc_lo, s0
	s_cbranch_execnz .LBB143_308
.LBB143_307:
	s_wait_loadcnt 0x0
	s_delay_alu instid0(VALU_DEP_1) | instskip(NEXT) | instid1(VALU_DEP_3)
	v_cmp_eq_f32_e32 vcc_lo, s17, v7
	v_cmp_eq_f32_e64 s0, s16, v6
	s_and_not1_b32 s27, s27, exec_lo
	s_and_b32 s0, s0, vcc_lo
	s_delay_alu instid0(SALU_CYCLE_1) | instskip(NEXT) | instid1(SALU_CYCLE_1)
	s_and_b32 s0, s0, exec_lo
	s_or_b32 s27, s27, s0
.LBB143_308:
	v_mov_b32_e32 v3, 0
	s_and_b32 s28, s18, 0xff
	s_delay_alu instid0(SALU_CYCLE_1) | instskip(NEXT) | instid1(VALU_DEP_1)
	s_cmp_lt_i32 s28, 11
	v_add_nc_u64_e32 v[2:3], s[4:5], v[2:3]
	s_cbranch_scc1 .LBB143_316
; %bb.309:
	s_and_b32 s29, 0xffff, s28
	s_delay_alu instid0(SALU_CYCLE_1)
	s_cmp_gt_i32 s29, 25
	s_cbranch_scc0 .LBB143_319
; %bb.310:
	s_cmp_gt_i32 s29, 28
	s_cbranch_scc0 .LBB143_321
; %bb.311:
	;; [unrolled: 3-line block ×4, first 2 shown]
	s_mov_b32 s31, 0
	s_mov_b32 s0, -1
	s_cmp_eq_u32 s29, 46
	s_mov_b32 s30, 0
	s_cbranch_scc0 .LBB143_334
; %bb.314:
	v_cndmask_b32_e64 v1, 0, 1.0, s27
	s_mov_b32 s30, -1
	s_mov_b32 s0, 0
	s_wait_xcnt 0x0
	s_delay_alu instid0(VALU_DEP_1) | instskip(NEXT) | instid1(VALU_DEP_1)
	v_bfe_u32 v4, v1, 16, 1
	v_add3_u32 v1, v1, v4, 0x7fff
	s_delay_alu instid0(VALU_DEP_1)
	v_lshrrev_b32_e32 v1, 16, v1
	global_store_b32 v[2:3], v1, off
	s_branch .LBB143_334
.LBB143_315:
	s_mov_b32 s28, -1
	s_mov_b32 s27, 0
	s_mov_b32 s26, s43
                                        ; implicit-def: $vgpr7
	s_branch .LBB143_473
.LBB143_316:
	s_mov_b32 s29, -1
	s_mov_b32 s30, 0
	s_mov_b32 s0, s42
	s_branch .LBB143_403
.LBB143_317:
                                        ; implicit-def: $sgpr27
	s_branch .LBB143_307
.LBB143_318:
	s_mov_b32 s28, -1
	s_mov_b32 s27, 0
	s_mov_b32 s26, s43
                                        ; implicit-def: $vgpr7
	s_branch .LBB143_454
.LBB143_319:
	s_mov_b32 s31, -1
	s_mov_b32 s30, 0
	s_mov_b32 s0, s42
	s_branch .LBB143_361
.LBB143_320:
	s_mov_b32 s28, -1
	s_mov_b32 s27, 0
	s_mov_b32 s26, s43
                                        ; implicit-def: $vgpr7
	s_branch .LBB143_448
.LBB143_321:
	s_mov_b32 s31, -1
	s_mov_b32 s30, 0
	s_mov_b32 s0, s42
	s_branch .LBB143_344
.LBB143_322:
	s_and_not1_saveexec_b32 s42, s42
	s_cbranch_execz .LBB143_73
.LBB143_323:
	v_add_f32_e32 v1, 0x46000000, v4
	s_and_not1_b32 s31, s31, exec_lo
	s_delay_alu instid0(VALU_DEP_1) | instskip(NEXT) | instid1(VALU_DEP_1)
	v_and_b32_e32 v1, 0xff, v1
	v_cmp_ne_u32_e32 vcc_lo, 0, v1
	s_and_b32 s43, vcc_lo, exec_lo
	s_delay_alu instid0(SALU_CYCLE_1)
	s_or_b32 s31, s31, s43
	s_or_b32 exec_lo, exec_lo, s42
	v_mov_b32_e32 v5, 0
	s_and_saveexec_b32 s42, s31
	s_cbranch_execnz .LBB143_74
	s_branch .LBB143_75
.LBB143_324:
	s_mov_b32 s28, -1
	s_mov_b32 s27, 0
	s_mov_b32 s26, s43
	s_branch .LBB143_329
.LBB143_325:
	s_mov_b32 s31, -1
	s_mov_b32 s30, 0
	s_mov_b32 s0, s42
	s_branch .LBB143_340
.LBB143_326:
	s_and_not1_saveexec_b32 s42, s42
	s_cbranch_execz .LBB143_86
.LBB143_327:
	v_add_f32_e32 v1, 0x42800000, v4
	s_and_not1_b32 s31, s31, exec_lo
	s_delay_alu instid0(VALU_DEP_1) | instskip(NEXT) | instid1(VALU_DEP_1)
	v_and_b32_e32 v1, 0xff, v1
	v_cmp_ne_u32_e32 vcc_lo, 0, v1
	s_and_b32 s43, vcc_lo, exec_lo
	s_delay_alu instid0(SALU_CYCLE_1)
	s_or_b32 s31, s31, s43
	s_or_b32 exec_lo, exec_lo, s42
	v_mov_b32_e32 v5, 0
	s_and_saveexec_b32 s42, s31
	s_cbranch_execnz .LBB143_87
	s_branch .LBB143_88
.LBB143_328:
	s_mov_b32 s26, -1
	s_mov_b32 s27, 0
.LBB143_329:
                                        ; implicit-def: $vgpr7
.LBB143_330:
	s_and_b32 vcc_lo, exec_lo, s28
	s_cbranch_vccz .LBB143_447
; %bb.331:
	s_cmp_eq_u32 s0, 44
	s_cbranch_scc0 .LBB143_445
; %bb.332:
	global_load_u8 v1, v[4:5], off
	s_mov_b32 s26, 0
	s_mov_b32 s27, -1
	s_wait_loadcnt 0x0
	v_lshlrev_b32_e32 v3, 23, v1
	v_cmp_ne_u32_e32 vcc_lo, 0xff, v1
	s_delay_alu instid0(VALU_DEP_2) | instskip(SKIP_1) | instid1(VALU_DEP_2)
	v_cndmask_b32_e32 v3, 0x7f800001, v3, vcc_lo
	v_cmp_ne_u32_e32 vcc_lo, 0, v1
	v_cndmask_b32_e32 v6, 0x400000, v3, vcc_lo
	s_branch .LBB143_446
.LBB143_333:
	s_mov_b32 s31, -1
	s_mov_b32 s30, 0
	s_mov_b32 s0, s42
.LBB143_334:
	s_and_b32 vcc_lo, exec_lo, s31
	s_cbranch_vccz .LBB143_339
; %bb.335:
	s_cmp_eq_u32 s29, 44
	s_mov_b32 s0, -1
	s_cbranch_scc0 .LBB143_339
; %bb.336:
	s_wait_xcnt 0x0
	v_cndmask_b32_e64 v5, 0, 1.0, s27
	s_mov_b32 s30, exec_lo
	s_delay_alu instid0(VALU_DEP_1) | instskip(NEXT) | instid1(VALU_DEP_1)
	v_dual_mov_b32 v4, 0xff :: v_dual_lshrrev_b32 v1, 23, v5
	v_cmpx_ne_u32_e32 0xff, v1
; %bb.337:
	v_and_b32_e32 v4, 0x400000, v5
	v_and_or_b32 v5, 0x3fffff, v5, v1
	s_delay_alu instid0(VALU_DEP_2) | instskip(NEXT) | instid1(VALU_DEP_2)
	v_cmp_ne_u32_e32 vcc_lo, 0, v4
	v_cmp_ne_u32_e64 s0, 0, v5
	s_and_b32 s0, vcc_lo, s0
	s_delay_alu instid0(SALU_CYCLE_1) | instskip(NEXT) | instid1(VALU_DEP_1)
	v_cndmask_b32_e64 v4, 0, 1, s0
	v_add_nc_u32_e32 v4, v1, v4
; %bb.338:
	s_or_b32 exec_lo, exec_lo, s30
	s_mov_b32 s30, -1
	s_mov_b32 s0, 0
	global_store_b8 v[2:3], v4, off
.LBB143_339:
	s_mov_b32 s31, 0
.LBB143_340:
	s_delay_alu instid0(SALU_CYCLE_1)
	s_and_b32 vcc_lo, exec_lo, s31
	s_cbranch_vccz .LBB143_343
; %bb.341:
	s_cmp_eq_u32 s29, 29
	s_mov_b32 s0, -1
	s_cbranch_scc0 .LBB143_343
; %bb.342:
	s_mov_b32 s0, 0
	s_wait_xcnt 0x0
	v_cndmask_b32_e64 v4, 0, 1, s27
	v_mov_b32_e32 v5, s0
	s_mov_b32 s30, -1
	s_mov_b32 s31, 0
	global_store_b64 v[2:3], v[4:5], off
	s_branch .LBB143_344
.LBB143_343:
	s_mov_b32 s31, 0
.LBB143_344:
	s_delay_alu instid0(SALU_CYCLE_1)
	s_and_b32 vcc_lo, exec_lo, s31
	s_cbranch_vccz .LBB143_360
; %bb.345:
	s_cmp_lt_i32 s29, 27
	s_mov_b32 s30, -1
	s_cbranch_scc1 .LBB143_351
; %bb.346:
	s_cmp_gt_i32 s29, 27
	s_cbranch_scc0 .LBB143_348
; %bb.347:
	s_wait_xcnt 0x0
	v_cndmask_b32_e64 v1, 0, 1, s27
	s_mov_b32 s30, 0
	global_store_b32 v[2:3], v1, off
.LBB143_348:
	s_and_not1_b32 vcc_lo, exec_lo, s30
	s_cbranch_vccnz .LBB143_350
; %bb.349:
	s_wait_xcnt 0x0
	v_cndmask_b32_e64 v1, 0, 1, s27
	global_store_b16 v[2:3], v1, off
.LBB143_350:
	s_mov_b32 s30, 0
.LBB143_351:
	s_delay_alu instid0(SALU_CYCLE_1)
	s_and_not1_b32 vcc_lo, exec_lo, s30
	s_cbranch_vccnz .LBB143_359
; %bb.352:
	s_wait_xcnt 0x0
	v_cndmask_b32_e64 v4, 0, 1.0, s27
	v_mov_b32_e32 v5, 0x80
	s_mov_b32 s30, exec_lo
	s_delay_alu instid0(VALU_DEP_2)
	v_cmpx_gt_u32_e32 0x43800000, v4
	s_cbranch_execz .LBB143_358
; %bb.353:
	s_mov_b32 s31, 0
	s_mov_b32 s45, exec_lo
                                        ; implicit-def: $vgpr1
	v_cmpx_lt_u32_e32 0x3bffffff, v4
	s_xor_b32 s45, exec_lo, s45
	s_cbranch_execz .LBB143_593
; %bb.354:
	v_bfe_u32 v1, v4, 20, 1
	s_mov_b32 s31, exec_lo
	s_delay_alu instid0(VALU_DEP_1) | instskip(NEXT) | instid1(VALU_DEP_1)
	v_add3_u32 v1, v4, v1, 0x487ffff
                                        ; implicit-def: $vgpr4
	v_lshrrev_b32_e32 v1, 20, v1
	s_and_not1_saveexec_b32 s45, s45
	s_cbranch_execnz .LBB143_594
.LBB143_355:
	s_or_b32 exec_lo, exec_lo, s45
	v_mov_b32_e32 v5, 0
	s_and_saveexec_b32 s45, s31
.LBB143_356:
	v_mov_b32_e32 v5, v1
.LBB143_357:
	s_or_b32 exec_lo, exec_lo, s45
.LBB143_358:
	s_delay_alu instid0(SALU_CYCLE_1)
	s_or_b32 exec_lo, exec_lo, s30
	global_store_b8 v[2:3], v5, off
.LBB143_359:
	s_mov_b32 s30, -1
.LBB143_360:
	s_mov_b32 s31, 0
.LBB143_361:
	s_delay_alu instid0(SALU_CYCLE_1)
	s_and_b32 vcc_lo, exec_lo, s31
	s_cbranch_vccz .LBB143_402
; %bb.362:
	s_cmp_gt_i32 s29, 22
	s_mov_b32 s31, -1
	s_cbranch_scc0 .LBB143_394
; %bb.363:
	s_cmp_lt_i32 s29, 24
	s_mov_b32 s30, -1
	s_cbranch_scc1 .LBB143_383
; %bb.364:
	s_cmp_gt_i32 s29, 24
	s_cbranch_scc0 .LBB143_372
; %bb.365:
	s_wait_xcnt 0x0
	v_cndmask_b32_e64 v4, 0, 1.0, s27
	v_mov_b32_e32 v5, 0x80
	s_mov_b32 s30, exec_lo
	s_delay_alu instid0(VALU_DEP_2)
	v_cmpx_gt_u32_e32 0x47800000, v4
	s_cbranch_execz .LBB143_371
; %bb.366:
	s_mov_b32 s31, 0
	s_mov_b32 s45, exec_lo
                                        ; implicit-def: $vgpr1
	v_cmpx_lt_u32_e32 0x37ffffff, v4
	s_xor_b32 s45, exec_lo, s45
	s_cbranch_execz .LBB143_596
; %bb.367:
	v_bfe_u32 v1, v4, 21, 1
	s_mov_b32 s31, exec_lo
	s_delay_alu instid0(VALU_DEP_1) | instskip(NEXT) | instid1(VALU_DEP_1)
	v_add3_u32 v1, v4, v1, 0x88fffff
                                        ; implicit-def: $vgpr4
	v_lshrrev_b32_e32 v1, 21, v1
	s_and_not1_saveexec_b32 s45, s45
	s_cbranch_execnz .LBB143_597
.LBB143_368:
	s_or_b32 exec_lo, exec_lo, s45
	v_mov_b32_e32 v5, 0
	s_and_saveexec_b32 s45, s31
.LBB143_369:
	v_mov_b32_e32 v5, v1
.LBB143_370:
	s_or_b32 exec_lo, exec_lo, s45
.LBB143_371:
	s_delay_alu instid0(SALU_CYCLE_1)
	s_or_b32 exec_lo, exec_lo, s30
	s_mov_b32 s30, 0
	global_store_b8 v[2:3], v5, off
.LBB143_372:
	s_and_b32 vcc_lo, exec_lo, s30
	s_cbranch_vccz .LBB143_382
; %bb.373:
	s_wait_xcnt 0x0
	v_cndmask_b32_e64 v4, 0, 1.0, s27
	s_mov_b32 s30, exec_lo
                                        ; implicit-def: $vgpr1
	s_delay_alu instid0(VALU_DEP_1)
	v_cmpx_gt_u32_e32 0x43f00000, v4
	s_xor_b32 s30, exec_lo, s30
	s_cbranch_execz .LBB143_379
; %bb.374:
	s_mov_b32 s31, exec_lo
                                        ; implicit-def: $vgpr1
	v_cmpx_lt_u32_e32 0x3c7fffff, v4
	s_xor_b32 s31, exec_lo, s31
; %bb.375:
	v_bfe_u32 v1, v4, 20, 1
	s_delay_alu instid0(VALU_DEP_1) | instskip(NEXT) | instid1(VALU_DEP_1)
	v_add3_u32 v1, v4, v1, 0x407ffff
	v_and_b32_e32 v4, 0xff00000, v1
	v_lshrrev_b32_e32 v1, 20, v1
	s_delay_alu instid0(VALU_DEP_2) | instskip(NEXT) | instid1(VALU_DEP_2)
	v_cmp_ne_u32_e32 vcc_lo, 0x7f00000, v4
                                        ; implicit-def: $vgpr4
	v_cndmask_b32_e32 v1, 0x7e, v1, vcc_lo
; %bb.376:
	s_and_not1_saveexec_b32 s31, s31
; %bb.377:
	v_add_f32_e32 v1, 0x46800000, v4
; %bb.378:
	s_or_b32 exec_lo, exec_lo, s31
                                        ; implicit-def: $vgpr4
.LBB143_379:
	s_and_not1_saveexec_b32 s30, s30
; %bb.380:
	v_mov_b32_e32 v1, 0x7f
	v_cmp_lt_u32_e32 vcc_lo, 0x7f800000, v4
	s_delay_alu instid0(VALU_DEP_2)
	v_cndmask_b32_e32 v1, 0x7e, v1, vcc_lo
; %bb.381:
	s_or_b32 exec_lo, exec_lo, s30
	global_store_b8 v[2:3], v1, off
.LBB143_382:
	s_mov_b32 s30, 0
.LBB143_383:
	s_delay_alu instid0(SALU_CYCLE_1)
	s_and_not1_b32 vcc_lo, exec_lo, s30
	s_cbranch_vccnz .LBB143_393
; %bb.384:
	s_wait_xcnt 0x0
	v_cndmask_b32_e64 v4, 0, 1.0, s27
	s_mov_b32 s30, exec_lo
                                        ; implicit-def: $vgpr1
	s_delay_alu instid0(VALU_DEP_1)
	v_cmpx_gt_u32_e32 0x47800000, v4
	s_xor_b32 s30, exec_lo, s30
	s_cbranch_execz .LBB143_390
; %bb.385:
	s_mov_b32 s31, exec_lo
                                        ; implicit-def: $vgpr1
	v_cmpx_lt_u32_e32 0x387fffff, v4
	s_xor_b32 s31, exec_lo, s31
; %bb.386:
	v_bfe_u32 v1, v4, 21, 1
	s_delay_alu instid0(VALU_DEP_1) | instskip(NEXT) | instid1(VALU_DEP_1)
	v_add3_u32 v1, v4, v1, 0x80fffff
                                        ; implicit-def: $vgpr4
	v_lshrrev_b32_e32 v1, 21, v1
; %bb.387:
	s_and_not1_saveexec_b32 s31, s31
; %bb.388:
	v_add_f32_e32 v1, 0x43000000, v4
; %bb.389:
	s_or_b32 exec_lo, exec_lo, s31
                                        ; implicit-def: $vgpr4
.LBB143_390:
	s_and_not1_saveexec_b32 s30, s30
; %bb.391:
	v_mov_b32_e32 v1, 0x7f
	v_cmp_lt_u32_e32 vcc_lo, 0x7f800000, v4
	s_delay_alu instid0(VALU_DEP_2)
	v_cndmask_b32_e32 v1, 0x7c, v1, vcc_lo
; %bb.392:
	s_or_b32 exec_lo, exec_lo, s30
	global_store_b8 v[2:3], v1, off
.LBB143_393:
	s_mov_b32 s31, 0
	s_mov_b32 s30, -1
.LBB143_394:
	s_and_not1_b32 vcc_lo, exec_lo, s31
	s_cbranch_vccnz .LBB143_402
; %bb.395:
	s_cmp_gt_i32 s29, 14
	s_mov_b32 s31, -1
	s_cbranch_scc0 .LBB143_399
; %bb.396:
	s_cmp_eq_u32 s29, 15
	s_mov_b32 s0, -1
	s_cbranch_scc0 .LBB143_398
; %bb.397:
	s_wait_xcnt 0x0
	v_cndmask_b32_e64 v1, 0, 1.0, s27
	s_mov_b32 s30, -1
	s_mov_b32 s0, 0
	s_delay_alu instid0(VALU_DEP_1) | instskip(NEXT) | instid1(VALU_DEP_1)
	v_bfe_u32 v4, v1, 16, 1
	v_add3_u32 v1, v1, v4, 0x7fff
	global_store_d16_hi_b16 v[2:3], v1, off
.LBB143_398:
	s_mov_b32 s31, 0
.LBB143_399:
	s_delay_alu instid0(SALU_CYCLE_1)
	s_and_b32 vcc_lo, exec_lo, s31
	s_cbranch_vccz .LBB143_402
; %bb.400:
	s_cmp_eq_u32 s29, 11
	s_mov_b32 s0, -1
	s_cbranch_scc0 .LBB143_402
; %bb.401:
	s_wait_xcnt 0x0
	v_cndmask_b32_e64 v1, 0, 1, s27
	s_mov_b32 s30, -1
	s_mov_b32 s0, 0
	global_store_b8 v[2:3], v1, off
.LBB143_402:
	s_mov_b32 s29, 0
.LBB143_403:
	s_delay_alu instid0(SALU_CYCLE_1)
	s_and_b32 vcc_lo, exec_lo, s29
	s_cbranch_vccz .LBB143_442
; %bb.404:
	s_and_b32 s28, 0xffff, s28
	s_mov_b32 s29, -1
	s_cmp_lt_i32 s28, 5
	s_cbranch_scc1 .LBB143_425
; %bb.405:
	s_cmp_lt_i32 s28, 8
	s_cbranch_scc1 .LBB143_415
; %bb.406:
	;; [unrolled: 3-line block ×3, first 2 shown]
	s_cmp_gt_i32 s28, 9
	s_cbranch_scc0 .LBB143_409
; %bb.408:
	s_wait_xcnt 0x0
	v_cndmask_b32_e64 v1, 0, 1, s27
	s_wait_loadcnt 0x0
	v_mov_b32_e32 v6, 0
	s_mov_b32 s29, 0
	s_delay_alu instid0(VALU_DEP_2) | instskip(NEXT) | instid1(VALU_DEP_2)
	v_cvt_f64_u32_e32 v[4:5], v1
	v_mov_b32_e32 v7, v6
	global_store_b128 v[2:3], v[4:7], off
.LBB143_409:
	s_and_not1_b32 vcc_lo, exec_lo, s29
	s_cbranch_vccnz .LBB143_411
; %bb.410:
	s_wait_xcnt 0x0
	v_cndmask_b32_e64 v4, 0, 1.0, s27
	v_mov_b32_e32 v5, 0
	global_store_b64 v[2:3], v[4:5], off
.LBB143_411:
	s_mov_b32 s29, 0
.LBB143_412:
	s_delay_alu instid0(SALU_CYCLE_1)
	s_and_not1_b32 vcc_lo, exec_lo, s29
	s_cbranch_vccnz .LBB143_414
; %bb.413:
	s_wait_xcnt 0x0
	v_cndmask_b32_e64 v1, 0, 1.0, s27
	s_delay_alu instid0(VALU_DEP_1) | instskip(NEXT) | instid1(VALU_DEP_1)
	v_cvt_f16_f32_e32 v1, v1
	v_and_b32_e32 v1, 0xffff, v1
	global_store_b32 v[2:3], v1, off
.LBB143_414:
	s_mov_b32 s29, 0
.LBB143_415:
	s_delay_alu instid0(SALU_CYCLE_1)
	s_and_not1_b32 vcc_lo, exec_lo, s29
	s_cbranch_vccnz .LBB143_424
; %bb.416:
	s_cmp_lt_i32 s28, 6
	s_mov_b32 s29, -1
	s_cbranch_scc1 .LBB143_422
; %bb.417:
	s_cmp_gt_i32 s28, 6
	s_cbranch_scc0 .LBB143_419
; %bb.418:
	s_wait_xcnt 0x0
	v_cndmask_b32_e64 v1, 0, 1, s27
	s_mov_b32 s29, 0
	s_delay_alu instid0(VALU_DEP_1)
	v_cvt_f64_u32_e32 v[4:5], v1
	global_store_b64 v[2:3], v[4:5], off
.LBB143_419:
	s_and_not1_b32 vcc_lo, exec_lo, s29
	s_cbranch_vccnz .LBB143_421
; %bb.420:
	s_wait_xcnt 0x0
	v_cndmask_b32_e64 v1, 0, 1.0, s27
	global_store_b32 v[2:3], v1, off
.LBB143_421:
	s_mov_b32 s29, 0
.LBB143_422:
	s_delay_alu instid0(SALU_CYCLE_1)
	s_and_not1_b32 vcc_lo, exec_lo, s29
	s_cbranch_vccnz .LBB143_424
; %bb.423:
	s_wait_xcnt 0x0
	v_cndmask_b32_e64 v1, 0, 1.0, s27
	s_delay_alu instid0(VALU_DEP_1)
	v_cvt_f16_f32_e32 v1, v1
	global_store_b16 v[2:3], v1, off
.LBB143_424:
	s_mov_b32 s29, 0
.LBB143_425:
	s_delay_alu instid0(SALU_CYCLE_1)
	s_and_not1_b32 vcc_lo, exec_lo, s29
	s_cbranch_vccnz .LBB143_441
; %bb.426:
	s_cmp_lt_i32 s28, 2
	s_mov_b32 s29, -1
	s_cbranch_scc1 .LBB143_436
; %bb.427:
	s_cmp_lt_i32 s28, 3
	s_cbranch_scc1 .LBB143_433
; %bb.428:
	s_cmp_gt_i32 s28, 3
	s_cbranch_scc0 .LBB143_430
; %bb.429:
	s_mov_b32 s29, 0
	s_wait_xcnt 0x0
	v_cndmask_b32_e64 v4, 0, 1, s27
	v_mov_b32_e32 v5, s29
	global_store_b64 v[2:3], v[4:5], off
.LBB143_430:
	s_and_not1_b32 vcc_lo, exec_lo, s29
	s_cbranch_vccnz .LBB143_432
; %bb.431:
	s_wait_xcnt 0x0
	v_cndmask_b32_e64 v1, 0, 1, s27
	global_store_b32 v[2:3], v1, off
.LBB143_432:
	s_mov_b32 s29, 0
.LBB143_433:
	s_delay_alu instid0(SALU_CYCLE_1)
	s_and_not1_b32 vcc_lo, exec_lo, s29
	s_cbranch_vccnz .LBB143_435
; %bb.434:
	s_wait_xcnt 0x0
	v_cndmask_b32_e64 v1, 0, 1, s27
	global_store_b16 v[2:3], v1, off
.LBB143_435:
	s_mov_b32 s29, 0
.LBB143_436:
	s_delay_alu instid0(SALU_CYCLE_1)
	s_and_not1_b32 vcc_lo, exec_lo, s29
	s_cbranch_vccnz .LBB143_441
; %bb.437:
	s_wait_xcnt 0x0
	v_cndmask_b32_e64 v1, 0, 1, s27
	s_cmp_gt_i32 s28, 0
	s_mov_b32 s27, -1
	s_cbranch_scc0 .LBB143_439
; %bb.438:
	s_mov_b32 s27, 0
	global_store_b8 v[2:3], v1, off
.LBB143_439:
	s_and_not1_b32 vcc_lo, exec_lo, s27
	s_cbranch_vccnz .LBB143_441
; %bb.440:
	global_store_b8 v[2:3], v1, off
.LBB143_441:
	s_mov_b32 s30, -1
.LBB143_442:
	s_delay_alu instid0(SALU_CYCLE_1)
	s_and_not1_b32 vcc_lo, exec_lo, s30
	s_cbranch_vccnz .LBB143_444
; %bb.443:
	v_add_nc_u32_e32 v0, 0x80, v0
	s_mov_b32 s27, -1
	s_branch .LBB143_562
.LBB143_444:
	s_mov_b32 s27, 0
	s_branch .LBB143_561
.LBB143_445:
	s_mov_b32 s26, -1
                                        ; implicit-def: $vgpr6
.LBB143_446:
	s_wait_loadcnt 0x0
	v_mov_b32_e32 v7, 0
.LBB143_447:
	s_mov_b32 s28, 0
.LBB143_448:
	s_delay_alu instid0(SALU_CYCLE_1)
	s_and_b32 vcc_lo, exec_lo, s28
	s_cbranch_vccz .LBB143_453
; %bb.449:
	s_cmp_eq_u32 s0, 29
	s_cbranch_scc0 .LBB143_451
; %bb.450:
	s_wait_loadcnt 0x0
	global_load_b64 v[6:7], v[4:5], off
	s_mov_b32 s27, -1
	s_mov_b32 s26, 0
	s_wait_loadcnt 0x0
	v_clz_i32_u32_e32 v1, v7
	s_delay_alu instid0(VALU_DEP_1) | instskip(NEXT) | instid1(VALU_DEP_1)
	v_min_u32_e32 v1, 32, v1
	v_lshlrev_b64_e32 v[6:7], v1, v[6:7]
	v_sub_nc_u32_e32 v1, 32, v1
	s_delay_alu instid0(VALU_DEP_2) | instskip(NEXT) | instid1(VALU_DEP_1)
	v_min_u32_e32 v3, 1, v6
	v_or_b32_e32 v3, v7, v3
	s_delay_alu instid0(VALU_DEP_1) | instskip(NEXT) | instid1(VALU_DEP_1)
	v_cvt_f32_u32_e32 v3, v3
	v_ldexp_f32 v6, v3, v1
	s_branch .LBB143_452
.LBB143_451:
	s_mov_b32 s26, -1
                                        ; implicit-def: $vgpr6
.LBB143_452:
	s_wait_loadcnt 0x0
	v_mov_b32_e32 v7, 0
.LBB143_453:
	s_mov_b32 s28, 0
.LBB143_454:
	s_delay_alu instid0(SALU_CYCLE_1)
	s_and_b32 vcc_lo, exec_lo, s28
	s_cbranch_vccz .LBB143_472
; %bb.455:
	s_cmp_lt_i32 s0, 27
	s_cbranch_scc1 .LBB143_458
; %bb.456:
	s_cmp_gt_i32 s0, 27
	s_cbranch_scc0 .LBB143_459
; %bb.457:
	global_load_b32 v1, v[4:5], off
	s_mov_b32 s27, 0
	s_wait_loadcnt 0x0
	v_cvt_f32_u32_e32 v6, v1
	s_branch .LBB143_460
.LBB143_458:
	s_mov_b32 s27, -1
                                        ; implicit-def: $vgpr6
	s_branch .LBB143_463
.LBB143_459:
	s_mov_b32 s27, -1
                                        ; implicit-def: $vgpr6
.LBB143_460:
	s_delay_alu instid0(SALU_CYCLE_1)
	s_and_not1_b32 vcc_lo, exec_lo, s27
	s_cbranch_vccnz .LBB143_462
; %bb.461:
	global_load_u16 v1, v[4:5], off
	s_wait_loadcnt 0x0
	v_cvt_f32_u32_e32 v6, v1
.LBB143_462:
	s_mov_b32 s27, 0
.LBB143_463:
	s_delay_alu instid0(SALU_CYCLE_1)
	s_and_not1_b32 vcc_lo, exec_lo, s27
	s_cbranch_vccnz .LBB143_471
; %bb.464:
	global_load_u8 v1, v[4:5], off
	s_mov_b32 s27, 0
	s_mov_b32 s28, exec_lo
	s_wait_loadcnt 0x0
	v_cmpx_lt_i16_e32 0x7f, v1
	s_xor_b32 s28, exec_lo, s28
	s_cbranch_execz .LBB143_485
; %bb.465:
	s_mov_b32 s27, -1
	s_mov_b32 s29, exec_lo
	v_cmpx_eq_u16_e32 0x80, v1
; %bb.466:
	s_xor_b32 s27, exec_lo, -1
; %bb.467:
	s_or_b32 exec_lo, exec_lo, s29
	s_delay_alu instid0(SALU_CYCLE_1)
	s_and_b32 s27, s27, exec_lo
	s_or_saveexec_b32 s28, s28
	v_mov_b32_e32 v6, 0x7f800001
	s_xor_b32 exec_lo, exec_lo, s28
	s_cbranch_execnz .LBB143_486
.LBB143_468:
	s_or_b32 exec_lo, exec_lo, s28
	s_and_saveexec_b32 s28, s27
	s_cbranch_execz .LBB143_470
.LBB143_469:
	v_and_b32_e32 v3, 0xffff, v1
	s_delay_alu instid0(VALU_DEP_1) | instskip(SKIP_1) | instid1(VALU_DEP_2)
	v_dual_lshlrev_b32 v1, 24, v1 :: v_dual_bitop2_b32 v6, 7, v3 bitop3:0x40
	v_bfe_u32 v9, v3, 3, 4
	v_and_b32_e32 v1, 0x80000000, v1
	s_delay_alu instid0(VALU_DEP_3) | instskip(NEXT) | instid1(VALU_DEP_3)
	v_clz_i32_u32_e32 v7, v6
	v_cmp_eq_u32_e32 vcc_lo, 0, v9
	s_delay_alu instid0(VALU_DEP_2) | instskip(NEXT) | instid1(VALU_DEP_1)
	v_min_u32_e32 v7, 32, v7
	v_subrev_nc_u32_e32 v8, 28, v7
	v_sub_nc_u32_e32 v7, 29, v7
	s_delay_alu instid0(VALU_DEP_2) | instskip(NEXT) | instid1(VALU_DEP_2)
	v_lshlrev_b32_e32 v3, v8, v3
	v_cndmask_b32_e32 v7, v9, v7, vcc_lo
	s_delay_alu instid0(VALU_DEP_2) | instskip(NEXT) | instid1(VALU_DEP_1)
	v_and_b32_e32 v3, 7, v3
	v_cndmask_b32_e32 v3, v6, v3, vcc_lo
	s_delay_alu instid0(VALU_DEP_3) | instskip(NEXT) | instid1(VALU_DEP_2)
	v_lshl_add_u32 v6, v7, 23, 0x3b800000
	v_lshlrev_b32_e32 v3, 20, v3
	s_delay_alu instid0(VALU_DEP_1)
	v_or3_b32 v6, v1, v6, v3
.LBB143_470:
	s_or_b32 exec_lo, exec_lo, s28
.LBB143_471:
	s_wait_loadcnt 0x0
	v_mov_b32_e32 v7, 0
	s_mov_b32 s27, -1
.LBB143_472:
	s_mov_b32 s28, 0
.LBB143_473:
	s_delay_alu instid0(SALU_CYCLE_1)
	s_and_b32 vcc_lo, exec_lo, s28
	s_cbranch_vccz .LBB143_509
; %bb.474:
	s_cmp_gt_i32 s0, 22
	s_cbranch_scc0 .LBB143_484
; %bb.475:
	s_cmp_lt_i32 s0, 24
	s_cbranch_scc1 .LBB143_487
; %bb.476:
	s_cmp_gt_i32 s0, 24
	s_cbranch_scc0 .LBB143_488
; %bb.477:
	global_load_u8 v1, v[4:5], off
	s_mov_b32 s27, 0
	s_mov_b32 s28, exec_lo
	s_wait_loadcnt 0x0
	v_cmpx_lt_i16_e32 0x7f, v1
	s_xor_b32 s28, exec_lo, s28
	s_cbranch_execz .LBB143_500
; %bb.478:
	s_mov_b32 s27, -1
	s_mov_b32 s29, exec_lo
	v_cmpx_eq_u16_e32 0x80, v1
; %bb.479:
	s_xor_b32 s27, exec_lo, -1
; %bb.480:
	s_or_b32 exec_lo, exec_lo, s29
	s_delay_alu instid0(SALU_CYCLE_1)
	s_and_b32 s27, s27, exec_lo
	s_or_saveexec_b32 s28, s28
	v_mov_b32_e32 v6, 0x7f800001
	s_xor_b32 exec_lo, exec_lo, s28
	s_cbranch_execnz .LBB143_501
.LBB143_481:
	s_or_b32 exec_lo, exec_lo, s28
	s_and_saveexec_b32 s28, s27
	s_cbranch_execz .LBB143_483
.LBB143_482:
	v_and_b32_e32 v3, 0xffff, v1
	s_delay_alu instid0(VALU_DEP_1) | instskip(SKIP_1) | instid1(VALU_DEP_2)
	v_dual_lshlrev_b32 v1, 24, v1 :: v_dual_bitop2_b32 v6, 3, v3 bitop3:0x40
	v_bfe_u32 v9, v3, 2, 5
	v_and_b32_e32 v1, 0x80000000, v1
	s_delay_alu instid0(VALU_DEP_3) | instskip(NEXT) | instid1(VALU_DEP_3)
	v_clz_i32_u32_e32 v7, v6
	v_cmp_eq_u32_e32 vcc_lo, 0, v9
	s_delay_alu instid0(VALU_DEP_2) | instskip(NEXT) | instid1(VALU_DEP_1)
	v_min_u32_e32 v7, 32, v7
	v_subrev_nc_u32_e32 v8, 29, v7
	v_sub_nc_u32_e32 v7, 30, v7
	s_delay_alu instid0(VALU_DEP_2) | instskip(NEXT) | instid1(VALU_DEP_2)
	v_lshlrev_b32_e32 v3, v8, v3
	v_cndmask_b32_e32 v7, v9, v7, vcc_lo
	s_delay_alu instid0(VALU_DEP_2) | instskip(NEXT) | instid1(VALU_DEP_1)
	v_and_b32_e32 v3, 3, v3
	v_cndmask_b32_e32 v3, v6, v3, vcc_lo
	s_delay_alu instid0(VALU_DEP_3) | instskip(NEXT) | instid1(VALU_DEP_2)
	v_lshl_add_u32 v6, v7, 23, 0x37800000
	v_lshlrev_b32_e32 v3, 21, v3
	s_delay_alu instid0(VALU_DEP_1)
	v_or3_b32 v6, v1, v6, v3
.LBB143_483:
	s_or_b32 exec_lo, exec_lo, s28
	s_mov_b32 s27, 0
	s_branch .LBB143_489
.LBB143_484:
	s_mov_b32 s28, -1
                                        ; implicit-def: $vgpr6
	s_branch .LBB143_495
.LBB143_485:
	s_or_saveexec_b32 s28, s28
	v_mov_b32_e32 v6, 0x7f800001
	s_xor_b32 exec_lo, exec_lo, s28
	s_cbranch_execz .LBB143_468
.LBB143_486:
	v_cmp_ne_u16_e32 vcc_lo, 0, v1
	v_mov_b32_e32 v6, 0
	s_and_not1_b32 s27, s27, exec_lo
	s_and_b32 s29, vcc_lo, exec_lo
	s_delay_alu instid0(SALU_CYCLE_1)
	s_or_b32 s27, s27, s29
	s_or_b32 exec_lo, exec_lo, s28
	s_and_saveexec_b32 s28, s27
	s_cbranch_execnz .LBB143_469
	s_branch .LBB143_470
.LBB143_487:
	s_mov_b32 s27, -1
                                        ; implicit-def: $vgpr6
	s_branch .LBB143_492
.LBB143_488:
	s_mov_b32 s27, -1
                                        ; implicit-def: $vgpr6
.LBB143_489:
	s_delay_alu instid0(SALU_CYCLE_1)
	s_and_b32 vcc_lo, exec_lo, s27
	s_cbranch_vccz .LBB143_491
; %bb.490:
	global_load_u8 v1, v[4:5], off
	s_wait_loadcnt 0x0
	v_lshlrev_b32_e32 v1, 24, v1
	s_delay_alu instid0(VALU_DEP_1) | instskip(NEXT) | instid1(VALU_DEP_1)
	v_and_b32_e32 v3, 0x7f000000, v1
	v_clz_i32_u32_e32 v6, v3
	v_cmp_ne_u32_e32 vcc_lo, 0, v3
	v_add_nc_u32_e32 v8, 0x1000000, v3
	s_delay_alu instid0(VALU_DEP_3) | instskip(NEXT) | instid1(VALU_DEP_1)
	v_min_u32_e32 v6, 32, v6
	v_sub_nc_u32_e64 v6, v6, 4 clamp
	s_delay_alu instid0(VALU_DEP_1) | instskip(NEXT) | instid1(VALU_DEP_1)
	v_dual_lshlrev_b32 v7, v6, v3 :: v_dual_lshlrev_b32 v6, 23, v6
	v_lshrrev_b32_e32 v7, 4, v7
	s_delay_alu instid0(VALU_DEP_1) | instskip(NEXT) | instid1(VALU_DEP_1)
	v_dual_sub_nc_u32 v6, v7, v6 :: v_dual_ashrrev_i32 v7, 8, v8
	v_add_nc_u32_e32 v6, 0x3c000000, v6
	s_delay_alu instid0(VALU_DEP_1) | instskip(NEXT) | instid1(VALU_DEP_1)
	v_and_or_b32 v6, 0x7f800000, v7, v6
	v_cndmask_b32_e32 v3, 0, v6, vcc_lo
	s_delay_alu instid0(VALU_DEP_1)
	v_and_or_b32 v6, 0x80000000, v1, v3
.LBB143_491:
	s_mov_b32 s27, 0
.LBB143_492:
	s_delay_alu instid0(SALU_CYCLE_1)
	s_and_not1_b32 vcc_lo, exec_lo, s27
	s_cbranch_vccnz .LBB143_494
; %bb.493:
	global_load_u8 v1, v[4:5], off
	s_wait_loadcnt 0x0
	v_lshlrev_b32_e32 v3, 25, v1
	v_lshlrev_b16 v1, 8, v1
	s_delay_alu instid0(VALU_DEP_1) | instskip(SKIP_1) | instid1(VALU_DEP_2)
	v_and_or_b32 v7, 0x7f00, v1, 0.5
	v_bfe_i32 v1, v1, 0, 16
	v_add_f32_e32 v7, -0.5, v7
	v_lshrrev_b32_e32 v6, 4, v3
	v_cmp_gt_u32_e32 vcc_lo, 0x8000000, v3
	s_delay_alu instid0(VALU_DEP_2) | instskip(NEXT) | instid1(VALU_DEP_1)
	v_or_b32_e32 v6, 0x70000000, v6
	v_mul_f32_e32 v6, 0x7800000, v6
	s_delay_alu instid0(VALU_DEP_1) | instskip(NEXT) | instid1(VALU_DEP_1)
	v_cndmask_b32_e32 v3, v6, v7, vcc_lo
	v_and_or_b32 v6, 0x80000000, v1, v3
.LBB143_494:
	s_mov_b32 s28, 0
	s_mov_b32 s27, -1
.LBB143_495:
	s_and_not1_b32 vcc_lo, exec_lo, s28
	s_cbranch_vccnz .LBB143_508
; %bb.496:
	s_cmp_gt_i32 s0, 14
	s_cbranch_scc0 .LBB143_499
; %bb.497:
	s_cmp_eq_u32 s0, 15
	s_cbranch_scc0 .LBB143_502
; %bb.498:
	global_load_u16 v1, v[4:5], off
	s_mov_b32 s27, -1
	s_mov_b32 s26, 0
	s_wait_loadcnt 0x0
	v_lshlrev_b32_e32 v6, 16, v1
	s_branch .LBB143_503
.LBB143_499:
	s_mov_b32 s28, -1
                                        ; implicit-def: $vgpr6
	s_branch .LBB143_504
.LBB143_500:
	s_or_saveexec_b32 s28, s28
	v_mov_b32_e32 v6, 0x7f800001
	s_xor_b32 exec_lo, exec_lo, s28
	s_cbranch_execz .LBB143_481
.LBB143_501:
	v_cmp_ne_u16_e32 vcc_lo, 0, v1
	v_mov_b32_e32 v6, 0
	s_and_not1_b32 s27, s27, exec_lo
	s_and_b32 s29, vcc_lo, exec_lo
	s_delay_alu instid0(SALU_CYCLE_1)
	s_or_b32 s27, s27, s29
	s_or_b32 exec_lo, exec_lo, s28
	s_and_saveexec_b32 s28, s27
	s_cbranch_execnz .LBB143_482
	s_branch .LBB143_483
.LBB143_502:
	s_mov_b32 s26, -1
                                        ; implicit-def: $vgpr6
.LBB143_503:
	s_mov_b32 s28, 0
.LBB143_504:
	s_delay_alu instid0(SALU_CYCLE_1)
	s_and_b32 vcc_lo, exec_lo, s28
	s_cbranch_vccz .LBB143_508
; %bb.505:
	s_cmp_eq_u32 s0, 11
	s_cbranch_scc0 .LBB143_507
; %bb.506:
	global_load_u8 v1, v[4:5], off
	s_mov_b32 s26, 0
	s_mov_b32 s27, -1
	s_wait_loadcnt 0x1
	v_mov_b32_e32 v7, 0
	s_wait_loadcnt 0x0
	v_cmp_ne_u16_e32 vcc_lo, 0, v1
	v_cndmask_b32_e64 v6, 0, 1.0, vcc_lo
	s_branch .LBB143_509
.LBB143_507:
	s_mov_b32 s26, -1
                                        ; implicit-def: $vgpr6
.LBB143_508:
	s_wait_loadcnt 0x0
	v_mov_b32_e32 v7, 0
.LBB143_509:
	s_branch .LBB143_304
.LBB143_510:
	s_cmp_lt_i32 s0, 5
	s_cbranch_scc1 .LBB143_515
; %bb.511:
	s_cmp_lt_i32 s0, 8
	s_cbranch_scc1 .LBB143_516
; %bb.512:
	;; [unrolled: 3-line block ×3, first 2 shown]
	s_cmp_gt_i32 s0, 9
	s_cbranch_scc0 .LBB143_518
; %bb.514:
	s_wait_loadcnt 0x0
	global_load_b128 v[6:9], v[4:5], off
	s_mov_b32 s27, 0
	s_wait_loadcnt 0x0
	v_cvt_f32_f64_e32 v6, v[6:7]
	v_cvt_f32_f64_e32 v7, v[8:9]
	s_branch .LBB143_519
.LBB143_515:
	s_mov_b32 s27, -1
                                        ; implicit-def: $vgpr7
	s_branch .LBB143_538
.LBB143_516:
	s_mov_b32 s27, -1
                                        ; implicit-def: $vgpr7
	s_branch .LBB143_525
.LBB143_517:
	s_mov_b32 s27, -1
                                        ; implicit-def: $vgpr7
	s_branch .LBB143_522
.LBB143_518:
	s_mov_b32 s27, -1
                                        ; implicit-def: $vgpr7
.LBB143_519:
	s_delay_alu instid0(SALU_CYCLE_1)
	s_and_not1_b32 vcc_lo, exec_lo, s27
	s_cbranch_vccnz .LBB143_521
; %bb.520:
	s_wait_loadcnt 0x0
	global_load_b64 v[6:7], v[4:5], off
.LBB143_521:
	s_mov_b32 s27, 0
.LBB143_522:
	s_delay_alu instid0(SALU_CYCLE_1)
	s_and_not1_b32 vcc_lo, exec_lo, s27
	s_cbranch_vccnz .LBB143_524
; %bb.523:
	global_load_b32 v1, v[4:5], off
	s_wait_loadcnt 0x0
	v_lshrrev_b32_e32 v3, 16, v1
	v_cvt_f32_f16_e32 v6, v1
	s_delay_alu instid0(VALU_DEP_2)
	v_cvt_f32_f16_e32 v7, v3
.LBB143_524:
	s_mov_b32 s27, 0
.LBB143_525:
	s_delay_alu instid0(SALU_CYCLE_1)
	s_and_not1_b32 vcc_lo, exec_lo, s27
	s_cbranch_vccnz .LBB143_537
; %bb.526:
	s_cmp_lt_i32 s0, 6
	s_cbranch_scc1 .LBB143_529
; %bb.527:
	s_cmp_gt_i32 s0, 6
	s_cbranch_scc0 .LBB143_530
; %bb.528:
	s_wait_loadcnt 0x0
	global_load_b64 v[6:7], v[4:5], off
	s_mov_b32 s27, 0
	s_wait_loadcnt 0x0
	v_cvt_f32_f64_e32 v6, v[6:7]
	s_branch .LBB143_531
.LBB143_529:
	s_mov_b32 s27, -1
                                        ; implicit-def: $vgpr6
	s_branch .LBB143_534
.LBB143_530:
	s_mov_b32 s27, -1
                                        ; implicit-def: $vgpr6
.LBB143_531:
	s_delay_alu instid0(SALU_CYCLE_1)
	s_and_not1_b32 vcc_lo, exec_lo, s27
	s_cbranch_vccnz .LBB143_533
; %bb.532:
	s_wait_loadcnt 0x0
	global_load_b32 v6, v[4:5], off
.LBB143_533:
	s_mov_b32 s27, 0
.LBB143_534:
	s_delay_alu instid0(SALU_CYCLE_1)
	s_and_not1_b32 vcc_lo, exec_lo, s27
	s_cbranch_vccnz .LBB143_536
; %bb.535:
	global_load_u16 v1, v[4:5], off
	s_wait_loadcnt 0x0
	v_cvt_f32_f16_e32 v6, v1
.LBB143_536:
	s_wait_loadcnt 0x0
	v_mov_b32_e32 v7, 0
.LBB143_537:
	s_mov_b32 s27, 0
.LBB143_538:
	s_delay_alu instid0(SALU_CYCLE_1)
	s_and_not1_b32 vcc_lo, exec_lo, s27
	s_cbranch_vccnz .LBB143_559
; %bb.539:
	s_cmp_lt_i32 s0, 2
	s_cbranch_scc1 .LBB143_543
; %bb.540:
	s_cmp_lt_i32 s0, 3
	s_cbranch_scc1 .LBB143_544
; %bb.541:
	s_cmp_gt_i32 s0, 3
	s_cbranch_scc0 .LBB143_545
; %bb.542:
	s_wait_loadcnt 0x0
	global_load_b64 v[6:7], v[4:5], off
	s_mov_b32 s27, 0
	s_wait_loadcnt 0x0
	v_xor_b32_e32 v1, v6, v7
	v_cls_i32_e32 v3, v7
	s_delay_alu instid0(VALU_DEP_2) | instskip(NEXT) | instid1(VALU_DEP_1)
	v_ashrrev_i32_e32 v1, 31, v1
	v_add_nc_u32_e32 v1, 32, v1
	s_delay_alu instid0(VALU_DEP_1) | instskip(NEXT) | instid1(VALU_DEP_1)
	v_add_min_u32_e64 v1, v3, -1, v1
	v_lshlrev_b64_e32 v[6:7], v1, v[6:7]
	v_sub_nc_u32_e32 v1, 32, v1
	s_delay_alu instid0(VALU_DEP_2) | instskip(NEXT) | instid1(VALU_DEP_1)
	v_min_u32_e32 v3, 1, v6
	v_or_b32_e32 v3, v7, v3
	s_delay_alu instid0(VALU_DEP_1) | instskip(NEXT) | instid1(VALU_DEP_1)
	v_cvt_f32_i32_e32 v3, v3
	v_ldexp_f32 v6, v3, v1
	s_branch .LBB143_546
.LBB143_543:
	s_mov_b32 s27, -1
                                        ; implicit-def: $vgpr6
	s_branch .LBB143_552
.LBB143_544:
	s_mov_b32 s27, -1
                                        ; implicit-def: $vgpr6
	s_branch .LBB143_549
.LBB143_545:
	s_mov_b32 s27, -1
                                        ; implicit-def: $vgpr6
.LBB143_546:
	s_delay_alu instid0(SALU_CYCLE_1)
	s_and_not1_b32 vcc_lo, exec_lo, s27
	s_cbranch_vccnz .LBB143_548
; %bb.547:
	global_load_b32 v1, v[4:5], off
	s_wait_loadcnt 0x0
	v_cvt_f32_i32_e32 v6, v1
.LBB143_548:
	s_mov_b32 s27, 0
.LBB143_549:
	s_delay_alu instid0(SALU_CYCLE_1)
	s_and_not1_b32 vcc_lo, exec_lo, s27
	s_cbranch_vccnz .LBB143_551
; %bb.550:
	global_load_i16 v1, v[4:5], off
	s_wait_loadcnt 0x0
	v_cvt_f32_i32_e32 v6, v1
.LBB143_551:
	s_mov_b32 s27, 0
.LBB143_552:
	s_delay_alu instid0(SALU_CYCLE_1)
	s_and_not1_b32 vcc_lo, exec_lo, s27
	s_cbranch_vccnz .LBB143_558
; %bb.553:
	s_cmp_gt_i32 s0, 0
	s_mov_b32 s0, 0
	s_cbranch_scc0 .LBB143_555
; %bb.554:
	global_load_i8 v1, v[4:5], off
	s_wait_loadcnt 0x0
	v_cvt_f32_i32_e32 v6, v1
	s_branch .LBB143_556
.LBB143_555:
	s_mov_b32 s0, -1
                                        ; implicit-def: $vgpr6
.LBB143_556:
	s_delay_alu instid0(SALU_CYCLE_1)
	s_and_not1_b32 vcc_lo, exec_lo, s0
	s_cbranch_vccnz .LBB143_558
; %bb.557:
	global_load_u8 v1, v[4:5], off
	s_wait_loadcnt 0x0
	v_cvt_f32_ubyte0_e32 v6, v1
.LBB143_558:
	s_wait_loadcnt 0x0
	v_mov_b32_e32 v7, 0
.LBB143_559:
	s_branch .LBB143_305
.LBB143_560:
	s_mov_b32 s27, 0
	s_mov_b32 s0, s42
.LBB143_561:
                                        ; implicit-def: $vgpr0
.LBB143_562:
	s_and_not1_b32 s28, s42, exec_lo
	s_and_b32 s0, s0, exec_lo
	s_and_not1_b32 s29, s43, exec_lo
	s_and_b32 s26, s26, exec_lo
	s_or_b32 s46, s28, s0
	s_or_b32 s45, s29, s26
	s_or_not1_b32 s0, s27, exec_lo
.LBB143_563:
	s_wait_xcnt 0x0
	s_or_b32 exec_lo, exec_lo, s47
	s_mov_b32 s27, 0
	s_mov_b32 s26, 0
	;; [unrolled: 1-line block ×3, first 2 shown]
                                        ; implicit-def: $vgpr4_vgpr5
                                        ; implicit-def: $vgpr2
                                        ; implicit-def: $vgpr7
	s_and_saveexec_b32 s47, s0
	s_cbranch_execz .LBB143_957
; %bb.564:
	s_mov_b32 s29, -1
	s_mov_b32 s0, s45
	s_mov_b32 s30, s46
	s_mov_b32 s48, exec_lo
	v_cmpx_gt_i32_e64 s39, v0
	s_cbranch_execz .LBB143_851
; %bb.565:
	s_and_not1_b32 vcc_lo, exec_lo, s35
	s_cbranch_vccnz .LBB143_571
; %bb.566:
	s_and_not1_b32 vcc_lo, exec_lo, s41
	s_cbranch_vccnz .LBB143_572
; %bb.567:
	s_add_co_i32 s0, s40, 1
	s_cmp_eq_u32 s33, 2
	s_cbranch_scc1 .LBB143_573
; %bb.568:
	v_dual_mov_b32 v2, 0 :: v_dual_mov_b32 v4, 0
	v_mov_b32_e32 v1, v0
	s_and_b32 s26, s0, 28
	s_mov_b64 s[28:29], s[2:3]
	s_mov_b64 s[30:31], s[24:25]
.LBB143_569:                            ; =>This Inner Loop Header: Depth=1
	s_clause 0x1
	s_load_b256 s[52:59], s[28:29], 0x4
	s_load_b128 s[68:71], s[28:29], 0x24
	s_load_b256 s[60:67], s[30:31], 0x0
	s_add_co_i32 s27, s27, 4
	s_wait_xcnt 0x0
	s_add_nc_u64 s[28:29], s[28:29], 48
	s_cmp_eq_u32 s26, s27
	s_add_nc_u64 s[30:31], s[30:31], 32
	s_wait_kmcnt 0x0
	v_mul_hi_u32 v3, s53, v1
	s_delay_alu instid0(VALU_DEP_1) | instskip(NEXT) | instid1(VALU_DEP_1)
	v_add_nc_u32_e32 v3, v1, v3
	v_lshrrev_b32_e32 v3, s54, v3
	s_delay_alu instid0(VALU_DEP_1) | instskip(NEXT) | instid1(VALU_DEP_1)
	v_mul_hi_u32 v5, s56, v3
	v_add_nc_u32_e32 v5, v3, v5
	s_delay_alu instid0(VALU_DEP_1) | instskip(SKIP_1) | instid1(VALU_DEP_1)
	v_lshrrev_b32_e32 v5, s57, v5
	s_wait_loadcnt 0x0
	v_mul_hi_u32 v6, s59, v5
	s_delay_alu instid0(VALU_DEP_1) | instskip(SKIP_1) | instid1(VALU_DEP_1)
	v_add_nc_u32_e32 v6, v5, v6
	v_mul_lo_u32 v7, v3, s52
	v_sub_nc_u32_e32 v1, v1, v7
	v_mul_lo_u32 v7, v5, s55
	s_delay_alu instid0(VALU_DEP_4) | instskip(NEXT) | instid1(VALU_DEP_3)
	v_lshrrev_b32_e32 v6, s68, v6
	v_mad_u32 v4, v1, s61, v4
	v_mad_u32 v1, v1, s60, v2
	s_delay_alu instid0(VALU_DEP_4) | instskip(NEXT) | instid1(VALU_DEP_4)
	v_sub_nc_u32_e32 v2, v3, v7
	v_mul_hi_u32 v8, s70, v6
	v_mul_lo_u32 v3, v6, s58
	s_delay_alu instid0(VALU_DEP_3) | instskip(SKIP_1) | instid1(VALU_DEP_3)
	v_mad_u32 v4, v2, s63, v4
	v_mad_u32 v2, v2, s62, v1
	v_dual_add_nc_u32 v7, v6, v8 :: v_dual_sub_nc_u32 v3, v5, v3
	s_delay_alu instid0(VALU_DEP_1) | instskip(NEXT) | instid1(VALU_DEP_2)
	v_lshrrev_b32_e32 v1, s71, v7
	v_mad_u32 v4, v3, s65, v4
	s_delay_alu instid0(VALU_DEP_4) | instskip(NEXT) | instid1(VALU_DEP_3)
	v_mad_u32 v2, v3, s64, v2
	v_mul_lo_u32 v5, v1, s69
	s_delay_alu instid0(VALU_DEP_1) | instskip(NEXT) | instid1(VALU_DEP_1)
	v_sub_nc_u32_e32 v3, v6, v5
	v_mad_u32 v4, v3, s67, v4
	s_delay_alu instid0(VALU_DEP_4)
	v_mad_u32 v2, v3, s66, v2
	s_cbranch_scc0 .LBB143_569
; %bb.570:
	s_delay_alu instid0(VALU_DEP_2)
	v_mov_b32_e32 v3, v4
	s_branch .LBB143_574
.LBB143_571:
	s_mov_b32 s0, -1
                                        ; implicit-def: $vgpr4
                                        ; implicit-def: $vgpr2
	s_branch .LBB143_579
.LBB143_572:
	v_dual_mov_b32 v4, 0 :: v_dual_mov_b32 v2, 0
	s_branch .LBB143_578
.LBB143_573:
	v_mov_b64_e32 v[2:3], 0
	v_mov_b32_e32 v1, v0
                                        ; implicit-def: $vgpr4
.LBB143_574:
	s_and_b32 s0, s0, 3
	s_mov_b32 s27, 0
	s_cmp_eq_u32 s0, 0
	s_cbranch_scc1 .LBB143_578
; %bb.575:
	s_lshl_b32 s28, s26, 3
	s_mov_b32 s29, s27
	s_mul_u64 s[30:31], s[26:27], 12
	s_add_nc_u64 s[28:29], s[2:3], s[28:29]
	s_delay_alu instid0(SALU_CYCLE_1)
	s_add_nc_u64 s[26:27], s[28:29], 0xc4
	s_add_nc_u64 s[28:29], s[2:3], s[30:31]
.LBB143_576:                            ; =>This Inner Loop Header: Depth=1
	s_load_b96 s[52:54], s[28:29], 0x4
	s_load_b64 s[30:31], s[26:27], 0x0
	s_add_co_i32 s0, s0, -1
	s_wait_xcnt 0x0
	s_add_nc_u64 s[28:29], s[28:29], 12
	s_cmp_lg_u32 s0, 0
	s_add_nc_u64 s[26:27], s[26:27], 8
	s_wait_kmcnt 0x0
	v_mul_hi_u32 v4, s53, v1
	s_delay_alu instid0(VALU_DEP_1) | instskip(NEXT) | instid1(VALU_DEP_1)
	v_add_nc_u32_e32 v4, v1, v4
	v_lshrrev_b32_e32 v4, s54, v4
	s_delay_alu instid0(VALU_DEP_1) | instskip(NEXT) | instid1(VALU_DEP_1)
	v_mul_lo_u32 v5, v4, s52
	v_sub_nc_u32_e32 v1, v1, v5
	s_delay_alu instid0(VALU_DEP_1)
	v_mad_u32 v3, v1, s31, v3
	v_mad_u32 v2, v1, s30, v2
	v_mov_b32_e32 v1, v4
	s_cbranch_scc1 .LBB143_576
; %bb.577:
	s_delay_alu instid0(VALU_DEP_3)
	v_mov_b32_e32 v4, v3
.LBB143_578:
	s_mov_b32 s0, 0
.LBB143_579:
	s_delay_alu instid0(SALU_CYCLE_1)
	s_and_not1_b32 vcc_lo, exec_lo, s0
	s_cbranch_vccnz .LBB143_582
; %bb.580:
	v_mov_b32_e32 v1, 0
	s_and_not1_b32 vcc_lo, exec_lo, s38
	s_delay_alu instid0(VALU_DEP_1) | instskip(NEXT) | instid1(VALU_DEP_1)
	v_mul_u64_e32 v[2:3], s[20:21], v[0:1]
	v_add_nc_u32_e32 v2, v0, v3
	s_wait_loadcnt 0x0
	s_delay_alu instid0(VALU_DEP_1) | instskip(NEXT) | instid1(VALU_DEP_1)
	v_lshrrev_b32_e32 v6, s10, v2
	v_mul_lo_u32 v2, v6, s8
	s_delay_alu instid0(VALU_DEP_1) | instskip(NEXT) | instid1(VALU_DEP_1)
	v_sub_nc_u32_e32 v2, v0, v2
	v_mul_lo_u32 v4, v2, s13
	v_mul_lo_u32 v2, v2, s12
	s_cbranch_vccnz .LBB143_582
; %bb.581:
	v_mov_b32_e32 v7, v1
	s_delay_alu instid0(VALU_DEP_1) | instskip(NEXT) | instid1(VALU_DEP_1)
	v_mul_u64_e32 v[8:9], s[22:23], v[6:7]
	v_add_nc_u32_e32 v1, v6, v9
	s_delay_alu instid0(VALU_DEP_1) | instskip(NEXT) | instid1(VALU_DEP_1)
	v_lshrrev_b32_e32 v1, s1, v1
	v_mul_lo_u32 v1, v1, s11
	s_delay_alu instid0(VALU_DEP_1) | instskip(NEXT) | instid1(VALU_DEP_1)
	v_sub_nc_u32_e32 v1, v6, v1
	v_mad_u32 v2, v1, s14, v2
	v_mad_u32 v4, v1, s15, v4
.LBB143_582:
	v_mov_b32_e32 v5, 0
	s_and_b32 s0, 0xffff, s37
	s_delay_alu instid0(SALU_CYCLE_1) | instskip(NEXT) | instid1(VALU_DEP_1)
	s_cmp_lt_i32 s0, 11
	v_add_nc_u64_e32 v[4:5], s[6:7], v[4:5]
	s_cbranch_scc1 .LBB143_589
; %bb.583:
	s_cmp_gt_i32 s0, 25
	s_cbranch_scc0 .LBB143_590
; %bb.584:
	s_cmp_gt_i32 s0, 28
	s_cbranch_scc0 .LBB143_591
	;; [unrolled: 3-line block ×4, first 2 shown]
; %bb.587:
	s_cmp_eq_u32 s0, 46
	s_mov_b32 s28, 0
	s_cbranch_scc0 .LBB143_598
; %bb.588:
	global_load_b32 v1, v[4:5], off
	s_mov_b32 s27, -1
	s_mov_b32 s26, 0
	s_wait_loadcnt 0x0
	v_and_b32_e32 v7, 0xffff0000, v1
	v_lshlrev_b32_e32 v6, 16, v1
	s_branch .LBB143_600
.LBB143_589:
	s_mov_b32 s28, -1
	s_mov_b32 s27, 0
	s_mov_b32 s26, s45
                                        ; implicit-def: $vgpr7
	s_branch .LBB143_668
.LBB143_590:
	s_mov_b32 s28, -1
	s_mov_b32 s27, 0
	s_mov_b32 s26, s45
                                        ; implicit-def: $vgpr7
	s_branch .LBB143_631
.LBB143_591:
	s_mov_b32 s28, -1
	s_mov_b32 s27, 0
	s_mov_b32 s26, s45
                                        ; implicit-def: $vgpr7
	s_branch .LBB143_612
.LBB143_592:
	s_mov_b32 s28, -1
	s_mov_b32 s27, 0
	s_mov_b32 s26, s45
                                        ; implicit-def: $vgpr7
	s_branch .LBB143_606
.LBB143_593:
	s_and_not1_saveexec_b32 s45, s45
	s_cbranch_execz .LBB143_355
.LBB143_594:
	v_add_f32_e32 v1, 0x46000000, v4
	s_and_not1_b32 s31, s31, exec_lo
	s_delay_alu instid0(VALU_DEP_1) | instskip(NEXT) | instid1(VALU_DEP_1)
	v_and_b32_e32 v1, 0xff, v1
	v_cmp_ne_u32_e32 vcc_lo, 0, v1
	s_and_b32 s46, vcc_lo, exec_lo
	s_delay_alu instid0(SALU_CYCLE_1)
	s_or_b32 s31, s31, s46
	s_or_b32 exec_lo, exec_lo, s45
	v_mov_b32_e32 v5, 0
	s_and_saveexec_b32 s45, s31
	s_cbranch_execnz .LBB143_356
	s_branch .LBB143_357
.LBB143_595:
	s_mov_b32 s28, -1
	s_mov_b32 s27, 0
	s_mov_b32 s26, s45
	s_branch .LBB143_599
.LBB143_596:
	s_and_not1_saveexec_b32 s45, s45
	s_cbranch_execz .LBB143_368
.LBB143_597:
	v_add_f32_e32 v1, 0x42800000, v4
	s_and_not1_b32 s31, s31, exec_lo
	s_delay_alu instid0(VALU_DEP_1) | instskip(NEXT) | instid1(VALU_DEP_1)
	v_and_b32_e32 v1, 0xff, v1
	v_cmp_ne_u32_e32 vcc_lo, 0, v1
	s_and_b32 s46, vcc_lo, exec_lo
	s_delay_alu instid0(SALU_CYCLE_1)
	s_or_b32 s31, s31, s46
	s_or_b32 exec_lo, exec_lo, s45
	v_mov_b32_e32 v5, 0
	s_and_saveexec_b32 s45, s31
	s_cbranch_execnz .LBB143_369
	s_branch .LBB143_370
.LBB143_598:
	s_mov_b32 s26, -1
	s_mov_b32 s27, 0
.LBB143_599:
                                        ; implicit-def: $vgpr7
.LBB143_600:
	s_and_b32 vcc_lo, exec_lo, s28
	s_cbranch_vccz .LBB143_605
; %bb.601:
	s_cmp_eq_u32 s0, 44
	s_cbranch_scc0 .LBB143_603
; %bb.602:
	global_load_u8 v1, v[4:5], off
	s_mov_b32 s26, 0
	s_mov_b32 s27, -1
	s_wait_loadcnt 0x0
	v_lshlrev_b32_e32 v3, 23, v1
	v_cmp_ne_u32_e32 vcc_lo, 0xff, v1
	s_delay_alu instid0(VALU_DEP_2) | instskip(SKIP_1) | instid1(VALU_DEP_2)
	v_cndmask_b32_e32 v3, 0x7f800001, v3, vcc_lo
	v_cmp_ne_u32_e32 vcc_lo, 0, v1
	v_cndmask_b32_e32 v6, 0x400000, v3, vcc_lo
	s_branch .LBB143_604
.LBB143_603:
	s_mov_b32 s26, -1
                                        ; implicit-def: $vgpr6
.LBB143_604:
	s_wait_loadcnt 0x0
	v_mov_b32_e32 v7, 0
.LBB143_605:
	s_mov_b32 s28, 0
.LBB143_606:
	s_delay_alu instid0(SALU_CYCLE_1)
	s_and_b32 vcc_lo, exec_lo, s28
	s_cbranch_vccz .LBB143_611
; %bb.607:
	s_cmp_eq_u32 s0, 29
	s_cbranch_scc0 .LBB143_609
; %bb.608:
	s_wait_loadcnt 0x0
	global_load_b64 v[6:7], v[4:5], off
	s_mov_b32 s27, -1
	s_mov_b32 s26, 0
	s_wait_loadcnt 0x0
	v_clz_i32_u32_e32 v1, v7
	s_delay_alu instid0(VALU_DEP_1) | instskip(NEXT) | instid1(VALU_DEP_1)
	v_min_u32_e32 v1, 32, v1
	v_lshlrev_b64_e32 v[6:7], v1, v[6:7]
	v_sub_nc_u32_e32 v1, 32, v1
	s_delay_alu instid0(VALU_DEP_2) | instskip(NEXT) | instid1(VALU_DEP_1)
	v_min_u32_e32 v3, 1, v6
	v_or_b32_e32 v3, v7, v3
	s_delay_alu instid0(VALU_DEP_1) | instskip(NEXT) | instid1(VALU_DEP_1)
	v_cvt_f32_u32_e32 v3, v3
	v_ldexp_f32 v6, v3, v1
	s_branch .LBB143_610
.LBB143_609:
	s_mov_b32 s26, -1
                                        ; implicit-def: $vgpr6
.LBB143_610:
	s_wait_loadcnt 0x0
	v_mov_b32_e32 v7, 0
.LBB143_611:
	s_mov_b32 s28, 0
.LBB143_612:
	s_delay_alu instid0(SALU_CYCLE_1)
	s_and_b32 vcc_lo, exec_lo, s28
	s_cbranch_vccz .LBB143_630
; %bb.613:
	s_cmp_lt_i32 s0, 27
	s_cbranch_scc1 .LBB143_616
; %bb.614:
	s_cmp_gt_i32 s0, 27
	s_cbranch_scc0 .LBB143_617
; %bb.615:
	global_load_b32 v1, v[4:5], off
	s_mov_b32 s27, 0
	s_wait_loadcnt 0x0
	v_cvt_f32_u32_e32 v6, v1
	s_branch .LBB143_618
.LBB143_616:
	s_mov_b32 s27, -1
                                        ; implicit-def: $vgpr6
	s_branch .LBB143_621
.LBB143_617:
	s_mov_b32 s27, -1
                                        ; implicit-def: $vgpr6
.LBB143_618:
	s_delay_alu instid0(SALU_CYCLE_1)
	s_and_not1_b32 vcc_lo, exec_lo, s27
	s_cbranch_vccnz .LBB143_620
; %bb.619:
	global_load_u16 v1, v[4:5], off
	s_wait_loadcnt 0x0
	v_cvt_f32_u32_e32 v6, v1
.LBB143_620:
	s_mov_b32 s27, 0
.LBB143_621:
	s_delay_alu instid0(SALU_CYCLE_1)
	s_and_not1_b32 vcc_lo, exec_lo, s27
	s_cbranch_vccnz .LBB143_629
; %bb.622:
	global_load_u8 v1, v[4:5], off
	s_mov_b32 s27, 0
	s_mov_b32 s28, exec_lo
	s_wait_loadcnt 0x0
	v_cmpx_lt_i16_e32 0x7f, v1
	s_xor_b32 s28, exec_lo, s28
	s_cbranch_execz .LBB143_643
; %bb.623:
	s_mov_b32 s27, -1
	s_mov_b32 s29, exec_lo
	v_cmpx_eq_u16_e32 0x80, v1
; %bb.624:
	s_xor_b32 s27, exec_lo, -1
; %bb.625:
	s_or_b32 exec_lo, exec_lo, s29
	s_delay_alu instid0(SALU_CYCLE_1)
	s_and_b32 s27, s27, exec_lo
	s_or_saveexec_b32 s28, s28
	v_mov_b32_e32 v6, 0x7f800001
	s_xor_b32 exec_lo, exec_lo, s28
	s_cbranch_execnz .LBB143_644
.LBB143_626:
	s_or_b32 exec_lo, exec_lo, s28
	s_and_saveexec_b32 s28, s27
	s_cbranch_execz .LBB143_628
.LBB143_627:
	v_and_b32_e32 v3, 0xffff, v1
	s_delay_alu instid0(VALU_DEP_1) | instskip(SKIP_1) | instid1(VALU_DEP_2)
	v_dual_lshlrev_b32 v1, 24, v1 :: v_dual_bitop2_b32 v6, 7, v3 bitop3:0x40
	v_bfe_u32 v9, v3, 3, 4
	v_and_b32_e32 v1, 0x80000000, v1
	s_delay_alu instid0(VALU_DEP_3) | instskip(NEXT) | instid1(VALU_DEP_3)
	v_clz_i32_u32_e32 v7, v6
	v_cmp_eq_u32_e32 vcc_lo, 0, v9
	s_delay_alu instid0(VALU_DEP_2) | instskip(NEXT) | instid1(VALU_DEP_1)
	v_min_u32_e32 v7, 32, v7
	v_subrev_nc_u32_e32 v8, 28, v7
	v_sub_nc_u32_e32 v7, 29, v7
	s_delay_alu instid0(VALU_DEP_2) | instskip(NEXT) | instid1(VALU_DEP_2)
	v_lshlrev_b32_e32 v3, v8, v3
	v_cndmask_b32_e32 v7, v9, v7, vcc_lo
	s_delay_alu instid0(VALU_DEP_2) | instskip(NEXT) | instid1(VALU_DEP_1)
	v_and_b32_e32 v3, 7, v3
	v_cndmask_b32_e32 v3, v6, v3, vcc_lo
	s_delay_alu instid0(VALU_DEP_3) | instskip(NEXT) | instid1(VALU_DEP_2)
	v_lshl_add_u32 v6, v7, 23, 0x3b800000
	v_lshlrev_b32_e32 v3, 20, v3
	s_delay_alu instid0(VALU_DEP_1)
	v_or3_b32 v6, v1, v6, v3
.LBB143_628:
	s_or_b32 exec_lo, exec_lo, s28
.LBB143_629:
	s_wait_loadcnt 0x0
	v_mov_b32_e32 v7, 0
	s_mov_b32 s27, -1
.LBB143_630:
	s_mov_b32 s28, 0
.LBB143_631:
	s_delay_alu instid0(SALU_CYCLE_1)
	s_and_b32 vcc_lo, exec_lo, s28
	s_cbranch_vccz .LBB143_667
; %bb.632:
	s_cmp_gt_i32 s0, 22
	s_cbranch_scc0 .LBB143_642
; %bb.633:
	s_cmp_lt_i32 s0, 24
	s_cbranch_scc1 .LBB143_645
; %bb.634:
	s_cmp_gt_i32 s0, 24
	s_cbranch_scc0 .LBB143_646
; %bb.635:
	global_load_u8 v1, v[4:5], off
	s_mov_b32 s27, 0
	s_mov_b32 s28, exec_lo
	s_wait_loadcnt 0x0
	v_cmpx_lt_i16_e32 0x7f, v1
	s_xor_b32 s28, exec_lo, s28
	s_cbranch_execz .LBB143_658
; %bb.636:
	s_mov_b32 s27, -1
	s_mov_b32 s29, exec_lo
	v_cmpx_eq_u16_e32 0x80, v1
; %bb.637:
	s_xor_b32 s27, exec_lo, -1
; %bb.638:
	s_or_b32 exec_lo, exec_lo, s29
	s_delay_alu instid0(SALU_CYCLE_1)
	s_and_b32 s27, s27, exec_lo
	s_or_saveexec_b32 s28, s28
	v_mov_b32_e32 v6, 0x7f800001
	s_xor_b32 exec_lo, exec_lo, s28
	s_cbranch_execnz .LBB143_659
.LBB143_639:
	s_or_b32 exec_lo, exec_lo, s28
	s_and_saveexec_b32 s28, s27
	s_cbranch_execz .LBB143_641
.LBB143_640:
	v_and_b32_e32 v3, 0xffff, v1
	s_delay_alu instid0(VALU_DEP_1) | instskip(SKIP_1) | instid1(VALU_DEP_2)
	v_dual_lshlrev_b32 v1, 24, v1 :: v_dual_bitop2_b32 v6, 3, v3 bitop3:0x40
	v_bfe_u32 v9, v3, 2, 5
	v_and_b32_e32 v1, 0x80000000, v1
	s_delay_alu instid0(VALU_DEP_3) | instskip(NEXT) | instid1(VALU_DEP_3)
	v_clz_i32_u32_e32 v7, v6
	v_cmp_eq_u32_e32 vcc_lo, 0, v9
	s_delay_alu instid0(VALU_DEP_2) | instskip(NEXT) | instid1(VALU_DEP_1)
	v_min_u32_e32 v7, 32, v7
	v_subrev_nc_u32_e32 v8, 29, v7
	v_sub_nc_u32_e32 v7, 30, v7
	s_delay_alu instid0(VALU_DEP_2) | instskip(NEXT) | instid1(VALU_DEP_2)
	v_lshlrev_b32_e32 v3, v8, v3
	v_cndmask_b32_e32 v7, v9, v7, vcc_lo
	s_delay_alu instid0(VALU_DEP_2) | instskip(NEXT) | instid1(VALU_DEP_1)
	v_and_b32_e32 v3, 3, v3
	v_cndmask_b32_e32 v3, v6, v3, vcc_lo
	s_delay_alu instid0(VALU_DEP_3) | instskip(NEXT) | instid1(VALU_DEP_2)
	v_lshl_add_u32 v6, v7, 23, 0x37800000
	v_lshlrev_b32_e32 v3, 21, v3
	s_delay_alu instid0(VALU_DEP_1)
	v_or3_b32 v6, v1, v6, v3
.LBB143_641:
	s_or_b32 exec_lo, exec_lo, s28
	s_mov_b32 s27, 0
	s_branch .LBB143_647
.LBB143_642:
	s_mov_b32 s28, -1
                                        ; implicit-def: $vgpr6
	s_branch .LBB143_653
.LBB143_643:
	s_or_saveexec_b32 s28, s28
	v_mov_b32_e32 v6, 0x7f800001
	s_xor_b32 exec_lo, exec_lo, s28
	s_cbranch_execz .LBB143_626
.LBB143_644:
	v_cmp_ne_u16_e32 vcc_lo, 0, v1
	v_mov_b32_e32 v6, 0
	s_and_not1_b32 s27, s27, exec_lo
	s_and_b32 s29, vcc_lo, exec_lo
	s_delay_alu instid0(SALU_CYCLE_1)
	s_or_b32 s27, s27, s29
	s_or_b32 exec_lo, exec_lo, s28
	s_and_saveexec_b32 s28, s27
	s_cbranch_execnz .LBB143_627
	s_branch .LBB143_628
.LBB143_645:
	s_mov_b32 s27, -1
                                        ; implicit-def: $vgpr6
	s_branch .LBB143_650
.LBB143_646:
	s_mov_b32 s27, -1
                                        ; implicit-def: $vgpr6
.LBB143_647:
	s_delay_alu instid0(SALU_CYCLE_1)
	s_and_b32 vcc_lo, exec_lo, s27
	s_cbranch_vccz .LBB143_649
; %bb.648:
	global_load_u8 v1, v[4:5], off
	s_wait_loadcnt 0x0
	v_lshlrev_b32_e32 v1, 24, v1
	s_delay_alu instid0(VALU_DEP_1) | instskip(NEXT) | instid1(VALU_DEP_1)
	v_and_b32_e32 v3, 0x7f000000, v1
	v_clz_i32_u32_e32 v6, v3
	v_cmp_ne_u32_e32 vcc_lo, 0, v3
	v_add_nc_u32_e32 v8, 0x1000000, v3
	s_delay_alu instid0(VALU_DEP_3) | instskip(NEXT) | instid1(VALU_DEP_1)
	v_min_u32_e32 v6, 32, v6
	v_sub_nc_u32_e64 v6, v6, 4 clamp
	s_delay_alu instid0(VALU_DEP_1) | instskip(NEXT) | instid1(VALU_DEP_1)
	v_dual_lshlrev_b32 v7, v6, v3 :: v_dual_lshlrev_b32 v6, 23, v6
	v_lshrrev_b32_e32 v7, 4, v7
	s_delay_alu instid0(VALU_DEP_1) | instskip(NEXT) | instid1(VALU_DEP_1)
	v_dual_sub_nc_u32 v6, v7, v6 :: v_dual_ashrrev_i32 v7, 8, v8
	v_add_nc_u32_e32 v6, 0x3c000000, v6
	s_delay_alu instid0(VALU_DEP_1) | instskip(NEXT) | instid1(VALU_DEP_1)
	v_and_or_b32 v6, 0x7f800000, v7, v6
	v_cndmask_b32_e32 v3, 0, v6, vcc_lo
	s_delay_alu instid0(VALU_DEP_1)
	v_and_or_b32 v6, 0x80000000, v1, v3
.LBB143_649:
	s_mov_b32 s27, 0
.LBB143_650:
	s_delay_alu instid0(SALU_CYCLE_1)
	s_and_not1_b32 vcc_lo, exec_lo, s27
	s_cbranch_vccnz .LBB143_652
; %bb.651:
	global_load_u8 v1, v[4:5], off
	s_wait_loadcnt 0x0
	v_lshlrev_b32_e32 v3, 25, v1
	v_lshlrev_b16 v1, 8, v1
	s_delay_alu instid0(VALU_DEP_1) | instskip(SKIP_1) | instid1(VALU_DEP_2)
	v_and_or_b32 v7, 0x7f00, v1, 0.5
	v_bfe_i32 v1, v1, 0, 16
	v_add_f32_e32 v7, -0.5, v7
	v_lshrrev_b32_e32 v6, 4, v3
	v_cmp_gt_u32_e32 vcc_lo, 0x8000000, v3
	s_delay_alu instid0(VALU_DEP_2) | instskip(NEXT) | instid1(VALU_DEP_1)
	v_or_b32_e32 v6, 0x70000000, v6
	v_mul_f32_e32 v6, 0x7800000, v6
	s_delay_alu instid0(VALU_DEP_1) | instskip(NEXT) | instid1(VALU_DEP_1)
	v_cndmask_b32_e32 v3, v6, v7, vcc_lo
	v_and_or_b32 v6, 0x80000000, v1, v3
.LBB143_652:
	s_mov_b32 s28, 0
	s_mov_b32 s27, -1
.LBB143_653:
	s_and_not1_b32 vcc_lo, exec_lo, s28
	s_cbranch_vccnz .LBB143_666
; %bb.654:
	s_cmp_gt_i32 s0, 14
	s_cbranch_scc0 .LBB143_657
; %bb.655:
	s_cmp_eq_u32 s0, 15
	s_cbranch_scc0 .LBB143_660
; %bb.656:
	global_load_u16 v1, v[4:5], off
	s_mov_b32 s27, -1
	s_mov_b32 s26, 0
	s_wait_loadcnt 0x0
	v_lshlrev_b32_e32 v6, 16, v1
	s_branch .LBB143_661
.LBB143_657:
	s_mov_b32 s28, -1
                                        ; implicit-def: $vgpr6
	s_branch .LBB143_662
.LBB143_658:
	s_or_saveexec_b32 s28, s28
	v_mov_b32_e32 v6, 0x7f800001
	s_xor_b32 exec_lo, exec_lo, s28
	s_cbranch_execz .LBB143_639
.LBB143_659:
	v_cmp_ne_u16_e32 vcc_lo, 0, v1
	v_mov_b32_e32 v6, 0
	s_and_not1_b32 s27, s27, exec_lo
	s_and_b32 s29, vcc_lo, exec_lo
	s_delay_alu instid0(SALU_CYCLE_1)
	s_or_b32 s27, s27, s29
	s_or_b32 exec_lo, exec_lo, s28
	s_and_saveexec_b32 s28, s27
	s_cbranch_execnz .LBB143_640
	s_branch .LBB143_641
.LBB143_660:
	s_mov_b32 s26, -1
                                        ; implicit-def: $vgpr6
.LBB143_661:
	s_mov_b32 s28, 0
.LBB143_662:
	s_delay_alu instid0(SALU_CYCLE_1)
	s_and_b32 vcc_lo, exec_lo, s28
	s_cbranch_vccz .LBB143_666
; %bb.663:
	s_cmp_eq_u32 s0, 11
	s_cbranch_scc0 .LBB143_665
; %bb.664:
	global_load_u8 v1, v[4:5], off
	s_mov_b32 s26, 0
	s_mov_b32 s27, -1
	s_wait_loadcnt 0x1
	v_mov_b32_e32 v7, 0
	s_wait_loadcnt 0x0
	v_cmp_ne_u16_e32 vcc_lo, 0, v1
	v_cndmask_b32_e64 v6, 0, 1.0, vcc_lo
	s_branch .LBB143_667
.LBB143_665:
	s_mov_b32 s26, -1
                                        ; implicit-def: $vgpr6
.LBB143_666:
	s_wait_loadcnt 0x0
	v_mov_b32_e32 v7, 0
.LBB143_667:
	s_mov_b32 s28, 0
.LBB143_668:
	s_delay_alu instid0(SALU_CYCLE_1)
	s_and_b32 vcc_lo, exec_lo, s28
	s_cbranch_vccz .LBB143_719
; %bb.669:
	s_cmp_lt_i32 s0, 5
	s_cbranch_scc1 .LBB143_674
; %bb.670:
	s_cmp_lt_i32 s0, 8
	s_cbranch_scc1 .LBB143_675
; %bb.671:
	s_cmp_lt_i32 s0, 9
	s_cbranch_scc1 .LBB143_676
; %bb.672:
	s_cmp_gt_i32 s0, 9
	s_cbranch_scc0 .LBB143_677
; %bb.673:
	s_wait_loadcnt 0x0
	global_load_b128 v[6:9], v[4:5], off
	s_mov_b32 s27, 0
	s_wait_loadcnt 0x0
	v_cvt_f32_f64_e32 v6, v[6:7]
	v_cvt_f32_f64_e32 v7, v[8:9]
	s_branch .LBB143_678
.LBB143_674:
	s_mov_b32 s27, -1
                                        ; implicit-def: $vgpr7
	s_branch .LBB143_697
.LBB143_675:
	s_mov_b32 s27, -1
                                        ; implicit-def: $vgpr7
	s_branch .LBB143_684
.LBB143_676:
	s_mov_b32 s27, -1
                                        ; implicit-def: $vgpr7
	s_branch .LBB143_681
.LBB143_677:
	s_mov_b32 s27, -1
                                        ; implicit-def: $vgpr7
.LBB143_678:
	s_delay_alu instid0(SALU_CYCLE_1)
	s_and_not1_b32 vcc_lo, exec_lo, s27
	s_cbranch_vccnz .LBB143_680
; %bb.679:
	s_wait_loadcnt 0x0
	global_load_b64 v[6:7], v[4:5], off
.LBB143_680:
	s_mov_b32 s27, 0
.LBB143_681:
	s_delay_alu instid0(SALU_CYCLE_1)
	s_and_not1_b32 vcc_lo, exec_lo, s27
	s_cbranch_vccnz .LBB143_683
; %bb.682:
	global_load_b32 v1, v[4:5], off
	s_wait_loadcnt 0x0
	v_lshrrev_b32_e32 v3, 16, v1
	v_cvt_f32_f16_e32 v6, v1
	s_delay_alu instid0(VALU_DEP_2)
	v_cvt_f32_f16_e32 v7, v3
.LBB143_683:
	s_mov_b32 s27, 0
.LBB143_684:
	s_delay_alu instid0(SALU_CYCLE_1)
	s_and_not1_b32 vcc_lo, exec_lo, s27
	s_cbranch_vccnz .LBB143_696
; %bb.685:
	s_cmp_lt_i32 s0, 6
	s_cbranch_scc1 .LBB143_688
; %bb.686:
	s_cmp_gt_i32 s0, 6
	s_cbranch_scc0 .LBB143_689
; %bb.687:
	s_wait_loadcnt 0x0
	global_load_b64 v[6:7], v[4:5], off
	s_mov_b32 s27, 0
	s_wait_loadcnt 0x0
	v_cvt_f32_f64_e32 v6, v[6:7]
	s_branch .LBB143_690
.LBB143_688:
	s_mov_b32 s27, -1
                                        ; implicit-def: $vgpr6
	s_branch .LBB143_693
.LBB143_689:
	s_mov_b32 s27, -1
                                        ; implicit-def: $vgpr6
.LBB143_690:
	s_delay_alu instid0(SALU_CYCLE_1)
	s_and_not1_b32 vcc_lo, exec_lo, s27
	s_cbranch_vccnz .LBB143_692
; %bb.691:
	s_wait_loadcnt 0x0
	global_load_b32 v6, v[4:5], off
.LBB143_692:
	s_mov_b32 s27, 0
.LBB143_693:
	s_delay_alu instid0(SALU_CYCLE_1)
	s_and_not1_b32 vcc_lo, exec_lo, s27
	s_cbranch_vccnz .LBB143_695
; %bb.694:
	global_load_u16 v1, v[4:5], off
	s_wait_loadcnt 0x0
	v_cvt_f32_f16_e32 v6, v1
.LBB143_695:
	s_wait_loadcnt 0x0
	v_mov_b32_e32 v7, 0
.LBB143_696:
	s_mov_b32 s27, 0
.LBB143_697:
	s_delay_alu instid0(SALU_CYCLE_1)
	s_and_not1_b32 vcc_lo, exec_lo, s27
	s_cbranch_vccnz .LBB143_718
; %bb.698:
	s_cmp_lt_i32 s0, 2
	s_cbranch_scc1 .LBB143_702
; %bb.699:
	s_cmp_lt_i32 s0, 3
	s_cbranch_scc1 .LBB143_703
; %bb.700:
	s_cmp_gt_i32 s0, 3
	s_cbranch_scc0 .LBB143_704
; %bb.701:
	s_wait_loadcnt 0x0
	global_load_b64 v[6:7], v[4:5], off
	s_mov_b32 s27, 0
	s_wait_loadcnt 0x0
	v_xor_b32_e32 v1, v6, v7
	v_cls_i32_e32 v3, v7
	s_delay_alu instid0(VALU_DEP_2) | instskip(NEXT) | instid1(VALU_DEP_1)
	v_ashrrev_i32_e32 v1, 31, v1
	v_add_nc_u32_e32 v1, 32, v1
	s_delay_alu instid0(VALU_DEP_1) | instskip(NEXT) | instid1(VALU_DEP_1)
	v_add_min_u32_e64 v1, v3, -1, v1
	v_lshlrev_b64_e32 v[6:7], v1, v[6:7]
	v_sub_nc_u32_e32 v1, 32, v1
	s_delay_alu instid0(VALU_DEP_2) | instskip(NEXT) | instid1(VALU_DEP_1)
	v_min_u32_e32 v3, 1, v6
	v_or_b32_e32 v3, v7, v3
	s_delay_alu instid0(VALU_DEP_1) | instskip(NEXT) | instid1(VALU_DEP_1)
	v_cvt_f32_i32_e32 v3, v3
	v_ldexp_f32 v6, v3, v1
	s_branch .LBB143_705
.LBB143_702:
	s_mov_b32 s27, -1
                                        ; implicit-def: $vgpr6
	s_branch .LBB143_711
.LBB143_703:
	s_mov_b32 s27, -1
                                        ; implicit-def: $vgpr6
	s_branch .LBB143_708
.LBB143_704:
	s_mov_b32 s27, -1
                                        ; implicit-def: $vgpr6
.LBB143_705:
	s_delay_alu instid0(SALU_CYCLE_1)
	s_and_not1_b32 vcc_lo, exec_lo, s27
	s_cbranch_vccnz .LBB143_707
; %bb.706:
	global_load_b32 v1, v[4:5], off
	s_wait_loadcnt 0x0
	v_cvt_f32_i32_e32 v6, v1
.LBB143_707:
	s_mov_b32 s27, 0
.LBB143_708:
	s_delay_alu instid0(SALU_CYCLE_1)
	s_and_not1_b32 vcc_lo, exec_lo, s27
	s_cbranch_vccnz .LBB143_710
; %bb.709:
	global_load_i16 v1, v[4:5], off
	s_wait_loadcnt 0x0
	v_cvt_f32_i32_e32 v6, v1
.LBB143_710:
	s_mov_b32 s27, 0
.LBB143_711:
	s_delay_alu instid0(SALU_CYCLE_1)
	s_and_not1_b32 vcc_lo, exec_lo, s27
	s_cbranch_vccnz .LBB143_717
; %bb.712:
	s_cmp_gt_i32 s0, 0
	s_mov_b32 s0, 0
	s_cbranch_scc0 .LBB143_714
; %bb.713:
	global_load_i8 v1, v[4:5], off
	s_wait_loadcnt 0x0
	v_cvt_f32_i32_e32 v6, v1
	s_branch .LBB143_715
.LBB143_714:
	s_mov_b32 s0, -1
                                        ; implicit-def: $vgpr6
.LBB143_715:
	s_delay_alu instid0(SALU_CYCLE_1)
	s_and_not1_b32 vcc_lo, exec_lo, s0
	s_cbranch_vccnz .LBB143_717
; %bb.716:
	global_load_u8 v1, v[4:5], off
	s_wait_loadcnt 0x0
	v_cvt_f32_ubyte0_e32 v6, v1
.LBB143_717:
	s_wait_loadcnt 0x0
	v_mov_b32_e32 v7, 0
.LBB143_718:
	s_mov_b32 s27, -1
.LBB143_719:
	s_delay_alu instid0(SALU_CYCLE_1)
	s_and_not1_b32 vcc_lo, exec_lo, s27
	s_cbranch_vccnz .LBB143_722
; %bb.720:
	s_and_not1_b32 vcc_lo, exec_lo, s9
	s_cbranch_vccnz .LBB143_723
; %bb.721:
	s_wait_loadcnt 0x0
	s_delay_alu instid0(VALU_DEP_2) | instskip(NEXT) | instid1(VALU_DEP_2)
	v_cmp_neq_f32_e32 vcc_lo, s16, v6
	v_cmp_neq_f32_e64 s0, s17, v7
	s_or_b32 s27, vcc_lo, s0
	s_mov_b32 s0, 0
	s_branch .LBB143_724
.LBB143_722:
	s_mov_b32 s27, 0
	s_mov_b32 s0, s46
	s_branch .LBB143_849
.LBB143_723:
	s_mov_b32 s0, -1
                                        ; implicit-def: $sgpr27
.LBB143_724:
	s_delay_alu instid0(SALU_CYCLE_1)
	s_and_not1_b32 vcc_lo, exec_lo, s0
	s_cbranch_vccnz .LBB143_726
; %bb.725:
	s_wait_loadcnt 0x0
	s_delay_alu instid0(VALU_DEP_1) | instskip(NEXT) | instid1(VALU_DEP_3)
	v_cmp_eq_f32_e32 vcc_lo, s17, v7
	v_cmp_eq_f32_e64 s0, s16, v6
	s_and_not1_b32 s27, s27, exec_lo
	s_and_b32 s0, s0, vcc_lo
	s_delay_alu instid0(SALU_CYCLE_1) | instskip(NEXT) | instid1(SALU_CYCLE_1)
	s_and_b32 s0, s0, exec_lo
	s_or_b32 s27, s27, s0
.LBB143_726:
	v_mov_b32_e32 v3, 0
	s_and_b32 s28, s18, 0xff
	s_delay_alu instid0(SALU_CYCLE_1) | instskip(NEXT) | instid1(VALU_DEP_1)
	s_cmp_lt_i32 s28, 11
	v_add_nc_u64_e32 v[2:3], s[4:5], v[2:3]
	s_cbranch_scc1 .LBB143_733
; %bb.727:
	s_and_b32 s29, 0xffff, s28
	s_delay_alu instid0(SALU_CYCLE_1)
	s_cmp_gt_i32 s29, 25
	s_cbranch_scc0 .LBB143_734
; %bb.728:
	s_cmp_gt_i32 s29, 28
	s_cbranch_scc0 .LBB143_735
; %bb.729:
	;; [unrolled: 3-line block ×4, first 2 shown]
	s_mov_b32 s31, 0
	s_mov_b32 s0, -1
	s_cmp_eq_u32 s29, 46
	s_mov_b32 s30, 0
	s_cbranch_scc0 .LBB143_738
; %bb.732:
	v_cndmask_b32_e64 v1, 0, 1.0, s27
	s_mov_b32 s30, -1
	s_mov_b32 s0, 0
	s_wait_xcnt 0x0
	s_delay_alu instid0(VALU_DEP_1) | instskip(NEXT) | instid1(VALU_DEP_1)
	v_bfe_u32 v4, v1, 16, 1
	v_add3_u32 v1, v1, v4, 0x7fff
	s_delay_alu instid0(VALU_DEP_1)
	v_lshrrev_b32_e32 v1, 16, v1
	global_store_b32 v[2:3], v1, off
	s_branch .LBB143_738
.LBB143_733:
	s_mov_b32 s29, -1
	s_mov_b32 s30, 0
	s_mov_b32 s0, s46
	s_branch .LBB143_807
.LBB143_734:
	s_mov_b32 s31, -1
	s_mov_b32 s30, 0
	s_mov_b32 s0, s46
	s_branch .LBB143_765
.LBB143_735:
	s_mov_b32 s31, -1
	s_mov_b32 s30, 0
	s_mov_b32 s0, s46
	s_branch .LBB143_748
.LBB143_736:
	s_mov_b32 s31, -1
	s_mov_b32 s30, 0
	s_mov_b32 s0, s46
	s_branch .LBB143_744
.LBB143_737:
	s_mov_b32 s31, -1
	s_mov_b32 s30, 0
	s_mov_b32 s0, s46
.LBB143_738:
	s_and_b32 vcc_lo, exec_lo, s31
	s_cbranch_vccz .LBB143_743
; %bb.739:
	s_cmp_eq_u32 s29, 44
	s_mov_b32 s0, -1
	s_cbranch_scc0 .LBB143_743
; %bb.740:
	s_wait_xcnt 0x0
	v_cndmask_b32_e64 v5, 0, 1.0, s27
	s_mov_b32 s30, exec_lo
	s_delay_alu instid0(VALU_DEP_1) | instskip(NEXT) | instid1(VALU_DEP_1)
	v_dual_mov_b32 v4, 0xff :: v_dual_lshrrev_b32 v1, 23, v5
	v_cmpx_ne_u32_e32 0xff, v1
; %bb.741:
	v_and_b32_e32 v4, 0x400000, v5
	v_and_or_b32 v5, 0x3fffff, v5, v1
	s_delay_alu instid0(VALU_DEP_2) | instskip(NEXT) | instid1(VALU_DEP_2)
	v_cmp_ne_u32_e32 vcc_lo, 0, v4
	v_cmp_ne_u32_e64 s0, 0, v5
	s_and_b32 s0, vcc_lo, s0
	s_delay_alu instid0(SALU_CYCLE_1) | instskip(NEXT) | instid1(VALU_DEP_1)
	v_cndmask_b32_e64 v4, 0, 1, s0
	v_add_nc_u32_e32 v4, v1, v4
; %bb.742:
	s_or_b32 exec_lo, exec_lo, s30
	s_mov_b32 s30, -1
	s_mov_b32 s0, 0
	global_store_b8 v[2:3], v4, off
.LBB143_743:
	s_mov_b32 s31, 0
.LBB143_744:
	s_delay_alu instid0(SALU_CYCLE_1)
	s_and_b32 vcc_lo, exec_lo, s31
	s_cbranch_vccz .LBB143_747
; %bb.745:
	s_cmp_eq_u32 s29, 29
	s_mov_b32 s0, -1
	s_cbranch_scc0 .LBB143_747
; %bb.746:
	s_mov_b32 s0, 0
	s_wait_xcnt 0x0
	v_cndmask_b32_e64 v4, 0, 1, s27
	v_mov_b32_e32 v5, s0
	s_mov_b32 s30, -1
	s_mov_b32 s31, 0
	global_store_b64 v[2:3], v[4:5], off
	s_branch .LBB143_748
.LBB143_747:
	s_mov_b32 s31, 0
.LBB143_748:
	s_delay_alu instid0(SALU_CYCLE_1)
	s_and_b32 vcc_lo, exec_lo, s31
	s_cbranch_vccz .LBB143_764
; %bb.749:
	s_cmp_lt_i32 s29, 27
	s_mov_b32 s30, -1
	s_cbranch_scc1 .LBB143_755
; %bb.750:
	s_cmp_gt_i32 s29, 27
	s_cbranch_scc0 .LBB143_752
; %bb.751:
	s_wait_xcnt 0x0
	v_cndmask_b32_e64 v1, 0, 1, s27
	s_mov_b32 s30, 0
	global_store_b32 v[2:3], v1, off
.LBB143_752:
	s_and_not1_b32 vcc_lo, exec_lo, s30
	s_cbranch_vccnz .LBB143_754
; %bb.753:
	s_wait_xcnt 0x0
	v_cndmask_b32_e64 v1, 0, 1, s27
	global_store_b16 v[2:3], v1, off
.LBB143_754:
	s_mov_b32 s30, 0
.LBB143_755:
	s_delay_alu instid0(SALU_CYCLE_1)
	s_and_not1_b32 vcc_lo, exec_lo, s30
	s_cbranch_vccnz .LBB143_763
; %bb.756:
	s_wait_xcnt 0x0
	v_cndmask_b32_e64 v4, 0, 1.0, s27
	v_mov_b32_e32 v5, 0x80
	s_mov_b32 s30, exec_lo
	s_delay_alu instid0(VALU_DEP_2)
	v_cmpx_gt_u32_e32 0x43800000, v4
	s_cbranch_execz .LBB143_762
; %bb.757:
	s_mov_b32 s31, 0
	s_mov_b32 s49, exec_lo
                                        ; implicit-def: $vgpr1
	v_cmpx_lt_u32_e32 0x3bffffff, v4
	s_xor_b32 s49, exec_lo, s49
	s_cbranch_execz .LBB143_881
; %bb.758:
	v_bfe_u32 v1, v4, 20, 1
	s_mov_b32 s31, exec_lo
	s_delay_alu instid0(VALU_DEP_1) | instskip(NEXT) | instid1(VALU_DEP_1)
	v_add3_u32 v1, v4, v1, 0x487ffff
                                        ; implicit-def: $vgpr4
	v_lshrrev_b32_e32 v1, 20, v1
	s_and_not1_saveexec_b32 s49, s49
	s_cbranch_execnz .LBB143_882
.LBB143_759:
	s_or_b32 exec_lo, exec_lo, s49
	v_mov_b32_e32 v5, 0
	s_and_saveexec_b32 s49, s31
.LBB143_760:
	v_mov_b32_e32 v5, v1
.LBB143_761:
	s_or_b32 exec_lo, exec_lo, s49
.LBB143_762:
	s_delay_alu instid0(SALU_CYCLE_1)
	s_or_b32 exec_lo, exec_lo, s30
	global_store_b8 v[2:3], v5, off
.LBB143_763:
	s_mov_b32 s30, -1
.LBB143_764:
	s_mov_b32 s31, 0
.LBB143_765:
	s_delay_alu instid0(SALU_CYCLE_1)
	s_and_b32 vcc_lo, exec_lo, s31
	s_cbranch_vccz .LBB143_806
; %bb.766:
	s_cmp_gt_i32 s29, 22
	s_mov_b32 s31, -1
	s_cbranch_scc0 .LBB143_798
; %bb.767:
	s_cmp_lt_i32 s29, 24
	s_mov_b32 s30, -1
	s_cbranch_scc1 .LBB143_787
; %bb.768:
	s_cmp_gt_i32 s29, 24
	s_cbranch_scc0 .LBB143_776
; %bb.769:
	s_wait_xcnt 0x0
	v_cndmask_b32_e64 v4, 0, 1.0, s27
	v_mov_b32_e32 v5, 0x80
	s_mov_b32 s30, exec_lo
	s_delay_alu instid0(VALU_DEP_2)
	v_cmpx_gt_u32_e32 0x47800000, v4
	s_cbranch_execz .LBB143_775
; %bb.770:
	s_mov_b32 s31, 0
	s_mov_b32 s49, exec_lo
                                        ; implicit-def: $vgpr1
	v_cmpx_lt_u32_e32 0x37ffffff, v4
	s_xor_b32 s49, exec_lo, s49
	s_cbranch_execz .LBB143_884
; %bb.771:
	v_bfe_u32 v1, v4, 21, 1
	s_mov_b32 s31, exec_lo
	s_delay_alu instid0(VALU_DEP_1) | instskip(NEXT) | instid1(VALU_DEP_1)
	v_add3_u32 v1, v4, v1, 0x88fffff
                                        ; implicit-def: $vgpr4
	v_lshrrev_b32_e32 v1, 21, v1
	s_and_not1_saveexec_b32 s49, s49
	s_cbranch_execnz .LBB143_885
.LBB143_772:
	s_or_b32 exec_lo, exec_lo, s49
	v_mov_b32_e32 v5, 0
	s_and_saveexec_b32 s49, s31
.LBB143_773:
	v_mov_b32_e32 v5, v1
.LBB143_774:
	s_or_b32 exec_lo, exec_lo, s49
.LBB143_775:
	s_delay_alu instid0(SALU_CYCLE_1)
	s_or_b32 exec_lo, exec_lo, s30
	s_mov_b32 s30, 0
	global_store_b8 v[2:3], v5, off
.LBB143_776:
	s_and_b32 vcc_lo, exec_lo, s30
	s_cbranch_vccz .LBB143_786
; %bb.777:
	s_wait_xcnt 0x0
	v_cndmask_b32_e64 v4, 0, 1.0, s27
	s_mov_b32 s30, exec_lo
                                        ; implicit-def: $vgpr1
	s_delay_alu instid0(VALU_DEP_1)
	v_cmpx_gt_u32_e32 0x43f00000, v4
	s_xor_b32 s30, exec_lo, s30
	s_cbranch_execz .LBB143_783
; %bb.778:
	s_mov_b32 s31, exec_lo
                                        ; implicit-def: $vgpr1
	v_cmpx_lt_u32_e32 0x3c7fffff, v4
	s_xor_b32 s31, exec_lo, s31
; %bb.779:
	v_bfe_u32 v1, v4, 20, 1
	s_delay_alu instid0(VALU_DEP_1) | instskip(NEXT) | instid1(VALU_DEP_1)
	v_add3_u32 v1, v4, v1, 0x407ffff
	v_and_b32_e32 v4, 0xff00000, v1
	v_lshrrev_b32_e32 v1, 20, v1
	s_delay_alu instid0(VALU_DEP_2) | instskip(NEXT) | instid1(VALU_DEP_2)
	v_cmp_ne_u32_e32 vcc_lo, 0x7f00000, v4
                                        ; implicit-def: $vgpr4
	v_cndmask_b32_e32 v1, 0x7e, v1, vcc_lo
; %bb.780:
	s_and_not1_saveexec_b32 s31, s31
; %bb.781:
	v_add_f32_e32 v1, 0x46800000, v4
; %bb.782:
	s_or_b32 exec_lo, exec_lo, s31
                                        ; implicit-def: $vgpr4
.LBB143_783:
	s_and_not1_saveexec_b32 s30, s30
; %bb.784:
	v_mov_b32_e32 v1, 0x7f
	v_cmp_lt_u32_e32 vcc_lo, 0x7f800000, v4
	s_delay_alu instid0(VALU_DEP_2)
	v_cndmask_b32_e32 v1, 0x7e, v1, vcc_lo
; %bb.785:
	s_or_b32 exec_lo, exec_lo, s30
	global_store_b8 v[2:3], v1, off
.LBB143_786:
	s_mov_b32 s30, 0
.LBB143_787:
	s_delay_alu instid0(SALU_CYCLE_1)
	s_and_not1_b32 vcc_lo, exec_lo, s30
	s_cbranch_vccnz .LBB143_797
; %bb.788:
	s_wait_xcnt 0x0
	v_cndmask_b32_e64 v4, 0, 1.0, s27
	s_mov_b32 s30, exec_lo
                                        ; implicit-def: $vgpr1
	s_delay_alu instid0(VALU_DEP_1)
	v_cmpx_gt_u32_e32 0x47800000, v4
	s_xor_b32 s30, exec_lo, s30
	s_cbranch_execz .LBB143_794
; %bb.789:
	s_mov_b32 s31, exec_lo
                                        ; implicit-def: $vgpr1
	v_cmpx_lt_u32_e32 0x387fffff, v4
	s_xor_b32 s31, exec_lo, s31
; %bb.790:
	v_bfe_u32 v1, v4, 21, 1
	s_delay_alu instid0(VALU_DEP_1) | instskip(NEXT) | instid1(VALU_DEP_1)
	v_add3_u32 v1, v4, v1, 0x80fffff
                                        ; implicit-def: $vgpr4
	v_lshrrev_b32_e32 v1, 21, v1
; %bb.791:
	s_and_not1_saveexec_b32 s31, s31
; %bb.792:
	v_add_f32_e32 v1, 0x43000000, v4
; %bb.793:
	s_or_b32 exec_lo, exec_lo, s31
                                        ; implicit-def: $vgpr4
.LBB143_794:
	s_and_not1_saveexec_b32 s30, s30
; %bb.795:
	v_mov_b32_e32 v1, 0x7f
	v_cmp_lt_u32_e32 vcc_lo, 0x7f800000, v4
	s_delay_alu instid0(VALU_DEP_2)
	v_cndmask_b32_e32 v1, 0x7c, v1, vcc_lo
; %bb.796:
	s_or_b32 exec_lo, exec_lo, s30
	global_store_b8 v[2:3], v1, off
.LBB143_797:
	s_mov_b32 s31, 0
	s_mov_b32 s30, -1
.LBB143_798:
	s_and_not1_b32 vcc_lo, exec_lo, s31
	s_cbranch_vccnz .LBB143_806
; %bb.799:
	s_cmp_gt_i32 s29, 14
	s_mov_b32 s31, -1
	s_cbranch_scc0 .LBB143_803
; %bb.800:
	s_cmp_eq_u32 s29, 15
	s_mov_b32 s0, -1
	s_cbranch_scc0 .LBB143_802
; %bb.801:
	s_wait_xcnt 0x0
	v_cndmask_b32_e64 v1, 0, 1.0, s27
	s_mov_b32 s30, -1
	s_mov_b32 s0, 0
	s_delay_alu instid0(VALU_DEP_1) | instskip(NEXT) | instid1(VALU_DEP_1)
	v_bfe_u32 v4, v1, 16, 1
	v_add3_u32 v1, v1, v4, 0x7fff
	global_store_d16_hi_b16 v[2:3], v1, off
.LBB143_802:
	s_mov_b32 s31, 0
.LBB143_803:
	s_delay_alu instid0(SALU_CYCLE_1)
	s_and_b32 vcc_lo, exec_lo, s31
	s_cbranch_vccz .LBB143_806
; %bb.804:
	s_cmp_eq_u32 s29, 11
	s_mov_b32 s0, -1
	s_cbranch_scc0 .LBB143_806
; %bb.805:
	s_wait_xcnt 0x0
	v_cndmask_b32_e64 v1, 0, 1, s27
	s_mov_b32 s30, -1
	s_mov_b32 s0, 0
	global_store_b8 v[2:3], v1, off
.LBB143_806:
	s_mov_b32 s29, 0
.LBB143_807:
	s_delay_alu instid0(SALU_CYCLE_1)
	s_and_b32 vcc_lo, exec_lo, s29
	s_cbranch_vccz .LBB143_846
; %bb.808:
	s_and_b32 s28, 0xffff, s28
	s_mov_b32 s29, -1
	s_cmp_lt_i32 s28, 5
	s_cbranch_scc1 .LBB143_829
; %bb.809:
	s_cmp_lt_i32 s28, 8
	s_cbranch_scc1 .LBB143_819
; %bb.810:
	;; [unrolled: 3-line block ×3, first 2 shown]
	s_cmp_gt_i32 s28, 9
	s_cbranch_scc0 .LBB143_813
; %bb.812:
	s_wait_xcnt 0x0
	v_cndmask_b32_e64 v1, 0, 1, s27
	s_wait_loadcnt 0x0
	v_mov_b32_e32 v6, 0
	s_mov_b32 s29, 0
	s_delay_alu instid0(VALU_DEP_2) | instskip(NEXT) | instid1(VALU_DEP_2)
	v_cvt_f64_u32_e32 v[4:5], v1
	v_mov_b32_e32 v7, v6
	global_store_b128 v[2:3], v[4:7], off
.LBB143_813:
	s_and_not1_b32 vcc_lo, exec_lo, s29
	s_cbranch_vccnz .LBB143_815
; %bb.814:
	s_wait_xcnt 0x0
	v_cndmask_b32_e64 v4, 0, 1.0, s27
	v_mov_b32_e32 v5, 0
	global_store_b64 v[2:3], v[4:5], off
.LBB143_815:
	s_mov_b32 s29, 0
.LBB143_816:
	s_delay_alu instid0(SALU_CYCLE_1)
	s_and_not1_b32 vcc_lo, exec_lo, s29
	s_cbranch_vccnz .LBB143_818
; %bb.817:
	s_wait_xcnt 0x0
	v_cndmask_b32_e64 v1, 0, 1.0, s27
	s_delay_alu instid0(VALU_DEP_1) | instskip(NEXT) | instid1(VALU_DEP_1)
	v_cvt_f16_f32_e32 v1, v1
	v_and_b32_e32 v1, 0xffff, v1
	global_store_b32 v[2:3], v1, off
.LBB143_818:
	s_mov_b32 s29, 0
.LBB143_819:
	s_delay_alu instid0(SALU_CYCLE_1)
	s_and_not1_b32 vcc_lo, exec_lo, s29
	s_cbranch_vccnz .LBB143_828
; %bb.820:
	s_cmp_lt_i32 s28, 6
	s_mov_b32 s29, -1
	s_cbranch_scc1 .LBB143_826
; %bb.821:
	s_cmp_gt_i32 s28, 6
	s_cbranch_scc0 .LBB143_823
; %bb.822:
	s_wait_xcnt 0x0
	v_cndmask_b32_e64 v1, 0, 1, s27
	s_mov_b32 s29, 0
	s_delay_alu instid0(VALU_DEP_1)
	v_cvt_f64_u32_e32 v[4:5], v1
	global_store_b64 v[2:3], v[4:5], off
.LBB143_823:
	s_and_not1_b32 vcc_lo, exec_lo, s29
	s_cbranch_vccnz .LBB143_825
; %bb.824:
	s_wait_xcnt 0x0
	v_cndmask_b32_e64 v1, 0, 1.0, s27
	global_store_b32 v[2:3], v1, off
.LBB143_825:
	s_mov_b32 s29, 0
.LBB143_826:
	s_delay_alu instid0(SALU_CYCLE_1)
	s_and_not1_b32 vcc_lo, exec_lo, s29
	s_cbranch_vccnz .LBB143_828
; %bb.827:
	s_wait_xcnt 0x0
	v_cndmask_b32_e64 v1, 0, 1.0, s27
	s_delay_alu instid0(VALU_DEP_1)
	v_cvt_f16_f32_e32 v1, v1
	global_store_b16 v[2:3], v1, off
.LBB143_828:
	s_mov_b32 s29, 0
.LBB143_829:
	s_delay_alu instid0(SALU_CYCLE_1)
	s_and_not1_b32 vcc_lo, exec_lo, s29
	s_cbranch_vccnz .LBB143_845
; %bb.830:
	s_cmp_lt_i32 s28, 2
	s_mov_b32 s29, -1
	s_cbranch_scc1 .LBB143_840
; %bb.831:
	s_cmp_lt_i32 s28, 3
	s_cbranch_scc1 .LBB143_837
; %bb.832:
	s_cmp_gt_i32 s28, 3
	s_cbranch_scc0 .LBB143_834
; %bb.833:
	s_mov_b32 s29, 0
	s_wait_xcnt 0x0
	v_cndmask_b32_e64 v4, 0, 1, s27
	v_mov_b32_e32 v5, s29
	global_store_b64 v[2:3], v[4:5], off
.LBB143_834:
	s_and_not1_b32 vcc_lo, exec_lo, s29
	s_cbranch_vccnz .LBB143_836
; %bb.835:
	s_wait_xcnt 0x0
	v_cndmask_b32_e64 v1, 0, 1, s27
	global_store_b32 v[2:3], v1, off
.LBB143_836:
	s_mov_b32 s29, 0
.LBB143_837:
	s_delay_alu instid0(SALU_CYCLE_1)
	s_and_not1_b32 vcc_lo, exec_lo, s29
	s_cbranch_vccnz .LBB143_839
; %bb.838:
	s_wait_xcnt 0x0
	v_cndmask_b32_e64 v1, 0, 1, s27
	global_store_b16 v[2:3], v1, off
.LBB143_839:
	s_mov_b32 s29, 0
.LBB143_840:
	s_delay_alu instid0(SALU_CYCLE_1)
	s_and_not1_b32 vcc_lo, exec_lo, s29
	s_cbranch_vccnz .LBB143_845
; %bb.841:
	s_wait_xcnt 0x0
	v_cndmask_b32_e64 v1, 0, 1, s27
	s_cmp_gt_i32 s28, 0
	s_mov_b32 s27, -1
	s_cbranch_scc0 .LBB143_843
; %bb.842:
	s_mov_b32 s27, 0
	global_store_b8 v[2:3], v1, off
.LBB143_843:
	s_and_not1_b32 vcc_lo, exec_lo, s27
	s_cbranch_vccnz .LBB143_845
; %bb.844:
	global_store_b8 v[2:3], v1, off
.LBB143_845:
	s_mov_b32 s30, -1
.LBB143_846:
	s_delay_alu instid0(SALU_CYCLE_1)
	s_and_not1_b32 vcc_lo, exec_lo, s30
	s_cbranch_vccnz .LBB143_848
; %bb.847:
	v_add_nc_u32_e32 v0, 0x80, v0
	s_mov_b32 s27, -1
	s_branch .LBB143_850
.LBB143_848:
	s_mov_b32 s27, 0
.LBB143_849:
                                        ; implicit-def: $vgpr0
.LBB143_850:
	s_and_not1_b32 s28, s46, exec_lo
	s_and_b32 s0, s0, exec_lo
	s_and_not1_b32 s29, s45, exec_lo
	s_and_b32 s26, s26, exec_lo
	s_or_b32 s30, s28, s0
	s_or_b32 s0, s29, s26
	s_or_not1_b32 s29, s27, exec_lo
.LBB143_851:
	s_wait_xcnt 0x0
	s_or_b32 exec_lo, exec_lo, s48
	s_mov_b32 s27, 0
	s_mov_b32 s26, 0
	;; [unrolled: 1-line block ×3, first 2 shown]
                                        ; implicit-def: $vgpr4_vgpr5
                                        ; implicit-def: $vgpr2
                                        ; implicit-def: $vgpr7
	s_and_saveexec_b32 s31, s29
	s_cbranch_execz .LBB143_956
; %bb.852:
	v_cmp_gt_i32_e32 vcc_lo, s39, v0
	s_mov_b32 s29, s0
                                        ; implicit-def: $vgpr4_vgpr5
                                        ; implicit-def: $vgpr2
                                        ; implicit-def: $vgpr7
	s_and_saveexec_b32 s39, vcc_lo
	s_cbranch_execz .LBB143_955
; %bb.853:
	s_and_not1_b32 vcc_lo, exec_lo, s35
	s_cbranch_vccnz .LBB143_859
; %bb.854:
	s_and_not1_b32 vcc_lo, exec_lo, s41
	s_cbranch_vccnz .LBB143_860
; %bb.855:
	s_add_co_i32 s40, s40, 1
	s_cmp_eq_u32 s33, 2
	s_cbranch_scc1 .LBB143_861
; %bb.856:
	v_dual_mov_b32 v2, 0 :: v_dual_mov_b32 v4, 0
	v_mov_b32_e32 v1, v0
	s_and_b32 s26, s40, 28
	s_mov_b64 s[28:29], s[2:3]
.LBB143_857:                            ; =>This Inner Loop Header: Depth=1
	s_clause 0x1
	s_load_b256 s[48:55], s[28:29], 0x4
	s_load_b128 s[64:67], s[28:29], 0x24
	s_load_b256 s[56:63], s[24:25], 0x0
	s_add_co_i32 s27, s27, 4
	s_wait_xcnt 0x0
	s_add_nc_u64 s[28:29], s[28:29], 48
	s_cmp_eq_u32 s26, s27
	s_add_nc_u64 s[24:25], s[24:25], 32
	s_wait_kmcnt 0x0
	v_mul_hi_u32 v3, s49, v1
	s_delay_alu instid0(VALU_DEP_1) | instskip(NEXT) | instid1(VALU_DEP_1)
	v_add_nc_u32_e32 v3, v1, v3
	v_lshrrev_b32_e32 v3, s50, v3
	s_delay_alu instid0(VALU_DEP_1) | instskip(NEXT) | instid1(VALU_DEP_1)
	v_mul_hi_u32 v5, s52, v3
	v_add_nc_u32_e32 v5, v3, v5
	s_delay_alu instid0(VALU_DEP_1) | instskip(SKIP_1) | instid1(VALU_DEP_1)
	v_lshrrev_b32_e32 v5, s53, v5
	s_wait_loadcnt 0x0
	v_mul_hi_u32 v6, s55, v5
	s_delay_alu instid0(VALU_DEP_1) | instskip(SKIP_1) | instid1(VALU_DEP_1)
	v_add_nc_u32_e32 v6, v5, v6
	v_mul_lo_u32 v7, v3, s48
	v_sub_nc_u32_e32 v1, v1, v7
	v_mul_lo_u32 v7, v5, s51
	s_delay_alu instid0(VALU_DEP_4) | instskip(NEXT) | instid1(VALU_DEP_3)
	v_lshrrev_b32_e32 v6, s64, v6
	v_mad_u32 v4, v1, s57, v4
	v_mad_u32 v1, v1, s56, v2
	s_delay_alu instid0(VALU_DEP_4) | instskip(NEXT) | instid1(VALU_DEP_4)
	v_sub_nc_u32_e32 v2, v3, v7
	v_mul_hi_u32 v8, s66, v6
	v_mul_lo_u32 v3, v6, s54
	s_delay_alu instid0(VALU_DEP_3) | instskip(SKIP_1) | instid1(VALU_DEP_3)
	v_mad_u32 v4, v2, s59, v4
	v_mad_u32 v2, v2, s58, v1
	v_dual_add_nc_u32 v7, v6, v8 :: v_dual_sub_nc_u32 v3, v5, v3
	s_delay_alu instid0(VALU_DEP_1) | instskip(NEXT) | instid1(VALU_DEP_2)
	v_lshrrev_b32_e32 v1, s67, v7
	v_mad_u32 v4, v3, s61, v4
	s_delay_alu instid0(VALU_DEP_4) | instskip(NEXT) | instid1(VALU_DEP_3)
	v_mad_u32 v2, v3, s60, v2
	v_mul_lo_u32 v5, v1, s65
	s_delay_alu instid0(VALU_DEP_1) | instskip(NEXT) | instid1(VALU_DEP_1)
	v_sub_nc_u32_e32 v3, v6, v5
	v_mad_u32 v4, v3, s63, v4
	s_delay_alu instid0(VALU_DEP_4)
	v_mad_u32 v2, v3, s62, v2
	s_cbranch_scc0 .LBB143_857
; %bb.858:
	s_delay_alu instid0(VALU_DEP_2)
	v_mov_b32_e32 v3, v4
	s_branch .LBB143_862
.LBB143_859:
	s_mov_b32 s24, -1
                                        ; implicit-def: $vgpr4
                                        ; implicit-def: $vgpr2
	s_branch .LBB143_867
.LBB143_860:
	v_dual_mov_b32 v4, 0 :: v_dual_mov_b32 v2, 0
	s_branch .LBB143_866
.LBB143_861:
	v_mov_b64_e32 v[2:3], 0
	v_mov_b32_e32 v1, v0
                                        ; implicit-def: $vgpr4
.LBB143_862:
	s_and_b32 s28, s40, 3
	s_mov_b32 s27, 0
	s_cmp_eq_u32 s28, 0
	s_cbranch_scc1 .LBB143_866
; %bb.863:
	s_lshl_b32 s24, s26, 3
	s_mov_b32 s25, s27
	s_mul_u64 s[26:27], s[26:27], 12
	s_add_nc_u64 s[24:25], s[2:3], s[24:25]
	s_add_nc_u64 s[26:27], s[2:3], s[26:27]
	;; [unrolled: 1-line block ×3, first 2 shown]
.LBB143_864:                            ; =>This Inner Loop Header: Depth=1
	s_load_b96 s[48:50], s[26:27], 0x4
	s_load_b64 s[40:41], s[24:25], 0x0
	s_add_co_i32 s28, s28, -1
	s_wait_xcnt 0x0
	s_add_nc_u64 s[26:27], s[26:27], 12
	s_cmp_lg_u32 s28, 0
	s_add_nc_u64 s[24:25], s[24:25], 8
	s_wait_kmcnt 0x0
	v_mul_hi_u32 v4, s49, v1
	s_delay_alu instid0(VALU_DEP_1) | instskip(NEXT) | instid1(VALU_DEP_1)
	v_add_nc_u32_e32 v4, v1, v4
	v_lshrrev_b32_e32 v4, s50, v4
	s_delay_alu instid0(VALU_DEP_1) | instskip(NEXT) | instid1(VALU_DEP_1)
	v_mul_lo_u32 v5, v4, s48
	v_sub_nc_u32_e32 v1, v1, v5
	s_delay_alu instid0(VALU_DEP_1)
	v_mad_u32 v3, v1, s41, v3
	v_mad_u32 v2, v1, s40, v2
	v_mov_b32_e32 v1, v4
	s_cbranch_scc1 .LBB143_864
; %bb.865:
	s_delay_alu instid0(VALU_DEP_3)
	v_mov_b32_e32 v4, v3
.LBB143_866:
	s_mov_b32 s24, 0
.LBB143_867:
	s_delay_alu instid0(SALU_CYCLE_1)
	s_and_not1_b32 vcc_lo, exec_lo, s24
	s_cbranch_vccnz .LBB143_870
; %bb.868:
	v_mov_b32_e32 v1, 0
	s_and_not1_b32 vcc_lo, exec_lo, s38
	s_delay_alu instid0(VALU_DEP_1) | instskip(NEXT) | instid1(VALU_DEP_1)
	v_mul_u64_e32 v[2:3], s[20:21], v[0:1]
	v_add_nc_u32_e32 v2, v0, v3
	s_wait_loadcnt 0x0
	s_delay_alu instid0(VALU_DEP_1) | instskip(NEXT) | instid1(VALU_DEP_1)
	v_lshrrev_b32_e32 v6, s10, v2
	v_mul_lo_u32 v2, v6, s8
	s_delay_alu instid0(VALU_DEP_1) | instskip(NEXT) | instid1(VALU_DEP_1)
	v_sub_nc_u32_e32 v0, v0, v2
	v_mul_lo_u32 v4, v0, s13
	v_mul_lo_u32 v2, v0, s12
	s_cbranch_vccnz .LBB143_870
; %bb.869:
	v_mov_b32_e32 v7, v1
	s_delay_alu instid0(VALU_DEP_1) | instskip(NEXT) | instid1(VALU_DEP_1)
	v_mul_u64_e32 v[0:1], s[22:23], v[6:7]
	v_add_nc_u32_e32 v0, v6, v1
	s_delay_alu instid0(VALU_DEP_1) | instskip(NEXT) | instid1(VALU_DEP_1)
	v_lshrrev_b32_e32 v0, s1, v0
	v_mul_lo_u32 v0, v0, s11
	s_delay_alu instid0(VALU_DEP_1) | instskip(NEXT) | instid1(VALU_DEP_1)
	v_sub_nc_u32_e32 v0, v6, v0
	v_mad_u32 v2, v0, s14, v2
	v_mad_u32 v4, v0, s15, v4
.LBB143_870:
	v_mov_b32_e32 v5, 0
	s_and_b32 s1, 0xffff, s37
	s_delay_alu instid0(SALU_CYCLE_1) | instskip(NEXT) | instid1(VALU_DEP_1)
	s_cmp_lt_i32 s1, 11
	v_add_nc_u64_e32 v[4:5], s[6:7], v[4:5]
	s_cbranch_scc1 .LBB143_877
; %bb.871:
	s_cmp_gt_i32 s1, 25
	s_mov_b32 s7, 0
	s_cbranch_scc0 .LBB143_878
; %bb.872:
	s_cmp_gt_i32 s1, 28
	s_cbranch_scc0 .LBB143_879
; %bb.873:
	s_cmp_gt_i32 s1, 43
	;; [unrolled: 3-line block ×3, first 2 shown]
	s_cbranch_scc0 .LBB143_883
; %bb.875:
	s_cmp_eq_u32 s1, 46
	s_mov_b32 s10, 0
	s_cbranch_scc0 .LBB143_886
; %bb.876:
	global_load_b32 v0, v[4:5], off
	s_mov_b32 s6, 0
	s_mov_b32 s8, -1
	s_wait_loadcnt 0x0
	v_and_b32_e32 v7, 0xffff0000, v0
	v_lshlrev_b32_e32 v6, 16, v0
	s_branch .LBB143_888
.LBB143_877:
	s_mov_b32 s1, -1
	s_mov_b32 s8, 0
	s_mov_b32 s7, 0
	;; [unrolled: 1-line block ×3, first 2 shown]
                                        ; implicit-def: $vgpr7
	s_branch .LBB143_954
.LBB143_878:
	s_mov_b32 s10, -1
	s_mov_b32 s8, 0
	s_mov_b32 s6, s0
                                        ; implicit-def: $vgpr7
	s_branch .LBB143_919
.LBB143_879:
	s_mov_b32 s10, -1
	s_mov_b32 s8, 0
	s_mov_b32 s6, s0
                                        ; implicit-def: $vgpr7
	s_branch .LBB143_900
.LBB143_880:
	s_mov_b32 s10, -1
	s_mov_b32 s8, 0
	s_mov_b32 s6, s0
                                        ; implicit-def: $vgpr7
	s_branch .LBB143_894
.LBB143_881:
	s_and_not1_saveexec_b32 s49, s49
	s_cbranch_execz .LBB143_759
.LBB143_882:
	v_add_f32_e32 v1, 0x46000000, v4
	s_and_not1_b32 s31, s31, exec_lo
	s_delay_alu instid0(VALU_DEP_1) | instskip(NEXT) | instid1(VALU_DEP_1)
	v_and_b32_e32 v1, 0xff, v1
	v_cmp_ne_u32_e32 vcc_lo, 0, v1
	s_and_b32 s50, vcc_lo, exec_lo
	s_delay_alu instid0(SALU_CYCLE_1)
	s_or_b32 s31, s31, s50
	s_or_b32 exec_lo, exec_lo, s49
	v_mov_b32_e32 v5, 0
	s_and_saveexec_b32 s49, s31
	s_cbranch_execnz .LBB143_760
	s_branch .LBB143_761
.LBB143_883:
	s_mov_b32 s10, -1
	s_mov_b32 s8, 0
	s_mov_b32 s6, s0
	s_branch .LBB143_887
.LBB143_884:
	s_and_not1_saveexec_b32 s49, s49
	s_cbranch_execz .LBB143_772
.LBB143_885:
	v_add_f32_e32 v1, 0x42800000, v4
	s_and_not1_b32 s31, s31, exec_lo
	s_delay_alu instid0(VALU_DEP_1) | instskip(NEXT) | instid1(VALU_DEP_1)
	v_and_b32_e32 v1, 0xff, v1
	v_cmp_ne_u32_e32 vcc_lo, 0, v1
	s_and_b32 s50, vcc_lo, exec_lo
	s_delay_alu instid0(SALU_CYCLE_1)
	s_or_b32 s31, s31, s50
	s_or_b32 exec_lo, exec_lo, s49
	v_mov_b32_e32 v5, 0
	s_and_saveexec_b32 s49, s31
	s_cbranch_execnz .LBB143_773
	s_branch .LBB143_774
.LBB143_886:
	s_mov_b32 s6, -1
	s_mov_b32 s8, 0
.LBB143_887:
                                        ; implicit-def: $vgpr7
.LBB143_888:
	s_and_b32 vcc_lo, exec_lo, s10
	s_cbranch_vccz .LBB143_893
; %bb.889:
	s_cmp_eq_u32 s1, 44
	s_cbranch_scc0 .LBB143_891
; %bb.890:
	global_load_u8 v0, v[4:5], off
	s_mov_b32 s6, 0
	s_mov_b32 s8, -1
	s_wait_loadcnt 0x0
	v_lshlrev_b32_e32 v1, 23, v0
	v_cmp_ne_u32_e32 vcc_lo, 0xff, v0
	s_delay_alu instid0(VALU_DEP_2) | instskip(SKIP_1) | instid1(VALU_DEP_2)
	v_cndmask_b32_e32 v1, 0x7f800001, v1, vcc_lo
	v_cmp_ne_u32_e32 vcc_lo, 0, v0
	v_cndmask_b32_e32 v6, 0x400000, v1, vcc_lo
	s_branch .LBB143_892
.LBB143_891:
	s_mov_b32 s6, -1
                                        ; implicit-def: $vgpr6
.LBB143_892:
	s_wait_loadcnt 0x0
	v_mov_b32_e32 v7, 0
.LBB143_893:
	s_mov_b32 s10, 0
.LBB143_894:
	s_delay_alu instid0(SALU_CYCLE_1)
	s_and_b32 vcc_lo, exec_lo, s10
	s_cbranch_vccz .LBB143_899
; %bb.895:
	s_cmp_eq_u32 s1, 29
	s_cbranch_scc0 .LBB143_897
; %bb.896:
	global_load_b64 v[0:1], v[4:5], off
	s_mov_b32 s6, 0
	s_mov_b32 s8, -1
	s_wait_loadcnt 0x0
	v_clz_i32_u32_e32 v3, v1
	s_delay_alu instid0(VALU_DEP_1) | instskip(NEXT) | instid1(VALU_DEP_1)
	v_min_u32_e32 v3, 32, v3
	v_lshlrev_b64_e32 v[0:1], v3, v[0:1]
	s_delay_alu instid0(VALU_DEP_1) | instskip(NEXT) | instid1(VALU_DEP_1)
	v_min_u32_e32 v0, 1, v0
	v_dual_sub_nc_u32 v1, 32, v3 :: v_dual_bitop2_b32 v0, v1, v0 bitop3:0x54
	s_delay_alu instid0(VALU_DEP_1) | instskip(NEXT) | instid1(VALU_DEP_1)
	v_cvt_f32_u32_e32 v0, v0
	v_ldexp_f32 v6, v0, v1
	s_branch .LBB143_898
.LBB143_897:
	s_mov_b32 s6, -1
                                        ; implicit-def: $vgpr6
.LBB143_898:
	s_wait_loadcnt 0x0
	v_mov_b32_e32 v7, 0
.LBB143_899:
	s_mov_b32 s10, 0
.LBB143_900:
	s_delay_alu instid0(SALU_CYCLE_1)
	s_and_b32 vcc_lo, exec_lo, s10
	s_cbranch_vccz .LBB143_918
; %bb.901:
	s_cmp_lt_i32 s1, 27
	s_cbranch_scc1 .LBB143_904
; %bb.902:
	s_cmp_gt_i32 s1, 27
	s_cbranch_scc0 .LBB143_905
; %bb.903:
	global_load_b32 v0, v[4:5], off
	s_mov_b32 s8, 0
	s_wait_loadcnt 0x0
	v_cvt_f32_u32_e32 v6, v0
	s_branch .LBB143_906
.LBB143_904:
	s_mov_b32 s8, -1
                                        ; implicit-def: $vgpr6
	s_branch .LBB143_909
.LBB143_905:
	s_mov_b32 s8, -1
                                        ; implicit-def: $vgpr6
.LBB143_906:
	s_delay_alu instid0(SALU_CYCLE_1)
	s_and_not1_b32 vcc_lo, exec_lo, s8
	s_cbranch_vccnz .LBB143_908
; %bb.907:
	global_load_u16 v0, v[4:5], off
	s_wait_loadcnt 0x0
	v_cvt_f32_u32_e32 v6, v0
.LBB143_908:
	s_mov_b32 s8, 0
.LBB143_909:
	s_delay_alu instid0(SALU_CYCLE_1)
	s_and_not1_b32 vcc_lo, exec_lo, s8
	s_cbranch_vccnz .LBB143_917
; %bb.910:
	global_load_u8 v0, v[4:5], off
	s_mov_b32 s8, 0
	s_mov_b32 s10, exec_lo
	s_wait_loadcnt 0x0
	v_cmpx_lt_i16_e32 0x7f, v0
	s_xor_b32 s10, exec_lo, s10
	s_cbranch_execz .LBB143_931
; %bb.911:
	s_mov_b32 s8, -1
	s_mov_b32 s11, exec_lo
	v_cmpx_eq_u16_e32 0x80, v0
; %bb.912:
	s_xor_b32 s8, exec_lo, -1
; %bb.913:
	s_or_b32 exec_lo, exec_lo, s11
	s_delay_alu instid0(SALU_CYCLE_1)
	s_and_b32 s8, s8, exec_lo
	s_or_saveexec_b32 s10, s10
	v_mov_b32_e32 v6, 0x7f800001
	s_xor_b32 exec_lo, exec_lo, s10
	s_cbranch_execnz .LBB143_932
.LBB143_914:
	s_or_b32 exec_lo, exec_lo, s10
	s_and_saveexec_b32 s10, s8
	s_cbranch_execz .LBB143_916
.LBB143_915:
	v_and_b32_e32 v1, 0xffff, v0
	s_delay_alu instid0(VALU_DEP_1) | instskip(SKIP_1) | instid1(VALU_DEP_2)
	v_and_b32_e32 v3, 7, v1
	v_bfe_u32 v8, v1, 3, 4
	v_clz_i32_u32_e32 v6, v3
	s_delay_alu instid0(VALU_DEP_2) | instskip(NEXT) | instid1(VALU_DEP_2)
	v_cmp_eq_u32_e32 vcc_lo, 0, v8
	v_min_u32_e32 v6, 32, v6
	s_delay_alu instid0(VALU_DEP_1) | instskip(NEXT) | instid1(VALU_DEP_1)
	v_subrev_nc_u32_e32 v7, 28, v6
	v_dual_lshlrev_b32 v1, v7, v1 :: v_dual_sub_nc_u32 v6, 29, v6
	s_delay_alu instid0(VALU_DEP_1) | instskip(NEXT) | instid1(VALU_DEP_1)
	v_dual_lshlrev_b32 v0, 24, v0 :: v_dual_bitop2_b32 v1, 7, v1 bitop3:0x40
	v_dual_cndmask_b32 v6, v8, v6 :: v_dual_cndmask_b32 v1, v3, v1
	s_delay_alu instid0(VALU_DEP_2) | instskip(NEXT) | instid1(VALU_DEP_2)
	v_and_b32_e32 v0, 0x80000000, v0
	v_lshl_add_u32 v3, v6, 23, 0x3b800000
	s_delay_alu instid0(VALU_DEP_3) | instskip(NEXT) | instid1(VALU_DEP_1)
	v_lshlrev_b32_e32 v1, 20, v1
	v_or3_b32 v6, v0, v3, v1
.LBB143_916:
	s_or_b32 exec_lo, exec_lo, s10
.LBB143_917:
	s_wait_loadcnt 0x0
	v_mov_b32_e32 v7, 0
	s_mov_b32 s8, -1
.LBB143_918:
	s_mov_b32 s10, 0
.LBB143_919:
	s_delay_alu instid0(SALU_CYCLE_1)
	s_and_b32 vcc_lo, exec_lo, s10
	s_cbranch_vccz .LBB143_953
; %bb.920:
	s_cmp_gt_i32 s1, 22
	s_cbranch_scc0 .LBB143_930
; %bb.921:
	s_cmp_lt_i32 s1, 24
	s_cbranch_scc1 .LBB143_933
; %bb.922:
	s_cmp_gt_i32 s1, 24
	s_cbranch_scc0 .LBB143_934
; %bb.923:
	global_load_u8 v0, v[4:5], off
	s_mov_b32 s8, exec_lo
	s_wait_loadcnt 0x0
	v_cmpx_lt_i16_e32 0x7f, v0
	s_xor_b32 s8, exec_lo, s8
	s_cbranch_execz .LBB143_946
; %bb.924:
	s_mov_b32 s7, -1
	s_mov_b32 s10, exec_lo
	v_cmpx_eq_u16_e32 0x80, v0
; %bb.925:
	s_xor_b32 s7, exec_lo, -1
; %bb.926:
	s_or_b32 exec_lo, exec_lo, s10
	s_delay_alu instid0(SALU_CYCLE_1)
	s_and_b32 s7, s7, exec_lo
	s_or_saveexec_b32 s8, s8
	v_mov_b32_e32 v6, 0x7f800001
	s_xor_b32 exec_lo, exec_lo, s8
	s_cbranch_execnz .LBB143_947
.LBB143_927:
	s_or_b32 exec_lo, exec_lo, s8
	s_and_saveexec_b32 s8, s7
	s_cbranch_execz .LBB143_929
.LBB143_928:
	v_and_b32_e32 v1, 0xffff, v0
	s_delay_alu instid0(VALU_DEP_1) | instskip(SKIP_1) | instid1(VALU_DEP_2)
	v_and_b32_e32 v3, 3, v1
	v_bfe_u32 v8, v1, 2, 5
	v_clz_i32_u32_e32 v6, v3
	s_delay_alu instid0(VALU_DEP_2) | instskip(NEXT) | instid1(VALU_DEP_2)
	v_cmp_eq_u32_e32 vcc_lo, 0, v8
	v_min_u32_e32 v6, 32, v6
	s_delay_alu instid0(VALU_DEP_1) | instskip(NEXT) | instid1(VALU_DEP_1)
	v_subrev_nc_u32_e32 v7, 29, v6
	v_dual_lshlrev_b32 v1, v7, v1 :: v_dual_sub_nc_u32 v6, 30, v6
	s_delay_alu instid0(VALU_DEP_1) | instskip(NEXT) | instid1(VALU_DEP_1)
	v_dual_lshlrev_b32 v0, 24, v0 :: v_dual_bitop2_b32 v1, 3, v1 bitop3:0x40
	v_dual_cndmask_b32 v6, v8, v6 :: v_dual_cndmask_b32 v1, v3, v1
	s_delay_alu instid0(VALU_DEP_2) | instskip(NEXT) | instid1(VALU_DEP_2)
	v_and_b32_e32 v0, 0x80000000, v0
	v_lshl_add_u32 v3, v6, 23, 0x37800000
	s_delay_alu instid0(VALU_DEP_3) | instskip(NEXT) | instid1(VALU_DEP_1)
	v_lshlrev_b32_e32 v1, 21, v1
	v_or3_b32 v6, v0, v3, v1
.LBB143_929:
	s_or_b32 exec_lo, exec_lo, s8
	s_mov_b32 s7, 0
	s_branch .LBB143_935
.LBB143_930:
	s_mov_b32 s7, -1
                                        ; implicit-def: $vgpr6
	s_branch .LBB143_941
.LBB143_931:
	s_or_saveexec_b32 s10, s10
	v_mov_b32_e32 v6, 0x7f800001
	s_xor_b32 exec_lo, exec_lo, s10
	s_cbranch_execz .LBB143_914
.LBB143_932:
	v_cmp_ne_u16_e32 vcc_lo, 0, v0
	v_mov_b32_e32 v6, 0
	s_and_not1_b32 s8, s8, exec_lo
	s_and_b32 s11, vcc_lo, exec_lo
	s_delay_alu instid0(SALU_CYCLE_1)
	s_or_b32 s8, s8, s11
	s_or_b32 exec_lo, exec_lo, s10
	s_and_saveexec_b32 s10, s8
	s_cbranch_execnz .LBB143_915
	s_branch .LBB143_916
.LBB143_933:
	s_mov_b32 s7, -1
                                        ; implicit-def: $vgpr6
	s_branch .LBB143_938
.LBB143_934:
	s_mov_b32 s7, -1
                                        ; implicit-def: $vgpr6
.LBB143_935:
	s_delay_alu instid0(SALU_CYCLE_1)
	s_and_b32 vcc_lo, exec_lo, s7
	s_cbranch_vccz .LBB143_937
; %bb.936:
	global_load_u8 v0, v[4:5], off
	s_wait_loadcnt 0x0
	v_lshlrev_b32_e32 v0, 24, v0
	s_delay_alu instid0(VALU_DEP_1) | instskip(NEXT) | instid1(VALU_DEP_1)
	v_and_b32_e32 v1, 0x7f000000, v0
	v_clz_i32_u32_e32 v3, v1
	v_add_nc_u32_e32 v7, 0x1000000, v1
	v_cmp_ne_u32_e32 vcc_lo, 0, v1
	s_delay_alu instid0(VALU_DEP_3) | instskip(NEXT) | instid1(VALU_DEP_1)
	v_min_u32_e32 v3, 32, v3
	v_sub_nc_u32_e64 v3, v3, 4 clamp
	s_delay_alu instid0(VALU_DEP_1) | instskip(NEXT) | instid1(VALU_DEP_1)
	v_dual_lshlrev_b32 v6, v3, v1 :: v_dual_lshlrev_b32 v3, 23, v3
	v_lshrrev_b32_e32 v6, 4, v6
	s_delay_alu instid0(VALU_DEP_1) | instskip(SKIP_1) | instid1(VALU_DEP_2)
	v_sub_nc_u32_e32 v3, v6, v3
	v_ashrrev_i32_e32 v6, 8, v7
	v_add_nc_u32_e32 v3, 0x3c000000, v3
	s_delay_alu instid0(VALU_DEP_1) | instskip(NEXT) | instid1(VALU_DEP_1)
	v_and_or_b32 v3, 0x7f800000, v6, v3
	v_cndmask_b32_e32 v1, 0, v3, vcc_lo
	s_delay_alu instid0(VALU_DEP_1)
	v_and_or_b32 v6, 0x80000000, v0, v1
.LBB143_937:
	s_mov_b32 s7, 0
.LBB143_938:
	s_delay_alu instid0(SALU_CYCLE_1)
	s_and_not1_b32 vcc_lo, exec_lo, s7
	s_cbranch_vccnz .LBB143_940
; %bb.939:
	global_load_u8 v0, v[4:5], off
	s_wait_loadcnt 0x0
	v_lshlrev_b32_e32 v1, 25, v0
	v_lshlrev_b16 v0, 8, v0
	s_delay_alu instid0(VALU_DEP_1) | instskip(SKIP_1) | instid1(VALU_DEP_2)
	v_and_or_b32 v6, 0x7f00, v0, 0.5
	v_bfe_i32 v0, v0, 0, 16
	v_dual_add_f32 v6, -0.5, v6 :: v_dual_lshrrev_b32 v3, 4, v1
	v_cmp_gt_u32_e32 vcc_lo, 0x8000000, v1
	s_delay_alu instid0(VALU_DEP_2) | instskip(NEXT) | instid1(VALU_DEP_1)
	v_or_b32_e32 v3, 0x70000000, v3
	v_mul_f32_e32 v3, 0x7800000, v3
	s_delay_alu instid0(VALU_DEP_1) | instskip(NEXT) | instid1(VALU_DEP_1)
	v_cndmask_b32_e32 v1, v3, v6, vcc_lo
	v_and_or_b32 v6, 0x80000000, v0, v1
.LBB143_940:
	s_mov_b32 s7, 0
	s_mov_b32 s8, -1
.LBB143_941:
	s_and_not1_b32 vcc_lo, exec_lo, s7
	s_mov_b32 s7, 0
	s_cbranch_vccnz .LBB143_952
; %bb.942:
	s_cmp_gt_i32 s1, 14
	s_cbranch_scc0 .LBB143_945
; %bb.943:
	s_cmp_eq_u32 s1, 15
	s_cbranch_scc0 .LBB143_948
; %bb.944:
	global_load_u16 v0, v[4:5], off
	s_mov_b32 s6, 0
	s_mov_b32 s8, -1
	s_wait_loadcnt 0x0
	v_lshlrev_b32_e32 v6, 16, v0
	s_branch .LBB143_950
.LBB143_945:
	s_mov_b32 s7, -1
	s_branch .LBB143_949
.LBB143_946:
	s_or_saveexec_b32 s8, s8
	v_mov_b32_e32 v6, 0x7f800001
	s_xor_b32 exec_lo, exec_lo, s8
	s_cbranch_execz .LBB143_927
.LBB143_947:
	v_cmp_ne_u16_e32 vcc_lo, 0, v0
	v_mov_b32_e32 v6, 0
	s_and_not1_b32 s7, s7, exec_lo
	s_and_b32 s10, vcc_lo, exec_lo
	s_delay_alu instid0(SALU_CYCLE_1)
	s_or_b32 s7, s7, s10
	s_or_b32 exec_lo, exec_lo, s8
	s_and_saveexec_b32 s8, s7
	s_cbranch_execnz .LBB143_928
	s_branch .LBB143_929
.LBB143_948:
	s_mov_b32 s6, -1
.LBB143_949:
                                        ; implicit-def: $vgpr6
.LBB143_950:
	s_and_b32 vcc_lo, exec_lo, s7
	s_mov_b32 s7, 0
	s_cbranch_vccz .LBB143_952
; %bb.951:
	s_cmp_lg_u32 s1, 11
	s_mov_b32 s7, -1
	s_cselect_b32 s1, -1, 0
	s_and_not1_b32 s6, s6, exec_lo
	s_and_b32 s1, s1, exec_lo
	s_delay_alu instid0(SALU_CYCLE_1)
	s_or_b32 s6, s6, s1
.LBB143_952:
	s_wait_loadcnt 0x0
	v_mov_b32_e32 v7, 0
.LBB143_953:
	s_mov_b32 s1, 0
.LBB143_954:
	s_delay_alu instid0(SALU_CYCLE_1)
	s_and_b32 s26, s1, exec_lo
	s_and_not1_b32 s1, s0, exec_lo
	s_and_b32 s6, s6, exec_lo
	s_and_b32 s28, s8, exec_lo
	;; [unrolled: 1-line block ×3, first 2 shown]
	s_or_b32 s29, s1, s6
.LBB143_955:
	s_wait_xcnt 0x0
	s_or_b32 exec_lo, exec_lo, s39
	s_delay_alu instid0(SALU_CYCLE_1)
	s_and_not1_b32 s0, s0, exec_lo
	s_and_b32 s1, s29, exec_lo
	s_and_b32 s28, s28, exec_lo
	;; [unrolled: 1-line block ×4, first 2 shown]
	s_or_b32 s0, s0, s1
.LBB143_956:
	s_or_b32 exec_lo, exec_lo, s31
	s_delay_alu instid0(SALU_CYCLE_1)
	s_and_not1_b32 s1, s46, exec_lo
	s_and_b32 s6, s30, exec_lo
	s_and_b32 s0, s0, exec_lo
	s_or_b32 s46, s1, s6
	s_and_not1_b32 s1, s45, exec_lo
	s_and_b32 s28, s28, exec_lo
	s_and_b32 s26, s26, exec_lo
	;; [unrolled: 1-line block ×3, first 2 shown]
	s_or_b32 s45, s1, s0
.LBB143_957:
	s_or_b32 exec_lo, exec_lo, s47
	s_delay_alu instid0(SALU_CYCLE_1)
	s_and_not1_b32 s0, s42, exec_lo
	s_and_b32 s1, s46, exec_lo
	s_and_b32 s6, s45, exec_lo
	s_or_b32 s42, s0, s1
	s_and_not1_b32 s1, s43, exec_lo
	s_and_b32 s0, s28, exec_lo
	s_and_b32 s26, s26, exec_lo
	;; [unrolled: 1-line block ×3, first 2 shown]
	s_or_b32 s43, s1, s6
	s_or_b32 exec_lo, exec_lo, s44
	s_mov_b32 s1, 0
	s_and_saveexec_b32 s6, s43
	s_cbranch_execz .LBB143_284
.LBB143_958:
	s_mov_b32 s1, exec_lo
	s_and_not1_b32 s21, s21, exec_lo
	s_trap 2
	s_or_b32 exec_lo, exec_lo, s6
	s_and_saveexec_b32 s6, s21
	s_delay_alu instid0(SALU_CYCLE_1)
	s_xor_b32 s6, exec_lo, s6
	s_cbranch_execnz .LBB143_285
.LBB143_959:
	s_or_b32 exec_lo, exec_lo, s6
	s_and_saveexec_b32 s6, s26
	s_cbranch_execz .LBB143_1007
.LBB143_960:
	s_sext_i32_i16 s7, s37
	s_delay_alu instid0(SALU_CYCLE_1)
	s_cmp_lt_i32 s7, 5
	s_cbranch_scc1 .LBB143_965
; %bb.961:
	s_cmp_lt_i32 s7, 8
	s_cbranch_scc1 .LBB143_966
; %bb.962:
	;; [unrolled: 3-line block ×3, first 2 shown]
	s_cmp_gt_i32 s7, 9
	s_cbranch_scc0 .LBB143_968
; %bb.964:
	s_wait_loadcnt 0x0
	global_load_b128 v[6:9], v[4:5], off
	s_mov_b32 s7, 0
	s_wait_loadcnt 0x0
	v_cvt_f32_f64_e32 v6, v[6:7]
	v_cvt_f32_f64_e32 v7, v[8:9]
	s_branch .LBB143_969
.LBB143_965:
                                        ; implicit-def: $vgpr7
	s_branch .LBB143_987
.LBB143_966:
                                        ; implicit-def: $vgpr7
	s_branch .LBB143_975
.LBB143_967:
	s_mov_b32 s7, -1
                                        ; implicit-def: $vgpr7
	s_branch .LBB143_972
.LBB143_968:
	s_mov_b32 s7, -1
                                        ; implicit-def: $vgpr7
.LBB143_969:
	s_delay_alu instid0(SALU_CYCLE_1)
	s_and_not1_b32 vcc_lo, exec_lo, s7
	s_cbranch_vccnz .LBB143_971
; %bb.970:
	s_wait_loadcnt 0x0
	global_load_b64 v[6:7], v[4:5], off
.LBB143_971:
	s_mov_b32 s7, 0
.LBB143_972:
	s_delay_alu instid0(SALU_CYCLE_1)
	s_and_not1_b32 vcc_lo, exec_lo, s7
	s_cbranch_vccnz .LBB143_974
; %bb.973:
	global_load_b32 v0, v[4:5], off
	s_wait_loadcnt 0x0
	v_lshrrev_b32_e32 v1, 16, v0
	v_cvt_f32_f16_e32 v6, v0
	s_delay_alu instid0(VALU_DEP_2)
	v_cvt_f32_f16_e32 v7, v1
.LBB143_974:
	s_cbranch_execnz .LBB143_986
.LBB143_975:
	s_sext_i32_i16 s7, s37
	s_delay_alu instid0(SALU_CYCLE_1)
	s_cmp_lt_i32 s7, 6
	s_cbranch_scc1 .LBB143_978
; %bb.976:
	s_cmp_gt_i32 s7, 6
	s_cbranch_scc0 .LBB143_979
; %bb.977:
	global_load_b64 v[0:1], v[4:5], off
	s_mov_b32 s7, 0
	s_wait_loadcnt 0x0
	v_cvt_f32_f64_e32 v6, v[0:1]
	s_branch .LBB143_980
.LBB143_978:
	s_mov_b32 s7, -1
                                        ; implicit-def: $vgpr6
	s_branch .LBB143_983
.LBB143_979:
	s_mov_b32 s7, -1
                                        ; implicit-def: $vgpr6
.LBB143_980:
	s_delay_alu instid0(SALU_CYCLE_1)
	s_and_not1_b32 vcc_lo, exec_lo, s7
	s_cbranch_vccnz .LBB143_982
; %bb.981:
	s_wait_loadcnt 0x0
	global_load_b32 v6, v[4:5], off
.LBB143_982:
	s_mov_b32 s7, 0
.LBB143_983:
	s_delay_alu instid0(SALU_CYCLE_1)
	s_and_not1_b32 vcc_lo, exec_lo, s7
	s_cbranch_vccnz .LBB143_985
; %bb.984:
	global_load_u16 v0, v[4:5], off
	s_wait_loadcnt 0x0
	v_cvt_f32_f16_e32 v6, v0
.LBB143_985:
	s_wait_loadcnt 0x0
	v_mov_b32_e32 v7, 0
.LBB143_986:
	s_cbranch_execnz .LBB143_1006
.LBB143_987:
	s_sext_i32_i16 s7, s37
	s_delay_alu instid0(SALU_CYCLE_1)
	s_cmp_lt_i32 s7, 2
	s_cbranch_scc1 .LBB143_991
; %bb.988:
	s_cmp_lt_i32 s7, 3
	s_cbranch_scc1 .LBB143_992
; %bb.989:
	s_cmp_gt_i32 s7, 3
	s_cbranch_scc0 .LBB143_993
; %bb.990:
	global_load_b64 v[0:1], v[4:5], off
	s_mov_b32 s7, 0
	s_wait_loadcnt 0x0
	v_xor_b32_e32 v3, v0, v1
	v_cls_i32_e32 v6, v1
	s_delay_alu instid0(VALU_DEP_2) | instskip(NEXT) | instid1(VALU_DEP_1)
	v_ashrrev_i32_e32 v3, 31, v3
	v_add_nc_u32_e32 v3, 32, v3
	s_delay_alu instid0(VALU_DEP_1) | instskip(NEXT) | instid1(VALU_DEP_1)
	v_add_min_u32_e64 v3, v6, -1, v3
	v_lshlrev_b64_e32 v[0:1], v3, v[0:1]
	s_delay_alu instid0(VALU_DEP_1) | instskip(NEXT) | instid1(VALU_DEP_1)
	v_min_u32_e32 v0, 1, v0
	v_dual_sub_nc_u32 v1, 32, v3 :: v_dual_bitop2_b32 v0, v1, v0 bitop3:0x54
	s_delay_alu instid0(VALU_DEP_1) | instskip(NEXT) | instid1(VALU_DEP_1)
	v_cvt_f32_i32_e32 v0, v0
	v_ldexp_f32 v6, v0, v1
	s_branch .LBB143_994
.LBB143_991:
                                        ; implicit-def: $vgpr6
	s_branch .LBB143_1000
.LBB143_992:
	s_mov_b32 s7, -1
                                        ; implicit-def: $vgpr6
	s_branch .LBB143_997
.LBB143_993:
	s_mov_b32 s7, -1
                                        ; implicit-def: $vgpr6
.LBB143_994:
	s_delay_alu instid0(SALU_CYCLE_1)
	s_and_not1_b32 vcc_lo, exec_lo, s7
	s_cbranch_vccnz .LBB143_996
; %bb.995:
	global_load_b32 v0, v[4:5], off
	s_wait_loadcnt 0x0
	v_cvt_f32_i32_e32 v6, v0
.LBB143_996:
	s_mov_b32 s7, 0
.LBB143_997:
	s_delay_alu instid0(SALU_CYCLE_1)
	s_and_not1_b32 vcc_lo, exec_lo, s7
	s_cbranch_vccnz .LBB143_999
; %bb.998:
	global_load_i16 v0, v[4:5], off
	s_wait_loadcnt 0x0
	v_cvt_f32_i32_e32 v6, v0
.LBB143_999:
	s_cbranch_execnz .LBB143_1005
.LBB143_1000:
	s_sext_i32_i16 s7, s37
	s_delay_alu instid0(SALU_CYCLE_1)
	s_cmp_gt_i32 s7, 0
	s_mov_b32 s7, 0
	s_cbranch_scc0 .LBB143_1002
; %bb.1001:
	global_load_i8 v0, v[4:5], off
	s_wait_loadcnt 0x0
	v_cvt_f32_i32_e32 v6, v0
	s_branch .LBB143_1003
.LBB143_1002:
	s_mov_b32 s7, -1
                                        ; implicit-def: $vgpr6
.LBB143_1003:
	s_delay_alu instid0(SALU_CYCLE_1)
	s_and_not1_b32 vcc_lo, exec_lo, s7
	s_cbranch_vccnz .LBB143_1005
; %bb.1004:
	global_load_u8 v0, v[4:5], off
	s_wait_loadcnt 0x0
	v_cvt_f32_ubyte0_e32 v6, v0
.LBB143_1005:
	s_wait_loadcnt 0x0
	v_mov_b32_e32 v7, 0
.LBB143_1006:
	s_or_b32 s0, s0, exec_lo
.LBB143_1007:
	s_wait_xcnt 0x0
	s_or_b32 exec_lo, exec_lo, s6
	s_mov_b32 s11, 0
	s_mov_b32 s10, 0
                                        ; implicit-def: $sgpr6
                                        ; implicit-def: $sgpr7
                                        ; implicit-def: $vgpr0_vgpr1
	s_and_saveexec_b32 s8, s0
	s_cbranch_execz .LBB143_1018
; %bb.1008:
	s_and_not1_b32 vcc_lo, exec_lo, s9
	s_cbranch_vccnz .LBB143_1022
; %bb.1009:
	s_wait_loadcnt 0x0
	s_delay_alu instid0(VALU_DEP_2) | instskip(NEXT) | instid1(VALU_DEP_2)
	v_cmp_neq_f32_e32 vcc_lo, s16, v6
	v_cmp_neq_f32_e64 s0, s17, v7
	s_or_b32 s6, vcc_lo, s0
	s_cbranch_execnz .LBB143_1011
.LBB143_1010:
	s_wait_loadcnt 0x0
	s_delay_alu instid0(VALU_DEP_1) | instskip(NEXT) | instid1(VALU_DEP_3)
	v_cmp_eq_f32_e32 vcc_lo, s17, v7
	v_cmp_eq_f32_e64 s0, s16, v6
	s_and_not1_b32 s6, s6, exec_lo
	s_and_b32 s0, s0, vcc_lo
	s_delay_alu instid0(SALU_CYCLE_1) | instskip(NEXT) | instid1(SALU_CYCLE_1)
	s_and_b32 s0, s0, exec_lo
	s_or_b32 s6, s6, s0
.LBB143_1011:
	v_mov_b32_e32 v3, 0
	s_and_b32 s7, s18, 0xff
	s_delay_alu instid0(SALU_CYCLE_1) | instskip(NEXT) | instid1(VALU_DEP_1)
	s_cmp_lt_i32 s7, 11
	v_add_nc_u64_e32 v[0:1], s[4:5], v[2:3]
	s_cbranch_scc1 .LBB143_1021
; %bb.1012:
	s_and_b32 s4, 0xffff, s7
	s_mov_b32 s5, -1
	s_cmp_gt_i32 s4, 25
	s_mov_b32 s0, s42
	s_cbranch_scc0 .LBB143_1050
; %bb.1013:
	s_cmp_gt_i32 s4, 28
	s_mov_b32 s0, s42
	s_cbranch_scc0 .LBB143_1034
; %bb.1014:
	;; [unrolled: 4-line block ×4, first 2 shown]
	s_cmp_eq_u32 s4, 46
	s_mov_b32 s0, -1
	s_cbranch_scc0 .LBB143_1023
; %bb.1017:
	v_cndmask_b32_e64 v2, 0, 1.0, s6
	s_mov_b32 s0, 0
	s_mov_b32 s5, 0
	s_delay_alu instid0(VALU_DEP_1) | instskip(NEXT) | instid1(VALU_DEP_1)
	v_bfe_u32 v3, v2, 16, 1
	v_add3_u32 v2, v2, v3, 0x7fff
	s_delay_alu instid0(VALU_DEP_1)
	v_lshrrev_b32_e32 v2, 16, v2
	global_store_b32 v[0:1], v2, off
	s_branch .LBB143_1024
.LBB143_1018:
	s_or_b32 exec_lo, exec_lo, s8
	s_and_saveexec_b32 s0, s42
	s_cbranch_execnz .LBB143_1092
.LBB143_1019:
	s_or_b32 exec_lo, exec_lo, s0
	s_and_saveexec_b32 s0, s11
	s_delay_alu instid0(SALU_CYCLE_1)
	s_xor_b32 s0, exec_lo, s0
	s_cbranch_execz .LBB143_1093
.LBB143_1020:
	v_cndmask_b32_e64 v2, 0, 1, s6
	global_store_b8 v[0:1], v2, off
	s_wait_xcnt 0x0
	s_or_b32 exec_lo, exec_lo, s0
	s_and_saveexec_b32 s0, s10
	s_delay_alu instid0(SALU_CYCLE_1)
	s_xor_b32 s0, exec_lo, s0
	s_cbranch_execz .LBB143_1131
	s_branch .LBB143_1094
.LBB143_1021:
	s_mov_b32 s9, 0
	s_mov_b32 s5, -1
	s_mov_b32 s0, s42
	s_branch .LBB143_1091
.LBB143_1022:
                                        ; implicit-def: $sgpr6
	s_branch .LBB143_1010
.LBB143_1023:
	s_mov_b32 s5, 0
.LBB143_1024:
	s_delay_alu instid0(SALU_CYCLE_1)
	s_and_b32 vcc_lo, exec_lo, s5
	s_cbranch_vccz .LBB143_1029
; %bb.1025:
	s_cmp_eq_u32 s4, 44
	s_mov_b32 s0, -1
	s_cbranch_scc0 .LBB143_1029
; %bb.1026:
	v_cndmask_b32_e64 v4, 0, 1.0, s6
	s_mov_b32 s5, exec_lo
	s_wait_xcnt 0x0
	s_delay_alu instid0(VALU_DEP_1) | instskip(NEXT) | instid1(VALU_DEP_1)
	v_dual_mov_b32 v3, 0xff :: v_dual_lshrrev_b32 v2, 23, v4
	v_cmpx_ne_u32_e32 0xff, v2
; %bb.1027:
	v_and_b32_e32 v3, 0x400000, v4
	v_and_or_b32 v4, 0x3fffff, v4, v2
	s_delay_alu instid0(VALU_DEP_2) | instskip(NEXT) | instid1(VALU_DEP_2)
	v_cmp_ne_u32_e32 vcc_lo, 0, v3
	v_cmp_ne_u32_e64 s0, 0, v4
	s_and_b32 s0, vcc_lo, s0
	s_delay_alu instid0(SALU_CYCLE_1) | instskip(NEXT) | instid1(VALU_DEP_1)
	v_cndmask_b32_e64 v3, 0, 1, s0
	v_add_nc_u32_e32 v3, v2, v3
; %bb.1028:
	s_or_b32 exec_lo, exec_lo, s5
	s_mov_b32 s0, 0
	global_store_b8 v[0:1], v3, off
.LBB143_1029:
	s_mov_b32 s5, 0
.LBB143_1030:
	s_delay_alu instid0(SALU_CYCLE_1)
	s_and_b32 vcc_lo, exec_lo, s5
	s_cbranch_vccz .LBB143_1033
; %bb.1031:
	s_cmp_eq_u32 s4, 29
	s_mov_b32 s0, -1
	s_cbranch_scc0 .LBB143_1033
; %bb.1032:
	s_mov_b32 s0, 0
	s_wait_xcnt 0x0
	v_cndmask_b32_e64 v2, 0, 1, s6
	v_mov_b32_e32 v3, s0
	s_mov_b32 s5, 0
	global_store_b64 v[0:1], v[2:3], off
	s_branch .LBB143_1034
.LBB143_1033:
	s_mov_b32 s5, 0
.LBB143_1034:
	s_delay_alu instid0(SALU_CYCLE_1)
	s_and_b32 vcc_lo, exec_lo, s5
	s_cbranch_vccz .LBB143_1049
; %bb.1035:
	s_cmp_lt_i32 s4, 27
	s_mov_b32 s5, -1
	s_cbranch_scc1 .LBB143_1041
; %bb.1036:
	s_cmp_gt_i32 s4, 27
	s_cbranch_scc0 .LBB143_1038
; %bb.1037:
	s_wait_xcnt 0x0
	v_cndmask_b32_e64 v2, 0, 1, s6
	s_mov_b32 s5, 0
	global_store_b32 v[0:1], v2, off
.LBB143_1038:
	s_and_not1_b32 vcc_lo, exec_lo, s5
	s_cbranch_vccnz .LBB143_1040
; %bb.1039:
	s_wait_xcnt 0x0
	v_cndmask_b32_e64 v2, 0, 1, s6
	global_store_b16 v[0:1], v2, off
.LBB143_1040:
	s_mov_b32 s5, 0
.LBB143_1041:
	s_delay_alu instid0(SALU_CYCLE_1)
	s_and_not1_b32 vcc_lo, exec_lo, s5
	s_cbranch_vccnz .LBB143_1049
; %bb.1042:
	s_wait_xcnt 0x0
	v_cndmask_b32_e64 v3, 0, 1.0, s6
	v_mov_b32_e32 v4, 0x80
	s_mov_b32 s5, exec_lo
	s_delay_alu instid0(VALU_DEP_2)
	v_cmpx_gt_u32_e32 0x43800000, v3
	s_cbranch_execz .LBB143_1048
; %bb.1043:
	s_mov_b32 s9, 0
	s_mov_b32 s10, exec_lo
                                        ; implicit-def: $vgpr2
	v_cmpx_lt_u32_e32 0x3bffffff, v3
	s_xor_b32 s10, exec_lo, s10
	s_cbranch_execz .LBB143_1206
; %bb.1044:
	v_bfe_u32 v2, v3, 20, 1
	s_mov_b32 s9, exec_lo
	s_delay_alu instid0(VALU_DEP_1) | instskip(NEXT) | instid1(VALU_DEP_1)
	v_add3_u32 v2, v3, v2, 0x487ffff
                                        ; implicit-def: $vgpr3
	v_lshrrev_b32_e32 v2, 20, v2
	s_and_not1_saveexec_b32 s10, s10
	s_cbranch_execnz .LBB143_1207
.LBB143_1045:
	s_or_b32 exec_lo, exec_lo, s10
	v_mov_b32_e32 v4, 0
	s_and_saveexec_b32 s10, s9
.LBB143_1046:
	v_mov_b32_e32 v4, v2
.LBB143_1047:
	s_or_b32 exec_lo, exec_lo, s10
.LBB143_1048:
	s_delay_alu instid0(SALU_CYCLE_1)
	s_or_b32 exec_lo, exec_lo, s5
	global_store_b8 v[0:1], v4, off
.LBB143_1049:
	s_mov_b32 s5, 0
.LBB143_1050:
	s_delay_alu instid0(SALU_CYCLE_1)
	s_and_b32 vcc_lo, exec_lo, s5
	s_mov_b32 s5, 0
	s_cbranch_vccz .LBB143_1090
; %bb.1051:
	s_cmp_gt_i32 s4, 22
	s_mov_b32 s9, -1
	s_cbranch_scc0 .LBB143_1083
; %bb.1052:
	s_cmp_lt_i32 s4, 24
	s_cbranch_scc1 .LBB143_1072
; %bb.1053:
	s_cmp_gt_i32 s4, 24
	s_cbranch_scc0 .LBB143_1061
; %bb.1054:
	s_wait_xcnt 0x0
	v_cndmask_b32_e64 v3, 0, 1.0, s6
	v_mov_b32_e32 v4, 0x80
	s_mov_b32 s9, exec_lo
	s_delay_alu instid0(VALU_DEP_2)
	v_cmpx_gt_u32_e32 0x47800000, v3
	s_cbranch_execz .LBB143_1060
; %bb.1055:
	s_mov_b32 s10, 0
	s_mov_b32 s11, exec_lo
                                        ; implicit-def: $vgpr2
	v_cmpx_lt_u32_e32 0x37ffffff, v3
	s_xor_b32 s11, exec_lo, s11
	s_cbranch_execz .LBB143_1341
; %bb.1056:
	v_bfe_u32 v2, v3, 21, 1
	s_mov_b32 s10, exec_lo
	s_delay_alu instid0(VALU_DEP_1) | instskip(NEXT) | instid1(VALU_DEP_1)
	v_add3_u32 v2, v3, v2, 0x88fffff
                                        ; implicit-def: $vgpr3
	v_lshrrev_b32_e32 v2, 21, v2
	s_and_not1_saveexec_b32 s11, s11
	s_cbranch_execnz .LBB143_1342
.LBB143_1057:
	s_or_b32 exec_lo, exec_lo, s11
	v_mov_b32_e32 v4, 0
	s_and_saveexec_b32 s11, s10
.LBB143_1058:
	v_mov_b32_e32 v4, v2
.LBB143_1059:
	s_or_b32 exec_lo, exec_lo, s11
.LBB143_1060:
	s_delay_alu instid0(SALU_CYCLE_1)
	s_or_b32 exec_lo, exec_lo, s9
	s_mov_b32 s9, 0
	global_store_b8 v[0:1], v4, off
.LBB143_1061:
	s_and_b32 vcc_lo, exec_lo, s9
	s_cbranch_vccz .LBB143_1071
; %bb.1062:
	s_wait_xcnt 0x0
	v_cndmask_b32_e64 v3, 0, 1.0, s6
	s_mov_b32 s9, exec_lo
                                        ; implicit-def: $vgpr2
	s_delay_alu instid0(VALU_DEP_1)
	v_cmpx_gt_u32_e32 0x43f00000, v3
	s_xor_b32 s9, exec_lo, s9
	s_cbranch_execz .LBB143_1068
; %bb.1063:
	s_mov_b32 s10, exec_lo
                                        ; implicit-def: $vgpr2
	v_cmpx_lt_u32_e32 0x3c7fffff, v3
	s_xor_b32 s10, exec_lo, s10
; %bb.1064:
	v_bfe_u32 v2, v3, 20, 1
	s_delay_alu instid0(VALU_DEP_1) | instskip(NEXT) | instid1(VALU_DEP_1)
	v_add3_u32 v2, v3, v2, 0x407ffff
	v_and_b32_e32 v3, 0xff00000, v2
	v_lshrrev_b32_e32 v2, 20, v2
	s_delay_alu instid0(VALU_DEP_2) | instskip(NEXT) | instid1(VALU_DEP_2)
	v_cmp_ne_u32_e32 vcc_lo, 0x7f00000, v3
                                        ; implicit-def: $vgpr3
	v_cndmask_b32_e32 v2, 0x7e, v2, vcc_lo
; %bb.1065:
	s_and_not1_saveexec_b32 s10, s10
; %bb.1066:
	v_add_f32_e32 v2, 0x46800000, v3
; %bb.1067:
	s_or_b32 exec_lo, exec_lo, s10
                                        ; implicit-def: $vgpr3
.LBB143_1068:
	s_and_not1_saveexec_b32 s9, s9
; %bb.1069:
	v_mov_b32_e32 v2, 0x7f
	v_cmp_lt_u32_e32 vcc_lo, 0x7f800000, v3
	s_delay_alu instid0(VALU_DEP_2)
	v_cndmask_b32_e32 v2, 0x7e, v2, vcc_lo
; %bb.1070:
	s_or_b32 exec_lo, exec_lo, s9
	global_store_b8 v[0:1], v2, off
.LBB143_1071:
	s_mov_b32 s9, 0
.LBB143_1072:
	s_delay_alu instid0(SALU_CYCLE_1)
	s_and_not1_b32 vcc_lo, exec_lo, s9
	s_cbranch_vccnz .LBB143_1082
; %bb.1073:
	s_wait_xcnt 0x0
	v_cndmask_b32_e64 v3, 0, 1.0, s6
	s_mov_b32 s9, exec_lo
                                        ; implicit-def: $vgpr2
	s_delay_alu instid0(VALU_DEP_1)
	v_cmpx_gt_u32_e32 0x47800000, v3
	s_xor_b32 s9, exec_lo, s9
	s_cbranch_execz .LBB143_1079
; %bb.1074:
	s_mov_b32 s10, exec_lo
                                        ; implicit-def: $vgpr2
	v_cmpx_lt_u32_e32 0x387fffff, v3
	s_xor_b32 s10, exec_lo, s10
; %bb.1075:
	v_bfe_u32 v2, v3, 21, 1
	s_delay_alu instid0(VALU_DEP_1) | instskip(NEXT) | instid1(VALU_DEP_1)
	v_add3_u32 v2, v3, v2, 0x80fffff
                                        ; implicit-def: $vgpr3
	v_lshrrev_b32_e32 v2, 21, v2
; %bb.1076:
	s_and_not1_saveexec_b32 s10, s10
; %bb.1077:
	v_add_f32_e32 v2, 0x43000000, v3
; %bb.1078:
	s_or_b32 exec_lo, exec_lo, s10
                                        ; implicit-def: $vgpr3
.LBB143_1079:
	s_and_not1_saveexec_b32 s9, s9
; %bb.1080:
	v_mov_b32_e32 v2, 0x7f
	v_cmp_lt_u32_e32 vcc_lo, 0x7f800000, v3
	s_delay_alu instid0(VALU_DEP_2)
	v_cndmask_b32_e32 v2, 0x7c, v2, vcc_lo
; %bb.1081:
	s_or_b32 exec_lo, exec_lo, s9
	global_store_b8 v[0:1], v2, off
.LBB143_1082:
	s_mov_b32 s9, 0
.LBB143_1083:
	s_delay_alu instid0(SALU_CYCLE_1)
	s_and_not1_b32 vcc_lo, exec_lo, s9
	s_mov_b32 s9, 0
	s_cbranch_vccnz .LBB143_1091
; %bb.1084:
	s_cmp_gt_i32 s4, 14
	s_mov_b32 s9, -1
	s_cbranch_scc0 .LBB143_1088
; %bb.1085:
	s_cmp_eq_u32 s4, 15
	s_mov_b32 s0, -1
	s_cbranch_scc0 .LBB143_1087
; %bb.1086:
	s_wait_xcnt 0x0
	v_cndmask_b32_e64 v2, 0, 1.0, s6
	s_mov_b32 s0, 0
	s_delay_alu instid0(VALU_DEP_1) | instskip(NEXT) | instid1(VALU_DEP_1)
	v_bfe_u32 v3, v2, 16, 1
	v_add3_u32 v2, v2, v3, 0x7fff
	global_store_d16_hi_b16 v[0:1], v2, off
.LBB143_1087:
	s_mov_b32 s9, 0
.LBB143_1088:
	s_delay_alu instid0(SALU_CYCLE_1)
	s_and_b32 vcc_lo, exec_lo, s9
	s_mov_b32 s9, 0
	s_cbranch_vccz .LBB143_1091
; %bb.1089:
	s_cmp_lg_u32 s4, 11
	s_mov_b32 s9, -1
	s_cselect_b32 s4, -1, 0
	s_and_not1_b32 s0, s0, exec_lo
	s_and_b32 s4, s4, exec_lo
	s_delay_alu instid0(SALU_CYCLE_1)
	s_or_b32 s0, s0, s4
	s_branch .LBB143_1091
.LBB143_1090:
	s_mov_b32 s9, 0
.LBB143_1091:
	s_and_not1_b32 s4, s42, exec_lo
	s_and_b32 s0, s0, exec_lo
	s_and_b32 s10, s5, exec_lo
	;; [unrolled: 1-line block ×3, first 2 shown]
	s_or_b32 s42, s4, s0
	s_wait_xcnt 0x0
	s_or_b32 exec_lo, exec_lo, s8
	s_and_saveexec_b32 s0, s42
	s_cbranch_execz .LBB143_1019
.LBB143_1092:
	s_or_b32 s1, s1, exec_lo
	s_and_not1_b32 s11, s11, exec_lo
	s_trap 2
	s_or_b32 exec_lo, exec_lo, s0
	s_and_saveexec_b32 s0, s11
	s_delay_alu instid0(SALU_CYCLE_1)
	s_xor_b32 s0, exec_lo, s0
	s_cbranch_execnz .LBB143_1020
.LBB143_1093:
	s_or_b32 exec_lo, exec_lo, s0
	s_and_saveexec_b32 s0, s10
	s_delay_alu instid0(SALU_CYCLE_1)
	s_xor_b32 s0, exec_lo, s0
	s_cbranch_execz .LBB143_1131
.LBB143_1094:
	s_sext_i32_i16 s5, s7
	s_mov_b32 s4, -1
	s_cmp_lt_i32 s5, 5
	s_cbranch_scc1 .LBB143_1115
; %bb.1095:
	s_cmp_lt_i32 s5, 8
	s_cbranch_scc1 .LBB143_1105
; %bb.1096:
	;; [unrolled: 3-line block ×3, first 2 shown]
	s_cmp_gt_i32 s5, 9
	s_cbranch_scc0 .LBB143_1099
; %bb.1098:
	v_cndmask_b32_e64 v2, 0, 1, s6
	v_mov_b32_e32 v4, 0
	s_mov_b32 s4, 0
	s_delay_alu instid0(VALU_DEP_2) | instskip(NEXT) | instid1(VALU_DEP_2)
	v_cvt_f64_u32_e32 v[2:3], v2
	v_mov_b32_e32 v5, v4
	global_store_b128 v[0:1], v[2:5], off
.LBB143_1099:
	s_and_not1_b32 vcc_lo, exec_lo, s4
	s_cbranch_vccnz .LBB143_1101
; %bb.1100:
	s_wait_xcnt 0x0
	v_cndmask_b32_e64 v2, 0, 1.0, s6
	v_mov_b32_e32 v3, 0
	global_store_b64 v[0:1], v[2:3], off
.LBB143_1101:
	s_mov_b32 s4, 0
.LBB143_1102:
	s_delay_alu instid0(SALU_CYCLE_1)
	s_and_not1_b32 vcc_lo, exec_lo, s4
	s_cbranch_vccnz .LBB143_1104
; %bb.1103:
	s_wait_xcnt 0x0
	v_cndmask_b32_e64 v2, 0, 1.0, s6
	s_delay_alu instid0(VALU_DEP_1) | instskip(NEXT) | instid1(VALU_DEP_1)
	v_cvt_f16_f32_e32 v2, v2
	v_and_b32_e32 v2, 0xffff, v2
	global_store_b32 v[0:1], v2, off
.LBB143_1104:
	s_mov_b32 s4, 0
.LBB143_1105:
	s_delay_alu instid0(SALU_CYCLE_1)
	s_and_not1_b32 vcc_lo, exec_lo, s4
	s_cbranch_vccnz .LBB143_1114
; %bb.1106:
	s_sext_i32_i16 s5, s7
	s_mov_b32 s4, -1
	s_cmp_lt_i32 s5, 6
	s_cbranch_scc1 .LBB143_1112
; %bb.1107:
	s_cmp_gt_i32 s5, 6
	s_cbranch_scc0 .LBB143_1109
; %bb.1108:
	s_wait_xcnt 0x0
	v_cndmask_b32_e64 v2, 0, 1, s6
	s_mov_b32 s4, 0
	s_delay_alu instid0(VALU_DEP_1)
	v_cvt_f64_u32_e32 v[2:3], v2
	global_store_b64 v[0:1], v[2:3], off
.LBB143_1109:
	s_and_not1_b32 vcc_lo, exec_lo, s4
	s_cbranch_vccnz .LBB143_1111
; %bb.1110:
	s_wait_xcnt 0x0
	v_cndmask_b32_e64 v2, 0, 1.0, s6
	global_store_b32 v[0:1], v2, off
.LBB143_1111:
	s_mov_b32 s4, 0
.LBB143_1112:
	s_delay_alu instid0(SALU_CYCLE_1)
	s_and_not1_b32 vcc_lo, exec_lo, s4
	s_cbranch_vccnz .LBB143_1114
; %bb.1113:
	s_wait_xcnt 0x0
	v_cndmask_b32_e64 v2, 0, 1.0, s6
	s_delay_alu instid0(VALU_DEP_1)
	v_cvt_f16_f32_e32 v2, v2
	global_store_b16 v[0:1], v2, off
.LBB143_1114:
	s_mov_b32 s4, 0
.LBB143_1115:
	s_delay_alu instid0(SALU_CYCLE_1)
	s_and_not1_b32 vcc_lo, exec_lo, s4
	s_cbranch_vccnz .LBB143_1131
; %bb.1116:
	s_sext_i32_i16 s5, s7
	s_mov_b32 s4, -1
	s_cmp_lt_i32 s5, 2
	s_cbranch_scc1 .LBB143_1126
; %bb.1117:
	s_cmp_lt_i32 s5, 3
	s_cbranch_scc1 .LBB143_1123
; %bb.1118:
	s_cmp_gt_i32 s5, 3
	s_cbranch_scc0 .LBB143_1120
; %bb.1119:
	s_mov_b32 s4, 0
	s_wait_xcnt 0x0
	v_cndmask_b32_e64 v2, 0, 1, s6
	v_mov_b32_e32 v3, s4
	global_store_b64 v[0:1], v[2:3], off
.LBB143_1120:
	s_and_not1_b32 vcc_lo, exec_lo, s4
	s_cbranch_vccnz .LBB143_1122
; %bb.1121:
	s_wait_xcnt 0x0
	v_cndmask_b32_e64 v2, 0, 1, s6
	global_store_b32 v[0:1], v2, off
.LBB143_1122:
	s_mov_b32 s4, 0
.LBB143_1123:
	s_delay_alu instid0(SALU_CYCLE_1)
	s_and_not1_b32 vcc_lo, exec_lo, s4
	s_cbranch_vccnz .LBB143_1125
; %bb.1124:
	s_wait_xcnt 0x0
	v_cndmask_b32_e64 v2, 0, 1, s6
	global_store_b16 v[0:1], v2, off
.LBB143_1125:
	s_mov_b32 s4, 0
.LBB143_1126:
	s_delay_alu instid0(SALU_CYCLE_1)
	s_and_not1_b32 vcc_lo, exec_lo, s4
	s_cbranch_vccnz .LBB143_1131
; %bb.1127:
	s_sext_i32_i16 s4, s7
	s_delay_alu instid0(SALU_CYCLE_1)
	s_cmp_gt_i32 s4, 0
	s_mov_b32 s4, -1
	s_cbranch_scc0 .LBB143_1129
; %bb.1128:
	s_wait_xcnt 0x0
	v_cndmask_b32_e64 v2, 0, 1, s6
	s_mov_b32 s4, 0
	global_store_b8 v[0:1], v2, off
.LBB143_1129:
	s_and_not1_b32 vcc_lo, exec_lo, s4
	s_cbranch_vccnz .LBB143_1131
; %bb.1130:
	s_wait_xcnt 0x0
	v_cndmask_b32_e64 v2, 0, 1, s6
	global_store_b8 v[0:1], v2, off
.LBB143_1131:
	s_wait_xcnt 0x0
	s_or_b32 exec_lo, exec_lo, s0
	s_delay_alu instid0(SALU_CYCLE_1)
	s_and_b32 s10, s1, exec_lo
                                        ; implicit-def: $vgpr9
                                        ; implicit-def: $vgpr0
.LBB143_1132:
	s_or_saveexec_b32 s11, s36
	s_mov_b32 s0, 0
                                        ; implicit-def: $sgpr6
                                        ; implicit-def: $vgpr2_vgpr3
                                        ; implicit-def: $sgpr7
	s_xor_b32 exec_lo, exec_lo, s11
	s_cbranch_execz .LBB143_1746
; %bb.1133:
	v_cndmask_b32_e64 v1, 0, 1, s35
	s_and_not1_b32 vcc_lo, exec_lo, s35
	s_cbranch_vccnz .LBB143_1139
; %bb.1134:
	s_cmp_lg_u32 s19, 0
	s_mov_b32 s8, 0
	s_cbranch_scc0 .LBB143_1140
; %bb.1135:
	s_min_u32 s1, s33, 15
	s_delay_alu instid0(SALU_CYCLE_1)
	s_add_co_i32 s1, s1, 1
	s_cmp_eq_u32 s33, 2
	s_cbranch_scc1 .LBB143_1141
; %bb.1136:
	s_wait_loadcnt 0x0
	v_dual_mov_b32 v6, 0 :: v_dual_mov_b32 v14, 0
	v_mov_b32_e32 v2, v0
	s_and_b32 s0, s1, 28
	s_add_nc_u64 s[4:5], s[2:3], 0xc4
	s_mov_b32 s9, 0
	s_mov_b64 s[6:7], s[2:3]
.LBB143_1137:                           ; =>This Inner Loop Header: Depth=1
	s_clause 0x1
	s_load_b256 s[20:27], s[6:7], 0x4
	s_load_b128 s[12:15], s[6:7], 0x24
	s_load_b256 s[36:43], s[4:5], 0x0
	s_add_co_i32 s9, s9, 4
	s_wait_xcnt 0x0
	s_add_nc_u64 s[6:7], s[6:7], 48
	s_cmp_lg_u32 s0, s9
	s_add_nc_u64 s[4:5], s[4:5], 32
	s_wait_kmcnt 0x0
	v_mul_hi_u32 v3, s21, v2
	s_delay_alu instid0(VALU_DEP_1) | instskip(NEXT) | instid1(VALU_DEP_1)
	v_add_nc_u32_e32 v3, v2, v3
	v_lshrrev_b32_e32 v3, s22, v3
	s_delay_alu instid0(VALU_DEP_1) | instskip(NEXT) | instid1(VALU_DEP_1)
	v_mul_hi_u32 v4, s24, v3
	v_add_nc_u32_e32 v4, v3, v4
	s_delay_alu instid0(VALU_DEP_1) | instskip(NEXT) | instid1(VALU_DEP_1)
	v_lshrrev_b32_e32 v4, s25, v4
	v_mul_hi_u32 v5, s27, v4
	s_delay_alu instid0(VALU_DEP_1) | instskip(SKIP_1) | instid1(VALU_DEP_1)
	v_add_nc_u32_e32 v5, v4, v5
	v_mul_lo_u32 v7, v3, s20
	v_sub_nc_u32_e32 v2, v2, v7
	v_mul_lo_u32 v7, v4, s23
	s_delay_alu instid0(VALU_DEP_4) | instskip(NEXT) | instid1(VALU_DEP_3)
	v_lshrrev_b32_e32 v5, s12, v5
	v_mad_u32 v10, v2, s37, v14
	v_mad_u32 v2, v2, s36, v6
	s_delay_alu instid0(VALU_DEP_4) | instskip(NEXT) | instid1(VALU_DEP_4)
	v_sub_nc_u32_e32 v3, v3, v7
	v_mul_hi_u32 v8, s14, v5
	v_mul_lo_u32 v6, v5, s26
	s_delay_alu instid0(VALU_DEP_1) | instskip(NEXT) | instid1(VALU_DEP_4)
	v_dual_add_nc_u32 v7, v5, v8 :: v_dual_sub_nc_u32 v4, v4, v6
	v_mad_u32 v8, v3, s39, v10
	v_mad_u32 v3, v3, s38, v2
	s_delay_alu instid0(VALU_DEP_3) | instskip(NEXT) | instid1(VALU_DEP_1)
	v_lshrrev_b32_e32 v2, s15, v7
	v_mul_lo_u32 v6, v2, s13
	s_delay_alu instid0(VALU_DEP_4) | instskip(NEXT) | instid1(VALU_DEP_4)
	v_mad_u32 v7, v4, s41, v8
	v_mad_u32 v3, v4, s40, v3
	s_delay_alu instid0(VALU_DEP_3) | instskip(NEXT) | instid1(VALU_DEP_1)
	v_sub_nc_u32_e32 v4, v5, v6
	v_mad_u32 v14, v4, s43, v7
	s_delay_alu instid0(VALU_DEP_3)
	v_mad_u32 v6, v4, s42, v3
	s_cbranch_scc1 .LBB143_1137
; %bb.1138:
	s_delay_alu instid0(VALU_DEP_2)
	v_mov_b32_e32 v7, v14
	s_and_b32 s6, s1, 3
	s_mov_b32 s1, 0
	s_cmp_eq_u32 s6, 0
	s_cbranch_scc0 .LBB143_1142
	s_branch .LBB143_1145
.LBB143_1139:
	s_mov_b32 s8, -1
                                        ; implicit-def: $vgpr14
                                        ; implicit-def: $vgpr6
	s_branch .LBB143_1145
.LBB143_1140:
	s_wait_loadcnt 0x0
	v_dual_mov_b32 v14, 0 :: v_dual_mov_b32 v6, 0
	s_branch .LBB143_1145
.LBB143_1141:
	s_wait_loadcnt 0x0
	v_mov_b64_e32 v[6:7], 0
	v_mov_b32_e32 v2, v0
                                        ; implicit-def: $vgpr14
	s_and_b32 s6, s1, 3
	s_mov_b32 s1, 0
	s_cmp_eq_u32 s6, 0
	s_cbranch_scc1 .LBB143_1145
.LBB143_1142:
	s_lshl_b32 s4, s0, 3
	s_mov_b32 s5, s1
	s_mul_u64 s[12:13], s[0:1], 12
	s_add_nc_u64 s[4:5], s[2:3], s[4:5]
	s_delay_alu instid0(SALU_CYCLE_1)
	s_add_nc_u64 s[0:1], s[4:5], 0xc4
	s_add_nc_u64 s[4:5], s[2:3], s[12:13]
.LBB143_1143:                           ; =>This Inner Loop Header: Depth=1
	s_load_b96 s[12:14], s[4:5], 0x4
	s_add_co_i32 s6, s6, -1
	s_wait_xcnt 0x0
	s_add_nc_u64 s[4:5], s[4:5], 12
	s_cmp_lg_u32 s6, 0
	s_wait_kmcnt 0x0
	v_mul_hi_u32 v3, s13, v2
	s_delay_alu instid0(VALU_DEP_1) | instskip(NEXT) | instid1(VALU_DEP_1)
	v_add_nc_u32_e32 v3, v2, v3
	v_lshrrev_b32_e32 v3, s14, v3
	s_load_b64 s[14:15], s[0:1], 0x0
	s_wait_xcnt 0x0
	s_add_nc_u64 s[0:1], s[0:1], 8
	s_delay_alu instid0(VALU_DEP_1) | instskip(NEXT) | instid1(VALU_DEP_1)
	v_mul_lo_u32 v4, v3, s12
	v_sub_nc_u32_e32 v2, v2, v4
	s_wait_kmcnt 0x0
	s_delay_alu instid0(VALU_DEP_1)
	v_mad_u32 v7, v2, s15, v7
	v_mad_u32 v6, v2, s14, v6
	v_mov_b32_e32 v2, v3
	s_cbranch_scc1 .LBB143_1143
; %bb.1144:
	s_delay_alu instid0(VALU_DEP_3)
	v_mov_b32_e32 v14, v7
.LBB143_1145:
	s_and_not1_b32 vcc_lo, exec_lo, s8
	s_cbranch_vccnz .LBB143_1148
; %bb.1146:
	s_clause 0x1
	s_load_b96 s[4:6], s[2:3], 0x4
	s_load_b64 s[0:1], s[2:3], 0xc4
	s_cmp_lt_u32 s19, 2
	s_wait_kmcnt 0x0
	v_mul_hi_u32 v2, s5, v0
	s_delay_alu instid0(VALU_DEP_1) | instskip(NEXT) | instid1(VALU_DEP_1)
	v_add_nc_u32_e32 v2, v0, v2
	v_lshrrev_b32_e32 v2, s6, v2
	s_delay_alu instid0(VALU_DEP_1) | instskip(NEXT) | instid1(VALU_DEP_1)
	v_mul_lo_u32 v3, v2, s4
	v_sub_nc_u32_e32 v3, v0, v3
	s_delay_alu instid0(VALU_DEP_1)
	v_mul_lo_u32 v14, v3, s1
	s_wait_loadcnt 0x0
	v_mul_lo_u32 v6, v3, s0
	s_cbranch_scc1 .LBB143_1148
; %bb.1147:
	s_clause 0x1
	s_load_b96 s[4:6], s[2:3], 0x10
	s_load_b64 s[0:1], s[2:3], 0xcc
	s_wait_kmcnt 0x0
	v_mul_hi_u32 v3, s5, v2
	s_delay_alu instid0(VALU_DEP_1) | instskip(NEXT) | instid1(VALU_DEP_1)
	v_add_nc_u32_e32 v3, v2, v3
	v_lshrrev_b32_e32 v3, s6, v3
	s_delay_alu instid0(VALU_DEP_1) | instskip(NEXT) | instid1(VALU_DEP_1)
	v_mul_lo_u32 v3, v3, s4
	v_sub_nc_u32_e32 v2, v2, v3
	s_delay_alu instid0(VALU_DEP_1)
	v_mad_u32 v6, v2, s0, v6
	v_mad_u32 v14, v2, s1, v14
.LBB143_1148:
	v_cmp_ne_u32_e32 vcc_lo, 1, v1
	v_add_nc_u32_e32 v2, 0x80, v0
	s_cbranch_vccnz .LBB143_1154
; %bb.1149:
	s_cmp_lg_u32 s19, 0
	s_mov_b32 s8, 0
	s_cbranch_scc0 .LBB143_1155
; %bb.1150:
	s_min_u32 s1, s33, 15
	s_delay_alu instid0(SALU_CYCLE_1)
	s_add_co_i32 s1, s1, 1
	s_cmp_eq_u32 s33, 2
	s_cbranch_scc1 .LBB143_1156
; %bb.1151:
	v_dual_mov_b32 v4, 0 :: v_dual_mov_b32 v12, 0
	v_mov_b32_e32 v3, v2
	s_and_b32 s0, s1, 28
	s_add_nc_u64 s[4:5], s[2:3], 0xc4
	s_mov_b32 s9, 0
	s_mov_b64 s[6:7], s[2:3]
.LBB143_1152:                           ; =>This Inner Loop Header: Depth=1
	s_clause 0x1
	s_load_b256 s[20:27], s[6:7], 0x4
	s_load_b128 s[12:15], s[6:7], 0x24
	s_load_b256 s[36:43], s[4:5], 0x0
	s_add_co_i32 s9, s9, 4
	s_wait_xcnt 0x0
	s_add_nc_u64 s[6:7], s[6:7], 48
	s_cmp_lg_u32 s0, s9
	s_add_nc_u64 s[4:5], s[4:5], 32
	s_wait_kmcnt 0x0
	v_mul_hi_u32 v5, s21, v3
	s_delay_alu instid0(VALU_DEP_1) | instskip(NEXT) | instid1(VALU_DEP_1)
	v_add_nc_u32_e32 v5, v3, v5
	v_lshrrev_b32_e32 v5, s22, v5
	s_wait_loadcnt 0x0
	s_delay_alu instid0(VALU_DEP_1) | instskip(NEXT) | instid1(VALU_DEP_1)
	v_mul_hi_u32 v7, s24, v5
	v_add_nc_u32_e32 v7, v5, v7
	s_delay_alu instid0(VALU_DEP_1) | instskip(NEXT) | instid1(VALU_DEP_1)
	v_lshrrev_b32_e32 v7, s25, v7
	v_mul_hi_u32 v8, s27, v7
	s_delay_alu instid0(VALU_DEP_1) | instskip(SKIP_1) | instid1(VALU_DEP_1)
	v_add_nc_u32_e32 v8, v7, v8
	v_mul_lo_u32 v10, v5, s20
	v_sub_nc_u32_e32 v3, v3, v10
	v_mul_lo_u32 v10, v7, s23
	s_delay_alu instid0(VALU_DEP_4) | instskip(NEXT) | instid1(VALU_DEP_3)
	v_lshrrev_b32_e32 v8, s12, v8
	v_mad_u32 v12, v3, s37, v12
	v_mad_u32 v3, v3, s36, v4
	s_delay_alu instid0(VALU_DEP_4) | instskip(NEXT) | instid1(VALU_DEP_4)
	v_sub_nc_u32_e32 v4, v5, v10
	v_mul_hi_u32 v11, s14, v8
	v_mul_lo_u32 v5, v8, s26
	s_delay_alu instid0(VALU_DEP_1) | instskip(NEXT) | instid1(VALU_DEP_4)
	v_dual_add_nc_u32 v10, v8, v11 :: v_dual_sub_nc_u32 v5, v7, v5
	v_mad_u32 v11, v4, s39, v12
	v_mad_u32 v4, v4, s38, v3
	s_delay_alu instid0(VALU_DEP_3) | instskip(NEXT) | instid1(VALU_DEP_1)
	v_lshrrev_b32_e32 v3, s15, v10
	v_mul_lo_u32 v7, v3, s13
	s_delay_alu instid0(VALU_DEP_4) | instskip(NEXT) | instid1(VALU_DEP_4)
	v_mad_u32 v10, v5, s41, v11
	v_mad_u32 v4, v5, s40, v4
	s_delay_alu instid0(VALU_DEP_3) | instskip(NEXT) | instid1(VALU_DEP_1)
	v_sub_nc_u32_e32 v5, v8, v7
	v_mad_u32 v12, v5, s43, v10
	s_delay_alu instid0(VALU_DEP_3)
	v_mad_u32 v4, v5, s42, v4
	s_cbranch_scc1 .LBB143_1152
; %bb.1153:
	s_delay_alu instid0(VALU_DEP_2)
	v_mov_b32_e32 v5, v12
	s_and_b32 s6, s1, 3
	s_mov_b32 s1, 0
	s_cmp_eq_u32 s6, 0
	s_cbranch_scc0 .LBB143_1157
	s_branch .LBB143_1160
.LBB143_1154:
	s_mov_b32 s8, -1
                                        ; implicit-def: $vgpr12
                                        ; implicit-def: $vgpr4
	s_branch .LBB143_1160
.LBB143_1155:
	v_dual_mov_b32 v12, 0 :: v_dual_mov_b32 v4, 0
	s_branch .LBB143_1160
.LBB143_1156:
	v_mov_b64_e32 v[4:5], 0
	v_mov_b32_e32 v3, v2
	s_mov_b32 s0, 0
                                        ; implicit-def: $vgpr12
	s_and_b32 s6, s1, 3
	s_mov_b32 s1, 0
	s_cmp_eq_u32 s6, 0
	s_cbranch_scc1 .LBB143_1160
.LBB143_1157:
	s_lshl_b32 s4, s0, 3
	s_mov_b32 s5, s1
	s_mul_u64 s[12:13], s[0:1], 12
	s_add_nc_u64 s[4:5], s[2:3], s[4:5]
	s_delay_alu instid0(SALU_CYCLE_1)
	s_add_nc_u64 s[0:1], s[4:5], 0xc4
	s_add_nc_u64 s[4:5], s[2:3], s[12:13]
.LBB143_1158:                           ; =>This Inner Loop Header: Depth=1
	s_load_b96 s[12:14], s[4:5], 0x4
	s_add_co_i32 s6, s6, -1
	s_wait_xcnt 0x0
	s_add_nc_u64 s[4:5], s[4:5], 12
	s_cmp_lg_u32 s6, 0
	s_wait_loadcnt 0x0
	s_wait_kmcnt 0x0
	v_mul_hi_u32 v7, s13, v3
	s_delay_alu instid0(VALU_DEP_1) | instskip(NEXT) | instid1(VALU_DEP_1)
	v_add_nc_u32_e32 v7, v3, v7
	v_lshrrev_b32_e32 v7, s14, v7
	s_load_b64 s[14:15], s[0:1], 0x0
	s_wait_xcnt 0x0
	s_add_nc_u64 s[0:1], s[0:1], 8
	s_delay_alu instid0(VALU_DEP_1) | instskip(NEXT) | instid1(VALU_DEP_1)
	v_mul_lo_u32 v8, v7, s12
	v_sub_nc_u32_e32 v3, v3, v8
	s_wait_kmcnt 0x0
	s_delay_alu instid0(VALU_DEP_1)
	v_mad_u32 v5, v3, s15, v5
	v_mad_u32 v4, v3, s14, v4
	v_mov_b32_e32 v3, v7
	s_cbranch_scc1 .LBB143_1158
; %bb.1159:
	s_delay_alu instid0(VALU_DEP_3)
	v_mov_b32_e32 v12, v5
.LBB143_1160:
	s_and_not1_b32 vcc_lo, exec_lo, s8
	s_cbranch_vccnz .LBB143_1163
; %bb.1161:
	s_clause 0x1
	s_load_b96 s[4:6], s[2:3], 0x4
	s_load_b64 s[0:1], s[2:3], 0xc4
	s_cmp_lt_u32 s19, 2
	s_wait_kmcnt 0x0
	v_mul_hi_u32 v3, s5, v2
	s_delay_alu instid0(VALU_DEP_1) | instskip(NEXT) | instid1(VALU_DEP_1)
	v_add_nc_u32_e32 v3, v2, v3
	v_lshrrev_b32_e32 v3, s6, v3
	s_delay_alu instid0(VALU_DEP_1) | instskip(NEXT) | instid1(VALU_DEP_1)
	v_mul_lo_u32 v4, v3, s4
	v_sub_nc_u32_e32 v2, v2, v4
	s_delay_alu instid0(VALU_DEP_1)
	v_mul_lo_u32 v12, v2, s1
	v_mul_lo_u32 v4, v2, s0
	s_cbranch_scc1 .LBB143_1163
; %bb.1162:
	s_clause 0x1
	s_load_b96 s[4:6], s[2:3], 0x10
	s_load_b64 s[0:1], s[2:3], 0xcc
	s_wait_kmcnt 0x0
	v_mul_hi_u32 v2, s5, v3
	s_delay_alu instid0(VALU_DEP_1) | instskip(NEXT) | instid1(VALU_DEP_1)
	v_add_nc_u32_e32 v2, v3, v2
	v_lshrrev_b32_e32 v2, s6, v2
	s_delay_alu instid0(VALU_DEP_1) | instskip(NEXT) | instid1(VALU_DEP_1)
	v_mul_lo_u32 v2, v2, s4
	v_sub_nc_u32_e32 v2, v3, v2
	s_delay_alu instid0(VALU_DEP_1)
	v_mad_u32 v4, v2, s0, v4
	v_mad_u32 v12, v2, s1, v12
.LBB143_1163:
	v_cmp_ne_u32_e32 vcc_lo, 1, v1
	v_add_nc_u32_e32 v0, 0x100, v0
	s_cbranch_vccnz .LBB143_1169
; %bb.1164:
	s_cmp_lg_u32 s19, 0
	s_mov_b32 s8, 0
	s_cbranch_scc0 .LBB143_1170
; %bb.1165:
	s_min_u32 s1, s33, 15
	s_delay_alu instid0(SALU_CYCLE_1)
	s_add_co_i32 s1, s1, 1
	s_cmp_eq_u32 s33, 2
	s_cbranch_scc1 .LBB143_1171
; %bb.1166:
	v_dual_mov_b32 v2, 0 :: v_dual_mov_b32 v10, 0
	v_mov_b32_e32 v5, v0
	s_and_b32 s0, s1, 28
	s_add_nc_u64 s[4:5], s[2:3], 0xc4
	s_mov_b32 s9, 0
	s_mov_b64 s[6:7], s[2:3]
.LBB143_1167:                           ; =>This Inner Loop Header: Depth=1
	s_clause 0x1
	s_load_b256 s[20:27], s[6:7], 0x4
	s_load_b128 s[12:15], s[6:7], 0x24
	s_load_b256 s[36:43], s[4:5], 0x0
	s_add_co_i32 s9, s9, 4
	s_wait_xcnt 0x0
	s_add_nc_u64 s[6:7], s[6:7], 48
	s_cmp_lg_u32 s0, s9
	s_add_nc_u64 s[4:5], s[4:5], 32
	s_wait_kmcnt 0x0
	v_mul_hi_u32 v3, s21, v5
	s_delay_alu instid0(VALU_DEP_1) | instskip(NEXT) | instid1(VALU_DEP_1)
	v_add_nc_u32_e32 v3, v5, v3
	v_lshrrev_b32_e32 v3, s22, v3
	s_wait_loadcnt 0x0
	s_delay_alu instid0(VALU_DEP_1) | instskip(NEXT) | instid1(VALU_DEP_1)
	v_mul_hi_u32 v7, s24, v3
	v_add_nc_u32_e32 v7, v3, v7
	s_delay_alu instid0(VALU_DEP_1) | instskip(NEXT) | instid1(VALU_DEP_1)
	v_lshrrev_b32_e32 v7, s25, v7
	v_mul_hi_u32 v8, s27, v7
	s_delay_alu instid0(VALU_DEP_1) | instskip(NEXT) | instid1(VALU_DEP_1)
	v_add_nc_u32_e32 v8, v7, v8
	v_lshrrev_b32_e32 v8, s12, v8
	v_mul_lo_u32 v11, v3, s20
	s_delay_alu instid0(VALU_DEP_2) | instskip(NEXT) | instid1(VALU_DEP_2)
	v_mul_hi_u32 v13, s14, v8
	v_sub_nc_u32_e32 v5, v5, v11
	s_delay_alu instid0(VALU_DEP_1) | instskip(SKIP_1) | instid1(VALU_DEP_4)
	v_mad_u32 v10, v5, s37, v10
	v_mad_u32 v2, v5, s36, v2
	v_add_nc_u32_e32 v5, v8, v13
	s_delay_alu instid0(VALU_DEP_1) | instskip(SKIP_1) | instid1(VALU_DEP_1)
	v_lshrrev_b32_e32 v5, s15, v5
	v_mul_lo_u32 v11, v7, s23
	v_sub_nc_u32_e32 v3, v3, v11
	v_mul_lo_u32 v11, v8, s26
	s_delay_alu instid0(VALU_DEP_2) | instskip(SKIP_1) | instid1(VALU_DEP_3)
	v_mad_u32 v10, v3, s39, v10
	v_mad_u32 v2, v3, s38, v2
	v_sub_nc_u32_e32 v3, v7, v11
	v_mul_lo_u32 v7, v5, s13
	s_delay_alu instid0(VALU_DEP_2) | instskip(NEXT) | instid1(VALU_DEP_4)
	v_mad_u32 v10, v3, s41, v10
	v_mad_u32 v2, v3, s40, v2
	s_delay_alu instid0(VALU_DEP_3) | instskip(NEXT) | instid1(VALU_DEP_1)
	v_sub_nc_u32_e32 v3, v8, v7
	v_mad_u32 v10, v3, s43, v10
	s_delay_alu instid0(VALU_DEP_3)
	v_mad_u32 v2, v3, s42, v2
	s_cbranch_scc1 .LBB143_1167
; %bb.1168:
	s_delay_alu instid0(VALU_DEP_2)
	v_mov_b32_e32 v3, v10
	s_and_b32 s6, s1, 3
	s_mov_b32 s1, 0
	s_cmp_eq_u32 s6, 0
	s_cbranch_scc0 .LBB143_1172
	s_branch .LBB143_1175
.LBB143_1169:
	s_mov_b32 s8, -1
                                        ; implicit-def: $vgpr10
                                        ; implicit-def: $vgpr2
	s_branch .LBB143_1175
.LBB143_1170:
	v_dual_mov_b32 v10, 0 :: v_dual_mov_b32 v2, 0
	s_branch .LBB143_1175
.LBB143_1171:
	v_mov_b64_e32 v[2:3], 0
	v_mov_b32_e32 v5, v0
	s_mov_b32 s0, 0
                                        ; implicit-def: $vgpr10
	s_and_b32 s6, s1, 3
	s_mov_b32 s1, 0
	s_cmp_eq_u32 s6, 0
	s_cbranch_scc1 .LBB143_1175
.LBB143_1172:
	s_lshl_b32 s4, s0, 3
	s_mov_b32 s5, s1
	s_mul_u64 s[12:13], s[0:1], 12
	s_add_nc_u64 s[4:5], s[2:3], s[4:5]
	s_delay_alu instid0(SALU_CYCLE_1)
	s_add_nc_u64 s[0:1], s[4:5], 0xc4
	s_add_nc_u64 s[4:5], s[2:3], s[12:13]
.LBB143_1173:                           ; =>This Inner Loop Header: Depth=1
	s_load_b96 s[12:14], s[4:5], 0x4
	s_add_co_i32 s6, s6, -1
	s_wait_xcnt 0x0
	s_add_nc_u64 s[4:5], s[4:5], 12
	s_cmp_lg_u32 s6, 0
	s_wait_loadcnt 0x0
	s_wait_kmcnt 0x0
	v_mul_hi_u32 v7, s13, v5
	s_delay_alu instid0(VALU_DEP_1) | instskip(NEXT) | instid1(VALU_DEP_1)
	v_add_nc_u32_e32 v7, v5, v7
	v_lshrrev_b32_e32 v7, s14, v7
	s_load_b64 s[14:15], s[0:1], 0x0
	s_wait_xcnt 0x0
	s_add_nc_u64 s[0:1], s[0:1], 8
	s_delay_alu instid0(VALU_DEP_1) | instskip(NEXT) | instid1(VALU_DEP_1)
	v_mul_lo_u32 v8, v7, s12
	v_sub_nc_u32_e32 v5, v5, v8
	s_wait_kmcnt 0x0
	s_delay_alu instid0(VALU_DEP_1)
	v_mad_u32 v3, v5, s15, v3
	v_mad_u32 v2, v5, s14, v2
	v_mov_b32_e32 v5, v7
	s_cbranch_scc1 .LBB143_1173
; %bb.1174:
	s_delay_alu instid0(VALU_DEP_3)
	v_mov_b32_e32 v10, v3
.LBB143_1175:
	s_and_not1_b32 vcc_lo, exec_lo, s8
	s_cbranch_vccnz .LBB143_1178
; %bb.1176:
	s_clause 0x1
	s_load_b96 s[4:6], s[2:3], 0x4
	s_load_b64 s[0:1], s[2:3], 0xc4
	s_cmp_lt_u32 s19, 2
	s_wait_kmcnt 0x0
	v_mul_hi_u32 v2, s5, v0
	s_delay_alu instid0(VALU_DEP_1) | instskip(NEXT) | instid1(VALU_DEP_1)
	v_add_nc_u32_e32 v2, v0, v2
	v_lshrrev_b32_e32 v3, s6, v2
	s_delay_alu instid0(VALU_DEP_1) | instskip(NEXT) | instid1(VALU_DEP_1)
	v_mul_lo_u32 v2, v3, s4
	v_sub_nc_u32_e32 v0, v0, v2
	s_delay_alu instid0(VALU_DEP_1)
	v_mul_lo_u32 v10, v0, s1
	v_mul_lo_u32 v2, v0, s0
	s_cbranch_scc1 .LBB143_1178
; %bb.1177:
	s_clause 0x1
	s_load_b96 s[4:6], s[2:3], 0x10
	s_load_b64 s[0:1], s[2:3], 0xcc
	s_wait_kmcnt 0x0
	v_mul_hi_u32 v0, s5, v3
	s_delay_alu instid0(VALU_DEP_1) | instskip(NEXT) | instid1(VALU_DEP_1)
	v_add_nc_u32_e32 v0, v3, v0
	v_lshrrev_b32_e32 v0, s6, v0
	s_delay_alu instid0(VALU_DEP_1) | instskip(NEXT) | instid1(VALU_DEP_1)
	v_mul_lo_u32 v0, v0, s4
	v_sub_nc_u32_e32 v0, v3, v0
	s_delay_alu instid0(VALU_DEP_1)
	v_mad_u32 v2, v0, s0, v2
	v_mad_u32 v10, v0, s1, v10
.LBB143_1178:
	v_cmp_ne_u32_e32 vcc_lo, 1, v1
	s_cbranch_vccnz .LBB143_1184
; %bb.1179:
	s_cmp_lg_u32 s19, 0
	s_mov_b32 s8, 0
	s_cbranch_scc0 .LBB143_1185
; %bb.1180:
	s_min_u32 s1, s33, 15
	s_delay_alu instid0(SALU_CYCLE_1)
	s_add_co_i32 s1, s1, 1
	s_cmp_eq_u32 s33, 2
	s_cbranch_scc1 .LBB143_1186
; %bb.1181:
	v_dual_mov_b32 v0, 0 :: v_dual_mov_b32 v8, 0
	v_mov_b32_e32 v3, v9
	s_and_b32 s0, s1, 28
	s_add_nc_u64 s[4:5], s[2:3], 0xc4
	s_mov_b32 s9, 0
	s_mov_b64 s[6:7], s[2:3]
.LBB143_1182:                           ; =>This Inner Loop Header: Depth=1
	s_clause 0x1
	s_load_b256 s[20:27], s[6:7], 0x4
	s_load_b128 s[12:15], s[6:7], 0x24
	s_load_b256 s[36:43], s[4:5], 0x0
	s_add_co_i32 s9, s9, 4
	s_wait_xcnt 0x0
	s_add_nc_u64 s[6:7], s[6:7], 48
	s_cmp_lg_u32 s0, s9
	s_add_nc_u64 s[4:5], s[4:5], 32
	s_wait_kmcnt 0x0
	v_mul_hi_u32 v1, s21, v3
	s_delay_alu instid0(VALU_DEP_1) | instskip(NEXT) | instid1(VALU_DEP_1)
	v_add_nc_u32_e32 v1, v3, v1
	v_lshrrev_b32_e32 v1, s22, v1
	s_delay_alu instid0(VALU_DEP_1) | instskip(NEXT) | instid1(VALU_DEP_1)
	v_mul_lo_u32 v11, v1, s20
	v_sub_nc_u32_e32 v3, v3, v11
	v_mul_hi_u32 v5, s24, v1
	s_delay_alu instid0(VALU_DEP_2) | instskip(SKIP_1) | instid1(VALU_DEP_3)
	v_mad_u32 v8, v3, s37, v8
	v_mad_u32 v0, v3, s36, v0
	v_add_nc_u32_e32 v5, v1, v5
	s_delay_alu instid0(VALU_DEP_1) | instskip(NEXT) | instid1(VALU_DEP_1)
	v_lshrrev_b32_e32 v5, s25, v5
	v_mul_lo_u32 v11, v5, s23
	s_delay_alu instid0(VALU_DEP_1) | instskip(SKIP_2) | instid1(VALU_DEP_2)
	v_sub_nc_u32_e32 v1, v1, v11
	s_wait_loadcnt 0x0
	v_mul_hi_u32 v7, s27, v5
	v_mad_u32 v8, v1, s39, v8
	v_mad_u32 v0, v1, s38, v0
	s_delay_alu instid0(VALU_DEP_3) | instskip(NEXT) | instid1(VALU_DEP_1)
	v_add_nc_u32_e32 v7, v5, v7
	v_lshrrev_b32_e32 v7, s12, v7
	s_delay_alu instid0(VALU_DEP_1) | instskip(SKIP_1) | instid1(VALU_DEP_1)
	v_mul_hi_u32 v13, s14, v7
	v_mul_lo_u32 v11, v7, s26
	v_dual_add_nc_u32 v3, v7, v13 :: v_dual_sub_nc_u32 v1, v5, v11
	s_delay_alu instid0(VALU_DEP_1) | instskip(NEXT) | instid1(VALU_DEP_2)
	v_lshrrev_b32_e32 v3, s15, v3
	v_mad_u32 v8, v1, s41, v8
	v_mad_u32 v0, v1, s40, v0
	s_delay_alu instid0(VALU_DEP_3) | instskip(NEXT) | instid1(VALU_DEP_1)
	v_mul_lo_u32 v5, v3, s13
	v_sub_nc_u32_e32 v1, v7, v5
	s_delay_alu instid0(VALU_DEP_1) | instskip(NEXT) | instid1(VALU_DEP_4)
	v_mad_u32 v8, v1, s43, v8
	v_mad_u32 v0, v1, s42, v0
	s_cbranch_scc1 .LBB143_1182
; %bb.1183:
	s_delay_alu instid0(VALU_DEP_2)
	v_mov_b32_e32 v1, v8
	s_and_b32 s6, s1, 3
	s_mov_b32 s1, 0
	s_cmp_eq_u32 s6, 0
	s_cbranch_scc0 .LBB143_1187
	s_branch .LBB143_1190
.LBB143_1184:
	s_mov_b32 s8, -1
                                        ; implicit-def: $vgpr8
                                        ; implicit-def: $vgpr0
	s_branch .LBB143_1190
.LBB143_1185:
	v_dual_mov_b32 v8, 0 :: v_dual_mov_b32 v0, 0
	s_branch .LBB143_1190
.LBB143_1186:
	v_mov_b64_e32 v[0:1], 0
	v_mov_b32_e32 v3, v9
	s_mov_b32 s0, 0
                                        ; implicit-def: $vgpr8
	s_and_b32 s6, s1, 3
	s_mov_b32 s1, 0
	s_cmp_eq_u32 s6, 0
	s_cbranch_scc1 .LBB143_1190
.LBB143_1187:
	s_lshl_b32 s4, s0, 3
	s_mov_b32 s5, s1
	s_mul_u64 s[12:13], s[0:1], 12
	s_add_nc_u64 s[4:5], s[2:3], s[4:5]
	s_delay_alu instid0(SALU_CYCLE_1)
	s_add_nc_u64 s[0:1], s[4:5], 0xc4
	s_add_nc_u64 s[4:5], s[2:3], s[12:13]
.LBB143_1188:                           ; =>This Inner Loop Header: Depth=1
	s_load_b96 s[12:14], s[4:5], 0x4
	s_add_co_i32 s6, s6, -1
	s_wait_xcnt 0x0
	s_add_nc_u64 s[4:5], s[4:5], 12
	s_cmp_lg_u32 s6, 0
	s_wait_kmcnt 0x0
	v_mul_hi_u32 v5, s13, v3
	s_delay_alu instid0(VALU_DEP_1) | instskip(NEXT) | instid1(VALU_DEP_1)
	v_add_nc_u32_e32 v5, v3, v5
	v_lshrrev_b32_e32 v5, s14, v5
	s_load_b64 s[14:15], s[0:1], 0x0
	s_wait_xcnt 0x0
	s_add_nc_u64 s[0:1], s[0:1], 8
	s_wait_loadcnt 0x0
	v_mul_lo_u32 v7, v5, s12
	s_delay_alu instid0(VALU_DEP_1) | instskip(SKIP_1) | instid1(VALU_DEP_1)
	v_sub_nc_u32_e32 v3, v3, v7
	s_wait_kmcnt 0x0
	v_mad_u32 v1, v3, s15, v1
	v_mad_u32 v0, v3, s14, v0
	v_mov_b32_e32 v3, v5
	s_cbranch_scc1 .LBB143_1188
; %bb.1189:
	s_delay_alu instid0(VALU_DEP_3)
	v_mov_b32_e32 v8, v1
.LBB143_1190:
	s_and_not1_b32 vcc_lo, exec_lo, s8
	s_cbranch_vccnz .LBB143_1193
; %bb.1191:
	s_clause 0x1
	s_load_b96 s[4:6], s[2:3], 0x4
	s_load_b64 s[0:1], s[2:3], 0xc4
	s_cmp_lt_u32 s19, 2
	s_wait_kmcnt 0x0
	v_mul_hi_u32 v0, s5, v9
	s_delay_alu instid0(VALU_DEP_1) | instskip(NEXT) | instid1(VALU_DEP_1)
	v_add_nc_u32_e32 v0, v9, v0
	v_lshrrev_b32_e32 v1, s6, v0
	s_delay_alu instid0(VALU_DEP_1) | instskip(NEXT) | instid1(VALU_DEP_1)
	v_mul_lo_u32 v0, v1, s4
	v_sub_nc_u32_e32 v0, v9, v0
	s_delay_alu instid0(VALU_DEP_1)
	v_mul_lo_u32 v8, v0, s1
	v_mul_lo_u32 v0, v0, s0
	s_cbranch_scc1 .LBB143_1193
; %bb.1192:
	s_clause 0x1
	s_load_b96 s[4:6], s[2:3], 0x10
	s_load_b64 s[0:1], s[2:3], 0xcc
	s_wait_kmcnt 0x0
	v_mul_hi_u32 v3, s5, v1
	s_delay_alu instid0(VALU_DEP_1) | instskip(NEXT) | instid1(VALU_DEP_1)
	v_add_nc_u32_e32 v3, v1, v3
	v_lshrrev_b32_e32 v3, s6, v3
	s_delay_alu instid0(VALU_DEP_1) | instskip(NEXT) | instid1(VALU_DEP_1)
	v_mul_lo_u32 v3, v3, s4
	v_sub_nc_u32_e32 v1, v1, v3
	s_delay_alu instid0(VALU_DEP_1)
	v_mad_u32 v0, v1, s0, v0
	v_mad_u32 v8, v1, s1, v8
.LBB143_1193:
	v_mov_b32_e32 v15, 0
	s_load_b128 s[4:7], s[2:3], 0x148
	global_load_u8 v1, v15, s[2:3] offset:361
	s_wait_kmcnt 0x0
	v_add_nc_u64_e32 v[14:15], s[6:7], v[14:15]
	s_wait_loadcnt 0x0
	v_and_b32_e32 v3, 0xffff, v1
	v_readfirstlane_b32 s13, v1
	s_delay_alu instid0(VALU_DEP_2)
	v_cmp_gt_i32_e32 vcc_lo, 11, v3
	s_cbranch_vccnz .LBB143_1200
; %bb.1194:
	s_and_b32 s0, 0xffff, s13
	s_mov_b32 s8, 0
	s_cmp_gt_i32 s0, 25
	s_cbranch_scc0 .LBB143_1202
; %bb.1195:
	s_cmp_gt_i32 s0, 28
	s_cbranch_scc0 .LBB143_1203
; %bb.1196:
	;; [unrolled: 3-line block ×4, first 2 shown]
	s_cmp_eq_u32 s0, 46
	s_mov_b32 s12, 0
	s_cbranch_scc0 .LBB143_1208
; %bb.1199:
	global_load_b32 v1, v[14:15], off
	s_mov_b32 s1, 0
	s_mov_b32 s9, -1
	s_wait_loadcnt 0x0
	v_and_b32_e32 v17, 0xffff0000, v1
	v_lshlrev_b32_e32 v16, 16, v1
	s_branch .LBB143_1210
.LBB143_1200:
	s_mov_b32 s9, 0
	s_mov_b32 s1, s10
                                        ; implicit-def: $vgpr17
	s_cbranch_execnz .LBB143_1276
.LBB143_1201:
	s_and_not1_b32 vcc_lo, exec_lo, s9
	s_cbranch_vccz .LBB143_1323
	s_branch .LBB143_1743
.LBB143_1202:
	s_mov_b32 s9, 0
	s_mov_b32 s1, 0
                                        ; implicit-def: $vgpr17
	s_cbranch_execnz .LBB143_1240
	s_branch .LBB143_1272
.LBB143_1203:
	s_mov_b32 s9, 0
	s_mov_b32 s1, 0
                                        ; implicit-def: $vgpr17
	s_cbranch_execnz .LBB143_1222
	s_branch .LBB143_1239
.LBB143_1204:
	s_mov_b32 s12, -1
	s_mov_b32 s9, 0
	s_mov_b32 s1, 0
                                        ; implicit-def: $vgpr17
	s_branch .LBB143_1216
.LBB143_1205:
	s_mov_b32 s12, -1
	s_mov_b32 s9, 0
	s_mov_b32 s1, 0
	s_branch .LBB143_1209
.LBB143_1206:
	s_and_not1_saveexec_b32 s10, s10
	s_cbranch_execz .LBB143_1045
.LBB143_1207:
	v_add_f32_e32 v2, 0x46000000, v3
	s_and_not1_b32 s9, s9, exec_lo
	s_delay_alu instid0(VALU_DEP_1) | instskip(NEXT) | instid1(VALU_DEP_1)
	v_and_b32_e32 v2, 0xff, v2
	v_cmp_ne_u32_e32 vcc_lo, 0, v2
	s_and_b32 s11, vcc_lo, exec_lo
	s_delay_alu instid0(SALU_CYCLE_1)
	s_or_b32 s9, s9, s11
	s_or_b32 exec_lo, exec_lo, s10
	v_mov_b32_e32 v4, 0
	s_and_saveexec_b32 s10, s9
	s_cbranch_execnz .LBB143_1046
	s_branch .LBB143_1047
.LBB143_1208:
	s_mov_b32 s1, -1
	s_mov_b32 s9, 0
.LBB143_1209:
                                        ; implicit-def: $vgpr17
.LBB143_1210:
	s_and_b32 vcc_lo, exec_lo, s12
	s_cbranch_vccz .LBB143_1215
; %bb.1211:
	s_cmp_eq_u32 s0, 44
	s_cbranch_scc0 .LBB143_1213
; %bb.1212:
	global_load_u8 v1, v[14:15], off
	s_mov_b32 s1, 0
	s_mov_b32 s9, -1
	s_wait_loadcnt 0x0
	v_lshlrev_b32_e32 v3, 23, v1
	v_cmp_ne_u32_e32 vcc_lo, 0xff, v1
	s_delay_alu instid0(VALU_DEP_2) | instskip(SKIP_1) | instid1(VALU_DEP_2)
	v_cndmask_b32_e32 v3, 0x7f800001, v3, vcc_lo
	v_cmp_ne_u32_e32 vcc_lo, 0, v1
	v_cndmask_b32_e32 v16, 0x400000, v3, vcc_lo
	s_branch .LBB143_1214
.LBB143_1213:
	s_mov_b32 s1, -1
                                        ; implicit-def: $vgpr16
.LBB143_1214:
	v_mov_b32_e32 v17, 0
.LBB143_1215:
	s_mov_b32 s12, 0
.LBB143_1216:
	s_delay_alu instid0(SALU_CYCLE_1)
	s_and_b32 vcc_lo, exec_lo, s12
	s_cbranch_vccz .LBB143_1221
; %bb.1217:
	s_cmp_eq_u32 s0, 29
	s_cbranch_scc0 .LBB143_1219
; %bb.1218:
	global_load_b64 v[16:17], v[14:15], off
	s_mov_b32 s1, 0
	s_mov_b32 s9, -1
	s_wait_loadcnt 0x0
	v_clz_i32_u32_e32 v1, v17
	s_delay_alu instid0(VALU_DEP_1) | instskip(NEXT) | instid1(VALU_DEP_1)
	v_min_u32_e32 v1, 32, v1
	v_lshlrev_b64_e32 v[16:17], v1, v[16:17]
	v_sub_nc_u32_e32 v1, 32, v1
	s_delay_alu instid0(VALU_DEP_2) | instskip(NEXT) | instid1(VALU_DEP_1)
	v_min_u32_e32 v3, 1, v16
	v_or_b32_e32 v3, v17, v3
	s_delay_alu instid0(VALU_DEP_1) | instskip(NEXT) | instid1(VALU_DEP_1)
	v_cvt_f32_u32_e32 v3, v3
	v_ldexp_f32 v16, v3, v1
	s_branch .LBB143_1220
.LBB143_1219:
	s_mov_b32 s1, -1
                                        ; implicit-def: $vgpr16
.LBB143_1220:
	v_mov_b32_e32 v17, 0
.LBB143_1221:
	s_branch .LBB143_1239
.LBB143_1222:
	s_cmp_lt_i32 s0, 27
	s_cbranch_scc1 .LBB143_1225
; %bb.1223:
	s_cmp_gt_i32 s0, 27
	s_cbranch_scc0 .LBB143_1226
; %bb.1224:
	global_load_b32 v1, v[14:15], off
	s_mov_b32 s9, 0
	s_wait_loadcnt 0x0
	v_cvt_f32_u32_e32 v16, v1
	s_branch .LBB143_1227
.LBB143_1225:
	s_mov_b32 s9, -1
                                        ; implicit-def: $vgpr16
	s_branch .LBB143_1230
.LBB143_1226:
	s_mov_b32 s9, -1
                                        ; implicit-def: $vgpr16
.LBB143_1227:
	s_delay_alu instid0(SALU_CYCLE_1)
	s_and_not1_b32 vcc_lo, exec_lo, s9
	s_cbranch_vccnz .LBB143_1229
; %bb.1228:
	global_load_u16 v1, v[14:15], off
	s_wait_loadcnt 0x0
	v_cvt_f32_u32_e32 v16, v1
.LBB143_1229:
	s_mov_b32 s9, 0
.LBB143_1230:
	s_delay_alu instid0(SALU_CYCLE_1)
	s_and_not1_b32 vcc_lo, exec_lo, s9
	s_cbranch_vccnz .LBB143_1238
; %bb.1231:
	global_load_u8 v1, v[14:15], off
	s_mov_b32 s9, 0
	s_mov_b32 s12, exec_lo
	s_wait_loadcnt 0x0
	v_cmpx_lt_i16_e32 0x7f, v1
	s_xor_b32 s12, exec_lo, s12
	s_cbranch_execz .LBB143_1251
; %bb.1232:
	s_mov_b32 s9, -1
	s_mov_b32 s14, exec_lo
	v_cmpx_eq_u16_e32 0x80, v1
; %bb.1233:
	s_xor_b32 s9, exec_lo, -1
; %bb.1234:
	s_or_b32 exec_lo, exec_lo, s14
	s_delay_alu instid0(SALU_CYCLE_1)
	s_and_b32 s9, s9, exec_lo
	s_or_saveexec_b32 s12, s12
	v_mov_b32_e32 v16, 0x7f800001
	s_xor_b32 exec_lo, exec_lo, s12
	s_cbranch_execnz .LBB143_1252
.LBB143_1235:
	s_or_b32 exec_lo, exec_lo, s12
	s_and_saveexec_b32 s12, s9
	s_cbranch_execz .LBB143_1237
.LBB143_1236:
	v_and_b32_e32 v3, 0xffff, v1
	s_delay_alu instid0(VALU_DEP_1) | instskip(SKIP_1) | instid1(VALU_DEP_2)
	v_dual_lshlrev_b32 v1, 24, v1 :: v_dual_bitop2_b32 v5, 7, v3 bitop3:0x40
	v_bfe_u32 v11, v3, 3, 4
	v_and_b32_e32 v1, 0x80000000, v1
	s_delay_alu instid0(VALU_DEP_3) | instskip(NEXT) | instid1(VALU_DEP_3)
	v_clz_i32_u32_e32 v7, v5
	v_cmp_eq_u32_e32 vcc_lo, 0, v11
	s_delay_alu instid0(VALU_DEP_2) | instskip(NEXT) | instid1(VALU_DEP_1)
	v_min_u32_e32 v7, 32, v7
	v_subrev_nc_u32_e32 v9, 28, v7
	v_sub_nc_u32_e32 v7, 29, v7
	s_delay_alu instid0(VALU_DEP_2) | instskip(NEXT) | instid1(VALU_DEP_2)
	v_lshlrev_b32_e32 v3, v9, v3
	v_cndmask_b32_e32 v7, v11, v7, vcc_lo
	s_delay_alu instid0(VALU_DEP_2) | instskip(NEXT) | instid1(VALU_DEP_1)
	v_and_b32_e32 v3, 7, v3
	v_cndmask_b32_e32 v3, v5, v3, vcc_lo
	s_delay_alu instid0(VALU_DEP_3) | instskip(NEXT) | instid1(VALU_DEP_2)
	v_lshl_add_u32 v5, v7, 23, 0x3b800000
	v_lshlrev_b32_e32 v3, 20, v3
	s_delay_alu instid0(VALU_DEP_1)
	v_or3_b32 v16, v1, v5, v3
.LBB143_1237:
	s_or_b32 exec_lo, exec_lo, s12
.LBB143_1238:
	v_mov_b32_e32 v17, 0
	s_mov_b32 s9, -1
.LBB143_1239:
	s_branch .LBB143_1272
.LBB143_1240:
	s_cmp_gt_i32 s0, 22
	s_cbranch_scc0 .LBB143_1250
; %bb.1241:
	s_cmp_lt_i32 s0, 24
	s_cbranch_scc1 .LBB143_1253
; %bb.1242:
	s_cmp_gt_i32 s0, 24
	s_cbranch_scc0 .LBB143_1254
; %bb.1243:
	global_load_u8 v1, v[14:15], off
	s_mov_b32 s9, exec_lo
	s_wait_loadcnt 0x0
	v_cmpx_lt_i16_e32 0x7f, v1
	s_xor_b32 s9, exec_lo, s9
	s_cbranch_execz .LBB143_1265
; %bb.1244:
	s_mov_b32 s8, -1
	s_mov_b32 s12, exec_lo
	v_cmpx_eq_u16_e32 0x80, v1
; %bb.1245:
	s_xor_b32 s8, exec_lo, -1
; %bb.1246:
	s_or_b32 exec_lo, exec_lo, s12
	s_delay_alu instid0(SALU_CYCLE_1)
	s_and_b32 s8, s8, exec_lo
	s_or_saveexec_b32 s9, s9
	v_mov_b32_e32 v16, 0x7f800001
	s_xor_b32 exec_lo, exec_lo, s9
	s_cbranch_execnz .LBB143_1266
.LBB143_1247:
	s_or_b32 exec_lo, exec_lo, s9
	s_and_saveexec_b32 s9, s8
	s_cbranch_execz .LBB143_1249
.LBB143_1248:
	v_and_b32_e32 v3, 0xffff, v1
	s_delay_alu instid0(VALU_DEP_1) | instskip(SKIP_1) | instid1(VALU_DEP_2)
	v_dual_lshlrev_b32 v1, 24, v1 :: v_dual_bitop2_b32 v5, 3, v3 bitop3:0x40
	v_bfe_u32 v11, v3, 2, 5
	v_and_b32_e32 v1, 0x80000000, v1
	s_delay_alu instid0(VALU_DEP_3) | instskip(NEXT) | instid1(VALU_DEP_3)
	v_clz_i32_u32_e32 v7, v5
	v_cmp_eq_u32_e32 vcc_lo, 0, v11
	s_delay_alu instid0(VALU_DEP_2) | instskip(NEXT) | instid1(VALU_DEP_1)
	v_min_u32_e32 v7, 32, v7
	v_subrev_nc_u32_e32 v9, 29, v7
	v_sub_nc_u32_e32 v7, 30, v7
	s_delay_alu instid0(VALU_DEP_2) | instskip(NEXT) | instid1(VALU_DEP_2)
	v_lshlrev_b32_e32 v3, v9, v3
	v_cndmask_b32_e32 v7, v11, v7, vcc_lo
	s_delay_alu instid0(VALU_DEP_2) | instskip(NEXT) | instid1(VALU_DEP_1)
	v_and_b32_e32 v3, 3, v3
	v_cndmask_b32_e32 v3, v5, v3, vcc_lo
	s_delay_alu instid0(VALU_DEP_3) | instskip(NEXT) | instid1(VALU_DEP_2)
	v_lshl_add_u32 v5, v7, 23, 0x37800000
	v_lshlrev_b32_e32 v3, 21, v3
	s_delay_alu instid0(VALU_DEP_1)
	v_or3_b32 v16, v1, v5, v3
.LBB143_1249:
	s_or_b32 exec_lo, exec_lo, s9
	s_mov_b32 s8, 0
	s_branch .LBB143_1255
.LBB143_1250:
                                        ; implicit-def: $vgpr16
	s_mov_b32 s8, 0
	s_branch .LBB143_1261
.LBB143_1251:
	s_or_saveexec_b32 s12, s12
	v_mov_b32_e32 v16, 0x7f800001
	s_xor_b32 exec_lo, exec_lo, s12
	s_cbranch_execz .LBB143_1235
.LBB143_1252:
	v_cmp_ne_u16_e32 vcc_lo, 0, v1
	v_mov_b32_e32 v16, 0
	s_and_not1_b32 s9, s9, exec_lo
	s_and_b32 s14, vcc_lo, exec_lo
	s_delay_alu instid0(SALU_CYCLE_1)
	s_or_b32 s9, s9, s14
	s_or_b32 exec_lo, exec_lo, s12
	s_and_saveexec_b32 s12, s9
	s_cbranch_execnz .LBB143_1236
	s_branch .LBB143_1237
.LBB143_1253:
	s_mov_b32 s8, -1
                                        ; implicit-def: $vgpr16
	s_branch .LBB143_1258
.LBB143_1254:
	s_mov_b32 s8, -1
                                        ; implicit-def: $vgpr16
.LBB143_1255:
	s_delay_alu instid0(SALU_CYCLE_1)
	s_and_b32 vcc_lo, exec_lo, s8
	s_cbranch_vccz .LBB143_1257
; %bb.1256:
	global_load_u8 v1, v[14:15], off
	s_wait_loadcnt 0x0
	v_lshlrev_b32_e32 v1, 24, v1
	s_delay_alu instid0(VALU_DEP_1) | instskip(NEXT) | instid1(VALU_DEP_1)
	v_and_b32_e32 v3, 0x7f000000, v1
	v_clz_i32_u32_e32 v5, v3
	v_add_nc_u32_e32 v9, 0x1000000, v3
	v_cmp_ne_u32_e32 vcc_lo, 0, v3
	s_delay_alu instid0(VALU_DEP_3) | instskip(NEXT) | instid1(VALU_DEP_1)
	v_min_u32_e32 v5, 32, v5
	v_sub_nc_u32_e64 v5, v5, 4 clamp
	s_delay_alu instid0(VALU_DEP_1) | instskip(NEXT) | instid1(VALU_DEP_1)
	v_dual_lshlrev_b32 v7, v5, v3 :: v_dual_lshlrev_b32 v5, 23, v5
	v_lshrrev_b32_e32 v7, 4, v7
	s_delay_alu instid0(VALU_DEP_1) | instskip(SKIP_1) | instid1(VALU_DEP_2)
	v_sub_nc_u32_e32 v5, v7, v5
	v_ashrrev_i32_e32 v7, 8, v9
	v_add_nc_u32_e32 v5, 0x3c000000, v5
	s_delay_alu instid0(VALU_DEP_1) | instskip(NEXT) | instid1(VALU_DEP_1)
	v_and_or_b32 v5, 0x7f800000, v7, v5
	v_cndmask_b32_e32 v3, 0, v5, vcc_lo
	s_delay_alu instid0(VALU_DEP_1)
	v_and_or_b32 v16, 0x80000000, v1, v3
.LBB143_1257:
	s_mov_b32 s8, 0
.LBB143_1258:
	s_delay_alu instid0(SALU_CYCLE_1)
	s_and_not1_b32 vcc_lo, exec_lo, s8
	s_cbranch_vccnz .LBB143_1260
; %bb.1259:
	global_load_u8 v1, v[14:15], off
	s_wait_loadcnt 0x0
	v_lshlrev_b32_e32 v3, 25, v1
	v_lshlrev_b16 v1, 8, v1
	s_delay_alu instid0(VALU_DEP_1) | instskip(SKIP_1) | instid1(VALU_DEP_2)
	v_and_or_b32 v7, 0x7f00, v1, 0.5
	v_bfe_i32 v1, v1, 0, 16
	v_add_f32_e32 v7, -0.5, v7
	v_lshrrev_b32_e32 v5, 4, v3
	v_cmp_gt_u32_e32 vcc_lo, 0x8000000, v3
	s_delay_alu instid0(VALU_DEP_2) | instskip(NEXT) | instid1(VALU_DEP_1)
	v_or_b32_e32 v5, 0x70000000, v5
	v_mul_f32_e32 v5, 0x7800000, v5
	s_delay_alu instid0(VALU_DEP_1) | instskip(NEXT) | instid1(VALU_DEP_1)
	v_cndmask_b32_e32 v3, v5, v7, vcc_lo
	v_and_or_b32 v16, 0x80000000, v1, v3
.LBB143_1260:
	s_mov_b32 s9, -1
	s_mov_b32 s8, 0
	s_cbranch_execnz .LBB143_1271
.LBB143_1261:
	s_cmp_gt_i32 s0, 14
	s_cbranch_scc0 .LBB143_1264
; %bb.1262:
	s_cmp_eq_u32 s0, 15
	s_cbranch_scc0 .LBB143_1267
; %bb.1263:
	global_load_u16 v1, v[14:15], off
	s_mov_b32 s1, 0
	s_mov_b32 s9, -1
	s_wait_loadcnt 0x0
	v_lshlrev_b32_e32 v16, 16, v1
	s_branch .LBB143_1269
.LBB143_1264:
	s_mov_b32 s8, -1
	s_branch .LBB143_1268
.LBB143_1265:
	s_or_saveexec_b32 s9, s9
	v_mov_b32_e32 v16, 0x7f800001
	s_xor_b32 exec_lo, exec_lo, s9
	s_cbranch_execz .LBB143_1247
.LBB143_1266:
	v_cmp_ne_u16_e32 vcc_lo, 0, v1
	v_mov_b32_e32 v16, 0
	s_and_not1_b32 s8, s8, exec_lo
	s_and_b32 s12, vcc_lo, exec_lo
	s_delay_alu instid0(SALU_CYCLE_1)
	s_or_b32 s8, s8, s12
	s_or_b32 exec_lo, exec_lo, s9
	s_and_saveexec_b32 s9, s8
	s_cbranch_execnz .LBB143_1248
	s_branch .LBB143_1249
.LBB143_1267:
	s_mov_b32 s1, -1
.LBB143_1268:
                                        ; implicit-def: $vgpr16
.LBB143_1269:
	s_and_b32 vcc_lo, exec_lo, s8
	s_mov_b32 s8, 0
	s_cbranch_vccz .LBB143_1271
; %bb.1270:
	s_cmp_lg_u32 s0, 11
	s_mov_b32 s8, -1
	s_cselect_b32 s1, -1, 0
.LBB143_1271:
	v_mov_b32_e32 v17, 0
.LBB143_1272:
	s_and_b32 vcc_lo, exec_lo, s1
	s_mov_b32 s1, s10
	s_cbranch_vccnz .LBB143_1339
; %bb.1273:
	s_and_not1_b32 vcc_lo, exec_lo, s8
	s_cbranch_vccnz .LBB143_1275
.LBB143_1274:
	global_load_u8 v1, v[14:15], off
	v_mov_b32_e32 v17, 0
	s_mov_b32 s9, -1
	s_wait_loadcnt 0x0
	v_cmp_ne_u16_e32 vcc_lo, 0, v1
	v_cndmask_b32_e64 v16, 0, 1.0, vcc_lo
.LBB143_1275:
	s_branch .LBB143_1201
.LBB143_1276:
	s_and_b32 s0, 0xffff, s13
	s_delay_alu instid0(SALU_CYCLE_1)
	s_cmp_lt_i32 s0, 5
	s_cbranch_scc1 .LBB143_1281
; %bb.1277:
	s_cmp_lt_i32 s0, 8
	s_cbranch_scc1 .LBB143_1283
; %bb.1278:
	;; [unrolled: 3-line block ×3, first 2 shown]
	s_cmp_gt_i32 s0, 9
	s_cbranch_scc0 .LBB143_1285
; %bb.1280:
	global_load_b128 v[16:19], v[14:15], off
	s_mov_b32 s8, 0
	s_wait_loadcnt 0x0
	v_cvt_f32_f64_e32 v16, v[16:17]
	v_cvt_f32_f64_e32 v17, v[18:19]
	s_branch .LBB143_1286
.LBB143_1281:
                                        ; implicit-def: $vgpr17
	s_branch .LBB143_1304
.LBB143_1282:
	s_branch .LBB143_1323
.LBB143_1283:
                                        ; implicit-def: $vgpr17
	s_branch .LBB143_1292
.LBB143_1284:
	s_mov_b32 s8, -1
                                        ; implicit-def: $vgpr17
	s_branch .LBB143_1289
.LBB143_1285:
	s_mov_b32 s8, -1
                                        ; implicit-def: $vgpr17
.LBB143_1286:
	s_delay_alu instid0(SALU_CYCLE_1)
	s_and_not1_b32 vcc_lo, exec_lo, s8
	s_cbranch_vccnz .LBB143_1288
; %bb.1287:
	global_load_b64 v[16:17], v[14:15], off
.LBB143_1288:
	s_mov_b32 s8, 0
.LBB143_1289:
	s_delay_alu instid0(SALU_CYCLE_1)
	s_and_not1_b32 vcc_lo, exec_lo, s8
	s_cbranch_vccnz .LBB143_1291
; %bb.1290:
	global_load_b32 v1, v[14:15], off
	s_wait_loadcnt 0x0
	v_lshrrev_b32_e32 v3, 16, v1
	v_cvt_f32_f16_e32 v16, v1
	s_delay_alu instid0(VALU_DEP_2)
	v_cvt_f32_f16_e32 v17, v3
.LBB143_1291:
	s_cbranch_execnz .LBB143_1303
.LBB143_1292:
	s_cmp_lt_i32 s0, 6
	s_cbranch_scc1 .LBB143_1295
; %bb.1293:
	s_cmp_gt_i32 s0, 6
	s_cbranch_scc0 .LBB143_1296
; %bb.1294:
	s_wait_loadcnt 0x0
	global_load_b64 v[16:17], v[14:15], off
	s_mov_b32 s8, 0
	s_wait_loadcnt 0x0
	v_cvt_f32_f64_e32 v16, v[16:17]
	s_branch .LBB143_1297
.LBB143_1295:
	s_mov_b32 s8, -1
                                        ; implicit-def: $vgpr16
	s_branch .LBB143_1300
.LBB143_1296:
	s_mov_b32 s8, -1
                                        ; implicit-def: $vgpr16
.LBB143_1297:
	s_delay_alu instid0(SALU_CYCLE_1)
	s_and_not1_b32 vcc_lo, exec_lo, s8
	s_cbranch_vccnz .LBB143_1299
; %bb.1298:
	s_wait_loadcnt 0x0
	global_load_b32 v16, v[14:15], off
.LBB143_1299:
	s_mov_b32 s8, 0
.LBB143_1300:
	s_delay_alu instid0(SALU_CYCLE_1)
	s_and_not1_b32 vcc_lo, exec_lo, s8
	s_cbranch_vccnz .LBB143_1302
; %bb.1301:
	global_load_u16 v1, v[14:15], off
	s_wait_loadcnt 0x0
	v_cvt_f32_f16_e32 v16, v1
.LBB143_1302:
	s_wait_loadcnt 0x0
	v_mov_b32_e32 v17, 0
.LBB143_1303:
	s_cbranch_execnz .LBB143_1282
.LBB143_1304:
	s_cmp_lt_i32 s0, 2
	s_cbranch_scc1 .LBB143_1308
; %bb.1305:
	s_cmp_lt_i32 s0, 3
	s_cbranch_scc1 .LBB143_1309
; %bb.1306:
	s_cmp_gt_i32 s0, 3
	s_cbranch_scc0 .LBB143_1310
; %bb.1307:
	s_wait_loadcnt 0x0
	global_load_b64 v[16:17], v[14:15], off
	s_mov_b32 s8, 0
	s_wait_loadcnt 0x0
	v_xor_b32_e32 v1, v16, v17
	v_cls_i32_e32 v3, v17
	s_delay_alu instid0(VALU_DEP_2) | instskip(NEXT) | instid1(VALU_DEP_1)
	v_ashrrev_i32_e32 v1, 31, v1
	v_add_nc_u32_e32 v1, 32, v1
	s_delay_alu instid0(VALU_DEP_1) | instskip(NEXT) | instid1(VALU_DEP_1)
	v_add_min_u32_e64 v1, v3, -1, v1
	v_lshlrev_b64_e32 v[16:17], v1, v[16:17]
	v_sub_nc_u32_e32 v1, 32, v1
	s_delay_alu instid0(VALU_DEP_2) | instskip(NEXT) | instid1(VALU_DEP_1)
	v_min_u32_e32 v3, 1, v16
	v_or_b32_e32 v3, v17, v3
	s_delay_alu instid0(VALU_DEP_1) | instskip(NEXT) | instid1(VALU_DEP_1)
	v_cvt_f32_i32_e32 v3, v3
	v_ldexp_f32 v16, v3, v1
	s_branch .LBB143_1311
.LBB143_1308:
                                        ; implicit-def: $vgpr16
	s_branch .LBB143_1317
.LBB143_1309:
	s_mov_b32 s8, -1
                                        ; implicit-def: $vgpr16
	s_branch .LBB143_1314
.LBB143_1310:
	s_mov_b32 s8, -1
                                        ; implicit-def: $vgpr16
.LBB143_1311:
	s_delay_alu instid0(SALU_CYCLE_1)
	s_and_not1_b32 vcc_lo, exec_lo, s8
	s_cbranch_vccnz .LBB143_1313
; %bb.1312:
	global_load_b32 v1, v[14:15], off
	s_wait_loadcnt 0x0
	v_cvt_f32_i32_e32 v16, v1
.LBB143_1313:
	s_mov_b32 s8, 0
.LBB143_1314:
	s_delay_alu instid0(SALU_CYCLE_1)
	s_and_not1_b32 vcc_lo, exec_lo, s8
	s_cbranch_vccnz .LBB143_1316
; %bb.1315:
	global_load_i16 v1, v[14:15], off
	s_wait_loadcnt 0x0
	v_cvt_f32_i32_e32 v16, v1
.LBB143_1316:
	s_cbranch_execnz .LBB143_1322
.LBB143_1317:
	s_cmp_gt_i32 s0, 0
	s_mov_b32 s0, 0
	s_cbranch_scc0 .LBB143_1319
; %bb.1318:
	global_load_i8 v1, v[14:15], off
	s_wait_loadcnt 0x0
	v_cvt_f32_i32_e32 v16, v1
	s_branch .LBB143_1320
.LBB143_1319:
	s_mov_b32 s0, -1
                                        ; implicit-def: $vgpr16
.LBB143_1320:
	s_delay_alu instid0(SALU_CYCLE_1)
	s_and_not1_b32 vcc_lo, exec_lo, s0
	s_cbranch_vccnz .LBB143_1322
; %bb.1321:
	global_load_u8 v1, v[14:15], off
	s_wait_loadcnt 0x0
	v_cvt_f32_ubyte0_e32 v16, v1
.LBB143_1322:
	s_wait_loadcnt 0x0
	v_mov_b32_e32 v17, 0
.LBB143_1323:
	s_clause 0x1
	s_load_b32 s0, s[2:3], 0x158
	s_load_b64 s[8:9], s[2:3], 0x160
	s_mov_b32 s14, 0
	s_wait_kmcnt 0x0
	s_cmp_lg_u32 s0, 0
	s_cselect_b32 s15, -1, 0
	s_delay_alu instid0(SALU_CYCLE_1)
	s_and_b32 vcc_lo, exec_lo, s15
	s_cbranch_vccz .LBB143_1335
; %bb.1324:
	s_wait_loadcnt 0x0
	s_delay_alu instid0(VALU_DEP_2) | instskip(NEXT) | instid1(VALU_DEP_2)
	v_cmp_neq_f32_e32 vcc_lo, s8, v16
	v_cmp_neq_f32_e64 s0, s9, v17
	s_or_b32 s12, vcc_lo, s0
	s_and_not1_b32 vcc_lo, exec_lo, s14
	s_cbranch_vccnz .LBB143_1326
.LBB143_1325:
	s_wait_loadcnt 0x0
	s_delay_alu instid0(VALU_DEP_1) | instskip(NEXT) | instid1(VALU_DEP_3)
	v_cmp_eq_f32_e32 vcc_lo, s9, v17
	v_cmp_eq_f32_e64 s0, s8, v16
	s_and_not1_b32 s12, s12, exec_lo
	s_and_b32 s0, s0, vcc_lo
	s_delay_alu instid0(SALU_CYCLE_1) | instskip(NEXT) | instid1(SALU_CYCLE_1)
	s_and_b32 s0, s0, exec_lo
	s_or_b32 s12, s12, s0
.LBB143_1326:
	v_mov_b32_e32 v13, 0
	s_and_b32 s16, 0xffff, s13
	s_delay_alu instid0(SALU_CYCLE_1) | instskip(NEXT) | instid1(VALU_DEP_1)
	s_cmp_lt_i32 s16, 11
	v_add_nc_u64_e32 v[12:13], s[6:7], v[12:13]
	s_cbranch_scc1 .LBB143_1333
; %bb.1327:
	s_cmp_gt_i32 s16, 25
	s_mov_b32 s13, 0
	s_cbranch_scc0 .LBB143_1336
; %bb.1328:
	s_cmp_gt_i32 s16, 28
	s_cbranch_scc0 .LBB143_1337
; %bb.1329:
	s_cmp_gt_i32 s16, 43
	;; [unrolled: 3-line block ×3, first 2 shown]
	s_cbranch_scc0 .LBB143_1340
; %bb.1331:
	s_cmp_eq_u32 s16, 46
	s_mov_b32 s17, 0
	s_cbranch_scc0 .LBB143_1343
; %bb.1332:
	global_load_b32 v1, v[12:13], off
	s_mov_b32 s0, 0
	s_mov_b32 s14, -1
	s_wait_loadcnt 0x0
	v_and_b32_e32 v15, 0xffff0000, v1
	v_lshlrev_b32_e32 v14, 16, v1
	s_branch .LBB143_1345
.LBB143_1333:
	s_mov_b32 s14, 0
                                        ; implicit-def: $vgpr15
	s_cbranch_execnz .LBB143_1413
.LBB143_1334:
	s_and_not1_b32 vcc_lo, exec_lo, s14
	s_cbranch_vccnz .LBB143_1743
	s_branch .LBB143_1462
.LBB143_1335:
                                        ; implicit-def: $sgpr12
	s_branch .LBB143_1325
.LBB143_1336:
	s_mov_b32 s14, 0
	s_mov_b32 s0, 0
                                        ; implicit-def: $vgpr15
	s_cbranch_execnz .LBB143_1376
	s_branch .LBB143_1409
.LBB143_1337:
	s_mov_b32 s17, -1
	s_mov_b32 s14, 0
	s_mov_b32 s0, 0
                                        ; implicit-def: $vgpr15
	s_branch .LBB143_1357
.LBB143_1338:
	s_mov_b32 s17, -1
	s_mov_b32 s14, 0
	s_mov_b32 s0, 0
                                        ; implicit-def: $vgpr15
	s_branch .LBB143_1351
.LBB143_1339:
	s_or_b32 s1, s10, exec_lo
	s_trap 2
	s_cbranch_execz .LBB143_1274
	s_branch .LBB143_1275
.LBB143_1340:
	s_mov_b32 s17, -1
	s_mov_b32 s14, 0
	s_mov_b32 s0, 0
	s_branch .LBB143_1344
.LBB143_1341:
	s_and_not1_saveexec_b32 s11, s11
	s_cbranch_execz .LBB143_1057
.LBB143_1342:
	v_add_f32_e32 v2, 0x42800000, v3
	s_and_not1_b32 s10, s10, exec_lo
	s_delay_alu instid0(VALU_DEP_1) | instskip(NEXT) | instid1(VALU_DEP_1)
	v_and_b32_e32 v2, 0xff, v2
	v_cmp_ne_u32_e32 vcc_lo, 0, v2
	s_and_b32 s12, vcc_lo, exec_lo
	s_delay_alu instid0(SALU_CYCLE_1)
	s_or_b32 s10, s10, s12
	s_or_b32 exec_lo, exec_lo, s11
	v_mov_b32_e32 v4, 0
	s_and_saveexec_b32 s11, s10
	s_cbranch_execnz .LBB143_1058
	s_branch .LBB143_1059
.LBB143_1343:
	s_mov_b32 s0, -1
	s_mov_b32 s14, 0
.LBB143_1344:
                                        ; implicit-def: $vgpr15
.LBB143_1345:
	s_and_b32 vcc_lo, exec_lo, s17
	s_cbranch_vccz .LBB143_1350
; %bb.1346:
	s_cmp_eq_u32 s16, 44
	s_cbranch_scc0 .LBB143_1348
; %bb.1347:
	global_load_u8 v1, v[12:13], off
	s_mov_b32 s0, 0
	s_mov_b32 s14, -1
	s_wait_loadcnt 0x0
	v_lshlrev_b32_e32 v3, 23, v1
	v_cmp_ne_u32_e32 vcc_lo, 0xff, v1
	s_delay_alu instid0(VALU_DEP_2) | instskip(SKIP_1) | instid1(VALU_DEP_2)
	v_cndmask_b32_e32 v3, 0x7f800001, v3, vcc_lo
	v_cmp_ne_u32_e32 vcc_lo, 0, v1
	v_cndmask_b32_e32 v14, 0x400000, v3, vcc_lo
	s_branch .LBB143_1349
.LBB143_1348:
	s_mov_b32 s0, -1
                                        ; implicit-def: $vgpr14
.LBB143_1349:
	v_mov_b32_e32 v15, 0
.LBB143_1350:
	s_mov_b32 s17, 0
.LBB143_1351:
	s_delay_alu instid0(SALU_CYCLE_1)
	s_and_b32 vcc_lo, exec_lo, s17
	s_cbranch_vccz .LBB143_1356
; %bb.1352:
	s_cmp_eq_u32 s16, 29
	s_cbranch_scc0 .LBB143_1354
; %bb.1353:
	global_load_b64 v[14:15], v[12:13], off
	s_mov_b32 s0, 0
	s_mov_b32 s14, -1
	s_wait_loadcnt 0x0
	v_clz_i32_u32_e32 v1, v15
	s_delay_alu instid0(VALU_DEP_1) | instskip(NEXT) | instid1(VALU_DEP_1)
	v_min_u32_e32 v1, 32, v1
	v_lshlrev_b64_e32 v[14:15], v1, v[14:15]
	v_sub_nc_u32_e32 v1, 32, v1
	s_delay_alu instid0(VALU_DEP_2) | instskip(NEXT) | instid1(VALU_DEP_1)
	v_min_u32_e32 v3, 1, v14
	v_or_b32_e32 v3, v15, v3
	s_delay_alu instid0(VALU_DEP_1) | instskip(NEXT) | instid1(VALU_DEP_1)
	v_cvt_f32_u32_e32 v3, v3
	v_ldexp_f32 v14, v3, v1
	s_branch .LBB143_1355
.LBB143_1354:
	s_mov_b32 s0, -1
                                        ; implicit-def: $vgpr14
.LBB143_1355:
	v_mov_b32_e32 v15, 0
.LBB143_1356:
	s_mov_b32 s17, 0
.LBB143_1357:
	s_delay_alu instid0(SALU_CYCLE_1)
	s_and_b32 vcc_lo, exec_lo, s17
	s_cbranch_vccz .LBB143_1375
; %bb.1358:
	s_cmp_lt_i32 s16, 27
	s_cbranch_scc1 .LBB143_1361
; %bb.1359:
	s_cmp_gt_i32 s16, 27
	s_cbranch_scc0 .LBB143_1362
; %bb.1360:
	global_load_b32 v1, v[12:13], off
	s_mov_b32 s14, 0
	s_wait_loadcnt 0x0
	v_cvt_f32_u32_e32 v14, v1
	s_branch .LBB143_1363
.LBB143_1361:
	s_mov_b32 s14, -1
                                        ; implicit-def: $vgpr14
	s_branch .LBB143_1366
.LBB143_1362:
	s_mov_b32 s14, -1
                                        ; implicit-def: $vgpr14
.LBB143_1363:
	s_delay_alu instid0(SALU_CYCLE_1)
	s_and_not1_b32 vcc_lo, exec_lo, s14
	s_cbranch_vccnz .LBB143_1365
; %bb.1364:
	global_load_u16 v1, v[12:13], off
	s_wait_loadcnt 0x0
	v_cvt_f32_u32_e32 v14, v1
.LBB143_1365:
	s_mov_b32 s14, 0
.LBB143_1366:
	s_delay_alu instid0(SALU_CYCLE_1)
	s_and_not1_b32 vcc_lo, exec_lo, s14
	s_cbranch_vccnz .LBB143_1374
; %bb.1367:
	global_load_u8 v1, v[12:13], off
	s_mov_b32 s14, 0
	s_mov_b32 s17, exec_lo
	s_wait_loadcnt 0x0
	v_cmpx_lt_i16_e32 0x7f, v1
	s_xor_b32 s17, exec_lo, s17
	s_cbranch_execz .LBB143_1387
; %bb.1368:
	s_mov_b32 s14, -1
	s_mov_b32 s18, exec_lo
	v_cmpx_eq_u16_e32 0x80, v1
; %bb.1369:
	s_xor_b32 s14, exec_lo, -1
; %bb.1370:
	s_or_b32 exec_lo, exec_lo, s18
	s_delay_alu instid0(SALU_CYCLE_1)
	s_and_b32 s14, s14, exec_lo
	s_or_saveexec_b32 s17, s17
	v_mov_b32_e32 v14, 0x7f800001
	s_xor_b32 exec_lo, exec_lo, s17
	s_cbranch_execnz .LBB143_1388
.LBB143_1371:
	s_or_b32 exec_lo, exec_lo, s17
	s_and_saveexec_b32 s17, s14
	s_cbranch_execz .LBB143_1373
.LBB143_1372:
	v_and_b32_e32 v3, 0xffff, v1
	s_delay_alu instid0(VALU_DEP_1) | instskip(SKIP_1) | instid1(VALU_DEP_2)
	v_dual_lshlrev_b32 v1, 24, v1 :: v_dual_bitop2_b32 v5, 7, v3 bitop3:0x40
	v_bfe_u32 v11, v3, 3, 4
	v_and_b32_e32 v1, 0x80000000, v1
	s_delay_alu instid0(VALU_DEP_3) | instskip(NEXT) | instid1(VALU_DEP_3)
	v_clz_i32_u32_e32 v7, v5
	v_cmp_eq_u32_e32 vcc_lo, 0, v11
	s_delay_alu instid0(VALU_DEP_2) | instskip(NEXT) | instid1(VALU_DEP_1)
	v_min_u32_e32 v7, 32, v7
	v_subrev_nc_u32_e32 v9, 28, v7
	v_sub_nc_u32_e32 v7, 29, v7
	s_delay_alu instid0(VALU_DEP_2) | instskip(NEXT) | instid1(VALU_DEP_2)
	v_lshlrev_b32_e32 v3, v9, v3
	v_cndmask_b32_e32 v7, v11, v7, vcc_lo
	s_delay_alu instid0(VALU_DEP_2) | instskip(NEXT) | instid1(VALU_DEP_1)
	v_and_b32_e32 v3, 7, v3
	v_cndmask_b32_e32 v3, v5, v3, vcc_lo
	s_delay_alu instid0(VALU_DEP_3) | instskip(NEXT) | instid1(VALU_DEP_2)
	v_lshl_add_u32 v5, v7, 23, 0x3b800000
	v_lshlrev_b32_e32 v3, 20, v3
	s_delay_alu instid0(VALU_DEP_1)
	v_or3_b32 v14, v1, v5, v3
.LBB143_1373:
	s_or_b32 exec_lo, exec_lo, s17
.LBB143_1374:
	v_mov_b32_e32 v15, 0
	s_mov_b32 s14, -1
.LBB143_1375:
	s_branch .LBB143_1409
.LBB143_1376:
	s_cmp_gt_i32 s16, 22
	s_cbranch_scc0 .LBB143_1386
; %bb.1377:
	s_cmp_lt_i32 s16, 24
	s_cbranch_scc1 .LBB143_1389
; %bb.1378:
	s_cmp_gt_i32 s16, 24
	s_cbranch_scc0 .LBB143_1390
; %bb.1379:
	global_load_u8 v1, v[12:13], off
	s_mov_b32 s14, exec_lo
	s_wait_loadcnt 0x0
	v_cmpx_lt_i16_e32 0x7f, v1
	s_xor_b32 s14, exec_lo, s14
	s_cbranch_execz .LBB143_1402
; %bb.1380:
	s_mov_b32 s13, -1
	s_mov_b32 s17, exec_lo
	v_cmpx_eq_u16_e32 0x80, v1
; %bb.1381:
	s_xor_b32 s13, exec_lo, -1
; %bb.1382:
	s_or_b32 exec_lo, exec_lo, s17
	s_delay_alu instid0(SALU_CYCLE_1)
	s_and_b32 s13, s13, exec_lo
	s_or_saveexec_b32 s14, s14
	v_mov_b32_e32 v14, 0x7f800001
	s_xor_b32 exec_lo, exec_lo, s14
	s_cbranch_execnz .LBB143_1403
.LBB143_1383:
	s_or_b32 exec_lo, exec_lo, s14
	s_and_saveexec_b32 s14, s13
	s_cbranch_execz .LBB143_1385
.LBB143_1384:
	v_and_b32_e32 v3, 0xffff, v1
	s_delay_alu instid0(VALU_DEP_1) | instskip(SKIP_1) | instid1(VALU_DEP_2)
	v_dual_lshlrev_b32 v1, 24, v1 :: v_dual_bitop2_b32 v5, 3, v3 bitop3:0x40
	v_bfe_u32 v11, v3, 2, 5
	v_and_b32_e32 v1, 0x80000000, v1
	s_delay_alu instid0(VALU_DEP_3) | instskip(NEXT) | instid1(VALU_DEP_3)
	v_clz_i32_u32_e32 v7, v5
	v_cmp_eq_u32_e32 vcc_lo, 0, v11
	s_delay_alu instid0(VALU_DEP_2) | instskip(NEXT) | instid1(VALU_DEP_1)
	v_min_u32_e32 v7, 32, v7
	v_subrev_nc_u32_e32 v9, 29, v7
	v_sub_nc_u32_e32 v7, 30, v7
	s_delay_alu instid0(VALU_DEP_2) | instskip(NEXT) | instid1(VALU_DEP_2)
	v_lshlrev_b32_e32 v3, v9, v3
	v_cndmask_b32_e32 v7, v11, v7, vcc_lo
	s_delay_alu instid0(VALU_DEP_2) | instskip(NEXT) | instid1(VALU_DEP_1)
	v_and_b32_e32 v3, 3, v3
	v_cndmask_b32_e32 v3, v5, v3, vcc_lo
	s_delay_alu instid0(VALU_DEP_3) | instskip(NEXT) | instid1(VALU_DEP_2)
	v_lshl_add_u32 v5, v7, 23, 0x37800000
	v_lshlrev_b32_e32 v3, 21, v3
	s_delay_alu instid0(VALU_DEP_1)
	v_or3_b32 v14, v1, v5, v3
.LBB143_1385:
	s_or_b32 exec_lo, exec_lo, s14
	s_mov_b32 s13, 0
	s_branch .LBB143_1391
.LBB143_1386:
	s_mov_b32 s13, -1
                                        ; implicit-def: $vgpr14
	s_branch .LBB143_1397
.LBB143_1387:
	s_or_saveexec_b32 s17, s17
	v_mov_b32_e32 v14, 0x7f800001
	s_xor_b32 exec_lo, exec_lo, s17
	s_cbranch_execz .LBB143_1371
.LBB143_1388:
	v_cmp_ne_u16_e32 vcc_lo, 0, v1
	v_mov_b32_e32 v14, 0
	s_and_not1_b32 s14, s14, exec_lo
	s_and_b32 s18, vcc_lo, exec_lo
	s_delay_alu instid0(SALU_CYCLE_1)
	s_or_b32 s14, s14, s18
	s_or_b32 exec_lo, exec_lo, s17
	s_and_saveexec_b32 s17, s14
	s_cbranch_execnz .LBB143_1372
	s_branch .LBB143_1373
.LBB143_1389:
	s_mov_b32 s13, -1
                                        ; implicit-def: $vgpr14
	s_branch .LBB143_1394
.LBB143_1390:
	s_mov_b32 s13, -1
                                        ; implicit-def: $vgpr14
.LBB143_1391:
	s_delay_alu instid0(SALU_CYCLE_1)
	s_and_b32 vcc_lo, exec_lo, s13
	s_cbranch_vccz .LBB143_1393
; %bb.1392:
	global_load_u8 v1, v[12:13], off
	s_wait_loadcnt 0x0
	v_lshlrev_b32_e32 v1, 24, v1
	s_delay_alu instid0(VALU_DEP_1) | instskip(NEXT) | instid1(VALU_DEP_1)
	v_and_b32_e32 v3, 0x7f000000, v1
	v_clz_i32_u32_e32 v5, v3
	v_add_nc_u32_e32 v9, 0x1000000, v3
	v_cmp_ne_u32_e32 vcc_lo, 0, v3
	s_delay_alu instid0(VALU_DEP_3) | instskip(NEXT) | instid1(VALU_DEP_1)
	v_min_u32_e32 v5, 32, v5
	v_sub_nc_u32_e64 v5, v5, 4 clamp
	s_delay_alu instid0(VALU_DEP_1) | instskip(NEXT) | instid1(VALU_DEP_1)
	v_dual_lshlrev_b32 v7, v5, v3 :: v_dual_lshlrev_b32 v5, 23, v5
	v_lshrrev_b32_e32 v7, 4, v7
	s_delay_alu instid0(VALU_DEP_1) | instskip(SKIP_1) | instid1(VALU_DEP_2)
	v_sub_nc_u32_e32 v5, v7, v5
	v_ashrrev_i32_e32 v7, 8, v9
	v_add_nc_u32_e32 v5, 0x3c000000, v5
	s_delay_alu instid0(VALU_DEP_1) | instskip(NEXT) | instid1(VALU_DEP_1)
	v_and_or_b32 v5, 0x7f800000, v7, v5
	v_cndmask_b32_e32 v3, 0, v5, vcc_lo
	s_delay_alu instid0(VALU_DEP_1)
	v_and_or_b32 v14, 0x80000000, v1, v3
.LBB143_1393:
	s_mov_b32 s13, 0
.LBB143_1394:
	s_delay_alu instid0(SALU_CYCLE_1)
	s_and_not1_b32 vcc_lo, exec_lo, s13
	s_cbranch_vccnz .LBB143_1396
; %bb.1395:
	global_load_u8 v1, v[12:13], off
	s_wait_loadcnt 0x0
	v_lshlrev_b32_e32 v3, 25, v1
	v_lshlrev_b16 v1, 8, v1
	s_delay_alu instid0(VALU_DEP_1) | instskip(SKIP_1) | instid1(VALU_DEP_2)
	v_and_or_b32 v7, 0x7f00, v1, 0.5
	v_bfe_i32 v1, v1, 0, 16
	v_add_f32_e32 v7, -0.5, v7
	v_lshrrev_b32_e32 v5, 4, v3
	v_cmp_gt_u32_e32 vcc_lo, 0x8000000, v3
	s_delay_alu instid0(VALU_DEP_2) | instskip(NEXT) | instid1(VALU_DEP_1)
	v_or_b32_e32 v5, 0x70000000, v5
	v_mul_f32_e32 v5, 0x7800000, v5
	s_delay_alu instid0(VALU_DEP_1) | instskip(NEXT) | instid1(VALU_DEP_1)
	v_cndmask_b32_e32 v3, v5, v7, vcc_lo
	v_and_or_b32 v14, 0x80000000, v1, v3
.LBB143_1396:
	s_mov_b32 s13, 0
	s_mov_b32 s14, -1
.LBB143_1397:
	s_and_not1_b32 vcc_lo, exec_lo, s13
	s_mov_b32 s13, 0
	s_cbranch_vccnz .LBB143_1408
; %bb.1398:
	s_cmp_gt_i32 s16, 14
	s_cbranch_scc0 .LBB143_1401
; %bb.1399:
	s_cmp_eq_u32 s16, 15
	s_cbranch_scc0 .LBB143_1404
; %bb.1400:
	global_load_u16 v1, v[12:13], off
	s_mov_b32 s0, 0
	s_mov_b32 s14, -1
	s_wait_loadcnt 0x0
	v_lshlrev_b32_e32 v14, 16, v1
	s_branch .LBB143_1406
.LBB143_1401:
	s_mov_b32 s13, -1
	s_branch .LBB143_1405
.LBB143_1402:
	s_or_saveexec_b32 s14, s14
	v_mov_b32_e32 v14, 0x7f800001
	s_xor_b32 exec_lo, exec_lo, s14
	s_cbranch_execz .LBB143_1383
.LBB143_1403:
	v_cmp_ne_u16_e32 vcc_lo, 0, v1
	v_mov_b32_e32 v14, 0
	s_and_not1_b32 s13, s13, exec_lo
	s_and_b32 s17, vcc_lo, exec_lo
	s_delay_alu instid0(SALU_CYCLE_1)
	s_or_b32 s13, s13, s17
	s_or_b32 exec_lo, exec_lo, s14
	s_and_saveexec_b32 s14, s13
	s_cbranch_execnz .LBB143_1384
	s_branch .LBB143_1385
.LBB143_1404:
	s_mov_b32 s0, -1
.LBB143_1405:
                                        ; implicit-def: $vgpr14
.LBB143_1406:
	s_and_b32 vcc_lo, exec_lo, s13
	s_mov_b32 s13, 0
	s_cbranch_vccz .LBB143_1408
; %bb.1407:
	s_cmp_lg_u32 s16, 11
	s_mov_b32 s13, -1
	s_cselect_b32 s0, -1, 0
.LBB143_1408:
	v_mov_b32_e32 v15, 0
.LBB143_1409:
	s_and_b32 vcc_lo, exec_lo, s0
	s_cbranch_vccnz .LBB143_1490
; %bb.1410:
	s_and_not1_b32 vcc_lo, exec_lo, s13
	s_cbranch_vccnz .LBB143_1412
.LBB143_1411:
	global_load_u8 v1, v[12:13], off
	v_mov_b32_e32 v15, 0
	s_mov_b32 s14, -1
	s_wait_loadcnt 0x0
	v_cmp_ne_u16_e32 vcc_lo, 0, v1
	v_cndmask_b32_e64 v14, 0, 1.0, vcc_lo
.LBB143_1412:
	s_branch .LBB143_1334
.LBB143_1413:
	s_cmp_lt_i32 s16, 5
	s_cbranch_scc1 .LBB143_1418
; %bb.1414:
	s_cmp_lt_i32 s16, 8
	s_cbranch_scc1 .LBB143_1420
; %bb.1415:
	;; [unrolled: 3-line block ×3, first 2 shown]
	s_cmp_gt_i32 s16, 9
	s_cbranch_scc0 .LBB143_1422
; %bb.1417:
	s_wait_loadcnt 0x0
	global_load_b128 v[14:17], v[12:13], off
	s_mov_b32 s0, 0
	s_wait_loadcnt 0x0
	v_cvt_f32_f64_e32 v14, v[14:15]
	v_cvt_f32_f64_e32 v15, v[16:17]
	s_branch .LBB143_1423
.LBB143_1418:
                                        ; implicit-def: $vgpr15
	s_branch .LBB143_1442
.LBB143_1419:
	s_branch .LBB143_1462
.LBB143_1420:
	s_mov_b32 s0, -1
                                        ; implicit-def: $vgpr15
	s_branch .LBB143_1429
.LBB143_1421:
	s_mov_b32 s0, -1
                                        ; implicit-def: $vgpr15
	s_branch .LBB143_1426
.LBB143_1422:
	s_mov_b32 s0, -1
                                        ; implicit-def: $vgpr15
.LBB143_1423:
	s_delay_alu instid0(SALU_CYCLE_1)
	s_and_not1_b32 vcc_lo, exec_lo, s0
	s_cbranch_vccnz .LBB143_1425
; %bb.1424:
	global_load_b64 v[14:15], v[12:13], off
.LBB143_1425:
	s_mov_b32 s0, 0
.LBB143_1426:
	s_delay_alu instid0(SALU_CYCLE_1)
	s_and_not1_b32 vcc_lo, exec_lo, s0
	s_cbranch_vccnz .LBB143_1428
; %bb.1427:
	global_load_b32 v1, v[12:13], off
	s_wait_loadcnt 0x0
	v_lshrrev_b32_e32 v3, 16, v1
	v_cvt_f32_f16_e32 v14, v1
	s_delay_alu instid0(VALU_DEP_2)
	v_cvt_f32_f16_e32 v15, v3
.LBB143_1428:
	s_mov_b32 s0, 0
.LBB143_1429:
	s_delay_alu instid0(SALU_CYCLE_1)
	s_and_not1_b32 vcc_lo, exec_lo, s0
	s_cbranch_vccnz .LBB143_1441
; %bb.1430:
	s_cmp_lt_i32 s16, 6
	s_cbranch_scc1 .LBB143_1433
; %bb.1431:
	s_cmp_gt_i32 s16, 6
	s_cbranch_scc0 .LBB143_1434
; %bb.1432:
	s_wait_loadcnt 0x0
	global_load_b64 v[14:15], v[12:13], off
	s_mov_b32 s0, 0
	s_wait_loadcnt 0x0
	v_cvt_f32_f64_e32 v14, v[14:15]
	s_branch .LBB143_1435
.LBB143_1433:
	s_mov_b32 s0, -1
                                        ; implicit-def: $vgpr14
	s_branch .LBB143_1438
.LBB143_1434:
	s_mov_b32 s0, -1
                                        ; implicit-def: $vgpr14
.LBB143_1435:
	s_delay_alu instid0(SALU_CYCLE_1)
	s_and_not1_b32 vcc_lo, exec_lo, s0
	s_cbranch_vccnz .LBB143_1437
; %bb.1436:
	s_wait_loadcnt 0x0
	global_load_b32 v14, v[12:13], off
.LBB143_1437:
	s_mov_b32 s0, 0
.LBB143_1438:
	s_delay_alu instid0(SALU_CYCLE_1)
	s_and_not1_b32 vcc_lo, exec_lo, s0
	s_cbranch_vccnz .LBB143_1440
; %bb.1439:
	global_load_u16 v1, v[12:13], off
	s_wait_loadcnt 0x0
	v_cvt_f32_f16_e32 v14, v1
.LBB143_1440:
	s_wait_loadcnt 0x0
	v_mov_b32_e32 v15, 0
.LBB143_1441:
	s_cbranch_execnz .LBB143_1419
.LBB143_1442:
	s_cmp_lt_i32 s16, 2
	s_cbranch_scc1 .LBB143_1446
; %bb.1443:
	s_cmp_lt_i32 s16, 3
	s_cbranch_scc1 .LBB143_1447
; %bb.1444:
	s_cmp_gt_i32 s16, 3
	s_cbranch_scc0 .LBB143_1448
; %bb.1445:
	s_wait_loadcnt 0x0
	global_load_b64 v[14:15], v[12:13], off
	s_mov_b32 s0, 0
	s_wait_loadcnt 0x0
	v_xor_b32_e32 v1, v14, v15
	v_cls_i32_e32 v3, v15
	s_delay_alu instid0(VALU_DEP_2) | instskip(NEXT) | instid1(VALU_DEP_1)
	v_ashrrev_i32_e32 v1, 31, v1
	v_add_nc_u32_e32 v1, 32, v1
	s_delay_alu instid0(VALU_DEP_1) | instskip(NEXT) | instid1(VALU_DEP_1)
	v_add_min_u32_e64 v1, v3, -1, v1
	v_lshlrev_b64_e32 v[14:15], v1, v[14:15]
	v_sub_nc_u32_e32 v1, 32, v1
	s_delay_alu instid0(VALU_DEP_2) | instskip(NEXT) | instid1(VALU_DEP_1)
	v_min_u32_e32 v3, 1, v14
	v_or_b32_e32 v3, v15, v3
	s_delay_alu instid0(VALU_DEP_1) | instskip(NEXT) | instid1(VALU_DEP_1)
	v_cvt_f32_i32_e32 v3, v3
	v_ldexp_f32 v14, v3, v1
	s_branch .LBB143_1449
.LBB143_1446:
	s_mov_b32 s0, -1
                                        ; implicit-def: $vgpr14
	s_branch .LBB143_1455
.LBB143_1447:
	s_mov_b32 s0, -1
                                        ; implicit-def: $vgpr14
	s_branch .LBB143_1452
.LBB143_1448:
	s_mov_b32 s0, -1
                                        ; implicit-def: $vgpr14
.LBB143_1449:
	s_delay_alu instid0(SALU_CYCLE_1)
	s_and_not1_b32 vcc_lo, exec_lo, s0
	s_cbranch_vccnz .LBB143_1451
; %bb.1450:
	global_load_b32 v1, v[12:13], off
	s_wait_loadcnt 0x0
	v_cvt_f32_i32_e32 v14, v1
.LBB143_1451:
	s_mov_b32 s0, 0
.LBB143_1452:
	s_delay_alu instid0(SALU_CYCLE_1)
	s_and_not1_b32 vcc_lo, exec_lo, s0
	s_cbranch_vccnz .LBB143_1454
; %bb.1453:
	global_load_i16 v1, v[12:13], off
	s_wait_loadcnt 0x0
	v_cvt_f32_i32_e32 v14, v1
.LBB143_1454:
	s_mov_b32 s0, 0
.LBB143_1455:
	s_delay_alu instid0(SALU_CYCLE_1)
	s_and_not1_b32 vcc_lo, exec_lo, s0
	s_cbranch_vccnz .LBB143_1461
; %bb.1456:
	s_cmp_gt_i32 s16, 0
	s_mov_b32 s0, 0
	s_cbranch_scc0 .LBB143_1458
; %bb.1457:
	global_load_i8 v1, v[12:13], off
	s_wait_loadcnt 0x0
	v_cvt_f32_i32_e32 v14, v1
	s_branch .LBB143_1459
.LBB143_1458:
	s_mov_b32 s0, -1
                                        ; implicit-def: $vgpr14
.LBB143_1459:
	s_delay_alu instid0(SALU_CYCLE_1)
	s_and_not1_b32 vcc_lo, exec_lo, s0
	s_cbranch_vccnz .LBB143_1461
; %bb.1460:
	global_load_u8 v1, v[12:13], off
	s_wait_loadcnt 0x0
	v_cvt_f32_ubyte0_e32 v14, v1
.LBB143_1461:
	s_wait_loadcnt 0x0
	v_mov_b32_e32 v15, 0
.LBB143_1462:
	s_and_b32 vcc_lo, exec_lo, s15
	s_cbranch_vccz .LBB143_1474
; %bb.1463:
	s_wait_loadcnt 0x0
	s_delay_alu instid0(VALU_DEP_2) | instskip(NEXT) | instid1(VALU_DEP_2)
	v_cmp_neq_f32_e32 vcc_lo, s8, v14
	v_cmp_neq_f32_e64 s0, s9, v15
	s_or_b32 s13, vcc_lo, s0
	s_cbranch_execnz .LBB143_1465
.LBB143_1464:
	s_wait_loadcnt 0x0
	s_delay_alu instid0(VALU_DEP_1) | instskip(NEXT) | instid1(VALU_DEP_3)
	v_cmp_eq_f32_e32 vcc_lo, s9, v15
	v_cmp_eq_f32_e64 s0, s8, v14
	s_and_not1_b32 s13, s13, exec_lo
	s_and_b32 s0, s0, vcc_lo
	s_delay_alu instid0(SALU_CYCLE_1) | instskip(NEXT) | instid1(SALU_CYCLE_1)
	s_and_b32 s0, s0, exec_lo
	s_or_b32 s13, s13, s0
.LBB143_1465:
	v_mov_b32_e32 v11, 0
	s_cmp_lt_i32 s16, 11
	s_delay_alu instid0(VALU_DEP_1)
	v_add_nc_u64_e32 v[10:11], s[6:7], v[10:11]
	s_cbranch_scc1 .LBB143_1472
; %bb.1466:
	s_cmp_gt_i32 s16, 25
	s_mov_b32 s14, 0
	s_cbranch_scc0 .LBB143_1475
; %bb.1467:
	s_cmp_gt_i32 s16, 28
	s_cbranch_scc0 .LBB143_1486
; %bb.1468:
	s_cmp_gt_i32 s16, 43
	s_cbranch_scc0 .LBB143_1488
; %bb.1469:
	s_cmp_gt_i32 s16, 45
	s_cbranch_scc0 .LBB143_1491
; %bb.1470:
	s_cmp_eq_u32 s16, 46
	s_mov_b32 s18, 0
	s_cbranch_scc0 .LBB143_1549
; %bb.1471:
	global_load_b32 v1, v[10:11], off
	s_mov_b32 s0, 0
	s_mov_b32 s17, -1
	s_wait_loadcnt 0x0
	s_wait_xcnt 0x1
	v_and_b32_e32 v13, 0xffff0000, v1
	v_lshlrev_b32_e32 v12, 16, v1
	s_branch .LBB143_1551
.LBB143_1472:
	s_mov_b32 s17, 0
                                        ; implicit-def: $vgpr13
	s_cbranch_execnz .LBB143_1480
.LBB143_1473:
	s_and_not1_b32 vcc_lo, exec_lo, s17
	s_cbranch_vccnz .LBB143_1743
	s_branch .LBB143_1534
.LBB143_1474:
                                        ; implicit-def: $sgpr13
	s_branch .LBB143_1464
.LBB143_1475:
	s_mov_b32 s17, 0
	s_mov_b32 s0, 0
                                        ; implicit-def: $vgpr13
	s_cbranch_execnz .LBB143_1583
.LBB143_1476:
	s_and_b32 vcc_lo, exec_lo, s0
	s_cbranch_vccnz .LBB143_1616
.LBB143_1477:
	s_and_not1_b32 vcc_lo, exec_lo, s14
	s_cbranch_vccnz .LBB143_1479
.LBB143_1478:
	global_load_u8 v1, v[10:11], off
	s_wait_xcnt 0x1
	v_mov_b32_e32 v13, 0
	s_mov_b32 s17, -1
	s_wait_loadcnt 0x0
	v_cmp_ne_u16_e32 vcc_lo, 0, v1
	v_cndmask_b32_e64 v12, 0, 1.0, vcc_lo
.LBB143_1479:
	s_branch .LBB143_1473
.LBB143_1480:
	s_cmp_lt_i32 s16, 5
	s_cbranch_scc1 .LBB143_1485
; %bb.1481:
	s_cmp_lt_i32 s16, 8
	s_cbranch_scc1 .LBB143_1487
; %bb.1482:
	;; [unrolled: 3-line block ×3, first 2 shown]
	s_cmp_gt_i32 s16, 9
	s_cbranch_scc0 .LBB143_1492
; %bb.1484:
	s_wait_loadcnt 0x0
	global_load_b128 v[12:15], v[10:11], off
	s_mov_b32 s0, 0
	s_wait_loadcnt 0x0
	v_cvt_f32_f64_e32 v12, v[12:13]
	v_cvt_f32_f64_e32 v13, v[14:15]
	s_branch .LBB143_1493
.LBB143_1485:
	s_mov_b32 s0, -1
                                        ; implicit-def: $vgpr13
	s_branch .LBB143_1512
.LBB143_1486:
	s_mov_b32 s18, -1
	s_mov_b32 s17, 0
	s_mov_b32 s0, 0
                                        ; implicit-def: $vgpr13
	s_branch .LBB143_1564
.LBB143_1487:
	s_mov_b32 s0, -1
                                        ; implicit-def: $vgpr13
	s_branch .LBB143_1499
.LBB143_1488:
	s_mov_b32 s18, -1
	s_mov_b32 s17, 0
	s_mov_b32 s0, 0
                                        ; implicit-def: $vgpr13
	s_branch .LBB143_1558
.LBB143_1489:
	s_mov_b32 s0, -1
                                        ; implicit-def: $vgpr13
	s_branch .LBB143_1496
.LBB143_1490:
	s_or_b32 s1, s1, exec_lo
	s_trap 2
	s_cbranch_execz .LBB143_1411
	s_branch .LBB143_1412
.LBB143_1491:
	s_mov_b32 s18, -1
	s_mov_b32 s17, 0
	s_mov_b32 s0, 0
	s_branch .LBB143_1550
.LBB143_1492:
	s_mov_b32 s0, -1
                                        ; implicit-def: $vgpr13
.LBB143_1493:
	s_delay_alu instid0(SALU_CYCLE_1)
	s_and_not1_b32 vcc_lo, exec_lo, s0
	s_cbranch_vccnz .LBB143_1495
; %bb.1494:
	global_load_b64 v[12:13], v[10:11], off
.LBB143_1495:
	s_mov_b32 s0, 0
.LBB143_1496:
	s_delay_alu instid0(SALU_CYCLE_1)
	s_and_not1_b32 vcc_lo, exec_lo, s0
	s_cbranch_vccnz .LBB143_1498
; %bb.1497:
	global_load_b32 v1, v[10:11], off
	s_wait_loadcnt 0x0
	v_lshrrev_b32_e32 v3, 16, v1
	s_wait_xcnt 0x1
	v_cvt_f32_f16_e32 v12, v1
	s_delay_alu instid0(VALU_DEP_2)
	v_cvt_f32_f16_e32 v13, v3
.LBB143_1498:
	s_mov_b32 s0, 0
.LBB143_1499:
	s_delay_alu instid0(SALU_CYCLE_1)
	s_and_not1_b32 vcc_lo, exec_lo, s0
	s_cbranch_vccnz .LBB143_1511
; %bb.1500:
	s_cmp_lt_i32 s16, 6
	s_cbranch_scc1 .LBB143_1503
; %bb.1501:
	s_cmp_gt_i32 s16, 6
	s_cbranch_scc0 .LBB143_1504
; %bb.1502:
	s_wait_loadcnt 0x0
	global_load_b64 v[12:13], v[10:11], off
	s_mov_b32 s0, 0
	s_wait_loadcnt 0x0
	v_cvt_f32_f64_e32 v12, v[12:13]
	s_branch .LBB143_1505
.LBB143_1503:
	s_mov_b32 s0, -1
                                        ; implicit-def: $vgpr12
	s_branch .LBB143_1508
.LBB143_1504:
	s_mov_b32 s0, -1
                                        ; implicit-def: $vgpr12
.LBB143_1505:
	s_delay_alu instid0(SALU_CYCLE_1)
	s_and_not1_b32 vcc_lo, exec_lo, s0
	s_cbranch_vccnz .LBB143_1507
; %bb.1506:
	s_wait_loadcnt 0x0
	global_load_b32 v12, v[10:11], off
.LBB143_1507:
	s_mov_b32 s0, 0
.LBB143_1508:
	s_delay_alu instid0(SALU_CYCLE_1)
	s_and_not1_b32 vcc_lo, exec_lo, s0
	s_cbranch_vccnz .LBB143_1510
; %bb.1509:
	global_load_u16 v1, v[10:11], off
	s_wait_loadcnt 0x0
	s_wait_xcnt 0x1
	v_cvt_f32_f16_e32 v12, v1
.LBB143_1510:
	s_wait_loadcnt 0x0
	v_mov_b32_e32 v13, 0
.LBB143_1511:
	s_mov_b32 s0, 0
.LBB143_1512:
	s_delay_alu instid0(SALU_CYCLE_1)
	s_and_not1_b32 vcc_lo, exec_lo, s0
	s_cbranch_vccnz .LBB143_1533
; %bb.1513:
	s_cmp_lt_i32 s16, 2
	s_cbranch_scc1 .LBB143_1517
; %bb.1514:
	s_cmp_lt_i32 s16, 3
	s_cbranch_scc1 .LBB143_1518
; %bb.1515:
	s_cmp_gt_i32 s16, 3
	s_cbranch_scc0 .LBB143_1519
; %bb.1516:
	s_wait_loadcnt 0x0
	global_load_b64 v[12:13], v[10:11], off
	s_mov_b32 s0, 0
	s_wait_loadcnt 0x0
	v_xor_b32_e32 v1, v12, v13
	v_cls_i32_e32 v3, v13
	s_delay_alu instid0(VALU_DEP_2) | instskip(NEXT) | instid1(VALU_DEP_1)
	v_ashrrev_i32_e32 v1, 31, v1
	v_add_nc_u32_e32 v1, 32, v1
	s_delay_alu instid0(VALU_DEP_1) | instskip(NEXT) | instid1(VALU_DEP_1)
	v_add_min_u32_e64 v1, v3, -1, v1
	v_lshlrev_b64_e32 v[12:13], v1, v[12:13]
	v_sub_nc_u32_e32 v1, 32, v1
	s_delay_alu instid0(VALU_DEP_2) | instskip(NEXT) | instid1(VALU_DEP_1)
	v_min_u32_e32 v3, 1, v12
	v_or_b32_e32 v3, v13, v3
	s_delay_alu instid0(VALU_DEP_1) | instskip(NEXT) | instid1(VALU_DEP_1)
	v_cvt_f32_i32_e32 v3, v3
	v_ldexp_f32 v12, v3, v1
	s_branch .LBB143_1520
.LBB143_1517:
	s_mov_b32 s0, -1
                                        ; implicit-def: $vgpr12
	s_branch .LBB143_1526
.LBB143_1518:
	s_mov_b32 s0, -1
                                        ; implicit-def: $vgpr12
	s_branch .LBB143_1523
.LBB143_1519:
	s_mov_b32 s0, -1
                                        ; implicit-def: $vgpr12
.LBB143_1520:
	s_delay_alu instid0(SALU_CYCLE_1)
	s_and_not1_b32 vcc_lo, exec_lo, s0
	s_cbranch_vccnz .LBB143_1522
; %bb.1521:
	global_load_b32 v1, v[10:11], off
	s_wait_loadcnt 0x0
	s_wait_xcnt 0x1
	v_cvt_f32_i32_e32 v12, v1
.LBB143_1522:
	s_mov_b32 s0, 0
.LBB143_1523:
	s_delay_alu instid0(SALU_CYCLE_1)
	s_and_not1_b32 vcc_lo, exec_lo, s0
	s_cbranch_vccnz .LBB143_1525
; %bb.1524:
	global_load_i16 v1, v[10:11], off
	s_wait_loadcnt 0x0
	s_wait_xcnt 0x1
	v_cvt_f32_i32_e32 v12, v1
.LBB143_1525:
	s_mov_b32 s0, 0
.LBB143_1526:
	s_delay_alu instid0(SALU_CYCLE_1)
	s_and_not1_b32 vcc_lo, exec_lo, s0
	s_cbranch_vccnz .LBB143_1532
; %bb.1527:
	s_cmp_gt_i32 s16, 0
	s_mov_b32 s0, 0
	s_cbranch_scc0 .LBB143_1529
; %bb.1528:
	global_load_i8 v1, v[10:11], off
	s_wait_loadcnt 0x0
	s_wait_xcnt 0x1
	v_cvt_f32_i32_e32 v12, v1
	s_branch .LBB143_1530
.LBB143_1529:
	s_mov_b32 s0, -1
                                        ; implicit-def: $vgpr12
.LBB143_1530:
	s_delay_alu instid0(SALU_CYCLE_1)
	s_and_not1_b32 vcc_lo, exec_lo, s0
	s_cbranch_vccnz .LBB143_1532
; %bb.1531:
	global_load_u8 v1, v[10:11], off
	s_wait_loadcnt 0x0
	s_wait_xcnt 0x1
	v_cvt_f32_ubyte0_e32 v12, v1
.LBB143_1532:
	s_wait_loadcnt 0x0
	v_mov_b32_e32 v13, 0
.LBB143_1533:
.LBB143_1534:
	s_and_b32 vcc_lo, exec_lo, s15
	s_cbranch_vccz .LBB143_1545
; %bb.1535:
	s_wait_loadcnt 0x0
	s_delay_alu instid0(VALU_DEP_2) | instskip(NEXT) | instid1(VALU_DEP_2)
	v_cmp_neq_f32_e32 vcc_lo, s8, v12
	v_cmp_neq_f32_e64 s0, s9, v13
	s_or_b32 s14, vcc_lo, s0
	s_cbranch_execnz .LBB143_1537
.LBB143_1536:
	s_wait_loadcnt 0x0
	s_delay_alu instid0(VALU_DEP_1) | instskip(NEXT) | instid1(VALU_DEP_3)
	v_cmp_eq_f32_e32 vcc_lo, s9, v13
	v_cmp_eq_f32_e64 s0, s8, v12
	s_and_not1_b32 s14, s14, exec_lo
	s_and_b32 s0, s0, vcc_lo
	s_delay_alu instid0(SALU_CYCLE_1) | instskip(NEXT) | instid1(SALU_CYCLE_1)
	s_and_b32 s0, s0, exec_lo
	s_or_b32 s14, s14, s0
.LBB143_1537:
	v_mov_b32_e32 v9, 0
	s_cmp_lt_i32 s16, 11
	s_delay_alu instid0(VALU_DEP_1)
	v_add_nc_u64_e32 v[8:9], s[6:7], v[8:9]
	s_cbranch_scc1 .LBB143_1544
; %bb.1538:
	s_cmp_gt_i32 s16, 25
	s_mov_b32 s6, 0
	s_cbranch_scc0 .LBB143_1546
; %bb.1539:
	s_cmp_gt_i32 s16, 28
	s_cbranch_scc0 .LBB143_1547
; %bb.1540:
	s_cmp_gt_i32 s16, 43
	;; [unrolled: 3-line block ×3, first 2 shown]
	s_cbranch_scc0 .LBB143_1554
; %bb.1542:
	s_cmp_eq_u32 s16, 46
	s_mov_b32 s17, 0
	s_cbranch_scc0 .LBB143_1617
; %bb.1543:
	global_load_b32 v1, v[8:9], off
	s_mov_b32 s0, 0
	s_mov_b32 s7, -1
	s_wait_loadcnt 0x0
	s_wait_xcnt 0x1
	v_and_b32_e32 v11, 0xffff0000, v1
	v_lshlrev_b32_e32 v10, 16, v1
	s_branch .LBB143_1619
.LBB143_1544:
	s_mov_b32 s0, -1
	s_mov_b32 s7, 0
                                        ; implicit-def: $vgpr11
	s_branch .LBB143_1665
.LBB143_1545:
                                        ; implicit-def: $sgpr14
	s_branch .LBB143_1536
.LBB143_1546:
	s_mov_b32 s17, -1
	s_mov_b32 s7, 0
	s_mov_b32 s0, 0
                                        ; implicit-def: $vgpr11
	s_branch .LBB143_1650
.LBB143_1547:
	s_mov_b32 s17, -1
	s_mov_b32 s7, 0
	s_mov_b32 s0, 0
                                        ; implicit-def: $vgpr11
	s_branch .LBB143_1631
.LBB143_1548:
	s_mov_b32 s17, -1
	s_mov_b32 s7, 0
	s_mov_b32 s0, 0
                                        ; implicit-def: $vgpr11
	s_branch .LBB143_1625
.LBB143_1549:
	s_mov_b32 s0, -1
	s_mov_b32 s17, 0
.LBB143_1550:
                                        ; implicit-def: $vgpr13
.LBB143_1551:
	s_and_b32 vcc_lo, exec_lo, s18
	s_cbranch_vccz .LBB143_1557
; %bb.1552:
	s_cmp_eq_u32 s16, 44
	s_cbranch_scc0 .LBB143_1555
; %bb.1553:
	global_load_u8 v1, v[10:11], off
	s_mov_b32 s0, 0
	s_mov_b32 s17, -1
	s_wait_loadcnt 0x0
	v_lshlrev_b32_e32 v3, 23, v1
	v_cmp_ne_u32_e32 vcc_lo, 0xff, v1
	s_delay_alu instid0(VALU_DEP_2) | instskip(SKIP_2) | instid1(VALU_DEP_2)
	v_cndmask_b32_e32 v3, 0x7f800001, v3, vcc_lo
	v_cmp_ne_u32_e32 vcc_lo, 0, v1
	s_wait_xcnt 0x1
	v_cndmask_b32_e32 v12, 0x400000, v3, vcc_lo
	s_branch .LBB143_1556
.LBB143_1554:
	s_mov_b32 s17, -1
	s_mov_b32 s7, 0
	s_mov_b32 s0, 0
	s_branch .LBB143_1618
.LBB143_1555:
	s_mov_b32 s0, -1
                                        ; implicit-def: $vgpr12
.LBB143_1556:
	s_wait_xcnt 0x0
	v_mov_b32_e32 v13, 0
.LBB143_1557:
	s_mov_b32 s18, 0
.LBB143_1558:
	s_delay_alu instid0(SALU_CYCLE_1)
	s_and_b32 vcc_lo, exec_lo, s18
	s_cbranch_vccz .LBB143_1563
; %bb.1559:
	s_cmp_eq_u32 s16, 29
	s_cbranch_scc0 .LBB143_1561
; %bb.1560:
	global_load_b64 v[12:13], v[10:11], off
	s_mov_b32 s0, 0
	s_mov_b32 s17, -1
	s_wait_loadcnt 0x0
	v_clz_i32_u32_e32 v1, v13
	s_delay_alu instid0(VALU_DEP_1) | instskip(NEXT) | instid1(VALU_DEP_1)
	v_min_u32_e32 v1, 32, v1
	v_lshlrev_b64_e32 v[12:13], v1, v[12:13]
	v_sub_nc_u32_e32 v1, 32, v1
	s_delay_alu instid0(VALU_DEP_2) | instskip(NEXT) | instid1(VALU_DEP_1)
	v_min_u32_e32 v3, 1, v12
	v_or_b32_e32 v3, v13, v3
	s_delay_alu instid0(VALU_DEP_1) | instskip(NEXT) | instid1(VALU_DEP_1)
	v_cvt_f32_u32_e32 v3, v3
	v_ldexp_f32 v12, v3, v1
	s_branch .LBB143_1562
.LBB143_1561:
	s_mov_b32 s0, -1
                                        ; implicit-def: $vgpr12
.LBB143_1562:
	s_wait_xcnt 0x0
	v_mov_b32_e32 v13, 0
.LBB143_1563:
	s_mov_b32 s18, 0
.LBB143_1564:
	s_delay_alu instid0(SALU_CYCLE_1)
	s_and_b32 vcc_lo, exec_lo, s18
	s_cbranch_vccz .LBB143_1582
; %bb.1565:
	s_cmp_lt_i32 s16, 27
	s_cbranch_scc1 .LBB143_1568
; %bb.1566:
	s_cmp_gt_i32 s16, 27
	s_cbranch_scc0 .LBB143_1569
; %bb.1567:
	global_load_b32 v1, v[10:11], off
	s_mov_b32 s17, 0
	s_wait_loadcnt 0x0
	s_wait_xcnt 0x1
	v_cvt_f32_u32_e32 v12, v1
	s_branch .LBB143_1570
.LBB143_1568:
	s_mov_b32 s17, -1
                                        ; implicit-def: $vgpr12
	s_branch .LBB143_1573
.LBB143_1569:
	s_mov_b32 s17, -1
                                        ; implicit-def: $vgpr12
.LBB143_1570:
	s_delay_alu instid0(SALU_CYCLE_1)
	s_and_not1_b32 vcc_lo, exec_lo, s17
	s_cbranch_vccnz .LBB143_1572
; %bb.1571:
	global_load_u16 v1, v[10:11], off
	s_wait_loadcnt 0x0
	s_wait_xcnt 0x1
	v_cvt_f32_u32_e32 v12, v1
.LBB143_1572:
	s_mov_b32 s17, 0
.LBB143_1573:
	s_delay_alu instid0(SALU_CYCLE_1)
	s_and_not1_b32 vcc_lo, exec_lo, s17
	s_cbranch_vccnz .LBB143_1581
; %bb.1574:
	global_load_u8 v1, v[10:11], off
	s_mov_b32 s17, 0
	s_mov_b32 s18, exec_lo
	s_wait_loadcnt 0x0
	v_cmpx_lt_i16_e32 0x7f, v1
	s_xor_b32 s18, exec_lo, s18
	s_cbranch_execz .LBB143_1594
; %bb.1575:
	s_mov_b32 s17, -1
	s_mov_b32 s19, exec_lo
	v_cmpx_eq_u16_e32 0x80, v1
; %bb.1576:
	s_xor_b32 s17, exec_lo, -1
; %bb.1577:
	s_or_b32 exec_lo, exec_lo, s19
	s_delay_alu instid0(SALU_CYCLE_1)
	s_and_b32 s17, s17, exec_lo
	s_or_saveexec_b32 s18, s18
	v_mov_b32_e32 v12, 0x7f800001
	s_xor_b32 exec_lo, exec_lo, s18
	s_cbranch_execnz .LBB143_1595
.LBB143_1578:
	s_or_b32 exec_lo, exec_lo, s18
	s_and_saveexec_b32 s18, s17
	s_cbranch_execz .LBB143_1580
.LBB143_1579:
	v_and_b32_e32 v3, 0xffff, v1
	s_delay_alu instid0(VALU_DEP_1) | instskip(SKIP_1) | instid1(VALU_DEP_2)
	v_dual_lshlrev_b32 v1, 24, v1 :: v_dual_bitop2_b32 v5, 7, v3 bitop3:0x40
	v_bfe_u32 v12, v3, 3, 4
	v_and_b32_e32 v1, 0x80000000, v1
	s_delay_alu instid0(VALU_DEP_3) | instskip(NEXT) | instid1(VALU_DEP_3)
	v_clz_i32_u32_e32 v7, v5
	v_cmp_eq_u32_e32 vcc_lo, 0, v12
	s_delay_alu instid0(VALU_DEP_2) | instskip(NEXT) | instid1(VALU_DEP_1)
	v_min_u32_e32 v7, 32, v7
	v_subrev_nc_u32_e32 v9, 28, v7
	v_sub_nc_u32_e32 v7, 29, v7
	s_delay_alu instid0(VALU_DEP_2) | instskip(NEXT) | instid1(VALU_DEP_2)
	v_lshlrev_b32_e32 v3, v9, v3
	v_cndmask_b32_e32 v7, v12, v7, vcc_lo
	s_delay_alu instid0(VALU_DEP_2) | instskip(NEXT) | instid1(VALU_DEP_1)
	v_and_b32_e32 v3, 7, v3
	v_cndmask_b32_e32 v3, v5, v3, vcc_lo
	s_delay_alu instid0(VALU_DEP_3) | instskip(NEXT) | instid1(VALU_DEP_2)
	v_lshl_add_u32 v5, v7, 23, 0x3b800000
	v_lshlrev_b32_e32 v3, 20, v3
	s_delay_alu instid0(VALU_DEP_1)
	v_or3_b32 v12, v1, v5, v3
.LBB143_1580:
	s_or_b32 exec_lo, exec_lo, s18
.LBB143_1581:
	s_wait_xcnt 0x0
	v_mov_b32_e32 v13, 0
	s_mov_b32 s17, -1
.LBB143_1582:
	s_branch .LBB143_1476
.LBB143_1583:
	s_cmp_gt_i32 s16, 22
	s_cbranch_scc0 .LBB143_1593
; %bb.1584:
	s_cmp_lt_i32 s16, 24
	s_cbranch_scc1 .LBB143_1596
; %bb.1585:
	s_cmp_gt_i32 s16, 24
	s_cbranch_scc0 .LBB143_1597
; %bb.1586:
	global_load_u8 v1, v[10:11], off
	s_mov_b32 s17, exec_lo
	s_wait_loadcnt 0x0
	v_cmpx_lt_i16_e32 0x7f, v1
	s_xor_b32 s17, exec_lo, s17
	s_cbranch_execz .LBB143_1609
; %bb.1587:
	s_mov_b32 s14, -1
	s_mov_b32 s18, exec_lo
	v_cmpx_eq_u16_e32 0x80, v1
; %bb.1588:
	s_xor_b32 s14, exec_lo, -1
; %bb.1589:
	s_or_b32 exec_lo, exec_lo, s18
	s_delay_alu instid0(SALU_CYCLE_1)
	s_and_b32 s14, s14, exec_lo
	s_or_saveexec_b32 s17, s17
	v_mov_b32_e32 v12, 0x7f800001
	s_xor_b32 exec_lo, exec_lo, s17
	s_cbranch_execnz .LBB143_1610
.LBB143_1590:
	s_or_b32 exec_lo, exec_lo, s17
	s_and_saveexec_b32 s17, s14
	s_cbranch_execz .LBB143_1592
.LBB143_1591:
	v_and_b32_e32 v3, 0xffff, v1
	s_delay_alu instid0(VALU_DEP_1) | instskip(SKIP_1) | instid1(VALU_DEP_2)
	v_dual_lshlrev_b32 v1, 24, v1 :: v_dual_bitop2_b32 v5, 3, v3 bitop3:0x40
	v_bfe_u32 v12, v3, 2, 5
	v_and_b32_e32 v1, 0x80000000, v1
	s_delay_alu instid0(VALU_DEP_3) | instskip(NEXT) | instid1(VALU_DEP_3)
	v_clz_i32_u32_e32 v7, v5
	v_cmp_eq_u32_e32 vcc_lo, 0, v12
	s_delay_alu instid0(VALU_DEP_2) | instskip(NEXT) | instid1(VALU_DEP_1)
	v_min_u32_e32 v7, 32, v7
	v_subrev_nc_u32_e32 v9, 29, v7
	v_sub_nc_u32_e32 v7, 30, v7
	s_delay_alu instid0(VALU_DEP_2) | instskip(NEXT) | instid1(VALU_DEP_2)
	v_lshlrev_b32_e32 v3, v9, v3
	v_cndmask_b32_e32 v7, v12, v7, vcc_lo
	s_delay_alu instid0(VALU_DEP_2) | instskip(NEXT) | instid1(VALU_DEP_1)
	v_and_b32_e32 v3, 3, v3
	v_cndmask_b32_e32 v3, v5, v3, vcc_lo
	s_delay_alu instid0(VALU_DEP_3) | instskip(NEXT) | instid1(VALU_DEP_2)
	v_lshl_add_u32 v5, v7, 23, 0x37800000
	v_lshlrev_b32_e32 v3, 21, v3
	s_delay_alu instid0(VALU_DEP_1)
	v_or3_b32 v12, v1, v5, v3
.LBB143_1592:
	s_or_b32 exec_lo, exec_lo, s17
	s_mov_b32 s14, 0
	s_branch .LBB143_1598
.LBB143_1593:
	s_mov_b32 s14, -1
                                        ; implicit-def: $vgpr12
	s_branch .LBB143_1604
.LBB143_1594:
	s_or_saveexec_b32 s18, s18
	v_mov_b32_e32 v12, 0x7f800001
	s_xor_b32 exec_lo, exec_lo, s18
	s_cbranch_execz .LBB143_1578
.LBB143_1595:
	v_cmp_ne_u16_e32 vcc_lo, 0, v1
	v_mov_b32_e32 v12, 0
	s_and_not1_b32 s17, s17, exec_lo
	s_and_b32 s19, vcc_lo, exec_lo
	s_delay_alu instid0(SALU_CYCLE_1)
	s_or_b32 s17, s17, s19
	s_or_b32 exec_lo, exec_lo, s18
	s_and_saveexec_b32 s18, s17
	s_cbranch_execnz .LBB143_1579
	s_branch .LBB143_1580
.LBB143_1596:
	s_mov_b32 s14, -1
                                        ; implicit-def: $vgpr12
	s_branch .LBB143_1601
.LBB143_1597:
	s_mov_b32 s14, -1
                                        ; implicit-def: $vgpr12
.LBB143_1598:
	s_delay_alu instid0(SALU_CYCLE_1)
	s_and_b32 vcc_lo, exec_lo, s14
	s_cbranch_vccz .LBB143_1600
; %bb.1599:
	global_load_u8 v1, v[10:11], off
	s_wait_loadcnt 0x0
	v_lshlrev_b32_e32 v1, 24, v1
	s_delay_alu instid0(VALU_DEP_1) | instskip(NEXT) | instid1(VALU_DEP_1)
	v_and_b32_e32 v3, 0x7f000000, v1
	v_clz_i32_u32_e32 v5, v3
	v_add_nc_u32_e32 v9, 0x1000000, v3
	v_cmp_ne_u32_e32 vcc_lo, 0, v3
	s_delay_alu instid0(VALU_DEP_3) | instskip(NEXT) | instid1(VALU_DEP_1)
	v_min_u32_e32 v5, 32, v5
	v_sub_nc_u32_e64 v5, v5, 4 clamp
	s_delay_alu instid0(VALU_DEP_1) | instskip(NEXT) | instid1(VALU_DEP_1)
	v_dual_lshlrev_b32 v7, v5, v3 :: v_dual_lshlrev_b32 v5, 23, v5
	v_lshrrev_b32_e32 v7, 4, v7
	s_delay_alu instid0(VALU_DEP_1) | instskip(SKIP_1) | instid1(VALU_DEP_2)
	v_sub_nc_u32_e32 v5, v7, v5
	v_ashrrev_i32_e32 v7, 8, v9
	v_add_nc_u32_e32 v5, 0x3c000000, v5
	s_delay_alu instid0(VALU_DEP_1) | instskip(NEXT) | instid1(VALU_DEP_1)
	v_and_or_b32 v5, 0x7f800000, v7, v5
	v_cndmask_b32_e32 v3, 0, v5, vcc_lo
	s_wait_xcnt 0x1
	s_delay_alu instid0(VALU_DEP_1)
	v_and_or_b32 v12, 0x80000000, v1, v3
.LBB143_1600:
	s_mov_b32 s14, 0
.LBB143_1601:
	s_delay_alu instid0(SALU_CYCLE_1)
	s_and_not1_b32 vcc_lo, exec_lo, s14
	s_cbranch_vccnz .LBB143_1603
; %bb.1602:
	global_load_u8 v1, v[10:11], off
	s_wait_loadcnt 0x0
	v_lshlrev_b32_e32 v3, 25, v1
	v_lshlrev_b16 v1, 8, v1
	s_delay_alu instid0(VALU_DEP_1) | instskip(SKIP_1) | instid1(VALU_DEP_2)
	v_and_or_b32 v7, 0x7f00, v1, 0.5
	v_bfe_i32 v1, v1, 0, 16
	v_add_f32_e32 v7, -0.5, v7
	v_lshrrev_b32_e32 v5, 4, v3
	v_cmp_gt_u32_e32 vcc_lo, 0x8000000, v3
	s_delay_alu instid0(VALU_DEP_2) | instskip(NEXT) | instid1(VALU_DEP_1)
	v_or_b32_e32 v5, 0x70000000, v5
	v_mul_f32_e32 v5, 0x7800000, v5
	s_delay_alu instid0(VALU_DEP_1) | instskip(SKIP_1) | instid1(VALU_DEP_1)
	v_cndmask_b32_e32 v3, v5, v7, vcc_lo
	s_wait_xcnt 0x1
	v_and_or_b32 v12, 0x80000000, v1, v3
.LBB143_1603:
	s_mov_b32 s14, 0
	s_mov_b32 s17, -1
.LBB143_1604:
	s_and_not1_b32 vcc_lo, exec_lo, s14
	s_mov_b32 s14, 0
	s_cbranch_vccnz .LBB143_1615
; %bb.1605:
	s_cmp_gt_i32 s16, 14
	s_cbranch_scc0 .LBB143_1608
; %bb.1606:
	s_cmp_eq_u32 s16, 15
	s_cbranch_scc0 .LBB143_1611
; %bb.1607:
	global_load_u16 v1, v[10:11], off
	s_mov_b32 s0, 0
	s_mov_b32 s17, -1
	s_wait_loadcnt 0x0
	s_wait_xcnt 0x1
	v_lshlrev_b32_e32 v12, 16, v1
	s_branch .LBB143_1613
.LBB143_1608:
	s_mov_b32 s14, -1
	s_branch .LBB143_1612
.LBB143_1609:
	s_or_saveexec_b32 s17, s17
	v_mov_b32_e32 v12, 0x7f800001
	s_xor_b32 exec_lo, exec_lo, s17
	s_cbranch_execz .LBB143_1590
.LBB143_1610:
	v_cmp_ne_u16_e32 vcc_lo, 0, v1
	v_mov_b32_e32 v12, 0
	s_and_not1_b32 s14, s14, exec_lo
	s_and_b32 s18, vcc_lo, exec_lo
	s_delay_alu instid0(SALU_CYCLE_1)
	s_or_b32 s14, s14, s18
	s_or_b32 exec_lo, exec_lo, s17
	s_and_saveexec_b32 s17, s14
	s_cbranch_execnz .LBB143_1591
	s_branch .LBB143_1592
.LBB143_1611:
	s_mov_b32 s0, -1
.LBB143_1612:
                                        ; implicit-def: $vgpr12
.LBB143_1613:
	s_and_b32 vcc_lo, exec_lo, s14
	s_mov_b32 s14, 0
	s_cbranch_vccz .LBB143_1615
; %bb.1614:
	s_cmp_lg_u32 s16, 11
	s_mov_b32 s14, -1
	s_cselect_b32 s0, -1, 0
.LBB143_1615:
	s_wait_xcnt 0x0
	v_mov_b32_e32 v13, 0
	s_and_b32 vcc_lo, exec_lo, s0
	s_cbranch_vccz .LBB143_1477
.LBB143_1616:
	s_or_b32 s1, s1, exec_lo
	s_trap 2
	s_cbranch_execz .LBB143_1478
	s_branch .LBB143_1479
.LBB143_1617:
	s_mov_b32 s0, -1
	s_mov_b32 s7, 0
.LBB143_1618:
                                        ; implicit-def: $vgpr11
.LBB143_1619:
	s_and_b32 vcc_lo, exec_lo, s17
	s_cbranch_vccz .LBB143_1624
; %bb.1620:
	s_cmp_eq_u32 s16, 44
	s_cbranch_scc0 .LBB143_1622
; %bb.1621:
	global_load_u8 v1, v[8:9], off
	s_mov_b32 s0, 0
	s_mov_b32 s7, -1
	s_wait_loadcnt 0x0
	v_lshlrev_b32_e32 v3, 23, v1
	v_cmp_ne_u32_e32 vcc_lo, 0xff, v1
	s_delay_alu instid0(VALU_DEP_2) | instskip(SKIP_2) | instid1(VALU_DEP_2)
	v_cndmask_b32_e32 v3, 0x7f800001, v3, vcc_lo
	v_cmp_ne_u32_e32 vcc_lo, 0, v1
	s_wait_xcnt 0x1
	v_cndmask_b32_e32 v10, 0x400000, v3, vcc_lo
	s_branch .LBB143_1623
.LBB143_1622:
	s_mov_b32 s0, -1
                                        ; implicit-def: $vgpr10
.LBB143_1623:
	s_wait_xcnt 0x0
	v_mov_b32_e32 v11, 0
.LBB143_1624:
	s_mov_b32 s17, 0
.LBB143_1625:
	s_delay_alu instid0(SALU_CYCLE_1)
	s_and_b32 vcc_lo, exec_lo, s17
	s_cbranch_vccz .LBB143_1630
; %bb.1626:
	s_cmp_eq_u32 s16, 29
	s_cbranch_scc0 .LBB143_1628
; %bb.1627:
	global_load_b64 v[10:11], v[8:9], off
	s_mov_b32 s0, 0
	s_mov_b32 s7, -1
	s_wait_loadcnt 0x0
	v_clz_i32_u32_e32 v1, v11
	s_delay_alu instid0(VALU_DEP_1) | instskip(NEXT) | instid1(VALU_DEP_1)
	v_min_u32_e32 v1, 32, v1
	v_lshlrev_b64_e32 v[10:11], v1, v[10:11]
	v_sub_nc_u32_e32 v1, 32, v1
	s_delay_alu instid0(VALU_DEP_2) | instskip(NEXT) | instid1(VALU_DEP_1)
	v_min_u32_e32 v3, 1, v10
	v_or_b32_e32 v3, v11, v3
	s_delay_alu instid0(VALU_DEP_1) | instskip(NEXT) | instid1(VALU_DEP_1)
	v_cvt_f32_u32_e32 v3, v3
	v_ldexp_f32 v10, v3, v1
	s_branch .LBB143_1629
.LBB143_1628:
	s_mov_b32 s0, -1
                                        ; implicit-def: $vgpr10
.LBB143_1629:
	s_wait_xcnt 0x0
	v_mov_b32_e32 v11, 0
.LBB143_1630:
	s_mov_b32 s17, 0
.LBB143_1631:
	s_delay_alu instid0(SALU_CYCLE_1)
	s_and_b32 vcc_lo, exec_lo, s17
	s_cbranch_vccz .LBB143_1649
; %bb.1632:
	s_cmp_lt_i32 s16, 27
	s_cbranch_scc1 .LBB143_1635
; %bb.1633:
	s_cmp_gt_i32 s16, 27
	s_cbranch_scc0 .LBB143_1636
; %bb.1634:
	global_load_b32 v1, v[8:9], off
	s_mov_b32 s7, 0
	s_wait_loadcnt 0x0
	s_wait_xcnt 0x1
	v_cvt_f32_u32_e32 v10, v1
	s_branch .LBB143_1637
.LBB143_1635:
	s_mov_b32 s7, -1
                                        ; implicit-def: $vgpr10
	s_branch .LBB143_1640
.LBB143_1636:
	s_mov_b32 s7, -1
                                        ; implicit-def: $vgpr10
.LBB143_1637:
	s_delay_alu instid0(SALU_CYCLE_1)
	s_and_not1_b32 vcc_lo, exec_lo, s7
	s_cbranch_vccnz .LBB143_1639
; %bb.1638:
	global_load_u16 v1, v[8:9], off
	s_wait_loadcnt 0x0
	s_wait_xcnt 0x1
	v_cvt_f32_u32_e32 v10, v1
.LBB143_1639:
	s_mov_b32 s7, 0
.LBB143_1640:
	s_delay_alu instid0(SALU_CYCLE_1)
	s_and_not1_b32 vcc_lo, exec_lo, s7
	s_cbranch_vccnz .LBB143_1648
; %bb.1641:
	global_load_u8 v1, v[8:9], off
	s_mov_b32 s7, 0
	s_mov_b32 s17, exec_lo
	s_wait_loadcnt 0x0
	v_cmpx_lt_i16_e32 0x7f, v1
	s_xor_b32 s17, exec_lo, s17
	s_cbranch_execz .LBB143_1674
; %bb.1642:
	s_mov_b32 s7, -1
	s_mov_b32 s18, exec_lo
	v_cmpx_eq_u16_e32 0x80, v1
; %bb.1643:
	s_xor_b32 s7, exec_lo, -1
; %bb.1644:
	s_or_b32 exec_lo, exec_lo, s18
	s_delay_alu instid0(SALU_CYCLE_1)
	s_and_b32 s7, s7, exec_lo
	s_or_saveexec_b32 s17, s17
	v_mov_b32_e32 v10, 0x7f800001
	s_xor_b32 exec_lo, exec_lo, s17
	s_cbranch_execnz .LBB143_1675
.LBB143_1645:
	s_or_b32 exec_lo, exec_lo, s17
	s_and_saveexec_b32 s17, s7
	s_cbranch_execz .LBB143_1647
.LBB143_1646:
	v_and_b32_e32 v3, 0xffff, v1
	s_delay_alu instid0(VALU_DEP_1) | instskip(SKIP_1) | instid1(VALU_DEP_2)
	v_dual_lshlrev_b32 v1, 24, v1 :: v_dual_bitop2_b32 v5, 7, v3 bitop3:0x40
	v_bfe_u32 v11, v3, 3, 4
	v_and_b32_e32 v1, 0x80000000, v1
	s_delay_alu instid0(VALU_DEP_3) | instskip(NEXT) | instid1(VALU_DEP_3)
	v_clz_i32_u32_e32 v7, v5
	v_cmp_eq_u32_e32 vcc_lo, 0, v11
	s_delay_alu instid0(VALU_DEP_2) | instskip(NEXT) | instid1(VALU_DEP_1)
	v_min_u32_e32 v7, 32, v7
	v_subrev_nc_u32_e32 v10, 28, v7
	v_sub_nc_u32_e32 v7, 29, v7
	s_delay_alu instid0(VALU_DEP_2) | instskip(NEXT) | instid1(VALU_DEP_2)
	v_lshlrev_b32_e32 v3, v10, v3
	v_cndmask_b32_e32 v7, v11, v7, vcc_lo
	s_delay_alu instid0(VALU_DEP_2) | instskip(NEXT) | instid1(VALU_DEP_1)
	v_and_b32_e32 v3, 7, v3
	v_cndmask_b32_e32 v3, v5, v3, vcc_lo
	s_delay_alu instid0(VALU_DEP_3) | instskip(NEXT) | instid1(VALU_DEP_2)
	v_lshl_add_u32 v5, v7, 23, 0x3b800000
	v_lshlrev_b32_e32 v3, 20, v3
	s_delay_alu instid0(VALU_DEP_1)
	v_or3_b32 v10, v1, v5, v3
.LBB143_1647:
	s_or_b32 exec_lo, exec_lo, s17
.LBB143_1648:
	s_wait_xcnt 0x0
	v_mov_b32_e32 v11, 0
	s_mov_b32 s7, -1
.LBB143_1649:
	s_mov_b32 s17, 0
.LBB143_1650:
	s_delay_alu instid0(SALU_CYCLE_1)
	s_and_b32 vcc_lo, exec_lo, s17
	s_cbranch_vccz .LBB143_1661
; %bb.1651:
	s_cmp_gt_i32 s16, 22
	s_cbranch_scc0 .LBB143_1672
; %bb.1652:
	s_cmp_lt_i32 s16, 24
	s_cbranch_scc1 .LBB143_1676
; %bb.1653:
	s_cmp_gt_i32 s16, 24
	s_cbranch_scc0 .LBB143_1678
; %bb.1654:
	global_load_u8 v1, v[8:9], off
	s_mov_b32 s7, exec_lo
	s_wait_loadcnt 0x0
	v_cmpx_lt_i16_e32 0x7f, v1
	s_xor_b32 s7, exec_lo, s7
	s_cbranch_execz .LBB143_1690
; %bb.1655:
	s_mov_b32 s6, -1
	s_mov_b32 s17, exec_lo
	v_cmpx_eq_u16_e32 0x80, v1
; %bb.1656:
	s_xor_b32 s6, exec_lo, -1
; %bb.1657:
	s_or_b32 exec_lo, exec_lo, s17
	s_delay_alu instid0(SALU_CYCLE_1)
	s_and_b32 s6, s6, exec_lo
	s_or_saveexec_b32 s7, s7
	v_mov_b32_e32 v10, 0x7f800001
	s_xor_b32 exec_lo, exec_lo, s7
	s_cbranch_execnz .LBB143_1691
.LBB143_1658:
	s_or_b32 exec_lo, exec_lo, s7
	s_and_saveexec_b32 s7, s6
	s_cbranch_execz .LBB143_1660
.LBB143_1659:
	v_and_b32_e32 v3, 0xffff, v1
	s_delay_alu instid0(VALU_DEP_1) | instskip(SKIP_1) | instid1(VALU_DEP_2)
	v_dual_lshlrev_b32 v1, 24, v1 :: v_dual_bitop2_b32 v5, 3, v3 bitop3:0x40
	v_bfe_u32 v11, v3, 2, 5
	v_and_b32_e32 v1, 0x80000000, v1
	s_delay_alu instid0(VALU_DEP_3) | instskip(NEXT) | instid1(VALU_DEP_3)
	v_clz_i32_u32_e32 v7, v5
	v_cmp_eq_u32_e32 vcc_lo, 0, v11
	s_delay_alu instid0(VALU_DEP_2) | instskip(NEXT) | instid1(VALU_DEP_1)
	v_min_u32_e32 v7, 32, v7
	v_subrev_nc_u32_e32 v10, 29, v7
	v_sub_nc_u32_e32 v7, 30, v7
	s_delay_alu instid0(VALU_DEP_2) | instskip(NEXT) | instid1(VALU_DEP_2)
	v_lshlrev_b32_e32 v3, v10, v3
	v_cndmask_b32_e32 v7, v11, v7, vcc_lo
	s_delay_alu instid0(VALU_DEP_2) | instskip(NEXT) | instid1(VALU_DEP_1)
	v_and_b32_e32 v3, 3, v3
	v_cndmask_b32_e32 v3, v5, v3, vcc_lo
	s_delay_alu instid0(VALU_DEP_3) | instskip(NEXT) | instid1(VALU_DEP_2)
	v_lshl_add_u32 v5, v7, 23, 0x37800000
	v_lshlrev_b32_e32 v3, 21, v3
	s_delay_alu instid0(VALU_DEP_1)
	v_or3_b32 v10, v1, v5, v3
.LBB143_1660:
	s_or_b32 exec_lo, exec_lo, s7
	s_mov_b32 s6, 0
	s_branch .LBB143_1679
.LBB143_1661:
	s_and_b32 vcc_lo, exec_lo, s0
	s_cbranch_vccnz .LBB143_1709
.LBB143_1662:
	s_and_not1_b32 vcc_lo, exec_lo, s6
	s_cbranch_vccnz .LBB143_1664
.LBB143_1663:
	global_load_u8 v1, v[8:9], off
	s_wait_xcnt 0x1
	v_mov_b32_e32 v11, 0
	s_mov_b32 s7, -1
	s_wait_loadcnt 0x0
	v_cmp_ne_u16_e32 vcc_lo, 0, v1
	v_cndmask_b32_e64 v10, 0, 1.0, vcc_lo
.LBB143_1664:
	s_mov_b32 s0, 0
.LBB143_1665:
	s_delay_alu instid0(SALU_CYCLE_1)
	s_and_b32 vcc_lo, exec_lo, s0
	s_cbranch_vccz .LBB143_1740
; %bb.1666:
	s_cmp_lt_i32 s16, 5
	s_cbranch_scc1 .LBB143_1671
; %bb.1667:
	s_cmp_lt_i32 s16, 8
	s_cbranch_scc1 .LBB143_1673
	;; [unrolled: 3-line block ×3, first 2 shown]
; %bb.1669:
	s_cmp_gt_i32 s16, 9
	s_cbranch_scc0 .LBB143_1692
; %bb.1670:
	s_wait_loadcnt 0x0
	global_load_b128 v[10:13], v[8:9], off
	s_mov_b32 s0, 0
	s_wait_loadcnt 0x0
	v_cvt_f32_f64_e32 v10, v[10:11]
	v_cvt_f32_f64_e32 v11, v[12:13]
	s_branch .LBB143_1693
.LBB143_1671:
	s_mov_b32 s0, -1
                                        ; implicit-def: $vgpr11
	s_branch .LBB143_1718
.LBB143_1672:
	s_mov_b32 s6, -1
                                        ; implicit-def: $vgpr10
	s_branch .LBB143_1685
.LBB143_1673:
	s_mov_b32 s0, -1
                                        ; implicit-def: $vgpr11
	s_branch .LBB143_1699
.LBB143_1674:
	s_or_saveexec_b32 s17, s17
	v_mov_b32_e32 v10, 0x7f800001
	s_xor_b32 exec_lo, exec_lo, s17
	s_cbranch_execz .LBB143_1645
.LBB143_1675:
	v_cmp_ne_u16_e32 vcc_lo, 0, v1
	v_mov_b32_e32 v10, 0
	s_and_not1_b32 s7, s7, exec_lo
	s_and_b32 s18, vcc_lo, exec_lo
	s_delay_alu instid0(SALU_CYCLE_1)
	s_or_b32 s7, s7, s18
	s_or_b32 exec_lo, exec_lo, s17
	s_and_saveexec_b32 s17, s7
	s_cbranch_execnz .LBB143_1646
	s_branch .LBB143_1647
.LBB143_1676:
	s_mov_b32 s6, -1
                                        ; implicit-def: $vgpr10
	s_branch .LBB143_1682
.LBB143_1677:
	s_mov_b32 s0, -1
                                        ; implicit-def: $vgpr11
	s_branch .LBB143_1696
.LBB143_1678:
	s_mov_b32 s6, -1
                                        ; implicit-def: $vgpr10
.LBB143_1679:
	s_delay_alu instid0(SALU_CYCLE_1)
	s_and_b32 vcc_lo, exec_lo, s6
	s_cbranch_vccz .LBB143_1681
; %bb.1680:
	global_load_u8 v1, v[8:9], off
	s_wait_loadcnt 0x0
	v_lshlrev_b32_e32 v1, 24, v1
	s_delay_alu instid0(VALU_DEP_1) | instskip(NEXT) | instid1(VALU_DEP_1)
	v_and_b32_e32 v3, 0x7f000000, v1
	v_clz_i32_u32_e32 v5, v3
	v_cmp_ne_u32_e32 vcc_lo, 0, v3
	s_wait_xcnt 0x1
	v_add_nc_u32_e32 v10, 0x1000000, v3
	s_delay_alu instid0(VALU_DEP_3) | instskip(NEXT) | instid1(VALU_DEP_1)
	v_min_u32_e32 v5, 32, v5
	v_sub_nc_u32_e64 v5, v5, 4 clamp
	s_delay_alu instid0(VALU_DEP_1) | instskip(NEXT) | instid1(VALU_DEP_1)
	v_dual_lshlrev_b32 v7, v5, v3 :: v_dual_lshlrev_b32 v5, 23, v5
	v_lshrrev_b32_e32 v7, 4, v7
	s_delay_alu instid0(VALU_DEP_1) | instskip(NEXT) | instid1(VALU_DEP_1)
	v_dual_sub_nc_u32 v5, v7, v5 :: v_dual_ashrrev_i32 v7, 8, v10
	v_add_nc_u32_e32 v5, 0x3c000000, v5
	s_delay_alu instid0(VALU_DEP_1) | instskip(NEXT) | instid1(VALU_DEP_1)
	v_and_or_b32 v5, 0x7f800000, v7, v5
	v_cndmask_b32_e32 v3, 0, v5, vcc_lo
	s_delay_alu instid0(VALU_DEP_1)
	v_and_or_b32 v10, 0x80000000, v1, v3
.LBB143_1681:
	s_mov_b32 s6, 0
.LBB143_1682:
	s_delay_alu instid0(SALU_CYCLE_1)
	s_and_not1_b32 vcc_lo, exec_lo, s6
	s_cbranch_vccnz .LBB143_1684
; %bb.1683:
	global_load_u8 v1, v[8:9], off
	s_wait_loadcnt 0x0
	v_lshlrev_b32_e32 v3, 25, v1
	v_lshlrev_b16 v1, 8, v1
	s_delay_alu instid0(VALU_DEP_1) | instskip(SKIP_1) | instid1(VALU_DEP_2)
	v_and_or_b32 v7, 0x7f00, v1, 0.5
	v_bfe_i32 v1, v1, 0, 16
	v_add_f32_e32 v7, -0.5, v7
	v_lshrrev_b32_e32 v5, 4, v3
	v_cmp_gt_u32_e32 vcc_lo, 0x8000000, v3
	s_delay_alu instid0(VALU_DEP_2) | instskip(NEXT) | instid1(VALU_DEP_1)
	v_or_b32_e32 v5, 0x70000000, v5
	v_mul_f32_e32 v5, 0x7800000, v5
	s_delay_alu instid0(VALU_DEP_1) | instskip(SKIP_1) | instid1(VALU_DEP_1)
	v_cndmask_b32_e32 v3, v5, v7, vcc_lo
	s_wait_xcnt 0x1
	v_and_or_b32 v10, 0x80000000, v1, v3
.LBB143_1684:
	s_mov_b32 s6, 0
	s_mov_b32 s7, -1
.LBB143_1685:
	s_and_not1_b32 vcc_lo, exec_lo, s6
	s_mov_b32 s6, 0
	s_cbranch_vccnz .LBB143_1708
; %bb.1686:
	s_cmp_gt_i32 s16, 14
	s_cbranch_scc0 .LBB143_1689
; %bb.1687:
	s_cmp_eq_u32 s16, 15
	s_cbranch_scc0 .LBB143_1704
; %bb.1688:
	global_load_u16 v1, v[8:9], off
	s_mov_b32 s0, 0
	s_mov_b32 s7, -1
	s_wait_loadcnt 0x0
	s_wait_xcnt 0x1
	v_lshlrev_b32_e32 v10, 16, v1
	s_branch .LBB143_1706
.LBB143_1689:
	s_mov_b32 s6, -1
	s_branch .LBB143_1705
.LBB143_1690:
	s_or_saveexec_b32 s7, s7
	v_mov_b32_e32 v10, 0x7f800001
	s_xor_b32 exec_lo, exec_lo, s7
	s_cbranch_execz .LBB143_1658
.LBB143_1691:
	v_cmp_ne_u16_e32 vcc_lo, 0, v1
	v_mov_b32_e32 v10, 0
	s_and_not1_b32 s6, s6, exec_lo
	s_and_b32 s17, vcc_lo, exec_lo
	s_delay_alu instid0(SALU_CYCLE_1)
	s_or_b32 s6, s6, s17
	s_or_b32 exec_lo, exec_lo, s7
	s_and_saveexec_b32 s7, s6
	s_cbranch_execnz .LBB143_1659
	s_branch .LBB143_1660
.LBB143_1692:
	s_mov_b32 s0, -1
                                        ; implicit-def: $vgpr11
.LBB143_1693:
	s_delay_alu instid0(SALU_CYCLE_1)
	s_and_not1_b32 vcc_lo, exec_lo, s0
	s_cbranch_vccnz .LBB143_1695
; %bb.1694:
	global_load_b64 v[10:11], v[8:9], off
.LBB143_1695:
	s_mov_b32 s0, 0
.LBB143_1696:
	s_delay_alu instid0(SALU_CYCLE_1)
	s_and_not1_b32 vcc_lo, exec_lo, s0
	s_cbranch_vccnz .LBB143_1698
; %bb.1697:
	global_load_b32 v1, v[8:9], off
	s_wait_loadcnt 0x0
	v_lshrrev_b32_e32 v3, 16, v1
	s_wait_xcnt 0x1
	v_cvt_f32_f16_e32 v10, v1
	s_delay_alu instid0(VALU_DEP_2)
	v_cvt_f32_f16_e32 v11, v3
.LBB143_1698:
	s_mov_b32 s0, 0
.LBB143_1699:
	s_delay_alu instid0(SALU_CYCLE_1)
	s_and_not1_b32 vcc_lo, exec_lo, s0
	s_cbranch_vccnz .LBB143_1717
; %bb.1700:
	s_cmp_lt_i32 s16, 6
	s_cbranch_scc1 .LBB143_1703
; %bb.1701:
	s_cmp_gt_i32 s16, 6
	s_cbranch_scc0 .LBB143_1710
; %bb.1702:
	s_wait_loadcnt 0x0
	global_load_b64 v[10:11], v[8:9], off
	s_mov_b32 s0, 0
	s_wait_loadcnt 0x0
	v_cvt_f32_f64_e32 v10, v[10:11]
	s_branch .LBB143_1711
.LBB143_1703:
	s_mov_b32 s0, -1
                                        ; implicit-def: $vgpr10
	s_branch .LBB143_1714
.LBB143_1704:
	s_mov_b32 s0, -1
.LBB143_1705:
                                        ; implicit-def: $vgpr10
.LBB143_1706:
	s_and_b32 vcc_lo, exec_lo, s6
	s_mov_b32 s6, 0
	s_cbranch_vccz .LBB143_1708
; %bb.1707:
	s_cmp_lg_u32 s16, 11
	s_mov_b32 s6, -1
	s_cselect_b32 s0, -1, 0
.LBB143_1708:
	s_wait_xcnt 0x0
	v_mov_b32_e32 v11, 0
	s_and_b32 vcc_lo, exec_lo, s0
	s_cbranch_vccz .LBB143_1662
.LBB143_1709:
	s_or_b32 s1, s1, exec_lo
	s_trap 2
	s_cbranch_execz .LBB143_1663
	s_branch .LBB143_1664
.LBB143_1710:
	s_mov_b32 s0, -1
                                        ; implicit-def: $vgpr10
.LBB143_1711:
	s_delay_alu instid0(SALU_CYCLE_1)
	s_and_not1_b32 vcc_lo, exec_lo, s0
	s_cbranch_vccnz .LBB143_1713
; %bb.1712:
	s_wait_loadcnt 0x0
	global_load_b32 v10, v[8:9], off
.LBB143_1713:
	s_mov_b32 s0, 0
.LBB143_1714:
	s_delay_alu instid0(SALU_CYCLE_1)
	s_and_not1_b32 vcc_lo, exec_lo, s0
	s_cbranch_vccnz .LBB143_1716
; %bb.1715:
	global_load_u16 v1, v[8:9], off
	s_wait_loadcnt 0x0
	s_wait_xcnt 0x1
	v_cvt_f32_f16_e32 v10, v1
.LBB143_1716:
	s_wait_loadcnt 0x0
	v_mov_b32_e32 v11, 0
.LBB143_1717:
	s_mov_b32 s0, 0
.LBB143_1718:
	s_delay_alu instid0(SALU_CYCLE_1)
	s_and_not1_b32 vcc_lo, exec_lo, s0
	s_cbranch_vccnz .LBB143_1739
; %bb.1719:
	s_cmp_lt_i32 s16, 2
	s_cbranch_scc1 .LBB143_1723
; %bb.1720:
	s_cmp_lt_i32 s16, 3
	s_cbranch_scc1 .LBB143_1724
; %bb.1721:
	s_cmp_gt_i32 s16, 3
	s_cbranch_scc0 .LBB143_1725
; %bb.1722:
	s_wait_loadcnt 0x0
	global_load_b64 v[10:11], v[8:9], off
	s_mov_b32 s0, 0
	s_wait_loadcnt 0x0
	v_xor_b32_e32 v1, v10, v11
	v_cls_i32_e32 v3, v11
	s_delay_alu instid0(VALU_DEP_2) | instskip(NEXT) | instid1(VALU_DEP_1)
	v_ashrrev_i32_e32 v1, 31, v1
	v_add_nc_u32_e32 v1, 32, v1
	s_delay_alu instid0(VALU_DEP_1) | instskip(NEXT) | instid1(VALU_DEP_1)
	v_add_min_u32_e64 v1, v3, -1, v1
	v_lshlrev_b64_e32 v[10:11], v1, v[10:11]
	v_sub_nc_u32_e32 v1, 32, v1
	s_delay_alu instid0(VALU_DEP_2) | instskip(NEXT) | instid1(VALU_DEP_1)
	v_min_u32_e32 v3, 1, v10
	v_or_b32_e32 v3, v11, v3
	s_delay_alu instid0(VALU_DEP_1) | instskip(NEXT) | instid1(VALU_DEP_1)
	v_cvt_f32_i32_e32 v3, v3
	v_ldexp_f32 v10, v3, v1
	s_branch .LBB143_1726
.LBB143_1723:
	s_mov_b32 s0, -1
                                        ; implicit-def: $vgpr10
	s_branch .LBB143_1732
.LBB143_1724:
	s_mov_b32 s0, -1
                                        ; implicit-def: $vgpr10
	s_branch .LBB143_1729
.LBB143_1725:
	s_mov_b32 s0, -1
                                        ; implicit-def: $vgpr10
.LBB143_1726:
	s_delay_alu instid0(SALU_CYCLE_1)
	s_and_not1_b32 vcc_lo, exec_lo, s0
	s_cbranch_vccnz .LBB143_1728
; %bb.1727:
	global_load_b32 v1, v[8:9], off
	s_wait_loadcnt 0x0
	s_wait_xcnt 0x1
	v_cvt_f32_i32_e32 v10, v1
.LBB143_1728:
	s_mov_b32 s0, 0
.LBB143_1729:
	s_delay_alu instid0(SALU_CYCLE_1)
	s_and_not1_b32 vcc_lo, exec_lo, s0
	s_cbranch_vccnz .LBB143_1731
; %bb.1730:
	global_load_i16 v1, v[8:9], off
	s_wait_loadcnt 0x0
	s_wait_xcnt 0x1
	v_cvt_f32_i32_e32 v10, v1
.LBB143_1731:
	s_mov_b32 s0, 0
.LBB143_1732:
	s_delay_alu instid0(SALU_CYCLE_1)
	s_and_not1_b32 vcc_lo, exec_lo, s0
	s_cbranch_vccnz .LBB143_1738
; %bb.1733:
	s_cmp_gt_i32 s16, 0
	s_mov_b32 s0, 0
	s_cbranch_scc0 .LBB143_1735
; %bb.1734:
	global_load_i8 v1, v[8:9], off
	s_wait_loadcnt 0x0
	s_wait_xcnt 0x1
	v_cvt_f32_i32_e32 v10, v1
	s_branch .LBB143_1736
.LBB143_1735:
	s_mov_b32 s0, -1
                                        ; implicit-def: $vgpr10
.LBB143_1736:
	s_delay_alu instid0(SALU_CYCLE_1)
	s_and_not1_b32 vcc_lo, exec_lo, s0
	s_cbranch_vccnz .LBB143_1738
; %bb.1737:
	global_load_u8 v1, v[8:9], off
	s_wait_loadcnt 0x0
	s_wait_xcnt 0x1
	v_cvt_f32_ubyte0_e32 v10, v1
.LBB143_1738:
	s_wait_loadcnt 0x0
	v_mov_b32_e32 v11, 0
.LBB143_1739:
	s_mov_b32 s7, -1
.LBB143_1740:
	s_delay_alu instid0(SALU_CYCLE_1)
	s_and_not1_b32 vcc_lo, exec_lo, s7
	s_cbranch_vccnz .LBB143_1743
; %bb.1741:
	s_and_b32 vcc_lo, exec_lo, s15
	s_cbranch_vccz .LBB143_1789
; %bb.1742:
	s_wait_loadcnt 0x0
	s_delay_alu instid0(VALU_DEP_1) | instskip(NEXT) | instid1(VALU_DEP_2)
	v_cmp_neq_f32_e32 vcc_lo, s8, v10
	v_cmp_neq_f32_e64 s0, s9, v11
	s_or_b32 s6, vcc_lo, s0
	s_mov_b32 s0, 0
	s_branch .LBB143_1790
.LBB143_1743:
	s_mov_b32 s0, 0
	s_mov_b32 s3, 0
                                        ; implicit-def: $sgpr6
.LBB143_1744:
                                        ; implicit-def: $vgpr2_vgpr3
                                        ; implicit-def: $sgpr7
.LBB143_1745:
	s_and_not1_b32 s2, s10, exec_lo
	s_and_b32 s1, s1, exec_lo
	s_and_b32 s0, s0, exec_lo
	;; [unrolled: 1-line block ×3, first 2 shown]
	s_or_b32 s10, s2, s1
.LBB143_1746:
	s_wait_xcnt 0x0
	s_or_b32 exec_lo, exec_lo, s11
	s_and_saveexec_b32 s1, s10
	s_cbranch_execz .LBB143_1749
; %bb.1747:
	; divergent unreachable
	s_or_b32 exec_lo, exec_lo, s1
	s_and_saveexec_b32 s1, s34
	s_delay_alu instid0(SALU_CYCLE_1)
	s_xor_b32 s1, exec_lo, s1
	s_cbranch_execnz .LBB143_1750
.LBB143_1748:
	s_or_b32 exec_lo, exec_lo, s1
	s_and_saveexec_b32 s1, s0
	s_cbranch_execnz .LBB143_1751
	s_branch .LBB143_1788
.LBB143_1749:
	s_or_b32 exec_lo, exec_lo, s1
	s_and_saveexec_b32 s1, s34
	s_delay_alu instid0(SALU_CYCLE_1)
	s_xor_b32 s1, exec_lo, s1
	s_cbranch_execz .LBB143_1748
.LBB143_1750:
	v_cndmask_b32_e64 v0, 0, 1, s6
	global_store_b8 v[2:3], v0, off
	s_wait_xcnt 0x0
	s_or_b32 exec_lo, exec_lo, s1
	s_and_saveexec_b32 s1, s0
	s_cbranch_execz .LBB143_1788
.LBB143_1751:
	s_sext_i32_i16 s1, s7
	s_mov_b32 s0, -1
	s_cmp_lt_i32 s1, 5
	s_cbranch_scc1 .LBB143_1772
; %bb.1752:
	s_cmp_lt_i32 s1, 8
	s_cbranch_scc1 .LBB143_1762
; %bb.1753:
	;; [unrolled: 3-line block ×3, first 2 shown]
	s_cmp_gt_i32 s1, 9
	s_cbranch_scc0 .LBB143_1756
; %bb.1755:
	v_cndmask_b32_e64 v0, 0, 1, s6
	s_wait_loadcnt 0x0
	v_mov_b32_e32 v6, 0
	s_mov_b32 s0, 0
	s_delay_alu instid0(VALU_DEP_2) | instskip(NEXT) | instid1(VALU_DEP_2)
	v_cvt_f64_u32_e32 v[4:5], v0
	v_mov_b32_e32 v7, v6
	global_store_b128 v[2:3], v[4:7], off
.LBB143_1756:
	s_and_not1_b32 vcc_lo, exec_lo, s0
	s_cbranch_vccnz .LBB143_1758
; %bb.1757:
	v_cndmask_b32_e64 v0, 0, 1.0, s6
	v_mov_b32_e32 v1, 0
	global_store_b64 v[2:3], v[0:1], off
.LBB143_1758:
	s_mov_b32 s0, 0
.LBB143_1759:
	s_delay_alu instid0(SALU_CYCLE_1)
	s_and_not1_b32 vcc_lo, exec_lo, s0
	s_cbranch_vccnz .LBB143_1761
; %bb.1760:
	s_wait_xcnt 0x0
	v_cndmask_b32_e64 v0, 0, 1.0, s6
	s_delay_alu instid0(VALU_DEP_1) | instskip(NEXT) | instid1(VALU_DEP_1)
	v_cvt_f16_f32_e32 v0, v0
	v_and_b32_e32 v0, 0xffff, v0
	global_store_b32 v[2:3], v0, off
.LBB143_1761:
	s_mov_b32 s0, 0
.LBB143_1762:
	s_delay_alu instid0(SALU_CYCLE_1)
	s_and_not1_b32 vcc_lo, exec_lo, s0
	s_cbranch_vccnz .LBB143_1771
; %bb.1763:
	s_sext_i32_i16 s1, s7
	s_mov_b32 s0, -1
	s_cmp_lt_i32 s1, 6
	s_cbranch_scc1 .LBB143_1769
; %bb.1764:
	s_cmp_gt_i32 s1, 6
	s_cbranch_scc0 .LBB143_1766
; %bb.1765:
	s_wait_xcnt 0x0
	v_cndmask_b32_e64 v0, 0, 1, s6
	s_mov_b32 s0, 0
	s_delay_alu instid0(VALU_DEP_1)
	v_cvt_f64_u32_e32 v[0:1], v0
	global_store_b64 v[2:3], v[0:1], off
.LBB143_1766:
	s_and_not1_b32 vcc_lo, exec_lo, s0
	s_cbranch_vccnz .LBB143_1768
; %bb.1767:
	s_wait_xcnt 0x0
	v_cndmask_b32_e64 v0, 0, 1.0, s6
	global_store_b32 v[2:3], v0, off
.LBB143_1768:
	s_mov_b32 s0, 0
.LBB143_1769:
	s_delay_alu instid0(SALU_CYCLE_1)
	s_and_not1_b32 vcc_lo, exec_lo, s0
	s_cbranch_vccnz .LBB143_1771
; %bb.1770:
	s_wait_xcnt 0x0
	v_cndmask_b32_e64 v0, 0, 1.0, s6
	s_delay_alu instid0(VALU_DEP_1)
	v_cvt_f16_f32_e32 v0, v0
	global_store_b16 v[2:3], v0, off
.LBB143_1771:
	s_mov_b32 s0, 0
.LBB143_1772:
	s_delay_alu instid0(SALU_CYCLE_1)
	s_and_not1_b32 vcc_lo, exec_lo, s0
	s_cbranch_vccnz .LBB143_1788
; %bb.1773:
	s_sext_i32_i16 s1, s7
	s_mov_b32 s0, -1
	s_cmp_lt_i32 s1, 2
	s_cbranch_scc1 .LBB143_1783
; %bb.1774:
	s_cmp_lt_i32 s1, 3
	s_cbranch_scc1 .LBB143_1780
; %bb.1775:
	s_cmp_gt_i32 s1, 3
	s_cbranch_scc0 .LBB143_1777
; %bb.1776:
	s_mov_b32 s0, 0
	s_wait_xcnt 0x0
	v_cndmask_b32_e64 v0, 0, 1, s6
	v_mov_b32_e32 v1, s0
	global_store_b64 v[2:3], v[0:1], off
.LBB143_1777:
	s_and_not1_b32 vcc_lo, exec_lo, s0
	s_cbranch_vccnz .LBB143_1779
; %bb.1778:
	s_wait_xcnt 0x0
	v_cndmask_b32_e64 v0, 0, 1, s6
	global_store_b32 v[2:3], v0, off
.LBB143_1779:
	s_mov_b32 s0, 0
.LBB143_1780:
	s_delay_alu instid0(SALU_CYCLE_1)
	s_and_not1_b32 vcc_lo, exec_lo, s0
	s_cbranch_vccnz .LBB143_1782
; %bb.1781:
	s_wait_xcnt 0x0
	v_cndmask_b32_e64 v0, 0, 1, s6
	global_store_b16 v[2:3], v0, off
.LBB143_1782:
	s_mov_b32 s0, 0
.LBB143_1783:
	s_delay_alu instid0(SALU_CYCLE_1)
	s_and_not1_b32 vcc_lo, exec_lo, s0
	s_cbranch_vccnz .LBB143_1788
; %bb.1784:
	s_sext_i32_i16 s0, s7
	s_delay_alu instid0(SALU_CYCLE_1)
	s_cmp_gt_i32 s0, 0
	s_mov_b32 s0, -1
	s_cbranch_scc0 .LBB143_1786
; %bb.1785:
	s_wait_xcnt 0x0
	v_cndmask_b32_e64 v0, 0, 1, s6
	s_mov_b32 s0, 0
	global_store_b8 v[2:3], v0, off
.LBB143_1786:
	s_and_not1_b32 vcc_lo, exec_lo, s0
	s_cbranch_vccnz .LBB143_1788
; %bb.1787:
	s_wait_xcnt 0x0
	v_cndmask_b32_e64 v0, 0, 1, s6
	global_store_b8 v[2:3], v0, off
	s_endpgm
.LBB143_1788:
	s_endpgm
.LBB143_1789:
	s_mov_b32 s0, -1
                                        ; implicit-def: $sgpr6
.LBB143_1790:
	s_delay_alu instid0(SALU_CYCLE_1)
	s_and_not1_b32 vcc_lo, exec_lo, s0
	s_cbranch_vccnz .LBB143_1792
; %bb.1791:
	s_wait_loadcnt 0x0
	s_delay_alu instid0(VALU_DEP_1) | instskip(NEXT) | instid1(VALU_DEP_2)
	v_cmp_eq_f32_e32 vcc_lo, s9, v11
	v_cmp_eq_f32_e64 s0, s8, v10
	s_and_not1_b32 s6, s6, exec_lo
	s_and_b32 s0, s0, vcc_lo
	s_delay_alu instid0(SALU_CYCLE_1) | instskip(NEXT) | instid1(SALU_CYCLE_1)
	s_and_b32 s0, s0, exec_lo
	s_or_b32 s6, s6, s0
.LBB143_1792:
	s_load_b32 s0, s[2:3], 0x168
	v_mov_b32_e32 v7, 0
	s_delay_alu instid0(VALU_DEP_1) | instskip(SKIP_2) | instid1(SALU_CYCLE_1)
	v_add_nc_u64_e32 v[6:7], s[4:5], v[6:7]
	s_wait_kmcnt 0x0
	s_and_b32 s7, s0, 0xff
	s_cmp_lt_i32 s7, 11
	s_cbranch_scc1 .LBB143_1870
; %bb.1793:
	s_and_b32 s2, 0xffff, s7
	s_mov_b32 s9, -1
	s_mov_b32 s3, 0
	s_cmp_gt_i32 s2, 25
	s_mov_b32 s8, 0
	s_mov_b32 s0, 0
	s_cbranch_scc0 .LBB143_1826
; %bb.1794:
	s_cmp_gt_i32 s2, 28
	s_cbranch_scc0 .LBB143_1809
; %bb.1795:
	s_cmp_gt_i32 s2, 43
	s_cbranch_scc0 .LBB143_1805
; %bb.1796:
	s_cmp_gt_i32 s2, 45
	s_cbranch_scc0 .LBB143_1799
; %bb.1797:
	s_mov_b32 s0, -1
	s_mov_b32 s9, 0
	s_cmp_eq_u32 s2, 46
	s_cbranch_scc0 .LBB143_1799
; %bb.1798:
	v_cndmask_b32_e64 v1, 0, 1.0, s12
	s_mov_b32 s0, 0
	s_mov_b32 s8, -1
	s_delay_alu instid0(VALU_DEP_1) | instskip(NEXT) | instid1(VALU_DEP_1)
	v_bfe_u32 v3, v1, 16, 1
	v_add3_u32 v1, v1, v3, 0x7fff
	s_delay_alu instid0(VALU_DEP_1)
	v_lshrrev_b32_e32 v1, 16, v1
	global_store_b32 v[6:7], v1, off
.LBB143_1799:
	s_and_b32 vcc_lo, exec_lo, s9
	s_cbranch_vccz .LBB143_1804
; %bb.1800:
	s_cmp_eq_u32 s2, 44
	s_mov_b32 s0, -1
	s_cbranch_scc0 .LBB143_1804
; %bb.1801:
	v_cndmask_b32_e64 v5, 0, 1.0, s12
	v_mov_b32_e32 v3, 0xff
	s_mov_b32 s8, exec_lo
	s_wait_xcnt 0x0
	s_delay_alu instid0(VALU_DEP_2) | instskip(NEXT) | instid1(VALU_DEP_1)
	v_lshrrev_b32_e32 v1, 23, v5
	v_cmpx_ne_u32_e32 0xff, v1
; %bb.1802:
	v_and_b32_e32 v3, 0x400000, v5
	v_and_or_b32 v5, 0x3fffff, v5, v1
	s_delay_alu instid0(VALU_DEP_2) | instskip(NEXT) | instid1(VALU_DEP_2)
	v_cmp_ne_u32_e32 vcc_lo, 0, v3
	v_cmp_ne_u32_e64 s0, 0, v5
	s_and_b32 s0, vcc_lo, s0
	s_delay_alu instid0(SALU_CYCLE_1) | instskip(NEXT) | instid1(VALU_DEP_1)
	v_cndmask_b32_e64 v3, 0, 1, s0
	v_add_nc_u32_e32 v3, v1, v3
; %bb.1803:
	s_or_b32 exec_lo, exec_lo, s8
	s_mov_b32 s0, 0
	s_mov_b32 s8, -1
	global_store_b8 v[6:7], v3, off
.LBB143_1804:
	s_mov_b32 s9, 0
.LBB143_1805:
	s_delay_alu instid0(SALU_CYCLE_1)
	s_and_b32 vcc_lo, exec_lo, s9
	s_cbranch_vccz .LBB143_1808
; %bb.1806:
	s_cmp_eq_u32 s2, 29
	s_mov_b32 s0, -1
	s_cbranch_scc0 .LBB143_1808
; %bb.1807:
	s_mov_b32 s0, 0
	v_cndmask_b32_e64 v8, 0, 1, s12
	v_mov_b32_e32 v9, s0
	s_mov_b32 s8, -1
	global_store_b64 v[6:7], v[8:9], off
.LBB143_1808:
	s_mov_b32 s9, 0
.LBB143_1809:
	s_delay_alu instid0(SALU_CYCLE_1)
	s_and_b32 vcc_lo, exec_lo, s9
	s_cbranch_vccz .LBB143_1825
; %bb.1810:
	s_cmp_lt_i32 s2, 27
	s_mov_b32 s8, -1
	s_cbranch_scc1 .LBB143_1816
; %bb.1811:
	s_cmp_gt_i32 s2, 27
	s_cbranch_scc0 .LBB143_1813
; %bb.1812:
	s_wait_xcnt 0x0
	v_cndmask_b32_e64 v1, 0, 1, s12
	s_mov_b32 s8, 0
	global_store_b32 v[6:7], v1, off
.LBB143_1813:
	s_and_not1_b32 vcc_lo, exec_lo, s8
	s_cbranch_vccnz .LBB143_1815
; %bb.1814:
	s_wait_xcnt 0x0
	v_cndmask_b32_e64 v1, 0, 1, s12
	global_store_b16 v[6:7], v1, off
.LBB143_1815:
	s_mov_b32 s8, 0
.LBB143_1816:
	s_delay_alu instid0(SALU_CYCLE_1)
	s_and_not1_b32 vcc_lo, exec_lo, s8
	s_cbranch_vccnz .LBB143_1824
; %bb.1817:
	s_wait_xcnt 0x0
	v_cndmask_b32_e64 v3, 0, 1.0, s12
	v_mov_b32_e32 v5, 0x80
	s_mov_b32 s8, exec_lo
	s_delay_alu instid0(VALU_DEP_2)
	v_cmpx_gt_u32_e32 0x43800000, v3
	s_cbranch_execz .LBB143_1823
; %bb.1818:
	s_mov_b32 s9, 0
	s_mov_b32 s15, exec_lo
                                        ; implicit-def: $vgpr1
	v_cmpx_lt_u32_e32 0x3bffffff, v3
	s_xor_b32 s15, exec_lo, s15
	s_cbranch_execz .LBB143_2227
; %bb.1819:
	v_bfe_u32 v1, v3, 20, 1
	s_mov_b32 s9, exec_lo
	s_delay_alu instid0(VALU_DEP_1) | instskip(NEXT) | instid1(VALU_DEP_1)
	v_add3_u32 v1, v3, v1, 0x487ffff
                                        ; implicit-def: $vgpr3
	v_lshrrev_b32_e32 v1, 20, v1
	s_and_not1_saveexec_b32 s15, s15
	s_cbranch_execnz .LBB143_2228
.LBB143_1820:
	s_or_b32 exec_lo, exec_lo, s15
	v_mov_b32_e32 v5, 0
	s_and_saveexec_b32 s15, s9
.LBB143_1821:
	v_mov_b32_e32 v5, v1
.LBB143_1822:
	s_or_b32 exec_lo, exec_lo, s15
.LBB143_1823:
	s_delay_alu instid0(SALU_CYCLE_1)
	s_or_b32 exec_lo, exec_lo, s8
	global_store_b8 v[6:7], v5, off
.LBB143_1824:
	s_mov_b32 s8, -1
.LBB143_1825:
	s_mov_b32 s9, 0
.LBB143_1826:
	s_delay_alu instid0(SALU_CYCLE_1)
	s_and_b32 vcc_lo, exec_lo, s9
	s_cbranch_vccz .LBB143_1866
; %bb.1827:
	s_cmp_gt_i32 s2, 22
	s_mov_b32 s3, -1
	s_cbranch_scc0 .LBB143_1859
; %bb.1828:
	s_cmp_lt_i32 s2, 24
	s_cbranch_scc1 .LBB143_1848
; %bb.1829:
	s_cmp_gt_i32 s2, 24
	s_cbranch_scc0 .LBB143_1837
; %bb.1830:
	s_wait_xcnt 0x0
	v_cndmask_b32_e64 v3, 0, 1.0, s12
	v_mov_b32_e32 v5, 0x80
	s_mov_b32 s3, exec_lo
	s_delay_alu instid0(VALU_DEP_2)
	v_cmpx_gt_u32_e32 0x47800000, v3
	s_cbranch_execz .LBB143_1836
; %bb.1831:
	s_mov_b32 s8, 0
	s_mov_b32 s9, exec_lo
                                        ; implicit-def: $vgpr1
	v_cmpx_lt_u32_e32 0x37ffffff, v3
	s_xor_b32 s9, exec_lo, s9
	s_cbranch_execz .LBB143_2230
; %bb.1832:
	v_bfe_u32 v1, v3, 21, 1
	s_mov_b32 s8, exec_lo
	s_delay_alu instid0(VALU_DEP_1) | instskip(NEXT) | instid1(VALU_DEP_1)
	v_add3_u32 v1, v3, v1, 0x88fffff
                                        ; implicit-def: $vgpr3
	v_lshrrev_b32_e32 v1, 21, v1
	s_and_not1_saveexec_b32 s9, s9
	s_cbranch_execnz .LBB143_2231
.LBB143_1833:
	s_or_b32 exec_lo, exec_lo, s9
	v_mov_b32_e32 v5, 0
	s_and_saveexec_b32 s9, s8
.LBB143_1834:
	v_mov_b32_e32 v5, v1
.LBB143_1835:
	s_or_b32 exec_lo, exec_lo, s9
.LBB143_1836:
	s_delay_alu instid0(SALU_CYCLE_1)
	s_or_b32 exec_lo, exec_lo, s3
	s_mov_b32 s3, 0
	global_store_b8 v[6:7], v5, off
.LBB143_1837:
	s_and_b32 vcc_lo, exec_lo, s3
	s_cbranch_vccz .LBB143_1847
; %bb.1838:
	s_wait_xcnt 0x0
	v_cndmask_b32_e64 v3, 0, 1.0, s12
	s_mov_b32 s3, exec_lo
                                        ; implicit-def: $vgpr1
	s_delay_alu instid0(VALU_DEP_1)
	v_cmpx_gt_u32_e32 0x43f00000, v3
	s_xor_b32 s3, exec_lo, s3
	s_cbranch_execz .LBB143_1844
; %bb.1839:
	s_mov_b32 s8, exec_lo
                                        ; implicit-def: $vgpr1
	v_cmpx_lt_u32_e32 0x3c7fffff, v3
	s_xor_b32 s8, exec_lo, s8
; %bb.1840:
	v_bfe_u32 v1, v3, 20, 1
	s_delay_alu instid0(VALU_DEP_1) | instskip(NEXT) | instid1(VALU_DEP_1)
	v_add3_u32 v1, v3, v1, 0x407ffff
	v_and_b32_e32 v3, 0xff00000, v1
	v_lshrrev_b32_e32 v1, 20, v1
	s_delay_alu instid0(VALU_DEP_2) | instskip(NEXT) | instid1(VALU_DEP_2)
	v_cmp_ne_u32_e32 vcc_lo, 0x7f00000, v3
                                        ; implicit-def: $vgpr3
	v_cndmask_b32_e32 v1, 0x7e, v1, vcc_lo
; %bb.1841:
	s_and_not1_saveexec_b32 s8, s8
; %bb.1842:
	v_add_f32_e32 v1, 0x46800000, v3
; %bb.1843:
	s_or_b32 exec_lo, exec_lo, s8
                                        ; implicit-def: $vgpr3
.LBB143_1844:
	s_and_not1_saveexec_b32 s3, s3
; %bb.1845:
	v_mov_b32_e32 v1, 0x7f
	v_cmp_lt_u32_e32 vcc_lo, 0x7f800000, v3
	s_delay_alu instid0(VALU_DEP_2)
	v_cndmask_b32_e32 v1, 0x7e, v1, vcc_lo
; %bb.1846:
	s_or_b32 exec_lo, exec_lo, s3
	global_store_b8 v[6:7], v1, off
.LBB143_1847:
	s_mov_b32 s3, 0
.LBB143_1848:
	s_delay_alu instid0(SALU_CYCLE_1)
	s_and_not1_b32 vcc_lo, exec_lo, s3
	s_cbranch_vccnz .LBB143_1858
; %bb.1849:
	s_wait_xcnt 0x0
	v_cndmask_b32_e64 v3, 0, 1.0, s12
	s_mov_b32 s3, exec_lo
                                        ; implicit-def: $vgpr1
	s_delay_alu instid0(VALU_DEP_1)
	v_cmpx_gt_u32_e32 0x47800000, v3
	s_xor_b32 s3, exec_lo, s3
	s_cbranch_execz .LBB143_1855
; %bb.1850:
	s_mov_b32 s8, exec_lo
                                        ; implicit-def: $vgpr1
	v_cmpx_lt_u32_e32 0x387fffff, v3
	s_xor_b32 s8, exec_lo, s8
; %bb.1851:
	v_bfe_u32 v1, v3, 21, 1
	s_delay_alu instid0(VALU_DEP_1) | instskip(NEXT) | instid1(VALU_DEP_1)
	v_add3_u32 v1, v3, v1, 0x80fffff
                                        ; implicit-def: $vgpr3
	v_lshrrev_b32_e32 v1, 21, v1
; %bb.1852:
	s_and_not1_saveexec_b32 s8, s8
; %bb.1853:
	v_add_f32_e32 v1, 0x43000000, v3
; %bb.1854:
	s_or_b32 exec_lo, exec_lo, s8
                                        ; implicit-def: $vgpr3
.LBB143_1855:
	s_and_not1_saveexec_b32 s3, s3
; %bb.1856:
	v_mov_b32_e32 v1, 0x7f
	v_cmp_lt_u32_e32 vcc_lo, 0x7f800000, v3
	s_delay_alu instid0(VALU_DEP_2)
	v_cndmask_b32_e32 v1, 0x7c, v1, vcc_lo
; %bb.1857:
	s_or_b32 exec_lo, exec_lo, s3
	global_store_b8 v[6:7], v1, off
.LBB143_1858:
	s_mov_b32 s3, 0
	s_mov_b32 s8, -1
.LBB143_1859:
	s_and_not1_b32 vcc_lo, exec_lo, s3
	s_mov_b32 s3, 0
	s_cbranch_vccnz .LBB143_1866
; %bb.1860:
	s_cmp_gt_i32 s2, 14
	s_mov_b32 s3, -1
	s_cbranch_scc0 .LBB143_1864
; %bb.1861:
	s_cmp_eq_u32 s2, 15
	s_mov_b32 s0, -1
	s_cbranch_scc0 .LBB143_1863
; %bb.1862:
	s_wait_xcnt 0x0
	v_cndmask_b32_e64 v1, 0, 1.0, s12
	s_mov_b32 s0, 0
	s_mov_b32 s8, -1
	s_delay_alu instid0(VALU_DEP_1) | instskip(NEXT) | instid1(VALU_DEP_1)
	v_bfe_u32 v3, v1, 16, 1
	v_add3_u32 v1, v1, v3, 0x7fff
	global_store_d16_hi_b16 v[6:7], v1, off
.LBB143_1863:
	s_mov_b32 s3, 0
.LBB143_1864:
	s_delay_alu instid0(SALU_CYCLE_1)
	s_and_b32 vcc_lo, exec_lo, s3
	s_mov_b32 s3, 0
	s_cbranch_vccz .LBB143_1866
; %bb.1865:
	s_cmp_lg_u32 s2, 11
	s_mov_b32 s3, -1
	s_cselect_b32 s0, -1, 0
.LBB143_1866:
	s_delay_alu instid0(SALU_CYCLE_1)
	s_and_b32 vcc_lo, exec_lo, s0
	s_cbranch_vccnz .LBB143_2229
; %bb.1867:
	s_and_not1_b32 vcc_lo, exec_lo, s3
	s_cbranch_vccnz .LBB143_1869
.LBB143_1868:
	s_wait_xcnt 0x0
	v_cndmask_b32_e64 v1, 0, 1, s12
	s_mov_b32 s8, -1
	global_store_b8 v[6:7], v1, off
.LBB143_1869:
	s_mov_b32 s0, 0
	s_branch .LBB143_1871
.LBB143_1870:
	s_mov_b32 s0, -1
	s_mov_b32 s8, 0
.LBB143_1871:
	s_and_b32 vcc_lo, exec_lo, s0
	s_cbranch_vccz .LBB143_1910
; %bb.1872:
	s_and_b32 s0, 0xffff, s7
	s_mov_b32 s2, -1
	s_cmp_lt_i32 s0, 5
	s_cbranch_scc1 .LBB143_1893
; %bb.1873:
	s_cmp_lt_i32 s0, 8
	s_cbranch_scc1 .LBB143_1883
; %bb.1874:
	;; [unrolled: 3-line block ×3, first 2 shown]
	s_cmp_gt_i32 s0, 9
	s_cbranch_scc0 .LBB143_1877
; %bb.1876:
	s_wait_xcnt 0x0
	v_cndmask_b32_e64 v1, 0, 1, s12
	s_wait_loadcnt 0x0
	v_mov_b32_e32 v10, 0
	s_mov_b32 s2, 0
	s_delay_alu instid0(VALU_DEP_2) | instskip(NEXT) | instid1(VALU_DEP_2)
	v_cvt_f64_u32_e32 v[8:9], v1
	v_mov_b32_e32 v11, v10
	global_store_b128 v[6:7], v[8:11], off
.LBB143_1877:
	s_and_not1_b32 vcc_lo, exec_lo, s2
	s_cbranch_vccnz .LBB143_1879
; %bb.1878:
	s_wait_xcnt 0x0
	v_cndmask_b32_e64 v8, 0, 1.0, s12
	v_mov_b32_e32 v9, 0
	global_store_b64 v[6:7], v[8:9], off
.LBB143_1879:
	s_mov_b32 s2, 0
.LBB143_1880:
	s_delay_alu instid0(SALU_CYCLE_1)
	s_and_not1_b32 vcc_lo, exec_lo, s2
	s_cbranch_vccnz .LBB143_1882
; %bb.1881:
	s_wait_xcnt 0x0
	v_cndmask_b32_e64 v1, 0, 1.0, s12
	s_delay_alu instid0(VALU_DEP_1) | instskip(NEXT) | instid1(VALU_DEP_1)
	v_cvt_f16_f32_e32 v1, v1
	v_and_b32_e32 v1, 0xffff, v1
	global_store_b32 v[6:7], v1, off
.LBB143_1882:
	s_mov_b32 s2, 0
.LBB143_1883:
	s_delay_alu instid0(SALU_CYCLE_1)
	s_and_not1_b32 vcc_lo, exec_lo, s2
	s_cbranch_vccnz .LBB143_1892
; %bb.1884:
	s_cmp_lt_i32 s0, 6
	s_mov_b32 s2, -1
	s_cbranch_scc1 .LBB143_1890
; %bb.1885:
	s_cmp_gt_i32 s0, 6
	s_cbranch_scc0 .LBB143_1887
; %bb.1886:
	s_wait_xcnt 0x0
	v_cndmask_b32_e64 v1, 0, 1, s12
	s_mov_b32 s2, 0
	s_delay_alu instid0(VALU_DEP_1)
	v_cvt_f64_u32_e32 v[8:9], v1
	global_store_b64 v[6:7], v[8:9], off
.LBB143_1887:
	s_and_not1_b32 vcc_lo, exec_lo, s2
	s_cbranch_vccnz .LBB143_1889
; %bb.1888:
	s_wait_xcnt 0x0
	v_cndmask_b32_e64 v1, 0, 1.0, s12
	global_store_b32 v[6:7], v1, off
.LBB143_1889:
	s_mov_b32 s2, 0
.LBB143_1890:
	s_delay_alu instid0(SALU_CYCLE_1)
	s_and_not1_b32 vcc_lo, exec_lo, s2
	s_cbranch_vccnz .LBB143_1892
; %bb.1891:
	s_wait_xcnt 0x0
	v_cndmask_b32_e64 v1, 0, 1.0, s12
	s_delay_alu instid0(VALU_DEP_1)
	v_cvt_f16_f32_e32 v1, v1
	global_store_b16 v[6:7], v1, off
.LBB143_1892:
	s_mov_b32 s2, 0
.LBB143_1893:
	s_delay_alu instid0(SALU_CYCLE_1)
	s_and_not1_b32 vcc_lo, exec_lo, s2
	s_cbranch_vccnz .LBB143_1909
; %bb.1894:
	s_cmp_lt_i32 s0, 2
	s_mov_b32 s2, -1
	s_cbranch_scc1 .LBB143_1904
; %bb.1895:
	s_cmp_lt_i32 s0, 3
	s_cbranch_scc1 .LBB143_1901
; %bb.1896:
	s_cmp_gt_i32 s0, 3
	s_cbranch_scc0 .LBB143_1898
; %bb.1897:
	s_mov_b32 s2, 0
	s_wait_xcnt 0x0
	v_cndmask_b32_e64 v8, 0, 1, s12
	v_mov_b32_e32 v9, s2
	global_store_b64 v[6:7], v[8:9], off
.LBB143_1898:
	s_and_not1_b32 vcc_lo, exec_lo, s2
	s_cbranch_vccnz .LBB143_1900
; %bb.1899:
	s_wait_xcnt 0x0
	v_cndmask_b32_e64 v1, 0, 1, s12
	global_store_b32 v[6:7], v1, off
.LBB143_1900:
	s_mov_b32 s2, 0
.LBB143_1901:
	s_delay_alu instid0(SALU_CYCLE_1)
	s_and_not1_b32 vcc_lo, exec_lo, s2
	s_cbranch_vccnz .LBB143_1903
; %bb.1902:
	s_wait_xcnt 0x0
	v_cndmask_b32_e64 v1, 0, 1, s12
	global_store_b16 v[6:7], v1, off
.LBB143_1903:
	s_mov_b32 s2, 0
.LBB143_1904:
	s_delay_alu instid0(SALU_CYCLE_1)
	s_and_not1_b32 vcc_lo, exec_lo, s2
	s_cbranch_vccnz .LBB143_1909
; %bb.1905:
	s_wait_xcnt 0x0
	v_cndmask_b32_e64 v1, 0, 1, s12
	s_cmp_gt_i32 s0, 0
	s_mov_b32 s0, -1
	s_cbranch_scc0 .LBB143_1907
; %bb.1906:
	s_mov_b32 s0, 0
	global_store_b8 v[6:7], v1, off
.LBB143_1907:
	s_and_not1_b32 vcc_lo, exec_lo, s0
	s_cbranch_vccnz .LBB143_1909
; %bb.1908:
	global_store_b8 v[6:7], v1, off
.LBB143_1909:
	s_mov_b32 s8, -1
.LBB143_1910:
	s_delay_alu instid0(SALU_CYCLE_1)
	s_and_not1_b32 vcc_lo, exec_lo, s8
	s_cbranch_vccnz .LBB143_2225
; %bb.1911:
	s_wait_xcnt 0x0
	v_mov_b32_e32 v5, 0
	s_and_b32 s2, 0xffff, s7
	s_delay_alu instid0(SALU_CYCLE_1) | instskip(NEXT) | instid1(VALU_DEP_1)
	s_cmp_lt_i32 s2, 11
	v_add_nc_u64_e32 v[4:5], s[4:5], v[4:5]
	s_cbranch_scc1 .LBB143_1989
; %bb.1912:
	s_mov_b32 s9, -1
	s_mov_b32 s3, 0
	s_cmp_gt_i32 s2, 25
	s_mov_b32 s8, 0
	s_mov_b32 s0, 0
	s_cbranch_scc0 .LBB143_1945
; %bb.1913:
	s_cmp_gt_i32 s2, 28
	s_cbranch_scc0 .LBB143_1928
; %bb.1914:
	s_cmp_gt_i32 s2, 43
	;; [unrolled: 3-line block ×3, first 2 shown]
	s_cbranch_scc0 .LBB143_1918
; %bb.1916:
	s_mov_b32 s0, -1
	s_mov_b32 s9, 0
	s_cmp_eq_u32 s2, 46
	s_cbranch_scc0 .LBB143_1918
; %bb.1917:
	v_cndmask_b32_e64 v1, 0, 1.0, s13
	s_mov_b32 s0, 0
	s_mov_b32 s8, -1
	s_delay_alu instid0(VALU_DEP_1) | instskip(NEXT) | instid1(VALU_DEP_1)
	v_bfe_u32 v3, v1, 16, 1
	v_add3_u32 v1, v1, v3, 0x7fff
	s_delay_alu instid0(VALU_DEP_1)
	v_lshrrev_b32_e32 v1, 16, v1
	global_store_b32 v[4:5], v1, off
.LBB143_1918:
	s_and_b32 vcc_lo, exec_lo, s9
	s_cbranch_vccz .LBB143_1923
; %bb.1919:
	s_cmp_eq_u32 s2, 44
	s_mov_b32 s0, -1
	s_cbranch_scc0 .LBB143_1923
; %bb.1920:
	v_cndmask_b32_e64 v6, 0, 1.0, s13
	v_mov_b32_e32 v3, 0xff
	s_mov_b32 s8, exec_lo
	s_wait_xcnt 0x0
	s_delay_alu instid0(VALU_DEP_2) | instskip(NEXT) | instid1(VALU_DEP_1)
	v_lshrrev_b32_e32 v1, 23, v6
	v_cmpx_ne_u32_e32 0xff, v1
; %bb.1921:
	v_and_b32_e32 v3, 0x400000, v6
	v_and_or_b32 v6, 0x3fffff, v6, v1
	s_delay_alu instid0(VALU_DEP_2) | instskip(NEXT) | instid1(VALU_DEP_2)
	v_cmp_ne_u32_e32 vcc_lo, 0, v3
	v_cmp_ne_u32_e64 s0, 0, v6
	s_and_b32 s0, vcc_lo, s0
	s_delay_alu instid0(SALU_CYCLE_1) | instskip(NEXT) | instid1(VALU_DEP_1)
	v_cndmask_b32_e64 v3, 0, 1, s0
	v_add_nc_u32_e32 v3, v1, v3
; %bb.1922:
	s_or_b32 exec_lo, exec_lo, s8
	s_mov_b32 s0, 0
	s_mov_b32 s8, -1
	global_store_b8 v[4:5], v3, off
.LBB143_1923:
	s_mov_b32 s9, 0
.LBB143_1924:
	s_delay_alu instid0(SALU_CYCLE_1)
	s_and_b32 vcc_lo, exec_lo, s9
	s_cbranch_vccz .LBB143_1927
; %bb.1925:
	s_cmp_eq_u32 s2, 29
	s_mov_b32 s0, -1
	s_cbranch_scc0 .LBB143_1927
; %bb.1926:
	s_mov_b32 s0, 0
	v_cndmask_b32_e64 v6, 0, 1, s13
	v_mov_b32_e32 v7, s0
	s_mov_b32 s8, -1
	global_store_b64 v[4:5], v[6:7], off
.LBB143_1927:
	s_mov_b32 s9, 0
.LBB143_1928:
	s_delay_alu instid0(SALU_CYCLE_1)
	s_and_b32 vcc_lo, exec_lo, s9
	s_cbranch_vccz .LBB143_1944
; %bb.1929:
	s_cmp_lt_i32 s2, 27
	s_mov_b32 s8, -1
	s_cbranch_scc1 .LBB143_1935
; %bb.1930:
	s_cmp_gt_i32 s2, 27
	s_cbranch_scc0 .LBB143_1932
; %bb.1931:
	s_wait_xcnt 0x0
	v_cndmask_b32_e64 v1, 0, 1, s13
	s_mov_b32 s8, 0
	global_store_b32 v[4:5], v1, off
.LBB143_1932:
	s_and_not1_b32 vcc_lo, exec_lo, s8
	s_cbranch_vccnz .LBB143_1934
; %bb.1933:
	s_wait_xcnt 0x0
	v_cndmask_b32_e64 v1, 0, 1, s13
	global_store_b16 v[4:5], v1, off
.LBB143_1934:
	s_mov_b32 s8, 0
.LBB143_1935:
	s_delay_alu instid0(SALU_CYCLE_1)
	s_and_not1_b32 vcc_lo, exec_lo, s8
	s_cbranch_vccnz .LBB143_1943
; %bb.1936:
	s_wait_xcnt 0x0
	v_cndmask_b32_e64 v3, 0, 1.0, s13
	v_mov_b32_e32 v6, 0x80
	s_mov_b32 s8, exec_lo
	s_delay_alu instid0(VALU_DEP_2)
	v_cmpx_gt_u32_e32 0x43800000, v3
	s_cbranch_execz .LBB143_1942
; %bb.1937:
	s_mov_b32 s9, 0
	s_mov_b32 s12, exec_lo
                                        ; implicit-def: $vgpr1
	v_cmpx_lt_u32_e32 0x3bffffff, v3
	s_xor_b32 s12, exec_lo, s12
	s_cbranch_execz .LBB143_2232
; %bb.1938:
	v_bfe_u32 v1, v3, 20, 1
	s_mov_b32 s9, exec_lo
	s_delay_alu instid0(VALU_DEP_1) | instskip(NEXT) | instid1(VALU_DEP_1)
	v_add3_u32 v1, v3, v1, 0x487ffff
                                        ; implicit-def: $vgpr3
	v_lshrrev_b32_e32 v1, 20, v1
	s_and_not1_saveexec_b32 s12, s12
	s_cbranch_execnz .LBB143_2233
.LBB143_1939:
	s_or_b32 exec_lo, exec_lo, s12
	v_mov_b32_e32 v6, 0
	s_and_saveexec_b32 s12, s9
.LBB143_1940:
	v_mov_b32_e32 v6, v1
.LBB143_1941:
	s_or_b32 exec_lo, exec_lo, s12
.LBB143_1942:
	s_delay_alu instid0(SALU_CYCLE_1)
	s_or_b32 exec_lo, exec_lo, s8
	global_store_b8 v[4:5], v6, off
.LBB143_1943:
	s_mov_b32 s8, -1
.LBB143_1944:
	s_mov_b32 s9, 0
.LBB143_1945:
	s_delay_alu instid0(SALU_CYCLE_1)
	s_and_b32 vcc_lo, exec_lo, s9
	s_cbranch_vccz .LBB143_1985
; %bb.1946:
	s_cmp_gt_i32 s2, 22
	s_mov_b32 s3, -1
	s_cbranch_scc0 .LBB143_1978
; %bb.1947:
	s_cmp_lt_i32 s2, 24
	s_cbranch_scc1 .LBB143_1967
; %bb.1948:
	s_cmp_gt_i32 s2, 24
	s_cbranch_scc0 .LBB143_1956
; %bb.1949:
	s_wait_xcnt 0x0
	v_cndmask_b32_e64 v3, 0, 1.0, s13
	v_mov_b32_e32 v6, 0x80
	s_mov_b32 s3, exec_lo
	s_delay_alu instid0(VALU_DEP_2)
	v_cmpx_gt_u32_e32 0x47800000, v3
	s_cbranch_execz .LBB143_1955
; %bb.1950:
	s_mov_b32 s8, 0
	s_mov_b32 s9, exec_lo
                                        ; implicit-def: $vgpr1
	v_cmpx_lt_u32_e32 0x37ffffff, v3
	s_xor_b32 s9, exec_lo, s9
	s_cbranch_execz .LBB143_2235
; %bb.1951:
	v_bfe_u32 v1, v3, 21, 1
	s_mov_b32 s8, exec_lo
	s_delay_alu instid0(VALU_DEP_1) | instskip(NEXT) | instid1(VALU_DEP_1)
	v_add3_u32 v1, v3, v1, 0x88fffff
                                        ; implicit-def: $vgpr3
	v_lshrrev_b32_e32 v1, 21, v1
	s_and_not1_saveexec_b32 s9, s9
	s_cbranch_execnz .LBB143_2236
.LBB143_1952:
	s_or_b32 exec_lo, exec_lo, s9
	v_mov_b32_e32 v6, 0
	s_and_saveexec_b32 s9, s8
.LBB143_1953:
	v_mov_b32_e32 v6, v1
.LBB143_1954:
	s_or_b32 exec_lo, exec_lo, s9
.LBB143_1955:
	s_delay_alu instid0(SALU_CYCLE_1)
	s_or_b32 exec_lo, exec_lo, s3
	s_mov_b32 s3, 0
	global_store_b8 v[4:5], v6, off
.LBB143_1956:
	s_and_b32 vcc_lo, exec_lo, s3
	s_cbranch_vccz .LBB143_1966
; %bb.1957:
	s_wait_xcnt 0x0
	v_cndmask_b32_e64 v3, 0, 1.0, s13
	s_mov_b32 s3, exec_lo
                                        ; implicit-def: $vgpr1
	s_delay_alu instid0(VALU_DEP_1)
	v_cmpx_gt_u32_e32 0x43f00000, v3
	s_xor_b32 s3, exec_lo, s3
	s_cbranch_execz .LBB143_1963
; %bb.1958:
	s_mov_b32 s8, exec_lo
                                        ; implicit-def: $vgpr1
	v_cmpx_lt_u32_e32 0x3c7fffff, v3
	s_xor_b32 s8, exec_lo, s8
; %bb.1959:
	v_bfe_u32 v1, v3, 20, 1
	s_delay_alu instid0(VALU_DEP_1) | instskip(NEXT) | instid1(VALU_DEP_1)
	v_add3_u32 v1, v3, v1, 0x407ffff
	v_and_b32_e32 v3, 0xff00000, v1
	v_lshrrev_b32_e32 v1, 20, v1
	s_delay_alu instid0(VALU_DEP_2) | instskip(NEXT) | instid1(VALU_DEP_2)
	v_cmp_ne_u32_e32 vcc_lo, 0x7f00000, v3
                                        ; implicit-def: $vgpr3
	v_cndmask_b32_e32 v1, 0x7e, v1, vcc_lo
; %bb.1960:
	s_and_not1_saveexec_b32 s8, s8
; %bb.1961:
	v_add_f32_e32 v1, 0x46800000, v3
; %bb.1962:
	s_or_b32 exec_lo, exec_lo, s8
                                        ; implicit-def: $vgpr3
.LBB143_1963:
	s_and_not1_saveexec_b32 s3, s3
; %bb.1964:
	v_mov_b32_e32 v1, 0x7f
	v_cmp_lt_u32_e32 vcc_lo, 0x7f800000, v3
	s_delay_alu instid0(VALU_DEP_2)
	v_cndmask_b32_e32 v1, 0x7e, v1, vcc_lo
; %bb.1965:
	s_or_b32 exec_lo, exec_lo, s3
	global_store_b8 v[4:5], v1, off
.LBB143_1966:
	s_mov_b32 s3, 0
.LBB143_1967:
	s_delay_alu instid0(SALU_CYCLE_1)
	s_and_not1_b32 vcc_lo, exec_lo, s3
	s_cbranch_vccnz .LBB143_1977
; %bb.1968:
	s_wait_xcnt 0x0
	v_cndmask_b32_e64 v3, 0, 1.0, s13
	s_mov_b32 s3, exec_lo
                                        ; implicit-def: $vgpr1
	s_delay_alu instid0(VALU_DEP_1)
	v_cmpx_gt_u32_e32 0x47800000, v3
	s_xor_b32 s3, exec_lo, s3
	s_cbranch_execz .LBB143_1974
; %bb.1969:
	s_mov_b32 s8, exec_lo
                                        ; implicit-def: $vgpr1
	v_cmpx_lt_u32_e32 0x387fffff, v3
	s_xor_b32 s8, exec_lo, s8
; %bb.1970:
	v_bfe_u32 v1, v3, 21, 1
	s_delay_alu instid0(VALU_DEP_1) | instskip(NEXT) | instid1(VALU_DEP_1)
	v_add3_u32 v1, v3, v1, 0x80fffff
                                        ; implicit-def: $vgpr3
	v_lshrrev_b32_e32 v1, 21, v1
; %bb.1971:
	s_and_not1_saveexec_b32 s8, s8
; %bb.1972:
	v_add_f32_e32 v1, 0x43000000, v3
; %bb.1973:
	s_or_b32 exec_lo, exec_lo, s8
                                        ; implicit-def: $vgpr3
.LBB143_1974:
	s_and_not1_saveexec_b32 s3, s3
; %bb.1975:
	v_mov_b32_e32 v1, 0x7f
	v_cmp_lt_u32_e32 vcc_lo, 0x7f800000, v3
	s_delay_alu instid0(VALU_DEP_2)
	v_cndmask_b32_e32 v1, 0x7c, v1, vcc_lo
; %bb.1976:
	s_or_b32 exec_lo, exec_lo, s3
	global_store_b8 v[4:5], v1, off
.LBB143_1977:
	s_mov_b32 s3, 0
	s_mov_b32 s8, -1
.LBB143_1978:
	s_and_not1_b32 vcc_lo, exec_lo, s3
	s_mov_b32 s3, 0
	s_cbranch_vccnz .LBB143_1985
; %bb.1979:
	s_cmp_gt_i32 s2, 14
	s_mov_b32 s3, -1
	s_cbranch_scc0 .LBB143_1983
; %bb.1980:
	s_cmp_eq_u32 s2, 15
	s_mov_b32 s0, -1
	s_cbranch_scc0 .LBB143_1982
; %bb.1981:
	s_wait_xcnt 0x0
	v_cndmask_b32_e64 v1, 0, 1.0, s13
	s_mov_b32 s0, 0
	s_mov_b32 s8, -1
	s_delay_alu instid0(VALU_DEP_1) | instskip(NEXT) | instid1(VALU_DEP_1)
	v_bfe_u32 v3, v1, 16, 1
	v_add3_u32 v1, v1, v3, 0x7fff
	global_store_d16_hi_b16 v[4:5], v1, off
.LBB143_1982:
	s_mov_b32 s3, 0
.LBB143_1983:
	s_delay_alu instid0(SALU_CYCLE_1)
	s_and_b32 vcc_lo, exec_lo, s3
	s_mov_b32 s3, 0
	s_cbranch_vccz .LBB143_1985
; %bb.1984:
	s_cmp_lg_u32 s2, 11
	s_mov_b32 s3, -1
	s_cselect_b32 s0, -1, 0
.LBB143_1985:
	s_delay_alu instid0(SALU_CYCLE_1)
	s_and_b32 vcc_lo, exec_lo, s0
	s_cbranch_vccnz .LBB143_2234
; %bb.1986:
	s_and_not1_b32 vcc_lo, exec_lo, s3
	s_cbranch_vccnz .LBB143_1988
.LBB143_1987:
	s_wait_xcnt 0x0
	v_cndmask_b32_e64 v1, 0, 1, s13
	s_mov_b32 s8, -1
	global_store_b8 v[4:5], v1, off
.LBB143_1988:
	s_mov_b32 s0, 0
	s_branch .LBB143_1990
.LBB143_1989:
	s_mov_b32 s0, -1
	s_mov_b32 s8, 0
.LBB143_1990:
	s_and_b32 vcc_lo, exec_lo, s0
	s_cbranch_vccz .LBB143_2029
; %bb.1991:
	s_cmp_lt_i32 s2, 5
	s_mov_b32 s0, -1
	s_cbranch_scc1 .LBB143_2012
; %bb.1992:
	s_cmp_lt_i32 s2, 8
	s_cbranch_scc1 .LBB143_2002
; %bb.1993:
	s_cmp_lt_i32 s2, 9
	s_cbranch_scc1 .LBB143_1999
; %bb.1994:
	s_cmp_gt_i32 s2, 9
	s_cbranch_scc0 .LBB143_1996
; %bb.1995:
	s_wait_xcnt 0x0
	v_cndmask_b32_e64 v1, 0, 1, s13
	v_mov_b32_e32 v8, 0
	s_mov_b32 s0, 0
	s_delay_alu instid0(VALU_DEP_2) | instskip(NEXT) | instid1(VALU_DEP_2)
	v_cvt_f64_u32_e32 v[6:7], v1
	v_mov_b32_e32 v9, v8
	global_store_b128 v[4:5], v[6:9], off
.LBB143_1996:
	s_and_not1_b32 vcc_lo, exec_lo, s0
	s_cbranch_vccnz .LBB143_1998
; %bb.1997:
	s_wait_xcnt 0x0
	v_cndmask_b32_e64 v6, 0, 1.0, s13
	v_mov_b32_e32 v7, 0
	global_store_b64 v[4:5], v[6:7], off
.LBB143_1998:
	s_mov_b32 s0, 0
.LBB143_1999:
	s_delay_alu instid0(SALU_CYCLE_1)
	s_and_not1_b32 vcc_lo, exec_lo, s0
	s_cbranch_vccnz .LBB143_2001
; %bb.2000:
	s_wait_xcnt 0x0
	v_cndmask_b32_e64 v1, 0, 1.0, s13
	s_delay_alu instid0(VALU_DEP_1) | instskip(NEXT) | instid1(VALU_DEP_1)
	v_cvt_f16_f32_e32 v1, v1
	v_and_b32_e32 v1, 0xffff, v1
	global_store_b32 v[4:5], v1, off
.LBB143_2001:
	s_mov_b32 s0, 0
.LBB143_2002:
	s_delay_alu instid0(SALU_CYCLE_1)
	s_and_not1_b32 vcc_lo, exec_lo, s0
	s_cbranch_vccnz .LBB143_2011
; %bb.2003:
	s_cmp_lt_i32 s2, 6
	s_mov_b32 s0, -1
	s_cbranch_scc1 .LBB143_2009
; %bb.2004:
	s_cmp_gt_i32 s2, 6
	s_cbranch_scc0 .LBB143_2006
; %bb.2005:
	s_wait_xcnt 0x0
	v_cndmask_b32_e64 v1, 0, 1, s13
	s_mov_b32 s0, 0
	s_delay_alu instid0(VALU_DEP_1)
	v_cvt_f64_u32_e32 v[6:7], v1
	global_store_b64 v[4:5], v[6:7], off
.LBB143_2006:
	s_and_not1_b32 vcc_lo, exec_lo, s0
	s_cbranch_vccnz .LBB143_2008
; %bb.2007:
	s_wait_xcnt 0x0
	v_cndmask_b32_e64 v1, 0, 1.0, s13
	global_store_b32 v[4:5], v1, off
.LBB143_2008:
	s_mov_b32 s0, 0
.LBB143_2009:
	s_delay_alu instid0(SALU_CYCLE_1)
	s_and_not1_b32 vcc_lo, exec_lo, s0
	s_cbranch_vccnz .LBB143_2011
; %bb.2010:
	s_wait_xcnt 0x0
	v_cndmask_b32_e64 v1, 0, 1.0, s13
	s_delay_alu instid0(VALU_DEP_1)
	v_cvt_f16_f32_e32 v1, v1
	global_store_b16 v[4:5], v1, off
.LBB143_2011:
	s_mov_b32 s0, 0
.LBB143_2012:
	s_delay_alu instid0(SALU_CYCLE_1)
	s_and_not1_b32 vcc_lo, exec_lo, s0
	s_cbranch_vccnz .LBB143_2028
; %bb.2013:
	s_cmp_lt_i32 s2, 2
	s_mov_b32 s0, -1
	s_cbranch_scc1 .LBB143_2023
; %bb.2014:
	s_cmp_lt_i32 s2, 3
	s_cbranch_scc1 .LBB143_2020
; %bb.2015:
	s_cmp_gt_i32 s2, 3
	s_cbranch_scc0 .LBB143_2017
; %bb.2016:
	s_mov_b32 s0, 0
	s_wait_xcnt 0x0
	v_cndmask_b32_e64 v6, 0, 1, s13
	v_mov_b32_e32 v7, s0
	global_store_b64 v[4:5], v[6:7], off
.LBB143_2017:
	s_and_not1_b32 vcc_lo, exec_lo, s0
	s_cbranch_vccnz .LBB143_2019
; %bb.2018:
	s_wait_xcnt 0x0
	v_cndmask_b32_e64 v1, 0, 1, s13
	global_store_b32 v[4:5], v1, off
.LBB143_2019:
	s_mov_b32 s0, 0
.LBB143_2020:
	s_delay_alu instid0(SALU_CYCLE_1)
	s_and_not1_b32 vcc_lo, exec_lo, s0
	s_cbranch_vccnz .LBB143_2022
; %bb.2021:
	s_wait_xcnt 0x0
	v_cndmask_b32_e64 v1, 0, 1, s13
	global_store_b16 v[4:5], v1, off
.LBB143_2022:
	s_mov_b32 s0, 0
.LBB143_2023:
	s_delay_alu instid0(SALU_CYCLE_1)
	s_and_not1_b32 vcc_lo, exec_lo, s0
	s_cbranch_vccnz .LBB143_2028
; %bb.2024:
	s_wait_xcnt 0x0
	v_cndmask_b32_e64 v1, 0, 1, s13
	s_cmp_gt_i32 s2, 0
	s_mov_b32 s0, -1
	s_cbranch_scc0 .LBB143_2026
; %bb.2025:
	s_mov_b32 s0, 0
	global_store_b8 v[4:5], v1, off
.LBB143_2026:
	s_and_not1_b32 vcc_lo, exec_lo, s0
	s_cbranch_vccnz .LBB143_2028
; %bb.2027:
	global_store_b8 v[4:5], v1, off
.LBB143_2028:
	s_mov_b32 s8, -1
.LBB143_2029:
	s_delay_alu instid0(SALU_CYCLE_1)
	s_and_not1_b32 vcc_lo, exec_lo, s8
	s_cbranch_vccnz .LBB143_2225
; %bb.2030:
	s_wait_xcnt 0x0
	v_mov_b32_e32 v3, 0
	s_cmp_lt_i32 s2, 11
	s_delay_alu instid0(VALU_DEP_1)
	v_add_nc_u64_e32 v[2:3], s[4:5], v[2:3]
	s_cbranch_scc1 .LBB143_2108
; %bb.2031:
	s_mov_b32 s9, -1
	s_mov_b32 s3, 0
	s_cmp_gt_i32 s2, 25
	s_mov_b32 s8, 0
	s_mov_b32 s0, 0
	s_cbranch_scc0 .LBB143_2064
; %bb.2032:
	s_cmp_gt_i32 s2, 28
	s_cbranch_scc0 .LBB143_2047
; %bb.2033:
	s_cmp_gt_i32 s2, 43
	;; [unrolled: 3-line block ×3, first 2 shown]
	s_cbranch_scc0 .LBB143_2037
; %bb.2035:
	s_mov_b32 s0, -1
	s_mov_b32 s9, 0
	s_cmp_eq_u32 s2, 46
	s_cbranch_scc0 .LBB143_2037
; %bb.2036:
	v_cndmask_b32_e64 v1, 0, 1.0, s14
	s_mov_b32 s0, 0
	s_mov_b32 s8, -1
	s_delay_alu instid0(VALU_DEP_1) | instskip(NEXT) | instid1(VALU_DEP_1)
	v_bfe_u32 v4, v1, 16, 1
	v_add3_u32 v1, v1, v4, 0x7fff
	s_delay_alu instid0(VALU_DEP_1)
	v_lshrrev_b32_e32 v1, 16, v1
	global_store_b32 v[2:3], v1, off
.LBB143_2037:
	s_and_b32 vcc_lo, exec_lo, s9
	s_cbranch_vccz .LBB143_2042
; %bb.2038:
	s_cmp_eq_u32 s2, 44
	s_mov_b32 s0, -1
	s_cbranch_scc0 .LBB143_2042
; %bb.2039:
	v_cndmask_b32_e64 v5, 0, 1.0, s14
	s_mov_b32 s8, exec_lo
	s_wait_xcnt 0x0
	s_delay_alu instid0(VALU_DEP_1) | instskip(NEXT) | instid1(VALU_DEP_1)
	v_dual_mov_b32 v4, 0xff :: v_dual_lshrrev_b32 v1, 23, v5
	v_cmpx_ne_u32_e32 0xff, v1
; %bb.2040:
	v_and_b32_e32 v4, 0x400000, v5
	v_and_or_b32 v5, 0x3fffff, v5, v1
	s_delay_alu instid0(VALU_DEP_2) | instskip(NEXT) | instid1(VALU_DEP_2)
	v_cmp_ne_u32_e32 vcc_lo, 0, v4
	v_cmp_ne_u32_e64 s0, 0, v5
	s_and_b32 s0, vcc_lo, s0
	s_delay_alu instid0(SALU_CYCLE_1) | instskip(NEXT) | instid1(VALU_DEP_1)
	v_cndmask_b32_e64 v4, 0, 1, s0
	v_add_nc_u32_e32 v4, v1, v4
; %bb.2041:
	s_or_b32 exec_lo, exec_lo, s8
	s_mov_b32 s0, 0
	s_mov_b32 s8, -1
	global_store_b8 v[2:3], v4, off
.LBB143_2042:
	s_mov_b32 s9, 0
.LBB143_2043:
	s_delay_alu instid0(SALU_CYCLE_1)
	s_and_b32 vcc_lo, exec_lo, s9
	s_cbranch_vccz .LBB143_2046
; %bb.2044:
	s_cmp_eq_u32 s2, 29
	s_mov_b32 s0, -1
	s_cbranch_scc0 .LBB143_2046
; %bb.2045:
	s_mov_b32 s0, 0
	s_wait_xcnt 0x0
	v_cndmask_b32_e64 v4, 0, 1, s14
	v_mov_b32_e32 v5, s0
	s_mov_b32 s8, -1
	global_store_b64 v[2:3], v[4:5], off
.LBB143_2046:
	s_mov_b32 s9, 0
.LBB143_2047:
	s_delay_alu instid0(SALU_CYCLE_1)
	s_and_b32 vcc_lo, exec_lo, s9
	s_cbranch_vccz .LBB143_2063
; %bb.2048:
	s_cmp_lt_i32 s2, 27
	s_mov_b32 s8, -1
	s_cbranch_scc1 .LBB143_2054
; %bb.2049:
	s_cmp_gt_i32 s2, 27
	s_cbranch_scc0 .LBB143_2051
; %bb.2050:
	s_wait_xcnt 0x0
	v_cndmask_b32_e64 v1, 0, 1, s14
	s_mov_b32 s8, 0
	global_store_b32 v[2:3], v1, off
.LBB143_2051:
	s_and_not1_b32 vcc_lo, exec_lo, s8
	s_cbranch_vccnz .LBB143_2053
; %bb.2052:
	s_wait_xcnt 0x0
	v_cndmask_b32_e64 v1, 0, 1, s14
	global_store_b16 v[2:3], v1, off
.LBB143_2053:
	s_mov_b32 s8, 0
.LBB143_2054:
	s_delay_alu instid0(SALU_CYCLE_1)
	s_and_not1_b32 vcc_lo, exec_lo, s8
	s_cbranch_vccnz .LBB143_2062
; %bb.2055:
	s_wait_xcnt 0x0
	v_cndmask_b32_e64 v4, 0, 1.0, s14
	v_mov_b32_e32 v5, 0x80
	s_mov_b32 s8, exec_lo
	s_delay_alu instid0(VALU_DEP_2)
	v_cmpx_gt_u32_e32 0x43800000, v4
	s_cbranch_execz .LBB143_2061
; %bb.2056:
	s_mov_b32 s9, 0
	s_mov_b32 s12, exec_lo
                                        ; implicit-def: $vgpr1
	v_cmpx_lt_u32_e32 0x3bffffff, v4
	s_xor_b32 s12, exec_lo, s12
	s_cbranch_execz .LBB143_2237
; %bb.2057:
	v_bfe_u32 v1, v4, 20, 1
	s_mov_b32 s9, exec_lo
	s_delay_alu instid0(VALU_DEP_1) | instskip(NEXT) | instid1(VALU_DEP_1)
	v_add3_u32 v1, v4, v1, 0x487ffff
                                        ; implicit-def: $vgpr4
	v_lshrrev_b32_e32 v1, 20, v1
	s_and_not1_saveexec_b32 s12, s12
	s_cbranch_execnz .LBB143_2238
.LBB143_2058:
	s_or_b32 exec_lo, exec_lo, s12
	v_mov_b32_e32 v5, 0
	s_and_saveexec_b32 s12, s9
.LBB143_2059:
	v_mov_b32_e32 v5, v1
.LBB143_2060:
	s_or_b32 exec_lo, exec_lo, s12
.LBB143_2061:
	s_delay_alu instid0(SALU_CYCLE_1)
	s_or_b32 exec_lo, exec_lo, s8
	global_store_b8 v[2:3], v5, off
.LBB143_2062:
	s_mov_b32 s8, -1
.LBB143_2063:
	s_mov_b32 s9, 0
.LBB143_2064:
	s_delay_alu instid0(SALU_CYCLE_1)
	s_and_b32 vcc_lo, exec_lo, s9
	s_cbranch_vccz .LBB143_2104
; %bb.2065:
	s_cmp_gt_i32 s2, 22
	s_mov_b32 s3, -1
	s_cbranch_scc0 .LBB143_2097
; %bb.2066:
	s_cmp_lt_i32 s2, 24
	s_cbranch_scc1 .LBB143_2086
; %bb.2067:
	s_cmp_gt_i32 s2, 24
	s_cbranch_scc0 .LBB143_2075
; %bb.2068:
	s_wait_xcnt 0x0
	v_cndmask_b32_e64 v4, 0, 1.0, s14
	v_mov_b32_e32 v5, 0x80
	s_mov_b32 s3, exec_lo
	s_delay_alu instid0(VALU_DEP_2)
	v_cmpx_gt_u32_e32 0x47800000, v4
	s_cbranch_execz .LBB143_2074
; %bb.2069:
	s_mov_b32 s8, 0
	s_mov_b32 s9, exec_lo
                                        ; implicit-def: $vgpr1
	v_cmpx_lt_u32_e32 0x37ffffff, v4
	s_xor_b32 s9, exec_lo, s9
	s_cbranch_execz .LBB143_2240
; %bb.2070:
	v_bfe_u32 v1, v4, 21, 1
	s_mov_b32 s8, exec_lo
	s_delay_alu instid0(VALU_DEP_1) | instskip(NEXT) | instid1(VALU_DEP_1)
	v_add3_u32 v1, v4, v1, 0x88fffff
                                        ; implicit-def: $vgpr4
	v_lshrrev_b32_e32 v1, 21, v1
	s_and_not1_saveexec_b32 s9, s9
	s_cbranch_execnz .LBB143_2241
.LBB143_2071:
	s_or_b32 exec_lo, exec_lo, s9
	v_mov_b32_e32 v5, 0
	s_and_saveexec_b32 s9, s8
.LBB143_2072:
	v_mov_b32_e32 v5, v1
.LBB143_2073:
	s_or_b32 exec_lo, exec_lo, s9
.LBB143_2074:
	s_delay_alu instid0(SALU_CYCLE_1)
	s_or_b32 exec_lo, exec_lo, s3
	s_mov_b32 s3, 0
	global_store_b8 v[2:3], v5, off
.LBB143_2075:
	s_and_b32 vcc_lo, exec_lo, s3
	s_cbranch_vccz .LBB143_2085
; %bb.2076:
	s_wait_xcnt 0x0
	v_cndmask_b32_e64 v4, 0, 1.0, s14
	s_mov_b32 s3, exec_lo
                                        ; implicit-def: $vgpr1
	s_delay_alu instid0(VALU_DEP_1)
	v_cmpx_gt_u32_e32 0x43f00000, v4
	s_xor_b32 s3, exec_lo, s3
	s_cbranch_execz .LBB143_2082
; %bb.2077:
	s_mov_b32 s8, exec_lo
                                        ; implicit-def: $vgpr1
	v_cmpx_lt_u32_e32 0x3c7fffff, v4
	s_xor_b32 s8, exec_lo, s8
; %bb.2078:
	v_bfe_u32 v1, v4, 20, 1
	s_delay_alu instid0(VALU_DEP_1) | instskip(NEXT) | instid1(VALU_DEP_1)
	v_add3_u32 v1, v4, v1, 0x407ffff
	v_and_b32_e32 v4, 0xff00000, v1
	v_lshrrev_b32_e32 v1, 20, v1
	s_delay_alu instid0(VALU_DEP_2) | instskip(NEXT) | instid1(VALU_DEP_2)
	v_cmp_ne_u32_e32 vcc_lo, 0x7f00000, v4
                                        ; implicit-def: $vgpr4
	v_cndmask_b32_e32 v1, 0x7e, v1, vcc_lo
; %bb.2079:
	s_and_not1_saveexec_b32 s8, s8
; %bb.2080:
	v_add_f32_e32 v1, 0x46800000, v4
; %bb.2081:
	s_or_b32 exec_lo, exec_lo, s8
                                        ; implicit-def: $vgpr4
.LBB143_2082:
	s_and_not1_saveexec_b32 s3, s3
; %bb.2083:
	v_mov_b32_e32 v1, 0x7f
	v_cmp_lt_u32_e32 vcc_lo, 0x7f800000, v4
	s_delay_alu instid0(VALU_DEP_2)
	v_cndmask_b32_e32 v1, 0x7e, v1, vcc_lo
; %bb.2084:
	s_or_b32 exec_lo, exec_lo, s3
	global_store_b8 v[2:3], v1, off
.LBB143_2085:
	s_mov_b32 s3, 0
.LBB143_2086:
	s_delay_alu instid0(SALU_CYCLE_1)
	s_and_not1_b32 vcc_lo, exec_lo, s3
	s_cbranch_vccnz .LBB143_2096
; %bb.2087:
	s_wait_xcnt 0x0
	v_cndmask_b32_e64 v4, 0, 1.0, s14
	s_mov_b32 s3, exec_lo
                                        ; implicit-def: $vgpr1
	s_delay_alu instid0(VALU_DEP_1)
	v_cmpx_gt_u32_e32 0x47800000, v4
	s_xor_b32 s3, exec_lo, s3
	s_cbranch_execz .LBB143_2093
; %bb.2088:
	s_mov_b32 s8, exec_lo
                                        ; implicit-def: $vgpr1
	v_cmpx_lt_u32_e32 0x387fffff, v4
	s_xor_b32 s8, exec_lo, s8
; %bb.2089:
	v_bfe_u32 v1, v4, 21, 1
	s_delay_alu instid0(VALU_DEP_1) | instskip(NEXT) | instid1(VALU_DEP_1)
	v_add3_u32 v1, v4, v1, 0x80fffff
                                        ; implicit-def: $vgpr4
	v_lshrrev_b32_e32 v1, 21, v1
; %bb.2090:
	s_and_not1_saveexec_b32 s8, s8
; %bb.2091:
	v_add_f32_e32 v1, 0x43000000, v4
; %bb.2092:
	s_or_b32 exec_lo, exec_lo, s8
                                        ; implicit-def: $vgpr4
.LBB143_2093:
	s_and_not1_saveexec_b32 s3, s3
; %bb.2094:
	v_mov_b32_e32 v1, 0x7f
	v_cmp_lt_u32_e32 vcc_lo, 0x7f800000, v4
	s_delay_alu instid0(VALU_DEP_2)
	v_cndmask_b32_e32 v1, 0x7c, v1, vcc_lo
; %bb.2095:
	s_or_b32 exec_lo, exec_lo, s3
	global_store_b8 v[2:3], v1, off
.LBB143_2096:
	s_mov_b32 s3, 0
	s_mov_b32 s8, -1
.LBB143_2097:
	s_and_not1_b32 vcc_lo, exec_lo, s3
	s_mov_b32 s3, 0
	s_cbranch_vccnz .LBB143_2104
; %bb.2098:
	s_cmp_gt_i32 s2, 14
	s_mov_b32 s3, -1
	s_cbranch_scc0 .LBB143_2102
; %bb.2099:
	s_cmp_eq_u32 s2, 15
	s_mov_b32 s0, -1
	s_cbranch_scc0 .LBB143_2101
; %bb.2100:
	s_wait_xcnt 0x0
	v_cndmask_b32_e64 v1, 0, 1.0, s14
	s_mov_b32 s0, 0
	s_mov_b32 s8, -1
	s_delay_alu instid0(VALU_DEP_1) | instskip(NEXT) | instid1(VALU_DEP_1)
	v_bfe_u32 v4, v1, 16, 1
	v_add3_u32 v1, v1, v4, 0x7fff
	global_store_d16_hi_b16 v[2:3], v1, off
.LBB143_2101:
	s_mov_b32 s3, 0
.LBB143_2102:
	s_delay_alu instid0(SALU_CYCLE_1)
	s_and_b32 vcc_lo, exec_lo, s3
	s_mov_b32 s3, 0
	s_cbranch_vccz .LBB143_2104
; %bb.2103:
	s_cmp_lg_u32 s2, 11
	s_mov_b32 s3, -1
	s_cselect_b32 s0, -1, 0
.LBB143_2104:
	s_delay_alu instid0(SALU_CYCLE_1)
	s_and_b32 vcc_lo, exec_lo, s0
	s_cbranch_vccnz .LBB143_2239
; %bb.2105:
	s_and_not1_b32 vcc_lo, exec_lo, s3
	s_cbranch_vccnz .LBB143_2107
.LBB143_2106:
	s_wait_xcnt 0x0
	v_cndmask_b32_e64 v1, 0, 1, s14
	s_mov_b32 s8, -1
	global_store_b8 v[2:3], v1, off
.LBB143_2107:
	s_mov_b32 s0, 0
	s_branch .LBB143_2109
.LBB143_2108:
	s_mov_b32 s0, -1
	s_mov_b32 s8, 0
.LBB143_2109:
	s_and_b32 vcc_lo, exec_lo, s0
	s_cbranch_vccz .LBB143_2148
; %bb.2110:
	s_cmp_lt_i32 s2, 5
	s_mov_b32 s0, -1
	s_cbranch_scc1 .LBB143_2131
; %bb.2111:
	s_cmp_lt_i32 s2, 8
	s_cbranch_scc1 .LBB143_2121
; %bb.2112:
	s_cmp_lt_i32 s2, 9
	s_cbranch_scc1 .LBB143_2118
; %bb.2113:
	s_cmp_gt_i32 s2, 9
	s_cbranch_scc0 .LBB143_2115
; %bb.2114:
	s_wait_xcnt 0x0
	v_cndmask_b32_e64 v1, 0, 1, s14
	v_mov_b32_e32 v6, 0
	s_mov_b32 s0, 0
	s_delay_alu instid0(VALU_DEP_2) | instskip(NEXT) | instid1(VALU_DEP_2)
	v_cvt_f64_u32_e32 v[4:5], v1
	v_mov_b32_e32 v7, v6
	global_store_b128 v[2:3], v[4:7], off
.LBB143_2115:
	s_and_not1_b32 vcc_lo, exec_lo, s0
	s_cbranch_vccnz .LBB143_2117
; %bb.2116:
	s_wait_xcnt 0x0
	v_cndmask_b32_e64 v4, 0, 1.0, s14
	v_mov_b32_e32 v5, 0
	global_store_b64 v[2:3], v[4:5], off
.LBB143_2117:
	s_mov_b32 s0, 0
.LBB143_2118:
	s_delay_alu instid0(SALU_CYCLE_1)
	s_and_not1_b32 vcc_lo, exec_lo, s0
	s_cbranch_vccnz .LBB143_2120
; %bb.2119:
	s_wait_xcnt 0x0
	v_cndmask_b32_e64 v1, 0, 1.0, s14
	s_delay_alu instid0(VALU_DEP_1) | instskip(NEXT) | instid1(VALU_DEP_1)
	v_cvt_f16_f32_e32 v1, v1
	v_and_b32_e32 v1, 0xffff, v1
	global_store_b32 v[2:3], v1, off
.LBB143_2120:
	s_mov_b32 s0, 0
.LBB143_2121:
	s_delay_alu instid0(SALU_CYCLE_1)
	s_and_not1_b32 vcc_lo, exec_lo, s0
	s_cbranch_vccnz .LBB143_2130
; %bb.2122:
	s_cmp_lt_i32 s2, 6
	s_mov_b32 s0, -1
	s_cbranch_scc1 .LBB143_2128
; %bb.2123:
	s_cmp_gt_i32 s2, 6
	s_cbranch_scc0 .LBB143_2125
; %bb.2124:
	s_wait_xcnt 0x0
	v_cndmask_b32_e64 v1, 0, 1, s14
	s_mov_b32 s0, 0
	s_delay_alu instid0(VALU_DEP_1)
	v_cvt_f64_u32_e32 v[4:5], v1
	global_store_b64 v[2:3], v[4:5], off
.LBB143_2125:
	s_and_not1_b32 vcc_lo, exec_lo, s0
	s_cbranch_vccnz .LBB143_2127
; %bb.2126:
	s_wait_xcnt 0x0
	v_cndmask_b32_e64 v1, 0, 1.0, s14
	global_store_b32 v[2:3], v1, off
.LBB143_2127:
	s_mov_b32 s0, 0
.LBB143_2128:
	s_delay_alu instid0(SALU_CYCLE_1)
	s_and_not1_b32 vcc_lo, exec_lo, s0
	s_cbranch_vccnz .LBB143_2130
; %bb.2129:
	s_wait_xcnt 0x0
	v_cndmask_b32_e64 v1, 0, 1.0, s14
	s_delay_alu instid0(VALU_DEP_1)
	v_cvt_f16_f32_e32 v1, v1
	global_store_b16 v[2:3], v1, off
.LBB143_2130:
	s_mov_b32 s0, 0
.LBB143_2131:
	s_delay_alu instid0(SALU_CYCLE_1)
	s_and_not1_b32 vcc_lo, exec_lo, s0
	s_cbranch_vccnz .LBB143_2147
; %bb.2132:
	s_cmp_lt_i32 s2, 2
	s_mov_b32 s0, -1
	s_cbranch_scc1 .LBB143_2142
; %bb.2133:
	s_cmp_lt_i32 s2, 3
	s_cbranch_scc1 .LBB143_2139
; %bb.2134:
	s_cmp_gt_i32 s2, 3
	s_cbranch_scc0 .LBB143_2136
; %bb.2135:
	s_mov_b32 s0, 0
	s_wait_xcnt 0x0
	v_cndmask_b32_e64 v4, 0, 1, s14
	v_mov_b32_e32 v5, s0
	global_store_b64 v[2:3], v[4:5], off
.LBB143_2136:
	s_and_not1_b32 vcc_lo, exec_lo, s0
	s_cbranch_vccnz .LBB143_2138
; %bb.2137:
	s_wait_xcnt 0x0
	v_cndmask_b32_e64 v1, 0, 1, s14
	global_store_b32 v[2:3], v1, off
.LBB143_2138:
	s_mov_b32 s0, 0
.LBB143_2139:
	s_delay_alu instid0(SALU_CYCLE_1)
	s_and_not1_b32 vcc_lo, exec_lo, s0
	s_cbranch_vccnz .LBB143_2141
; %bb.2140:
	s_wait_xcnt 0x0
	v_cndmask_b32_e64 v1, 0, 1, s14
	global_store_b16 v[2:3], v1, off
.LBB143_2141:
	s_mov_b32 s0, 0
.LBB143_2142:
	s_delay_alu instid0(SALU_CYCLE_1)
	s_and_not1_b32 vcc_lo, exec_lo, s0
	s_cbranch_vccnz .LBB143_2147
; %bb.2143:
	s_cmp_gt_i32 s2, 0
	s_mov_b32 s0, -1
	s_cbranch_scc0 .LBB143_2145
; %bb.2144:
	s_wait_xcnt 0x0
	v_cndmask_b32_e64 v1, 0, 1, s14
	s_mov_b32 s0, 0
	global_store_b8 v[2:3], v1, off
.LBB143_2145:
	s_and_not1_b32 vcc_lo, exec_lo, s0
	s_cbranch_vccnz .LBB143_2147
; %bb.2146:
	s_wait_xcnt 0x0
	v_cndmask_b32_e64 v1, 0, 1, s14
	global_store_b8 v[2:3], v1, off
.LBB143_2147:
	s_mov_b32 s8, -1
.LBB143_2148:
	s_delay_alu instid0(SALU_CYCLE_1)
	s_and_not1_b32 vcc_lo, exec_lo, s8
	s_cbranch_vccnz .LBB143_2225
; %bb.2149:
	s_wait_xcnt 0x0
	v_mov_b32_e32 v1, 0
	s_cmp_lt_i32 s2, 11
	s_delay_alu instid0(VALU_DEP_1)
	v_add_nc_u64_e32 v[2:3], s[4:5], v[0:1]
	s_cbranch_scc1 .LBB143_2226
; %bb.2150:
	s_mov_b32 s4, -1
	s_mov_b32 s3, 0
	s_cmp_gt_i32 s2, 25
	s_mov_b32 s0, 0
	s_cbranch_scc0 .LBB143_2183
; %bb.2151:
	s_cmp_gt_i32 s2, 28
	s_cbranch_scc0 .LBB143_2167
; %bb.2152:
	s_cmp_gt_i32 s2, 43
	;; [unrolled: 3-line block ×3, first 2 shown]
	s_cbranch_scc0 .LBB143_2157
; %bb.2154:
	s_cmp_eq_u32 s2, 46
	s_mov_b32 s0, -1
	s_cbranch_scc0 .LBB143_2156
; %bb.2155:
	v_cndmask_b32_e64 v0, 0, 1.0, s6
	s_mov_b32 s0, 0
	s_delay_alu instid0(VALU_DEP_1) | instskip(NEXT) | instid1(VALU_DEP_1)
	v_bfe_u32 v1, v0, 16, 1
	v_add3_u32 v0, v0, v1, 0x7fff
	s_delay_alu instid0(VALU_DEP_1)
	v_lshrrev_b32_e32 v0, 16, v0
	global_store_b32 v[2:3], v0, off
.LBB143_2156:
	s_mov_b32 s4, 0
.LBB143_2157:
	s_delay_alu instid0(SALU_CYCLE_1)
	s_and_b32 vcc_lo, exec_lo, s4
	s_cbranch_vccz .LBB143_2162
; %bb.2158:
	s_cmp_eq_u32 s2, 44
	s_mov_b32 s0, -1
	s_cbranch_scc0 .LBB143_2162
; %bb.2159:
	v_cndmask_b32_e64 v4, 0, 1.0, s6
	s_mov_b32 s4, exec_lo
	s_wait_xcnt 0x0
	s_delay_alu instid0(VALU_DEP_1) | instskip(NEXT) | instid1(VALU_DEP_1)
	v_dual_mov_b32 v1, 0xff :: v_dual_lshrrev_b32 v0, 23, v4
	v_cmpx_ne_u32_e32 0xff, v0
; %bb.2160:
	v_and_b32_e32 v1, 0x400000, v4
	v_and_or_b32 v4, 0x3fffff, v4, v0
	s_delay_alu instid0(VALU_DEP_2) | instskip(NEXT) | instid1(VALU_DEP_2)
	v_cmp_ne_u32_e32 vcc_lo, 0, v1
	v_cmp_ne_u32_e64 s0, 0, v4
	s_and_b32 s0, vcc_lo, s0
	s_delay_alu instid0(SALU_CYCLE_1) | instskip(NEXT) | instid1(VALU_DEP_1)
	v_cndmask_b32_e64 v1, 0, 1, s0
	v_add_nc_u32_e32 v1, v0, v1
; %bb.2161:
	s_or_b32 exec_lo, exec_lo, s4
	s_mov_b32 s0, 0
	global_store_b8 v[2:3], v1, off
.LBB143_2162:
	s_mov_b32 s4, 0
.LBB143_2163:
	s_delay_alu instid0(SALU_CYCLE_1)
	s_and_b32 vcc_lo, exec_lo, s4
	s_cbranch_vccz .LBB143_2166
; %bb.2164:
	s_cmp_eq_u32 s2, 29
	s_mov_b32 s0, -1
	s_cbranch_scc0 .LBB143_2166
; %bb.2165:
	s_mov_b32 s0, 0
	s_wait_xcnt 0x0
	v_cndmask_b32_e64 v0, 0, 1, s6
	v_mov_b32_e32 v1, s0
	global_store_b64 v[2:3], v[0:1], off
.LBB143_2166:
	s_mov_b32 s4, 0
.LBB143_2167:
	s_delay_alu instid0(SALU_CYCLE_1)
	s_and_b32 vcc_lo, exec_lo, s4
	s_cbranch_vccz .LBB143_2182
; %bb.2168:
	s_cmp_lt_i32 s2, 27
	s_mov_b32 s4, -1
	s_cbranch_scc1 .LBB143_2174
; %bb.2169:
	s_cmp_gt_i32 s2, 27
	s_cbranch_scc0 .LBB143_2171
; %bb.2170:
	s_wait_xcnt 0x0
	v_cndmask_b32_e64 v0, 0, 1, s6
	s_mov_b32 s4, 0
	global_store_b32 v[2:3], v0, off
.LBB143_2171:
	s_and_not1_b32 vcc_lo, exec_lo, s4
	s_cbranch_vccnz .LBB143_2173
; %bb.2172:
	s_wait_xcnt 0x0
	v_cndmask_b32_e64 v0, 0, 1, s6
	global_store_b16 v[2:3], v0, off
.LBB143_2173:
	s_mov_b32 s4, 0
.LBB143_2174:
	s_delay_alu instid0(SALU_CYCLE_1)
	s_and_not1_b32 vcc_lo, exec_lo, s4
	s_cbranch_vccnz .LBB143_2182
; %bb.2175:
	s_wait_xcnt 0x0
	v_cndmask_b32_e64 v1, 0, 1.0, s6
	v_mov_b32_e32 v4, 0x80
	s_mov_b32 s4, exec_lo
	s_delay_alu instid0(VALU_DEP_2)
	v_cmpx_gt_u32_e32 0x43800000, v1
	s_cbranch_execz .LBB143_2181
; %bb.2176:
	s_mov_b32 s5, 0
	s_mov_b32 s8, exec_lo
                                        ; implicit-def: $vgpr0
	v_cmpx_lt_u32_e32 0x3bffffff, v1
	s_xor_b32 s8, exec_lo, s8
	s_cbranch_execz .LBB143_2242
; %bb.2177:
	v_bfe_u32 v0, v1, 20, 1
	s_mov_b32 s5, exec_lo
	s_delay_alu instid0(VALU_DEP_1) | instskip(NEXT) | instid1(VALU_DEP_1)
	v_add3_u32 v0, v1, v0, 0x487ffff
                                        ; implicit-def: $vgpr1
	v_lshrrev_b32_e32 v0, 20, v0
	s_and_not1_saveexec_b32 s8, s8
	s_cbranch_execnz .LBB143_2243
.LBB143_2178:
	s_or_b32 exec_lo, exec_lo, s8
	v_mov_b32_e32 v4, 0
	s_and_saveexec_b32 s8, s5
.LBB143_2179:
	v_mov_b32_e32 v4, v0
.LBB143_2180:
	s_or_b32 exec_lo, exec_lo, s8
.LBB143_2181:
	s_delay_alu instid0(SALU_CYCLE_1)
	s_or_b32 exec_lo, exec_lo, s4
	global_store_b8 v[2:3], v4, off
.LBB143_2182:
	s_mov_b32 s4, 0
.LBB143_2183:
	s_delay_alu instid0(SALU_CYCLE_1)
	s_and_b32 vcc_lo, exec_lo, s4
	s_cbranch_vccz .LBB143_2223
; %bb.2184:
	s_cmp_gt_i32 s2, 22
	s_mov_b32 s3, -1
	s_cbranch_scc0 .LBB143_2216
; %bb.2185:
	s_cmp_lt_i32 s2, 24
	s_cbranch_scc1 .LBB143_2205
; %bb.2186:
	s_cmp_gt_i32 s2, 24
	s_cbranch_scc0 .LBB143_2194
; %bb.2187:
	s_wait_xcnt 0x0
	v_cndmask_b32_e64 v1, 0, 1.0, s6
	v_mov_b32_e32 v4, 0x80
	s_mov_b32 s3, exec_lo
	s_delay_alu instid0(VALU_DEP_2)
	v_cmpx_gt_u32_e32 0x47800000, v1
	s_cbranch_execz .LBB143_2193
; %bb.2188:
	s_mov_b32 s4, 0
	s_mov_b32 s5, exec_lo
                                        ; implicit-def: $vgpr0
	v_cmpx_lt_u32_e32 0x37ffffff, v1
	s_xor_b32 s5, exec_lo, s5
	s_cbranch_execz .LBB143_2245
; %bb.2189:
	v_bfe_u32 v0, v1, 21, 1
	s_mov_b32 s4, exec_lo
	s_delay_alu instid0(VALU_DEP_1) | instskip(NEXT) | instid1(VALU_DEP_1)
	v_add3_u32 v0, v1, v0, 0x88fffff
                                        ; implicit-def: $vgpr1
	v_lshrrev_b32_e32 v0, 21, v0
	s_and_not1_saveexec_b32 s5, s5
	s_cbranch_execnz .LBB143_2246
.LBB143_2190:
	s_or_b32 exec_lo, exec_lo, s5
	v_mov_b32_e32 v4, 0
	s_and_saveexec_b32 s5, s4
.LBB143_2191:
	v_mov_b32_e32 v4, v0
.LBB143_2192:
	s_or_b32 exec_lo, exec_lo, s5
.LBB143_2193:
	s_delay_alu instid0(SALU_CYCLE_1)
	s_or_b32 exec_lo, exec_lo, s3
	s_mov_b32 s3, 0
	global_store_b8 v[2:3], v4, off
.LBB143_2194:
	s_and_b32 vcc_lo, exec_lo, s3
	s_cbranch_vccz .LBB143_2204
; %bb.2195:
	s_wait_xcnt 0x0
	v_cndmask_b32_e64 v1, 0, 1.0, s6
	s_mov_b32 s3, exec_lo
                                        ; implicit-def: $vgpr0
	s_delay_alu instid0(VALU_DEP_1)
	v_cmpx_gt_u32_e32 0x43f00000, v1
	s_xor_b32 s3, exec_lo, s3
	s_cbranch_execz .LBB143_2201
; %bb.2196:
	s_mov_b32 s4, exec_lo
                                        ; implicit-def: $vgpr0
	v_cmpx_lt_u32_e32 0x3c7fffff, v1
	s_xor_b32 s4, exec_lo, s4
; %bb.2197:
	v_bfe_u32 v0, v1, 20, 1
	s_delay_alu instid0(VALU_DEP_1) | instskip(NEXT) | instid1(VALU_DEP_1)
	v_add3_u32 v0, v1, v0, 0x407ffff
	v_and_b32_e32 v1, 0xff00000, v0
	v_lshrrev_b32_e32 v0, 20, v0
	s_delay_alu instid0(VALU_DEP_2) | instskip(NEXT) | instid1(VALU_DEP_2)
	v_cmp_ne_u32_e32 vcc_lo, 0x7f00000, v1
                                        ; implicit-def: $vgpr1
	v_cndmask_b32_e32 v0, 0x7e, v0, vcc_lo
; %bb.2198:
	s_and_not1_saveexec_b32 s4, s4
; %bb.2199:
	v_add_f32_e32 v0, 0x46800000, v1
; %bb.2200:
	s_or_b32 exec_lo, exec_lo, s4
                                        ; implicit-def: $vgpr1
.LBB143_2201:
	s_and_not1_saveexec_b32 s3, s3
; %bb.2202:
	v_mov_b32_e32 v0, 0x7f
	v_cmp_lt_u32_e32 vcc_lo, 0x7f800000, v1
	s_delay_alu instid0(VALU_DEP_2)
	v_cndmask_b32_e32 v0, 0x7e, v0, vcc_lo
; %bb.2203:
	s_or_b32 exec_lo, exec_lo, s3
	global_store_b8 v[2:3], v0, off
.LBB143_2204:
	s_mov_b32 s3, 0
.LBB143_2205:
	s_delay_alu instid0(SALU_CYCLE_1)
	s_and_not1_b32 vcc_lo, exec_lo, s3
	s_cbranch_vccnz .LBB143_2215
; %bb.2206:
	s_wait_xcnt 0x0
	v_cndmask_b32_e64 v1, 0, 1.0, s6
	s_mov_b32 s3, exec_lo
                                        ; implicit-def: $vgpr0
	s_delay_alu instid0(VALU_DEP_1)
	v_cmpx_gt_u32_e32 0x47800000, v1
	s_xor_b32 s3, exec_lo, s3
	s_cbranch_execz .LBB143_2212
; %bb.2207:
	s_mov_b32 s4, exec_lo
                                        ; implicit-def: $vgpr0
	v_cmpx_lt_u32_e32 0x387fffff, v1
	s_xor_b32 s4, exec_lo, s4
; %bb.2208:
	v_bfe_u32 v0, v1, 21, 1
	s_delay_alu instid0(VALU_DEP_1) | instskip(NEXT) | instid1(VALU_DEP_1)
	v_add3_u32 v0, v1, v0, 0x80fffff
                                        ; implicit-def: $vgpr1
	v_lshrrev_b32_e32 v0, 21, v0
; %bb.2209:
	s_and_not1_saveexec_b32 s4, s4
; %bb.2210:
	v_add_f32_e32 v0, 0x43000000, v1
; %bb.2211:
	s_or_b32 exec_lo, exec_lo, s4
                                        ; implicit-def: $vgpr1
.LBB143_2212:
	s_and_not1_saveexec_b32 s3, s3
; %bb.2213:
	v_mov_b32_e32 v0, 0x7f
	v_cmp_lt_u32_e32 vcc_lo, 0x7f800000, v1
	s_delay_alu instid0(VALU_DEP_2)
	v_cndmask_b32_e32 v0, 0x7c, v0, vcc_lo
; %bb.2214:
	s_or_b32 exec_lo, exec_lo, s3
	global_store_b8 v[2:3], v0, off
.LBB143_2215:
	s_mov_b32 s3, 0
.LBB143_2216:
	s_delay_alu instid0(SALU_CYCLE_1)
	s_and_not1_b32 vcc_lo, exec_lo, s3
	s_mov_b32 s3, 0
	s_cbranch_vccnz .LBB143_2223
; %bb.2217:
	s_cmp_gt_i32 s2, 14
	s_mov_b32 s3, -1
	s_cbranch_scc0 .LBB143_2221
; %bb.2218:
	s_cmp_eq_u32 s2, 15
	s_mov_b32 s0, -1
	s_cbranch_scc0 .LBB143_2220
; %bb.2219:
	s_wait_xcnt 0x0
	v_cndmask_b32_e64 v0, 0, 1.0, s6
	s_mov_b32 s0, 0
	s_delay_alu instid0(VALU_DEP_1) | instskip(NEXT) | instid1(VALU_DEP_1)
	v_bfe_u32 v1, v0, 16, 1
	v_add3_u32 v0, v0, v1, 0x7fff
	global_store_d16_hi_b16 v[2:3], v0, off
.LBB143_2220:
	s_mov_b32 s3, 0
.LBB143_2221:
	s_delay_alu instid0(SALU_CYCLE_1)
	s_and_b32 vcc_lo, exec_lo, s3
	s_mov_b32 s3, 0
	s_cbranch_vccz .LBB143_2223
; %bb.2222:
	s_cmp_lg_u32 s2, 11
	s_mov_b32 s3, -1
	s_cselect_b32 s0, -1, 0
.LBB143_2223:
	s_delay_alu instid0(SALU_CYCLE_1)
	s_and_b32 vcc_lo, exec_lo, s0
	s_cbranch_vccnz .LBB143_2244
.LBB143_2224:
	s_mov_b32 s0, 0
	s_branch .LBB143_1745
.LBB143_2225:
	s_mov_b32 s0, 0
	s_mov_b32 s3, 0
	s_branch .LBB143_1744
.LBB143_2226:
	s_mov_b32 s3, 0
	s_mov_b32 s0, -1
	s_branch .LBB143_1745
.LBB143_2227:
	s_and_not1_saveexec_b32 s15, s15
	s_cbranch_execz .LBB143_1820
.LBB143_2228:
	v_add_f32_e32 v1, 0x46000000, v3
	s_and_not1_b32 s9, s9, exec_lo
	s_delay_alu instid0(VALU_DEP_1) | instskip(NEXT) | instid1(VALU_DEP_1)
	v_and_b32_e32 v1, 0xff, v1
	v_cmp_ne_u32_e32 vcc_lo, 0, v1
	s_and_b32 s16, vcc_lo, exec_lo
	s_delay_alu instid0(SALU_CYCLE_1)
	s_or_b32 s9, s9, s16
	s_or_b32 exec_lo, exec_lo, s15
	v_mov_b32_e32 v5, 0
	s_and_saveexec_b32 s15, s9
	s_cbranch_execnz .LBB143_1821
	s_branch .LBB143_1822
.LBB143_2229:
	s_or_b32 s1, s1, exec_lo
	s_trap 2
	s_cbranch_execz .LBB143_1868
	s_branch .LBB143_1869
.LBB143_2230:
	s_and_not1_saveexec_b32 s9, s9
	s_cbranch_execz .LBB143_1833
.LBB143_2231:
	v_add_f32_e32 v1, 0x42800000, v3
	s_and_not1_b32 s8, s8, exec_lo
	s_delay_alu instid0(VALU_DEP_1) | instskip(NEXT) | instid1(VALU_DEP_1)
	v_and_b32_e32 v1, 0xff, v1
	v_cmp_ne_u32_e32 vcc_lo, 0, v1
	s_and_b32 s15, vcc_lo, exec_lo
	s_delay_alu instid0(SALU_CYCLE_1)
	s_or_b32 s8, s8, s15
	s_or_b32 exec_lo, exec_lo, s9
	v_mov_b32_e32 v5, 0
	s_and_saveexec_b32 s9, s8
	s_cbranch_execnz .LBB143_1834
	s_branch .LBB143_1835
.LBB143_2232:
	s_and_not1_saveexec_b32 s12, s12
	s_cbranch_execz .LBB143_1939
.LBB143_2233:
	v_add_f32_e32 v1, 0x46000000, v3
	s_and_not1_b32 s9, s9, exec_lo
	s_delay_alu instid0(VALU_DEP_1) | instskip(NEXT) | instid1(VALU_DEP_1)
	v_and_b32_e32 v1, 0xff, v1
	v_cmp_ne_u32_e32 vcc_lo, 0, v1
	s_and_b32 s15, vcc_lo, exec_lo
	s_delay_alu instid0(SALU_CYCLE_1)
	s_or_b32 s9, s9, s15
	s_or_b32 exec_lo, exec_lo, s12
	v_mov_b32_e32 v6, 0
	s_and_saveexec_b32 s12, s9
	s_cbranch_execnz .LBB143_1940
	s_branch .LBB143_1941
.LBB143_2234:
	s_or_b32 s1, s1, exec_lo
	s_trap 2
	s_cbranch_execz .LBB143_1987
	s_branch .LBB143_1988
.LBB143_2235:
	s_and_not1_saveexec_b32 s9, s9
	s_cbranch_execz .LBB143_1952
.LBB143_2236:
	v_add_f32_e32 v1, 0x42800000, v3
	s_and_not1_b32 s8, s8, exec_lo
	s_delay_alu instid0(VALU_DEP_1) | instskip(NEXT) | instid1(VALU_DEP_1)
	v_and_b32_e32 v1, 0xff, v1
	v_cmp_ne_u32_e32 vcc_lo, 0, v1
	s_and_b32 s12, vcc_lo, exec_lo
	s_delay_alu instid0(SALU_CYCLE_1)
	s_or_b32 s8, s8, s12
	s_or_b32 exec_lo, exec_lo, s9
	v_mov_b32_e32 v6, 0
	s_and_saveexec_b32 s9, s8
	s_cbranch_execnz .LBB143_1953
	s_branch .LBB143_1954
.LBB143_2237:
	s_and_not1_saveexec_b32 s12, s12
	s_cbranch_execz .LBB143_2058
.LBB143_2238:
	v_add_f32_e32 v1, 0x46000000, v4
	s_and_not1_b32 s9, s9, exec_lo
	s_delay_alu instid0(VALU_DEP_1) | instskip(NEXT) | instid1(VALU_DEP_1)
	v_and_b32_e32 v1, 0xff, v1
	v_cmp_ne_u32_e32 vcc_lo, 0, v1
	s_and_b32 s13, vcc_lo, exec_lo
	s_delay_alu instid0(SALU_CYCLE_1)
	s_or_b32 s9, s9, s13
	s_or_b32 exec_lo, exec_lo, s12
	v_mov_b32_e32 v5, 0
	s_and_saveexec_b32 s12, s9
	s_cbranch_execnz .LBB143_2059
	s_branch .LBB143_2060
.LBB143_2239:
	s_or_b32 s1, s1, exec_lo
	s_trap 2
	s_cbranch_execz .LBB143_2106
	s_branch .LBB143_2107
.LBB143_2240:
	s_and_not1_saveexec_b32 s9, s9
	s_cbranch_execz .LBB143_2071
.LBB143_2241:
	v_add_f32_e32 v1, 0x42800000, v4
	s_and_not1_b32 s8, s8, exec_lo
	s_delay_alu instid0(VALU_DEP_1) | instskip(NEXT) | instid1(VALU_DEP_1)
	v_and_b32_e32 v1, 0xff, v1
	v_cmp_ne_u32_e32 vcc_lo, 0, v1
	s_and_b32 s12, vcc_lo, exec_lo
	s_delay_alu instid0(SALU_CYCLE_1)
	s_or_b32 s8, s8, s12
	s_or_b32 exec_lo, exec_lo, s9
	v_mov_b32_e32 v5, 0
	s_and_saveexec_b32 s9, s8
	s_cbranch_execnz .LBB143_2072
	s_branch .LBB143_2073
.LBB143_2242:
	s_and_not1_saveexec_b32 s8, s8
	s_cbranch_execz .LBB143_2178
.LBB143_2243:
	v_add_f32_e32 v0, 0x46000000, v1
	s_and_not1_b32 s5, s5, exec_lo
	s_delay_alu instid0(VALU_DEP_1) | instskip(NEXT) | instid1(VALU_DEP_1)
	v_and_b32_e32 v0, 0xff, v0
	v_cmp_ne_u32_e32 vcc_lo, 0, v0
	s_and_b32 s9, vcc_lo, exec_lo
	s_delay_alu instid0(SALU_CYCLE_1)
	s_or_b32 s5, s5, s9
	s_or_b32 exec_lo, exec_lo, s8
	v_mov_b32_e32 v4, 0
	s_and_saveexec_b32 s8, s5
	s_cbranch_execnz .LBB143_2179
	s_branch .LBB143_2180
.LBB143_2244:
	s_mov_b32 s3, 0
	s_or_b32 s1, s1, exec_lo
	s_trap 2
	s_branch .LBB143_2224
.LBB143_2245:
	s_and_not1_saveexec_b32 s5, s5
	s_cbranch_execz .LBB143_2190
.LBB143_2246:
	v_add_f32_e32 v0, 0x42800000, v1
	s_and_not1_b32 s4, s4, exec_lo
	s_delay_alu instid0(VALU_DEP_1) | instskip(NEXT) | instid1(VALU_DEP_1)
	v_and_b32_e32 v0, 0xff, v0
	v_cmp_ne_u32_e32 vcc_lo, 0, v0
	s_and_b32 s8, vcc_lo, exec_lo
	s_delay_alu instid0(SALU_CYCLE_1)
	s_or_b32 s4, s4, s8
	s_or_b32 exec_lo, exec_lo, s5
	v_mov_b32_e32 v4, 0
	s_and_saveexec_b32 s5, s4
	s_cbranch_execnz .LBB143_2191
	s_branch .LBB143_2192
	.section	.rodata,"a",@progbits
	.p2align	6, 0x0
	.amdhsa_kernel _ZN2at6native32elementwise_kernel_manual_unrollILi128ELi4EZNS0_15gpu_kernel_implINS0_13AUnaryFunctorIN3c107complexIfEES6_bNS0_12_GLOBAL__N_116CompareEqFunctorIS6_EEEEEEvRNS_18TensorIteratorBaseERKT_EUlibE0_EEviT1_
		.amdhsa_group_segment_fixed_size 0
		.amdhsa_private_segment_fixed_size 0
		.amdhsa_kernarg_size 376
		.amdhsa_user_sgpr_count 2
		.amdhsa_user_sgpr_dispatch_ptr 0
		.amdhsa_user_sgpr_queue_ptr 0
		.amdhsa_user_sgpr_kernarg_segment_ptr 1
		.amdhsa_user_sgpr_dispatch_id 0
		.amdhsa_user_sgpr_kernarg_preload_length 0
		.amdhsa_user_sgpr_kernarg_preload_offset 0
		.amdhsa_user_sgpr_private_segment_size 0
		.amdhsa_wavefront_size32 1
		.amdhsa_uses_dynamic_stack 0
		.amdhsa_enable_private_segment 0
		.amdhsa_system_sgpr_workgroup_id_x 1
		.amdhsa_system_sgpr_workgroup_id_y 0
		.amdhsa_system_sgpr_workgroup_id_z 0
		.amdhsa_system_sgpr_workgroup_info 0
		.amdhsa_system_vgpr_workitem_id 0
		.amdhsa_next_free_vgpr 20
		.amdhsa_next_free_sgpr 72
		.amdhsa_named_barrier_count 0
		.amdhsa_reserve_vcc 1
		.amdhsa_float_round_mode_32 0
		.amdhsa_float_round_mode_16_64 0
		.amdhsa_float_denorm_mode_32 3
		.amdhsa_float_denorm_mode_16_64 3
		.amdhsa_fp16_overflow 0
		.amdhsa_memory_ordered 1
		.amdhsa_forward_progress 1
		.amdhsa_inst_pref_size 255
		.amdhsa_round_robin_scheduling 0
		.amdhsa_exception_fp_ieee_invalid_op 0
		.amdhsa_exception_fp_denorm_src 0
		.amdhsa_exception_fp_ieee_div_zero 0
		.amdhsa_exception_fp_ieee_overflow 0
		.amdhsa_exception_fp_ieee_underflow 0
		.amdhsa_exception_fp_ieee_inexact 0
		.amdhsa_exception_int_div_zero 0
	.end_amdhsa_kernel
	.section	.text._ZN2at6native32elementwise_kernel_manual_unrollILi128ELi4EZNS0_15gpu_kernel_implINS0_13AUnaryFunctorIN3c107complexIfEES6_bNS0_12_GLOBAL__N_116CompareEqFunctorIS6_EEEEEEvRNS_18TensorIteratorBaseERKT_EUlibE0_EEviT1_,"axG",@progbits,_ZN2at6native32elementwise_kernel_manual_unrollILi128ELi4EZNS0_15gpu_kernel_implINS0_13AUnaryFunctorIN3c107complexIfEES6_bNS0_12_GLOBAL__N_116CompareEqFunctorIS6_EEEEEEvRNS_18TensorIteratorBaseERKT_EUlibE0_EEviT1_,comdat
.Lfunc_end143:
	.size	_ZN2at6native32elementwise_kernel_manual_unrollILi128ELi4EZNS0_15gpu_kernel_implINS0_13AUnaryFunctorIN3c107complexIfEES6_bNS0_12_GLOBAL__N_116CompareEqFunctorIS6_EEEEEEvRNS_18TensorIteratorBaseERKT_EUlibE0_EEviT1_, .Lfunc_end143-_ZN2at6native32elementwise_kernel_manual_unrollILi128ELi4EZNS0_15gpu_kernel_implINS0_13AUnaryFunctorIN3c107complexIfEES6_bNS0_12_GLOBAL__N_116CompareEqFunctorIS6_EEEEEEvRNS_18TensorIteratorBaseERKT_EUlibE0_EEviT1_
                                        ; -- End function
	.set _ZN2at6native32elementwise_kernel_manual_unrollILi128ELi4EZNS0_15gpu_kernel_implINS0_13AUnaryFunctorIN3c107complexIfEES6_bNS0_12_GLOBAL__N_116CompareEqFunctorIS6_EEEEEEvRNS_18TensorIteratorBaseERKT_EUlibE0_EEviT1_.num_vgpr, 20
	.set _ZN2at6native32elementwise_kernel_manual_unrollILi128ELi4EZNS0_15gpu_kernel_implINS0_13AUnaryFunctorIN3c107complexIfEES6_bNS0_12_GLOBAL__N_116CompareEqFunctorIS6_EEEEEEvRNS_18TensorIteratorBaseERKT_EUlibE0_EEviT1_.num_agpr, 0
	.set _ZN2at6native32elementwise_kernel_manual_unrollILi128ELi4EZNS0_15gpu_kernel_implINS0_13AUnaryFunctorIN3c107complexIfEES6_bNS0_12_GLOBAL__N_116CompareEqFunctorIS6_EEEEEEvRNS_18TensorIteratorBaseERKT_EUlibE0_EEviT1_.numbered_sgpr, 72
	.set _ZN2at6native32elementwise_kernel_manual_unrollILi128ELi4EZNS0_15gpu_kernel_implINS0_13AUnaryFunctorIN3c107complexIfEES6_bNS0_12_GLOBAL__N_116CompareEqFunctorIS6_EEEEEEvRNS_18TensorIteratorBaseERKT_EUlibE0_EEviT1_.num_named_barrier, 0
	.set _ZN2at6native32elementwise_kernel_manual_unrollILi128ELi4EZNS0_15gpu_kernel_implINS0_13AUnaryFunctorIN3c107complexIfEES6_bNS0_12_GLOBAL__N_116CompareEqFunctorIS6_EEEEEEvRNS_18TensorIteratorBaseERKT_EUlibE0_EEviT1_.private_seg_size, 0
	.set _ZN2at6native32elementwise_kernel_manual_unrollILi128ELi4EZNS0_15gpu_kernel_implINS0_13AUnaryFunctorIN3c107complexIfEES6_bNS0_12_GLOBAL__N_116CompareEqFunctorIS6_EEEEEEvRNS_18TensorIteratorBaseERKT_EUlibE0_EEviT1_.uses_vcc, 1
	.set _ZN2at6native32elementwise_kernel_manual_unrollILi128ELi4EZNS0_15gpu_kernel_implINS0_13AUnaryFunctorIN3c107complexIfEES6_bNS0_12_GLOBAL__N_116CompareEqFunctorIS6_EEEEEEvRNS_18TensorIteratorBaseERKT_EUlibE0_EEviT1_.uses_flat_scratch, 0
	.set _ZN2at6native32elementwise_kernel_manual_unrollILi128ELi4EZNS0_15gpu_kernel_implINS0_13AUnaryFunctorIN3c107complexIfEES6_bNS0_12_GLOBAL__N_116CompareEqFunctorIS6_EEEEEEvRNS_18TensorIteratorBaseERKT_EUlibE0_EEviT1_.has_dyn_sized_stack, 0
	.set _ZN2at6native32elementwise_kernel_manual_unrollILi128ELi4EZNS0_15gpu_kernel_implINS0_13AUnaryFunctorIN3c107complexIfEES6_bNS0_12_GLOBAL__N_116CompareEqFunctorIS6_EEEEEEvRNS_18TensorIteratorBaseERKT_EUlibE0_EEviT1_.has_recursion, 0
	.set _ZN2at6native32elementwise_kernel_manual_unrollILi128ELi4EZNS0_15gpu_kernel_implINS0_13AUnaryFunctorIN3c107complexIfEES6_bNS0_12_GLOBAL__N_116CompareEqFunctorIS6_EEEEEEvRNS_18TensorIteratorBaseERKT_EUlibE0_EEviT1_.has_indirect_call, 0
	.section	.AMDGPU.csdata,"",@progbits
; Kernel info:
; codeLenInByte = 42712
; TotalNumSgprs: 74
; NumVgprs: 20
; ScratchSize: 0
; MemoryBound: 1
; FloatMode: 240
; IeeeMode: 1
; LDSByteSize: 0 bytes/workgroup (compile time only)
; SGPRBlocks: 0
; VGPRBlocks: 1
; NumSGPRsForWavesPerEU: 74
; NumVGPRsForWavesPerEU: 20
; NamedBarCnt: 0
; Occupancy: 16
; WaveLimiterHint : 1
; COMPUTE_PGM_RSRC2:SCRATCH_EN: 0
; COMPUTE_PGM_RSRC2:USER_SGPR: 2
; COMPUTE_PGM_RSRC2:TRAP_HANDLER: 0
; COMPUTE_PGM_RSRC2:TGID_X_EN: 1
; COMPUTE_PGM_RSRC2:TGID_Y_EN: 0
; COMPUTE_PGM_RSRC2:TGID_Z_EN: 0
; COMPUTE_PGM_RSRC2:TIDIG_COMP_CNT: 0
	.section	.text._ZN2at6native29vectorized_elementwise_kernelILi16ENS0_13BinaryFunctorIN3c107complexINS3_4HalfEEES6_bNS0_12_GLOBAL__N_116CompareEqFunctorIS6_EEEESt5arrayIPcLm3EEEEviT0_T1_,"axG",@progbits,_ZN2at6native29vectorized_elementwise_kernelILi16ENS0_13BinaryFunctorIN3c107complexINS3_4HalfEEES6_bNS0_12_GLOBAL__N_116CompareEqFunctorIS6_EEEESt5arrayIPcLm3EEEEviT0_T1_,comdat
	.globl	_ZN2at6native29vectorized_elementwise_kernelILi16ENS0_13BinaryFunctorIN3c107complexINS3_4HalfEEES6_bNS0_12_GLOBAL__N_116CompareEqFunctorIS6_EEEESt5arrayIPcLm3EEEEviT0_T1_ ; -- Begin function _ZN2at6native29vectorized_elementwise_kernelILi16ENS0_13BinaryFunctorIN3c107complexINS3_4HalfEEES6_bNS0_12_GLOBAL__N_116CompareEqFunctorIS6_EEEESt5arrayIPcLm3EEEEviT0_T1_
	.p2align	8
	.type	_ZN2at6native29vectorized_elementwise_kernelILi16ENS0_13BinaryFunctorIN3c107complexINS3_4HalfEEES6_bNS0_12_GLOBAL__N_116CompareEqFunctorIS6_EEEESt5arrayIPcLm3EEEEviT0_T1_,@function
_ZN2at6native29vectorized_elementwise_kernelILi16ENS0_13BinaryFunctorIN3c107complexINS3_4HalfEEES6_bNS0_12_GLOBAL__N_116CompareEqFunctorIS6_EEEESt5arrayIPcLm3EEEEviT0_T1_: ; @_ZN2at6native29vectorized_elementwise_kernelILi16ENS0_13BinaryFunctorIN3c107complexINS3_4HalfEEES6_bNS0_12_GLOBAL__N_116CompareEqFunctorIS6_EEEESt5arrayIPcLm3EEEEviT0_T1_
; %bb.0:
	s_clause 0x2
	s_load_b64 s[8:9], s[0:1], 0x0
	s_load_b128 s[4:7], s[0:1], 0x8
	s_load_b64 s[10:11], s[0:1], 0x18
	s_wait_xcnt 0x0
	s_bfe_u32 s0, ttmp6, 0x4000c
	s_and_b32 s1, ttmp6, 15
	s_add_co_i32 s0, s0, 1
	s_getreg_b32 s2, hwreg(HW_REG_IB_STS2, 6, 4)
	s_mul_i32 s0, ttmp9, s0
	s_delay_alu instid0(SALU_CYCLE_1) | instskip(SKIP_2) | instid1(SALU_CYCLE_1)
	s_add_co_i32 s1, s1, s0
	s_cmp_eq_u32 s2, 0
	s_cselect_b32 s0, ttmp9, s1
	s_lshl_b32 s2, s0, 12
	s_mov_b32 s0, -1
	s_wait_kmcnt 0x0
	s_sub_co_i32 s8, s8, s2
	s_delay_alu instid0(SALU_CYCLE_1)
	s_cmp_gt_i32 s8, 0xfff
	s_cbranch_scc0 .LBB144_50
; %bb.1:
	s_ashr_i32 s3, s2, 31
	v_lshlrev_b32_e32 v1, 6, v0
	s_lshl_b64 s[0:1], s[2:3], 2
	s_cmp_lg_u32 s9, 0
	s_add_nc_u64 s[12:13], s[6:7], s[0:1]
	s_add_nc_u64 s[0:1], s[10:11], s[0:1]
	s_clause 0x7
	global_load_b128 v[26:29], v1, s[12:13]
	global_load_b128 v[30:33], v1, s[0:1]
	global_load_b128 v[18:21], v1, s[12:13] offset:16
	global_load_b128 v[22:25], v1, s[0:1] offset:16
	;; [unrolled: 1-line block ×6, first 2 shown]
	s_wait_xcnt 0x2
	s_cselect_b32 s12, -1, 0
	s_delay_alu instid0(SALU_CYCLE_1)
	s_and_b32 vcc_lo, exec_lo, s12
	s_wait_loadcnt 0x7
	s_wait_xcnt 0x0
	v_lshrrev_b32_e32 v1, 16, v26
	s_wait_loadcnt 0x6
	v_lshrrev_b32_e32 v34, 16, v30
	s_cbranch_vccz .LBB144_196
; %bb.2:
	v_cmp_neq_f16_e32 vcc_lo, v26, v30
	s_delay_alu instid0(VALU_DEP_2)
	v_cmp_neq_f16_e64 s0, v1, v34
	s_or_b32 s1, vcc_lo, s0
	s_cbranch_execnz .LBB144_4
.LBB144_3:
	v_cmp_eq_f16_e32 vcc_lo, v26, v30
	s_delay_alu instid0(VALU_DEP_2) | instskip(SKIP_2) | instid1(SALU_CYCLE_1)
	v_cmp_eq_f16_e64 s0, v1, v34
	s_and_not1_b32 s1, s1, exec_lo
	s_and_b32 s0, vcc_lo, s0
	s_and_b32 s0, s0, exec_lo
	s_delay_alu instid0(SALU_CYCLE_1)
	s_or_b32 s1, s1, s0
.LBB144_4:
	v_cndmask_b32_e64 v1, 0, 1, s12
	v_lshrrev_b32_e32 v26, 16, v27
	v_lshrrev_b32_e32 v30, 16, v31
	s_and_not1_b32 vcc_lo, exec_lo, s12
	s_cbranch_vccnz .LBB144_197
; %bb.5:
	v_cmp_neq_f16_e32 vcc_lo, v27, v31
	s_delay_alu instid0(VALU_DEP_2)
	v_cmp_neq_f16_e64 s0, v26, v30
	s_or_b32 s12, vcc_lo, s0
	s_cbranch_execnz .LBB144_7
.LBB144_6:
	v_cmp_eq_f16_e32 vcc_lo, v27, v31
	v_cmp_eq_f16_e64 s0, v26, v30
	s_and_not1_b32 s12, s12, exec_lo
	s_and_b32 s0, vcc_lo, s0
	s_delay_alu instid0(SALU_CYCLE_1) | instskip(NEXT) | instid1(SALU_CYCLE_1)
	s_and_b32 s0, s0, exec_lo
	s_or_b32 s12, s12, s0
.LBB144_7:
	v_cmp_ne_u32_e32 vcc_lo, 1, v1
	v_lshrrev_b32_e32 v26, 16, v28
	v_lshrrev_b32_e32 v27, 16, v32
	s_cbranch_vccnz .LBB144_198
; %bb.8:
	v_cmp_neq_f16_e32 vcc_lo, v28, v32
	s_delay_alu instid0(VALU_DEP_2)
	v_cmp_neq_f16_e64 s0, v26, v27
	s_or_b32 s13, vcc_lo, s0
	s_cbranch_execnz .LBB144_10
.LBB144_9:
	v_cmp_eq_f16_e32 vcc_lo, v28, v32
	s_delay_alu instid0(VALU_DEP_2) | instskip(SKIP_2) | instid1(SALU_CYCLE_1)
	v_cmp_eq_f16_e64 s0, v26, v27
	s_and_not1_b32 s13, s13, exec_lo
	s_and_b32 s0, vcc_lo, s0
	s_and_b32 s0, s0, exec_lo
	s_delay_alu instid0(SALU_CYCLE_1)
	s_or_b32 s13, s13, s0
.LBB144_10:
	v_cmp_ne_u32_e32 vcc_lo, 1, v1
	v_lshrrev_b32_e32 v26, 16, v29
	v_lshrrev_b32_e32 v27, 16, v33
	s_cbranch_vccnz .LBB144_199
; %bb.11:
	v_cmp_neq_f16_e32 vcc_lo, v29, v33
	s_delay_alu instid0(VALU_DEP_2)
	v_cmp_neq_f16_e64 s0, v26, v27
	s_or_b32 s14, vcc_lo, s0
	s_cbranch_execnz .LBB144_13
.LBB144_12:
	v_cmp_eq_f16_e32 vcc_lo, v29, v33
	s_delay_alu instid0(VALU_DEP_2) | instskip(SKIP_2) | instid1(SALU_CYCLE_1)
	v_cmp_eq_f16_e64 s0, v26, v27
	s_and_not1_b32 s14, s14, exec_lo
	s_and_b32 s0, vcc_lo, s0
	s_and_b32 s0, s0, exec_lo
	s_delay_alu instid0(SALU_CYCLE_1)
	s_or_b32 s14, s14, s0
.LBB144_13:
	v_cmp_ne_u32_e32 vcc_lo, 1, v1
	s_wait_loadcnt 0x5
	v_lshrrev_b32_e32 v26, 16, v18
	s_wait_loadcnt 0x4
	v_lshrrev_b32_e32 v27, 16, v22
	s_cbranch_vccnz .LBB144_200
; %bb.14:
	v_cmp_neq_f16_e32 vcc_lo, v18, v22
	s_delay_alu instid0(VALU_DEP_2)
	v_cmp_neq_f16_e64 s0, v26, v27
	s_or_b32 s15, vcc_lo, s0
	s_cbranch_execnz .LBB144_16
.LBB144_15:
	v_cmp_eq_f16_e32 vcc_lo, v18, v22
	s_delay_alu instid0(VALU_DEP_2) | instskip(SKIP_2) | instid1(SALU_CYCLE_1)
	v_cmp_eq_f16_e64 s0, v26, v27
	s_and_not1_b32 s15, s15, exec_lo
	s_and_b32 s0, vcc_lo, s0
	s_and_b32 s0, s0, exec_lo
	s_delay_alu instid0(SALU_CYCLE_1)
	s_or_b32 s15, s15, s0
.LBB144_16:
	v_cmp_ne_u32_e32 vcc_lo, 1, v1
	v_lshrrev_b32_e32 v18, 16, v19
	v_lshrrev_b32_e32 v22, 16, v23
	s_cbranch_vccnz .LBB144_201
; %bb.17:
	v_cmp_neq_f16_e32 vcc_lo, v19, v23
	s_delay_alu instid0(VALU_DEP_2)
	v_cmp_neq_f16_e64 s0, v18, v22
	s_or_b32 s16, vcc_lo, s0
	s_cbranch_execnz .LBB144_19
.LBB144_18:
	v_cmp_eq_f16_e32 vcc_lo, v19, v23
	s_delay_alu instid0(VALU_DEP_2) | instskip(SKIP_2) | instid1(SALU_CYCLE_1)
	v_cmp_eq_f16_e64 s0, v18, v22
	s_and_not1_b32 s16, s16, exec_lo
	s_and_b32 s0, vcc_lo, s0
	s_and_b32 s0, s0, exec_lo
	s_delay_alu instid0(SALU_CYCLE_1)
	s_or_b32 s16, s16, s0
.LBB144_19:
	v_cmp_ne_u32_e32 vcc_lo, 1, v1
	v_lshrrev_b32_e32 v18, 16, v20
	v_lshrrev_b32_e32 v19, 16, v24
	s_cbranch_vccnz .LBB144_202
; %bb.20:
	v_cmp_neq_f16_e32 vcc_lo, v20, v24
	s_delay_alu instid0(VALU_DEP_2)
	v_cmp_neq_f16_e64 s0, v18, v19
	s_or_b32 s17, vcc_lo, s0
	s_cbranch_execnz .LBB144_22
.LBB144_21:
	v_cmp_eq_f16_e32 vcc_lo, v20, v24
	s_delay_alu instid0(VALU_DEP_2) | instskip(SKIP_2) | instid1(SALU_CYCLE_1)
	v_cmp_eq_f16_e64 s0, v18, v19
	s_and_not1_b32 s17, s17, exec_lo
	s_and_b32 s0, vcc_lo, s0
	s_and_b32 s0, s0, exec_lo
	s_delay_alu instid0(SALU_CYCLE_1)
	s_or_b32 s17, s17, s0
.LBB144_22:
	v_cmp_ne_u32_e32 vcc_lo, 1, v1
	v_lshrrev_b32_e32 v18, 16, v21
	v_lshrrev_b32_e32 v19, 16, v25
	s_cbranch_vccnz .LBB144_203
; %bb.23:
	v_cmp_neq_f16_e32 vcc_lo, v21, v25
	s_delay_alu instid0(VALU_DEP_2)
	v_cmp_neq_f16_e64 s0, v18, v19
	s_or_b32 s19, vcc_lo, s0
	s_cbranch_execnz .LBB144_25
.LBB144_24:
	v_cmp_eq_f16_e32 vcc_lo, v21, v25
	s_delay_alu instid0(VALU_DEP_2) | instskip(SKIP_2) | instid1(SALU_CYCLE_1)
	v_cmp_eq_f16_e64 s0, v18, v19
	s_and_not1_b32 s18, s19, exec_lo
	s_and_b32 s0, vcc_lo, s0
	s_and_b32 s0, s0, exec_lo
	s_delay_alu instid0(SALU_CYCLE_1)
	s_or_b32 s19, s18, s0
.LBB144_25:
	v_cmp_ne_u32_e32 vcc_lo, 1, v1
	s_wait_loadcnt 0x2
	v_lshrrev_b32_e32 v18, 16, v10
	s_wait_loadcnt 0x0
	v_lshrrev_b32_e32 v19, 16, v14
	s_cbranch_vccnz .LBB144_204
; %bb.26:
	v_cmp_neq_f16_e32 vcc_lo, v10, v14
	s_delay_alu instid0(VALU_DEP_2)
	v_cmp_neq_f16_e64 s0, v18, v19
	s_or_b32 s18, vcc_lo, s0
	s_cbranch_execnz .LBB144_28
.LBB144_27:
	v_cmp_eq_f16_e32 vcc_lo, v10, v14
	s_delay_alu instid0(VALU_DEP_2) | instskip(SKIP_2) | instid1(SALU_CYCLE_1)
	v_cmp_eq_f16_e64 s0, v18, v19
	s_and_not1_b32 s18, s18, exec_lo
	s_and_b32 s0, vcc_lo, s0
	s_and_b32 s0, s0, exec_lo
	s_delay_alu instid0(SALU_CYCLE_1)
	s_or_b32 s18, s18, s0
.LBB144_28:
	v_cmp_ne_u32_e32 vcc_lo, 1, v1
	v_lshrrev_b32_e32 v10, 16, v11
	v_lshrrev_b32_e32 v14, 16, v15
	s_cbranch_vccnz .LBB144_205
; %bb.29:
	v_cmp_neq_f16_e32 vcc_lo, v11, v15
	s_delay_alu instid0(VALU_DEP_2)
	v_cmp_neq_f16_e64 s0, v10, v14
	s_or_b32 s20, vcc_lo, s0
	s_cbranch_execnz .LBB144_31
.LBB144_30:
	v_cmp_eq_f16_e32 vcc_lo, v11, v15
	s_delay_alu instid0(VALU_DEP_2) | instskip(SKIP_2) | instid1(SALU_CYCLE_1)
	v_cmp_eq_f16_e64 s0, v10, v14
	s_and_not1_b32 s20, s20, exec_lo
	s_and_b32 s0, vcc_lo, s0
	s_and_b32 s0, s0, exec_lo
	s_delay_alu instid0(SALU_CYCLE_1)
	s_or_b32 s20, s20, s0
.LBB144_31:
	v_cmp_ne_u32_e32 vcc_lo, 1, v1
	v_lshrrev_b32_e32 v10, 16, v12
	v_lshrrev_b32_e32 v11, 16, v16
	s_cbranch_vccnz .LBB144_206
; %bb.32:
	v_cmp_neq_f16_e32 vcc_lo, v12, v16
	s_delay_alu instid0(VALU_DEP_2)
	v_cmp_neq_f16_e64 s0, v10, v11
	s_or_b32 s21, vcc_lo, s0
	s_cbranch_execnz .LBB144_34
.LBB144_33:
	v_cmp_eq_f16_e32 vcc_lo, v12, v16
	s_delay_alu instid0(VALU_DEP_2) | instskip(SKIP_2) | instid1(SALU_CYCLE_1)
	v_cmp_eq_f16_e64 s0, v10, v11
	s_and_not1_b32 s21, s21, exec_lo
	s_and_b32 s0, vcc_lo, s0
	s_and_b32 s0, s0, exec_lo
	s_delay_alu instid0(SALU_CYCLE_1)
	s_or_b32 s21, s21, s0
.LBB144_34:
	v_cmp_ne_u32_e32 vcc_lo, 1, v1
	v_lshrrev_b32_e32 v10, 16, v13
	v_lshrrev_b32_e32 v11, 16, v17
	s_cbranch_vccnz .LBB144_207
; %bb.35:
	v_cmp_neq_f16_e32 vcc_lo, v13, v17
	s_delay_alu instid0(VALU_DEP_2)
	v_cmp_neq_f16_e64 s0, v10, v11
	s_or_b32 s22, vcc_lo, s0
	s_cbranch_execnz .LBB144_37
.LBB144_36:
	v_cmp_eq_f16_e32 vcc_lo, v13, v17
	s_delay_alu instid0(VALU_DEP_2) | instskip(SKIP_2) | instid1(SALU_CYCLE_1)
	v_cmp_eq_f16_e64 s0, v10, v11
	s_and_not1_b32 s22, s22, exec_lo
	s_and_b32 s0, vcc_lo, s0
	s_and_b32 s0, s0, exec_lo
	s_delay_alu instid0(SALU_CYCLE_1)
	s_or_b32 s22, s22, s0
.LBB144_37:
	v_cmp_ne_u32_e32 vcc_lo, 1, v1
	v_lshrrev_b32_e32 v10, 16, v2
	v_lshrrev_b32_e32 v11, 16, v6
	s_cbranch_vccnz .LBB144_208
; %bb.38:
	v_cmp_neq_f16_e32 vcc_lo, v2, v6
	s_delay_alu instid0(VALU_DEP_2)
	v_cmp_neq_f16_e64 s0, v10, v11
	s_or_b32 s23, vcc_lo, s0
	s_cbranch_execnz .LBB144_40
.LBB144_39:
	v_cmp_eq_f16_e32 vcc_lo, v2, v6
	s_delay_alu instid0(VALU_DEP_2) | instskip(SKIP_2) | instid1(SALU_CYCLE_1)
	v_cmp_eq_f16_e64 s0, v10, v11
	s_and_not1_b32 s23, s23, exec_lo
	s_and_b32 s0, vcc_lo, s0
	s_and_b32 s0, s0, exec_lo
	s_delay_alu instid0(SALU_CYCLE_1)
	s_or_b32 s23, s23, s0
.LBB144_40:
	v_cmp_ne_u32_e32 vcc_lo, 1, v1
	v_lshrrev_b32_e32 v2, 16, v3
	v_lshrrev_b32_e32 v6, 16, v7
	s_cbranch_vccnz .LBB144_209
; %bb.41:
	v_cmp_neq_f16_e32 vcc_lo, v3, v7
	s_delay_alu instid0(VALU_DEP_2)
	v_cmp_neq_f16_e64 s0, v2, v6
	s_or_b32 s24, vcc_lo, s0
	s_cbranch_execnz .LBB144_43
.LBB144_42:
	v_cmp_eq_f16_e32 vcc_lo, v3, v7
	s_delay_alu instid0(VALU_DEP_2) | instskip(SKIP_2) | instid1(SALU_CYCLE_1)
	v_cmp_eq_f16_e64 s0, v2, v6
	s_and_not1_b32 s24, s24, exec_lo
	s_and_b32 s0, vcc_lo, s0
	s_and_b32 s0, s0, exec_lo
	s_delay_alu instid0(SALU_CYCLE_1)
	s_or_b32 s24, s24, s0
.LBB144_43:
	v_cmp_ne_u32_e32 vcc_lo, 1, v1
	v_lshrrev_b32_e32 v2, 16, v4
	v_lshrrev_b32_e32 v3, 16, v8
	s_cbranch_vccnz .LBB144_210
; %bb.44:
	v_cmp_neq_f16_e32 vcc_lo, v4, v8
	s_delay_alu instid0(VALU_DEP_2)
	v_cmp_neq_f16_e64 s0, v2, v3
	s_or_b32 s25, vcc_lo, s0
	s_cbranch_execnz .LBB144_46
.LBB144_45:
	v_cmp_eq_f16_e32 vcc_lo, v4, v8
	s_delay_alu instid0(VALU_DEP_2) | instskip(SKIP_2) | instid1(SALU_CYCLE_1)
	v_cmp_eq_f16_e64 s0, v2, v3
	s_and_not1_b32 s25, s25, exec_lo
	s_and_b32 s0, vcc_lo, s0
	s_and_b32 s0, s0, exec_lo
	s_delay_alu instid0(SALU_CYCLE_1)
	s_or_b32 s25, s25, s0
.LBB144_46:
	v_cmp_ne_u32_e32 vcc_lo, 1, v1
	v_lshrrev_b32_e32 v1, 16, v5
	v_lshrrev_b32_e32 v2, 16, v9
	s_cbranch_vccnz .LBB144_211
; %bb.47:
	v_cmp_neq_f16_e32 vcc_lo, v5, v9
	s_delay_alu instid0(VALU_DEP_2)
	v_cmp_neq_f16_e64 s0, v1, v2
	s_or_b32 s26, vcc_lo, s0
	s_cbranch_execnz .LBB144_49
.LBB144_48:
	v_cmp_eq_f16_e32 vcc_lo, v5, v9
	s_delay_alu instid0(VALU_DEP_2) | instskip(SKIP_2) | instid1(SALU_CYCLE_1)
	v_cmp_eq_f16_e64 s0, v1, v2
	s_and_not1_b32 s26, s26, exec_lo
	s_and_b32 s0, vcc_lo, s0
	s_and_b32 s0, s0, exec_lo
	s_delay_alu instid0(SALU_CYCLE_1)
	s_or_b32 s26, s26, s0
.LBB144_49:
	v_cndmask_b32_e64 v1, 0, 1, s16
	v_cndmask_b32_e64 v2, 0, 1, s19
	;; [unrolled: 1-line block ×5, first 2 shown]
	v_lshlrev_b16 v1, 8, v1
	v_lshlrev_b16 v2, 8, v2
	v_cndmask_b32_e64 v6, 0, 1, s1
	v_lshlrev_b16 v4, 8, v4
	v_cndmask_b32_e64 v7, 0, 1, s26
	v_cndmask_b32_e64 v8, 0, 1, s20
	v_or_b32_e32 v2, v5, v2
	v_or_b32_e32 v1, v3, v1
	;; [unrolled: 1-line block ×3, first 2 shown]
	v_cndmask_b32_e64 v4, 0, 1, s14
	v_cndmask_b32_e64 v5, 0, 1, s24
	;; [unrolled: 1-line block ×4, first 2 shown]
	v_and_b32_e32 v6, 0xffff, v3
	v_lshlrev_b16 v3, 8, v4
	v_cndmask_b32_e64 v4, 0, 1, s13
	v_lshlrev_b16 v5, 8, v5
	v_lshlrev_b16 v7, 8, v7
	v_cndmask_b32_e64 v11, 0, 1, s25
	v_lshlrev_b16 v8, 8, v8
	v_cndmask_b32_e64 v12, 0, 1, s18
	v_lshlrev_b16 v10, 8, v10
	v_cndmask_b32_e64 v13, 0, 1, s21
	v_or_b32_e32 v3, v4, v3
	v_or_b32_e32 v4, v9, v5
	;; [unrolled: 1-line block ×5, first 2 shown]
	s_add_nc_u64 s[12:13], s[4:5], s[2:3]
	v_and_b32_e32 v4, 0xffff, v4
	v_lshlrev_b32_e32 v5, 16, v5
	v_and_b32_e32 v7, 0xffff, v7
	v_dual_lshlrev_b32 v8, 16, v8 :: v_dual_lshlrev_b32 v9, 16, v3
	v_lshlrev_b32_e32 v2, 16, v2
	v_and_b32_e32 v1, 0xffff, v1
	v_or_b32_e32 v5, v4, v5
	s_delay_alu instid0(VALU_DEP_4) | instskip(SKIP_1) | instid1(VALU_DEP_3)
	v_or_b32_e32 v4, v7, v8
	s_mov_b32 s0, 0
	v_or_b32_e32 v3, v1, v2
	v_or_b32_e32 v2, v6, v9
	global_store_b128 v0, v[2:5], s[12:13] scale_offset
.LBB144_50:
	s_and_b32 vcc_lo, exec_lo, s0
	s_cbranch_vccz .LBB144_195
; %bb.51:
	v_cmp_gt_i32_e64 s0, s8, v0
	v_dual_mov_b32 v10, 0 :: v_dual_bitop2_b32 v1, s2, v0 bitop3:0x54
	v_or_b32_e32 v8, 0x100, v0
	v_dual_mov_b32 v9, 0 :: v_dual_mov_b32 v12, 0
	v_dual_mov_b32 v11, 0 :: v_dual_mov_b32 v14, 0
	;; [unrolled: 1-line block ×13, first 2 shown]
	s_wait_xcnt 0x0
	v_dual_mov_b32 v3, 0 :: v_dual_mov_b32 v35, 0
	v_dual_mov_b32 v36, 0 :: v_dual_mov_b32 v37, 0
	v_mov_b32_e32 v38, 0
	s_and_saveexec_b32 s1, s0
	s_cbranch_execz .LBB144_83
; %bb.52:
	s_clause 0x1
	global_load_b32 v37, v1, s[6:7] scale_offset
	global_load_b32 v38, v1, s[10:11] scale_offset
	v_or_b32_e32 v2, 0x100, v0
	v_dual_mov_b32 v36, 0 :: v_dual_mov_b32 v35, 0
	v_dual_mov_b32 v3, 0 :: v_dual_mov_b32 v34, 0
	s_delay_alu instid0(VALU_DEP_3)
	v_cmp_gt_u32_e32 vcc_lo, s8, v2
	v_dual_mov_b32 v7, 0 :: v_dual_mov_b32 v33, 0
	v_dual_mov_b32 v31, 0 :: v_dual_mov_b32 v32, 0
	;; [unrolled: 1-line block ×13, first 2 shown]
	s_wait_xcnt 0x0
	s_and_saveexec_b32 s3, vcc_lo
	s_cbranch_execz .LBB144_82
; %bb.53:
	v_dual_mov_b32 v3, 0 :: v_dual_add_nc_u32 v2, s2, v0
	v_or_b32_e32 v4, 0x200, v0
	v_dual_mov_b32 v34, 0 :: v_dual_mov_b32 v7, 0
	s_clause 0x1
	global_load_b32 v35, v2, s[6:7] offset:1024 scale_offset
	global_load_b32 v36, v2, s[10:11] offset:1024 scale_offset
	v_dual_mov_b32 v33, 0 :: v_dual_mov_b32 v31, 0
	v_cmp_gt_u32_e32 vcc_lo, s8, v4
	v_dual_mov_b32 v32, 0 :: v_dual_mov_b32 v29, 0
	v_dual_mov_b32 v30, 0 :: v_dual_mov_b32 v27, 0
	;; [unrolled: 1-line block ×11, first 2 shown]
	v_mov_b32_e32 v10, 0
	s_wait_xcnt 0x0
	s_and_saveexec_b32 s12, vcc_lo
	s_cbranch_execz .LBB144_81
; %bb.54:
	v_lshlrev_b64_e32 v[6:7], 2, v[2:3]
	v_or_b32_e32 v9, 0x300, v0
	v_dual_mov_b32 v33, 0 :: v_dual_mov_b32 v31, 0
	v_dual_mov_b32 v32, 0 :: v_dual_mov_b32 v29, 0
	s_delay_alu instid0(VALU_DEP_3)
	v_cmp_gt_u32_e32 vcc_lo, s8, v9
	v_add_nc_u64_e32 v[4:5], s[6:7], v[6:7]
	v_add_nc_u64_e32 v[6:7], s[10:11], v[6:7]
	v_dual_mov_b32 v30, 0 :: v_dual_mov_b32 v27, 0
	v_dual_mov_b32 v28, 0 :: v_dual_mov_b32 v25, 0
	;; [unrolled: 1-line block ×3, first 2 shown]
	global_load_b32 v34, v[4:5], off offset:2048
	global_load_b32 v2, v[6:7], off offset:2048
	v_dual_mov_b32 v24, 0 :: v_dual_mov_b32 v21, 0
	v_dual_mov_b32 v22, 0 :: v_dual_mov_b32 v19, 0
	v_dual_mov_b32 v20, 0 :: v_dual_mov_b32 v17, 0
	v_dual_mov_b32 v18, 0 :: v_dual_mov_b32 v15, 0
	v_dual_mov_b32 v16, 0 :: v_dual_mov_b32 v13, 0
	v_dual_mov_b32 v14, 0 :: v_dual_mov_b32 v11, 0
	v_dual_mov_b32 v12, 0 :: v_dual_mov_b32 v9, 0
	v_mov_b32_e32 v10, 0
	s_wait_xcnt 0x0
	s_and_saveexec_b32 s6, vcc_lo
	s_cbranch_execz .LBB144_80
; %bb.55:
	global_load_b32 v33, v[4:5], off offset:3072
	global_load_b32 v3, v[6:7], off offset:3072
	v_or_b32_e32 v9, 0x400, v0
	v_dual_mov_b32 v31, 0 :: v_dual_mov_b32 v32, 0
	v_dual_mov_b32 v29, 0 :: v_dual_mov_b32 v30, 0
	s_delay_alu instid0(VALU_DEP_3)
	v_cmp_gt_u32_e32 vcc_lo, s8, v9
	v_dual_mov_b32 v27, 0 :: v_dual_mov_b32 v28, 0
	v_dual_mov_b32 v25, 0 :: v_dual_mov_b32 v26, 0
	;; [unrolled: 1-line block ×10, first 2 shown]
	s_wait_xcnt 0x0
	s_and_saveexec_b32 s7, vcc_lo
	s_cbranch_execz .LBB144_79
; %bb.56:
	global_load_b32 v32, v[4:5], off offset:4096
	global_load_b32 v31, v[6:7], off offset:4096
	v_or_b32_e32 v9, 0x500, v0
	v_dual_mov_b32 v29, 0 :: v_dual_mov_b32 v30, 0
	v_dual_mov_b32 v27, 0 :: v_dual_mov_b32 v28, 0
	s_delay_alu instid0(VALU_DEP_3)
	v_cmp_gt_u32_e32 vcc_lo, s8, v9
	v_dual_mov_b32 v25, 0 :: v_dual_mov_b32 v26, 0
	v_dual_mov_b32 v23, 0 :: v_dual_mov_b32 v24, 0
	;; [unrolled: 1-line block ×9, first 2 shown]
	s_wait_xcnt 0x0
	s_and_saveexec_b32 s10, vcc_lo
	s_cbranch_execz .LBB144_78
; %bb.57:
	global_load_b32 v30, v[4:5], off offset:5120
	global_load_b32 v29, v[6:7], off offset:5120
	v_or_b32_e32 v9, 0x600, v0
	v_dual_mov_b32 v27, 0 :: v_dual_mov_b32 v28, 0
	v_dual_mov_b32 v25, 0 :: v_dual_mov_b32 v26, 0
	s_delay_alu instid0(VALU_DEP_3)
	v_cmp_gt_u32_e32 vcc_lo, s8, v9
	v_dual_mov_b32 v23, 0 :: v_dual_mov_b32 v24, 0
	v_dual_mov_b32 v21, 0 :: v_dual_mov_b32 v22, 0
	;; [unrolled: 1-line block ×8, first 2 shown]
	s_wait_xcnt 0x0
	s_and_saveexec_b32 s11, vcc_lo
	s_cbranch_execz .LBB144_77
; %bb.58:
	global_load_b32 v28, v[4:5], off offset:6144
	global_load_b32 v27, v[6:7], off offset:6144
	v_or_b32_e32 v9, 0x700, v0
	v_dual_mov_b32 v25, 0 :: v_dual_mov_b32 v26, 0
	v_dual_mov_b32 v23, 0 :: v_dual_mov_b32 v24, 0
	s_delay_alu instid0(VALU_DEP_3)
	v_cmp_gt_u32_e32 vcc_lo, s8, v9
	v_dual_mov_b32 v21, 0 :: v_dual_mov_b32 v22, 0
	v_dual_mov_b32 v19, 0 :: v_dual_mov_b32 v20, 0
	;; [unrolled: 1-line block ×7, first 2 shown]
	s_wait_xcnt 0x0
	s_and_saveexec_b32 s13, vcc_lo
	s_cbranch_execz .LBB144_76
; %bb.59:
	global_load_b32 v26, v[4:5], off offset:7168
	global_load_b32 v25, v[6:7], off offset:7168
	v_or_b32_e32 v9, 0x800, v0
	v_dual_mov_b32 v23, 0 :: v_dual_mov_b32 v24, 0
	v_dual_mov_b32 v21, 0 :: v_dual_mov_b32 v22, 0
	s_delay_alu instid0(VALU_DEP_3)
	v_cmp_gt_u32_e32 vcc_lo, s8, v9
	v_dual_mov_b32 v19, 0 :: v_dual_mov_b32 v20, 0
	v_dual_mov_b32 v17, 0 :: v_dual_mov_b32 v18, 0
	;; [unrolled: 1-line block ×6, first 2 shown]
	s_wait_xcnt 0x0
	s_and_saveexec_b32 s14, vcc_lo
	s_cbranch_execz .LBB144_75
; %bb.60:
	global_load_b32 v24, v[4:5], off offset:8192
	global_load_b32 v23, v[6:7], off offset:8192
	v_or_b32_e32 v9, 0x900, v0
	v_dual_mov_b32 v21, 0 :: v_dual_mov_b32 v22, 0
	v_dual_mov_b32 v19, 0 :: v_dual_mov_b32 v20, 0
	s_delay_alu instid0(VALU_DEP_3)
	v_cmp_gt_u32_e32 vcc_lo, s8, v9
	v_dual_mov_b32 v17, 0 :: v_dual_mov_b32 v18, 0
	v_dual_mov_b32 v15, 0 :: v_dual_mov_b32 v16, 0
	;; [unrolled: 1-line block ×5, first 2 shown]
	s_wait_xcnt 0x0
	s_and_saveexec_b32 s15, vcc_lo
	s_cbranch_execz .LBB144_74
; %bb.61:
	global_load_b32 v22, v[4:5], off offset:9216
	global_load_b32 v21, v[6:7], off offset:9216
	v_or_b32_e32 v9, 0xa00, v0
	v_dual_mov_b32 v19, 0 :: v_dual_mov_b32 v20, 0
	v_dual_mov_b32 v17, 0 :: v_dual_mov_b32 v18, 0
	s_delay_alu instid0(VALU_DEP_3)
	v_cmp_gt_u32_e32 vcc_lo, s8, v9
	v_dual_mov_b32 v15, 0 :: v_dual_mov_b32 v16, 0
	v_dual_mov_b32 v13, 0 :: v_dual_mov_b32 v14, 0
	;; [unrolled: 1-line block ×4, first 2 shown]
	s_wait_xcnt 0x0
	s_and_saveexec_b32 s16, vcc_lo
	s_cbranch_execz .LBB144_73
; %bb.62:
	global_load_b32 v20, v[4:5], off offset:10240
	global_load_b32 v19, v[6:7], off offset:10240
	v_or_b32_e32 v9, 0xb00, v0
	v_dual_mov_b32 v17, 0 :: v_dual_mov_b32 v18, 0
	v_dual_mov_b32 v15, 0 :: v_dual_mov_b32 v16, 0
	s_delay_alu instid0(VALU_DEP_3)
	v_cmp_gt_u32_e32 vcc_lo, s8, v9
	v_dual_mov_b32 v13, 0 :: v_dual_mov_b32 v14, 0
	v_dual_mov_b32 v11, 0 :: v_dual_mov_b32 v12, 0
	;; [unrolled: 1-line block ×3, first 2 shown]
	s_wait_xcnt 0x0
	s_and_saveexec_b32 s17, vcc_lo
	s_cbranch_execz .LBB144_72
; %bb.63:
	global_load_b32 v18, v[4:5], off offset:11264
	global_load_b32 v17, v[6:7], off offset:11264
	v_or_b32_e32 v9, 0xc00, v0
	v_dual_mov_b32 v15, 0 :: v_dual_mov_b32 v16, 0
	v_dual_mov_b32 v13, 0 :: v_dual_mov_b32 v14, 0
	s_delay_alu instid0(VALU_DEP_3)
	v_cmp_gt_u32_e32 vcc_lo, s8, v9
	v_dual_mov_b32 v11, 0 :: v_dual_mov_b32 v12, 0
	v_dual_mov_b32 v9, 0 :: v_dual_mov_b32 v10, 0
	s_wait_xcnt 0x0
	s_and_saveexec_b32 s18, vcc_lo
	s_cbranch_execz .LBB144_71
; %bb.64:
	global_load_b32 v16, v[4:5], off offset:12288
	global_load_b32 v15, v[6:7], off offset:12288
	v_or_b32_e32 v9, 0xd00, v0
	v_dual_mov_b32 v13, 0 :: v_dual_mov_b32 v14, 0
	v_dual_mov_b32 v11, 0 :: v_dual_mov_b32 v12, 0
	s_delay_alu instid0(VALU_DEP_3)
	v_cmp_gt_u32_e32 vcc_lo, s8, v9
	v_dual_mov_b32 v9, 0 :: v_dual_mov_b32 v10, 0
	s_wait_xcnt 0x0
	s_and_saveexec_b32 s19, vcc_lo
	s_cbranch_execz .LBB144_70
; %bb.65:
	global_load_b32 v14, v[4:5], off offset:13312
	global_load_b32 v13, v[6:7], off offset:13312
	v_or_b32_e32 v9, 0xe00, v0
	v_dual_mov_b32 v11, 0 :: v_dual_mov_b32 v12, 0
	v_mov_b32_e32 v10, 0
	s_delay_alu instid0(VALU_DEP_3)
	v_cmp_gt_u32_e32 vcc_lo, s8, v9
	v_mov_b32_e32 v9, 0
	s_wait_xcnt 0x0
	s_and_saveexec_b32 s20, vcc_lo
	s_cbranch_execz .LBB144_69
; %bb.66:
	global_load_b32 v12, v[4:5], off offset:14336
	global_load_b32 v11, v[6:7], off offset:14336
	v_or_b32_e32 v9, 0xf00, v0
	v_mov_b32_e32 v10, 0
	s_delay_alu instid0(VALU_DEP_2)
	v_cmp_gt_u32_e32 vcc_lo, s8, v9
	v_mov_b32_e32 v9, 0
	s_wait_xcnt 0x0
	s_and_saveexec_b32 s21, vcc_lo
	s_cbranch_execz .LBB144_68
; %bb.67:
	global_load_b32 v10, v[4:5], off offset:15360
	global_load_b32 v9, v[6:7], off offset:15360
.LBB144_68:
	s_wait_xcnt 0x0
	s_or_b32 exec_lo, exec_lo, s21
.LBB144_69:
	s_delay_alu instid0(SALU_CYCLE_1)
	s_or_b32 exec_lo, exec_lo, s20
.LBB144_70:
	s_delay_alu instid0(SALU_CYCLE_1)
	s_or_b32 exec_lo, exec_lo, s19
.LBB144_71:
	s_delay_alu instid0(SALU_CYCLE_1)
	s_or_b32 exec_lo, exec_lo, s18
.LBB144_72:
	s_delay_alu instid0(SALU_CYCLE_1)
	s_or_b32 exec_lo, exec_lo, s17
.LBB144_73:
	s_delay_alu instid0(SALU_CYCLE_1)
	s_or_b32 exec_lo, exec_lo, s16
.LBB144_74:
	s_delay_alu instid0(SALU_CYCLE_1)
	s_or_b32 exec_lo, exec_lo, s15
.LBB144_75:
	s_delay_alu instid0(SALU_CYCLE_1)
	s_or_b32 exec_lo, exec_lo, s14
.LBB144_76:
	s_delay_alu instid0(SALU_CYCLE_1)
	s_or_b32 exec_lo, exec_lo, s13
.LBB144_77:
	s_delay_alu instid0(SALU_CYCLE_1)
	s_or_b32 exec_lo, exec_lo, s11
.LBB144_78:
	s_delay_alu instid0(SALU_CYCLE_1)
	s_or_b32 exec_lo, exec_lo, s10
.LBB144_79:
	s_delay_alu instid0(SALU_CYCLE_1)
	s_or_b32 exec_lo, exec_lo, s7
.LBB144_80:
	s_delay_alu instid0(SALU_CYCLE_1)
	s_or_b32 exec_lo, exec_lo, s6
	s_wait_loadcnt 0x0
	v_dual_mov_b32 v7, v3 :: v_dual_mov_b32 v3, v2
.LBB144_81:
	s_or_b32 exec_lo, exec_lo, s12
.LBB144_82:
	s_delay_alu instid0(SALU_CYCLE_1)
	s_or_b32 exec_lo, exec_lo, s3
.LBB144_83:
	s_delay_alu instid0(SALU_CYCLE_1)
	s_or_b32 exec_lo, exec_lo, s1
	s_cmp_lg_u32 s9, 0
                                        ; implicit-def: $vgpr2
	s_cselect_b32 s3, -1, 0
	s_and_saveexec_b32 s6, s0
	s_cbranch_execz .LBB144_88
; %bb.84:
	s_wait_loadcnt 0x0
	v_dual_lshrrev_b32 v2, 16, v37 :: v_dual_lshrrev_b32 v4, 16, v38
	s_and_b32 vcc_lo, exec_lo, s3
	s_cbranch_vccz .LBB144_212
; %bb.85:
	v_cmp_neq_f16_e32 vcc_lo, v37, v38
	s_delay_alu instid0(VALU_DEP_2)
	v_cmp_neq_f16_e64 s1, v2, v4
	s_or_b32 s7, vcc_lo, s1
	s_cbranch_execnz .LBB144_87
.LBB144_86:
	v_cmp_eq_f16_e32 vcc_lo, v37, v38
	v_cmp_eq_f16_e64 s1, v2, v4
	s_and_not1_b32 s7, s7, exec_lo
	s_and_b32 s1, vcc_lo, s1
	s_delay_alu instid0(SALU_CYCLE_1) | instskip(NEXT) | instid1(SALU_CYCLE_1)
	s_and_b32 s1, s1, exec_lo
	s_or_b32 s7, s7, s1
.LBB144_87:
	s_delay_alu instid0(SALU_CYCLE_1)
	v_cndmask_b32_e64 v2, 0, 1, s7
.LBB144_88:
	s_or_b32 exec_lo, exec_lo, s6
	v_cndmask_b32_e64 v5, 0, 1, s3
	s_mov_b32 s6, exec_lo
                                        ; implicit-def: $vgpr4
	v_cmpx_gt_i32_e64 s8, v8
	s_cbranch_execz .LBB144_93
; %bb.89:
	s_wait_loadcnt 0x0
	v_dual_lshrrev_b32 v4, 16, v35 :: v_dual_lshrrev_b32 v6, 16, v36
	s_and_not1_b32 vcc_lo, exec_lo, s3
	s_cbranch_vccnz .LBB144_213
; %bb.90:
	v_cmp_neq_f16_e32 vcc_lo, v35, v36
	s_delay_alu instid0(VALU_DEP_2)
	v_cmp_neq_f16_e64 s1, v4, v6
	s_or_b32 s3, vcc_lo, s1
	s_cbranch_execnz .LBB144_92
.LBB144_91:
	v_cmp_eq_f16_e32 vcc_lo, v35, v36
	v_cmp_eq_f16_e64 s1, v4, v6
	s_and_not1_b32 s3, s3, exec_lo
	s_and_b32 s1, vcc_lo, s1
	s_delay_alu instid0(SALU_CYCLE_1) | instskip(NEXT) | instid1(SALU_CYCLE_1)
	s_and_b32 s1, s1, exec_lo
	s_or_b32 s3, s3, s1
.LBB144_92:
	s_delay_alu instid0(SALU_CYCLE_1)
	v_cndmask_b32_e64 v4, 0, 1, s3
.LBB144_93:
	s_or_b32 exec_lo, exec_lo, s6
	v_or_b32_e32 v6, 0x200, v0
	s_delay_alu instid0(VALU_DEP_1)
	v_cmp_gt_i32_e32 vcc_lo, s8, v6
                                        ; implicit-def: $vgpr6
	s_and_saveexec_b32 s3, vcc_lo
	s_cbranch_execz .LBB144_98
; %bb.94:
	v_cmp_ne_u32_e32 vcc_lo, 1, v5
	s_wait_loadcnt 0x1
	v_dual_lshrrev_b32 v6, 16, v34 :: v_dual_lshrrev_b32 v35, 16, v3
	s_cbranch_vccnz .LBB144_214
; %bb.95:
	v_cmp_neq_f16_e32 vcc_lo, v34, v3
	s_delay_alu instid0(VALU_DEP_2)
	v_cmp_neq_f16_e64 s1, v6, v35
	s_or_b32 s6, vcc_lo, s1
	s_cbranch_execnz .LBB144_97
.LBB144_96:
	v_cmp_eq_f16_e32 vcc_lo, v34, v3
	s_delay_alu instid0(VALU_DEP_2) | instskip(SKIP_2) | instid1(SALU_CYCLE_1)
	v_cmp_eq_f16_e64 s1, v6, v35
	s_and_not1_b32 s6, s6, exec_lo
	s_and_b32 s1, vcc_lo, s1
	s_and_b32 s1, s1, exec_lo
	s_delay_alu instid0(SALU_CYCLE_1)
	s_or_b32 s6, s6, s1
.LBB144_97:
	s_delay_alu instid0(SALU_CYCLE_1)
	v_cndmask_b32_e64 v6, 0, 1, s6
.LBB144_98:
	s_or_b32 exec_lo, exec_lo, s3
	v_or_b32_e32 v3, 0x300, v0
	s_delay_alu instid0(VALU_DEP_1)
	v_cmp_gt_i32_e32 vcc_lo, s8, v3
                                        ; implicit-def: $vgpr3
	s_and_saveexec_b32 s3, vcc_lo
	s_cbranch_execz .LBB144_103
; %bb.99:
	v_cmp_ne_u32_e32 vcc_lo, 1, v5
	v_dual_lshrrev_b32 v3, 16, v33 :: v_dual_lshrrev_b32 v34, 16, v7
	s_cbranch_vccnz .LBB144_215
; %bb.100:
	v_cmp_neq_f16_e32 vcc_lo, v33, v7
	s_delay_alu instid0(VALU_DEP_2)
	v_cmp_neq_f16_e64 s1, v3, v34
	s_or_b32 s6, vcc_lo, s1
	s_cbranch_execnz .LBB144_102
.LBB144_101:
	v_cmp_eq_f16_e32 vcc_lo, v33, v7
	s_delay_alu instid0(VALU_DEP_2) | instskip(SKIP_2) | instid1(SALU_CYCLE_1)
	v_cmp_eq_f16_e64 s1, v3, v34
	s_and_not1_b32 s6, s6, exec_lo
	s_and_b32 s1, vcc_lo, s1
	s_and_b32 s1, s1, exec_lo
	s_delay_alu instid0(SALU_CYCLE_1)
	s_or_b32 s6, s6, s1
.LBB144_102:
	s_delay_alu instid0(SALU_CYCLE_1)
	v_cndmask_b32_e64 v3, 0, 1, s6
.LBB144_103:
	s_or_b32 exec_lo, exec_lo, s3
	v_or_b32_e32 v7, 0x400, v0
	s_delay_alu instid0(VALU_DEP_1)
	v_cmp_gt_i32_e32 vcc_lo, s8, v7
                                        ; implicit-def: $vgpr7
	s_and_saveexec_b32 s3, vcc_lo
	s_cbranch_execz .LBB144_108
; %bb.104:
	v_cmp_ne_u32_e32 vcc_lo, 1, v5
	v_dual_lshrrev_b32 v7, 16, v32 :: v_dual_lshrrev_b32 v33, 16, v31
	s_cbranch_vccnz .LBB144_216
; %bb.105:
	v_cmp_neq_f16_e32 vcc_lo, v32, v31
	s_delay_alu instid0(VALU_DEP_2)
	v_cmp_neq_f16_e64 s1, v7, v33
	s_or_b32 s6, vcc_lo, s1
	s_cbranch_execnz .LBB144_107
.LBB144_106:
	v_cmp_eq_f16_e32 vcc_lo, v32, v31
	s_delay_alu instid0(VALU_DEP_2) | instskip(SKIP_2) | instid1(SALU_CYCLE_1)
	v_cmp_eq_f16_e64 s1, v7, v33
	s_and_not1_b32 s6, s6, exec_lo
	s_and_b32 s1, vcc_lo, s1
	s_and_b32 s1, s1, exec_lo
	s_delay_alu instid0(SALU_CYCLE_1)
	s_or_b32 s6, s6, s1
.LBB144_107:
	s_delay_alu instid0(SALU_CYCLE_1)
	v_cndmask_b32_e64 v7, 0, 1, s6
.LBB144_108:
	s_or_b32 exec_lo, exec_lo, s3
	v_or_b32_e32 v31, 0x500, v0
	s_delay_alu instid0(VALU_DEP_1)
	v_cmp_gt_i32_e32 vcc_lo, s8, v31
                                        ; implicit-def: $vgpr31
	s_and_saveexec_b32 s3, vcc_lo
	s_cbranch_execz .LBB144_113
; %bb.109:
	v_cmp_ne_u32_e32 vcc_lo, 1, v5
	v_dual_lshrrev_b32 v31, 16, v30 :: v_dual_lshrrev_b32 v32, 16, v29
	s_cbranch_vccnz .LBB144_217
; %bb.110:
	v_cmp_neq_f16_e32 vcc_lo, v30, v29
	s_delay_alu instid0(VALU_DEP_2)
	v_cmp_neq_f16_e64 s1, v31, v32
	s_or_b32 s6, vcc_lo, s1
	s_cbranch_execnz .LBB144_112
.LBB144_111:
	v_cmp_eq_f16_e32 vcc_lo, v30, v29
	s_delay_alu instid0(VALU_DEP_2) | instskip(SKIP_2) | instid1(SALU_CYCLE_1)
	v_cmp_eq_f16_e64 s1, v31, v32
	s_and_not1_b32 s6, s6, exec_lo
	s_and_b32 s1, vcc_lo, s1
	s_and_b32 s1, s1, exec_lo
	s_delay_alu instid0(SALU_CYCLE_1)
	s_or_b32 s6, s6, s1
.LBB144_112:
	s_delay_alu instid0(SALU_CYCLE_1)
	v_cndmask_b32_e64 v31, 0, 1, s6
.LBB144_113:
	s_or_b32 exec_lo, exec_lo, s3
	v_or_b32_e32 v29, 0x600, v0
	s_delay_alu instid0(VALU_DEP_1)
	v_cmp_gt_i32_e32 vcc_lo, s8, v29
                                        ; implicit-def: $vgpr29
	s_and_saveexec_b32 s3, vcc_lo
	s_cbranch_execz .LBB144_118
; %bb.114:
	v_cmp_ne_u32_e32 vcc_lo, 1, v5
	v_dual_lshrrev_b32 v29, 16, v28 :: v_dual_lshrrev_b32 v30, 16, v27
	s_cbranch_vccnz .LBB144_218
; %bb.115:
	v_cmp_neq_f16_e32 vcc_lo, v28, v27
	s_delay_alu instid0(VALU_DEP_2)
	v_cmp_neq_f16_e64 s1, v29, v30
	s_or_b32 s6, vcc_lo, s1
	s_cbranch_execnz .LBB144_117
.LBB144_116:
	v_cmp_eq_f16_e32 vcc_lo, v28, v27
	s_delay_alu instid0(VALU_DEP_2) | instskip(SKIP_2) | instid1(SALU_CYCLE_1)
	v_cmp_eq_f16_e64 s1, v29, v30
	s_and_not1_b32 s6, s6, exec_lo
	s_and_b32 s1, vcc_lo, s1
	s_and_b32 s1, s1, exec_lo
	s_delay_alu instid0(SALU_CYCLE_1)
	s_or_b32 s6, s6, s1
.LBB144_117:
	s_delay_alu instid0(SALU_CYCLE_1)
	v_cndmask_b32_e64 v29, 0, 1, s6
.LBB144_118:
	s_or_b32 exec_lo, exec_lo, s3
	v_or_b32_e32 v27, 0x700, v0
	s_delay_alu instid0(VALU_DEP_1)
	v_cmp_gt_i32_e32 vcc_lo, s8, v27
                                        ; implicit-def: $vgpr27
	s_and_saveexec_b32 s3, vcc_lo
	s_cbranch_execz .LBB144_123
; %bb.119:
	v_cmp_ne_u32_e32 vcc_lo, 1, v5
	v_dual_lshrrev_b32 v27, 16, v26 :: v_dual_lshrrev_b32 v28, 16, v25
	s_cbranch_vccnz .LBB144_219
; %bb.120:
	v_cmp_neq_f16_e32 vcc_lo, v26, v25
	s_delay_alu instid0(VALU_DEP_2)
	v_cmp_neq_f16_e64 s1, v27, v28
	s_or_b32 s6, vcc_lo, s1
	s_cbranch_execnz .LBB144_122
.LBB144_121:
	v_cmp_eq_f16_e32 vcc_lo, v26, v25
	s_delay_alu instid0(VALU_DEP_2) | instskip(SKIP_2) | instid1(SALU_CYCLE_1)
	v_cmp_eq_f16_e64 s1, v27, v28
	s_and_not1_b32 s6, s6, exec_lo
	s_and_b32 s1, vcc_lo, s1
	s_and_b32 s1, s1, exec_lo
	s_delay_alu instid0(SALU_CYCLE_1)
	s_or_b32 s6, s6, s1
.LBB144_122:
	s_delay_alu instid0(SALU_CYCLE_1)
	v_cndmask_b32_e64 v27, 0, 1, s6
.LBB144_123:
	s_or_b32 exec_lo, exec_lo, s3
	v_or_b32_e32 v25, 0x800, v0
	s_delay_alu instid0(VALU_DEP_1)
	v_cmp_gt_i32_e32 vcc_lo, s8, v25
                                        ; implicit-def: $vgpr25
	s_and_saveexec_b32 s3, vcc_lo
	s_cbranch_execz .LBB144_128
; %bb.124:
	v_cmp_ne_u32_e32 vcc_lo, 1, v5
	v_dual_lshrrev_b32 v25, 16, v24 :: v_dual_lshrrev_b32 v26, 16, v23
	s_cbranch_vccnz .LBB144_220
; %bb.125:
	v_cmp_neq_f16_e32 vcc_lo, v24, v23
	s_delay_alu instid0(VALU_DEP_2)
	v_cmp_neq_f16_e64 s1, v25, v26
	s_or_b32 s6, vcc_lo, s1
	s_cbranch_execnz .LBB144_127
.LBB144_126:
	v_cmp_eq_f16_e32 vcc_lo, v24, v23
	s_delay_alu instid0(VALU_DEP_2) | instskip(SKIP_2) | instid1(SALU_CYCLE_1)
	v_cmp_eq_f16_e64 s1, v25, v26
	s_and_not1_b32 s6, s6, exec_lo
	s_and_b32 s1, vcc_lo, s1
	s_and_b32 s1, s1, exec_lo
	s_delay_alu instid0(SALU_CYCLE_1)
	s_or_b32 s6, s6, s1
.LBB144_127:
	s_delay_alu instid0(SALU_CYCLE_1)
	v_cndmask_b32_e64 v25, 0, 1, s6
.LBB144_128:
	s_or_b32 exec_lo, exec_lo, s3
	v_or_b32_e32 v23, 0x900, v0
	s_delay_alu instid0(VALU_DEP_1)
	v_cmp_gt_i32_e32 vcc_lo, s8, v23
                                        ; implicit-def: $vgpr23
	s_and_saveexec_b32 s3, vcc_lo
	s_cbranch_execz .LBB144_133
; %bb.129:
	v_cmp_ne_u32_e32 vcc_lo, 1, v5
	v_dual_lshrrev_b32 v23, 16, v22 :: v_dual_lshrrev_b32 v24, 16, v21
	s_cbranch_vccnz .LBB144_221
; %bb.130:
	v_cmp_neq_f16_e32 vcc_lo, v22, v21
	s_delay_alu instid0(VALU_DEP_2)
	v_cmp_neq_f16_e64 s1, v23, v24
	s_or_b32 s6, vcc_lo, s1
	s_cbranch_execnz .LBB144_132
.LBB144_131:
	v_cmp_eq_f16_e32 vcc_lo, v22, v21
	s_delay_alu instid0(VALU_DEP_2) | instskip(SKIP_2) | instid1(SALU_CYCLE_1)
	v_cmp_eq_f16_e64 s1, v23, v24
	s_and_not1_b32 s6, s6, exec_lo
	s_and_b32 s1, vcc_lo, s1
	s_and_b32 s1, s1, exec_lo
	s_delay_alu instid0(SALU_CYCLE_1)
	s_or_b32 s6, s6, s1
.LBB144_132:
	s_delay_alu instid0(SALU_CYCLE_1)
	v_cndmask_b32_e64 v23, 0, 1, s6
.LBB144_133:
	s_or_b32 exec_lo, exec_lo, s3
	v_or_b32_e32 v21, 0xa00, v0
	s_delay_alu instid0(VALU_DEP_1)
	v_cmp_gt_i32_e32 vcc_lo, s8, v21
                                        ; implicit-def: $vgpr21
	s_and_saveexec_b32 s3, vcc_lo
	s_cbranch_execz .LBB144_138
; %bb.134:
	v_cmp_ne_u32_e32 vcc_lo, 1, v5
	v_dual_lshrrev_b32 v21, 16, v20 :: v_dual_lshrrev_b32 v22, 16, v19
	s_cbranch_vccnz .LBB144_222
; %bb.135:
	v_cmp_neq_f16_e32 vcc_lo, v20, v19
	s_delay_alu instid0(VALU_DEP_2)
	v_cmp_neq_f16_e64 s1, v21, v22
	s_or_b32 s6, vcc_lo, s1
	s_cbranch_execnz .LBB144_137
.LBB144_136:
	v_cmp_eq_f16_e32 vcc_lo, v20, v19
	s_delay_alu instid0(VALU_DEP_2) | instskip(SKIP_2) | instid1(SALU_CYCLE_1)
	v_cmp_eq_f16_e64 s1, v21, v22
	s_and_not1_b32 s6, s6, exec_lo
	s_and_b32 s1, vcc_lo, s1
	s_and_b32 s1, s1, exec_lo
	s_delay_alu instid0(SALU_CYCLE_1)
	s_or_b32 s6, s6, s1
.LBB144_137:
	s_delay_alu instid0(SALU_CYCLE_1)
	v_cndmask_b32_e64 v21, 0, 1, s6
.LBB144_138:
	s_or_b32 exec_lo, exec_lo, s3
	v_or_b32_e32 v19, 0xb00, v0
	s_delay_alu instid0(VALU_DEP_1)
	v_cmp_gt_i32_e32 vcc_lo, s8, v19
                                        ; implicit-def: $vgpr19
	s_and_saveexec_b32 s3, vcc_lo
	s_cbranch_execz .LBB144_143
; %bb.139:
	v_cmp_ne_u32_e32 vcc_lo, 1, v5
	v_dual_lshrrev_b32 v19, 16, v18 :: v_dual_lshrrev_b32 v20, 16, v17
	s_cbranch_vccnz .LBB144_223
; %bb.140:
	v_cmp_neq_f16_e32 vcc_lo, v18, v17
	s_delay_alu instid0(VALU_DEP_2)
	v_cmp_neq_f16_e64 s1, v19, v20
	s_or_b32 s6, vcc_lo, s1
	s_cbranch_execnz .LBB144_142
.LBB144_141:
	v_cmp_eq_f16_e32 vcc_lo, v18, v17
	s_delay_alu instid0(VALU_DEP_2) | instskip(SKIP_2) | instid1(SALU_CYCLE_1)
	v_cmp_eq_f16_e64 s1, v19, v20
	s_and_not1_b32 s6, s6, exec_lo
	s_and_b32 s1, vcc_lo, s1
	s_and_b32 s1, s1, exec_lo
	s_delay_alu instid0(SALU_CYCLE_1)
	s_or_b32 s6, s6, s1
.LBB144_142:
	s_delay_alu instid0(SALU_CYCLE_1)
	v_cndmask_b32_e64 v19, 0, 1, s6
.LBB144_143:
	s_or_b32 exec_lo, exec_lo, s3
	v_or_b32_e32 v17, 0xc00, v0
	s_delay_alu instid0(VALU_DEP_1)
	v_cmp_gt_i32_e32 vcc_lo, s8, v17
                                        ; implicit-def: $vgpr17
	s_and_saveexec_b32 s3, vcc_lo
	s_cbranch_execz .LBB144_148
; %bb.144:
	v_cmp_ne_u32_e32 vcc_lo, 1, v5
	v_dual_lshrrev_b32 v17, 16, v16 :: v_dual_lshrrev_b32 v18, 16, v15
	s_cbranch_vccnz .LBB144_224
; %bb.145:
	v_cmp_neq_f16_e32 vcc_lo, v16, v15
	s_delay_alu instid0(VALU_DEP_2)
	v_cmp_neq_f16_e64 s1, v17, v18
	s_or_b32 s6, vcc_lo, s1
	s_cbranch_execnz .LBB144_147
.LBB144_146:
	v_cmp_eq_f16_e32 vcc_lo, v16, v15
	s_delay_alu instid0(VALU_DEP_2) | instskip(SKIP_2) | instid1(SALU_CYCLE_1)
	v_cmp_eq_f16_e64 s1, v17, v18
	s_and_not1_b32 s6, s6, exec_lo
	s_and_b32 s1, vcc_lo, s1
	s_and_b32 s1, s1, exec_lo
	s_delay_alu instid0(SALU_CYCLE_1)
	s_or_b32 s6, s6, s1
.LBB144_147:
	s_delay_alu instid0(SALU_CYCLE_1)
	v_cndmask_b32_e64 v17, 0, 1, s6
.LBB144_148:
	s_or_b32 exec_lo, exec_lo, s3
	v_or_b32_e32 v15, 0xd00, v0
	s_delay_alu instid0(VALU_DEP_1)
	v_cmp_gt_i32_e32 vcc_lo, s8, v15
                                        ; implicit-def: $vgpr15
	s_and_saveexec_b32 s3, vcc_lo
	s_cbranch_execz .LBB144_153
; %bb.149:
	v_cmp_ne_u32_e32 vcc_lo, 1, v5
	v_dual_lshrrev_b32 v15, 16, v14 :: v_dual_lshrrev_b32 v16, 16, v13
	s_cbranch_vccnz .LBB144_225
; %bb.150:
	v_cmp_neq_f16_e32 vcc_lo, v14, v13
	s_delay_alu instid0(VALU_DEP_2)
	v_cmp_neq_f16_e64 s1, v15, v16
	s_or_b32 s6, vcc_lo, s1
	s_cbranch_execnz .LBB144_152
.LBB144_151:
	v_cmp_eq_f16_e32 vcc_lo, v14, v13
	s_delay_alu instid0(VALU_DEP_2) | instskip(SKIP_2) | instid1(SALU_CYCLE_1)
	v_cmp_eq_f16_e64 s1, v15, v16
	s_and_not1_b32 s6, s6, exec_lo
	s_and_b32 s1, vcc_lo, s1
	s_and_b32 s1, s1, exec_lo
	s_delay_alu instid0(SALU_CYCLE_1)
	s_or_b32 s6, s6, s1
.LBB144_152:
	s_delay_alu instid0(SALU_CYCLE_1)
	v_cndmask_b32_e64 v15, 0, 1, s6
.LBB144_153:
	s_or_b32 exec_lo, exec_lo, s3
	v_or_b32_e32 v13, 0xe00, v0
	s_delay_alu instid0(VALU_DEP_1)
	v_cmp_gt_i32_e32 vcc_lo, s8, v13
                                        ; implicit-def: $vgpr13
	s_and_saveexec_b32 s3, vcc_lo
	s_cbranch_execz .LBB144_158
; %bb.154:
	v_cmp_ne_u32_e32 vcc_lo, 1, v5
	v_dual_lshrrev_b32 v13, 16, v12 :: v_dual_lshrrev_b32 v14, 16, v11
	s_cbranch_vccnz .LBB144_226
; %bb.155:
	v_cmp_neq_f16_e32 vcc_lo, v12, v11
	s_delay_alu instid0(VALU_DEP_2)
	v_cmp_neq_f16_e64 s1, v13, v14
	s_or_b32 s6, vcc_lo, s1
	s_cbranch_execnz .LBB144_157
.LBB144_156:
	v_cmp_eq_f16_e32 vcc_lo, v12, v11
	s_delay_alu instid0(VALU_DEP_2) | instskip(SKIP_2) | instid1(SALU_CYCLE_1)
	v_cmp_eq_f16_e64 s1, v13, v14
	s_and_not1_b32 s6, s6, exec_lo
	s_and_b32 s1, vcc_lo, s1
	s_and_b32 s1, s1, exec_lo
	s_delay_alu instid0(SALU_CYCLE_1)
	s_or_b32 s6, s6, s1
.LBB144_157:
	s_delay_alu instid0(SALU_CYCLE_1)
	v_cndmask_b32_e64 v13, 0, 1, s6
.LBB144_158:
	s_or_b32 exec_lo, exec_lo, s3
	v_or_b32_e32 v11, 0xf00, v0
	s_delay_alu instid0(VALU_DEP_1)
	v_cmp_gt_i32_e32 vcc_lo, s8, v11
                                        ; implicit-def: $vgpr11
	s_and_saveexec_b32 s3, vcc_lo
	s_cbranch_execz .LBB144_163
; %bb.159:
	v_cmp_ne_u32_e32 vcc_lo, 1, v5
	v_dual_lshrrev_b32 v5, 16, v10 :: v_dual_lshrrev_b32 v11, 16, v9
	s_cbranch_vccnz .LBB144_227
; %bb.160:
	v_cmp_neq_f16_e32 vcc_lo, v10, v9
	s_delay_alu instid0(VALU_DEP_2)
	v_cmp_neq_f16_e64 s1, v5, v11
	s_or_b32 s6, vcc_lo, s1
	s_cbranch_execnz .LBB144_162
.LBB144_161:
	v_cmp_eq_f16_e32 vcc_lo, v10, v9
	s_delay_alu instid0(VALU_DEP_2) | instskip(SKIP_2) | instid1(SALU_CYCLE_1)
	v_cmp_eq_f16_e64 s1, v5, v11
	s_and_not1_b32 s6, s6, exec_lo
	s_and_b32 s1, vcc_lo, s1
	s_and_b32 s1, s1, exec_lo
	s_delay_alu instid0(SALU_CYCLE_1)
	s_or_b32 s6, s6, s1
.LBB144_162:
	s_delay_alu instid0(SALU_CYCLE_1)
	v_cndmask_b32_e64 v11, 0, 1, s6
.LBB144_163:
	s_or_b32 exec_lo, exec_lo, s3
	s_and_saveexec_b32 s1, s0
	s_delay_alu instid0(SALU_CYCLE_1)
	s_xor_b32 s0, exec_lo, s1
	s_cbranch_execz .LBB144_165
; %bb.164:
	v_mov_b32_e32 v0, v8
	global_store_b8 v1, v2, s[4:5]
.LBB144_165:
	s_wait_xcnt 0x0
	s_or_b32 exec_lo, exec_lo, s0
	s_delay_alu instid0(SALU_CYCLE_1)
	s_mov_b32 s0, exec_lo
	v_cmpx_gt_i32_e64 s8, v0
	s_cbranch_execnz .LBB144_181
; %bb.166:
	s_or_b32 exec_lo, exec_lo, s0
	s_delay_alu instid0(SALU_CYCLE_1)
	s_mov_b32 s0, exec_lo
	v_cmpx_gt_i32_e64 s8, v0
	s_cbranch_execnz .LBB144_182
.LBB144_167:
	s_or_b32 exec_lo, exec_lo, s0
	s_delay_alu instid0(SALU_CYCLE_1)
	s_mov_b32 s0, exec_lo
	v_cmpx_gt_i32_e64 s8, v0
	s_cbranch_execnz .LBB144_183
.LBB144_168:
	s_or_b32 exec_lo, exec_lo, s0
	s_delay_alu instid0(SALU_CYCLE_1)
	s_mov_b32 s0, exec_lo
	v_cmpx_gt_i32_e64 s8, v0
	s_cbranch_execnz .LBB144_184
.LBB144_169:
	s_or_b32 exec_lo, exec_lo, s0
	s_delay_alu instid0(SALU_CYCLE_1)
	s_mov_b32 s0, exec_lo
	v_cmpx_gt_i32_e64 s8, v0
	s_cbranch_execnz .LBB144_185
.LBB144_170:
	s_or_b32 exec_lo, exec_lo, s0
	s_delay_alu instid0(SALU_CYCLE_1)
	s_mov_b32 s0, exec_lo
	v_cmpx_gt_i32_e64 s8, v0
	s_cbranch_execnz .LBB144_186
.LBB144_171:
	s_or_b32 exec_lo, exec_lo, s0
	s_delay_alu instid0(SALU_CYCLE_1)
	s_mov_b32 s0, exec_lo
	v_cmpx_gt_i32_e64 s8, v0
	s_cbranch_execnz .LBB144_187
.LBB144_172:
	s_or_b32 exec_lo, exec_lo, s0
	s_delay_alu instid0(SALU_CYCLE_1)
	s_mov_b32 s0, exec_lo
	v_cmpx_gt_i32_e64 s8, v0
	s_cbranch_execnz .LBB144_188
.LBB144_173:
	s_or_b32 exec_lo, exec_lo, s0
	s_delay_alu instid0(SALU_CYCLE_1)
	s_mov_b32 s0, exec_lo
	v_cmpx_gt_i32_e64 s8, v0
	s_cbranch_execnz .LBB144_189
.LBB144_174:
	s_or_b32 exec_lo, exec_lo, s0
	s_delay_alu instid0(SALU_CYCLE_1)
	s_mov_b32 s0, exec_lo
	v_cmpx_gt_i32_e64 s8, v0
	s_cbranch_execnz .LBB144_190
.LBB144_175:
	s_or_b32 exec_lo, exec_lo, s0
	s_delay_alu instid0(SALU_CYCLE_1)
	s_mov_b32 s0, exec_lo
	v_cmpx_gt_i32_e64 s8, v0
	s_cbranch_execnz .LBB144_191
.LBB144_176:
	s_or_b32 exec_lo, exec_lo, s0
	s_delay_alu instid0(SALU_CYCLE_1)
	s_mov_b32 s0, exec_lo
	v_cmpx_gt_i32_e64 s8, v0
	s_cbranch_execnz .LBB144_192
.LBB144_177:
	s_or_b32 exec_lo, exec_lo, s0
	s_delay_alu instid0(SALU_CYCLE_1)
	s_mov_b32 s0, exec_lo
	v_cmpx_gt_i32_e64 s8, v0
	s_cbranch_execnz .LBB144_193
.LBB144_178:
	s_or_b32 exec_lo, exec_lo, s0
	s_delay_alu instid0(SALU_CYCLE_1)
	s_mov_b32 s0, exec_lo
	v_cmpx_gt_i32_e64 s8, v0
	s_cbranch_execnz .LBB144_194
.LBB144_179:
	s_or_b32 exec_lo, exec_lo, s0
	s_delay_alu instid0(SALU_CYCLE_1)
	s_mov_b32 s0, exec_lo
	v_cmpx_gt_i32_e64 s8, v0
	s_cbranch_execz .LBB144_195
.LBB144_180:
	v_add_nc_u32_e32 v0, s2, v0
	global_store_b8 v0, v11, s[4:5]
	s_endpgm
.LBB144_181:
	v_add_nc_u32_e32 v1, s2, v0
	v_add_nc_u32_e32 v0, 0x100, v0
	global_store_b8 v1, v4, s[4:5]
	s_wait_xcnt 0x0
	s_or_b32 exec_lo, exec_lo, s0
	s_delay_alu instid0(SALU_CYCLE_1)
	s_mov_b32 s0, exec_lo
	v_cmpx_gt_i32_e64 s8, v0
	s_cbranch_execz .LBB144_167
.LBB144_182:
	v_add_nc_u32_e32 v1, s2, v0
	v_add_nc_u32_e32 v0, 0x100, v0
	global_store_b8 v1, v6, s[4:5]
	s_wait_xcnt 0x0
	s_or_b32 exec_lo, exec_lo, s0
	s_delay_alu instid0(SALU_CYCLE_1)
	s_mov_b32 s0, exec_lo
	v_cmpx_gt_i32_e64 s8, v0
	s_cbranch_execz .LBB144_168
.LBB144_183:
	v_add_nc_u32_e32 v1, s2, v0
	v_add_nc_u32_e32 v0, 0x100, v0
	global_store_b8 v1, v3, s[4:5]
	s_wait_xcnt 0x0
	s_or_b32 exec_lo, exec_lo, s0
	s_delay_alu instid0(SALU_CYCLE_1)
	s_mov_b32 s0, exec_lo
	v_cmpx_gt_i32_e64 s8, v0
	s_cbranch_execz .LBB144_169
.LBB144_184:
	v_add_nc_u32_e32 v1, s2, v0
	v_add_nc_u32_e32 v0, 0x100, v0
	global_store_b8 v1, v7, s[4:5]
	s_wait_xcnt 0x0
	s_or_b32 exec_lo, exec_lo, s0
	s_delay_alu instid0(SALU_CYCLE_1)
	s_mov_b32 s0, exec_lo
	v_cmpx_gt_i32_e64 s8, v0
	s_cbranch_execz .LBB144_170
.LBB144_185:
	v_add_nc_u32_e32 v1, s2, v0
	v_add_nc_u32_e32 v0, 0x100, v0
	global_store_b8 v1, v31, s[4:5]
	s_wait_xcnt 0x0
	s_or_b32 exec_lo, exec_lo, s0
	s_delay_alu instid0(SALU_CYCLE_1)
	s_mov_b32 s0, exec_lo
	v_cmpx_gt_i32_e64 s8, v0
	s_cbranch_execz .LBB144_171
.LBB144_186:
	v_add_nc_u32_e32 v1, s2, v0
	v_add_nc_u32_e32 v0, 0x100, v0
	global_store_b8 v1, v29, s[4:5]
	s_wait_xcnt 0x0
	s_or_b32 exec_lo, exec_lo, s0
	s_delay_alu instid0(SALU_CYCLE_1)
	s_mov_b32 s0, exec_lo
	v_cmpx_gt_i32_e64 s8, v0
	s_cbranch_execz .LBB144_172
.LBB144_187:
	v_add_nc_u32_e32 v1, s2, v0
	v_add_nc_u32_e32 v0, 0x100, v0
	global_store_b8 v1, v27, s[4:5]
	s_wait_xcnt 0x0
	s_or_b32 exec_lo, exec_lo, s0
	s_delay_alu instid0(SALU_CYCLE_1)
	s_mov_b32 s0, exec_lo
	v_cmpx_gt_i32_e64 s8, v0
	s_cbranch_execz .LBB144_173
.LBB144_188:
	v_add_nc_u32_e32 v1, s2, v0
	v_add_nc_u32_e32 v0, 0x100, v0
	global_store_b8 v1, v25, s[4:5]
	s_wait_xcnt 0x0
	s_or_b32 exec_lo, exec_lo, s0
	s_delay_alu instid0(SALU_CYCLE_1)
	s_mov_b32 s0, exec_lo
	v_cmpx_gt_i32_e64 s8, v0
	s_cbranch_execz .LBB144_174
.LBB144_189:
	v_add_nc_u32_e32 v1, s2, v0
	v_add_nc_u32_e32 v0, 0x100, v0
	global_store_b8 v1, v23, s[4:5]
	s_wait_xcnt 0x0
	s_or_b32 exec_lo, exec_lo, s0
	s_delay_alu instid0(SALU_CYCLE_1)
	s_mov_b32 s0, exec_lo
	v_cmpx_gt_i32_e64 s8, v0
	s_cbranch_execz .LBB144_175
.LBB144_190:
	v_add_nc_u32_e32 v1, s2, v0
	v_add_nc_u32_e32 v0, 0x100, v0
	global_store_b8 v1, v21, s[4:5]
	s_wait_xcnt 0x0
	s_or_b32 exec_lo, exec_lo, s0
	s_delay_alu instid0(SALU_CYCLE_1)
	s_mov_b32 s0, exec_lo
	v_cmpx_gt_i32_e64 s8, v0
	s_cbranch_execz .LBB144_176
.LBB144_191:
	v_add_nc_u32_e32 v1, s2, v0
	v_add_nc_u32_e32 v0, 0x100, v0
	global_store_b8 v1, v19, s[4:5]
	s_wait_xcnt 0x0
	s_or_b32 exec_lo, exec_lo, s0
	s_delay_alu instid0(SALU_CYCLE_1)
	s_mov_b32 s0, exec_lo
	v_cmpx_gt_i32_e64 s8, v0
	s_cbranch_execz .LBB144_177
.LBB144_192:
	v_add_nc_u32_e32 v1, s2, v0
	v_add_nc_u32_e32 v0, 0x100, v0
	global_store_b8 v1, v17, s[4:5]
	s_wait_xcnt 0x0
	s_or_b32 exec_lo, exec_lo, s0
	s_delay_alu instid0(SALU_CYCLE_1)
	s_mov_b32 s0, exec_lo
	v_cmpx_gt_i32_e64 s8, v0
	s_cbranch_execz .LBB144_178
.LBB144_193:
	v_add_nc_u32_e32 v1, s2, v0
	v_add_nc_u32_e32 v0, 0x100, v0
	global_store_b8 v1, v15, s[4:5]
	s_wait_xcnt 0x0
	s_or_b32 exec_lo, exec_lo, s0
	s_delay_alu instid0(SALU_CYCLE_1)
	s_mov_b32 s0, exec_lo
	v_cmpx_gt_i32_e64 s8, v0
	s_cbranch_execz .LBB144_179
.LBB144_194:
	v_add_nc_u32_e32 v1, s2, v0
	v_add_nc_u32_e32 v0, 0x100, v0
	global_store_b8 v1, v13, s[4:5]
	s_wait_xcnt 0x0
	s_or_b32 exec_lo, exec_lo, s0
	s_delay_alu instid0(SALU_CYCLE_1)
	s_mov_b32 s0, exec_lo
	v_cmpx_gt_i32_e64 s8, v0
	s_cbranch_execnz .LBB144_180
.LBB144_195:
	s_endpgm
.LBB144_196:
                                        ; implicit-def: $sgpr1
	s_branch .LBB144_3
.LBB144_197:
                                        ; implicit-def: $sgpr12
	s_branch .LBB144_6
.LBB144_198:
                                        ; implicit-def: $sgpr13
	s_branch .LBB144_9
.LBB144_199:
                                        ; implicit-def: $sgpr14
	s_branch .LBB144_12
.LBB144_200:
                                        ; implicit-def: $sgpr15
	s_branch .LBB144_15
.LBB144_201:
                                        ; implicit-def: $sgpr16
	s_branch .LBB144_18
.LBB144_202:
                                        ; implicit-def: $sgpr17
	s_branch .LBB144_21
.LBB144_203:
                                        ; implicit-def: $sgpr19
	s_branch .LBB144_24
.LBB144_204:
                                        ; implicit-def: $sgpr18
	s_branch .LBB144_27
.LBB144_205:
                                        ; implicit-def: $sgpr20
	s_branch .LBB144_30
.LBB144_206:
                                        ; implicit-def: $sgpr21
	s_branch .LBB144_33
.LBB144_207:
                                        ; implicit-def: $sgpr22
	s_branch .LBB144_36
.LBB144_208:
                                        ; implicit-def: $sgpr23
	s_branch .LBB144_39
.LBB144_209:
                                        ; implicit-def: $sgpr24
	s_branch .LBB144_42
.LBB144_210:
                                        ; implicit-def: $sgpr25
	s_branch .LBB144_45
.LBB144_211:
                                        ; implicit-def: $sgpr26
	s_branch .LBB144_48
.LBB144_212:
                                        ; implicit-def: $sgpr7
	s_branch .LBB144_86
.LBB144_213:
                                        ; implicit-def: $sgpr3
	s_branch .LBB144_91
.LBB144_214:
                                        ; implicit-def: $sgpr6
	s_branch .LBB144_96
.LBB144_215:
                                        ; implicit-def: $sgpr6
	s_branch .LBB144_101
.LBB144_216:
                                        ; implicit-def: $sgpr6
	s_branch .LBB144_106
.LBB144_217:
                                        ; implicit-def: $sgpr6
	s_branch .LBB144_111
.LBB144_218:
                                        ; implicit-def: $sgpr6
	s_branch .LBB144_116
.LBB144_219:
                                        ; implicit-def: $sgpr6
	s_branch .LBB144_121
.LBB144_220:
                                        ; implicit-def: $sgpr6
	s_branch .LBB144_126
.LBB144_221:
                                        ; implicit-def: $sgpr6
	s_branch .LBB144_131
.LBB144_222:
                                        ; implicit-def: $sgpr6
	s_branch .LBB144_136
.LBB144_223:
                                        ; implicit-def: $sgpr6
	s_branch .LBB144_141
.LBB144_224:
                                        ; implicit-def: $sgpr6
	s_branch .LBB144_146
.LBB144_225:
                                        ; implicit-def: $sgpr6
	s_branch .LBB144_151
.LBB144_226:
                                        ; implicit-def: $sgpr6
	s_branch .LBB144_156
.LBB144_227:
                                        ; implicit-def: $sgpr6
	s_branch .LBB144_161
	.section	.rodata,"a",@progbits
	.p2align	6, 0x0
	.amdhsa_kernel _ZN2at6native29vectorized_elementwise_kernelILi16ENS0_13BinaryFunctorIN3c107complexINS3_4HalfEEES6_bNS0_12_GLOBAL__N_116CompareEqFunctorIS6_EEEESt5arrayIPcLm3EEEEviT0_T1_
		.amdhsa_group_segment_fixed_size 0
		.amdhsa_private_segment_fixed_size 0
		.amdhsa_kernarg_size 32
		.amdhsa_user_sgpr_count 2
		.amdhsa_user_sgpr_dispatch_ptr 0
		.amdhsa_user_sgpr_queue_ptr 0
		.amdhsa_user_sgpr_kernarg_segment_ptr 1
		.amdhsa_user_sgpr_dispatch_id 0
		.amdhsa_user_sgpr_kernarg_preload_length 0
		.amdhsa_user_sgpr_kernarg_preload_offset 0
		.amdhsa_user_sgpr_private_segment_size 0
		.amdhsa_wavefront_size32 1
		.amdhsa_uses_dynamic_stack 0
		.amdhsa_enable_private_segment 0
		.amdhsa_system_sgpr_workgroup_id_x 1
		.amdhsa_system_sgpr_workgroup_id_y 0
		.amdhsa_system_sgpr_workgroup_id_z 0
		.amdhsa_system_sgpr_workgroup_info 0
		.amdhsa_system_vgpr_workitem_id 0
		.amdhsa_next_free_vgpr 39
		.amdhsa_next_free_sgpr 27
		.amdhsa_named_barrier_count 0
		.amdhsa_reserve_vcc 1
		.amdhsa_float_round_mode_32 0
		.amdhsa_float_round_mode_16_64 0
		.amdhsa_float_denorm_mode_32 3
		.amdhsa_float_denorm_mode_16_64 3
		.amdhsa_fp16_overflow 0
		.amdhsa_memory_ordered 1
		.amdhsa_forward_progress 1
		.amdhsa_inst_pref_size 56
		.amdhsa_round_robin_scheduling 0
		.amdhsa_exception_fp_ieee_invalid_op 0
		.amdhsa_exception_fp_denorm_src 0
		.amdhsa_exception_fp_ieee_div_zero 0
		.amdhsa_exception_fp_ieee_overflow 0
		.amdhsa_exception_fp_ieee_underflow 0
		.amdhsa_exception_fp_ieee_inexact 0
		.amdhsa_exception_int_div_zero 0
	.end_amdhsa_kernel
	.section	.text._ZN2at6native29vectorized_elementwise_kernelILi16ENS0_13BinaryFunctorIN3c107complexINS3_4HalfEEES6_bNS0_12_GLOBAL__N_116CompareEqFunctorIS6_EEEESt5arrayIPcLm3EEEEviT0_T1_,"axG",@progbits,_ZN2at6native29vectorized_elementwise_kernelILi16ENS0_13BinaryFunctorIN3c107complexINS3_4HalfEEES6_bNS0_12_GLOBAL__N_116CompareEqFunctorIS6_EEEESt5arrayIPcLm3EEEEviT0_T1_,comdat
.Lfunc_end144:
	.size	_ZN2at6native29vectorized_elementwise_kernelILi16ENS0_13BinaryFunctorIN3c107complexINS3_4HalfEEES6_bNS0_12_GLOBAL__N_116CompareEqFunctorIS6_EEEESt5arrayIPcLm3EEEEviT0_T1_, .Lfunc_end144-_ZN2at6native29vectorized_elementwise_kernelILi16ENS0_13BinaryFunctorIN3c107complexINS3_4HalfEEES6_bNS0_12_GLOBAL__N_116CompareEqFunctorIS6_EEEESt5arrayIPcLm3EEEEviT0_T1_
                                        ; -- End function
	.set _ZN2at6native29vectorized_elementwise_kernelILi16ENS0_13BinaryFunctorIN3c107complexINS3_4HalfEEES6_bNS0_12_GLOBAL__N_116CompareEqFunctorIS6_EEEESt5arrayIPcLm3EEEEviT0_T1_.num_vgpr, 39
	.set _ZN2at6native29vectorized_elementwise_kernelILi16ENS0_13BinaryFunctorIN3c107complexINS3_4HalfEEES6_bNS0_12_GLOBAL__N_116CompareEqFunctorIS6_EEEESt5arrayIPcLm3EEEEviT0_T1_.num_agpr, 0
	.set _ZN2at6native29vectorized_elementwise_kernelILi16ENS0_13BinaryFunctorIN3c107complexINS3_4HalfEEES6_bNS0_12_GLOBAL__N_116CompareEqFunctorIS6_EEEESt5arrayIPcLm3EEEEviT0_T1_.numbered_sgpr, 27
	.set _ZN2at6native29vectorized_elementwise_kernelILi16ENS0_13BinaryFunctorIN3c107complexINS3_4HalfEEES6_bNS0_12_GLOBAL__N_116CompareEqFunctorIS6_EEEESt5arrayIPcLm3EEEEviT0_T1_.num_named_barrier, 0
	.set _ZN2at6native29vectorized_elementwise_kernelILi16ENS0_13BinaryFunctorIN3c107complexINS3_4HalfEEES6_bNS0_12_GLOBAL__N_116CompareEqFunctorIS6_EEEESt5arrayIPcLm3EEEEviT0_T1_.private_seg_size, 0
	.set _ZN2at6native29vectorized_elementwise_kernelILi16ENS0_13BinaryFunctorIN3c107complexINS3_4HalfEEES6_bNS0_12_GLOBAL__N_116CompareEqFunctorIS6_EEEESt5arrayIPcLm3EEEEviT0_T1_.uses_vcc, 1
	.set _ZN2at6native29vectorized_elementwise_kernelILi16ENS0_13BinaryFunctorIN3c107complexINS3_4HalfEEES6_bNS0_12_GLOBAL__N_116CompareEqFunctorIS6_EEEESt5arrayIPcLm3EEEEviT0_T1_.uses_flat_scratch, 0
	.set _ZN2at6native29vectorized_elementwise_kernelILi16ENS0_13BinaryFunctorIN3c107complexINS3_4HalfEEES6_bNS0_12_GLOBAL__N_116CompareEqFunctorIS6_EEEESt5arrayIPcLm3EEEEviT0_T1_.has_dyn_sized_stack, 0
	.set _ZN2at6native29vectorized_elementwise_kernelILi16ENS0_13BinaryFunctorIN3c107complexINS3_4HalfEEES6_bNS0_12_GLOBAL__N_116CompareEqFunctorIS6_EEEESt5arrayIPcLm3EEEEviT0_T1_.has_recursion, 0
	.set _ZN2at6native29vectorized_elementwise_kernelILi16ENS0_13BinaryFunctorIN3c107complexINS3_4HalfEEES6_bNS0_12_GLOBAL__N_116CompareEqFunctorIS6_EEEESt5arrayIPcLm3EEEEviT0_T1_.has_indirect_call, 0
	.section	.AMDGPU.csdata,"",@progbits
; Kernel info:
; codeLenInByte = 7108
; TotalNumSgprs: 29
; NumVgprs: 39
; ScratchSize: 0
; MemoryBound: 1
; FloatMode: 240
; IeeeMode: 1
; LDSByteSize: 0 bytes/workgroup (compile time only)
; SGPRBlocks: 0
; VGPRBlocks: 2
; NumSGPRsForWavesPerEU: 29
; NumVGPRsForWavesPerEU: 39
; NamedBarCnt: 0
; Occupancy: 16
; WaveLimiterHint : 0
; COMPUTE_PGM_RSRC2:SCRATCH_EN: 0
; COMPUTE_PGM_RSRC2:USER_SGPR: 2
; COMPUTE_PGM_RSRC2:TRAP_HANDLER: 0
; COMPUTE_PGM_RSRC2:TGID_X_EN: 1
; COMPUTE_PGM_RSRC2:TGID_Y_EN: 0
; COMPUTE_PGM_RSRC2:TGID_Z_EN: 0
; COMPUTE_PGM_RSRC2:TIDIG_COMP_CNT: 0
	.section	.text._ZN2at6native29vectorized_elementwise_kernelILi8ENS0_13BinaryFunctorIN3c107complexINS3_4HalfEEES6_bNS0_12_GLOBAL__N_116CompareEqFunctorIS6_EEEESt5arrayIPcLm3EEEEviT0_T1_,"axG",@progbits,_ZN2at6native29vectorized_elementwise_kernelILi8ENS0_13BinaryFunctorIN3c107complexINS3_4HalfEEES6_bNS0_12_GLOBAL__N_116CompareEqFunctorIS6_EEEESt5arrayIPcLm3EEEEviT0_T1_,comdat
	.globl	_ZN2at6native29vectorized_elementwise_kernelILi8ENS0_13BinaryFunctorIN3c107complexINS3_4HalfEEES6_bNS0_12_GLOBAL__N_116CompareEqFunctorIS6_EEEESt5arrayIPcLm3EEEEviT0_T1_ ; -- Begin function _ZN2at6native29vectorized_elementwise_kernelILi8ENS0_13BinaryFunctorIN3c107complexINS3_4HalfEEES6_bNS0_12_GLOBAL__N_116CompareEqFunctorIS6_EEEESt5arrayIPcLm3EEEEviT0_T1_
	.p2align	8
	.type	_ZN2at6native29vectorized_elementwise_kernelILi8ENS0_13BinaryFunctorIN3c107complexINS3_4HalfEEES6_bNS0_12_GLOBAL__N_116CompareEqFunctorIS6_EEEESt5arrayIPcLm3EEEEviT0_T1_,@function
_ZN2at6native29vectorized_elementwise_kernelILi8ENS0_13BinaryFunctorIN3c107complexINS3_4HalfEEES6_bNS0_12_GLOBAL__N_116CompareEqFunctorIS6_EEEESt5arrayIPcLm3EEEEviT0_T1_: ; @_ZN2at6native29vectorized_elementwise_kernelILi8ENS0_13BinaryFunctorIN3c107complexINS3_4HalfEEES6_bNS0_12_GLOBAL__N_116CompareEqFunctorIS6_EEEESt5arrayIPcLm3EEEEviT0_T1_
; %bb.0:
	s_clause 0x2
	s_load_b64 s[8:9], s[0:1], 0x0
	s_load_b128 s[4:7], s[0:1], 0x8
	s_load_b64 s[10:11], s[0:1], 0x18
	s_wait_xcnt 0x0
	s_bfe_u32 s0, ttmp6, 0x4000c
	s_and_b32 s1, ttmp6, 15
	s_add_co_i32 s0, s0, 1
	s_getreg_b32 s2, hwreg(HW_REG_IB_STS2, 6, 4)
	s_mul_i32 s0, ttmp9, s0
	s_delay_alu instid0(SALU_CYCLE_1) | instskip(SKIP_2) | instid1(SALU_CYCLE_1)
	s_add_co_i32 s1, s1, s0
	s_cmp_eq_u32 s2, 0
	s_cselect_b32 s0, ttmp9, s1
	s_lshl_b32 s2, s0, 12
	s_mov_b32 s0, -1
	s_wait_kmcnt 0x0
	s_sub_co_i32 s8, s8, s2
	s_delay_alu instid0(SALU_CYCLE_1)
	s_cmp_gt_i32 s8, 0xfff
	s_cbranch_scc0 .LBB145_50
; %bb.1:
	s_ashr_i32 s3, s2, 31
	v_lshlrev_b32_e32 v1, 5, v0
	s_lshl_b64 s[0:1], s[2:3], 2
	s_cmp_lg_u32 s9, 0
	s_add_nc_u64 s[12:13], s[6:7], s[0:1]
	s_add_nc_u64 s[0:1], s[10:11], s[0:1]
	s_clause 0x7
	global_load_b128 v[26:29], v1, s[12:13]
	global_load_b128 v[30:33], v1, s[0:1]
	global_load_b128 v[18:21], v1, s[12:13] offset:16
	global_load_b128 v[22:25], v1, s[0:1] offset:16
	;; [unrolled: 1-line block ×6, first 2 shown]
	s_wait_xcnt 0x2
	s_cselect_b32 s12, -1, 0
	s_delay_alu instid0(SALU_CYCLE_1)
	s_and_b32 vcc_lo, exec_lo, s12
	s_wait_loadcnt 0x7
	s_wait_xcnt 0x0
	v_lshrrev_b32_e32 v1, 16, v26
	s_wait_loadcnt 0x6
	v_lshrrev_b32_e32 v34, 16, v30
	s_cbranch_vccz .LBB145_196
; %bb.2:
	v_cmp_neq_f16_e32 vcc_lo, v26, v30
	s_delay_alu instid0(VALU_DEP_2)
	v_cmp_neq_f16_e64 s0, v1, v34
	s_or_b32 s1, vcc_lo, s0
	s_cbranch_execnz .LBB145_4
.LBB145_3:
	v_cmp_eq_f16_e32 vcc_lo, v26, v30
	s_delay_alu instid0(VALU_DEP_2) | instskip(SKIP_2) | instid1(SALU_CYCLE_1)
	v_cmp_eq_f16_e64 s0, v1, v34
	s_and_not1_b32 s1, s1, exec_lo
	s_and_b32 s0, vcc_lo, s0
	s_and_b32 s0, s0, exec_lo
	s_delay_alu instid0(SALU_CYCLE_1)
	s_or_b32 s1, s1, s0
.LBB145_4:
	v_cndmask_b32_e64 v1, 0, 1, s12
	v_lshrrev_b32_e32 v26, 16, v27
	v_lshrrev_b32_e32 v30, 16, v31
	s_and_not1_b32 vcc_lo, exec_lo, s12
	s_cbranch_vccnz .LBB145_197
; %bb.5:
	v_cmp_neq_f16_e32 vcc_lo, v27, v31
	s_delay_alu instid0(VALU_DEP_2)
	v_cmp_neq_f16_e64 s0, v26, v30
	s_or_b32 s12, vcc_lo, s0
	s_cbranch_execnz .LBB145_7
.LBB145_6:
	v_cmp_eq_f16_e32 vcc_lo, v27, v31
	v_cmp_eq_f16_e64 s0, v26, v30
	s_and_not1_b32 s12, s12, exec_lo
	s_and_b32 s0, vcc_lo, s0
	s_delay_alu instid0(SALU_CYCLE_1) | instskip(NEXT) | instid1(SALU_CYCLE_1)
	s_and_b32 s0, s0, exec_lo
	s_or_b32 s12, s12, s0
.LBB145_7:
	v_cmp_ne_u32_e32 vcc_lo, 1, v1
	v_lshrrev_b32_e32 v26, 16, v28
	v_lshrrev_b32_e32 v27, 16, v32
	s_cbranch_vccnz .LBB145_198
; %bb.8:
	v_cmp_neq_f16_e32 vcc_lo, v28, v32
	s_delay_alu instid0(VALU_DEP_2)
	v_cmp_neq_f16_e64 s0, v26, v27
	s_or_b32 s13, vcc_lo, s0
	s_cbranch_execnz .LBB145_10
.LBB145_9:
	v_cmp_eq_f16_e32 vcc_lo, v28, v32
	s_delay_alu instid0(VALU_DEP_2) | instskip(SKIP_2) | instid1(SALU_CYCLE_1)
	v_cmp_eq_f16_e64 s0, v26, v27
	s_and_not1_b32 s13, s13, exec_lo
	s_and_b32 s0, vcc_lo, s0
	s_and_b32 s0, s0, exec_lo
	s_delay_alu instid0(SALU_CYCLE_1)
	s_or_b32 s13, s13, s0
.LBB145_10:
	v_cmp_ne_u32_e32 vcc_lo, 1, v1
	v_lshrrev_b32_e32 v26, 16, v29
	v_lshrrev_b32_e32 v27, 16, v33
	s_cbranch_vccnz .LBB145_199
; %bb.11:
	v_cmp_neq_f16_e32 vcc_lo, v29, v33
	s_delay_alu instid0(VALU_DEP_2)
	v_cmp_neq_f16_e64 s0, v26, v27
	s_or_b32 s14, vcc_lo, s0
	s_cbranch_execnz .LBB145_13
.LBB145_12:
	v_cmp_eq_f16_e32 vcc_lo, v29, v33
	s_delay_alu instid0(VALU_DEP_2) | instskip(SKIP_2) | instid1(SALU_CYCLE_1)
	v_cmp_eq_f16_e64 s0, v26, v27
	s_and_not1_b32 s14, s14, exec_lo
	s_and_b32 s0, vcc_lo, s0
	s_and_b32 s0, s0, exec_lo
	s_delay_alu instid0(SALU_CYCLE_1)
	s_or_b32 s14, s14, s0
.LBB145_13:
	v_cmp_ne_u32_e32 vcc_lo, 1, v1
	s_wait_loadcnt 0x5
	v_lshrrev_b32_e32 v26, 16, v18
	s_wait_loadcnt 0x4
	v_lshrrev_b32_e32 v27, 16, v22
	s_cbranch_vccnz .LBB145_200
; %bb.14:
	v_cmp_neq_f16_e32 vcc_lo, v18, v22
	s_delay_alu instid0(VALU_DEP_2)
	v_cmp_neq_f16_e64 s0, v26, v27
	s_or_b32 s15, vcc_lo, s0
	s_cbranch_execnz .LBB145_16
.LBB145_15:
	v_cmp_eq_f16_e32 vcc_lo, v18, v22
	s_delay_alu instid0(VALU_DEP_2) | instskip(SKIP_2) | instid1(SALU_CYCLE_1)
	v_cmp_eq_f16_e64 s0, v26, v27
	s_and_not1_b32 s15, s15, exec_lo
	s_and_b32 s0, vcc_lo, s0
	s_and_b32 s0, s0, exec_lo
	s_delay_alu instid0(SALU_CYCLE_1)
	s_or_b32 s15, s15, s0
.LBB145_16:
	v_cmp_ne_u32_e32 vcc_lo, 1, v1
	v_lshrrev_b32_e32 v18, 16, v19
	v_lshrrev_b32_e32 v22, 16, v23
	s_cbranch_vccnz .LBB145_201
; %bb.17:
	v_cmp_neq_f16_e32 vcc_lo, v19, v23
	s_delay_alu instid0(VALU_DEP_2)
	v_cmp_neq_f16_e64 s0, v18, v22
	s_or_b32 s16, vcc_lo, s0
	s_cbranch_execnz .LBB145_19
.LBB145_18:
	v_cmp_eq_f16_e32 vcc_lo, v19, v23
	s_delay_alu instid0(VALU_DEP_2) | instskip(SKIP_2) | instid1(SALU_CYCLE_1)
	v_cmp_eq_f16_e64 s0, v18, v22
	s_and_not1_b32 s16, s16, exec_lo
	s_and_b32 s0, vcc_lo, s0
	s_and_b32 s0, s0, exec_lo
	s_delay_alu instid0(SALU_CYCLE_1)
	s_or_b32 s16, s16, s0
.LBB145_19:
	v_cmp_ne_u32_e32 vcc_lo, 1, v1
	v_lshrrev_b32_e32 v18, 16, v20
	v_lshrrev_b32_e32 v19, 16, v24
	s_cbranch_vccnz .LBB145_202
; %bb.20:
	v_cmp_neq_f16_e32 vcc_lo, v20, v24
	s_delay_alu instid0(VALU_DEP_2)
	v_cmp_neq_f16_e64 s0, v18, v19
	s_or_b32 s17, vcc_lo, s0
	s_cbranch_execnz .LBB145_22
.LBB145_21:
	v_cmp_eq_f16_e32 vcc_lo, v20, v24
	s_delay_alu instid0(VALU_DEP_2) | instskip(SKIP_2) | instid1(SALU_CYCLE_1)
	v_cmp_eq_f16_e64 s0, v18, v19
	s_and_not1_b32 s17, s17, exec_lo
	s_and_b32 s0, vcc_lo, s0
	s_and_b32 s0, s0, exec_lo
	s_delay_alu instid0(SALU_CYCLE_1)
	s_or_b32 s17, s17, s0
.LBB145_22:
	v_cmp_ne_u32_e32 vcc_lo, 1, v1
	v_lshrrev_b32_e32 v18, 16, v21
	v_lshrrev_b32_e32 v19, 16, v25
	s_cbranch_vccnz .LBB145_203
; %bb.23:
	v_cmp_neq_f16_e32 vcc_lo, v21, v25
	s_delay_alu instid0(VALU_DEP_2)
	v_cmp_neq_f16_e64 s0, v18, v19
	s_or_b32 s18, vcc_lo, s0
	s_cbranch_execnz .LBB145_25
.LBB145_24:
	v_cmp_eq_f16_e32 vcc_lo, v21, v25
	s_delay_alu instid0(VALU_DEP_2) | instskip(SKIP_2) | instid1(SALU_CYCLE_1)
	v_cmp_eq_f16_e64 s0, v18, v19
	s_and_not1_b32 s18, s18, exec_lo
	s_and_b32 s0, vcc_lo, s0
	s_and_b32 s0, s0, exec_lo
	s_delay_alu instid0(SALU_CYCLE_1)
	s_or_b32 s18, s18, s0
.LBB145_25:
	v_cmp_ne_u32_e32 vcc_lo, 1, v1
	s_wait_loadcnt 0x2
	v_lshrrev_b32_e32 v18, 16, v10
	s_wait_loadcnt 0x0
	v_lshrrev_b32_e32 v19, 16, v14
	s_cbranch_vccnz .LBB145_204
; %bb.26:
	v_cmp_neq_f16_e32 vcc_lo, v10, v14
	s_delay_alu instid0(VALU_DEP_2)
	v_cmp_neq_f16_e64 s0, v18, v19
	s_or_b32 s19, vcc_lo, s0
	s_cbranch_execnz .LBB145_28
.LBB145_27:
	v_cmp_eq_f16_e32 vcc_lo, v10, v14
	s_delay_alu instid0(VALU_DEP_2) | instskip(SKIP_2) | instid1(SALU_CYCLE_1)
	v_cmp_eq_f16_e64 s0, v18, v19
	s_and_not1_b32 s19, s19, exec_lo
	s_and_b32 s0, vcc_lo, s0
	s_and_b32 s0, s0, exec_lo
	s_delay_alu instid0(SALU_CYCLE_1)
	s_or_b32 s19, s19, s0
.LBB145_28:
	v_cmp_ne_u32_e32 vcc_lo, 1, v1
	v_lshrrev_b32_e32 v10, 16, v11
	v_lshrrev_b32_e32 v14, 16, v15
	s_cbranch_vccnz .LBB145_205
; %bb.29:
	v_cmp_neq_f16_e32 vcc_lo, v11, v15
	s_delay_alu instid0(VALU_DEP_2)
	v_cmp_neq_f16_e64 s0, v10, v14
	s_or_b32 s20, vcc_lo, s0
	s_cbranch_execnz .LBB145_31
.LBB145_30:
	v_cmp_eq_f16_e32 vcc_lo, v11, v15
	s_delay_alu instid0(VALU_DEP_2) | instskip(SKIP_2) | instid1(SALU_CYCLE_1)
	v_cmp_eq_f16_e64 s0, v10, v14
	s_and_not1_b32 s20, s20, exec_lo
	s_and_b32 s0, vcc_lo, s0
	s_and_b32 s0, s0, exec_lo
	s_delay_alu instid0(SALU_CYCLE_1)
	s_or_b32 s20, s20, s0
.LBB145_31:
	v_cmp_ne_u32_e32 vcc_lo, 1, v1
	v_lshrrev_b32_e32 v10, 16, v12
	v_lshrrev_b32_e32 v11, 16, v16
	s_cbranch_vccnz .LBB145_206
; %bb.32:
	v_cmp_neq_f16_e32 vcc_lo, v12, v16
	s_delay_alu instid0(VALU_DEP_2)
	v_cmp_neq_f16_e64 s0, v10, v11
	s_or_b32 s21, vcc_lo, s0
	s_cbranch_execnz .LBB145_34
.LBB145_33:
	v_cmp_eq_f16_e32 vcc_lo, v12, v16
	s_delay_alu instid0(VALU_DEP_2) | instskip(SKIP_2) | instid1(SALU_CYCLE_1)
	v_cmp_eq_f16_e64 s0, v10, v11
	s_and_not1_b32 s21, s21, exec_lo
	s_and_b32 s0, vcc_lo, s0
	s_and_b32 s0, s0, exec_lo
	s_delay_alu instid0(SALU_CYCLE_1)
	s_or_b32 s21, s21, s0
.LBB145_34:
	v_cmp_ne_u32_e32 vcc_lo, 1, v1
	v_lshrrev_b32_e32 v10, 16, v13
	v_lshrrev_b32_e32 v11, 16, v17
	s_cbranch_vccnz .LBB145_207
; %bb.35:
	v_cmp_neq_f16_e32 vcc_lo, v13, v17
	s_delay_alu instid0(VALU_DEP_2)
	v_cmp_neq_f16_e64 s0, v10, v11
	s_or_b32 s22, vcc_lo, s0
	s_cbranch_execnz .LBB145_37
.LBB145_36:
	v_cmp_eq_f16_e32 vcc_lo, v13, v17
	s_delay_alu instid0(VALU_DEP_2) | instskip(SKIP_2) | instid1(SALU_CYCLE_1)
	v_cmp_eq_f16_e64 s0, v10, v11
	s_and_not1_b32 s22, s22, exec_lo
	s_and_b32 s0, vcc_lo, s0
	s_and_b32 s0, s0, exec_lo
	s_delay_alu instid0(SALU_CYCLE_1)
	s_or_b32 s22, s22, s0
.LBB145_37:
	v_cmp_ne_u32_e32 vcc_lo, 1, v1
	v_lshrrev_b32_e32 v10, 16, v2
	v_lshrrev_b32_e32 v11, 16, v6
	s_cbranch_vccnz .LBB145_208
; %bb.38:
	v_cmp_neq_f16_e32 vcc_lo, v2, v6
	s_delay_alu instid0(VALU_DEP_2)
	v_cmp_neq_f16_e64 s0, v10, v11
	s_or_b32 s23, vcc_lo, s0
	s_cbranch_execnz .LBB145_40
.LBB145_39:
	v_cmp_eq_f16_e32 vcc_lo, v2, v6
	s_delay_alu instid0(VALU_DEP_2) | instskip(SKIP_2) | instid1(SALU_CYCLE_1)
	v_cmp_eq_f16_e64 s0, v10, v11
	s_and_not1_b32 s23, s23, exec_lo
	s_and_b32 s0, vcc_lo, s0
	s_and_b32 s0, s0, exec_lo
	s_delay_alu instid0(SALU_CYCLE_1)
	s_or_b32 s23, s23, s0
.LBB145_40:
	v_cmp_ne_u32_e32 vcc_lo, 1, v1
	v_lshrrev_b32_e32 v2, 16, v3
	v_lshrrev_b32_e32 v6, 16, v7
	s_cbranch_vccnz .LBB145_209
; %bb.41:
	v_cmp_neq_f16_e32 vcc_lo, v3, v7
	s_delay_alu instid0(VALU_DEP_2)
	v_cmp_neq_f16_e64 s0, v2, v6
	s_or_b32 s24, vcc_lo, s0
	s_cbranch_execnz .LBB145_43
.LBB145_42:
	v_cmp_eq_f16_e32 vcc_lo, v3, v7
	s_delay_alu instid0(VALU_DEP_2) | instskip(SKIP_2) | instid1(SALU_CYCLE_1)
	v_cmp_eq_f16_e64 s0, v2, v6
	s_and_not1_b32 s24, s24, exec_lo
	s_and_b32 s0, vcc_lo, s0
	s_and_b32 s0, s0, exec_lo
	s_delay_alu instid0(SALU_CYCLE_1)
	s_or_b32 s24, s24, s0
.LBB145_43:
	v_cmp_ne_u32_e32 vcc_lo, 1, v1
	v_lshrrev_b32_e32 v2, 16, v4
	v_lshrrev_b32_e32 v3, 16, v8
	s_cbranch_vccnz .LBB145_210
; %bb.44:
	v_cmp_neq_f16_e32 vcc_lo, v4, v8
	s_delay_alu instid0(VALU_DEP_2)
	v_cmp_neq_f16_e64 s0, v2, v3
	s_or_b32 s25, vcc_lo, s0
	s_cbranch_execnz .LBB145_46
.LBB145_45:
	v_cmp_eq_f16_e32 vcc_lo, v4, v8
	s_delay_alu instid0(VALU_DEP_2) | instskip(SKIP_2) | instid1(SALU_CYCLE_1)
	v_cmp_eq_f16_e64 s0, v2, v3
	s_and_not1_b32 s25, s25, exec_lo
	s_and_b32 s0, vcc_lo, s0
	s_and_b32 s0, s0, exec_lo
	s_delay_alu instid0(SALU_CYCLE_1)
	s_or_b32 s25, s25, s0
.LBB145_46:
	v_cmp_ne_u32_e32 vcc_lo, 1, v1
	v_lshrrev_b32_e32 v1, 16, v5
	v_lshrrev_b32_e32 v2, 16, v9
	s_cbranch_vccnz .LBB145_211
; %bb.47:
	v_cmp_neq_f16_e32 vcc_lo, v5, v9
	s_delay_alu instid0(VALU_DEP_2)
	v_cmp_neq_f16_e64 s0, v1, v2
	s_or_b32 s26, vcc_lo, s0
	s_cbranch_execnz .LBB145_49
.LBB145_48:
	v_cmp_eq_f16_e32 vcc_lo, v5, v9
	s_delay_alu instid0(VALU_DEP_2) | instskip(SKIP_2) | instid1(SALU_CYCLE_1)
	v_cmp_eq_f16_e64 s0, v1, v2
	s_and_not1_b32 s26, s26, exec_lo
	s_and_b32 s0, vcc_lo, s0
	s_and_b32 s0, s0, exec_lo
	s_delay_alu instid0(SALU_CYCLE_1)
	s_or_b32 s26, s26, s0
.LBB145_49:
	v_cndmask_b32_e64 v1, 0, 0x100, s20
	v_cndmask_b32_e64 v2, 0, 1, s19
	;; [unrolled: 1-line block ×6, first 2 shown]
	v_or_b32_e32 v1, v1, v2
	v_cndmask_b32_e64 v2, 0, 0x1000000, s22
	v_or_b32_e32 v4, v4, v5
	v_cndmask_b32_e64 v5, 0, 0x10000, s13
	v_or3_b32 v6, 0, 0, 0
	v_cndmask_b32_e64 v7, 0, 1, s23
	v_cndmask_b32_e64 v8, 0, 0x100, s24
	;; [unrolled: 1-line block ×4, first 2 shown]
	v_or3_b32 v1, v1, v3, v2
	v_or3_b32 v2, v4, v5, v9
	;; [unrolled: 1-line block ×3, first 2 shown]
	v_cndmask_b32_e64 v5, 0, 0x10000, s17
	v_or3_b32 v3, v6, v10, v11
	v_cndmask_b32_e64 v6, 0, 0x1000000, s18
	v_or3_b32 v2, v2, 0, 0
	v_cndmask_b32_e64 v4, 0, 0x10000, s25
	v_cndmask_b32_e64 v8, 0, 0x1000000, s26
	v_or3_b32 v1, v1, 0, 0
	v_or3_b32 v3, v3, v5, v6
	v_or3_b32 v2, v2, 0, 0
	s_add_nc_u64 s[12:13], s[4:5], s[2:3]
	v_or3_b32 v5, v7, v4, v8
	v_or3_b32 v4, v1, 0, 0
	s_mov_b32 s0, 0
	s_clause 0x1
	global_store_b64 v0, v[2:3], s[12:13] scale_offset
	global_store_b64 v0, v[4:5], s[12:13] offset:2048 scale_offset
.LBB145_50:
	s_and_b32 vcc_lo, exec_lo, s0
	s_cbranch_vccz .LBB145_195
; %bb.51:
	v_cmp_gt_i32_e64 s0, s8, v0
	v_dual_mov_b32 v10, 0 :: v_dual_bitop2_b32 v1, s2, v0 bitop3:0x54
	v_or_b32_e32 v8, 0x100, v0
	v_dual_mov_b32 v9, 0 :: v_dual_mov_b32 v12, 0
	v_dual_mov_b32 v11, 0 :: v_dual_mov_b32 v14, 0
	;; [unrolled: 1-line block ×13, first 2 shown]
	s_wait_xcnt 0x1
	v_dual_mov_b32 v3, 0 :: v_dual_mov_b32 v35, 0
	v_dual_mov_b32 v36, 0 :: v_dual_mov_b32 v37, 0
	v_mov_b32_e32 v38, 0
	s_wait_xcnt 0x0
	s_and_saveexec_b32 s1, s0
	s_cbranch_execz .LBB145_83
; %bb.52:
	s_clause 0x1
	global_load_b32 v37, v1, s[6:7] scale_offset
	global_load_b32 v38, v1, s[10:11] scale_offset
	v_or_b32_e32 v2, 0x100, v0
	v_dual_mov_b32 v36, 0 :: v_dual_mov_b32 v35, 0
	v_dual_mov_b32 v3, 0 :: v_dual_mov_b32 v34, 0
	s_delay_alu instid0(VALU_DEP_3)
	v_cmp_gt_u32_e32 vcc_lo, s8, v2
	v_dual_mov_b32 v7, 0 :: v_dual_mov_b32 v33, 0
	v_dual_mov_b32 v31, 0 :: v_dual_mov_b32 v32, 0
	;; [unrolled: 1-line block ×13, first 2 shown]
	s_wait_xcnt 0x0
	s_and_saveexec_b32 s3, vcc_lo
	s_cbranch_execz .LBB145_82
; %bb.53:
	v_dual_mov_b32 v3, 0 :: v_dual_add_nc_u32 v2, s2, v0
	v_or_b32_e32 v4, 0x200, v0
	v_dual_mov_b32 v34, 0 :: v_dual_mov_b32 v7, 0
	s_clause 0x1
	global_load_b32 v35, v2, s[6:7] offset:1024 scale_offset
	global_load_b32 v36, v2, s[10:11] offset:1024 scale_offset
	v_dual_mov_b32 v33, 0 :: v_dual_mov_b32 v31, 0
	v_cmp_gt_u32_e32 vcc_lo, s8, v4
	v_dual_mov_b32 v32, 0 :: v_dual_mov_b32 v29, 0
	v_dual_mov_b32 v30, 0 :: v_dual_mov_b32 v27, 0
	;; [unrolled: 1-line block ×11, first 2 shown]
	v_mov_b32_e32 v10, 0
	s_wait_xcnt 0x0
	s_and_saveexec_b32 s12, vcc_lo
	s_cbranch_execz .LBB145_81
; %bb.54:
	v_lshlrev_b64_e32 v[6:7], 2, v[2:3]
	v_or_b32_e32 v9, 0x300, v0
	v_dual_mov_b32 v33, 0 :: v_dual_mov_b32 v31, 0
	v_dual_mov_b32 v32, 0 :: v_dual_mov_b32 v29, 0
	s_delay_alu instid0(VALU_DEP_3)
	v_cmp_gt_u32_e32 vcc_lo, s8, v9
	v_add_nc_u64_e32 v[4:5], s[6:7], v[6:7]
	v_add_nc_u64_e32 v[6:7], s[10:11], v[6:7]
	v_dual_mov_b32 v30, 0 :: v_dual_mov_b32 v27, 0
	v_dual_mov_b32 v28, 0 :: v_dual_mov_b32 v25, 0
	;; [unrolled: 1-line block ×3, first 2 shown]
	global_load_b32 v34, v[4:5], off offset:2048
	global_load_b32 v2, v[6:7], off offset:2048
	v_dual_mov_b32 v24, 0 :: v_dual_mov_b32 v21, 0
	v_dual_mov_b32 v22, 0 :: v_dual_mov_b32 v19, 0
	v_dual_mov_b32 v20, 0 :: v_dual_mov_b32 v17, 0
	v_dual_mov_b32 v18, 0 :: v_dual_mov_b32 v15, 0
	v_dual_mov_b32 v16, 0 :: v_dual_mov_b32 v13, 0
	v_dual_mov_b32 v14, 0 :: v_dual_mov_b32 v11, 0
	v_dual_mov_b32 v12, 0 :: v_dual_mov_b32 v9, 0
	v_mov_b32_e32 v10, 0
	s_wait_xcnt 0x0
	s_and_saveexec_b32 s6, vcc_lo
	s_cbranch_execz .LBB145_80
; %bb.55:
	global_load_b32 v33, v[4:5], off offset:3072
	global_load_b32 v3, v[6:7], off offset:3072
	v_or_b32_e32 v9, 0x400, v0
	v_dual_mov_b32 v31, 0 :: v_dual_mov_b32 v32, 0
	v_dual_mov_b32 v29, 0 :: v_dual_mov_b32 v30, 0
	s_delay_alu instid0(VALU_DEP_3)
	v_cmp_gt_u32_e32 vcc_lo, s8, v9
	v_dual_mov_b32 v27, 0 :: v_dual_mov_b32 v28, 0
	v_dual_mov_b32 v25, 0 :: v_dual_mov_b32 v26, 0
	;; [unrolled: 1-line block ×10, first 2 shown]
	s_wait_xcnt 0x0
	s_and_saveexec_b32 s7, vcc_lo
	s_cbranch_execz .LBB145_79
; %bb.56:
	global_load_b32 v32, v[4:5], off offset:4096
	global_load_b32 v31, v[6:7], off offset:4096
	v_or_b32_e32 v9, 0x500, v0
	v_dual_mov_b32 v29, 0 :: v_dual_mov_b32 v30, 0
	v_dual_mov_b32 v27, 0 :: v_dual_mov_b32 v28, 0
	s_delay_alu instid0(VALU_DEP_3)
	v_cmp_gt_u32_e32 vcc_lo, s8, v9
	v_dual_mov_b32 v25, 0 :: v_dual_mov_b32 v26, 0
	v_dual_mov_b32 v23, 0 :: v_dual_mov_b32 v24, 0
	;; [unrolled: 1-line block ×9, first 2 shown]
	s_wait_xcnt 0x0
	s_and_saveexec_b32 s10, vcc_lo
	s_cbranch_execz .LBB145_78
; %bb.57:
	global_load_b32 v30, v[4:5], off offset:5120
	global_load_b32 v29, v[6:7], off offset:5120
	v_or_b32_e32 v9, 0x600, v0
	v_dual_mov_b32 v27, 0 :: v_dual_mov_b32 v28, 0
	v_dual_mov_b32 v25, 0 :: v_dual_mov_b32 v26, 0
	s_delay_alu instid0(VALU_DEP_3)
	v_cmp_gt_u32_e32 vcc_lo, s8, v9
	v_dual_mov_b32 v23, 0 :: v_dual_mov_b32 v24, 0
	v_dual_mov_b32 v21, 0 :: v_dual_mov_b32 v22, 0
	;; [unrolled: 1-line block ×8, first 2 shown]
	s_wait_xcnt 0x0
	s_and_saveexec_b32 s11, vcc_lo
	s_cbranch_execz .LBB145_77
; %bb.58:
	global_load_b32 v28, v[4:5], off offset:6144
	global_load_b32 v27, v[6:7], off offset:6144
	v_or_b32_e32 v9, 0x700, v0
	v_dual_mov_b32 v25, 0 :: v_dual_mov_b32 v26, 0
	v_dual_mov_b32 v23, 0 :: v_dual_mov_b32 v24, 0
	s_delay_alu instid0(VALU_DEP_3)
	v_cmp_gt_u32_e32 vcc_lo, s8, v9
	v_dual_mov_b32 v21, 0 :: v_dual_mov_b32 v22, 0
	v_dual_mov_b32 v19, 0 :: v_dual_mov_b32 v20, 0
	;; [unrolled: 1-line block ×7, first 2 shown]
	s_wait_xcnt 0x0
	s_and_saveexec_b32 s13, vcc_lo
	s_cbranch_execz .LBB145_76
; %bb.59:
	global_load_b32 v26, v[4:5], off offset:7168
	global_load_b32 v25, v[6:7], off offset:7168
	v_or_b32_e32 v9, 0x800, v0
	v_dual_mov_b32 v23, 0 :: v_dual_mov_b32 v24, 0
	v_dual_mov_b32 v21, 0 :: v_dual_mov_b32 v22, 0
	s_delay_alu instid0(VALU_DEP_3)
	v_cmp_gt_u32_e32 vcc_lo, s8, v9
	v_dual_mov_b32 v19, 0 :: v_dual_mov_b32 v20, 0
	v_dual_mov_b32 v17, 0 :: v_dual_mov_b32 v18, 0
	;; [unrolled: 1-line block ×6, first 2 shown]
	s_wait_xcnt 0x0
	s_and_saveexec_b32 s14, vcc_lo
	s_cbranch_execz .LBB145_75
; %bb.60:
	global_load_b32 v24, v[4:5], off offset:8192
	global_load_b32 v23, v[6:7], off offset:8192
	v_or_b32_e32 v9, 0x900, v0
	v_dual_mov_b32 v21, 0 :: v_dual_mov_b32 v22, 0
	v_dual_mov_b32 v19, 0 :: v_dual_mov_b32 v20, 0
	s_delay_alu instid0(VALU_DEP_3)
	v_cmp_gt_u32_e32 vcc_lo, s8, v9
	v_dual_mov_b32 v17, 0 :: v_dual_mov_b32 v18, 0
	v_dual_mov_b32 v15, 0 :: v_dual_mov_b32 v16, 0
	v_dual_mov_b32 v13, 0 :: v_dual_mov_b32 v14, 0
	v_dual_mov_b32 v11, 0 :: v_dual_mov_b32 v12, 0
	v_dual_mov_b32 v9, 0 :: v_dual_mov_b32 v10, 0
	s_wait_xcnt 0x0
	s_and_saveexec_b32 s15, vcc_lo
	s_cbranch_execz .LBB145_74
; %bb.61:
	global_load_b32 v22, v[4:5], off offset:9216
	global_load_b32 v21, v[6:7], off offset:9216
	v_or_b32_e32 v9, 0xa00, v0
	v_dual_mov_b32 v19, 0 :: v_dual_mov_b32 v20, 0
	v_dual_mov_b32 v17, 0 :: v_dual_mov_b32 v18, 0
	s_delay_alu instid0(VALU_DEP_3)
	v_cmp_gt_u32_e32 vcc_lo, s8, v9
	v_dual_mov_b32 v15, 0 :: v_dual_mov_b32 v16, 0
	v_dual_mov_b32 v13, 0 :: v_dual_mov_b32 v14, 0
	;; [unrolled: 1-line block ×4, first 2 shown]
	s_wait_xcnt 0x0
	s_and_saveexec_b32 s16, vcc_lo
	s_cbranch_execz .LBB145_73
; %bb.62:
	global_load_b32 v20, v[4:5], off offset:10240
	global_load_b32 v19, v[6:7], off offset:10240
	v_or_b32_e32 v9, 0xb00, v0
	v_dual_mov_b32 v17, 0 :: v_dual_mov_b32 v18, 0
	v_dual_mov_b32 v15, 0 :: v_dual_mov_b32 v16, 0
	s_delay_alu instid0(VALU_DEP_3)
	v_cmp_gt_u32_e32 vcc_lo, s8, v9
	v_dual_mov_b32 v13, 0 :: v_dual_mov_b32 v14, 0
	v_dual_mov_b32 v11, 0 :: v_dual_mov_b32 v12, 0
	;; [unrolled: 1-line block ×3, first 2 shown]
	s_wait_xcnt 0x0
	s_and_saveexec_b32 s17, vcc_lo
	s_cbranch_execz .LBB145_72
; %bb.63:
	global_load_b32 v18, v[4:5], off offset:11264
	global_load_b32 v17, v[6:7], off offset:11264
	v_or_b32_e32 v9, 0xc00, v0
	v_dual_mov_b32 v15, 0 :: v_dual_mov_b32 v16, 0
	v_dual_mov_b32 v13, 0 :: v_dual_mov_b32 v14, 0
	s_delay_alu instid0(VALU_DEP_3)
	v_cmp_gt_u32_e32 vcc_lo, s8, v9
	v_dual_mov_b32 v11, 0 :: v_dual_mov_b32 v12, 0
	v_dual_mov_b32 v9, 0 :: v_dual_mov_b32 v10, 0
	s_wait_xcnt 0x0
	s_and_saveexec_b32 s18, vcc_lo
	s_cbranch_execz .LBB145_71
; %bb.64:
	global_load_b32 v16, v[4:5], off offset:12288
	global_load_b32 v15, v[6:7], off offset:12288
	v_or_b32_e32 v9, 0xd00, v0
	v_dual_mov_b32 v13, 0 :: v_dual_mov_b32 v14, 0
	v_dual_mov_b32 v11, 0 :: v_dual_mov_b32 v12, 0
	s_delay_alu instid0(VALU_DEP_3)
	v_cmp_gt_u32_e32 vcc_lo, s8, v9
	v_dual_mov_b32 v9, 0 :: v_dual_mov_b32 v10, 0
	s_wait_xcnt 0x0
	s_and_saveexec_b32 s19, vcc_lo
	s_cbranch_execz .LBB145_70
; %bb.65:
	global_load_b32 v14, v[4:5], off offset:13312
	global_load_b32 v13, v[6:7], off offset:13312
	v_or_b32_e32 v9, 0xe00, v0
	v_dual_mov_b32 v11, 0 :: v_dual_mov_b32 v12, 0
	v_mov_b32_e32 v10, 0
	s_delay_alu instid0(VALU_DEP_3)
	v_cmp_gt_u32_e32 vcc_lo, s8, v9
	v_mov_b32_e32 v9, 0
	s_wait_xcnt 0x0
	s_and_saveexec_b32 s20, vcc_lo
	s_cbranch_execz .LBB145_69
; %bb.66:
	global_load_b32 v12, v[4:5], off offset:14336
	global_load_b32 v11, v[6:7], off offset:14336
	v_or_b32_e32 v9, 0xf00, v0
	v_mov_b32_e32 v10, 0
	s_delay_alu instid0(VALU_DEP_2)
	v_cmp_gt_u32_e32 vcc_lo, s8, v9
	v_mov_b32_e32 v9, 0
	s_wait_xcnt 0x0
	s_and_saveexec_b32 s21, vcc_lo
	s_cbranch_execz .LBB145_68
; %bb.67:
	global_load_b32 v10, v[4:5], off offset:15360
	global_load_b32 v9, v[6:7], off offset:15360
.LBB145_68:
	s_wait_xcnt 0x0
	s_or_b32 exec_lo, exec_lo, s21
.LBB145_69:
	s_delay_alu instid0(SALU_CYCLE_1)
	s_or_b32 exec_lo, exec_lo, s20
.LBB145_70:
	s_delay_alu instid0(SALU_CYCLE_1)
	s_or_b32 exec_lo, exec_lo, s19
.LBB145_71:
	s_delay_alu instid0(SALU_CYCLE_1)
	s_or_b32 exec_lo, exec_lo, s18
.LBB145_72:
	s_delay_alu instid0(SALU_CYCLE_1)
	s_or_b32 exec_lo, exec_lo, s17
.LBB145_73:
	s_delay_alu instid0(SALU_CYCLE_1)
	s_or_b32 exec_lo, exec_lo, s16
.LBB145_74:
	s_delay_alu instid0(SALU_CYCLE_1)
	s_or_b32 exec_lo, exec_lo, s15
.LBB145_75:
	s_delay_alu instid0(SALU_CYCLE_1)
	s_or_b32 exec_lo, exec_lo, s14
.LBB145_76:
	s_delay_alu instid0(SALU_CYCLE_1)
	s_or_b32 exec_lo, exec_lo, s13
.LBB145_77:
	s_delay_alu instid0(SALU_CYCLE_1)
	s_or_b32 exec_lo, exec_lo, s11
.LBB145_78:
	s_delay_alu instid0(SALU_CYCLE_1)
	s_or_b32 exec_lo, exec_lo, s10
.LBB145_79:
	s_delay_alu instid0(SALU_CYCLE_1)
	s_or_b32 exec_lo, exec_lo, s7
.LBB145_80:
	s_delay_alu instid0(SALU_CYCLE_1)
	s_or_b32 exec_lo, exec_lo, s6
	s_wait_loadcnt 0x0
	v_dual_mov_b32 v7, v3 :: v_dual_mov_b32 v3, v2
.LBB145_81:
	s_or_b32 exec_lo, exec_lo, s12
.LBB145_82:
	s_delay_alu instid0(SALU_CYCLE_1)
	s_or_b32 exec_lo, exec_lo, s3
.LBB145_83:
	s_delay_alu instid0(SALU_CYCLE_1)
	s_or_b32 exec_lo, exec_lo, s1
	s_cmp_lg_u32 s9, 0
                                        ; implicit-def: $vgpr2
	s_cselect_b32 s3, -1, 0
	s_and_saveexec_b32 s6, s0
	s_cbranch_execz .LBB145_88
; %bb.84:
	s_wait_loadcnt 0x0
	v_dual_lshrrev_b32 v2, 16, v37 :: v_dual_lshrrev_b32 v4, 16, v38
	s_and_b32 vcc_lo, exec_lo, s3
	s_cbranch_vccz .LBB145_212
; %bb.85:
	v_cmp_neq_f16_e32 vcc_lo, v37, v38
	s_delay_alu instid0(VALU_DEP_2)
	v_cmp_neq_f16_e64 s1, v2, v4
	s_or_b32 s7, vcc_lo, s1
	s_cbranch_execnz .LBB145_87
.LBB145_86:
	v_cmp_eq_f16_e32 vcc_lo, v37, v38
	v_cmp_eq_f16_e64 s1, v2, v4
	s_and_not1_b32 s7, s7, exec_lo
	s_and_b32 s1, vcc_lo, s1
	s_delay_alu instid0(SALU_CYCLE_1) | instskip(NEXT) | instid1(SALU_CYCLE_1)
	s_and_b32 s1, s1, exec_lo
	s_or_b32 s7, s7, s1
.LBB145_87:
	s_delay_alu instid0(SALU_CYCLE_1)
	v_cndmask_b32_e64 v2, 0, 1, s7
.LBB145_88:
	s_or_b32 exec_lo, exec_lo, s6
	v_cndmask_b32_e64 v5, 0, 1, s3
	s_mov_b32 s6, exec_lo
                                        ; implicit-def: $vgpr4
	v_cmpx_gt_i32_e64 s8, v8
	s_cbranch_execz .LBB145_93
; %bb.89:
	s_wait_loadcnt 0x0
	v_dual_lshrrev_b32 v4, 16, v35 :: v_dual_lshrrev_b32 v6, 16, v36
	s_and_not1_b32 vcc_lo, exec_lo, s3
	s_cbranch_vccnz .LBB145_213
; %bb.90:
	v_cmp_neq_f16_e32 vcc_lo, v35, v36
	s_delay_alu instid0(VALU_DEP_2)
	v_cmp_neq_f16_e64 s1, v4, v6
	s_or_b32 s3, vcc_lo, s1
	s_cbranch_execnz .LBB145_92
.LBB145_91:
	v_cmp_eq_f16_e32 vcc_lo, v35, v36
	v_cmp_eq_f16_e64 s1, v4, v6
	s_and_not1_b32 s3, s3, exec_lo
	s_and_b32 s1, vcc_lo, s1
	s_delay_alu instid0(SALU_CYCLE_1) | instskip(NEXT) | instid1(SALU_CYCLE_1)
	s_and_b32 s1, s1, exec_lo
	s_or_b32 s3, s3, s1
.LBB145_92:
	s_delay_alu instid0(SALU_CYCLE_1)
	v_cndmask_b32_e64 v4, 0, 1, s3
.LBB145_93:
	s_or_b32 exec_lo, exec_lo, s6
	v_or_b32_e32 v6, 0x200, v0
	s_delay_alu instid0(VALU_DEP_1)
	v_cmp_gt_i32_e32 vcc_lo, s8, v6
                                        ; implicit-def: $vgpr6
	s_and_saveexec_b32 s3, vcc_lo
	s_cbranch_execz .LBB145_98
; %bb.94:
	v_cmp_ne_u32_e32 vcc_lo, 1, v5
	s_wait_loadcnt 0x1
	v_dual_lshrrev_b32 v6, 16, v34 :: v_dual_lshrrev_b32 v35, 16, v3
	s_cbranch_vccnz .LBB145_214
; %bb.95:
	v_cmp_neq_f16_e32 vcc_lo, v34, v3
	s_delay_alu instid0(VALU_DEP_2)
	v_cmp_neq_f16_e64 s1, v6, v35
	s_or_b32 s6, vcc_lo, s1
	s_cbranch_execnz .LBB145_97
.LBB145_96:
	v_cmp_eq_f16_e32 vcc_lo, v34, v3
	s_delay_alu instid0(VALU_DEP_2) | instskip(SKIP_2) | instid1(SALU_CYCLE_1)
	v_cmp_eq_f16_e64 s1, v6, v35
	s_and_not1_b32 s6, s6, exec_lo
	s_and_b32 s1, vcc_lo, s1
	s_and_b32 s1, s1, exec_lo
	s_delay_alu instid0(SALU_CYCLE_1)
	s_or_b32 s6, s6, s1
.LBB145_97:
	s_delay_alu instid0(SALU_CYCLE_1)
	v_cndmask_b32_e64 v6, 0, 1, s6
.LBB145_98:
	s_or_b32 exec_lo, exec_lo, s3
	v_or_b32_e32 v3, 0x300, v0
	s_delay_alu instid0(VALU_DEP_1)
	v_cmp_gt_i32_e32 vcc_lo, s8, v3
                                        ; implicit-def: $vgpr3
	s_and_saveexec_b32 s3, vcc_lo
	s_cbranch_execz .LBB145_103
; %bb.99:
	v_cmp_ne_u32_e32 vcc_lo, 1, v5
	v_dual_lshrrev_b32 v3, 16, v33 :: v_dual_lshrrev_b32 v34, 16, v7
	s_cbranch_vccnz .LBB145_215
; %bb.100:
	v_cmp_neq_f16_e32 vcc_lo, v33, v7
	s_delay_alu instid0(VALU_DEP_2)
	v_cmp_neq_f16_e64 s1, v3, v34
	s_or_b32 s6, vcc_lo, s1
	s_cbranch_execnz .LBB145_102
.LBB145_101:
	v_cmp_eq_f16_e32 vcc_lo, v33, v7
	s_delay_alu instid0(VALU_DEP_2) | instskip(SKIP_2) | instid1(SALU_CYCLE_1)
	v_cmp_eq_f16_e64 s1, v3, v34
	s_and_not1_b32 s6, s6, exec_lo
	s_and_b32 s1, vcc_lo, s1
	s_and_b32 s1, s1, exec_lo
	s_delay_alu instid0(SALU_CYCLE_1)
	s_or_b32 s6, s6, s1
.LBB145_102:
	s_delay_alu instid0(SALU_CYCLE_1)
	v_cndmask_b32_e64 v3, 0, 1, s6
.LBB145_103:
	s_or_b32 exec_lo, exec_lo, s3
	v_or_b32_e32 v7, 0x400, v0
	s_delay_alu instid0(VALU_DEP_1)
	v_cmp_gt_i32_e32 vcc_lo, s8, v7
                                        ; implicit-def: $vgpr7
	s_and_saveexec_b32 s3, vcc_lo
	s_cbranch_execz .LBB145_108
; %bb.104:
	v_cmp_ne_u32_e32 vcc_lo, 1, v5
	v_dual_lshrrev_b32 v7, 16, v32 :: v_dual_lshrrev_b32 v33, 16, v31
	s_cbranch_vccnz .LBB145_216
; %bb.105:
	v_cmp_neq_f16_e32 vcc_lo, v32, v31
	s_delay_alu instid0(VALU_DEP_2)
	v_cmp_neq_f16_e64 s1, v7, v33
	s_or_b32 s6, vcc_lo, s1
	s_cbranch_execnz .LBB145_107
.LBB145_106:
	v_cmp_eq_f16_e32 vcc_lo, v32, v31
	s_delay_alu instid0(VALU_DEP_2) | instskip(SKIP_2) | instid1(SALU_CYCLE_1)
	v_cmp_eq_f16_e64 s1, v7, v33
	s_and_not1_b32 s6, s6, exec_lo
	s_and_b32 s1, vcc_lo, s1
	s_and_b32 s1, s1, exec_lo
	s_delay_alu instid0(SALU_CYCLE_1)
	s_or_b32 s6, s6, s1
.LBB145_107:
	s_delay_alu instid0(SALU_CYCLE_1)
	v_cndmask_b32_e64 v7, 0, 1, s6
.LBB145_108:
	s_or_b32 exec_lo, exec_lo, s3
	v_or_b32_e32 v31, 0x500, v0
	s_delay_alu instid0(VALU_DEP_1)
	v_cmp_gt_i32_e32 vcc_lo, s8, v31
                                        ; implicit-def: $vgpr31
	s_and_saveexec_b32 s3, vcc_lo
	s_cbranch_execz .LBB145_113
; %bb.109:
	v_cmp_ne_u32_e32 vcc_lo, 1, v5
	v_dual_lshrrev_b32 v31, 16, v30 :: v_dual_lshrrev_b32 v32, 16, v29
	s_cbranch_vccnz .LBB145_217
; %bb.110:
	v_cmp_neq_f16_e32 vcc_lo, v30, v29
	s_delay_alu instid0(VALU_DEP_2)
	v_cmp_neq_f16_e64 s1, v31, v32
	s_or_b32 s6, vcc_lo, s1
	s_cbranch_execnz .LBB145_112
.LBB145_111:
	v_cmp_eq_f16_e32 vcc_lo, v30, v29
	s_delay_alu instid0(VALU_DEP_2) | instskip(SKIP_2) | instid1(SALU_CYCLE_1)
	v_cmp_eq_f16_e64 s1, v31, v32
	s_and_not1_b32 s6, s6, exec_lo
	s_and_b32 s1, vcc_lo, s1
	s_and_b32 s1, s1, exec_lo
	s_delay_alu instid0(SALU_CYCLE_1)
	s_or_b32 s6, s6, s1
.LBB145_112:
	s_delay_alu instid0(SALU_CYCLE_1)
	v_cndmask_b32_e64 v31, 0, 1, s6
.LBB145_113:
	s_or_b32 exec_lo, exec_lo, s3
	v_or_b32_e32 v29, 0x600, v0
	s_delay_alu instid0(VALU_DEP_1)
	v_cmp_gt_i32_e32 vcc_lo, s8, v29
                                        ; implicit-def: $vgpr29
	s_and_saveexec_b32 s3, vcc_lo
	s_cbranch_execz .LBB145_118
; %bb.114:
	v_cmp_ne_u32_e32 vcc_lo, 1, v5
	v_dual_lshrrev_b32 v29, 16, v28 :: v_dual_lshrrev_b32 v30, 16, v27
	s_cbranch_vccnz .LBB145_218
; %bb.115:
	v_cmp_neq_f16_e32 vcc_lo, v28, v27
	s_delay_alu instid0(VALU_DEP_2)
	v_cmp_neq_f16_e64 s1, v29, v30
	s_or_b32 s6, vcc_lo, s1
	s_cbranch_execnz .LBB145_117
.LBB145_116:
	v_cmp_eq_f16_e32 vcc_lo, v28, v27
	s_delay_alu instid0(VALU_DEP_2) | instskip(SKIP_2) | instid1(SALU_CYCLE_1)
	v_cmp_eq_f16_e64 s1, v29, v30
	s_and_not1_b32 s6, s6, exec_lo
	s_and_b32 s1, vcc_lo, s1
	s_and_b32 s1, s1, exec_lo
	s_delay_alu instid0(SALU_CYCLE_1)
	s_or_b32 s6, s6, s1
.LBB145_117:
	s_delay_alu instid0(SALU_CYCLE_1)
	v_cndmask_b32_e64 v29, 0, 1, s6
.LBB145_118:
	s_or_b32 exec_lo, exec_lo, s3
	v_or_b32_e32 v27, 0x700, v0
	s_delay_alu instid0(VALU_DEP_1)
	v_cmp_gt_i32_e32 vcc_lo, s8, v27
                                        ; implicit-def: $vgpr27
	s_and_saveexec_b32 s3, vcc_lo
	s_cbranch_execz .LBB145_123
; %bb.119:
	v_cmp_ne_u32_e32 vcc_lo, 1, v5
	v_dual_lshrrev_b32 v27, 16, v26 :: v_dual_lshrrev_b32 v28, 16, v25
	s_cbranch_vccnz .LBB145_219
; %bb.120:
	v_cmp_neq_f16_e32 vcc_lo, v26, v25
	s_delay_alu instid0(VALU_DEP_2)
	v_cmp_neq_f16_e64 s1, v27, v28
	s_or_b32 s6, vcc_lo, s1
	s_cbranch_execnz .LBB145_122
.LBB145_121:
	v_cmp_eq_f16_e32 vcc_lo, v26, v25
	s_delay_alu instid0(VALU_DEP_2) | instskip(SKIP_2) | instid1(SALU_CYCLE_1)
	v_cmp_eq_f16_e64 s1, v27, v28
	s_and_not1_b32 s6, s6, exec_lo
	s_and_b32 s1, vcc_lo, s1
	s_and_b32 s1, s1, exec_lo
	s_delay_alu instid0(SALU_CYCLE_1)
	s_or_b32 s6, s6, s1
.LBB145_122:
	s_delay_alu instid0(SALU_CYCLE_1)
	v_cndmask_b32_e64 v27, 0, 1, s6
.LBB145_123:
	s_or_b32 exec_lo, exec_lo, s3
	v_or_b32_e32 v25, 0x800, v0
	s_delay_alu instid0(VALU_DEP_1)
	v_cmp_gt_i32_e32 vcc_lo, s8, v25
                                        ; implicit-def: $vgpr25
	s_and_saveexec_b32 s3, vcc_lo
	s_cbranch_execz .LBB145_128
; %bb.124:
	v_cmp_ne_u32_e32 vcc_lo, 1, v5
	v_dual_lshrrev_b32 v25, 16, v24 :: v_dual_lshrrev_b32 v26, 16, v23
	s_cbranch_vccnz .LBB145_220
; %bb.125:
	v_cmp_neq_f16_e32 vcc_lo, v24, v23
	s_delay_alu instid0(VALU_DEP_2)
	v_cmp_neq_f16_e64 s1, v25, v26
	s_or_b32 s6, vcc_lo, s1
	s_cbranch_execnz .LBB145_127
.LBB145_126:
	v_cmp_eq_f16_e32 vcc_lo, v24, v23
	s_delay_alu instid0(VALU_DEP_2) | instskip(SKIP_2) | instid1(SALU_CYCLE_1)
	v_cmp_eq_f16_e64 s1, v25, v26
	s_and_not1_b32 s6, s6, exec_lo
	s_and_b32 s1, vcc_lo, s1
	s_and_b32 s1, s1, exec_lo
	s_delay_alu instid0(SALU_CYCLE_1)
	s_or_b32 s6, s6, s1
.LBB145_127:
	s_delay_alu instid0(SALU_CYCLE_1)
	v_cndmask_b32_e64 v25, 0, 1, s6
.LBB145_128:
	s_or_b32 exec_lo, exec_lo, s3
	v_or_b32_e32 v23, 0x900, v0
	s_delay_alu instid0(VALU_DEP_1)
	v_cmp_gt_i32_e32 vcc_lo, s8, v23
                                        ; implicit-def: $vgpr23
	s_and_saveexec_b32 s3, vcc_lo
	s_cbranch_execz .LBB145_133
; %bb.129:
	v_cmp_ne_u32_e32 vcc_lo, 1, v5
	v_dual_lshrrev_b32 v23, 16, v22 :: v_dual_lshrrev_b32 v24, 16, v21
	s_cbranch_vccnz .LBB145_221
; %bb.130:
	v_cmp_neq_f16_e32 vcc_lo, v22, v21
	s_delay_alu instid0(VALU_DEP_2)
	v_cmp_neq_f16_e64 s1, v23, v24
	s_or_b32 s6, vcc_lo, s1
	s_cbranch_execnz .LBB145_132
.LBB145_131:
	v_cmp_eq_f16_e32 vcc_lo, v22, v21
	s_delay_alu instid0(VALU_DEP_2) | instskip(SKIP_2) | instid1(SALU_CYCLE_1)
	v_cmp_eq_f16_e64 s1, v23, v24
	s_and_not1_b32 s6, s6, exec_lo
	s_and_b32 s1, vcc_lo, s1
	s_and_b32 s1, s1, exec_lo
	s_delay_alu instid0(SALU_CYCLE_1)
	s_or_b32 s6, s6, s1
.LBB145_132:
	s_delay_alu instid0(SALU_CYCLE_1)
	v_cndmask_b32_e64 v23, 0, 1, s6
.LBB145_133:
	s_or_b32 exec_lo, exec_lo, s3
	v_or_b32_e32 v21, 0xa00, v0
	s_delay_alu instid0(VALU_DEP_1)
	v_cmp_gt_i32_e32 vcc_lo, s8, v21
                                        ; implicit-def: $vgpr21
	s_and_saveexec_b32 s3, vcc_lo
	s_cbranch_execz .LBB145_138
; %bb.134:
	v_cmp_ne_u32_e32 vcc_lo, 1, v5
	v_dual_lshrrev_b32 v21, 16, v20 :: v_dual_lshrrev_b32 v22, 16, v19
	s_cbranch_vccnz .LBB145_222
; %bb.135:
	v_cmp_neq_f16_e32 vcc_lo, v20, v19
	s_delay_alu instid0(VALU_DEP_2)
	v_cmp_neq_f16_e64 s1, v21, v22
	s_or_b32 s6, vcc_lo, s1
	s_cbranch_execnz .LBB145_137
.LBB145_136:
	v_cmp_eq_f16_e32 vcc_lo, v20, v19
	s_delay_alu instid0(VALU_DEP_2) | instskip(SKIP_2) | instid1(SALU_CYCLE_1)
	v_cmp_eq_f16_e64 s1, v21, v22
	s_and_not1_b32 s6, s6, exec_lo
	s_and_b32 s1, vcc_lo, s1
	s_and_b32 s1, s1, exec_lo
	s_delay_alu instid0(SALU_CYCLE_1)
	s_or_b32 s6, s6, s1
.LBB145_137:
	s_delay_alu instid0(SALU_CYCLE_1)
	v_cndmask_b32_e64 v21, 0, 1, s6
.LBB145_138:
	s_or_b32 exec_lo, exec_lo, s3
	v_or_b32_e32 v19, 0xb00, v0
	s_delay_alu instid0(VALU_DEP_1)
	v_cmp_gt_i32_e32 vcc_lo, s8, v19
                                        ; implicit-def: $vgpr19
	s_and_saveexec_b32 s3, vcc_lo
	s_cbranch_execz .LBB145_143
; %bb.139:
	v_cmp_ne_u32_e32 vcc_lo, 1, v5
	v_dual_lshrrev_b32 v19, 16, v18 :: v_dual_lshrrev_b32 v20, 16, v17
	s_cbranch_vccnz .LBB145_223
; %bb.140:
	v_cmp_neq_f16_e32 vcc_lo, v18, v17
	s_delay_alu instid0(VALU_DEP_2)
	v_cmp_neq_f16_e64 s1, v19, v20
	s_or_b32 s6, vcc_lo, s1
	s_cbranch_execnz .LBB145_142
.LBB145_141:
	v_cmp_eq_f16_e32 vcc_lo, v18, v17
	s_delay_alu instid0(VALU_DEP_2) | instskip(SKIP_2) | instid1(SALU_CYCLE_1)
	v_cmp_eq_f16_e64 s1, v19, v20
	s_and_not1_b32 s6, s6, exec_lo
	s_and_b32 s1, vcc_lo, s1
	s_and_b32 s1, s1, exec_lo
	s_delay_alu instid0(SALU_CYCLE_1)
	s_or_b32 s6, s6, s1
.LBB145_142:
	s_delay_alu instid0(SALU_CYCLE_1)
	v_cndmask_b32_e64 v19, 0, 1, s6
.LBB145_143:
	s_or_b32 exec_lo, exec_lo, s3
	v_or_b32_e32 v17, 0xc00, v0
	s_delay_alu instid0(VALU_DEP_1)
	v_cmp_gt_i32_e32 vcc_lo, s8, v17
                                        ; implicit-def: $vgpr17
	s_and_saveexec_b32 s3, vcc_lo
	s_cbranch_execz .LBB145_148
; %bb.144:
	v_cmp_ne_u32_e32 vcc_lo, 1, v5
	v_dual_lshrrev_b32 v17, 16, v16 :: v_dual_lshrrev_b32 v18, 16, v15
	s_cbranch_vccnz .LBB145_224
; %bb.145:
	v_cmp_neq_f16_e32 vcc_lo, v16, v15
	s_delay_alu instid0(VALU_DEP_2)
	v_cmp_neq_f16_e64 s1, v17, v18
	s_or_b32 s6, vcc_lo, s1
	s_cbranch_execnz .LBB145_147
.LBB145_146:
	v_cmp_eq_f16_e32 vcc_lo, v16, v15
	s_delay_alu instid0(VALU_DEP_2) | instskip(SKIP_2) | instid1(SALU_CYCLE_1)
	v_cmp_eq_f16_e64 s1, v17, v18
	s_and_not1_b32 s6, s6, exec_lo
	s_and_b32 s1, vcc_lo, s1
	s_and_b32 s1, s1, exec_lo
	s_delay_alu instid0(SALU_CYCLE_1)
	s_or_b32 s6, s6, s1
.LBB145_147:
	s_delay_alu instid0(SALU_CYCLE_1)
	v_cndmask_b32_e64 v17, 0, 1, s6
.LBB145_148:
	s_or_b32 exec_lo, exec_lo, s3
	v_or_b32_e32 v15, 0xd00, v0
	s_delay_alu instid0(VALU_DEP_1)
	v_cmp_gt_i32_e32 vcc_lo, s8, v15
                                        ; implicit-def: $vgpr15
	s_and_saveexec_b32 s3, vcc_lo
	s_cbranch_execz .LBB145_153
; %bb.149:
	v_cmp_ne_u32_e32 vcc_lo, 1, v5
	v_dual_lshrrev_b32 v15, 16, v14 :: v_dual_lshrrev_b32 v16, 16, v13
	s_cbranch_vccnz .LBB145_225
; %bb.150:
	v_cmp_neq_f16_e32 vcc_lo, v14, v13
	s_delay_alu instid0(VALU_DEP_2)
	v_cmp_neq_f16_e64 s1, v15, v16
	s_or_b32 s6, vcc_lo, s1
	s_cbranch_execnz .LBB145_152
.LBB145_151:
	v_cmp_eq_f16_e32 vcc_lo, v14, v13
	s_delay_alu instid0(VALU_DEP_2) | instskip(SKIP_2) | instid1(SALU_CYCLE_1)
	v_cmp_eq_f16_e64 s1, v15, v16
	s_and_not1_b32 s6, s6, exec_lo
	s_and_b32 s1, vcc_lo, s1
	s_and_b32 s1, s1, exec_lo
	s_delay_alu instid0(SALU_CYCLE_1)
	s_or_b32 s6, s6, s1
.LBB145_152:
	s_delay_alu instid0(SALU_CYCLE_1)
	v_cndmask_b32_e64 v15, 0, 1, s6
.LBB145_153:
	s_or_b32 exec_lo, exec_lo, s3
	v_or_b32_e32 v13, 0xe00, v0
	s_delay_alu instid0(VALU_DEP_1)
	v_cmp_gt_i32_e32 vcc_lo, s8, v13
                                        ; implicit-def: $vgpr13
	s_and_saveexec_b32 s3, vcc_lo
	s_cbranch_execz .LBB145_158
; %bb.154:
	v_cmp_ne_u32_e32 vcc_lo, 1, v5
	v_dual_lshrrev_b32 v13, 16, v12 :: v_dual_lshrrev_b32 v14, 16, v11
	s_cbranch_vccnz .LBB145_226
; %bb.155:
	v_cmp_neq_f16_e32 vcc_lo, v12, v11
	s_delay_alu instid0(VALU_DEP_2)
	v_cmp_neq_f16_e64 s1, v13, v14
	s_or_b32 s6, vcc_lo, s1
	s_cbranch_execnz .LBB145_157
.LBB145_156:
	v_cmp_eq_f16_e32 vcc_lo, v12, v11
	s_delay_alu instid0(VALU_DEP_2) | instskip(SKIP_2) | instid1(SALU_CYCLE_1)
	v_cmp_eq_f16_e64 s1, v13, v14
	s_and_not1_b32 s6, s6, exec_lo
	s_and_b32 s1, vcc_lo, s1
	s_and_b32 s1, s1, exec_lo
	s_delay_alu instid0(SALU_CYCLE_1)
	s_or_b32 s6, s6, s1
.LBB145_157:
	s_delay_alu instid0(SALU_CYCLE_1)
	v_cndmask_b32_e64 v13, 0, 1, s6
.LBB145_158:
	s_or_b32 exec_lo, exec_lo, s3
	v_or_b32_e32 v11, 0xf00, v0
	s_delay_alu instid0(VALU_DEP_1)
	v_cmp_gt_i32_e32 vcc_lo, s8, v11
                                        ; implicit-def: $vgpr11
	s_and_saveexec_b32 s3, vcc_lo
	s_cbranch_execz .LBB145_163
; %bb.159:
	v_cmp_ne_u32_e32 vcc_lo, 1, v5
	v_dual_lshrrev_b32 v5, 16, v10 :: v_dual_lshrrev_b32 v11, 16, v9
	s_cbranch_vccnz .LBB145_227
; %bb.160:
	v_cmp_neq_f16_e32 vcc_lo, v10, v9
	s_delay_alu instid0(VALU_DEP_2)
	v_cmp_neq_f16_e64 s1, v5, v11
	s_or_b32 s6, vcc_lo, s1
	s_cbranch_execnz .LBB145_162
.LBB145_161:
	v_cmp_eq_f16_e32 vcc_lo, v10, v9
	s_delay_alu instid0(VALU_DEP_2) | instskip(SKIP_2) | instid1(SALU_CYCLE_1)
	v_cmp_eq_f16_e64 s1, v5, v11
	s_and_not1_b32 s6, s6, exec_lo
	s_and_b32 s1, vcc_lo, s1
	s_and_b32 s1, s1, exec_lo
	s_delay_alu instid0(SALU_CYCLE_1)
	s_or_b32 s6, s6, s1
.LBB145_162:
	s_delay_alu instid0(SALU_CYCLE_1)
	v_cndmask_b32_e64 v11, 0, 1, s6
.LBB145_163:
	s_or_b32 exec_lo, exec_lo, s3
	s_and_saveexec_b32 s1, s0
	s_delay_alu instid0(SALU_CYCLE_1)
	s_xor_b32 s0, exec_lo, s1
	s_cbranch_execz .LBB145_165
; %bb.164:
	v_mov_b32_e32 v0, v8
	global_store_b8 v1, v2, s[4:5]
.LBB145_165:
	s_wait_xcnt 0x0
	s_or_b32 exec_lo, exec_lo, s0
	s_delay_alu instid0(SALU_CYCLE_1)
	s_mov_b32 s0, exec_lo
	v_cmpx_gt_i32_e64 s8, v0
	s_cbranch_execnz .LBB145_181
; %bb.166:
	s_or_b32 exec_lo, exec_lo, s0
	s_delay_alu instid0(SALU_CYCLE_1)
	s_mov_b32 s0, exec_lo
	v_cmpx_gt_i32_e64 s8, v0
	s_cbranch_execnz .LBB145_182
.LBB145_167:
	s_or_b32 exec_lo, exec_lo, s0
	s_delay_alu instid0(SALU_CYCLE_1)
	s_mov_b32 s0, exec_lo
	v_cmpx_gt_i32_e64 s8, v0
	s_cbranch_execnz .LBB145_183
.LBB145_168:
	s_or_b32 exec_lo, exec_lo, s0
	s_delay_alu instid0(SALU_CYCLE_1)
	s_mov_b32 s0, exec_lo
	v_cmpx_gt_i32_e64 s8, v0
	s_cbranch_execnz .LBB145_184
.LBB145_169:
	s_or_b32 exec_lo, exec_lo, s0
	s_delay_alu instid0(SALU_CYCLE_1)
	s_mov_b32 s0, exec_lo
	v_cmpx_gt_i32_e64 s8, v0
	s_cbranch_execnz .LBB145_185
.LBB145_170:
	s_or_b32 exec_lo, exec_lo, s0
	s_delay_alu instid0(SALU_CYCLE_1)
	s_mov_b32 s0, exec_lo
	v_cmpx_gt_i32_e64 s8, v0
	s_cbranch_execnz .LBB145_186
.LBB145_171:
	s_or_b32 exec_lo, exec_lo, s0
	s_delay_alu instid0(SALU_CYCLE_1)
	s_mov_b32 s0, exec_lo
	v_cmpx_gt_i32_e64 s8, v0
	s_cbranch_execnz .LBB145_187
.LBB145_172:
	s_or_b32 exec_lo, exec_lo, s0
	s_delay_alu instid0(SALU_CYCLE_1)
	s_mov_b32 s0, exec_lo
	v_cmpx_gt_i32_e64 s8, v0
	s_cbranch_execnz .LBB145_188
.LBB145_173:
	s_or_b32 exec_lo, exec_lo, s0
	s_delay_alu instid0(SALU_CYCLE_1)
	s_mov_b32 s0, exec_lo
	v_cmpx_gt_i32_e64 s8, v0
	s_cbranch_execnz .LBB145_189
.LBB145_174:
	s_or_b32 exec_lo, exec_lo, s0
	s_delay_alu instid0(SALU_CYCLE_1)
	s_mov_b32 s0, exec_lo
	v_cmpx_gt_i32_e64 s8, v0
	s_cbranch_execnz .LBB145_190
.LBB145_175:
	s_or_b32 exec_lo, exec_lo, s0
	s_delay_alu instid0(SALU_CYCLE_1)
	s_mov_b32 s0, exec_lo
	v_cmpx_gt_i32_e64 s8, v0
	s_cbranch_execnz .LBB145_191
.LBB145_176:
	s_or_b32 exec_lo, exec_lo, s0
	s_delay_alu instid0(SALU_CYCLE_1)
	s_mov_b32 s0, exec_lo
	v_cmpx_gt_i32_e64 s8, v0
	s_cbranch_execnz .LBB145_192
.LBB145_177:
	s_or_b32 exec_lo, exec_lo, s0
	s_delay_alu instid0(SALU_CYCLE_1)
	s_mov_b32 s0, exec_lo
	v_cmpx_gt_i32_e64 s8, v0
	s_cbranch_execnz .LBB145_193
.LBB145_178:
	s_or_b32 exec_lo, exec_lo, s0
	s_delay_alu instid0(SALU_CYCLE_1)
	s_mov_b32 s0, exec_lo
	v_cmpx_gt_i32_e64 s8, v0
	s_cbranch_execnz .LBB145_194
.LBB145_179:
	s_or_b32 exec_lo, exec_lo, s0
	s_delay_alu instid0(SALU_CYCLE_1)
	s_mov_b32 s0, exec_lo
	v_cmpx_gt_i32_e64 s8, v0
	s_cbranch_execz .LBB145_195
.LBB145_180:
	v_add_nc_u32_e32 v0, s2, v0
	global_store_b8 v0, v11, s[4:5]
	s_endpgm
.LBB145_181:
	v_add_nc_u32_e32 v1, s2, v0
	v_add_nc_u32_e32 v0, 0x100, v0
	global_store_b8 v1, v4, s[4:5]
	s_wait_xcnt 0x0
	s_or_b32 exec_lo, exec_lo, s0
	s_delay_alu instid0(SALU_CYCLE_1)
	s_mov_b32 s0, exec_lo
	v_cmpx_gt_i32_e64 s8, v0
	s_cbranch_execz .LBB145_167
.LBB145_182:
	v_add_nc_u32_e32 v1, s2, v0
	v_add_nc_u32_e32 v0, 0x100, v0
	global_store_b8 v1, v6, s[4:5]
	s_wait_xcnt 0x0
	s_or_b32 exec_lo, exec_lo, s0
	s_delay_alu instid0(SALU_CYCLE_1)
	s_mov_b32 s0, exec_lo
	v_cmpx_gt_i32_e64 s8, v0
	s_cbranch_execz .LBB145_168
.LBB145_183:
	v_add_nc_u32_e32 v1, s2, v0
	v_add_nc_u32_e32 v0, 0x100, v0
	global_store_b8 v1, v3, s[4:5]
	s_wait_xcnt 0x0
	s_or_b32 exec_lo, exec_lo, s0
	s_delay_alu instid0(SALU_CYCLE_1)
	s_mov_b32 s0, exec_lo
	v_cmpx_gt_i32_e64 s8, v0
	s_cbranch_execz .LBB145_169
.LBB145_184:
	v_add_nc_u32_e32 v1, s2, v0
	v_add_nc_u32_e32 v0, 0x100, v0
	global_store_b8 v1, v7, s[4:5]
	s_wait_xcnt 0x0
	s_or_b32 exec_lo, exec_lo, s0
	s_delay_alu instid0(SALU_CYCLE_1)
	s_mov_b32 s0, exec_lo
	v_cmpx_gt_i32_e64 s8, v0
	s_cbranch_execz .LBB145_170
.LBB145_185:
	v_add_nc_u32_e32 v1, s2, v0
	v_add_nc_u32_e32 v0, 0x100, v0
	global_store_b8 v1, v31, s[4:5]
	s_wait_xcnt 0x0
	s_or_b32 exec_lo, exec_lo, s0
	s_delay_alu instid0(SALU_CYCLE_1)
	s_mov_b32 s0, exec_lo
	v_cmpx_gt_i32_e64 s8, v0
	s_cbranch_execz .LBB145_171
.LBB145_186:
	v_add_nc_u32_e32 v1, s2, v0
	v_add_nc_u32_e32 v0, 0x100, v0
	global_store_b8 v1, v29, s[4:5]
	s_wait_xcnt 0x0
	s_or_b32 exec_lo, exec_lo, s0
	s_delay_alu instid0(SALU_CYCLE_1)
	s_mov_b32 s0, exec_lo
	v_cmpx_gt_i32_e64 s8, v0
	s_cbranch_execz .LBB145_172
.LBB145_187:
	v_add_nc_u32_e32 v1, s2, v0
	v_add_nc_u32_e32 v0, 0x100, v0
	global_store_b8 v1, v27, s[4:5]
	s_wait_xcnt 0x0
	s_or_b32 exec_lo, exec_lo, s0
	s_delay_alu instid0(SALU_CYCLE_1)
	s_mov_b32 s0, exec_lo
	v_cmpx_gt_i32_e64 s8, v0
	s_cbranch_execz .LBB145_173
.LBB145_188:
	v_add_nc_u32_e32 v1, s2, v0
	v_add_nc_u32_e32 v0, 0x100, v0
	global_store_b8 v1, v25, s[4:5]
	s_wait_xcnt 0x0
	s_or_b32 exec_lo, exec_lo, s0
	s_delay_alu instid0(SALU_CYCLE_1)
	s_mov_b32 s0, exec_lo
	v_cmpx_gt_i32_e64 s8, v0
	s_cbranch_execz .LBB145_174
.LBB145_189:
	v_add_nc_u32_e32 v1, s2, v0
	v_add_nc_u32_e32 v0, 0x100, v0
	global_store_b8 v1, v23, s[4:5]
	s_wait_xcnt 0x0
	s_or_b32 exec_lo, exec_lo, s0
	s_delay_alu instid0(SALU_CYCLE_1)
	s_mov_b32 s0, exec_lo
	v_cmpx_gt_i32_e64 s8, v0
	s_cbranch_execz .LBB145_175
.LBB145_190:
	v_add_nc_u32_e32 v1, s2, v0
	v_add_nc_u32_e32 v0, 0x100, v0
	global_store_b8 v1, v21, s[4:5]
	s_wait_xcnt 0x0
	s_or_b32 exec_lo, exec_lo, s0
	s_delay_alu instid0(SALU_CYCLE_1)
	s_mov_b32 s0, exec_lo
	v_cmpx_gt_i32_e64 s8, v0
	s_cbranch_execz .LBB145_176
.LBB145_191:
	v_add_nc_u32_e32 v1, s2, v0
	v_add_nc_u32_e32 v0, 0x100, v0
	global_store_b8 v1, v19, s[4:5]
	s_wait_xcnt 0x0
	s_or_b32 exec_lo, exec_lo, s0
	s_delay_alu instid0(SALU_CYCLE_1)
	s_mov_b32 s0, exec_lo
	v_cmpx_gt_i32_e64 s8, v0
	s_cbranch_execz .LBB145_177
.LBB145_192:
	v_add_nc_u32_e32 v1, s2, v0
	v_add_nc_u32_e32 v0, 0x100, v0
	global_store_b8 v1, v17, s[4:5]
	s_wait_xcnt 0x0
	s_or_b32 exec_lo, exec_lo, s0
	s_delay_alu instid0(SALU_CYCLE_1)
	s_mov_b32 s0, exec_lo
	v_cmpx_gt_i32_e64 s8, v0
	s_cbranch_execz .LBB145_178
.LBB145_193:
	v_add_nc_u32_e32 v1, s2, v0
	v_add_nc_u32_e32 v0, 0x100, v0
	global_store_b8 v1, v15, s[4:5]
	s_wait_xcnt 0x0
	s_or_b32 exec_lo, exec_lo, s0
	s_delay_alu instid0(SALU_CYCLE_1)
	s_mov_b32 s0, exec_lo
	v_cmpx_gt_i32_e64 s8, v0
	s_cbranch_execz .LBB145_179
.LBB145_194:
	v_add_nc_u32_e32 v1, s2, v0
	v_add_nc_u32_e32 v0, 0x100, v0
	global_store_b8 v1, v13, s[4:5]
	s_wait_xcnt 0x0
	s_or_b32 exec_lo, exec_lo, s0
	s_delay_alu instid0(SALU_CYCLE_1)
	s_mov_b32 s0, exec_lo
	v_cmpx_gt_i32_e64 s8, v0
	s_cbranch_execnz .LBB145_180
.LBB145_195:
	s_endpgm
.LBB145_196:
                                        ; implicit-def: $sgpr1
	s_branch .LBB145_3
.LBB145_197:
                                        ; implicit-def: $sgpr12
	s_branch .LBB145_6
.LBB145_198:
                                        ; implicit-def: $sgpr13
	s_branch .LBB145_9
.LBB145_199:
                                        ; implicit-def: $sgpr14
	s_branch .LBB145_12
.LBB145_200:
                                        ; implicit-def: $sgpr15
	s_branch .LBB145_15
.LBB145_201:
                                        ; implicit-def: $sgpr16
	s_branch .LBB145_18
.LBB145_202:
                                        ; implicit-def: $sgpr17
	s_branch .LBB145_21
.LBB145_203:
                                        ; implicit-def: $sgpr18
	s_branch .LBB145_24
.LBB145_204:
                                        ; implicit-def: $sgpr19
	s_branch .LBB145_27
.LBB145_205:
                                        ; implicit-def: $sgpr20
	s_branch .LBB145_30
.LBB145_206:
                                        ; implicit-def: $sgpr21
	s_branch .LBB145_33
.LBB145_207:
                                        ; implicit-def: $sgpr22
	s_branch .LBB145_36
.LBB145_208:
                                        ; implicit-def: $sgpr23
	s_branch .LBB145_39
.LBB145_209:
                                        ; implicit-def: $sgpr24
	s_branch .LBB145_42
.LBB145_210:
                                        ; implicit-def: $sgpr25
	s_branch .LBB145_45
.LBB145_211:
                                        ; implicit-def: $sgpr26
	s_branch .LBB145_48
.LBB145_212:
                                        ; implicit-def: $sgpr7
	s_branch .LBB145_86
.LBB145_213:
                                        ; implicit-def: $sgpr3
	s_branch .LBB145_91
.LBB145_214:
                                        ; implicit-def: $sgpr6
	s_branch .LBB145_96
.LBB145_215:
                                        ; implicit-def: $sgpr6
	s_branch .LBB145_101
.LBB145_216:
                                        ; implicit-def: $sgpr6
	s_branch .LBB145_106
.LBB145_217:
                                        ; implicit-def: $sgpr6
	s_branch .LBB145_111
.LBB145_218:
                                        ; implicit-def: $sgpr6
	s_branch .LBB145_116
.LBB145_219:
                                        ; implicit-def: $sgpr6
	s_branch .LBB145_121
.LBB145_220:
                                        ; implicit-def: $sgpr6
	s_branch .LBB145_126
.LBB145_221:
                                        ; implicit-def: $sgpr6
	s_branch .LBB145_131
.LBB145_222:
                                        ; implicit-def: $sgpr6
	s_branch .LBB145_136
.LBB145_223:
                                        ; implicit-def: $sgpr6
	s_branch .LBB145_141
.LBB145_224:
                                        ; implicit-def: $sgpr6
	s_branch .LBB145_146
.LBB145_225:
                                        ; implicit-def: $sgpr6
	s_branch .LBB145_151
.LBB145_226:
                                        ; implicit-def: $sgpr6
	s_branch .LBB145_156
.LBB145_227:
                                        ; implicit-def: $sgpr6
	s_branch .LBB145_161
	.section	.rodata,"a",@progbits
	.p2align	6, 0x0
	.amdhsa_kernel _ZN2at6native29vectorized_elementwise_kernelILi8ENS0_13BinaryFunctorIN3c107complexINS3_4HalfEEES6_bNS0_12_GLOBAL__N_116CompareEqFunctorIS6_EEEESt5arrayIPcLm3EEEEviT0_T1_
		.amdhsa_group_segment_fixed_size 0
		.amdhsa_private_segment_fixed_size 0
		.amdhsa_kernarg_size 32
		.amdhsa_user_sgpr_count 2
		.amdhsa_user_sgpr_dispatch_ptr 0
		.amdhsa_user_sgpr_queue_ptr 0
		.amdhsa_user_sgpr_kernarg_segment_ptr 1
		.amdhsa_user_sgpr_dispatch_id 0
		.amdhsa_user_sgpr_kernarg_preload_length 0
		.amdhsa_user_sgpr_kernarg_preload_offset 0
		.amdhsa_user_sgpr_private_segment_size 0
		.amdhsa_wavefront_size32 1
		.amdhsa_uses_dynamic_stack 0
		.amdhsa_enable_private_segment 0
		.amdhsa_system_sgpr_workgroup_id_x 1
		.amdhsa_system_sgpr_workgroup_id_y 0
		.amdhsa_system_sgpr_workgroup_id_z 0
		.amdhsa_system_sgpr_workgroup_info 0
		.amdhsa_system_vgpr_workitem_id 0
		.amdhsa_next_free_vgpr 39
		.amdhsa_next_free_sgpr 27
		.amdhsa_named_barrier_count 0
		.amdhsa_reserve_vcc 1
		.amdhsa_float_round_mode_32 0
		.amdhsa_float_round_mode_16_64 0
		.amdhsa_float_denorm_mode_32 3
		.amdhsa_float_denorm_mode_16_64 3
		.amdhsa_fp16_overflow 0
		.amdhsa_memory_ordered 1
		.amdhsa_forward_progress 1
		.amdhsa_inst_pref_size 56
		.amdhsa_round_robin_scheduling 0
		.amdhsa_exception_fp_ieee_invalid_op 0
		.amdhsa_exception_fp_denorm_src 0
		.amdhsa_exception_fp_ieee_div_zero 0
		.amdhsa_exception_fp_ieee_overflow 0
		.amdhsa_exception_fp_ieee_underflow 0
		.amdhsa_exception_fp_ieee_inexact 0
		.amdhsa_exception_int_div_zero 0
	.end_amdhsa_kernel
	.section	.text._ZN2at6native29vectorized_elementwise_kernelILi8ENS0_13BinaryFunctorIN3c107complexINS3_4HalfEEES6_bNS0_12_GLOBAL__N_116CompareEqFunctorIS6_EEEESt5arrayIPcLm3EEEEviT0_T1_,"axG",@progbits,_ZN2at6native29vectorized_elementwise_kernelILi8ENS0_13BinaryFunctorIN3c107complexINS3_4HalfEEES6_bNS0_12_GLOBAL__N_116CompareEqFunctorIS6_EEEESt5arrayIPcLm3EEEEviT0_T1_,comdat
.Lfunc_end145:
	.size	_ZN2at6native29vectorized_elementwise_kernelILi8ENS0_13BinaryFunctorIN3c107complexINS3_4HalfEEES6_bNS0_12_GLOBAL__N_116CompareEqFunctorIS6_EEEESt5arrayIPcLm3EEEEviT0_T1_, .Lfunc_end145-_ZN2at6native29vectorized_elementwise_kernelILi8ENS0_13BinaryFunctorIN3c107complexINS3_4HalfEEES6_bNS0_12_GLOBAL__N_116CompareEqFunctorIS6_EEEESt5arrayIPcLm3EEEEviT0_T1_
                                        ; -- End function
	.set _ZN2at6native29vectorized_elementwise_kernelILi8ENS0_13BinaryFunctorIN3c107complexINS3_4HalfEEES6_bNS0_12_GLOBAL__N_116CompareEqFunctorIS6_EEEESt5arrayIPcLm3EEEEviT0_T1_.num_vgpr, 39
	.set _ZN2at6native29vectorized_elementwise_kernelILi8ENS0_13BinaryFunctorIN3c107complexINS3_4HalfEEES6_bNS0_12_GLOBAL__N_116CompareEqFunctorIS6_EEEESt5arrayIPcLm3EEEEviT0_T1_.num_agpr, 0
	.set _ZN2at6native29vectorized_elementwise_kernelILi8ENS0_13BinaryFunctorIN3c107complexINS3_4HalfEEES6_bNS0_12_GLOBAL__N_116CompareEqFunctorIS6_EEEESt5arrayIPcLm3EEEEviT0_T1_.numbered_sgpr, 27
	.set _ZN2at6native29vectorized_elementwise_kernelILi8ENS0_13BinaryFunctorIN3c107complexINS3_4HalfEEES6_bNS0_12_GLOBAL__N_116CompareEqFunctorIS6_EEEESt5arrayIPcLm3EEEEviT0_T1_.num_named_barrier, 0
	.set _ZN2at6native29vectorized_elementwise_kernelILi8ENS0_13BinaryFunctorIN3c107complexINS3_4HalfEEES6_bNS0_12_GLOBAL__N_116CompareEqFunctorIS6_EEEESt5arrayIPcLm3EEEEviT0_T1_.private_seg_size, 0
	.set _ZN2at6native29vectorized_elementwise_kernelILi8ENS0_13BinaryFunctorIN3c107complexINS3_4HalfEEES6_bNS0_12_GLOBAL__N_116CompareEqFunctorIS6_EEEESt5arrayIPcLm3EEEEviT0_T1_.uses_vcc, 1
	.set _ZN2at6native29vectorized_elementwise_kernelILi8ENS0_13BinaryFunctorIN3c107complexINS3_4HalfEEES6_bNS0_12_GLOBAL__N_116CompareEqFunctorIS6_EEEESt5arrayIPcLm3EEEEviT0_T1_.uses_flat_scratch, 0
	.set _ZN2at6native29vectorized_elementwise_kernelILi8ENS0_13BinaryFunctorIN3c107complexINS3_4HalfEEES6_bNS0_12_GLOBAL__N_116CompareEqFunctorIS6_EEEESt5arrayIPcLm3EEEEviT0_T1_.has_dyn_sized_stack, 0
	.set _ZN2at6native29vectorized_elementwise_kernelILi8ENS0_13BinaryFunctorIN3c107complexINS3_4HalfEEES6_bNS0_12_GLOBAL__N_116CompareEqFunctorIS6_EEEESt5arrayIPcLm3EEEEviT0_T1_.has_recursion, 0
	.set _ZN2at6native29vectorized_elementwise_kernelILi8ENS0_13BinaryFunctorIN3c107complexINS3_4HalfEEES6_bNS0_12_GLOBAL__N_116CompareEqFunctorIS6_EEEESt5arrayIPcLm3EEEEviT0_T1_.has_indirect_call, 0
	.section	.AMDGPU.csdata,"",@progbits
; Kernel info:
; codeLenInByte = 7104
; TotalNumSgprs: 29
; NumVgprs: 39
; ScratchSize: 0
; MemoryBound: 1
; FloatMode: 240
; IeeeMode: 1
; LDSByteSize: 0 bytes/workgroup (compile time only)
; SGPRBlocks: 0
; VGPRBlocks: 2
; NumSGPRsForWavesPerEU: 29
; NumVGPRsForWavesPerEU: 39
; NamedBarCnt: 0
; Occupancy: 16
; WaveLimiterHint : 1
; COMPUTE_PGM_RSRC2:SCRATCH_EN: 0
; COMPUTE_PGM_RSRC2:USER_SGPR: 2
; COMPUTE_PGM_RSRC2:TRAP_HANDLER: 0
; COMPUTE_PGM_RSRC2:TGID_X_EN: 1
; COMPUTE_PGM_RSRC2:TGID_Y_EN: 0
; COMPUTE_PGM_RSRC2:TGID_Z_EN: 0
; COMPUTE_PGM_RSRC2:TIDIG_COMP_CNT: 0
	.section	.text._ZN2at6native29vectorized_elementwise_kernelILi4ENS0_13BinaryFunctorIN3c107complexINS3_4HalfEEES6_bNS0_12_GLOBAL__N_116CompareEqFunctorIS6_EEEESt5arrayIPcLm3EEEEviT0_T1_,"axG",@progbits,_ZN2at6native29vectorized_elementwise_kernelILi4ENS0_13BinaryFunctorIN3c107complexINS3_4HalfEEES6_bNS0_12_GLOBAL__N_116CompareEqFunctorIS6_EEEESt5arrayIPcLm3EEEEviT0_T1_,comdat
	.globl	_ZN2at6native29vectorized_elementwise_kernelILi4ENS0_13BinaryFunctorIN3c107complexINS3_4HalfEEES6_bNS0_12_GLOBAL__N_116CompareEqFunctorIS6_EEEESt5arrayIPcLm3EEEEviT0_T1_ ; -- Begin function _ZN2at6native29vectorized_elementwise_kernelILi4ENS0_13BinaryFunctorIN3c107complexINS3_4HalfEEES6_bNS0_12_GLOBAL__N_116CompareEqFunctorIS6_EEEESt5arrayIPcLm3EEEEviT0_T1_
	.p2align	8
	.type	_ZN2at6native29vectorized_elementwise_kernelILi4ENS0_13BinaryFunctorIN3c107complexINS3_4HalfEEES6_bNS0_12_GLOBAL__N_116CompareEqFunctorIS6_EEEESt5arrayIPcLm3EEEEviT0_T1_,@function
_ZN2at6native29vectorized_elementwise_kernelILi4ENS0_13BinaryFunctorIN3c107complexINS3_4HalfEEES6_bNS0_12_GLOBAL__N_116CompareEqFunctorIS6_EEEESt5arrayIPcLm3EEEEviT0_T1_: ; @_ZN2at6native29vectorized_elementwise_kernelILi4ENS0_13BinaryFunctorIN3c107complexINS3_4HalfEEES6_bNS0_12_GLOBAL__N_116CompareEqFunctorIS6_EEEESt5arrayIPcLm3EEEEviT0_T1_
; %bb.0:
	s_clause 0x2
	s_load_b64 s[8:9], s[0:1], 0x0
	s_load_b128 s[4:7], s[0:1], 0x8
	s_load_b64 s[10:11], s[0:1], 0x18
	s_wait_xcnt 0x0
	s_bfe_u32 s0, ttmp6, 0x4000c
	s_and_b32 s1, ttmp6, 15
	s_add_co_i32 s0, s0, 1
	s_getreg_b32 s2, hwreg(HW_REG_IB_STS2, 6, 4)
	s_mul_i32 s0, ttmp9, s0
	s_delay_alu instid0(SALU_CYCLE_1) | instskip(SKIP_2) | instid1(SALU_CYCLE_1)
	s_add_co_i32 s1, s1, s0
	s_cmp_eq_u32 s2, 0
	s_cselect_b32 s0, ttmp9, s1
	s_lshl_b32 s2, s0, 12
	s_mov_b32 s0, -1
	s_wait_kmcnt 0x0
	s_sub_co_i32 s8, s8, s2
	s_delay_alu instid0(SALU_CYCLE_1)
	s_cmp_gt_i32 s8, 0xfff
	s_cbranch_scc0 .LBB146_50
; %bb.1:
	s_ashr_i32 s3, s2, 31
	s_delay_alu instid0(SALU_CYCLE_1)
	s_lshl_b64 s[0:1], s[2:3], 2
	s_cmp_lg_u32 s9, 0
	s_add_nc_u64 s[12:13], s[6:7], s[0:1]
	s_add_nc_u64 s[0:1], s[10:11], s[0:1]
	s_clause 0x7
	global_load_b128 v[26:29], v0, s[12:13] scale_offset
	global_load_b128 v[30:33], v0, s[0:1] scale_offset
	global_load_b128 v[18:21], v0, s[12:13] offset:4096 scale_offset
	global_load_b128 v[10:13], v0, s[12:13] offset:8192 scale_offset
	;; [unrolled: 1-line block ×6, first 2 shown]
	s_wait_xcnt 0x3
	s_cselect_b32 s12, -1, 0
	s_delay_alu instid0(SALU_CYCLE_1)
	s_and_b32 vcc_lo, exec_lo, s12
	s_wait_loadcnt 0x7
	v_lshrrev_b32_e32 v1, 16, v26
	s_wait_loadcnt 0x6
	v_lshrrev_b32_e32 v34, 16, v30
	s_cbranch_vccz .LBB146_196
; %bb.2:
	v_cmp_neq_f16_e32 vcc_lo, v26, v30
	s_wait_xcnt 0x0
	s_delay_alu instid0(VALU_DEP_2)
	v_cmp_neq_f16_e64 s0, v1, v34
	s_or_b32 s1, vcc_lo, s0
	s_cbranch_execnz .LBB146_4
.LBB146_3:
	v_cmp_eq_f16_e32 vcc_lo, v26, v30
	v_cmp_eq_f16_e64 s0, v1, v34
	s_and_not1_b32 s1, s1, exec_lo
	s_and_b32 s0, vcc_lo, s0
	s_delay_alu instid0(SALU_CYCLE_1) | instskip(NEXT) | instid1(SALU_CYCLE_1)
	s_and_b32 s0, s0, exec_lo
	s_or_b32 s1, s1, s0
.LBB146_4:
	v_cndmask_b32_e64 v1, 0, 1, s12
	v_lshrrev_b32_e32 v26, 16, v27
	v_lshrrev_b32_e32 v30, 16, v31
	s_and_not1_b32 vcc_lo, exec_lo, s12
	s_cbranch_vccnz .LBB146_197
; %bb.5:
	v_cmp_neq_f16_e32 vcc_lo, v27, v31
	s_delay_alu instid0(VALU_DEP_2)
	v_cmp_neq_f16_e64 s0, v26, v30
	s_or_b32 s12, vcc_lo, s0
	s_cbranch_execnz .LBB146_7
.LBB146_6:
	v_cmp_eq_f16_e32 vcc_lo, v27, v31
	v_cmp_eq_f16_e64 s0, v26, v30
	s_and_not1_b32 s12, s12, exec_lo
	s_and_b32 s0, vcc_lo, s0
	s_delay_alu instid0(SALU_CYCLE_1) | instskip(NEXT) | instid1(SALU_CYCLE_1)
	s_and_b32 s0, s0, exec_lo
	s_or_b32 s12, s12, s0
.LBB146_7:
	v_cmp_ne_u32_e32 vcc_lo, 1, v1
	v_lshrrev_b32_e32 v26, 16, v28
	v_lshrrev_b32_e32 v27, 16, v32
	s_cbranch_vccnz .LBB146_198
; %bb.8:
	v_cmp_neq_f16_e32 vcc_lo, v28, v32
	s_delay_alu instid0(VALU_DEP_2)
	v_cmp_neq_f16_e64 s0, v26, v27
	s_or_b32 s13, vcc_lo, s0
	s_cbranch_execnz .LBB146_10
.LBB146_9:
	v_cmp_eq_f16_e32 vcc_lo, v28, v32
	s_delay_alu instid0(VALU_DEP_2) | instskip(SKIP_2) | instid1(SALU_CYCLE_1)
	v_cmp_eq_f16_e64 s0, v26, v27
	s_and_not1_b32 s13, s13, exec_lo
	s_and_b32 s0, vcc_lo, s0
	s_and_b32 s0, s0, exec_lo
	s_delay_alu instid0(SALU_CYCLE_1)
	s_or_b32 s13, s13, s0
.LBB146_10:
	v_cmp_ne_u32_e32 vcc_lo, 1, v1
	v_lshrrev_b32_e32 v26, 16, v29
	v_lshrrev_b32_e32 v27, 16, v33
	s_cbranch_vccnz .LBB146_199
; %bb.11:
	v_cmp_neq_f16_e32 vcc_lo, v29, v33
	s_delay_alu instid0(VALU_DEP_2)
	v_cmp_neq_f16_e64 s0, v26, v27
	s_or_b32 s14, vcc_lo, s0
	s_cbranch_execnz .LBB146_13
.LBB146_12:
	v_cmp_eq_f16_e32 vcc_lo, v29, v33
	s_delay_alu instid0(VALU_DEP_2) | instskip(SKIP_2) | instid1(SALU_CYCLE_1)
	v_cmp_eq_f16_e64 s0, v26, v27
	s_and_not1_b32 s14, s14, exec_lo
	s_and_b32 s0, vcc_lo, s0
	s_and_b32 s0, s0, exec_lo
	s_delay_alu instid0(SALU_CYCLE_1)
	s_or_b32 s14, s14, s0
.LBB146_13:
	v_cmp_ne_u32_e32 vcc_lo, 1, v1
	s_wait_loadcnt 0x5
	v_lshrrev_b32_e32 v26, 16, v18
	s_wait_loadcnt 0x2
	v_lshrrev_b32_e32 v27, 16, v22
	s_cbranch_vccnz .LBB146_200
; %bb.14:
	v_cmp_neq_f16_e32 vcc_lo, v18, v22
	s_delay_alu instid0(VALU_DEP_2)
	v_cmp_neq_f16_e64 s0, v26, v27
	s_or_b32 s15, vcc_lo, s0
	s_cbranch_execnz .LBB146_16
.LBB146_15:
	v_cmp_eq_f16_e32 vcc_lo, v18, v22
	s_delay_alu instid0(VALU_DEP_2) | instskip(SKIP_2) | instid1(SALU_CYCLE_1)
	v_cmp_eq_f16_e64 s0, v26, v27
	s_and_not1_b32 s15, s15, exec_lo
	s_and_b32 s0, vcc_lo, s0
	s_and_b32 s0, s0, exec_lo
	s_delay_alu instid0(SALU_CYCLE_1)
	s_or_b32 s15, s15, s0
.LBB146_16:
	v_cmp_ne_u32_e32 vcc_lo, 1, v1
	v_lshrrev_b32_e32 v18, 16, v19
	v_lshrrev_b32_e32 v22, 16, v23
	s_cbranch_vccnz .LBB146_201
; %bb.17:
	v_cmp_neq_f16_e32 vcc_lo, v19, v23
	s_delay_alu instid0(VALU_DEP_2)
	v_cmp_neq_f16_e64 s0, v18, v22
	s_or_b32 s16, vcc_lo, s0
	s_cbranch_execnz .LBB146_19
.LBB146_18:
	v_cmp_eq_f16_e32 vcc_lo, v19, v23
	s_delay_alu instid0(VALU_DEP_2) | instskip(SKIP_2) | instid1(SALU_CYCLE_1)
	v_cmp_eq_f16_e64 s0, v18, v22
	s_and_not1_b32 s16, s16, exec_lo
	s_and_b32 s0, vcc_lo, s0
	s_and_b32 s0, s0, exec_lo
	s_delay_alu instid0(SALU_CYCLE_1)
	s_or_b32 s16, s16, s0
.LBB146_19:
	v_cmp_ne_u32_e32 vcc_lo, 1, v1
	v_lshrrev_b32_e32 v18, 16, v20
	v_lshrrev_b32_e32 v19, 16, v24
	s_cbranch_vccnz .LBB146_202
; %bb.20:
	v_cmp_neq_f16_e32 vcc_lo, v20, v24
	s_delay_alu instid0(VALU_DEP_2)
	v_cmp_neq_f16_e64 s0, v18, v19
	s_or_b32 s17, vcc_lo, s0
	s_cbranch_execnz .LBB146_22
.LBB146_21:
	v_cmp_eq_f16_e32 vcc_lo, v20, v24
	s_delay_alu instid0(VALU_DEP_2) | instskip(SKIP_2) | instid1(SALU_CYCLE_1)
	v_cmp_eq_f16_e64 s0, v18, v19
	s_and_not1_b32 s17, s17, exec_lo
	s_and_b32 s0, vcc_lo, s0
	s_and_b32 s0, s0, exec_lo
	s_delay_alu instid0(SALU_CYCLE_1)
	s_or_b32 s17, s17, s0
.LBB146_22:
	v_cmp_ne_u32_e32 vcc_lo, 1, v1
	v_lshrrev_b32_e32 v18, 16, v21
	v_lshrrev_b32_e32 v19, 16, v25
	s_cbranch_vccnz .LBB146_203
; %bb.23:
	v_cmp_neq_f16_e32 vcc_lo, v21, v25
	s_delay_alu instid0(VALU_DEP_2)
	v_cmp_neq_f16_e64 s0, v18, v19
	s_or_b32 s18, vcc_lo, s0
	s_cbranch_execnz .LBB146_25
.LBB146_24:
	v_cmp_eq_f16_e32 vcc_lo, v21, v25
	s_delay_alu instid0(VALU_DEP_2) | instskip(SKIP_2) | instid1(SALU_CYCLE_1)
	v_cmp_eq_f16_e64 s0, v18, v19
	s_and_not1_b32 s18, s18, exec_lo
	s_and_b32 s0, vcc_lo, s0
	s_and_b32 s0, s0, exec_lo
	s_delay_alu instid0(SALU_CYCLE_1)
	s_or_b32 s18, s18, s0
.LBB146_25:
	v_cmp_ne_u32_e32 vcc_lo, 1, v1
	v_lshrrev_b32_e32 v18, 16, v10
	s_wait_loadcnt 0x1
	v_lshrrev_b32_e32 v19, 16, v14
	s_cbranch_vccnz .LBB146_204
; %bb.26:
	v_cmp_neq_f16_e32 vcc_lo, v10, v14
	s_delay_alu instid0(VALU_DEP_2)
	v_cmp_neq_f16_e64 s0, v18, v19
	s_or_b32 s19, vcc_lo, s0
	s_cbranch_execnz .LBB146_28
.LBB146_27:
	v_cmp_eq_f16_e32 vcc_lo, v10, v14
	s_delay_alu instid0(VALU_DEP_2) | instskip(SKIP_2) | instid1(SALU_CYCLE_1)
	v_cmp_eq_f16_e64 s0, v18, v19
	s_and_not1_b32 s19, s19, exec_lo
	s_and_b32 s0, vcc_lo, s0
	s_and_b32 s0, s0, exec_lo
	s_delay_alu instid0(SALU_CYCLE_1)
	s_or_b32 s19, s19, s0
.LBB146_28:
	v_cmp_ne_u32_e32 vcc_lo, 1, v1
	v_lshrrev_b32_e32 v10, 16, v11
	v_lshrrev_b32_e32 v14, 16, v15
	s_cbranch_vccnz .LBB146_205
; %bb.29:
	v_cmp_neq_f16_e32 vcc_lo, v11, v15
	s_delay_alu instid0(VALU_DEP_2)
	v_cmp_neq_f16_e64 s0, v10, v14
	s_or_b32 s20, vcc_lo, s0
	s_cbranch_execnz .LBB146_31
.LBB146_30:
	v_cmp_eq_f16_e32 vcc_lo, v11, v15
	s_delay_alu instid0(VALU_DEP_2) | instskip(SKIP_2) | instid1(SALU_CYCLE_1)
	v_cmp_eq_f16_e64 s0, v10, v14
	s_and_not1_b32 s20, s20, exec_lo
	s_and_b32 s0, vcc_lo, s0
	s_and_b32 s0, s0, exec_lo
	s_delay_alu instid0(SALU_CYCLE_1)
	s_or_b32 s20, s20, s0
.LBB146_31:
	v_cmp_ne_u32_e32 vcc_lo, 1, v1
	v_lshrrev_b32_e32 v10, 16, v12
	v_lshrrev_b32_e32 v11, 16, v16
	s_cbranch_vccnz .LBB146_206
; %bb.32:
	v_cmp_neq_f16_e32 vcc_lo, v12, v16
	s_delay_alu instid0(VALU_DEP_2)
	v_cmp_neq_f16_e64 s0, v10, v11
	s_or_b32 s21, vcc_lo, s0
	s_cbranch_execnz .LBB146_34
.LBB146_33:
	v_cmp_eq_f16_e32 vcc_lo, v12, v16
	s_delay_alu instid0(VALU_DEP_2) | instskip(SKIP_2) | instid1(SALU_CYCLE_1)
	v_cmp_eq_f16_e64 s0, v10, v11
	s_and_not1_b32 s21, s21, exec_lo
	s_and_b32 s0, vcc_lo, s0
	s_and_b32 s0, s0, exec_lo
	s_delay_alu instid0(SALU_CYCLE_1)
	s_or_b32 s21, s21, s0
.LBB146_34:
	v_cmp_ne_u32_e32 vcc_lo, 1, v1
	v_lshrrev_b32_e32 v10, 16, v13
	v_lshrrev_b32_e32 v11, 16, v17
	s_cbranch_vccnz .LBB146_207
; %bb.35:
	v_cmp_neq_f16_e32 vcc_lo, v13, v17
	s_delay_alu instid0(VALU_DEP_2)
	v_cmp_neq_f16_e64 s0, v10, v11
	s_or_b32 s22, vcc_lo, s0
	s_cbranch_execnz .LBB146_37
.LBB146_36:
	v_cmp_eq_f16_e32 vcc_lo, v13, v17
	s_delay_alu instid0(VALU_DEP_2) | instskip(SKIP_2) | instid1(SALU_CYCLE_1)
	v_cmp_eq_f16_e64 s0, v10, v11
	s_and_not1_b32 s22, s22, exec_lo
	s_and_b32 s0, vcc_lo, s0
	s_and_b32 s0, s0, exec_lo
	s_delay_alu instid0(SALU_CYCLE_1)
	s_or_b32 s22, s22, s0
.LBB146_37:
	v_cmp_ne_u32_e32 vcc_lo, 1, v1
	v_lshrrev_b32_e32 v10, 16, v2
	s_wait_loadcnt 0x0
	v_lshrrev_b32_e32 v11, 16, v6
	s_cbranch_vccnz .LBB146_208
; %bb.38:
	v_cmp_neq_f16_e32 vcc_lo, v2, v6
	s_delay_alu instid0(VALU_DEP_2)
	v_cmp_neq_f16_e64 s0, v10, v11
	s_or_b32 s23, vcc_lo, s0
	s_cbranch_execnz .LBB146_40
.LBB146_39:
	v_cmp_eq_f16_e32 vcc_lo, v2, v6
	s_delay_alu instid0(VALU_DEP_2) | instskip(SKIP_2) | instid1(SALU_CYCLE_1)
	v_cmp_eq_f16_e64 s0, v10, v11
	s_and_not1_b32 s23, s23, exec_lo
	s_and_b32 s0, vcc_lo, s0
	s_and_b32 s0, s0, exec_lo
	s_delay_alu instid0(SALU_CYCLE_1)
	s_or_b32 s23, s23, s0
.LBB146_40:
	v_cmp_ne_u32_e32 vcc_lo, 1, v1
	v_lshrrev_b32_e32 v2, 16, v3
	v_lshrrev_b32_e32 v6, 16, v7
	s_cbranch_vccnz .LBB146_209
; %bb.41:
	v_cmp_neq_f16_e32 vcc_lo, v3, v7
	s_delay_alu instid0(VALU_DEP_2)
	v_cmp_neq_f16_e64 s0, v2, v6
	s_or_b32 s24, vcc_lo, s0
	s_cbranch_execnz .LBB146_43
.LBB146_42:
	v_cmp_eq_f16_e32 vcc_lo, v3, v7
	s_delay_alu instid0(VALU_DEP_2) | instskip(SKIP_2) | instid1(SALU_CYCLE_1)
	v_cmp_eq_f16_e64 s0, v2, v6
	s_and_not1_b32 s24, s24, exec_lo
	s_and_b32 s0, vcc_lo, s0
	s_and_b32 s0, s0, exec_lo
	s_delay_alu instid0(SALU_CYCLE_1)
	s_or_b32 s24, s24, s0
.LBB146_43:
	v_cmp_ne_u32_e32 vcc_lo, 1, v1
	v_lshrrev_b32_e32 v2, 16, v4
	v_lshrrev_b32_e32 v3, 16, v8
	s_cbranch_vccnz .LBB146_210
; %bb.44:
	v_cmp_neq_f16_e32 vcc_lo, v4, v8
	s_delay_alu instid0(VALU_DEP_2)
	v_cmp_neq_f16_e64 s0, v2, v3
	s_or_b32 s25, vcc_lo, s0
	s_cbranch_execnz .LBB146_46
.LBB146_45:
	v_cmp_eq_f16_e32 vcc_lo, v4, v8
	s_delay_alu instid0(VALU_DEP_2) | instskip(SKIP_2) | instid1(SALU_CYCLE_1)
	v_cmp_eq_f16_e64 s0, v2, v3
	s_and_not1_b32 s25, s25, exec_lo
	s_and_b32 s0, vcc_lo, s0
	s_and_b32 s0, s0, exec_lo
	s_delay_alu instid0(SALU_CYCLE_1)
	s_or_b32 s25, s25, s0
.LBB146_46:
	v_cmp_ne_u32_e32 vcc_lo, 1, v1
	v_lshrrev_b32_e32 v1, 16, v5
	v_lshrrev_b32_e32 v2, 16, v9
	s_cbranch_vccnz .LBB146_211
; %bb.47:
	v_cmp_neq_f16_e32 vcc_lo, v5, v9
	s_delay_alu instid0(VALU_DEP_2)
	v_cmp_neq_f16_e64 s0, v1, v2
	s_or_b32 s26, vcc_lo, s0
	s_cbranch_execnz .LBB146_49
.LBB146_48:
	v_cmp_eq_f16_e32 vcc_lo, v5, v9
	s_delay_alu instid0(VALU_DEP_2) | instskip(SKIP_2) | instid1(SALU_CYCLE_1)
	v_cmp_eq_f16_e64 s0, v1, v2
	s_and_not1_b32 s26, s26, exec_lo
	s_and_b32 s0, vcc_lo, s0
	s_and_b32 s0, s0, exec_lo
	s_delay_alu instid0(SALU_CYCLE_1)
	s_or_b32 s26, s26, s0
.LBB146_49:
	v_cndmask_b32_e64 v1, 0, 0x100, s24
	v_cndmask_b32_e64 v2, 0, 1, s23
	;; [unrolled: 1-line block ×6, first 2 shown]
	v_or_b32_e32 v1, v1, v2
	v_cndmask_b32_e64 v10, 0, 0x1000000, s14
	v_or_b32_e32 v2, v3, v4
	v_cndmask_b32_e64 v3, 0, 0x100, s16
	v_cndmask_b32_e64 v4, 0, 1, s15
	v_or_b32_e32 v6, v6, v7
	v_cndmask_b32_e64 v7, 0, 0x10000, s13
	v_cndmask_b32_e64 v11, 0, 0x1000000, s18
	;; [unrolled: 1-line block ×3, first 2 shown]
	v_or_b32_e32 v3, v3, v4
	v_cndmask_b32_e64 v4, 0, 0x10000, s17
	v_cndmask_b32_e64 v9, 0, 0x1000000, s22
	;; [unrolled: 1-line block ×4, first 2 shown]
	v_or3_b32 v6, v6, v7, v10
	v_or3_b32 v3, v3, v4, v11
	;; [unrolled: 1-line block ×3, first 2 shown]
	s_add_nc_u64 s[12:13], s[4:5], s[2:3]
	v_or3_b32 v1, v1, v5, v12
	s_mov_b32 s0, 0
	s_clause 0x3
	global_store_b32 v0, v6, s[12:13] scale_offset
	global_store_b32 v0, v3, s[12:13] offset:1024 scale_offset
	global_store_b32 v0, v2, s[12:13] offset:2048 scale_offset
	;; [unrolled: 1-line block ×3, first 2 shown]
.LBB146_50:
	s_and_b32 vcc_lo, exec_lo, s0
	s_cbranch_vccz .LBB146_195
; %bb.51:
	v_cmp_gt_i32_e64 s0, s8, v0
	s_wait_xcnt 0x0
	v_dual_mov_b32 v10, 0 :: v_dual_bitop2_b32 v1, s2, v0 bitop3:0x54
	v_or_b32_e32 v8, 0x100, v0
	v_dual_mov_b32 v9, 0 :: v_dual_mov_b32 v12, 0
	v_dual_mov_b32 v11, 0 :: v_dual_mov_b32 v14, 0
	;; [unrolled: 1-line block ×15, first 2 shown]
	v_mov_b32_e32 v38, 0
	s_and_saveexec_b32 s1, s0
	s_cbranch_execz .LBB146_83
; %bb.52:
	s_clause 0x1
	global_load_b32 v37, v1, s[6:7] scale_offset
	global_load_b32 v38, v1, s[10:11] scale_offset
	v_or_b32_e32 v2, 0x100, v0
	v_dual_mov_b32 v36, 0 :: v_dual_mov_b32 v35, 0
	v_dual_mov_b32 v3, 0 :: v_dual_mov_b32 v34, 0
	s_delay_alu instid0(VALU_DEP_3)
	v_cmp_gt_u32_e32 vcc_lo, s8, v2
	v_dual_mov_b32 v7, 0 :: v_dual_mov_b32 v33, 0
	v_dual_mov_b32 v31, 0 :: v_dual_mov_b32 v32, 0
	;; [unrolled: 1-line block ×13, first 2 shown]
	s_wait_xcnt 0x0
	s_and_saveexec_b32 s3, vcc_lo
	s_cbranch_execz .LBB146_82
; %bb.53:
	v_dual_mov_b32 v3, 0 :: v_dual_add_nc_u32 v2, s2, v0
	v_or_b32_e32 v4, 0x200, v0
	v_dual_mov_b32 v34, 0 :: v_dual_mov_b32 v7, 0
	s_clause 0x1
	global_load_b32 v35, v2, s[6:7] offset:1024 scale_offset
	global_load_b32 v36, v2, s[10:11] offset:1024 scale_offset
	v_dual_mov_b32 v33, 0 :: v_dual_mov_b32 v31, 0
	v_cmp_gt_u32_e32 vcc_lo, s8, v4
	v_dual_mov_b32 v32, 0 :: v_dual_mov_b32 v29, 0
	v_dual_mov_b32 v30, 0 :: v_dual_mov_b32 v27, 0
	;; [unrolled: 1-line block ×11, first 2 shown]
	v_mov_b32_e32 v10, 0
	s_wait_xcnt 0x0
	s_and_saveexec_b32 s12, vcc_lo
	s_cbranch_execz .LBB146_81
; %bb.54:
	v_lshlrev_b64_e32 v[6:7], 2, v[2:3]
	v_or_b32_e32 v9, 0x300, v0
	v_dual_mov_b32 v33, 0 :: v_dual_mov_b32 v31, 0
	v_dual_mov_b32 v32, 0 :: v_dual_mov_b32 v29, 0
	s_delay_alu instid0(VALU_DEP_3)
	v_cmp_gt_u32_e32 vcc_lo, s8, v9
	v_add_nc_u64_e32 v[4:5], s[6:7], v[6:7]
	v_add_nc_u64_e32 v[6:7], s[10:11], v[6:7]
	v_dual_mov_b32 v30, 0 :: v_dual_mov_b32 v27, 0
	v_dual_mov_b32 v28, 0 :: v_dual_mov_b32 v25, 0
	;; [unrolled: 1-line block ×3, first 2 shown]
	global_load_b32 v34, v[4:5], off offset:2048
	global_load_b32 v2, v[6:7], off offset:2048
	v_dual_mov_b32 v24, 0 :: v_dual_mov_b32 v21, 0
	v_dual_mov_b32 v22, 0 :: v_dual_mov_b32 v19, 0
	;; [unrolled: 1-line block ×7, first 2 shown]
	v_mov_b32_e32 v10, 0
	s_wait_xcnt 0x0
	s_and_saveexec_b32 s6, vcc_lo
	s_cbranch_execz .LBB146_80
; %bb.55:
	global_load_b32 v33, v[4:5], off offset:3072
	global_load_b32 v3, v[6:7], off offset:3072
	v_or_b32_e32 v9, 0x400, v0
	v_dual_mov_b32 v31, 0 :: v_dual_mov_b32 v32, 0
	v_dual_mov_b32 v29, 0 :: v_dual_mov_b32 v30, 0
	s_delay_alu instid0(VALU_DEP_3)
	v_cmp_gt_u32_e32 vcc_lo, s8, v9
	v_dual_mov_b32 v27, 0 :: v_dual_mov_b32 v28, 0
	v_dual_mov_b32 v25, 0 :: v_dual_mov_b32 v26, 0
	v_dual_mov_b32 v23, 0 :: v_dual_mov_b32 v24, 0
	v_dual_mov_b32 v21, 0 :: v_dual_mov_b32 v22, 0
	v_dual_mov_b32 v19, 0 :: v_dual_mov_b32 v20, 0
	v_dual_mov_b32 v17, 0 :: v_dual_mov_b32 v18, 0
	v_dual_mov_b32 v15, 0 :: v_dual_mov_b32 v16, 0
	v_dual_mov_b32 v13, 0 :: v_dual_mov_b32 v14, 0
	v_dual_mov_b32 v11, 0 :: v_dual_mov_b32 v12, 0
	v_dual_mov_b32 v9, 0 :: v_dual_mov_b32 v10, 0
	s_wait_xcnt 0x0
	s_and_saveexec_b32 s7, vcc_lo
	s_cbranch_execz .LBB146_79
; %bb.56:
	global_load_b32 v32, v[4:5], off offset:4096
	global_load_b32 v31, v[6:7], off offset:4096
	v_or_b32_e32 v9, 0x500, v0
	v_dual_mov_b32 v29, 0 :: v_dual_mov_b32 v30, 0
	v_dual_mov_b32 v27, 0 :: v_dual_mov_b32 v28, 0
	s_delay_alu instid0(VALU_DEP_3)
	v_cmp_gt_u32_e32 vcc_lo, s8, v9
	v_dual_mov_b32 v25, 0 :: v_dual_mov_b32 v26, 0
	v_dual_mov_b32 v23, 0 :: v_dual_mov_b32 v24, 0
	;; [unrolled: 1-line block ×9, first 2 shown]
	s_wait_xcnt 0x0
	s_and_saveexec_b32 s10, vcc_lo
	s_cbranch_execz .LBB146_78
; %bb.57:
	global_load_b32 v30, v[4:5], off offset:5120
	global_load_b32 v29, v[6:7], off offset:5120
	v_or_b32_e32 v9, 0x600, v0
	v_dual_mov_b32 v27, 0 :: v_dual_mov_b32 v28, 0
	v_dual_mov_b32 v25, 0 :: v_dual_mov_b32 v26, 0
	s_delay_alu instid0(VALU_DEP_3)
	v_cmp_gt_u32_e32 vcc_lo, s8, v9
	v_dual_mov_b32 v23, 0 :: v_dual_mov_b32 v24, 0
	v_dual_mov_b32 v21, 0 :: v_dual_mov_b32 v22, 0
	;; [unrolled: 1-line block ×8, first 2 shown]
	s_wait_xcnt 0x0
	s_and_saveexec_b32 s11, vcc_lo
	s_cbranch_execz .LBB146_77
; %bb.58:
	global_load_b32 v28, v[4:5], off offset:6144
	global_load_b32 v27, v[6:7], off offset:6144
	v_or_b32_e32 v9, 0x700, v0
	v_dual_mov_b32 v25, 0 :: v_dual_mov_b32 v26, 0
	v_dual_mov_b32 v23, 0 :: v_dual_mov_b32 v24, 0
	s_delay_alu instid0(VALU_DEP_3)
	v_cmp_gt_u32_e32 vcc_lo, s8, v9
	v_dual_mov_b32 v21, 0 :: v_dual_mov_b32 v22, 0
	v_dual_mov_b32 v19, 0 :: v_dual_mov_b32 v20, 0
	v_dual_mov_b32 v17, 0 :: v_dual_mov_b32 v18, 0
	v_dual_mov_b32 v15, 0 :: v_dual_mov_b32 v16, 0
	v_dual_mov_b32 v13, 0 :: v_dual_mov_b32 v14, 0
	v_dual_mov_b32 v11, 0 :: v_dual_mov_b32 v12, 0
	v_dual_mov_b32 v9, 0 :: v_dual_mov_b32 v10, 0
	s_wait_xcnt 0x0
	s_and_saveexec_b32 s13, vcc_lo
	s_cbranch_execz .LBB146_76
; %bb.59:
	global_load_b32 v26, v[4:5], off offset:7168
	global_load_b32 v25, v[6:7], off offset:7168
	v_or_b32_e32 v9, 0x800, v0
	v_dual_mov_b32 v23, 0 :: v_dual_mov_b32 v24, 0
	v_dual_mov_b32 v21, 0 :: v_dual_mov_b32 v22, 0
	s_delay_alu instid0(VALU_DEP_3)
	v_cmp_gt_u32_e32 vcc_lo, s8, v9
	v_dual_mov_b32 v19, 0 :: v_dual_mov_b32 v20, 0
	v_dual_mov_b32 v17, 0 :: v_dual_mov_b32 v18, 0
	;; [unrolled: 1-line block ×6, first 2 shown]
	s_wait_xcnt 0x0
	s_and_saveexec_b32 s14, vcc_lo
	s_cbranch_execz .LBB146_75
; %bb.60:
	global_load_b32 v24, v[4:5], off offset:8192
	global_load_b32 v23, v[6:7], off offset:8192
	v_or_b32_e32 v9, 0x900, v0
	v_dual_mov_b32 v21, 0 :: v_dual_mov_b32 v22, 0
	v_dual_mov_b32 v19, 0 :: v_dual_mov_b32 v20, 0
	s_delay_alu instid0(VALU_DEP_3)
	v_cmp_gt_u32_e32 vcc_lo, s8, v9
	v_dual_mov_b32 v17, 0 :: v_dual_mov_b32 v18, 0
	v_dual_mov_b32 v15, 0 :: v_dual_mov_b32 v16, 0
	;; [unrolled: 1-line block ×5, first 2 shown]
	s_wait_xcnt 0x0
	s_and_saveexec_b32 s15, vcc_lo
	s_cbranch_execz .LBB146_74
; %bb.61:
	global_load_b32 v22, v[4:5], off offset:9216
	global_load_b32 v21, v[6:7], off offset:9216
	v_or_b32_e32 v9, 0xa00, v0
	v_dual_mov_b32 v19, 0 :: v_dual_mov_b32 v20, 0
	v_dual_mov_b32 v17, 0 :: v_dual_mov_b32 v18, 0
	s_delay_alu instid0(VALU_DEP_3)
	v_cmp_gt_u32_e32 vcc_lo, s8, v9
	v_dual_mov_b32 v15, 0 :: v_dual_mov_b32 v16, 0
	v_dual_mov_b32 v13, 0 :: v_dual_mov_b32 v14, 0
	;; [unrolled: 1-line block ×4, first 2 shown]
	s_wait_xcnt 0x0
	s_and_saveexec_b32 s16, vcc_lo
	s_cbranch_execz .LBB146_73
; %bb.62:
	global_load_b32 v20, v[4:5], off offset:10240
	global_load_b32 v19, v[6:7], off offset:10240
	v_or_b32_e32 v9, 0xb00, v0
	v_dual_mov_b32 v17, 0 :: v_dual_mov_b32 v18, 0
	v_dual_mov_b32 v15, 0 :: v_dual_mov_b32 v16, 0
	s_delay_alu instid0(VALU_DEP_3)
	v_cmp_gt_u32_e32 vcc_lo, s8, v9
	v_dual_mov_b32 v13, 0 :: v_dual_mov_b32 v14, 0
	v_dual_mov_b32 v11, 0 :: v_dual_mov_b32 v12, 0
	;; [unrolled: 1-line block ×3, first 2 shown]
	s_wait_xcnt 0x0
	s_and_saveexec_b32 s17, vcc_lo
	s_cbranch_execz .LBB146_72
; %bb.63:
	global_load_b32 v18, v[4:5], off offset:11264
	global_load_b32 v17, v[6:7], off offset:11264
	v_or_b32_e32 v9, 0xc00, v0
	v_dual_mov_b32 v15, 0 :: v_dual_mov_b32 v16, 0
	v_dual_mov_b32 v13, 0 :: v_dual_mov_b32 v14, 0
	s_delay_alu instid0(VALU_DEP_3)
	v_cmp_gt_u32_e32 vcc_lo, s8, v9
	v_dual_mov_b32 v11, 0 :: v_dual_mov_b32 v12, 0
	v_dual_mov_b32 v9, 0 :: v_dual_mov_b32 v10, 0
	s_wait_xcnt 0x0
	s_and_saveexec_b32 s18, vcc_lo
	s_cbranch_execz .LBB146_71
; %bb.64:
	global_load_b32 v16, v[4:5], off offset:12288
	global_load_b32 v15, v[6:7], off offset:12288
	v_or_b32_e32 v9, 0xd00, v0
	v_dual_mov_b32 v13, 0 :: v_dual_mov_b32 v14, 0
	v_dual_mov_b32 v11, 0 :: v_dual_mov_b32 v12, 0
	s_delay_alu instid0(VALU_DEP_3)
	v_cmp_gt_u32_e32 vcc_lo, s8, v9
	v_dual_mov_b32 v9, 0 :: v_dual_mov_b32 v10, 0
	s_wait_xcnt 0x0
	s_and_saveexec_b32 s19, vcc_lo
	s_cbranch_execz .LBB146_70
; %bb.65:
	global_load_b32 v14, v[4:5], off offset:13312
	global_load_b32 v13, v[6:7], off offset:13312
	v_or_b32_e32 v9, 0xe00, v0
	v_dual_mov_b32 v11, 0 :: v_dual_mov_b32 v12, 0
	v_mov_b32_e32 v10, 0
	s_delay_alu instid0(VALU_DEP_3)
	v_cmp_gt_u32_e32 vcc_lo, s8, v9
	v_mov_b32_e32 v9, 0
	s_wait_xcnt 0x0
	s_and_saveexec_b32 s20, vcc_lo
	s_cbranch_execz .LBB146_69
; %bb.66:
	global_load_b32 v12, v[4:5], off offset:14336
	global_load_b32 v11, v[6:7], off offset:14336
	v_or_b32_e32 v9, 0xf00, v0
	v_mov_b32_e32 v10, 0
	s_delay_alu instid0(VALU_DEP_2)
	v_cmp_gt_u32_e32 vcc_lo, s8, v9
	v_mov_b32_e32 v9, 0
	s_wait_xcnt 0x0
	s_and_saveexec_b32 s21, vcc_lo
	s_cbranch_execz .LBB146_68
; %bb.67:
	global_load_b32 v10, v[4:5], off offset:15360
	global_load_b32 v9, v[6:7], off offset:15360
.LBB146_68:
	s_wait_xcnt 0x0
	s_or_b32 exec_lo, exec_lo, s21
.LBB146_69:
	s_delay_alu instid0(SALU_CYCLE_1)
	s_or_b32 exec_lo, exec_lo, s20
.LBB146_70:
	s_delay_alu instid0(SALU_CYCLE_1)
	s_or_b32 exec_lo, exec_lo, s19
.LBB146_71:
	s_delay_alu instid0(SALU_CYCLE_1)
	s_or_b32 exec_lo, exec_lo, s18
.LBB146_72:
	s_delay_alu instid0(SALU_CYCLE_1)
	s_or_b32 exec_lo, exec_lo, s17
.LBB146_73:
	s_delay_alu instid0(SALU_CYCLE_1)
	s_or_b32 exec_lo, exec_lo, s16
.LBB146_74:
	s_delay_alu instid0(SALU_CYCLE_1)
	s_or_b32 exec_lo, exec_lo, s15
.LBB146_75:
	s_delay_alu instid0(SALU_CYCLE_1)
	s_or_b32 exec_lo, exec_lo, s14
.LBB146_76:
	s_delay_alu instid0(SALU_CYCLE_1)
	s_or_b32 exec_lo, exec_lo, s13
.LBB146_77:
	s_delay_alu instid0(SALU_CYCLE_1)
	s_or_b32 exec_lo, exec_lo, s11
.LBB146_78:
	s_delay_alu instid0(SALU_CYCLE_1)
	s_or_b32 exec_lo, exec_lo, s10
.LBB146_79:
	s_delay_alu instid0(SALU_CYCLE_1)
	s_or_b32 exec_lo, exec_lo, s7
.LBB146_80:
	s_delay_alu instid0(SALU_CYCLE_1)
	s_or_b32 exec_lo, exec_lo, s6
	s_wait_loadcnt 0x0
	v_dual_mov_b32 v7, v3 :: v_dual_mov_b32 v3, v2
.LBB146_81:
	s_or_b32 exec_lo, exec_lo, s12
.LBB146_82:
	s_delay_alu instid0(SALU_CYCLE_1)
	s_or_b32 exec_lo, exec_lo, s3
.LBB146_83:
	s_delay_alu instid0(SALU_CYCLE_1)
	s_or_b32 exec_lo, exec_lo, s1
	s_cmp_lg_u32 s9, 0
                                        ; implicit-def: $vgpr2
	s_cselect_b32 s3, -1, 0
	s_and_saveexec_b32 s6, s0
	s_cbranch_execz .LBB146_88
; %bb.84:
	s_wait_loadcnt 0x0
	v_dual_lshrrev_b32 v2, 16, v37 :: v_dual_lshrrev_b32 v4, 16, v38
	s_and_b32 vcc_lo, exec_lo, s3
	s_cbranch_vccz .LBB146_212
; %bb.85:
	v_cmp_neq_f16_e32 vcc_lo, v37, v38
	s_delay_alu instid0(VALU_DEP_2)
	v_cmp_neq_f16_e64 s1, v2, v4
	s_or_b32 s7, vcc_lo, s1
	s_cbranch_execnz .LBB146_87
.LBB146_86:
	v_cmp_eq_f16_e32 vcc_lo, v37, v38
	v_cmp_eq_f16_e64 s1, v2, v4
	s_and_not1_b32 s7, s7, exec_lo
	s_and_b32 s1, vcc_lo, s1
	s_delay_alu instid0(SALU_CYCLE_1) | instskip(NEXT) | instid1(SALU_CYCLE_1)
	s_and_b32 s1, s1, exec_lo
	s_or_b32 s7, s7, s1
.LBB146_87:
	s_delay_alu instid0(SALU_CYCLE_1)
	v_cndmask_b32_e64 v2, 0, 1, s7
.LBB146_88:
	s_or_b32 exec_lo, exec_lo, s6
	v_cndmask_b32_e64 v5, 0, 1, s3
	s_mov_b32 s6, exec_lo
                                        ; implicit-def: $vgpr4
	v_cmpx_gt_i32_e64 s8, v8
	s_cbranch_execz .LBB146_93
; %bb.89:
	s_wait_loadcnt 0x0
	v_dual_lshrrev_b32 v4, 16, v35 :: v_dual_lshrrev_b32 v6, 16, v36
	s_and_not1_b32 vcc_lo, exec_lo, s3
	s_cbranch_vccnz .LBB146_213
; %bb.90:
	v_cmp_neq_f16_e32 vcc_lo, v35, v36
	s_delay_alu instid0(VALU_DEP_2)
	v_cmp_neq_f16_e64 s1, v4, v6
	s_or_b32 s3, vcc_lo, s1
	s_cbranch_execnz .LBB146_92
.LBB146_91:
	v_cmp_eq_f16_e32 vcc_lo, v35, v36
	v_cmp_eq_f16_e64 s1, v4, v6
	s_and_not1_b32 s3, s3, exec_lo
	s_and_b32 s1, vcc_lo, s1
	s_delay_alu instid0(SALU_CYCLE_1) | instskip(NEXT) | instid1(SALU_CYCLE_1)
	s_and_b32 s1, s1, exec_lo
	s_or_b32 s3, s3, s1
.LBB146_92:
	s_delay_alu instid0(SALU_CYCLE_1)
	v_cndmask_b32_e64 v4, 0, 1, s3
.LBB146_93:
	s_or_b32 exec_lo, exec_lo, s6
	v_or_b32_e32 v6, 0x200, v0
	s_delay_alu instid0(VALU_DEP_1)
	v_cmp_gt_i32_e32 vcc_lo, s8, v6
                                        ; implicit-def: $vgpr6
	s_and_saveexec_b32 s3, vcc_lo
	s_cbranch_execz .LBB146_98
; %bb.94:
	v_cmp_ne_u32_e32 vcc_lo, 1, v5
	s_wait_loadcnt 0x1
	v_dual_lshrrev_b32 v6, 16, v34 :: v_dual_lshrrev_b32 v35, 16, v3
	s_cbranch_vccnz .LBB146_214
; %bb.95:
	v_cmp_neq_f16_e32 vcc_lo, v34, v3
	s_delay_alu instid0(VALU_DEP_2)
	v_cmp_neq_f16_e64 s1, v6, v35
	s_or_b32 s6, vcc_lo, s1
	s_cbranch_execnz .LBB146_97
.LBB146_96:
	v_cmp_eq_f16_e32 vcc_lo, v34, v3
	s_delay_alu instid0(VALU_DEP_2) | instskip(SKIP_2) | instid1(SALU_CYCLE_1)
	v_cmp_eq_f16_e64 s1, v6, v35
	s_and_not1_b32 s6, s6, exec_lo
	s_and_b32 s1, vcc_lo, s1
	s_and_b32 s1, s1, exec_lo
	s_delay_alu instid0(SALU_CYCLE_1)
	s_or_b32 s6, s6, s1
.LBB146_97:
	s_delay_alu instid0(SALU_CYCLE_1)
	v_cndmask_b32_e64 v6, 0, 1, s6
.LBB146_98:
	s_or_b32 exec_lo, exec_lo, s3
	v_or_b32_e32 v3, 0x300, v0
	s_delay_alu instid0(VALU_DEP_1)
	v_cmp_gt_i32_e32 vcc_lo, s8, v3
                                        ; implicit-def: $vgpr3
	s_and_saveexec_b32 s3, vcc_lo
	s_cbranch_execz .LBB146_103
; %bb.99:
	v_cmp_ne_u32_e32 vcc_lo, 1, v5
	v_dual_lshrrev_b32 v3, 16, v33 :: v_dual_lshrrev_b32 v34, 16, v7
	s_cbranch_vccnz .LBB146_215
; %bb.100:
	v_cmp_neq_f16_e32 vcc_lo, v33, v7
	s_delay_alu instid0(VALU_DEP_2)
	v_cmp_neq_f16_e64 s1, v3, v34
	s_or_b32 s6, vcc_lo, s1
	s_cbranch_execnz .LBB146_102
.LBB146_101:
	v_cmp_eq_f16_e32 vcc_lo, v33, v7
	s_delay_alu instid0(VALU_DEP_2) | instskip(SKIP_2) | instid1(SALU_CYCLE_1)
	v_cmp_eq_f16_e64 s1, v3, v34
	s_and_not1_b32 s6, s6, exec_lo
	s_and_b32 s1, vcc_lo, s1
	s_and_b32 s1, s1, exec_lo
	s_delay_alu instid0(SALU_CYCLE_1)
	s_or_b32 s6, s6, s1
.LBB146_102:
	s_delay_alu instid0(SALU_CYCLE_1)
	v_cndmask_b32_e64 v3, 0, 1, s6
.LBB146_103:
	s_or_b32 exec_lo, exec_lo, s3
	v_or_b32_e32 v7, 0x400, v0
	s_delay_alu instid0(VALU_DEP_1)
	v_cmp_gt_i32_e32 vcc_lo, s8, v7
                                        ; implicit-def: $vgpr7
	s_and_saveexec_b32 s3, vcc_lo
	s_cbranch_execz .LBB146_108
; %bb.104:
	v_cmp_ne_u32_e32 vcc_lo, 1, v5
	v_dual_lshrrev_b32 v7, 16, v32 :: v_dual_lshrrev_b32 v33, 16, v31
	s_cbranch_vccnz .LBB146_216
; %bb.105:
	v_cmp_neq_f16_e32 vcc_lo, v32, v31
	s_delay_alu instid0(VALU_DEP_2)
	v_cmp_neq_f16_e64 s1, v7, v33
	s_or_b32 s6, vcc_lo, s1
	s_cbranch_execnz .LBB146_107
.LBB146_106:
	v_cmp_eq_f16_e32 vcc_lo, v32, v31
	s_delay_alu instid0(VALU_DEP_2) | instskip(SKIP_2) | instid1(SALU_CYCLE_1)
	v_cmp_eq_f16_e64 s1, v7, v33
	s_and_not1_b32 s6, s6, exec_lo
	s_and_b32 s1, vcc_lo, s1
	s_and_b32 s1, s1, exec_lo
	s_delay_alu instid0(SALU_CYCLE_1)
	s_or_b32 s6, s6, s1
.LBB146_107:
	s_delay_alu instid0(SALU_CYCLE_1)
	v_cndmask_b32_e64 v7, 0, 1, s6
.LBB146_108:
	s_or_b32 exec_lo, exec_lo, s3
	v_or_b32_e32 v31, 0x500, v0
	s_delay_alu instid0(VALU_DEP_1)
	v_cmp_gt_i32_e32 vcc_lo, s8, v31
                                        ; implicit-def: $vgpr31
	s_and_saveexec_b32 s3, vcc_lo
	s_cbranch_execz .LBB146_113
; %bb.109:
	v_cmp_ne_u32_e32 vcc_lo, 1, v5
	v_dual_lshrrev_b32 v31, 16, v30 :: v_dual_lshrrev_b32 v32, 16, v29
	s_cbranch_vccnz .LBB146_217
; %bb.110:
	v_cmp_neq_f16_e32 vcc_lo, v30, v29
	s_delay_alu instid0(VALU_DEP_2)
	v_cmp_neq_f16_e64 s1, v31, v32
	s_or_b32 s6, vcc_lo, s1
	s_cbranch_execnz .LBB146_112
.LBB146_111:
	v_cmp_eq_f16_e32 vcc_lo, v30, v29
	s_delay_alu instid0(VALU_DEP_2) | instskip(SKIP_2) | instid1(SALU_CYCLE_1)
	v_cmp_eq_f16_e64 s1, v31, v32
	s_and_not1_b32 s6, s6, exec_lo
	s_and_b32 s1, vcc_lo, s1
	s_and_b32 s1, s1, exec_lo
	s_delay_alu instid0(SALU_CYCLE_1)
	s_or_b32 s6, s6, s1
.LBB146_112:
	s_delay_alu instid0(SALU_CYCLE_1)
	v_cndmask_b32_e64 v31, 0, 1, s6
.LBB146_113:
	s_or_b32 exec_lo, exec_lo, s3
	v_or_b32_e32 v29, 0x600, v0
	s_delay_alu instid0(VALU_DEP_1)
	v_cmp_gt_i32_e32 vcc_lo, s8, v29
                                        ; implicit-def: $vgpr29
	s_and_saveexec_b32 s3, vcc_lo
	s_cbranch_execz .LBB146_118
; %bb.114:
	v_cmp_ne_u32_e32 vcc_lo, 1, v5
	v_dual_lshrrev_b32 v29, 16, v28 :: v_dual_lshrrev_b32 v30, 16, v27
	s_cbranch_vccnz .LBB146_218
; %bb.115:
	v_cmp_neq_f16_e32 vcc_lo, v28, v27
	s_delay_alu instid0(VALU_DEP_2)
	v_cmp_neq_f16_e64 s1, v29, v30
	s_or_b32 s6, vcc_lo, s1
	s_cbranch_execnz .LBB146_117
.LBB146_116:
	v_cmp_eq_f16_e32 vcc_lo, v28, v27
	s_delay_alu instid0(VALU_DEP_2) | instskip(SKIP_2) | instid1(SALU_CYCLE_1)
	v_cmp_eq_f16_e64 s1, v29, v30
	s_and_not1_b32 s6, s6, exec_lo
	s_and_b32 s1, vcc_lo, s1
	s_and_b32 s1, s1, exec_lo
	s_delay_alu instid0(SALU_CYCLE_1)
	s_or_b32 s6, s6, s1
.LBB146_117:
	s_delay_alu instid0(SALU_CYCLE_1)
	v_cndmask_b32_e64 v29, 0, 1, s6
.LBB146_118:
	s_or_b32 exec_lo, exec_lo, s3
	v_or_b32_e32 v27, 0x700, v0
	s_delay_alu instid0(VALU_DEP_1)
	v_cmp_gt_i32_e32 vcc_lo, s8, v27
                                        ; implicit-def: $vgpr27
	s_and_saveexec_b32 s3, vcc_lo
	s_cbranch_execz .LBB146_123
; %bb.119:
	v_cmp_ne_u32_e32 vcc_lo, 1, v5
	v_dual_lshrrev_b32 v27, 16, v26 :: v_dual_lshrrev_b32 v28, 16, v25
	s_cbranch_vccnz .LBB146_219
; %bb.120:
	v_cmp_neq_f16_e32 vcc_lo, v26, v25
	s_delay_alu instid0(VALU_DEP_2)
	v_cmp_neq_f16_e64 s1, v27, v28
	s_or_b32 s6, vcc_lo, s1
	s_cbranch_execnz .LBB146_122
.LBB146_121:
	v_cmp_eq_f16_e32 vcc_lo, v26, v25
	s_delay_alu instid0(VALU_DEP_2) | instskip(SKIP_2) | instid1(SALU_CYCLE_1)
	v_cmp_eq_f16_e64 s1, v27, v28
	s_and_not1_b32 s6, s6, exec_lo
	s_and_b32 s1, vcc_lo, s1
	s_and_b32 s1, s1, exec_lo
	s_delay_alu instid0(SALU_CYCLE_1)
	s_or_b32 s6, s6, s1
.LBB146_122:
	s_delay_alu instid0(SALU_CYCLE_1)
	v_cndmask_b32_e64 v27, 0, 1, s6
.LBB146_123:
	s_or_b32 exec_lo, exec_lo, s3
	v_or_b32_e32 v25, 0x800, v0
	s_delay_alu instid0(VALU_DEP_1)
	v_cmp_gt_i32_e32 vcc_lo, s8, v25
                                        ; implicit-def: $vgpr25
	s_and_saveexec_b32 s3, vcc_lo
	s_cbranch_execz .LBB146_128
; %bb.124:
	v_cmp_ne_u32_e32 vcc_lo, 1, v5
	v_dual_lshrrev_b32 v25, 16, v24 :: v_dual_lshrrev_b32 v26, 16, v23
	s_cbranch_vccnz .LBB146_220
; %bb.125:
	v_cmp_neq_f16_e32 vcc_lo, v24, v23
	s_delay_alu instid0(VALU_DEP_2)
	v_cmp_neq_f16_e64 s1, v25, v26
	s_or_b32 s6, vcc_lo, s1
	s_cbranch_execnz .LBB146_127
.LBB146_126:
	v_cmp_eq_f16_e32 vcc_lo, v24, v23
	s_delay_alu instid0(VALU_DEP_2) | instskip(SKIP_2) | instid1(SALU_CYCLE_1)
	v_cmp_eq_f16_e64 s1, v25, v26
	s_and_not1_b32 s6, s6, exec_lo
	s_and_b32 s1, vcc_lo, s1
	s_and_b32 s1, s1, exec_lo
	s_delay_alu instid0(SALU_CYCLE_1)
	s_or_b32 s6, s6, s1
.LBB146_127:
	s_delay_alu instid0(SALU_CYCLE_1)
	v_cndmask_b32_e64 v25, 0, 1, s6
.LBB146_128:
	s_or_b32 exec_lo, exec_lo, s3
	v_or_b32_e32 v23, 0x900, v0
	s_delay_alu instid0(VALU_DEP_1)
	v_cmp_gt_i32_e32 vcc_lo, s8, v23
                                        ; implicit-def: $vgpr23
	s_and_saveexec_b32 s3, vcc_lo
	s_cbranch_execz .LBB146_133
; %bb.129:
	v_cmp_ne_u32_e32 vcc_lo, 1, v5
	v_dual_lshrrev_b32 v23, 16, v22 :: v_dual_lshrrev_b32 v24, 16, v21
	s_cbranch_vccnz .LBB146_221
; %bb.130:
	v_cmp_neq_f16_e32 vcc_lo, v22, v21
	s_delay_alu instid0(VALU_DEP_2)
	v_cmp_neq_f16_e64 s1, v23, v24
	s_or_b32 s6, vcc_lo, s1
	s_cbranch_execnz .LBB146_132
.LBB146_131:
	v_cmp_eq_f16_e32 vcc_lo, v22, v21
	s_delay_alu instid0(VALU_DEP_2) | instskip(SKIP_2) | instid1(SALU_CYCLE_1)
	v_cmp_eq_f16_e64 s1, v23, v24
	s_and_not1_b32 s6, s6, exec_lo
	s_and_b32 s1, vcc_lo, s1
	s_and_b32 s1, s1, exec_lo
	s_delay_alu instid0(SALU_CYCLE_1)
	s_or_b32 s6, s6, s1
.LBB146_132:
	s_delay_alu instid0(SALU_CYCLE_1)
	v_cndmask_b32_e64 v23, 0, 1, s6
.LBB146_133:
	s_or_b32 exec_lo, exec_lo, s3
	v_or_b32_e32 v21, 0xa00, v0
	s_delay_alu instid0(VALU_DEP_1)
	v_cmp_gt_i32_e32 vcc_lo, s8, v21
                                        ; implicit-def: $vgpr21
	s_and_saveexec_b32 s3, vcc_lo
	s_cbranch_execz .LBB146_138
; %bb.134:
	v_cmp_ne_u32_e32 vcc_lo, 1, v5
	v_dual_lshrrev_b32 v21, 16, v20 :: v_dual_lshrrev_b32 v22, 16, v19
	s_cbranch_vccnz .LBB146_222
; %bb.135:
	v_cmp_neq_f16_e32 vcc_lo, v20, v19
	s_delay_alu instid0(VALU_DEP_2)
	v_cmp_neq_f16_e64 s1, v21, v22
	s_or_b32 s6, vcc_lo, s1
	s_cbranch_execnz .LBB146_137
.LBB146_136:
	v_cmp_eq_f16_e32 vcc_lo, v20, v19
	s_delay_alu instid0(VALU_DEP_2) | instskip(SKIP_2) | instid1(SALU_CYCLE_1)
	v_cmp_eq_f16_e64 s1, v21, v22
	s_and_not1_b32 s6, s6, exec_lo
	s_and_b32 s1, vcc_lo, s1
	s_and_b32 s1, s1, exec_lo
	s_delay_alu instid0(SALU_CYCLE_1)
	s_or_b32 s6, s6, s1
.LBB146_137:
	s_delay_alu instid0(SALU_CYCLE_1)
	v_cndmask_b32_e64 v21, 0, 1, s6
.LBB146_138:
	s_or_b32 exec_lo, exec_lo, s3
	v_or_b32_e32 v19, 0xb00, v0
	s_delay_alu instid0(VALU_DEP_1)
	v_cmp_gt_i32_e32 vcc_lo, s8, v19
                                        ; implicit-def: $vgpr19
	s_and_saveexec_b32 s3, vcc_lo
	s_cbranch_execz .LBB146_143
; %bb.139:
	v_cmp_ne_u32_e32 vcc_lo, 1, v5
	v_dual_lshrrev_b32 v19, 16, v18 :: v_dual_lshrrev_b32 v20, 16, v17
	s_cbranch_vccnz .LBB146_223
; %bb.140:
	v_cmp_neq_f16_e32 vcc_lo, v18, v17
	s_delay_alu instid0(VALU_DEP_2)
	v_cmp_neq_f16_e64 s1, v19, v20
	s_or_b32 s6, vcc_lo, s1
	s_cbranch_execnz .LBB146_142
.LBB146_141:
	v_cmp_eq_f16_e32 vcc_lo, v18, v17
	s_delay_alu instid0(VALU_DEP_2) | instskip(SKIP_2) | instid1(SALU_CYCLE_1)
	v_cmp_eq_f16_e64 s1, v19, v20
	s_and_not1_b32 s6, s6, exec_lo
	s_and_b32 s1, vcc_lo, s1
	s_and_b32 s1, s1, exec_lo
	s_delay_alu instid0(SALU_CYCLE_1)
	s_or_b32 s6, s6, s1
.LBB146_142:
	s_delay_alu instid0(SALU_CYCLE_1)
	v_cndmask_b32_e64 v19, 0, 1, s6
.LBB146_143:
	s_or_b32 exec_lo, exec_lo, s3
	v_or_b32_e32 v17, 0xc00, v0
	s_delay_alu instid0(VALU_DEP_1)
	v_cmp_gt_i32_e32 vcc_lo, s8, v17
                                        ; implicit-def: $vgpr17
	s_and_saveexec_b32 s3, vcc_lo
	s_cbranch_execz .LBB146_148
; %bb.144:
	v_cmp_ne_u32_e32 vcc_lo, 1, v5
	v_dual_lshrrev_b32 v17, 16, v16 :: v_dual_lshrrev_b32 v18, 16, v15
	s_cbranch_vccnz .LBB146_224
; %bb.145:
	v_cmp_neq_f16_e32 vcc_lo, v16, v15
	s_delay_alu instid0(VALU_DEP_2)
	v_cmp_neq_f16_e64 s1, v17, v18
	s_or_b32 s6, vcc_lo, s1
	s_cbranch_execnz .LBB146_147
.LBB146_146:
	v_cmp_eq_f16_e32 vcc_lo, v16, v15
	s_delay_alu instid0(VALU_DEP_2) | instskip(SKIP_2) | instid1(SALU_CYCLE_1)
	v_cmp_eq_f16_e64 s1, v17, v18
	s_and_not1_b32 s6, s6, exec_lo
	s_and_b32 s1, vcc_lo, s1
	s_and_b32 s1, s1, exec_lo
	s_delay_alu instid0(SALU_CYCLE_1)
	s_or_b32 s6, s6, s1
.LBB146_147:
	s_delay_alu instid0(SALU_CYCLE_1)
	v_cndmask_b32_e64 v17, 0, 1, s6
.LBB146_148:
	s_or_b32 exec_lo, exec_lo, s3
	v_or_b32_e32 v15, 0xd00, v0
	s_delay_alu instid0(VALU_DEP_1)
	v_cmp_gt_i32_e32 vcc_lo, s8, v15
                                        ; implicit-def: $vgpr15
	s_and_saveexec_b32 s3, vcc_lo
	s_cbranch_execz .LBB146_153
; %bb.149:
	v_cmp_ne_u32_e32 vcc_lo, 1, v5
	v_dual_lshrrev_b32 v15, 16, v14 :: v_dual_lshrrev_b32 v16, 16, v13
	s_cbranch_vccnz .LBB146_225
; %bb.150:
	v_cmp_neq_f16_e32 vcc_lo, v14, v13
	s_delay_alu instid0(VALU_DEP_2)
	v_cmp_neq_f16_e64 s1, v15, v16
	s_or_b32 s6, vcc_lo, s1
	s_cbranch_execnz .LBB146_152
.LBB146_151:
	v_cmp_eq_f16_e32 vcc_lo, v14, v13
	s_delay_alu instid0(VALU_DEP_2) | instskip(SKIP_2) | instid1(SALU_CYCLE_1)
	v_cmp_eq_f16_e64 s1, v15, v16
	s_and_not1_b32 s6, s6, exec_lo
	s_and_b32 s1, vcc_lo, s1
	s_and_b32 s1, s1, exec_lo
	s_delay_alu instid0(SALU_CYCLE_1)
	s_or_b32 s6, s6, s1
.LBB146_152:
	s_delay_alu instid0(SALU_CYCLE_1)
	v_cndmask_b32_e64 v15, 0, 1, s6
.LBB146_153:
	s_or_b32 exec_lo, exec_lo, s3
	v_or_b32_e32 v13, 0xe00, v0
	s_delay_alu instid0(VALU_DEP_1)
	v_cmp_gt_i32_e32 vcc_lo, s8, v13
                                        ; implicit-def: $vgpr13
	s_and_saveexec_b32 s3, vcc_lo
	s_cbranch_execz .LBB146_158
; %bb.154:
	v_cmp_ne_u32_e32 vcc_lo, 1, v5
	v_dual_lshrrev_b32 v13, 16, v12 :: v_dual_lshrrev_b32 v14, 16, v11
	s_cbranch_vccnz .LBB146_226
; %bb.155:
	v_cmp_neq_f16_e32 vcc_lo, v12, v11
	s_delay_alu instid0(VALU_DEP_2)
	v_cmp_neq_f16_e64 s1, v13, v14
	s_or_b32 s6, vcc_lo, s1
	s_cbranch_execnz .LBB146_157
.LBB146_156:
	v_cmp_eq_f16_e32 vcc_lo, v12, v11
	s_delay_alu instid0(VALU_DEP_2) | instskip(SKIP_2) | instid1(SALU_CYCLE_1)
	v_cmp_eq_f16_e64 s1, v13, v14
	s_and_not1_b32 s6, s6, exec_lo
	s_and_b32 s1, vcc_lo, s1
	s_and_b32 s1, s1, exec_lo
	s_delay_alu instid0(SALU_CYCLE_1)
	s_or_b32 s6, s6, s1
.LBB146_157:
	s_delay_alu instid0(SALU_CYCLE_1)
	v_cndmask_b32_e64 v13, 0, 1, s6
.LBB146_158:
	s_or_b32 exec_lo, exec_lo, s3
	v_or_b32_e32 v11, 0xf00, v0
	s_delay_alu instid0(VALU_DEP_1)
	v_cmp_gt_i32_e32 vcc_lo, s8, v11
                                        ; implicit-def: $vgpr11
	s_and_saveexec_b32 s3, vcc_lo
	s_cbranch_execz .LBB146_163
; %bb.159:
	v_cmp_ne_u32_e32 vcc_lo, 1, v5
	v_dual_lshrrev_b32 v5, 16, v10 :: v_dual_lshrrev_b32 v11, 16, v9
	s_cbranch_vccnz .LBB146_227
; %bb.160:
	v_cmp_neq_f16_e32 vcc_lo, v10, v9
	s_delay_alu instid0(VALU_DEP_2)
	v_cmp_neq_f16_e64 s1, v5, v11
	s_or_b32 s6, vcc_lo, s1
	s_cbranch_execnz .LBB146_162
.LBB146_161:
	v_cmp_eq_f16_e32 vcc_lo, v10, v9
	s_delay_alu instid0(VALU_DEP_2) | instskip(SKIP_2) | instid1(SALU_CYCLE_1)
	v_cmp_eq_f16_e64 s1, v5, v11
	s_and_not1_b32 s6, s6, exec_lo
	s_and_b32 s1, vcc_lo, s1
	s_and_b32 s1, s1, exec_lo
	s_delay_alu instid0(SALU_CYCLE_1)
	s_or_b32 s6, s6, s1
.LBB146_162:
	s_delay_alu instid0(SALU_CYCLE_1)
	v_cndmask_b32_e64 v11, 0, 1, s6
.LBB146_163:
	s_or_b32 exec_lo, exec_lo, s3
	s_and_saveexec_b32 s1, s0
	s_delay_alu instid0(SALU_CYCLE_1)
	s_xor_b32 s0, exec_lo, s1
	s_cbranch_execz .LBB146_165
; %bb.164:
	v_mov_b32_e32 v0, v8
	global_store_b8 v1, v2, s[4:5]
.LBB146_165:
	s_wait_xcnt 0x0
	s_or_b32 exec_lo, exec_lo, s0
	s_delay_alu instid0(SALU_CYCLE_1)
	s_mov_b32 s0, exec_lo
	v_cmpx_gt_i32_e64 s8, v0
	s_cbranch_execnz .LBB146_181
; %bb.166:
	s_or_b32 exec_lo, exec_lo, s0
	s_delay_alu instid0(SALU_CYCLE_1)
	s_mov_b32 s0, exec_lo
	v_cmpx_gt_i32_e64 s8, v0
	s_cbranch_execnz .LBB146_182
.LBB146_167:
	s_or_b32 exec_lo, exec_lo, s0
	s_delay_alu instid0(SALU_CYCLE_1)
	s_mov_b32 s0, exec_lo
	v_cmpx_gt_i32_e64 s8, v0
	s_cbranch_execnz .LBB146_183
.LBB146_168:
	s_or_b32 exec_lo, exec_lo, s0
	s_delay_alu instid0(SALU_CYCLE_1)
	s_mov_b32 s0, exec_lo
	v_cmpx_gt_i32_e64 s8, v0
	s_cbranch_execnz .LBB146_184
.LBB146_169:
	s_or_b32 exec_lo, exec_lo, s0
	s_delay_alu instid0(SALU_CYCLE_1)
	s_mov_b32 s0, exec_lo
	v_cmpx_gt_i32_e64 s8, v0
	s_cbranch_execnz .LBB146_185
.LBB146_170:
	s_or_b32 exec_lo, exec_lo, s0
	s_delay_alu instid0(SALU_CYCLE_1)
	s_mov_b32 s0, exec_lo
	v_cmpx_gt_i32_e64 s8, v0
	s_cbranch_execnz .LBB146_186
.LBB146_171:
	s_or_b32 exec_lo, exec_lo, s0
	s_delay_alu instid0(SALU_CYCLE_1)
	s_mov_b32 s0, exec_lo
	v_cmpx_gt_i32_e64 s8, v0
	s_cbranch_execnz .LBB146_187
.LBB146_172:
	s_or_b32 exec_lo, exec_lo, s0
	s_delay_alu instid0(SALU_CYCLE_1)
	s_mov_b32 s0, exec_lo
	v_cmpx_gt_i32_e64 s8, v0
	s_cbranch_execnz .LBB146_188
.LBB146_173:
	s_or_b32 exec_lo, exec_lo, s0
	s_delay_alu instid0(SALU_CYCLE_1)
	s_mov_b32 s0, exec_lo
	v_cmpx_gt_i32_e64 s8, v0
	s_cbranch_execnz .LBB146_189
.LBB146_174:
	s_or_b32 exec_lo, exec_lo, s0
	s_delay_alu instid0(SALU_CYCLE_1)
	s_mov_b32 s0, exec_lo
	v_cmpx_gt_i32_e64 s8, v0
	s_cbranch_execnz .LBB146_190
.LBB146_175:
	s_or_b32 exec_lo, exec_lo, s0
	s_delay_alu instid0(SALU_CYCLE_1)
	s_mov_b32 s0, exec_lo
	v_cmpx_gt_i32_e64 s8, v0
	s_cbranch_execnz .LBB146_191
.LBB146_176:
	s_or_b32 exec_lo, exec_lo, s0
	s_delay_alu instid0(SALU_CYCLE_1)
	s_mov_b32 s0, exec_lo
	v_cmpx_gt_i32_e64 s8, v0
	s_cbranch_execnz .LBB146_192
.LBB146_177:
	s_or_b32 exec_lo, exec_lo, s0
	s_delay_alu instid0(SALU_CYCLE_1)
	s_mov_b32 s0, exec_lo
	v_cmpx_gt_i32_e64 s8, v0
	s_cbranch_execnz .LBB146_193
.LBB146_178:
	s_or_b32 exec_lo, exec_lo, s0
	s_delay_alu instid0(SALU_CYCLE_1)
	s_mov_b32 s0, exec_lo
	v_cmpx_gt_i32_e64 s8, v0
	s_cbranch_execnz .LBB146_194
.LBB146_179:
	s_or_b32 exec_lo, exec_lo, s0
	s_delay_alu instid0(SALU_CYCLE_1)
	s_mov_b32 s0, exec_lo
	v_cmpx_gt_i32_e64 s8, v0
	s_cbranch_execz .LBB146_195
.LBB146_180:
	v_add_nc_u32_e32 v0, s2, v0
	global_store_b8 v0, v11, s[4:5]
	s_endpgm
.LBB146_181:
	v_add_nc_u32_e32 v1, s2, v0
	v_add_nc_u32_e32 v0, 0x100, v0
	global_store_b8 v1, v4, s[4:5]
	s_wait_xcnt 0x0
	s_or_b32 exec_lo, exec_lo, s0
	s_delay_alu instid0(SALU_CYCLE_1)
	s_mov_b32 s0, exec_lo
	v_cmpx_gt_i32_e64 s8, v0
	s_cbranch_execz .LBB146_167
.LBB146_182:
	v_add_nc_u32_e32 v1, s2, v0
	v_add_nc_u32_e32 v0, 0x100, v0
	global_store_b8 v1, v6, s[4:5]
	s_wait_xcnt 0x0
	s_or_b32 exec_lo, exec_lo, s0
	s_delay_alu instid0(SALU_CYCLE_1)
	s_mov_b32 s0, exec_lo
	v_cmpx_gt_i32_e64 s8, v0
	s_cbranch_execz .LBB146_168
.LBB146_183:
	v_add_nc_u32_e32 v1, s2, v0
	v_add_nc_u32_e32 v0, 0x100, v0
	global_store_b8 v1, v3, s[4:5]
	s_wait_xcnt 0x0
	s_or_b32 exec_lo, exec_lo, s0
	s_delay_alu instid0(SALU_CYCLE_1)
	s_mov_b32 s0, exec_lo
	v_cmpx_gt_i32_e64 s8, v0
	s_cbranch_execz .LBB146_169
.LBB146_184:
	v_add_nc_u32_e32 v1, s2, v0
	v_add_nc_u32_e32 v0, 0x100, v0
	global_store_b8 v1, v7, s[4:5]
	s_wait_xcnt 0x0
	s_or_b32 exec_lo, exec_lo, s0
	s_delay_alu instid0(SALU_CYCLE_1)
	s_mov_b32 s0, exec_lo
	v_cmpx_gt_i32_e64 s8, v0
	s_cbranch_execz .LBB146_170
.LBB146_185:
	v_add_nc_u32_e32 v1, s2, v0
	v_add_nc_u32_e32 v0, 0x100, v0
	global_store_b8 v1, v31, s[4:5]
	s_wait_xcnt 0x0
	s_or_b32 exec_lo, exec_lo, s0
	s_delay_alu instid0(SALU_CYCLE_1)
	s_mov_b32 s0, exec_lo
	v_cmpx_gt_i32_e64 s8, v0
	s_cbranch_execz .LBB146_171
.LBB146_186:
	v_add_nc_u32_e32 v1, s2, v0
	v_add_nc_u32_e32 v0, 0x100, v0
	global_store_b8 v1, v29, s[4:5]
	s_wait_xcnt 0x0
	s_or_b32 exec_lo, exec_lo, s0
	s_delay_alu instid0(SALU_CYCLE_1)
	s_mov_b32 s0, exec_lo
	v_cmpx_gt_i32_e64 s8, v0
	s_cbranch_execz .LBB146_172
.LBB146_187:
	v_add_nc_u32_e32 v1, s2, v0
	v_add_nc_u32_e32 v0, 0x100, v0
	global_store_b8 v1, v27, s[4:5]
	s_wait_xcnt 0x0
	s_or_b32 exec_lo, exec_lo, s0
	s_delay_alu instid0(SALU_CYCLE_1)
	s_mov_b32 s0, exec_lo
	v_cmpx_gt_i32_e64 s8, v0
	s_cbranch_execz .LBB146_173
.LBB146_188:
	v_add_nc_u32_e32 v1, s2, v0
	v_add_nc_u32_e32 v0, 0x100, v0
	global_store_b8 v1, v25, s[4:5]
	s_wait_xcnt 0x0
	s_or_b32 exec_lo, exec_lo, s0
	s_delay_alu instid0(SALU_CYCLE_1)
	s_mov_b32 s0, exec_lo
	v_cmpx_gt_i32_e64 s8, v0
	s_cbranch_execz .LBB146_174
.LBB146_189:
	v_add_nc_u32_e32 v1, s2, v0
	v_add_nc_u32_e32 v0, 0x100, v0
	global_store_b8 v1, v23, s[4:5]
	s_wait_xcnt 0x0
	s_or_b32 exec_lo, exec_lo, s0
	s_delay_alu instid0(SALU_CYCLE_1)
	s_mov_b32 s0, exec_lo
	v_cmpx_gt_i32_e64 s8, v0
	s_cbranch_execz .LBB146_175
.LBB146_190:
	v_add_nc_u32_e32 v1, s2, v0
	v_add_nc_u32_e32 v0, 0x100, v0
	global_store_b8 v1, v21, s[4:5]
	s_wait_xcnt 0x0
	s_or_b32 exec_lo, exec_lo, s0
	s_delay_alu instid0(SALU_CYCLE_1)
	s_mov_b32 s0, exec_lo
	v_cmpx_gt_i32_e64 s8, v0
	s_cbranch_execz .LBB146_176
.LBB146_191:
	v_add_nc_u32_e32 v1, s2, v0
	v_add_nc_u32_e32 v0, 0x100, v0
	global_store_b8 v1, v19, s[4:5]
	s_wait_xcnt 0x0
	s_or_b32 exec_lo, exec_lo, s0
	s_delay_alu instid0(SALU_CYCLE_1)
	s_mov_b32 s0, exec_lo
	v_cmpx_gt_i32_e64 s8, v0
	s_cbranch_execz .LBB146_177
.LBB146_192:
	v_add_nc_u32_e32 v1, s2, v0
	v_add_nc_u32_e32 v0, 0x100, v0
	global_store_b8 v1, v17, s[4:5]
	s_wait_xcnt 0x0
	s_or_b32 exec_lo, exec_lo, s0
	s_delay_alu instid0(SALU_CYCLE_1)
	s_mov_b32 s0, exec_lo
	v_cmpx_gt_i32_e64 s8, v0
	s_cbranch_execz .LBB146_178
.LBB146_193:
	v_add_nc_u32_e32 v1, s2, v0
	v_add_nc_u32_e32 v0, 0x100, v0
	global_store_b8 v1, v15, s[4:5]
	s_wait_xcnt 0x0
	s_or_b32 exec_lo, exec_lo, s0
	s_delay_alu instid0(SALU_CYCLE_1)
	s_mov_b32 s0, exec_lo
	v_cmpx_gt_i32_e64 s8, v0
	s_cbranch_execz .LBB146_179
.LBB146_194:
	v_add_nc_u32_e32 v1, s2, v0
	v_add_nc_u32_e32 v0, 0x100, v0
	global_store_b8 v1, v13, s[4:5]
	s_wait_xcnt 0x0
	s_or_b32 exec_lo, exec_lo, s0
	s_delay_alu instid0(SALU_CYCLE_1)
	s_mov_b32 s0, exec_lo
	v_cmpx_gt_i32_e64 s8, v0
	s_cbranch_execnz .LBB146_180
.LBB146_195:
	s_endpgm
.LBB146_196:
	s_wait_xcnt 0x0
                                        ; implicit-def: $sgpr1
	s_branch .LBB146_3
.LBB146_197:
                                        ; implicit-def: $sgpr12
	s_branch .LBB146_6
.LBB146_198:
                                        ; implicit-def: $sgpr13
	s_branch .LBB146_9
.LBB146_199:
                                        ; implicit-def: $sgpr14
	s_branch .LBB146_12
.LBB146_200:
                                        ; implicit-def: $sgpr15
	s_branch .LBB146_15
.LBB146_201:
                                        ; implicit-def: $sgpr16
	s_branch .LBB146_18
.LBB146_202:
                                        ; implicit-def: $sgpr17
	s_branch .LBB146_21
.LBB146_203:
                                        ; implicit-def: $sgpr18
	s_branch .LBB146_24
.LBB146_204:
                                        ; implicit-def: $sgpr19
	s_branch .LBB146_27
.LBB146_205:
                                        ; implicit-def: $sgpr20
	s_branch .LBB146_30
.LBB146_206:
                                        ; implicit-def: $sgpr21
	s_branch .LBB146_33
.LBB146_207:
                                        ; implicit-def: $sgpr22
	s_branch .LBB146_36
.LBB146_208:
                                        ; implicit-def: $sgpr23
	s_branch .LBB146_39
.LBB146_209:
                                        ; implicit-def: $sgpr24
	s_branch .LBB146_42
.LBB146_210:
                                        ; implicit-def: $sgpr25
	s_branch .LBB146_45
.LBB146_211:
                                        ; implicit-def: $sgpr26
	s_branch .LBB146_48
.LBB146_212:
                                        ; implicit-def: $sgpr7
	s_branch .LBB146_86
.LBB146_213:
                                        ; implicit-def: $sgpr3
	s_branch .LBB146_91
.LBB146_214:
                                        ; implicit-def: $sgpr6
	s_branch .LBB146_96
.LBB146_215:
                                        ; implicit-def: $sgpr6
	s_branch .LBB146_101
.LBB146_216:
                                        ; implicit-def: $sgpr6
	s_branch .LBB146_106
.LBB146_217:
                                        ; implicit-def: $sgpr6
	s_branch .LBB146_111
.LBB146_218:
                                        ; implicit-def: $sgpr6
	s_branch .LBB146_116
.LBB146_219:
                                        ; implicit-def: $sgpr6
	s_branch .LBB146_121
.LBB146_220:
                                        ; implicit-def: $sgpr6
	s_branch .LBB146_126
.LBB146_221:
                                        ; implicit-def: $sgpr6
	s_branch .LBB146_131
.LBB146_222:
                                        ; implicit-def: $sgpr6
	s_branch .LBB146_136
.LBB146_223:
                                        ; implicit-def: $sgpr6
	s_branch .LBB146_141
.LBB146_224:
                                        ; implicit-def: $sgpr6
	s_branch .LBB146_146
.LBB146_225:
                                        ; implicit-def: $sgpr6
	s_branch .LBB146_151
.LBB146_226:
                                        ; implicit-def: $sgpr6
	s_branch .LBB146_156
.LBB146_227:
                                        ; implicit-def: $sgpr6
	s_branch .LBB146_161
	.section	.rodata,"a",@progbits
	.p2align	6, 0x0
	.amdhsa_kernel _ZN2at6native29vectorized_elementwise_kernelILi4ENS0_13BinaryFunctorIN3c107complexINS3_4HalfEEES6_bNS0_12_GLOBAL__N_116CompareEqFunctorIS6_EEEESt5arrayIPcLm3EEEEviT0_T1_
		.amdhsa_group_segment_fixed_size 0
		.amdhsa_private_segment_fixed_size 0
		.amdhsa_kernarg_size 32
		.amdhsa_user_sgpr_count 2
		.amdhsa_user_sgpr_dispatch_ptr 0
		.amdhsa_user_sgpr_queue_ptr 0
		.amdhsa_user_sgpr_kernarg_segment_ptr 1
		.amdhsa_user_sgpr_dispatch_id 0
		.amdhsa_user_sgpr_kernarg_preload_length 0
		.amdhsa_user_sgpr_kernarg_preload_offset 0
		.amdhsa_user_sgpr_private_segment_size 0
		.amdhsa_wavefront_size32 1
		.amdhsa_uses_dynamic_stack 0
		.amdhsa_enable_private_segment 0
		.amdhsa_system_sgpr_workgroup_id_x 1
		.amdhsa_system_sgpr_workgroup_id_y 0
		.amdhsa_system_sgpr_workgroup_id_z 0
		.amdhsa_system_sgpr_workgroup_info 0
		.amdhsa_system_vgpr_workitem_id 0
		.amdhsa_next_free_vgpr 39
		.amdhsa_next_free_sgpr 27
		.amdhsa_named_barrier_count 0
		.amdhsa_reserve_vcc 1
		.amdhsa_float_round_mode_32 0
		.amdhsa_float_round_mode_16_64 0
		.amdhsa_float_denorm_mode_32 3
		.amdhsa_float_denorm_mode_16_64 3
		.amdhsa_fp16_overflow 0
		.amdhsa_memory_ordered 1
		.amdhsa_forward_progress 1
		.amdhsa_inst_pref_size 56
		.amdhsa_round_robin_scheduling 0
		.amdhsa_exception_fp_ieee_invalid_op 0
		.amdhsa_exception_fp_denorm_src 0
		.amdhsa_exception_fp_ieee_div_zero 0
		.amdhsa_exception_fp_ieee_overflow 0
		.amdhsa_exception_fp_ieee_underflow 0
		.amdhsa_exception_fp_ieee_inexact 0
		.amdhsa_exception_int_div_zero 0
	.end_amdhsa_kernel
	.section	.text._ZN2at6native29vectorized_elementwise_kernelILi4ENS0_13BinaryFunctorIN3c107complexINS3_4HalfEEES6_bNS0_12_GLOBAL__N_116CompareEqFunctorIS6_EEEESt5arrayIPcLm3EEEEviT0_T1_,"axG",@progbits,_ZN2at6native29vectorized_elementwise_kernelILi4ENS0_13BinaryFunctorIN3c107complexINS3_4HalfEEES6_bNS0_12_GLOBAL__N_116CompareEqFunctorIS6_EEEESt5arrayIPcLm3EEEEviT0_T1_,comdat
.Lfunc_end146:
	.size	_ZN2at6native29vectorized_elementwise_kernelILi4ENS0_13BinaryFunctorIN3c107complexINS3_4HalfEEES6_bNS0_12_GLOBAL__N_116CompareEqFunctorIS6_EEEESt5arrayIPcLm3EEEEviT0_T1_, .Lfunc_end146-_ZN2at6native29vectorized_elementwise_kernelILi4ENS0_13BinaryFunctorIN3c107complexINS3_4HalfEEES6_bNS0_12_GLOBAL__N_116CompareEqFunctorIS6_EEEESt5arrayIPcLm3EEEEviT0_T1_
                                        ; -- End function
	.set _ZN2at6native29vectorized_elementwise_kernelILi4ENS0_13BinaryFunctorIN3c107complexINS3_4HalfEEES6_bNS0_12_GLOBAL__N_116CompareEqFunctorIS6_EEEESt5arrayIPcLm3EEEEviT0_T1_.num_vgpr, 39
	.set _ZN2at6native29vectorized_elementwise_kernelILi4ENS0_13BinaryFunctorIN3c107complexINS3_4HalfEEES6_bNS0_12_GLOBAL__N_116CompareEqFunctorIS6_EEEESt5arrayIPcLm3EEEEviT0_T1_.num_agpr, 0
	.set _ZN2at6native29vectorized_elementwise_kernelILi4ENS0_13BinaryFunctorIN3c107complexINS3_4HalfEEES6_bNS0_12_GLOBAL__N_116CompareEqFunctorIS6_EEEESt5arrayIPcLm3EEEEviT0_T1_.numbered_sgpr, 27
	.set _ZN2at6native29vectorized_elementwise_kernelILi4ENS0_13BinaryFunctorIN3c107complexINS3_4HalfEEES6_bNS0_12_GLOBAL__N_116CompareEqFunctorIS6_EEEESt5arrayIPcLm3EEEEviT0_T1_.num_named_barrier, 0
	.set _ZN2at6native29vectorized_elementwise_kernelILi4ENS0_13BinaryFunctorIN3c107complexINS3_4HalfEEES6_bNS0_12_GLOBAL__N_116CompareEqFunctorIS6_EEEESt5arrayIPcLm3EEEEviT0_T1_.private_seg_size, 0
	.set _ZN2at6native29vectorized_elementwise_kernelILi4ENS0_13BinaryFunctorIN3c107complexINS3_4HalfEEES6_bNS0_12_GLOBAL__N_116CompareEqFunctorIS6_EEEESt5arrayIPcLm3EEEEviT0_T1_.uses_vcc, 1
	.set _ZN2at6native29vectorized_elementwise_kernelILi4ENS0_13BinaryFunctorIN3c107complexINS3_4HalfEEES6_bNS0_12_GLOBAL__N_116CompareEqFunctorIS6_EEEESt5arrayIPcLm3EEEEviT0_T1_.uses_flat_scratch, 0
	.set _ZN2at6native29vectorized_elementwise_kernelILi4ENS0_13BinaryFunctorIN3c107complexINS3_4HalfEEES6_bNS0_12_GLOBAL__N_116CompareEqFunctorIS6_EEEESt5arrayIPcLm3EEEEviT0_T1_.has_dyn_sized_stack, 0
	.set _ZN2at6native29vectorized_elementwise_kernelILi4ENS0_13BinaryFunctorIN3c107complexINS3_4HalfEEES6_bNS0_12_GLOBAL__N_116CompareEqFunctorIS6_EEEESt5arrayIPcLm3EEEEviT0_T1_.has_recursion, 0
	.set _ZN2at6native29vectorized_elementwise_kernelILi4ENS0_13BinaryFunctorIN3c107complexINS3_4HalfEEES6_bNS0_12_GLOBAL__N_116CompareEqFunctorIS6_EEEESt5arrayIPcLm3EEEEviT0_T1_.has_indirect_call, 0
	.section	.AMDGPU.csdata,"",@progbits
; Kernel info:
; codeLenInByte = 7076
; TotalNumSgprs: 29
; NumVgprs: 39
; ScratchSize: 0
; MemoryBound: 0
; FloatMode: 240
; IeeeMode: 1
; LDSByteSize: 0 bytes/workgroup (compile time only)
; SGPRBlocks: 0
; VGPRBlocks: 2
; NumSGPRsForWavesPerEU: 29
; NumVGPRsForWavesPerEU: 39
; NamedBarCnt: 0
; Occupancy: 16
; WaveLimiterHint : 1
; COMPUTE_PGM_RSRC2:SCRATCH_EN: 0
; COMPUTE_PGM_RSRC2:USER_SGPR: 2
; COMPUTE_PGM_RSRC2:TRAP_HANDLER: 0
; COMPUTE_PGM_RSRC2:TGID_X_EN: 1
; COMPUTE_PGM_RSRC2:TGID_Y_EN: 0
; COMPUTE_PGM_RSRC2:TGID_Z_EN: 0
; COMPUTE_PGM_RSRC2:TIDIG_COMP_CNT: 0
	.section	.text._ZN2at6native29vectorized_elementwise_kernelILi2ENS0_13BinaryFunctorIN3c107complexINS3_4HalfEEES6_bNS0_12_GLOBAL__N_116CompareEqFunctorIS6_EEEESt5arrayIPcLm3EEEEviT0_T1_,"axG",@progbits,_ZN2at6native29vectorized_elementwise_kernelILi2ENS0_13BinaryFunctorIN3c107complexINS3_4HalfEEES6_bNS0_12_GLOBAL__N_116CompareEqFunctorIS6_EEEESt5arrayIPcLm3EEEEviT0_T1_,comdat
	.globl	_ZN2at6native29vectorized_elementwise_kernelILi2ENS0_13BinaryFunctorIN3c107complexINS3_4HalfEEES6_bNS0_12_GLOBAL__N_116CompareEqFunctorIS6_EEEESt5arrayIPcLm3EEEEviT0_T1_ ; -- Begin function _ZN2at6native29vectorized_elementwise_kernelILi2ENS0_13BinaryFunctorIN3c107complexINS3_4HalfEEES6_bNS0_12_GLOBAL__N_116CompareEqFunctorIS6_EEEESt5arrayIPcLm3EEEEviT0_T1_
	.p2align	8
	.type	_ZN2at6native29vectorized_elementwise_kernelILi2ENS0_13BinaryFunctorIN3c107complexINS3_4HalfEEES6_bNS0_12_GLOBAL__N_116CompareEqFunctorIS6_EEEESt5arrayIPcLm3EEEEviT0_T1_,@function
_ZN2at6native29vectorized_elementwise_kernelILi2ENS0_13BinaryFunctorIN3c107complexINS3_4HalfEEES6_bNS0_12_GLOBAL__N_116CompareEqFunctorIS6_EEEESt5arrayIPcLm3EEEEviT0_T1_: ; @_ZN2at6native29vectorized_elementwise_kernelILi2ENS0_13BinaryFunctorIN3c107complexINS3_4HalfEEES6_bNS0_12_GLOBAL__N_116CompareEqFunctorIS6_EEEESt5arrayIPcLm3EEEEviT0_T1_
; %bb.0:
	s_clause 0x2
	s_load_b64 s[8:9], s[0:1], 0x0
	s_load_b128 s[4:7], s[0:1], 0x8
	s_load_b64 s[10:11], s[0:1], 0x18
	s_wait_xcnt 0x0
	s_bfe_u32 s0, ttmp6, 0x4000c
	s_and_b32 s1, ttmp6, 15
	s_add_co_i32 s0, s0, 1
	s_getreg_b32 s2, hwreg(HW_REG_IB_STS2, 6, 4)
	s_mul_i32 s0, ttmp9, s0
	s_delay_alu instid0(SALU_CYCLE_1) | instskip(SKIP_2) | instid1(SALU_CYCLE_1)
	s_add_co_i32 s1, s1, s0
	s_cmp_eq_u32 s2, 0
	s_cselect_b32 s0, ttmp9, s1
	s_lshl_b32 s2, s0, 12
	s_mov_b32 s0, -1
	s_wait_kmcnt 0x0
	s_sub_co_i32 s8, s8, s2
	s_delay_alu instid0(SALU_CYCLE_1)
	s_cmp_gt_i32 s8, 0xfff
	s_cbranch_scc0 .LBB147_50
; %bb.1:
	s_ashr_i32 s3, s2, 31
	s_delay_alu instid0(SALU_CYCLE_1)
	s_lshl_b64 s[0:1], s[2:3], 2
	s_cmp_lg_u32 s9, 0
	s_add_nc_u64 s[12:13], s[6:7], s[0:1]
	s_add_nc_u64 s[0:1], s[10:11], s[0:1]
	s_clause 0xf
	global_load_b64 v[30:31], v0, s[12:13] scale_offset
	global_load_b64 v[26:27], v0, s[12:13] offset:2048 scale_offset
	global_load_b64 v[22:23], v0, s[12:13] offset:4096 scale_offset
	;; [unrolled: 1-line block ×7, first 2 shown]
	global_load_b64 v[32:33], v0, s[0:1] scale_offset
	global_load_b64 v[28:29], v0, s[0:1] offset:2048 scale_offset
	global_load_b64 v[24:25], v0, s[0:1] offset:4096 scale_offset
	;; [unrolled: 1-line block ×7, first 2 shown]
	s_wait_xcnt 0x8
	s_cselect_b32 s12, -1, 0
	s_delay_alu instid0(SALU_CYCLE_1)
	s_and_b32 vcc_lo, exec_lo, s12
	s_wait_loadcnt 0x7
	v_dual_lshrrev_b32 v34, 16, v32 :: v_dual_lshrrev_b32 v1, 16, v30
	s_cbranch_vccz .LBB147_196
; %bb.2:
	v_cmp_neq_f16_e32 vcc_lo, v30, v32
	s_wait_xcnt 0x0
	s_delay_alu instid0(VALU_DEP_2)
	v_cmp_neq_f16_e64 s0, v1, v34
	s_or_b32 s1, vcc_lo, s0
	s_cbranch_execnz .LBB147_4
.LBB147_3:
	v_cmp_eq_f16_e32 vcc_lo, v30, v32
	v_cmp_eq_f16_e64 s0, v1, v34
	s_and_not1_b32 s1, s1, exec_lo
	s_and_b32 s0, vcc_lo, s0
	s_delay_alu instid0(SALU_CYCLE_1) | instskip(NEXT) | instid1(SALU_CYCLE_1)
	s_and_b32 s0, s0, exec_lo
	s_or_b32 s1, s1, s0
.LBB147_4:
	v_cndmask_b32_e64 v1, 0, 1, s12
	v_dual_lshrrev_b32 v30, 16, v31 :: v_dual_lshrrev_b32 v32, 16, v33
	s_and_not1_b32 vcc_lo, exec_lo, s12
	s_cbranch_vccnz .LBB147_197
; %bb.5:
	v_cmp_neq_f16_e32 vcc_lo, v31, v33
	s_delay_alu instid0(VALU_DEP_2)
	v_cmp_neq_f16_e64 s0, v30, v32
	s_or_b32 s12, vcc_lo, s0
	s_cbranch_execnz .LBB147_7
.LBB147_6:
	v_cmp_eq_f16_e32 vcc_lo, v31, v33
	v_cmp_eq_f16_e64 s0, v30, v32
	s_and_not1_b32 s12, s12, exec_lo
	s_and_b32 s0, vcc_lo, s0
	s_delay_alu instid0(SALU_CYCLE_1) | instskip(NEXT) | instid1(SALU_CYCLE_1)
	s_and_b32 s0, s0, exec_lo
	s_or_b32 s12, s12, s0
.LBB147_7:
	v_cmp_ne_u32_e32 vcc_lo, 1, v1
	s_wait_loadcnt 0x6
	v_dual_lshrrev_b32 v30, 16, v26 :: v_dual_lshrrev_b32 v31, 16, v28
	s_cbranch_vccnz .LBB147_198
; %bb.8:
	v_cmp_neq_f16_e32 vcc_lo, v26, v28
	s_delay_alu instid0(VALU_DEP_2)
	v_cmp_neq_f16_e64 s0, v30, v31
	s_or_b32 s13, vcc_lo, s0
	s_cbranch_execnz .LBB147_10
.LBB147_9:
	v_cmp_eq_f16_e32 vcc_lo, v26, v28
	s_delay_alu instid0(VALU_DEP_2) | instskip(SKIP_2) | instid1(SALU_CYCLE_1)
	v_cmp_eq_f16_e64 s0, v30, v31
	s_and_not1_b32 s13, s13, exec_lo
	s_and_b32 s0, vcc_lo, s0
	s_and_b32 s0, s0, exec_lo
	s_delay_alu instid0(SALU_CYCLE_1)
	s_or_b32 s13, s13, s0
.LBB147_10:
	v_cmp_ne_u32_e32 vcc_lo, 1, v1
	v_dual_lshrrev_b32 v26, 16, v27 :: v_dual_lshrrev_b32 v28, 16, v29
	s_cbranch_vccnz .LBB147_199
; %bb.11:
	v_cmp_neq_f16_e32 vcc_lo, v27, v29
	s_delay_alu instid0(VALU_DEP_2)
	v_cmp_neq_f16_e64 s0, v26, v28
	s_or_b32 s14, vcc_lo, s0
	s_cbranch_execnz .LBB147_13
.LBB147_12:
	v_cmp_eq_f16_e32 vcc_lo, v27, v29
	s_delay_alu instid0(VALU_DEP_2) | instskip(SKIP_2) | instid1(SALU_CYCLE_1)
	v_cmp_eq_f16_e64 s0, v26, v28
	s_and_not1_b32 s14, s14, exec_lo
	s_and_b32 s0, vcc_lo, s0
	s_and_b32 s0, s0, exec_lo
	s_delay_alu instid0(SALU_CYCLE_1)
	s_or_b32 s14, s14, s0
.LBB147_13:
	v_cmp_ne_u32_e32 vcc_lo, 1, v1
	s_wait_loadcnt 0x5
	v_dual_lshrrev_b32 v26, 16, v22 :: v_dual_lshrrev_b32 v27, 16, v24
	s_cbranch_vccnz .LBB147_200
; %bb.14:
	v_cmp_neq_f16_e32 vcc_lo, v22, v24
	s_delay_alu instid0(VALU_DEP_2)
	v_cmp_neq_f16_e64 s0, v26, v27
	s_or_b32 s15, vcc_lo, s0
	s_cbranch_execnz .LBB147_16
.LBB147_15:
	v_cmp_eq_f16_e32 vcc_lo, v22, v24
	s_delay_alu instid0(VALU_DEP_2) | instskip(SKIP_2) | instid1(SALU_CYCLE_1)
	v_cmp_eq_f16_e64 s0, v26, v27
	s_and_not1_b32 s15, s15, exec_lo
	s_and_b32 s0, vcc_lo, s0
	s_and_b32 s0, s0, exec_lo
	s_delay_alu instid0(SALU_CYCLE_1)
	s_or_b32 s15, s15, s0
.LBB147_16:
	v_cmp_ne_u32_e32 vcc_lo, 1, v1
	v_dual_lshrrev_b32 v22, 16, v23 :: v_dual_lshrrev_b32 v24, 16, v25
	s_cbranch_vccnz .LBB147_201
; %bb.17:
	v_cmp_neq_f16_e32 vcc_lo, v23, v25
	s_delay_alu instid0(VALU_DEP_2)
	v_cmp_neq_f16_e64 s0, v22, v24
	s_or_b32 s16, vcc_lo, s0
	s_cbranch_execnz .LBB147_19
.LBB147_18:
	v_cmp_eq_f16_e32 vcc_lo, v23, v25
	s_delay_alu instid0(VALU_DEP_2) | instskip(SKIP_2) | instid1(SALU_CYCLE_1)
	v_cmp_eq_f16_e64 s0, v22, v24
	s_and_not1_b32 s16, s16, exec_lo
	s_and_b32 s0, vcc_lo, s0
	s_and_b32 s0, s0, exec_lo
	s_delay_alu instid0(SALU_CYCLE_1)
	s_or_b32 s16, s16, s0
.LBB147_19:
	v_cmp_ne_u32_e32 vcc_lo, 1, v1
	s_wait_loadcnt 0x4
	v_dual_lshrrev_b32 v22, 16, v18 :: v_dual_lshrrev_b32 v23, 16, v20
	s_cbranch_vccnz .LBB147_202
; %bb.20:
	v_cmp_neq_f16_e32 vcc_lo, v18, v20
	s_delay_alu instid0(VALU_DEP_2)
	v_cmp_neq_f16_e64 s0, v22, v23
	s_or_b32 s17, vcc_lo, s0
	s_cbranch_execnz .LBB147_22
.LBB147_21:
	v_cmp_eq_f16_e32 vcc_lo, v18, v20
	s_delay_alu instid0(VALU_DEP_2) | instskip(SKIP_2) | instid1(SALU_CYCLE_1)
	v_cmp_eq_f16_e64 s0, v22, v23
	s_and_not1_b32 s17, s17, exec_lo
	s_and_b32 s0, vcc_lo, s0
	s_and_b32 s0, s0, exec_lo
	s_delay_alu instid0(SALU_CYCLE_1)
	s_or_b32 s17, s17, s0
.LBB147_22:
	v_cmp_ne_u32_e32 vcc_lo, 1, v1
	v_dual_lshrrev_b32 v18, 16, v19 :: v_dual_lshrrev_b32 v20, 16, v21
	s_cbranch_vccnz .LBB147_203
; %bb.23:
	v_cmp_neq_f16_e32 vcc_lo, v19, v21
	s_delay_alu instid0(VALU_DEP_2)
	v_cmp_neq_f16_e64 s0, v18, v20
	s_or_b32 s18, vcc_lo, s0
	s_cbranch_execnz .LBB147_25
.LBB147_24:
	v_cmp_eq_f16_e32 vcc_lo, v19, v21
	s_delay_alu instid0(VALU_DEP_2) | instskip(SKIP_2) | instid1(SALU_CYCLE_1)
	v_cmp_eq_f16_e64 s0, v18, v20
	s_and_not1_b32 s18, s18, exec_lo
	s_and_b32 s0, vcc_lo, s0
	s_and_b32 s0, s0, exec_lo
	s_delay_alu instid0(SALU_CYCLE_1)
	s_or_b32 s18, s18, s0
.LBB147_25:
	v_cmp_ne_u32_e32 vcc_lo, 1, v1
	s_wait_loadcnt 0x3
	v_dual_lshrrev_b32 v18, 16, v14 :: v_dual_lshrrev_b32 v19, 16, v16
	s_cbranch_vccnz .LBB147_204
; %bb.26:
	v_cmp_neq_f16_e32 vcc_lo, v14, v16
	s_delay_alu instid0(VALU_DEP_2)
	v_cmp_neq_f16_e64 s0, v18, v19
	s_or_b32 s19, vcc_lo, s0
	s_cbranch_execnz .LBB147_28
.LBB147_27:
	v_cmp_eq_f16_e32 vcc_lo, v14, v16
	s_delay_alu instid0(VALU_DEP_2) | instskip(SKIP_2) | instid1(SALU_CYCLE_1)
	v_cmp_eq_f16_e64 s0, v18, v19
	s_and_not1_b32 s19, s19, exec_lo
	s_and_b32 s0, vcc_lo, s0
	s_and_b32 s0, s0, exec_lo
	s_delay_alu instid0(SALU_CYCLE_1)
	s_or_b32 s19, s19, s0
.LBB147_28:
	v_cmp_ne_u32_e32 vcc_lo, 1, v1
	v_dual_lshrrev_b32 v14, 16, v15 :: v_dual_lshrrev_b32 v16, 16, v17
	s_cbranch_vccnz .LBB147_205
; %bb.29:
	v_cmp_neq_f16_e32 vcc_lo, v15, v17
	s_delay_alu instid0(VALU_DEP_2)
	v_cmp_neq_f16_e64 s0, v14, v16
	s_or_b32 s20, vcc_lo, s0
	s_cbranch_execnz .LBB147_31
.LBB147_30:
	v_cmp_eq_f16_e32 vcc_lo, v15, v17
	s_delay_alu instid0(VALU_DEP_2) | instskip(SKIP_2) | instid1(SALU_CYCLE_1)
	v_cmp_eq_f16_e64 s0, v14, v16
	s_and_not1_b32 s20, s20, exec_lo
	s_and_b32 s0, vcc_lo, s0
	s_and_b32 s0, s0, exec_lo
	s_delay_alu instid0(SALU_CYCLE_1)
	s_or_b32 s20, s20, s0
.LBB147_31:
	v_cmp_ne_u32_e32 vcc_lo, 1, v1
	s_wait_loadcnt 0x2
	v_dual_lshrrev_b32 v14, 16, v10 :: v_dual_lshrrev_b32 v15, 16, v12
	s_cbranch_vccnz .LBB147_206
; %bb.32:
	v_cmp_neq_f16_e32 vcc_lo, v10, v12
	s_delay_alu instid0(VALU_DEP_2)
	v_cmp_neq_f16_e64 s0, v14, v15
	s_or_b32 s21, vcc_lo, s0
	s_cbranch_execnz .LBB147_34
.LBB147_33:
	v_cmp_eq_f16_e32 vcc_lo, v10, v12
	s_delay_alu instid0(VALU_DEP_2) | instskip(SKIP_2) | instid1(SALU_CYCLE_1)
	v_cmp_eq_f16_e64 s0, v14, v15
	s_and_not1_b32 s21, s21, exec_lo
	s_and_b32 s0, vcc_lo, s0
	s_and_b32 s0, s0, exec_lo
	s_delay_alu instid0(SALU_CYCLE_1)
	s_or_b32 s21, s21, s0
.LBB147_34:
	v_cmp_ne_u32_e32 vcc_lo, 1, v1
	v_dual_lshrrev_b32 v10, 16, v11 :: v_dual_lshrrev_b32 v12, 16, v13
	s_cbranch_vccnz .LBB147_207
; %bb.35:
	v_cmp_neq_f16_e32 vcc_lo, v11, v13
	s_delay_alu instid0(VALU_DEP_2)
	v_cmp_neq_f16_e64 s0, v10, v12
	s_or_b32 s22, vcc_lo, s0
	s_cbranch_execnz .LBB147_37
.LBB147_36:
	v_cmp_eq_f16_e32 vcc_lo, v11, v13
	s_delay_alu instid0(VALU_DEP_2) | instskip(SKIP_2) | instid1(SALU_CYCLE_1)
	v_cmp_eq_f16_e64 s0, v10, v12
	s_and_not1_b32 s22, s22, exec_lo
	s_and_b32 s0, vcc_lo, s0
	s_and_b32 s0, s0, exec_lo
	s_delay_alu instid0(SALU_CYCLE_1)
	s_or_b32 s22, s22, s0
.LBB147_37:
	v_cmp_ne_u32_e32 vcc_lo, 1, v1
	s_wait_loadcnt 0x1
	v_dual_lshrrev_b32 v10, 16, v6 :: v_dual_lshrrev_b32 v11, 16, v8
	s_cbranch_vccnz .LBB147_208
; %bb.38:
	v_cmp_neq_f16_e32 vcc_lo, v6, v8
	s_delay_alu instid0(VALU_DEP_2)
	v_cmp_neq_f16_e64 s0, v10, v11
	s_or_b32 s23, vcc_lo, s0
	s_cbranch_execnz .LBB147_40
.LBB147_39:
	v_cmp_eq_f16_e32 vcc_lo, v6, v8
	s_delay_alu instid0(VALU_DEP_2) | instskip(SKIP_2) | instid1(SALU_CYCLE_1)
	v_cmp_eq_f16_e64 s0, v10, v11
	s_and_not1_b32 s23, s23, exec_lo
	s_and_b32 s0, vcc_lo, s0
	s_and_b32 s0, s0, exec_lo
	s_delay_alu instid0(SALU_CYCLE_1)
	s_or_b32 s23, s23, s0
.LBB147_40:
	v_cmp_ne_u32_e32 vcc_lo, 1, v1
	v_dual_lshrrev_b32 v6, 16, v7 :: v_dual_lshrrev_b32 v8, 16, v9
	s_cbranch_vccnz .LBB147_209
; %bb.41:
	v_cmp_neq_f16_e32 vcc_lo, v7, v9
	s_delay_alu instid0(VALU_DEP_2)
	v_cmp_neq_f16_e64 s0, v6, v8
	s_or_b32 s24, vcc_lo, s0
	s_cbranch_execnz .LBB147_43
.LBB147_42:
	v_cmp_eq_f16_e32 vcc_lo, v7, v9
	s_delay_alu instid0(VALU_DEP_2) | instskip(SKIP_2) | instid1(SALU_CYCLE_1)
	v_cmp_eq_f16_e64 s0, v6, v8
	s_and_not1_b32 s24, s24, exec_lo
	s_and_b32 s0, vcc_lo, s0
	s_and_b32 s0, s0, exec_lo
	s_delay_alu instid0(SALU_CYCLE_1)
	s_or_b32 s24, s24, s0
.LBB147_43:
	v_cmp_ne_u32_e32 vcc_lo, 1, v1
	s_wait_loadcnt 0x0
	v_dual_lshrrev_b32 v6, 16, v2 :: v_dual_lshrrev_b32 v7, 16, v4
	s_cbranch_vccnz .LBB147_210
; %bb.44:
	v_cmp_neq_f16_e32 vcc_lo, v2, v4
	s_delay_alu instid0(VALU_DEP_2)
	v_cmp_neq_f16_e64 s0, v6, v7
	s_or_b32 s25, vcc_lo, s0
	s_cbranch_execnz .LBB147_46
.LBB147_45:
	v_cmp_eq_f16_e32 vcc_lo, v2, v4
	s_delay_alu instid0(VALU_DEP_2) | instskip(SKIP_2) | instid1(SALU_CYCLE_1)
	v_cmp_eq_f16_e64 s0, v6, v7
	s_and_not1_b32 s25, s25, exec_lo
	s_and_b32 s0, vcc_lo, s0
	s_and_b32 s0, s0, exec_lo
	s_delay_alu instid0(SALU_CYCLE_1)
	s_or_b32 s25, s25, s0
.LBB147_46:
	v_cmp_ne_u32_e32 vcc_lo, 1, v1
	v_dual_lshrrev_b32 v1, 16, v3 :: v_dual_lshrrev_b32 v2, 16, v5
	s_cbranch_vccnz .LBB147_211
; %bb.47:
	v_cmp_neq_f16_e32 vcc_lo, v3, v5
	s_delay_alu instid0(VALU_DEP_2)
	v_cmp_neq_f16_e64 s0, v1, v2
	s_or_b32 s26, vcc_lo, s0
	s_cbranch_execnz .LBB147_49
.LBB147_48:
	v_cmp_eq_f16_e32 vcc_lo, v3, v5
	s_delay_alu instid0(VALU_DEP_2) | instskip(SKIP_2) | instid1(SALU_CYCLE_1)
	v_cmp_eq_f16_e64 s0, v1, v2
	s_and_not1_b32 s26, s26, exec_lo
	s_and_b32 s0, vcc_lo, s0
	s_and_b32 s0, s0, exec_lo
	s_delay_alu instid0(SALU_CYCLE_1)
	s_or_b32 s26, s26, s0
.LBB147_49:
	v_cndmask_b32_e64 v1, 0, 1, s23
	v_cndmask_b32_e64 v2, 0, 0x100, s24
	;; [unrolled: 1-line block ×6, first 2 shown]
	v_or_b32_e32 v1, v2, v1
	v_cndmask_b32_e64 v9, 0, 1, s1
	v_or_b32_e32 v2, v4, v3
	v_cndmask_b32_e64 v4, 0, 1, s17
	;; [unrolled: 2-line block ×3, first 2 shown]
	v_cndmask_b32_e64 v10, 0, 0x100, s12
	v_cndmask_b32_e64 v8, 0, 1, s13
	;; [unrolled: 1-line block ×6, first 2 shown]
	v_or_b32_e32 v4, v5, v4
	v_cndmask_b32_e64 v5, 0, 0x100, s26
	v_or_b32_e32 v9, v10, v9
	v_or_b32_e32 v8, v11, v8
	;; [unrolled: 1-line block ×3, first 2 shown]
	s_mov_b32 s0, 0
	s_add_nc_u64 s[12:13], s[4:5], s[2:3]
	v_or_b32_e32 v5, v5, v7
	s_clause 0x7
	global_store_b16 v0, v9, s[12:13] scale_offset
	global_store_b16 v0, v8, s[12:13] offset:512 scale_offset
	global_store_b16 v0, v6, s[12:13] offset:1024 scale_offset
	;; [unrolled: 1-line block ×7, first 2 shown]
.LBB147_50:
	s_and_b32 vcc_lo, exec_lo, s0
	s_cbranch_vccz .LBB147_195
; %bb.51:
	v_cmp_gt_i32_e64 s0, s8, v0
	s_wait_xcnt 0x1
	v_dual_mov_b32 v10, 0 :: v_dual_bitop2_b32 v1, s2, v0 bitop3:0x54
	v_or_b32_e32 v8, 0x100, v0
	v_dual_mov_b32 v9, 0 :: v_dual_mov_b32 v12, 0
	v_dual_mov_b32 v11, 0 :: v_dual_mov_b32 v14, 0
	;; [unrolled: 1-line block ×15, first 2 shown]
	v_mov_b32_e32 v38, 0
	s_wait_xcnt 0x0
	s_and_saveexec_b32 s1, s0
	s_cbranch_execz .LBB147_83
; %bb.52:
	s_clause 0x1
	global_load_b32 v37, v1, s[6:7] scale_offset
	global_load_b32 v38, v1, s[10:11] scale_offset
	v_or_b32_e32 v2, 0x100, v0
	v_dual_mov_b32 v36, 0 :: v_dual_mov_b32 v35, 0
	v_dual_mov_b32 v3, 0 :: v_dual_mov_b32 v34, 0
	s_delay_alu instid0(VALU_DEP_3)
	v_cmp_gt_u32_e32 vcc_lo, s8, v2
	v_dual_mov_b32 v7, 0 :: v_dual_mov_b32 v33, 0
	v_dual_mov_b32 v31, 0 :: v_dual_mov_b32 v32, 0
	;; [unrolled: 1-line block ×13, first 2 shown]
	s_wait_xcnt 0x0
	s_and_saveexec_b32 s3, vcc_lo
	s_cbranch_execz .LBB147_82
; %bb.53:
	v_dual_mov_b32 v3, 0 :: v_dual_add_nc_u32 v2, s2, v0
	v_or_b32_e32 v4, 0x200, v0
	v_dual_mov_b32 v34, 0 :: v_dual_mov_b32 v7, 0
	s_clause 0x1
	global_load_b32 v35, v2, s[6:7] offset:1024 scale_offset
	global_load_b32 v36, v2, s[10:11] offset:1024 scale_offset
	v_dual_mov_b32 v33, 0 :: v_dual_mov_b32 v31, 0
	v_cmp_gt_u32_e32 vcc_lo, s8, v4
	v_dual_mov_b32 v32, 0 :: v_dual_mov_b32 v29, 0
	v_dual_mov_b32 v30, 0 :: v_dual_mov_b32 v27, 0
	;; [unrolled: 1-line block ×11, first 2 shown]
	v_mov_b32_e32 v10, 0
	s_wait_xcnt 0x0
	s_and_saveexec_b32 s12, vcc_lo
	s_cbranch_execz .LBB147_81
; %bb.54:
	v_lshlrev_b64_e32 v[6:7], 2, v[2:3]
	v_or_b32_e32 v9, 0x300, v0
	v_dual_mov_b32 v33, 0 :: v_dual_mov_b32 v31, 0
	v_dual_mov_b32 v32, 0 :: v_dual_mov_b32 v29, 0
	s_delay_alu instid0(VALU_DEP_3)
	v_cmp_gt_u32_e32 vcc_lo, s8, v9
	v_add_nc_u64_e32 v[4:5], s[6:7], v[6:7]
	v_add_nc_u64_e32 v[6:7], s[10:11], v[6:7]
	v_dual_mov_b32 v30, 0 :: v_dual_mov_b32 v27, 0
	v_dual_mov_b32 v28, 0 :: v_dual_mov_b32 v25, 0
	;; [unrolled: 1-line block ×3, first 2 shown]
	global_load_b32 v34, v[4:5], off offset:2048
	global_load_b32 v2, v[6:7], off offset:2048
	v_dual_mov_b32 v24, 0 :: v_dual_mov_b32 v21, 0
	v_dual_mov_b32 v22, 0 :: v_dual_mov_b32 v19, 0
	;; [unrolled: 1-line block ×7, first 2 shown]
	v_mov_b32_e32 v10, 0
	s_wait_xcnt 0x0
	s_and_saveexec_b32 s6, vcc_lo
	s_cbranch_execz .LBB147_80
; %bb.55:
	global_load_b32 v33, v[4:5], off offset:3072
	global_load_b32 v3, v[6:7], off offset:3072
	v_or_b32_e32 v9, 0x400, v0
	v_dual_mov_b32 v31, 0 :: v_dual_mov_b32 v32, 0
	v_dual_mov_b32 v29, 0 :: v_dual_mov_b32 v30, 0
	s_delay_alu instid0(VALU_DEP_3)
	v_cmp_gt_u32_e32 vcc_lo, s8, v9
	v_dual_mov_b32 v27, 0 :: v_dual_mov_b32 v28, 0
	v_dual_mov_b32 v25, 0 :: v_dual_mov_b32 v26, 0
	;; [unrolled: 1-line block ×10, first 2 shown]
	s_wait_xcnt 0x0
	s_and_saveexec_b32 s7, vcc_lo
	s_cbranch_execz .LBB147_79
; %bb.56:
	global_load_b32 v32, v[4:5], off offset:4096
	global_load_b32 v31, v[6:7], off offset:4096
	v_or_b32_e32 v9, 0x500, v0
	v_dual_mov_b32 v29, 0 :: v_dual_mov_b32 v30, 0
	v_dual_mov_b32 v27, 0 :: v_dual_mov_b32 v28, 0
	s_delay_alu instid0(VALU_DEP_3)
	v_cmp_gt_u32_e32 vcc_lo, s8, v9
	v_dual_mov_b32 v25, 0 :: v_dual_mov_b32 v26, 0
	v_dual_mov_b32 v23, 0 :: v_dual_mov_b32 v24, 0
	;; [unrolled: 1-line block ×9, first 2 shown]
	s_wait_xcnt 0x0
	s_and_saveexec_b32 s10, vcc_lo
	s_cbranch_execz .LBB147_78
; %bb.57:
	global_load_b32 v30, v[4:5], off offset:5120
	global_load_b32 v29, v[6:7], off offset:5120
	v_or_b32_e32 v9, 0x600, v0
	v_dual_mov_b32 v27, 0 :: v_dual_mov_b32 v28, 0
	v_dual_mov_b32 v25, 0 :: v_dual_mov_b32 v26, 0
	s_delay_alu instid0(VALU_DEP_3)
	v_cmp_gt_u32_e32 vcc_lo, s8, v9
	v_dual_mov_b32 v23, 0 :: v_dual_mov_b32 v24, 0
	v_dual_mov_b32 v21, 0 :: v_dual_mov_b32 v22, 0
	;; [unrolled: 1-line block ×8, first 2 shown]
	s_wait_xcnt 0x0
	s_and_saveexec_b32 s11, vcc_lo
	s_cbranch_execz .LBB147_77
; %bb.58:
	global_load_b32 v28, v[4:5], off offset:6144
	global_load_b32 v27, v[6:7], off offset:6144
	v_or_b32_e32 v9, 0x700, v0
	v_dual_mov_b32 v25, 0 :: v_dual_mov_b32 v26, 0
	v_dual_mov_b32 v23, 0 :: v_dual_mov_b32 v24, 0
	s_delay_alu instid0(VALU_DEP_3)
	v_cmp_gt_u32_e32 vcc_lo, s8, v9
	v_dual_mov_b32 v21, 0 :: v_dual_mov_b32 v22, 0
	v_dual_mov_b32 v19, 0 :: v_dual_mov_b32 v20, 0
	v_dual_mov_b32 v17, 0 :: v_dual_mov_b32 v18, 0
	v_dual_mov_b32 v15, 0 :: v_dual_mov_b32 v16, 0
	v_dual_mov_b32 v13, 0 :: v_dual_mov_b32 v14, 0
	v_dual_mov_b32 v11, 0 :: v_dual_mov_b32 v12, 0
	v_dual_mov_b32 v9, 0 :: v_dual_mov_b32 v10, 0
	s_wait_xcnt 0x0
	s_and_saveexec_b32 s13, vcc_lo
	s_cbranch_execz .LBB147_76
; %bb.59:
	global_load_b32 v26, v[4:5], off offset:7168
	global_load_b32 v25, v[6:7], off offset:7168
	v_or_b32_e32 v9, 0x800, v0
	v_dual_mov_b32 v23, 0 :: v_dual_mov_b32 v24, 0
	v_dual_mov_b32 v21, 0 :: v_dual_mov_b32 v22, 0
	s_delay_alu instid0(VALU_DEP_3)
	v_cmp_gt_u32_e32 vcc_lo, s8, v9
	v_dual_mov_b32 v19, 0 :: v_dual_mov_b32 v20, 0
	v_dual_mov_b32 v17, 0 :: v_dual_mov_b32 v18, 0
	;; [unrolled: 1-line block ×6, first 2 shown]
	s_wait_xcnt 0x0
	s_and_saveexec_b32 s14, vcc_lo
	s_cbranch_execz .LBB147_75
; %bb.60:
	global_load_b32 v24, v[4:5], off offset:8192
	global_load_b32 v23, v[6:7], off offset:8192
	v_or_b32_e32 v9, 0x900, v0
	v_dual_mov_b32 v21, 0 :: v_dual_mov_b32 v22, 0
	v_dual_mov_b32 v19, 0 :: v_dual_mov_b32 v20, 0
	s_delay_alu instid0(VALU_DEP_3)
	v_cmp_gt_u32_e32 vcc_lo, s8, v9
	v_dual_mov_b32 v17, 0 :: v_dual_mov_b32 v18, 0
	v_dual_mov_b32 v15, 0 :: v_dual_mov_b32 v16, 0
	;; [unrolled: 1-line block ×5, first 2 shown]
	s_wait_xcnt 0x0
	s_and_saveexec_b32 s15, vcc_lo
	s_cbranch_execz .LBB147_74
; %bb.61:
	global_load_b32 v22, v[4:5], off offset:9216
	global_load_b32 v21, v[6:7], off offset:9216
	v_or_b32_e32 v9, 0xa00, v0
	v_dual_mov_b32 v19, 0 :: v_dual_mov_b32 v20, 0
	v_dual_mov_b32 v17, 0 :: v_dual_mov_b32 v18, 0
	s_delay_alu instid0(VALU_DEP_3)
	v_cmp_gt_u32_e32 vcc_lo, s8, v9
	v_dual_mov_b32 v15, 0 :: v_dual_mov_b32 v16, 0
	v_dual_mov_b32 v13, 0 :: v_dual_mov_b32 v14, 0
	;; [unrolled: 1-line block ×4, first 2 shown]
	s_wait_xcnt 0x0
	s_and_saveexec_b32 s16, vcc_lo
	s_cbranch_execz .LBB147_73
; %bb.62:
	global_load_b32 v20, v[4:5], off offset:10240
	global_load_b32 v19, v[6:7], off offset:10240
	v_or_b32_e32 v9, 0xb00, v0
	v_dual_mov_b32 v17, 0 :: v_dual_mov_b32 v18, 0
	v_dual_mov_b32 v15, 0 :: v_dual_mov_b32 v16, 0
	s_delay_alu instid0(VALU_DEP_3)
	v_cmp_gt_u32_e32 vcc_lo, s8, v9
	v_dual_mov_b32 v13, 0 :: v_dual_mov_b32 v14, 0
	v_dual_mov_b32 v11, 0 :: v_dual_mov_b32 v12, 0
	;; [unrolled: 1-line block ×3, first 2 shown]
	s_wait_xcnt 0x0
	s_and_saveexec_b32 s17, vcc_lo
	s_cbranch_execz .LBB147_72
; %bb.63:
	global_load_b32 v18, v[4:5], off offset:11264
	global_load_b32 v17, v[6:7], off offset:11264
	v_or_b32_e32 v9, 0xc00, v0
	v_dual_mov_b32 v15, 0 :: v_dual_mov_b32 v16, 0
	v_dual_mov_b32 v13, 0 :: v_dual_mov_b32 v14, 0
	s_delay_alu instid0(VALU_DEP_3)
	v_cmp_gt_u32_e32 vcc_lo, s8, v9
	v_dual_mov_b32 v11, 0 :: v_dual_mov_b32 v12, 0
	v_dual_mov_b32 v9, 0 :: v_dual_mov_b32 v10, 0
	s_wait_xcnt 0x0
	s_and_saveexec_b32 s18, vcc_lo
	s_cbranch_execz .LBB147_71
; %bb.64:
	global_load_b32 v16, v[4:5], off offset:12288
	global_load_b32 v15, v[6:7], off offset:12288
	v_or_b32_e32 v9, 0xd00, v0
	v_dual_mov_b32 v13, 0 :: v_dual_mov_b32 v14, 0
	v_dual_mov_b32 v11, 0 :: v_dual_mov_b32 v12, 0
	s_delay_alu instid0(VALU_DEP_3)
	v_cmp_gt_u32_e32 vcc_lo, s8, v9
	v_dual_mov_b32 v9, 0 :: v_dual_mov_b32 v10, 0
	s_wait_xcnt 0x0
	s_and_saveexec_b32 s19, vcc_lo
	s_cbranch_execz .LBB147_70
; %bb.65:
	global_load_b32 v14, v[4:5], off offset:13312
	global_load_b32 v13, v[6:7], off offset:13312
	v_or_b32_e32 v9, 0xe00, v0
	v_dual_mov_b32 v11, 0 :: v_dual_mov_b32 v12, 0
	v_mov_b32_e32 v10, 0
	s_delay_alu instid0(VALU_DEP_3)
	v_cmp_gt_u32_e32 vcc_lo, s8, v9
	v_mov_b32_e32 v9, 0
	s_wait_xcnt 0x0
	s_and_saveexec_b32 s20, vcc_lo
	s_cbranch_execz .LBB147_69
; %bb.66:
	global_load_b32 v12, v[4:5], off offset:14336
	global_load_b32 v11, v[6:7], off offset:14336
	v_or_b32_e32 v9, 0xf00, v0
	v_mov_b32_e32 v10, 0
	s_delay_alu instid0(VALU_DEP_2)
	v_cmp_gt_u32_e32 vcc_lo, s8, v9
	v_mov_b32_e32 v9, 0
	s_wait_xcnt 0x0
	s_and_saveexec_b32 s21, vcc_lo
	s_cbranch_execz .LBB147_68
; %bb.67:
	global_load_b32 v10, v[4:5], off offset:15360
	global_load_b32 v9, v[6:7], off offset:15360
.LBB147_68:
	s_wait_xcnt 0x0
	s_or_b32 exec_lo, exec_lo, s21
.LBB147_69:
	s_delay_alu instid0(SALU_CYCLE_1)
	s_or_b32 exec_lo, exec_lo, s20
.LBB147_70:
	s_delay_alu instid0(SALU_CYCLE_1)
	s_or_b32 exec_lo, exec_lo, s19
.LBB147_71:
	s_delay_alu instid0(SALU_CYCLE_1)
	s_or_b32 exec_lo, exec_lo, s18
.LBB147_72:
	s_delay_alu instid0(SALU_CYCLE_1)
	s_or_b32 exec_lo, exec_lo, s17
.LBB147_73:
	s_delay_alu instid0(SALU_CYCLE_1)
	s_or_b32 exec_lo, exec_lo, s16
.LBB147_74:
	s_delay_alu instid0(SALU_CYCLE_1)
	s_or_b32 exec_lo, exec_lo, s15
.LBB147_75:
	s_delay_alu instid0(SALU_CYCLE_1)
	s_or_b32 exec_lo, exec_lo, s14
.LBB147_76:
	s_delay_alu instid0(SALU_CYCLE_1)
	s_or_b32 exec_lo, exec_lo, s13
.LBB147_77:
	s_delay_alu instid0(SALU_CYCLE_1)
	s_or_b32 exec_lo, exec_lo, s11
.LBB147_78:
	s_delay_alu instid0(SALU_CYCLE_1)
	s_or_b32 exec_lo, exec_lo, s10
.LBB147_79:
	s_delay_alu instid0(SALU_CYCLE_1)
	s_or_b32 exec_lo, exec_lo, s7
.LBB147_80:
	s_delay_alu instid0(SALU_CYCLE_1)
	s_or_b32 exec_lo, exec_lo, s6
	s_wait_loadcnt 0x0
	v_dual_mov_b32 v7, v3 :: v_dual_mov_b32 v3, v2
.LBB147_81:
	s_or_b32 exec_lo, exec_lo, s12
.LBB147_82:
	s_delay_alu instid0(SALU_CYCLE_1)
	s_or_b32 exec_lo, exec_lo, s3
.LBB147_83:
	s_delay_alu instid0(SALU_CYCLE_1)
	s_or_b32 exec_lo, exec_lo, s1
	s_cmp_lg_u32 s9, 0
                                        ; implicit-def: $vgpr2
	s_cselect_b32 s3, -1, 0
	s_and_saveexec_b32 s6, s0
	s_cbranch_execz .LBB147_88
; %bb.84:
	s_wait_loadcnt 0x0
	v_dual_lshrrev_b32 v2, 16, v37 :: v_dual_lshrrev_b32 v4, 16, v38
	s_and_b32 vcc_lo, exec_lo, s3
	s_cbranch_vccz .LBB147_212
; %bb.85:
	v_cmp_neq_f16_e32 vcc_lo, v37, v38
	s_delay_alu instid0(VALU_DEP_2)
	v_cmp_neq_f16_e64 s1, v2, v4
	s_or_b32 s7, vcc_lo, s1
	s_cbranch_execnz .LBB147_87
.LBB147_86:
	v_cmp_eq_f16_e32 vcc_lo, v37, v38
	v_cmp_eq_f16_e64 s1, v2, v4
	s_and_not1_b32 s7, s7, exec_lo
	s_and_b32 s1, vcc_lo, s1
	s_delay_alu instid0(SALU_CYCLE_1) | instskip(NEXT) | instid1(SALU_CYCLE_1)
	s_and_b32 s1, s1, exec_lo
	s_or_b32 s7, s7, s1
.LBB147_87:
	s_delay_alu instid0(SALU_CYCLE_1)
	v_cndmask_b32_e64 v2, 0, 1, s7
.LBB147_88:
	s_or_b32 exec_lo, exec_lo, s6
	v_cndmask_b32_e64 v5, 0, 1, s3
	s_mov_b32 s6, exec_lo
                                        ; implicit-def: $vgpr4
	v_cmpx_gt_i32_e64 s8, v8
	s_cbranch_execz .LBB147_93
; %bb.89:
	s_wait_loadcnt 0x0
	v_dual_lshrrev_b32 v4, 16, v35 :: v_dual_lshrrev_b32 v6, 16, v36
	s_and_not1_b32 vcc_lo, exec_lo, s3
	s_cbranch_vccnz .LBB147_213
; %bb.90:
	v_cmp_neq_f16_e32 vcc_lo, v35, v36
	s_delay_alu instid0(VALU_DEP_2)
	v_cmp_neq_f16_e64 s1, v4, v6
	s_or_b32 s3, vcc_lo, s1
	s_cbranch_execnz .LBB147_92
.LBB147_91:
	v_cmp_eq_f16_e32 vcc_lo, v35, v36
	v_cmp_eq_f16_e64 s1, v4, v6
	s_and_not1_b32 s3, s3, exec_lo
	s_and_b32 s1, vcc_lo, s1
	s_delay_alu instid0(SALU_CYCLE_1) | instskip(NEXT) | instid1(SALU_CYCLE_1)
	s_and_b32 s1, s1, exec_lo
	s_or_b32 s3, s3, s1
.LBB147_92:
	s_delay_alu instid0(SALU_CYCLE_1)
	v_cndmask_b32_e64 v4, 0, 1, s3
.LBB147_93:
	s_or_b32 exec_lo, exec_lo, s6
	v_or_b32_e32 v6, 0x200, v0
	s_delay_alu instid0(VALU_DEP_1)
	v_cmp_gt_i32_e32 vcc_lo, s8, v6
                                        ; implicit-def: $vgpr6
	s_and_saveexec_b32 s3, vcc_lo
	s_cbranch_execz .LBB147_98
; %bb.94:
	v_cmp_ne_u32_e32 vcc_lo, 1, v5
	s_wait_loadcnt 0x1
	v_dual_lshrrev_b32 v6, 16, v34 :: v_dual_lshrrev_b32 v35, 16, v3
	s_cbranch_vccnz .LBB147_214
; %bb.95:
	v_cmp_neq_f16_e32 vcc_lo, v34, v3
	s_delay_alu instid0(VALU_DEP_2)
	v_cmp_neq_f16_e64 s1, v6, v35
	s_or_b32 s6, vcc_lo, s1
	s_cbranch_execnz .LBB147_97
.LBB147_96:
	v_cmp_eq_f16_e32 vcc_lo, v34, v3
	s_delay_alu instid0(VALU_DEP_2) | instskip(SKIP_2) | instid1(SALU_CYCLE_1)
	v_cmp_eq_f16_e64 s1, v6, v35
	s_and_not1_b32 s6, s6, exec_lo
	s_and_b32 s1, vcc_lo, s1
	s_and_b32 s1, s1, exec_lo
	s_delay_alu instid0(SALU_CYCLE_1)
	s_or_b32 s6, s6, s1
.LBB147_97:
	s_delay_alu instid0(SALU_CYCLE_1)
	v_cndmask_b32_e64 v6, 0, 1, s6
.LBB147_98:
	s_or_b32 exec_lo, exec_lo, s3
	v_or_b32_e32 v3, 0x300, v0
	s_delay_alu instid0(VALU_DEP_1)
	v_cmp_gt_i32_e32 vcc_lo, s8, v3
                                        ; implicit-def: $vgpr3
	s_and_saveexec_b32 s3, vcc_lo
	s_cbranch_execz .LBB147_103
; %bb.99:
	v_cmp_ne_u32_e32 vcc_lo, 1, v5
	v_dual_lshrrev_b32 v3, 16, v33 :: v_dual_lshrrev_b32 v34, 16, v7
	s_cbranch_vccnz .LBB147_215
; %bb.100:
	v_cmp_neq_f16_e32 vcc_lo, v33, v7
	s_delay_alu instid0(VALU_DEP_2)
	v_cmp_neq_f16_e64 s1, v3, v34
	s_or_b32 s6, vcc_lo, s1
	s_cbranch_execnz .LBB147_102
.LBB147_101:
	v_cmp_eq_f16_e32 vcc_lo, v33, v7
	s_delay_alu instid0(VALU_DEP_2) | instskip(SKIP_2) | instid1(SALU_CYCLE_1)
	v_cmp_eq_f16_e64 s1, v3, v34
	s_and_not1_b32 s6, s6, exec_lo
	s_and_b32 s1, vcc_lo, s1
	s_and_b32 s1, s1, exec_lo
	s_delay_alu instid0(SALU_CYCLE_1)
	s_or_b32 s6, s6, s1
.LBB147_102:
	s_delay_alu instid0(SALU_CYCLE_1)
	v_cndmask_b32_e64 v3, 0, 1, s6
.LBB147_103:
	s_or_b32 exec_lo, exec_lo, s3
	v_or_b32_e32 v7, 0x400, v0
	s_delay_alu instid0(VALU_DEP_1)
	v_cmp_gt_i32_e32 vcc_lo, s8, v7
                                        ; implicit-def: $vgpr7
	s_and_saveexec_b32 s3, vcc_lo
	s_cbranch_execz .LBB147_108
; %bb.104:
	v_cmp_ne_u32_e32 vcc_lo, 1, v5
	v_dual_lshrrev_b32 v7, 16, v32 :: v_dual_lshrrev_b32 v33, 16, v31
	s_cbranch_vccnz .LBB147_216
; %bb.105:
	v_cmp_neq_f16_e32 vcc_lo, v32, v31
	s_delay_alu instid0(VALU_DEP_2)
	v_cmp_neq_f16_e64 s1, v7, v33
	s_or_b32 s6, vcc_lo, s1
	s_cbranch_execnz .LBB147_107
.LBB147_106:
	v_cmp_eq_f16_e32 vcc_lo, v32, v31
	s_delay_alu instid0(VALU_DEP_2) | instskip(SKIP_2) | instid1(SALU_CYCLE_1)
	v_cmp_eq_f16_e64 s1, v7, v33
	s_and_not1_b32 s6, s6, exec_lo
	s_and_b32 s1, vcc_lo, s1
	s_and_b32 s1, s1, exec_lo
	s_delay_alu instid0(SALU_CYCLE_1)
	s_or_b32 s6, s6, s1
.LBB147_107:
	s_delay_alu instid0(SALU_CYCLE_1)
	v_cndmask_b32_e64 v7, 0, 1, s6
.LBB147_108:
	s_or_b32 exec_lo, exec_lo, s3
	v_or_b32_e32 v31, 0x500, v0
	s_delay_alu instid0(VALU_DEP_1)
	v_cmp_gt_i32_e32 vcc_lo, s8, v31
                                        ; implicit-def: $vgpr31
	s_and_saveexec_b32 s3, vcc_lo
	s_cbranch_execz .LBB147_113
; %bb.109:
	v_cmp_ne_u32_e32 vcc_lo, 1, v5
	v_dual_lshrrev_b32 v31, 16, v30 :: v_dual_lshrrev_b32 v32, 16, v29
	s_cbranch_vccnz .LBB147_217
; %bb.110:
	v_cmp_neq_f16_e32 vcc_lo, v30, v29
	s_delay_alu instid0(VALU_DEP_2)
	v_cmp_neq_f16_e64 s1, v31, v32
	s_or_b32 s6, vcc_lo, s1
	s_cbranch_execnz .LBB147_112
.LBB147_111:
	v_cmp_eq_f16_e32 vcc_lo, v30, v29
	s_delay_alu instid0(VALU_DEP_2) | instskip(SKIP_2) | instid1(SALU_CYCLE_1)
	v_cmp_eq_f16_e64 s1, v31, v32
	s_and_not1_b32 s6, s6, exec_lo
	s_and_b32 s1, vcc_lo, s1
	s_and_b32 s1, s1, exec_lo
	s_delay_alu instid0(SALU_CYCLE_1)
	s_or_b32 s6, s6, s1
.LBB147_112:
	s_delay_alu instid0(SALU_CYCLE_1)
	v_cndmask_b32_e64 v31, 0, 1, s6
.LBB147_113:
	s_or_b32 exec_lo, exec_lo, s3
	v_or_b32_e32 v29, 0x600, v0
	s_delay_alu instid0(VALU_DEP_1)
	v_cmp_gt_i32_e32 vcc_lo, s8, v29
                                        ; implicit-def: $vgpr29
	s_and_saveexec_b32 s3, vcc_lo
	s_cbranch_execz .LBB147_118
; %bb.114:
	v_cmp_ne_u32_e32 vcc_lo, 1, v5
	v_dual_lshrrev_b32 v29, 16, v28 :: v_dual_lshrrev_b32 v30, 16, v27
	s_cbranch_vccnz .LBB147_218
; %bb.115:
	v_cmp_neq_f16_e32 vcc_lo, v28, v27
	s_delay_alu instid0(VALU_DEP_2)
	v_cmp_neq_f16_e64 s1, v29, v30
	s_or_b32 s6, vcc_lo, s1
	s_cbranch_execnz .LBB147_117
.LBB147_116:
	v_cmp_eq_f16_e32 vcc_lo, v28, v27
	s_delay_alu instid0(VALU_DEP_2) | instskip(SKIP_2) | instid1(SALU_CYCLE_1)
	v_cmp_eq_f16_e64 s1, v29, v30
	s_and_not1_b32 s6, s6, exec_lo
	s_and_b32 s1, vcc_lo, s1
	s_and_b32 s1, s1, exec_lo
	s_delay_alu instid0(SALU_CYCLE_1)
	s_or_b32 s6, s6, s1
.LBB147_117:
	s_delay_alu instid0(SALU_CYCLE_1)
	v_cndmask_b32_e64 v29, 0, 1, s6
.LBB147_118:
	s_or_b32 exec_lo, exec_lo, s3
	v_or_b32_e32 v27, 0x700, v0
	s_delay_alu instid0(VALU_DEP_1)
	v_cmp_gt_i32_e32 vcc_lo, s8, v27
                                        ; implicit-def: $vgpr27
	s_and_saveexec_b32 s3, vcc_lo
	s_cbranch_execz .LBB147_123
; %bb.119:
	v_cmp_ne_u32_e32 vcc_lo, 1, v5
	v_dual_lshrrev_b32 v27, 16, v26 :: v_dual_lshrrev_b32 v28, 16, v25
	s_cbranch_vccnz .LBB147_219
; %bb.120:
	v_cmp_neq_f16_e32 vcc_lo, v26, v25
	s_delay_alu instid0(VALU_DEP_2)
	v_cmp_neq_f16_e64 s1, v27, v28
	s_or_b32 s6, vcc_lo, s1
	s_cbranch_execnz .LBB147_122
.LBB147_121:
	v_cmp_eq_f16_e32 vcc_lo, v26, v25
	s_delay_alu instid0(VALU_DEP_2) | instskip(SKIP_2) | instid1(SALU_CYCLE_1)
	v_cmp_eq_f16_e64 s1, v27, v28
	s_and_not1_b32 s6, s6, exec_lo
	s_and_b32 s1, vcc_lo, s1
	s_and_b32 s1, s1, exec_lo
	s_delay_alu instid0(SALU_CYCLE_1)
	s_or_b32 s6, s6, s1
.LBB147_122:
	s_delay_alu instid0(SALU_CYCLE_1)
	v_cndmask_b32_e64 v27, 0, 1, s6
.LBB147_123:
	s_or_b32 exec_lo, exec_lo, s3
	v_or_b32_e32 v25, 0x800, v0
	s_delay_alu instid0(VALU_DEP_1)
	v_cmp_gt_i32_e32 vcc_lo, s8, v25
                                        ; implicit-def: $vgpr25
	s_and_saveexec_b32 s3, vcc_lo
	s_cbranch_execz .LBB147_128
; %bb.124:
	v_cmp_ne_u32_e32 vcc_lo, 1, v5
	v_dual_lshrrev_b32 v25, 16, v24 :: v_dual_lshrrev_b32 v26, 16, v23
	s_cbranch_vccnz .LBB147_220
; %bb.125:
	v_cmp_neq_f16_e32 vcc_lo, v24, v23
	s_delay_alu instid0(VALU_DEP_2)
	v_cmp_neq_f16_e64 s1, v25, v26
	s_or_b32 s6, vcc_lo, s1
	s_cbranch_execnz .LBB147_127
.LBB147_126:
	v_cmp_eq_f16_e32 vcc_lo, v24, v23
	s_delay_alu instid0(VALU_DEP_2) | instskip(SKIP_2) | instid1(SALU_CYCLE_1)
	v_cmp_eq_f16_e64 s1, v25, v26
	s_and_not1_b32 s6, s6, exec_lo
	s_and_b32 s1, vcc_lo, s1
	s_and_b32 s1, s1, exec_lo
	s_delay_alu instid0(SALU_CYCLE_1)
	s_or_b32 s6, s6, s1
.LBB147_127:
	s_delay_alu instid0(SALU_CYCLE_1)
	v_cndmask_b32_e64 v25, 0, 1, s6
.LBB147_128:
	s_or_b32 exec_lo, exec_lo, s3
	v_or_b32_e32 v23, 0x900, v0
	s_delay_alu instid0(VALU_DEP_1)
	v_cmp_gt_i32_e32 vcc_lo, s8, v23
                                        ; implicit-def: $vgpr23
	s_and_saveexec_b32 s3, vcc_lo
	s_cbranch_execz .LBB147_133
; %bb.129:
	v_cmp_ne_u32_e32 vcc_lo, 1, v5
	v_dual_lshrrev_b32 v23, 16, v22 :: v_dual_lshrrev_b32 v24, 16, v21
	s_cbranch_vccnz .LBB147_221
; %bb.130:
	v_cmp_neq_f16_e32 vcc_lo, v22, v21
	s_delay_alu instid0(VALU_DEP_2)
	v_cmp_neq_f16_e64 s1, v23, v24
	s_or_b32 s6, vcc_lo, s1
	s_cbranch_execnz .LBB147_132
.LBB147_131:
	v_cmp_eq_f16_e32 vcc_lo, v22, v21
	s_delay_alu instid0(VALU_DEP_2) | instskip(SKIP_2) | instid1(SALU_CYCLE_1)
	v_cmp_eq_f16_e64 s1, v23, v24
	s_and_not1_b32 s6, s6, exec_lo
	s_and_b32 s1, vcc_lo, s1
	s_and_b32 s1, s1, exec_lo
	s_delay_alu instid0(SALU_CYCLE_1)
	s_or_b32 s6, s6, s1
.LBB147_132:
	s_delay_alu instid0(SALU_CYCLE_1)
	v_cndmask_b32_e64 v23, 0, 1, s6
.LBB147_133:
	s_or_b32 exec_lo, exec_lo, s3
	v_or_b32_e32 v21, 0xa00, v0
	s_delay_alu instid0(VALU_DEP_1)
	v_cmp_gt_i32_e32 vcc_lo, s8, v21
                                        ; implicit-def: $vgpr21
	s_and_saveexec_b32 s3, vcc_lo
	s_cbranch_execz .LBB147_138
; %bb.134:
	v_cmp_ne_u32_e32 vcc_lo, 1, v5
	v_dual_lshrrev_b32 v21, 16, v20 :: v_dual_lshrrev_b32 v22, 16, v19
	s_cbranch_vccnz .LBB147_222
; %bb.135:
	v_cmp_neq_f16_e32 vcc_lo, v20, v19
	s_delay_alu instid0(VALU_DEP_2)
	v_cmp_neq_f16_e64 s1, v21, v22
	s_or_b32 s6, vcc_lo, s1
	s_cbranch_execnz .LBB147_137
.LBB147_136:
	v_cmp_eq_f16_e32 vcc_lo, v20, v19
	s_delay_alu instid0(VALU_DEP_2) | instskip(SKIP_2) | instid1(SALU_CYCLE_1)
	v_cmp_eq_f16_e64 s1, v21, v22
	s_and_not1_b32 s6, s6, exec_lo
	s_and_b32 s1, vcc_lo, s1
	s_and_b32 s1, s1, exec_lo
	s_delay_alu instid0(SALU_CYCLE_1)
	s_or_b32 s6, s6, s1
.LBB147_137:
	s_delay_alu instid0(SALU_CYCLE_1)
	v_cndmask_b32_e64 v21, 0, 1, s6
.LBB147_138:
	s_or_b32 exec_lo, exec_lo, s3
	v_or_b32_e32 v19, 0xb00, v0
	s_delay_alu instid0(VALU_DEP_1)
	v_cmp_gt_i32_e32 vcc_lo, s8, v19
                                        ; implicit-def: $vgpr19
	s_and_saveexec_b32 s3, vcc_lo
	s_cbranch_execz .LBB147_143
; %bb.139:
	v_cmp_ne_u32_e32 vcc_lo, 1, v5
	v_dual_lshrrev_b32 v19, 16, v18 :: v_dual_lshrrev_b32 v20, 16, v17
	s_cbranch_vccnz .LBB147_223
; %bb.140:
	v_cmp_neq_f16_e32 vcc_lo, v18, v17
	s_delay_alu instid0(VALU_DEP_2)
	v_cmp_neq_f16_e64 s1, v19, v20
	s_or_b32 s6, vcc_lo, s1
	s_cbranch_execnz .LBB147_142
.LBB147_141:
	v_cmp_eq_f16_e32 vcc_lo, v18, v17
	s_delay_alu instid0(VALU_DEP_2) | instskip(SKIP_2) | instid1(SALU_CYCLE_1)
	v_cmp_eq_f16_e64 s1, v19, v20
	s_and_not1_b32 s6, s6, exec_lo
	s_and_b32 s1, vcc_lo, s1
	s_and_b32 s1, s1, exec_lo
	s_delay_alu instid0(SALU_CYCLE_1)
	s_or_b32 s6, s6, s1
.LBB147_142:
	s_delay_alu instid0(SALU_CYCLE_1)
	v_cndmask_b32_e64 v19, 0, 1, s6
.LBB147_143:
	s_or_b32 exec_lo, exec_lo, s3
	v_or_b32_e32 v17, 0xc00, v0
	s_delay_alu instid0(VALU_DEP_1)
	v_cmp_gt_i32_e32 vcc_lo, s8, v17
                                        ; implicit-def: $vgpr17
	s_and_saveexec_b32 s3, vcc_lo
	s_cbranch_execz .LBB147_148
; %bb.144:
	v_cmp_ne_u32_e32 vcc_lo, 1, v5
	v_dual_lshrrev_b32 v17, 16, v16 :: v_dual_lshrrev_b32 v18, 16, v15
	s_cbranch_vccnz .LBB147_224
; %bb.145:
	v_cmp_neq_f16_e32 vcc_lo, v16, v15
	s_delay_alu instid0(VALU_DEP_2)
	v_cmp_neq_f16_e64 s1, v17, v18
	s_or_b32 s6, vcc_lo, s1
	s_cbranch_execnz .LBB147_147
.LBB147_146:
	v_cmp_eq_f16_e32 vcc_lo, v16, v15
	s_delay_alu instid0(VALU_DEP_2) | instskip(SKIP_2) | instid1(SALU_CYCLE_1)
	v_cmp_eq_f16_e64 s1, v17, v18
	s_and_not1_b32 s6, s6, exec_lo
	s_and_b32 s1, vcc_lo, s1
	s_and_b32 s1, s1, exec_lo
	s_delay_alu instid0(SALU_CYCLE_1)
	s_or_b32 s6, s6, s1
.LBB147_147:
	s_delay_alu instid0(SALU_CYCLE_1)
	v_cndmask_b32_e64 v17, 0, 1, s6
.LBB147_148:
	s_or_b32 exec_lo, exec_lo, s3
	v_or_b32_e32 v15, 0xd00, v0
	s_delay_alu instid0(VALU_DEP_1)
	v_cmp_gt_i32_e32 vcc_lo, s8, v15
                                        ; implicit-def: $vgpr15
	s_and_saveexec_b32 s3, vcc_lo
	s_cbranch_execz .LBB147_153
; %bb.149:
	v_cmp_ne_u32_e32 vcc_lo, 1, v5
	v_dual_lshrrev_b32 v15, 16, v14 :: v_dual_lshrrev_b32 v16, 16, v13
	s_cbranch_vccnz .LBB147_225
; %bb.150:
	v_cmp_neq_f16_e32 vcc_lo, v14, v13
	s_delay_alu instid0(VALU_DEP_2)
	v_cmp_neq_f16_e64 s1, v15, v16
	s_or_b32 s6, vcc_lo, s1
	s_cbranch_execnz .LBB147_152
.LBB147_151:
	v_cmp_eq_f16_e32 vcc_lo, v14, v13
	s_delay_alu instid0(VALU_DEP_2) | instskip(SKIP_2) | instid1(SALU_CYCLE_1)
	v_cmp_eq_f16_e64 s1, v15, v16
	s_and_not1_b32 s6, s6, exec_lo
	s_and_b32 s1, vcc_lo, s1
	s_and_b32 s1, s1, exec_lo
	s_delay_alu instid0(SALU_CYCLE_1)
	s_or_b32 s6, s6, s1
.LBB147_152:
	s_delay_alu instid0(SALU_CYCLE_1)
	v_cndmask_b32_e64 v15, 0, 1, s6
.LBB147_153:
	s_or_b32 exec_lo, exec_lo, s3
	v_or_b32_e32 v13, 0xe00, v0
	s_delay_alu instid0(VALU_DEP_1)
	v_cmp_gt_i32_e32 vcc_lo, s8, v13
                                        ; implicit-def: $vgpr13
	s_and_saveexec_b32 s3, vcc_lo
	s_cbranch_execz .LBB147_158
; %bb.154:
	v_cmp_ne_u32_e32 vcc_lo, 1, v5
	v_dual_lshrrev_b32 v13, 16, v12 :: v_dual_lshrrev_b32 v14, 16, v11
	s_cbranch_vccnz .LBB147_226
; %bb.155:
	v_cmp_neq_f16_e32 vcc_lo, v12, v11
	s_delay_alu instid0(VALU_DEP_2)
	v_cmp_neq_f16_e64 s1, v13, v14
	s_or_b32 s6, vcc_lo, s1
	s_cbranch_execnz .LBB147_157
.LBB147_156:
	v_cmp_eq_f16_e32 vcc_lo, v12, v11
	s_delay_alu instid0(VALU_DEP_2) | instskip(SKIP_2) | instid1(SALU_CYCLE_1)
	v_cmp_eq_f16_e64 s1, v13, v14
	s_and_not1_b32 s6, s6, exec_lo
	s_and_b32 s1, vcc_lo, s1
	s_and_b32 s1, s1, exec_lo
	s_delay_alu instid0(SALU_CYCLE_1)
	s_or_b32 s6, s6, s1
.LBB147_157:
	s_delay_alu instid0(SALU_CYCLE_1)
	v_cndmask_b32_e64 v13, 0, 1, s6
.LBB147_158:
	s_or_b32 exec_lo, exec_lo, s3
	v_or_b32_e32 v11, 0xf00, v0
	s_delay_alu instid0(VALU_DEP_1)
	v_cmp_gt_i32_e32 vcc_lo, s8, v11
                                        ; implicit-def: $vgpr11
	s_and_saveexec_b32 s3, vcc_lo
	s_cbranch_execz .LBB147_163
; %bb.159:
	v_cmp_ne_u32_e32 vcc_lo, 1, v5
	v_dual_lshrrev_b32 v5, 16, v10 :: v_dual_lshrrev_b32 v11, 16, v9
	s_cbranch_vccnz .LBB147_227
; %bb.160:
	v_cmp_neq_f16_e32 vcc_lo, v10, v9
	s_delay_alu instid0(VALU_DEP_2)
	v_cmp_neq_f16_e64 s1, v5, v11
	s_or_b32 s6, vcc_lo, s1
	s_cbranch_execnz .LBB147_162
.LBB147_161:
	v_cmp_eq_f16_e32 vcc_lo, v10, v9
	s_delay_alu instid0(VALU_DEP_2) | instskip(SKIP_2) | instid1(SALU_CYCLE_1)
	v_cmp_eq_f16_e64 s1, v5, v11
	s_and_not1_b32 s6, s6, exec_lo
	s_and_b32 s1, vcc_lo, s1
	s_and_b32 s1, s1, exec_lo
	s_delay_alu instid0(SALU_CYCLE_1)
	s_or_b32 s6, s6, s1
.LBB147_162:
	s_delay_alu instid0(SALU_CYCLE_1)
	v_cndmask_b32_e64 v11, 0, 1, s6
.LBB147_163:
	s_or_b32 exec_lo, exec_lo, s3
	s_and_saveexec_b32 s1, s0
	s_delay_alu instid0(SALU_CYCLE_1)
	s_xor_b32 s0, exec_lo, s1
	s_cbranch_execz .LBB147_165
; %bb.164:
	v_mov_b32_e32 v0, v8
	global_store_b8 v1, v2, s[4:5]
.LBB147_165:
	s_wait_xcnt 0x0
	s_or_b32 exec_lo, exec_lo, s0
	s_delay_alu instid0(SALU_CYCLE_1)
	s_mov_b32 s0, exec_lo
	v_cmpx_gt_i32_e64 s8, v0
	s_cbranch_execnz .LBB147_181
; %bb.166:
	s_or_b32 exec_lo, exec_lo, s0
	s_delay_alu instid0(SALU_CYCLE_1)
	s_mov_b32 s0, exec_lo
	v_cmpx_gt_i32_e64 s8, v0
	s_cbranch_execnz .LBB147_182
.LBB147_167:
	s_or_b32 exec_lo, exec_lo, s0
	s_delay_alu instid0(SALU_CYCLE_1)
	s_mov_b32 s0, exec_lo
	v_cmpx_gt_i32_e64 s8, v0
	s_cbranch_execnz .LBB147_183
.LBB147_168:
	s_or_b32 exec_lo, exec_lo, s0
	s_delay_alu instid0(SALU_CYCLE_1)
	s_mov_b32 s0, exec_lo
	v_cmpx_gt_i32_e64 s8, v0
	s_cbranch_execnz .LBB147_184
.LBB147_169:
	s_or_b32 exec_lo, exec_lo, s0
	s_delay_alu instid0(SALU_CYCLE_1)
	s_mov_b32 s0, exec_lo
	v_cmpx_gt_i32_e64 s8, v0
	s_cbranch_execnz .LBB147_185
.LBB147_170:
	s_or_b32 exec_lo, exec_lo, s0
	s_delay_alu instid0(SALU_CYCLE_1)
	s_mov_b32 s0, exec_lo
	v_cmpx_gt_i32_e64 s8, v0
	s_cbranch_execnz .LBB147_186
.LBB147_171:
	s_or_b32 exec_lo, exec_lo, s0
	s_delay_alu instid0(SALU_CYCLE_1)
	s_mov_b32 s0, exec_lo
	v_cmpx_gt_i32_e64 s8, v0
	s_cbranch_execnz .LBB147_187
.LBB147_172:
	s_or_b32 exec_lo, exec_lo, s0
	s_delay_alu instid0(SALU_CYCLE_1)
	s_mov_b32 s0, exec_lo
	v_cmpx_gt_i32_e64 s8, v0
	s_cbranch_execnz .LBB147_188
.LBB147_173:
	s_or_b32 exec_lo, exec_lo, s0
	s_delay_alu instid0(SALU_CYCLE_1)
	s_mov_b32 s0, exec_lo
	v_cmpx_gt_i32_e64 s8, v0
	s_cbranch_execnz .LBB147_189
.LBB147_174:
	s_or_b32 exec_lo, exec_lo, s0
	s_delay_alu instid0(SALU_CYCLE_1)
	s_mov_b32 s0, exec_lo
	v_cmpx_gt_i32_e64 s8, v0
	s_cbranch_execnz .LBB147_190
.LBB147_175:
	s_or_b32 exec_lo, exec_lo, s0
	s_delay_alu instid0(SALU_CYCLE_1)
	s_mov_b32 s0, exec_lo
	v_cmpx_gt_i32_e64 s8, v0
	s_cbranch_execnz .LBB147_191
.LBB147_176:
	s_or_b32 exec_lo, exec_lo, s0
	s_delay_alu instid0(SALU_CYCLE_1)
	s_mov_b32 s0, exec_lo
	v_cmpx_gt_i32_e64 s8, v0
	s_cbranch_execnz .LBB147_192
.LBB147_177:
	s_or_b32 exec_lo, exec_lo, s0
	s_delay_alu instid0(SALU_CYCLE_1)
	s_mov_b32 s0, exec_lo
	v_cmpx_gt_i32_e64 s8, v0
	s_cbranch_execnz .LBB147_193
.LBB147_178:
	s_or_b32 exec_lo, exec_lo, s0
	s_delay_alu instid0(SALU_CYCLE_1)
	s_mov_b32 s0, exec_lo
	v_cmpx_gt_i32_e64 s8, v0
	s_cbranch_execnz .LBB147_194
.LBB147_179:
	s_or_b32 exec_lo, exec_lo, s0
	s_delay_alu instid0(SALU_CYCLE_1)
	s_mov_b32 s0, exec_lo
	v_cmpx_gt_i32_e64 s8, v0
	s_cbranch_execz .LBB147_195
.LBB147_180:
	v_add_nc_u32_e32 v0, s2, v0
	global_store_b8 v0, v11, s[4:5]
	s_endpgm
.LBB147_181:
	v_add_nc_u32_e32 v1, s2, v0
	v_add_nc_u32_e32 v0, 0x100, v0
	global_store_b8 v1, v4, s[4:5]
	s_wait_xcnt 0x0
	s_or_b32 exec_lo, exec_lo, s0
	s_delay_alu instid0(SALU_CYCLE_1)
	s_mov_b32 s0, exec_lo
	v_cmpx_gt_i32_e64 s8, v0
	s_cbranch_execz .LBB147_167
.LBB147_182:
	v_add_nc_u32_e32 v1, s2, v0
	v_add_nc_u32_e32 v0, 0x100, v0
	global_store_b8 v1, v6, s[4:5]
	s_wait_xcnt 0x0
	s_or_b32 exec_lo, exec_lo, s0
	s_delay_alu instid0(SALU_CYCLE_1)
	s_mov_b32 s0, exec_lo
	v_cmpx_gt_i32_e64 s8, v0
	s_cbranch_execz .LBB147_168
.LBB147_183:
	v_add_nc_u32_e32 v1, s2, v0
	v_add_nc_u32_e32 v0, 0x100, v0
	global_store_b8 v1, v3, s[4:5]
	s_wait_xcnt 0x0
	s_or_b32 exec_lo, exec_lo, s0
	s_delay_alu instid0(SALU_CYCLE_1)
	s_mov_b32 s0, exec_lo
	v_cmpx_gt_i32_e64 s8, v0
	s_cbranch_execz .LBB147_169
.LBB147_184:
	v_add_nc_u32_e32 v1, s2, v0
	v_add_nc_u32_e32 v0, 0x100, v0
	global_store_b8 v1, v7, s[4:5]
	s_wait_xcnt 0x0
	s_or_b32 exec_lo, exec_lo, s0
	s_delay_alu instid0(SALU_CYCLE_1)
	s_mov_b32 s0, exec_lo
	v_cmpx_gt_i32_e64 s8, v0
	s_cbranch_execz .LBB147_170
.LBB147_185:
	v_add_nc_u32_e32 v1, s2, v0
	v_add_nc_u32_e32 v0, 0x100, v0
	global_store_b8 v1, v31, s[4:5]
	s_wait_xcnt 0x0
	s_or_b32 exec_lo, exec_lo, s0
	s_delay_alu instid0(SALU_CYCLE_1)
	s_mov_b32 s0, exec_lo
	v_cmpx_gt_i32_e64 s8, v0
	s_cbranch_execz .LBB147_171
.LBB147_186:
	v_add_nc_u32_e32 v1, s2, v0
	v_add_nc_u32_e32 v0, 0x100, v0
	global_store_b8 v1, v29, s[4:5]
	s_wait_xcnt 0x0
	s_or_b32 exec_lo, exec_lo, s0
	s_delay_alu instid0(SALU_CYCLE_1)
	s_mov_b32 s0, exec_lo
	v_cmpx_gt_i32_e64 s8, v0
	s_cbranch_execz .LBB147_172
.LBB147_187:
	v_add_nc_u32_e32 v1, s2, v0
	v_add_nc_u32_e32 v0, 0x100, v0
	global_store_b8 v1, v27, s[4:5]
	s_wait_xcnt 0x0
	s_or_b32 exec_lo, exec_lo, s0
	s_delay_alu instid0(SALU_CYCLE_1)
	s_mov_b32 s0, exec_lo
	v_cmpx_gt_i32_e64 s8, v0
	s_cbranch_execz .LBB147_173
.LBB147_188:
	v_add_nc_u32_e32 v1, s2, v0
	v_add_nc_u32_e32 v0, 0x100, v0
	global_store_b8 v1, v25, s[4:5]
	s_wait_xcnt 0x0
	s_or_b32 exec_lo, exec_lo, s0
	s_delay_alu instid0(SALU_CYCLE_1)
	s_mov_b32 s0, exec_lo
	v_cmpx_gt_i32_e64 s8, v0
	s_cbranch_execz .LBB147_174
.LBB147_189:
	v_add_nc_u32_e32 v1, s2, v0
	v_add_nc_u32_e32 v0, 0x100, v0
	global_store_b8 v1, v23, s[4:5]
	s_wait_xcnt 0x0
	s_or_b32 exec_lo, exec_lo, s0
	s_delay_alu instid0(SALU_CYCLE_1)
	s_mov_b32 s0, exec_lo
	v_cmpx_gt_i32_e64 s8, v0
	s_cbranch_execz .LBB147_175
.LBB147_190:
	v_add_nc_u32_e32 v1, s2, v0
	v_add_nc_u32_e32 v0, 0x100, v0
	global_store_b8 v1, v21, s[4:5]
	s_wait_xcnt 0x0
	s_or_b32 exec_lo, exec_lo, s0
	s_delay_alu instid0(SALU_CYCLE_1)
	s_mov_b32 s0, exec_lo
	v_cmpx_gt_i32_e64 s8, v0
	s_cbranch_execz .LBB147_176
.LBB147_191:
	v_add_nc_u32_e32 v1, s2, v0
	v_add_nc_u32_e32 v0, 0x100, v0
	global_store_b8 v1, v19, s[4:5]
	s_wait_xcnt 0x0
	s_or_b32 exec_lo, exec_lo, s0
	s_delay_alu instid0(SALU_CYCLE_1)
	s_mov_b32 s0, exec_lo
	v_cmpx_gt_i32_e64 s8, v0
	s_cbranch_execz .LBB147_177
.LBB147_192:
	v_add_nc_u32_e32 v1, s2, v0
	v_add_nc_u32_e32 v0, 0x100, v0
	global_store_b8 v1, v17, s[4:5]
	s_wait_xcnt 0x0
	s_or_b32 exec_lo, exec_lo, s0
	s_delay_alu instid0(SALU_CYCLE_1)
	s_mov_b32 s0, exec_lo
	v_cmpx_gt_i32_e64 s8, v0
	s_cbranch_execz .LBB147_178
.LBB147_193:
	v_add_nc_u32_e32 v1, s2, v0
	v_add_nc_u32_e32 v0, 0x100, v0
	global_store_b8 v1, v15, s[4:5]
	s_wait_xcnt 0x0
	s_or_b32 exec_lo, exec_lo, s0
	s_delay_alu instid0(SALU_CYCLE_1)
	s_mov_b32 s0, exec_lo
	v_cmpx_gt_i32_e64 s8, v0
	s_cbranch_execz .LBB147_179
.LBB147_194:
	v_add_nc_u32_e32 v1, s2, v0
	v_add_nc_u32_e32 v0, 0x100, v0
	global_store_b8 v1, v13, s[4:5]
	s_wait_xcnt 0x0
	s_or_b32 exec_lo, exec_lo, s0
	s_delay_alu instid0(SALU_CYCLE_1)
	s_mov_b32 s0, exec_lo
	v_cmpx_gt_i32_e64 s8, v0
	s_cbranch_execnz .LBB147_180
.LBB147_195:
	s_endpgm
.LBB147_196:
	s_wait_xcnt 0x0
                                        ; implicit-def: $sgpr1
	s_branch .LBB147_3
.LBB147_197:
                                        ; implicit-def: $sgpr12
	s_branch .LBB147_6
.LBB147_198:
                                        ; implicit-def: $sgpr13
	s_branch .LBB147_9
.LBB147_199:
                                        ; implicit-def: $sgpr14
	s_branch .LBB147_12
.LBB147_200:
                                        ; implicit-def: $sgpr15
	s_branch .LBB147_15
.LBB147_201:
                                        ; implicit-def: $sgpr16
	s_branch .LBB147_18
.LBB147_202:
                                        ; implicit-def: $sgpr17
	s_branch .LBB147_21
.LBB147_203:
                                        ; implicit-def: $sgpr18
	s_branch .LBB147_24
.LBB147_204:
                                        ; implicit-def: $sgpr19
	s_branch .LBB147_27
.LBB147_205:
                                        ; implicit-def: $sgpr20
	s_branch .LBB147_30
.LBB147_206:
                                        ; implicit-def: $sgpr21
	s_branch .LBB147_33
.LBB147_207:
                                        ; implicit-def: $sgpr22
	s_branch .LBB147_36
.LBB147_208:
                                        ; implicit-def: $sgpr23
	s_branch .LBB147_39
.LBB147_209:
                                        ; implicit-def: $sgpr24
	s_branch .LBB147_42
.LBB147_210:
                                        ; implicit-def: $sgpr25
	s_branch .LBB147_45
.LBB147_211:
                                        ; implicit-def: $sgpr26
	s_branch .LBB147_48
.LBB147_212:
                                        ; implicit-def: $sgpr7
	s_branch .LBB147_86
.LBB147_213:
                                        ; implicit-def: $sgpr3
	s_branch .LBB147_91
.LBB147_214:
                                        ; implicit-def: $sgpr6
	s_branch .LBB147_96
.LBB147_215:
                                        ; implicit-def: $sgpr6
	s_branch .LBB147_101
.LBB147_216:
                                        ; implicit-def: $sgpr6
	s_branch .LBB147_106
.LBB147_217:
                                        ; implicit-def: $sgpr6
	s_branch .LBB147_111
.LBB147_218:
                                        ; implicit-def: $sgpr6
	s_branch .LBB147_116
.LBB147_219:
                                        ; implicit-def: $sgpr6
	s_branch .LBB147_121
.LBB147_220:
                                        ; implicit-def: $sgpr6
	s_branch .LBB147_126
.LBB147_221:
                                        ; implicit-def: $sgpr6
	s_branch .LBB147_131
.LBB147_222:
                                        ; implicit-def: $sgpr6
	s_branch .LBB147_136
.LBB147_223:
                                        ; implicit-def: $sgpr6
	s_branch .LBB147_141
.LBB147_224:
                                        ; implicit-def: $sgpr6
	s_branch .LBB147_146
.LBB147_225:
                                        ; implicit-def: $sgpr6
	s_branch .LBB147_151
.LBB147_226:
                                        ; implicit-def: $sgpr6
	s_branch .LBB147_156
.LBB147_227:
                                        ; implicit-def: $sgpr6
	s_branch .LBB147_161
	.section	.rodata,"a",@progbits
	.p2align	6, 0x0
	.amdhsa_kernel _ZN2at6native29vectorized_elementwise_kernelILi2ENS0_13BinaryFunctorIN3c107complexINS3_4HalfEEES6_bNS0_12_GLOBAL__N_116CompareEqFunctorIS6_EEEESt5arrayIPcLm3EEEEviT0_T1_
		.amdhsa_group_segment_fixed_size 0
		.amdhsa_private_segment_fixed_size 0
		.amdhsa_kernarg_size 32
		.amdhsa_user_sgpr_count 2
		.amdhsa_user_sgpr_dispatch_ptr 0
		.amdhsa_user_sgpr_queue_ptr 0
		.amdhsa_user_sgpr_kernarg_segment_ptr 1
		.amdhsa_user_sgpr_dispatch_id 0
		.amdhsa_user_sgpr_kernarg_preload_length 0
		.amdhsa_user_sgpr_kernarg_preload_offset 0
		.amdhsa_user_sgpr_private_segment_size 0
		.amdhsa_wavefront_size32 1
		.amdhsa_uses_dynamic_stack 0
		.amdhsa_enable_private_segment 0
		.amdhsa_system_sgpr_workgroup_id_x 1
		.amdhsa_system_sgpr_workgroup_id_y 0
		.amdhsa_system_sgpr_workgroup_id_z 0
		.amdhsa_system_sgpr_workgroup_info 0
		.amdhsa_system_vgpr_workitem_id 0
		.amdhsa_next_free_vgpr 39
		.amdhsa_next_free_sgpr 27
		.amdhsa_named_barrier_count 0
		.amdhsa_reserve_vcc 1
		.amdhsa_float_round_mode_32 0
		.amdhsa_float_round_mode_16_64 0
		.amdhsa_float_denorm_mode_32 3
		.amdhsa_float_denorm_mode_16_64 3
		.amdhsa_fp16_overflow 0
		.amdhsa_memory_ordered 1
		.amdhsa_forward_progress 1
		.amdhsa_inst_pref_size 57
		.amdhsa_round_robin_scheduling 0
		.amdhsa_exception_fp_ieee_invalid_op 0
		.amdhsa_exception_fp_denorm_src 0
		.amdhsa_exception_fp_ieee_div_zero 0
		.amdhsa_exception_fp_ieee_overflow 0
		.amdhsa_exception_fp_ieee_underflow 0
		.amdhsa_exception_fp_ieee_inexact 0
		.amdhsa_exception_int_div_zero 0
	.end_amdhsa_kernel
	.section	.text._ZN2at6native29vectorized_elementwise_kernelILi2ENS0_13BinaryFunctorIN3c107complexINS3_4HalfEEES6_bNS0_12_GLOBAL__N_116CompareEqFunctorIS6_EEEESt5arrayIPcLm3EEEEviT0_T1_,"axG",@progbits,_ZN2at6native29vectorized_elementwise_kernelILi2ENS0_13BinaryFunctorIN3c107complexINS3_4HalfEEES6_bNS0_12_GLOBAL__N_116CompareEqFunctorIS6_EEEESt5arrayIPcLm3EEEEviT0_T1_,comdat
.Lfunc_end147:
	.size	_ZN2at6native29vectorized_elementwise_kernelILi2ENS0_13BinaryFunctorIN3c107complexINS3_4HalfEEES6_bNS0_12_GLOBAL__N_116CompareEqFunctorIS6_EEEESt5arrayIPcLm3EEEEviT0_T1_, .Lfunc_end147-_ZN2at6native29vectorized_elementwise_kernelILi2ENS0_13BinaryFunctorIN3c107complexINS3_4HalfEEES6_bNS0_12_GLOBAL__N_116CompareEqFunctorIS6_EEEESt5arrayIPcLm3EEEEviT0_T1_
                                        ; -- End function
	.set _ZN2at6native29vectorized_elementwise_kernelILi2ENS0_13BinaryFunctorIN3c107complexINS3_4HalfEEES6_bNS0_12_GLOBAL__N_116CompareEqFunctorIS6_EEEESt5arrayIPcLm3EEEEviT0_T1_.num_vgpr, 39
	.set _ZN2at6native29vectorized_elementwise_kernelILi2ENS0_13BinaryFunctorIN3c107complexINS3_4HalfEEES6_bNS0_12_GLOBAL__N_116CompareEqFunctorIS6_EEEESt5arrayIPcLm3EEEEviT0_T1_.num_agpr, 0
	.set _ZN2at6native29vectorized_elementwise_kernelILi2ENS0_13BinaryFunctorIN3c107complexINS3_4HalfEEES6_bNS0_12_GLOBAL__N_116CompareEqFunctorIS6_EEEESt5arrayIPcLm3EEEEviT0_T1_.numbered_sgpr, 27
	.set _ZN2at6native29vectorized_elementwise_kernelILi2ENS0_13BinaryFunctorIN3c107complexINS3_4HalfEEES6_bNS0_12_GLOBAL__N_116CompareEqFunctorIS6_EEEESt5arrayIPcLm3EEEEviT0_T1_.num_named_barrier, 0
	.set _ZN2at6native29vectorized_elementwise_kernelILi2ENS0_13BinaryFunctorIN3c107complexINS3_4HalfEEES6_bNS0_12_GLOBAL__N_116CompareEqFunctorIS6_EEEESt5arrayIPcLm3EEEEviT0_T1_.private_seg_size, 0
	.set _ZN2at6native29vectorized_elementwise_kernelILi2ENS0_13BinaryFunctorIN3c107complexINS3_4HalfEEES6_bNS0_12_GLOBAL__N_116CompareEqFunctorIS6_EEEESt5arrayIPcLm3EEEEviT0_T1_.uses_vcc, 1
	.set _ZN2at6native29vectorized_elementwise_kernelILi2ENS0_13BinaryFunctorIN3c107complexINS3_4HalfEEES6_bNS0_12_GLOBAL__N_116CompareEqFunctorIS6_EEEESt5arrayIPcLm3EEEEviT0_T1_.uses_flat_scratch, 0
	.set _ZN2at6native29vectorized_elementwise_kernelILi2ENS0_13BinaryFunctorIN3c107complexINS3_4HalfEEES6_bNS0_12_GLOBAL__N_116CompareEqFunctorIS6_EEEESt5arrayIPcLm3EEEEviT0_T1_.has_dyn_sized_stack, 0
	.set _ZN2at6native29vectorized_elementwise_kernelILi2ENS0_13BinaryFunctorIN3c107complexINS3_4HalfEEES6_bNS0_12_GLOBAL__N_116CompareEqFunctorIS6_EEEESt5arrayIPcLm3EEEEviT0_T1_.has_recursion, 0
	.set _ZN2at6native29vectorized_elementwise_kernelILi2ENS0_13BinaryFunctorIN3c107complexINS3_4HalfEEES6_bNS0_12_GLOBAL__N_116CompareEqFunctorIS6_EEEESt5arrayIPcLm3EEEEviT0_T1_.has_indirect_call, 0
	.section	.AMDGPU.csdata,"",@progbits
; Kernel info:
; codeLenInByte = 7264
; TotalNumSgprs: 29
; NumVgprs: 39
; ScratchSize: 0
; MemoryBound: 0
; FloatMode: 240
; IeeeMode: 1
; LDSByteSize: 0 bytes/workgroup (compile time only)
; SGPRBlocks: 0
; VGPRBlocks: 2
; NumSGPRsForWavesPerEU: 29
; NumVGPRsForWavesPerEU: 39
; NamedBarCnt: 0
; Occupancy: 16
; WaveLimiterHint : 1
; COMPUTE_PGM_RSRC2:SCRATCH_EN: 0
; COMPUTE_PGM_RSRC2:USER_SGPR: 2
; COMPUTE_PGM_RSRC2:TRAP_HANDLER: 0
; COMPUTE_PGM_RSRC2:TGID_X_EN: 1
; COMPUTE_PGM_RSRC2:TGID_Y_EN: 0
; COMPUTE_PGM_RSRC2:TGID_Z_EN: 0
; COMPUTE_PGM_RSRC2:TIDIG_COMP_CNT: 0
	.section	.text._ZN2at6native27unrolled_elementwise_kernelINS0_13BinaryFunctorIN3c107complexINS3_4HalfEEES6_bNS0_12_GLOBAL__N_116CompareEqFunctorIS6_EEEESt5arrayIPcLm3EELi4E23TrivialOffsetCalculatorILi2EjESE_ILi1EjENS0_6memory15LoadWithoutCastENSH_16StoreWithoutCastEEEviT_T0_T2_T3_T4_T5_,"axG",@progbits,_ZN2at6native27unrolled_elementwise_kernelINS0_13BinaryFunctorIN3c107complexINS3_4HalfEEES6_bNS0_12_GLOBAL__N_116CompareEqFunctorIS6_EEEESt5arrayIPcLm3EELi4E23TrivialOffsetCalculatorILi2EjESE_ILi1EjENS0_6memory15LoadWithoutCastENSH_16StoreWithoutCastEEEviT_T0_T2_T3_T4_T5_,comdat
	.globl	_ZN2at6native27unrolled_elementwise_kernelINS0_13BinaryFunctorIN3c107complexINS3_4HalfEEES6_bNS0_12_GLOBAL__N_116CompareEqFunctorIS6_EEEESt5arrayIPcLm3EELi4E23TrivialOffsetCalculatorILi2EjESE_ILi1EjENS0_6memory15LoadWithoutCastENSH_16StoreWithoutCastEEEviT_T0_T2_T3_T4_T5_ ; -- Begin function _ZN2at6native27unrolled_elementwise_kernelINS0_13BinaryFunctorIN3c107complexINS3_4HalfEEES6_bNS0_12_GLOBAL__N_116CompareEqFunctorIS6_EEEESt5arrayIPcLm3EELi4E23TrivialOffsetCalculatorILi2EjESE_ILi1EjENS0_6memory15LoadWithoutCastENSH_16StoreWithoutCastEEEviT_T0_T2_T3_T4_T5_
	.p2align	8
	.type	_ZN2at6native27unrolled_elementwise_kernelINS0_13BinaryFunctorIN3c107complexINS3_4HalfEEES6_bNS0_12_GLOBAL__N_116CompareEqFunctorIS6_EEEESt5arrayIPcLm3EELi4E23TrivialOffsetCalculatorILi2EjESE_ILi1EjENS0_6memory15LoadWithoutCastENSH_16StoreWithoutCastEEEviT_T0_T2_T3_T4_T5_,@function
_ZN2at6native27unrolled_elementwise_kernelINS0_13BinaryFunctorIN3c107complexINS3_4HalfEEES6_bNS0_12_GLOBAL__N_116CompareEqFunctorIS6_EEEESt5arrayIPcLm3EELi4E23TrivialOffsetCalculatorILi2EjESE_ILi1EjENS0_6memory15LoadWithoutCastENSH_16StoreWithoutCastEEEviT_T0_T2_T3_T4_T5_: ; @_ZN2at6native27unrolled_elementwise_kernelINS0_13BinaryFunctorIN3c107complexINS3_4HalfEEES6_bNS0_12_GLOBAL__N_116CompareEqFunctorIS6_EEEESt5arrayIPcLm3EELi4E23TrivialOffsetCalculatorILi2EjESE_ILi1EjENS0_6memory15LoadWithoutCastENSH_16StoreWithoutCastEEEviT_T0_T2_T3_T4_T5_
; %bb.0:
	s_load_b64 s[2:3], s[0:1], 0x0
	s_bfe_u32 s11, ttmp6, 0x4000c
	s_clause 0x1
	s_load_b128 s[4:7], s[0:1], 0x8
	s_load_b64 s[8:9], s[0:1], 0x18
	s_add_co_i32 s11, s11, 1
	s_and_b32 s10, ttmp6, 15
	s_wait_xcnt 0x0
	s_mul_i32 s0, ttmp9, s11
	s_getreg_b32 s12, hwreg(HW_REG_IB_STS2, 6, 4)
	s_add_co_i32 s10, s10, s0
	s_cmp_eq_u32 s12, 0
	v_dual_mov_b32 v1, 0 :: v_dual_mov_b32 v5, 0
	s_cselect_b32 s0, ttmp9, s10
	v_dual_mov_b32 v4, 0 :: v_dual_mov_b32 v6, 0
	s_lshl_b32 s10, s0, 10
	v_dual_mov_b32 v7, 0 :: v_dual_mov_b32 v8, 0
	v_dual_mov_b32 v9, 0 :: v_dual_bitop2_b32 v3, s10, v0 bitop3:0x54
	v_or_b32_e32 v2, 0x100, v0
	s_wait_kmcnt 0x0
	s_sub_co_i32 s2, s2, s10
	v_dual_mov_b32 v10, 0 :: v_dual_mov_b32 v11, 0
	v_cmp_gt_i32_e64 s0, s2, v0
	s_and_saveexec_b32 s1, s0
	s_cbranch_execz .LBB148_8
; %bb.1:
	s_clause 0x1
	global_load_b32 v10, v3, s[6:7] scale_offset
	global_load_b32 v11, v3, s[8:9] scale_offset
	v_or_b32_e32 v12, 0x100, v0
	v_dual_mov_b32 v9, 0 :: v_dual_mov_b32 v8, 0
	v_dual_mov_b32 v7, 0 :: v_dual_mov_b32 v6, 0
	;; [unrolled: 1-line block ×3, first 2 shown]
	s_mov_b32 s11, exec_lo
	s_wait_xcnt 0x0
	v_cmpx_gt_u32_e64 s2, v12
	s_cbranch_execz .LBB148_7
; %bb.2:
	v_dual_mov_b32 v7, 0 :: v_dual_add_nc_u32 v4, s10, v12
	v_or_b32_e32 v12, 0x200, v0
	v_dual_mov_b32 v6, 0 :: v_dual_mov_b32 v5, 0
	s_clause 0x1
	global_load_b32 v8, v4, s[6:7] scale_offset
	global_load_b32 v9, v4, s[8:9] scale_offset
	s_wait_xcnt 0x0
	v_mov_b32_e32 v4, 0
	s_mov_b32 s12, exec_lo
	v_cmpx_gt_u32_e64 s2, v12
	s_cbranch_execz .LBB148_6
; %bb.3:
	v_dual_mov_b32 v5, 0 :: v_dual_add_nc_u32 v4, s10, v12
	v_or_b32_e32 v12, 0x300, v0
	s_mov_b32 s13, exec_lo
	s_clause 0x1
	global_load_b32 v6, v4, s[6:7] scale_offset
	global_load_b32 v7, v4, s[8:9] scale_offset
	s_wait_xcnt 0x0
	v_mov_b32_e32 v4, 0
	v_cmpx_gt_u32_e64 s2, v12
	s_cbranch_execz .LBB148_5
; %bb.4:
	v_add_nc_u32_e32 v12, s10, v12
	s_clause 0x1
	global_load_b32 v5, v12, s[6:7] scale_offset
	global_load_b32 v4, v12, s[8:9] scale_offset
.LBB148_5:
	s_wait_xcnt 0x0
	s_or_b32 exec_lo, exec_lo, s13
.LBB148_6:
	s_delay_alu instid0(SALU_CYCLE_1)
	s_or_b32 exec_lo, exec_lo, s12
.LBB148_7:
	s_delay_alu instid0(SALU_CYCLE_1)
	s_or_b32 exec_lo, exec_lo, s11
.LBB148_8:
	s_delay_alu instid0(SALU_CYCLE_1)
	s_or_b32 exec_lo, exec_lo, s1
	s_cmp_lg_u32 s3, 0
	s_cselect_b32 s3, -1, 0
	s_and_saveexec_b32 s6, s0
	s_cbranch_execz .LBB148_13
; %bb.9:
	s_wait_loadcnt 0x0
	v_dual_lshrrev_b32 v1, 16, v10 :: v_dual_lshrrev_b32 v12, 16, v11
	s_and_b32 vcc_lo, exec_lo, s3
	s_cbranch_vccz .LBB148_37
; %bb.10:
	v_cmp_neq_f16_e32 vcc_lo, v10, v11
	s_delay_alu instid0(VALU_DEP_2)
	v_cmp_neq_f16_e64 s1, v1, v12
	s_or_b32 s7, vcc_lo, s1
	s_cbranch_execnz .LBB148_12
.LBB148_11:
	v_cmp_eq_f16_e32 vcc_lo, v10, v11
	v_cmp_eq_f16_e64 s1, v1, v12
	s_and_not1_b32 s7, s7, exec_lo
	s_and_b32 s1, vcc_lo, s1
	s_delay_alu instid0(SALU_CYCLE_1) | instskip(NEXT) | instid1(SALU_CYCLE_1)
	s_and_b32 s1, s1, exec_lo
	s_or_b32 s7, s7, s1
.LBB148_12:
	s_delay_alu instid0(SALU_CYCLE_1)
	v_cndmask_b32_e64 v1, 0, 1, s7
.LBB148_13:
	s_or_b32 exec_lo, exec_lo, s6
	s_wait_loadcnt 0x1
	v_cndmask_b32_e64 v10, 0, 1, s3
	s_mov_b32 s6, exec_lo
	v_cmpx_gt_i32_e64 s2, v2
	s_cbranch_execz .LBB148_18
; %bb.14:
	s_wait_loadcnt 0x0
	v_dual_lshrrev_b32 v11, 16, v8 :: v_dual_lshrrev_b32 v12, 16, v9
	s_and_not1_b32 vcc_lo, exec_lo, s3
	s_cbranch_vccnz .LBB148_38
; %bb.15:
	v_cmp_neq_f16_e32 vcc_lo, v8, v9
	s_delay_alu instid0(VALU_DEP_2)
	v_cmp_neq_f16_e64 s1, v11, v12
	s_or_b32 s3, vcc_lo, s1
	s_cbranch_execnz .LBB148_17
.LBB148_16:
	v_cmp_eq_f16_e32 vcc_lo, v8, v9
	v_cmp_eq_f16_e64 s1, v11, v12
	s_and_not1_b32 s3, s3, exec_lo
	s_and_b32 s1, vcc_lo, s1
	s_delay_alu instid0(SALU_CYCLE_1) | instskip(NEXT) | instid1(SALU_CYCLE_1)
	s_and_b32 s1, s1, exec_lo
	s_or_b32 s3, s3, s1
.LBB148_17:
	s_delay_alu instid0(SALU_CYCLE_1) | instskip(NEXT) | instid1(VALU_DEP_1)
	v_cndmask_b32_e64 v8, 0, 1, s3
	v_lshlrev_b16 v8, 8, v8
	s_delay_alu instid0(VALU_DEP_1) | instskip(NEXT) | instid1(VALU_DEP_1)
	v_or_b32_e32 v1, v1, v8
	v_and_b32_e32 v1, 0xffff, v1
.LBB148_18:
	s_or_b32 exec_lo, exec_lo, s6
	v_or_b32_e32 v8, 0x200, v0
	s_mov_b32 s3, exec_lo
	s_delay_alu instid0(VALU_DEP_1)
	v_cmpx_gt_i32_e64 s2, v8
	s_cbranch_execz .LBB148_23
; %bb.19:
	v_cmp_ne_u32_e32 vcc_lo, 1, v10
	s_wait_loadcnt 0x0
	v_dual_lshrrev_b32 v8, 16, v6 :: v_dual_lshrrev_b32 v9, 16, v7
	s_cbranch_vccnz .LBB148_39
; %bb.20:
	v_cmp_neq_f16_e32 vcc_lo, v6, v7
	s_delay_alu instid0(VALU_DEP_2)
	v_cmp_neq_f16_e64 s1, v8, v9
	s_or_b32 s6, vcc_lo, s1
	s_cbranch_execnz .LBB148_22
.LBB148_21:
	v_cmp_eq_f16_e32 vcc_lo, v6, v7
	s_delay_alu instid0(VALU_DEP_2) | instskip(SKIP_2) | instid1(SALU_CYCLE_1)
	v_cmp_eq_f16_e64 s1, v8, v9
	s_and_not1_b32 s6, s6, exec_lo
	s_and_b32 s1, vcc_lo, s1
	s_and_b32 s1, s1, exec_lo
	s_delay_alu instid0(SALU_CYCLE_1)
	s_or_b32 s6, s6, s1
.LBB148_22:
	s_delay_alu instid0(SALU_CYCLE_1) | instskip(NEXT) | instid1(VALU_DEP_1)
	v_cndmask_b32_e64 v6, 0, 1, s6
	v_lshl_or_b32 v1, v6, 16, v1
.LBB148_23:
	s_or_b32 exec_lo, exec_lo, s3
	v_or_b32_e32 v6, 0x300, v0
	s_mov_b32 s3, exec_lo
	s_delay_alu instid0(VALU_DEP_1)
	v_cmpx_gt_i32_e64 s2, v6
	s_cbranch_execz .LBB148_28
; %bb.24:
	v_cmp_ne_u32_e32 vcc_lo, 1, v10
	s_wait_loadcnt 0x0
	v_dual_lshrrev_b32 v6, 16, v5 :: v_dual_lshrrev_b32 v7, 16, v4
	s_cbranch_vccnz .LBB148_40
; %bb.25:
	v_cmp_neq_f16_e32 vcc_lo, v5, v4
	s_delay_alu instid0(VALU_DEP_2)
	v_cmp_neq_f16_e64 s1, v6, v7
	s_or_b32 s6, vcc_lo, s1
	s_cbranch_execnz .LBB148_27
.LBB148_26:
	v_cmp_eq_f16_e32 vcc_lo, v5, v4
	s_delay_alu instid0(VALU_DEP_2) | instskip(SKIP_2) | instid1(SALU_CYCLE_1)
	v_cmp_eq_f16_e64 s1, v6, v7
	s_and_not1_b32 s6, s6, exec_lo
	s_and_b32 s1, vcc_lo, s1
	s_and_b32 s1, s1, exec_lo
	s_delay_alu instid0(SALU_CYCLE_1)
	s_or_b32 s6, s6, s1
.LBB148_27:
	s_delay_alu instid0(SALU_CYCLE_1) | instskip(SKIP_1) | instid1(VALU_DEP_2)
	v_cndmask_b32_e64 v4, 0, 1, s6
	v_lshrrev_b32_e32 v5, 16, v1
	v_lshlrev_b16 v4, 8, v4
	s_delay_alu instid0(VALU_DEP_1) | instskip(NEXT) | instid1(VALU_DEP_1)
	v_or_b32_e32 v4, v5, v4
	v_lshlrev_b32_e32 v4, 16, v4
	s_delay_alu instid0(VALU_DEP_1)
	v_and_or_b32 v1, 0xffff, v1, v4
.LBB148_28:
	s_or_b32 exec_lo, exec_lo, s3
	s_and_saveexec_b32 s1, s0
	s_delay_alu instid0(SALU_CYCLE_1)
	s_xor_b32 s0, exec_lo, s1
	s_cbranch_execz .LBB148_30
; %bb.29:
	v_mov_b32_e32 v0, v2
	global_store_b8 v3, v1, s[4:5]
.LBB148_30:
	s_wait_xcnt 0x0
	s_or_b32 exec_lo, exec_lo, s0
	s_delay_alu instid0(SALU_CYCLE_1)
	s_mov_b32 s0, exec_lo
	v_cmpx_gt_i32_e64 s2, v0
	s_cbranch_execnz .LBB148_34
; %bb.31:
	s_or_b32 exec_lo, exec_lo, s0
	s_delay_alu instid0(SALU_CYCLE_1)
	s_mov_b32 s0, exec_lo
	v_cmpx_gt_i32_e64 s2, v0
	s_cbranch_execnz .LBB148_35
.LBB148_32:
	s_or_b32 exec_lo, exec_lo, s0
	s_delay_alu instid0(SALU_CYCLE_1)
	s_mov_b32 s0, exec_lo
	v_cmpx_gt_i32_e64 s2, v0
	s_cbranch_execnz .LBB148_36
.LBB148_33:
	s_endpgm
.LBB148_34:
	v_add_nc_u32_e32 v2, 0x100, v0
	s_wait_loadcnt 0x0
	v_dual_add_nc_u32 v3, s10, v0 :: v_dual_lshrrev_b32 v4, 8, v1
	s_delay_alu instid0(VALU_DEP_2) | instskip(SKIP_3) | instid1(SALU_CYCLE_1)
	v_mov_b32_e32 v0, v2
	global_store_b8 v3, v4, s[4:5]
	s_wait_xcnt 0x0
	s_or_b32 exec_lo, exec_lo, s0
	s_mov_b32 s0, exec_lo
	v_cmpx_gt_i32_e64 s2, v0
	s_cbranch_execz .LBB148_32
.LBB148_35:
	v_add_nc_u32_e32 v2, 0x100, v0
	s_delay_alu instid0(VALU_DEP_1) | instskip(SKIP_3) | instid1(SALU_CYCLE_1)
	v_dual_mov_b32 v0, v2 :: v_dual_add_nc_u32 v3, s10, v0
	global_store_d16_hi_b8 v3, v1, s[4:5]
	s_wait_xcnt 0x0
	s_or_b32 exec_lo, exec_lo, s0
	s_mov_b32 s0, exec_lo
	v_cmpx_gt_i32_e64 s2, v0
	s_cbranch_execz .LBB148_33
.LBB148_36:
	v_dual_add_nc_u32 v0, s10, v0 :: v_dual_lshrrev_b32 v1, 24, v1
	global_store_b8 v0, v1, s[4:5]
	s_endpgm
.LBB148_37:
                                        ; implicit-def: $sgpr7
	s_branch .LBB148_11
.LBB148_38:
                                        ; implicit-def: $sgpr3
	s_branch .LBB148_16
.LBB148_39:
                                        ; implicit-def: $sgpr6
	s_branch .LBB148_21
.LBB148_40:
                                        ; implicit-def: $sgpr6
	s_branch .LBB148_26
	.section	.rodata,"a",@progbits
	.p2align	6, 0x0
	.amdhsa_kernel _ZN2at6native27unrolled_elementwise_kernelINS0_13BinaryFunctorIN3c107complexINS3_4HalfEEES6_bNS0_12_GLOBAL__N_116CompareEqFunctorIS6_EEEESt5arrayIPcLm3EELi4E23TrivialOffsetCalculatorILi2EjESE_ILi1EjENS0_6memory15LoadWithoutCastENSH_16StoreWithoutCastEEEviT_T0_T2_T3_T4_T5_
		.amdhsa_group_segment_fixed_size 0
		.amdhsa_private_segment_fixed_size 0
		.amdhsa_kernarg_size 36
		.amdhsa_user_sgpr_count 2
		.amdhsa_user_sgpr_dispatch_ptr 0
		.amdhsa_user_sgpr_queue_ptr 0
		.amdhsa_user_sgpr_kernarg_segment_ptr 1
		.amdhsa_user_sgpr_dispatch_id 0
		.amdhsa_user_sgpr_kernarg_preload_length 0
		.amdhsa_user_sgpr_kernarg_preload_offset 0
		.amdhsa_user_sgpr_private_segment_size 0
		.amdhsa_wavefront_size32 1
		.amdhsa_uses_dynamic_stack 0
		.amdhsa_enable_private_segment 0
		.amdhsa_system_sgpr_workgroup_id_x 1
		.amdhsa_system_sgpr_workgroup_id_y 0
		.amdhsa_system_sgpr_workgroup_id_z 0
		.amdhsa_system_sgpr_workgroup_info 0
		.amdhsa_system_vgpr_workitem_id 0
		.amdhsa_next_free_vgpr 13
		.amdhsa_next_free_sgpr 14
		.amdhsa_named_barrier_count 0
		.amdhsa_reserve_vcc 1
		.amdhsa_float_round_mode_32 0
		.amdhsa_float_round_mode_16_64 0
		.amdhsa_float_denorm_mode_32 3
		.amdhsa_float_denorm_mode_16_64 3
		.amdhsa_fp16_overflow 0
		.amdhsa_memory_ordered 1
		.amdhsa_forward_progress 1
		.amdhsa_inst_pref_size 11
		.amdhsa_round_robin_scheduling 0
		.amdhsa_exception_fp_ieee_invalid_op 0
		.amdhsa_exception_fp_denorm_src 0
		.amdhsa_exception_fp_ieee_div_zero 0
		.amdhsa_exception_fp_ieee_overflow 0
		.amdhsa_exception_fp_ieee_underflow 0
		.amdhsa_exception_fp_ieee_inexact 0
		.amdhsa_exception_int_div_zero 0
	.end_amdhsa_kernel
	.section	.text._ZN2at6native27unrolled_elementwise_kernelINS0_13BinaryFunctorIN3c107complexINS3_4HalfEEES6_bNS0_12_GLOBAL__N_116CompareEqFunctorIS6_EEEESt5arrayIPcLm3EELi4E23TrivialOffsetCalculatorILi2EjESE_ILi1EjENS0_6memory15LoadWithoutCastENSH_16StoreWithoutCastEEEviT_T0_T2_T3_T4_T5_,"axG",@progbits,_ZN2at6native27unrolled_elementwise_kernelINS0_13BinaryFunctorIN3c107complexINS3_4HalfEEES6_bNS0_12_GLOBAL__N_116CompareEqFunctorIS6_EEEESt5arrayIPcLm3EELi4E23TrivialOffsetCalculatorILi2EjESE_ILi1EjENS0_6memory15LoadWithoutCastENSH_16StoreWithoutCastEEEviT_T0_T2_T3_T4_T5_,comdat
.Lfunc_end148:
	.size	_ZN2at6native27unrolled_elementwise_kernelINS0_13BinaryFunctorIN3c107complexINS3_4HalfEEES6_bNS0_12_GLOBAL__N_116CompareEqFunctorIS6_EEEESt5arrayIPcLm3EELi4E23TrivialOffsetCalculatorILi2EjESE_ILi1EjENS0_6memory15LoadWithoutCastENSH_16StoreWithoutCastEEEviT_T0_T2_T3_T4_T5_, .Lfunc_end148-_ZN2at6native27unrolled_elementwise_kernelINS0_13BinaryFunctorIN3c107complexINS3_4HalfEEES6_bNS0_12_GLOBAL__N_116CompareEqFunctorIS6_EEEESt5arrayIPcLm3EELi4E23TrivialOffsetCalculatorILi2EjESE_ILi1EjENS0_6memory15LoadWithoutCastENSH_16StoreWithoutCastEEEviT_T0_T2_T3_T4_T5_
                                        ; -- End function
	.set _ZN2at6native27unrolled_elementwise_kernelINS0_13BinaryFunctorIN3c107complexINS3_4HalfEEES6_bNS0_12_GLOBAL__N_116CompareEqFunctorIS6_EEEESt5arrayIPcLm3EELi4E23TrivialOffsetCalculatorILi2EjESE_ILi1EjENS0_6memory15LoadWithoutCastENSH_16StoreWithoutCastEEEviT_T0_T2_T3_T4_T5_.num_vgpr, 13
	.set _ZN2at6native27unrolled_elementwise_kernelINS0_13BinaryFunctorIN3c107complexINS3_4HalfEEES6_bNS0_12_GLOBAL__N_116CompareEqFunctorIS6_EEEESt5arrayIPcLm3EELi4E23TrivialOffsetCalculatorILi2EjESE_ILi1EjENS0_6memory15LoadWithoutCastENSH_16StoreWithoutCastEEEviT_T0_T2_T3_T4_T5_.num_agpr, 0
	.set _ZN2at6native27unrolled_elementwise_kernelINS0_13BinaryFunctorIN3c107complexINS3_4HalfEEES6_bNS0_12_GLOBAL__N_116CompareEqFunctorIS6_EEEESt5arrayIPcLm3EELi4E23TrivialOffsetCalculatorILi2EjESE_ILi1EjENS0_6memory15LoadWithoutCastENSH_16StoreWithoutCastEEEviT_T0_T2_T3_T4_T5_.numbered_sgpr, 14
	.set _ZN2at6native27unrolled_elementwise_kernelINS0_13BinaryFunctorIN3c107complexINS3_4HalfEEES6_bNS0_12_GLOBAL__N_116CompareEqFunctorIS6_EEEESt5arrayIPcLm3EELi4E23TrivialOffsetCalculatorILi2EjESE_ILi1EjENS0_6memory15LoadWithoutCastENSH_16StoreWithoutCastEEEviT_T0_T2_T3_T4_T5_.num_named_barrier, 0
	.set _ZN2at6native27unrolled_elementwise_kernelINS0_13BinaryFunctorIN3c107complexINS3_4HalfEEES6_bNS0_12_GLOBAL__N_116CompareEqFunctorIS6_EEEESt5arrayIPcLm3EELi4E23TrivialOffsetCalculatorILi2EjESE_ILi1EjENS0_6memory15LoadWithoutCastENSH_16StoreWithoutCastEEEviT_T0_T2_T3_T4_T5_.private_seg_size, 0
	.set _ZN2at6native27unrolled_elementwise_kernelINS0_13BinaryFunctorIN3c107complexINS3_4HalfEEES6_bNS0_12_GLOBAL__N_116CompareEqFunctorIS6_EEEESt5arrayIPcLm3EELi4E23TrivialOffsetCalculatorILi2EjESE_ILi1EjENS0_6memory15LoadWithoutCastENSH_16StoreWithoutCastEEEviT_T0_T2_T3_T4_T5_.uses_vcc, 1
	.set _ZN2at6native27unrolled_elementwise_kernelINS0_13BinaryFunctorIN3c107complexINS3_4HalfEEES6_bNS0_12_GLOBAL__N_116CompareEqFunctorIS6_EEEESt5arrayIPcLm3EELi4E23TrivialOffsetCalculatorILi2EjESE_ILi1EjENS0_6memory15LoadWithoutCastENSH_16StoreWithoutCastEEEviT_T0_T2_T3_T4_T5_.uses_flat_scratch, 0
	.set _ZN2at6native27unrolled_elementwise_kernelINS0_13BinaryFunctorIN3c107complexINS3_4HalfEEES6_bNS0_12_GLOBAL__N_116CompareEqFunctorIS6_EEEESt5arrayIPcLm3EELi4E23TrivialOffsetCalculatorILi2EjESE_ILi1EjENS0_6memory15LoadWithoutCastENSH_16StoreWithoutCastEEEviT_T0_T2_T3_T4_T5_.has_dyn_sized_stack, 0
	.set _ZN2at6native27unrolled_elementwise_kernelINS0_13BinaryFunctorIN3c107complexINS3_4HalfEEES6_bNS0_12_GLOBAL__N_116CompareEqFunctorIS6_EEEESt5arrayIPcLm3EELi4E23TrivialOffsetCalculatorILi2EjESE_ILi1EjENS0_6memory15LoadWithoutCastENSH_16StoreWithoutCastEEEviT_T0_T2_T3_T4_T5_.has_recursion, 0
	.set _ZN2at6native27unrolled_elementwise_kernelINS0_13BinaryFunctorIN3c107complexINS3_4HalfEEES6_bNS0_12_GLOBAL__N_116CompareEqFunctorIS6_EEEESt5arrayIPcLm3EELi4E23TrivialOffsetCalculatorILi2EjESE_ILi1EjENS0_6memory15LoadWithoutCastENSH_16StoreWithoutCastEEEviT_T0_T2_T3_T4_T5_.has_indirect_call, 0
	.section	.AMDGPU.csdata,"",@progbits
; Kernel info:
; codeLenInByte = 1288
; TotalNumSgprs: 16
; NumVgprs: 13
; ScratchSize: 0
; MemoryBound: 0
; FloatMode: 240
; IeeeMode: 1
; LDSByteSize: 0 bytes/workgroup (compile time only)
; SGPRBlocks: 0
; VGPRBlocks: 0
; NumSGPRsForWavesPerEU: 16
; NumVGPRsForWavesPerEU: 13
; NamedBarCnt: 0
; Occupancy: 16
; WaveLimiterHint : 0
; COMPUTE_PGM_RSRC2:SCRATCH_EN: 0
; COMPUTE_PGM_RSRC2:USER_SGPR: 2
; COMPUTE_PGM_RSRC2:TRAP_HANDLER: 0
; COMPUTE_PGM_RSRC2:TGID_X_EN: 1
; COMPUTE_PGM_RSRC2:TGID_Y_EN: 0
; COMPUTE_PGM_RSRC2:TGID_Z_EN: 0
; COMPUTE_PGM_RSRC2:TIDIG_COMP_CNT: 0
	.section	.text._ZN2at6native32elementwise_kernel_manual_unrollILi128ELi8EZNS0_22gpu_kernel_impl_nocastINS0_13BinaryFunctorIN3c107complexINS4_4HalfEEES7_bNS0_12_GLOBAL__N_116CompareEqFunctorIS7_EEEEEEvRNS_18TensorIteratorBaseERKT_EUlibE_EEviT1_,"axG",@progbits,_ZN2at6native32elementwise_kernel_manual_unrollILi128ELi8EZNS0_22gpu_kernel_impl_nocastINS0_13BinaryFunctorIN3c107complexINS4_4HalfEEES7_bNS0_12_GLOBAL__N_116CompareEqFunctorIS7_EEEEEEvRNS_18TensorIteratorBaseERKT_EUlibE_EEviT1_,comdat
	.globl	_ZN2at6native32elementwise_kernel_manual_unrollILi128ELi8EZNS0_22gpu_kernel_impl_nocastINS0_13BinaryFunctorIN3c107complexINS4_4HalfEEES7_bNS0_12_GLOBAL__N_116CompareEqFunctorIS7_EEEEEEvRNS_18TensorIteratorBaseERKT_EUlibE_EEviT1_ ; -- Begin function _ZN2at6native32elementwise_kernel_manual_unrollILi128ELi8EZNS0_22gpu_kernel_impl_nocastINS0_13BinaryFunctorIN3c107complexINS4_4HalfEEES7_bNS0_12_GLOBAL__N_116CompareEqFunctorIS7_EEEEEEvRNS_18TensorIteratorBaseERKT_EUlibE_EEviT1_
	.p2align	8
	.type	_ZN2at6native32elementwise_kernel_manual_unrollILi128ELi8EZNS0_22gpu_kernel_impl_nocastINS0_13BinaryFunctorIN3c107complexINS4_4HalfEEES7_bNS0_12_GLOBAL__N_116CompareEqFunctorIS7_EEEEEEvRNS_18TensorIteratorBaseERKT_EUlibE_EEviT1_,@function
_ZN2at6native32elementwise_kernel_manual_unrollILi128ELi8EZNS0_22gpu_kernel_impl_nocastINS0_13BinaryFunctorIN3c107complexINS4_4HalfEEES7_bNS0_12_GLOBAL__N_116CompareEqFunctorIS7_EEEEEEvRNS_18TensorIteratorBaseERKT_EUlibE_EEviT1_: ; @_ZN2at6native32elementwise_kernel_manual_unrollILi128ELi8EZNS0_22gpu_kernel_impl_nocastINS0_13BinaryFunctorIN3c107complexINS4_4HalfEEES7_bNS0_12_GLOBAL__N_116CompareEqFunctorIS7_EEEEEEvRNS_18TensorIteratorBaseERKT_EUlibE_EEviT1_
; %bb.0:
	s_clause 0x1
	s_load_b32 s26, s[0:1], 0x8
	s_load_b32 s33, s[0:1], 0x0
	s_bfe_u32 s2, ttmp6, 0x4000c
	s_and_b32 s3, ttmp6, 15
	s_add_co_i32 s2, s2, 1
	s_getreg_b32 s4, hwreg(HW_REG_IB_STS2, 6, 4)
	s_mul_i32 s2, ttmp9, s2
	s_mov_b32 s21, 0
	s_add_co_i32 s3, s3, s2
	s_cmp_eq_u32 s4, 0
	s_cselect_b32 s2, ttmp9, s3
	s_delay_alu instid0(SALU_CYCLE_1) | instskip(SKIP_3) | instid1(VALU_DEP_1)
	v_lshl_or_b32 v0, s2, 10, v0
	s_add_nc_u64 s[2:3], s[0:1], 8
	s_wait_xcnt 0x0
	s_mov_b32 s0, exec_lo
	v_or_b32_e32 v3, 0x380, v0
	s_wait_kmcnt 0x0
	s_add_co_i32 s27, s26, -1
	s_delay_alu instid0(SALU_CYCLE_1)
	s_cmp_gt_u32 s27, 1
	s_cselect_b32 s28, -1, 0
	v_cmpx_le_i32_e64 s33, v3
	s_xor_b32 s29, exec_lo, s0
	s_cbranch_execz .LBB149_137
; %bb.1:
	s_clause 0x5
	s_load_b128 s[8:11], s[2:3], 0x4
	s_load_b64 s[0:1], s[2:3], 0x14
	s_load_b96 s[16:18], s[2:3], 0x198
	s_load_b128 s[12:15], s[2:3], 0xc4
	s_load_b64 s[22:23], s[2:3], 0xd4
	s_load_b128 s[4:7], s[2:3], 0x188
	s_cmp_lg_u32 s26, 0
	s_mov_b32 s25, s21
	s_cselect_b32 s34, -1, 0
	s_min_u32 s31, s27, 15
	s_cmp_gt_u32 s26, 1
	s_mov_b32 s35, exec_lo
	s_cselect_b32 s30, -1, 0
	s_wait_kmcnt 0x0
	s_mov_b32 s20, s9
	s_mov_b32 s24, s0
	s_cmp_lg_u32 s18, 0
	s_cselect_b32 s9, -1, 0
	v_cmpx_gt_i32_e64 s33, v0
	s_cbranch_execnz .LBB149_9
; %bb.2:
	s_or_b32 exec_lo, exec_lo, s35
	s_delay_alu instid0(SALU_CYCLE_1)
	s_mov_b32 s35, exec_lo
	v_cmpx_gt_i32_e64 s33, v0
	s_cbranch_execnz .LBB149_24
.LBB149_3:
	s_or_b32 exec_lo, exec_lo, s35
	s_delay_alu instid0(SALU_CYCLE_1)
	s_mov_b32 s35, exec_lo
	v_cmpx_gt_i32_e64 s33, v0
	s_cbranch_execnz .LBB149_40
.LBB149_4:
	s_or_b32 exec_lo, exec_lo, s35
	s_delay_alu instid0(SALU_CYCLE_1)
	s_mov_b32 s35, exec_lo
	v_cmpx_gt_i32_e64 s33, v0
	s_cbranch_execnz .LBB149_56
.LBB149_5:
	s_or_b32 exec_lo, exec_lo, s35
	s_delay_alu instid0(SALU_CYCLE_1)
	s_mov_b32 s35, exec_lo
	v_cmpx_gt_i32_e64 s33, v0
	s_cbranch_execnz .LBB149_72
.LBB149_6:
	s_or_b32 exec_lo, exec_lo, s35
	s_delay_alu instid0(SALU_CYCLE_1)
	s_mov_b32 s35, exec_lo
	v_cmpx_gt_i32_e64 s33, v0
	s_cbranch_execnz .LBB149_88
.LBB149_7:
	s_or_b32 exec_lo, exec_lo, s35
	s_delay_alu instid0(SALU_CYCLE_1)
	s_mov_b32 s35, exec_lo
	v_cmpx_gt_i32_e64 s33, v0
	s_cbranch_execnz .LBB149_104
.LBB149_8:
	s_or_b32 exec_lo, exec_lo, s35
	v_cmp_gt_i32_e32 vcc_lo, s33, v0
	s_and_saveexec_b32 s33, vcc_lo
	s_cbranch_execnz .LBB149_120
	s_branch .LBB149_136
.LBB149_9:
	s_and_not1_b32 vcc_lo, exec_lo, s28
	s_cbranch_vccnz .LBB149_15
; %bb.10:
	s_and_not1_b32 vcc_lo, exec_lo, s34
	s_cbranch_vccnz .LBB149_16
; %bb.11:
	v_dual_mov_b32 v4, 0 :: v_dual_mov_b32 v1, v0
	v_dual_mov_b32 v6, 0 :: v_dual_mov_b32 v5, 0
	s_add_co_i32 s0, s31, 1
	s_mov_b64 s[18:19], 0xffffffffffffffe8
	s_and_b32 s0, s0, 30
	s_add_nc_u64 s[18:19], s[2:3], s[18:19]
.LBB149_12:                             ; =>This Inner Loop Header: Depth=1
	s_clause 0x1
	s_load_b128 s[36:39], s[18:19], 0x1c
	s_load_b64 s[44:45], s[18:19], 0x2c
	s_add_co_i32 s0, s0, -2
	s_delay_alu instid0(SALU_CYCLE_1) | instskip(SKIP_2) | instid1(VALU_DEP_1)
	s_cmp_lg_u32 s0, 0
	s_wait_kmcnt 0x0
	v_mul_hi_u32 v2, s37, v1
	v_add_nc_u32_e32 v2, v1, v2
	s_delay_alu instid0(VALU_DEP_1) | instskip(NEXT) | instid1(VALU_DEP_1)
	v_lshrrev_b32_e32 v2, s38, v2
	v_mul_hi_u32 v3, s44, v2
	v_mul_lo_u32 v7, v2, s36
	s_clause 0x1
	s_load_b128 s[40:43], s[18:19], 0xdc
	s_load_b64 s[36:37], s[18:19], 0xec
	s_wait_xcnt 0x0
	s_add_nc_u64 s[18:19], s[18:19], 24
	s_delay_alu instid0(VALU_DEP_2) | instskip(NEXT) | instid1(VALU_DEP_2)
	v_add_nc_u32_e32 v3, v2, v3
	v_sub_nc_u32_e32 v7, v1, v7
	s_delay_alu instid0(VALU_DEP_2) | instskip(SKIP_1) | instid1(VALU_DEP_2)
	v_lshrrev_b32_e32 v1, s45, v3
	s_wait_kmcnt 0x0
	v_mad_u32 v4, v7, s40, v4
	s_delay_alu instid0(VALU_DEP_2) | instskip(SKIP_2) | instid1(VALU_DEP_3)
	v_mul_lo_u32 v3, v1, s39
	v_mad_u32 v5, v7, s42, v5
	v_mad_u32 v6, v7, s41, v6
	v_sub_nc_u32_e32 v2, v2, v3
	s_delay_alu instid0(VALU_DEP_1) | instskip(NEXT) | instid1(VALU_DEP_4)
	v_mad_u32 v4, v2, s43, v4
	v_mad_u32 v5, v2, s37, v5
	s_delay_alu instid0(VALU_DEP_4)
	v_mad_u32 v6, v2, s36, v6
	s_cbranch_scc1 .LBB149_12
; %bb.13:
	s_bitcmp1_b32 s31, 0
	s_cselect_b32 s0, -1, 0
	s_delay_alu instid0(SALU_CYCLE_1)
	s_and_b32 vcc_lo, exec_lo, s0
	s_cbranch_vccnz .LBB149_17
; %bb.14:
	s_clause 0x1
	s_load_b96 s[36:38], s[18:19], 0x1c
	s_load_b96 s[40:42], s[18:19], 0xdc
	s_wait_kmcnt 0x0
	v_mul_hi_u32 v2, s37, v1
	s_delay_alu instid0(VALU_DEP_1) | instskip(NEXT) | instid1(VALU_DEP_1)
	v_add_nc_u32_e32 v2, v1, v2
	v_lshrrev_b32_e32 v2, s38, v2
	s_delay_alu instid0(VALU_DEP_1) | instskip(NEXT) | instid1(VALU_DEP_1)
	v_mul_lo_u32 v2, v2, s36
	v_sub_nc_u32_e32 v1, v1, v2
	s_delay_alu instid0(VALU_DEP_1)
	v_mad_u32 v4, v1, s40, v4
	v_mad_u32 v6, v1, s41, v6
	;; [unrolled: 1-line block ×3, first 2 shown]
	s_cbranch_execz .LBB149_18
	s_branch .LBB149_20
.LBB149_15:
                                        ; implicit-def: $vgpr5
                                        ; implicit-def: $vgpr6
                                        ; implicit-def: $vgpr4
	s_branch .LBB149_18
.LBB149_16:
	v_dual_mov_b32 v5, 0 :: v_dual_mov_b32 v6, 0
	v_mov_b32_e32 v4, 0
.LBB149_17:
	s_cbranch_execnz .LBB149_20
.LBB149_18:
	v_mov_b32_e32 v1, 0
	s_and_not1_b32 vcc_lo, exec_lo, s30
	s_delay_alu instid0(VALU_DEP_1) | instskip(NEXT) | instid1(VALU_DEP_1)
	v_mul_u64_e32 v[2:3], s[20:21], v[0:1]
	v_add_nc_u32_e32 v2, v0, v3
	s_delay_alu instid0(VALU_DEP_1) | instskip(NEXT) | instid1(VALU_DEP_1)
	v_lshrrev_b32_e32 v2, s10, v2
	v_mul_lo_u32 v3, v2, s8
	s_delay_alu instid0(VALU_DEP_1) | instskip(NEXT) | instid1(VALU_DEP_1)
	v_sub_nc_u32_e32 v3, v0, v3
	v_mul_lo_u32 v4, v3, s12
	v_mul_lo_u32 v5, v3, s14
	;; [unrolled: 1-line block ×3, first 2 shown]
	s_cbranch_vccnz .LBB149_20
; %bb.19:
	v_mov_b32_e32 v3, v1
	s_delay_alu instid0(VALU_DEP_1) | instskip(NEXT) | instid1(VALU_DEP_1)
	v_mul_u64_e32 v[8:9], s[24:25], v[2:3]
	v_add_nc_u32_e32 v1, v2, v9
	s_delay_alu instid0(VALU_DEP_1) | instskip(NEXT) | instid1(VALU_DEP_1)
	v_lshrrev_b32_e32 v1, s1, v1
	v_mul_lo_u32 v1, v1, s11
	s_delay_alu instid0(VALU_DEP_1) | instskip(NEXT) | instid1(VALU_DEP_1)
	v_sub_nc_u32_e32 v1, v2, v1
	v_mad_u32 v4, v1, s15, v4
	v_mad_u32 v6, v1, s22, v6
	;; [unrolled: 1-line block ×3, first 2 shown]
.LBB149_20:
	global_load_b32 v1, v6, s[6:7]
	global_load_b32 v2, v5, s[16:17]
	s_and_b32 vcc_lo, exec_lo, s9
	s_wait_loadcnt 0x0
	v_dual_lshrrev_b32 v3, 16, v1 :: v_dual_lshrrev_b32 v5, 16, v2
	s_cbranch_vccz .LBB149_31
; %bb.21:
	v_cmp_neq_f16_e32 vcc_lo, v1, v2
	s_delay_alu instid0(VALU_DEP_2)
	v_cmp_neq_f16_e64 s0, v3, v5
	s_or_b32 s18, vcc_lo, s0
	s_cbranch_execnz .LBB149_23
.LBB149_22:
	v_cmp_eq_f16_e32 vcc_lo, v1, v2
	s_delay_alu instid0(VALU_DEP_2) | instskip(SKIP_2) | instid1(SALU_CYCLE_1)
	v_cmp_eq_f16_e64 s0, v3, v5
	s_and_not1_b32 s18, s18, exec_lo
	s_and_b32 s0, vcc_lo, s0
	s_and_b32 s0, s0, exec_lo
	s_delay_alu instid0(SALU_CYCLE_1)
	s_or_b32 s18, s18, s0
.LBB149_23:
	s_delay_alu instid0(SALU_CYCLE_1) | instskip(SKIP_4) | instid1(SALU_CYCLE_1)
	v_cndmask_b32_e64 v1, 0, 1, s18
	v_add_nc_u32_e32 v0, 0x80, v0
	global_store_b8 v4, v1, s[4:5]
	s_wait_xcnt 0x0
	s_or_b32 exec_lo, exec_lo, s35
	s_mov_b32 s35, exec_lo
	v_cmpx_gt_i32_e64 s33, v0
	s_cbranch_execz .LBB149_3
.LBB149_24:
	s_and_not1_b32 vcc_lo, exec_lo, s28
	s_cbranch_vccnz .LBB149_30
; %bb.25:
	s_and_not1_b32 vcc_lo, exec_lo, s34
	s_cbranch_vccnz .LBB149_32
; %bb.26:
	v_dual_mov_b32 v4, 0 :: v_dual_mov_b32 v1, v0
	v_dual_mov_b32 v6, 0 :: v_dual_mov_b32 v5, 0
	s_add_co_i32 s0, s31, 1
	s_mov_b64 s[18:19], 0xffffffffffffffe8
	s_and_b32 s0, s0, 30
	s_add_nc_u64 s[18:19], s[2:3], s[18:19]
.LBB149_27:                             ; =>This Inner Loop Header: Depth=1
	s_clause 0x1
	s_load_b128 s[36:39], s[18:19], 0x1c
	s_load_b64 s[44:45], s[18:19], 0x2c
	s_add_co_i32 s0, s0, -2
	s_delay_alu instid0(SALU_CYCLE_1) | instskip(SKIP_2) | instid1(VALU_DEP_1)
	s_cmp_eq_u32 s0, 0
	s_wait_kmcnt 0x0
	v_mul_hi_u32 v2, s37, v1
	v_add_nc_u32_e32 v2, v1, v2
	s_delay_alu instid0(VALU_DEP_1) | instskip(NEXT) | instid1(VALU_DEP_1)
	v_lshrrev_b32_e32 v2, s38, v2
	v_mul_hi_u32 v3, s44, v2
	v_mul_lo_u32 v7, v2, s36
	s_clause 0x1
	s_load_b128 s[40:43], s[18:19], 0xdc
	s_load_b64 s[36:37], s[18:19], 0xec
	s_wait_xcnt 0x0
	s_add_nc_u64 s[18:19], s[18:19], 24
	s_delay_alu instid0(VALU_DEP_2) | instskip(NEXT) | instid1(VALU_DEP_2)
	v_add_nc_u32_e32 v3, v2, v3
	v_sub_nc_u32_e32 v7, v1, v7
	s_delay_alu instid0(VALU_DEP_2) | instskip(SKIP_1) | instid1(VALU_DEP_2)
	v_lshrrev_b32_e32 v1, s45, v3
	s_wait_kmcnt 0x0
	v_mad_u32 v4, v7, s40, v4
	s_delay_alu instid0(VALU_DEP_2) | instskip(SKIP_2) | instid1(VALU_DEP_3)
	v_mul_lo_u32 v3, v1, s39
	v_mad_u32 v5, v7, s42, v5
	v_mad_u32 v6, v7, s41, v6
	v_sub_nc_u32_e32 v2, v2, v3
	s_delay_alu instid0(VALU_DEP_1) | instskip(NEXT) | instid1(VALU_DEP_4)
	v_mad_u32 v4, v2, s43, v4
	v_mad_u32 v5, v2, s37, v5
	s_delay_alu instid0(VALU_DEP_4)
	v_mad_u32 v6, v2, s36, v6
	s_cbranch_scc0 .LBB149_27
; %bb.28:
	s_bitcmp1_b32 s31, 0
	s_cselect_b32 s0, -1, 0
	s_delay_alu instid0(SALU_CYCLE_1)
	s_and_b32 vcc_lo, exec_lo, s0
	s_cbranch_vccnz .LBB149_33
; %bb.29:
	s_clause 0x1
	s_load_b96 s[36:38], s[18:19], 0x1c
	s_load_b96 s[40:42], s[18:19], 0xdc
	s_wait_kmcnt 0x0
	v_mul_hi_u32 v2, s37, v1
	s_delay_alu instid0(VALU_DEP_1) | instskip(NEXT) | instid1(VALU_DEP_1)
	v_add_nc_u32_e32 v2, v1, v2
	v_lshrrev_b32_e32 v2, s38, v2
	s_delay_alu instid0(VALU_DEP_1) | instskip(NEXT) | instid1(VALU_DEP_1)
	v_mul_lo_u32 v2, v2, s36
	v_sub_nc_u32_e32 v1, v1, v2
	s_delay_alu instid0(VALU_DEP_1)
	v_mad_u32 v4, v1, s40, v4
	v_mad_u32 v6, v1, s41, v6
	;; [unrolled: 1-line block ×3, first 2 shown]
	s_branch .LBB149_33
.LBB149_30:
                                        ; implicit-def: $vgpr5
                                        ; implicit-def: $vgpr6
                                        ; implicit-def: $vgpr4
	s_branch .LBB149_34
.LBB149_31:
                                        ; implicit-def: $sgpr18
	s_branch .LBB149_22
.LBB149_32:
	v_dual_mov_b32 v5, 0 :: v_dual_mov_b32 v6, 0
	v_mov_b32_e32 v4, 0
.LBB149_33:
	s_cbranch_execnz .LBB149_36
.LBB149_34:
	v_mov_b32_e32 v1, 0
	s_and_not1_b32 vcc_lo, exec_lo, s30
	s_delay_alu instid0(VALU_DEP_1) | instskip(NEXT) | instid1(VALU_DEP_1)
	v_mul_u64_e32 v[2:3], s[20:21], v[0:1]
	v_add_nc_u32_e32 v2, v0, v3
	s_delay_alu instid0(VALU_DEP_1) | instskip(NEXT) | instid1(VALU_DEP_1)
	v_lshrrev_b32_e32 v2, s10, v2
	v_mul_lo_u32 v3, v2, s8
	s_delay_alu instid0(VALU_DEP_1) | instskip(NEXT) | instid1(VALU_DEP_1)
	v_sub_nc_u32_e32 v3, v0, v3
	v_mul_lo_u32 v4, v3, s12
	v_mul_lo_u32 v5, v3, s14
	;; [unrolled: 1-line block ×3, first 2 shown]
	s_cbranch_vccnz .LBB149_36
; %bb.35:
	v_mov_b32_e32 v3, v1
	s_delay_alu instid0(VALU_DEP_1) | instskip(NEXT) | instid1(VALU_DEP_1)
	v_mul_u64_e32 v[8:9], s[24:25], v[2:3]
	v_add_nc_u32_e32 v1, v2, v9
	s_delay_alu instid0(VALU_DEP_1) | instskip(NEXT) | instid1(VALU_DEP_1)
	v_lshrrev_b32_e32 v1, s1, v1
	v_mul_lo_u32 v1, v1, s11
	s_delay_alu instid0(VALU_DEP_1) | instskip(NEXT) | instid1(VALU_DEP_1)
	v_sub_nc_u32_e32 v1, v2, v1
	v_mad_u32 v4, v1, s15, v4
	v_mad_u32 v6, v1, s22, v6
	;; [unrolled: 1-line block ×3, first 2 shown]
.LBB149_36:
	global_load_b32 v1, v6, s[6:7]
	global_load_b32 v2, v5, s[16:17]
	s_and_not1_b32 vcc_lo, exec_lo, s9
	s_wait_loadcnt 0x0
	v_dual_lshrrev_b32 v3, 16, v1 :: v_dual_lshrrev_b32 v5, 16, v2
	s_cbranch_vccnz .LBB149_47
; %bb.37:
	v_cmp_neq_f16_e32 vcc_lo, v1, v2
	s_delay_alu instid0(VALU_DEP_2)
	v_cmp_neq_f16_e64 s0, v3, v5
	s_or_b32 s18, vcc_lo, s0
	s_cbranch_execnz .LBB149_39
.LBB149_38:
	v_cmp_eq_f16_e32 vcc_lo, v1, v2
	s_delay_alu instid0(VALU_DEP_2) | instskip(SKIP_2) | instid1(SALU_CYCLE_1)
	v_cmp_eq_f16_e64 s0, v3, v5
	s_and_not1_b32 s18, s18, exec_lo
	s_and_b32 s0, vcc_lo, s0
	s_and_b32 s0, s0, exec_lo
	s_delay_alu instid0(SALU_CYCLE_1)
	s_or_b32 s18, s18, s0
.LBB149_39:
	s_delay_alu instid0(SALU_CYCLE_1) | instskip(SKIP_4) | instid1(SALU_CYCLE_1)
	v_cndmask_b32_e64 v1, 0, 1, s18
	v_add_nc_u32_e32 v0, 0x80, v0
	global_store_b8 v4, v1, s[4:5]
	s_wait_xcnt 0x0
	s_or_b32 exec_lo, exec_lo, s35
	s_mov_b32 s35, exec_lo
	v_cmpx_gt_i32_e64 s33, v0
	s_cbranch_execz .LBB149_4
.LBB149_40:
	s_and_not1_b32 vcc_lo, exec_lo, s28
	s_cbranch_vccnz .LBB149_46
; %bb.41:
	s_and_not1_b32 vcc_lo, exec_lo, s34
	s_cbranch_vccnz .LBB149_48
; %bb.42:
	v_dual_mov_b32 v4, 0 :: v_dual_mov_b32 v1, v0
	v_dual_mov_b32 v6, 0 :: v_dual_mov_b32 v5, 0
	s_add_co_i32 s0, s31, 1
	s_mov_b64 s[18:19], 0xffffffffffffffe8
	s_and_b32 s0, s0, 30
	s_add_nc_u64 s[18:19], s[2:3], s[18:19]
.LBB149_43:                             ; =>This Inner Loop Header: Depth=1
	s_clause 0x1
	s_load_b128 s[36:39], s[18:19], 0x1c
	s_load_b64 s[44:45], s[18:19], 0x2c
	s_add_co_i32 s0, s0, -2
	s_delay_alu instid0(SALU_CYCLE_1) | instskip(SKIP_2) | instid1(VALU_DEP_1)
	s_cmp_eq_u32 s0, 0
	s_wait_kmcnt 0x0
	v_mul_hi_u32 v2, s37, v1
	v_add_nc_u32_e32 v2, v1, v2
	s_delay_alu instid0(VALU_DEP_1) | instskip(NEXT) | instid1(VALU_DEP_1)
	v_lshrrev_b32_e32 v2, s38, v2
	v_mul_hi_u32 v3, s44, v2
	v_mul_lo_u32 v7, v2, s36
	s_clause 0x1
	s_load_b128 s[40:43], s[18:19], 0xdc
	s_load_b64 s[36:37], s[18:19], 0xec
	s_wait_xcnt 0x0
	s_add_nc_u64 s[18:19], s[18:19], 24
	s_delay_alu instid0(VALU_DEP_2) | instskip(NEXT) | instid1(VALU_DEP_2)
	v_add_nc_u32_e32 v3, v2, v3
	v_sub_nc_u32_e32 v7, v1, v7
	s_delay_alu instid0(VALU_DEP_2) | instskip(SKIP_1) | instid1(VALU_DEP_2)
	v_lshrrev_b32_e32 v1, s45, v3
	s_wait_kmcnt 0x0
	v_mad_u32 v4, v7, s40, v4
	s_delay_alu instid0(VALU_DEP_2) | instskip(SKIP_2) | instid1(VALU_DEP_3)
	v_mul_lo_u32 v3, v1, s39
	v_mad_u32 v5, v7, s42, v5
	v_mad_u32 v6, v7, s41, v6
	v_sub_nc_u32_e32 v2, v2, v3
	s_delay_alu instid0(VALU_DEP_1) | instskip(NEXT) | instid1(VALU_DEP_4)
	v_mad_u32 v4, v2, s43, v4
	v_mad_u32 v5, v2, s37, v5
	s_delay_alu instid0(VALU_DEP_4)
	v_mad_u32 v6, v2, s36, v6
	s_cbranch_scc0 .LBB149_43
; %bb.44:
	s_bitcmp1_b32 s31, 0
	s_cselect_b32 s0, -1, 0
	s_delay_alu instid0(SALU_CYCLE_1)
	s_and_b32 vcc_lo, exec_lo, s0
	s_cbranch_vccnz .LBB149_49
; %bb.45:
	s_clause 0x1
	s_load_b96 s[36:38], s[18:19], 0x1c
	s_load_b96 s[40:42], s[18:19], 0xdc
	s_wait_kmcnt 0x0
	v_mul_hi_u32 v2, s37, v1
	s_delay_alu instid0(VALU_DEP_1) | instskip(NEXT) | instid1(VALU_DEP_1)
	v_add_nc_u32_e32 v2, v1, v2
	v_lshrrev_b32_e32 v2, s38, v2
	s_delay_alu instid0(VALU_DEP_1) | instskip(NEXT) | instid1(VALU_DEP_1)
	v_mul_lo_u32 v2, v2, s36
	v_sub_nc_u32_e32 v1, v1, v2
	s_delay_alu instid0(VALU_DEP_1)
	v_mad_u32 v4, v1, s40, v4
	v_mad_u32 v6, v1, s41, v6
	;; [unrolled: 1-line block ×3, first 2 shown]
	s_branch .LBB149_49
.LBB149_46:
                                        ; implicit-def: $vgpr5
                                        ; implicit-def: $vgpr6
                                        ; implicit-def: $vgpr4
	s_branch .LBB149_50
.LBB149_47:
                                        ; implicit-def: $sgpr18
	s_branch .LBB149_38
.LBB149_48:
	v_dual_mov_b32 v5, 0 :: v_dual_mov_b32 v6, 0
	v_mov_b32_e32 v4, 0
.LBB149_49:
	s_cbranch_execnz .LBB149_52
.LBB149_50:
	v_mov_b32_e32 v1, 0
	s_and_not1_b32 vcc_lo, exec_lo, s30
	s_delay_alu instid0(VALU_DEP_1) | instskip(NEXT) | instid1(VALU_DEP_1)
	v_mul_u64_e32 v[2:3], s[20:21], v[0:1]
	v_add_nc_u32_e32 v2, v0, v3
	s_delay_alu instid0(VALU_DEP_1) | instskip(NEXT) | instid1(VALU_DEP_1)
	v_lshrrev_b32_e32 v2, s10, v2
	v_mul_lo_u32 v3, v2, s8
	s_delay_alu instid0(VALU_DEP_1) | instskip(NEXT) | instid1(VALU_DEP_1)
	v_sub_nc_u32_e32 v3, v0, v3
	v_mul_lo_u32 v4, v3, s12
	v_mul_lo_u32 v5, v3, s14
	;; [unrolled: 1-line block ×3, first 2 shown]
	s_cbranch_vccnz .LBB149_52
; %bb.51:
	v_mov_b32_e32 v3, v1
	s_delay_alu instid0(VALU_DEP_1) | instskip(NEXT) | instid1(VALU_DEP_1)
	v_mul_u64_e32 v[8:9], s[24:25], v[2:3]
	v_add_nc_u32_e32 v1, v2, v9
	s_delay_alu instid0(VALU_DEP_1) | instskip(NEXT) | instid1(VALU_DEP_1)
	v_lshrrev_b32_e32 v1, s1, v1
	v_mul_lo_u32 v1, v1, s11
	s_delay_alu instid0(VALU_DEP_1) | instskip(NEXT) | instid1(VALU_DEP_1)
	v_sub_nc_u32_e32 v1, v2, v1
	v_mad_u32 v4, v1, s15, v4
	v_mad_u32 v6, v1, s22, v6
	;; [unrolled: 1-line block ×3, first 2 shown]
.LBB149_52:
	global_load_b32 v1, v6, s[6:7]
	global_load_b32 v2, v5, s[16:17]
	s_and_not1_b32 vcc_lo, exec_lo, s9
	s_wait_loadcnt 0x0
	v_dual_lshrrev_b32 v3, 16, v1 :: v_dual_lshrrev_b32 v5, 16, v2
	s_cbranch_vccnz .LBB149_63
; %bb.53:
	v_cmp_neq_f16_e32 vcc_lo, v1, v2
	s_delay_alu instid0(VALU_DEP_2)
	v_cmp_neq_f16_e64 s0, v3, v5
	s_or_b32 s18, vcc_lo, s0
	s_cbranch_execnz .LBB149_55
.LBB149_54:
	v_cmp_eq_f16_e32 vcc_lo, v1, v2
	s_delay_alu instid0(VALU_DEP_2) | instskip(SKIP_2) | instid1(SALU_CYCLE_1)
	v_cmp_eq_f16_e64 s0, v3, v5
	s_and_not1_b32 s18, s18, exec_lo
	s_and_b32 s0, vcc_lo, s0
	s_and_b32 s0, s0, exec_lo
	s_delay_alu instid0(SALU_CYCLE_1)
	s_or_b32 s18, s18, s0
.LBB149_55:
	s_delay_alu instid0(SALU_CYCLE_1) | instskip(SKIP_4) | instid1(SALU_CYCLE_1)
	v_cndmask_b32_e64 v1, 0, 1, s18
	v_add_nc_u32_e32 v0, 0x80, v0
	global_store_b8 v4, v1, s[4:5]
	s_wait_xcnt 0x0
	s_or_b32 exec_lo, exec_lo, s35
	s_mov_b32 s35, exec_lo
	v_cmpx_gt_i32_e64 s33, v0
	s_cbranch_execz .LBB149_5
.LBB149_56:
	s_and_not1_b32 vcc_lo, exec_lo, s28
	s_cbranch_vccnz .LBB149_62
; %bb.57:
	s_and_not1_b32 vcc_lo, exec_lo, s34
	s_cbranch_vccnz .LBB149_64
; %bb.58:
	v_dual_mov_b32 v4, 0 :: v_dual_mov_b32 v1, v0
	v_dual_mov_b32 v6, 0 :: v_dual_mov_b32 v5, 0
	s_add_co_i32 s0, s31, 1
	s_mov_b64 s[18:19], 0xffffffffffffffe8
	s_and_b32 s0, s0, 30
	s_add_nc_u64 s[18:19], s[2:3], s[18:19]
.LBB149_59:                             ; =>This Inner Loop Header: Depth=1
	s_clause 0x1
	s_load_b128 s[36:39], s[18:19], 0x1c
	s_load_b64 s[44:45], s[18:19], 0x2c
	s_add_co_i32 s0, s0, -2
	s_delay_alu instid0(SALU_CYCLE_1) | instskip(SKIP_2) | instid1(VALU_DEP_1)
	s_cmp_eq_u32 s0, 0
	s_wait_kmcnt 0x0
	v_mul_hi_u32 v2, s37, v1
	v_add_nc_u32_e32 v2, v1, v2
	s_delay_alu instid0(VALU_DEP_1) | instskip(NEXT) | instid1(VALU_DEP_1)
	v_lshrrev_b32_e32 v2, s38, v2
	v_mul_hi_u32 v3, s44, v2
	v_mul_lo_u32 v7, v2, s36
	s_clause 0x1
	s_load_b128 s[40:43], s[18:19], 0xdc
	s_load_b64 s[36:37], s[18:19], 0xec
	s_wait_xcnt 0x0
	s_add_nc_u64 s[18:19], s[18:19], 24
	s_delay_alu instid0(VALU_DEP_2) | instskip(NEXT) | instid1(VALU_DEP_2)
	v_add_nc_u32_e32 v3, v2, v3
	v_sub_nc_u32_e32 v7, v1, v7
	s_delay_alu instid0(VALU_DEP_2) | instskip(SKIP_1) | instid1(VALU_DEP_2)
	v_lshrrev_b32_e32 v1, s45, v3
	s_wait_kmcnt 0x0
	v_mad_u32 v4, v7, s40, v4
	s_delay_alu instid0(VALU_DEP_2) | instskip(SKIP_2) | instid1(VALU_DEP_3)
	v_mul_lo_u32 v3, v1, s39
	v_mad_u32 v5, v7, s42, v5
	v_mad_u32 v6, v7, s41, v6
	v_sub_nc_u32_e32 v2, v2, v3
	s_delay_alu instid0(VALU_DEP_1) | instskip(NEXT) | instid1(VALU_DEP_4)
	v_mad_u32 v4, v2, s43, v4
	v_mad_u32 v5, v2, s37, v5
	s_delay_alu instid0(VALU_DEP_4)
	v_mad_u32 v6, v2, s36, v6
	s_cbranch_scc0 .LBB149_59
; %bb.60:
	s_bitcmp1_b32 s31, 0
	s_cselect_b32 s0, -1, 0
	s_delay_alu instid0(SALU_CYCLE_1)
	s_and_b32 vcc_lo, exec_lo, s0
	s_cbranch_vccnz .LBB149_65
; %bb.61:
	s_clause 0x1
	s_load_b96 s[36:38], s[18:19], 0x1c
	s_load_b96 s[40:42], s[18:19], 0xdc
	s_wait_kmcnt 0x0
	v_mul_hi_u32 v2, s37, v1
	s_delay_alu instid0(VALU_DEP_1) | instskip(NEXT) | instid1(VALU_DEP_1)
	v_add_nc_u32_e32 v2, v1, v2
	v_lshrrev_b32_e32 v2, s38, v2
	s_delay_alu instid0(VALU_DEP_1) | instskip(NEXT) | instid1(VALU_DEP_1)
	v_mul_lo_u32 v2, v2, s36
	v_sub_nc_u32_e32 v1, v1, v2
	s_delay_alu instid0(VALU_DEP_1)
	v_mad_u32 v4, v1, s40, v4
	v_mad_u32 v6, v1, s41, v6
	v_mad_u32 v5, v1, s42, v5
	s_branch .LBB149_65
.LBB149_62:
                                        ; implicit-def: $vgpr5
                                        ; implicit-def: $vgpr6
                                        ; implicit-def: $vgpr4
	s_branch .LBB149_66
.LBB149_63:
                                        ; implicit-def: $sgpr18
	s_branch .LBB149_54
.LBB149_64:
	v_dual_mov_b32 v5, 0 :: v_dual_mov_b32 v6, 0
	v_mov_b32_e32 v4, 0
.LBB149_65:
	s_cbranch_execnz .LBB149_68
.LBB149_66:
	v_mov_b32_e32 v1, 0
	s_and_not1_b32 vcc_lo, exec_lo, s30
	s_delay_alu instid0(VALU_DEP_1) | instskip(NEXT) | instid1(VALU_DEP_1)
	v_mul_u64_e32 v[2:3], s[20:21], v[0:1]
	v_add_nc_u32_e32 v2, v0, v3
	s_delay_alu instid0(VALU_DEP_1) | instskip(NEXT) | instid1(VALU_DEP_1)
	v_lshrrev_b32_e32 v2, s10, v2
	v_mul_lo_u32 v3, v2, s8
	s_delay_alu instid0(VALU_DEP_1) | instskip(NEXT) | instid1(VALU_DEP_1)
	v_sub_nc_u32_e32 v3, v0, v3
	v_mul_lo_u32 v4, v3, s12
	v_mul_lo_u32 v5, v3, s14
	;; [unrolled: 1-line block ×3, first 2 shown]
	s_cbranch_vccnz .LBB149_68
; %bb.67:
	v_mov_b32_e32 v3, v1
	s_delay_alu instid0(VALU_DEP_1) | instskip(NEXT) | instid1(VALU_DEP_1)
	v_mul_u64_e32 v[8:9], s[24:25], v[2:3]
	v_add_nc_u32_e32 v1, v2, v9
	s_delay_alu instid0(VALU_DEP_1) | instskip(NEXT) | instid1(VALU_DEP_1)
	v_lshrrev_b32_e32 v1, s1, v1
	v_mul_lo_u32 v1, v1, s11
	s_delay_alu instid0(VALU_DEP_1) | instskip(NEXT) | instid1(VALU_DEP_1)
	v_sub_nc_u32_e32 v1, v2, v1
	v_mad_u32 v4, v1, s15, v4
	v_mad_u32 v6, v1, s22, v6
	;; [unrolled: 1-line block ×3, first 2 shown]
.LBB149_68:
	global_load_b32 v1, v6, s[6:7]
	global_load_b32 v2, v5, s[16:17]
	s_and_not1_b32 vcc_lo, exec_lo, s9
	s_wait_loadcnt 0x0
	v_dual_lshrrev_b32 v3, 16, v1 :: v_dual_lshrrev_b32 v5, 16, v2
	s_cbranch_vccnz .LBB149_79
; %bb.69:
	v_cmp_neq_f16_e32 vcc_lo, v1, v2
	s_delay_alu instid0(VALU_DEP_2)
	v_cmp_neq_f16_e64 s0, v3, v5
	s_or_b32 s18, vcc_lo, s0
	s_cbranch_execnz .LBB149_71
.LBB149_70:
	v_cmp_eq_f16_e32 vcc_lo, v1, v2
	s_delay_alu instid0(VALU_DEP_2) | instskip(SKIP_2) | instid1(SALU_CYCLE_1)
	v_cmp_eq_f16_e64 s0, v3, v5
	s_and_not1_b32 s18, s18, exec_lo
	s_and_b32 s0, vcc_lo, s0
	s_and_b32 s0, s0, exec_lo
	s_delay_alu instid0(SALU_CYCLE_1)
	s_or_b32 s18, s18, s0
.LBB149_71:
	s_delay_alu instid0(SALU_CYCLE_1) | instskip(SKIP_4) | instid1(SALU_CYCLE_1)
	v_cndmask_b32_e64 v1, 0, 1, s18
	v_add_nc_u32_e32 v0, 0x80, v0
	global_store_b8 v4, v1, s[4:5]
	s_wait_xcnt 0x0
	s_or_b32 exec_lo, exec_lo, s35
	s_mov_b32 s35, exec_lo
	v_cmpx_gt_i32_e64 s33, v0
	s_cbranch_execz .LBB149_6
.LBB149_72:
	s_and_not1_b32 vcc_lo, exec_lo, s28
	s_cbranch_vccnz .LBB149_78
; %bb.73:
	s_and_not1_b32 vcc_lo, exec_lo, s34
	s_cbranch_vccnz .LBB149_80
; %bb.74:
	v_dual_mov_b32 v4, 0 :: v_dual_mov_b32 v1, v0
	v_dual_mov_b32 v6, 0 :: v_dual_mov_b32 v5, 0
	s_add_co_i32 s0, s31, 1
	s_mov_b64 s[18:19], 0xffffffffffffffe8
	s_and_b32 s0, s0, 30
	s_add_nc_u64 s[18:19], s[2:3], s[18:19]
.LBB149_75:                             ; =>This Inner Loop Header: Depth=1
	s_clause 0x1
	s_load_b128 s[36:39], s[18:19], 0x1c
	s_load_b64 s[44:45], s[18:19], 0x2c
	s_add_co_i32 s0, s0, -2
	s_delay_alu instid0(SALU_CYCLE_1) | instskip(SKIP_2) | instid1(VALU_DEP_1)
	s_cmp_eq_u32 s0, 0
	s_wait_kmcnt 0x0
	v_mul_hi_u32 v2, s37, v1
	v_add_nc_u32_e32 v2, v1, v2
	s_delay_alu instid0(VALU_DEP_1) | instskip(NEXT) | instid1(VALU_DEP_1)
	v_lshrrev_b32_e32 v2, s38, v2
	v_mul_hi_u32 v3, s44, v2
	v_mul_lo_u32 v7, v2, s36
	s_clause 0x1
	s_load_b128 s[40:43], s[18:19], 0xdc
	s_load_b64 s[36:37], s[18:19], 0xec
	s_wait_xcnt 0x0
	s_add_nc_u64 s[18:19], s[18:19], 24
	s_delay_alu instid0(VALU_DEP_2) | instskip(NEXT) | instid1(VALU_DEP_2)
	v_add_nc_u32_e32 v3, v2, v3
	v_sub_nc_u32_e32 v7, v1, v7
	s_delay_alu instid0(VALU_DEP_2) | instskip(SKIP_1) | instid1(VALU_DEP_2)
	v_lshrrev_b32_e32 v1, s45, v3
	s_wait_kmcnt 0x0
	v_mad_u32 v4, v7, s40, v4
	s_delay_alu instid0(VALU_DEP_2) | instskip(SKIP_2) | instid1(VALU_DEP_3)
	v_mul_lo_u32 v3, v1, s39
	v_mad_u32 v5, v7, s42, v5
	v_mad_u32 v6, v7, s41, v6
	v_sub_nc_u32_e32 v2, v2, v3
	s_delay_alu instid0(VALU_DEP_1) | instskip(NEXT) | instid1(VALU_DEP_4)
	v_mad_u32 v4, v2, s43, v4
	v_mad_u32 v5, v2, s37, v5
	s_delay_alu instid0(VALU_DEP_4)
	v_mad_u32 v6, v2, s36, v6
	s_cbranch_scc0 .LBB149_75
; %bb.76:
	s_bitcmp1_b32 s31, 0
	s_cselect_b32 s0, -1, 0
	s_delay_alu instid0(SALU_CYCLE_1)
	s_and_b32 vcc_lo, exec_lo, s0
	s_cbranch_vccnz .LBB149_81
; %bb.77:
	s_clause 0x1
	s_load_b96 s[36:38], s[18:19], 0x1c
	s_load_b96 s[40:42], s[18:19], 0xdc
	s_wait_kmcnt 0x0
	v_mul_hi_u32 v2, s37, v1
	s_delay_alu instid0(VALU_DEP_1) | instskip(NEXT) | instid1(VALU_DEP_1)
	v_add_nc_u32_e32 v2, v1, v2
	v_lshrrev_b32_e32 v2, s38, v2
	s_delay_alu instid0(VALU_DEP_1) | instskip(NEXT) | instid1(VALU_DEP_1)
	v_mul_lo_u32 v2, v2, s36
	v_sub_nc_u32_e32 v1, v1, v2
	s_delay_alu instid0(VALU_DEP_1)
	v_mad_u32 v4, v1, s40, v4
	v_mad_u32 v6, v1, s41, v6
	;; [unrolled: 1-line block ×3, first 2 shown]
	s_branch .LBB149_81
.LBB149_78:
                                        ; implicit-def: $vgpr5
                                        ; implicit-def: $vgpr6
                                        ; implicit-def: $vgpr4
	s_branch .LBB149_82
.LBB149_79:
                                        ; implicit-def: $sgpr18
	s_branch .LBB149_70
.LBB149_80:
	v_dual_mov_b32 v5, 0 :: v_dual_mov_b32 v6, 0
	v_mov_b32_e32 v4, 0
.LBB149_81:
	s_cbranch_execnz .LBB149_84
.LBB149_82:
	v_mov_b32_e32 v1, 0
	s_and_not1_b32 vcc_lo, exec_lo, s30
	s_delay_alu instid0(VALU_DEP_1) | instskip(NEXT) | instid1(VALU_DEP_1)
	v_mul_u64_e32 v[2:3], s[20:21], v[0:1]
	v_add_nc_u32_e32 v2, v0, v3
	s_delay_alu instid0(VALU_DEP_1) | instskip(NEXT) | instid1(VALU_DEP_1)
	v_lshrrev_b32_e32 v2, s10, v2
	v_mul_lo_u32 v3, v2, s8
	s_delay_alu instid0(VALU_DEP_1) | instskip(NEXT) | instid1(VALU_DEP_1)
	v_sub_nc_u32_e32 v3, v0, v3
	v_mul_lo_u32 v4, v3, s12
	v_mul_lo_u32 v5, v3, s14
	;; [unrolled: 1-line block ×3, first 2 shown]
	s_cbranch_vccnz .LBB149_84
; %bb.83:
	v_mov_b32_e32 v3, v1
	s_delay_alu instid0(VALU_DEP_1) | instskip(NEXT) | instid1(VALU_DEP_1)
	v_mul_u64_e32 v[8:9], s[24:25], v[2:3]
	v_add_nc_u32_e32 v1, v2, v9
	s_delay_alu instid0(VALU_DEP_1) | instskip(NEXT) | instid1(VALU_DEP_1)
	v_lshrrev_b32_e32 v1, s1, v1
	v_mul_lo_u32 v1, v1, s11
	s_delay_alu instid0(VALU_DEP_1) | instskip(NEXT) | instid1(VALU_DEP_1)
	v_sub_nc_u32_e32 v1, v2, v1
	v_mad_u32 v4, v1, s15, v4
	v_mad_u32 v6, v1, s22, v6
	;; [unrolled: 1-line block ×3, first 2 shown]
.LBB149_84:
	global_load_b32 v1, v6, s[6:7]
	global_load_b32 v2, v5, s[16:17]
	s_and_not1_b32 vcc_lo, exec_lo, s9
	s_wait_loadcnt 0x0
	v_dual_lshrrev_b32 v3, 16, v1 :: v_dual_lshrrev_b32 v5, 16, v2
	s_cbranch_vccnz .LBB149_95
; %bb.85:
	v_cmp_neq_f16_e32 vcc_lo, v1, v2
	s_delay_alu instid0(VALU_DEP_2)
	v_cmp_neq_f16_e64 s0, v3, v5
	s_or_b32 s18, vcc_lo, s0
	s_cbranch_execnz .LBB149_87
.LBB149_86:
	v_cmp_eq_f16_e32 vcc_lo, v1, v2
	s_delay_alu instid0(VALU_DEP_2) | instskip(SKIP_2) | instid1(SALU_CYCLE_1)
	v_cmp_eq_f16_e64 s0, v3, v5
	s_and_not1_b32 s18, s18, exec_lo
	s_and_b32 s0, vcc_lo, s0
	s_and_b32 s0, s0, exec_lo
	s_delay_alu instid0(SALU_CYCLE_1)
	s_or_b32 s18, s18, s0
.LBB149_87:
	s_delay_alu instid0(SALU_CYCLE_1) | instskip(SKIP_4) | instid1(SALU_CYCLE_1)
	v_cndmask_b32_e64 v1, 0, 1, s18
	v_add_nc_u32_e32 v0, 0x80, v0
	global_store_b8 v4, v1, s[4:5]
	s_wait_xcnt 0x0
	s_or_b32 exec_lo, exec_lo, s35
	s_mov_b32 s35, exec_lo
	v_cmpx_gt_i32_e64 s33, v0
	s_cbranch_execz .LBB149_7
.LBB149_88:
	s_and_not1_b32 vcc_lo, exec_lo, s28
	s_cbranch_vccnz .LBB149_94
; %bb.89:
	s_and_not1_b32 vcc_lo, exec_lo, s34
	s_cbranch_vccnz .LBB149_96
; %bb.90:
	v_dual_mov_b32 v4, 0 :: v_dual_mov_b32 v1, v0
	v_dual_mov_b32 v6, 0 :: v_dual_mov_b32 v5, 0
	s_add_co_i32 s0, s31, 1
	s_mov_b64 s[18:19], 0xffffffffffffffe8
	s_and_b32 s0, s0, 30
	s_add_nc_u64 s[18:19], s[2:3], s[18:19]
.LBB149_91:                             ; =>This Inner Loop Header: Depth=1
	s_clause 0x1
	s_load_b128 s[36:39], s[18:19], 0x1c
	s_load_b64 s[44:45], s[18:19], 0x2c
	s_add_co_i32 s0, s0, -2
	s_delay_alu instid0(SALU_CYCLE_1) | instskip(SKIP_2) | instid1(VALU_DEP_1)
	s_cmp_eq_u32 s0, 0
	s_wait_kmcnt 0x0
	v_mul_hi_u32 v2, s37, v1
	v_add_nc_u32_e32 v2, v1, v2
	s_delay_alu instid0(VALU_DEP_1) | instskip(NEXT) | instid1(VALU_DEP_1)
	v_lshrrev_b32_e32 v2, s38, v2
	v_mul_hi_u32 v3, s44, v2
	v_mul_lo_u32 v7, v2, s36
	s_clause 0x1
	s_load_b128 s[40:43], s[18:19], 0xdc
	s_load_b64 s[36:37], s[18:19], 0xec
	s_wait_xcnt 0x0
	s_add_nc_u64 s[18:19], s[18:19], 24
	s_delay_alu instid0(VALU_DEP_2) | instskip(NEXT) | instid1(VALU_DEP_2)
	v_add_nc_u32_e32 v3, v2, v3
	v_sub_nc_u32_e32 v7, v1, v7
	s_delay_alu instid0(VALU_DEP_2) | instskip(SKIP_1) | instid1(VALU_DEP_2)
	v_lshrrev_b32_e32 v1, s45, v3
	s_wait_kmcnt 0x0
	v_mad_u32 v4, v7, s40, v4
	s_delay_alu instid0(VALU_DEP_2) | instskip(SKIP_2) | instid1(VALU_DEP_3)
	v_mul_lo_u32 v3, v1, s39
	v_mad_u32 v5, v7, s42, v5
	v_mad_u32 v6, v7, s41, v6
	v_sub_nc_u32_e32 v2, v2, v3
	s_delay_alu instid0(VALU_DEP_1) | instskip(NEXT) | instid1(VALU_DEP_4)
	v_mad_u32 v4, v2, s43, v4
	v_mad_u32 v5, v2, s37, v5
	s_delay_alu instid0(VALU_DEP_4)
	v_mad_u32 v6, v2, s36, v6
	s_cbranch_scc0 .LBB149_91
; %bb.92:
	s_bitcmp1_b32 s31, 0
	s_cselect_b32 s0, -1, 0
	s_delay_alu instid0(SALU_CYCLE_1)
	s_and_b32 vcc_lo, exec_lo, s0
	s_cbranch_vccnz .LBB149_97
; %bb.93:
	s_clause 0x1
	s_load_b96 s[36:38], s[18:19], 0x1c
	s_load_b96 s[40:42], s[18:19], 0xdc
	s_wait_kmcnt 0x0
	v_mul_hi_u32 v2, s37, v1
	s_delay_alu instid0(VALU_DEP_1) | instskip(NEXT) | instid1(VALU_DEP_1)
	v_add_nc_u32_e32 v2, v1, v2
	v_lshrrev_b32_e32 v2, s38, v2
	s_delay_alu instid0(VALU_DEP_1) | instskip(NEXT) | instid1(VALU_DEP_1)
	v_mul_lo_u32 v2, v2, s36
	v_sub_nc_u32_e32 v1, v1, v2
	s_delay_alu instid0(VALU_DEP_1)
	v_mad_u32 v4, v1, s40, v4
	v_mad_u32 v6, v1, s41, v6
	;; [unrolled: 1-line block ×3, first 2 shown]
	s_branch .LBB149_97
.LBB149_94:
                                        ; implicit-def: $vgpr5
                                        ; implicit-def: $vgpr6
                                        ; implicit-def: $vgpr4
	s_branch .LBB149_98
.LBB149_95:
                                        ; implicit-def: $sgpr18
	s_branch .LBB149_86
.LBB149_96:
	v_dual_mov_b32 v5, 0 :: v_dual_mov_b32 v6, 0
	v_mov_b32_e32 v4, 0
.LBB149_97:
	s_cbranch_execnz .LBB149_100
.LBB149_98:
	v_mov_b32_e32 v1, 0
	s_and_not1_b32 vcc_lo, exec_lo, s30
	s_delay_alu instid0(VALU_DEP_1) | instskip(NEXT) | instid1(VALU_DEP_1)
	v_mul_u64_e32 v[2:3], s[20:21], v[0:1]
	v_add_nc_u32_e32 v2, v0, v3
	s_delay_alu instid0(VALU_DEP_1) | instskip(NEXT) | instid1(VALU_DEP_1)
	v_lshrrev_b32_e32 v2, s10, v2
	v_mul_lo_u32 v3, v2, s8
	s_delay_alu instid0(VALU_DEP_1) | instskip(NEXT) | instid1(VALU_DEP_1)
	v_sub_nc_u32_e32 v3, v0, v3
	v_mul_lo_u32 v4, v3, s12
	v_mul_lo_u32 v5, v3, s14
	;; [unrolled: 1-line block ×3, first 2 shown]
	s_cbranch_vccnz .LBB149_100
; %bb.99:
	v_mov_b32_e32 v3, v1
	s_delay_alu instid0(VALU_DEP_1) | instskip(NEXT) | instid1(VALU_DEP_1)
	v_mul_u64_e32 v[8:9], s[24:25], v[2:3]
	v_add_nc_u32_e32 v1, v2, v9
	s_delay_alu instid0(VALU_DEP_1) | instskip(NEXT) | instid1(VALU_DEP_1)
	v_lshrrev_b32_e32 v1, s1, v1
	v_mul_lo_u32 v1, v1, s11
	s_delay_alu instid0(VALU_DEP_1) | instskip(NEXT) | instid1(VALU_DEP_1)
	v_sub_nc_u32_e32 v1, v2, v1
	v_mad_u32 v4, v1, s15, v4
	v_mad_u32 v6, v1, s22, v6
	;; [unrolled: 1-line block ×3, first 2 shown]
.LBB149_100:
	global_load_b32 v1, v6, s[6:7]
	global_load_b32 v2, v5, s[16:17]
	s_and_not1_b32 vcc_lo, exec_lo, s9
	s_wait_loadcnt 0x0
	v_dual_lshrrev_b32 v3, 16, v1 :: v_dual_lshrrev_b32 v5, 16, v2
	s_cbranch_vccnz .LBB149_111
; %bb.101:
	v_cmp_neq_f16_e32 vcc_lo, v1, v2
	s_delay_alu instid0(VALU_DEP_2)
	v_cmp_neq_f16_e64 s0, v3, v5
	s_or_b32 s18, vcc_lo, s0
	s_cbranch_execnz .LBB149_103
.LBB149_102:
	v_cmp_eq_f16_e32 vcc_lo, v1, v2
	s_delay_alu instid0(VALU_DEP_2) | instskip(SKIP_2) | instid1(SALU_CYCLE_1)
	v_cmp_eq_f16_e64 s0, v3, v5
	s_and_not1_b32 s18, s18, exec_lo
	s_and_b32 s0, vcc_lo, s0
	s_and_b32 s0, s0, exec_lo
	s_delay_alu instid0(SALU_CYCLE_1)
	s_or_b32 s18, s18, s0
.LBB149_103:
	s_delay_alu instid0(SALU_CYCLE_1) | instskip(SKIP_4) | instid1(SALU_CYCLE_1)
	v_cndmask_b32_e64 v1, 0, 1, s18
	v_add_nc_u32_e32 v0, 0x80, v0
	global_store_b8 v4, v1, s[4:5]
	s_wait_xcnt 0x0
	s_or_b32 exec_lo, exec_lo, s35
	s_mov_b32 s35, exec_lo
	v_cmpx_gt_i32_e64 s33, v0
	s_cbranch_execz .LBB149_8
.LBB149_104:
	s_and_not1_b32 vcc_lo, exec_lo, s28
	s_cbranch_vccnz .LBB149_110
; %bb.105:
	s_and_not1_b32 vcc_lo, exec_lo, s34
	s_cbranch_vccnz .LBB149_112
; %bb.106:
	v_dual_mov_b32 v4, 0 :: v_dual_mov_b32 v1, v0
	v_dual_mov_b32 v6, 0 :: v_dual_mov_b32 v5, 0
	s_add_co_i32 s0, s31, 1
	s_mov_b64 s[18:19], 0xffffffffffffffe8
	s_and_b32 s0, s0, 30
	s_add_nc_u64 s[18:19], s[2:3], s[18:19]
.LBB149_107:                            ; =>This Inner Loop Header: Depth=1
	s_clause 0x1
	s_load_b128 s[36:39], s[18:19], 0x1c
	s_load_b64 s[44:45], s[18:19], 0x2c
	s_add_co_i32 s0, s0, -2
	s_delay_alu instid0(SALU_CYCLE_1) | instskip(SKIP_2) | instid1(VALU_DEP_1)
	s_cmp_eq_u32 s0, 0
	s_wait_kmcnt 0x0
	v_mul_hi_u32 v2, s37, v1
	v_add_nc_u32_e32 v2, v1, v2
	s_delay_alu instid0(VALU_DEP_1) | instskip(NEXT) | instid1(VALU_DEP_1)
	v_lshrrev_b32_e32 v2, s38, v2
	v_mul_hi_u32 v3, s44, v2
	v_mul_lo_u32 v7, v2, s36
	s_clause 0x1
	s_load_b128 s[40:43], s[18:19], 0xdc
	s_load_b64 s[36:37], s[18:19], 0xec
	s_wait_xcnt 0x0
	s_add_nc_u64 s[18:19], s[18:19], 24
	s_delay_alu instid0(VALU_DEP_2) | instskip(NEXT) | instid1(VALU_DEP_2)
	v_add_nc_u32_e32 v3, v2, v3
	v_sub_nc_u32_e32 v7, v1, v7
	s_delay_alu instid0(VALU_DEP_2) | instskip(SKIP_1) | instid1(VALU_DEP_2)
	v_lshrrev_b32_e32 v1, s45, v3
	s_wait_kmcnt 0x0
	v_mad_u32 v4, v7, s40, v4
	s_delay_alu instid0(VALU_DEP_2) | instskip(SKIP_2) | instid1(VALU_DEP_3)
	v_mul_lo_u32 v3, v1, s39
	v_mad_u32 v5, v7, s42, v5
	v_mad_u32 v6, v7, s41, v6
	v_sub_nc_u32_e32 v2, v2, v3
	s_delay_alu instid0(VALU_DEP_1) | instskip(NEXT) | instid1(VALU_DEP_4)
	v_mad_u32 v4, v2, s43, v4
	v_mad_u32 v5, v2, s37, v5
	s_delay_alu instid0(VALU_DEP_4)
	v_mad_u32 v6, v2, s36, v6
	s_cbranch_scc0 .LBB149_107
; %bb.108:
	s_bitcmp1_b32 s31, 0
	s_cselect_b32 s0, -1, 0
	s_delay_alu instid0(SALU_CYCLE_1)
	s_and_b32 vcc_lo, exec_lo, s0
	s_cbranch_vccnz .LBB149_113
; %bb.109:
	s_clause 0x1
	s_load_b96 s[36:38], s[18:19], 0x1c
	s_load_b96 s[40:42], s[18:19], 0xdc
	s_wait_kmcnt 0x0
	v_mul_hi_u32 v2, s37, v1
	s_delay_alu instid0(VALU_DEP_1) | instskip(NEXT) | instid1(VALU_DEP_1)
	v_add_nc_u32_e32 v2, v1, v2
	v_lshrrev_b32_e32 v2, s38, v2
	s_delay_alu instid0(VALU_DEP_1) | instskip(NEXT) | instid1(VALU_DEP_1)
	v_mul_lo_u32 v2, v2, s36
	v_sub_nc_u32_e32 v1, v1, v2
	s_delay_alu instid0(VALU_DEP_1)
	v_mad_u32 v4, v1, s40, v4
	v_mad_u32 v6, v1, s41, v6
	;; [unrolled: 1-line block ×3, first 2 shown]
	s_branch .LBB149_113
.LBB149_110:
                                        ; implicit-def: $vgpr5
                                        ; implicit-def: $vgpr6
                                        ; implicit-def: $vgpr4
	s_branch .LBB149_114
.LBB149_111:
                                        ; implicit-def: $sgpr18
	s_branch .LBB149_102
.LBB149_112:
	v_dual_mov_b32 v5, 0 :: v_dual_mov_b32 v6, 0
	v_mov_b32_e32 v4, 0
.LBB149_113:
	s_cbranch_execnz .LBB149_116
.LBB149_114:
	v_mov_b32_e32 v1, 0
	s_and_not1_b32 vcc_lo, exec_lo, s30
	s_delay_alu instid0(VALU_DEP_1) | instskip(NEXT) | instid1(VALU_DEP_1)
	v_mul_u64_e32 v[2:3], s[20:21], v[0:1]
	v_add_nc_u32_e32 v2, v0, v3
	s_delay_alu instid0(VALU_DEP_1) | instskip(NEXT) | instid1(VALU_DEP_1)
	v_lshrrev_b32_e32 v2, s10, v2
	v_mul_lo_u32 v3, v2, s8
	s_delay_alu instid0(VALU_DEP_1) | instskip(NEXT) | instid1(VALU_DEP_1)
	v_sub_nc_u32_e32 v3, v0, v3
	v_mul_lo_u32 v4, v3, s12
	v_mul_lo_u32 v5, v3, s14
	;; [unrolled: 1-line block ×3, first 2 shown]
	s_cbranch_vccnz .LBB149_116
; %bb.115:
	v_mov_b32_e32 v3, v1
	s_delay_alu instid0(VALU_DEP_1) | instskip(NEXT) | instid1(VALU_DEP_1)
	v_mul_u64_e32 v[8:9], s[24:25], v[2:3]
	v_add_nc_u32_e32 v1, v2, v9
	s_delay_alu instid0(VALU_DEP_1) | instskip(NEXT) | instid1(VALU_DEP_1)
	v_lshrrev_b32_e32 v1, s1, v1
	v_mul_lo_u32 v1, v1, s11
	s_delay_alu instid0(VALU_DEP_1) | instskip(NEXT) | instid1(VALU_DEP_1)
	v_sub_nc_u32_e32 v1, v2, v1
	v_mad_u32 v4, v1, s15, v4
	v_mad_u32 v6, v1, s22, v6
	;; [unrolled: 1-line block ×3, first 2 shown]
.LBB149_116:
	global_load_b32 v1, v6, s[6:7]
	global_load_b32 v2, v5, s[16:17]
	s_and_not1_b32 vcc_lo, exec_lo, s9
	s_wait_loadcnt 0x0
	v_dual_lshrrev_b32 v3, 16, v1 :: v_dual_lshrrev_b32 v5, 16, v2
	s_cbranch_vccnz .LBB149_127
; %bb.117:
	v_cmp_neq_f16_e32 vcc_lo, v1, v2
	s_delay_alu instid0(VALU_DEP_2)
	v_cmp_neq_f16_e64 s0, v3, v5
	s_or_b32 s18, vcc_lo, s0
	s_cbranch_execnz .LBB149_119
.LBB149_118:
	v_cmp_eq_f16_e32 vcc_lo, v1, v2
	s_delay_alu instid0(VALU_DEP_2) | instskip(SKIP_2) | instid1(SALU_CYCLE_1)
	v_cmp_eq_f16_e64 s0, v3, v5
	s_and_not1_b32 s18, s18, exec_lo
	s_and_b32 s0, vcc_lo, s0
	s_and_b32 s0, s0, exec_lo
	s_delay_alu instid0(SALU_CYCLE_1)
	s_or_b32 s18, s18, s0
.LBB149_119:
	s_delay_alu instid0(SALU_CYCLE_1)
	v_cndmask_b32_e64 v1, 0, 1, s18
	v_add_nc_u32_e32 v0, 0x80, v0
	global_store_b8 v4, v1, s[4:5]
	s_wait_xcnt 0x0
	s_or_b32 exec_lo, exec_lo, s35
	v_cmp_gt_i32_e32 vcc_lo, s33, v0
	s_and_saveexec_b32 s33, vcc_lo
	s_cbranch_execz .LBB149_136
.LBB149_120:
	s_and_not1_b32 vcc_lo, exec_lo, s28
	s_cbranch_vccnz .LBB149_126
; %bb.121:
	s_and_not1_b32 vcc_lo, exec_lo, s34
	s_cbranch_vccnz .LBB149_128
; %bb.122:
	v_dual_mov_b32 v4, 0 :: v_dual_mov_b32 v1, v0
	v_dual_mov_b32 v6, 0 :: v_dual_mov_b32 v5, 0
	s_add_co_i32 s0, s31, 1
	s_mov_b64 s[18:19], 0xffffffffffffffe8
	s_and_b32 s0, s0, 30
	s_add_nc_u64 s[18:19], s[2:3], s[18:19]
.LBB149_123:                            ; =>This Inner Loop Header: Depth=1
	s_clause 0x1
	s_load_b128 s[36:39], s[18:19], 0x1c
	s_load_b64 s[34:35], s[18:19], 0x2c
	s_add_co_i32 s0, s0, -2
	s_delay_alu instid0(SALU_CYCLE_1) | instskip(SKIP_2) | instid1(VALU_DEP_1)
	s_cmp_eq_u32 s0, 0
	s_wait_kmcnt 0x0
	v_mul_hi_u32 v2, s37, v1
	v_add_nc_u32_e32 v2, v1, v2
	s_delay_alu instid0(VALU_DEP_1) | instskip(NEXT) | instid1(VALU_DEP_1)
	v_lshrrev_b32_e32 v2, s38, v2
	v_mul_hi_u32 v3, s34, v2
	v_mul_lo_u32 v7, v2, s36
	s_clause 0x1
	s_load_b128 s[40:43], s[18:19], 0xdc
	s_load_b64 s[36:37], s[18:19], 0xec
	s_wait_xcnt 0x0
	s_add_nc_u64 s[18:19], s[18:19], 24
	s_delay_alu instid0(VALU_DEP_2) | instskip(NEXT) | instid1(VALU_DEP_2)
	v_add_nc_u32_e32 v3, v2, v3
	v_sub_nc_u32_e32 v7, v1, v7
	s_delay_alu instid0(VALU_DEP_2) | instskip(SKIP_1) | instid1(VALU_DEP_2)
	v_lshrrev_b32_e32 v1, s35, v3
	s_wait_kmcnt 0x0
	v_mad_u32 v4, v7, s40, v4
	s_delay_alu instid0(VALU_DEP_2) | instskip(SKIP_2) | instid1(VALU_DEP_3)
	v_mul_lo_u32 v3, v1, s39
	v_mad_u32 v5, v7, s42, v5
	v_mad_u32 v6, v7, s41, v6
	v_sub_nc_u32_e32 v2, v2, v3
	s_delay_alu instid0(VALU_DEP_1) | instskip(NEXT) | instid1(VALU_DEP_4)
	v_mad_u32 v4, v2, s43, v4
	v_mad_u32 v5, v2, s37, v5
	s_delay_alu instid0(VALU_DEP_4)
	v_mad_u32 v6, v2, s36, v6
	s_cbranch_scc0 .LBB149_123
; %bb.124:
	s_bitcmp1_b32 s31, 0
	s_cselect_b32 s0, -1, 0
	s_delay_alu instid0(SALU_CYCLE_1)
	s_and_b32 vcc_lo, exec_lo, s0
	s_cbranch_vccnz .LBB149_129
; %bb.125:
	s_clause 0x1
	s_load_b96 s[36:38], s[18:19], 0x1c
	s_load_b96 s[40:42], s[18:19], 0xdc
	s_wait_kmcnt 0x0
	v_mul_hi_u32 v2, s37, v1
	s_delay_alu instid0(VALU_DEP_1) | instskip(NEXT) | instid1(VALU_DEP_1)
	v_add_nc_u32_e32 v2, v1, v2
	v_lshrrev_b32_e32 v2, s38, v2
	s_delay_alu instid0(VALU_DEP_1) | instskip(NEXT) | instid1(VALU_DEP_1)
	v_mul_lo_u32 v2, v2, s36
	v_sub_nc_u32_e32 v1, v1, v2
	s_delay_alu instid0(VALU_DEP_1)
	v_mad_u32 v4, v1, s40, v4
	v_mad_u32 v6, v1, s41, v6
	;; [unrolled: 1-line block ×3, first 2 shown]
	s_branch .LBB149_129
.LBB149_126:
                                        ; implicit-def: $vgpr5
                                        ; implicit-def: $vgpr6
                                        ; implicit-def: $vgpr4
	s_branch .LBB149_130
.LBB149_127:
                                        ; implicit-def: $sgpr18
	s_branch .LBB149_118
.LBB149_128:
	v_dual_mov_b32 v5, 0 :: v_dual_mov_b32 v6, 0
	v_mov_b32_e32 v4, 0
.LBB149_129:
	s_cbranch_execnz .LBB149_132
.LBB149_130:
	v_mov_b32_e32 v1, 0
	s_and_not1_b32 vcc_lo, exec_lo, s30
	s_delay_alu instid0(VALU_DEP_1) | instskip(NEXT) | instid1(VALU_DEP_1)
	v_mul_u64_e32 v[2:3], s[20:21], v[0:1]
	v_add_nc_u32_e32 v2, v0, v3
	s_delay_alu instid0(VALU_DEP_1) | instskip(NEXT) | instid1(VALU_DEP_1)
	v_lshrrev_b32_e32 v2, s10, v2
	v_mul_lo_u32 v3, v2, s8
	s_delay_alu instid0(VALU_DEP_1) | instskip(NEXT) | instid1(VALU_DEP_1)
	v_sub_nc_u32_e32 v0, v0, v3
	v_mul_lo_u32 v4, v0, s12
	v_mul_lo_u32 v5, v0, s14
	;; [unrolled: 1-line block ×3, first 2 shown]
	s_cbranch_vccnz .LBB149_132
; %bb.131:
	v_mov_b32_e32 v3, v1
	s_delay_alu instid0(VALU_DEP_1) | instskip(NEXT) | instid1(VALU_DEP_1)
	v_mul_u64_e32 v[0:1], s[24:25], v[2:3]
	v_add_nc_u32_e32 v0, v2, v1
	s_delay_alu instid0(VALU_DEP_1) | instskip(NEXT) | instid1(VALU_DEP_1)
	v_lshrrev_b32_e32 v0, s1, v0
	v_mul_lo_u32 v0, v0, s11
	s_delay_alu instid0(VALU_DEP_1) | instskip(NEXT) | instid1(VALU_DEP_1)
	v_sub_nc_u32_e32 v0, v2, v0
	v_mad_u32 v4, v0, s15, v4
	v_mad_u32 v6, v0, s22, v6
	;; [unrolled: 1-line block ×3, first 2 shown]
.LBB149_132:
	global_load_b32 v0, v6, s[6:7]
	global_load_b32 v1, v5, s[16:17]
	s_and_not1_b32 vcc_lo, exec_lo, s9
	s_wait_loadcnt 0x0
	v_dual_lshrrev_b32 v2, 16, v0 :: v_dual_lshrrev_b32 v3, 16, v1
	s_cbranch_vccnz .LBB149_149
; %bb.133:
	v_cmp_neq_f16_e32 vcc_lo, v0, v1
	s_delay_alu instid0(VALU_DEP_2)
	v_cmp_neq_f16_e64 s0, v2, v3
	s_or_b32 s1, vcc_lo, s0
	s_cbranch_execnz .LBB149_135
.LBB149_134:
	v_cmp_eq_f16_e32 vcc_lo, v0, v1
	s_delay_alu instid0(VALU_DEP_2) | instskip(SKIP_2) | instid1(SALU_CYCLE_1)
	v_cmp_eq_f16_e64 s0, v2, v3
	s_and_not1_b32 s1, s1, exec_lo
	s_and_b32 s0, vcc_lo, s0
	s_and_b32 s0, s0, exec_lo
	s_delay_alu instid0(SALU_CYCLE_1)
	s_or_b32 s1, s1, s0
.LBB149_135:
	s_delay_alu instid0(SALU_CYCLE_1)
	v_cndmask_b32_e64 v0, 0, 1, s1
	global_store_b8 v4, v0, s[4:5]
.LBB149_136:
	s_wait_xcnt 0x0
	s_or_b32 exec_lo, exec_lo, s33
                                        ; implicit-def: $vgpr3
                                        ; implicit-def: $vgpr0
.LBB149_137:
	s_and_not1_saveexec_b32 s0, s29
	s_cbranch_execz .LBB149_144
; %bb.138:
	v_cndmask_b32_e64 v9, 0, 1, s28
	s_and_not1_b32 vcc_lo, exec_lo, s28
	s_cbranch_vccnz .LBB149_145
; %bb.139:
	s_cmp_lg_u32 s26, 0
	s_mov_b32 s4, 0
	s_cbranch_scc0 .LBB149_150
; %bb.140:
	s_min_u32 s5, s27, 15
	v_dual_mov_b32 v1, 0 :: v_dual_mov_b32 v2, v0
	v_dual_mov_b32 v5, 0 :: v_dual_mov_b32 v4, 0
	s_add_co_i32 s6, s5, 1
	s_mov_b64 s[0:1], 0xffffffffffffffe8
	s_and_b32 s6, s6, 30
	s_add_nc_u64 s[0:1], s[2:3], s[0:1]
.LBB149_141:                            ; =>This Inner Loop Header: Depth=1
	s_clause 0x1
	s_load_b128 s[8:11], s[0:1], 0x1c
	s_load_b64 s[16:17], s[0:1], 0x2c
	s_add_co_i32 s6, s6, -2
	s_delay_alu instid0(SALU_CYCLE_1) | instskip(SKIP_2) | instid1(VALU_DEP_1)
	s_cmp_lg_u32 s6, 0
	s_wait_kmcnt 0x0
	v_mul_hi_u32 v6, s9, v2
	v_add_nc_u32_e32 v6, v2, v6
	s_delay_alu instid0(VALU_DEP_1) | instskip(NEXT) | instid1(VALU_DEP_1)
	v_lshrrev_b32_e32 v6, s10, v6
	v_mul_hi_u32 v7, s16, v6
	v_mul_lo_u32 v8, v6, s8
	s_clause 0x1
	s_load_b128 s[12:15], s[0:1], 0xdc
	s_load_b64 s[8:9], s[0:1], 0xec
	s_wait_xcnt 0x0
	s_add_nc_u64 s[0:1], s[0:1], 24
	s_delay_alu instid0(VALU_DEP_2) | instskip(NEXT) | instid1(VALU_DEP_1)
	v_add_nc_u32_e32 v7, v6, v7
	v_dual_sub_nc_u32 v8, v2, v8 :: v_dual_lshrrev_b32 v2, s17, v7
	s_wait_kmcnt 0x0
	s_delay_alu instid0(VALU_DEP_1) | instskip(NEXT) | instid1(VALU_DEP_2)
	v_mad_u32 v1, v8, s12, v1
	v_mul_lo_u32 v7, v2, s11
	v_mad_u32 v4, v8, s14, v4
	v_mad_u32 v5, v8, s13, v5
	s_delay_alu instid0(VALU_DEP_3) | instskip(NEXT) | instid1(VALU_DEP_1)
	v_sub_nc_u32_e32 v6, v6, v7
	v_mad_u32 v1, v6, s15, v1
	s_delay_alu instid0(VALU_DEP_4) | instskip(NEXT) | instid1(VALU_DEP_4)
	v_mad_u32 v4, v6, s9, v4
	v_mad_u32 v5, v6, s8, v5
	s_cbranch_scc1 .LBB149_141
; %bb.142:
	s_bitcmp1_b32 s5, 0
	s_cselect_b32 s5, -1, 0
	s_delay_alu instid0(SALU_CYCLE_1)
	s_and_b32 vcc_lo, exec_lo, s5
	s_cbranch_vccnz .LBB149_146
; %bb.143:
	s_clause 0x1
	s_load_b96 s[8:10], s[0:1], 0x1c
	s_load_b96 s[12:14], s[0:1], 0xdc
	s_wait_kmcnt 0x0
	v_mul_hi_u32 v6, s9, v2
	s_delay_alu instid0(VALU_DEP_1) | instskip(NEXT) | instid1(VALU_DEP_1)
	v_add_nc_u32_e32 v6, v2, v6
	v_lshrrev_b32_e32 v6, s10, v6
	s_delay_alu instid0(VALU_DEP_1) | instskip(NEXT) | instid1(VALU_DEP_1)
	v_mul_lo_u32 v6, v6, s8
	v_sub_nc_u32_e32 v2, v2, v6
	s_delay_alu instid0(VALU_DEP_1)
	v_mad_u32 v1, v2, s12, v1
	v_mad_u32 v5, v2, s13, v5
	v_mad_u32 v4, v2, s14, v4
	s_and_not1_b32 vcc_lo, exec_lo, s4
	s_cbranch_vccz .LBB149_147
	s_branch .LBB149_151
.LBB149_144:
	s_endpgm
.LBB149_145:
	s_mov_b32 s4, -1
                                        ; implicit-def: $vgpr4
                                        ; implicit-def: $vgpr5
                                        ; implicit-def: $vgpr1
.LBB149_146:
	s_delay_alu instid0(SALU_CYCLE_1)
	s_and_not1_b32 vcc_lo, exec_lo, s4
	s_cbranch_vccnz .LBB149_151
.LBB149_147:
	s_clause 0x1
	s_load_b96 s[4:6], s[2:3], 0x4
	s_load_b96 s[8:10], s[2:3], 0xc4
	s_cmp_lt_u32 s26, 2
	s_wait_kmcnt 0x0
	v_mul_hi_u32 v1, s5, v0
	s_delay_alu instid0(VALU_DEP_1) | instskip(NEXT) | instid1(VALU_DEP_1)
	v_add_nc_u32_e32 v1, v0, v1
	v_lshrrev_b32_e32 v2, s6, v1
	s_delay_alu instid0(VALU_DEP_1) | instskip(NEXT) | instid1(VALU_DEP_1)
	v_mul_lo_u32 v1, v2, s4
	v_sub_nc_u32_e32 v5, v0, v1
	s_delay_alu instid0(VALU_DEP_1)
	v_mul_lo_u32 v1, v5, s8
	v_mul_lo_u32 v4, v5, s10
	;; [unrolled: 1-line block ×3, first 2 shown]
	s_cbranch_scc1 .LBB149_151
; %bb.148:
	s_clause 0x1
	s_load_b96 s[4:6], s[2:3], 0x10
	s_load_b96 s[8:10], s[2:3], 0xd0
	s_wait_kmcnt 0x0
	v_mul_hi_u32 v6, s5, v2
	s_delay_alu instid0(VALU_DEP_1) | instskip(NEXT) | instid1(VALU_DEP_1)
	v_add_nc_u32_e32 v6, v2, v6
	v_lshrrev_b32_e32 v6, s6, v6
	s_delay_alu instid0(VALU_DEP_1) | instskip(NEXT) | instid1(VALU_DEP_1)
	v_mul_lo_u32 v6, v6, s4
	v_sub_nc_u32_e32 v2, v2, v6
	s_delay_alu instid0(VALU_DEP_1)
	v_mad_u32 v1, v2, s8, v1
	v_mad_u32 v5, v2, s9, v5
	;; [unrolled: 1-line block ×3, first 2 shown]
	s_branch .LBB149_151
.LBB149_149:
                                        ; implicit-def: $sgpr1
	s_branch .LBB149_134
.LBB149_150:
	v_dual_mov_b32 v4, 0 :: v_dual_mov_b32 v5, 0
	v_mov_b32_e32 v1, 0
	s_and_not1_b32 vcc_lo, exec_lo, s4
	s_cbranch_vccz .LBB149_147
.LBB149_151:
	v_cmp_ne_u32_e32 vcc_lo, 1, v9
	v_add_nc_u32_e32 v6, 0x80, v0
	s_cbranch_vccnz .LBB149_157
; %bb.152:
	s_cmp_lg_u32 s26, 0
	s_mov_b32 s4, 0
	s_cbranch_scc0 .LBB149_161
; %bb.153:
	s_min_u32 s5, s27, 15
	v_dual_mov_b32 v2, 0 :: v_dual_mov_b32 v10, v6
	v_dual_mov_b32 v8, 0 :: v_dual_mov_b32 v7, 0
	s_add_co_i32 s6, s5, 1
	s_mov_b64 s[0:1], 0xffffffffffffffe8
	s_and_b32 s6, s6, 30
	s_add_nc_u64 s[0:1], s[2:3], s[0:1]
.LBB149_154:                            ; =>This Inner Loop Header: Depth=1
	s_clause 0x1
	s_load_b128 s[8:11], s[0:1], 0x1c
	s_load_b64 s[16:17], s[0:1], 0x2c
	s_add_co_i32 s6, s6, -2
	s_delay_alu instid0(SALU_CYCLE_1) | instskip(SKIP_2) | instid1(VALU_DEP_1)
	s_cmp_lg_u32 s6, 0
	s_wait_kmcnt 0x0
	v_mul_hi_u32 v11, s9, v10
	v_add_nc_u32_e32 v11, v10, v11
	s_delay_alu instid0(VALU_DEP_1) | instskip(NEXT) | instid1(VALU_DEP_1)
	v_lshrrev_b32_e32 v11, s10, v11
	v_mul_hi_u32 v12, s16, v11
	v_mul_lo_u32 v13, v11, s8
	s_clause 0x1
	s_load_b128 s[12:15], s[0:1], 0xdc
	s_load_b64 s[8:9], s[0:1], 0xec
	s_wait_xcnt 0x0
	s_add_nc_u64 s[0:1], s[0:1], 24
	s_delay_alu instid0(VALU_DEP_1) | instskip(NEXT) | instid1(VALU_DEP_1)
	v_dual_add_nc_u32 v12, v11, v12 :: v_dual_sub_nc_u32 v13, v10, v13
	v_lshrrev_b32_e32 v10, s17, v12
	s_wait_kmcnt 0x0
	s_delay_alu instid0(VALU_DEP_2) | instskip(NEXT) | instid1(VALU_DEP_2)
	v_mad_u32 v2, v13, s12, v2
	v_mul_lo_u32 v12, v10, s11
	v_mad_u32 v7, v13, s14, v7
	v_mad_u32 v8, v13, s13, v8
	s_delay_alu instid0(VALU_DEP_3) | instskip(NEXT) | instid1(VALU_DEP_1)
	v_sub_nc_u32_e32 v11, v11, v12
	v_mad_u32 v2, v11, s15, v2
	s_delay_alu instid0(VALU_DEP_4) | instskip(NEXT) | instid1(VALU_DEP_4)
	v_mad_u32 v7, v11, s9, v7
	v_mad_u32 v8, v11, s8, v8
	s_cbranch_scc1 .LBB149_154
; %bb.155:
	s_bitcmp1_b32 s5, 0
	s_cselect_b32 s5, -1, 0
	s_delay_alu instid0(SALU_CYCLE_1)
	s_and_b32 vcc_lo, exec_lo, s5
	s_cbranch_vccnz .LBB149_158
; %bb.156:
	s_clause 0x1
	s_load_b96 s[8:10], s[0:1], 0x1c
	s_load_b96 s[12:14], s[0:1], 0xdc
	s_wait_kmcnt 0x0
	v_mul_hi_u32 v11, s9, v10
	s_delay_alu instid0(VALU_DEP_1) | instskip(NEXT) | instid1(VALU_DEP_1)
	v_add_nc_u32_e32 v11, v10, v11
	v_lshrrev_b32_e32 v11, s10, v11
	s_delay_alu instid0(VALU_DEP_1) | instskip(NEXT) | instid1(VALU_DEP_1)
	v_mul_lo_u32 v11, v11, s8
	v_sub_nc_u32_e32 v10, v10, v11
	s_delay_alu instid0(VALU_DEP_1)
	v_mad_u32 v2, v10, s12, v2
	v_mad_u32 v8, v10, s13, v8
	;; [unrolled: 1-line block ×3, first 2 shown]
	s_and_not1_b32 vcc_lo, exec_lo, s4
	s_cbranch_vccz .LBB149_159
	s_branch .LBB149_162
.LBB149_157:
	s_mov_b32 s4, -1
                                        ; implicit-def: $vgpr7
                                        ; implicit-def: $vgpr8
                                        ; implicit-def: $vgpr2
.LBB149_158:
	s_delay_alu instid0(SALU_CYCLE_1)
	s_and_not1_b32 vcc_lo, exec_lo, s4
	s_cbranch_vccnz .LBB149_162
.LBB149_159:
	s_clause 0x1
	s_load_b96 s[4:6], s[2:3], 0x4
	s_load_b96 s[8:10], s[2:3], 0xc4
	s_cmp_lt_u32 s26, 2
	s_wait_kmcnt 0x0
	v_mul_hi_u32 v2, s5, v6
	s_delay_alu instid0(VALU_DEP_1) | instskip(NEXT) | instid1(VALU_DEP_1)
	v_add_nc_u32_e32 v2, v6, v2
	v_lshrrev_b32_e32 v10, s6, v2
	s_delay_alu instid0(VALU_DEP_1) | instskip(NEXT) | instid1(VALU_DEP_1)
	v_mul_lo_u32 v2, v10, s4
	v_sub_nc_u32_e32 v6, v6, v2
	s_delay_alu instid0(VALU_DEP_1)
	v_mul_lo_u32 v2, v6, s8
	v_mul_lo_u32 v7, v6, s10
	;; [unrolled: 1-line block ×3, first 2 shown]
	s_cbranch_scc1 .LBB149_162
; %bb.160:
	s_clause 0x1
	s_load_b96 s[4:6], s[2:3], 0x10
	s_load_b96 s[8:10], s[2:3], 0xd0
	s_wait_kmcnt 0x0
	v_mul_hi_u32 v6, s5, v10
	s_delay_alu instid0(VALU_DEP_1) | instskip(NEXT) | instid1(VALU_DEP_1)
	v_add_nc_u32_e32 v6, v10, v6
	v_lshrrev_b32_e32 v6, s6, v6
	s_delay_alu instid0(VALU_DEP_1) | instskip(NEXT) | instid1(VALU_DEP_1)
	v_mul_lo_u32 v6, v6, s4
	v_sub_nc_u32_e32 v6, v10, v6
	s_delay_alu instid0(VALU_DEP_1)
	v_mad_u32 v2, v6, s8, v2
	v_mad_u32 v8, v6, s9, v8
	;; [unrolled: 1-line block ×3, first 2 shown]
	s_branch .LBB149_162
.LBB149_161:
	v_dual_mov_b32 v7, 0 :: v_dual_mov_b32 v8, 0
	v_mov_b32_e32 v2, 0
	s_and_not1_b32 vcc_lo, exec_lo, s4
	s_cbranch_vccz .LBB149_159
.LBB149_162:
	v_cmp_ne_u32_e32 vcc_lo, 1, v9
	v_add_nc_u32_e32 v10, 0x100, v0
	s_cbranch_vccnz .LBB149_168
; %bb.163:
	s_cmp_lg_u32 s26, 0
	s_mov_b32 s4, 0
	s_cbranch_scc0 .LBB149_172
; %bb.164:
	s_min_u32 s5, s27, 15
	v_dual_mov_b32 v6, 0 :: v_dual_mov_b32 v13, v10
	v_dual_mov_b32 v12, 0 :: v_dual_mov_b32 v11, 0
	s_add_co_i32 s6, s5, 1
	s_mov_b64 s[0:1], 0xffffffffffffffe8
	s_and_b32 s6, s6, 30
	s_add_nc_u64 s[0:1], s[2:3], s[0:1]
.LBB149_165:                            ; =>This Inner Loop Header: Depth=1
	s_clause 0x1
	s_load_b128 s[8:11], s[0:1], 0x1c
	s_load_b64 s[16:17], s[0:1], 0x2c
	s_add_co_i32 s6, s6, -2
	s_delay_alu instid0(SALU_CYCLE_1) | instskip(SKIP_2) | instid1(VALU_DEP_1)
	s_cmp_lg_u32 s6, 0
	s_wait_kmcnt 0x0
	v_mul_hi_u32 v14, s9, v13
	v_add_nc_u32_e32 v14, v13, v14
	s_delay_alu instid0(VALU_DEP_1) | instskip(NEXT) | instid1(VALU_DEP_1)
	v_lshrrev_b32_e32 v14, s10, v14
	v_mul_hi_u32 v15, s16, v14
	v_mul_lo_u32 v16, v14, s8
	s_clause 0x1
	s_load_b128 s[12:15], s[0:1], 0xdc
	s_load_b64 s[8:9], s[0:1], 0xec
	s_wait_xcnt 0x0
	s_add_nc_u64 s[0:1], s[0:1], 24
	s_delay_alu instid0(VALU_DEP_1) | instskip(NEXT) | instid1(VALU_DEP_1)
	v_dual_add_nc_u32 v15, v14, v15 :: v_dual_sub_nc_u32 v16, v13, v16
	v_lshrrev_b32_e32 v13, s17, v15
	s_wait_kmcnt 0x0
	s_delay_alu instid0(VALU_DEP_2) | instskip(NEXT) | instid1(VALU_DEP_2)
	v_mad_u32 v6, v16, s12, v6
	v_mul_lo_u32 v15, v13, s11
	v_mad_u32 v11, v16, s14, v11
	v_mad_u32 v12, v16, s13, v12
	s_delay_alu instid0(VALU_DEP_3) | instskip(NEXT) | instid1(VALU_DEP_1)
	v_sub_nc_u32_e32 v14, v14, v15
	v_mad_u32 v6, v14, s15, v6
	s_delay_alu instid0(VALU_DEP_4) | instskip(NEXT) | instid1(VALU_DEP_4)
	v_mad_u32 v11, v14, s9, v11
	v_mad_u32 v12, v14, s8, v12
	s_cbranch_scc1 .LBB149_165
; %bb.166:
	s_bitcmp1_b32 s5, 0
	s_cselect_b32 s5, -1, 0
	s_delay_alu instid0(SALU_CYCLE_1)
	s_and_b32 vcc_lo, exec_lo, s5
	s_cbranch_vccnz .LBB149_169
; %bb.167:
	s_clause 0x1
	s_load_b96 s[8:10], s[0:1], 0x1c
	s_load_b96 s[12:14], s[0:1], 0xdc
	s_wait_kmcnt 0x0
	v_mul_hi_u32 v14, s9, v13
	s_delay_alu instid0(VALU_DEP_1) | instskip(NEXT) | instid1(VALU_DEP_1)
	v_add_nc_u32_e32 v14, v13, v14
	v_lshrrev_b32_e32 v14, s10, v14
	s_delay_alu instid0(VALU_DEP_1) | instskip(NEXT) | instid1(VALU_DEP_1)
	v_mul_lo_u32 v14, v14, s8
	v_sub_nc_u32_e32 v13, v13, v14
	s_delay_alu instid0(VALU_DEP_1)
	v_mad_u32 v6, v13, s12, v6
	v_mad_u32 v12, v13, s13, v12
	;; [unrolled: 1-line block ×3, first 2 shown]
	s_and_not1_b32 vcc_lo, exec_lo, s4
	s_cbranch_vccz .LBB149_170
	s_branch .LBB149_173
.LBB149_168:
	s_mov_b32 s4, -1
                                        ; implicit-def: $vgpr11
                                        ; implicit-def: $vgpr12
                                        ; implicit-def: $vgpr6
.LBB149_169:
	s_delay_alu instid0(SALU_CYCLE_1)
	s_and_not1_b32 vcc_lo, exec_lo, s4
	s_cbranch_vccnz .LBB149_173
.LBB149_170:
	s_clause 0x1
	s_load_b96 s[4:6], s[2:3], 0x4
	s_load_b96 s[8:10], s[2:3], 0xc4
	s_cmp_lt_u32 s26, 2
	s_wait_kmcnt 0x0
	v_mul_hi_u32 v6, s5, v10
	s_delay_alu instid0(VALU_DEP_1) | instskip(NEXT) | instid1(VALU_DEP_1)
	v_add_nc_u32_e32 v6, v10, v6
	v_lshrrev_b32_e32 v13, s6, v6
	s_delay_alu instid0(VALU_DEP_1) | instskip(NEXT) | instid1(VALU_DEP_1)
	v_mul_lo_u32 v6, v13, s4
	v_sub_nc_u32_e32 v10, v10, v6
	s_delay_alu instid0(VALU_DEP_1)
	v_mul_lo_u32 v6, v10, s8
	v_mul_lo_u32 v11, v10, s10
	;; [unrolled: 1-line block ×3, first 2 shown]
	s_cbranch_scc1 .LBB149_173
; %bb.171:
	s_clause 0x1
	s_load_b96 s[4:6], s[2:3], 0x10
	s_load_b96 s[8:10], s[2:3], 0xd0
	s_wait_kmcnt 0x0
	v_mul_hi_u32 v10, s5, v13
	s_delay_alu instid0(VALU_DEP_1) | instskip(NEXT) | instid1(VALU_DEP_1)
	v_add_nc_u32_e32 v10, v13, v10
	v_lshrrev_b32_e32 v10, s6, v10
	s_delay_alu instid0(VALU_DEP_1) | instskip(NEXT) | instid1(VALU_DEP_1)
	v_mul_lo_u32 v10, v10, s4
	v_sub_nc_u32_e32 v10, v13, v10
	s_delay_alu instid0(VALU_DEP_1)
	v_mad_u32 v6, v10, s8, v6
	v_mad_u32 v12, v10, s9, v12
	;; [unrolled: 1-line block ×3, first 2 shown]
	s_branch .LBB149_173
.LBB149_172:
	v_dual_mov_b32 v11, 0 :: v_dual_mov_b32 v12, 0
	v_mov_b32_e32 v6, 0
	s_and_not1_b32 vcc_lo, exec_lo, s4
	s_cbranch_vccz .LBB149_170
.LBB149_173:
	v_cmp_ne_u32_e32 vcc_lo, 1, v9
	v_add_nc_u32_e32 v13, 0x180, v0
	s_cbranch_vccnz .LBB149_179
; %bb.174:
	s_cmp_lg_u32 s26, 0
	s_mov_b32 s4, 0
	s_cbranch_scc0 .LBB149_183
; %bb.175:
	s_min_u32 s5, s27, 15
	v_dual_mov_b32 v10, 0 :: v_dual_mov_b32 v16, v13
	v_dual_mov_b32 v15, 0 :: v_dual_mov_b32 v14, 0
	s_add_co_i32 s6, s5, 1
	s_mov_b64 s[0:1], 0xffffffffffffffe8
	s_and_b32 s6, s6, 30
	s_add_nc_u64 s[0:1], s[2:3], s[0:1]
.LBB149_176:                            ; =>This Inner Loop Header: Depth=1
	s_clause 0x1
	s_load_b128 s[8:11], s[0:1], 0x1c
	s_load_b64 s[16:17], s[0:1], 0x2c
	s_add_co_i32 s6, s6, -2
	s_delay_alu instid0(SALU_CYCLE_1) | instskip(SKIP_2) | instid1(VALU_DEP_1)
	s_cmp_lg_u32 s6, 0
	s_wait_kmcnt 0x0
	v_mul_hi_u32 v17, s9, v16
	v_add_nc_u32_e32 v17, v16, v17
	s_delay_alu instid0(VALU_DEP_1) | instskip(NEXT) | instid1(VALU_DEP_1)
	v_lshrrev_b32_e32 v17, s10, v17
	v_mul_hi_u32 v18, s16, v17
	v_mul_lo_u32 v19, v17, s8
	s_clause 0x1
	s_load_b128 s[12:15], s[0:1], 0xdc
	s_load_b64 s[8:9], s[0:1], 0xec
	s_wait_xcnt 0x0
	s_add_nc_u64 s[0:1], s[0:1], 24
	s_delay_alu instid0(VALU_DEP_1) | instskip(NEXT) | instid1(VALU_DEP_1)
	v_dual_add_nc_u32 v18, v17, v18 :: v_dual_sub_nc_u32 v19, v16, v19
	v_lshrrev_b32_e32 v16, s17, v18
	s_wait_kmcnt 0x0
	s_delay_alu instid0(VALU_DEP_2) | instskip(NEXT) | instid1(VALU_DEP_2)
	v_mad_u32 v10, v19, s12, v10
	v_mul_lo_u32 v18, v16, s11
	v_mad_u32 v14, v19, s14, v14
	v_mad_u32 v15, v19, s13, v15
	s_delay_alu instid0(VALU_DEP_3) | instskip(NEXT) | instid1(VALU_DEP_1)
	v_sub_nc_u32_e32 v17, v17, v18
	v_mad_u32 v10, v17, s15, v10
	s_delay_alu instid0(VALU_DEP_4) | instskip(NEXT) | instid1(VALU_DEP_4)
	v_mad_u32 v14, v17, s9, v14
	v_mad_u32 v15, v17, s8, v15
	s_cbranch_scc1 .LBB149_176
; %bb.177:
	s_bitcmp1_b32 s5, 0
	s_cselect_b32 s5, -1, 0
	s_delay_alu instid0(SALU_CYCLE_1)
	s_and_b32 vcc_lo, exec_lo, s5
	s_cbranch_vccnz .LBB149_180
; %bb.178:
	s_clause 0x1
	s_load_b96 s[8:10], s[0:1], 0x1c
	s_load_b96 s[12:14], s[0:1], 0xdc
	s_wait_kmcnt 0x0
	v_mul_hi_u32 v17, s9, v16
	s_delay_alu instid0(VALU_DEP_1) | instskip(NEXT) | instid1(VALU_DEP_1)
	v_add_nc_u32_e32 v17, v16, v17
	v_lshrrev_b32_e32 v17, s10, v17
	s_delay_alu instid0(VALU_DEP_1) | instskip(NEXT) | instid1(VALU_DEP_1)
	v_mul_lo_u32 v17, v17, s8
	v_sub_nc_u32_e32 v16, v16, v17
	s_delay_alu instid0(VALU_DEP_1)
	v_mad_u32 v10, v16, s12, v10
	v_mad_u32 v15, v16, s13, v15
	;; [unrolled: 1-line block ×3, first 2 shown]
	s_and_not1_b32 vcc_lo, exec_lo, s4
	s_cbranch_vccz .LBB149_181
	s_branch .LBB149_184
.LBB149_179:
	s_mov_b32 s4, -1
                                        ; implicit-def: $vgpr14
                                        ; implicit-def: $vgpr15
                                        ; implicit-def: $vgpr10
.LBB149_180:
	s_delay_alu instid0(SALU_CYCLE_1)
	s_and_not1_b32 vcc_lo, exec_lo, s4
	s_cbranch_vccnz .LBB149_184
.LBB149_181:
	s_clause 0x1
	s_load_b96 s[4:6], s[2:3], 0x4
	s_load_b96 s[8:10], s[2:3], 0xc4
	s_cmp_lt_u32 s26, 2
	s_wait_kmcnt 0x0
	v_mul_hi_u32 v10, s5, v13
	s_delay_alu instid0(VALU_DEP_1) | instskip(NEXT) | instid1(VALU_DEP_1)
	v_add_nc_u32_e32 v10, v13, v10
	v_lshrrev_b32_e32 v16, s6, v10
	s_delay_alu instid0(VALU_DEP_1) | instskip(NEXT) | instid1(VALU_DEP_1)
	v_mul_lo_u32 v10, v16, s4
	v_sub_nc_u32_e32 v13, v13, v10
	s_delay_alu instid0(VALU_DEP_1)
	v_mul_lo_u32 v10, v13, s8
	v_mul_lo_u32 v14, v13, s10
	;; [unrolled: 1-line block ×3, first 2 shown]
	s_cbranch_scc1 .LBB149_184
; %bb.182:
	s_clause 0x1
	s_load_b96 s[4:6], s[2:3], 0x10
	s_load_b96 s[8:10], s[2:3], 0xd0
	s_wait_kmcnt 0x0
	v_mul_hi_u32 v13, s5, v16
	s_delay_alu instid0(VALU_DEP_1) | instskip(NEXT) | instid1(VALU_DEP_1)
	v_add_nc_u32_e32 v13, v16, v13
	v_lshrrev_b32_e32 v13, s6, v13
	s_delay_alu instid0(VALU_DEP_1) | instskip(NEXT) | instid1(VALU_DEP_1)
	v_mul_lo_u32 v13, v13, s4
	v_sub_nc_u32_e32 v13, v16, v13
	s_delay_alu instid0(VALU_DEP_1)
	v_mad_u32 v10, v13, s8, v10
	v_mad_u32 v15, v13, s9, v15
	;; [unrolled: 1-line block ×3, first 2 shown]
	s_branch .LBB149_184
.LBB149_183:
	v_dual_mov_b32 v14, 0 :: v_dual_mov_b32 v15, 0
	v_mov_b32_e32 v10, 0
	s_and_not1_b32 vcc_lo, exec_lo, s4
	s_cbranch_vccz .LBB149_181
.LBB149_184:
	v_cmp_ne_u32_e32 vcc_lo, 1, v9
	v_add_nc_u32_e32 v18, 0x200, v0
	s_cbranch_vccnz .LBB149_190
; %bb.185:
	s_cmp_lg_u32 s26, 0
	s_mov_b32 s4, 0
	s_cbranch_scc0 .LBB149_194
; %bb.186:
	s_min_u32 s5, s27, 15
	v_dual_mov_b32 v13, 0 :: v_dual_mov_b32 v19, v18
	v_dual_mov_b32 v17, 0 :: v_dual_mov_b32 v16, 0
	s_add_co_i32 s6, s5, 1
	s_mov_b64 s[0:1], 0xffffffffffffffe8
	s_and_b32 s6, s6, 30
	s_add_nc_u64 s[0:1], s[2:3], s[0:1]
.LBB149_187:                            ; =>This Inner Loop Header: Depth=1
	s_clause 0x1
	s_load_b128 s[8:11], s[0:1], 0x1c
	s_load_b64 s[16:17], s[0:1], 0x2c
	s_add_co_i32 s6, s6, -2
	s_delay_alu instid0(SALU_CYCLE_1) | instskip(SKIP_2) | instid1(VALU_DEP_1)
	s_cmp_lg_u32 s6, 0
	s_wait_kmcnt 0x0
	v_mul_hi_u32 v20, s9, v19
	v_add_nc_u32_e32 v20, v19, v20
	s_delay_alu instid0(VALU_DEP_1) | instskip(NEXT) | instid1(VALU_DEP_1)
	v_lshrrev_b32_e32 v20, s10, v20
	v_mul_hi_u32 v21, s16, v20
	v_mul_lo_u32 v22, v20, s8
	s_clause 0x1
	s_load_b128 s[12:15], s[0:1], 0xdc
	s_load_b64 s[8:9], s[0:1], 0xec
	s_wait_xcnt 0x0
	s_add_nc_u64 s[0:1], s[0:1], 24
	s_delay_alu instid0(VALU_DEP_1) | instskip(NEXT) | instid1(VALU_DEP_1)
	v_dual_add_nc_u32 v21, v20, v21 :: v_dual_sub_nc_u32 v22, v19, v22
	v_lshrrev_b32_e32 v19, s17, v21
	s_wait_kmcnt 0x0
	s_delay_alu instid0(VALU_DEP_2) | instskip(NEXT) | instid1(VALU_DEP_2)
	v_mad_u32 v13, v22, s12, v13
	v_mul_lo_u32 v21, v19, s11
	v_mad_u32 v16, v22, s14, v16
	v_mad_u32 v17, v22, s13, v17
	s_delay_alu instid0(VALU_DEP_3) | instskip(NEXT) | instid1(VALU_DEP_1)
	v_sub_nc_u32_e32 v20, v20, v21
	v_mad_u32 v13, v20, s15, v13
	s_delay_alu instid0(VALU_DEP_4) | instskip(NEXT) | instid1(VALU_DEP_4)
	v_mad_u32 v16, v20, s9, v16
	v_mad_u32 v17, v20, s8, v17
	s_cbranch_scc1 .LBB149_187
; %bb.188:
	s_bitcmp1_b32 s5, 0
	s_cselect_b32 s5, -1, 0
	s_delay_alu instid0(SALU_CYCLE_1)
	s_and_b32 vcc_lo, exec_lo, s5
	s_cbranch_vccnz .LBB149_191
; %bb.189:
	s_clause 0x1
	s_load_b96 s[8:10], s[0:1], 0x1c
	s_load_b96 s[12:14], s[0:1], 0xdc
	s_wait_kmcnt 0x0
	v_mul_hi_u32 v20, s9, v19
	s_delay_alu instid0(VALU_DEP_1) | instskip(NEXT) | instid1(VALU_DEP_1)
	v_add_nc_u32_e32 v20, v19, v20
	v_lshrrev_b32_e32 v20, s10, v20
	s_delay_alu instid0(VALU_DEP_1) | instskip(NEXT) | instid1(VALU_DEP_1)
	v_mul_lo_u32 v20, v20, s8
	v_sub_nc_u32_e32 v19, v19, v20
	s_delay_alu instid0(VALU_DEP_1)
	v_mad_u32 v13, v19, s12, v13
	v_mad_u32 v17, v19, s13, v17
	;; [unrolled: 1-line block ×3, first 2 shown]
	s_and_not1_b32 vcc_lo, exec_lo, s4
	s_cbranch_vccz .LBB149_192
	s_branch .LBB149_195
.LBB149_190:
	s_mov_b32 s4, -1
                                        ; implicit-def: $vgpr16
                                        ; implicit-def: $vgpr17
                                        ; implicit-def: $vgpr13
.LBB149_191:
	s_delay_alu instid0(SALU_CYCLE_1)
	s_and_not1_b32 vcc_lo, exec_lo, s4
	s_cbranch_vccnz .LBB149_195
.LBB149_192:
	s_clause 0x1
	s_load_b96 s[4:6], s[2:3], 0x4
	s_load_b96 s[8:10], s[2:3], 0xc4
	s_cmp_lt_u32 s26, 2
	s_wait_kmcnt 0x0
	v_mul_hi_u32 v13, s5, v18
	s_delay_alu instid0(VALU_DEP_1) | instskip(NEXT) | instid1(VALU_DEP_1)
	v_add_nc_u32_e32 v13, v18, v13
	v_lshrrev_b32_e32 v19, s6, v13
	s_delay_alu instid0(VALU_DEP_1) | instskip(NEXT) | instid1(VALU_DEP_1)
	v_mul_lo_u32 v13, v19, s4
	v_sub_nc_u32_e32 v17, v18, v13
	s_delay_alu instid0(VALU_DEP_1)
	v_mul_lo_u32 v13, v17, s8
	v_mul_lo_u32 v16, v17, s10
	;; [unrolled: 1-line block ×3, first 2 shown]
	s_cbranch_scc1 .LBB149_195
; %bb.193:
	s_clause 0x1
	s_load_b96 s[4:6], s[2:3], 0x10
	s_load_b96 s[8:10], s[2:3], 0xd0
	s_wait_kmcnt 0x0
	v_mul_hi_u32 v18, s5, v19
	s_delay_alu instid0(VALU_DEP_1) | instskip(NEXT) | instid1(VALU_DEP_1)
	v_add_nc_u32_e32 v18, v19, v18
	v_lshrrev_b32_e32 v18, s6, v18
	s_delay_alu instid0(VALU_DEP_1) | instskip(NEXT) | instid1(VALU_DEP_1)
	v_mul_lo_u32 v18, v18, s4
	v_sub_nc_u32_e32 v18, v19, v18
	s_delay_alu instid0(VALU_DEP_1)
	v_mad_u32 v13, v18, s8, v13
	v_mad_u32 v17, v18, s9, v17
	;; [unrolled: 1-line block ×3, first 2 shown]
	s_branch .LBB149_195
.LBB149_194:
	v_dual_mov_b32 v16, 0 :: v_dual_mov_b32 v17, 0
	v_mov_b32_e32 v13, 0
	s_and_not1_b32 vcc_lo, exec_lo, s4
	s_cbranch_vccz .LBB149_192
.LBB149_195:
	v_cmp_ne_u32_e32 vcc_lo, 1, v9
	v_add_nc_u32_e32 v21, 0x280, v0
	s_cbranch_vccnz .LBB149_201
; %bb.196:
	s_cmp_lg_u32 s26, 0
	s_mov_b32 s4, 0
	s_cbranch_scc0 .LBB149_205
; %bb.197:
	s_min_u32 s5, s27, 15
	v_dual_mov_b32 v18, 0 :: v_dual_mov_b32 v22, v21
	v_dual_mov_b32 v20, 0 :: v_dual_mov_b32 v19, 0
	s_add_co_i32 s6, s5, 1
	s_mov_b64 s[0:1], 0xffffffffffffffe8
	s_and_b32 s6, s6, 30
	s_add_nc_u64 s[0:1], s[2:3], s[0:1]
.LBB149_198:                            ; =>This Inner Loop Header: Depth=1
	s_clause 0x1
	s_load_b128 s[8:11], s[0:1], 0x1c
	s_load_b64 s[16:17], s[0:1], 0x2c
	s_add_co_i32 s6, s6, -2
	s_delay_alu instid0(SALU_CYCLE_1) | instskip(SKIP_2) | instid1(VALU_DEP_1)
	s_cmp_lg_u32 s6, 0
	s_wait_kmcnt 0x0
	v_mul_hi_u32 v23, s9, v22
	v_add_nc_u32_e32 v23, v22, v23
	s_delay_alu instid0(VALU_DEP_1) | instskip(NEXT) | instid1(VALU_DEP_1)
	v_lshrrev_b32_e32 v23, s10, v23
	v_mul_hi_u32 v24, s16, v23
	v_mul_lo_u32 v25, v23, s8
	s_clause 0x1
	s_load_b128 s[12:15], s[0:1], 0xdc
	s_load_b64 s[8:9], s[0:1], 0xec
	s_wait_xcnt 0x0
	s_add_nc_u64 s[0:1], s[0:1], 24
	s_delay_alu instid0(VALU_DEP_1) | instskip(NEXT) | instid1(VALU_DEP_1)
	v_dual_add_nc_u32 v24, v23, v24 :: v_dual_sub_nc_u32 v25, v22, v25
	v_lshrrev_b32_e32 v22, s17, v24
	s_wait_kmcnt 0x0
	s_delay_alu instid0(VALU_DEP_2) | instskip(NEXT) | instid1(VALU_DEP_2)
	v_mad_u32 v18, v25, s12, v18
	v_mul_lo_u32 v24, v22, s11
	v_mad_u32 v19, v25, s14, v19
	v_mad_u32 v20, v25, s13, v20
	s_delay_alu instid0(VALU_DEP_3) | instskip(NEXT) | instid1(VALU_DEP_1)
	v_sub_nc_u32_e32 v23, v23, v24
	v_mad_u32 v18, v23, s15, v18
	s_delay_alu instid0(VALU_DEP_4) | instskip(NEXT) | instid1(VALU_DEP_4)
	v_mad_u32 v19, v23, s9, v19
	v_mad_u32 v20, v23, s8, v20
	s_cbranch_scc1 .LBB149_198
; %bb.199:
	s_bitcmp1_b32 s5, 0
	s_cselect_b32 s5, -1, 0
	s_delay_alu instid0(SALU_CYCLE_1)
	s_and_b32 vcc_lo, exec_lo, s5
	s_cbranch_vccnz .LBB149_202
; %bb.200:
	s_clause 0x1
	s_load_b96 s[8:10], s[0:1], 0x1c
	s_load_b96 s[12:14], s[0:1], 0xdc
	s_wait_kmcnt 0x0
	v_mul_hi_u32 v23, s9, v22
	s_delay_alu instid0(VALU_DEP_1) | instskip(NEXT) | instid1(VALU_DEP_1)
	v_add_nc_u32_e32 v23, v22, v23
	v_lshrrev_b32_e32 v23, s10, v23
	s_delay_alu instid0(VALU_DEP_1) | instskip(NEXT) | instid1(VALU_DEP_1)
	v_mul_lo_u32 v23, v23, s8
	v_sub_nc_u32_e32 v22, v22, v23
	s_delay_alu instid0(VALU_DEP_1)
	v_mad_u32 v18, v22, s12, v18
	v_mad_u32 v20, v22, s13, v20
	;; [unrolled: 1-line block ×3, first 2 shown]
	s_and_not1_b32 vcc_lo, exec_lo, s4
	s_cbranch_vccz .LBB149_203
	s_branch .LBB149_206
.LBB149_201:
	s_mov_b32 s4, -1
                                        ; implicit-def: $vgpr19
                                        ; implicit-def: $vgpr20
                                        ; implicit-def: $vgpr18
.LBB149_202:
	s_delay_alu instid0(SALU_CYCLE_1)
	s_and_not1_b32 vcc_lo, exec_lo, s4
	s_cbranch_vccnz .LBB149_206
.LBB149_203:
	s_clause 0x1
	s_load_b96 s[4:6], s[2:3], 0x4
	s_load_b96 s[8:10], s[2:3], 0xc4
	s_cmp_lt_u32 s26, 2
	s_wait_kmcnt 0x0
	v_mul_hi_u32 v18, s5, v21
	s_delay_alu instid0(VALU_DEP_1) | instskip(NEXT) | instid1(VALU_DEP_1)
	v_add_nc_u32_e32 v18, v21, v18
	v_lshrrev_b32_e32 v22, s6, v18
	s_delay_alu instid0(VALU_DEP_1) | instskip(NEXT) | instid1(VALU_DEP_1)
	v_mul_lo_u32 v18, v22, s4
	v_sub_nc_u32_e32 v20, v21, v18
	s_delay_alu instid0(VALU_DEP_1)
	v_mul_lo_u32 v18, v20, s8
	v_mul_lo_u32 v19, v20, s10
	;; [unrolled: 1-line block ×3, first 2 shown]
	s_cbranch_scc1 .LBB149_206
; %bb.204:
	s_clause 0x1
	s_load_b96 s[4:6], s[2:3], 0x10
	s_load_b96 s[8:10], s[2:3], 0xd0
	s_wait_kmcnt 0x0
	v_mul_hi_u32 v21, s5, v22
	s_delay_alu instid0(VALU_DEP_1) | instskip(NEXT) | instid1(VALU_DEP_1)
	v_add_nc_u32_e32 v21, v22, v21
	v_lshrrev_b32_e32 v21, s6, v21
	s_delay_alu instid0(VALU_DEP_1) | instskip(NEXT) | instid1(VALU_DEP_1)
	v_mul_lo_u32 v21, v21, s4
	v_sub_nc_u32_e32 v21, v22, v21
	s_delay_alu instid0(VALU_DEP_1)
	v_mad_u32 v18, v21, s8, v18
	v_mad_u32 v20, v21, s9, v20
	;; [unrolled: 1-line block ×3, first 2 shown]
	s_branch .LBB149_206
.LBB149_205:
	v_dual_mov_b32 v19, 0 :: v_dual_mov_b32 v20, 0
	v_mov_b32_e32 v18, 0
	s_and_not1_b32 vcc_lo, exec_lo, s4
	s_cbranch_vccz .LBB149_203
.LBB149_206:
	v_cmp_ne_u32_e32 vcc_lo, 1, v9
	v_add_nc_u32_e32 v23, 0x300, v0
	s_cbranch_vccnz .LBB149_212
; %bb.207:
	s_cmp_lg_u32 s26, 0
	s_mov_b32 s4, 0
	s_cbranch_scc0 .LBB149_216
; %bb.208:
	s_min_u32 s5, s27, 15
	v_dual_mov_b32 v0, 0 :: v_dual_mov_b32 v24, v23
	v_dual_mov_b32 v22, 0 :: v_dual_mov_b32 v21, 0
	s_add_co_i32 s6, s5, 1
	s_mov_b64 s[0:1], 0xffffffffffffffe8
	s_and_b32 s6, s6, 30
	s_add_nc_u64 s[0:1], s[2:3], s[0:1]
.LBB149_209:                            ; =>This Inner Loop Header: Depth=1
	s_clause 0x1
	s_load_b128 s[8:11], s[0:1], 0x1c
	s_load_b64 s[16:17], s[0:1], 0x2c
	s_add_co_i32 s6, s6, -2
	s_delay_alu instid0(SALU_CYCLE_1) | instskip(SKIP_2) | instid1(VALU_DEP_1)
	s_cmp_lg_u32 s6, 0
	s_wait_kmcnt 0x0
	v_mul_hi_u32 v25, s9, v24
	v_add_nc_u32_e32 v25, v24, v25
	s_delay_alu instid0(VALU_DEP_1) | instskip(NEXT) | instid1(VALU_DEP_1)
	v_lshrrev_b32_e32 v25, s10, v25
	v_mul_hi_u32 v26, s16, v25
	v_mul_lo_u32 v27, v25, s8
	s_clause 0x1
	s_load_b128 s[12:15], s[0:1], 0xdc
	s_load_b64 s[8:9], s[0:1], 0xec
	s_wait_xcnt 0x0
	s_add_nc_u64 s[0:1], s[0:1], 24
	s_delay_alu instid0(VALU_DEP_1) | instskip(NEXT) | instid1(VALU_DEP_1)
	v_dual_add_nc_u32 v26, v25, v26 :: v_dual_sub_nc_u32 v27, v24, v27
	v_lshrrev_b32_e32 v24, s17, v26
	s_wait_kmcnt 0x0
	s_delay_alu instid0(VALU_DEP_2) | instskip(NEXT) | instid1(VALU_DEP_2)
	v_mad_u32 v0, v27, s12, v0
	v_mul_lo_u32 v26, v24, s11
	v_mad_u32 v21, v27, s14, v21
	v_mad_u32 v22, v27, s13, v22
	s_delay_alu instid0(VALU_DEP_3) | instskip(NEXT) | instid1(VALU_DEP_1)
	v_sub_nc_u32_e32 v25, v25, v26
	v_mad_u32 v0, v25, s15, v0
	s_delay_alu instid0(VALU_DEP_4) | instskip(NEXT) | instid1(VALU_DEP_4)
	v_mad_u32 v21, v25, s9, v21
	v_mad_u32 v22, v25, s8, v22
	s_cbranch_scc1 .LBB149_209
; %bb.210:
	s_bitcmp1_b32 s5, 0
	s_cselect_b32 s5, -1, 0
	s_delay_alu instid0(SALU_CYCLE_1)
	s_and_b32 vcc_lo, exec_lo, s5
	s_cbranch_vccnz .LBB149_213
; %bb.211:
	s_clause 0x1
	s_load_b96 s[8:10], s[0:1], 0x1c
	s_load_b96 s[12:14], s[0:1], 0xdc
	s_wait_kmcnt 0x0
	v_mul_hi_u32 v25, s9, v24
	s_delay_alu instid0(VALU_DEP_1) | instskip(NEXT) | instid1(VALU_DEP_1)
	v_add_nc_u32_e32 v25, v24, v25
	v_lshrrev_b32_e32 v25, s10, v25
	s_delay_alu instid0(VALU_DEP_1) | instskip(NEXT) | instid1(VALU_DEP_1)
	v_mul_lo_u32 v25, v25, s8
	v_sub_nc_u32_e32 v24, v24, v25
	s_delay_alu instid0(VALU_DEP_1)
	v_mad_u32 v0, v24, s12, v0
	v_mad_u32 v22, v24, s13, v22
	;; [unrolled: 1-line block ×3, first 2 shown]
	s_and_not1_b32 vcc_lo, exec_lo, s4
	s_cbranch_vccz .LBB149_214
	s_branch .LBB149_217
.LBB149_212:
	s_mov_b32 s4, -1
                                        ; implicit-def: $vgpr21
                                        ; implicit-def: $vgpr22
                                        ; implicit-def: $vgpr0
.LBB149_213:
	s_delay_alu instid0(SALU_CYCLE_1)
	s_and_not1_b32 vcc_lo, exec_lo, s4
	s_cbranch_vccnz .LBB149_217
.LBB149_214:
	s_clause 0x1
	s_load_b96 s[4:6], s[2:3], 0x4
	s_load_b96 s[8:10], s[2:3], 0xc4
	s_cmp_lt_u32 s26, 2
	s_wait_kmcnt 0x0
	v_mul_hi_u32 v0, s5, v23
	s_delay_alu instid0(VALU_DEP_1) | instskip(NEXT) | instid1(VALU_DEP_1)
	v_add_nc_u32_e32 v0, v23, v0
	v_lshrrev_b32_e32 v24, s6, v0
	s_delay_alu instid0(VALU_DEP_1) | instskip(NEXT) | instid1(VALU_DEP_1)
	v_mul_lo_u32 v0, v24, s4
	v_sub_nc_u32_e32 v22, v23, v0
	s_delay_alu instid0(VALU_DEP_1)
	v_mul_lo_u32 v0, v22, s8
	v_mul_lo_u32 v21, v22, s10
	;; [unrolled: 1-line block ×3, first 2 shown]
	s_cbranch_scc1 .LBB149_217
; %bb.215:
	s_clause 0x1
	s_load_b96 s[4:6], s[2:3], 0x10
	s_load_b96 s[8:10], s[2:3], 0xd0
	s_wait_kmcnt 0x0
	v_mul_hi_u32 v23, s5, v24
	s_delay_alu instid0(VALU_DEP_1) | instskip(NEXT) | instid1(VALU_DEP_1)
	v_add_nc_u32_e32 v23, v24, v23
	v_lshrrev_b32_e32 v23, s6, v23
	s_delay_alu instid0(VALU_DEP_1) | instskip(NEXT) | instid1(VALU_DEP_1)
	v_mul_lo_u32 v23, v23, s4
	v_sub_nc_u32_e32 v23, v24, v23
	s_delay_alu instid0(VALU_DEP_1)
	v_mad_u32 v0, v23, s8, v0
	v_mad_u32 v22, v23, s9, v22
	;; [unrolled: 1-line block ×3, first 2 shown]
	s_branch .LBB149_217
.LBB149_216:
	v_dual_mov_b32 v21, 0 :: v_dual_mov_b32 v22, 0
	v_mov_b32_e32 v0, 0
	s_and_not1_b32 vcc_lo, exec_lo, s4
	s_cbranch_vccz .LBB149_214
.LBB149_217:
	v_cmp_ne_u32_e32 vcc_lo, 1, v9
	s_cbranch_vccnz .LBB149_223
; %bb.218:
	s_cmp_lg_u32 s26, 0
	s_mov_b32 s4, 0
	s_cbranch_scc0 .LBB149_227
; %bb.219:
	s_min_u32 s5, s27, 15
	v_dual_mov_b32 v9, 0 :: v_dual_mov_b32 v25, v3
	v_dual_mov_b32 v24, 0 :: v_dual_mov_b32 v23, 0
	s_add_co_i32 s6, s5, 1
	s_mov_b64 s[0:1], 0xffffffffffffffe8
	s_and_b32 s6, s6, 30
	s_add_nc_u64 s[0:1], s[2:3], s[0:1]
.LBB149_220:                            ; =>This Inner Loop Header: Depth=1
	s_clause 0x1
	s_load_b128 s[8:11], s[0:1], 0x1c
	s_load_b64 s[16:17], s[0:1], 0x2c
	s_add_co_i32 s6, s6, -2
	s_delay_alu instid0(SALU_CYCLE_1) | instskip(SKIP_2) | instid1(VALU_DEP_1)
	s_cmp_lg_u32 s6, 0
	s_wait_kmcnt 0x0
	v_mul_hi_u32 v26, s9, v25
	v_add_nc_u32_e32 v26, v25, v26
	s_delay_alu instid0(VALU_DEP_1) | instskip(NEXT) | instid1(VALU_DEP_1)
	v_lshrrev_b32_e32 v26, s10, v26
	v_mul_hi_u32 v27, s16, v26
	v_mul_lo_u32 v28, v26, s8
	s_clause 0x1
	s_load_b128 s[12:15], s[0:1], 0xdc
	s_load_b64 s[8:9], s[0:1], 0xec
	s_wait_xcnt 0x0
	s_add_nc_u64 s[0:1], s[0:1], 24
	s_delay_alu instid0(VALU_DEP_1) | instskip(NEXT) | instid1(VALU_DEP_1)
	v_dual_add_nc_u32 v27, v26, v27 :: v_dual_sub_nc_u32 v28, v25, v28
	v_lshrrev_b32_e32 v25, s17, v27
	s_wait_kmcnt 0x0
	s_delay_alu instid0(VALU_DEP_2) | instskip(NEXT) | instid1(VALU_DEP_2)
	v_mad_u32 v9, v28, s12, v9
	v_mul_lo_u32 v27, v25, s11
	v_mad_u32 v23, v28, s14, v23
	v_mad_u32 v24, v28, s13, v24
	s_delay_alu instid0(VALU_DEP_3) | instskip(NEXT) | instid1(VALU_DEP_1)
	v_sub_nc_u32_e32 v26, v26, v27
	v_mad_u32 v9, v26, s15, v9
	s_delay_alu instid0(VALU_DEP_4) | instskip(NEXT) | instid1(VALU_DEP_4)
	v_mad_u32 v23, v26, s9, v23
	v_mad_u32 v24, v26, s8, v24
	s_cbranch_scc1 .LBB149_220
; %bb.221:
	s_bitcmp1_b32 s5, 0
	s_cselect_b32 s5, -1, 0
	s_delay_alu instid0(SALU_CYCLE_1)
	s_and_b32 vcc_lo, exec_lo, s5
	s_cbranch_vccnz .LBB149_224
; %bb.222:
	s_clause 0x1
	s_load_b96 s[8:10], s[0:1], 0x1c
	s_load_b96 s[12:14], s[0:1], 0xdc
	s_wait_kmcnt 0x0
	v_mul_hi_u32 v26, s9, v25
	s_delay_alu instid0(VALU_DEP_1) | instskip(NEXT) | instid1(VALU_DEP_1)
	v_add_nc_u32_e32 v26, v25, v26
	v_lshrrev_b32_e32 v26, s10, v26
	s_delay_alu instid0(VALU_DEP_1) | instskip(NEXT) | instid1(VALU_DEP_1)
	v_mul_lo_u32 v26, v26, s8
	v_sub_nc_u32_e32 v25, v25, v26
	s_delay_alu instid0(VALU_DEP_1)
	v_mad_u32 v9, v25, s12, v9
	v_mad_u32 v24, v25, s13, v24
	;; [unrolled: 1-line block ×3, first 2 shown]
	s_and_not1_b32 vcc_lo, exec_lo, s4
	s_cbranch_vccz .LBB149_225
	s_branch .LBB149_228
.LBB149_223:
	s_mov_b32 s4, -1
                                        ; implicit-def: $vgpr23
                                        ; implicit-def: $vgpr24
                                        ; implicit-def: $vgpr9
.LBB149_224:
	s_delay_alu instid0(SALU_CYCLE_1)
	s_and_not1_b32 vcc_lo, exec_lo, s4
	s_cbranch_vccnz .LBB149_228
.LBB149_225:
	s_clause 0x1
	s_load_b96 s[4:6], s[2:3], 0x4
	s_load_b96 s[8:10], s[2:3], 0xc4
	s_cmp_lt_u32 s26, 2
	s_wait_kmcnt 0x0
	v_mul_hi_u32 v9, s5, v3
	s_delay_alu instid0(VALU_DEP_1) | instskip(NEXT) | instid1(VALU_DEP_1)
	v_add_nc_u32_e32 v9, v3, v9
	v_lshrrev_b32_e32 v25, s6, v9
	s_delay_alu instid0(VALU_DEP_1) | instskip(NEXT) | instid1(VALU_DEP_1)
	v_mul_lo_u32 v9, v25, s4
	v_sub_nc_u32_e32 v3, v3, v9
	s_delay_alu instid0(VALU_DEP_1)
	v_mul_lo_u32 v9, v3, s8
	v_mul_lo_u32 v23, v3, s10
	v_mul_lo_u32 v24, v3, s9
	s_cbranch_scc1 .LBB149_228
; %bb.226:
	s_clause 0x1
	s_load_b96 s[4:6], s[2:3], 0x10
	s_load_b96 s[8:10], s[2:3], 0xd0
	s_wait_kmcnt 0x0
	v_mul_hi_u32 v3, s5, v25
	s_delay_alu instid0(VALU_DEP_1) | instskip(NEXT) | instid1(VALU_DEP_1)
	v_add_nc_u32_e32 v3, v25, v3
	v_lshrrev_b32_e32 v3, s6, v3
	s_delay_alu instid0(VALU_DEP_1) | instskip(NEXT) | instid1(VALU_DEP_1)
	v_mul_lo_u32 v3, v3, s4
	v_sub_nc_u32_e32 v3, v25, v3
	s_delay_alu instid0(VALU_DEP_1)
	v_mad_u32 v9, v3, s8, v9
	v_mad_u32 v24, v3, s9, v24
	;; [unrolled: 1-line block ×3, first 2 shown]
	s_branch .LBB149_228
.LBB149_227:
	v_dual_mov_b32 v23, 0 :: v_dual_mov_b32 v24, 0
	v_mov_b32_e32 v9, 0
	s_and_not1_b32 vcc_lo, exec_lo, s4
	s_cbranch_vccz .LBB149_225
.LBB149_228:
	s_clause 0x1
	s_load_b128 s[4:7], s[2:3], 0x188
	s_load_b96 s[8:10], s[2:3], 0x198
	s_wait_xcnt 0x0
	s_mov_b32 s3, 0
	s_wait_kmcnt 0x0
	global_load_b32 v3, v5, s[6:7]
	global_load_b32 v25, v4, s[8:9]
	s_cmp_lg_u32 s10, 0
	s_cselect_b32 s2, -1, 0
	s_delay_alu instid0(SALU_CYCLE_1)
	s_and_b32 vcc_lo, exec_lo, s2
	s_wait_loadcnt 0x0
	v_dual_lshrrev_b32 v4, 16, v3 :: v_dual_lshrrev_b32 v5, 16, v25
	s_cbranch_vccz .LBB149_253
; %bb.229:
	v_cmp_neq_f16_e32 vcc_lo, v3, v25
	s_delay_alu instid0(VALU_DEP_2)
	v_cmp_neq_f16_e64 s0, v4, v5
	s_or_b32 s1, vcc_lo, s0
	s_and_not1_b32 vcc_lo, exec_lo, s3
	s_cbranch_vccnz .LBB149_231
.LBB149_230:
	v_cmp_eq_f16_e32 vcc_lo, v3, v25
	s_delay_alu instid0(VALU_DEP_2) | instskip(SKIP_2) | instid1(SALU_CYCLE_1)
	v_cmp_eq_f16_e64 s0, v4, v5
	s_and_not1_b32 s1, s1, exec_lo
	s_and_b32 s0, vcc_lo, s0
	s_and_b32 s0, s0, exec_lo
	s_delay_alu instid0(SALU_CYCLE_1)
	s_or_b32 s1, s1, s0
.LBB149_231:
	global_load_b32 v3, v8, s[6:7]
	global_load_b32 v4, v7, s[8:9]
	s_and_b32 vcc_lo, exec_lo, s2
	s_wait_loadcnt 0x0
	v_dual_lshrrev_b32 v5, 16, v3 :: v_dual_lshrrev_b32 v7, 16, v4
	s_cbranch_vccz .LBB149_254
; %bb.232:
	v_cmp_neq_f16_e32 vcc_lo, v3, v4
	s_delay_alu instid0(VALU_DEP_2)
	v_cmp_neq_f16_e64 s0, v5, v7
	s_or_b32 s3, vcc_lo, s0
	s_cbranch_execnz .LBB149_234
.LBB149_233:
	v_cmp_eq_f16_e32 vcc_lo, v3, v4
	s_delay_alu instid0(VALU_DEP_2) | instskip(SKIP_2) | instid1(SALU_CYCLE_1)
	v_cmp_eq_f16_e64 s0, v5, v7
	s_and_not1_b32 s3, s3, exec_lo
	s_and_b32 s0, vcc_lo, s0
	s_and_b32 s0, s0, exec_lo
	s_delay_alu instid0(SALU_CYCLE_1)
	s_or_b32 s3, s3, s0
.LBB149_234:
	global_load_b32 v3, v12, s[6:7]
	global_load_b32 v4, v11, s[8:9]
	s_and_b32 vcc_lo, exec_lo, s2
	s_wait_loadcnt 0x0
	v_dual_lshrrev_b32 v5, 16, v3 :: v_dual_lshrrev_b32 v7, 16, v4
	s_cbranch_vccz .LBB149_255
; %bb.235:
	v_cmp_neq_f16_e32 vcc_lo, v3, v4
	s_delay_alu instid0(VALU_DEP_2)
	v_cmp_neq_f16_e64 s0, v5, v7
	s_or_b32 s10, vcc_lo, s0
	s_cbranch_execnz .LBB149_237
.LBB149_236:
	v_cmp_eq_f16_e32 vcc_lo, v3, v4
	s_delay_alu instid0(VALU_DEP_2) | instskip(SKIP_2) | instid1(SALU_CYCLE_1)
	v_cmp_eq_f16_e64 s0, v5, v7
	s_and_not1_b32 s10, s10, exec_lo
	s_and_b32 s0, vcc_lo, s0
	s_and_b32 s0, s0, exec_lo
	s_delay_alu instid0(SALU_CYCLE_1)
	s_or_b32 s10, s10, s0
.LBB149_237:
	global_load_b32 v3, v15, s[6:7]
	global_load_b32 v4, v14, s[8:9]
	s_and_b32 vcc_lo, exec_lo, s2
	s_wait_loadcnt 0x0
	v_dual_lshrrev_b32 v5, 16, v3 :: v_dual_lshrrev_b32 v7, 16, v4
	s_cbranch_vccz .LBB149_256
; %bb.238:
	v_cmp_neq_f16_e32 vcc_lo, v3, v4
	s_delay_alu instid0(VALU_DEP_2)
	v_cmp_neq_f16_e64 s0, v5, v7
	s_or_b32 s11, vcc_lo, s0
	s_cbranch_execnz .LBB149_240
.LBB149_239:
	v_cmp_eq_f16_e32 vcc_lo, v3, v4
	s_delay_alu instid0(VALU_DEP_2) | instskip(SKIP_2) | instid1(SALU_CYCLE_1)
	v_cmp_eq_f16_e64 s0, v5, v7
	s_and_not1_b32 s11, s11, exec_lo
	s_and_b32 s0, vcc_lo, s0
	s_and_b32 s0, s0, exec_lo
	s_delay_alu instid0(SALU_CYCLE_1)
	s_or_b32 s11, s11, s0
.LBB149_240:
	global_load_b32 v3, v17, s[6:7]
	global_load_b32 v4, v16, s[8:9]
	s_and_b32 vcc_lo, exec_lo, s2
	s_wait_loadcnt 0x0
	v_dual_lshrrev_b32 v5, 16, v3 :: v_dual_lshrrev_b32 v7, 16, v4
	s_cbranch_vccz .LBB149_257
; %bb.241:
	v_cmp_neq_f16_e32 vcc_lo, v3, v4
	s_delay_alu instid0(VALU_DEP_2)
	v_cmp_neq_f16_e64 s0, v5, v7
	s_or_b32 s12, vcc_lo, s0
	s_cbranch_execnz .LBB149_243
.LBB149_242:
	v_cmp_eq_f16_e32 vcc_lo, v3, v4
	s_delay_alu instid0(VALU_DEP_2) | instskip(SKIP_2) | instid1(SALU_CYCLE_1)
	v_cmp_eq_f16_e64 s0, v5, v7
	s_and_not1_b32 s12, s12, exec_lo
	s_and_b32 s0, vcc_lo, s0
	s_and_b32 s0, s0, exec_lo
	s_delay_alu instid0(SALU_CYCLE_1)
	s_or_b32 s12, s12, s0
.LBB149_243:
	global_load_b32 v3, v20, s[6:7]
	global_load_b32 v4, v19, s[8:9]
	s_and_b32 vcc_lo, exec_lo, s2
	s_wait_loadcnt 0x0
	v_dual_lshrrev_b32 v5, 16, v3 :: v_dual_lshrrev_b32 v7, 16, v4
	s_cbranch_vccz .LBB149_258
; %bb.244:
	v_cmp_neq_f16_e32 vcc_lo, v3, v4
	s_delay_alu instid0(VALU_DEP_2)
	v_cmp_neq_f16_e64 s0, v5, v7
	s_or_b32 s13, vcc_lo, s0
	s_cbranch_execnz .LBB149_246
.LBB149_245:
	v_cmp_eq_f16_e32 vcc_lo, v3, v4
	s_delay_alu instid0(VALU_DEP_2) | instskip(SKIP_2) | instid1(SALU_CYCLE_1)
	v_cmp_eq_f16_e64 s0, v5, v7
	s_and_not1_b32 s13, s13, exec_lo
	s_and_b32 s0, vcc_lo, s0
	s_and_b32 s0, s0, exec_lo
	s_delay_alu instid0(SALU_CYCLE_1)
	s_or_b32 s13, s13, s0
.LBB149_246:
	global_load_b32 v3, v22, s[6:7]
	global_load_b32 v4, v21, s[8:9]
	s_and_b32 vcc_lo, exec_lo, s2
	s_wait_loadcnt 0x0
	v_dual_lshrrev_b32 v5, 16, v3 :: v_dual_lshrrev_b32 v7, 16, v4
	s_cbranch_vccz .LBB149_259
; %bb.247:
	v_cmp_neq_f16_e32 vcc_lo, v3, v4
	s_delay_alu instid0(VALU_DEP_2)
	v_cmp_neq_f16_e64 s0, v5, v7
	s_or_b32 s14, vcc_lo, s0
	s_cbranch_execnz .LBB149_249
.LBB149_248:
	v_cmp_eq_f16_e32 vcc_lo, v3, v4
	s_delay_alu instid0(VALU_DEP_2) | instskip(SKIP_2) | instid1(SALU_CYCLE_1)
	v_cmp_eq_f16_e64 s0, v5, v7
	s_and_not1_b32 s14, s14, exec_lo
	s_and_b32 s0, vcc_lo, s0
	s_and_b32 s0, s0, exec_lo
	s_delay_alu instid0(SALU_CYCLE_1)
	s_or_b32 s14, s14, s0
.LBB149_249:
	global_load_b32 v3, v24, s[6:7]
	global_load_b32 v4, v23, s[8:9]
	s_and_b32 vcc_lo, exec_lo, s2
	s_wait_loadcnt 0x0
	v_dual_lshrrev_b32 v5, 16, v3 :: v_dual_lshrrev_b32 v7, 16, v4
	s_cbranch_vccz .LBB149_260
; %bb.250:
	v_cmp_neq_f16_e32 vcc_lo, v3, v4
	s_delay_alu instid0(VALU_DEP_2)
	v_cmp_neq_f16_e64 s0, v5, v7
	s_or_b32 s2, vcc_lo, s0
	s_cbranch_execnz .LBB149_252
.LBB149_251:
	v_cmp_eq_f16_e32 vcc_lo, v3, v4
	s_delay_alu instid0(VALU_DEP_2) | instskip(SKIP_2) | instid1(SALU_CYCLE_1)
	v_cmp_eq_f16_e64 s0, v5, v7
	s_and_not1_b32 s2, s2, exec_lo
	s_and_b32 s0, vcc_lo, s0
	s_and_b32 s0, s0, exec_lo
	s_delay_alu instid0(SALU_CYCLE_1)
	s_or_b32 s2, s2, s0
.LBB149_252:
	v_cndmask_b32_e64 v7, 0, 1, s1
	v_cndmask_b32_e64 v8, 0, 1, s3
	s_wait_xcnt 0xa
	v_cndmask_b32_e64 v11, 0, 1, s10
	v_cndmask_b32_e64 v12, 0, 1, s11
	;; [unrolled: 1-line block ×5, first 2 shown]
	s_wait_xcnt 0x8
	v_cndmask_b32_e64 v14, 0, 1, s2
	s_clause 0x7
	global_store_b8 v1, v7, s[4:5]
	global_store_b8 v2, v8, s[4:5]
	;; [unrolled: 1-line block ×8, first 2 shown]
	s_endpgm
.LBB149_253:
                                        ; implicit-def: $sgpr1
	s_branch .LBB149_230
.LBB149_254:
                                        ; implicit-def: $sgpr3
	s_branch .LBB149_233
.LBB149_255:
                                        ; implicit-def: $sgpr10
	s_branch .LBB149_236
.LBB149_256:
                                        ; implicit-def: $sgpr11
	s_branch .LBB149_239
.LBB149_257:
                                        ; implicit-def: $sgpr12
	s_branch .LBB149_242
.LBB149_258:
                                        ; implicit-def: $sgpr13
	s_branch .LBB149_245
.LBB149_259:
                                        ; implicit-def: $sgpr14
	s_branch .LBB149_248
.LBB149_260:
                                        ; implicit-def: $sgpr2
	s_branch .LBB149_251
	.section	.rodata,"a",@progbits
	.p2align	6, 0x0
	.amdhsa_kernel _ZN2at6native32elementwise_kernel_manual_unrollILi128ELi8EZNS0_22gpu_kernel_impl_nocastINS0_13BinaryFunctorIN3c107complexINS4_4HalfEEES7_bNS0_12_GLOBAL__N_116CompareEqFunctorIS7_EEEEEEvRNS_18TensorIteratorBaseERKT_EUlibE_EEviT1_
		.amdhsa_group_segment_fixed_size 0
		.amdhsa_private_segment_fixed_size 0
		.amdhsa_kernarg_size 432
		.amdhsa_user_sgpr_count 2
		.amdhsa_user_sgpr_dispatch_ptr 0
		.amdhsa_user_sgpr_queue_ptr 0
		.amdhsa_user_sgpr_kernarg_segment_ptr 1
		.amdhsa_user_sgpr_dispatch_id 0
		.amdhsa_user_sgpr_kernarg_preload_length 0
		.amdhsa_user_sgpr_kernarg_preload_offset 0
		.amdhsa_user_sgpr_private_segment_size 0
		.amdhsa_wavefront_size32 1
		.amdhsa_uses_dynamic_stack 0
		.amdhsa_enable_private_segment 0
		.amdhsa_system_sgpr_workgroup_id_x 1
		.amdhsa_system_sgpr_workgroup_id_y 0
		.amdhsa_system_sgpr_workgroup_id_z 0
		.amdhsa_system_sgpr_workgroup_info 0
		.amdhsa_system_vgpr_workitem_id 0
		.amdhsa_next_free_vgpr 29
		.amdhsa_next_free_sgpr 46
		.amdhsa_named_barrier_count 0
		.amdhsa_reserve_vcc 1
		.amdhsa_float_round_mode_32 0
		.amdhsa_float_round_mode_16_64 0
		.amdhsa_float_denorm_mode_32 3
		.amdhsa_float_denorm_mode_16_64 3
		.amdhsa_fp16_overflow 0
		.amdhsa_memory_ordered 1
		.amdhsa_forward_progress 1
		.amdhsa_inst_pref_size 94
		.amdhsa_round_robin_scheduling 0
		.amdhsa_exception_fp_ieee_invalid_op 0
		.amdhsa_exception_fp_denorm_src 0
		.amdhsa_exception_fp_ieee_div_zero 0
		.amdhsa_exception_fp_ieee_overflow 0
		.amdhsa_exception_fp_ieee_underflow 0
		.amdhsa_exception_fp_ieee_inexact 0
		.amdhsa_exception_int_div_zero 0
	.end_amdhsa_kernel
	.section	.text._ZN2at6native32elementwise_kernel_manual_unrollILi128ELi8EZNS0_22gpu_kernel_impl_nocastINS0_13BinaryFunctorIN3c107complexINS4_4HalfEEES7_bNS0_12_GLOBAL__N_116CompareEqFunctorIS7_EEEEEEvRNS_18TensorIteratorBaseERKT_EUlibE_EEviT1_,"axG",@progbits,_ZN2at6native32elementwise_kernel_manual_unrollILi128ELi8EZNS0_22gpu_kernel_impl_nocastINS0_13BinaryFunctorIN3c107complexINS4_4HalfEEES7_bNS0_12_GLOBAL__N_116CompareEqFunctorIS7_EEEEEEvRNS_18TensorIteratorBaseERKT_EUlibE_EEviT1_,comdat
.Lfunc_end149:
	.size	_ZN2at6native32elementwise_kernel_manual_unrollILi128ELi8EZNS0_22gpu_kernel_impl_nocastINS0_13BinaryFunctorIN3c107complexINS4_4HalfEEES7_bNS0_12_GLOBAL__N_116CompareEqFunctorIS7_EEEEEEvRNS_18TensorIteratorBaseERKT_EUlibE_EEviT1_, .Lfunc_end149-_ZN2at6native32elementwise_kernel_manual_unrollILi128ELi8EZNS0_22gpu_kernel_impl_nocastINS0_13BinaryFunctorIN3c107complexINS4_4HalfEEES7_bNS0_12_GLOBAL__N_116CompareEqFunctorIS7_EEEEEEvRNS_18TensorIteratorBaseERKT_EUlibE_EEviT1_
                                        ; -- End function
	.set _ZN2at6native32elementwise_kernel_manual_unrollILi128ELi8EZNS0_22gpu_kernel_impl_nocastINS0_13BinaryFunctorIN3c107complexINS4_4HalfEEES7_bNS0_12_GLOBAL__N_116CompareEqFunctorIS7_EEEEEEvRNS_18TensorIteratorBaseERKT_EUlibE_EEviT1_.num_vgpr, 29
	.set _ZN2at6native32elementwise_kernel_manual_unrollILi128ELi8EZNS0_22gpu_kernel_impl_nocastINS0_13BinaryFunctorIN3c107complexINS4_4HalfEEES7_bNS0_12_GLOBAL__N_116CompareEqFunctorIS7_EEEEEEvRNS_18TensorIteratorBaseERKT_EUlibE_EEviT1_.num_agpr, 0
	.set _ZN2at6native32elementwise_kernel_manual_unrollILi128ELi8EZNS0_22gpu_kernel_impl_nocastINS0_13BinaryFunctorIN3c107complexINS4_4HalfEEES7_bNS0_12_GLOBAL__N_116CompareEqFunctorIS7_EEEEEEvRNS_18TensorIteratorBaseERKT_EUlibE_EEviT1_.numbered_sgpr, 46
	.set _ZN2at6native32elementwise_kernel_manual_unrollILi128ELi8EZNS0_22gpu_kernel_impl_nocastINS0_13BinaryFunctorIN3c107complexINS4_4HalfEEES7_bNS0_12_GLOBAL__N_116CompareEqFunctorIS7_EEEEEEvRNS_18TensorIteratorBaseERKT_EUlibE_EEviT1_.num_named_barrier, 0
	.set _ZN2at6native32elementwise_kernel_manual_unrollILi128ELi8EZNS0_22gpu_kernel_impl_nocastINS0_13BinaryFunctorIN3c107complexINS4_4HalfEEES7_bNS0_12_GLOBAL__N_116CompareEqFunctorIS7_EEEEEEvRNS_18TensorIteratorBaseERKT_EUlibE_EEviT1_.private_seg_size, 0
	.set _ZN2at6native32elementwise_kernel_manual_unrollILi128ELi8EZNS0_22gpu_kernel_impl_nocastINS0_13BinaryFunctorIN3c107complexINS4_4HalfEEES7_bNS0_12_GLOBAL__N_116CompareEqFunctorIS7_EEEEEEvRNS_18TensorIteratorBaseERKT_EUlibE_EEviT1_.uses_vcc, 1
	.set _ZN2at6native32elementwise_kernel_manual_unrollILi128ELi8EZNS0_22gpu_kernel_impl_nocastINS0_13BinaryFunctorIN3c107complexINS4_4HalfEEES7_bNS0_12_GLOBAL__N_116CompareEqFunctorIS7_EEEEEEvRNS_18TensorIteratorBaseERKT_EUlibE_EEviT1_.uses_flat_scratch, 0
	.set _ZN2at6native32elementwise_kernel_manual_unrollILi128ELi8EZNS0_22gpu_kernel_impl_nocastINS0_13BinaryFunctorIN3c107complexINS4_4HalfEEES7_bNS0_12_GLOBAL__N_116CompareEqFunctorIS7_EEEEEEvRNS_18TensorIteratorBaseERKT_EUlibE_EEviT1_.has_dyn_sized_stack, 0
	.set _ZN2at6native32elementwise_kernel_manual_unrollILi128ELi8EZNS0_22gpu_kernel_impl_nocastINS0_13BinaryFunctorIN3c107complexINS4_4HalfEEES7_bNS0_12_GLOBAL__N_116CompareEqFunctorIS7_EEEEEEvRNS_18TensorIteratorBaseERKT_EUlibE_EEviT1_.has_recursion, 0
	.set _ZN2at6native32elementwise_kernel_manual_unrollILi128ELi8EZNS0_22gpu_kernel_impl_nocastINS0_13BinaryFunctorIN3c107complexINS4_4HalfEEES7_bNS0_12_GLOBAL__N_116CompareEqFunctorIS7_EEEEEEvRNS_18TensorIteratorBaseERKT_EUlibE_EEviT1_.has_indirect_call, 0
	.section	.AMDGPU.csdata,"",@progbits
; Kernel info:
; codeLenInByte = 11928
; TotalNumSgprs: 48
; NumVgprs: 29
; ScratchSize: 0
; MemoryBound: 0
; FloatMode: 240
; IeeeMode: 1
; LDSByteSize: 0 bytes/workgroup (compile time only)
; SGPRBlocks: 0
; VGPRBlocks: 1
; NumSGPRsForWavesPerEU: 48
; NumVGPRsForWavesPerEU: 29
; NamedBarCnt: 0
; Occupancy: 16
; WaveLimiterHint : 1
; COMPUTE_PGM_RSRC2:SCRATCH_EN: 0
; COMPUTE_PGM_RSRC2:USER_SGPR: 2
; COMPUTE_PGM_RSRC2:TRAP_HANDLER: 0
; COMPUTE_PGM_RSRC2:TGID_X_EN: 1
; COMPUTE_PGM_RSRC2:TGID_Y_EN: 0
; COMPUTE_PGM_RSRC2:TGID_Z_EN: 0
; COMPUTE_PGM_RSRC2:TIDIG_COMP_CNT: 0
	.section	.text._ZN2at6native32elementwise_kernel_manual_unrollILi128ELi4EZNS0_15gpu_kernel_implINS0_13BinaryFunctorIN3c107complexINS4_4HalfEEES7_bNS0_12_GLOBAL__N_116CompareEqFunctorIS7_EEEEEEvRNS_18TensorIteratorBaseERKT_EUlibE_EEviT1_,"axG",@progbits,_ZN2at6native32elementwise_kernel_manual_unrollILi128ELi4EZNS0_15gpu_kernel_implINS0_13BinaryFunctorIN3c107complexINS4_4HalfEEES7_bNS0_12_GLOBAL__N_116CompareEqFunctorIS7_EEEEEEvRNS_18TensorIteratorBaseERKT_EUlibE_EEviT1_,comdat
	.globl	_ZN2at6native32elementwise_kernel_manual_unrollILi128ELi4EZNS0_15gpu_kernel_implINS0_13BinaryFunctorIN3c107complexINS4_4HalfEEES7_bNS0_12_GLOBAL__N_116CompareEqFunctorIS7_EEEEEEvRNS_18TensorIteratorBaseERKT_EUlibE_EEviT1_ ; -- Begin function _ZN2at6native32elementwise_kernel_manual_unrollILi128ELi4EZNS0_15gpu_kernel_implINS0_13BinaryFunctorIN3c107complexINS4_4HalfEEES7_bNS0_12_GLOBAL__N_116CompareEqFunctorIS7_EEEEEEvRNS_18TensorIteratorBaseERKT_EUlibE_EEviT1_
	.p2align	8
	.type	_ZN2at6native32elementwise_kernel_manual_unrollILi128ELi4EZNS0_15gpu_kernel_implINS0_13BinaryFunctorIN3c107complexINS4_4HalfEEES7_bNS0_12_GLOBAL__N_116CompareEqFunctorIS7_EEEEEEvRNS_18TensorIteratorBaseERKT_EUlibE_EEviT1_,@function
_ZN2at6native32elementwise_kernel_manual_unrollILi128ELi4EZNS0_15gpu_kernel_implINS0_13BinaryFunctorIN3c107complexINS4_4HalfEEES7_bNS0_12_GLOBAL__N_116CompareEqFunctorIS7_EEEEEEvRNS_18TensorIteratorBaseERKT_EUlibE_EEviT1_: ; @_ZN2at6native32elementwise_kernel_manual_unrollILi128ELi4EZNS0_15gpu_kernel_implINS0_13BinaryFunctorIN3c107complexINS4_4HalfEEES7_bNS0_12_GLOBAL__N_116CompareEqFunctorIS7_EEEEEEvRNS_18TensorIteratorBaseERKT_EUlibE_EEviT1_
; %bb.0:
	s_load_b32 s12, s[0:1], 0x30
	s_bfe_u32 s2, ttmp6, 0x4000c
	s_clause 0x1
	s_load_b32 s17, s[0:1], 0x0
	s_load_b128 s[4:7], s[0:1], 0x8
	s_add_co_i32 s14, s2, 1
	s_clause 0x1
	s_load_b64 s[2:3], s[0:1], 0x18
	s_load_b128 s[8:11], s[0:1], 0x20
	s_and_b32 s13, ttmp6, 15
	s_wait_xcnt 0x0
	s_mul_i32 s0, ttmp9, s14
	s_getreg_b32 s15, hwreg(HW_REG_IB_STS2, 6, 4)
	s_add_co_i32 s13, s13, s0
	s_mov_b32 s16, 0
	s_wait_kmcnt 0x0
	s_lshr_b32 s14, s12, 8
	s_lshr_b32 s1, s12, 16
	s_cmp_eq_u32 s15, 0
	s_cselect_b32 s0, ttmp9, s13
	s_mov_b32 s13, 0
	v_lshl_or_b32 v6, s0, 9, v0
	s_mov_b32 s0, exec_lo
	s_delay_alu instid0(VALU_DEP_1) | instskip(NEXT) | instid1(VALU_DEP_1)
	v_or_b32_e32 v0, 0x180, v6
	v_cmpx_le_i32_e64 s17, v0
	s_xor_b32 s15, exec_lo, s0
	s_cbranch_execz .LBB150_1604
; %bb.1:
	s_cmp_lg_u32 s11, 0
	s_mov_b32 s22, 0
	s_cselect_b32 s16, -1, 0
	s_mov_b32 s25, -1
	s_mov_b32 s20, 0
	s_mov_b32 s19, 0
	;; [unrolled: 1-line block ×3, first 2 shown]
	s_mov_b32 s21, exec_lo
	v_cmpx_gt_i32_e64 s17, v6
	s_cbranch_execz .LBB150_395
; %bb.2:
	v_mul_lo_u32 v0, v6, s9
	s_and_b32 s0, s14, 0xff
	s_delay_alu instid0(SALU_CYCLE_1) | instskip(NEXT) | instid1(VALU_DEP_1)
	s_cmp_lt_i32 s0, 11
	v_ashrrev_i32_e32 v1, 31, v0
	s_delay_alu instid0(VALU_DEP_1)
	v_add_nc_u64_e32 v[0:1], s[6:7], v[0:1]
	s_cbranch_scc1 .LBB150_9
; %bb.3:
	s_and_b32 s18, 0xffff, s0
	s_delay_alu instid0(SALU_CYCLE_1)
	s_cmp_gt_i32 s18, 25
	s_cbranch_scc0 .LBB150_18
; %bb.4:
	s_cmp_gt_i32 s18, 28
	s_cbranch_scc0 .LBB150_31
; %bb.5:
	;; [unrolled: 3-line block ×4, first 2 shown]
	s_cmp_eq_u32 s18, 46
	s_mov_b32 s23, 0
	s_cbranch_scc0 .LBB150_41
; %bb.8:
	global_load_b32 v2, v[0:1], off
	s_mov_b32 s19, -1
	s_wait_loadcnt 0x0
	v_lshlrev_b32_e32 v3, 16, v2
	v_and_b32_e32 v4, 0xffff0000, v2
	s_delay_alu instid0(VALU_DEP_2) | instskip(NEXT) | instid1(VALU_DEP_2)
	v_cvt_f16_f32_e32 v2, v3
	v_cvt_f16_f32_e32 v3, v4
	s_branch .LBB150_43
.LBB150_9:
                                        ; implicit-def: $vgpr3
                                        ; implicit-def: $vgpr2
	s_cbranch_execnz .LBB150_111
.LBB150_10:
	s_and_not1_b32 vcc_lo, exec_lo, s19
	s_cbranch_vccnz .LBB150_160
.LBB150_11:
	s_wait_xcnt 0x0
	v_mul_lo_u32 v0, v6, s10
	s_and_b32 s0, s1, 0xff
	s_delay_alu instid0(SALU_CYCLE_1) | instskip(NEXT) | instid1(VALU_DEP_1)
	s_cmp_lt_i32 s0, 11
	v_ashrrev_i32_e32 v1, 31, v0
	s_delay_alu instid0(VALU_DEP_1)
	v_add_nc_u64_e32 v[0:1], s[2:3], v[0:1]
	s_cbranch_scc1 .LBB150_19
; %bb.12:
	s_and_b32 s18, 0xffff, s0
	s_delay_alu instid0(SALU_CYCLE_1)
	s_cmp_gt_i32 s18, 25
	s_cbranch_scc0 .LBB150_32
; %bb.13:
	s_cmp_gt_i32 s18, 28
	s_cbranch_scc0 .LBB150_36
; %bb.14:
	;; [unrolled: 3-line block ×4, first 2 shown]
	s_cmp_eq_u32 s18, 46
	s_mov_b32 s24, 0
	s_cbranch_scc0 .LBB150_161
; %bb.17:
	global_load_b32 v4, v[0:1], off
	s_mov_b32 s23, -1
	s_mov_b32 s19, 0
	s_wait_loadcnt 0x0
	v_lshlrev_b32_e32 v5, 16, v4
	v_and_b32_e32 v7, 0xffff0000, v4
	s_delay_alu instid0(VALU_DEP_2) | instskip(NEXT) | instid1(VALU_DEP_2)
	v_cvt_f16_f32_e32 v4, v5
	v_cvt_f16_f32_e32 v5, v7
	s_branch .LBB150_163
.LBB150_18:
                                        ; implicit-def: $vgpr3
                                        ; implicit-def: $vgpr2
	s_cbranch_execnz .LBB150_76
	s_branch .LBB150_110
.LBB150_19:
	s_mov_b32 s19, 0
	s_mov_b32 s23, 0
                                        ; implicit-def: $vgpr5
                                        ; implicit-def: $vgpr4
	s_cbranch_execnz .LBB150_342
.LBB150_20:
	s_and_not1_b32 vcc_lo, exec_lo, s23
	s_cbranch_vccnz .LBB150_392
.LBB150_21:
	s_and_b32 vcc_lo, exec_lo, s16
	s_cbranch_vccz .LBB150_34
; %bb.22:
	s_wait_loadcnt 0x0
	v_cmp_neq_f16_e32 vcc_lo, v2, v4
	v_cmp_neq_f16_e64 s0, v3, v5
	s_or_b32 s18, vcc_lo, s0
	s_cbranch_execnz .LBB150_24
.LBB150_23:
	s_wait_loadcnt 0x0
	v_cmp_eq_f16_e32 vcc_lo, v2, v4
	v_cmp_eq_f16_e64 s0, v3, v5
	s_and_not1_b32 s18, s18, exec_lo
	s_and_b32 s0, vcc_lo, s0
	s_delay_alu instid0(SALU_CYCLE_1) | instskip(NEXT) | instid1(SALU_CYCLE_1)
	s_and_b32 s0, s0, exec_lo
	s_or_b32 s18, s18, s0
.LBB150_24:
	s_wait_xcnt 0x0
	v_mul_lo_u32 v0, v6, s8
	s_and_b32 s23, s12, 0xff
	s_delay_alu instid0(SALU_CYCLE_1) | instskip(NEXT) | instid1(VALU_DEP_1)
	s_cmp_lt_i32 s23, 11
	v_ashrrev_i32_e32 v1, 31, v0
	s_delay_alu instid0(VALU_DEP_1)
	v_add_nc_u64_e32 v[0:1], s[4:5], v[0:1]
	s_cbranch_scc1 .LBB150_33
; %bb.25:
	s_and_b32 s24, 0xffff, s23
	s_delay_alu instid0(SALU_CYCLE_1)
	s_cmp_gt_i32 s24, 25
	s_cbranch_scc0 .LBB150_37
; %bb.26:
	s_cmp_gt_i32 s24, 28
	s_cbranch_scc0 .LBB150_40
; %bb.27:
	;; [unrolled: 3-line block ×4, first 2 shown]
	s_mov_b32 s26, 0
	s_mov_b32 s0, -1
	s_cmp_eq_u32 s24, 46
	s_mov_b32 s25, 0
	s_cbranch_scc0 .LBB150_167
; %bb.30:
	s_wait_loadcnt 0x0
	v_cndmask_b32_e64 v2, 0, 1.0, s18
	s_mov_b32 s25, -1
	s_mov_b32 s0, 0
	s_delay_alu instid0(VALU_DEP_1) | instskip(NEXT) | instid1(VALU_DEP_1)
	v_bfe_u32 v3, v2, 16, 1
	v_add3_u32 v2, v2, v3, 0x7fff
	s_delay_alu instid0(VALU_DEP_1)
	v_lshrrev_b32_e32 v2, 16, v2
	global_store_b32 v[0:1], v2, off
	s_branch .LBB150_167
.LBB150_31:
	s_mov_b32 s23, -1
                                        ; implicit-def: $vgpr3
                                        ; implicit-def: $vgpr2
	s_branch .LBB150_57
.LBB150_32:
	s_mov_b32 s24, -1
	s_mov_b32 s19, 0
	s_mov_b32 s23, 0
                                        ; implicit-def: $vgpr5
                                        ; implicit-def: $vgpr4
	s_branch .LBB150_305
.LBB150_33:
	s_mov_b32 s24, -1
	s_mov_b32 s0, 0
	s_mov_b32 s25, 0
	s_branch .LBB150_236
.LBB150_34:
                                        ; implicit-def: $sgpr18
	s_branch .LBB150_23
.LBB150_35:
	s_mov_b32 s23, -1
                                        ; implicit-def: $vgpr3
                                        ; implicit-def: $vgpr2
	s_branch .LBB150_51
.LBB150_36:
	s_mov_b32 s24, -1
	s_mov_b32 s19, 0
	s_mov_b32 s23, 0
                                        ; implicit-def: $vgpr5
                                        ; implicit-def: $vgpr4
	s_branch .LBB150_286
.LBB150_37:
	s_mov_b32 s26, -1
	s_mov_b32 s0, 0
	s_mov_b32 s25, 0
	s_branch .LBB150_194
.LBB150_38:
	s_mov_b32 s23, -1
	s_branch .LBB150_42
.LBB150_39:
	s_mov_b32 s24, -1
	s_mov_b32 s19, 0
	s_mov_b32 s23, 0
                                        ; implicit-def: $vgpr5
                                        ; implicit-def: $vgpr4
	s_branch .LBB150_280
.LBB150_40:
	s_mov_b32 s26, -1
	s_mov_b32 s0, 0
	s_mov_b32 s25, 0
	s_branch .LBB150_177
.LBB150_41:
	s_mov_b32 s20, -1
.LBB150_42:
                                        ; implicit-def: $vgpr3
                                        ; implicit-def: $vgpr2
.LBB150_43:
	s_and_b32 vcc_lo, exec_lo, s23
	s_cbranch_vccz .LBB150_50
; %bb.44:
	s_cmp_eq_u32 s18, 44
	s_cbranch_scc0 .LBB150_48
; %bb.45:
	global_load_u8 v2, v[0:1], off
	s_mov_b32 s20, 0
	s_mov_b32 s19, -1
	s_wait_loadcnt 0x0
	v_lshlrev_b32_e32 v3, 23, v2
	v_cmp_ne_u32_e32 vcc_lo, 0xff, v2
	s_delay_alu instid0(VALU_DEP_2) | instskip(NEXT) | instid1(VALU_DEP_1)
	v_cvt_f16_f32_e32 v3, v3
	v_cndmask_b32_e32 v3, 0x7e00, v3, vcc_lo
	v_cmp_ne_u32_e32 vcc_lo, 0, v2
	s_delay_alu instid0(VALU_DEP_2)
	v_cndmask_b32_e32 v2, 0, v3, vcc_lo
	s_branch .LBB150_49
.LBB150_46:
	s_mov_b32 s24, -1
	s_mov_b32 s19, 0
	s_branch .LBB150_162
.LBB150_47:
	s_mov_b32 s26, -1
	s_mov_b32 s0, 0
	s_mov_b32 s25, 0
	s_branch .LBB150_173
.LBB150_48:
	s_mov_b32 s20, -1
                                        ; implicit-def: $vgpr2
.LBB150_49:
	v_mov_b32_e32 v3, 0
.LBB150_50:
	s_mov_b32 s23, 0
.LBB150_51:
	s_delay_alu instid0(SALU_CYCLE_1)
	s_and_b32 vcc_lo, exec_lo, s23
	s_cbranch_vccz .LBB150_56
; %bb.52:
	s_cmp_eq_u32 s18, 29
	s_cbranch_scc0 .LBB150_54
; %bb.53:
	global_load_b64 v[2:3], v[0:1], off
	s_mov_b32 s19, -1
	s_mov_b32 s20, 0
	s_wait_loadcnt 0x0
	v_clz_i32_u32_e32 v4, v3
	s_delay_alu instid0(VALU_DEP_1) | instskip(NEXT) | instid1(VALU_DEP_1)
	v_min_u32_e32 v4, 32, v4
	v_lshlrev_b64_e32 v[2:3], v4, v[2:3]
	s_delay_alu instid0(VALU_DEP_1) | instskip(NEXT) | instid1(VALU_DEP_1)
	v_min_u32_e32 v2, 1, v2
	v_dual_sub_nc_u32 v3, 32, v4 :: v_dual_bitop2_b32 v2, v3, v2 bitop3:0x54
	s_delay_alu instid0(VALU_DEP_1) | instskip(NEXT) | instid1(VALU_DEP_1)
	v_cvt_f32_u32_e32 v2, v2
	v_ldexp_f32 v2, v2, v3
	s_delay_alu instid0(VALU_DEP_1)
	v_cvt_f16_f32_e32 v2, v2
	s_branch .LBB150_55
.LBB150_54:
	s_mov_b32 s20, -1
                                        ; implicit-def: $vgpr2
.LBB150_55:
	v_mov_b32_e32 v3, 0
.LBB150_56:
	s_mov_b32 s23, 0
.LBB150_57:
	s_delay_alu instid0(SALU_CYCLE_1)
	s_and_b32 vcc_lo, exec_lo, s23
	s_cbranch_vccz .LBB150_75
; %bb.58:
	s_cmp_lt_i32 s18, 27
	s_cbranch_scc1 .LBB150_61
; %bb.59:
	s_cmp_gt_i32 s18, 27
	s_cbranch_scc0 .LBB150_62
; %bb.60:
	global_load_b32 v2, v[0:1], off
	s_mov_b32 s19, 0
	s_wait_loadcnt 0x0
	v_cvt_f32_u32_e32 v2, v2
	s_delay_alu instid0(VALU_DEP_1)
	v_cvt_f16_f32_e32 v2, v2
	s_branch .LBB150_63
.LBB150_61:
	s_mov_b32 s19, -1
                                        ; implicit-def: $vgpr2
	s_branch .LBB150_66
.LBB150_62:
	s_mov_b32 s19, -1
                                        ; implicit-def: $vgpr2
.LBB150_63:
	s_delay_alu instid0(SALU_CYCLE_1)
	s_and_not1_b32 vcc_lo, exec_lo, s19
	s_cbranch_vccnz .LBB150_65
; %bb.64:
	global_load_u16 v2, v[0:1], off
	s_wait_loadcnt 0x0
	v_cvt_f16_u16_e32 v2, v2
.LBB150_65:
	s_mov_b32 s19, 0
.LBB150_66:
	s_delay_alu instid0(SALU_CYCLE_1)
	s_and_not1_b32 vcc_lo, exec_lo, s19
	s_cbranch_vccnz .LBB150_74
; %bb.67:
	global_load_u8 v3, v[0:1], off
	s_mov_b32 s19, 0
	s_mov_b32 s23, exec_lo
	s_wait_loadcnt 0x0
	v_cmpx_lt_i16_e32 0x7f, v3
	s_xor_b32 s23, exec_lo, s23
	s_cbranch_execz .LBB150_87
; %bb.68:
	s_mov_b32 s19, -1
	s_mov_b32 s24, exec_lo
	v_cmpx_eq_u16_e32 0x80, v3
; %bb.69:
	s_xor_b32 s19, exec_lo, -1
; %bb.70:
	s_or_b32 exec_lo, exec_lo, s24
	s_delay_alu instid0(SALU_CYCLE_1)
	s_and_b32 s19, s19, exec_lo
	s_or_saveexec_b32 s23, s23
	v_mov_b32_e32 v2, 0x7e00
	s_xor_b32 exec_lo, exec_lo, s23
	s_cbranch_execnz .LBB150_88
.LBB150_71:
	s_or_b32 exec_lo, exec_lo, s23
	s_and_saveexec_b32 s23, s19
	s_cbranch_execz .LBB150_73
.LBB150_72:
	v_and_b32_e32 v2, 0xffff, v3
	s_delay_alu instid0(VALU_DEP_1) | instskip(SKIP_1) | instid1(VALU_DEP_2)
	v_and_b32_e32 v4, 7, v2
	v_bfe_u32 v8, v2, 3, 4
	v_clz_i32_u32_e32 v5, v4
	s_delay_alu instid0(VALU_DEP_2) | instskip(NEXT) | instid1(VALU_DEP_2)
	v_cmp_eq_u32_e32 vcc_lo, 0, v8
	v_min_u32_e32 v5, 32, v5
	s_delay_alu instid0(VALU_DEP_1) | instskip(NEXT) | instid1(VALU_DEP_1)
	v_subrev_nc_u32_e32 v7, 28, v5
	v_dual_lshlrev_b32 v2, v7, v2 :: v_dual_sub_nc_u32 v5, 29, v5
	s_delay_alu instid0(VALU_DEP_1) | instskip(NEXT) | instid1(VALU_DEP_2)
	v_dual_lshlrev_b32 v3, 24, v3 :: v_dual_bitop2_b32 v2, 7, v2 bitop3:0x40
	v_cndmask_b32_e32 v5, v8, v5, vcc_lo
	s_delay_alu instid0(VALU_DEP_2) | instskip(NEXT) | instid1(VALU_DEP_3)
	v_cndmask_b32_e32 v2, v4, v2, vcc_lo
	v_and_b32_e32 v3, 0x80000000, v3
	s_delay_alu instid0(VALU_DEP_3) | instskip(NEXT) | instid1(VALU_DEP_3)
	v_lshl_add_u32 v4, v5, 23, 0x3b800000
	v_lshlrev_b32_e32 v2, 20, v2
	s_delay_alu instid0(VALU_DEP_1) | instskip(NEXT) | instid1(VALU_DEP_1)
	v_or3_b32 v2, v3, v4, v2
	v_cvt_f16_f32_e32 v2, v2
.LBB150_73:
	s_or_b32 exec_lo, exec_lo, s23
.LBB150_74:
	v_mov_b32_e32 v3, 0
	s_mov_b32 s19, -1
.LBB150_75:
	s_branch .LBB150_110
.LBB150_76:
	s_cmp_gt_i32 s18, 22
	s_cbranch_scc0 .LBB150_86
; %bb.77:
	s_cmp_lt_i32 s18, 24
	s_cbranch_scc1 .LBB150_89
; %bb.78:
	s_cmp_gt_i32 s18, 24
	s_cbranch_scc0 .LBB150_90
; %bb.79:
	global_load_u8 v3, v[0:1], off
	s_mov_b32 s19, 0
	s_mov_b32 s23, exec_lo
	s_wait_loadcnt 0x0
	v_cmpx_lt_i16_e32 0x7f, v3
	s_xor_b32 s23, exec_lo, s23
	s_cbranch_execz .LBB150_101
; %bb.80:
	s_mov_b32 s19, -1
	s_mov_b32 s24, exec_lo
	v_cmpx_eq_u16_e32 0x80, v3
; %bb.81:
	s_xor_b32 s19, exec_lo, -1
; %bb.82:
	s_or_b32 exec_lo, exec_lo, s24
	s_delay_alu instid0(SALU_CYCLE_1)
	s_and_b32 s19, s19, exec_lo
	s_or_saveexec_b32 s23, s23
	v_mov_b32_e32 v2, 0x7e00
	s_xor_b32 exec_lo, exec_lo, s23
	s_cbranch_execnz .LBB150_102
.LBB150_83:
	s_or_b32 exec_lo, exec_lo, s23
	s_and_saveexec_b32 s23, s19
	s_cbranch_execz .LBB150_85
.LBB150_84:
	v_and_b32_e32 v2, 0xffff, v3
	s_delay_alu instid0(VALU_DEP_1) | instskip(SKIP_1) | instid1(VALU_DEP_2)
	v_and_b32_e32 v4, 3, v2
	v_bfe_u32 v8, v2, 2, 5
	v_clz_i32_u32_e32 v5, v4
	s_delay_alu instid0(VALU_DEP_2) | instskip(NEXT) | instid1(VALU_DEP_2)
	v_cmp_eq_u32_e32 vcc_lo, 0, v8
	v_min_u32_e32 v5, 32, v5
	s_delay_alu instid0(VALU_DEP_1) | instskip(NEXT) | instid1(VALU_DEP_1)
	v_subrev_nc_u32_e32 v7, 29, v5
	v_dual_lshlrev_b32 v2, v7, v2 :: v_dual_sub_nc_u32 v5, 30, v5
	s_delay_alu instid0(VALU_DEP_1) | instskip(NEXT) | instid1(VALU_DEP_2)
	v_dual_lshlrev_b32 v3, 24, v3 :: v_dual_bitop2_b32 v2, 3, v2 bitop3:0x40
	v_cndmask_b32_e32 v5, v8, v5, vcc_lo
	s_delay_alu instid0(VALU_DEP_2) | instskip(NEXT) | instid1(VALU_DEP_3)
	v_cndmask_b32_e32 v2, v4, v2, vcc_lo
	v_and_b32_e32 v3, 0x80000000, v3
	s_delay_alu instid0(VALU_DEP_3) | instskip(NEXT) | instid1(VALU_DEP_3)
	v_lshl_add_u32 v4, v5, 23, 0x37800000
	v_lshlrev_b32_e32 v2, 21, v2
	s_delay_alu instid0(VALU_DEP_1) | instskip(NEXT) | instid1(VALU_DEP_1)
	v_or3_b32 v2, v3, v4, v2
	v_cvt_f16_f32_e32 v2, v2
.LBB150_85:
	s_or_b32 exec_lo, exec_lo, s23
	s_mov_b32 s19, 0
	s_branch .LBB150_91
.LBB150_86:
                                        ; implicit-def: $vgpr2
	s_branch .LBB150_97
.LBB150_87:
	s_or_saveexec_b32 s23, s23
	v_mov_b32_e32 v2, 0x7e00
	s_xor_b32 exec_lo, exec_lo, s23
	s_cbranch_execz .LBB150_71
.LBB150_88:
	v_cmp_ne_u16_e32 vcc_lo, 0, v3
	v_mov_b32_e32 v2, v3
	s_and_not1_b32 s19, s19, exec_lo
	s_and_b32 s24, vcc_lo, exec_lo
	s_delay_alu instid0(SALU_CYCLE_1)
	s_or_b32 s19, s19, s24
	s_or_b32 exec_lo, exec_lo, s23
	s_and_saveexec_b32 s23, s19
	s_cbranch_execnz .LBB150_72
	s_branch .LBB150_73
.LBB150_89:
	s_mov_b32 s19, -1
                                        ; implicit-def: $vgpr2
	s_branch .LBB150_94
.LBB150_90:
	s_mov_b32 s19, -1
                                        ; implicit-def: $vgpr2
.LBB150_91:
	s_delay_alu instid0(SALU_CYCLE_1)
	s_and_b32 vcc_lo, exec_lo, s19
	s_cbranch_vccz .LBB150_93
; %bb.92:
	global_load_u8 v2, v[0:1], off
	s_wait_loadcnt 0x0
	v_lshlrev_b32_e32 v2, 24, v2
	s_delay_alu instid0(VALU_DEP_1) | instskip(NEXT) | instid1(VALU_DEP_1)
	v_and_b32_e32 v3, 0x7f000000, v2
	v_clz_i32_u32_e32 v4, v3
	v_add_nc_u32_e32 v7, 0x1000000, v3
	v_cmp_ne_u32_e32 vcc_lo, 0, v3
	s_delay_alu instid0(VALU_DEP_3) | instskip(NEXT) | instid1(VALU_DEP_1)
	v_min_u32_e32 v4, 32, v4
	v_sub_nc_u32_e64 v4, v4, 4 clamp
	s_delay_alu instid0(VALU_DEP_1) | instskip(NEXT) | instid1(VALU_DEP_1)
	v_dual_lshlrev_b32 v5, v4, v3 :: v_dual_lshlrev_b32 v4, 23, v4
	v_lshrrev_b32_e32 v5, 4, v5
	s_delay_alu instid0(VALU_DEP_1) | instskip(NEXT) | instid1(VALU_DEP_1)
	v_dual_sub_nc_u32 v4, v5, v4 :: v_dual_ashrrev_i32 v5, 8, v7
	v_add_nc_u32_e32 v4, 0x3c000000, v4
	s_delay_alu instid0(VALU_DEP_1) | instskip(NEXT) | instid1(VALU_DEP_1)
	v_and_or_b32 v4, 0x7f800000, v5, v4
	v_cndmask_b32_e32 v3, 0, v4, vcc_lo
	s_delay_alu instid0(VALU_DEP_1) | instskip(NEXT) | instid1(VALU_DEP_1)
	v_and_or_b32 v2, 0x80000000, v2, v3
	v_cvt_f16_f32_e32 v2, v2
.LBB150_93:
	s_mov_b32 s19, 0
.LBB150_94:
	s_delay_alu instid0(SALU_CYCLE_1)
	s_and_not1_b32 vcc_lo, exec_lo, s19
	s_cbranch_vccnz .LBB150_96
; %bb.95:
	global_load_u8 v2, v[0:1], off
	s_wait_loadcnt 0x0
	v_lshlrev_b32_e32 v3, 25, v2
	v_lshlrev_b16 v2, 8, v2
	s_delay_alu instid0(VALU_DEP_1) | instskip(SKIP_1) | instid1(VALU_DEP_2)
	v_and_or_b32 v5, 0x7f00, v2, 0.5
	v_bfe_i32 v2, v2, 0, 16
	v_dual_add_f32 v5, -0.5, v5 :: v_dual_lshrrev_b32 v4, 4, v3
	v_cmp_gt_u32_e32 vcc_lo, 0x8000000, v3
	s_delay_alu instid0(VALU_DEP_2) | instskip(NEXT) | instid1(VALU_DEP_1)
	v_or_b32_e32 v4, 0x70000000, v4
	v_mul_f32_e32 v4, 0x7800000, v4
	s_delay_alu instid0(VALU_DEP_1) | instskip(NEXT) | instid1(VALU_DEP_1)
	v_cndmask_b32_e32 v3, v4, v5, vcc_lo
	v_and_or_b32 v2, 0x80000000, v2, v3
	s_delay_alu instid0(VALU_DEP_1)
	v_cvt_f16_f32_e32 v2, v2
.LBB150_96:
	s_mov_b32 s19, -1
	s_cbranch_execnz .LBB150_109
.LBB150_97:
	s_cmp_gt_i32 s18, 14
	s_cbranch_scc0 .LBB150_100
; %bb.98:
	s_cmp_eq_u32 s18, 15
	s_cbranch_scc0 .LBB150_103
; %bb.99:
	global_load_u16 v2, v[0:1], off
	s_mov_b32 s19, -1
	s_mov_b32 s20, 0
	s_wait_loadcnt 0x0
	v_lshlrev_b32_e32 v2, 16, v2
	s_delay_alu instid0(VALU_DEP_1)
	v_cvt_f16_f32_e32 v2, v2
	s_branch .LBB150_104
.LBB150_100:
	s_mov_b32 s23, -1
                                        ; implicit-def: $vgpr2
	s_branch .LBB150_105
.LBB150_101:
	s_or_saveexec_b32 s23, s23
	v_mov_b32_e32 v2, 0x7e00
	s_xor_b32 exec_lo, exec_lo, s23
	s_cbranch_execz .LBB150_83
.LBB150_102:
	v_cmp_ne_u16_e32 vcc_lo, 0, v3
	v_mov_b32_e32 v2, v3
	s_and_not1_b32 s19, s19, exec_lo
	s_and_b32 s24, vcc_lo, exec_lo
	s_delay_alu instid0(SALU_CYCLE_1)
	s_or_b32 s19, s19, s24
	s_or_b32 exec_lo, exec_lo, s23
	s_and_saveexec_b32 s23, s19
	s_cbranch_execnz .LBB150_84
	s_branch .LBB150_85
.LBB150_103:
	s_mov_b32 s20, -1
                                        ; implicit-def: $vgpr2
.LBB150_104:
	s_mov_b32 s23, 0
.LBB150_105:
	s_delay_alu instid0(SALU_CYCLE_1)
	s_and_b32 vcc_lo, exec_lo, s23
	s_cbranch_vccz .LBB150_109
; %bb.106:
	s_cmp_eq_u32 s18, 11
	s_cbranch_scc0 .LBB150_108
; %bb.107:
	global_load_u8 v2, v[0:1], off
	s_mov_b32 s20, 0
	s_mov_b32 s19, -1
	v_mov_b32_e32 v3, 0
	s_wait_loadcnt 0x0
	v_cmp_ne_u16_e32 vcc_lo, 0, v2
	v_cndmask_b32_e64 v2, 0, 0x3c00, vcc_lo
	s_branch .LBB150_110
.LBB150_108:
	s_mov_b32 s20, -1
                                        ; implicit-def: $vgpr2
.LBB150_109:
	v_mov_b32_e32 v3, 0
.LBB150_110:
	s_branch .LBB150_10
.LBB150_111:
	s_and_b32 s0, 0xffff, s0
	s_delay_alu instid0(SALU_CYCLE_1)
	s_cmp_lt_i32 s0, 5
	s_cbranch_scc1 .LBB150_116
; %bb.112:
	s_cmp_lt_i32 s0, 8
	s_cbranch_scc1 .LBB150_117
; %bb.113:
	;; [unrolled: 3-line block ×3, first 2 shown]
	s_cmp_gt_i32 s0, 9
	s_cbranch_scc0 .LBB150_119
; %bb.115:
	global_load_b128 v[2:5], v[0:1], off
	v_mov_b32_e32 v15, 0x7e00
	s_mov_b32 s18, 0
	s_wait_loadcnt 0x0
	v_and_or_b32 v2, 0x1ff, v3, v2
	v_and_or_b32 v4, 0x1ff, v5, v4
	v_dual_lshrrev_b32 v7, 8, v3 :: v_dual_lshrrev_b32 v9, 8, v5
	v_bfe_u32 v8, v3, 20, 11
	s_delay_alu instid0(VALU_DEP_4) | instskip(SKIP_2) | instid1(VALU_DEP_4)
	v_cmp_ne_u32_e32 vcc_lo, 0, v2
	v_bfe_u32 v10, v5, 20, 11
	v_dual_lshrrev_b32 v3, 16, v3 :: v_dual_lshrrev_b32 v5, 16, v5
	v_sub_nc_u32_e32 v11, 0x3f1, v8
	v_cndmask_b32_e64 v2, 0, 1, vcc_lo
	v_cmp_ne_u32_e32 vcc_lo, 0, v4
	s_delay_alu instid0(VALU_DEP_2) | instskip(SKIP_2) | instid1(VALU_DEP_2)
	v_and_or_b32 v2, 0xffe, v7, v2
	v_cndmask_b32_e64 v4, 0, 1, vcc_lo
	v_sub_nc_u32_e32 v7, 0x3f1, v10
	v_and_or_b32 v4, 0xffe, v9, v4
	v_med3_i32 v9, v11, 0, 13
	v_or_b32_e32 v11, 0x1000, v2
	s_delay_alu instid0(VALU_DEP_4) | instskip(NEXT) | instid1(VALU_DEP_4)
	v_med3_i32 v7, v7, 0, 13
	v_or_b32_e32 v12, 0x1000, v4
	s_delay_alu instid0(VALU_DEP_1) | instskip(NEXT) | instid1(VALU_DEP_1)
	v_dual_lshrrev_b32 v13, v9, v11 :: v_dual_lshrrev_b32 v14, v7, v12
	v_dual_lshlrev_b32 v9, v9, v13 :: v_dual_lshlrev_b32 v7, v7, v14
	s_delay_alu instid0(VALU_DEP_1) | instskip(SKIP_1) | instid1(VALU_DEP_3)
	v_cmp_ne_u32_e32 vcc_lo, v9, v11
	v_cndmask_b32_e64 v9, 0, 1, vcc_lo
	v_cmp_ne_u32_e32 vcc_lo, v7, v12
	s_delay_alu instid0(VALU_DEP_2) | instskip(SKIP_2) | instid1(VALU_DEP_2)
	v_or_b32_e32 v9, v13, v9
	v_add_nc_u32_e32 v8, 0xfffffc10, v8
	v_cndmask_b32_e64 v7, 0, 1, vcc_lo
	v_lshl_or_b32 v11, v8, 12, v2
	v_cmp_gt_i32_e32 vcc_lo, 1, v8
	s_delay_alu instid0(VALU_DEP_2) | instskip(NEXT) | instid1(VALU_DEP_1)
	v_dual_cndmask_b32 v9, v11, v9, vcc_lo :: v_dual_bitop2_b32 v7, v14, v7 bitop3:0x54
	v_dual_lshrrev_b32 v9, 2, v9 :: v_dual_bitop2_b32 v11, 7, v9 bitop3:0x40
	v_add_nc_u32_e32 v10, 0xfffffc10, v10
	s_delay_alu instid0(VALU_DEP_1) | instskip(SKIP_1) | instid1(VALU_DEP_2)
	v_lshl_or_b32 v12, v10, 12, v4
	v_cmp_gt_i32_e32 vcc_lo, 1, v10
	v_cndmask_b32_e32 v7, v12, v7, vcc_lo
	v_cmp_lt_i32_e32 vcc_lo, 5, v11
	s_delay_alu instid0(VALU_DEP_2)
	v_and_b32_e32 v12, 7, v7
	v_cndmask_b32_e64 v13, 0, 1, vcc_lo
	v_cmp_eq_u32_e32 vcc_lo, 3, v11
	v_lshrrev_b32_e32 v7, 2, v7
	v_cndmask_b32_e64 v11, 0, 1, vcc_lo
	v_cmp_lt_i32_e32 vcc_lo, 5, v12
	s_delay_alu instid0(VALU_DEP_2) | instskip(SKIP_2) | instid1(VALU_DEP_3)
	v_or_b32_e32 v11, v11, v13
	v_cndmask_b32_e64 v14, 0, 1, vcc_lo
	v_cmp_eq_u32_e32 vcc_lo, 3, v12
	v_add_nc_u32_e32 v9, v9, v11
	v_cndmask_b32_e64 v12, 0, 1, vcc_lo
	v_cmp_ne_u32_e32 vcc_lo, 0, v2
	s_delay_alu instid0(VALU_DEP_2) | instskip(SKIP_2) | instid1(VALU_DEP_3)
	v_or_b32_e32 v12, v12, v14
	v_cndmask_b32_e32 v2, 0x7c00, v15, vcc_lo
	v_cmp_ne_u32_e32 vcc_lo, 0, v4
	v_dual_cndmask_b32 v4, 0x7c00, v15 :: v_dual_add_nc_u32 v7, v7, v12
	v_cmp_gt_i32_e32 vcc_lo, 31, v8
	v_cndmask_b32_e32 v9, 0x7c00, v9, vcc_lo
	v_cmp_gt_i32_e32 vcc_lo, 31, v10
	s_delay_alu instid0(VALU_DEP_4) | instskip(SKIP_1) | instid1(VALU_DEP_4)
	v_cndmask_b32_e32 v7, 0x7c00, v7, vcc_lo
	v_cmp_eq_u32_e32 vcc_lo, 0x40f, v8
	v_cndmask_b32_e32 v2, v9, v2, vcc_lo
	v_cmp_eq_u32_e32 vcc_lo, 0x40f, v10
	s_delay_alu instid0(VALU_DEP_2) | instskip(SKIP_1) | instid1(VALU_DEP_1)
	v_and_or_b32 v2, 0x8000, v3, v2
	v_cndmask_b32_e32 v4, v7, v4, vcc_lo
	v_and_or_b32 v3, 0x8000, v5, v4
	s_branch .LBB150_120
.LBB150_116:
                                        ; implicit-def: $vgpr3
                                        ; implicit-def: $vgpr2
	s_branch .LBB150_139
.LBB150_117:
	s_mov_b32 s18, -1
                                        ; implicit-def: $vgpr3
                                        ; implicit-def: $vgpr2
	s_branch .LBB150_126
.LBB150_118:
	s_mov_b32 s18, -1
                                        ; implicit-def: $vgpr3
                                        ; implicit-def: $vgpr2
	s_branch .LBB150_123
.LBB150_119:
	s_mov_b32 s18, -1
                                        ; implicit-def: $vgpr3
                                        ; implicit-def: $vgpr2
.LBB150_120:
	s_delay_alu instid0(SALU_CYCLE_1)
	s_and_not1_b32 vcc_lo, exec_lo, s18
	s_cbranch_vccnz .LBB150_122
; %bb.121:
	global_load_b64 v[2:3], v[0:1], off
	s_wait_loadcnt 0x0
	v_cvt_f16_f32_e32 v2, v2
	v_cvt_f16_f32_e32 v3, v3
.LBB150_122:
	s_mov_b32 s18, 0
.LBB150_123:
	s_delay_alu instid0(SALU_CYCLE_1)
	s_and_not1_b32 vcc_lo, exec_lo, s18
	s_cbranch_vccnz .LBB150_125
; %bb.124:
	global_load_b32 v2, v[0:1], off
	s_wait_loadcnt 0x0
	v_lshrrev_b32_e32 v3, 16, v2
.LBB150_125:
	s_mov_b32 s18, 0
.LBB150_126:
	s_delay_alu instid0(SALU_CYCLE_1)
	s_and_not1_b32 vcc_lo, exec_lo, s18
	s_cbranch_vccnz .LBB150_138
; %bb.127:
	s_cmp_lt_i32 s0, 6
	s_cbranch_scc1 .LBB150_130
; %bb.128:
	s_cmp_gt_i32 s0, 6
	s_cbranch_scc0 .LBB150_131
; %bb.129:
	global_load_b64 v[2:3], v[0:1], off
	s_mov_b32 s18, 0
	s_wait_loadcnt 0x0
	v_and_or_b32 v2, 0x1ff, v3, v2
	v_lshrrev_b32_e32 v4, 8, v3
	v_bfe_u32 v5, v3, 20, 11
	v_lshrrev_b32_e32 v3, 16, v3
	s_delay_alu instid0(VALU_DEP_4) | instskip(NEXT) | instid1(VALU_DEP_3)
	v_cmp_ne_u32_e32 vcc_lo, 0, v2
	v_sub_nc_u32_e32 v7, 0x3f1, v5
	v_add_nc_u32_e32 v5, 0xfffffc10, v5
	v_cndmask_b32_e64 v2, 0, 1, vcc_lo
	s_delay_alu instid0(VALU_DEP_1) | instskip(NEXT) | instid1(VALU_DEP_4)
	v_and_or_b32 v2, 0xffe, v4, v2
	v_med3_i32 v4, v7, 0, 13
	s_delay_alu instid0(VALU_DEP_2) | instskip(NEXT) | instid1(VALU_DEP_1)
	v_or_b32_e32 v7, 0x1000, v2
	v_lshrrev_b32_e32 v8, v4, v7
	s_delay_alu instid0(VALU_DEP_1) | instskip(NEXT) | instid1(VALU_DEP_1)
	v_lshlrev_b32_e32 v4, v4, v8
	v_cmp_ne_u32_e32 vcc_lo, v4, v7
	v_lshl_or_b32 v7, v5, 12, v2
	v_cndmask_b32_e64 v4, 0, 1, vcc_lo
	v_cmp_gt_i32_e32 vcc_lo, 1, v5
	s_delay_alu instid0(VALU_DEP_2) | instskip(NEXT) | instid1(VALU_DEP_1)
	v_or_b32_e32 v4, v8, v4
	v_cndmask_b32_e32 v4, v7, v4, vcc_lo
	s_delay_alu instid0(VALU_DEP_1) | instskip(NEXT) | instid1(VALU_DEP_1)
	v_dual_lshrrev_b32 v4, 2, v4 :: v_dual_bitop2_b32 v7, 7, v4 bitop3:0x40
	v_cmp_lt_i32_e32 vcc_lo, 5, v7
	v_cndmask_b32_e64 v8, 0, 1, vcc_lo
	v_cmp_eq_u32_e32 vcc_lo, 3, v7
	v_cndmask_b32_e64 v7, 0, 1, vcc_lo
	v_cmp_ne_u32_e32 vcc_lo, 0, v2
	s_delay_alu instid0(VALU_DEP_2) | instskip(SKIP_1) | instid1(VALU_DEP_2)
	v_or_b32_e32 v7, v7, v8
	v_mov_b32_e32 v8, 0x7e00
	v_add_nc_u32_e32 v4, v4, v7
	s_delay_alu instid0(VALU_DEP_2) | instskip(SKIP_1) | instid1(VALU_DEP_3)
	v_cndmask_b32_e32 v2, 0x7c00, v8, vcc_lo
	v_cmp_gt_i32_e32 vcc_lo, 31, v5
	v_cndmask_b32_e32 v4, 0x7c00, v4, vcc_lo
	v_cmp_eq_u32_e32 vcc_lo, 0x40f, v5
	s_delay_alu instid0(VALU_DEP_2) | instskip(NEXT) | instid1(VALU_DEP_1)
	v_cndmask_b32_e32 v2, v4, v2, vcc_lo
	v_and_or_b32 v2, 0x8000, v3, v2
	s_branch .LBB150_132
.LBB150_130:
	s_mov_b32 s18, -1
                                        ; implicit-def: $vgpr2
	s_branch .LBB150_135
.LBB150_131:
	s_mov_b32 s18, -1
                                        ; implicit-def: $vgpr2
.LBB150_132:
	s_delay_alu instid0(SALU_CYCLE_1)
	s_and_not1_b32 vcc_lo, exec_lo, s18
	s_cbranch_vccnz .LBB150_134
; %bb.133:
	global_load_b32 v2, v[0:1], off
	s_wait_loadcnt 0x0
	v_cvt_f16_f32_e32 v2, v2
.LBB150_134:
	s_mov_b32 s18, 0
.LBB150_135:
	s_delay_alu instid0(SALU_CYCLE_1)
	s_and_not1_b32 vcc_lo, exec_lo, s18
	s_cbranch_vccnz .LBB150_137
; %bb.136:
	global_load_u16 v2, v[0:1], off
.LBB150_137:
	v_mov_b32_e32 v3, 0
.LBB150_138:
	s_cbranch_execnz .LBB150_159
.LBB150_139:
	s_cmp_lt_i32 s0, 2
	s_cbranch_scc1 .LBB150_143
; %bb.140:
	s_cmp_lt_i32 s0, 3
	s_cbranch_scc1 .LBB150_144
; %bb.141:
	s_cmp_gt_i32 s0, 3
	s_cbranch_scc0 .LBB150_145
; %bb.142:
	s_wait_loadcnt 0x0
	global_load_b64 v[2:3], v[0:1], off
	s_mov_b32 s18, 0
	s_wait_loadcnt 0x0
	v_xor_b32_e32 v4, v2, v3
	v_cls_i32_e32 v5, v3
	s_delay_alu instid0(VALU_DEP_2) | instskip(NEXT) | instid1(VALU_DEP_1)
	v_ashrrev_i32_e32 v4, 31, v4
	v_add_nc_u32_e32 v4, 32, v4
	s_delay_alu instid0(VALU_DEP_1) | instskip(NEXT) | instid1(VALU_DEP_1)
	v_add_min_u32_e64 v4, v5, -1, v4
	v_lshlrev_b64_e32 v[2:3], v4, v[2:3]
	s_delay_alu instid0(VALU_DEP_1) | instskip(NEXT) | instid1(VALU_DEP_1)
	v_min_u32_e32 v2, 1, v2
	v_dual_sub_nc_u32 v3, 32, v4 :: v_dual_bitop2_b32 v2, v3, v2 bitop3:0x54
	s_delay_alu instid0(VALU_DEP_1) | instskip(NEXT) | instid1(VALU_DEP_1)
	v_cvt_f32_i32_e32 v2, v2
	v_ldexp_f32 v2, v2, v3
	s_delay_alu instid0(VALU_DEP_1)
	v_cvt_f16_f32_e32 v2, v2
	s_branch .LBB150_146
.LBB150_143:
	s_mov_b32 s18, -1
                                        ; implicit-def: $vgpr2
	s_branch .LBB150_152
.LBB150_144:
	s_mov_b32 s18, -1
                                        ; implicit-def: $vgpr2
	s_branch .LBB150_149
.LBB150_145:
	s_mov_b32 s18, -1
                                        ; implicit-def: $vgpr2
.LBB150_146:
	s_delay_alu instid0(SALU_CYCLE_1)
	s_and_not1_b32 vcc_lo, exec_lo, s18
	s_cbranch_vccnz .LBB150_148
; %bb.147:
	s_wait_loadcnt 0x0
	global_load_b32 v2, v[0:1], off
	s_wait_loadcnt 0x0
	v_cvt_f32_i32_e32 v2, v2
	s_delay_alu instid0(VALU_DEP_1)
	v_cvt_f16_f32_e32 v2, v2
.LBB150_148:
	s_mov_b32 s18, 0
.LBB150_149:
	s_delay_alu instid0(SALU_CYCLE_1)
	s_and_not1_b32 vcc_lo, exec_lo, s18
	s_cbranch_vccnz .LBB150_151
; %bb.150:
	s_wait_loadcnt 0x0
	global_load_u16 v2, v[0:1], off
	s_wait_loadcnt 0x0
	v_cvt_f16_i16_e32 v2, v2
.LBB150_151:
	s_mov_b32 s18, 0
.LBB150_152:
	s_delay_alu instid0(SALU_CYCLE_1)
	s_and_not1_b32 vcc_lo, exec_lo, s18
	s_cbranch_vccnz .LBB150_158
; %bb.153:
	s_cmp_gt_i32 s0, 0
	s_mov_b32 s0, 0
	s_cbranch_scc0 .LBB150_155
; %bb.154:
	s_wait_loadcnt 0x0
	global_load_i8 v2, v[0:1], off
	s_wait_loadcnt 0x0
	v_cvt_f16_i16_e32 v2, v2
	s_branch .LBB150_156
.LBB150_155:
	s_mov_b32 s0, -1
                                        ; implicit-def: $vgpr2
.LBB150_156:
	s_delay_alu instid0(SALU_CYCLE_1)
	s_and_not1_b32 vcc_lo, exec_lo, s0
	s_cbranch_vccnz .LBB150_158
; %bb.157:
	global_load_u8 v0, v[0:1], off
	s_wait_loadcnt 0x0
	v_cvt_f16_u16_e32 v2, v0
.LBB150_158:
	v_mov_b32_e32 v3, 0
.LBB150_159:
	s_branch .LBB150_11
.LBB150_160:
	s_mov_b32 s0, 0
	s_mov_b32 s19, 0
	s_branch .LBB150_393
.LBB150_161:
	s_mov_b32 s19, -1
.LBB150_162:
	s_mov_b32 s23, 0
                                        ; implicit-def: $vgpr5
                                        ; implicit-def: $vgpr4
.LBB150_163:
	s_and_b32 vcc_lo, exec_lo, s24
	s_cbranch_vccz .LBB150_279
; %bb.164:
	s_cmp_eq_u32 s18, 44
	s_cbranch_scc0 .LBB150_277
; %bb.165:
	global_load_u8 v4, v[0:1], off
	s_mov_b32 s19, 0
	s_mov_b32 s23, -1
	s_wait_loadcnt 0x0
	v_lshlrev_b32_e32 v5, 23, v4
	v_cmp_ne_u32_e32 vcc_lo, 0xff, v4
	s_delay_alu instid0(VALU_DEP_2) | instskip(NEXT) | instid1(VALU_DEP_1)
	v_cvt_f16_f32_e32 v5, v5
	v_cndmask_b32_e32 v5, 0x7e00, v5, vcc_lo
	v_cmp_ne_u32_e32 vcc_lo, 0, v4
	s_delay_alu instid0(VALU_DEP_2)
	v_cndmask_b32_e32 v4, 0, v5, vcc_lo
	s_branch .LBB150_278
.LBB150_166:
	s_mov_b32 s26, -1
	s_mov_b32 s0, 0
	s_mov_b32 s25, 0
.LBB150_167:
	s_and_b32 vcc_lo, exec_lo, s26
	s_cbranch_vccz .LBB150_172
; %bb.168:
	s_cmp_eq_u32 s24, 44
	s_mov_b32 s0, -1
	s_cbranch_scc0 .LBB150_172
; %bb.169:
	s_wait_loadcnt 0x0
	v_cndmask_b32_e64 v4, 0, 1.0, s18
	s_mov_b32 s25, exec_lo
	s_wait_xcnt 0x0
	s_delay_alu instid0(VALU_DEP_1) | instskip(NEXT) | instid1(VALU_DEP_1)
	v_dual_mov_b32 v3, 0xff :: v_dual_lshrrev_b32 v2, 23, v4
	v_cmpx_ne_u32_e32 0xff, v2
; %bb.170:
	v_and_b32_e32 v3, 0x400000, v4
	v_and_or_b32 v4, 0x3fffff, v4, v2
	s_delay_alu instid0(VALU_DEP_2) | instskip(NEXT) | instid1(VALU_DEP_2)
	v_cmp_ne_u32_e32 vcc_lo, 0, v3
	v_cmp_ne_u32_e64 s0, 0, v4
	s_and_b32 s0, vcc_lo, s0
	s_delay_alu instid0(SALU_CYCLE_1) | instskip(NEXT) | instid1(VALU_DEP_1)
	v_cndmask_b32_e64 v3, 0, 1, s0
	v_add_nc_u32_e32 v3, v2, v3
; %bb.171:
	s_or_b32 exec_lo, exec_lo, s25
	s_mov_b32 s25, -1
	s_mov_b32 s0, 0
	global_store_b8 v[0:1], v3, off
.LBB150_172:
	s_mov_b32 s26, 0
.LBB150_173:
	s_delay_alu instid0(SALU_CYCLE_1)
	s_and_b32 vcc_lo, exec_lo, s26
	s_cbranch_vccz .LBB150_176
; %bb.174:
	s_cmp_eq_u32 s24, 29
	s_mov_b32 s0, -1
	s_cbranch_scc0 .LBB150_176
; %bb.175:
	s_mov_b32 s0, 0
	s_wait_loadcnt 0x0
	v_cndmask_b32_e64 v2, 0, 1, s18
	v_mov_b32_e32 v3, s0
	s_mov_b32 s25, -1
	s_mov_b32 s26, 0
	global_store_b64 v[0:1], v[2:3], off
	s_branch .LBB150_177
.LBB150_176:
	s_mov_b32 s26, 0
.LBB150_177:
	s_delay_alu instid0(SALU_CYCLE_1)
	s_and_b32 vcc_lo, exec_lo, s26
	s_cbranch_vccz .LBB150_193
; %bb.178:
	s_cmp_lt_i32 s24, 27
	s_mov_b32 s25, -1
	s_cbranch_scc1 .LBB150_184
; %bb.179:
	s_cmp_gt_i32 s24, 27
	s_cbranch_scc0 .LBB150_181
; %bb.180:
	s_wait_loadcnt 0x0
	v_cndmask_b32_e64 v2, 0, 1, s18
	s_mov_b32 s25, 0
	global_store_b32 v[0:1], v2, off
.LBB150_181:
	s_and_not1_b32 vcc_lo, exec_lo, s25
	s_cbranch_vccnz .LBB150_183
; %bb.182:
	s_wait_loadcnt 0x0
	v_cndmask_b32_e64 v2, 0, 1, s18
	global_store_b16 v[0:1], v2, off
.LBB150_183:
	s_mov_b32 s25, 0
.LBB150_184:
	s_delay_alu instid0(SALU_CYCLE_1)
	s_and_not1_b32 vcc_lo, exec_lo, s25
	s_cbranch_vccnz .LBB150_192
; %bb.185:
	s_wait_xcnt 0x0
	v_cndmask_b32_e64 v3, 0, 1.0, s18
	s_wait_loadcnt 0x0
	v_mov_b32_e32 v4, 0x80
	s_mov_b32 s25, exec_lo
	s_delay_alu instid0(VALU_DEP_2)
	v_cmpx_gt_u32_e32 0x43800000, v3
	s_cbranch_execz .LBB150_191
; %bb.186:
	s_mov_b32 s26, 0
	s_mov_b32 s27, exec_lo
                                        ; implicit-def: $vgpr2
	v_cmpx_lt_u32_e32 0x3bffffff, v3
	s_xor_b32 s27, exec_lo, s27
	s_cbranch_execz .LBB150_424
; %bb.187:
	v_bfe_u32 v2, v3, 20, 1
	s_mov_b32 s26, exec_lo
	s_delay_alu instid0(VALU_DEP_1) | instskip(NEXT) | instid1(VALU_DEP_1)
	v_add3_u32 v2, v3, v2, 0x487ffff
                                        ; implicit-def: $vgpr3
	v_lshrrev_b32_e32 v2, 20, v2
	s_and_not1_saveexec_b32 s27, s27
	s_cbranch_execnz .LBB150_425
.LBB150_188:
	s_or_b32 exec_lo, exec_lo, s27
	v_mov_b32_e32 v4, 0
	s_and_saveexec_b32 s27, s26
.LBB150_189:
	v_mov_b32_e32 v4, v2
.LBB150_190:
	s_or_b32 exec_lo, exec_lo, s27
.LBB150_191:
	s_delay_alu instid0(SALU_CYCLE_1)
	s_or_b32 exec_lo, exec_lo, s25
	global_store_b8 v[0:1], v4, off
.LBB150_192:
	s_mov_b32 s25, -1
.LBB150_193:
	s_mov_b32 s26, 0
.LBB150_194:
	s_delay_alu instid0(SALU_CYCLE_1)
	s_and_b32 vcc_lo, exec_lo, s26
	s_cbranch_vccz .LBB150_235
; %bb.195:
	s_cmp_gt_i32 s24, 22
	s_mov_b32 s26, -1
	s_cbranch_scc0 .LBB150_227
; %bb.196:
	s_cmp_lt_i32 s24, 24
	s_mov_b32 s25, -1
	s_cbranch_scc1 .LBB150_216
; %bb.197:
	s_cmp_gt_i32 s24, 24
	s_cbranch_scc0 .LBB150_205
; %bb.198:
	s_wait_xcnt 0x0
	v_cndmask_b32_e64 v3, 0, 1.0, s18
	s_wait_loadcnt 0x0
	v_mov_b32_e32 v4, 0x80
	s_mov_b32 s25, exec_lo
	s_delay_alu instid0(VALU_DEP_2)
	v_cmpx_gt_u32_e32 0x47800000, v3
	s_cbranch_execz .LBB150_204
; %bb.199:
	s_mov_b32 s26, 0
	s_mov_b32 s27, exec_lo
                                        ; implicit-def: $vgpr2
	v_cmpx_lt_u32_e32 0x37ffffff, v3
	s_xor_b32 s27, exec_lo, s27
	s_cbranch_execz .LBB150_548
; %bb.200:
	v_bfe_u32 v2, v3, 21, 1
	s_mov_b32 s26, exec_lo
	s_delay_alu instid0(VALU_DEP_1) | instskip(NEXT) | instid1(VALU_DEP_1)
	v_add3_u32 v2, v3, v2, 0x88fffff
                                        ; implicit-def: $vgpr3
	v_lshrrev_b32_e32 v2, 21, v2
	s_and_not1_saveexec_b32 s27, s27
	s_cbranch_execnz .LBB150_549
.LBB150_201:
	s_or_b32 exec_lo, exec_lo, s27
	v_mov_b32_e32 v4, 0
	s_and_saveexec_b32 s27, s26
.LBB150_202:
	v_mov_b32_e32 v4, v2
.LBB150_203:
	s_or_b32 exec_lo, exec_lo, s27
.LBB150_204:
	s_delay_alu instid0(SALU_CYCLE_1)
	s_or_b32 exec_lo, exec_lo, s25
	s_mov_b32 s25, 0
	global_store_b8 v[0:1], v4, off
.LBB150_205:
	s_and_b32 vcc_lo, exec_lo, s25
	s_cbranch_vccz .LBB150_215
; %bb.206:
	s_wait_xcnt 0x0
	v_cndmask_b32_e64 v3, 0, 1.0, s18
	s_mov_b32 s25, exec_lo
                                        ; implicit-def: $vgpr2
	s_delay_alu instid0(VALU_DEP_1)
	v_cmpx_gt_u32_e32 0x43f00000, v3
	s_xor_b32 s25, exec_lo, s25
	s_cbranch_execz .LBB150_212
; %bb.207:
	s_mov_b32 s26, exec_lo
                                        ; implicit-def: $vgpr2
	v_cmpx_lt_u32_e32 0x3c7fffff, v3
	s_xor_b32 s26, exec_lo, s26
	s_cbranch_execz .LBB150_209
; %bb.208:
	s_wait_loadcnt 0x0
	v_bfe_u32 v2, v3, 20, 1
	s_delay_alu instid0(VALU_DEP_1) | instskip(NEXT) | instid1(VALU_DEP_1)
	v_add3_u32 v2, v3, v2, 0x407ffff
	v_and_b32_e32 v3, 0xff00000, v2
	v_lshrrev_b32_e32 v2, 20, v2
	s_delay_alu instid0(VALU_DEP_2) | instskip(NEXT) | instid1(VALU_DEP_2)
	v_cmp_ne_u32_e32 vcc_lo, 0x7f00000, v3
                                        ; implicit-def: $vgpr3
	v_cndmask_b32_e32 v2, 0x7e, v2, vcc_lo
.LBB150_209:
	s_and_not1_saveexec_b32 s26, s26
	s_cbranch_execz .LBB150_211
; %bb.210:
	s_wait_loadcnt 0x0
	v_add_f32_e32 v2, 0x46800000, v3
.LBB150_211:
	s_or_b32 exec_lo, exec_lo, s26
                                        ; implicit-def: $vgpr3
.LBB150_212:
	s_and_not1_saveexec_b32 s25, s25
	s_cbranch_execz .LBB150_214
; %bb.213:
	s_wait_loadcnt 0x0
	v_mov_b32_e32 v2, 0x7f
	v_cmp_lt_u32_e32 vcc_lo, 0x7f800000, v3
	s_delay_alu instid0(VALU_DEP_2)
	v_cndmask_b32_e32 v2, 0x7e, v2, vcc_lo
.LBB150_214:
	s_or_b32 exec_lo, exec_lo, s25
	s_wait_loadcnt 0x0
	global_store_b8 v[0:1], v2, off
.LBB150_215:
	s_mov_b32 s25, 0
.LBB150_216:
	s_delay_alu instid0(SALU_CYCLE_1)
	s_and_not1_b32 vcc_lo, exec_lo, s25
	s_cbranch_vccnz .LBB150_226
; %bb.217:
	s_wait_xcnt 0x0
	v_cndmask_b32_e64 v3, 0, 1.0, s18
	s_mov_b32 s25, exec_lo
                                        ; implicit-def: $vgpr2
	s_delay_alu instid0(VALU_DEP_1)
	v_cmpx_gt_u32_e32 0x47800000, v3
	s_xor_b32 s25, exec_lo, s25
	s_cbranch_execz .LBB150_223
; %bb.218:
	s_mov_b32 s26, exec_lo
                                        ; implicit-def: $vgpr2
	v_cmpx_lt_u32_e32 0x387fffff, v3
	s_xor_b32 s26, exec_lo, s26
	s_cbranch_execz .LBB150_220
; %bb.219:
	s_wait_loadcnt 0x0
	v_bfe_u32 v2, v3, 21, 1
	s_delay_alu instid0(VALU_DEP_1) | instskip(NEXT) | instid1(VALU_DEP_1)
	v_add3_u32 v2, v3, v2, 0x80fffff
                                        ; implicit-def: $vgpr3
	v_lshrrev_b32_e32 v2, 21, v2
.LBB150_220:
	s_and_not1_saveexec_b32 s26, s26
	s_cbranch_execz .LBB150_222
; %bb.221:
	s_wait_loadcnt 0x0
	v_add_f32_e32 v2, 0x43000000, v3
.LBB150_222:
	s_or_b32 exec_lo, exec_lo, s26
                                        ; implicit-def: $vgpr3
.LBB150_223:
	s_and_not1_saveexec_b32 s25, s25
	s_cbranch_execz .LBB150_225
; %bb.224:
	s_wait_loadcnt 0x0
	v_mov_b32_e32 v2, 0x7f
	v_cmp_lt_u32_e32 vcc_lo, 0x7f800000, v3
	s_delay_alu instid0(VALU_DEP_2)
	v_cndmask_b32_e32 v2, 0x7c, v2, vcc_lo
.LBB150_225:
	s_or_b32 exec_lo, exec_lo, s25
	s_wait_loadcnt 0x0
	global_store_b8 v[0:1], v2, off
.LBB150_226:
	s_mov_b32 s26, 0
	s_mov_b32 s25, -1
.LBB150_227:
	s_and_not1_b32 vcc_lo, exec_lo, s26
	s_cbranch_vccnz .LBB150_235
; %bb.228:
	s_cmp_gt_i32 s24, 14
	s_mov_b32 s26, -1
	s_cbranch_scc0 .LBB150_232
; %bb.229:
	s_cmp_eq_u32 s24, 15
	s_mov_b32 s0, -1
	s_cbranch_scc0 .LBB150_231
; %bb.230:
	s_wait_loadcnt 0x0
	v_cndmask_b32_e64 v2, 0, 1.0, s18
	s_mov_b32 s25, -1
	s_mov_b32 s0, 0
	s_delay_alu instid0(VALU_DEP_1) | instskip(NEXT) | instid1(VALU_DEP_1)
	v_bfe_u32 v3, v2, 16, 1
	v_add3_u32 v2, v2, v3, 0x7fff
	global_store_d16_hi_b16 v[0:1], v2, off
.LBB150_231:
	s_mov_b32 s26, 0
.LBB150_232:
	s_delay_alu instid0(SALU_CYCLE_1)
	s_and_b32 vcc_lo, exec_lo, s26
	s_cbranch_vccz .LBB150_235
; %bb.233:
	s_cmp_eq_u32 s24, 11
	s_mov_b32 s0, -1
	s_cbranch_scc0 .LBB150_235
; %bb.234:
	s_wait_loadcnt 0x0
	v_cndmask_b32_e64 v2, 0, 1, s18
	s_mov_b32 s25, -1
	s_mov_b32 s0, 0
	global_store_b8 v[0:1], v2, off
.LBB150_235:
	s_mov_b32 s24, 0
.LBB150_236:
	s_delay_alu instid0(SALU_CYCLE_1)
	s_and_b32 vcc_lo, exec_lo, s24
	s_cbranch_vccz .LBB150_275
; %bb.237:
	s_and_b32 s23, 0xffff, s23
	s_mov_b32 s24, -1
	s_cmp_lt_i32 s23, 5
	s_cbranch_scc1 .LBB150_258
; %bb.238:
	s_cmp_lt_i32 s23, 8
	s_cbranch_scc1 .LBB150_248
; %bb.239:
	;; [unrolled: 3-line block ×3, first 2 shown]
	s_cmp_gt_i32 s23, 9
	s_cbranch_scc0 .LBB150_242
; %bb.241:
	s_wait_loadcnt 0x0
	v_cndmask_b32_e64 v2, 0, 1, s18
	v_mov_b32_e32 v4, 0
	s_mov_b32 s24, 0
	s_delay_alu instid0(VALU_DEP_2) | instskip(NEXT) | instid1(VALU_DEP_2)
	v_cvt_f64_u32_e32 v[2:3], v2
	v_mov_b32_e32 v5, v4
	global_store_b128 v[0:1], v[2:5], off
.LBB150_242:
	s_and_not1_b32 vcc_lo, exec_lo, s24
	s_cbranch_vccnz .LBB150_244
; %bb.243:
	s_wait_loadcnt 0x0
	v_cndmask_b32_e64 v2, 0, 1.0, s18
	v_mov_b32_e32 v3, 0
	global_store_b64 v[0:1], v[2:3], off
.LBB150_244:
	s_mov_b32 s24, 0
.LBB150_245:
	s_delay_alu instid0(SALU_CYCLE_1)
	s_and_not1_b32 vcc_lo, exec_lo, s24
	s_cbranch_vccnz .LBB150_247
; %bb.246:
	s_wait_loadcnt 0x0
	v_cndmask_b32_e64 v2, 0, 1.0, s18
	s_delay_alu instid0(VALU_DEP_1) | instskip(NEXT) | instid1(VALU_DEP_1)
	v_cvt_f16_f32_e32 v2, v2
	v_and_b32_e32 v2, 0xffff, v2
	global_store_b32 v[0:1], v2, off
.LBB150_247:
	s_mov_b32 s24, 0
.LBB150_248:
	s_delay_alu instid0(SALU_CYCLE_1)
	s_and_not1_b32 vcc_lo, exec_lo, s24
	s_cbranch_vccnz .LBB150_257
; %bb.249:
	s_cmp_lt_i32 s23, 6
	s_mov_b32 s24, -1
	s_cbranch_scc1 .LBB150_255
; %bb.250:
	s_cmp_gt_i32 s23, 6
	s_cbranch_scc0 .LBB150_252
; %bb.251:
	s_wait_loadcnt 0x0
	v_cndmask_b32_e64 v2, 0, 1, s18
	s_mov_b32 s24, 0
	s_delay_alu instid0(VALU_DEP_1)
	v_cvt_f64_u32_e32 v[2:3], v2
	global_store_b64 v[0:1], v[2:3], off
.LBB150_252:
	s_and_not1_b32 vcc_lo, exec_lo, s24
	s_cbranch_vccnz .LBB150_254
; %bb.253:
	s_wait_loadcnt 0x0
	v_cndmask_b32_e64 v2, 0, 1.0, s18
	global_store_b32 v[0:1], v2, off
.LBB150_254:
	s_mov_b32 s24, 0
.LBB150_255:
	s_delay_alu instid0(SALU_CYCLE_1)
	s_and_not1_b32 vcc_lo, exec_lo, s24
	s_cbranch_vccnz .LBB150_257
; %bb.256:
	s_wait_loadcnt 0x0
	v_cndmask_b32_e64 v2, 0, 1.0, s18
	s_delay_alu instid0(VALU_DEP_1)
	v_cvt_f16_f32_e32 v2, v2
	global_store_b16 v[0:1], v2, off
.LBB150_257:
	s_mov_b32 s24, 0
.LBB150_258:
	s_delay_alu instid0(SALU_CYCLE_1)
	s_and_not1_b32 vcc_lo, exec_lo, s24
	s_cbranch_vccnz .LBB150_274
; %bb.259:
	s_cmp_lt_i32 s23, 2
	s_mov_b32 s24, -1
	s_cbranch_scc1 .LBB150_269
; %bb.260:
	s_cmp_lt_i32 s23, 3
	s_cbranch_scc1 .LBB150_266
; %bb.261:
	s_cmp_gt_i32 s23, 3
	s_cbranch_scc0 .LBB150_263
; %bb.262:
	s_mov_b32 s24, 0
	s_wait_loadcnt 0x0
	v_cndmask_b32_e64 v2, 0, 1, s18
	v_mov_b32_e32 v3, s24
	global_store_b64 v[0:1], v[2:3], off
.LBB150_263:
	s_and_not1_b32 vcc_lo, exec_lo, s24
	s_cbranch_vccnz .LBB150_265
; %bb.264:
	s_wait_loadcnt 0x0
	v_cndmask_b32_e64 v2, 0, 1, s18
	global_store_b32 v[0:1], v2, off
.LBB150_265:
	s_mov_b32 s24, 0
.LBB150_266:
	s_delay_alu instid0(SALU_CYCLE_1)
	s_and_not1_b32 vcc_lo, exec_lo, s24
	s_cbranch_vccnz .LBB150_268
; %bb.267:
	s_wait_loadcnt 0x0
	v_cndmask_b32_e64 v2, 0, 1, s18
	global_store_b16 v[0:1], v2, off
.LBB150_268:
	s_mov_b32 s24, 0
.LBB150_269:
	s_delay_alu instid0(SALU_CYCLE_1)
	s_and_not1_b32 vcc_lo, exec_lo, s24
	s_cbranch_vccnz .LBB150_274
; %bb.270:
	s_wait_loadcnt 0x0
	v_cndmask_b32_e64 v2, 0, 1, s18
	s_cmp_gt_i32 s23, 0
	s_mov_b32 s18, -1
	s_cbranch_scc0 .LBB150_272
; %bb.271:
	s_mov_b32 s18, 0
	global_store_b8 v[0:1], v2, off
.LBB150_272:
	s_and_not1_b32 vcc_lo, exec_lo, s18
	s_cbranch_vccnz .LBB150_274
; %bb.273:
	global_store_b8 v[0:1], v2, off
.LBB150_274:
	s_mov_b32 s25, -1
.LBB150_275:
	s_delay_alu instid0(SALU_CYCLE_1)
	s_and_not1_b32 vcc_lo, exec_lo, s25
	s_cbranch_vccnz .LBB150_393
; %bb.276:
	v_add_nc_u32_e32 v6, 0x80, v6
	s_mov_b32 s23, -1
	s_branch .LBB150_394
.LBB150_277:
	s_mov_b32 s19, -1
                                        ; implicit-def: $vgpr4
.LBB150_278:
	v_mov_b32_e32 v5, 0
.LBB150_279:
	s_mov_b32 s24, 0
.LBB150_280:
	s_delay_alu instid0(SALU_CYCLE_1)
	s_and_b32 vcc_lo, exec_lo, s24
	s_cbranch_vccz .LBB150_285
; %bb.281:
	s_cmp_eq_u32 s18, 29
	s_cbranch_scc0 .LBB150_283
; %bb.282:
	global_load_b64 v[4:5], v[0:1], off
	s_mov_b32 s23, -1
	s_mov_b32 s19, 0
	s_wait_loadcnt 0x0
	v_clz_i32_u32_e32 v7, v5
	s_delay_alu instid0(VALU_DEP_1) | instskip(NEXT) | instid1(VALU_DEP_1)
	v_min_u32_e32 v7, 32, v7
	v_lshlrev_b64_e32 v[4:5], v7, v[4:5]
	s_delay_alu instid0(VALU_DEP_1) | instskip(NEXT) | instid1(VALU_DEP_1)
	v_min_u32_e32 v4, 1, v4
	v_dual_sub_nc_u32 v5, 32, v7 :: v_dual_bitop2_b32 v4, v5, v4 bitop3:0x54
	s_delay_alu instid0(VALU_DEP_1) | instskip(NEXT) | instid1(VALU_DEP_1)
	v_cvt_f32_u32_e32 v4, v4
	v_ldexp_f32 v4, v4, v5
	s_delay_alu instid0(VALU_DEP_1)
	v_cvt_f16_f32_e32 v4, v4
	s_branch .LBB150_284
.LBB150_283:
	s_mov_b32 s19, -1
                                        ; implicit-def: $vgpr4
.LBB150_284:
	v_mov_b32_e32 v5, 0
.LBB150_285:
	s_mov_b32 s24, 0
.LBB150_286:
	s_delay_alu instid0(SALU_CYCLE_1)
	s_and_b32 vcc_lo, exec_lo, s24
	s_cbranch_vccz .LBB150_304
; %bb.287:
	s_cmp_lt_i32 s18, 27
	s_cbranch_scc1 .LBB150_290
; %bb.288:
	s_cmp_gt_i32 s18, 27
	s_cbranch_scc0 .LBB150_291
; %bb.289:
	global_load_b32 v4, v[0:1], off
	s_mov_b32 s23, 0
	s_wait_loadcnt 0x0
	v_cvt_f32_u32_e32 v4, v4
	s_delay_alu instid0(VALU_DEP_1)
	v_cvt_f16_f32_e32 v4, v4
	s_branch .LBB150_292
.LBB150_290:
	s_mov_b32 s23, -1
                                        ; implicit-def: $vgpr4
	s_branch .LBB150_295
.LBB150_291:
	s_mov_b32 s23, -1
                                        ; implicit-def: $vgpr4
.LBB150_292:
	s_delay_alu instid0(SALU_CYCLE_1)
	s_and_not1_b32 vcc_lo, exec_lo, s23
	s_cbranch_vccnz .LBB150_294
; %bb.293:
	global_load_u16 v4, v[0:1], off
	s_wait_loadcnt 0x0
	v_cvt_f16_u16_e32 v4, v4
.LBB150_294:
	s_mov_b32 s23, 0
.LBB150_295:
	s_delay_alu instid0(SALU_CYCLE_1)
	s_and_not1_b32 vcc_lo, exec_lo, s23
	s_cbranch_vccnz .LBB150_303
; %bb.296:
	global_load_u8 v5, v[0:1], off
	s_mov_b32 s23, 0
	s_mov_b32 s24, exec_lo
	s_wait_loadcnt 0x0
	v_cmpx_lt_i16_e32 0x7f, v5
	s_xor_b32 s24, exec_lo, s24
	s_cbranch_execz .LBB150_317
; %bb.297:
	s_mov_b32 s23, -1
	s_mov_b32 s25, exec_lo
	v_cmpx_eq_u16_e32 0x80, v5
; %bb.298:
	s_xor_b32 s23, exec_lo, -1
; %bb.299:
	s_or_b32 exec_lo, exec_lo, s25
	s_delay_alu instid0(SALU_CYCLE_1)
	s_and_b32 s23, s23, exec_lo
	s_or_saveexec_b32 s24, s24
	v_mov_b32_e32 v4, 0x7e00
	s_xor_b32 exec_lo, exec_lo, s24
	s_cbranch_execnz .LBB150_318
.LBB150_300:
	s_or_b32 exec_lo, exec_lo, s24
	s_and_saveexec_b32 s24, s23
	s_cbranch_execz .LBB150_302
.LBB150_301:
	v_and_b32_e32 v4, 0xffff, v5
	s_delay_alu instid0(VALU_DEP_1) | instskip(SKIP_1) | instid1(VALU_DEP_2)
	v_dual_lshlrev_b32 v5, 24, v5 :: v_dual_bitop2_b32 v7, 7, v4 bitop3:0x40
	v_bfe_u32 v10, v4, 3, 4
	v_and_b32_e32 v5, 0x80000000, v5
	s_delay_alu instid0(VALU_DEP_3) | instskip(NEXT) | instid1(VALU_DEP_3)
	v_clz_i32_u32_e32 v8, v7
	v_cmp_eq_u32_e32 vcc_lo, 0, v10
	s_delay_alu instid0(VALU_DEP_2) | instskip(NEXT) | instid1(VALU_DEP_1)
	v_min_u32_e32 v8, 32, v8
	v_subrev_nc_u32_e32 v9, 28, v8
	v_sub_nc_u32_e32 v8, 29, v8
	s_delay_alu instid0(VALU_DEP_2) | instskip(NEXT) | instid1(VALU_DEP_2)
	v_lshlrev_b32_e32 v4, v9, v4
	v_cndmask_b32_e32 v8, v10, v8, vcc_lo
	s_delay_alu instid0(VALU_DEP_2) | instskip(NEXT) | instid1(VALU_DEP_1)
	v_and_b32_e32 v4, 7, v4
	v_cndmask_b32_e32 v4, v7, v4, vcc_lo
	s_delay_alu instid0(VALU_DEP_3) | instskip(NEXT) | instid1(VALU_DEP_2)
	v_lshl_add_u32 v7, v8, 23, 0x3b800000
	v_lshlrev_b32_e32 v4, 20, v4
	s_delay_alu instid0(VALU_DEP_1) | instskip(NEXT) | instid1(VALU_DEP_1)
	v_or3_b32 v4, v5, v7, v4
	v_cvt_f16_f32_e32 v4, v4
.LBB150_302:
	s_or_b32 exec_lo, exec_lo, s24
.LBB150_303:
	v_mov_b32_e32 v5, 0
	s_mov_b32 s23, -1
.LBB150_304:
	s_mov_b32 s24, 0
.LBB150_305:
	s_delay_alu instid0(SALU_CYCLE_1)
	s_and_b32 vcc_lo, exec_lo, s24
	s_cbranch_vccz .LBB150_341
; %bb.306:
	s_cmp_gt_i32 s18, 22
	s_cbranch_scc0 .LBB150_316
; %bb.307:
	s_cmp_lt_i32 s18, 24
	s_cbranch_scc1 .LBB150_319
; %bb.308:
	s_cmp_gt_i32 s18, 24
	s_cbranch_scc0 .LBB150_320
; %bb.309:
	global_load_u8 v5, v[0:1], off
	s_mov_b32 s23, 0
	s_mov_b32 s24, exec_lo
	s_wait_loadcnt 0x0
	v_cmpx_lt_i16_e32 0x7f, v5
	s_xor_b32 s24, exec_lo, s24
	s_cbranch_execz .LBB150_332
; %bb.310:
	s_mov_b32 s23, -1
	s_mov_b32 s25, exec_lo
	v_cmpx_eq_u16_e32 0x80, v5
; %bb.311:
	s_xor_b32 s23, exec_lo, -1
; %bb.312:
	s_or_b32 exec_lo, exec_lo, s25
	s_delay_alu instid0(SALU_CYCLE_1)
	s_and_b32 s23, s23, exec_lo
	s_or_saveexec_b32 s24, s24
	v_mov_b32_e32 v4, 0x7e00
	s_xor_b32 exec_lo, exec_lo, s24
	s_cbranch_execnz .LBB150_333
.LBB150_313:
	s_or_b32 exec_lo, exec_lo, s24
	s_and_saveexec_b32 s24, s23
	s_cbranch_execz .LBB150_315
.LBB150_314:
	v_and_b32_e32 v4, 0xffff, v5
	s_delay_alu instid0(VALU_DEP_1) | instskip(SKIP_1) | instid1(VALU_DEP_2)
	v_dual_lshlrev_b32 v5, 24, v5 :: v_dual_bitop2_b32 v7, 3, v4 bitop3:0x40
	v_bfe_u32 v10, v4, 2, 5
	v_and_b32_e32 v5, 0x80000000, v5
	s_delay_alu instid0(VALU_DEP_3) | instskip(NEXT) | instid1(VALU_DEP_3)
	v_clz_i32_u32_e32 v8, v7
	v_cmp_eq_u32_e32 vcc_lo, 0, v10
	s_delay_alu instid0(VALU_DEP_2) | instskip(NEXT) | instid1(VALU_DEP_1)
	v_min_u32_e32 v8, 32, v8
	v_subrev_nc_u32_e32 v9, 29, v8
	v_sub_nc_u32_e32 v8, 30, v8
	s_delay_alu instid0(VALU_DEP_2) | instskip(NEXT) | instid1(VALU_DEP_2)
	v_lshlrev_b32_e32 v4, v9, v4
	v_cndmask_b32_e32 v8, v10, v8, vcc_lo
	s_delay_alu instid0(VALU_DEP_2) | instskip(NEXT) | instid1(VALU_DEP_1)
	v_and_b32_e32 v4, 3, v4
	v_cndmask_b32_e32 v4, v7, v4, vcc_lo
	s_delay_alu instid0(VALU_DEP_3) | instskip(NEXT) | instid1(VALU_DEP_2)
	v_lshl_add_u32 v7, v8, 23, 0x37800000
	v_lshlrev_b32_e32 v4, 21, v4
	s_delay_alu instid0(VALU_DEP_1) | instskip(NEXT) | instid1(VALU_DEP_1)
	v_or3_b32 v4, v5, v7, v4
	v_cvt_f16_f32_e32 v4, v4
.LBB150_315:
	s_or_b32 exec_lo, exec_lo, s24
	s_mov_b32 s23, 0
	s_branch .LBB150_321
.LBB150_316:
	s_mov_b32 s24, -1
                                        ; implicit-def: $vgpr4
	s_branch .LBB150_327
.LBB150_317:
	s_or_saveexec_b32 s24, s24
	v_mov_b32_e32 v4, 0x7e00
	s_xor_b32 exec_lo, exec_lo, s24
	s_cbranch_execz .LBB150_300
.LBB150_318:
	v_cmp_ne_u16_e32 vcc_lo, 0, v5
	v_mov_b32_e32 v4, v5
	s_and_not1_b32 s23, s23, exec_lo
	s_and_b32 s25, vcc_lo, exec_lo
	s_delay_alu instid0(SALU_CYCLE_1)
	s_or_b32 s23, s23, s25
	s_or_b32 exec_lo, exec_lo, s24
	s_and_saveexec_b32 s24, s23
	s_cbranch_execnz .LBB150_301
	s_branch .LBB150_302
.LBB150_319:
	s_mov_b32 s23, -1
                                        ; implicit-def: $vgpr4
	s_branch .LBB150_324
.LBB150_320:
	s_mov_b32 s23, -1
                                        ; implicit-def: $vgpr4
.LBB150_321:
	s_delay_alu instid0(SALU_CYCLE_1)
	s_and_b32 vcc_lo, exec_lo, s23
	s_cbranch_vccz .LBB150_323
; %bb.322:
	global_load_u8 v4, v[0:1], off
	s_wait_loadcnt 0x0
	v_lshlrev_b32_e32 v4, 24, v4
	s_delay_alu instid0(VALU_DEP_1) | instskip(NEXT) | instid1(VALU_DEP_1)
	v_and_b32_e32 v5, 0x7f000000, v4
	v_clz_i32_u32_e32 v7, v5
	v_add_nc_u32_e32 v9, 0x1000000, v5
	v_cmp_ne_u32_e32 vcc_lo, 0, v5
	s_delay_alu instid0(VALU_DEP_3) | instskip(NEXT) | instid1(VALU_DEP_1)
	v_min_u32_e32 v7, 32, v7
	v_sub_nc_u32_e64 v7, v7, 4 clamp
	s_delay_alu instid0(VALU_DEP_1) | instskip(NEXT) | instid1(VALU_DEP_1)
	v_dual_lshlrev_b32 v8, v7, v5 :: v_dual_lshlrev_b32 v7, 23, v7
	v_lshrrev_b32_e32 v8, 4, v8
	s_delay_alu instid0(VALU_DEP_1) | instskip(NEXT) | instid1(VALU_DEP_1)
	v_dual_sub_nc_u32 v7, v8, v7 :: v_dual_ashrrev_i32 v8, 8, v9
	v_add_nc_u32_e32 v7, 0x3c000000, v7
	s_delay_alu instid0(VALU_DEP_1) | instskip(NEXT) | instid1(VALU_DEP_1)
	v_and_or_b32 v7, 0x7f800000, v8, v7
	v_cndmask_b32_e32 v5, 0, v7, vcc_lo
	s_delay_alu instid0(VALU_DEP_1) | instskip(NEXT) | instid1(VALU_DEP_1)
	v_and_or_b32 v4, 0x80000000, v4, v5
	v_cvt_f16_f32_e32 v4, v4
.LBB150_323:
	s_mov_b32 s23, 0
.LBB150_324:
	s_delay_alu instid0(SALU_CYCLE_1)
	s_and_not1_b32 vcc_lo, exec_lo, s23
	s_cbranch_vccnz .LBB150_326
; %bb.325:
	global_load_u8 v4, v[0:1], off
	s_wait_loadcnt 0x0
	v_lshlrev_b32_e32 v5, 25, v4
	v_lshlrev_b16 v4, 8, v4
	s_delay_alu instid0(VALU_DEP_2) | instskip(NEXT) | instid1(VALU_DEP_2)
	v_cmp_gt_u32_e32 vcc_lo, 0x8000000, v5
	v_and_or_b32 v8, 0x7f00, v4, 0.5
	v_lshrrev_b32_e32 v7, 4, v5
	v_bfe_i32 v4, v4, 0, 16
	s_delay_alu instid0(VALU_DEP_3) | instskip(NEXT) | instid1(VALU_DEP_3)
	v_add_f32_e32 v8, -0.5, v8
	v_or_b32_e32 v7, 0x70000000, v7
	s_delay_alu instid0(VALU_DEP_1) | instskip(NEXT) | instid1(VALU_DEP_1)
	v_mul_f32_e32 v7, 0x7800000, v7
	v_cndmask_b32_e32 v5, v7, v8, vcc_lo
	s_delay_alu instid0(VALU_DEP_1) | instskip(NEXT) | instid1(VALU_DEP_1)
	v_and_or_b32 v4, 0x80000000, v4, v5
	v_cvt_f16_f32_e32 v4, v4
.LBB150_326:
	s_mov_b32 s24, 0
	s_mov_b32 s23, -1
.LBB150_327:
	s_and_not1_b32 vcc_lo, exec_lo, s24
	s_cbranch_vccnz .LBB150_340
; %bb.328:
	s_cmp_gt_i32 s18, 14
	s_cbranch_scc0 .LBB150_331
; %bb.329:
	s_cmp_eq_u32 s18, 15
	s_cbranch_scc0 .LBB150_334
; %bb.330:
	global_load_u16 v4, v[0:1], off
	s_mov_b32 s23, -1
	s_mov_b32 s19, 0
	s_wait_loadcnt 0x0
	v_lshlrev_b32_e32 v4, 16, v4
	s_delay_alu instid0(VALU_DEP_1)
	v_cvt_f16_f32_e32 v4, v4
	s_branch .LBB150_335
.LBB150_331:
	s_mov_b32 s24, -1
                                        ; implicit-def: $vgpr4
	s_branch .LBB150_336
.LBB150_332:
	s_or_saveexec_b32 s24, s24
	v_mov_b32_e32 v4, 0x7e00
	s_xor_b32 exec_lo, exec_lo, s24
	s_cbranch_execz .LBB150_313
.LBB150_333:
	v_cmp_ne_u16_e32 vcc_lo, 0, v5
	v_mov_b32_e32 v4, v5
	s_and_not1_b32 s23, s23, exec_lo
	s_and_b32 s25, vcc_lo, exec_lo
	s_delay_alu instid0(SALU_CYCLE_1)
	s_or_b32 s23, s23, s25
	s_or_b32 exec_lo, exec_lo, s24
	s_and_saveexec_b32 s24, s23
	s_cbranch_execnz .LBB150_314
	s_branch .LBB150_315
.LBB150_334:
	s_mov_b32 s19, -1
                                        ; implicit-def: $vgpr4
.LBB150_335:
	s_mov_b32 s24, 0
.LBB150_336:
	s_delay_alu instid0(SALU_CYCLE_1)
	s_and_b32 vcc_lo, exec_lo, s24
	s_cbranch_vccz .LBB150_340
; %bb.337:
	s_cmp_eq_u32 s18, 11
	s_cbranch_scc0 .LBB150_339
; %bb.338:
	global_load_u8 v4, v[0:1], off
	s_mov_b32 s19, 0
	s_mov_b32 s23, -1
	v_mov_b32_e32 v5, 0
	s_wait_loadcnt 0x0
	v_cmp_ne_u16_e32 vcc_lo, 0, v4
	v_cndmask_b32_e64 v4, 0, 0x3c00, vcc_lo
	s_branch .LBB150_341
.LBB150_339:
	s_mov_b32 s19, -1
                                        ; implicit-def: $vgpr4
.LBB150_340:
	v_mov_b32_e32 v5, 0
.LBB150_341:
	s_branch .LBB150_20
.LBB150_342:
	s_and_b32 s0, 0xffff, s0
	s_delay_alu instid0(SALU_CYCLE_1)
	s_cmp_lt_i32 s0, 5
	s_cbranch_scc1 .LBB150_347
; %bb.343:
	s_cmp_lt_i32 s0, 8
	s_cbranch_scc1 .LBB150_348
; %bb.344:
	;; [unrolled: 3-line block ×3, first 2 shown]
	s_cmp_gt_i32 s0, 9
	s_cbranch_scc0 .LBB150_350
; %bb.346:
	global_load_b128 v[8:11], v[0:1], off
	s_mov_b32 s18, 0
	s_wait_loadcnt 0x0
	v_and_or_b32 v4, 0x1ff, v9, v8
	v_and_or_b32 v8, 0x1ff, v11, v10
	v_dual_lshrrev_b32 v5, 8, v9 :: v_dual_lshrrev_b32 v10, 8, v11
	v_bfe_u32 v7, v9, 20, 11
	s_delay_alu instid0(VALU_DEP_4) | instskip(SKIP_2) | instid1(VALU_DEP_4)
	v_cmp_ne_u32_e32 vcc_lo, 0, v4
	v_bfe_u32 v12, v11, 20, 11
	v_dual_lshrrev_b32 v9, 16, v9 :: v_dual_lshrrev_b32 v11, 16, v11
	v_sub_nc_u32_e32 v13, 0x3f1, v7
	v_cndmask_b32_e64 v4, 0, 1, vcc_lo
	v_cmp_ne_u32_e32 vcc_lo, 0, v8
	v_add_nc_u32_e32 v7, 0xfffffc10, v7
	s_delay_alu instid0(VALU_DEP_3) | instskip(SKIP_1) | instid1(VALU_DEP_1)
	v_and_or_b32 v4, 0xffe, v5, v4
	v_cndmask_b32_e64 v8, 0, 1, vcc_lo
	v_and_or_b32 v8, 0xffe, v10, v8
	v_med3_i32 v10, v13, 0, 13
	s_delay_alu instid0(VALU_DEP_4) | instskip(NEXT) | instid1(VALU_DEP_3)
	v_or_b32_e32 v13, 0x1000, v4
	v_or_b32_e32 v14, 0x1000, v8
	s_delay_alu instid0(VALU_DEP_2) | instskip(NEXT) | instid1(VALU_DEP_1)
	v_lshrrev_b32_e32 v15, v10, v13
	v_lshlrev_b32_e32 v10, v10, v15
	s_delay_alu instid0(VALU_DEP_1) | instskip(SKIP_2) | instid1(VALU_DEP_1)
	v_cmp_ne_u32_e32 vcc_lo, v10, v13
	v_lshl_or_b32 v13, v7, 12, v4
	v_cndmask_b32_e64 v10, 0, 1, vcc_lo
	v_or_b32_e32 v10, v15, v10
	v_sub_nc_u32_e32 v5, 0x3f1, v12
	s_delay_alu instid0(VALU_DEP_1) | instskip(NEXT) | instid1(VALU_DEP_1)
	v_med3_i32 v5, v5, 0, 13
	v_lshrrev_b32_e32 v16, v5, v14
	s_delay_alu instid0(VALU_DEP_1) | instskip(NEXT) | instid1(VALU_DEP_1)
	v_lshlrev_b32_e32 v5, v5, v16
	v_cmp_ne_u32_e32 vcc_lo, v5, v14
	v_cndmask_b32_e64 v5, 0, 1, vcc_lo
	v_cmp_gt_i32_e32 vcc_lo, 1, v7
	s_delay_alu instid0(VALU_DEP_2) | instskip(NEXT) | instid1(VALU_DEP_1)
	v_dual_cndmask_b32 v10, v13, v10, vcc_lo :: v_dual_bitop2_b32 v5, v16, v5 bitop3:0x54
	v_dual_lshrrev_b32 v10, 2, v10 :: v_dual_bitop2_b32 v13, 7, v10 bitop3:0x40
	v_add_nc_u32_e32 v12, 0xfffffc10, v12
	s_delay_alu instid0(VALU_DEP_1) | instskip(SKIP_1) | instid1(VALU_DEP_2)
	v_lshl_or_b32 v14, v12, 12, v8
	v_cmp_gt_i32_e32 vcc_lo, 1, v12
	v_cndmask_b32_e32 v5, v14, v5, vcc_lo
	v_cmp_lt_i32_e32 vcc_lo, 5, v13
	s_delay_alu instid0(VALU_DEP_2)
	v_and_b32_e32 v14, 7, v5
	v_cndmask_b32_e64 v15, 0, 1, vcc_lo
	v_cmp_eq_u32_e32 vcc_lo, 3, v13
	v_lshrrev_b32_e32 v5, 2, v5
	v_cndmask_b32_e64 v13, 0, 1, vcc_lo
	v_cmp_lt_i32_e32 vcc_lo, 5, v14
	s_delay_alu instid0(VALU_DEP_2) | instskip(SKIP_2) | instid1(VALU_DEP_3)
	v_or_b32_e32 v13, v13, v15
	v_cndmask_b32_e64 v16, 0, 1, vcc_lo
	v_cmp_eq_u32_e32 vcc_lo, 3, v14
	v_dual_mov_b32 v17, 0x7e00 :: v_dual_add_nc_u32 v10, v10, v13
	v_cndmask_b32_e64 v14, 0, 1, vcc_lo
	v_cmp_ne_u32_e32 vcc_lo, 0, v4
	s_delay_alu instid0(VALU_DEP_2) | instskip(NEXT) | instid1(VALU_DEP_4)
	v_or_b32_e32 v14, v14, v16
	v_cndmask_b32_e32 v4, 0x7c00, v17, vcc_lo
	v_cmp_ne_u32_e32 vcc_lo, 0, v8
	s_delay_alu instid0(VALU_DEP_3) | instskip(SKIP_3) | instid1(VALU_DEP_4)
	v_dual_cndmask_b32 v8, 0x7c00, v17 :: v_dual_add_nc_u32 v5, v5, v14
	v_cmp_gt_i32_e32 vcc_lo, 31, v7
	v_cndmask_b32_e32 v10, 0x7c00, v10, vcc_lo
	v_cmp_gt_i32_e32 vcc_lo, 31, v12
	v_cndmask_b32_e32 v5, 0x7c00, v5, vcc_lo
	v_cmp_eq_u32_e32 vcc_lo, 0x40f, v7
	s_delay_alu instid0(VALU_DEP_4) | instskip(SKIP_1) | instid1(VALU_DEP_2)
	v_cndmask_b32_e32 v4, v10, v4, vcc_lo
	v_cmp_eq_u32_e32 vcc_lo, 0x40f, v12
	v_and_or_b32 v4, 0x8000, v9, v4
	v_cndmask_b32_e32 v5, v5, v8, vcc_lo
	s_delay_alu instid0(VALU_DEP_1)
	v_and_or_b32 v5, 0x8000, v11, v5
	s_branch .LBB150_351
.LBB150_347:
	s_mov_b32 s18, -1
                                        ; implicit-def: $vgpr5
                                        ; implicit-def: $vgpr4
	s_branch .LBB150_370
.LBB150_348:
	s_mov_b32 s18, -1
                                        ; implicit-def: $vgpr5
                                        ; implicit-def: $vgpr4
	s_branch .LBB150_357
.LBB150_349:
	s_mov_b32 s18, -1
                                        ; implicit-def: $vgpr5
                                        ; implicit-def: $vgpr4
	s_branch .LBB150_354
.LBB150_350:
	s_mov_b32 s18, -1
                                        ; implicit-def: $vgpr5
                                        ; implicit-def: $vgpr4
.LBB150_351:
	s_delay_alu instid0(SALU_CYCLE_1)
	s_and_not1_b32 vcc_lo, exec_lo, s18
	s_cbranch_vccnz .LBB150_353
; %bb.352:
	global_load_b64 v[4:5], v[0:1], off
	s_wait_loadcnt 0x0
	v_cvt_f16_f32_e32 v4, v4
	v_cvt_f16_f32_e32 v5, v5
.LBB150_353:
	s_mov_b32 s18, 0
.LBB150_354:
	s_delay_alu instid0(SALU_CYCLE_1)
	s_and_not1_b32 vcc_lo, exec_lo, s18
	s_cbranch_vccnz .LBB150_356
; %bb.355:
	global_load_b32 v4, v[0:1], off
	s_wait_loadcnt 0x0
	v_lshrrev_b32_e32 v5, 16, v4
.LBB150_356:
	s_mov_b32 s18, 0
.LBB150_357:
	s_delay_alu instid0(SALU_CYCLE_1)
	s_and_not1_b32 vcc_lo, exec_lo, s18
	s_cbranch_vccnz .LBB150_369
; %bb.358:
	s_cmp_lt_i32 s0, 6
	s_cbranch_scc1 .LBB150_361
; %bb.359:
	s_cmp_gt_i32 s0, 6
	s_cbranch_scc0 .LBB150_362
; %bb.360:
	global_load_b64 v[4:5], v[0:1], off
	s_mov_b32 s18, 0
	s_wait_loadcnt 0x0
	v_and_or_b32 v4, 0x1ff, v5, v4
	v_lshrrev_b32_e32 v7, 8, v5
	v_bfe_u32 v8, v5, 20, 11
	v_lshrrev_b32_e32 v5, 16, v5
	s_delay_alu instid0(VALU_DEP_4) | instskip(NEXT) | instid1(VALU_DEP_3)
	v_cmp_ne_u32_e32 vcc_lo, 0, v4
	v_sub_nc_u32_e32 v9, 0x3f1, v8
	v_add_nc_u32_e32 v8, 0xfffffc10, v8
	v_cndmask_b32_e64 v4, 0, 1, vcc_lo
	s_delay_alu instid0(VALU_DEP_1) | instskip(NEXT) | instid1(VALU_DEP_4)
	v_and_or_b32 v4, 0xffe, v7, v4
	v_med3_i32 v7, v9, 0, 13
	s_delay_alu instid0(VALU_DEP_2) | instskip(NEXT) | instid1(VALU_DEP_1)
	v_or_b32_e32 v9, 0x1000, v4
	v_lshrrev_b32_e32 v10, v7, v9
	s_delay_alu instid0(VALU_DEP_1) | instskip(NEXT) | instid1(VALU_DEP_1)
	v_lshlrev_b32_e32 v7, v7, v10
	v_cmp_ne_u32_e32 vcc_lo, v7, v9
	v_lshl_or_b32 v9, v8, 12, v4
	v_cndmask_b32_e64 v7, 0, 1, vcc_lo
	v_cmp_gt_i32_e32 vcc_lo, 1, v8
	s_delay_alu instid0(VALU_DEP_2) | instskip(NEXT) | instid1(VALU_DEP_1)
	v_or_b32_e32 v7, v10, v7
	v_cndmask_b32_e32 v7, v9, v7, vcc_lo
	s_delay_alu instid0(VALU_DEP_1) | instskip(NEXT) | instid1(VALU_DEP_1)
	v_dual_lshrrev_b32 v7, 2, v7 :: v_dual_bitop2_b32 v9, 7, v7 bitop3:0x40
	v_cmp_lt_i32_e32 vcc_lo, 5, v9
	v_cndmask_b32_e64 v10, 0, 1, vcc_lo
	v_cmp_eq_u32_e32 vcc_lo, 3, v9
	v_cndmask_b32_e64 v9, 0, 1, vcc_lo
	v_cmp_ne_u32_e32 vcc_lo, 0, v4
	s_delay_alu instid0(VALU_DEP_2) | instskip(NEXT) | instid1(VALU_DEP_1)
	v_or_b32_e32 v9, v9, v10
	v_dual_mov_b32 v10, 0x7e00 :: v_dual_add_nc_u32 v7, v7, v9
	s_delay_alu instid0(VALU_DEP_1) | instskip(SKIP_1) | instid1(VALU_DEP_3)
	v_cndmask_b32_e32 v4, 0x7c00, v10, vcc_lo
	v_cmp_gt_i32_e32 vcc_lo, 31, v8
	v_cndmask_b32_e32 v7, 0x7c00, v7, vcc_lo
	v_cmp_eq_u32_e32 vcc_lo, 0x40f, v8
	s_delay_alu instid0(VALU_DEP_2) | instskip(NEXT) | instid1(VALU_DEP_1)
	v_cndmask_b32_e32 v4, v7, v4, vcc_lo
	v_and_or_b32 v4, 0x8000, v5, v4
	s_branch .LBB150_363
.LBB150_361:
	s_mov_b32 s18, -1
                                        ; implicit-def: $vgpr4
	s_branch .LBB150_366
.LBB150_362:
	s_mov_b32 s18, -1
                                        ; implicit-def: $vgpr4
.LBB150_363:
	s_delay_alu instid0(SALU_CYCLE_1)
	s_and_not1_b32 vcc_lo, exec_lo, s18
	s_cbranch_vccnz .LBB150_365
; %bb.364:
	global_load_b32 v4, v[0:1], off
	s_wait_loadcnt 0x0
	v_cvt_f16_f32_e32 v4, v4
.LBB150_365:
	s_mov_b32 s18, 0
.LBB150_366:
	s_delay_alu instid0(SALU_CYCLE_1)
	s_and_not1_b32 vcc_lo, exec_lo, s18
	s_cbranch_vccnz .LBB150_368
; %bb.367:
	global_load_u16 v4, v[0:1], off
.LBB150_368:
	v_mov_b32_e32 v5, 0
.LBB150_369:
	s_mov_b32 s18, 0
.LBB150_370:
	s_delay_alu instid0(SALU_CYCLE_1)
	s_and_not1_b32 vcc_lo, exec_lo, s18
	s_cbranch_vccnz .LBB150_391
; %bb.371:
	s_cmp_lt_i32 s0, 2
	s_cbranch_scc1 .LBB150_375
; %bb.372:
	s_cmp_lt_i32 s0, 3
	s_cbranch_scc1 .LBB150_376
; %bb.373:
	s_cmp_gt_i32 s0, 3
	s_cbranch_scc0 .LBB150_377
; %bb.374:
	s_wait_loadcnt 0x0
	global_load_b64 v[4:5], v[0:1], off
	s_mov_b32 s18, 0
	s_wait_loadcnt 0x0
	v_xor_b32_e32 v7, v4, v5
	v_cls_i32_e32 v8, v5
	s_delay_alu instid0(VALU_DEP_2) | instskip(NEXT) | instid1(VALU_DEP_1)
	v_ashrrev_i32_e32 v7, 31, v7
	v_add_nc_u32_e32 v7, 32, v7
	s_delay_alu instid0(VALU_DEP_1) | instskip(NEXT) | instid1(VALU_DEP_1)
	v_add_min_u32_e64 v7, v8, -1, v7
	v_lshlrev_b64_e32 v[4:5], v7, v[4:5]
	s_delay_alu instid0(VALU_DEP_1) | instskip(NEXT) | instid1(VALU_DEP_1)
	v_min_u32_e32 v4, 1, v4
	v_dual_sub_nc_u32 v5, 32, v7 :: v_dual_bitop2_b32 v4, v5, v4 bitop3:0x54
	s_delay_alu instid0(VALU_DEP_1) | instskip(NEXT) | instid1(VALU_DEP_1)
	v_cvt_f32_i32_e32 v4, v4
	v_ldexp_f32 v4, v4, v5
	s_delay_alu instid0(VALU_DEP_1)
	v_cvt_f16_f32_e32 v4, v4
	s_branch .LBB150_378
.LBB150_375:
	s_mov_b32 s18, -1
                                        ; implicit-def: $vgpr4
	s_branch .LBB150_384
.LBB150_376:
	s_mov_b32 s18, -1
                                        ; implicit-def: $vgpr4
	s_branch .LBB150_381
.LBB150_377:
	s_mov_b32 s18, -1
                                        ; implicit-def: $vgpr4
.LBB150_378:
	s_delay_alu instid0(SALU_CYCLE_1)
	s_and_not1_b32 vcc_lo, exec_lo, s18
	s_cbranch_vccnz .LBB150_380
; %bb.379:
	s_wait_loadcnt 0x0
	global_load_b32 v4, v[0:1], off
	s_wait_loadcnt 0x0
	v_cvt_f32_i32_e32 v4, v4
	s_delay_alu instid0(VALU_DEP_1)
	v_cvt_f16_f32_e32 v4, v4
.LBB150_380:
	s_mov_b32 s18, 0
.LBB150_381:
	s_delay_alu instid0(SALU_CYCLE_1)
	s_and_not1_b32 vcc_lo, exec_lo, s18
	s_cbranch_vccnz .LBB150_383
; %bb.382:
	s_wait_loadcnt 0x0
	global_load_u16 v4, v[0:1], off
	s_wait_loadcnt 0x0
	v_cvt_f16_i16_e32 v4, v4
.LBB150_383:
	s_mov_b32 s18, 0
.LBB150_384:
	s_delay_alu instid0(SALU_CYCLE_1)
	s_and_not1_b32 vcc_lo, exec_lo, s18
	s_cbranch_vccnz .LBB150_390
; %bb.385:
	s_cmp_gt_i32 s0, 0
	s_mov_b32 s0, 0
	s_cbranch_scc0 .LBB150_387
; %bb.386:
	s_wait_loadcnt 0x0
	global_load_i8 v4, v[0:1], off
	s_wait_loadcnt 0x0
	v_cvt_f16_i16_e32 v4, v4
	s_branch .LBB150_388
.LBB150_387:
	s_mov_b32 s0, -1
                                        ; implicit-def: $vgpr4
.LBB150_388:
	s_delay_alu instid0(SALU_CYCLE_1)
	s_and_not1_b32 vcc_lo, exec_lo, s0
	s_cbranch_vccnz .LBB150_390
; %bb.389:
	global_load_u8 v0, v[0:1], off
	s_wait_loadcnt 0x0
	v_cvt_f16_u16_e32 v4, v0
.LBB150_390:
	v_mov_b32_e32 v5, 0
.LBB150_391:
	s_branch .LBB150_21
.LBB150_392:
	s_mov_b32 s0, 0
.LBB150_393:
	s_mov_b32 s23, 0
                                        ; implicit-def: $vgpr6
.LBB150_394:
	s_and_b32 s18, s0, exec_lo
	s_and_b32 s19, s19, exec_lo
	;; [unrolled: 1-line block ×3, first 2 shown]
	s_or_not1_b32 s25, s23, exec_lo
.LBB150_395:
	s_wait_xcnt 0x0
	s_or_b32 exec_lo, exec_lo, s21
	s_mov_b32 s24, 0
	s_mov_b32 s23, 0
                                        ; implicit-def: $sgpr0
                                        ; implicit-def: $vgpr0_vgpr1
                                        ; implicit-def: $vgpr3
                                        ; implicit-def: $vgpr2
	s_and_saveexec_b32 s21, s25
	s_cbranch_execz .LBB150_404
; %bb.396:
	s_mov_b32 s27, -1
	s_mov_b32 s22, s20
	s_mov_b32 s24, s19
	;; [unrolled: 1-line block ×3, first 2 shown]
	s_mov_b32 s25, exec_lo
	v_cmpx_gt_i32_e64 s17, v6
	s_cbranch_execz .LBB150_803
; %bb.397:
	v_mul_lo_u32 v0, v6, s9
	s_and_b32 s0, s14, 0xff
	s_delay_alu instid0(SALU_CYCLE_1) | instskip(NEXT) | instid1(VALU_DEP_1)
	s_cmp_lt_i32 s0, 11
	v_ashrrev_i32_e32 v1, 31, v0
	s_delay_alu instid0(VALU_DEP_1)
	v_add_nc_u64_e32 v[0:1], s[6:7], v[0:1]
	s_cbranch_scc1 .LBB150_407
; %bb.398:
	s_and_b32 s23, 0xffff, s0
	s_delay_alu instid0(SALU_CYCLE_1)
	s_cmp_gt_i32 s23, 25
	s_cbranch_scc0 .LBB150_416
; %bb.399:
	s_cmp_gt_i32 s23, 28
	s_cbranch_scc0 .LBB150_418
; %bb.400:
	;; [unrolled: 3-line block ×4, first 2 shown]
	s_cmp_eq_u32 s23, 46
	s_mov_b32 s26, 0
	s_cbranch_scc0 .LBB150_426
; %bb.403:
	s_wait_loadcnt 0x0
	global_load_b32 v2, v[0:1], off
	s_mov_b32 s24, -1
	s_mov_b32 s22, 0
	s_wait_loadcnt 0x0
	v_lshlrev_b32_e32 v3, 16, v2
	v_and_b32_e32 v4, 0xffff0000, v2
	s_delay_alu instid0(VALU_DEP_2) | instskip(NEXT) | instid1(VALU_DEP_2)
	v_cvt_f16_f32_e32 v2, v3
	v_cvt_f16_f32_e32 v3, v4
	s_branch .LBB150_428
.LBB150_404:
	s_or_b32 exec_lo, exec_lo, s21
	s_mov_b32 s17, 0
	s_and_saveexec_b32 s21, s20
	s_cbranch_execnz .LBB150_1297
.LBB150_405:
	s_or_b32 exec_lo, exec_lo, s21
	s_and_saveexec_b32 s20, s22
	s_delay_alu instid0(SALU_CYCLE_1)
	s_xor_b32 s20, exec_lo, s20
	s_cbranch_execz .LBB150_1298
.LBB150_406:
	s_wait_loadcnt 0x0
	global_load_u8 v2, v[0:1], off
	v_mov_b32_e32 v3, 0
	s_or_b32 s23, s23, exec_lo
	s_wait_loadcnt 0x0
	v_cmp_ne_u16_e32 vcc_lo, 0, v2
	v_cndmask_b32_e64 v2, 0, 0x3c00, vcc_lo
	s_wait_xcnt 0x0
	s_or_b32 exec_lo, exec_lo, s20
	s_and_saveexec_b32 s20, s24
	s_cbranch_execz .LBB150_1346
	s_branch .LBB150_1299
.LBB150_407:
	s_mov_b32 s24, 0
	s_mov_b32 s22, s20
                                        ; implicit-def: $vgpr3
                                        ; implicit-def: $vgpr2
	s_cbranch_execnz .LBB150_497
.LBB150_408:
	s_and_not1_b32 vcc_lo, exec_lo, s24
	s_cbranch_vccnz .LBB150_547
.LBB150_409:
	s_wait_xcnt 0x0
	v_mul_lo_u32 v0, v6, s10
	s_and_b32 s0, s1, 0xff
	s_delay_alu instid0(SALU_CYCLE_1) | instskip(NEXT) | instid1(VALU_DEP_1)
	s_cmp_lt_i32 s0, 11
	v_ashrrev_i32_e32 v1, 31, v0
	s_delay_alu instid0(VALU_DEP_1)
	v_add_nc_u64_e32 v[0:1], s[2:3], v[0:1]
	s_cbranch_scc1 .LBB150_417
; %bb.410:
	s_and_b32 s23, 0xffff, s0
	s_delay_alu instid0(SALU_CYCLE_1)
	s_cmp_gt_i32 s23, 25
	s_cbranch_scc0 .LBB150_419
; %bb.411:
	s_cmp_gt_i32 s23, 28
	s_cbranch_scc0 .LBB150_421
; %bb.412:
	;; [unrolled: 3-line block ×4, first 2 shown]
	s_cmp_eq_u32 s23, 46
	s_mov_b32 s27, 0
	s_cbranch_scc0 .LBB150_550
; %bb.415:
	s_wait_loadcnt 0x0
	global_load_b32 v4, v[0:1], off
	s_mov_b32 s26, -1
	s_mov_b32 s24, 0
	s_wait_loadcnt 0x0
	v_lshlrev_b32_e32 v5, 16, v4
	v_and_b32_e32 v7, 0xffff0000, v4
	s_delay_alu instid0(VALU_DEP_2) | instskip(NEXT) | instid1(VALU_DEP_2)
	v_cvt_f16_f32_e32 v4, v5
	v_cvt_f16_f32_e32 v5, v7
	s_branch .LBB150_552
.LBB150_416:
	s_mov_b32 s26, -1
	s_mov_b32 s24, 0
	s_mov_b32 s22, s20
                                        ; implicit-def: $vgpr3
                                        ; implicit-def: $vgpr2
	s_branch .LBB150_460
.LBB150_417:
	s_mov_b32 s23, -1
	s_mov_b32 s26, 0
	s_mov_b32 s24, s19
                                        ; implicit-def: $vgpr5
                                        ; implicit-def: $vgpr4
	s_branch .LBB150_620
.LBB150_418:
	s_mov_b32 s26, -1
	s_mov_b32 s24, 0
	s_mov_b32 s22, s20
                                        ; implicit-def: $vgpr3
                                        ; implicit-def: $vgpr2
	s_branch .LBB150_441
.LBB150_419:
	s_mov_b32 s27, -1
	s_mov_b32 s26, 0
	s_mov_b32 s24, s19
                                        ; implicit-def: $vgpr5
                                        ; implicit-def: $vgpr4
	s_branch .LBB150_583
.LBB150_420:
	s_mov_b32 s26, -1
	s_mov_b32 s24, 0
	s_mov_b32 s22, s20
                                        ; implicit-def: $vgpr3
                                        ; implicit-def: $vgpr2
	s_branch .LBB150_435
.LBB150_421:
	s_mov_b32 s27, -1
	s_mov_b32 s26, 0
	s_mov_b32 s24, s19
                                        ; implicit-def: $vgpr5
                                        ; implicit-def: $vgpr4
	s_branch .LBB150_564
.LBB150_422:
	s_mov_b32 s26, -1
	s_mov_b32 s24, 0
	s_mov_b32 s22, s20
	s_branch .LBB150_427
.LBB150_423:
	s_mov_b32 s27, -1
	s_mov_b32 s26, 0
	s_mov_b32 s24, s19
                                        ; implicit-def: $vgpr5
                                        ; implicit-def: $vgpr4
	s_branch .LBB150_558
.LBB150_424:
	s_and_not1_saveexec_b32 s27, s27
	s_cbranch_execz .LBB150_188
.LBB150_425:
	v_add_f32_e32 v2, 0x46000000, v3
	s_and_not1_b32 s26, s26, exec_lo
	s_delay_alu instid0(VALU_DEP_1) | instskip(NEXT) | instid1(VALU_DEP_1)
	v_and_b32_e32 v2, 0xff, v2
	v_cmp_ne_u32_e32 vcc_lo, 0, v2
	s_and_b32 s28, vcc_lo, exec_lo
	s_delay_alu instid0(SALU_CYCLE_1)
	s_or_b32 s26, s26, s28
	s_or_b32 exec_lo, exec_lo, s27
	v_mov_b32_e32 v4, 0
	s_and_saveexec_b32 s27, s26
	s_cbranch_execnz .LBB150_189
	s_branch .LBB150_190
.LBB150_426:
	s_mov_b32 s22, -1
	s_mov_b32 s24, 0
.LBB150_427:
                                        ; implicit-def: $vgpr3
                                        ; implicit-def: $vgpr2
.LBB150_428:
	s_and_b32 vcc_lo, exec_lo, s26
	s_cbranch_vccz .LBB150_434
; %bb.429:
	s_cmp_eq_u32 s23, 44
	s_cbranch_scc0 .LBB150_432
; %bb.430:
	s_wait_loadcnt 0x0
	global_load_u8 v2, v[0:1], off
	s_mov_b32 s22, 0
	s_mov_b32 s24, -1
	s_wait_loadcnt 0x0
	v_lshlrev_b32_e32 v3, 23, v2
	v_cmp_ne_u32_e32 vcc_lo, 0xff, v2
	s_delay_alu instid0(VALU_DEP_2) | instskip(NEXT) | instid1(VALU_DEP_1)
	v_cvt_f16_f32_e32 v3, v3
	v_cndmask_b32_e32 v3, 0x7e00, v3, vcc_lo
	v_cmp_ne_u32_e32 vcc_lo, 0, v2
	s_delay_alu instid0(VALU_DEP_2)
	v_cndmask_b32_e32 v2, 0, v3, vcc_lo
	s_branch .LBB150_433
.LBB150_431:
	s_mov_b32 s27, -1
	s_mov_b32 s26, 0
	s_mov_b32 s24, s19
	s_branch .LBB150_551
.LBB150_432:
	s_mov_b32 s22, -1
                                        ; implicit-def: $vgpr2
.LBB150_433:
	v_mov_b32_e32 v3, 0
.LBB150_434:
	s_mov_b32 s26, 0
.LBB150_435:
	s_delay_alu instid0(SALU_CYCLE_1)
	s_and_b32 vcc_lo, exec_lo, s26
	s_cbranch_vccz .LBB150_440
; %bb.436:
	s_cmp_eq_u32 s23, 29
	s_cbranch_scc0 .LBB150_438
; %bb.437:
	s_wait_loadcnt 0x0
	global_load_b64 v[2:3], v[0:1], off
	s_mov_b32 s24, -1
	s_mov_b32 s22, 0
	s_wait_loadcnt 0x0
	v_clz_i32_u32_e32 v4, v3
	s_delay_alu instid0(VALU_DEP_1) | instskip(NEXT) | instid1(VALU_DEP_1)
	v_min_u32_e32 v4, 32, v4
	v_lshlrev_b64_e32 v[2:3], v4, v[2:3]
	s_delay_alu instid0(VALU_DEP_1) | instskip(NEXT) | instid1(VALU_DEP_1)
	v_min_u32_e32 v2, 1, v2
	v_dual_sub_nc_u32 v3, 32, v4 :: v_dual_bitop2_b32 v2, v3, v2 bitop3:0x54
	s_delay_alu instid0(VALU_DEP_1) | instskip(NEXT) | instid1(VALU_DEP_1)
	v_cvt_f32_u32_e32 v2, v2
	v_ldexp_f32 v2, v2, v3
	s_delay_alu instid0(VALU_DEP_1)
	v_cvt_f16_f32_e32 v2, v2
	s_branch .LBB150_439
.LBB150_438:
	s_mov_b32 s22, -1
                                        ; implicit-def: $vgpr2
.LBB150_439:
	v_mov_b32_e32 v3, 0
.LBB150_440:
	s_mov_b32 s26, 0
.LBB150_441:
	s_delay_alu instid0(SALU_CYCLE_1)
	s_and_b32 vcc_lo, exec_lo, s26
	s_cbranch_vccz .LBB150_459
; %bb.442:
	s_cmp_lt_i32 s23, 27
	s_cbranch_scc1 .LBB150_445
; %bb.443:
	s_cmp_gt_i32 s23, 27
	s_cbranch_scc0 .LBB150_446
; %bb.444:
	s_wait_loadcnt 0x0
	global_load_b32 v2, v[0:1], off
	s_mov_b32 s24, 0
	s_wait_loadcnt 0x0
	v_cvt_f32_u32_e32 v2, v2
	s_delay_alu instid0(VALU_DEP_1)
	v_cvt_f16_f32_e32 v2, v2
	s_branch .LBB150_447
.LBB150_445:
	s_mov_b32 s24, -1
                                        ; implicit-def: $vgpr2
	s_branch .LBB150_450
.LBB150_446:
	s_mov_b32 s24, -1
                                        ; implicit-def: $vgpr2
.LBB150_447:
	s_delay_alu instid0(SALU_CYCLE_1)
	s_and_not1_b32 vcc_lo, exec_lo, s24
	s_cbranch_vccnz .LBB150_449
; %bb.448:
	s_wait_loadcnt 0x0
	global_load_u16 v2, v[0:1], off
	s_wait_loadcnt 0x0
	v_cvt_f16_u16_e32 v2, v2
.LBB150_449:
	s_mov_b32 s24, 0
.LBB150_450:
	s_delay_alu instid0(SALU_CYCLE_1)
	s_and_not1_b32 vcc_lo, exec_lo, s24
	s_cbranch_vccnz .LBB150_458
; %bb.451:
	global_load_u8 v3, v[0:1], off
	s_mov_b32 s24, 0
	s_mov_b32 s26, exec_lo
	s_wait_loadcnt 0x0
	v_cmpx_lt_i16_e32 0x7f, v3
	s_xor_b32 s26, exec_lo, s26
	s_cbranch_execz .LBB150_472
; %bb.452:
	s_mov_b32 s24, -1
	s_mov_b32 s27, exec_lo
	v_cmpx_eq_u16_e32 0x80, v3
; %bb.453:
	s_xor_b32 s24, exec_lo, -1
; %bb.454:
	s_or_b32 exec_lo, exec_lo, s27
	s_delay_alu instid0(SALU_CYCLE_1)
	s_and_b32 s24, s24, exec_lo
	s_or_saveexec_b32 s26, s26
	v_mov_b32_e32 v2, 0x7e00
	s_xor_b32 exec_lo, exec_lo, s26
	s_cbranch_execnz .LBB150_473
.LBB150_455:
	s_or_b32 exec_lo, exec_lo, s26
	s_and_saveexec_b32 s26, s24
	s_cbranch_execz .LBB150_457
.LBB150_456:
	v_and_b32_e32 v2, 0xffff, v3
	s_delay_alu instid0(VALU_DEP_1) | instskip(SKIP_1) | instid1(VALU_DEP_2)
	v_and_b32_e32 v4, 7, v2
	v_bfe_u32 v8, v2, 3, 4
	v_clz_i32_u32_e32 v5, v4
	s_delay_alu instid0(VALU_DEP_2) | instskip(NEXT) | instid1(VALU_DEP_2)
	v_cmp_eq_u32_e32 vcc_lo, 0, v8
	v_min_u32_e32 v5, 32, v5
	s_delay_alu instid0(VALU_DEP_1) | instskip(NEXT) | instid1(VALU_DEP_1)
	v_subrev_nc_u32_e32 v7, 28, v5
	v_dual_lshlrev_b32 v2, v7, v2 :: v_dual_sub_nc_u32 v5, 29, v5
	s_delay_alu instid0(VALU_DEP_1) | instskip(NEXT) | instid1(VALU_DEP_2)
	v_dual_lshlrev_b32 v3, 24, v3 :: v_dual_bitop2_b32 v2, 7, v2 bitop3:0x40
	v_cndmask_b32_e32 v5, v8, v5, vcc_lo
	s_delay_alu instid0(VALU_DEP_2) | instskip(NEXT) | instid1(VALU_DEP_3)
	v_cndmask_b32_e32 v2, v4, v2, vcc_lo
	v_and_b32_e32 v3, 0x80000000, v3
	s_delay_alu instid0(VALU_DEP_3) | instskip(NEXT) | instid1(VALU_DEP_3)
	v_lshl_add_u32 v4, v5, 23, 0x3b800000
	v_lshlrev_b32_e32 v2, 20, v2
	s_delay_alu instid0(VALU_DEP_1) | instskip(NEXT) | instid1(VALU_DEP_1)
	v_or3_b32 v2, v3, v4, v2
	v_cvt_f16_f32_e32 v2, v2
.LBB150_457:
	s_or_b32 exec_lo, exec_lo, s26
.LBB150_458:
	v_mov_b32_e32 v3, 0
	s_mov_b32 s24, -1
.LBB150_459:
	s_mov_b32 s26, 0
.LBB150_460:
	s_delay_alu instid0(SALU_CYCLE_1)
	s_and_b32 vcc_lo, exec_lo, s26
	s_cbranch_vccz .LBB150_496
; %bb.461:
	s_cmp_gt_i32 s23, 22
	s_cbranch_scc0 .LBB150_471
; %bb.462:
	s_cmp_lt_i32 s23, 24
	s_cbranch_scc1 .LBB150_474
; %bb.463:
	s_cmp_gt_i32 s23, 24
	s_cbranch_scc0 .LBB150_475
; %bb.464:
	global_load_u8 v3, v[0:1], off
	s_mov_b32 s24, 0
	s_mov_b32 s26, exec_lo
	s_wait_loadcnt 0x0
	v_cmpx_lt_i16_e32 0x7f, v3
	s_xor_b32 s26, exec_lo, s26
	s_cbranch_execz .LBB150_487
; %bb.465:
	s_mov_b32 s24, -1
	s_mov_b32 s27, exec_lo
	v_cmpx_eq_u16_e32 0x80, v3
; %bb.466:
	s_xor_b32 s24, exec_lo, -1
; %bb.467:
	s_or_b32 exec_lo, exec_lo, s27
	s_delay_alu instid0(SALU_CYCLE_1)
	s_and_b32 s24, s24, exec_lo
	s_or_saveexec_b32 s26, s26
	v_mov_b32_e32 v2, 0x7e00
	s_xor_b32 exec_lo, exec_lo, s26
	s_cbranch_execnz .LBB150_488
.LBB150_468:
	s_or_b32 exec_lo, exec_lo, s26
	s_and_saveexec_b32 s26, s24
	s_cbranch_execz .LBB150_470
.LBB150_469:
	v_and_b32_e32 v2, 0xffff, v3
	s_delay_alu instid0(VALU_DEP_1) | instskip(SKIP_1) | instid1(VALU_DEP_2)
	v_and_b32_e32 v4, 3, v2
	v_bfe_u32 v8, v2, 2, 5
	v_clz_i32_u32_e32 v5, v4
	s_delay_alu instid0(VALU_DEP_2) | instskip(NEXT) | instid1(VALU_DEP_2)
	v_cmp_eq_u32_e32 vcc_lo, 0, v8
	v_min_u32_e32 v5, 32, v5
	s_delay_alu instid0(VALU_DEP_1) | instskip(NEXT) | instid1(VALU_DEP_1)
	v_subrev_nc_u32_e32 v7, 29, v5
	v_dual_lshlrev_b32 v2, v7, v2 :: v_dual_sub_nc_u32 v5, 30, v5
	s_delay_alu instid0(VALU_DEP_1) | instskip(NEXT) | instid1(VALU_DEP_2)
	v_dual_lshlrev_b32 v3, 24, v3 :: v_dual_bitop2_b32 v2, 3, v2 bitop3:0x40
	v_cndmask_b32_e32 v5, v8, v5, vcc_lo
	s_delay_alu instid0(VALU_DEP_2) | instskip(NEXT) | instid1(VALU_DEP_3)
	v_cndmask_b32_e32 v2, v4, v2, vcc_lo
	v_and_b32_e32 v3, 0x80000000, v3
	s_delay_alu instid0(VALU_DEP_3) | instskip(NEXT) | instid1(VALU_DEP_3)
	v_lshl_add_u32 v4, v5, 23, 0x37800000
	v_lshlrev_b32_e32 v2, 21, v2
	s_delay_alu instid0(VALU_DEP_1) | instskip(NEXT) | instid1(VALU_DEP_1)
	v_or3_b32 v2, v3, v4, v2
	v_cvt_f16_f32_e32 v2, v2
.LBB150_470:
	s_or_b32 exec_lo, exec_lo, s26
	s_mov_b32 s24, 0
	s_branch .LBB150_476
.LBB150_471:
	s_mov_b32 s26, -1
                                        ; implicit-def: $vgpr2
	s_branch .LBB150_482
.LBB150_472:
	s_or_saveexec_b32 s26, s26
	v_mov_b32_e32 v2, 0x7e00
	s_xor_b32 exec_lo, exec_lo, s26
	s_cbranch_execz .LBB150_455
.LBB150_473:
	v_cmp_ne_u16_e32 vcc_lo, 0, v3
	v_mov_b32_e32 v2, v3
	s_and_not1_b32 s24, s24, exec_lo
	s_and_b32 s27, vcc_lo, exec_lo
	s_delay_alu instid0(SALU_CYCLE_1)
	s_or_b32 s24, s24, s27
	s_or_b32 exec_lo, exec_lo, s26
	s_and_saveexec_b32 s26, s24
	s_cbranch_execnz .LBB150_456
	s_branch .LBB150_457
.LBB150_474:
	s_mov_b32 s24, -1
                                        ; implicit-def: $vgpr2
	s_branch .LBB150_479
.LBB150_475:
	s_mov_b32 s24, -1
                                        ; implicit-def: $vgpr2
.LBB150_476:
	s_delay_alu instid0(SALU_CYCLE_1)
	s_and_b32 vcc_lo, exec_lo, s24
	s_cbranch_vccz .LBB150_478
; %bb.477:
	s_wait_loadcnt 0x0
	global_load_u8 v2, v[0:1], off
	s_wait_loadcnt 0x0
	v_lshlrev_b32_e32 v2, 24, v2
	s_delay_alu instid0(VALU_DEP_1) | instskip(NEXT) | instid1(VALU_DEP_1)
	v_and_b32_e32 v3, 0x7f000000, v2
	v_clz_i32_u32_e32 v4, v3
	v_add_nc_u32_e32 v7, 0x1000000, v3
	v_cmp_ne_u32_e32 vcc_lo, 0, v3
	s_delay_alu instid0(VALU_DEP_3) | instskip(NEXT) | instid1(VALU_DEP_1)
	v_min_u32_e32 v4, 32, v4
	v_sub_nc_u32_e64 v4, v4, 4 clamp
	s_delay_alu instid0(VALU_DEP_1) | instskip(NEXT) | instid1(VALU_DEP_1)
	v_dual_lshlrev_b32 v5, v4, v3 :: v_dual_lshlrev_b32 v4, 23, v4
	v_lshrrev_b32_e32 v5, 4, v5
	s_delay_alu instid0(VALU_DEP_1) | instskip(NEXT) | instid1(VALU_DEP_1)
	v_dual_sub_nc_u32 v4, v5, v4 :: v_dual_ashrrev_i32 v5, 8, v7
	v_add_nc_u32_e32 v4, 0x3c000000, v4
	s_delay_alu instid0(VALU_DEP_1) | instskip(NEXT) | instid1(VALU_DEP_1)
	v_and_or_b32 v4, 0x7f800000, v5, v4
	v_cndmask_b32_e32 v3, 0, v4, vcc_lo
	s_delay_alu instid0(VALU_DEP_1) | instskip(NEXT) | instid1(VALU_DEP_1)
	v_and_or_b32 v2, 0x80000000, v2, v3
	v_cvt_f16_f32_e32 v2, v2
.LBB150_478:
	s_mov_b32 s24, 0
.LBB150_479:
	s_delay_alu instid0(SALU_CYCLE_1)
	s_and_not1_b32 vcc_lo, exec_lo, s24
	s_cbranch_vccnz .LBB150_481
; %bb.480:
	s_wait_loadcnt 0x0
	global_load_u8 v2, v[0:1], off
	s_wait_loadcnt 0x0
	v_lshlrev_b32_e32 v3, 25, v2
	v_lshlrev_b16 v2, 8, v2
	s_delay_alu instid0(VALU_DEP_1) | instskip(SKIP_1) | instid1(VALU_DEP_2)
	v_and_or_b32 v5, 0x7f00, v2, 0.5
	v_bfe_i32 v2, v2, 0, 16
	v_dual_add_f32 v5, -0.5, v5 :: v_dual_lshrrev_b32 v4, 4, v3
	v_cmp_gt_u32_e32 vcc_lo, 0x8000000, v3
	s_delay_alu instid0(VALU_DEP_2) | instskip(NEXT) | instid1(VALU_DEP_1)
	v_or_b32_e32 v4, 0x70000000, v4
	v_mul_f32_e32 v4, 0x7800000, v4
	s_delay_alu instid0(VALU_DEP_1) | instskip(NEXT) | instid1(VALU_DEP_1)
	v_cndmask_b32_e32 v3, v4, v5, vcc_lo
	v_and_or_b32 v2, 0x80000000, v2, v3
	s_delay_alu instid0(VALU_DEP_1)
	v_cvt_f16_f32_e32 v2, v2
.LBB150_481:
	s_mov_b32 s26, 0
	s_mov_b32 s24, -1
.LBB150_482:
	s_and_not1_b32 vcc_lo, exec_lo, s26
	s_cbranch_vccnz .LBB150_495
; %bb.483:
	s_cmp_gt_i32 s23, 14
	s_cbranch_scc0 .LBB150_486
; %bb.484:
	s_cmp_eq_u32 s23, 15
	s_cbranch_scc0 .LBB150_489
; %bb.485:
	s_wait_loadcnt 0x0
	global_load_u16 v2, v[0:1], off
	s_mov_b32 s24, -1
	s_mov_b32 s22, 0
	s_wait_loadcnt 0x0
	v_lshlrev_b32_e32 v2, 16, v2
	s_delay_alu instid0(VALU_DEP_1)
	v_cvt_f16_f32_e32 v2, v2
	s_branch .LBB150_490
.LBB150_486:
	s_mov_b32 s26, -1
                                        ; implicit-def: $vgpr2
	s_branch .LBB150_491
.LBB150_487:
	s_or_saveexec_b32 s26, s26
	v_mov_b32_e32 v2, 0x7e00
	s_xor_b32 exec_lo, exec_lo, s26
	s_cbranch_execz .LBB150_468
.LBB150_488:
	v_cmp_ne_u16_e32 vcc_lo, 0, v3
	v_mov_b32_e32 v2, v3
	s_and_not1_b32 s24, s24, exec_lo
	s_and_b32 s27, vcc_lo, exec_lo
	s_delay_alu instid0(SALU_CYCLE_1)
	s_or_b32 s24, s24, s27
	s_or_b32 exec_lo, exec_lo, s26
	s_and_saveexec_b32 s26, s24
	s_cbranch_execnz .LBB150_469
	s_branch .LBB150_470
.LBB150_489:
	s_mov_b32 s22, -1
                                        ; implicit-def: $vgpr2
.LBB150_490:
	s_mov_b32 s26, 0
.LBB150_491:
	s_delay_alu instid0(SALU_CYCLE_1)
	s_and_b32 vcc_lo, exec_lo, s26
	s_cbranch_vccz .LBB150_495
; %bb.492:
	s_cmp_eq_u32 s23, 11
	s_cbranch_scc0 .LBB150_494
; %bb.493:
	s_wait_loadcnt 0x0
	global_load_u8 v2, v[0:1], off
	s_mov_b32 s22, 0
	s_mov_b32 s24, -1
	v_mov_b32_e32 v3, 0
	s_wait_loadcnt 0x0
	v_cmp_ne_u16_e32 vcc_lo, 0, v2
	v_cndmask_b32_e64 v2, 0, 0x3c00, vcc_lo
	s_branch .LBB150_496
.LBB150_494:
	s_mov_b32 s22, -1
                                        ; implicit-def: $vgpr2
.LBB150_495:
	v_mov_b32_e32 v3, 0
.LBB150_496:
	s_branch .LBB150_408
.LBB150_497:
	s_and_b32 s0, 0xffff, s0
	s_delay_alu instid0(SALU_CYCLE_1)
	s_cmp_lt_i32 s0, 5
	s_cbranch_scc1 .LBB150_502
; %bb.498:
	s_cmp_lt_i32 s0, 8
	s_cbranch_scc1 .LBB150_503
; %bb.499:
	;; [unrolled: 3-line block ×3, first 2 shown]
	s_cmp_gt_i32 s0, 9
	s_cbranch_scc0 .LBB150_505
; %bb.501:
	s_wait_loadcnt 0x0
	global_load_b128 v[2:5], v[0:1], off
	v_mov_b32_e32 v15, 0x7e00
	s_mov_b32 s23, 0
	s_wait_loadcnt 0x0
	v_and_or_b32 v2, 0x1ff, v3, v2
	v_and_or_b32 v4, 0x1ff, v5, v4
	v_dual_lshrrev_b32 v7, 8, v3 :: v_dual_lshrrev_b32 v9, 8, v5
	v_bfe_u32 v8, v3, 20, 11
	s_delay_alu instid0(VALU_DEP_4) | instskip(SKIP_2) | instid1(VALU_DEP_4)
	v_cmp_ne_u32_e32 vcc_lo, 0, v2
	v_bfe_u32 v10, v5, 20, 11
	v_dual_lshrrev_b32 v3, 16, v3 :: v_dual_lshrrev_b32 v5, 16, v5
	v_sub_nc_u32_e32 v11, 0x3f1, v8
	v_cndmask_b32_e64 v2, 0, 1, vcc_lo
	v_cmp_ne_u32_e32 vcc_lo, 0, v4
	s_delay_alu instid0(VALU_DEP_2) | instskip(SKIP_2) | instid1(VALU_DEP_2)
	v_and_or_b32 v2, 0xffe, v7, v2
	v_cndmask_b32_e64 v4, 0, 1, vcc_lo
	v_sub_nc_u32_e32 v7, 0x3f1, v10
	v_and_or_b32 v4, 0xffe, v9, v4
	v_med3_i32 v9, v11, 0, 13
	v_or_b32_e32 v11, 0x1000, v2
	s_delay_alu instid0(VALU_DEP_4) | instskip(NEXT) | instid1(VALU_DEP_4)
	v_med3_i32 v7, v7, 0, 13
	v_or_b32_e32 v12, 0x1000, v4
	s_delay_alu instid0(VALU_DEP_1) | instskip(NEXT) | instid1(VALU_DEP_1)
	v_dual_lshrrev_b32 v13, v9, v11 :: v_dual_lshrrev_b32 v14, v7, v12
	v_dual_lshlrev_b32 v9, v9, v13 :: v_dual_lshlrev_b32 v7, v7, v14
	s_delay_alu instid0(VALU_DEP_1) | instskip(SKIP_1) | instid1(VALU_DEP_3)
	v_cmp_ne_u32_e32 vcc_lo, v9, v11
	v_cndmask_b32_e64 v9, 0, 1, vcc_lo
	v_cmp_ne_u32_e32 vcc_lo, v7, v12
	s_delay_alu instid0(VALU_DEP_2) | instskip(SKIP_2) | instid1(VALU_DEP_2)
	v_or_b32_e32 v9, v13, v9
	v_add_nc_u32_e32 v8, 0xfffffc10, v8
	v_cndmask_b32_e64 v7, 0, 1, vcc_lo
	v_lshl_or_b32 v11, v8, 12, v2
	v_cmp_gt_i32_e32 vcc_lo, 1, v8
	s_delay_alu instid0(VALU_DEP_2) | instskip(NEXT) | instid1(VALU_DEP_1)
	v_dual_cndmask_b32 v9, v11, v9, vcc_lo :: v_dual_bitop2_b32 v7, v14, v7 bitop3:0x54
	v_dual_lshrrev_b32 v9, 2, v9 :: v_dual_bitop2_b32 v11, 7, v9 bitop3:0x40
	v_add_nc_u32_e32 v10, 0xfffffc10, v10
	s_delay_alu instid0(VALU_DEP_1) | instskip(SKIP_1) | instid1(VALU_DEP_2)
	v_lshl_or_b32 v12, v10, 12, v4
	v_cmp_gt_i32_e32 vcc_lo, 1, v10
	v_cndmask_b32_e32 v7, v12, v7, vcc_lo
	v_cmp_lt_i32_e32 vcc_lo, 5, v11
	s_delay_alu instid0(VALU_DEP_2)
	v_and_b32_e32 v12, 7, v7
	v_cndmask_b32_e64 v13, 0, 1, vcc_lo
	v_cmp_eq_u32_e32 vcc_lo, 3, v11
	v_lshrrev_b32_e32 v7, 2, v7
	v_cndmask_b32_e64 v11, 0, 1, vcc_lo
	v_cmp_lt_i32_e32 vcc_lo, 5, v12
	s_delay_alu instid0(VALU_DEP_2) | instskip(SKIP_2) | instid1(VALU_DEP_3)
	v_or_b32_e32 v11, v11, v13
	v_cndmask_b32_e64 v14, 0, 1, vcc_lo
	v_cmp_eq_u32_e32 vcc_lo, 3, v12
	v_add_nc_u32_e32 v9, v9, v11
	v_cndmask_b32_e64 v12, 0, 1, vcc_lo
	v_cmp_ne_u32_e32 vcc_lo, 0, v2
	s_delay_alu instid0(VALU_DEP_2) | instskip(SKIP_2) | instid1(VALU_DEP_3)
	v_or_b32_e32 v12, v12, v14
	v_cndmask_b32_e32 v2, 0x7c00, v15, vcc_lo
	v_cmp_ne_u32_e32 vcc_lo, 0, v4
	v_dual_cndmask_b32 v4, 0x7c00, v15 :: v_dual_add_nc_u32 v7, v7, v12
	v_cmp_gt_i32_e32 vcc_lo, 31, v8
	v_cndmask_b32_e32 v9, 0x7c00, v9, vcc_lo
	v_cmp_gt_i32_e32 vcc_lo, 31, v10
	s_delay_alu instid0(VALU_DEP_4) | instskip(SKIP_1) | instid1(VALU_DEP_4)
	v_cndmask_b32_e32 v7, 0x7c00, v7, vcc_lo
	v_cmp_eq_u32_e32 vcc_lo, 0x40f, v8
	v_cndmask_b32_e32 v2, v9, v2, vcc_lo
	v_cmp_eq_u32_e32 vcc_lo, 0x40f, v10
	s_delay_alu instid0(VALU_DEP_2) | instskip(SKIP_1) | instid1(VALU_DEP_1)
	v_and_or_b32 v2, 0x8000, v3, v2
	v_cndmask_b32_e32 v4, v7, v4, vcc_lo
	v_and_or_b32 v3, 0x8000, v5, v4
	s_branch .LBB150_506
.LBB150_502:
	s_mov_b32 s23, -1
                                        ; implicit-def: $vgpr3
                                        ; implicit-def: $vgpr2
	s_branch .LBB150_525
.LBB150_503:
	s_mov_b32 s23, -1
                                        ; implicit-def: $vgpr3
                                        ; implicit-def: $vgpr2
	s_branch .LBB150_512
.LBB150_504:
	s_mov_b32 s23, -1
                                        ; implicit-def: $vgpr3
                                        ; implicit-def: $vgpr2
	s_branch .LBB150_509
.LBB150_505:
	s_mov_b32 s23, -1
                                        ; implicit-def: $vgpr3
                                        ; implicit-def: $vgpr2
.LBB150_506:
	s_delay_alu instid0(SALU_CYCLE_1)
	s_and_not1_b32 vcc_lo, exec_lo, s23
	s_cbranch_vccnz .LBB150_508
; %bb.507:
	s_wait_loadcnt 0x0
	global_load_b64 v[2:3], v[0:1], off
	s_wait_loadcnt 0x0
	v_cvt_f16_f32_e32 v2, v2
	v_cvt_f16_f32_e32 v3, v3
.LBB150_508:
	s_mov_b32 s23, 0
.LBB150_509:
	s_delay_alu instid0(SALU_CYCLE_1)
	s_and_not1_b32 vcc_lo, exec_lo, s23
	s_cbranch_vccnz .LBB150_511
; %bb.510:
	s_wait_loadcnt 0x0
	global_load_b32 v2, v[0:1], off
	s_wait_loadcnt 0x0
	v_lshrrev_b32_e32 v3, 16, v2
.LBB150_511:
	s_mov_b32 s23, 0
.LBB150_512:
	s_delay_alu instid0(SALU_CYCLE_1)
	s_and_not1_b32 vcc_lo, exec_lo, s23
	s_cbranch_vccnz .LBB150_524
; %bb.513:
	s_cmp_lt_i32 s0, 6
	s_cbranch_scc1 .LBB150_516
; %bb.514:
	s_cmp_gt_i32 s0, 6
	s_cbranch_scc0 .LBB150_517
; %bb.515:
	s_wait_loadcnt 0x0
	global_load_b64 v[2:3], v[0:1], off
	s_mov_b32 s23, 0
	s_wait_loadcnt 0x0
	v_and_or_b32 v2, 0x1ff, v3, v2
	v_lshrrev_b32_e32 v4, 8, v3
	v_bfe_u32 v5, v3, 20, 11
	v_lshrrev_b32_e32 v3, 16, v3
	s_delay_alu instid0(VALU_DEP_4) | instskip(NEXT) | instid1(VALU_DEP_3)
	v_cmp_ne_u32_e32 vcc_lo, 0, v2
	v_sub_nc_u32_e32 v7, 0x3f1, v5
	v_add_nc_u32_e32 v5, 0xfffffc10, v5
	v_cndmask_b32_e64 v2, 0, 1, vcc_lo
	s_delay_alu instid0(VALU_DEP_1) | instskip(NEXT) | instid1(VALU_DEP_4)
	v_and_or_b32 v2, 0xffe, v4, v2
	v_med3_i32 v4, v7, 0, 13
	s_delay_alu instid0(VALU_DEP_2) | instskip(NEXT) | instid1(VALU_DEP_1)
	v_or_b32_e32 v7, 0x1000, v2
	v_lshrrev_b32_e32 v8, v4, v7
	s_delay_alu instid0(VALU_DEP_1) | instskip(NEXT) | instid1(VALU_DEP_1)
	v_lshlrev_b32_e32 v4, v4, v8
	v_cmp_ne_u32_e32 vcc_lo, v4, v7
	v_lshl_or_b32 v7, v5, 12, v2
	v_cndmask_b32_e64 v4, 0, 1, vcc_lo
	v_cmp_gt_i32_e32 vcc_lo, 1, v5
	s_delay_alu instid0(VALU_DEP_2) | instskip(NEXT) | instid1(VALU_DEP_1)
	v_or_b32_e32 v4, v8, v4
	v_cndmask_b32_e32 v4, v7, v4, vcc_lo
	s_delay_alu instid0(VALU_DEP_1) | instskip(NEXT) | instid1(VALU_DEP_1)
	v_dual_lshrrev_b32 v4, 2, v4 :: v_dual_bitop2_b32 v7, 7, v4 bitop3:0x40
	v_cmp_lt_i32_e32 vcc_lo, 5, v7
	v_cndmask_b32_e64 v8, 0, 1, vcc_lo
	v_cmp_eq_u32_e32 vcc_lo, 3, v7
	v_cndmask_b32_e64 v7, 0, 1, vcc_lo
	v_cmp_ne_u32_e32 vcc_lo, 0, v2
	s_delay_alu instid0(VALU_DEP_2) | instskip(SKIP_1) | instid1(VALU_DEP_2)
	v_or_b32_e32 v7, v7, v8
	v_mov_b32_e32 v8, 0x7e00
	v_add_nc_u32_e32 v4, v4, v7
	s_delay_alu instid0(VALU_DEP_2) | instskip(SKIP_1) | instid1(VALU_DEP_3)
	v_cndmask_b32_e32 v2, 0x7c00, v8, vcc_lo
	v_cmp_gt_i32_e32 vcc_lo, 31, v5
	v_cndmask_b32_e32 v4, 0x7c00, v4, vcc_lo
	v_cmp_eq_u32_e32 vcc_lo, 0x40f, v5
	s_delay_alu instid0(VALU_DEP_2) | instskip(NEXT) | instid1(VALU_DEP_1)
	v_cndmask_b32_e32 v2, v4, v2, vcc_lo
	v_and_or_b32 v2, 0x8000, v3, v2
	s_branch .LBB150_518
.LBB150_516:
	s_mov_b32 s23, -1
                                        ; implicit-def: $vgpr2
	s_branch .LBB150_521
.LBB150_517:
	s_mov_b32 s23, -1
                                        ; implicit-def: $vgpr2
.LBB150_518:
	s_delay_alu instid0(SALU_CYCLE_1)
	s_and_not1_b32 vcc_lo, exec_lo, s23
	s_cbranch_vccnz .LBB150_520
; %bb.519:
	s_wait_loadcnt 0x0
	global_load_b32 v2, v[0:1], off
	s_wait_loadcnt 0x0
	v_cvt_f16_f32_e32 v2, v2
.LBB150_520:
	s_mov_b32 s23, 0
.LBB150_521:
	s_delay_alu instid0(SALU_CYCLE_1)
	s_and_not1_b32 vcc_lo, exec_lo, s23
	s_cbranch_vccnz .LBB150_523
; %bb.522:
	s_wait_loadcnt 0x0
	global_load_u16 v2, v[0:1], off
.LBB150_523:
	v_mov_b32_e32 v3, 0
.LBB150_524:
	s_mov_b32 s23, 0
.LBB150_525:
	s_delay_alu instid0(SALU_CYCLE_1)
	s_and_not1_b32 vcc_lo, exec_lo, s23
	s_cbranch_vccnz .LBB150_546
; %bb.526:
	s_cmp_lt_i32 s0, 2
	s_cbranch_scc1 .LBB150_530
; %bb.527:
	s_cmp_lt_i32 s0, 3
	s_cbranch_scc1 .LBB150_531
; %bb.528:
	s_cmp_gt_i32 s0, 3
	s_cbranch_scc0 .LBB150_532
; %bb.529:
	s_wait_loadcnt 0x0
	global_load_b64 v[2:3], v[0:1], off
	s_mov_b32 s23, 0
	s_wait_loadcnt 0x0
	v_xor_b32_e32 v4, v2, v3
	v_cls_i32_e32 v5, v3
	s_delay_alu instid0(VALU_DEP_2) | instskip(NEXT) | instid1(VALU_DEP_1)
	v_ashrrev_i32_e32 v4, 31, v4
	v_add_nc_u32_e32 v4, 32, v4
	s_delay_alu instid0(VALU_DEP_1) | instskip(NEXT) | instid1(VALU_DEP_1)
	v_add_min_u32_e64 v4, v5, -1, v4
	v_lshlrev_b64_e32 v[2:3], v4, v[2:3]
	s_delay_alu instid0(VALU_DEP_1) | instskip(NEXT) | instid1(VALU_DEP_1)
	v_min_u32_e32 v2, 1, v2
	v_dual_sub_nc_u32 v3, 32, v4 :: v_dual_bitop2_b32 v2, v3, v2 bitop3:0x54
	s_delay_alu instid0(VALU_DEP_1) | instskip(NEXT) | instid1(VALU_DEP_1)
	v_cvt_f32_i32_e32 v2, v2
	v_ldexp_f32 v2, v2, v3
	s_delay_alu instid0(VALU_DEP_1)
	v_cvt_f16_f32_e32 v2, v2
	s_branch .LBB150_533
.LBB150_530:
	s_mov_b32 s23, -1
                                        ; implicit-def: $vgpr2
	s_branch .LBB150_539
.LBB150_531:
	s_mov_b32 s23, -1
                                        ; implicit-def: $vgpr2
	s_branch .LBB150_536
.LBB150_532:
	s_mov_b32 s23, -1
                                        ; implicit-def: $vgpr2
.LBB150_533:
	s_delay_alu instid0(SALU_CYCLE_1)
	s_and_not1_b32 vcc_lo, exec_lo, s23
	s_cbranch_vccnz .LBB150_535
; %bb.534:
	s_wait_loadcnt 0x0
	global_load_b32 v2, v[0:1], off
	s_wait_loadcnt 0x0
	v_cvt_f32_i32_e32 v2, v2
	s_delay_alu instid0(VALU_DEP_1)
	v_cvt_f16_f32_e32 v2, v2
.LBB150_535:
	s_mov_b32 s23, 0
.LBB150_536:
	s_delay_alu instid0(SALU_CYCLE_1)
	s_and_not1_b32 vcc_lo, exec_lo, s23
	s_cbranch_vccnz .LBB150_538
; %bb.537:
	s_wait_loadcnt 0x0
	global_load_u16 v2, v[0:1], off
	s_wait_loadcnt 0x0
	v_cvt_f16_i16_e32 v2, v2
.LBB150_538:
	s_mov_b32 s23, 0
.LBB150_539:
	s_delay_alu instid0(SALU_CYCLE_1)
	s_and_not1_b32 vcc_lo, exec_lo, s23
	s_cbranch_vccnz .LBB150_545
; %bb.540:
	s_cmp_gt_i32 s0, 0
	s_mov_b32 s0, 0
	s_cbranch_scc0 .LBB150_542
; %bb.541:
	s_wait_loadcnt 0x0
	global_load_i8 v2, v[0:1], off
	s_wait_loadcnt 0x0
	v_cvt_f16_i16_e32 v2, v2
	s_branch .LBB150_543
.LBB150_542:
	s_mov_b32 s0, -1
                                        ; implicit-def: $vgpr2
.LBB150_543:
	s_delay_alu instid0(SALU_CYCLE_1)
	s_and_not1_b32 vcc_lo, exec_lo, s0
	s_cbranch_vccnz .LBB150_545
; %bb.544:
	global_load_u8 v0, v[0:1], off
	s_wait_loadcnt 0x0
	v_cvt_f16_u16_e32 v2, v0
.LBB150_545:
	v_mov_b32_e32 v3, 0
.LBB150_546:
	s_branch .LBB150_409
.LBB150_547:
	s_mov_b32 s26, 0
	s_mov_b32 s0, s18
	;; [unrolled: 1-line block ×3, first 2 shown]
	s_branch .LBB150_801
.LBB150_548:
	s_and_not1_saveexec_b32 s27, s27
	s_cbranch_execz .LBB150_201
.LBB150_549:
	v_add_f32_e32 v2, 0x42800000, v3
	s_and_not1_b32 s26, s26, exec_lo
	s_delay_alu instid0(VALU_DEP_1) | instskip(NEXT) | instid1(VALU_DEP_1)
	v_and_b32_e32 v2, 0xff, v2
	v_cmp_ne_u32_e32 vcc_lo, 0, v2
	s_and_b32 s28, vcc_lo, exec_lo
	s_delay_alu instid0(SALU_CYCLE_1)
	s_or_b32 s26, s26, s28
	s_or_b32 exec_lo, exec_lo, s27
	v_mov_b32_e32 v4, 0
	s_and_saveexec_b32 s27, s26
	s_cbranch_execnz .LBB150_202
	s_branch .LBB150_203
.LBB150_550:
	s_mov_b32 s24, -1
	s_mov_b32 s26, 0
.LBB150_551:
                                        ; implicit-def: $vgpr5
                                        ; implicit-def: $vgpr4
.LBB150_552:
	s_and_b32 vcc_lo, exec_lo, s27
	s_cbranch_vccz .LBB150_557
; %bb.553:
	s_cmp_eq_u32 s23, 44
	s_cbranch_scc0 .LBB150_555
; %bb.554:
	s_wait_loadcnt 0x0
	global_load_u8 v4, v[0:1], off
	s_mov_b32 s24, 0
	s_mov_b32 s26, -1
	s_wait_loadcnt 0x0
	v_lshlrev_b32_e32 v5, 23, v4
	v_cmp_ne_u32_e32 vcc_lo, 0xff, v4
	s_delay_alu instid0(VALU_DEP_2) | instskip(NEXT) | instid1(VALU_DEP_1)
	v_cvt_f16_f32_e32 v5, v5
	v_cndmask_b32_e32 v5, 0x7e00, v5, vcc_lo
	v_cmp_ne_u32_e32 vcc_lo, 0, v4
	s_delay_alu instid0(VALU_DEP_2)
	v_cndmask_b32_e32 v4, 0, v5, vcc_lo
	s_branch .LBB150_556
.LBB150_555:
	s_mov_b32 s24, -1
                                        ; implicit-def: $vgpr4
.LBB150_556:
	v_mov_b32_e32 v5, 0
.LBB150_557:
	s_mov_b32 s27, 0
.LBB150_558:
	s_delay_alu instid0(SALU_CYCLE_1)
	s_and_b32 vcc_lo, exec_lo, s27
	s_cbranch_vccz .LBB150_563
; %bb.559:
	s_cmp_eq_u32 s23, 29
	s_cbranch_scc0 .LBB150_561
; %bb.560:
	s_wait_loadcnt 0x0
	global_load_b64 v[4:5], v[0:1], off
	s_mov_b32 s26, -1
	s_mov_b32 s24, 0
	s_wait_loadcnt 0x0
	v_clz_i32_u32_e32 v7, v5
	s_delay_alu instid0(VALU_DEP_1) | instskip(NEXT) | instid1(VALU_DEP_1)
	v_min_u32_e32 v7, 32, v7
	v_lshlrev_b64_e32 v[4:5], v7, v[4:5]
	s_delay_alu instid0(VALU_DEP_1) | instskip(NEXT) | instid1(VALU_DEP_1)
	v_min_u32_e32 v4, 1, v4
	v_dual_sub_nc_u32 v5, 32, v7 :: v_dual_bitop2_b32 v4, v5, v4 bitop3:0x54
	s_delay_alu instid0(VALU_DEP_1) | instskip(NEXT) | instid1(VALU_DEP_1)
	v_cvt_f32_u32_e32 v4, v4
	v_ldexp_f32 v4, v4, v5
	s_delay_alu instid0(VALU_DEP_1)
	v_cvt_f16_f32_e32 v4, v4
	s_branch .LBB150_562
.LBB150_561:
	s_mov_b32 s24, -1
                                        ; implicit-def: $vgpr4
.LBB150_562:
	v_mov_b32_e32 v5, 0
.LBB150_563:
	s_mov_b32 s27, 0
.LBB150_564:
	s_delay_alu instid0(SALU_CYCLE_1)
	s_and_b32 vcc_lo, exec_lo, s27
	s_cbranch_vccz .LBB150_582
; %bb.565:
	s_cmp_lt_i32 s23, 27
	s_cbranch_scc1 .LBB150_568
; %bb.566:
	s_cmp_gt_i32 s23, 27
	s_cbranch_scc0 .LBB150_569
; %bb.567:
	s_wait_loadcnt 0x0
	global_load_b32 v4, v[0:1], off
	s_mov_b32 s26, 0
	s_wait_loadcnt 0x0
	v_cvt_f32_u32_e32 v4, v4
	s_delay_alu instid0(VALU_DEP_1)
	v_cvt_f16_f32_e32 v4, v4
	s_branch .LBB150_570
.LBB150_568:
	s_mov_b32 s26, -1
                                        ; implicit-def: $vgpr4
	s_branch .LBB150_573
.LBB150_569:
	s_mov_b32 s26, -1
                                        ; implicit-def: $vgpr4
.LBB150_570:
	s_delay_alu instid0(SALU_CYCLE_1)
	s_and_not1_b32 vcc_lo, exec_lo, s26
	s_cbranch_vccnz .LBB150_572
; %bb.571:
	s_wait_loadcnt 0x0
	global_load_u16 v4, v[0:1], off
	s_wait_loadcnt 0x0
	v_cvt_f16_u16_e32 v4, v4
.LBB150_572:
	s_mov_b32 s26, 0
.LBB150_573:
	s_delay_alu instid0(SALU_CYCLE_1)
	s_and_not1_b32 vcc_lo, exec_lo, s26
	s_cbranch_vccnz .LBB150_581
; %bb.574:
	global_load_u8 v5, v[0:1], off
	s_mov_b32 s26, 0
	s_mov_b32 s27, exec_lo
	s_wait_loadcnt 0x0
	v_cmpx_lt_i16_e32 0x7f, v5
	s_xor_b32 s27, exec_lo, s27
	s_cbranch_execz .LBB150_595
; %bb.575:
	s_mov_b32 s26, -1
	s_mov_b32 s28, exec_lo
	v_cmpx_eq_u16_e32 0x80, v5
; %bb.576:
	s_xor_b32 s26, exec_lo, -1
; %bb.577:
	s_or_b32 exec_lo, exec_lo, s28
	s_delay_alu instid0(SALU_CYCLE_1)
	s_and_b32 s26, s26, exec_lo
	s_or_saveexec_b32 s27, s27
	v_mov_b32_e32 v4, 0x7e00
	s_xor_b32 exec_lo, exec_lo, s27
	s_cbranch_execnz .LBB150_596
.LBB150_578:
	s_or_b32 exec_lo, exec_lo, s27
	s_and_saveexec_b32 s27, s26
	s_cbranch_execz .LBB150_580
.LBB150_579:
	v_and_b32_e32 v4, 0xffff, v5
	s_delay_alu instid0(VALU_DEP_1) | instskip(SKIP_1) | instid1(VALU_DEP_2)
	v_dual_lshlrev_b32 v5, 24, v5 :: v_dual_bitop2_b32 v7, 7, v4 bitop3:0x40
	v_bfe_u32 v10, v4, 3, 4
	v_and_b32_e32 v5, 0x80000000, v5
	s_delay_alu instid0(VALU_DEP_3) | instskip(NEXT) | instid1(VALU_DEP_3)
	v_clz_i32_u32_e32 v8, v7
	v_cmp_eq_u32_e32 vcc_lo, 0, v10
	s_delay_alu instid0(VALU_DEP_2) | instskip(NEXT) | instid1(VALU_DEP_1)
	v_min_u32_e32 v8, 32, v8
	v_subrev_nc_u32_e32 v9, 28, v8
	v_sub_nc_u32_e32 v8, 29, v8
	s_delay_alu instid0(VALU_DEP_2) | instskip(NEXT) | instid1(VALU_DEP_2)
	v_lshlrev_b32_e32 v4, v9, v4
	v_cndmask_b32_e32 v8, v10, v8, vcc_lo
	s_delay_alu instid0(VALU_DEP_2) | instskip(NEXT) | instid1(VALU_DEP_1)
	v_and_b32_e32 v4, 7, v4
	v_cndmask_b32_e32 v4, v7, v4, vcc_lo
	s_delay_alu instid0(VALU_DEP_3) | instskip(NEXT) | instid1(VALU_DEP_2)
	v_lshl_add_u32 v7, v8, 23, 0x3b800000
	v_lshlrev_b32_e32 v4, 20, v4
	s_delay_alu instid0(VALU_DEP_1) | instskip(NEXT) | instid1(VALU_DEP_1)
	v_or3_b32 v4, v5, v7, v4
	v_cvt_f16_f32_e32 v4, v4
.LBB150_580:
	s_or_b32 exec_lo, exec_lo, s27
.LBB150_581:
	v_mov_b32_e32 v5, 0
	s_mov_b32 s26, -1
.LBB150_582:
	s_mov_b32 s27, 0
.LBB150_583:
	s_delay_alu instid0(SALU_CYCLE_1)
	s_and_b32 vcc_lo, exec_lo, s27
	s_cbranch_vccz .LBB150_619
; %bb.584:
	s_cmp_gt_i32 s23, 22
	s_cbranch_scc0 .LBB150_594
; %bb.585:
	s_cmp_lt_i32 s23, 24
	s_cbranch_scc1 .LBB150_597
; %bb.586:
	s_cmp_gt_i32 s23, 24
	s_cbranch_scc0 .LBB150_598
; %bb.587:
	global_load_u8 v5, v[0:1], off
	s_mov_b32 s26, 0
	s_mov_b32 s27, exec_lo
	s_wait_loadcnt 0x0
	v_cmpx_lt_i16_e32 0x7f, v5
	s_xor_b32 s27, exec_lo, s27
	s_cbranch_execz .LBB150_610
; %bb.588:
	s_mov_b32 s26, -1
	s_mov_b32 s28, exec_lo
	v_cmpx_eq_u16_e32 0x80, v5
; %bb.589:
	s_xor_b32 s26, exec_lo, -1
; %bb.590:
	s_or_b32 exec_lo, exec_lo, s28
	s_delay_alu instid0(SALU_CYCLE_1)
	s_and_b32 s26, s26, exec_lo
	s_or_saveexec_b32 s27, s27
	v_mov_b32_e32 v4, 0x7e00
	s_xor_b32 exec_lo, exec_lo, s27
	s_cbranch_execnz .LBB150_611
.LBB150_591:
	s_or_b32 exec_lo, exec_lo, s27
	s_and_saveexec_b32 s27, s26
	s_cbranch_execz .LBB150_593
.LBB150_592:
	v_and_b32_e32 v4, 0xffff, v5
	s_delay_alu instid0(VALU_DEP_1) | instskip(SKIP_1) | instid1(VALU_DEP_2)
	v_dual_lshlrev_b32 v5, 24, v5 :: v_dual_bitop2_b32 v7, 3, v4 bitop3:0x40
	v_bfe_u32 v10, v4, 2, 5
	v_and_b32_e32 v5, 0x80000000, v5
	s_delay_alu instid0(VALU_DEP_3) | instskip(NEXT) | instid1(VALU_DEP_3)
	v_clz_i32_u32_e32 v8, v7
	v_cmp_eq_u32_e32 vcc_lo, 0, v10
	s_delay_alu instid0(VALU_DEP_2) | instskip(NEXT) | instid1(VALU_DEP_1)
	v_min_u32_e32 v8, 32, v8
	v_subrev_nc_u32_e32 v9, 29, v8
	v_sub_nc_u32_e32 v8, 30, v8
	s_delay_alu instid0(VALU_DEP_2) | instskip(NEXT) | instid1(VALU_DEP_2)
	v_lshlrev_b32_e32 v4, v9, v4
	v_cndmask_b32_e32 v8, v10, v8, vcc_lo
	s_delay_alu instid0(VALU_DEP_2) | instskip(NEXT) | instid1(VALU_DEP_1)
	v_and_b32_e32 v4, 3, v4
	v_cndmask_b32_e32 v4, v7, v4, vcc_lo
	s_delay_alu instid0(VALU_DEP_3) | instskip(NEXT) | instid1(VALU_DEP_2)
	v_lshl_add_u32 v7, v8, 23, 0x37800000
	v_lshlrev_b32_e32 v4, 21, v4
	s_delay_alu instid0(VALU_DEP_1) | instskip(NEXT) | instid1(VALU_DEP_1)
	v_or3_b32 v4, v5, v7, v4
	v_cvt_f16_f32_e32 v4, v4
.LBB150_593:
	s_or_b32 exec_lo, exec_lo, s27
	s_mov_b32 s26, 0
	s_branch .LBB150_599
.LBB150_594:
	s_mov_b32 s27, -1
                                        ; implicit-def: $vgpr4
	s_branch .LBB150_605
.LBB150_595:
	s_or_saveexec_b32 s27, s27
	v_mov_b32_e32 v4, 0x7e00
	s_xor_b32 exec_lo, exec_lo, s27
	s_cbranch_execz .LBB150_578
.LBB150_596:
	v_cmp_ne_u16_e32 vcc_lo, 0, v5
	v_mov_b32_e32 v4, v5
	s_and_not1_b32 s26, s26, exec_lo
	s_and_b32 s28, vcc_lo, exec_lo
	s_delay_alu instid0(SALU_CYCLE_1)
	s_or_b32 s26, s26, s28
	s_or_b32 exec_lo, exec_lo, s27
	s_and_saveexec_b32 s27, s26
	s_cbranch_execnz .LBB150_579
	s_branch .LBB150_580
.LBB150_597:
	s_mov_b32 s26, -1
                                        ; implicit-def: $vgpr4
	s_branch .LBB150_602
.LBB150_598:
	s_mov_b32 s26, -1
                                        ; implicit-def: $vgpr4
.LBB150_599:
	s_delay_alu instid0(SALU_CYCLE_1)
	s_and_b32 vcc_lo, exec_lo, s26
	s_cbranch_vccz .LBB150_601
; %bb.600:
	s_wait_loadcnt 0x0
	global_load_u8 v4, v[0:1], off
	s_wait_loadcnt 0x0
	v_lshlrev_b32_e32 v4, 24, v4
	s_delay_alu instid0(VALU_DEP_1) | instskip(NEXT) | instid1(VALU_DEP_1)
	v_and_b32_e32 v5, 0x7f000000, v4
	v_clz_i32_u32_e32 v7, v5
	v_add_nc_u32_e32 v9, 0x1000000, v5
	v_cmp_ne_u32_e32 vcc_lo, 0, v5
	s_delay_alu instid0(VALU_DEP_3) | instskip(NEXT) | instid1(VALU_DEP_1)
	v_min_u32_e32 v7, 32, v7
	v_sub_nc_u32_e64 v7, v7, 4 clamp
	s_delay_alu instid0(VALU_DEP_1) | instskip(NEXT) | instid1(VALU_DEP_1)
	v_dual_lshlrev_b32 v8, v7, v5 :: v_dual_lshlrev_b32 v7, 23, v7
	v_lshrrev_b32_e32 v8, 4, v8
	s_delay_alu instid0(VALU_DEP_1) | instskip(NEXT) | instid1(VALU_DEP_1)
	v_dual_sub_nc_u32 v7, v8, v7 :: v_dual_ashrrev_i32 v8, 8, v9
	v_add_nc_u32_e32 v7, 0x3c000000, v7
	s_delay_alu instid0(VALU_DEP_1) | instskip(NEXT) | instid1(VALU_DEP_1)
	v_and_or_b32 v7, 0x7f800000, v8, v7
	v_cndmask_b32_e32 v5, 0, v7, vcc_lo
	s_delay_alu instid0(VALU_DEP_1) | instskip(NEXT) | instid1(VALU_DEP_1)
	v_and_or_b32 v4, 0x80000000, v4, v5
	v_cvt_f16_f32_e32 v4, v4
.LBB150_601:
	s_mov_b32 s26, 0
.LBB150_602:
	s_delay_alu instid0(SALU_CYCLE_1)
	s_and_not1_b32 vcc_lo, exec_lo, s26
	s_cbranch_vccnz .LBB150_604
; %bb.603:
	s_wait_loadcnt 0x0
	global_load_u8 v4, v[0:1], off
	s_wait_loadcnt 0x0
	v_lshlrev_b32_e32 v5, 25, v4
	v_lshlrev_b16 v4, 8, v4
	s_delay_alu instid0(VALU_DEP_2) | instskip(NEXT) | instid1(VALU_DEP_2)
	v_cmp_gt_u32_e32 vcc_lo, 0x8000000, v5
	v_and_or_b32 v8, 0x7f00, v4, 0.5
	v_lshrrev_b32_e32 v7, 4, v5
	v_bfe_i32 v4, v4, 0, 16
	s_delay_alu instid0(VALU_DEP_3) | instskip(NEXT) | instid1(VALU_DEP_3)
	v_add_f32_e32 v8, -0.5, v8
	v_or_b32_e32 v7, 0x70000000, v7
	s_delay_alu instid0(VALU_DEP_1) | instskip(NEXT) | instid1(VALU_DEP_1)
	v_mul_f32_e32 v7, 0x7800000, v7
	v_cndmask_b32_e32 v5, v7, v8, vcc_lo
	s_delay_alu instid0(VALU_DEP_1) | instskip(NEXT) | instid1(VALU_DEP_1)
	v_and_or_b32 v4, 0x80000000, v4, v5
	v_cvt_f16_f32_e32 v4, v4
.LBB150_604:
	s_mov_b32 s27, 0
	s_mov_b32 s26, -1
.LBB150_605:
	s_and_not1_b32 vcc_lo, exec_lo, s27
	s_cbranch_vccnz .LBB150_618
; %bb.606:
	s_cmp_gt_i32 s23, 14
	s_cbranch_scc0 .LBB150_609
; %bb.607:
	s_cmp_eq_u32 s23, 15
	s_cbranch_scc0 .LBB150_612
; %bb.608:
	s_wait_loadcnt 0x0
	global_load_u16 v4, v[0:1], off
	s_mov_b32 s26, -1
	s_mov_b32 s24, 0
	s_wait_loadcnt 0x0
	v_lshlrev_b32_e32 v4, 16, v4
	s_delay_alu instid0(VALU_DEP_1)
	v_cvt_f16_f32_e32 v4, v4
	s_branch .LBB150_613
.LBB150_609:
	s_mov_b32 s27, -1
                                        ; implicit-def: $vgpr4
	s_branch .LBB150_614
.LBB150_610:
	s_or_saveexec_b32 s27, s27
	v_mov_b32_e32 v4, 0x7e00
	s_xor_b32 exec_lo, exec_lo, s27
	s_cbranch_execz .LBB150_591
.LBB150_611:
	v_cmp_ne_u16_e32 vcc_lo, 0, v5
	v_mov_b32_e32 v4, v5
	s_and_not1_b32 s26, s26, exec_lo
	s_and_b32 s28, vcc_lo, exec_lo
	s_delay_alu instid0(SALU_CYCLE_1)
	s_or_b32 s26, s26, s28
	s_or_b32 exec_lo, exec_lo, s27
	s_and_saveexec_b32 s27, s26
	s_cbranch_execnz .LBB150_592
	s_branch .LBB150_593
.LBB150_612:
	s_mov_b32 s24, -1
                                        ; implicit-def: $vgpr4
.LBB150_613:
	s_mov_b32 s27, 0
.LBB150_614:
	s_delay_alu instid0(SALU_CYCLE_1)
	s_and_b32 vcc_lo, exec_lo, s27
	s_cbranch_vccz .LBB150_618
; %bb.615:
	s_cmp_eq_u32 s23, 11
	s_cbranch_scc0 .LBB150_617
; %bb.616:
	s_wait_loadcnt 0x0
	global_load_u8 v4, v[0:1], off
	s_mov_b32 s24, 0
	s_mov_b32 s26, -1
	v_mov_b32_e32 v5, 0
	s_wait_loadcnt 0x0
	v_cmp_ne_u16_e32 vcc_lo, 0, v4
	v_cndmask_b32_e64 v4, 0, 0x3c00, vcc_lo
	s_branch .LBB150_619
.LBB150_617:
	s_mov_b32 s24, -1
                                        ; implicit-def: $vgpr4
.LBB150_618:
	v_mov_b32_e32 v5, 0
.LBB150_619:
	s_mov_b32 s23, 0
.LBB150_620:
	s_delay_alu instid0(SALU_CYCLE_1)
	s_and_b32 vcc_lo, exec_lo, s23
	s_cbranch_vccz .LBB150_671
; %bb.621:
	s_and_b32 s0, 0xffff, s0
	s_delay_alu instid0(SALU_CYCLE_1)
	s_cmp_lt_i32 s0, 5
	s_cbranch_scc1 .LBB150_626
; %bb.622:
	s_cmp_lt_i32 s0, 8
	s_cbranch_scc1 .LBB150_627
; %bb.623:
	;; [unrolled: 3-line block ×3, first 2 shown]
	s_cmp_gt_i32 s0, 9
	s_cbranch_scc0 .LBB150_629
; %bb.625:
	global_load_b128 v[8:11], v[0:1], off
	s_mov_b32 s23, 0
	s_wait_loadcnt 0x0
	v_and_or_b32 v4, 0x1ff, v9, v8
	v_and_or_b32 v8, 0x1ff, v11, v10
	v_dual_lshrrev_b32 v5, 8, v9 :: v_dual_lshrrev_b32 v10, 8, v11
	v_bfe_u32 v7, v9, 20, 11
	s_delay_alu instid0(VALU_DEP_4) | instskip(SKIP_2) | instid1(VALU_DEP_4)
	v_cmp_ne_u32_e32 vcc_lo, 0, v4
	v_bfe_u32 v12, v11, 20, 11
	v_dual_lshrrev_b32 v9, 16, v9 :: v_dual_lshrrev_b32 v11, 16, v11
	v_sub_nc_u32_e32 v13, 0x3f1, v7
	v_cndmask_b32_e64 v4, 0, 1, vcc_lo
	v_cmp_ne_u32_e32 vcc_lo, 0, v8
	v_add_nc_u32_e32 v7, 0xfffffc10, v7
	s_delay_alu instid0(VALU_DEP_3) | instskip(SKIP_1) | instid1(VALU_DEP_1)
	v_and_or_b32 v4, 0xffe, v5, v4
	v_cndmask_b32_e64 v8, 0, 1, vcc_lo
	v_and_or_b32 v8, 0xffe, v10, v8
	v_med3_i32 v10, v13, 0, 13
	s_delay_alu instid0(VALU_DEP_4) | instskip(NEXT) | instid1(VALU_DEP_3)
	v_or_b32_e32 v13, 0x1000, v4
	v_or_b32_e32 v14, 0x1000, v8
	s_delay_alu instid0(VALU_DEP_2) | instskip(NEXT) | instid1(VALU_DEP_1)
	v_lshrrev_b32_e32 v15, v10, v13
	v_lshlrev_b32_e32 v10, v10, v15
	s_delay_alu instid0(VALU_DEP_1) | instskip(SKIP_2) | instid1(VALU_DEP_1)
	v_cmp_ne_u32_e32 vcc_lo, v10, v13
	v_lshl_or_b32 v13, v7, 12, v4
	v_cndmask_b32_e64 v10, 0, 1, vcc_lo
	v_or_b32_e32 v10, v15, v10
	v_sub_nc_u32_e32 v5, 0x3f1, v12
	s_delay_alu instid0(VALU_DEP_1) | instskip(NEXT) | instid1(VALU_DEP_1)
	v_med3_i32 v5, v5, 0, 13
	v_lshrrev_b32_e32 v16, v5, v14
	s_delay_alu instid0(VALU_DEP_1) | instskip(NEXT) | instid1(VALU_DEP_1)
	v_lshlrev_b32_e32 v5, v5, v16
	v_cmp_ne_u32_e32 vcc_lo, v5, v14
	v_cndmask_b32_e64 v5, 0, 1, vcc_lo
	v_cmp_gt_i32_e32 vcc_lo, 1, v7
	s_delay_alu instid0(VALU_DEP_2) | instskip(NEXT) | instid1(VALU_DEP_1)
	v_dual_cndmask_b32 v10, v13, v10, vcc_lo :: v_dual_bitop2_b32 v5, v16, v5 bitop3:0x54
	v_dual_lshrrev_b32 v10, 2, v10 :: v_dual_bitop2_b32 v13, 7, v10 bitop3:0x40
	v_add_nc_u32_e32 v12, 0xfffffc10, v12
	s_delay_alu instid0(VALU_DEP_1) | instskip(SKIP_1) | instid1(VALU_DEP_2)
	v_lshl_or_b32 v14, v12, 12, v8
	v_cmp_gt_i32_e32 vcc_lo, 1, v12
	v_cndmask_b32_e32 v5, v14, v5, vcc_lo
	v_cmp_lt_i32_e32 vcc_lo, 5, v13
	s_delay_alu instid0(VALU_DEP_2)
	v_and_b32_e32 v14, 7, v5
	v_cndmask_b32_e64 v15, 0, 1, vcc_lo
	v_cmp_eq_u32_e32 vcc_lo, 3, v13
	v_lshrrev_b32_e32 v5, 2, v5
	v_cndmask_b32_e64 v13, 0, 1, vcc_lo
	v_cmp_lt_i32_e32 vcc_lo, 5, v14
	s_delay_alu instid0(VALU_DEP_2) | instskip(SKIP_2) | instid1(VALU_DEP_3)
	v_or_b32_e32 v13, v13, v15
	v_cndmask_b32_e64 v16, 0, 1, vcc_lo
	v_cmp_eq_u32_e32 vcc_lo, 3, v14
	v_dual_mov_b32 v17, 0x7e00 :: v_dual_add_nc_u32 v10, v10, v13
	v_cndmask_b32_e64 v14, 0, 1, vcc_lo
	v_cmp_ne_u32_e32 vcc_lo, 0, v4
	s_delay_alu instid0(VALU_DEP_2) | instskip(NEXT) | instid1(VALU_DEP_4)
	v_or_b32_e32 v14, v14, v16
	v_cndmask_b32_e32 v4, 0x7c00, v17, vcc_lo
	v_cmp_ne_u32_e32 vcc_lo, 0, v8
	s_delay_alu instid0(VALU_DEP_3) | instskip(SKIP_3) | instid1(VALU_DEP_4)
	v_dual_cndmask_b32 v8, 0x7c00, v17 :: v_dual_add_nc_u32 v5, v5, v14
	v_cmp_gt_i32_e32 vcc_lo, 31, v7
	v_cndmask_b32_e32 v10, 0x7c00, v10, vcc_lo
	v_cmp_gt_i32_e32 vcc_lo, 31, v12
	v_cndmask_b32_e32 v5, 0x7c00, v5, vcc_lo
	v_cmp_eq_u32_e32 vcc_lo, 0x40f, v7
	s_delay_alu instid0(VALU_DEP_4) | instskip(SKIP_1) | instid1(VALU_DEP_2)
	v_cndmask_b32_e32 v4, v10, v4, vcc_lo
	v_cmp_eq_u32_e32 vcc_lo, 0x40f, v12
	v_and_or_b32 v4, 0x8000, v9, v4
	v_cndmask_b32_e32 v5, v5, v8, vcc_lo
	s_delay_alu instid0(VALU_DEP_1)
	v_and_or_b32 v5, 0x8000, v11, v5
	s_branch .LBB150_630
.LBB150_626:
	s_mov_b32 s23, -1
                                        ; implicit-def: $vgpr5
                                        ; implicit-def: $vgpr4
	s_branch .LBB150_649
.LBB150_627:
	s_mov_b32 s23, -1
                                        ; implicit-def: $vgpr5
                                        ; implicit-def: $vgpr4
	s_branch .LBB150_636
.LBB150_628:
	s_mov_b32 s23, -1
                                        ; implicit-def: $vgpr5
                                        ; implicit-def: $vgpr4
	s_branch .LBB150_633
.LBB150_629:
	s_mov_b32 s23, -1
                                        ; implicit-def: $vgpr5
                                        ; implicit-def: $vgpr4
.LBB150_630:
	s_delay_alu instid0(SALU_CYCLE_1)
	s_and_not1_b32 vcc_lo, exec_lo, s23
	s_cbranch_vccnz .LBB150_632
; %bb.631:
	s_wait_loadcnt 0x0
	global_load_b64 v[4:5], v[0:1], off
	s_wait_loadcnt 0x0
	v_cvt_f16_f32_e32 v4, v4
	v_cvt_f16_f32_e32 v5, v5
.LBB150_632:
	s_mov_b32 s23, 0
.LBB150_633:
	s_delay_alu instid0(SALU_CYCLE_1)
	s_and_not1_b32 vcc_lo, exec_lo, s23
	s_cbranch_vccnz .LBB150_635
; %bb.634:
	s_wait_loadcnt 0x0
	global_load_b32 v4, v[0:1], off
	s_wait_loadcnt 0x0
	v_lshrrev_b32_e32 v5, 16, v4
.LBB150_635:
	s_mov_b32 s23, 0
.LBB150_636:
	s_delay_alu instid0(SALU_CYCLE_1)
	s_and_not1_b32 vcc_lo, exec_lo, s23
	s_cbranch_vccnz .LBB150_648
; %bb.637:
	s_cmp_lt_i32 s0, 6
	s_cbranch_scc1 .LBB150_640
; %bb.638:
	s_cmp_gt_i32 s0, 6
	s_cbranch_scc0 .LBB150_641
; %bb.639:
	s_wait_loadcnt 0x0
	global_load_b64 v[4:5], v[0:1], off
	s_mov_b32 s23, 0
	s_wait_loadcnt 0x0
	v_and_or_b32 v4, 0x1ff, v5, v4
	v_lshrrev_b32_e32 v7, 8, v5
	v_bfe_u32 v8, v5, 20, 11
	v_lshrrev_b32_e32 v5, 16, v5
	s_delay_alu instid0(VALU_DEP_4) | instskip(NEXT) | instid1(VALU_DEP_3)
	v_cmp_ne_u32_e32 vcc_lo, 0, v4
	v_sub_nc_u32_e32 v9, 0x3f1, v8
	v_add_nc_u32_e32 v8, 0xfffffc10, v8
	v_cndmask_b32_e64 v4, 0, 1, vcc_lo
	s_delay_alu instid0(VALU_DEP_1) | instskip(NEXT) | instid1(VALU_DEP_4)
	v_and_or_b32 v4, 0xffe, v7, v4
	v_med3_i32 v7, v9, 0, 13
	s_delay_alu instid0(VALU_DEP_2) | instskip(NEXT) | instid1(VALU_DEP_1)
	v_or_b32_e32 v9, 0x1000, v4
	v_lshrrev_b32_e32 v10, v7, v9
	s_delay_alu instid0(VALU_DEP_1) | instskip(NEXT) | instid1(VALU_DEP_1)
	v_lshlrev_b32_e32 v7, v7, v10
	v_cmp_ne_u32_e32 vcc_lo, v7, v9
	v_lshl_or_b32 v9, v8, 12, v4
	v_cndmask_b32_e64 v7, 0, 1, vcc_lo
	v_cmp_gt_i32_e32 vcc_lo, 1, v8
	s_delay_alu instid0(VALU_DEP_2) | instskip(NEXT) | instid1(VALU_DEP_1)
	v_or_b32_e32 v7, v10, v7
	v_cndmask_b32_e32 v7, v9, v7, vcc_lo
	s_delay_alu instid0(VALU_DEP_1) | instskip(NEXT) | instid1(VALU_DEP_1)
	v_dual_lshrrev_b32 v7, 2, v7 :: v_dual_bitop2_b32 v9, 7, v7 bitop3:0x40
	v_cmp_lt_i32_e32 vcc_lo, 5, v9
	v_cndmask_b32_e64 v10, 0, 1, vcc_lo
	v_cmp_eq_u32_e32 vcc_lo, 3, v9
	v_cndmask_b32_e64 v9, 0, 1, vcc_lo
	v_cmp_ne_u32_e32 vcc_lo, 0, v4
	s_delay_alu instid0(VALU_DEP_2) | instskip(NEXT) | instid1(VALU_DEP_1)
	v_or_b32_e32 v9, v9, v10
	v_dual_mov_b32 v10, 0x7e00 :: v_dual_add_nc_u32 v7, v7, v9
	s_delay_alu instid0(VALU_DEP_1) | instskip(SKIP_1) | instid1(VALU_DEP_3)
	v_cndmask_b32_e32 v4, 0x7c00, v10, vcc_lo
	v_cmp_gt_i32_e32 vcc_lo, 31, v8
	v_cndmask_b32_e32 v7, 0x7c00, v7, vcc_lo
	v_cmp_eq_u32_e32 vcc_lo, 0x40f, v8
	s_delay_alu instid0(VALU_DEP_2) | instskip(NEXT) | instid1(VALU_DEP_1)
	v_cndmask_b32_e32 v4, v7, v4, vcc_lo
	v_and_or_b32 v4, 0x8000, v5, v4
	s_branch .LBB150_642
.LBB150_640:
	s_mov_b32 s23, -1
                                        ; implicit-def: $vgpr4
	s_branch .LBB150_645
.LBB150_641:
	s_mov_b32 s23, -1
                                        ; implicit-def: $vgpr4
.LBB150_642:
	s_delay_alu instid0(SALU_CYCLE_1)
	s_and_not1_b32 vcc_lo, exec_lo, s23
	s_cbranch_vccnz .LBB150_644
; %bb.643:
	s_wait_loadcnt 0x0
	global_load_b32 v4, v[0:1], off
	s_wait_loadcnt 0x0
	v_cvt_f16_f32_e32 v4, v4
.LBB150_644:
	s_mov_b32 s23, 0
.LBB150_645:
	s_delay_alu instid0(SALU_CYCLE_1)
	s_and_not1_b32 vcc_lo, exec_lo, s23
	s_cbranch_vccnz .LBB150_647
; %bb.646:
	s_wait_loadcnt 0x0
	global_load_u16 v4, v[0:1], off
.LBB150_647:
	v_mov_b32_e32 v5, 0
.LBB150_648:
	s_mov_b32 s23, 0
.LBB150_649:
	s_delay_alu instid0(SALU_CYCLE_1)
	s_and_not1_b32 vcc_lo, exec_lo, s23
	s_cbranch_vccnz .LBB150_670
; %bb.650:
	s_cmp_lt_i32 s0, 2
	s_cbranch_scc1 .LBB150_654
; %bb.651:
	s_cmp_lt_i32 s0, 3
	s_cbranch_scc1 .LBB150_655
; %bb.652:
	s_cmp_gt_i32 s0, 3
	s_cbranch_scc0 .LBB150_656
; %bb.653:
	s_wait_loadcnt 0x0
	global_load_b64 v[4:5], v[0:1], off
	s_mov_b32 s23, 0
	s_wait_loadcnt 0x0
	v_xor_b32_e32 v7, v4, v5
	v_cls_i32_e32 v8, v5
	s_delay_alu instid0(VALU_DEP_2) | instskip(NEXT) | instid1(VALU_DEP_1)
	v_ashrrev_i32_e32 v7, 31, v7
	v_add_nc_u32_e32 v7, 32, v7
	s_delay_alu instid0(VALU_DEP_1) | instskip(NEXT) | instid1(VALU_DEP_1)
	v_add_min_u32_e64 v7, v8, -1, v7
	v_lshlrev_b64_e32 v[4:5], v7, v[4:5]
	s_delay_alu instid0(VALU_DEP_1) | instskip(NEXT) | instid1(VALU_DEP_1)
	v_min_u32_e32 v4, 1, v4
	v_dual_sub_nc_u32 v5, 32, v7 :: v_dual_bitop2_b32 v4, v5, v4 bitop3:0x54
	s_delay_alu instid0(VALU_DEP_1) | instskip(NEXT) | instid1(VALU_DEP_1)
	v_cvt_f32_i32_e32 v4, v4
	v_ldexp_f32 v4, v4, v5
	s_delay_alu instid0(VALU_DEP_1)
	v_cvt_f16_f32_e32 v4, v4
	s_branch .LBB150_657
.LBB150_654:
	s_mov_b32 s23, -1
                                        ; implicit-def: $vgpr4
	s_branch .LBB150_663
.LBB150_655:
	s_mov_b32 s23, -1
                                        ; implicit-def: $vgpr4
	s_branch .LBB150_660
.LBB150_656:
	s_mov_b32 s23, -1
                                        ; implicit-def: $vgpr4
.LBB150_657:
	s_delay_alu instid0(SALU_CYCLE_1)
	s_and_not1_b32 vcc_lo, exec_lo, s23
	s_cbranch_vccnz .LBB150_659
; %bb.658:
	s_wait_loadcnt 0x0
	global_load_b32 v4, v[0:1], off
	s_wait_loadcnt 0x0
	v_cvt_f32_i32_e32 v4, v4
	s_delay_alu instid0(VALU_DEP_1)
	v_cvt_f16_f32_e32 v4, v4
.LBB150_659:
	s_mov_b32 s23, 0
.LBB150_660:
	s_delay_alu instid0(SALU_CYCLE_1)
	s_and_not1_b32 vcc_lo, exec_lo, s23
	s_cbranch_vccnz .LBB150_662
; %bb.661:
	s_wait_loadcnt 0x0
	global_load_u16 v4, v[0:1], off
	s_wait_loadcnt 0x0
	v_cvt_f16_i16_e32 v4, v4
.LBB150_662:
	s_mov_b32 s23, 0
.LBB150_663:
	s_delay_alu instid0(SALU_CYCLE_1)
	s_and_not1_b32 vcc_lo, exec_lo, s23
	s_cbranch_vccnz .LBB150_669
; %bb.664:
	s_cmp_gt_i32 s0, 0
	s_mov_b32 s0, 0
	s_cbranch_scc0 .LBB150_666
; %bb.665:
	s_wait_loadcnt 0x0
	global_load_i8 v4, v[0:1], off
	s_wait_loadcnt 0x0
	v_cvt_f16_i16_e32 v4, v4
	s_branch .LBB150_667
.LBB150_666:
	s_mov_b32 s0, -1
                                        ; implicit-def: $vgpr4
.LBB150_667:
	s_delay_alu instid0(SALU_CYCLE_1)
	s_and_not1_b32 vcc_lo, exec_lo, s0
	s_cbranch_vccnz .LBB150_669
; %bb.668:
	global_load_u8 v0, v[0:1], off
	s_wait_loadcnt 0x0
	v_cvt_f16_u16_e32 v4, v0
.LBB150_669:
	v_mov_b32_e32 v5, 0
.LBB150_670:
	s_mov_b32 s26, -1
.LBB150_671:
	s_delay_alu instid0(SALU_CYCLE_1)
	s_and_not1_b32 vcc_lo, exec_lo, s26
	s_cbranch_vccnz .LBB150_674
; %bb.672:
	s_and_not1_b32 vcc_lo, exec_lo, s16
	s_cbranch_vccnz .LBB150_675
; %bb.673:
	s_wait_loadcnt 0x0
	v_cmp_neq_f16_e32 vcc_lo, v2, v4
	v_cmp_neq_f16_e64 s0, v3, v5
	s_or_b32 s23, vcc_lo, s0
	s_mov_b32 s0, 0
	s_branch .LBB150_676
.LBB150_674:
	s_mov_b32 s26, 0
	s_mov_b32 s0, s18
	s_branch .LBB150_801
.LBB150_675:
	s_mov_b32 s0, -1
                                        ; implicit-def: $sgpr23
.LBB150_676:
	s_delay_alu instid0(SALU_CYCLE_1)
	s_and_not1_b32 vcc_lo, exec_lo, s0
	s_cbranch_vccnz .LBB150_678
; %bb.677:
	s_wait_loadcnt 0x0
	v_cmp_eq_f16_e32 vcc_lo, v2, v4
	v_cmp_eq_f16_e64 s0, v3, v5
	s_and_not1_b32 s23, s23, exec_lo
	s_and_b32 s0, vcc_lo, s0
	s_delay_alu instid0(SALU_CYCLE_1) | instskip(NEXT) | instid1(SALU_CYCLE_1)
	s_and_b32 s0, s0, exec_lo
	s_or_b32 s23, s23, s0
.LBB150_678:
	s_wait_xcnt 0x0
	v_mul_lo_u32 v0, v6, s8
	s_and_b32 s26, s12, 0xff
	s_delay_alu instid0(SALU_CYCLE_1) | instskip(NEXT) | instid1(VALU_DEP_1)
	s_cmp_lt_i32 s26, 11
	v_ashrrev_i32_e32 v1, 31, v0
	s_delay_alu instid0(VALU_DEP_1)
	v_add_nc_u64_e32 v[0:1], s[4:5], v[0:1]
	s_cbranch_scc1 .LBB150_685
; %bb.679:
	s_and_b32 s27, 0xffff, s26
	s_delay_alu instid0(SALU_CYCLE_1)
	s_cmp_gt_i32 s27, 25
	s_cbranch_scc0 .LBB150_686
; %bb.680:
	s_cmp_gt_i32 s27, 28
	s_cbranch_scc0 .LBB150_687
; %bb.681:
	;; [unrolled: 3-line block ×4, first 2 shown]
	s_mov_b32 s29, 0
	s_mov_b32 s0, -1
	s_cmp_eq_u32 s27, 46
	s_mov_b32 s28, 0
	s_cbranch_scc0 .LBB150_690
; %bb.684:
	s_wait_loadcnt 0x0
	v_cndmask_b32_e64 v2, 0, 1.0, s23
	s_mov_b32 s28, -1
	s_mov_b32 s0, 0
	s_delay_alu instid0(VALU_DEP_1) | instskip(NEXT) | instid1(VALU_DEP_1)
	v_bfe_u32 v3, v2, 16, 1
	v_add3_u32 v2, v2, v3, 0x7fff
	s_delay_alu instid0(VALU_DEP_1)
	v_lshrrev_b32_e32 v2, 16, v2
	global_store_b32 v[0:1], v2, off
	s_branch .LBB150_690
.LBB150_685:
	s_mov_b32 s27, -1
	s_mov_b32 s28, 0
	s_mov_b32 s0, s18
	s_branch .LBB150_759
.LBB150_686:
	s_mov_b32 s29, -1
	s_mov_b32 s28, 0
	s_mov_b32 s0, s18
	s_branch .LBB150_717
.LBB150_687:
	s_mov_b32 s29, -1
	s_mov_b32 s28, 0
	s_mov_b32 s0, s18
	s_branch .LBB150_700
.LBB150_688:
	s_mov_b32 s29, -1
	s_mov_b32 s28, 0
	s_mov_b32 s0, s18
	s_branch .LBB150_696
.LBB150_689:
	s_mov_b32 s29, -1
	s_mov_b32 s28, 0
	s_mov_b32 s0, s18
.LBB150_690:
	s_and_b32 vcc_lo, exec_lo, s29
	s_cbranch_vccz .LBB150_695
; %bb.691:
	s_cmp_eq_u32 s27, 44
	s_mov_b32 s0, -1
	s_cbranch_scc0 .LBB150_695
; %bb.692:
	s_wait_loadcnt 0x0
	v_cndmask_b32_e64 v4, 0, 1.0, s23
	s_mov_b32 s28, exec_lo
	s_wait_xcnt 0x0
	s_delay_alu instid0(VALU_DEP_1) | instskip(NEXT) | instid1(VALU_DEP_1)
	v_dual_mov_b32 v3, 0xff :: v_dual_lshrrev_b32 v2, 23, v4
	v_cmpx_ne_u32_e32 0xff, v2
; %bb.693:
	v_and_b32_e32 v3, 0x400000, v4
	v_and_or_b32 v4, 0x3fffff, v4, v2
	s_delay_alu instid0(VALU_DEP_2) | instskip(NEXT) | instid1(VALU_DEP_2)
	v_cmp_ne_u32_e32 vcc_lo, 0, v3
	v_cmp_ne_u32_e64 s0, 0, v4
	s_and_b32 s0, vcc_lo, s0
	s_delay_alu instid0(SALU_CYCLE_1) | instskip(NEXT) | instid1(VALU_DEP_1)
	v_cndmask_b32_e64 v3, 0, 1, s0
	v_add_nc_u32_e32 v3, v2, v3
; %bb.694:
	s_or_b32 exec_lo, exec_lo, s28
	s_mov_b32 s28, -1
	s_mov_b32 s0, 0
	global_store_b8 v[0:1], v3, off
.LBB150_695:
	s_mov_b32 s29, 0
.LBB150_696:
	s_delay_alu instid0(SALU_CYCLE_1)
	s_and_b32 vcc_lo, exec_lo, s29
	s_cbranch_vccz .LBB150_699
; %bb.697:
	s_cmp_eq_u32 s27, 29
	s_mov_b32 s0, -1
	s_cbranch_scc0 .LBB150_699
; %bb.698:
	s_mov_b32 s0, 0
	s_wait_loadcnt 0x0
	v_cndmask_b32_e64 v2, 0, 1, s23
	v_mov_b32_e32 v3, s0
	s_mov_b32 s28, -1
	s_mov_b32 s29, 0
	global_store_b64 v[0:1], v[2:3], off
	s_branch .LBB150_700
.LBB150_699:
	s_mov_b32 s29, 0
.LBB150_700:
	s_delay_alu instid0(SALU_CYCLE_1)
	s_and_b32 vcc_lo, exec_lo, s29
	s_cbranch_vccz .LBB150_716
; %bb.701:
	s_cmp_lt_i32 s27, 27
	s_mov_b32 s28, -1
	s_cbranch_scc1 .LBB150_707
; %bb.702:
	s_cmp_gt_i32 s27, 27
	s_cbranch_scc0 .LBB150_704
; %bb.703:
	s_wait_loadcnt 0x0
	v_cndmask_b32_e64 v2, 0, 1, s23
	s_mov_b32 s28, 0
	global_store_b32 v[0:1], v2, off
.LBB150_704:
	s_and_not1_b32 vcc_lo, exec_lo, s28
	s_cbranch_vccnz .LBB150_706
; %bb.705:
	s_wait_loadcnt 0x0
	v_cndmask_b32_e64 v2, 0, 1, s23
	global_store_b16 v[0:1], v2, off
.LBB150_706:
	s_mov_b32 s28, 0
.LBB150_707:
	s_delay_alu instid0(SALU_CYCLE_1)
	s_and_not1_b32 vcc_lo, exec_lo, s28
	s_cbranch_vccnz .LBB150_715
; %bb.708:
	s_wait_xcnt 0x0
	v_cndmask_b32_e64 v3, 0, 1.0, s23
	s_wait_loadcnt 0x0
	v_mov_b32_e32 v4, 0x80
	s_mov_b32 s28, exec_lo
	s_delay_alu instid0(VALU_DEP_2)
	v_cmpx_gt_u32_e32 0x43800000, v3
	s_cbranch_execz .LBB150_714
; %bb.709:
	s_mov_b32 s29, 0
	s_mov_b32 s30, exec_lo
                                        ; implicit-def: $vgpr2
	v_cmpx_lt_u32_e32 0x3bffffff, v3
	s_xor_b32 s30, exec_lo, s30
	s_cbranch_execz .LBB150_817
; %bb.710:
	v_bfe_u32 v2, v3, 20, 1
	s_mov_b32 s29, exec_lo
	s_delay_alu instid0(VALU_DEP_1) | instskip(NEXT) | instid1(VALU_DEP_1)
	v_add3_u32 v2, v3, v2, 0x487ffff
                                        ; implicit-def: $vgpr3
	v_lshrrev_b32_e32 v2, 20, v2
	s_and_not1_saveexec_b32 s30, s30
	s_cbranch_execnz .LBB150_818
.LBB150_711:
	s_or_b32 exec_lo, exec_lo, s30
	v_mov_b32_e32 v4, 0
	s_and_saveexec_b32 s30, s29
.LBB150_712:
	v_mov_b32_e32 v4, v2
.LBB150_713:
	s_or_b32 exec_lo, exec_lo, s30
.LBB150_714:
	s_delay_alu instid0(SALU_CYCLE_1)
	s_or_b32 exec_lo, exec_lo, s28
	global_store_b8 v[0:1], v4, off
.LBB150_715:
	s_mov_b32 s28, -1
.LBB150_716:
	s_mov_b32 s29, 0
.LBB150_717:
	s_delay_alu instid0(SALU_CYCLE_1)
	s_and_b32 vcc_lo, exec_lo, s29
	s_cbranch_vccz .LBB150_758
; %bb.718:
	s_cmp_gt_i32 s27, 22
	s_mov_b32 s29, -1
	s_cbranch_scc0 .LBB150_750
; %bb.719:
	s_cmp_lt_i32 s27, 24
	s_mov_b32 s28, -1
	s_cbranch_scc1 .LBB150_739
; %bb.720:
	s_cmp_gt_i32 s27, 24
	s_cbranch_scc0 .LBB150_728
; %bb.721:
	s_wait_xcnt 0x0
	v_cndmask_b32_e64 v3, 0, 1.0, s23
	s_wait_loadcnt 0x0
	v_mov_b32_e32 v4, 0x80
	s_mov_b32 s28, exec_lo
	s_delay_alu instid0(VALU_DEP_2)
	v_cmpx_gt_u32_e32 0x47800000, v3
	s_cbranch_execz .LBB150_727
; %bb.722:
	s_mov_b32 s29, 0
	s_mov_b32 s30, exec_lo
                                        ; implicit-def: $vgpr2
	v_cmpx_lt_u32_e32 0x37ffffff, v3
	s_xor_b32 s30, exec_lo, s30
	s_cbranch_execz .LBB150_954
; %bb.723:
	v_bfe_u32 v2, v3, 21, 1
	s_mov_b32 s29, exec_lo
	s_delay_alu instid0(VALU_DEP_1) | instskip(NEXT) | instid1(VALU_DEP_1)
	v_add3_u32 v2, v3, v2, 0x88fffff
                                        ; implicit-def: $vgpr3
	v_lshrrev_b32_e32 v2, 21, v2
	s_and_not1_saveexec_b32 s30, s30
	s_cbranch_execnz .LBB150_955
.LBB150_724:
	s_or_b32 exec_lo, exec_lo, s30
	v_mov_b32_e32 v4, 0
	s_and_saveexec_b32 s30, s29
.LBB150_725:
	v_mov_b32_e32 v4, v2
.LBB150_726:
	s_or_b32 exec_lo, exec_lo, s30
.LBB150_727:
	s_delay_alu instid0(SALU_CYCLE_1)
	s_or_b32 exec_lo, exec_lo, s28
	s_mov_b32 s28, 0
	global_store_b8 v[0:1], v4, off
.LBB150_728:
	s_and_b32 vcc_lo, exec_lo, s28
	s_cbranch_vccz .LBB150_738
; %bb.729:
	s_wait_xcnt 0x0
	v_cndmask_b32_e64 v3, 0, 1.0, s23
	s_mov_b32 s28, exec_lo
                                        ; implicit-def: $vgpr2
	s_delay_alu instid0(VALU_DEP_1)
	v_cmpx_gt_u32_e32 0x43f00000, v3
	s_xor_b32 s28, exec_lo, s28
	s_cbranch_execz .LBB150_735
; %bb.730:
	s_mov_b32 s29, exec_lo
                                        ; implicit-def: $vgpr2
	v_cmpx_lt_u32_e32 0x3c7fffff, v3
	s_xor_b32 s29, exec_lo, s29
	s_cbranch_execz .LBB150_732
; %bb.731:
	s_wait_loadcnt 0x0
	v_bfe_u32 v2, v3, 20, 1
	s_delay_alu instid0(VALU_DEP_1) | instskip(NEXT) | instid1(VALU_DEP_1)
	v_add3_u32 v2, v3, v2, 0x407ffff
	v_and_b32_e32 v3, 0xff00000, v2
	v_lshrrev_b32_e32 v2, 20, v2
	s_delay_alu instid0(VALU_DEP_2) | instskip(NEXT) | instid1(VALU_DEP_2)
	v_cmp_ne_u32_e32 vcc_lo, 0x7f00000, v3
                                        ; implicit-def: $vgpr3
	v_cndmask_b32_e32 v2, 0x7e, v2, vcc_lo
.LBB150_732:
	s_and_not1_saveexec_b32 s29, s29
	s_cbranch_execz .LBB150_734
; %bb.733:
	s_wait_loadcnt 0x0
	v_add_f32_e32 v2, 0x46800000, v3
.LBB150_734:
	s_or_b32 exec_lo, exec_lo, s29
                                        ; implicit-def: $vgpr3
.LBB150_735:
	s_and_not1_saveexec_b32 s28, s28
	s_cbranch_execz .LBB150_737
; %bb.736:
	s_wait_loadcnt 0x0
	v_mov_b32_e32 v2, 0x7f
	v_cmp_lt_u32_e32 vcc_lo, 0x7f800000, v3
	s_delay_alu instid0(VALU_DEP_2)
	v_cndmask_b32_e32 v2, 0x7e, v2, vcc_lo
.LBB150_737:
	s_or_b32 exec_lo, exec_lo, s28
	s_wait_loadcnt 0x0
	global_store_b8 v[0:1], v2, off
.LBB150_738:
	s_mov_b32 s28, 0
.LBB150_739:
	s_delay_alu instid0(SALU_CYCLE_1)
	s_and_not1_b32 vcc_lo, exec_lo, s28
	s_cbranch_vccnz .LBB150_749
; %bb.740:
	s_wait_xcnt 0x0
	v_cndmask_b32_e64 v3, 0, 1.0, s23
	s_mov_b32 s28, exec_lo
                                        ; implicit-def: $vgpr2
	s_delay_alu instid0(VALU_DEP_1)
	v_cmpx_gt_u32_e32 0x47800000, v3
	s_xor_b32 s28, exec_lo, s28
	s_cbranch_execz .LBB150_746
; %bb.741:
	s_mov_b32 s29, exec_lo
                                        ; implicit-def: $vgpr2
	v_cmpx_lt_u32_e32 0x387fffff, v3
	s_xor_b32 s29, exec_lo, s29
	s_cbranch_execz .LBB150_743
; %bb.742:
	s_wait_loadcnt 0x0
	v_bfe_u32 v2, v3, 21, 1
	s_delay_alu instid0(VALU_DEP_1) | instskip(NEXT) | instid1(VALU_DEP_1)
	v_add3_u32 v2, v3, v2, 0x80fffff
                                        ; implicit-def: $vgpr3
	v_lshrrev_b32_e32 v2, 21, v2
.LBB150_743:
	s_and_not1_saveexec_b32 s29, s29
	s_cbranch_execz .LBB150_745
; %bb.744:
	s_wait_loadcnt 0x0
	v_add_f32_e32 v2, 0x43000000, v3
.LBB150_745:
	s_or_b32 exec_lo, exec_lo, s29
                                        ; implicit-def: $vgpr3
.LBB150_746:
	s_and_not1_saveexec_b32 s28, s28
	s_cbranch_execz .LBB150_748
; %bb.747:
	s_wait_loadcnt 0x0
	v_mov_b32_e32 v2, 0x7f
	v_cmp_lt_u32_e32 vcc_lo, 0x7f800000, v3
	s_delay_alu instid0(VALU_DEP_2)
	v_cndmask_b32_e32 v2, 0x7c, v2, vcc_lo
.LBB150_748:
	s_or_b32 exec_lo, exec_lo, s28
	s_wait_loadcnt 0x0
	global_store_b8 v[0:1], v2, off
.LBB150_749:
	s_mov_b32 s29, 0
	s_mov_b32 s28, -1
.LBB150_750:
	s_and_not1_b32 vcc_lo, exec_lo, s29
	s_cbranch_vccnz .LBB150_758
; %bb.751:
	s_cmp_gt_i32 s27, 14
	s_mov_b32 s29, -1
	s_cbranch_scc0 .LBB150_755
; %bb.752:
	s_cmp_eq_u32 s27, 15
	s_mov_b32 s0, -1
	s_cbranch_scc0 .LBB150_754
; %bb.753:
	s_wait_loadcnt 0x0
	v_cndmask_b32_e64 v2, 0, 1.0, s23
	s_mov_b32 s28, -1
	s_mov_b32 s0, 0
	s_delay_alu instid0(VALU_DEP_1) | instskip(NEXT) | instid1(VALU_DEP_1)
	v_bfe_u32 v3, v2, 16, 1
	v_add3_u32 v2, v2, v3, 0x7fff
	global_store_d16_hi_b16 v[0:1], v2, off
.LBB150_754:
	s_mov_b32 s29, 0
.LBB150_755:
	s_delay_alu instid0(SALU_CYCLE_1)
	s_and_b32 vcc_lo, exec_lo, s29
	s_cbranch_vccz .LBB150_758
; %bb.756:
	s_cmp_eq_u32 s27, 11
	s_mov_b32 s0, -1
	s_cbranch_scc0 .LBB150_758
; %bb.757:
	s_wait_loadcnt 0x0
	v_cndmask_b32_e64 v2, 0, 1, s23
	s_mov_b32 s28, -1
	s_mov_b32 s0, 0
	global_store_b8 v[0:1], v2, off
.LBB150_758:
	s_mov_b32 s27, 0
.LBB150_759:
	s_delay_alu instid0(SALU_CYCLE_1)
	s_and_b32 vcc_lo, exec_lo, s27
	s_cbranch_vccz .LBB150_798
; %bb.760:
	s_and_b32 s26, 0xffff, s26
	s_mov_b32 s27, -1
	s_cmp_lt_i32 s26, 5
	s_cbranch_scc1 .LBB150_781
; %bb.761:
	s_cmp_lt_i32 s26, 8
	s_cbranch_scc1 .LBB150_771
; %bb.762:
	;; [unrolled: 3-line block ×3, first 2 shown]
	s_cmp_gt_i32 s26, 9
	s_cbranch_scc0 .LBB150_765
; %bb.764:
	s_wait_loadcnt 0x0
	v_cndmask_b32_e64 v2, 0, 1, s23
	v_mov_b32_e32 v4, 0
	s_mov_b32 s27, 0
	s_delay_alu instid0(VALU_DEP_2) | instskip(NEXT) | instid1(VALU_DEP_2)
	v_cvt_f64_u32_e32 v[2:3], v2
	v_mov_b32_e32 v5, v4
	global_store_b128 v[0:1], v[2:5], off
.LBB150_765:
	s_and_not1_b32 vcc_lo, exec_lo, s27
	s_cbranch_vccnz .LBB150_767
; %bb.766:
	s_wait_loadcnt 0x0
	v_cndmask_b32_e64 v2, 0, 1.0, s23
	v_mov_b32_e32 v3, 0
	global_store_b64 v[0:1], v[2:3], off
.LBB150_767:
	s_mov_b32 s27, 0
.LBB150_768:
	s_delay_alu instid0(SALU_CYCLE_1)
	s_and_not1_b32 vcc_lo, exec_lo, s27
	s_cbranch_vccnz .LBB150_770
; %bb.769:
	s_wait_loadcnt 0x0
	v_cndmask_b32_e64 v2, 0, 1.0, s23
	s_delay_alu instid0(VALU_DEP_1) | instskip(NEXT) | instid1(VALU_DEP_1)
	v_cvt_f16_f32_e32 v2, v2
	v_and_b32_e32 v2, 0xffff, v2
	global_store_b32 v[0:1], v2, off
.LBB150_770:
	s_mov_b32 s27, 0
.LBB150_771:
	s_delay_alu instid0(SALU_CYCLE_1)
	s_and_not1_b32 vcc_lo, exec_lo, s27
	s_cbranch_vccnz .LBB150_780
; %bb.772:
	s_cmp_lt_i32 s26, 6
	s_mov_b32 s27, -1
	s_cbranch_scc1 .LBB150_778
; %bb.773:
	s_cmp_gt_i32 s26, 6
	s_cbranch_scc0 .LBB150_775
; %bb.774:
	s_wait_loadcnt 0x0
	v_cndmask_b32_e64 v2, 0, 1, s23
	s_mov_b32 s27, 0
	s_delay_alu instid0(VALU_DEP_1)
	v_cvt_f64_u32_e32 v[2:3], v2
	global_store_b64 v[0:1], v[2:3], off
.LBB150_775:
	s_and_not1_b32 vcc_lo, exec_lo, s27
	s_cbranch_vccnz .LBB150_777
; %bb.776:
	s_wait_loadcnt 0x0
	v_cndmask_b32_e64 v2, 0, 1.0, s23
	global_store_b32 v[0:1], v2, off
.LBB150_777:
	s_mov_b32 s27, 0
.LBB150_778:
	s_delay_alu instid0(SALU_CYCLE_1)
	s_and_not1_b32 vcc_lo, exec_lo, s27
	s_cbranch_vccnz .LBB150_780
; %bb.779:
	s_wait_loadcnt 0x0
	v_cndmask_b32_e64 v2, 0, 1.0, s23
	s_delay_alu instid0(VALU_DEP_1)
	v_cvt_f16_f32_e32 v2, v2
	global_store_b16 v[0:1], v2, off
.LBB150_780:
	s_mov_b32 s27, 0
.LBB150_781:
	s_delay_alu instid0(SALU_CYCLE_1)
	s_and_not1_b32 vcc_lo, exec_lo, s27
	s_cbranch_vccnz .LBB150_797
; %bb.782:
	s_cmp_lt_i32 s26, 2
	s_mov_b32 s27, -1
	s_cbranch_scc1 .LBB150_792
; %bb.783:
	s_cmp_lt_i32 s26, 3
	s_cbranch_scc1 .LBB150_789
; %bb.784:
	s_cmp_gt_i32 s26, 3
	s_cbranch_scc0 .LBB150_786
; %bb.785:
	s_mov_b32 s27, 0
	s_wait_loadcnt 0x0
	v_cndmask_b32_e64 v2, 0, 1, s23
	v_mov_b32_e32 v3, s27
	global_store_b64 v[0:1], v[2:3], off
.LBB150_786:
	s_and_not1_b32 vcc_lo, exec_lo, s27
	s_cbranch_vccnz .LBB150_788
; %bb.787:
	s_wait_loadcnt 0x0
	v_cndmask_b32_e64 v2, 0, 1, s23
	global_store_b32 v[0:1], v2, off
.LBB150_788:
	s_mov_b32 s27, 0
.LBB150_789:
	s_delay_alu instid0(SALU_CYCLE_1)
	s_and_not1_b32 vcc_lo, exec_lo, s27
	s_cbranch_vccnz .LBB150_791
; %bb.790:
	s_wait_loadcnt 0x0
	v_cndmask_b32_e64 v2, 0, 1, s23
	global_store_b16 v[0:1], v2, off
.LBB150_791:
	s_mov_b32 s27, 0
.LBB150_792:
	s_delay_alu instid0(SALU_CYCLE_1)
	s_and_not1_b32 vcc_lo, exec_lo, s27
	s_cbranch_vccnz .LBB150_797
; %bb.793:
	s_wait_loadcnt 0x0
	v_cndmask_b32_e64 v2, 0, 1, s23
	s_cmp_gt_i32 s26, 0
	s_mov_b32 s23, -1
	s_cbranch_scc0 .LBB150_795
; %bb.794:
	s_mov_b32 s23, 0
	global_store_b8 v[0:1], v2, off
.LBB150_795:
	s_and_not1_b32 vcc_lo, exec_lo, s23
	s_cbranch_vccnz .LBB150_797
; %bb.796:
	global_store_b8 v[0:1], v2, off
.LBB150_797:
	s_mov_b32 s28, -1
.LBB150_798:
	s_delay_alu instid0(SALU_CYCLE_1)
	s_and_not1_b32 vcc_lo, exec_lo, s28
	s_cbranch_vccnz .LBB150_800
; %bb.799:
	v_add_nc_u32_e32 v6, 0x80, v6
	s_mov_b32 s26, -1
	s_branch .LBB150_802
.LBB150_800:
	s_mov_b32 s26, 0
.LBB150_801:
                                        ; implicit-def: $vgpr6
.LBB150_802:
	s_and_not1_b32 s23, s18, exec_lo
	s_and_b32 s0, s0, exec_lo
	s_and_b32 s24, s24, exec_lo
	s_or_b32 s23, s23, s0
	s_and_not1_b32 s0, s19, exec_lo
	s_and_not1_b32 s27, s20, exec_lo
	s_and_b32 s22, s22, exec_lo
	s_or_b32 s24, s0, s24
	s_or_b32 s22, s27, s22
	s_or_not1_b32 s27, s26, exec_lo
.LBB150_803:
	s_wait_xcnt 0x0
	s_or_b32 exec_lo, exec_lo, s25
	s_mov_b32 s26, 0
	s_mov_b32 s28, 0
	;; [unrolled: 1-line block ×3, first 2 shown]
                                        ; implicit-def: $sgpr0
                                        ; implicit-def: $vgpr0_vgpr1
                                        ; implicit-def: $vgpr3
                                        ; implicit-def: $vgpr2
	s_and_saveexec_b32 s25, s27
	s_cbranch_execz .LBB150_1296
; %bb.804:
	s_mov_b32 s34, -1
	s_mov_b32 s27, s22
	s_mov_b32 s28, s24
	;; [unrolled: 1-line block ×3, first 2 shown]
	s_mov_b32 s26, exec_lo
	v_cmpx_gt_i32_e64 s17, v6
	s_cbranch_execz .LBB150_1209
; %bb.805:
	v_mul_lo_u32 v0, v6, s9
	s_and_b32 s0, s14, 0xff
	s_delay_alu instid0(SALU_CYCLE_1) | instskip(NEXT) | instid1(VALU_DEP_1)
	s_cmp_lt_i32 s0, 11
	v_ashrrev_i32_e32 v1, 31, v0
	s_delay_alu instid0(VALU_DEP_1)
	v_add_nc_u64_e32 v[0:1], s[6:7], v[0:1]
	s_cbranch_scc1 .LBB150_812
; %bb.806:
	s_and_b32 s28, 0xffff, s0
	s_delay_alu instid0(SALU_CYCLE_1)
	s_cmp_gt_i32 s28, 25
	s_cbranch_scc0 .LBB150_813
; %bb.807:
	s_cmp_gt_i32 s28, 28
	s_cbranch_scc0 .LBB150_814
; %bb.808:
	;; [unrolled: 3-line block ×4, first 2 shown]
	s_cmp_eq_u32 s28, 46
	s_mov_b32 s30, 0
	s_cbranch_scc0 .LBB150_819
; %bb.811:
	s_wait_loadcnt 0x0
	global_load_b32 v2, v[0:1], off
	s_mov_b32 s29, -1
	s_mov_b32 s27, 0
	s_wait_loadcnt 0x0
	v_lshlrev_b32_e32 v3, 16, v2
	v_and_b32_e32 v4, 0xffff0000, v2
	s_delay_alu instid0(VALU_DEP_2) | instskip(NEXT) | instid1(VALU_DEP_2)
	v_cvt_f16_f32_e32 v2, v3
	v_cvt_f16_f32_e32 v3, v4
	s_branch .LBB150_821
.LBB150_812:
	s_mov_b32 s28, -1
	s_mov_b32 s29, 0
	s_mov_b32 s27, s22
                                        ; implicit-def: $vgpr3
                                        ; implicit-def: $vgpr2
	s_branch .LBB150_889
.LBB150_813:
	s_mov_b32 s30, -1
	s_mov_b32 s29, 0
	s_mov_b32 s27, s22
                                        ; implicit-def: $vgpr3
                                        ; implicit-def: $vgpr2
	s_branch .LBB150_852
.LBB150_814:
	s_mov_b32 s30, -1
	s_mov_b32 s29, 0
	s_mov_b32 s27, s22
                                        ; implicit-def: $vgpr3
                                        ; implicit-def: $vgpr2
	s_branch .LBB150_833
.LBB150_815:
	s_mov_b32 s30, -1
	s_mov_b32 s29, 0
	s_mov_b32 s27, s22
                                        ; implicit-def: $vgpr3
                                        ; implicit-def: $vgpr2
	s_branch .LBB150_827
.LBB150_816:
	s_mov_b32 s30, -1
	s_mov_b32 s29, 0
	s_mov_b32 s27, s22
	s_branch .LBB150_820
.LBB150_817:
	s_and_not1_saveexec_b32 s30, s30
	s_cbranch_execz .LBB150_711
.LBB150_818:
	v_add_f32_e32 v2, 0x46000000, v3
	s_and_not1_b32 s29, s29, exec_lo
	s_delay_alu instid0(VALU_DEP_1) | instskip(NEXT) | instid1(VALU_DEP_1)
	v_and_b32_e32 v2, 0xff, v2
	v_cmp_ne_u32_e32 vcc_lo, 0, v2
	s_and_b32 s31, vcc_lo, exec_lo
	s_delay_alu instid0(SALU_CYCLE_1)
	s_or_b32 s29, s29, s31
	s_or_b32 exec_lo, exec_lo, s30
	v_mov_b32_e32 v4, 0
	s_and_saveexec_b32 s30, s29
	s_cbranch_execnz .LBB150_712
	s_branch .LBB150_713
.LBB150_819:
	s_mov_b32 s27, -1
	s_mov_b32 s29, 0
.LBB150_820:
                                        ; implicit-def: $vgpr3
                                        ; implicit-def: $vgpr2
.LBB150_821:
	s_and_b32 vcc_lo, exec_lo, s30
	s_cbranch_vccz .LBB150_826
; %bb.822:
	s_cmp_eq_u32 s28, 44
	s_cbranch_scc0 .LBB150_824
; %bb.823:
	s_wait_loadcnt 0x0
	global_load_u8 v2, v[0:1], off
	s_mov_b32 s27, 0
	s_mov_b32 s29, -1
	s_wait_loadcnt 0x0
	v_lshlrev_b32_e32 v3, 23, v2
	v_cmp_ne_u32_e32 vcc_lo, 0xff, v2
	s_delay_alu instid0(VALU_DEP_2) | instskip(NEXT) | instid1(VALU_DEP_1)
	v_cvt_f16_f32_e32 v3, v3
	v_cndmask_b32_e32 v3, 0x7e00, v3, vcc_lo
	v_cmp_ne_u32_e32 vcc_lo, 0, v2
	s_delay_alu instid0(VALU_DEP_2)
	v_cndmask_b32_e32 v2, 0, v3, vcc_lo
	s_branch .LBB150_825
.LBB150_824:
	s_mov_b32 s27, -1
                                        ; implicit-def: $vgpr2
.LBB150_825:
	v_mov_b32_e32 v3, 0
.LBB150_826:
	s_mov_b32 s30, 0
.LBB150_827:
	s_delay_alu instid0(SALU_CYCLE_1)
	s_and_b32 vcc_lo, exec_lo, s30
	s_cbranch_vccz .LBB150_832
; %bb.828:
	s_cmp_eq_u32 s28, 29
	s_cbranch_scc0 .LBB150_830
; %bb.829:
	s_wait_loadcnt 0x0
	global_load_b64 v[2:3], v[0:1], off
	s_mov_b32 s29, -1
	s_mov_b32 s27, 0
	s_wait_loadcnt 0x0
	v_clz_i32_u32_e32 v4, v3
	s_delay_alu instid0(VALU_DEP_1) | instskip(NEXT) | instid1(VALU_DEP_1)
	v_min_u32_e32 v4, 32, v4
	v_lshlrev_b64_e32 v[2:3], v4, v[2:3]
	s_delay_alu instid0(VALU_DEP_1) | instskip(NEXT) | instid1(VALU_DEP_1)
	v_min_u32_e32 v2, 1, v2
	v_dual_sub_nc_u32 v3, 32, v4 :: v_dual_bitop2_b32 v2, v3, v2 bitop3:0x54
	s_delay_alu instid0(VALU_DEP_1) | instskip(NEXT) | instid1(VALU_DEP_1)
	v_cvt_f32_u32_e32 v2, v2
	v_ldexp_f32 v2, v2, v3
	s_delay_alu instid0(VALU_DEP_1)
	v_cvt_f16_f32_e32 v2, v2
	s_branch .LBB150_831
.LBB150_830:
	s_mov_b32 s27, -1
                                        ; implicit-def: $vgpr2
.LBB150_831:
	v_mov_b32_e32 v3, 0
.LBB150_832:
	s_mov_b32 s30, 0
.LBB150_833:
	s_delay_alu instid0(SALU_CYCLE_1)
	s_and_b32 vcc_lo, exec_lo, s30
	s_cbranch_vccz .LBB150_851
; %bb.834:
	s_cmp_lt_i32 s28, 27
	s_cbranch_scc1 .LBB150_837
; %bb.835:
	s_cmp_gt_i32 s28, 27
	s_cbranch_scc0 .LBB150_838
; %bb.836:
	s_wait_loadcnt 0x0
	global_load_b32 v2, v[0:1], off
	s_mov_b32 s29, 0
	s_wait_loadcnt 0x0
	v_cvt_f32_u32_e32 v2, v2
	s_delay_alu instid0(VALU_DEP_1)
	v_cvt_f16_f32_e32 v2, v2
	s_branch .LBB150_839
.LBB150_837:
	s_mov_b32 s29, -1
                                        ; implicit-def: $vgpr2
	s_branch .LBB150_842
.LBB150_838:
	s_mov_b32 s29, -1
                                        ; implicit-def: $vgpr2
.LBB150_839:
	s_delay_alu instid0(SALU_CYCLE_1)
	s_and_not1_b32 vcc_lo, exec_lo, s29
	s_cbranch_vccnz .LBB150_841
; %bb.840:
	s_wait_loadcnt 0x0
	global_load_u16 v2, v[0:1], off
	s_wait_loadcnt 0x0
	v_cvt_f16_u16_e32 v2, v2
.LBB150_841:
	s_mov_b32 s29, 0
.LBB150_842:
	s_delay_alu instid0(SALU_CYCLE_1)
	s_and_not1_b32 vcc_lo, exec_lo, s29
	s_cbranch_vccnz .LBB150_850
; %bb.843:
	global_load_u8 v3, v[0:1], off
	s_mov_b32 s29, 0
	s_mov_b32 s30, exec_lo
	s_wait_loadcnt 0x0
	v_cmpx_lt_i16_e32 0x7f, v3
	s_xor_b32 s30, exec_lo, s30
	s_cbranch_execz .LBB150_864
; %bb.844:
	s_mov_b32 s29, -1
	s_mov_b32 s31, exec_lo
	v_cmpx_eq_u16_e32 0x80, v3
; %bb.845:
	s_xor_b32 s29, exec_lo, -1
; %bb.846:
	s_or_b32 exec_lo, exec_lo, s31
	s_delay_alu instid0(SALU_CYCLE_1)
	s_and_b32 s29, s29, exec_lo
	s_or_saveexec_b32 s30, s30
	v_mov_b32_e32 v2, 0x7e00
	s_xor_b32 exec_lo, exec_lo, s30
	s_cbranch_execnz .LBB150_865
.LBB150_847:
	s_or_b32 exec_lo, exec_lo, s30
	s_and_saveexec_b32 s30, s29
	s_cbranch_execz .LBB150_849
.LBB150_848:
	v_and_b32_e32 v2, 0xffff, v3
	s_delay_alu instid0(VALU_DEP_1) | instskip(SKIP_1) | instid1(VALU_DEP_2)
	v_and_b32_e32 v4, 7, v2
	v_bfe_u32 v8, v2, 3, 4
	v_clz_i32_u32_e32 v5, v4
	s_delay_alu instid0(VALU_DEP_2) | instskip(NEXT) | instid1(VALU_DEP_2)
	v_cmp_eq_u32_e32 vcc_lo, 0, v8
	v_min_u32_e32 v5, 32, v5
	s_delay_alu instid0(VALU_DEP_1) | instskip(NEXT) | instid1(VALU_DEP_1)
	v_subrev_nc_u32_e32 v7, 28, v5
	v_dual_lshlrev_b32 v2, v7, v2 :: v_dual_sub_nc_u32 v5, 29, v5
	s_delay_alu instid0(VALU_DEP_1) | instskip(NEXT) | instid1(VALU_DEP_2)
	v_dual_lshlrev_b32 v3, 24, v3 :: v_dual_bitop2_b32 v2, 7, v2 bitop3:0x40
	v_cndmask_b32_e32 v5, v8, v5, vcc_lo
	s_delay_alu instid0(VALU_DEP_2) | instskip(NEXT) | instid1(VALU_DEP_3)
	v_cndmask_b32_e32 v2, v4, v2, vcc_lo
	v_and_b32_e32 v3, 0x80000000, v3
	s_delay_alu instid0(VALU_DEP_3) | instskip(NEXT) | instid1(VALU_DEP_3)
	v_lshl_add_u32 v4, v5, 23, 0x3b800000
	v_lshlrev_b32_e32 v2, 20, v2
	s_delay_alu instid0(VALU_DEP_1) | instskip(NEXT) | instid1(VALU_DEP_1)
	v_or3_b32 v2, v3, v4, v2
	v_cvt_f16_f32_e32 v2, v2
.LBB150_849:
	s_or_b32 exec_lo, exec_lo, s30
.LBB150_850:
	v_mov_b32_e32 v3, 0
	s_mov_b32 s29, -1
.LBB150_851:
	s_mov_b32 s30, 0
.LBB150_852:
	s_delay_alu instid0(SALU_CYCLE_1)
	s_and_b32 vcc_lo, exec_lo, s30
	s_cbranch_vccz .LBB150_888
; %bb.853:
	s_cmp_gt_i32 s28, 22
	s_cbranch_scc0 .LBB150_863
; %bb.854:
	s_cmp_lt_i32 s28, 24
	s_cbranch_scc1 .LBB150_866
; %bb.855:
	s_cmp_gt_i32 s28, 24
	s_cbranch_scc0 .LBB150_867
; %bb.856:
	global_load_u8 v3, v[0:1], off
	s_mov_b32 s29, 0
	s_mov_b32 s30, exec_lo
	s_wait_loadcnt 0x0
	v_cmpx_lt_i16_e32 0x7f, v3
	s_xor_b32 s30, exec_lo, s30
	s_cbranch_execz .LBB150_879
; %bb.857:
	s_mov_b32 s29, -1
	s_mov_b32 s31, exec_lo
	v_cmpx_eq_u16_e32 0x80, v3
; %bb.858:
	s_xor_b32 s29, exec_lo, -1
; %bb.859:
	s_or_b32 exec_lo, exec_lo, s31
	s_delay_alu instid0(SALU_CYCLE_1)
	s_and_b32 s29, s29, exec_lo
	s_or_saveexec_b32 s30, s30
	v_mov_b32_e32 v2, 0x7e00
	s_xor_b32 exec_lo, exec_lo, s30
	s_cbranch_execnz .LBB150_880
.LBB150_860:
	s_or_b32 exec_lo, exec_lo, s30
	s_and_saveexec_b32 s30, s29
	s_cbranch_execz .LBB150_862
.LBB150_861:
	v_and_b32_e32 v2, 0xffff, v3
	s_delay_alu instid0(VALU_DEP_1) | instskip(SKIP_1) | instid1(VALU_DEP_2)
	v_and_b32_e32 v4, 3, v2
	v_bfe_u32 v8, v2, 2, 5
	v_clz_i32_u32_e32 v5, v4
	s_delay_alu instid0(VALU_DEP_2) | instskip(NEXT) | instid1(VALU_DEP_2)
	v_cmp_eq_u32_e32 vcc_lo, 0, v8
	v_min_u32_e32 v5, 32, v5
	s_delay_alu instid0(VALU_DEP_1) | instskip(NEXT) | instid1(VALU_DEP_1)
	v_subrev_nc_u32_e32 v7, 29, v5
	v_dual_lshlrev_b32 v2, v7, v2 :: v_dual_sub_nc_u32 v5, 30, v5
	s_delay_alu instid0(VALU_DEP_1) | instskip(NEXT) | instid1(VALU_DEP_2)
	v_dual_lshlrev_b32 v3, 24, v3 :: v_dual_bitop2_b32 v2, 3, v2 bitop3:0x40
	v_cndmask_b32_e32 v5, v8, v5, vcc_lo
	s_delay_alu instid0(VALU_DEP_2) | instskip(NEXT) | instid1(VALU_DEP_3)
	v_cndmask_b32_e32 v2, v4, v2, vcc_lo
	v_and_b32_e32 v3, 0x80000000, v3
	s_delay_alu instid0(VALU_DEP_3) | instskip(NEXT) | instid1(VALU_DEP_3)
	v_lshl_add_u32 v4, v5, 23, 0x37800000
	v_lshlrev_b32_e32 v2, 21, v2
	s_delay_alu instid0(VALU_DEP_1) | instskip(NEXT) | instid1(VALU_DEP_1)
	v_or3_b32 v2, v3, v4, v2
	v_cvt_f16_f32_e32 v2, v2
.LBB150_862:
	s_or_b32 exec_lo, exec_lo, s30
	s_mov_b32 s29, 0
	s_branch .LBB150_868
.LBB150_863:
	s_mov_b32 s30, -1
                                        ; implicit-def: $vgpr2
	s_branch .LBB150_874
.LBB150_864:
	s_or_saveexec_b32 s30, s30
	v_mov_b32_e32 v2, 0x7e00
	s_xor_b32 exec_lo, exec_lo, s30
	s_cbranch_execz .LBB150_847
.LBB150_865:
	v_cmp_ne_u16_e32 vcc_lo, 0, v3
	v_mov_b32_e32 v2, v3
	s_and_not1_b32 s29, s29, exec_lo
	s_and_b32 s31, vcc_lo, exec_lo
	s_delay_alu instid0(SALU_CYCLE_1)
	s_or_b32 s29, s29, s31
	s_or_b32 exec_lo, exec_lo, s30
	s_and_saveexec_b32 s30, s29
	s_cbranch_execnz .LBB150_848
	s_branch .LBB150_849
.LBB150_866:
	s_mov_b32 s29, -1
                                        ; implicit-def: $vgpr2
	s_branch .LBB150_871
.LBB150_867:
	s_mov_b32 s29, -1
                                        ; implicit-def: $vgpr2
.LBB150_868:
	s_delay_alu instid0(SALU_CYCLE_1)
	s_and_b32 vcc_lo, exec_lo, s29
	s_cbranch_vccz .LBB150_870
; %bb.869:
	s_wait_loadcnt 0x0
	global_load_u8 v2, v[0:1], off
	s_wait_loadcnt 0x0
	v_lshlrev_b32_e32 v2, 24, v2
	s_delay_alu instid0(VALU_DEP_1) | instskip(NEXT) | instid1(VALU_DEP_1)
	v_and_b32_e32 v3, 0x7f000000, v2
	v_clz_i32_u32_e32 v4, v3
	v_add_nc_u32_e32 v7, 0x1000000, v3
	v_cmp_ne_u32_e32 vcc_lo, 0, v3
	s_delay_alu instid0(VALU_DEP_3) | instskip(NEXT) | instid1(VALU_DEP_1)
	v_min_u32_e32 v4, 32, v4
	v_sub_nc_u32_e64 v4, v4, 4 clamp
	s_delay_alu instid0(VALU_DEP_1) | instskip(NEXT) | instid1(VALU_DEP_1)
	v_dual_lshlrev_b32 v5, v4, v3 :: v_dual_lshlrev_b32 v4, 23, v4
	v_lshrrev_b32_e32 v5, 4, v5
	s_delay_alu instid0(VALU_DEP_1) | instskip(NEXT) | instid1(VALU_DEP_1)
	v_dual_sub_nc_u32 v4, v5, v4 :: v_dual_ashrrev_i32 v5, 8, v7
	v_add_nc_u32_e32 v4, 0x3c000000, v4
	s_delay_alu instid0(VALU_DEP_1) | instskip(NEXT) | instid1(VALU_DEP_1)
	v_and_or_b32 v4, 0x7f800000, v5, v4
	v_cndmask_b32_e32 v3, 0, v4, vcc_lo
	s_delay_alu instid0(VALU_DEP_1) | instskip(NEXT) | instid1(VALU_DEP_1)
	v_and_or_b32 v2, 0x80000000, v2, v3
	v_cvt_f16_f32_e32 v2, v2
.LBB150_870:
	s_mov_b32 s29, 0
.LBB150_871:
	s_delay_alu instid0(SALU_CYCLE_1)
	s_and_not1_b32 vcc_lo, exec_lo, s29
	s_cbranch_vccnz .LBB150_873
; %bb.872:
	s_wait_loadcnt 0x0
	global_load_u8 v2, v[0:1], off
	s_wait_loadcnt 0x0
	v_lshlrev_b32_e32 v3, 25, v2
	v_lshlrev_b16 v2, 8, v2
	s_delay_alu instid0(VALU_DEP_1) | instskip(SKIP_1) | instid1(VALU_DEP_2)
	v_and_or_b32 v5, 0x7f00, v2, 0.5
	v_bfe_i32 v2, v2, 0, 16
	v_dual_add_f32 v5, -0.5, v5 :: v_dual_lshrrev_b32 v4, 4, v3
	v_cmp_gt_u32_e32 vcc_lo, 0x8000000, v3
	s_delay_alu instid0(VALU_DEP_2) | instskip(NEXT) | instid1(VALU_DEP_1)
	v_or_b32_e32 v4, 0x70000000, v4
	v_mul_f32_e32 v4, 0x7800000, v4
	s_delay_alu instid0(VALU_DEP_1) | instskip(NEXT) | instid1(VALU_DEP_1)
	v_cndmask_b32_e32 v3, v4, v5, vcc_lo
	v_and_or_b32 v2, 0x80000000, v2, v3
	s_delay_alu instid0(VALU_DEP_1)
	v_cvt_f16_f32_e32 v2, v2
.LBB150_873:
	s_mov_b32 s30, 0
	s_mov_b32 s29, -1
.LBB150_874:
	s_and_not1_b32 vcc_lo, exec_lo, s30
	s_cbranch_vccnz .LBB150_887
; %bb.875:
	s_cmp_gt_i32 s28, 14
	s_cbranch_scc0 .LBB150_878
; %bb.876:
	s_cmp_eq_u32 s28, 15
	s_cbranch_scc0 .LBB150_881
; %bb.877:
	s_wait_loadcnt 0x0
	global_load_u16 v2, v[0:1], off
	s_mov_b32 s29, -1
	s_mov_b32 s27, 0
	s_wait_loadcnt 0x0
	v_lshlrev_b32_e32 v2, 16, v2
	s_delay_alu instid0(VALU_DEP_1)
	v_cvt_f16_f32_e32 v2, v2
	s_branch .LBB150_882
.LBB150_878:
	s_mov_b32 s30, -1
                                        ; implicit-def: $vgpr2
	s_branch .LBB150_883
.LBB150_879:
	s_or_saveexec_b32 s30, s30
	v_mov_b32_e32 v2, 0x7e00
	s_xor_b32 exec_lo, exec_lo, s30
	s_cbranch_execz .LBB150_860
.LBB150_880:
	v_cmp_ne_u16_e32 vcc_lo, 0, v3
	v_mov_b32_e32 v2, v3
	s_and_not1_b32 s29, s29, exec_lo
	s_and_b32 s31, vcc_lo, exec_lo
	s_delay_alu instid0(SALU_CYCLE_1)
	s_or_b32 s29, s29, s31
	s_or_b32 exec_lo, exec_lo, s30
	s_and_saveexec_b32 s30, s29
	s_cbranch_execnz .LBB150_861
	s_branch .LBB150_862
.LBB150_881:
	s_mov_b32 s27, -1
                                        ; implicit-def: $vgpr2
.LBB150_882:
	s_mov_b32 s30, 0
.LBB150_883:
	s_delay_alu instid0(SALU_CYCLE_1)
	s_and_b32 vcc_lo, exec_lo, s30
	s_cbranch_vccz .LBB150_887
; %bb.884:
	s_cmp_eq_u32 s28, 11
	s_cbranch_scc0 .LBB150_886
; %bb.885:
	s_wait_loadcnt 0x0
	global_load_u8 v2, v[0:1], off
	s_mov_b32 s27, 0
	s_mov_b32 s29, -1
	v_mov_b32_e32 v3, 0
	s_wait_loadcnt 0x0
	v_cmp_ne_u16_e32 vcc_lo, 0, v2
	v_cndmask_b32_e64 v2, 0, 0x3c00, vcc_lo
	s_branch .LBB150_888
.LBB150_886:
	s_mov_b32 s27, -1
                                        ; implicit-def: $vgpr2
.LBB150_887:
	v_mov_b32_e32 v3, 0
.LBB150_888:
	s_mov_b32 s28, 0
.LBB150_889:
	s_delay_alu instid0(SALU_CYCLE_1)
	s_and_b32 vcc_lo, exec_lo, s28
	s_cbranch_vccz .LBB150_940
; %bb.890:
	s_and_b32 s0, 0xffff, s0
	s_delay_alu instid0(SALU_CYCLE_1)
	s_cmp_lt_i32 s0, 5
	s_cbranch_scc1 .LBB150_895
; %bb.891:
	s_cmp_lt_i32 s0, 8
	s_cbranch_scc1 .LBB150_896
; %bb.892:
	;; [unrolled: 3-line block ×3, first 2 shown]
	s_cmp_gt_i32 s0, 9
	s_cbranch_scc0 .LBB150_898
; %bb.894:
	s_wait_loadcnt 0x0
	global_load_b128 v[2:5], v[0:1], off
	v_mov_b32_e32 v15, 0x7e00
	s_mov_b32 s28, 0
	s_wait_loadcnt 0x0
	v_and_or_b32 v2, 0x1ff, v3, v2
	v_and_or_b32 v4, 0x1ff, v5, v4
	v_dual_lshrrev_b32 v7, 8, v3 :: v_dual_lshrrev_b32 v9, 8, v5
	v_bfe_u32 v8, v3, 20, 11
	s_delay_alu instid0(VALU_DEP_4) | instskip(SKIP_2) | instid1(VALU_DEP_4)
	v_cmp_ne_u32_e32 vcc_lo, 0, v2
	v_bfe_u32 v10, v5, 20, 11
	v_dual_lshrrev_b32 v3, 16, v3 :: v_dual_lshrrev_b32 v5, 16, v5
	v_sub_nc_u32_e32 v11, 0x3f1, v8
	v_cndmask_b32_e64 v2, 0, 1, vcc_lo
	v_cmp_ne_u32_e32 vcc_lo, 0, v4
	s_delay_alu instid0(VALU_DEP_2) | instskip(SKIP_2) | instid1(VALU_DEP_2)
	v_and_or_b32 v2, 0xffe, v7, v2
	v_cndmask_b32_e64 v4, 0, 1, vcc_lo
	v_sub_nc_u32_e32 v7, 0x3f1, v10
	v_and_or_b32 v4, 0xffe, v9, v4
	v_med3_i32 v9, v11, 0, 13
	v_or_b32_e32 v11, 0x1000, v2
	s_delay_alu instid0(VALU_DEP_4) | instskip(NEXT) | instid1(VALU_DEP_4)
	v_med3_i32 v7, v7, 0, 13
	v_or_b32_e32 v12, 0x1000, v4
	s_delay_alu instid0(VALU_DEP_1) | instskip(NEXT) | instid1(VALU_DEP_1)
	v_dual_lshrrev_b32 v13, v9, v11 :: v_dual_lshrrev_b32 v14, v7, v12
	v_dual_lshlrev_b32 v9, v9, v13 :: v_dual_lshlrev_b32 v7, v7, v14
	s_delay_alu instid0(VALU_DEP_1) | instskip(SKIP_1) | instid1(VALU_DEP_3)
	v_cmp_ne_u32_e32 vcc_lo, v9, v11
	v_cndmask_b32_e64 v9, 0, 1, vcc_lo
	v_cmp_ne_u32_e32 vcc_lo, v7, v12
	s_delay_alu instid0(VALU_DEP_2) | instskip(SKIP_2) | instid1(VALU_DEP_2)
	v_or_b32_e32 v9, v13, v9
	v_add_nc_u32_e32 v8, 0xfffffc10, v8
	v_cndmask_b32_e64 v7, 0, 1, vcc_lo
	v_lshl_or_b32 v11, v8, 12, v2
	v_cmp_gt_i32_e32 vcc_lo, 1, v8
	s_delay_alu instid0(VALU_DEP_2) | instskip(NEXT) | instid1(VALU_DEP_1)
	v_dual_cndmask_b32 v9, v11, v9, vcc_lo :: v_dual_bitop2_b32 v7, v14, v7 bitop3:0x54
	v_dual_lshrrev_b32 v9, 2, v9 :: v_dual_bitop2_b32 v11, 7, v9 bitop3:0x40
	v_add_nc_u32_e32 v10, 0xfffffc10, v10
	s_delay_alu instid0(VALU_DEP_1) | instskip(SKIP_1) | instid1(VALU_DEP_2)
	v_lshl_or_b32 v12, v10, 12, v4
	v_cmp_gt_i32_e32 vcc_lo, 1, v10
	v_cndmask_b32_e32 v7, v12, v7, vcc_lo
	v_cmp_lt_i32_e32 vcc_lo, 5, v11
	s_delay_alu instid0(VALU_DEP_2)
	v_and_b32_e32 v12, 7, v7
	v_cndmask_b32_e64 v13, 0, 1, vcc_lo
	v_cmp_eq_u32_e32 vcc_lo, 3, v11
	v_lshrrev_b32_e32 v7, 2, v7
	v_cndmask_b32_e64 v11, 0, 1, vcc_lo
	v_cmp_lt_i32_e32 vcc_lo, 5, v12
	s_delay_alu instid0(VALU_DEP_2) | instskip(SKIP_2) | instid1(VALU_DEP_3)
	v_or_b32_e32 v11, v11, v13
	v_cndmask_b32_e64 v14, 0, 1, vcc_lo
	v_cmp_eq_u32_e32 vcc_lo, 3, v12
	v_add_nc_u32_e32 v9, v9, v11
	v_cndmask_b32_e64 v12, 0, 1, vcc_lo
	v_cmp_ne_u32_e32 vcc_lo, 0, v2
	s_delay_alu instid0(VALU_DEP_2) | instskip(SKIP_2) | instid1(VALU_DEP_3)
	v_or_b32_e32 v12, v12, v14
	v_cndmask_b32_e32 v2, 0x7c00, v15, vcc_lo
	v_cmp_ne_u32_e32 vcc_lo, 0, v4
	v_dual_cndmask_b32 v4, 0x7c00, v15 :: v_dual_add_nc_u32 v7, v7, v12
	v_cmp_gt_i32_e32 vcc_lo, 31, v8
	v_cndmask_b32_e32 v9, 0x7c00, v9, vcc_lo
	v_cmp_gt_i32_e32 vcc_lo, 31, v10
	s_delay_alu instid0(VALU_DEP_4) | instskip(SKIP_1) | instid1(VALU_DEP_4)
	v_cndmask_b32_e32 v7, 0x7c00, v7, vcc_lo
	v_cmp_eq_u32_e32 vcc_lo, 0x40f, v8
	v_cndmask_b32_e32 v2, v9, v2, vcc_lo
	v_cmp_eq_u32_e32 vcc_lo, 0x40f, v10
	s_delay_alu instid0(VALU_DEP_2) | instskip(SKIP_1) | instid1(VALU_DEP_1)
	v_and_or_b32 v2, 0x8000, v3, v2
	v_cndmask_b32_e32 v4, v7, v4, vcc_lo
	v_and_or_b32 v3, 0x8000, v5, v4
	s_branch .LBB150_899
.LBB150_895:
	s_mov_b32 s28, -1
                                        ; implicit-def: $vgpr3
                                        ; implicit-def: $vgpr2
	s_branch .LBB150_918
.LBB150_896:
	s_mov_b32 s28, -1
                                        ; implicit-def: $vgpr3
                                        ; implicit-def: $vgpr2
	s_branch .LBB150_905
.LBB150_897:
	s_mov_b32 s28, -1
                                        ; implicit-def: $vgpr3
                                        ; implicit-def: $vgpr2
	s_branch .LBB150_902
.LBB150_898:
	s_mov_b32 s28, -1
                                        ; implicit-def: $vgpr3
                                        ; implicit-def: $vgpr2
.LBB150_899:
	s_delay_alu instid0(SALU_CYCLE_1)
	s_and_not1_b32 vcc_lo, exec_lo, s28
	s_cbranch_vccnz .LBB150_901
; %bb.900:
	s_wait_loadcnt 0x0
	global_load_b64 v[2:3], v[0:1], off
	s_wait_loadcnt 0x0
	v_cvt_f16_f32_e32 v2, v2
	v_cvt_f16_f32_e32 v3, v3
.LBB150_901:
	s_mov_b32 s28, 0
.LBB150_902:
	s_delay_alu instid0(SALU_CYCLE_1)
	s_and_not1_b32 vcc_lo, exec_lo, s28
	s_cbranch_vccnz .LBB150_904
; %bb.903:
	s_wait_loadcnt 0x0
	global_load_b32 v2, v[0:1], off
	s_wait_loadcnt 0x0
	v_lshrrev_b32_e32 v3, 16, v2
.LBB150_904:
	s_mov_b32 s28, 0
.LBB150_905:
	s_delay_alu instid0(SALU_CYCLE_1)
	s_and_not1_b32 vcc_lo, exec_lo, s28
	s_cbranch_vccnz .LBB150_917
; %bb.906:
	s_cmp_lt_i32 s0, 6
	s_cbranch_scc1 .LBB150_909
; %bb.907:
	s_cmp_gt_i32 s0, 6
	s_cbranch_scc0 .LBB150_910
; %bb.908:
	s_wait_loadcnt 0x0
	global_load_b64 v[2:3], v[0:1], off
	s_mov_b32 s28, 0
	s_wait_loadcnt 0x0
	v_and_or_b32 v2, 0x1ff, v3, v2
	v_lshrrev_b32_e32 v4, 8, v3
	v_bfe_u32 v5, v3, 20, 11
	v_lshrrev_b32_e32 v3, 16, v3
	s_delay_alu instid0(VALU_DEP_4) | instskip(NEXT) | instid1(VALU_DEP_3)
	v_cmp_ne_u32_e32 vcc_lo, 0, v2
	v_sub_nc_u32_e32 v7, 0x3f1, v5
	v_add_nc_u32_e32 v5, 0xfffffc10, v5
	v_cndmask_b32_e64 v2, 0, 1, vcc_lo
	s_delay_alu instid0(VALU_DEP_1) | instskip(NEXT) | instid1(VALU_DEP_4)
	v_and_or_b32 v2, 0xffe, v4, v2
	v_med3_i32 v4, v7, 0, 13
	s_delay_alu instid0(VALU_DEP_2) | instskip(NEXT) | instid1(VALU_DEP_1)
	v_or_b32_e32 v7, 0x1000, v2
	v_lshrrev_b32_e32 v8, v4, v7
	s_delay_alu instid0(VALU_DEP_1) | instskip(NEXT) | instid1(VALU_DEP_1)
	v_lshlrev_b32_e32 v4, v4, v8
	v_cmp_ne_u32_e32 vcc_lo, v4, v7
	v_lshl_or_b32 v7, v5, 12, v2
	v_cndmask_b32_e64 v4, 0, 1, vcc_lo
	v_cmp_gt_i32_e32 vcc_lo, 1, v5
	s_delay_alu instid0(VALU_DEP_2) | instskip(NEXT) | instid1(VALU_DEP_1)
	v_or_b32_e32 v4, v8, v4
	v_cndmask_b32_e32 v4, v7, v4, vcc_lo
	s_delay_alu instid0(VALU_DEP_1) | instskip(NEXT) | instid1(VALU_DEP_1)
	v_dual_lshrrev_b32 v4, 2, v4 :: v_dual_bitop2_b32 v7, 7, v4 bitop3:0x40
	v_cmp_lt_i32_e32 vcc_lo, 5, v7
	v_cndmask_b32_e64 v8, 0, 1, vcc_lo
	v_cmp_eq_u32_e32 vcc_lo, 3, v7
	v_cndmask_b32_e64 v7, 0, 1, vcc_lo
	v_cmp_ne_u32_e32 vcc_lo, 0, v2
	s_delay_alu instid0(VALU_DEP_2) | instskip(SKIP_1) | instid1(VALU_DEP_2)
	v_or_b32_e32 v7, v7, v8
	v_mov_b32_e32 v8, 0x7e00
	v_add_nc_u32_e32 v4, v4, v7
	s_delay_alu instid0(VALU_DEP_2) | instskip(SKIP_1) | instid1(VALU_DEP_3)
	v_cndmask_b32_e32 v2, 0x7c00, v8, vcc_lo
	v_cmp_gt_i32_e32 vcc_lo, 31, v5
	v_cndmask_b32_e32 v4, 0x7c00, v4, vcc_lo
	v_cmp_eq_u32_e32 vcc_lo, 0x40f, v5
	s_delay_alu instid0(VALU_DEP_2) | instskip(NEXT) | instid1(VALU_DEP_1)
	v_cndmask_b32_e32 v2, v4, v2, vcc_lo
	v_and_or_b32 v2, 0x8000, v3, v2
	s_branch .LBB150_911
.LBB150_909:
	s_mov_b32 s28, -1
                                        ; implicit-def: $vgpr2
	s_branch .LBB150_914
.LBB150_910:
	s_mov_b32 s28, -1
                                        ; implicit-def: $vgpr2
.LBB150_911:
	s_delay_alu instid0(SALU_CYCLE_1)
	s_and_not1_b32 vcc_lo, exec_lo, s28
	s_cbranch_vccnz .LBB150_913
; %bb.912:
	s_wait_loadcnt 0x0
	global_load_b32 v2, v[0:1], off
	s_wait_loadcnt 0x0
	v_cvt_f16_f32_e32 v2, v2
.LBB150_913:
	s_mov_b32 s28, 0
.LBB150_914:
	s_delay_alu instid0(SALU_CYCLE_1)
	s_and_not1_b32 vcc_lo, exec_lo, s28
	s_cbranch_vccnz .LBB150_916
; %bb.915:
	s_wait_loadcnt 0x0
	global_load_u16 v2, v[0:1], off
.LBB150_916:
	v_mov_b32_e32 v3, 0
.LBB150_917:
	s_mov_b32 s28, 0
.LBB150_918:
	s_delay_alu instid0(SALU_CYCLE_1)
	s_and_not1_b32 vcc_lo, exec_lo, s28
	s_cbranch_vccnz .LBB150_939
; %bb.919:
	s_cmp_lt_i32 s0, 2
	s_cbranch_scc1 .LBB150_923
; %bb.920:
	s_cmp_lt_i32 s0, 3
	s_cbranch_scc1 .LBB150_924
; %bb.921:
	s_cmp_gt_i32 s0, 3
	s_cbranch_scc0 .LBB150_925
; %bb.922:
	s_wait_loadcnt 0x0
	global_load_b64 v[2:3], v[0:1], off
	s_mov_b32 s28, 0
	s_wait_loadcnt 0x0
	v_xor_b32_e32 v4, v2, v3
	v_cls_i32_e32 v5, v3
	s_delay_alu instid0(VALU_DEP_2) | instskip(NEXT) | instid1(VALU_DEP_1)
	v_ashrrev_i32_e32 v4, 31, v4
	v_add_nc_u32_e32 v4, 32, v4
	s_delay_alu instid0(VALU_DEP_1) | instskip(NEXT) | instid1(VALU_DEP_1)
	v_add_min_u32_e64 v4, v5, -1, v4
	v_lshlrev_b64_e32 v[2:3], v4, v[2:3]
	s_delay_alu instid0(VALU_DEP_1) | instskip(NEXT) | instid1(VALU_DEP_1)
	v_min_u32_e32 v2, 1, v2
	v_dual_sub_nc_u32 v3, 32, v4 :: v_dual_bitop2_b32 v2, v3, v2 bitop3:0x54
	s_delay_alu instid0(VALU_DEP_1) | instskip(NEXT) | instid1(VALU_DEP_1)
	v_cvt_f32_i32_e32 v2, v2
	v_ldexp_f32 v2, v2, v3
	s_delay_alu instid0(VALU_DEP_1)
	v_cvt_f16_f32_e32 v2, v2
	s_branch .LBB150_926
.LBB150_923:
	s_mov_b32 s28, -1
                                        ; implicit-def: $vgpr2
	s_branch .LBB150_932
.LBB150_924:
	s_mov_b32 s28, -1
                                        ; implicit-def: $vgpr2
	s_branch .LBB150_929
.LBB150_925:
	s_mov_b32 s28, -1
                                        ; implicit-def: $vgpr2
.LBB150_926:
	s_delay_alu instid0(SALU_CYCLE_1)
	s_and_not1_b32 vcc_lo, exec_lo, s28
	s_cbranch_vccnz .LBB150_928
; %bb.927:
	s_wait_loadcnt 0x0
	global_load_b32 v2, v[0:1], off
	s_wait_loadcnt 0x0
	v_cvt_f32_i32_e32 v2, v2
	s_delay_alu instid0(VALU_DEP_1)
	v_cvt_f16_f32_e32 v2, v2
.LBB150_928:
	s_mov_b32 s28, 0
.LBB150_929:
	s_delay_alu instid0(SALU_CYCLE_1)
	s_and_not1_b32 vcc_lo, exec_lo, s28
	s_cbranch_vccnz .LBB150_931
; %bb.930:
	s_wait_loadcnt 0x0
	global_load_u16 v2, v[0:1], off
	s_wait_loadcnt 0x0
	v_cvt_f16_i16_e32 v2, v2
.LBB150_931:
	s_mov_b32 s28, 0
.LBB150_932:
	s_delay_alu instid0(SALU_CYCLE_1)
	s_and_not1_b32 vcc_lo, exec_lo, s28
	s_cbranch_vccnz .LBB150_938
; %bb.933:
	s_cmp_gt_i32 s0, 0
	s_mov_b32 s0, 0
	s_cbranch_scc0 .LBB150_935
; %bb.934:
	s_wait_loadcnt 0x0
	global_load_i8 v2, v[0:1], off
	s_wait_loadcnt 0x0
	v_cvt_f16_i16_e32 v2, v2
	s_branch .LBB150_936
.LBB150_935:
	s_mov_b32 s0, -1
                                        ; implicit-def: $vgpr2
.LBB150_936:
	s_delay_alu instid0(SALU_CYCLE_1)
	s_and_not1_b32 vcc_lo, exec_lo, s0
	s_cbranch_vccnz .LBB150_938
; %bb.937:
	global_load_u8 v0, v[0:1], off
	s_wait_loadcnt 0x0
	v_cvt_f16_u16_e32 v2, v0
.LBB150_938:
	v_mov_b32_e32 v3, 0
.LBB150_939:
	s_mov_b32 s29, -1
.LBB150_940:
	s_delay_alu instid0(SALU_CYCLE_1)
	s_and_not1_b32 vcc_lo, exec_lo, s29
	s_cbranch_vccnz .LBB150_948
; %bb.941:
	s_wait_xcnt 0x0
	v_mul_lo_u32 v0, v6, s10
	s_and_b32 s0, s1, 0xff
	s_delay_alu instid0(SALU_CYCLE_1) | instskip(NEXT) | instid1(VALU_DEP_1)
	s_cmp_lt_i32 s0, 11
	v_ashrrev_i32_e32 v1, 31, v0
	s_delay_alu instid0(VALU_DEP_1)
	v_add_nc_u64_e32 v[0:1], s[2:3], v[0:1]
	s_cbranch_scc1 .LBB150_949
; %bb.942:
	s_and_b32 s29, 0xffff, s0
	s_delay_alu instid0(SALU_CYCLE_1)
	s_cmp_gt_i32 s29, 25
	s_cbranch_scc0 .LBB150_950
; %bb.943:
	s_cmp_gt_i32 s29, 28
	s_cbranch_scc0 .LBB150_951
; %bb.944:
	;; [unrolled: 3-line block ×4, first 2 shown]
	s_cmp_eq_u32 s29, 46
	s_mov_b32 s31, 0
	s_cbranch_scc0 .LBB150_956
; %bb.947:
	s_wait_loadcnt 0x0
	global_load_b32 v4, v[0:1], off
	s_mov_b32 s30, -1
	s_mov_b32 s28, 0
	s_wait_loadcnt 0x0
	v_lshlrev_b32_e32 v5, 16, v4
	v_and_b32_e32 v7, 0xffff0000, v4
	s_delay_alu instid0(VALU_DEP_2) | instskip(NEXT) | instid1(VALU_DEP_2)
	v_cvt_f16_f32_e32 v4, v5
	v_cvt_f16_f32_e32 v5, v7
	s_branch .LBB150_958
.LBB150_948:
	s_mov_b32 s30, 0
	s_mov_b32 s0, s23
	;; [unrolled: 1-line block ×3, first 2 shown]
	s_branch .LBB150_1207
.LBB150_949:
	s_mov_b32 s29, -1
	s_mov_b32 s30, 0
	s_mov_b32 s28, s24
                                        ; implicit-def: $vgpr5
                                        ; implicit-def: $vgpr4
	s_branch .LBB150_1026
.LBB150_950:
	s_mov_b32 s31, -1
	s_mov_b32 s30, 0
	s_mov_b32 s28, s24
                                        ; implicit-def: $vgpr5
                                        ; implicit-def: $vgpr4
	s_branch .LBB150_989
.LBB150_951:
	s_mov_b32 s31, -1
	s_mov_b32 s30, 0
	s_mov_b32 s28, s24
                                        ; implicit-def: $vgpr5
                                        ; implicit-def: $vgpr4
	s_branch .LBB150_970
.LBB150_952:
	s_mov_b32 s31, -1
	s_mov_b32 s30, 0
	s_mov_b32 s28, s24
                                        ; implicit-def: $vgpr5
                                        ; implicit-def: $vgpr4
	s_branch .LBB150_964
.LBB150_953:
	s_mov_b32 s31, -1
	s_mov_b32 s30, 0
	s_mov_b32 s28, s24
	s_branch .LBB150_957
.LBB150_954:
	s_and_not1_saveexec_b32 s30, s30
	s_cbranch_execz .LBB150_724
.LBB150_955:
	v_add_f32_e32 v2, 0x42800000, v3
	s_and_not1_b32 s29, s29, exec_lo
	s_delay_alu instid0(VALU_DEP_1) | instskip(NEXT) | instid1(VALU_DEP_1)
	v_and_b32_e32 v2, 0xff, v2
	v_cmp_ne_u32_e32 vcc_lo, 0, v2
	s_and_b32 s31, vcc_lo, exec_lo
	s_delay_alu instid0(SALU_CYCLE_1)
	s_or_b32 s29, s29, s31
	s_or_b32 exec_lo, exec_lo, s30
	v_mov_b32_e32 v4, 0
	s_and_saveexec_b32 s30, s29
	s_cbranch_execnz .LBB150_725
	s_branch .LBB150_726
.LBB150_956:
	s_mov_b32 s28, -1
	s_mov_b32 s30, 0
.LBB150_957:
                                        ; implicit-def: $vgpr5
                                        ; implicit-def: $vgpr4
.LBB150_958:
	s_and_b32 vcc_lo, exec_lo, s31
	s_cbranch_vccz .LBB150_963
; %bb.959:
	s_cmp_eq_u32 s29, 44
	s_cbranch_scc0 .LBB150_961
; %bb.960:
	s_wait_loadcnt 0x0
	global_load_u8 v4, v[0:1], off
	s_mov_b32 s28, 0
	s_mov_b32 s30, -1
	s_wait_loadcnt 0x0
	v_lshlrev_b32_e32 v5, 23, v4
	v_cmp_ne_u32_e32 vcc_lo, 0xff, v4
	s_delay_alu instid0(VALU_DEP_2) | instskip(NEXT) | instid1(VALU_DEP_1)
	v_cvt_f16_f32_e32 v5, v5
	v_cndmask_b32_e32 v5, 0x7e00, v5, vcc_lo
	v_cmp_ne_u32_e32 vcc_lo, 0, v4
	s_delay_alu instid0(VALU_DEP_2)
	v_cndmask_b32_e32 v4, 0, v5, vcc_lo
	s_branch .LBB150_962
.LBB150_961:
	s_mov_b32 s28, -1
                                        ; implicit-def: $vgpr4
.LBB150_962:
	v_mov_b32_e32 v5, 0
.LBB150_963:
	s_mov_b32 s31, 0
.LBB150_964:
	s_delay_alu instid0(SALU_CYCLE_1)
	s_and_b32 vcc_lo, exec_lo, s31
	s_cbranch_vccz .LBB150_969
; %bb.965:
	s_cmp_eq_u32 s29, 29
	s_cbranch_scc0 .LBB150_967
; %bb.966:
	s_wait_loadcnt 0x0
	global_load_b64 v[4:5], v[0:1], off
	s_mov_b32 s30, -1
	s_mov_b32 s28, 0
	s_wait_loadcnt 0x0
	v_clz_i32_u32_e32 v7, v5
	s_delay_alu instid0(VALU_DEP_1) | instskip(NEXT) | instid1(VALU_DEP_1)
	v_min_u32_e32 v7, 32, v7
	v_lshlrev_b64_e32 v[4:5], v7, v[4:5]
	s_delay_alu instid0(VALU_DEP_1) | instskip(NEXT) | instid1(VALU_DEP_1)
	v_min_u32_e32 v4, 1, v4
	v_dual_sub_nc_u32 v5, 32, v7 :: v_dual_bitop2_b32 v4, v5, v4 bitop3:0x54
	s_delay_alu instid0(VALU_DEP_1) | instskip(NEXT) | instid1(VALU_DEP_1)
	v_cvt_f32_u32_e32 v4, v4
	v_ldexp_f32 v4, v4, v5
	s_delay_alu instid0(VALU_DEP_1)
	v_cvt_f16_f32_e32 v4, v4
	s_branch .LBB150_968
.LBB150_967:
	s_mov_b32 s28, -1
                                        ; implicit-def: $vgpr4
.LBB150_968:
	v_mov_b32_e32 v5, 0
.LBB150_969:
	s_mov_b32 s31, 0
.LBB150_970:
	s_delay_alu instid0(SALU_CYCLE_1)
	s_and_b32 vcc_lo, exec_lo, s31
	s_cbranch_vccz .LBB150_988
; %bb.971:
	s_cmp_lt_i32 s29, 27
	s_cbranch_scc1 .LBB150_974
; %bb.972:
	s_cmp_gt_i32 s29, 27
	s_cbranch_scc0 .LBB150_975
; %bb.973:
	s_wait_loadcnt 0x0
	global_load_b32 v4, v[0:1], off
	s_mov_b32 s30, 0
	s_wait_loadcnt 0x0
	v_cvt_f32_u32_e32 v4, v4
	s_delay_alu instid0(VALU_DEP_1)
	v_cvt_f16_f32_e32 v4, v4
	s_branch .LBB150_976
.LBB150_974:
	s_mov_b32 s30, -1
                                        ; implicit-def: $vgpr4
	s_branch .LBB150_979
.LBB150_975:
	s_mov_b32 s30, -1
                                        ; implicit-def: $vgpr4
.LBB150_976:
	s_delay_alu instid0(SALU_CYCLE_1)
	s_and_not1_b32 vcc_lo, exec_lo, s30
	s_cbranch_vccnz .LBB150_978
; %bb.977:
	s_wait_loadcnt 0x0
	global_load_u16 v4, v[0:1], off
	s_wait_loadcnt 0x0
	v_cvt_f16_u16_e32 v4, v4
.LBB150_978:
	s_mov_b32 s30, 0
.LBB150_979:
	s_delay_alu instid0(SALU_CYCLE_1)
	s_and_not1_b32 vcc_lo, exec_lo, s30
	s_cbranch_vccnz .LBB150_987
; %bb.980:
	global_load_u8 v5, v[0:1], off
	s_mov_b32 s30, 0
	s_mov_b32 s31, exec_lo
	s_wait_loadcnt 0x0
	v_cmpx_lt_i16_e32 0x7f, v5
	s_xor_b32 s31, exec_lo, s31
	s_cbranch_execz .LBB150_1001
; %bb.981:
	s_mov_b32 s30, -1
	s_mov_b32 s33, exec_lo
	v_cmpx_eq_u16_e32 0x80, v5
; %bb.982:
	s_xor_b32 s30, exec_lo, -1
; %bb.983:
	s_or_b32 exec_lo, exec_lo, s33
	s_delay_alu instid0(SALU_CYCLE_1)
	s_and_b32 s30, s30, exec_lo
	s_or_saveexec_b32 s31, s31
	v_mov_b32_e32 v4, 0x7e00
	s_xor_b32 exec_lo, exec_lo, s31
	s_cbranch_execnz .LBB150_1002
.LBB150_984:
	s_or_b32 exec_lo, exec_lo, s31
	s_and_saveexec_b32 s31, s30
	s_cbranch_execz .LBB150_986
.LBB150_985:
	v_and_b32_e32 v4, 0xffff, v5
	s_delay_alu instid0(VALU_DEP_1) | instskip(SKIP_1) | instid1(VALU_DEP_2)
	v_dual_lshlrev_b32 v5, 24, v5 :: v_dual_bitop2_b32 v7, 7, v4 bitop3:0x40
	v_bfe_u32 v10, v4, 3, 4
	v_and_b32_e32 v5, 0x80000000, v5
	s_delay_alu instid0(VALU_DEP_3) | instskip(NEXT) | instid1(VALU_DEP_3)
	v_clz_i32_u32_e32 v8, v7
	v_cmp_eq_u32_e32 vcc_lo, 0, v10
	s_delay_alu instid0(VALU_DEP_2) | instskip(NEXT) | instid1(VALU_DEP_1)
	v_min_u32_e32 v8, 32, v8
	v_subrev_nc_u32_e32 v9, 28, v8
	v_sub_nc_u32_e32 v8, 29, v8
	s_delay_alu instid0(VALU_DEP_2) | instskip(NEXT) | instid1(VALU_DEP_2)
	v_lshlrev_b32_e32 v4, v9, v4
	v_cndmask_b32_e32 v8, v10, v8, vcc_lo
	s_delay_alu instid0(VALU_DEP_2) | instskip(NEXT) | instid1(VALU_DEP_1)
	v_and_b32_e32 v4, 7, v4
	v_cndmask_b32_e32 v4, v7, v4, vcc_lo
	s_delay_alu instid0(VALU_DEP_3) | instskip(NEXT) | instid1(VALU_DEP_2)
	v_lshl_add_u32 v7, v8, 23, 0x3b800000
	v_lshlrev_b32_e32 v4, 20, v4
	s_delay_alu instid0(VALU_DEP_1) | instskip(NEXT) | instid1(VALU_DEP_1)
	v_or3_b32 v4, v5, v7, v4
	v_cvt_f16_f32_e32 v4, v4
.LBB150_986:
	s_or_b32 exec_lo, exec_lo, s31
.LBB150_987:
	v_mov_b32_e32 v5, 0
	s_mov_b32 s30, -1
.LBB150_988:
	s_mov_b32 s31, 0
.LBB150_989:
	s_delay_alu instid0(SALU_CYCLE_1)
	s_and_b32 vcc_lo, exec_lo, s31
	s_cbranch_vccz .LBB150_1025
; %bb.990:
	s_cmp_gt_i32 s29, 22
	s_cbranch_scc0 .LBB150_1000
; %bb.991:
	s_cmp_lt_i32 s29, 24
	s_cbranch_scc1 .LBB150_1003
; %bb.992:
	s_cmp_gt_i32 s29, 24
	s_cbranch_scc0 .LBB150_1004
; %bb.993:
	global_load_u8 v5, v[0:1], off
	s_mov_b32 s30, 0
	s_mov_b32 s31, exec_lo
	s_wait_loadcnt 0x0
	v_cmpx_lt_i16_e32 0x7f, v5
	s_xor_b32 s31, exec_lo, s31
	s_cbranch_execz .LBB150_1016
; %bb.994:
	s_mov_b32 s30, -1
	s_mov_b32 s33, exec_lo
	v_cmpx_eq_u16_e32 0x80, v5
; %bb.995:
	s_xor_b32 s30, exec_lo, -1
; %bb.996:
	s_or_b32 exec_lo, exec_lo, s33
	s_delay_alu instid0(SALU_CYCLE_1)
	s_and_b32 s30, s30, exec_lo
	s_or_saveexec_b32 s31, s31
	v_mov_b32_e32 v4, 0x7e00
	s_xor_b32 exec_lo, exec_lo, s31
	s_cbranch_execnz .LBB150_1017
.LBB150_997:
	s_or_b32 exec_lo, exec_lo, s31
	s_and_saveexec_b32 s31, s30
	s_cbranch_execz .LBB150_999
.LBB150_998:
	v_and_b32_e32 v4, 0xffff, v5
	s_delay_alu instid0(VALU_DEP_1) | instskip(SKIP_1) | instid1(VALU_DEP_2)
	v_dual_lshlrev_b32 v5, 24, v5 :: v_dual_bitop2_b32 v7, 3, v4 bitop3:0x40
	v_bfe_u32 v10, v4, 2, 5
	v_and_b32_e32 v5, 0x80000000, v5
	s_delay_alu instid0(VALU_DEP_3) | instskip(NEXT) | instid1(VALU_DEP_3)
	v_clz_i32_u32_e32 v8, v7
	v_cmp_eq_u32_e32 vcc_lo, 0, v10
	s_delay_alu instid0(VALU_DEP_2) | instskip(NEXT) | instid1(VALU_DEP_1)
	v_min_u32_e32 v8, 32, v8
	v_subrev_nc_u32_e32 v9, 29, v8
	v_sub_nc_u32_e32 v8, 30, v8
	s_delay_alu instid0(VALU_DEP_2) | instskip(NEXT) | instid1(VALU_DEP_2)
	v_lshlrev_b32_e32 v4, v9, v4
	v_cndmask_b32_e32 v8, v10, v8, vcc_lo
	s_delay_alu instid0(VALU_DEP_2) | instskip(NEXT) | instid1(VALU_DEP_1)
	v_and_b32_e32 v4, 3, v4
	v_cndmask_b32_e32 v4, v7, v4, vcc_lo
	s_delay_alu instid0(VALU_DEP_3) | instskip(NEXT) | instid1(VALU_DEP_2)
	v_lshl_add_u32 v7, v8, 23, 0x37800000
	v_lshlrev_b32_e32 v4, 21, v4
	s_delay_alu instid0(VALU_DEP_1) | instskip(NEXT) | instid1(VALU_DEP_1)
	v_or3_b32 v4, v5, v7, v4
	v_cvt_f16_f32_e32 v4, v4
.LBB150_999:
	s_or_b32 exec_lo, exec_lo, s31
	s_mov_b32 s30, 0
	s_branch .LBB150_1005
.LBB150_1000:
	s_mov_b32 s31, -1
                                        ; implicit-def: $vgpr4
	s_branch .LBB150_1011
.LBB150_1001:
	s_or_saveexec_b32 s31, s31
	v_mov_b32_e32 v4, 0x7e00
	s_xor_b32 exec_lo, exec_lo, s31
	s_cbranch_execz .LBB150_984
.LBB150_1002:
	v_cmp_ne_u16_e32 vcc_lo, 0, v5
	v_mov_b32_e32 v4, v5
	s_and_not1_b32 s30, s30, exec_lo
	s_and_b32 s33, vcc_lo, exec_lo
	s_delay_alu instid0(SALU_CYCLE_1)
	s_or_b32 s30, s30, s33
	s_or_b32 exec_lo, exec_lo, s31
	s_and_saveexec_b32 s31, s30
	s_cbranch_execnz .LBB150_985
	s_branch .LBB150_986
.LBB150_1003:
	s_mov_b32 s30, -1
                                        ; implicit-def: $vgpr4
	s_branch .LBB150_1008
.LBB150_1004:
	s_mov_b32 s30, -1
                                        ; implicit-def: $vgpr4
.LBB150_1005:
	s_delay_alu instid0(SALU_CYCLE_1)
	s_and_b32 vcc_lo, exec_lo, s30
	s_cbranch_vccz .LBB150_1007
; %bb.1006:
	s_wait_loadcnt 0x0
	global_load_u8 v4, v[0:1], off
	s_wait_loadcnt 0x0
	v_lshlrev_b32_e32 v4, 24, v4
	s_delay_alu instid0(VALU_DEP_1) | instskip(NEXT) | instid1(VALU_DEP_1)
	v_and_b32_e32 v5, 0x7f000000, v4
	v_clz_i32_u32_e32 v7, v5
	v_add_nc_u32_e32 v9, 0x1000000, v5
	v_cmp_ne_u32_e32 vcc_lo, 0, v5
	s_delay_alu instid0(VALU_DEP_3) | instskip(NEXT) | instid1(VALU_DEP_1)
	v_min_u32_e32 v7, 32, v7
	v_sub_nc_u32_e64 v7, v7, 4 clamp
	s_delay_alu instid0(VALU_DEP_1) | instskip(NEXT) | instid1(VALU_DEP_1)
	v_dual_lshlrev_b32 v8, v7, v5 :: v_dual_lshlrev_b32 v7, 23, v7
	v_lshrrev_b32_e32 v8, 4, v8
	s_delay_alu instid0(VALU_DEP_1) | instskip(NEXT) | instid1(VALU_DEP_1)
	v_dual_sub_nc_u32 v7, v8, v7 :: v_dual_ashrrev_i32 v8, 8, v9
	v_add_nc_u32_e32 v7, 0x3c000000, v7
	s_delay_alu instid0(VALU_DEP_1) | instskip(NEXT) | instid1(VALU_DEP_1)
	v_and_or_b32 v7, 0x7f800000, v8, v7
	v_cndmask_b32_e32 v5, 0, v7, vcc_lo
	s_delay_alu instid0(VALU_DEP_1) | instskip(NEXT) | instid1(VALU_DEP_1)
	v_and_or_b32 v4, 0x80000000, v4, v5
	v_cvt_f16_f32_e32 v4, v4
.LBB150_1007:
	s_mov_b32 s30, 0
.LBB150_1008:
	s_delay_alu instid0(SALU_CYCLE_1)
	s_and_not1_b32 vcc_lo, exec_lo, s30
	s_cbranch_vccnz .LBB150_1010
; %bb.1009:
	s_wait_loadcnt 0x0
	global_load_u8 v4, v[0:1], off
	s_wait_loadcnt 0x0
	v_lshlrev_b32_e32 v5, 25, v4
	v_lshlrev_b16 v4, 8, v4
	s_delay_alu instid0(VALU_DEP_2) | instskip(NEXT) | instid1(VALU_DEP_2)
	v_cmp_gt_u32_e32 vcc_lo, 0x8000000, v5
	v_and_or_b32 v8, 0x7f00, v4, 0.5
	v_lshrrev_b32_e32 v7, 4, v5
	v_bfe_i32 v4, v4, 0, 16
	s_delay_alu instid0(VALU_DEP_3) | instskip(NEXT) | instid1(VALU_DEP_3)
	v_add_f32_e32 v8, -0.5, v8
	v_or_b32_e32 v7, 0x70000000, v7
	s_delay_alu instid0(VALU_DEP_1) | instskip(NEXT) | instid1(VALU_DEP_1)
	v_mul_f32_e32 v7, 0x7800000, v7
	v_cndmask_b32_e32 v5, v7, v8, vcc_lo
	s_delay_alu instid0(VALU_DEP_1) | instskip(NEXT) | instid1(VALU_DEP_1)
	v_and_or_b32 v4, 0x80000000, v4, v5
	v_cvt_f16_f32_e32 v4, v4
.LBB150_1010:
	s_mov_b32 s31, 0
	s_mov_b32 s30, -1
.LBB150_1011:
	s_and_not1_b32 vcc_lo, exec_lo, s31
	s_cbranch_vccnz .LBB150_1024
; %bb.1012:
	s_cmp_gt_i32 s29, 14
	s_cbranch_scc0 .LBB150_1015
; %bb.1013:
	s_cmp_eq_u32 s29, 15
	s_cbranch_scc0 .LBB150_1018
; %bb.1014:
	s_wait_loadcnt 0x0
	global_load_u16 v4, v[0:1], off
	s_mov_b32 s30, -1
	s_mov_b32 s28, 0
	s_wait_loadcnt 0x0
	v_lshlrev_b32_e32 v4, 16, v4
	s_delay_alu instid0(VALU_DEP_1)
	v_cvt_f16_f32_e32 v4, v4
	s_branch .LBB150_1019
.LBB150_1015:
	s_mov_b32 s31, -1
                                        ; implicit-def: $vgpr4
	s_branch .LBB150_1020
.LBB150_1016:
	s_or_saveexec_b32 s31, s31
	v_mov_b32_e32 v4, 0x7e00
	s_xor_b32 exec_lo, exec_lo, s31
	s_cbranch_execz .LBB150_997
.LBB150_1017:
	v_cmp_ne_u16_e32 vcc_lo, 0, v5
	v_mov_b32_e32 v4, v5
	s_and_not1_b32 s30, s30, exec_lo
	s_and_b32 s33, vcc_lo, exec_lo
	s_delay_alu instid0(SALU_CYCLE_1)
	s_or_b32 s30, s30, s33
	s_or_b32 exec_lo, exec_lo, s31
	s_and_saveexec_b32 s31, s30
	s_cbranch_execnz .LBB150_998
	s_branch .LBB150_999
.LBB150_1018:
	s_mov_b32 s28, -1
                                        ; implicit-def: $vgpr4
.LBB150_1019:
	s_mov_b32 s31, 0
.LBB150_1020:
	s_delay_alu instid0(SALU_CYCLE_1)
	s_and_b32 vcc_lo, exec_lo, s31
	s_cbranch_vccz .LBB150_1024
; %bb.1021:
	s_cmp_eq_u32 s29, 11
	s_cbranch_scc0 .LBB150_1023
; %bb.1022:
	s_wait_loadcnt 0x0
	global_load_u8 v4, v[0:1], off
	s_mov_b32 s28, 0
	s_mov_b32 s30, -1
	v_mov_b32_e32 v5, 0
	s_wait_loadcnt 0x0
	v_cmp_ne_u16_e32 vcc_lo, 0, v4
	v_cndmask_b32_e64 v4, 0, 0x3c00, vcc_lo
	s_branch .LBB150_1025
.LBB150_1023:
	s_mov_b32 s28, -1
                                        ; implicit-def: $vgpr4
.LBB150_1024:
	v_mov_b32_e32 v5, 0
.LBB150_1025:
	s_mov_b32 s29, 0
.LBB150_1026:
	s_delay_alu instid0(SALU_CYCLE_1)
	s_and_b32 vcc_lo, exec_lo, s29
	s_cbranch_vccz .LBB150_1077
; %bb.1027:
	s_and_b32 s0, 0xffff, s0
	s_delay_alu instid0(SALU_CYCLE_1)
	s_cmp_lt_i32 s0, 5
	s_cbranch_scc1 .LBB150_1032
; %bb.1028:
	s_cmp_lt_i32 s0, 8
	s_cbranch_scc1 .LBB150_1033
; %bb.1029:
	;; [unrolled: 3-line block ×3, first 2 shown]
	s_cmp_gt_i32 s0, 9
	s_cbranch_scc0 .LBB150_1035
; %bb.1031:
	global_load_b128 v[8:11], v[0:1], off
	s_mov_b32 s29, 0
	s_wait_loadcnt 0x0
	v_and_or_b32 v4, 0x1ff, v9, v8
	v_and_or_b32 v8, 0x1ff, v11, v10
	v_dual_lshrrev_b32 v5, 8, v9 :: v_dual_lshrrev_b32 v10, 8, v11
	v_bfe_u32 v7, v9, 20, 11
	s_delay_alu instid0(VALU_DEP_4) | instskip(SKIP_2) | instid1(VALU_DEP_4)
	v_cmp_ne_u32_e32 vcc_lo, 0, v4
	v_bfe_u32 v12, v11, 20, 11
	v_dual_lshrrev_b32 v9, 16, v9 :: v_dual_lshrrev_b32 v11, 16, v11
	v_sub_nc_u32_e32 v13, 0x3f1, v7
	v_cndmask_b32_e64 v4, 0, 1, vcc_lo
	v_cmp_ne_u32_e32 vcc_lo, 0, v8
	v_add_nc_u32_e32 v7, 0xfffffc10, v7
	s_delay_alu instid0(VALU_DEP_3) | instskip(SKIP_1) | instid1(VALU_DEP_1)
	v_and_or_b32 v4, 0xffe, v5, v4
	v_cndmask_b32_e64 v8, 0, 1, vcc_lo
	v_and_or_b32 v8, 0xffe, v10, v8
	v_med3_i32 v10, v13, 0, 13
	s_delay_alu instid0(VALU_DEP_4) | instskip(NEXT) | instid1(VALU_DEP_3)
	v_or_b32_e32 v13, 0x1000, v4
	v_or_b32_e32 v14, 0x1000, v8
	s_delay_alu instid0(VALU_DEP_2) | instskip(NEXT) | instid1(VALU_DEP_1)
	v_lshrrev_b32_e32 v15, v10, v13
	v_lshlrev_b32_e32 v10, v10, v15
	s_delay_alu instid0(VALU_DEP_1) | instskip(SKIP_2) | instid1(VALU_DEP_1)
	v_cmp_ne_u32_e32 vcc_lo, v10, v13
	v_lshl_or_b32 v13, v7, 12, v4
	v_cndmask_b32_e64 v10, 0, 1, vcc_lo
	v_or_b32_e32 v10, v15, v10
	v_sub_nc_u32_e32 v5, 0x3f1, v12
	s_delay_alu instid0(VALU_DEP_1) | instskip(NEXT) | instid1(VALU_DEP_1)
	v_med3_i32 v5, v5, 0, 13
	v_lshrrev_b32_e32 v16, v5, v14
	s_delay_alu instid0(VALU_DEP_1) | instskip(NEXT) | instid1(VALU_DEP_1)
	v_lshlrev_b32_e32 v5, v5, v16
	v_cmp_ne_u32_e32 vcc_lo, v5, v14
	v_cndmask_b32_e64 v5, 0, 1, vcc_lo
	v_cmp_gt_i32_e32 vcc_lo, 1, v7
	s_delay_alu instid0(VALU_DEP_2) | instskip(NEXT) | instid1(VALU_DEP_1)
	v_dual_cndmask_b32 v10, v13, v10, vcc_lo :: v_dual_bitop2_b32 v5, v16, v5 bitop3:0x54
	v_dual_lshrrev_b32 v10, 2, v10 :: v_dual_bitop2_b32 v13, 7, v10 bitop3:0x40
	v_add_nc_u32_e32 v12, 0xfffffc10, v12
	s_delay_alu instid0(VALU_DEP_1) | instskip(SKIP_1) | instid1(VALU_DEP_2)
	v_lshl_or_b32 v14, v12, 12, v8
	v_cmp_gt_i32_e32 vcc_lo, 1, v12
	v_cndmask_b32_e32 v5, v14, v5, vcc_lo
	v_cmp_lt_i32_e32 vcc_lo, 5, v13
	s_delay_alu instid0(VALU_DEP_2)
	v_and_b32_e32 v14, 7, v5
	v_cndmask_b32_e64 v15, 0, 1, vcc_lo
	v_cmp_eq_u32_e32 vcc_lo, 3, v13
	v_lshrrev_b32_e32 v5, 2, v5
	v_cndmask_b32_e64 v13, 0, 1, vcc_lo
	v_cmp_lt_i32_e32 vcc_lo, 5, v14
	s_delay_alu instid0(VALU_DEP_2) | instskip(SKIP_2) | instid1(VALU_DEP_3)
	v_or_b32_e32 v13, v13, v15
	v_cndmask_b32_e64 v16, 0, 1, vcc_lo
	v_cmp_eq_u32_e32 vcc_lo, 3, v14
	v_dual_mov_b32 v17, 0x7e00 :: v_dual_add_nc_u32 v10, v10, v13
	v_cndmask_b32_e64 v14, 0, 1, vcc_lo
	v_cmp_ne_u32_e32 vcc_lo, 0, v4
	s_delay_alu instid0(VALU_DEP_2) | instskip(NEXT) | instid1(VALU_DEP_4)
	v_or_b32_e32 v14, v14, v16
	v_cndmask_b32_e32 v4, 0x7c00, v17, vcc_lo
	v_cmp_ne_u32_e32 vcc_lo, 0, v8
	s_delay_alu instid0(VALU_DEP_3) | instskip(SKIP_3) | instid1(VALU_DEP_4)
	v_dual_cndmask_b32 v8, 0x7c00, v17 :: v_dual_add_nc_u32 v5, v5, v14
	v_cmp_gt_i32_e32 vcc_lo, 31, v7
	v_cndmask_b32_e32 v10, 0x7c00, v10, vcc_lo
	v_cmp_gt_i32_e32 vcc_lo, 31, v12
	v_cndmask_b32_e32 v5, 0x7c00, v5, vcc_lo
	v_cmp_eq_u32_e32 vcc_lo, 0x40f, v7
	s_delay_alu instid0(VALU_DEP_4) | instskip(SKIP_1) | instid1(VALU_DEP_2)
	v_cndmask_b32_e32 v4, v10, v4, vcc_lo
	v_cmp_eq_u32_e32 vcc_lo, 0x40f, v12
	v_and_or_b32 v4, 0x8000, v9, v4
	v_cndmask_b32_e32 v5, v5, v8, vcc_lo
	s_delay_alu instid0(VALU_DEP_1)
	v_and_or_b32 v5, 0x8000, v11, v5
	s_branch .LBB150_1036
.LBB150_1032:
	s_mov_b32 s29, -1
                                        ; implicit-def: $vgpr5
                                        ; implicit-def: $vgpr4
	s_branch .LBB150_1055
.LBB150_1033:
	s_mov_b32 s29, -1
                                        ; implicit-def: $vgpr5
                                        ; implicit-def: $vgpr4
	s_branch .LBB150_1042
.LBB150_1034:
	s_mov_b32 s29, -1
                                        ; implicit-def: $vgpr5
                                        ; implicit-def: $vgpr4
	s_branch .LBB150_1039
.LBB150_1035:
	s_mov_b32 s29, -1
                                        ; implicit-def: $vgpr5
                                        ; implicit-def: $vgpr4
.LBB150_1036:
	s_delay_alu instid0(SALU_CYCLE_1)
	s_and_not1_b32 vcc_lo, exec_lo, s29
	s_cbranch_vccnz .LBB150_1038
; %bb.1037:
	s_wait_loadcnt 0x0
	global_load_b64 v[4:5], v[0:1], off
	s_wait_loadcnt 0x0
	v_cvt_f16_f32_e32 v4, v4
	v_cvt_f16_f32_e32 v5, v5
.LBB150_1038:
	s_mov_b32 s29, 0
.LBB150_1039:
	s_delay_alu instid0(SALU_CYCLE_1)
	s_and_not1_b32 vcc_lo, exec_lo, s29
	s_cbranch_vccnz .LBB150_1041
; %bb.1040:
	s_wait_loadcnt 0x0
	global_load_b32 v4, v[0:1], off
	s_wait_loadcnt 0x0
	v_lshrrev_b32_e32 v5, 16, v4
.LBB150_1041:
	s_mov_b32 s29, 0
.LBB150_1042:
	s_delay_alu instid0(SALU_CYCLE_1)
	s_and_not1_b32 vcc_lo, exec_lo, s29
	s_cbranch_vccnz .LBB150_1054
; %bb.1043:
	s_cmp_lt_i32 s0, 6
	s_cbranch_scc1 .LBB150_1046
; %bb.1044:
	s_cmp_gt_i32 s0, 6
	s_cbranch_scc0 .LBB150_1047
; %bb.1045:
	s_wait_loadcnt 0x0
	global_load_b64 v[4:5], v[0:1], off
	s_mov_b32 s29, 0
	s_wait_loadcnt 0x0
	v_and_or_b32 v4, 0x1ff, v5, v4
	v_lshrrev_b32_e32 v7, 8, v5
	v_bfe_u32 v8, v5, 20, 11
	v_lshrrev_b32_e32 v5, 16, v5
	s_delay_alu instid0(VALU_DEP_4) | instskip(NEXT) | instid1(VALU_DEP_3)
	v_cmp_ne_u32_e32 vcc_lo, 0, v4
	v_sub_nc_u32_e32 v9, 0x3f1, v8
	v_add_nc_u32_e32 v8, 0xfffffc10, v8
	v_cndmask_b32_e64 v4, 0, 1, vcc_lo
	s_delay_alu instid0(VALU_DEP_1) | instskip(NEXT) | instid1(VALU_DEP_4)
	v_and_or_b32 v4, 0xffe, v7, v4
	v_med3_i32 v7, v9, 0, 13
	s_delay_alu instid0(VALU_DEP_2) | instskip(NEXT) | instid1(VALU_DEP_1)
	v_or_b32_e32 v9, 0x1000, v4
	v_lshrrev_b32_e32 v10, v7, v9
	s_delay_alu instid0(VALU_DEP_1) | instskip(NEXT) | instid1(VALU_DEP_1)
	v_lshlrev_b32_e32 v7, v7, v10
	v_cmp_ne_u32_e32 vcc_lo, v7, v9
	v_lshl_or_b32 v9, v8, 12, v4
	v_cndmask_b32_e64 v7, 0, 1, vcc_lo
	v_cmp_gt_i32_e32 vcc_lo, 1, v8
	s_delay_alu instid0(VALU_DEP_2) | instskip(NEXT) | instid1(VALU_DEP_1)
	v_or_b32_e32 v7, v10, v7
	v_cndmask_b32_e32 v7, v9, v7, vcc_lo
	s_delay_alu instid0(VALU_DEP_1) | instskip(NEXT) | instid1(VALU_DEP_1)
	v_dual_lshrrev_b32 v7, 2, v7 :: v_dual_bitop2_b32 v9, 7, v7 bitop3:0x40
	v_cmp_lt_i32_e32 vcc_lo, 5, v9
	v_cndmask_b32_e64 v10, 0, 1, vcc_lo
	v_cmp_eq_u32_e32 vcc_lo, 3, v9
	v_cndmask_b32_e64 v9, 0, 1, vcc_lo
	v_cmp_ne_u32_e32 vcc_lo, 0, v4
	s_delay_alu instid0(VALU_DEP_2) | instskip(NEXT) | instid1(VALU_DEP_1)
	v_or_b32_e32 v9, v9, v10
	v_dual_mov_b32 v10, 0x7e00 :: v_dual_add_nc_u32 v7, v7, v9
	s_delay_alu instid0(VALU_DEP_1) | instskip(SKIP_1) | instid1(VALU_DEP_3)
	v_cndmask_b32_e32 v4, 0x7c00, v10, vcc_lo
	v_cmp_gt_i32_e32 vcc_lo, 31, v8
	v_cndmask_b32_e32 v7, 0x7c00, v7, vcc_lo
	v_cmp_eq_u32_e32 vcc_lo, 0x40f, v8
	s_delay_alu instid0(VALU_DEP_2) | instskip(NEXT) | instid1(VALU_DEP_1)
	v_cndmask_b32_e32 v4, v7, v4, vcc_lo
	v_and_or_b32 v4, 0x8000, v5, v4
	s_branch .LBB150_1048
.LBB150_1046:
	s_mov_b32 s29, -1
                                        ; implicit-def: $vgpr4
	s_branch .LBB150_1051
.LBB150_1047:
	s_mov_b32 s29, -1
                                        ; implicit-def: $vgpr4
.LBB150_1048:
	s_delay_alu instid0(SALU_CYCLE_1)
	s_and_not1_b32 vcc_lo, exec_lo, s29
	s_cbranch_vccnz .LBB150_1050
; %bb.1049:
	s_wait_loadcnt 0x0
	global_load_b32 v4, v[0:1], off
	s_wait_loadcnt 0x0
	v_cvt_f16_f32_e32 v4, v4
.LBB150_1050:
	s_mov_b32 s29, 0
.LBB150_1051:
	s_delay_alu instid0(SALU_CYCLE_1)
	s_and_not1_b32 vcc_lo, exec_lo, s29
	s_cbranch_vccnz .LBB150_1053
; %bb.1052:
	s_wait_loadcnt 0x0
	global_load_u16 v4, v[0:1], off
.LBB150_1053:
	v_mov_b32_e32 v5, 0
.LBB150_1054:
	s_mov_b32 s29, 0
.LBB150_1055:
	s_delay_alu instid0(SALU_CYCLE_1)
	s_and_not1_b32 vcc_lo, exec_lo, s29
	s_cbranch_vccnz .LBB150_1076
; %bb.1056:
	s_cmp_lt_i32 s0, 2
	s_cbranch_scc1 .LBB150_1060
; %bb.1057:
	s_cmp_lt_i32 s0, 3
	s_cbranch_scc1 .LBB150_1061
; %bb.1058:
	s_cmp_gt_i32 s0, 3
	s_cbranch_scc0 .LBB150_1062
; %bb.1059:
	s_wait_loadcnt 0x0
	global_load_b64 v[4:5], v[0:1], off
	s_mov_b32 s29, 0
	s_wait_loadcnt 0x0
	v_xor_b32_e32 v7, v4, v5
	v_cls_i32_e32 v8, v5
	s_delay_alu instid0(VALU_DEP_2) | instskip(NEXT) | instid1(VALU_DEP_1)
	v_ashrrev_i32_e32 v7, 31, v7
	v_add_nc_u32_e32 v7, 32, v7
	s_delay_alu instid0(VALU_DEP_1) | instskip(NEXT) | instid1(VALU_DEP_1)
	v_add_min_u32_e64 v7, v8, -1, v7
	v_lshlrev_b64_e32 v[4:5], v7, v[4:5]
	s_delay_alu instid0(VALU_DEP_1) | instskip(NEXT) | instid1(VALU_DEP_1)
	v_min_u32_e32 v4, 1, v4
	v_dual_sub_nc_u32 v5, 32, v7 :: v_dual_bitop2_b32 v4, v5, v4 bitop3:0x54
	s_delay_alu instid0(VALU_DEP_1) | instskip(NEXT) | instid1(VALU_DEP_1)
	v_cvt_f32_i32_e32 v4, v4
	v_ldexp_f32 v4, v4, v5
	s_delay_alu instid0(VALU_DEP_1)
	v_cvt_f16_f32_e32 v4, v4
	s_branch .LBB150_1063
.LBB150_1060:
	s_mov_b32 s29, -1
                                        ; implicit-def: $vgpr4
	s_branch .LBB150_1069
.LBB150_1061:
	s_mov_b32 s29, -1
                                        ; implicit-def: $vgpr4
	s_branch .LBB150_1066
.LBB150_1062:
	s_mov_b32 s29, -1
                                        ; implicit-def: $vgpr4
.LBB150_1063:
	s_delay_alu instid0(SALU_CYCLE_1)
	s_and_not1_b32 vcc_lo, exec_lo, s29
	s_cbranch_vccnz .LBB150_1065
; %bb.1064:
	s_wait_loadcnt 0x0
	global_load_b32 v4, v[0:1], off
	s_wait_loadcnt 0x0
	v_cvt_f32_i32_e32 v4, v4
	s_delay_alu instid0(VALU_DEP_1)
	v_cvt_f16_f32_e32 v4, v4
.LBB150_1065:
	s_mov_b32 s29, 0
.LBB150_1066:
	s_delay_alu instid0(SALU_CYCLE_1)
	s_and_not1_b32 vcc_lo, exec_lo, s29
	s_cbranch_vccnz .LBB150_1068
; %bb.1067:
	s_wait_loadcnt 0x0
	global_load_u16 v4, v[0:1], off
	s_wait_loadcnt 0x0
	v_cvt_f16_i16_e32 v4, v4
.LBB150_1068:
	s_mov_b32 s29, 0
.LBB150_1069:
	s_delay_alu instid0(SALU_CYCLE_1)
	s_and_not1_b32 vcc_lo, exec_lo, s29
	s_cbranch_vccnz .LBB150_1075
; %bb.1070:
	s_cmp_gt_i32 s0, 0
	s_mov_b32 s0, 0
	s_cbranch_scc0 .LBB150_1072
; %bb.1071:
	s_wait_loadcnt 0x0
	global_load_i8 v4, v[0:1], off
	s_wait_loadcnt 0x0
	v_cvt_f16_i16_e32 v4, v4
	s_branch .LBB150_1073
.LBB150_1072:
	s_mov_b32 s0, -1
                                        ; implicit-def: $vgpr4
.LBB150_1073:
	s_delay_alu instid0(SALU_CYCLE_1)
	s_and_not1_b32 vcc_lo, exec_lo, s0
	s_cbranch_vccnz .LBB150_1075
; %bb.1074:
	global_load_u8 v0, v[0:1], off
	s_wait_loadcnt 0x0
	v_cvt_f16_u16_e32 v4, v0
.LBB150_1075:
	v_mov_b32_e32 v5, 0
.LBB150_1076:
	s_mov_b32 s30, -1
.LBB150_1077:
	s_delay_alu instid0(SALU_CYCLE_1)
	s_and_not1_b32 vcc_lo, exec_lo, s30
	s_cbranch_vccnz .LBB150_1080
; %bb.1078:
	s_and_not1_b32 vcc_lo, exec_lo, s16
	s_cbranch_vccnz .LBB150_1081
; %bb.1079:
	s_wait_loadcnt 0x0
	v_cmp_neq_f16_e32 vcc_lo, v2, v4
	v_cmp_neq_f16_e64 s0, v3, v5
	s_or_b32 s29, vcc_lo, s0
	s_mov_b32 s0, 0
	s_branch .LBB150_1082
.LBB150_1080:
	s_mov_b32 s30, 0
	s_mov_b32 s0, s23
	s_branch .LBB150_1207
.LBB150_1081:
	s_mov_b32 s0, -1
                                        ; implicit-def: $sgpr29
.LBB150_1082:
	s_delay_alu instid0(SALU_CYCLE_1)
	s_and_not1_b32 vcc_lo, exec_lo, s0
	s_cbranch_vccnz .LBB150_1084
; %bb.1083:
	s_wait_loadcnt 0x0
	v_cmp_eq_f16_e32 vcc_lo, v2, v4
	v_cmp_eq_f16_e64 s0, v3, v5
	s_and_not1_b32 s29, s29, exec_lo
	s_and_b32 s0, vcc_lo, s0
	s_delay_alu instid0(SALU_CYCLE_1) | instskip(NEXT) | instid1(SALU_CYCLE_1)
	s_and_b32 s0, s0, exec_lo
	s_or_b32 s29, s29, s0
.LBB150_1084:
	s_wait_xcnt 0x0
	v_mul_lo_u32 v0, v6, s8
	s_and_b32 s30, s12, 0xff
	s_delay_alu instid0(SALU_CYCLE_1) | instskip(NEXT) | instid1(VALU_DEP_1)
	s_cmp_lt_i32 s30, 11
	v_ashrrev_i32_e32 v1, 31, v0
	s_delay_alu instid0(VALU_DEP_1)
	v_add_nc_u64_e32 v[0:1], s[4:5], v[0:1]
	s_cbranch_scc1 .LBB150_1091
; %bb.1085:
	s_and_b32 s31, 0xffff, s30
	s_delay_alu instid0(SALU_CYCLE_1)
	s_cmp_gt_i32 s31, 25
	s_cbranch_scc0 .LBB150_1092
; %bb.1086:
	s_cmp_gt_i32 s31, 28
	s_cbranch_scc0 .LBB150_1093
; %bb.1087:
	;; [unrolled: 3-line block ×4, first 2 shown]
	s_mov_b32 s34, 0
	s_mov_b32 s0, -1
	s_cmp_eq_u32 s31, 46
	s_mov_b32 s33, 0
	s_cbranch_scc0 .LBB150_1096
; %bb.1090:
	s_wait_loadcnt 0x0
	v_cndmask_b32_e64 v2, 0, 1.0, s29
	s_mov_b32 s33, -1
	s_mov_b32 s0, 0
	s_delay_alu instid0(VALU_DEP_1) | instskip(NEXT) | instid1(VALU_DEP_1)
	v_bfe_u32 v3, v2, 16, 1
	v_add3_u32 v2, v2, v3, 0x7fff
	s_delay_alu instid0(VALU_DEP_1)
	v_lshrrev_b32_e32 v2, 16, v2
	global_store_b32 v[0:1], v2, off
	s_branch .LBB150_1096
.LBB150_1091:
	s_mov_b32 s31, -1
	s_mov_b32 s33, 0
	s_mov_b32 s0, s23
	s_branch .LBB150_1165
.LBB150_1092:
	s_mov_b32 s33, 0
	s_mov_b32 s0, s23
	s_branch .LBB150_1123
.LBB150_1093:
	s_mov_b32 s33, 0
	s_mov_b32 s0, s23
	s_branch .LBB150_1106
.LBB150_1094:
	s_mov_b32 s33, 0
	s_mov_b32 s0, s23
	s_branch .LBB150_1102
.LBB150_1095:
	s_mov_b32 s33, 0
	s_mov_b32 s0, s23
.LBB150_1096:
	s_and_b32 vcc_lo, exec_lo, s34
	s_cbranch_vccz .LBB150_1101
; %bb.1097:
	s_cmp_eq_u32 s31, 44
	s_mov_b32 s0, -1
	s_cbranch_scc0 .LBB150_1101
; %bb.1098:
	s_wait_loadcnt 0x0
	v_cndmask_b32_e64 v4, 0, 1.0, s29
	s_mov_b32 s33, exec_lo
	s_wait_xcnt 0x0
	s_delay_alu instid0(VALU_DEP_1) | instskip(NEXT) | instid1(VALU_DEP_1)
	v_dual_mov_b32 v3, 0xff :: v_dual_lshrrev_b32 v2, 23, v4
	v_cmpx_ne_u32_e32 0xff, v2
; %bb.1099:
	v_and_b32_e32 v3, 0x400000, v4
	v_and_or_b32 v4, 0x3fffff, v4, v2
	s_delay_alu instid0(VALU_DEP_2) | instskip(NEXT) | instid1(VALU_DEP_2)
	v_cmp_ne_u32_e32 vcc_lo, 0, v3
	v_cmp_ne_u32_e64 s0, 0, v4
	s_and_b32 s0, vcc_lo, s0
	s_delay_alu instid0(SALU_CYCLE_1) | instskip(NEXT) | instid1(VALU_DEP_1)
	v_cndmask_b32_e64 v3, 0, 1, s0
	v_add_nc_u32_e32 v3, v2, v3
; %bb.1100:
	s_or_b32 exec_lo, exec_lo, s33
	s_mov_b32 s33, -1
	s_mov_b32 s0, 0
	global_store_b8 v[0:1], v3, off
.LBB150_1101:
	s_mov_b32 s34, 0
.LBB150_1102:
	s_delay_alu instid0(SALU_CYCLE_1)
	s_and_b32 vcc_lo, exec_lo, s34
	s_cbranch_vccz .LBB150_1105
; %bb.1103:
	s_cmp_eq_u32 s31, 29
	s_mov_b32 s0, -1
	s_cbranch_scc0 .LBB150_1105
; %bb.1104:
	s_mov_b32 s0, 0
	s_wait_loadcnt 0x0
	v_cndmask_b32_e64 v2, 0, 1, s29
	v_mov_b32_e32 v3, s0
	s_mov_b32 s33, -1
	s_mov_b32 s34, 0
	global_store_b64 v[0:1], v[2:3], off
	s_branch .LBB150_1106
.LBB150_1105:
	s_mov_b32 s34, 0
.LBB150_1106:
	s_delay_alu instid0(SALU_CYCLE_1)
	s_and_b32 vcc_lo, exec_lo, s34
	s_cbranch_vccz .LBB150_1122
; %bb.1107:
	s_cmp_lt_i32 s31, 27
	s_mov_b32 s33, -1
	s_cbranch_scc1 .LBB150_1113
; %bb.1108:
	s_cmp_gt_i32 s31, 27
	s_cbranch_scc0 .LBB150_1110
; %bb.1109:
	s_wait_loadcnt 0x0
	v_cndmask_b32_e64 v2, 0, 1, s29
	s_mov_b32 s33, 0
	global_store_b32 v[0:1], v2, off
.LBB150_1110:
	s_and_not1_b32 vcc_lo, exec_lo, s33
	s_cbranch_vccnz .LBB150_1112
; %bb.1111:
	s_wait_loadcnt 0x0
	v_cndmask_b32_e64 v2, 0, 1, s29
	global_store_b16 v[0:1], v2, off
.LBB150_1112:
	s_mov_b32 s33, 0
.LBB150_1113:
	s_delay_alu instid0(SALU_CYCLE_1)
	s_and_not1_b32 vcc_lo, exec_lo, s33
	s_cbranch_vccnz .LBB150_1121
; %bb.1114:
	s_wait_xcnt 0x0
	v_cndmask_b32_e64 v3, 0, 1.0, s29
	s_wait_loadcnt 0x0
	v_mov_b32_e32 v4, 0x80
	s_mov_b32 s33, exec_lo
	s_delay_alu instid0(VALU_DEP_2)
	v_cmpx_gt_u32_e32 0x43800000, v3
	s_cbranch_execz .LBB150_1120
; %bb.1115:
	s_mov_b32 s34, 0
	s_mov_b32 s35, exec_lo
                                        ; implicit-def: $vgpr2
	v_cmpx_lt_u32_e32 0x3bffffff, v3
	s_xor_b32 s35, exec_lo, s35
	s_cbranch_execz .LBB150_1223
; %bb.1116:
	v_bfe_u32 v2, v3, 20, 1
	s_mov_b32 s34, exec_lo
	s_delay_alu instid0(VALU_DEP_1) | instskip(NEXT) | instid1(VALU_DEP_1)
	v_add3_u32 v2, v3, v2, 0x487ffff
                                        ; implicit-def: $vgpr3
	v_lshrrev_b32_e32 v2, 20, v2
	s_and_not1_saveexec_b32 s35, s35
	s_cbranch_execnz .LBB150_1224
.LBB150_1117:
	s_or_b32 exec_lo, exec_lo, s35
	v_mov_b32_e32 v4, 0
	s_and_saveexec_b32 s35, s34
.LBB150_1118:
	v_mov_b32_e32 v4, v2
.LBB150_1119:
	s_or_b32 exec_lo, exec_lo, s35
.LBB150_1120:
	s_delay_alu instid0(SALU_CYCLE_1)
	s_or_b32 exec_lo, exec_lo, s33
	global_store_b8 v[0:1], v4, off
.LBB150_1121:
	s_mov_b32 s33, -1
.LBB150_1122:
	s_mov_b32 s34, 0
.LBB150_1123:
	s_delay_alu instid0(SALU_CYCLE_1)
	s_and_b32 vcc_lo, exec_lo, s34
	s_cbranch_vccz .LBB150_1164
; %bb.1124:
	s_cmp_gt_i32 s31, 22
	s_mov_b32 s34, -1
	s_cbranch_scc0 .LBB150_1156
; %bb.1125:
	s_cmp_lt_i32 s31, 24
	s_mov_b32 s33, -1
	s_cbranch_scc1 .LBB150_1145
; %bb.1126:
	s_cmp_gt_i32 s31, 24
	s_cbranch_scc0 .LBB150_1134
; %bb.1127:
	s_wait_xcnt 0x0
	v_cndmask_b32_e64 v3, 0, 1.0, s29
	s_wait_loadcnt 0x0
	v_mov_b32_e32 v4, 0x80
	s_mov_b32 s33, exec_lo
	s_delay_alu instid0(VALU_DEP_2)
	v_cmpx_gt_u32_e32 0x47800000, v3
	s_cbranch_execz .LBB150_1133
; %bb.1128:
	s_mov_b32 s34, 0
	s_mov_b32 s35, exec_lo
                                        ; implicit-def: $vgpr2
	v_cmpx_lt_u32_e32 0x37ffffff, v3
	s_xor_b32 s35, exec_lo, s35
	s_cbranch_execz .LBB150_2298
; %bb.1129:
	v_bfe_u32 v2, v3, 21, 1
	s_mov_b32 s34, exec_lo
	s_delay_alu instid0(VALU_DEP_1) | instskip(NEXT) | instid1(VALU_DEP_1)
	v_add3_u32 v2, v3, v2, 0x88fffff
                                        ; implicit-def: $vgpr3
	v_lshrrev_b32_e32 v2, 21, v2
	s_and_not1_saveexec_b32 s35, s35
	s_cbranch_execnz .LBB150_2299
.LBB150_1130:
	s_or_b32 exec_lo, exec_lo, s35
	v_mov_b32_e32 v4, 0
	s_and_saveexec_b32 s35, s34
.LBB150_1131:
	v_mov_b32_e32 v4, v2
.LBB150_1132:
	s_or_b32 exec_lo, exec_lo, s35
.LBB150_1133:
	s_delay_alu instid0(SALU_CYCLE_1)
	s_or_b32 exec_lo, exec_lo, s33
	s_mov_b32 s33, 0
	global_store_b8 v[0:1], v4, off
.LBB150_1134:
	s_and_b32 vcc_lo, exec_lo, s33
	s_cbranch_vccz .LBB150_1144
; %bb.1135:
	s_wait_xcnt 0x0
	v_cndmask_b32_e64 v3, 0, 1.0, s29
	s_mov_b32 s33, exec_lo
                                        ; implicit-def: $vgpr2
	s_delay_alu instid0(VALU_DEP_1)
	v_cmpx_gt_u32_e32 0x43f00000, v3
	s_xor_b32 s33, exec_lo, s33
	s_cbranch_execz .LBB150_1141
; %bb.1136:
	s_mov_b32 s34, exec_lo
                                        ; implicit-def: $vgpr2
	v_cmpx_lt_u32_e32 0x3c7fffff, v3
	s_xor_b32 s34, exec_lo, s34
	s_cbranch_execz .LBB150_1138
; %bb.1137:
	s_wait_loadcnt 0x0
	v_bfe_u32 v2, v3, 20, 1
	s_delay_alu instid0(VALU_DEP_1) | instskip(NEXT) | instid1(VALU_DEP_1)
	v_add3_u32 v2, v3, v2, 0x407ffff
	v_and_b32_e32 v3, 0xff00000, v2
	v_lshrrev_b32_e32 v2, 20, v2
	s_delay_alu instid0(VALU_DEP_2) | instskip(NEXT) | instid1(VALU_DEP_2)
	v_cmp_ne_u32_e32 vcc_lo, 0x7f00000, v3
                                        ; implicit-def: $vgpr3
	v_cndmask_b32_e32 v2, 0x7e, v2, vcc_lo
.LBB150_1138:
	s_and_not1_saveexec_b32 s34, s34
	s_cbranch_execz .LBB150_1140
; %bb.1139:
	s_wait_loadcnt 0x0
	v_add_f32_e32 v2, 0x46800000, v3
.LBB150_1140:
	s_or_b32 exec_lo, exec_lo, s34
                                        ; implicit-def: $vgpr3
.LBB150_1141:
	s_and_not1_saveexec_b32 s33, s33
	s_cbranch_execz .LBB150_1143
; %bb.1142:
	s_wait_loadcnt 0x0
	v_mov_b32_e32 v2, 0x7f
	v_cmp_lt_u32_e32 vcc_lo, 0x7f800000, v3
	s_delay_alu instid0(VALU_DEP_2)
	v_cndmask_b32_e32 v2, 0x7e, v2, vcc_lo
.LBB150_1143:
	s_or_b32 exec_lo, exec_lo, s33
	s_wait_loadcnt 0x0
	global_store_b8 v[0:1], v2, off
.LBB150_1144:
	s_mov_b32 s33, 0
.LBB150_1145:
	s_delay_alu instid0(SALU_CYCLE_1)
	s_and_not1_b32 vcc_lo, exec_lo, s33
	s_cbranch_vccnz .LBB150_1155
; %bb.1146:
	s_wait_xcnt 0x0
	v_cndmask_b32_e64 v3, 0, 1.0, s29
	s_mov_b32 s33, exec_lo
                                        ; implicit-def: $vgpr2
	s_delay_alu instid0(VALU_DEP_1)
	v_cmpx_gt_u32_e32 0x47800000, v3
	s_xor_b32 s33, exec_lo, s33
	s_cbranch_execz .LBB150_1152
; %bb.1147:
	s_mov_b32 s34, exec_lo
                                        ; implicit-def: $vgpr2
	v_cmpx_lt_u32_e32 0x387fffff, v3
	s_xor_b32 s34, exec_lo, s34
	s_cbranch_execz .LBB150_1149
; %bb.1148:
	s_wait_loadcnt 0x0
	v_bfe_u32 v2, v3, 21, 1
	s_delay_alu instid0(VALU_DEP_1) | instskip(NEXT) | instid1(VALU_DEP_1)
	v_add3_u32 v2, v3, v2, 0x80fffff
                                        ; implicit-def: $vgpr3
	v_lshrrev_b32_e32 v2, 21, v2
.LBB150_1149:
	s_and_not1_saveexec_b32 s34, s34
	s_cbranch_execz .LBB150_1151
; %bb.1150:
	s_wait_loadcnt 0x0
	v_add_f32_e32 v2, 0x43000000, v3
.LBB150_1151:
	s_or_b32 exec_lo, exec_lo, s34
                                        ; implicit-def: $vgpr3
.LBB150_1152:
	s_and_not1_saveexec_b32 s33, s33
	s_cbranch_execz .LBB150_1154
; %bb.1153:
	s_wait_loadcnt 0x0
	v_mov_b32_e32 v2, 0x7f
	v_cmp_lt_u32_e32 vcc_lo, 0x7f800000, v3
	s_delay_alu instid0(VALU_DEP_2)
	v_cndmask_b32_e32 v2, 0x7c, v2, vcc_lo
.LBB150_1154:
	s_or_b32 exec_lo, exec_lo, s33
	s_wait_loadcnt 0x0
	global_store_b8 v[0:1], v2, off
.LBB150_1155:
	s_mov_b32 s34, 0
	s_mov_b32 s33, -1
.LBB150_1156:
	s_and_not1_b32 vcc_lo, exec_lo, s34
	s_cbranch_vccnz .LBB150_1164
; %bb.1157:
	s_cmp_gt_i32 s31, 14
	s_mov_b32 s34, -1
	s_cbranch_scc0 .LBB150_1161
; %bb.1158:
	s_cmp_eq_u32 s31, 15
	s_mov_b32 s0, -1
	s_cbranch_scc0 .LBB150_1160
; %bb.1159:
	s_wait_loadcnt 0x0
	v_cndmask_b32_e64 v2, 0, 1.0, s29
	s_mov_b32 s33, -1
	s_mov_b32 s0, 0
	s_delay_alu instid0(VALU_DEP_1) | instskip(NEXT) | instid1(VALU_DEP_1)
	v_bfe_u32 v3, v2, 16, 1
	v_add3_u32 v2, v2, v3, 0x7fff
	global_store_d16_hi_b16 v[0:1], v2, off
.LBB150_1160:
	s_mov_b32 s34, 0
.LBB150_1161:
	s_delay_alu instid0(SALU_CYCLE_1)
	s_and_b32 vcc_lo, exec_lo, s34
	s_cbranch_vccz .LBB150_1164
; %bb.1162:
	s_cmp_eq_u32 s31, 11
	s_mov_b32 s0, -1
	s_cbranch_scc0 .LBB150_1164
; %bb.1163:
	s_wait_loadcnt 0x0
	v_cndmask_b32_e64 v2, 0, 1, s29
	s_mov_b32 s33, -1
	s_mov_b32 s0, 0
	global_store_b8 v[0:1], v2, off
.LBB150_1164:
	s_mov_b32 s31, 0
.LBB150_1165:
	s_delay_alu instid0(SALU_CYCLE_1)
	s_and_b32 vcc_lo, exec_lo, s31
	s_cbranch_vccz .LBB150_1204
; %bb.1166:
	s_and_b32 s30, 0xffff, s30
	s_mov_b32 s31, -1
	s_cmp_lt_i32 s30, 5
	s_cbranch_scc1 .LBB150_1187
; %bb.1167:
	s_cmp_lt_i32 s30, 8
	s_cbranch_scc1 .LBB150_1177
; %bb.1168:
	;; [unrolled: 3-line block ×3, first 2 shown]
	s_cmp_gt_i32 s30, 9
	s_cbranch_scc0 .LBB150_1171
; %bb.1170:
	s_wait_loadcnt 0x0
	v_cndmask_b32_e64 v2, 0, 1, s29
	v_mov_b32_e32 v4, 0
	s_mov_b32 s31, 0
	s_delay_alu instid0(VALU_DEP_2) | instskip(NEXT) | instid1(VALU_DEP_2)
	v_cvt_f64_u32_e32 v[2:3], v2
	v_mov_b32_e32 v5, v4
	global_store_b128 v[0:1], v[2:5], off
.LBB150_1171:
	s_and_not1_b32 vcc_lo, exec_lo, s31
	s_cbranch_vccnz .LBB150_1173
; %bb.1172:
	s_wait_loadcnt 0x0
	v_cndmask_b32_e64 v2, 0, 1.0, s29
	v_mov_b32_e32 v3, 0
	global_store_b64 v[0:1], v[2:3], off
.LBB150_1173:
	s_mov_b32 s31, 0
.LBB150_1174:
	s_delay_alu instid0(SALU_CYCLE_1)
	s_and_not1_b32 vcc_lo, exec_lo, s31
	s_cbranch_vccnz .LBB150_1176
; %bb.1175:
	s_wait_loadcnt 0x0
	v_cndmask_b32_e64 v2, 0, 1.0, s29
	s_delay_alu instid0(VALU_DEP_1) | instskip(NEXT) | instid1(VALU_DEP_1)
	v_cvt_f16_f32_e32 v2, v2
	v_and_b32_e32 v2, 0xffff, v2
	global_store_b32 v[0:1], v2, off
.LBB150_1176:
	s_mov_b32 s31, 0
.LBB150_1177:
	s_delay_alu instid0(SALU_CYCLE_1)
	s_and_not1_b32 vcc_lo, exec_lo, s31
	s_cbranch_vccnz .LBB150_1186
; %bb.1178:
	s_cmp_lt_i32 s30, 6
	s_mov_b32 s31, -1
	s_cbranch_scc1 .LBB150_1184
; %bb.1179:
	s_cmp_gt_i32 s30, 6
	s_cbranch_scc0 .LBB150_1181
; %bb.1180:
	s_wait_loadcnt 0x0
	v_cndmask_b32_e64 v2, 0, 1, s29
	s_mov_b32 s31, 0
	s_delay_alu instid0(VALU_DEP_1)
	v_cvt_f64_u32_e32 v[2:3], v2
	global_store_b64 v[0:1], v[2:3], off
.LBB150_1181:
	s_and_not1_b32 vcc_lo, exec_lo, s31
	s_cbranch_vccnz .LBB150_1183
; %bb.1182:
	s_wait_loadcnt 0x0
	v_cndmask_b32_e64 v2, 0, 1.0, s29
	global_store_b32 v[0:1], v2, off
.LBB150_1183:
	s_mov_b32 s31, 0
.LBB150_1184:
	s_delay_alu instid0(SALU_CYCLE_1)
	s_and_not1_b32 vcc_lo, exec_lo, s31
	s_cbranch_vccnz .LBB150_1186
; %bb.1185:
	s_wait_loadcnt 0x0
	v_cndmask_b32_e64 v2, 0, 1.0, s29
	s_delay_alu instid0(VALU_DEP_1)
	v_cvt_f16_f32_e32 v2, v2
	global_store_b16 v[0:1], v2, off
.LBB150_1186:
	s_mov_b32 s31, 0
.LBB150_1187:
	s_delay_alu instid0(SALU_CYCLE_1)
	s_and_not1_b32 vcc_lo, exec_lo, s31
	s_cbranch_vccnz .LBB150_1203
; %bb.1188:
	s_cmp_lt_i32 s30, 2
	s_mov_b32 s31, -1
	s_cbranch_scc1 .LBB150_1198
; %bb.1189:
	s_cmp_lt_i32 s30, 3
	s_cbranch_scc1 .LBB150_1195
; %bb.1190:
	s_cmp_gt_i32 s30, 3
	s_cbranch_scc0 .LBB150_1192
; %bb.1191:
	s_mov_b32 s31, 0
	s_wait_loadcnt 0x0
	v_cndmask_b32_e64 v2, 0, 1, s29
	v_mov_b32_e32 v3, s31
	global_store_b64 v[0:1], v[2:3], off
.LBB150_1192:
	s_and_not1_b32 vcc_lo, exec_lo, s31
	s_cbranch_vccnz .LBB150_1194
; %bb.1193:
	s_wait_loadcnt 0x0
	v_cndmask_b32_e64 v2, 0, 1, s29
	global_store_b32 v[0:1], v2, off
.LBB150_1194:
	s_mov_b32 s31, 0
.LBB150_1195:
	s_delay_alu instid0(SALU_CYCLE_1)
	s_and_not1_b32 vcc_lo, exec_lo, s31
	s_cbranch_vccnz .LBB150_1197
; %bb.1196:
	s_wait_loadcnt 0x0
	v_cndmask_b32_e64 v2, 0, 1, s29
	global_store_b16 v[0:1], v2, off
.LBB150_1197:
	s_mov_b32 s31, 0
.LBB150_1198:
	s_delay_alu instid0(SALU_CYCLE_1)
	s_and_not1_b32 vcc_lo, exec_lo, s31
	s_cbranch_vccnz .LBB150_1203
; %bb.1199:
	s_wait_loadcnt 0x0
	v_cndmask_b32_e64 v2, 0, 1, s29
	s_cmp_gt_i32 s30, 0
	s_mov_b32 s29, -1
	s_cbranch_scc0 .LBB150_1201
; %bb.1200:
	s_mov_b32 s29, 0
	global_store_b8 v[0:1], v2, off
.LBB150_1201:
	s_and_not1_b32 vcc_lo, exec_lo, s29
	s_cbranch_vccnz .LBB150_1203
; %bb.1202:
	global_store_b8 v[0:1], v2, off
.LBB150_1203:
	s_mov_b32 s33, -1
.LBB150_1204:
	s_delay_alu instid0(SALU_CYCLE_1)
	s_and_not1_b32 vcc_lo, exec_lo, s33
	s_cbranch_vccnz .LBB150_1206
; %bb.1205:
	v_add_nc_u32_e32 v6, 0x80, v6
	s_mov_b32 s30, -1
	s_branch .LBB150_1208
.LBB150_1206:
	s_mov_b32 s30, 0
.LBB150_1207:
                                        ; implicit-def: $vgpr6
.LBB150_1208:
	s_and_not1_b32 s29, s23, exec_lo
	s_and_b32 s0, s0, exec_lo
	s_and_b32 s28, s28, exec_lo
	s_or_b32 s29, s29, s0
	s_and_not1_b32 s0, s24, exec_lo
	s_and_not1_b32 s31, s22, exec_lo
	s_and_b32 s27, s27, exec_lo
	s_or_b32 s28, s0, s28
	s_or_b32 s27, s31, s27
	s_or_not1_b32 s34, s30, exec_lo
.LBB150_1209:
	s_wait_xcnt 0x0
	s_or_b32 exec_lo, exec_lo, s26
	s_mov_b32 s30, 0
	s_mov_b32 s31, 0
	;; [unrolled: 1-line block ×3, first 2 shown]
                                        ; implicit-def: $sgpr0
                                        ; implicit-def: $vgpr0_vgpr1
                                        ; implicit-def: $vgpr3
                                        ; implicit-def: $vgpr2
	s_and_saveexec_b32 s26, s34
	s_cbranch_execz .LBB150_1295
; %bb.1210:
	v_cmp_gt_i32_e32 vcc_lo, s17, v6
	s_mov_b32 s35, s27
	s_mov_b32 s34, 0
	;; [unrolled: 1-line block ×3, first 2 shown]
                                        ; implicit-def: $sgpr0
                                        ; implicit-def: $vgpr0_vgpr1
                                        ; implicit-def: $vgpr3
                                        ; implicit-def: $vgpr2
	s_and_saveexec_b32 s17, vcc_lo
	s_cbranch_execz .LBB150_1294
; %bb.1211:
	v_mul_lo_u32 v0, v6, s9
	s_and_b32 s0, s14, 0xff
	s_delay_alu instid0(SALU_CYCLE_1) | instskip(NEXT) | instid1(VALU_DEP_1)
	s_cmp_lt_i32 s0, 11
	v_ashrrev_i32_e32 v1, 31, v0
	s_delay_alu instid0(VALU_DEP_1)
	v_add_nc_u64_e32 v[0:1], s[6:7], v[0:1]
	s_cbranch_scc1 .LBB150_1218
; %bb.1212:
	s_and_b32 s30, 0xffff, s0
	s_delay_alu instid0(SALU_CYCLE_1)
	s_cmp_gt_i32 s30, 25
	s_cbranch_scc0 .LBB150_1219
; %bb.1213:
	s_cmp_gt_i32 s30, 28
	s_cbranch_scc0 .LBB150_1220
; %bb.1214:
	;; [unrolled: 3-line block ×4, first 2 shown]
	s_cmp_eq_u32 s30, 46
	s_mov_b32 s35, 0
	s_cbranch_scc0 .LBB150_1225
; %bb.1217:
	s_wait_loadcnt 0x0
	global_load_b32 v2, v[0:1], off
	s_mov_b32 s34, -1
	s_wait_loadcnt 0x0
	v_lshlrev_b32_e32 v3, 16, v2
	v_and_b32_e32 v4, 0xffff0000, v2
	s_delay_alu instid0(VALU_DEP_2) | instskip(NEXT) | instid1(VALU_DEP_2)
	v_cvt_f16_f32_e32 v2, v3
	v_cvt_f16_f32_e32 v3, v4
	s_branch .LBB150_1227
.LBB150_1218:
	s_mov_b32 s30, -1
	s_mov_b32 s31, s27
                                        ; implicit-def: $vgpr3
                                        ; implicit-def: $vgpr2
	s_branch .LBB150_1293
.LBB150_1219:
	s_mov_b32 s35, -1
	s_mov_b32 s31, s27
                                        ; implicit-def: $vgpr3
                                        ; implicit-def: $vgpr2
	s_branch .LBB150_1258
.LBB150_1220:
	s_mov_b32 s35, -1
	s_mov_b32 s31, s27
                                        ; implicit-def: $vgpr3
                                        ; implicit-def: $vgpr2
	s_branch .LBB150_1239
.LBB150_1221:
	s_mov_b32 s35, -1
	s_mov_b32 s31, s27
                                        ; implicit-def: $vgpr3
                                        ; implicit-def: $vgpr2
	s_branch .LBB150_1233
.LBB150_1222:
	s_mov_b32 s35, -1
	s_mov_b32 s31, s27
	s_branch .LBB150_1226
.LBB150_1223:
	s_and_not1_saveexec_b32 s35, s35
	s_cbranch_execz .LBB150_1117
.LBB150_1224:
	v_add_f32_e32 v2, 0x46000000, v3
	s_and_not1_b32 s34, s34, exec_lo
	s_delay_alu instid0(VALU_DEP_1) | instskip(NEXT) | instid1(VALU_DEP_1)
	v_and_b32_e32 v2, 0xff, v2
	v_cmp_ne_u32_e32 vcc_lo, 0, v2
	s_and_b32 s36, vcc_lo, exec_lo
	s_delay_alu instid0(SALU_CYCLE_1)
	s_or_b32 s34, s34, s36
	s_or_b32 exec_lo, exec_lo, s35
	v_mov_b32_e32 v4, 0
	s_and_saveexec_b32 s35, s34
	s_cbranch_execnz .LBB150_1118
	s_branch .LBB150_1119
.LBB150_1225:
	s_mov_b32 s31, -1
.LBB150_1226:
                                        ; implicit-def: $vgpr3
                                        ; implicit-def: $vgpr2
.LBB150_1227:
	s_and_b32 vcc_lo, exec_lo, s35
	s_cbranch_vccz .LBB150_1232
; %bb.1228:
	s_cmp_eq_u32 s30, 44
	s_cbranch_scc0 .LBB150_1230
; %bb.1229:
	s_wait_loadcnt 0x0
	global_load_u8 v2, v[0:1], off
	s_mov_b32 s31, 0
	s_mov_b32 s34, -1
	s_wait_loadcnt 0x0
	v_lshlrev_b32_e32 v3, 23, v2
	v_cmp_ne_u32_e32 vcc_lo, 0xff, v2
	s_delay_alu instid0(VALU_DEP_2) | instskip(NEXT) | instid1(VALU_DEP_1)
	v_cvt_f16_f32_e32 v3, v3
	v_cndmask_b32_e32 v3, 0x7e00, v3, vcc_lo
	v_cmp_ne_u32_e32 vcc_lo, 0, v2
	s_delay_alu instid0(VALU_DEP_2)
	v_cndmask_b32_e32 v2, 0, v3, vcc_lo
	s_branch .LBB150_1231
.LBB150_1230:
	s_mov_b32 s31, -1
                                        ; implicit-def: $vgpr2
.LBB150_1231:
	v_mov_b32_e32 v3, 0
.LBB150_1232:
	s_mov_b32 s35, 0
.LBB150_1233:
	s_delay_alu instid0(SALU_CYCLE_1)
	s_and_b32 vcc_lo, exec_lo, s35
	s_cbranch_vccz .LBB150_1238
; %bb.1234:
	s_cmp_eq_u32 s30, 29
	s_cbranch_scc0 .LBB150_1236
; %bb.1235:
	s_wait_loadcnt 0x0
	global_load_b64 v[2:3], v[0:1], off
	s_mov_b32 s31, 0
	s_mov_b32 s34, -1
	s_wait_loadcnt 0x0
	v_clz_i32_u32_e32 v4, v3
	s_delay_alu instid0(VALU_DEP_1) | instskip(NEXT) | instid1(VALU_DEP_1)
	v_min_u32_e32 v4, 32, v4
	v_lshlrev_b64_e32 v[2:3], v4, v[2:3]
	s_delay_alu instid0(VALU_DEP_1) | instskip(NEXT) | instid1(VALU_DEP_1)
	v_min_u32_e32 v2, 1, v2
	v_dual_sub_nc_u32 v3, 32, v4 :: v_dual_bitop2_b32 v2, v3, v2 bitop3:0x54
	s_delay_alu instid0(VALU_DEP_1) | instskip(NEXT) | instid1(VALU_DEP_1)
	v_cvt_f32_u32_e32 v2, v2
	v_ldexp_f32 v2, v2, v3
	s_delay_alu instid0(VALU_DEP_1)
	v_cvt_f16_f32_e32 v2, v2
	s_branch .LBB150_1237
.LBB150_1236:
	s_mov_b32 s31, -1
                                        ; implicit-def: $vgpr2
.LBB150_1237:
	v_mov_b32_e32 v3, 0
.LBB150_1238:
	s_mov_b32 s35, 0
.LBB150_1239:
	s_delay_alu instid0(SALU_CYCLE_1)
	s_and_b32 vcc_lo, exec_lo, s35
	s_cbranch_vccz .LBB150_1257
; %bb.1240:
	s_cmp_lt_i32 s30, 27
	s_cbranch_scc1 .LBB150_1243
; %bb.1241:
	s_cmp_gt_i32 s30, 27
	s_cbranch_scc0 .LBB150_1244
; %bb.1242:
	s_wait_loadcnt 0x0
	global_load_b32 v2, v[0:1], off
	s_mov_b32 s34, 0
	s_wait_loadcnt 0x0
	v_cvt_f32_u32_e32 v2, v2
	s_delay_alu instid0(VALU_DEP_1)
	v_cvt_f16_f32_e32 v2, v2
	s_branch .LBB150_1245
.LBB150_1243:
	s_mov_b32 s34, -1
                                        ; implicit-def: $vgpr2
	s_branch .LBB150_1248
.LBB150_1244:
	s_mov_b32 s34, -1
                                        ; implicit-def: $vgpr2
.LBB150_1245:
	s_delay_alu instid0(SALU_CYCLE_1)
	s_and_not1_b32 vcc_lo, exec_lo, s34
	s_cbranch_vccnz .LBB150_1247
; %bb.1246:
	s_wait_loadcnt 0x0
	global_load_u16 v2, v[0:1], off
	s_wait_loadcnt 0x0
	v_cvt_f16_u16_e32 v2, v2
.LBB150_1247:
	s_mov_b32 s34, 0
.LBB150_1248:
	s_delay_alu instid0(SALU_CYCLE_1)
	s_and_not1_b32 vcc_lo, exec_lo, s34
	s_cbranch_vccnz .LBB150_1256
; %bb.1249:
	global_load_u8 v3, v[0:1], off
	s_mov_b32 s34, 0
	s_mov_b32 s35, exec_lo
	s_wait_loadcnt 0x0
	v_cmpx_lt_i16_e32 0x7f, v3
	s_xor_b32 s35, exec_lo, s35
	s_cbranch_execz .LBB150_1270
; %bb.1250:
	s_mov_b32 s34, -1
	s_mov_b32 s36, exec_lo
	v_cmpx_eq_u16_e32 0x80, v3
; %bb.1251:
	s_xor_b32 s34, exec_lo, -1
; %bb.1252:
	s_or_b32 exec_lo, exec_lo, s36
	s_delay_alu instid0(SALU_CYCLE_1)
	s_and_b32 s34, s34, exec_lo
	s_or_saveexec_b32 s35, s35
	v_mov_b32_e32 v2, 0x7e00
	s_xor_b32 exec_lo, exec_lo, s35
	s_cbranch_execnz .LBB150_1271
.LBB150_1253:
	s_or_b32 exec_lo, exec_lo, s35
	s_and_saveexec_b32 s35, s34
	s_cbranch_execz .LBB150_1255
.LBB150_1254:
	v_and_b32_e32 v2, 0xffff, v3
	s_delay_alu instid0(VALU_DEP_1) | instskip(SKIP_1) | instid1(VALU_DEP_2)
	v_and_b32_e32 v4, 7, v2
	v_bfe_u32 v8, v2, 3, 4
	v_clz_i32_u32_e32 v5, v4
	s_delay_alu instid0(VALU_DEP_2) | instskip(NEXT) | instid1(VALU_DEP_2)
	v_cmp_eq_u32_e32 vcc_lo, 0, v8
	v_min_u32_e32 v5, 32, v5
	s_delay_alu instid0(VALU_DEP_1) | instskip(NEXT) | instid1(VALU_DEP_1)
	v_subrev_nc_u32_e32 v7, 28, v5
	v_dual_lshlrev_b32 v2, v7, v2 :: v_dual_sub_nc_u32 v5, 29, v5
	s_delay_alu instid0(VALU_DEP_1) | instskip(NEXT) | instid1(VALU_DEP_2)
	v_dual_lshlrev_b32 v3, 24, v3 :: v_dual_bitop2_b32 v2, 7, v2 bitop3:0x40
	v_cndmask_b32_e32 v5, v8, v5, vcc_lo
	s_delay_alu instid0(VALU_DEP_2) | instskip(NEXT) | instid1(VALU_DEP_3)
	v_cndmask_b32_e32 v2, v4, v2, vcc_lo
	v_and_b32_e32 v3, 0x80000000, v3
	s_delay_alu instid0(VALU_DEP_3) | instskip(NEXT) | instid1(VALU_DEP_3)
	v_lshl_add_u32 v4, v5, 23, 0x3b800000
	v_lshlrev_b32_e32 v2, 20, v2
	s_delay_alu instid0(VALU_DEP_1) | instskip(NEXT) | instid1(VALU_DEP_1)
	v_or3_b32 v2, v3, v4, v2
	v_cvt_f16_f32_e32 v2, v2
.LBB150_1255:
	s_or_b32 exec_lo, exec_lo, s35
.LBB150_1256:
	v_mov_b32_e32 v3, 0
	s_mov_b32 s34, -1
.LBB150_1257:
	s_mov_b32 s35, 0
.LBB150_1258:
	s_delay_alu instid0(SALU_CYCLE_1)
	s_and_b32 vcc_lo, exec_lo, s35
	s_cbranch_vccz .LBB150_1292
; %bb.1259:
	s_cmp_gt_i32 s30, 22
	s_cbranch_scc0 .LBB150_1269
; %bb.1260:
	s_cmp_lt_i32 s30, 24
	s_cbranch_scc1 .LBB150_1272
; %bb.1261:
	s_cmp_gt_i32 s30, 24
	s_cbranch_scc0 .LBB150_1273
; %bb.1262:
	global_load_u8 v3, v[0:1], off
	s_mov_b32 s34, exec_lo
	s_wait_loadcnt 0x0
	v_cmpx_lt_i16_e32 0x7f, v3
	s_xor_b32 s34, exec_lo, s34
	s_cbranch_execz .LBB150_1285
; %bb.1263:
	s_mov_b32 s33, -1
	s_mov_b32 s35, exec_lo
	v_cmpx_eq_u16_e32 0x80, v3
; %bb.1264:
	s_xor_b32 s33, exec_lo, -1
; %bb.1265:
	s_or_b32 exec_lo, exec_lo, s35
	s_delay_alu instid0(SALU_CYCLE_1)
	s_and_b32 s33, s33, exec_lo
	s_or_saveexec_b32 s34, s34
	v_mov_b32_e32 v2, 0x7e00
	s_xor_b32 exec_lo, exec_lo, s34
	s_cbranch_execnz .LBB150_1286
.LBB150_1266:
	s_or_b32 exec_lo, exec_lo, s34
	s_and_saveexec_b32 s34, s33
	s_cbranch_execz .LBB150_1268
.LBB150_1267:
	v_and_b32_e32 v2, 0xffff, v3
	s_delay_alu instid0(VALU_DEP_1) | instskip(SKIP_1) | instid1(VALU_DEP_2)
	v_and_b32_e32 v4, 3, v2
	v_bfe_u32 v8, v2, 2, 5
	v_clz_i32_u32_e32 v5, v4
	s_delay_alu instid0(VALU_DEP_2) | instskip(NEXT) | instid1(VALU_DEP_2)
	v_cmp_eq_u32_e32 vcc_lo, 0, v8
	v_min_u32_e32 v5, 32, v5
	s_delay_alu instid0(VALU_DEP_1) | instskip(NEXT) | instid1(VALU_DEP_1)
	v_subrev_nc_u32_e32 v7, 29, v5
	v_dual_lshlrev_b32 v2, v7, v2 :: v_dual_sub_nc_u32 v5, 30, v5
	s_delay_alu instid0(VALU_DEP_1) | instskip(NEXT) | instid1(VALU_DEP_2)
	v_dual_lshlrev_b32 v3, 24, v3 :: v_dual_bitop2_b32 v2, 3, v2 bitop3:0x40
	v_cndmask_b32_e32 v5, v8, v5, vcc_lo
	s_delay_alu instid0(VALU_DEP_2) | instskip(NEXT) | instid1(VALU_DEP_3)
	v_cndmask_b32_e32 v2, v4, v2, vcc_lo
	v_and_b32_e32 v3, 0x80000000, v3
	s_delay_alu instid0(VALU_DEP_3) | instskip(NEXT) | instid1(VALU_DEP_3)
	v_lshl_add_u32 v4, v5, 23, 0x37800000
	v_lshlrev_b32_e32 v2, 21, v2
	s_delay_alu instid0(VALU_DEP_1) | instskip(NEXT) | instid1(VALU_DEP_1)
	v_or3_b32 v2, v3, v4, v2
	v_cvt_f16_f32_e32 v2, v2
.LBB150_1268:
	s_or_b32 exec_lo, exec_lo, s34
	s_mov_b32 s33, 0
	s_branch .LBB150_1274
.LBB150_1269:
	s_mov_b32 s33, -1
                                        ; implicit-def: $vgpr2
	s_branch .LBB150_1280
.LBB150_1270:
	s_or_saveexec_b32 s35, s35
	v_mov_b32_e32 v2, 0x7e00
	s_xor_b32 exec_lo, exec_lo, s35
	s_cbranch_execz .LBB150_1253
.LBB150_1271:
	v_cmp_ne_u16_e32 vcc_lo, 0, v3
	v_mov_b32_e32 v2, v3
	s_and_not1_b32 s34, s34, exec_lo
	s_and_b32 s36, vcc_lo, exec_lo
	s_delay_alu instid0(SALU_CYCLE_1)
	s_or_b32 s34, s34, s36
	s_or_b32 exec_lo, exec_lo, s35
	s_and_saveexec_b32 s35, s34
	s_cbranch_execnz .LBB150_1254
	s_branch .LBB150_1255
.LBB150_1272:
	s_mov_b32 s33, -1
                                        ; implicit-def: $vgpr2
	s_branch .LBB150_1277
.LBB150_1273:
	s_mov_b32 s33, -1
                                        ; implicit-def: $vgpr2
.LBB150_1274:
	s_delay_alu instid0(SALU_CYCLE_1)
	s_and_b32 vcc_lo, exec_lo, s33
	s_cbranch_vccz .LBB150_1276
; %bb.1275:
	s_wait_loadcnt 0x0
	global_load_u8 v2, v[0:1], off
	s_wait_loadcnt 0x0
	v_lshlrev_b32_e32 v2, 24, v2
	s_delay_alu instid0(VALU_DEP_1) | instskip(NEXT) | instid1(VALU_DEP_1)
	v_and_b32_e32 v3, 0x7f000000, v2
	v_clz_i32_u32_e32 v4, v3
	v_add_nc_u32_e32 v7, 0x1000000, v3
	v_cmp_ne_u32_e32 vcc_lo, 0, v3
	s_delay_alu instid0(VALU_DEP_3) | instskip(NEXT) | instid1(VALU_DEP_1)
	v_min_u32_e32 v4, 32, v4
	v_sub_nc_u32_e64 v4, v4, 4 clamp
	s_delay_alu instid0(VALU_DEP_1) | instskip(NEXT) | instid1(VALU_DEP_1)
	v_dual_lshlrev_b32 v5, v4, v3 :: v_dual_lshlrev_b32 v4, 23, v4
	v_lshrrev_b32_e32 v5, 4, v5
	s_delay_alu instid0(VALU_DEP_1) | instskip(NEXT) | instid1(VALU_DEP_1)
	v_dual_sub_nc_u32 v4, v5, v4 :: v_dual_ashrrev_i32 v5, 8, v7
	v_add_nc_u32_e32 v4, 0x3c000000, v4
	s_delay_alu instid0(VALU_DEP_1) | instskip(NEXT) | instid1(VALU_DEP_1)
	v_and_or_b32 v4, 0x7f800000, v5, v4
	v_cndmask_b32_e32 v3, 0, v4, vcc_lo
	s_delay_alu instid0(VALU_DEP_1) | instskip(NEXT) | instid1(VALU_DEP_1)
	v_and_or_b32 v2, 0x80000000, v2, v3
	v_cvt_f16_f32_e32 v2, v2
.LBB150_1276:
	s_mov_b32 s33, 0
.LBB150_1277:
	s_delay_alu instid0(SALU_CYCLE_1)
	s_and_not1_b32 vcc_lo, exec_lo, s33
	s_cbranch_vccnz .LBB150_1279
; %bb.1278:
	s_wait_loadcnt 0x0
	global_load_u8 v2, v[0:1], off
	s_wait_loadcnt 0x0
	v_lshlrev_b32_e32 v3, 25, v2
	v_lshlrev_b16 v2, 8, v2
	s_delay_alu instid0(VALU_DEP_1) | instskip(SKIP_1) | instid1(VALU_DEP_2)
	v_and_or_b32 v5, 0x7f00, v2, 0.5
	v_bfe_i32 v2, v2, 0, 16
	v_dual_add_f32 v5, -0.5, v5 :: v_dual_lshrrev_b32 v4, 4, v3
	v_cmp_gt_u32_e32 vcc_lo, 0x8000000, v3
	s_delay_alu instid0(VALU_DEP_2) | instskip(NEXT) | instid1(VALU_DEP_1)
	v_or_b32_e32 v4, 0x70000000, v4
	v_mul_f32_e32 v4, 0x7800000, v4
	s_delay_alu instid0(VALU_DEP_1) | instskip(NEXT) | instid1(VALU_DEP_1)
	v_cndmask_b32_e32 v3, v4, v5, vcc_lo
	v_and_or_b32 v2, 0x80000000, v2, v3
	s_delay_alu instid0(VALU_DEP_1)
	v_cvt_f16_f32_e32 v2, v2
.LBB150_1279:
	s_mov_b32 s33, 0
	s_mov_b32 s34, -1
.LBB150_1280:
	s_and_not1_b32 vcc_lo, exec_lo, s33
	s_mov_b32 s33, 0
	s_cbranch_vccnz .LBB150_1291
; %bb.1281:
	s_cmp_gt_i32 s30, 14
	s_cbranch_scc0 .LBB150_1284
; %bb.1282:
	s_cmp_eq_u32 s30, 15
	s_cbranch_scc0 .LBB150_1287
; %bb.1283:
	s_wait_loadcnt 0x0
	global_load_u16 v2, v[0:1], off
	s_mov_b32 s31, 0
	s_mov_b32 s34, -1
	s_wait_loadcnt 0x0
	v_lshlrev_b32_e32 v2, 16, v2
	s_delay_alu instid0(VALU_DEP_1)
	v_cvt_f16_f32_e32 v2, v2
	s_branch .LBB150_1289
.LBB150_1284:
	s_mov_b32 s33, -1
	s_branch .LBB150_1288
.LBB150_1285:
	s_or_saveexec_b32 s34, s34
	v_mov_b32_e32 v2, 0x7e00
	s_xor_b32 exec_lo, exec_lo, s34
	s_cbranch_execz .LBB150_1266
.LBB150_1286:
	v_cmp_ne_u16_e32 vcc_lo, 0, v3
	v_mov_b32_e32 v2, v3
	s_and_not1_b32 s33, s33, exec_lo
	s_and_b32 s35, vcc_lo, exec_lo
	s_delay_alu instid0(SALU_CYCLE_1)
	s_or_b32 s33, s33, s35
	s_or_b32 exec_lo, exec_lo, s34
	s_and_saveexec_b32 s34, s33
	s_cbranch_execnz .LBB150_1267
	s_branch .LBB150_1268
.LBB150_1287:
	s_mov_b32 s31, -1
.LBB150_1288:
                                        ; implicit-def: $vgpr2
.LBB150_1289:
	s_and_b32 vcc_lo, exec_lo, s33
	s_mov_b32 s33, 0
	s_cbranch_vccz .LBB150_1291
; %bb.1290:
	s_cmp_lg_u32 s30, 11
	s_mov_b32 s33, -1
	s_cselect_b32 s30, -1, 0
	s_and_not1_b32 s31, s31, exec_lo
	s_and_b32 s30, s30, exec_lo
	s_delay_alu instid0(SALU_CYCLE_1)
	s_or_b32 s31, s31, s30
.LBB150_1291:
	v_mov_b32_e32 v3, 0
.LBB150_1292:
	s_mov_b32 s30, 0
.LBB150_1293:
	s_and_not1_b32 s35, s27, exec_lo
	s_and_b32 s31, s31, exec_lo
	s_and_b32 s36, s34, exec_lo
	;; [unrolled: 1-line block ×4, first 2 shown]
	s_or_b32 s35, s35, s31
.LBB150_1294:
	s_wait_xcnt 0x0
	s_or_b32 exec_lo, exec_lo, s17
	s_delay_alu instid0(SALU_CYCLE_1)
	s_and_not1_b32 s17, s27, exec_lo
	s_and_b32 s27, s35, exec_lo
	s_and_b32 s33, s36, exec_lo
	;; [unrolled: 1-line block ×4, first 2 shown]
	s_or_b32 s27, s17, s27
.LBB150_1295:
	s_or_b32 exec_lo, exec_lo, s26
	s_delay_alu instid0(SALU_CYCLE_1)
	s_and_not1_b32 s17, s23, exec_lo
	s_and_b32 s23, s29, exec_lo
	s_and_not1_b32 s24, s24, exec_lo
	s_and_b32 s26, s28, exec_lo
	s_or_b32 s23, s17, s23
	s_and_not1_b32 s17, s22, exec_lo
	s_and_b32 s22, s27, exec_lo
	s_or_b32 s24, s24, s26
	s_and_b32 s29, s33, exec_lo
	s_and_b32 s28, s31, exec_lo
	;; [unrolled: 1-line block ×3, first 2 shown]
	s_or_b32 s22, s17, s22
.LBB150_1296:
	s_or_b32 exec_lo, exec_lo, s25
	s_delay_alu instid0(SALU_CYCLE_1)
	s_and_not1_b32 s17, s18, exec_lo
	s_and_b32 s18, s23, exec_lo
	s_and_not1_b32 s19, s19, exec_lo
	s_and_b32 s23, s24, exec_lo
	s_or_b32 s18, s17, s18
	s_and_not1_b32 s17, s20, exec_lo
	s_and_b32 s20, s22, exec_lo
	s_or_b32 s19, s19, s23
	s_and_b32 s23, s29, exec_lo
	s_and_b32 s24, s28, exec_lo
	;; [unrolled: 1-line block ×3, first 2 shown]
	s_or_b32 s20, s17, s20
	s_or_b32 exec_lo, exec_lo, s21
	s_mov_b32 s17, 0
	s_and_saveexec_b32 s21, s20
	s_cbranch_execz .LBB150_405
.LBB150_1297:
	s_mov_b32 s17, exec_lo
	s_and_not1_b32 s22, s22, exec_lo
	s_trap 2
	s_or_b32 exec_lo, exec_lo, s21
	s_and_saveexec_b32 s20, s22
	s_delay_alu instid0(SALU_CYCLE_1)
	s_xor_b32 s20, exec_lo, s20
	s_cbranch_execnz .LBB150_406
.LBB150_1298:
	s_or_b32 exec_lo, exec_lo, s20
	s_and_saveexec_b32 s20, s24
	s_cbranch_execz .LBB150_1346
.LBB150_1299:
	s_sext_i32_i16 s21, s0
	s_delay_alu instid0(SALU_CYCLE_1)
	s_cmp_lt_i32 s21, 5
	s_cbranch_scc1 .LBB150_1304
; %bb.1300:
	s_cmp_lt_i32 s21, 8
	s_cbranch_scc1 .LBB150_1305
; %bb.1301:
	;; [unrolled: 3-line block ×3, first 2 shown]
	s_cmp_gt_i32 s21, 9
	s_cbranch_scc0 .LBB150_1307
; %bb.1303:
	s_wait_loadcnt 0x0
	global_load_b128 v[2:5], v[0:1], off
	v_mov_b32_e32 v15, 0x7e00
	s_mov_b32 s21, 0
	s_wait_loadcnt 0x0
	v_and_or_b32 v2, 0x1ff, v3, v2
	v_and_or_b32 v4, 0x1ff, v5, v4
	v_dual_lshrrev_b32 v7, 8, v3 :: v_dual_lshrrev_b32 v9, 8, v5
	v_bfe_u32 v8, v3, 20, 11
	s_delay_alu instid0(VALU_DEP_4) | instskip(SKIP_2) | instid1(VALU_DEP_4)
	v_cmp_ne_u32_e32 vcc_lo, 0, v2
	v_bfe_u32 v10, v5, 20, 11
	v_dual_lshrrev_b32 v3, 16, v3 :: v_dual_lshrrev_b32 v5, 16, v5
	v_sub_nc_u32_e32 v11, 0x3f1, v8
	v_cndmask_b32_e64 v2, 0, 1, vcc_lo
	v_cmp_ne_u32_e32 vcc_lo, 0, v4
	s_delay_alu instid0(VALU_DEP_2) | instskip(SKIP_2) | instid1(VALU_DEP_2)
	v_and_or_b32 v2, 0xffe, v7, v2
	v_cndmask_b32_e64 v4, 0, 1, vcc_lo
	v_sub_nc_u32_e32 v7, 0x3f1, v10
	v_and_or_b32 v4, 0xffe, v9, v4
	v_med3_i32 v9, v11, 0, 13
	v_or_b32_e32 v11, 0x1000, v2
	s_delay_alu instid0(VALU_DEP_4) | instskip(NEXT) | instid1(VALU_DEP_4)
	v_med3_i32 v7, v7, 0, 13
	v_or_b32_e32 v12, 0x1000, v4
	s_delay_alu instid0(VALU_DEP_1) | instskip(NEXT) | instid1(VALU_DEP_1)
	v_dual_lshrrev_b32 v13, v9, v11 :: v_dual_lshrrev_b32 v14, v7, v12
	v_dual_lshlrev_b32 v9, v9, v13 :: v_dual_lshlrev_b32 v7, v7, v14
	s_delay_alu instid0(VALU_DEP_1) | instskip(SKIP_1) | instid1(VALU_DEP_3)
	v_cmp_ne_u32_e32 vcc_lo, v9, v11
	v_cndmask_b32_e64 v9, 0, 1, vcc_lo
	v_cmp_ne_u32_e32 vcc_lo, v7, v12
	s_delay_alu instid0(VALU_DEP_2) | instskip(SKIP_2) | instid1(VALU_DEP_2)
	v_or_b32_e32 v9, v13, v9
	v_add_nc_u32_e32 v8, 0xfffffc10, v8
	v_cndmask_b32_e64 v7, 0, 1, vcc_lo
	v_lshl_or_b32 v11, v8, 12, v2
	v_cmp_gt_i32_e32 vcc_lo, 1, v8
	s_delay_alu instid0(VALU_DEP_2) | instskip(NEXT) | instid1(VALU_DEP_1)
	v_dual_cndmask_b32 v9, v11, v9, vcc_lo :: v_dual_bitop2_b32 v7, v14, v7 bitop3:0x54
	v_dual_lshrrev_b32 v9, 2, v9 :: v_dual_bitop2_b32 v11, 7, v9 bitop3:0x40
	v_add_nc_u32_e32 v10, 0xfffffc10, v10
	s_delay_alu instid0(VALU_DEP_1) | instskip(SKIP_1) | instid1(VALU_DEP_2)
	v_lshl_or_b32 v12, v10, 12, v4
	v_cmp_gt_i32_e32 vcc_lo, 1, v10
	v_cndmask_b32_e32 v7, v12, v7, vcc_lo
	v_cmp_lt_i32_e32 vcc_lo, 5, v11
	s_delay_alu instid0(VALU_DEP_2)
	v_and_b32_e32 v12, 7, v7
	v_cndmask_b32_e64 v13, 0, 1, vcc_lo
	v_cmp_eq_u32_e32 vcc_lo, 3, v11
	v_lshrrev_b32_e32 v7, 2, v7
	v_cndmask_b32_e64 v11, 0, 1, vcc_lo
	v_cmp_lt_i32_e32 vcc_lo, 5, v12
	s_delay_alu instid0(VALU_DEP_2) | instskip(SKIP_2) | instid1(VALU_DEP_3)
	v_or_b32_e32 v11, v11, v13
	v_cndmask_b32_e64 v14, 0, 1, vcc_lo
	v_cmp_eq_u32_e32 vcc_lo, 3, v12
	v_add_nc_u32_e32 v9, v9, v11
	v_cndmask_b32_e64 v12, 0, 1, vcc_lo
	v_cmp_ne_u32_e32 vcc_lo, 0, v2
	s_delay_alu instid0(VALU_DEP_2) | instskip(SKIP_2) | instid1(VALU_DEP_3)
	v_or_b32_e32 v12, v12, v14
	v_cndmask_b32_e32 v2, 0x7c00, v15, vcc_lo
	v_cmp_ne_u32_e32 vcc_lo, 0, v4
	v_dual_cndmask_b32 v4, 0x7c00, v15 :: v_dual_add_nc_u32 v7, v7, v12
	v_cmp_gt_i32_e32 vcc_lo, 31, v8
	v_cndmask_b32_e32 v9, 0x7c00, v9, vcc_lo
	v_cmp_gt_i32_e32 vcc_lo, 31, v10
	s_delay_alu instid0(VALU_DEP_4) | instskip(SKIP_1) | instid1(VALU_DEP_4)
	v_cndmask_b32_e32 v7, 0x7c00, v7, vcc_lo
	v_cmp_eq_u32_e32 vcc_lo, 0x40f, v8
	v_cndmask_b32_e32 v2, v9, v2, vcc_lo
	v_cmp_eq_u32_e32 vcc_lo, 0x40f, v10
	s_delay_alu instid0(VALU_DEP_2) | instskip(SKIP_1) | instid1(VALU_DEP_1)
	v_and_or_b32 v2, 0x8000, v3, v2
	v_cndmask_b32_e32 v4, v7, v4, vcc_lo
	v_and_or_b32 v3, 0x8000, v5, v4
	s_branch .LBB150_1308
.LBB150_1304:
                                        ; implicit-def: $vgpr3
                                        ; implicit-def: $vgpr2
	s_branch .LBB150_1326
.LBB150_1305:
                                        ; implicit-def: $vgpr3
                                        ; implicit-def: $vgpr2
	s_branch .LBB150_1314
.LBB150_1306:
	s_mov_b32 s21, -1
                                        ; implicit-def: $vgpr3
                                        ; implicit-def: $vgpr2
	s_branch .LBB150_1311
.LBB150_1307:
	s_mov_b32 s21, -1
                                        ; implicit-def: $vgpr3
                                        ; implicit-def: $vgpr2
.LBB150_1308:
	s_delay_alu instid0(SALU_CYCLE_1)
	s_and_not1_b32 vcc_lo, exec_lo, s21
	s_cbranch_vccnz .LBB150_1310
; %bb.1309:
	s_wait_loadcnt 0x0
	global_load_b64 v[2:3], v[0:1], off
	s_wait_loadcnt 0x0
	v_cvt_f16_f32_e32 v2, v2
	v_cvt_f16_f32_e32 v3, v3
.LBB150_1310:
	s_mov_b32 s21, 0
.LBB150_1311:
	s_delay_alu instid0(SALU_CYCLE_1)
	s_and_not1_b32 vcc_lo, exec_lo, s21
	s_cbranch_vccnz .LBB150_1313
; %bb.1312:
	s_wait_loadcnt 0x0
	global_load_b32 v2, v[0:1], off
	s_wait_loadcnt 0x0
	v_lshrrev_b32_e32 v3, 16, v2
.LBB150_1313:
	s_cbranch_execnz .LBB150_1325
.LBB150_1314:
	s_sext_i32_i16 s21, s0
	s_delay_alu instid0(SALU_CYCLE_1)
	s_cmp_lt_i32 s21, 6
	s_cbranch_scc1 .LBB150_1317
; %bb.1315:
	s_cmp_gt_i32 s21, 6
	s_cbranch_scc0 .LBB150_1318
; %bb.1316:
	s_wait_loadcnt 0x0
	global_load_b64 v[2:3], v[0:1], off
	s_mov_b32 s21, 0
	s_wait_loadcnt 0x0
	v_and_or_b32 v2, 0x1ff, v3, v2
	v_lshrrev_b32_e32 v4, 8, v3
	v_bfe_u32 v5, v3, 20, 11
	v_lshrrev_b32_e32 v3, 16, v3
	s_delay_alu instid0(VALU_DEP_4) | instskip(NEXT) | instid1(VALU_DEP_3)
	v_cmp_ne_u32_e32 vcc_lo, 0, v2
	v_sub_nc_u32_e32 v7, 0x3f1, v5
	v_add_nc_u32_e32 v5, 0xfffffc10, v5
	v_cndmask_b32_e64 v2, 0, 1, vcc_lo
	s_delay_alu instid0(VALU_DEP_1) | instskip(NEXT) | instid1(VALU_DEP_4)
	v_and_or_b32 v2, 0xffe, v4, v2
	v_med3_i32 v4, v7, 0, 13
	s_delay_alu instid0(VALU_DEP_2) | instskip(NEXT) | instid1(VALU_DEP_1)
	v_or_b32_e32 v7, 0x1000, v2
	v_lshrrev_b32_e32 v8, v4, v7
	s_delay_alu instid0(VALU_DEP_1) | instskip(NEXT) | instid1(VALU_DEP_1)
	v_lshlrev_b32_e32 v4, v4, v8
	v_cmp_ne_u32_e32 vcc_lo, v4, v7
	v_lshl_or_b32 v7, v5, 12, v2
	v_cndmask_b32_e64 v4, 0, 1, vcc_lo
	v_cmp_gt_i32_e32 vcc_lo, 1, v5
	s_delay_alu instid0(VALU_DEP_2) | instskip(NEXT) | instid1(VALU_DEP_1)
	v_or_b32_e32 v4, v8, v4
	v_cndmask_b32_e32 v4, v7, v4, vcc_lo
	s_delay_alu instid0(VALU_DEP_1) | instskip(NEXT) | instid1(VALU_DEP_1)
	v_dual_lshrrev_b32 v4, 2, v4 :: v_dual_bitop2_b32 v7, 7, v4 bitop3:0x40
	v_cmp_lt_i32_e32 vcc_lo, 5, v7
	v_cndmask_b32_e64 v8, 0, 1, vcc_lo
	v_cmp_eq_u32_e32 vcc_lo, 3, v7
	v_cndmask_b32_e64 v7, 0, 1, vcc_lo
	v_cmp_ne_u32_e32 vcc_lo, 0, v2
	s_delay_alu instid0(VALU_DEP_2) | instskip(SKIP_1) | instid1(VALU_DEP_2)
	v_or_b32_e32 v7, v7, v8
	v_mov_b32_e32 v8, 0x7e00
	v_add_nc_u32_e32 v4, v4, v7
	s_delay_alu instid0(VALU_DEP_2) | instskip(SKIP_1) | instid1(VALU_DEP_3)
	v_cndmask_b32_e32 v2, 0x7c00, v8, vcc_lo
	v_cmp_gt_i32_e32 vcc_lo, 31, v5
	v_cndmask_b32_e32 v4, 0x7c00, v4, vcc_lo
	v_cmp_eq_u32_e32 vcc_lo, 0x40f, v5
	s_delay_alu instid0(VALU_DEP_2) | instskip(NEXT) | instid1(VALU_DEP_1)
	v_cndmask_b32_e32 v2, v4, v2, vcc_lo
	v_and_or_b32 v2, 0x8000, v3, v2
	s_branch .LBB150_1319
.LBB150_1317:
	s_mov_b32 s21, -1
                                        ; implicit-def: $vgpr2
	s_branch .LBB150_1322
.LBB150_1318:
	s_mov_b32 s21, -1
                                        ; implicit-def: $vgpr2
.LBB150_1319:
	s_delay_alu instid0(SALU_CYCLE_1)
	s_and_not1_b32 vcc_lo, exec_lo, s21
	s_cbranch_vccnz .LBB150_1321
; %bb.1320:
	s_wait_loadcnt 0x0
	global_load_b32 v2, v[0:1], off
	s_wait_loadcnt 0x0
	v_cvt_f16_f32_e32 v2, v2
.LBB150_1321:
	s_mov_b32 s21, 0
.LBB150_1322:
	s_delay_alu instid0(SALU_CYCLE_1)
	s_and_not1_b32 vcc_lo, exec_lo, s21
	s_cbranch_vccnz .LBB150_1324
; %bb.1323:
	s_wait_loadcnt 0x0
	global_load_u16 v2, v[0:1], off
.LBB150_1324:
	v_mov_b32_e32 v3, 0
.LBB150_1325:
	s_cbranch_execnz .LBB150_1345
.LBB150_1326:
	s_sext_i32_i16 s21, s0
	s_delay_alu instid0(SALU_CYCLE_1)
	s_cmp_lt_i32 s21, 2
	s_cbranch_scc1 .LBB150_1330
; %bb.1327:
	s_cmp_lt_i32 s21, 3
	s_cbranch_scc1 .LBB150_1331
; %bb.1328:
	s_cmp_gt_i32 s21, 3
	s_cbranch_scc0 .LBB150_1332
; %bb.1329:
	s_wait_loadcnt 0x0
	global_load_b64 v[2:3], v[0:1], off
	s_mov_b32 s21, 0
	s_wait_loadcnt 0x0
	v_xor_b32_e32 v4, v2, v3
	v_cls_i32_e32 v5, v3
	s_delay_alu instid0(VALU_DEP_2) | instskip(NEXT) | instid1(VALU_DEP_1)
	v_ashrrev_i32_e32 v4, 31, v4
	v_add_nc_u32_e32 v4, 32, v4
	s_delay_alu instid0(VALU_DEP_1) | instskip(NEXT) | instid1(VALU_DEP_1)
	v_add_min_u32_e64 v4, v5, -1, v4
	v_lshlrev_b64_e32 v[2:3], v4, v[2:3]
	s_delay_alu instid0(VALU_DEP_1) | instskip(NEXT) | instid1(VALU_DEP_1)
	v_min_u32_e32 v2, 1, v2
	v_dual_sub_nc_u32 v3, 32, v4 :: v_dual_bitop2_b32 v2, v3, v2 bitop3:0x54
	s_delay_alu instid0(VALU_DEP_1) | instskip(NEXT) | instid1(VALU_DEP_1)
	v_cvt_f32_i32_e32 v2, v2
	v_ldexp_f32 v2, v2, v3
	s_delay_alu instid0(VALU_DEP_1)
	v_cvt_f16_f32_e32 v2, v2
	s_branch .LBB150_1333
.LBB150_1330:
                                        ; implicit-def: $vgpr2
	s_branch .LBB150_1339
.LBB150_1331:
	s_mov_b32 s21, -1
                                        ; implicit-def: $vgpr2
	s_branch .LBB150_1336
.LBB150_1332:
	s_mov_b32 s21, -1
                                        ; implicit-def: $vgpr2
.LBB150_1333:
	s_delay_alu instid0(SALU_CYCLE_1)
	s_and_not1_b32 vcc_lo, exec_lo, s21
	s_cbranch_vccnz .LBB150_1335
; %bb.1334:
	s_wait_loadcnt 0x0
	global_load_b32 v2, v[0:1], off
	s_wait_loadcnt 0x0
	v_cvt_f32_i32_e32 v2, v2
	s_delay_alu instid0(VALU_DEP_1)
	v_cvt_f16_f32_e32 v2, v2
.LBB150_1335:
	s_mov_b32 s21, 0
.LBB150_1336:
	s_delay_alu instid0(SALU_CYCLE_1)
	s_and_not1_b32 vcc_lo, exec_lo, s21
	s_cbranch_vccnz .LBB150_1338
; %bb.1337:
	s_wait_loadcnt 0x0
	global_load_u16 v2, v[0:1], off
	s_wait_loadcnt 0x0
	v_cvt_f16_i16_e32 v2, v2
.LBB150_1338:
	s_cbranch_execnz .LBB150_1344
.LBB150_1339:
	s_sext_i32_i16 s0, s0
	s_delay_alu instid0(SALU_CYCLE_1)
	s_cmp_gt_i32 s0, 0
	s_mov_b32 s0, 0
	s_cbranch_scc0 .LBB150_1341
; %bb.1340:
	s_wait_loadcnt 0x0
	global_load_i8 v2, v[0:1], off
	s_wait_loadcnt 0x0
	v_cvt_f16_i16_e32 v2, v2
	s_branch .LBB150_1342
.LBB150_1341:
	s_mov_b32 s0, -1
                                        ; implicit-def: $vgpr2
.LBB150_1342:
	s_delay_alu instid0(SALU_CYCLE_1)
	s_and_not1_b32 vcc_lo, exec_lo, s0
	s_cbranch_vccnz .LBB150_1344
; %bb.1343:
	global_load_u8 v0, v[0:1], off
	s_wait_loadcnt 0x0
	v_cvt_f16_u16_e32 v2, v0
.LBB150_1344:
	v_mov_b32_e32 v3, 0
.LBB150_1345:
	s_or_b32 s23, s23, exec_lo
.LBB150_1346:
	s_wait_xcnt 0x0
	s_or_b32 exec_lo, exec_lo, s20
	s_mov_b32 s22, 0
	s_mov_b32 s21, 0
	s_mov_b32 s24, 0
                                        ; implicit-def: $sgpr0
                                        ; implicit-def: $vgpr0_vgpr1
                                        ; implicit-def: $vgpr5
                                        ; implicit-def: $vgpr4
	s_and_saveexec_b32 s20, s23
	s_cbranch_execz .LBB150_1354
; %bb.1347:
	v_mul_lo_u32 v0, v6, s10
	s_and_b32 s0, s1, 0xff
	s_delay_alu instid0(SALU_CYCLE_1) | instskip(NEXT) | instid1(VALU_DEP_1)
	s_cmp_lt_i32 s0, 11
	v_ashrrev_i32_e32 v1, 31, v0
	s_delay_alu instid0(VALU_DEP_1)
	v_add_nc_u64_e32 v[0:1], s[2:3], v[0:1]
	s_cbranch_scc1 .LBB150_1357
; %bb.1348:
	s_and_b32 s21, 0xffff, s0
	s_mov_b32 s23, 0
	s_cmp_gt_i32 s21, 25
	s_cbranch_scc0 .LBB150_1358
; %bb.1349:
	s_cmp_gt_i32 s21, 28
	s_cbranch_scc0 .LBB150_1359
; %bb.1350:
	s_cmp_gt_i32 s21, 43
	s_cbranch_scc0 .LBB150_1360
; %bb.1351:
	s_cmp_gt_i32 s21, 45
	s_cbranch_scc0 .LBB150_1361
; %bb.1352:
	s_cmp_eq_u32 s21, 46
	s_mov_b32 s25, 0
	s_cbranch_scc0 .LBB150_1362
; %bb.1353:
	s_wait_loadcnt 0x0
	global_load_b32 v4, v[0:1], off
	s_mov_b32 s24, -1
	s_wait_loadcnt 0x0
	v_lshlrev_b32_e32 v5, 16, v4
	v_and_b32_e32 v7, 0xffff0000, v4
	s_delay_alu instid0(VALU_DEP_2) | instskip(NEXT) | instid1(VALU_DEP_2)
	v_cvt_f16_f32_e32 v4, v5
	v_cvt_f16_f32_e32 v5, v7
	s_branch .LBB150_1364
.LBB150_1354:
	s_or_b32 exec_lo, exec_lo, s20
	s_and_saveexec_b32 s20, s19
	s_cbranch_execnz .LBB150_1430
.LBB150_1355:
	s_or_b32 exec_lo, exec_lo, s20
	s_and_saveexec_b32 s19, s22
	s_delay_alu instid0(SALU_CYCLE_1)
	s_xor_b32 s19, exec_lo, s19
	s_cbranch_execz .LBB150_1431
.LBB150_1356:
	s_wait_loadcnt 0x0
	global_load_u8 v4, v[0:1], off
	v_mov_b32_e32 v5, 0
	s_or_b32 s24, s24, exec_lo
	s_wait_loadcnt 0x0
	v_cmp_ne_u16_e32 vcc_lo, 0, v4
	v_cndmask_b32_e64 v4, 0, 0x3c00, vcc_lo
	s_wait_xcnt 0x0
	s_or_b32 exec_lo, exec_lo, s19
	s_and_saveexec_b32 s19, s21
	s_cbranch_execz .LBB150_1479
	s_branch .LBB150_1432
.LBB150_1357:
	s_mov_b32 s21, -1
	s_mov_b32 s23, 0
	s_mov_b32 s22, s19
                                        ; implicit-def: $vgpr5
                                        ; implicit-def: $vgpr4
	s_branch .LBB150_1429
.LBB150_1358:
	s_mov_b32 s22, s19
                                        ; implicit-def: $vgpr5
                                        ; implicit-def: $vgpr4
	s_cbranch_execnz .LBB150_1395
	s_branch .LBB150_1428
.LBB150_1359:
	s_mov_b32 s25, -1
	s_mov_b32 s22, s19
                                        ; implicit-def: $vgpr5
                                        ; implicit-def: $vgpr4
	s_branch .LBB150_1376
.LBB150_1360:
	s_mov_b32 s25, -1
	s_mov_b32 s22, s19
                                        ; implicit-def: $vgpr5
                                        ; implicit-def: $vgpr4
	s_branch .LBB150_1370
.LBB150_1361:
	s_mov_b32 s25, -1
	s_mov_b32 s22, s19
	s_branch .LBB150_1363
.LBB150_1362:
	s_mov_b32 s22, -1
.LBB150_1363:
                                        ; implicit-def: $vgpr5
                                        ; implicit-def: $vgpr4
.LBB150_1364:
	s_and_b32 vcc_lo, exec_lo, s25
	s_cbranch_vccz .LBB150_1369
; %bb.1365:
	s_cmp_eq_u32 s21, 44
	s_cbranch_scc0 .LBB150_1367
; %bb.1366:
	s_wait_loadcnt 0x0
	global_load_u8 v4, v[0:1], off
	s_mov_b32 s22, 0
	s_mov_b32 s24, -1
	s_wait_loadcnt 0x0
	v_lshlrev_b32_e32 v5, 23, v4
	v_cmp_ne_u32_e32 vcc_lo, 0xff, v4
	s_delay_alu instid0(VALU_DEP_2) | instskip(NEXT) | instid1(VALU_DEP_1)
	v_cvt_f16_f32_e32 v5, v5
	v_cndmask_b32_e32 v5, 0x7e00, v5, vcc_lo
	v_cmp_ne_u32_e32 vcc_lo, 0, v4
	s_delay_alu instid0(VALU_DEP_2)
	v_cndmask_b32_e32 v4, 0, v5, vcc_lo
	s_branch .LBB150_1368
.LBB150_1367:
	s_mov_b32 s22, -1
                                        ; implicit-def: $vgpr4
.LBB150_1368:
	v_mov_b32_e32 v5, 0
.LBB150_1369:
	s_mov_b32 s25, 0
.LBB150_1370:
	s_delay_alu instid0(SALU_CYCLE_1)
	s_and_b32 vcc_lo, exec_lo, s25
	s_cbranch_vccz .LBB150_1375
; %bb.1371:
	s_cmp_eq_u32 s21, 29
	s_cbranch_scc0 .LBB150_1373
; %bb.1372:
	s_wait_loadcnt 0x0
	global_load_b64 v[4:5], v[0:1], off
	s_mov_b32 s22, 0
	s_mov_b32 s24, -1
	s_wait_loadcnt 0x0
	v_clz_i32_u32_e32 v7, v5
	s_delay_alu instid0(VALU_DEP_1) | instskip(NEXT) | instid1(VALU_DEP_1)
	v_min_u32_e32 v7, 32, v7
	v_lshlrev_b64_e32 v[4:5], v7, v[4:5]
	s_delay_alu instid0(VALU_DEP_1) | instskip(NEXT) | instid1(VALU_DEP_1)
	v_min_u32_e32 v4, 1, v4
	v_dual_sub_nc_u32 v5, 32, v7 :: v_dual_bitop2_b32 v4, v5, v4 bitop3:0x54
	s_delay_alu instid0(VALU_DEP_1) | instskip(NEXT) | instid1(VALU_DEP_1)
	v_cvt_f32_u32_e32 v4, v4
	v_ldexp_f32 v4, v4, v5
	s_delay_alu instid0(VALU_DEP_1)
	v_cvt_f16_f32_e32 v4, v4
	s_branch .LBB150_1374
.LBB150_1373:
	s_mov_b32 s22, -1
                                        ; implicit-def: $vgpr4
.LBB150_1374:
	v_mov_b32_e32 v5, 0
.LBB150_1375:
	s_mov_b32 s25, 0
.LBB150_1376:
	s_delay_alu instid0(SALU_CYCLE_1)
	s_and_b32 vcc_lo, exec_lo, s25
	s_cbranch_vccz .LBB150_1394
; %bb.1377:
	s_cmp_lt_i32 s21, 27
	s_cbranch_scc1 .LBB150_1380
; %bb.1378:
	s_cmp_gt_i32 s21, 27
	s_cbranch_scc0 .LBB150_1381
; %bb.1379:
	s_wait_loadcnt 0x0
	global_load_b32 v4, v[0:1], off
	s_mov_b32 s24, 0
	s_wait_loadcnt 0x0
	v_cvt_f32_u32_e32 v4, v4
	s_delay_alu instid0(VALU_DEP_1)
	v_cvt_f16_f32_e32 v4, v4
	s_branch .LBB150_1382
.LBB150_1380:
	s_mov_b32 s24, -1
                                        ; implicit-def: $vgpr4
	s_branch .LBB150_1385
.LBB150_1381:
	s_mov_b32 s24, -1
                                        ; implicit-def: $vgpr4
.LBB150_1382:
	s_delay_alu instid0(SALU_CYCLE_1)
	s_and_not1_b32 vcc_lo, exec_lo, s24
	s_cbranch_vccnz .LBB150_1384
; %bb.1383:
	s_wait_loadcnt 0x0
	global_load_u16 v4, v[0:1], off
	s_wait_loadcnt 0x0
	v_cvt_f16_u16_e32 v4, v4
.LBB150_1384:
	s_mov_b32 s24, 0
.LBB150_1385:
	s_delay_alu instid0(SALU_CYCLE_1)
	s_and_not1_b32 vcc_lo, exec_lo, s24
	s_cbranch_vccnz .LBB150_1393
; %bb.1386:
	global_load_u8 v5, v[0:1], off
	s_mov_b32 s24, 0
	s_mov_b32 s25, exec_lo
	s_wait_loadcnt 0x0
	v_cmpx_lt_i16_e32 0x7f, v5
	s_xor_b32 s25, exec_lo, s25
	s_cbranch_execz .LBB150_1406
; %bb.1387:
	s_mov_b32 s24, -1
	s_mov_b32 s26, exec_lo
	v_cmpx_eq_u16_e32 0x80, v5
; %bb.1388:
	s_xor_b32 s24, exec_lo, -1
; %bb.1389:
	s_or_b32 exec_lo, exec_lo, s26
	s_delay_alu instid0(SALU_CYCLE_1)
	s_and_b32 s24, s24, exec_lo
	s_or_saveexec_b32 s25, s25
	v_mov_b32_e32 v4, 0x7e00
	s_xor_b32 exec_lo, exec_lo, s25
	s_cbranch_execnz .LBB150_1407
.LBB150_1390:
	s_or_b32 exec_lo, exec_lo, s25
	s_and_saveexec_b32 s25, s24
	s_cbranch_execz .LBB150_1392
.LBB150_1391:
	v_and_b32_e32 v4, 0xffff, v5
	s_delay_alu instid0(VALU_DEP_1) | instskip(SKIP_1) | instid1(VALU_DEP_2)
	v_dual_lshlrev_b32 v5, 24, v5 :: v_dual_bitop2_b32 v7, 7, v4 bitop3:0x40
	v_bfe_u32 v10, v4, 3, 4
	v_and_b32_e32 v5, 0x80000000, v5
	s_delay_alu instid0(VALU_DEP_3) | instskip(NEXT) | instid1(VALU_DEP_3)
	v_clz_i32_u32_e32 v8, v7
	v_cmp_eq_u32_e32 vcc_lo, 0, v10
	s_delay_alu instid0(VALU_DEP_2) | instskip(NEXT) | instid1(VALU_DEP_1)
	v_min_u32_e32 v8, 32, v8
	v_subrev_nc_u32_e32 v9, 28, v8
	v_sub_nc_u32_e32 v8, 29, v8
	s_delay_alu instid0(VALU_DEP_2) | instskip(NEXT) | instid1(VALU_DEP_2)
	v_lshlrev_b32_e32 v4, v9, v4
	v_cndmask_b32_e32 v8, v10, v8, vcc_lo
	s_delay_alu instid0(VALU_DEP_2) | instskip(NEXT) | instid1(VALU_DEP_1)
	v_and_b32_e32 v4, 7, v4
	v_cndmask_b32_e32 v4, v7, v4, vcc_lo
	s_delay_alu instid0(VALU_DEP_3) | instskip(NEXT) | instid1(VALU_DEP_2)
	v_lshl_add_u32 v7, v8, 23, 0x3b800000
	v_lshlrev_b32_e32 v4, 20, v4
	s_delay_alu instid0(VALU_DEP_1) | instskip(NEXT) | instid1(VALU_DEP_1)
	v_or3_b32 v4, v5, v7, v4
	v_cvt_f16_f32_e32 v4, v4
.LBB150_1392:
	s_or_b32 exec_lo, exec_lo, s25
.LBB150_1393:
	v_mov_b32_e32 v5, 0
	s_mov_b32 s24, -1
.LBB150_1394:
	s_branch .LBB150_1428
.LBB150_1395:
	s_cmp_gt_i32 s21, 22
	s_cbranch_scc0 .LBB150_1405
; %bb.1396:
	s_cmp_lt_i32 s21, 24
	s_cbranch_scc1 .LBB150_1408
; %bb.1397:
	s_cmp_gt_i32 s21, 24
	s_cbranch_scc0 .LBB150_1409
; %bb.1398:
	global_load_u8 v5, v[0:1], off
	s_mov_b32 s24, exec_lo
	s_wait_loadcnt 0x0
	v_cmpx_lt_i16_e32 0x7f, v5
	s_xor_b32 s24, exec_lo, s24
	s_cbranch_execz .LBB150_1421
; %bb.1399:
	s_mov_b32 s23, -1
	s_mov_b32 s25, exec_lo
	v_cmpx_eq_u16_e32 0x80, v5
; %bb.1400:
	s_xor_b32 s23, exec_lo, -1
; %bb.1401:
	s_or_b32 exec_lo, exec_lo, s25
	s_delay_alu instid0(SALU_CYCLE_1)
	s_and_b32 s23, s23, exec_lo
	s_or_saveexec_b32 s24, s24
	v_mov_b32_e32 v4, 0x7e00
	s_xor_b32 exec_lo, exec_lo, s24
	s_cbranch_execnz .LBB150_1422
.LBB150_1402:
	s_or_b32 exec_lo, exec_lo, s24
	s_and_saveexec_b32 s24, s23
	s_cbranch_execz .LBB150_1404
.LBB150_1403:
	v_and_b32_e32 v4, 0xffff, v5
	s_delay_alu instid0(VALU_DEP_1) | instskip(SKIP_1) | instid1(VALU_DEP_2)
	v_dual_lshlrev_b32 v5, 24, v5 :: v_dual_bitop2_b32 v7, 3, v4 bitop3:0x40
	v_bfe_u32 v10, v4, 2, 5
	v_and_b32_e32 v5, 0x80000000, v5
	s_delay_alu instid0(VALU_DEP_3) | instskip(NEXT) | instid1(VALU_DEP_3)
	v_clz_i32_u32_e32 v8, v7
	v_cmp_eq_u32_e32 vcc_lo, 0, v10
	s_delay_alu instid0(VALU_DEP_2) | instskip(NEXT) | instid1(VALU_DEP_1)
	v_min_u32_e32 v8, 32, v8
	v_subrev_nc_u32_e32 v9, 29, v8
	v_sub_nc_u32_e32 v8, 30, v8
	s_delay_alu instid0(VALU_DEP_2) | instskip(NEXT) | instid1(VALU_DEP_2)
	v_lshlrev_b32_e32 v4, v9, v4
	v_cndmask_b32_e32 v8, v10, v8, vcc_lo
	s_delay_alu instid0(VALU_DEP_2) | instskip(NEXT) | instid1(VALU_DEP_1)
	v_and_b32_e32 v4, 3, v4
	v_cndmask_b32_e32 v4, v7, v4, vcc_lo
	s_delay_alu instid0(VALU_DEP_3) | instskip(NEXT) | instid1(VALU_DEP_2)
	v_lshl_add_u32 v7, v8, 23, 0x37800000
	v_lshlrev_b32_e32 v4, 21, v4
	s_delay_alu instid0(VALU_DEP_1) | instskip(NEXT) | instid1(VALU_DEP_1)
	v_or3_b32 v4, v5, v7, v4
	v_cvt_f16_f32_e32 v4, v4
.LBB150_1404:
	s_or_b32 exec_lo, exec_lo, s24
	s_mov_b32 s23, 0
	s_branch .LBB150_1410
.LBB150_1405:
	s_mov_b32 s23, -1
                                        ; implicit-def: $vgpr4
	s_branch .LBB150_1416
.LBB150_1406:
	s_or_saveexec_b32 s25, s25
	v_mov_b32_e32 v4, 0x7e00
	s_xor_b32 exec_lo, exec_lo, s25
	s_cbranch_execz .LBB150_1390
.LBB150_1407:
	v_cmp_ne_u16_e32 vcc_lo, 0, v5
	v_mov_b32_e32 v4, v5
	s_and_not1_b32 s24, s24, exec_lo
	s_and_b32 s26, vcc_lo, exec_lo
	s_delay_alu instid0(SALU_CYCLE_1)
	s_or_b32 s24, s24, s26
	s_or_b32 exec_lo, exec_lo, s25
	s_and_saveexec_b32 s25, s24
	s_cbranch_execnz .LBB150_1391
	s_branch .LBB150_1392
.LBB150_1408:
	s_mov_b32 s23, -1
                                        ; implicit-def: $vgpr4
	s_branch .LBB150_1413
.LBB150_1409:
	s_mov_b32 s23, -1
                                        ; implicit-def: $vgpr4
.LBB150_1410:
	s_delay_alu instid0(SALU_CYCLE_1)
	s_and_b32 vcc_lo, exec_lo, s23
	s_cbranch_vccz .LBB150_1412
; %bb.1411:
	s_wait_loadcnt 0x0
	global_load_u8 v4, v[0:1], off
	s_wait_loadcnt 0x0
	v_lshlrev_b32_e32 v4, 24, v4
	s_delay_alu instid0(VALU_DEP_1) | instskip(NEXT) | instid1(VALU_DEP_1)
	v_and_b32_e32 v5, 0x7f000000, v4
	v_clz_i32_u32_e32 v7, v5
	v_add_nc_u32_e32 v9, 0x1000000, v5
	v_cmp_ne_u32_e32 vcc_lo, 0, v5
	s_delay_alu instid0(VALU_DEP_3) | instskip(NEXT) | instid1(VALU_DEP_1)
	v_min_u32_e32 v7, 32, v7
	v_sub_nc_u32_e64 v7, v7, 4 clamp
	s_delay_alu instid0(VALU_DEP_1) | instskip(NEXT) | instid1(VALU_DEP_1)
	v_dual_lshlrev_b32 v8, v7, v5 :: v_dual_lshlrev_b32 v7, 23, v7
	v_lshrrev_b32_e32 v8, 4, v8
	s_delay_alu instid0(VALU_DEP_1) | instskip(NEXT) | instid1(VALU_DEP_1)
	v_dual_sub_nc_u32 v7, v8, v7 :: v_dual_ashrrev_i32 v8, 8, v9
	v_add_nc_u32_e32 v7, 0x3c000000, v7
	s_delay_alu instid0(VALU_DEP_1) | instskip(NEXT) | instid1(VALU_DEP_1)
	v_and_or_b32 v7, 0x7f800000, v8, v7
	v_cndmask_b32_e32 v5, 0, v7, vcc_lo
	s_delay_alu instid0(VALU_DEP_1) | instskip(NEXT) | instid1(VALU_DEP_1)
	v_and_or_b32 v4, 0x80000000, v4, v5
	v_cvt_f16_f32_e32 v4, v4
.LBB150_1412:
	s_mov_b32 s23, 0
.LBB150_1413:
	s_delay_alu instid0(SALU_CYCLE_1)
	s_and_not1_b32 vcc_lo, exec_lo, s23
	s_cbranch_vccnz .LBB150_1415
; %bb.1414:
	s_wait_loadcnt 0x0
	global_load_u8 v4, v[0:1], off
	s_wait_loadcnt 0x0
	v_lshlrev_b32_e32 v5, 25, v4
	v_lshlrev_b16 v4, 8, v4
	s_delay_alu instid0(VALU_DEP_2) | instskip(NEXT) | instid1(VALU_DEP_2)
	v_cmp_gt_u32_e32 vcc_lo, 0x8000000, v5
	v_and_or_b32 v8, 0x7f00, v4, 0.5
	v_lshrrev_b32_e32 v7, 4, v5
	v_bfe_i32 v4, v4, 0, 16
	s_delay_alu instid0(VALU_DEP_3) | instskip(NEXT) | instid1(VALU_DEP_3)
	v_add_f32_e32 v8, -0.5, v8
	v_or_b32_e32 v7, 0x70000000, v7
	s_delay_alu instid0(VALU_DEP_1) | instskip(NEXT) | instid1(VALU_DEP_1)
	v_mul_f32_e32 v7, 0x7800000, v7
	v_cndmask_b32_e32 v5, v7, v8, vcc_lo
	s_delay_alu instid0(VALU_DEP_1) | instskip(NEXT) | instid1(VALU_DEP_1)
	v_and_or_b32 v4, 0x80000000, v4, v5
	v_cvt_f16_f32_e32 v4, v4
.LBB150_1415:
	s_mov_b32 s23, 0
	s_mov_b32 s24, -1
.LBB150_1416:
	s_and_not1_b32 vcc_lo, exec_lo, s23
	s_mov_b32 s23, 0
	s_cbranch_vccnz .LBB150_1427
; %bb.1417:
	s_cmp_gt_i32 s21, 14
	s_cbranch_scc0 .LBB150_1420
; %bb.1418:
	s_cmp_eq_u32 s21, 15
	s_cbranch_scc0 .LBB150_1423
; %bb.1419:
	s_wait_loadcnt 0x0
	global_load_u16 v4, v[0:1], off
	s_mov_b32 s22, 0
	s_mov_b32 s24, -1
	s_wait_loadcnt 0x0
	v_lshlrev_b32_e32 v4, 16, v4
	s_delay_alu instid0(VALU_DEP_1)
	v_cvt_f16_f32_e32 v4, v4
	s_branch .LBB150_1425
.LBB150_1420:
	s_mov_b32 s23, -1
	s_branch .LBB150_1424
.LBB150_1421:
	s_or_saveexec_b32 s24, s24
	v_mov_b32_e32 v4, 0x7e00
	s_xor_b32 exec_lo, exec_lo, s24
	s_cbranch_execz .LBB150_1402
.LBB150_1422:
	v_cmp_ne_u16_e32 vcc_lo, 0, v5
	v_mov_b32_e32 v4, v5
	s_and_not1_b32 s23, s23, exec_lo
	s_and_b32 s25, vcc_lo, exec_lo
	s_delay_alu instid0(SALU_CYCLE_1)
	s_or_b32 s23, s23, s25
	s_or_b32 exec_lo, exec_lo, s24
	s_and_saveexec_b32 s24, s23
	s_cbranch_execnz .LBB150_1403
	s_branch .LBB150_1404
.LBB150_1423:
	s_mov_b32 s22, -1
.LBB150_1424:
                                        ; implicit-def: $vgpr4
.LBB150_1425:
	s_and_b32 vcc_lo, exec_lo, s23
	s_mov_b32 s23, 0
	s_cbranch_vccz .LBB150_1427
; %bb.1426:
	s_cmp_lg_u32 s21, 11
	s_mov_b32 s23, -1
	s_cselect_b32 s21, -1, 0
	s_and_not1_b32 s22, s22, exec_lo
	s_and_b32 s21, s21, exec_lo
	s_delay_alu instid0(SALU_CYCLE_1)
	s_or_b32 s22, s22, s21
.LBB150_1427:
	v_mov_b32_e32 v5, 0
.LBB150_1428:
	s_mov_b32 s21, 0
.LBB150_1429:
	s_and_not1_b32 s19, s19, exec_lo
	s_and_b32 s25, s22, exec_lo
	s_and_b32 s24, s24, exec_lo
	;; [unrolled: 1-line block ×4, first 2 shown]
	s_or_b32 s19, s19, s25
	s_wait_xcnt 0x0
	s_or_b32 exec_lo, exec_lo, s20
	s_and_saveexec_b32 s20, s19
	s_cbranch_execz .LBB150_1355
.LBB150_1430:
	s_or_b32 s17, s17, exec_lo
	s_and_not1_b32 s22, s22, exec_lo
	s_trap 2
	s_or_b32 exec_lo, exec_lo, s20
	s_and_saveexec_b32 s19, s22
	s_delay_alu instid0(SALU_CYCLE_1)
	s_xor_b32 s19, exec_lo, s19
	s_cbranch_execnz .LBB150_1356
.LBB150_1431:
	s_or_b32 exec_lo, exec_lo, s19
	s_and_saveexec_b32 s19, s21
	s_cbranch_execz .LBB150_1479
.LBB150_1432:
	s_sext_i32_i16 s20, s0
	s_delay_alu instid0(SALU_CYCLE_1)
	s_cmp_lt_i32 s20, 5
	s_cbranch_scc1 .LBB150_1437
; %bb.1433:
	s_cmp_lt_i32 s20, 8
	s_cbranch_scc1 .LBB150_1438
; %bb.1434:
	;; [unrolled: 3-line block ×3, first 2 shown]
	s_cmp_gt_i32 s20, 9
	s_cbranch_scc0 .LBB150_1440
; %bb.1436:
	global_load_b128 v[8:11], v[0:1], off
	s_mov_b32 s20, 0
	s_wait_loadcnt 0x0
	v_and_or_b32 v4, 0x1ff, v9, v8
	v_and_or_b32 v8, 0x1ff, v11, v10
	v_dual_lshrrev_b32 v5, 8, v9 :: v_dual_lshrrev_b32 v10, 8, v11
	v_bfe_u32 v7, v9, 20, 11
	s_delay_alu instid0(VALU_DEP_4) | instskip(SKIP_2) | instid1(VALU_DEP_4)
	v_cmp_ne_u32_e32 vcc_lo, 0, v4
	v_bfe_u32 v12, v11, 20, 11
	v_dual_lshrrev_b32 v9, 16, v9 :: v_dual_lshrrev_b32 v11, 16, v11
	v_sub_nc_u32_e32 v13, 0x3f1, v7
	v_cndmask_b32_e64 v4, 0, 1, vcc_lo
	v_cmp_ne_u32_e32 vcc_lo, 0, v8
	v_add_nc_u32_e32 v7, 0xfffffc10, v7
	s_delay_alu instid0(VALU_DEP_3) | instskip(SKIP_1) | instid1(VALU_DEP_1)
	v_and_or_b32 v4, 0xffe, v5, v4
	v_cndmask_b32_e64 v8, 0, 1, vcc_lo
	v_and_or_b32 v8, 0xffe, v10, v8
	v_med3_i32 v10, v13, 0, 13
	s_delay_alu instid0(VALU_DEP_4) | instskip(NEXT) | instid1(VALU_DEP_3)
	v_or_b32_e32 v13, 0x1000, v4
	v_or_b32_e32 v14, 0x1000, v8
	s_delay_alu instid0(VALU_DEP_2) | instskip(NEXT) | instid1(VALU_DEP_1)
	v_lshrrev_b32_e32 v15, v10, v13
	v_lshlrev_b32_e32 v10, v10, v15
	s_delay_alu instid0(VALU_DEP_1) | instskip(SKIP_2) | instid1(VALU_DEP_1)
	v_cmp_ne_u32_e32 vcc_lo, v10, v13
	v_lshl_or_b32 v13, v7, 12, v4
	v_cndmask_b32_e64 v10, 0, 1, vcc_lo
	v_or_b32_e32 v10, v15, v10
	v_sub_nc_u32_e32 v5, 0x3f1, v12
	s_delay_alu instid0(VALU_DEP_1) | instskip(NEXT) | instid1(VALU_DEP_1)
	v_med3_i32 v5, v5, 0, 13
	v_lshrrev_b32_e32 v16, v5, v14
	s_delay_alu instid0(VALU_DEP_1) | instskip(NEXT) | instid1(VALU_DEP_1)
	v_lshlrev_b32_e32 v5, v5, v16
	v_cmp_ne_u32_e32 vcc_lo, v5, v14
	v_cndmask_b32_e64 v5, 0, 1, vcc_lo
	v_cmp_gt_i32_e32 vcc_lo, 1, v7
	s_delay_alu instid0(VALU_DEP_2) | instskip(NEXT) | instid1(VALU_DEP_1)
	v_dual_cndmask_b32 v10, v13, v10, vcc_lo :: v_dual_bitop2_b32 v5, v16, v5 bitop3:0x54
	v_dual_lshrrev_b32 v10, 2, v10 :: v_dual_bitop2_b32 v13, 7, v10 bitop3:0x40
	v_add_nc_u32_e32 v12, 0xfffffc10, v12
	s_delay_alu instid0(VALU_DEP_1) | instskip(SKIP_1) | instid1(VALU_DEP_2)
	v_lshl_or_b32 v14, v12, 12, v8
	v_cmp_gt_i32_e32 vcc_lo, 1, v12
	v_cndmask_b32_e32 v5, v14, v5, vcc_lo
	v_cmp_lt_i32_e32 vcc_lo, 5, v13
	s_delay_alu instid0(VALU_DEP_2)
	v_and_b32_e32 v14, 7, v5
	v_cndmask_b32_e64 v15, 0, 1, vcc_lo
	v_cmp_eq_u32_e32 vcc_lo, 3, v13
	v_lshrrev_b32_e32 v5, 2, v5
	v_cndmask_b32_e64 v13, 0, 1, vcc_lo
	v_cmp_lt_i32_e32 vcc_lo, 5, v14
	s_delay_alu instid0(VALU_DEP_2) | instskip(SKIP_2) | instid1(VALU_DEP_3)
	v_or_b32_e32 v13, v13, v15
	v_cndmask_b32_e64 v16, 0, 1, vcc_lo
	v_cmp_eq_u32_e32 vcc_lo, 3, v14
	v_dual_mov_b32 v17, 0x7e00 :: v_dual_add_nc_u32 v10, v10, v13
	v_cndmask_b32_e64 v14, 0, 1, vcc_lo
	v_cmp_ne_u32_e32 vcc_lo, 0, v4
	s_delay_alu instid0(VALU_DEP_2) | instskip(NEXT) | instid1(VALU_DEP_4)
	v_or_b32_e32 v14, v14, v16
	v_cndmask_b32_e32 v4, 0x7c00, v17, vcc_lo
	v_cmp_ne_u32_e32 vcc_lo, 0, v8
	s_delay_alu instid0(VALU_DEP_3) | instskip(SKIP_3) | instid1(VALU_DEP_4)
	v_dual_cndmask_b32 v8, 0x7c00, v17 :: v_dual_add_nc_u32 v5, v5, v14
	v_cmp_gt_i32_e32 vcc_lo, 31, v7
	v_cndmask_b32_e32 v10, 0x7c00, v10, vcc_lo
	v_cmp_gt_i32_e32 vcc_lo, 31, v12
	v_cndmask_b32_e32 v5, 0x7c00, v5, vcc_lo
	v_cmp_eq_u32_e32 vcc_lo, 0x40f, v7
	s_delay_alu instid0(VALU_DEP_4) | instskip(SKIP_1) | instid1(VALU_DEP_2)
	v_cndmask_b32_e32 v4, v10, v4, vcc_lo
	v_cmp_eq_u32_e32 vcc_lo, 0x40f, v12
	v_and_or_b32 v4, 0x8000, v9, v4
	v_cndmask_b32_e32 v5, v5, v8, vcc_lo
	s_delay_alu instid0(VALU_DEP_1)
	v_and_or_b32 v5, 0x8000, v11, v5
	s_branch .LBB150_1441
.LBB150_1437:
                                        ; implicit-def: $vgpr5
                                        ; implicit-def: $vgpr4
	s_branch .LBB150_1459
.LBB150_1438:
                                        ; implicit-def: $vgpr5
                                        ; implicit-def: $vgpr4
	s_branch .LBB150_1447
.LBB150_1439:
	s_mov_b32 s20, -1
                                        ; implicit-def: $vgpr5
                                        ; implicit-def: $vgpr4
	s_branch .LBB150_1444
.LBB150_1440:
	s_mov_b32 s20, -1
                                        ; implicit-def: $vgpr5
                                        ; implicit-def: $vgpr4
.LBB150_1441:
	s_delay_alu instid0(SALU_CYCLE_1)
	s_and_not1_b32 vcc_lo, exec_lo, s20
	s_cbranch_vccnz .LBB150_1443
; %bb.1442:
	s_wait_loadcnt 0x0
	global_load_b64 v[4:5], v[0:1], off
	s_wait_loadcnt 0x0
	v_cvt_f16_f32_e32 v4, v4
	v_cvt_f16_f32_e32 v5, v5
.LBB150_1443:
	s_mov_b32 s20, 0
.LBB150_1444:
	s_delay_alu instid0(SALU_CYCLE_1)
	s_and_not1_b32 vcc_lo, exec_lo, s20
	s_cbranch_vccnz .LBB150_1446
; %bb.1445:
	s_wait_loadcnt 0x0
	global_load_b32 v4, v[0:1], off
	s_wait_loadcnt 0x0
	v_lshrrev_b32_e32 v5, 16, v4
.LBB150_1446:
	s_cbranch_execnz .LBB150_1458
.LBB150_1447:
	s_sext_i32_i16 s20, s0
	s_delay_alu instid0(SALU_CYCLE_1)
	s_cmp_lt_i32 s20, 6
	s_cbranch_scc1 .LBB150_1450
; %bb.1448:
	s_cmp_gt_i32 s20, 6
	s_cbranch_scc0 .LBB150_1451
; %bb.1449:
	s_wait_loadcnt 0x0
	global_load_b64 v[4:5], v[0:1], off
	s_mov_b32 s20, 0
	s_wait_loadcnt 0x0
	v_and_or_b32 v4, 0x1ff, v5, v4
	v_lshrrev_b32_e32 v7, 8, v5
	v_bfe_u32 v8, v5, 20, 11
	v_lshrrev_b32_e32 v5, 16, v5
	s_delay_alu instid0(VALU_DEP_4) | instskip(NEXT) | instid1(VALU_DEP_3)
	v_cmp_ne_u32_e32 vcc_lo, 0, v4
	v_sub_nc_u32_e32 v9, 0x3f1, v8
	v_add_nc_u32_e32 v8, 0xfffffc10, v8
	v_cndmask_b32_e64 v4, 0, 1, vcc_lo
	s_delay_alu instid0(VALU_DEP_1) | instskip(NEXT) | instid1(VALU_DEP_4)
	v_and_or_b32 v4, 0xffe, v7, v4
	v_med3_i32 v7, v9, 0, 13
	s_delay_alu instid0(VALU_DEP_2) | instskip(NEXT) | instid1(VALU_DEP_1)
	v_or_b32_e32 v9, 0x1000, v4
	v_lshrrev_b32_e32 v10, v7, v9
	s_delay_alu instid0(VALU_DEP_1) | instskip(NEXT) | instid1(VALU_DEP_1)
	v_lshlrev_b32_e32 v7, v7, v10
	v_cmp_ne_u32_e32 vcc_lo, v7, v9
	v_lshl_or_b32 v9, v8, 12, v4
	v_cndmask_b32_e64 v7, 0, 1, vcc_lo
	v_cmp_gt_i32_e32 vcc_lo, 1, v8
	s_delay_alu instid0(VALU_DEP_2) | instskip(NEXT) | instid1(VALU_DEP_1)
	v_or_b32_e32 v7, v10, v7
	v_cndmask_b32_e32 v7, v9, v7, vcc_lo
	s_delay_alu instid0(VALU_DEP_1) | instskip(NEXT) | instid1(VALU_DEP_1)
	v_dual_lshrrev_b32 v7, 2, v7 :: v_dual_bitop2_b32 v9, 7, v7 bitop3:0x40
	v_cmp_lt_i32_e32 vcc_lo, 5, v9
	v_cndmask_b32_e64 v10, 0, 1, vcc_lo
	v_cmp_eq_u32_e32 vcc_lo, 3, v9
	v_cndmask_b32_e64 v9, 0, 1, vcc_lo
	v_cmp_ne_u32_e32 vcc_lo, 0, v4
	s_delay_alu instid0(VALU_DEP_2) | instskip(NEXT) | instid1(VALU_DEP_1)
	v_or_b32_e32 v9, v9, v10
	v_dual_mov_b32 v10, 0x7e00 :: v_dual_add_nc_u32 v7, v7, v9
	s_delay_alu instid0(VALU_DEP_1) | instskip(SKIP_1) | instid1(VALU_DEP_3)
	v_cndmask_b32_e32 v4, 0x7c00, v10, vcc_lo
	v_cmp_gt_i32_e32 vcc_lo, 31, v8
	v_cndmask_b32_e32 v7, 0x7c00, v7, vcc_lo
	v_cmp_eq_u32_e32 vcc_lo, 0x40f, v8
	s_delay_alu instid0(VALU_DEP_2) | instskip(NEXT) | instid1(VALU_DEP_1)
	v_cndmask_b32_e32 v4, v7, v4, vcc_lo
	v_and_or_b32 v4, 0x8000, v5, v4
	s_branch .LBB150_1452
.LBB150_1450:
	s_mov_b32 s20, -1
                                        ; implicit-def: $vgpr4
	s_branch .LBB150_1455
.LBB150_1451:
	s_mov_b32 s20, -1
                                        ; implicit-def: $vgpr4
.LBB150_1452:
	s_delay_alu instid0(SALU_CYCLE_1)
	s_and_not1_b32 vcc_lo, exec_lo, s20
	s_cbranch_vccnz .LBB150_1454
; %bb.1453:
	s_wait_loadcnt 0x0
	global_load_b32 v4, v[0:1], off
	s_wait_loadcnt 0x0
	v_cvt_f16_f32_e32 v4, v4
.LBB150_1454:
	s_mov_b32 s20, 0
.LBB150_1455:
	s_delay_alu instid0(SALU_CYCLE_1)
	s_and_not1_b32 vcc_lo, exec_lo, s20
	s_cbranch_vccnz .LBB150_1457
; %bb.1456:
	s_wait_loadcnt 0x0
	global_load_u16 v4, v[0:1], off
.LBB150_1457:
	v_mov_b32_e32 v5, 0
.LBB150_1458:
	s_cbranch_execnz .LBB150_1478
.LBB150_1459:
	s_sext_i32_i16 s20, s0
	s_delay_alu instid0(SALU_CYCLE_1)
	s_cmp_lt_i32 s20, 2
	s_cbranch_scc1 .LBB150_1463
; %bb.1460:
	s_cmp_lt_i32 s20, 3
	s_cbranch_scc1 .LBB150_1464
; %bb.1461:
	s_cmp_gt_i32 s20, 3
	s_cbranch_scc0 .LBB150_1465
; %bb.1462:
	s_wait_loadcnt 0x0
	global_load_b64 v[4:5], v[0:1], off
	s_mov_b32 s20, 0
	s_wait_loadcnt 0x0
	v_xor_b32_e32 v7, v4, v5
	v_cls_i32_e32 v8, v5
	s_delay_alu instid0(VALU_DEP_2) | instskip(NEXT) | instid1(VALU_DEP_1)
	v_ashrrev_i32_e32 v7, 31, v7
	v_add_nc_u32_e32 v7, 32, v7
	s_delay_alu instid0(VALU_DEP_1) | instskip(NEXT) | instid1(VALU_DEP_1)
	v_add_min_u32_e64 v7, v8, -1, v7
	v_lshlrev_b64_e32 v[4:5], v7, v[4:5]
	s_delay_alu instid0(VALU_DEP_1) | instskip(NEXT) | instid1(VALU_DEP_1)
	v_min_u32_e32 v4, 1, v4
	v_dual_sub_nc_u32 v5, 32, v7 :: v_dual_bitop2_b32 v4, v5, v4 bitop3:0x54
	s_delay_alu instid0(VALU_DEP_1) | instskip(NEXT) | instid1(VALU_DEP_1)
	v_cvt_f32_i32_e32 v4, v4
	v_ldexp_f32 v4, v4, v5
	s_delay_alu instid0(VALU_DEP_1)
	v_cvt_f16_f32_e32 v4, v4
	s_branch .LBB150_1466
.LBB150_1463:
                                        ; implicit-def: $vgpr4
	s_branch .LBB150_1472
.LBB150_1464:
	s_mov_b32 s20, -1
                                        ; implicit-def: $vgpr4
	s_branch .LBB150_1469
.LBB150_1465:
	s_mov_b32 s20, -1
                                        ; implicit-def: $vgpr4
.LBB150_1466:
	s_delay_alu instid0(SALU_CYCLE_1)
	s_and_not1_b32 vcc_lo, exec_lo, s20
	s_cbranch_vccnz .LBB150_1468
; %bb.1467:
	s_wait_loadcnt 0x0
	global_load_b32 v4, v[0:1], off
	s_wait_loadcnt 0x0
	v_cvt_f32_i32_e32 v4, v4
	s_delay_alu instid0(VALU_DEP_1)
	v_cvt_f16_f32_e32 v4, v4
.LBB150_1468:
	s_mov_b32 s20, 0
.LBB150_1469:
	s_delay_alu instid0(SALU_CYCLE_1)
	s_and_not1_b32 vcc_lo, exec_lo, s20
	s_cbranch_vccnz .LBB150_1471
; %bb.1470:
	s_wait_loadcnt 0x0
	global_load_u16 v4, v[0:1], off
	s_wait_loadcnt 0x0
	v_cvt_f16_i16_e32 v4, v4
.LBB150_1471:
	s_cbranch_execnz .LBB150_1477
.LBB150_1472:
	s_sext_i32_i16 s0, s0
	s_delay_alu instid0(SALU_CYCLE_1)
	s_cmp_gt_i32 s0, 0
	s_mov_b32 s0, 0
	s_cbranch_scc0 .LBB150_1474
; %bb.1473:
	s_wait_loadcnt 0x0
	global_load_i8 v4, v[0:1], off
	s_wait_loadcnt 0x0
	v_cvt_f16_i16_e32 v4, v4
	s_branch .LBB150_1475
.LBB150_1474:
	s_mov_b32 s0, -1
                                        ; implicit-def: $vgpr4
.LBB150_1475:
	s_delay_alu instid0(SALU_CYCLE_1)
	s_and_not1_b32 vcc_lo, exec_lo, s0
	s_cbranch_vccnz .LBB150_1477
; %bb.1476:
	global_load_u8 v0, v[0:1], off
	s_wait_loadcnt 0x0
	v_cvt_f16_u16_e32 v4, v0
.LBB150_1477:
	v_mov_b32_e32 v5, 0
.LBB150_1478:
	s_or_b32 s24, s24, exec_lo
.LBB150_1479:
	s_wait_xcnt 0x0
	s_or_b32 exec_lo, exec_lo, s19
	s_mov_b32 s0, 0
	s_mov_b32 s22, 0
                                        ; implicit-def: $sgpr19
                                        ; implicit-def: $sgpr20
                                        ; implicit-def: $vgpr0_vgpr1
	s_and_saveexec_b32 s21, s24
	s_cbranch_execz .LBB150_1490
; %bb.1480:
	s_and_not1_b32 vcc_lo, exec_lo, s16
	s_cbranch_vccnz .LBB150_1494
; %bb.1481:
	s_wait_loadcnt 0x0
	v_cmp_neq_f16_e32 vcc_lo, v2, v4
	v_cmp_neq_f16_e64 s0, v3, v5
	s_or_b32 s19, vcc_lo, s0
	s_cbranch_execnz .LBB150_1483
.LBB150_1482:
	s_wait_loadcnt 0x0
	v_cmp_eq_f16_e32 vcc_lo, v2, v4
	v_cmp_eq_f16_e64 s0, v3, v5
	s_and_not1_b32 s16, s19, exec_lo
	s_and_b32 s0, vcc_lo, s0
	s_delay_alu instid0(SALU_CYCLE_1) | instskip(NEXT) | instid1(SALU_CYCLE_1)
	s_and_b32 s0, s0, exec_lo
	s_or_b32 s19, s16, s0
.LBB150_1483:
	v_mul_lo_u32 v0, v6, s8
	s_and_b32 s20, s12, 0xff
	s_delay_alu instid0(SALU_CYCLE_1) | instskip(NEXT) | instid1(VALU_DEP_1)
	s_cmp_lt_i32 s20, 11
	v_ashrrev_i32_e32 v1, 31, v0
	s_delay_alu instid0(VALU_DEP_1)
	v_add_nc_u64_e32 v[0:1], s[4:5], v[0:1]
	s_cbranch_scc1 .LBB150_1493
; %bb.1484:
	s_and_b32 s16, 0xffff, s20
	s_mov_b32 s22, -1
	s_cmp_gt_i32 s16, 25
	s_mov_b32 s0, s18
	s_cbranch_scc0 .LBB150_1522
; %bb.1485:
	s_cmp_gt_i32 s16, 28
	s_mov_b32 s0, s18
	s_cbranch_scc0 .LBB150_1506
; %bb.1486:
	;; [unrolled: 4-line block ×4, first 2 shown]
	s_cmp_eq_u32 s16, 46
	s_mov_b32 s0, -1
	s_cbranch_scc0 .LBB150_1495
; %bb.1489:
	s_wait_loadcnt 0x0
	v_cndmask_b32_e64 v2, 0, 1.0, s19
	s_mov_b32 s0, 0
	s_mov_b32 s22, 0
	s_delay_alu instid0(VALU_DEP_1) | instskip(NEXT) | instid1(VALU_DEP_1)
	v_bfe_u32 v3, v2, 16, 1
	v_add3_u32 v2, v2, v3, 0x7fff
	s_delay_alu instid0(VALU_DEP_1)
	v_lshrrev_b32_e32 v2, 16, v2
	global_store_b32 v[0:1], v2, off
	s_branch .LBB150_1496
.LBB150_1490:
	s_or_b32 exec_lo, exec_lo, s21
	s_and_saveexec_b32 s16, s18
	s_cbranch_execnz .LBB150_1564
.LBB150_1491:
	s_or_b32 exec_lo, exec_lo, s16
	s_and_saveexec_b32 s16, s0
	s_delay_alu instid0(SALU_CYCLE_1)
	s_xor_b32 s0, exec_lo, s16
	s_cbranch_execz .LBB150_1565
.LBB150_1492:
	s_wait_loadcnt 0x0
	v_cndmask_b32_e64 v2, 0, 1, s19
	global_store_b8 v[0:1], v2, off
	s_wait_xcnt 0x0
	s_or_b32 exec_lo, exec_lo, s0
	s_and_saveexec_b32 s0, s22
	s_delay_alu instid0(SALU_CYCLE_1)
	s_xor_b32 s0, exec_lo, s0
	s_cbranch_execz .LBB150_1603
	s_branch .LBB150_1566
.LBB150_1493:
	s_mov_b32 s23, 0
	s_mov_b32 s22, -1
	s_mov_b32 s0, s18
	s_branch .LBB150_1563
.LBB150_1494:
                                        ; implicit-def: $sgpr19
	s_branch .LBB150_1482
.LBB150_1495:
	s_mov_b32 s22, 0
.LBB150_1496:
	s_delay_alu instid0(SALU_CYCLE_1)
	s_and_b32 vcc_lo, exec_lo, s22
	s_cbranch_vccz .LBB150_1501
; %bb.1497:
	s_cmp_eq_u32 s16, 44
	s_mov_b32 s0, -1
	s_cbranch_scc0 .LBB150_1501
; %bb.1498:
	s_wait_loadcnt 0x0
	v_cndmask_b32_e64 v4, 0, 1.0, s19
	s_mov_b32 s22, exec_lo
	s_wait_xcnt 0x0
	s_delay_alu instid0(VALU_DEP_1) | instskip(NEXT) | instid1(VALU_DEP_1)
	v_dual_mov_b32 v3, 0xff :: v_dual_lshrrev_b32 v2, 23, v4
	v_cmpx_ne_u32_e32 0xff, v2
; %bb.1499:
	v_and_b32_e32 v3, 0x400000, v4
	v_and_or_b32 v4, 0x3fffff, v4, v2
	s_delay_alu instid0(VALU_DEP_2) | instskip(NEXT) | instid1(VALU_DEP_2)
	v_cmp_ne_u32_e32 vcc_lo, 0, v3
	v_cmp_ne_u32_e64 s0, 0, v4
	s_and_b32 s0, vcc_lo, s0
	s_delay_alu instid0(SALU_CYCLE_1) | instskip(NEXT) | instid1(VALU_DEP_1)
	v_cndmask_b32_e64 v3, 0, 1, s0
	v_add_nc_u32_e32 v3, v2, v3
; %bb.1500:
	s_or_b32 exec_lo, exec_lo, s22
	s_mov_b32 s0, 0
	global_store_b8 v[0:1], v3, off
.LBB150_1501:
	s_mov_b32 s22, 0
.LBB150_1502:
	s_delay_alu instid0(SALU_CYCLE_1)
	s_and_b32 vcc_lo, exec_lo, s22
	s_cbranch_vccz .LBB150_1505
; %bb.1503:
	s_cmp_eq_u32 s16, 29
	s_mov_b32 s0, -1
	s_cbranch_scc0 .LBB150_1505
; %bb.1504:
	s_mov_b32 s0, 0
	s_wait_loadcnt 0x0
	v_cndmask_b32_e64 v2, 0, 1, s19
	v_mov_b32_e32 v3, s0
	s_mov_b32 s22, 0
	global_store_b64 v[0:1], v[2:3], off
	s_branch .LBB150_1506
.LBB150_1505:
	s_mov_b32 s22, 0
.LBB150_1506:
	s_delay_alu instid0(SALU_CYCLE_1)
	s_and_b32 vcc_lo, exec_lo, s22
	s_cbranch_vccz .LBB150_1521
; %bb.1507:
	s_cmp_lt_i32 s16, 27
	s_mov_b32 s22, -1
	s_cbranch_scc1 .LBB150_1513
; %bb.1508:
	s_wait_loadcnt 0x0
	v_cndmask_b32_e64 v2, 0, 1, s19
	s_cmp_gt_i32 s16, 27
	s_cbranch_scc0 .LBB150_1510
; %bb.1509:
	s_mov_b32 s22, 0
	global_store_b32 v[0:1], v2, off
.LBB150_1510:
	s_and_not1_b32 vcc_lo, exec_lo, s22
	s_cbranch_vccnz .LBB150_1512
; %bb.1511:
	global_store_b16 v[0:1], v2, off
.LBB150_1512:
	s_mov_b32 s22, 0
.LBB150_1513:
	s_delay_alu instid0(SALU_CYCLE_1)
	s_and_not1_b32 vcc_lo, exec_lo, s22
	s_cbranch_vccnz .LBB150_1521
; %bb.1514:
	s_wait_xcnt 0x0
	v_cndmask_b32_e64 v3, 0, 1.0, s19
	s_wait_loadcnt 0x0
	v_mov_b32_e32 v4, 0x80
	s_mov_b32 s22, exec_lo
	s_delay_alu instid0(VALU_DEP_2)
	v_cmpx_gt_u32_e32 0x43800000, v3
	s_cbranch_execz .LBB150_1520
; %bb.1515:
	s_mov_b32 s23, 0
	s_mov_b32 s24, exec_lo
                                        ; implicit-def: $vgpr2
	v_cmpx_lt_u32_e32 0x3bffffff, v3
	s_xor_b32 s24, exec_lo, s24
	s_cbranch_execz .LBB150_1618
; %bb.1516:
	v_bfe_u32 v2, v3, 20, 1
	s_mov_b32 s23, exec_lo
	s_delay_alu instid0(VALU_DEP_1) | instskip(NEXT) | instid1(VALU_DEP_1)
	v_add3_u32 v2, v3, v2, 0x487ffff
                                        ; implicit-def: $vgpr3
	v_lshrrev_b32_e32 v2, 20, v2
	s_and_not1_saveexec_b32 s24, s24
	s_cbranch_execnz .LBB150_1619
.LBB150_1517:
	s_or_b32 exec_lo, exec_lo, s24
	v_mov_b32_e32 v4, 0
	s_and_saveexec_b32 s24, s23
.LBB150_1518:
	v_mov_b32_e32 v4, v2
.LBB150_1519:
	s_or_b32 exec_lo, exec_lo, s24
.LBB150_1520:
	s_delay_alu instid0(SALU_CYCLE_1)
	s_or_b32 exec_lo, exec_lo, s22
	global_store_b8 v[0:1], v4, off
.LBB150_1521:
	s_mov_b32 s22, 0
.LBB150_1522:
	s_delay_alu instid0(SALU_CYCLE_1)
	s_and_b32 vcc_lo, exec_lo, s22
	s_mov_b32 s22, 0
	s_cbranch_vccz .LBB150_1562
; %bb.1523:
	s_cmp_gt_i32 s16, 22
	s_mov_b32 s23, -1
	s_cbranch_scc0 .LBB150_1555
; %bb.1524:
	s_cmp_lt_i32 s16, 24
	s_cbranch_scc1 .LBB150_1544
; %bb.1525:
	s_cmp_gt_i32 s16, 24
	s_cbranch_scc0 .LBB150_1533
; %bb.1526:
	s_wait_xcnt 0x0
	v_cndmask_b32_e64 v3, 0, 1.0, s19
	s_wait_loadcnt 0x0
	v_mov_b32_e32 v4, 0x80
	s_mov_b32 s23, exec_lo
	s_delay_alu instid0(VALU_DEP_2)
	v_cmpx_gt_u32_e32 0x47800000, v3
	s_cbranch_execz .LBB150_1532
; %bb.1527:
	s_mov_b32 s24, 0
	s_mov_b32 s25, exec_lo
                                        ; implicit-def: $vgpr2
	v_cmpx_lt_u32_e32 0x37ffffff, v3
	s_xor_b32 s25, exec_lo, s25
	s_cbranch_execz .LBB150_1749
; %bb.1528:
	v_bfe_u32 v2, v3, 21, 1
	s_mov_b32 s24, exec_lo
	s_delay_alu instid0(VALU_DEP_1) | instskip(NEXT) | instid1(VALU_DEP_1)
	v_add3_u32 v2, v3, v2, 0x88fffff
                                        ; implicit-def: $vgpr3
	v_lshrrev_b32_e32 v2, 21, v2
	s_and_not1_saveexec_b32 s25, s25
	s_cbranch_execnz .LBB150_1750
.LBB150_1529:
	s_or_b32 exec_lo, exec_lo, s25
	v_mov_b32_e32 v4, 0
	s_and_saveexec_b32 s25, s24
.LBB150_1530:
	v_mov_b32_e32 v4, v2
.LBB150_1531:
	s_or_b32 exec_lo, exec_lo, s25
.LBB150_1532:
	s_delay_alu instid0(SALU_CYCLE_1)
	s_or_b32 exec_lo, exec_lo, s23
	s_mov_b32 s23, 0
	global_store_b8 v[0:1], v4, off
.LBB150_1533:
	s_and_b32 vcc_lo, exec_lo, s23
	s_cbranch_vccz .LBB150_1543
; %bb.1534:
	s_wait_xcnt 0x0
	v_cndmask_b32_e64 v3, 0, 1.0, s19
	s_mov_b32 s23, exec_lo
                                        ; implicit-def: $vgpr2
	s_delay_alu instid0(VALU_DEP_1)
	v_cmpx_gt_u32_e32 0x43f00000, v3
	s_xor_b32 s23, exec_lo, s23
	s_cbranch_execz .LBB150_1540
; %bb.1535:
	s_mov_b32 s24, exec_lo
                                        ; implicit-def: $vgpr2
	v_cmpx_lt_u32_e32 0x3c7fffff, v3
	s_xor_b32 s24, exec_lo, s24
	s_cbranch_execz .LBB150_1537
; %bb.1536:
	s_wait_loadcnt 0x0
	v_bfe_u32 v2, v3, 20, 1
	s_delay_alu instid0(VALU_DEP_1) | instskip(NEXT) | instid1(VALU_DEP_1)
	v_add3_u32 v2, v3, v2, 0x407ffff
	v_and_b32_e32 v3, 0xff00000, v2
	v_lshrrev_b32_e32 v2, 20, v2
	s_delay_alu instid0(VALU_DEP_2) | instskip(NEXT) | instid1(VALU_DEP_2)
	v_cmp_ne_u32_e32 vcc_lo, 0x7f00000, v3
                                        ; implicit-def: $vgpr3
	v_cndmask_b32_e32 v2, 0x7e, v2, vcc_lo
.LBB150_1537:
	s_and_not1_saveexec_b32 s24, s24
	s_cbranch_execz .LBB150_1539
; %bb.1538:
	s_wait_loadcnt 0x0
	v_add_f32_e32 v2, 0x46800000, v3
.LBB150_1539:
	s_or_b32 exec_lo, exec_lo, s24
                                        ; implicit-def: $vgpr3
.LBB150_1540:
	s_and_not1_saveexec_b32 s23, s23
	s_cbranch_execz .LBB150_1542
; %bb.1541:
	s_wait_loadcnt 0x0
	v_mov_b32_e32 v2, 0x7f
	v_cmp_lt_u32_e32 vcc_lo, 0x7f800000, v3
	s_delay_alu instid0(VALU_DEP_2)
	v_cndmask_b32_e32 v2, 0x7e, v2, vcc_lo
.LBB150_1542:
	s_or_b32 exec_lo, exec_lo, s23
	s_wait_loadcnt 0x0
	global_store_b8 v[0:1], v2, off
.LBB150_1543:
	s_mov_b32 s23, 0
.LBB150_1544:
	s_delay_alu instid0(SALU_CYCLE_1)
	s_and_not1_b32 vcc_lo, exec_lo, s23
	s_cbranch_vccnz .LBB150_1554
; %bb.1545:
	s_wait_xcnt 0x0
	v_cndmask_b32_e64 v3, 0, 1.0, s19
	s_mov_b32 s23, exec_lo
                                        ; implicit-def: $vgpr2
	s_delay_alu instid0(VALU_DEP_1)
	v_cmpx_gt_u32_e32 0x47800000, v3
	s_xor_b32 s23, exec_lo, s23
	s_cbranch_execz .LBB150_1551
; %bb.1546:
	s_mov_b32 s24, exec_lo
                                        ; implicit-def: $vgpr2
	v_cmpx_lt_u32_e32 0x387fffff, v3
	s_xor_b32 s24, exec_lo, s24
	s_cbranch_execz .LBB150_1548
; %bb.1547:
	s_wait_loadcnt 0x0
	v_bfe_u32 v2, v3, 21, 1
	s_delay_alu instid0(VALU_DEP_1) | instskip(NEXT) | instid1(VALU_DEP_1)
	v_add3_u32 v2, v3, v2, 0x80fffff
                                        ; implicit-def: $vgpr3
	v_lshrrev_b32_e32 v2, 21, v2
.LBB150_1548:
	s_and_not1_saveexec_b32 s24, s24
	s_cbranch_execz .LBB150_1550
; %bb.1549:
	s_wait_loadcnt 0x0
	v_add_f32_e32 v2, 0x43000000, v3
.LBB150_1550:
	s_or_b32 exec_lo, exec_lo, s24
                                        ; implicit-def: $vgpr3
.LBB150_1551:
	s_and_not1_saveexec_b32 s23, s23
	s_cbranch_execz .LBB150_1553
; %bb.1552:
	s_wait_loadcnt 0x0
	v_mov_b32_e32 v2, 0x7f
	v_cmp_lt_u32_e32 vcc_lo, 0x7f800000, v3
	s_delay_alu instid0(VALU_DEP_2)
	v_cndmask_b32_e32 v2, 0x7c, v2, vcc_lo
.LBB150_1553:
	s_or_b32 exec_lo, exec_lo, s23
	s_wait_loadcnt 0x0
	global_store_b8 v[0:1], v2, off
.LBB150_1554:
	s_mov_b32 s23, 0
.LBB150_1555:
	s_delay_alu instid0(SALU_CYCLE_1)
	s_and_not1_b32 vcc_lo, exec_lo, s23
	s_mov_b32 s23, 0
	s_cbranch_vccnz .LBB150_1563
; %bb.1556:
	s_cmp_gt_i32 s16, 14
	s_mov_b32 s23, -1
	s_cbranch_scc0 .LBB150_1560
; %bb.1557:
	s_cmp_eq_u32 s16, 15
	s_mov_b32 s0, -1
	s_cbranch_scc0 .LBB150_1559
; %bb.1558:
	s_wait_loadcnt 0x0
	v_cndmask_b32_e64 v2, 0, 1.0, s19
	s_mov_b32 s0, 0
	s_delay_alu instid0(VALU_DEP_1) | instskip(NEXT) | instid1(VALU_DEP_1)
	v_bfe_u32 v3, v2, 16, 1
	v_add3_u32 v2, v2, v3, 0x7fff
	global_store_d16_hi_b16 v[0:1], v2, off
.LBB150_1559:
	s_mov_b32 s23, 0
.LBB150_1560:
	s_delay_alu instid0(SALU_CYCLE_1)
	s_and_b32 vcc_lo, exec_lo, s23
	s_mov_b32 s23, 0
	s_cbranch_vccz .LBB150_1563
; %bb.1561:
	s_cmp_lg_u32 s16, 11
	s_mov_b32 s23, -1
	s_cselect_b32 s16, -1, 0
	s_and_not1_b32 s0, s0, exec_lo
	s_and_b32 s16, s16, exec_lo
	s_delay_alu instid0(SALU_CYCLE_1)
	s_or_b32 s0, s0, s16
	s_branch .LBB150_1563
.LBB150_1562:
	s_mov_b32 s23, 0
.LBB150_1563:
	s_and_not1_b32 s16, s18, exec_lo
	s_and_b32 s18, s0, exec_lo
	s_and_b32 s22, s22, exec_lo
	;; [unrolled: 1-line block ×3, first 2 shown]
	s_or_b32 s18, s16, s18
	s_wait_xcnt 0x0
	s_or_b32 exec_lo, exec_lo, s21
	s_and_saveexec_b32 s16, s18
	s_cbranch_execz .LBB150_1491
.LBB150_1564:
	s_or_b32 s17, s17, exec_lo
	s_and_not1_b32 s0, s0, exec_lo
	s_trap 2
	s_or_b32 exec_lo, exec_lo, s16
	s_and_saveexec_b32 s16, s0
	s_delay_alu instid0(SALU_CYCLE_1)
	s_xor_b32 s0, exec_lo, s16
	s_cbranch_execnz .LBB150_1492
.LBB150_1565:
	s_or_b32 exec_lo, exec_lo, s0
	s_and_saveexec_b32 s0, s22
	s_delay_alu instid0(SALU_CYCLE_1)
	s_xor_b32 s0, exec_lo, s0
	s_cbranch_execz .LBB150_1603
.LBB150_1566:
	s_sext_i32_i16 s18, s20
	s_mov_b32 s16, -1
	s_cmp_lt_i32 s18, 5
	s_cbranch_scc1 .LBB150_1587
; %bb.1567:
	s_cmp_lt_i32 s18, 8
	s_cbranch_scc1 .LBB150_1577
; %bb.1568:
	s_cmp_lt_i32 s18, 9
	s_cbranch_scc1 .LBB150_1574
; %bb.1569:
	s_cmp_gt_i32 s18, 9
	s_cbranch_scc0 .LBB150_1571
; %bb.1570:
	s_wait_loadcnt 0x0
	v_cndmask_b32_e64 v2, 0, 1, s19
	v_mov_b32_e32 v4, 0
	s_mov_b32 s16, 0
	s_delay_alu instid0(VALU_DEP_2) | instskip(NEXT) | instid1(VALU_DEP_2)
	v_cvt_f64_u32_e32 v[2:3], v2
	v_mov_b32_e32 v5, v4
	global_store_b128 v[0:1], v[2:5], off
.LBB150_1571:
	s_and_not1_b32 vcc_lo, exec_lo, s16
	s_cbranch_vccnz .LBB150_1573
; %bb.1572:
	s_wait_loadcnt 0x0
	v_cndmask_b32_e64 v2, 0, 1.0, s19
	v_mov_b32_e32 v3, 0
	global_store_b64 v[0:1], v[2:3], off
.LBB150_1573:
	s_mov_b32 s16, 0
.LBB150_1574:
	s_delay_alu instid0(SALU_CYCLE_1)
	s_and_not1_b32 vcc_lo, exec_lo, s16
	s_cbranch_vccnz .LBB150_1576
; %bb.1575:
	s_wait_loadcnt 0x0
	v_cndmask_b32_e64 v2, 0, 1.0, s19
	s_delay_alu instid0(VALU_DEP_1) | instskip(NEXT) | instid1(VALU_DEP_1)
	v_cvt_f16_f32_e32 v2, v2
	v_and_b32_e32 v2, 0xffff, v2
	global_store_b32 v[0:1], v2, off
.LBB150_1576:
	s_mov_b32 s16, 0
.LBB150_1577:
	s_delay_alu instid0(SALU_CYCLE_1)
	s_and_not1_b32 vcc_lo, exec_lo, s16
	s_cbranch_vccnz .LBB150_1586
; %bb.1578:
	s_sext_i32_i16 s18, s20
	s_mov_b32 s16, -1
	s_cmp_lt_i32 s18, 6
	s_cbranch_scc1 .LBB150_1584
; %bb.1579:
	s_cmp_gt_i32 s18, 6
	s_cbranch_scc0 .LBB150_1581
; %bb.1580:
	s_wait_loadcnt 0x0
	v_cndmask_b32_e64 v2, 0, 1, s19
	s_mov_b32 s16, 0
	s_delay_alu instid0(VALU_DEP_1)
	v_cvt_f64_u32_e32 v[2:3], v2
	global_store_b64 v[0:1], v[2:3], off
.LBB150_1581:
	s_and_not1_b32 vcc_lo, exec_lo, s16
	s_cbranch_vccnz .LBB150_1583
; %bb.1582:
	s_wait_loadcnt 0x0
	v_cndmask_b32_e64 v2, 0, 1.0, s19
	global_store_b32 v[0:1], v2, off
.LBB150_1583:
	s_mov_b32 s16, 0
.LBB150_1584:
	s_delay_alu instid0(SALU_CYCLE_1)
	s_and_not1_b32 vcc_lo, exec_lo, s16
	s_cbranch_vccnz .LBB150_1586
; %bb.1585:
	s_wait_loadcnt 0x0
	v_cndmask_b32_e64 v2, 0, 1.0, s19
	s_delay_alu instid0(VALU_DEP_1)
	v_cvt_f16_f32_e32 v2, v2
	global_store_b16 v[0:1], v2, off
.LBB150_1586:
	s_mov_b32 s16, 0
.LBB150_1587:
	s_delay_alu instid0(SALU_CYCLE_1)
	s_and_not1_b32 vcc_lo, exec_lo, s16
	s_cbranch_vccnz .LBB150_1603
; %bb.1588:
	s_sext_i32_i16 s18, s20
	s_mov_b32 s16, -1
	s_cmp_lt_i32 s18, 2
	s_cbranch_scc1 .LBB150_1598
; %bb.1589:
	s_cmp_lt_i32 s18, 3
	s_cbranch_scc1 .LBB150_1595
; %bb.1590:
	s_cmp_gt_i32 s18, 3
	s_cbranch_scc0 .LBB150_1592
; %bb.1591:
	s_mov_b32 s16, 0
	s_wait_loadcnt 0x0
	v_cndmask_b32_e64 v2, 0, 1, s19
	v_mov_b32_e32 v3, s16
	global_store_b64 v[0:1], v[2:3], off
.LBB150_1592:
	s_and_not1_b32 vcc_lo, exec_lo, s16
	s_cbranch_vccnz .LBB150_1594
; %bb.1593:
	s_wait_loadcnt 0x0
	v_cndmask_b32_e64 v2, 0, 1, s19
	global_store_b32 v[0:1], v2, off
.LBB150_1594:
	s_mov_b32 s16, 0
.LBB150_1595:
	s_delay_alu instid0(SALU_CYCLE_1)
	s_and_not1_b32 vcc_lo, exec_lo, s16
	s_cbranch_vccnz .LBB150_1597
; %bb.1596:
	s_wait_loadcnt 0x0
	v_cndmask_b32_e64 v2, 0, 1, s19
	global_store_b16 v[0:1], v2, off
.LBB150_1597:
	s_mov_b32 s16, 0
.LBB150_1598:
	s_delay_alu instid0(SALU_CYCLE_1)
	s_and_not1_b32 vcc_lo, exec_lo, s16
	s_cbranch_vccnz .LBB150_1603
; %bb.1599:
	s_wait_loadcnt 0x0
	v_cndmask_b32_e64 v2, 0, 1, s19
	s_sext_i32_i16 s16, s20
	s_delay_alu instid0(SALU_CYCLE_1)
	s_cmp_gt_i32 s16, 0
	s_mov_b32 s16, -1
	s_cbranch_scc0 .LBB150_1601
; %bb.1600:
	s_mov_b32 s16, 0
	global_store_b8 v[0:1], v2, off
.LBB150_1601:
	s_and_not1_b32 vcc_lo, exec_lo, s16
	s_cbranch_vccnz .LBB150_1603
; %bb.1602:
	global_store_b8 v[0:1], v2, off
.LBB150_1603:
	s_wait_xcnt 0x0
	s_or_b32 exec_lo, exec_lo, s0
	s_delay_alu instid0(SALU_CYCLE_1)
	s_and_b32 s16, s17, exec_lo
                                        ; implicit-def: $vgpr6
.LBB150_1604:
	s_or_saveexec_b32 s15, s15
	s_mov_b32 s0, 0
                                        ; implicit-def: $sgpr17
                                        ; implicit-def: $sgpr18
                                        ; implicit-def: $vgpr0_vgpr1
	s_xor_b32 exec_lo, exec_lo, s15
	s_cbranch_execz .LBB150_2706
; %bb.1605:
	v_mul_lo_u32 v0, s9, v6
	s_and_b32 s14, s14, 0xff
	s_delay_alu instid0(SALU_CYCLE_1) | instskip(NEXT) | instid1(VALU_DEP_1)
	s_cmp_lt_i32 s14, 11
	v_ashrrev_i32_e32 v1, 31, v0
	s_wait_loadcnt 0x0
	s_delay_alu instid0(VALU_DEP_1)
	v_add_nc_u64_e32 v[2:3], s[6:7], v[0:1]
	s_cbranch_scc1 .LBB150_1612
; %bb.1606:
	s_and_b32 s0, 0xffff, s14
	s_mov_b32 s17, 0
	s_cmp_gt_i32 s0, 25
	s_cbranch_scc0 .LBB150_1614
; %bb.1607:
	s_cmp_gt_i32 s0, 28
	s_cbranch_scc0 .LBB150_1615
; %bb.1608:
	;; [unrolled: 3-line block ×4, first 2 shown]
	s_cmp_eq_u32 s0, 46
	s_mov_b32 s19, 0
	s_cbranch_scc0 .LBB150_1620
; %bb.1611:
	global_load_b32 v1, v[2:3], off
	s_mov_b32 s18, -1
	s_wait_loadcnt 0x0
	v_lshlrev_b32_e32 v4, 16, v1
	v_and_b32_e32 v5, 0xffff0000, v1
	s_delay_alu instid0(VALU_DEP_2) | instskip(NEXT) | instid1(VALU_DEP_2)
	v_cvt_f16_f32_e32 v1, v4
	v_cvt_f16_f32_e32 v7, v5
	s_branch .LBB150_1622
.LBB150_1612:
	s_mov_b32 s18, 0
	s_mov_b32 s13, s16
                                        ; implicit-def: $vgpr7
                                        ; implicit-def: $vgpr1
	s_cbranch_execnz .LBB150_1688
.LBB150_1613:
	s_and_not1_b32 vcc_lo, exec_lo, s18
	s_cbranch_vccz .LBB150_1735
	s_branch .LBB150_2703
.LBB150_1614:
	s_mov_b32 s18, 0
                                        ; implicit-def: $vgpr7
                                        ; implicit-def: $vgpr1
	s_cbranch_execnz .LBB150_1652
	s_branch .LBB150_1684
.LBB150_1615:
	s_mov_b32 s18, 0
                                        ; implicit-def: $vgpr7
                                        ; implicit-def: $vgpr1
	s_cbranch_execnz .LBB150_1634
	s_branch .LBB150_1651
.LBB150_1616:
	s_mov_b32 s19, -1
	s_mov_b32 s18, 0
                                        ; implicit-def: $vgpr7
                                        ; implicit-def: $vgpr1
	s_branch .LBB150_1628
.LBB150_1617:
	s_mov_b32 s19, -1
	s_branch .LBB150_1621
.LBB150_1618:
	s_and_not1_saveexec_b32 s24, s24
	s_cbranch_execz .LBB150_1517
.LBB150_1619:
	v_add_f32_e32 v2, 0x46000000, v3
	s_and_not1_b32 s23, s23, exec_lo
	s_delay_alu instid0(VALU_DEP_1) | instskip(NEXT) | instid1(VALU_DEP_1)
	v_and_b32_e32 v2, 0xff, v2
	v_cmp_ne_u32_e32 vcc_lo, 0, v2
	s_and_b32 s25, vcc_lo, exec_lo
	s_delay_alu instid0(SALU_CYCLE_1)
	s_or_b32 s23, s23, s25
	s_or_b32 exec_lo, exec_lo, s24
	v_mov_b32_e32 v4, 0
	s_and_saveexec_b32 s24, s23
	s_cbranch_execnz .LBB150_1518
	s_branch .LBB150_1519
.LBB150_1620:
	s_mov_b32 s13, -1
.LBB150_1621:
	s_mov_b32 s18, 0
                                        ; implicit-def: $vgpr7
                                        ; implicit-def: $vgpr1
.LBB150_1622:
	s_and_b32 vcc_lo, exec_lo, s19
	s_cbranch_vccz .LBB150_1627
; %bb.1623:
	s_cmp_eq_u32 s0, 44
	s_cbranch_scc0 .LBB150_1625
; %bb.1624:
	global_load_u8 v1, v[2:3], off
	s_mov_b32 s13, 0
	s_mov_b32 s18, -1
	s_wait_loadcnt 0x0
	v_lshlrev_b32_e32 v4, 23, v1
	v_cmp_ne_u32_e32 vcc_lo, 0xff, v1
	s_delay_alu instid0(VALU_DEP_2) | instskip(NEXT) | instid1(VALU_DEP_1)
	v_cvt_f16_f32_e32 v4, v4
	v_cndmask_b32_e32 v4, 0x7e00, v4, vcc_lo
	v_cmp_ne_u32_e32 vcc_lo, 0, v1
	s_delay_alu instid0(VALU_DEP_2)
	v_cndmask_b32_e32 v1, 0, v4, vcc_lo
	s_branch .LBB150_1626
.LBB150_1625:
	s_mov_b32 s13, -1
                                        ; implicit-def: $vgpr1
.LBB150_1626:
	v_mov_b32_e32 v7, 0
.LBB150_1627:
	s_mov_b32 s19, 0
.LBB150_1628:
	s_delay_alu instid0(SALU_CYCLE_1)
	s_and_b32 vcc_lo, exec_lo, s19
	s_cbranch_vccz .LBB150_1633
; %bb.1629:
	s_cmp_eq_u32 s0, 29
	s_cbranch_scc0 .LBB150_1631
; %bb.1630:
	global_load_b64 v[4:5], v[2:3], off
	s_mov_b32 s13, 0
	s_mov_b32 s18, -1
	s_wait_loadcnt 0x0
	v_clz_i32_u32_e32 v1, v5
	s_delay_alu instid0(VALU_DEP_1) | instskip(NEXT) | instid1(VALU_DEP_1)
	v_min_u32_e32 v1, 32, v1
	v_lshlrev_b64_e32 v[4:5], v1, v[4:5]
	v_sub_nc_u32_e32 v1, 32, v1
	s_delay_alu instid0(VALU_DEP_2) | instskip(NEXT) | instid1(VALU_DEP_1)
	v_min_u32_e32 v4, 1, v4
	v_or_b32_e32 v4, v5, v4
	s_delay_alu instid0(VALU_DEP_1) | instskip(NEXT) | instid1(VALU_DEP_1)
	v_cvt_f32_u32_e32 v4, v4
	v_ldexp_f32 v1, v4, v1
	s_delay_alu instid0(VALU_DEP_1)
	v_cvt_f16_f32_e32 v1, v1
	s_branch .LBB150_1632
.LBB150_1631:
	s_mov_b32 s13, -1
                                        ; implicit-def: $vgpr1
.LBB150_1632:
	v_mov_b32_e32 v7, 0
.LBB150_1633:
	s_branch .LBB150_1651
.LBB150_1634:
	s_cmp_lt_i32 s0, 27
	s_cbranch_scc1 .LBB150_1637
; %bb.1635:
	s_cmp_gt_i32 s0, 27
	s_cbranch_scc0 .LBB150_1638
; %bb.1636:
	global_load_b32 v1, v[2:3], off
	s_mov_b32 s18, 0
	s_wait_loadcnt 0x0
	v_cvt_f32_u32_e32 v1, v1
	s_delay_alu instid0(VALU_DEP_1)
	v_cvt_f16_f32_e32 v1, v1
	s_branch .LBB150_1639
.LBB150_1637:
	s_mov_b32 s18, -1
                                        ; implicit-def: $vgpr1
	s_branch .LBB150_1642
.LBB150_1638:
	s_mov_b32 s18, -1
                                        ; implicit-def: $vgpr1
.LBB150_1639:
	s_delay_alu instid0(SALU_CYCLE_1)
	s_and_not1_b32 vcc_lo, exec_lo, s18
	s_cbranch_vccnz .LBB150_1641
; %bb.1640:
	global_load_u16 v1, v[2:3], off
	s_wait_loadcnt 0x0
	v_cvt_f16_u16_e32 v1, v1
.LBB150_1641:
	s_mov_b32 s18, 0
.LBB150_1642:
	s_delay_alu instid0(SALU_CYCLE_1)
	s_and_not1_b32 vcc_lo, exec_lo, s18
	s_cbranch_vccnz .LBB150_1650
; %bb.1643:
	global_load_u8 v4, v[2:3], off
	s_mov_b32 s18, 0
	s_mov_b32 s19, exec_lo
	s_wait_loadcnt 0x0
	v_cmpx_lt_i16_e32 0x7f, v4
	s_xor_b32 s19, exec_lo, s19
	s_cbranch_execz .LBB150_1663
; %bb.1644:
	s_mov_b32 s18, -1
	s_mov_b32 s20, exec_lo
	v_cmpx_eq_u16_e32 0x80, v4
; %bb.1645:
	s_xor_b32 s18, exec_lo, -1
; %bb.1646:
	s_or_b32 exec_lo, exec_lo, s20
	s_delay_alu instid0(SALU_CYCLE_1)
	s_and_b32 s18, s18, exec_lo
	s_or_saveexec_b32 s19, s19
	v_mov_b32_e32 v1, 0x7e00
	s_xor_b32 exec_lo, exec_lo, s19
	s_cbranch_execnz .LBB150_1664
.LBB150_1647:
	s_or_b32 exec_lo, exec_lo, s19
	s_and_saveexec_b32 s19, s18
	s_cbranch_execz .LBB150_1649
.LBB150_1648:
	v_and_b32_e32 v1, 0xffff, v4
	s_delay_alu instid0(VALU_DEP_1) | instskip(SKIP_1) | instid1(VALU_DEP_2)
	v_and_b32_e32 v5, 7, v1
	v_bfe_u32 v9, v1, 3, 4
	v_clz_i32_u32_e32 v7, v5
	s_delay_alu instid0(VALU_DEP_2) | instskip(NEXT) | instid1(VALU_DEP_2)
	v_cmp_eq_u32_e32 vcc_lo, 0, v9
	v_min_u32_e32 v7, 32, v7
	s_delay_alu instid0(VALU_DEP_1) | instskip(NEXT) | instid1(VALU_DEP_1)
	v_subrev_nc_u32_e32 v8, 28, v7
	v_dual_lshlrev_b32 v1, v8, v1 :: v_dual_sub_nc_u32 v7, 29, v7
	s_delay_alu instid0(VALU_DEP_1) | instskip(NEXT) | instid1(VALU_DEP_2)
	v_dual_lshlrev_b32 v4, 24, v4 :: v_dual_bitop2_b32 v1, 7, v1 bitop3:0x40
	v_cndmask_b32_e32 v7, v9, v7, vcc_lo
	s_delay_alu instid0(VALU_DEP_2) | instskip(NEXT) | instid1(VALU_DEP_3)
	v_cndmask_b32_e32 v1, v5, v1, vcc_lo
	v_and_b32_e32 v4, 0x80000000, v4
	s_delay_alu instid0(VALU_DEP_3) | instskip(NEXT) | instid1(VALU_DEP_3)
	v_lshl_add_u32 v5, v7, 23, 0x3b800000
	v_lshlrev_b32_e32 v1, 20, v1
	s_delay_alu instid0(VALU_DEP_1) | instskip(NEXT) | instid1(VALU_DEP_1)
	v_or3_b32 v1, v4, v5, v1
	v_cvt_f16_f32_e32 v1, v1
.LBB150_1649:
	s_or_b32 exec_lo, exec_lo, s19
.LBB150_1650:
	v_mov_b32_e32 v7, 0
	s_mov_b32 s18, -1
.LBB150_1651:
	s_branch .LBB150_1684
.LBB150_1652:
	s_cmp_gt_i32 s0, 22
	s_cbranch_scc0 .LBB150_1662
; %bb.1653:
	s_cmp_lt_i32 s0, 24
	s_cbranch_scc1 .LBB150_1665
; %bb.1654:
	s_cmp_gt_i32 s0, 24
	s_cbranch_scc0 .LBB150_1666
; %bb.1655:
	global_load_u8 v4, v[2:3], off
	s_mov_b32 s18, exec_lo
	s_wait_loadcnt 0x0
	v_cmpx_lt_i16_e32 0x7f, v4
	s_xor_b32 s18, exec_lo, s18
	s_cbranch_execz .LBB150_1677
; %bb.1656:
	s_mov_b32 s17, -1
	s_mov_b32 s19, exec_lo
	v_cmpx_eq_u16_e32 0x80, v4
; %bb.1657:
	s_xor_b32 s17, exec_lo, -1
; %bb.1658:
	s_or_b32 exec_lo, exec_lo, s19
	s_delay_alu instid0(SALU_CYCLE_1)
	s_and_b32 s17, s17, exec_lo
	s_or_saveexec_b32 s18, s18
	v_mov_b32_e32 v1, 0x7e00
	s_xor_b32 exec_lo, exec_lo, s18
	s_cbranch_execnz .LBB150_1678
.LBB150_1659:
	s_or_b32 exec_lo, exec_lo, s18
	s_and_saveexec_b32 s18, s17
	s_cbranch_execz .LBB150_1661
.LBB150_1660:
	v_and_b32_e32 v1, 0xffff, v4
	s_delay_alu instid0(VALU_DEP_1) | instskip(SKIP_1) | instid1(VALU_DEP_2)
	v_and_b32_e32 v5, 3, v1
	v_bfe_u32 v9, v1, 2, 5
	v_clz_i32_u32_e32 v7, v5
	s_delay_alu instid0(VALU_DEP_2) | instskip(NEXT) | instid1(VALU_DEP_2)
	v_cmp_eq_u32_e32 vcc_lo, 0, v9
	v_min_u32_e32 v7, 32, v7
	s_delay_alu instid0(VALU_DEP_1) | instskip(NEXT) | instid1(VALU_DEP_1)
	v_subrev_nc_u32_e32 v8, 29, v7
	v_dual_lshlrev_b32 v1, v8, v1 :: v_dual_sub_nc_u32 v7, 30, v7
	s_delay_alu instid0(VALU_DEP_1) | instskip(NEXT) | instid1(VALU_DEP_2)
	v_dual_lshlrev_b32 v4, 24, v4 :: v_dual_bitop2_b32 v1, 3, v1 bitop3:0x40
	v_cndmask_b32_e32 v7, v9, v7, vcc_lo
	s_delay_alu instid0(VALU_DEP_2) | instskip(NEXT) | instid1(VALU_DEP_3)
	v_cndmask_b32_e32 v1, v5, v1, vcc_lo
	v_and_b32_e32 v4, 0x80000000, v4
	s_delay_alu instid0(VALU_DEP_3) | instskip(NEXT) | instid1(VALU_DEP_3)
	v_lshl_add_u32 v5, v7, 23, 0x37800000
	v_lshlrev_b32_e32 v1, 21, v1
	s_delay_alu instid0(VALU_DEP_1) | instskip(NEXT) | instid1(VALU_DEP_1)
	v_or3_b32 v1, v4, v5, v1
	v_cvt_f16_f32_e32 v1, v1
.LBB150_1661:
	s_or_b32 exec_lo, exec_lo, s18
	s_mov_b32 s17, 0
	s_branch .LBB150_1667
.LBB150_1662:
                                        ; implicit-def: $vgpr1
	s_mov_b32 s17, 0
	s_branch .LBB150_1673
.LBB150_1663:
	s_or_saveexec_b32 s19, s19
	v_mov_b32_e32 v1, 0x7e00
	s_xor_b32 exec_lo, exec_lo, s19
	s_cbranch_execz .LBB150_1647
.LBB150_1664:
	v_cmp_ne_u16_e32 vcc_lo, 0, v4
	v_mov_b32_e32 v1, v4
	s_and_not1_b32 s18, s18, exec_lo
	s_and_b32 s20, vcc_lo, exec_lo
	s_delay_alu instid0(SALU_CYCLE_1)
	s_or_b32 s18, s18, s20
	s_or_b32 exec_lo, exec_lo, s19
	s_and_saveexec_b32 s19, s18
	s_cbranch_execnz .LBB150_1648
	s_branch .LBB150_1649
.LBB150_1665:
	s_mov_b32 s17, -1
                                        ; implicit-def: $vgpr1
	s_branch .LBB150_1670
.LBB150_1666:
	s_mov_b32 s17, -1
                                        ; implicit-def: $vgpr1
.LBB150_1667:
	s_delay_alu instid0(SALU_CYCLE_1)
	s_and_b32 vcc_lo, exec_lo, s17
	s_cbranch_vccz .LBB150_1669
; %bb.1668:
	global_load_u8 v1, v[2:3], off
	s_wait_loadcnt 0x0
	v_lshlrev_b32_e32 v1, 24, v1
	s_delay_alu instid0(VALU_DEP_1) | instskip(NEXT) | instid1(VALU_DEP_1)
	v_and_b32_e32 v4, 0x7f000000, v1
	v_clz_i32_u32_e32 v5, v4
	v_add_nc_u32_e32 v8, 0x1000000, v4
	v_cmp_ne_u32_e32 vcc_lo, 0, v4
	s_delay_alu instid0(VALU_DEP_3) | instskip(NEXT) | instid1(VALU_DEP_1)
	v_min_u32_e32 v5, 32, v5
	v_sub_nc_u32_e64 v5, v5, 4 clamp
	s_delay_alu instid0(VALU_DEP_1) | instskip(NEXT) | instid1(VALU_DEP_1)
	v_dual_lshlrev_b32 v7, v5, v4 :: v_dual_lshlrev_b32 v5, 23, v5
	v_lshrrev_b32_e32 v7, 4, v7
	s_delay_alu instid0(VALU_DEP_1) | instskip(NEXT) | instid1(VALU_DEP_1)
	v_dual_sub_nc_u32 v5, v7, v5 :: v_dual_ashrrev_i32 v7, 8, v8
	v_add_nc_u32_e32 v5, 0x3c000000, v5
	s_delay_alu instid0(VALU_DEP_1) | instskip(NEXT) | instid1(VALU_DEP_1)
	v_and_or_b32 v5, 0x7f800000, v7, v5
	v_cndmask_b32_e32 v4, 0, v5, vcc_lo
	s_delay_alu instid0(VALU_DEP_1) | instskip(NEXT) | instid1(VALU_DEP_1)
	v_and_or_b32 v1, 0x80000000, v1, v4
	v_cvt_f16_f32_e32 v1, v1
.LBB150_1669:
	s_mov_b32 s17, 0
.LBB150_1670:
	s_delay_alu instid0(SALU_CYCLE_1)
	s_and_not1_b32 vcc_lo, exec_lo, s17
	s_cbranch_vccnz .LBB150_1672
; %bb.1671:
	global_load_u8 v1, v[2:3], off
	s_wait_loadcnt 0x0
	v_lshlrev_b32_e32 v4, 25, v1
	v_lshlrev_b16 v1, 8, v1
	s_delay_alu instid0(VALU_DEP_1) | instskip(SKIP_1) | instid1(VALU_DEP_2)
	v_and_or_b32 v7, 0x7f00, v1, 0.5
	v_bfe_i32 v1, v1, 0, 16
	v_dual_add_f32 v7, -0.5, v7 :: v_dual_lshrrev_b32 v5, 4, v4
	v_cmp_gt_u32_e32 vcc_lo, 0x8000000, v4
	s_delay_alu instid0(VALU_DEP_2) | instskip(NEXT) | instid1(VALU_DEP_1)
	v_or_b32_e32 v5, 0x70000000, v5
	v_mul_f32_e32 v5, 0x7800000, v5
	s_delay_alu instid0(VALU_DEP_1) | instskip(NEXT) | instid1(VALU_DEP_1)
	v_cndmask_b32_e32 v4, v5, v7, vcc_lo
	v_and_or_b32 v1, 0x80000000, v1, v4
	s_delay_alu instid0(VALU_DEP_1)
	v_cvt_f16_f32_e32 v1, v1
.LBB150_1672:
	s_mov_b32 s18, -1
	s_mov_b32 s17, 0
	s_cbranch_execnz .LBB150_1683
.LBB150_1673:
	s_cmp_gt_i32 s0, 14
	s_cbranch_scc0 .LBB150_1676
; %bb.1674:
	s_cmp_eq_u32 s0, 15
	s_cbranch_scc0 .LBB150_1679
; %bb.1675:
	global_load_u16 v1, v[2:3], off
	s_mov_b32 s13, 0
	s_mov_b32 s18, -1
	s_wait_loadcnt 0x0
	v_lshlrev_b32_e32 v1, 16, v1
	s_delay_alu instid0(VALU_DEP_1)
	v_cvt_f16_f32_e32 v1, v1
	s_branch .LBB150_1681
.LBB150_1676:
	s_mov_b32 s17, -1
	s_branch .LBB150_1680
.LBB150_1677:
	s_or_saveexec_b32 s18, s18
	v_mov_b32_e32 v1, 0x7e00
	s_xor_b32 exec_lo, exec_lo, s18
	s_cbranch_execz .LBB150_1659
.LBB150_1678:
	v_cmp_ne_u16_e32 vcc_lo, 0, v4
	v_mov_b32_e32 v1, v4
	s_and_not1_b32 s17, s17, exec_lo
	s_and_b32 s19, vcc_lo, exec_lo
	s_delay_alu instid0(SALU_CYCLE_1)
	s_or_b32 s17, s17, s19
	s_or_b32 exec_lo, exec_lo, s18
	s_and_saveexec_b32 s18, s17
	s_cbranch_execnz .LBB150_1660
	s_branch .LBB150_1661
.LBB150_1679:
	s_mov_b32 s13, -1
.LBB150_1680:
                                        ; implicit-def: $vgpr1
.LBB150_1681:
	s_and_b32 vcc_lo, exec_lo, s17
	s_mov_b32 s17, 0
	s_cbranch_vccz .LBB150_1683
; %bb.1682:
	s_cmp_lg_u32 s0, 11
	s_mov_b32 s17, -1
	s_cselect_b32 s13, -1, 0
.LBB150_1683:
	v_mov_b32_e32 v7, 0
.LBB150_1684:
	s_and_b32 vcc_lo, exec_lo, s13
	s_mov_b32 s13, s16
	s_cbranch_vccnz .LBB150_1747
; %bb.1685:
	s_and_not1_b32 vcc_lo, exec_lo, s17
	s_cbranch_vccnz .LBB150_1687
.LBB150_1686:
	global_load_u8 v1, v[2:3], off
	v_mov_b32_e32 v7, 0
	s_mov_b32 s18, -1
	s_wait_loadcnt 0x0
	v_cmp_ne_u16_e32 vcc_lo, 0, v1
	v_cndmask_b32_e64 v1, 0, 0x3c00, vcc_lo
.LBB150_1687:
	s_branch .LBB150_1613
.LBB150_1688:
	s_and_b32 s0, 0xffff, s14
	s_delay_alu instid0(SALU_CYCLE_1)
	s_cmp_lt_i32 s0, 5
	s_cbranch_scc1 .LBB150_1693
; %bb.1689:
	s_cmp_lt_i32 s0, 8
	s_cbranch_scc1 .LBB150_1695
; %bb.1690:
	;; [unrolled: 3-line block ×3, first 2 shown]
	s_cmp_gt_i32 s0, 9
	s_cbranch_scc0 .LBB150_1697
; %bb.1692:
	global_load_b128 v[8:11], v[2:3], off
	v_mov_b32_e32 v16, 0x7e00
	s_mov_b32 s17, 0
	s_wait_loadcnt 0x0
	v_and_or_b32 v1, 0x1ff, v9, v8
	v_and_or_b32 v7, 0x1ff, v11, v10
	v_dual_lshrrev_b32 v4, 8, v9 :: v_dual_lshrrev_b32 v8, 8, v11
	v_bfe_u32 v5, v9, 20, 11
	s_delay_alu instid0(VALU_DEP_4) | instskip(SKIP_2) | instid1(VALU_DEP_4)
	v_cmp_ne_u32_e32 vcc_lo, 0, v1
	v_bfe_u32 v10, v11, 20, 11
	v_dual_lshrrev_b32 v9, 16, v9 :: v_dual_lshrrev_b32 v11, 16, v11
	v_sub_nc_u32_e32 v12, 0x3f1, v5
	v_cndmask_b32_e64 v1, 0, 1, vcc_lo
	v_cmp_ne_u32_e32 vcc_lo, 0, v7
	s_delay_alu instid0(VALU_DEP_2) | instskip(SKIP_3) | instid1(VALU_DEP_3)
	v_and_or_b32 v1, 0xffe, v4, v1
	v_cndmask_b32_e64 v7, 0, 1, vcc_lo
	v_sub_nc_u32_e32 v4, 0x3f1, v10
	v_add_nc_u32_e32 v10, 0xfffffc10, v10
	v_and_or_b32 v7, 0xffe, v8, v7
	v_med3_i32 v8, v12, 0, 13
	v_or_b32_e32 v12, 0x1000, v1
	v_med3_i32 v4, v4, 0, 13
	s_delay_alu instid0(VALU_DEP_4) | instskip(NEXT) | instid1(VALU_DEP_3)
	v_or_b32_e32 v13, 0x1000, v7
	v_lshrrev_b32_e32 v14, v8, v12
	s_delay_alu instid0(VALU_DEP_1) | instskip(NEXT) | instid1(VALU_DEP_1)
	v_lshlrev_b32_e32 v8, v8, v14
	v_cmp_ne_u32_e32 vcc_lo, v8, v12
	v_cndmask_b32_e64 v8, 0, 1, vcc_lo
	s_delay_alu instid0(VALU_DEP_1) | instskip(NEXT) | instid1(VALU_DEP_1)
	v_dual_lshrrev_b32 v15, v4, v13 :: v_dual_bitop2_b32 v8, v14, v8 bitop3:0x54
	v_lshlrev_b32_e32 v4, v4, v15
	v_add_nc_u32_e32 v5, 0xfffffc10, v5
	s_delay_alu instid0(VALU_DEP_2) | instskip(NEXT) | instid1(VALU_DEP_2)
	v_cmp_ne_u32_e32 vcc_lo, v4, v13
	v_lshl_or_b32 v12, v5, 12, v1
	v_lshl_or_b32 v13, v10, 12, v7
	v_cndmask_b32_e64 v4, 0, 1, vcc_lo
	v_cmp_gt_i32_e32 vcc_lo, 1, v5
	s_delay_alu instid0(VALU_DEP_2) | instskip(SKIP_2) | instid1(VALU_DEP_2)
	v_or_b32_e32 v4, v15, v4
	v_cndmask_b32_e32 v8, v12, v8, vcc_lo
	v_cmp_gt_i32_e32 vcc_lo, 1, v10
	v_and_b32_e32 v12, 7, v8
	s_delay_alu instid0(VALU_DEP_4) | instskip(NEXT) | instid1(VALU_DEP_2)
	v_cndmask_b32_e32 v4, v13, v4, vcc_lo
	v_cmp_lt_i32_e32 vcc_lo, 5, v12
	v_cndmask_b32_e64 v14, 0, 1, vcc_lo
	v_cmp_eq_u32_e32 vcc_lo, 3, v12
	v_cndmask_b32_e64 v12, 0, 1, vcc_lo
	s_delay_alu instid0(VALU_DEP_1) | instskip(SKIP_1) | instid1(VALU_DEP_1)
	v_or_b32_e32 v12, v12, v14
	v_dual_lshrrev_b32 v4, 2, v4 :: v_dual_bitop2_b32 v13, 7, v4 bitop3:0x40
	v_cmp_lt_i32_e32 vcc_lo, 5, v13
	v_cndmask_b32_e64 v15, 0, 1, vcc_lo
	v_cmp_eq_u32_e32 vcc_lo, 3, v13
	v_cndmask_b32_e64 v13, 0, 1, vcc_lo
	v_cmp_ne_u32_e32 vcc_lo, 0, v1
	s_delay_alu instid0(VALU_DEP_2) | instskip(SKIP_2) | instid1(VALU_DEP_3)
	v_dual_lshrrev_b32 v8, 2, v8 :: v_dual_bitop2_b32 v13, v13, v15 bitop3:0x54
	v_cndmask_b32_e32 v1, 0x7c00, v16, vcc_lo
	v_cmp_ne_u32_e32 vcc_lo, 0, v7
	v_add_nc_u32_e32 v4, v4, v13
	s_delay_alu instid0(VALU_DEP_4) | instskip(SKIP_2) | instid1(VALU_DEP_3)
	v_add_nc_u32_e32 v8, v8, v12
	v_cndmask_b32_e32 v7, 0x7c00, v16, vcc_lo
	v_cmp_gt_i32_e32 vcc_lo, 31, v5
	v_cndmask_b32_e32 v8, 0x7c00, v8, vcc_lo
	v_cmp_gt_i32_e32 vcc_lo, 31, v10
	v_cndmask_b32_e32 v4, 0x7c00, v4, vcc_lo
	v_cmp_eq_u32_e32 vcc_lo, 0x40f, v5
	s_delay_alu instid0(VALU_DEP_4) | instskip(SKIP_1) | instid1(VALU_DEP_2)
	v_cndmask_b32_e32 v1, v8, v1, vcc_lo
	v_cmp_eq_u32_e32 vcc_lo, 0x40f, v10
	v_and_or_b32 v1, 0x8000, v9, v1
	v_cndmask_b32_e32 v4, v4, v7, vcc_lo
	s_delay_alu instid0(VALU_DEP_1)
	v_and_or_b32 v7, 0x8000, v11, v4
	s_branch .LBB150_1698
.LBB150_1693:
                                        ; implicit-def: $vgpr7
                                        ; implicit-def: $vgpr1
	s_branch .LBB150_1716
.LBB150_1694:
	s_branch .LBB150_1735
.LBB150_1695:
                                        ; implicit-def: $vgpr7
                                        ; implicit-def: $vgpr1
	s_branch .LBB150_1704
.LBB150_1696:
	s_mov_b32 s17, -1
                                        ; implicit-def: $vgpr7
                                        ; implicit-def: $vgpr1
	s_branch .LBB150_1701
.LBB150_1697:
	s_mov_b32 s17, -1
                                        ; implicit-def: $vgpr7
                                        ; implicit-def: $vgpr1
.LBB150_1698:
	s_delay_alu instid0(SALU_CYCLE_1)
	s_and_not1_b32 vcc_lo, exec_lo, s17
	s_cbranch_vccnz .LBB150_1700
; %bb.1699:
	global_load_b64 v[4:5], v[2:3], off
	s_wait_loadcnt 0x0
	v_cvt_f16_f32_e32 v1, v4
	v_cvt_f16_f32_e32 v7, v5
.LBB150_1700:
	s_mov_b32 s17, 0
.LBB150_1701:
	s_delay_alu instid0(SALU_CYCLE_1)
	s_and_not1_b32 vcc_lo, exec_lo, s17
	s_cbranch_vccnz .LBB150_1703
; %bb.1702:
	global_load_b32 v1, v[2:3], off
	s_wait_loadcnt 0x0
	v_lshrrev_b32_e32 v7, 16, v1
.LBB150_1703:
	s_cbranch_execnz .LBB150_1715
.LBB150_1704:
	s_cmp_lt_i32 s0, 6
	s_cbranch_scc1 .LBB150_1707
; %bb.1705:
	s_cmp_gt_i32 s0, 6
	s_cbranch_scc0 .LBB150_1708
; %bb.1706:
	global_load_b64 v[4:5], v[2:3], off
	s_mov_b32 s17, 0
	s_wait_loadcnt 0x0
	v_and_or_b32 v1, 0x1ff, v5, v4
	v_lshrrev_b32_e32 v4, 8, v5
	v_bfe_u32 v7, v5, 20, 11
	s_delay_alu instid0(VALU_DEP_3) | instskip(NEXT) | instid1(VALU_DEP_2)
	v_cmp_ne_u32_e32 vcc_lo, 0, v1
	v_sub_nc_u32_e32 v8, 0x3f1, v7
	v_cndmask_b32_e64 v1, 0, 1, vcc_lo
	s_delay_alu instid0(VALU_DEP_1) | instskip(NEXT) | instid1(VALU_DEP_3)
	v_and_or_b32 v1, 0xffe, v4, v1
	v_med3_i32 v4, v8, 0, 13
	s_delay_alu instid0(VALU_DEP_2) | instskip(NEXT) | instid1(VALU_DEP_1)
	v_or_b32_e32 v8, 0x1000, v1
	v_lshrrev_b32_e32 v9, v4, v8
	s_delay_alu instid0(VALU_DEP_1) | instskip(NEXT) | instid1(VALU_DEP_1)
	v_lshlrev_b32_e32 v4, v4, v9
	v_cmp_ne_u32_e32 vcc_lo, v4, v8
	v_cndmask_b32_e64 v4, 0, 1, vcc_lo
	s_delay_alu instid0(VALU_DEP_1) | instskip(SKIP_1) | instid1(VALU_DEP_1)
	v_or_b32_e32 v4, v9, v4
	v_add_nc_u32_e32 v7, 0xfffffc10, v7
	v_lshl_or_b32 v8, v7, 12, v1
	v_cmp_gt_i32_e32 vcc_lo, 1, v7
	s_delay_alu instid0(VALU_DEP_2) | instskip(NEXT) | instid1(VALU_DEP_1)
	v_cndmask_b32_e32 v4, v8, v4, vcc_lo
	v_dual_lshrrev_b32 v4, 2, v4 :: v_dual_bitop2_b32 v8, 7, v4 bitop3:0x40
	s_delay_alu instid0(VALU_DEP_1) | instskip(SKIP_4) | instid1(VALU_DEP_2)
	v_cmp_lt_i32_e32 vcc_lo, 5, v8
	v_cndmask_b32_e64 v9, 0, 1, vcc_lo
	v_cmp_eq_u32_e32 vcc_lo, 3, v8
	v_cndmask_b32_e64 v8, 0, 1, vcc_lo
	v_cmp_ne_u32_e32 vcc_lo, 0, v1
	v_or_b32_e32 v8, v8, v9
	s_delay_alu instid0(VALU_DEP_1) | instskip(NEXT) | instid1(VALU_DEP_1)
	v_dual_mov_b32 v9, 0x7e00 :: v_dual_add_nc_u32 v4, v4, v8
	v_cndmask_b32_e32 v1, 0x7c00, v9, vcc_lo
	v_cmp_gt_i32_e32 vcc_lo, 31, v7
	s_delay_alu instid0(VALU_DEP_3) | instskip(SKIP_1) | instid1(VALU_DEP_2)
	v_cndmask_b32_e32 v4, 0x7c00, v4, vcc_lo
	v_cmp_eq_u32_e32 vcc_lo, 0x40f, v7
	v_cndmask_b32_e32 v1, v4, v1, vcc_lo
	v_lshrrev_b32_e32 v4, 16, v5
	s_delay_alu instid0(VALU_DEP_1)
	v_and_or_b32 v1, 0x8000, v4, v1
	s_branch .LBB150_1709
.LBB150_1707:
	s_mov_b32 s17, -1
                                        ; implicit-def: $vgpr1
	s_branch .LBB150_1712
.LBB150_1708:
	s_mov_b32 s17, -1
                                        ; implicit-def: $vgpr1
.LBB150_1709:
	s_delay_alu instid0(SALU_CYCLE_1)
	s_and_not1_b32 vcc_lo, exec_lo, s17
	s_cbranch_vccnz .LBB150_1711
; %bb.1710:
	global_load_b32 v1, v[2:3], off
	s_wait_loadcnt 0x0
	v_cvt_f16_f32_e32 v1, v1
.LBB150_1711:
	s_mov_b32 s17, 0
.LBB150_1712:
	s_delay_alu instid0(SALU_CYCLE_1)
	s_and_not1_b32 vcc_lo, exec_lo, s17
	s_cbranch_vccnz .LBB150_1714
; %bb.1713:
	global_load_u16 v1, v[2:3], off
.LBB150_1714:
	v_mov_b32_e32 v7, 0
.LBB150_1715:
	s_cbranch_execnz .LBB150_1694
.LBB150_1716:
	s_cmp_lt_i32 s0, 2
	s_cbranch_scc1 .LBB150_1720
; %bb.1717:
	s_cmp_lt_i32 s0, 3
	s_cbranch_scc1 .LBB150_1721
; %bb.1718:
	s_cmp_gt_i32 s0, 3
	s_cbranch_scc0 .LBB150_1722
; %bb.1719:
	global_load_b64 v[4:5], v[2:3], off
	s_mov_b32 s17, 0
	s_wait_loadcnt 0x0
	v_xor_b32_e32 v1, v4, v5
	v_cls_i32_e32 v7, v5
	s_delay_alu instid0(VALU_DEP_2) | instskip(NEXT) | instid1(VALU_DEP_1)
	v_ashrrev_i32_e32 v1, 31, v1
	v_add_nc_u32_e32 v1, 32, v1
	s_delay_alu instid0(VALU_DEP_1) | instskip(NEXT) | instid1(VALU_DEP_1)
	v_add_min_u32_e64 v1, v7, -1, v1
	v_lshlrev_b64_e32 v[4:5], v1, v[4:5]
	v_sub_nc_u32_e32 v1, 32, v1
	s_delay_alu instid0(VALU_DEP_2) | instskip(NEXT) | instid1(VALU_DEP_1)
	v_min_u32_e32 v4, 1, v4
	v_or_b32_e32 v4, v5, v4
	s_delay_alu instid0(VALU_DEP_1) | instskip(NEXT) | instid1(VALU_DEP_1)
	v_cvt_f32_i32_e32 v4, v4
	v_ldexp_f32 v1, v4, v1
	s_delay_alu instid0(VALU_DEP_1)
	v_cvt_f16_f32_e32 v1, v1
	s_branch .LBB150_1723
.LBB150_1720:
                                        ; implicit-def: $vgpr1
	s_branch .LBB150_1729
.LBB150_1721:
	s_mov_b32 s17, -1
                                        ; implicit-def: $vgpr1
	s_branch .LBB150_1726
.LBB150_1722:
	s_mov_b32 s17, -1
                                        ; implicit-def: $vgpr1
.LBB150_1723:
	s_delay_alu instid0(SALU_CYCLE_1)
	s_and_not1_b32 vcc_lo, exec_lo, s17
	s_cbranch_vccnz .LBB150_1725
; %bb.1724:
	s_wait_loadcnt 0x0
	global_load_b32 v1, v[2:3], off
	s_wait_loadcnt 0x0
	v_cvt_f32_i32_e32 v1, v1
	s_delay_alu instid0(VALU_DEP_1)
	v_cvt_f16_f32_e32 v1, v1
.LBB150_1725:
	s_mov_b32 s17, 0
.LBB150_1726:
	s_delay_alu instid0(SALU_CYCLE_1)
	s_and_not1_b32 vcc_lo, exec_lo, s17
	s_cbranch_vccnz .LBB150_1728
; %bb.1727:
	s_wait_loadcnt 0x0
	global_load_u16 v1, v[2:3], off
	s_wait_loadcnt 0x0
	v_cvt_f16_i16_e32 v1, v1
.LBB150_1728:
	s_cbranch_execnz .LBB150_1734
.LBB150_1729:
	s_cmp_gt_i32 s0, 0
	s_mov_b32 s0, 0
	s_cbranch_scc0 .LBB150_1731
; %bb.1730:
	s_wait_loadcnt 0x0
	global_load_i8 v1, v[2:3], off
	s_wait_loadcnt 0x0
	v_cvt_f16_i16_e32 v1, v1
	s_branch .LBB150_1732
.LBB150_1731:
	s_mov_b32 s0, -1
                                        ; implicit-def: $vgpr1
.LBB150_1732:
	s_delay_alu instid0(SALU_CYCLE_1)
	s_and_not1_b32 vcc_lo, exec_lo, s0
	s_cbranch_vccnz .LBB150_1734
; %bb.1733:
	s_wait_loadcnt 0x0
	global_load_u8 v1, v[2:3], off
	s_wait_loadcnt 0x0
	v_cvt_f16_u16_e32 v1, v1
.LBB150_1734:
	v_mov_b32_e32 v7, 0
.LBB150_1735:
	s_wait_xcnt 0x0
	v_mul_lo_u32 v2, s10, v6
	s_and_b32 s17, s1, 0xff
	s_delay_alu instid0(SALU_CYCLE_1) | instskip(NEXT) | instid1(VALU_DEP_1)
	s_cmp_lt_i32 s17, 11
	v_ashrrev_i32_e32 v3, 31, v2
	s_delay_alu instid0(VALU_DEP_1)
	v_add_nc_u64_e32 v[4:5], s[2:3], v[2:3]
	s_cbranch_scc1 .LBB150_1742
; %bb.1736:
	s_and_b32 s0, 0xffff, s17
	s_mov_b32 s18, 0
	s_cmp_gt_i32 s0, 25
	s_cbranch_scc0 .LBB150_1744
; %bb.1737:
	s_cmp_gt_i32 s0, 28
	s_cbranch_scc0 .LBB150_1745
; %bb.1738:
	;; [unrolled: 3-line block ×4, first 2 shown]
	s_cmp_eq_u32 s0, 46
	s_mov_b32 s20, 0
	s_cbranch_scc0 .LBB150_1751
; %bb.1741:
	global_load_b32 v3, v[4:5], off
	s_mov_b32 s1, 0
	s_mov_b32 s19, -1
	s_wait_loadcnt 0x0
	v_lshlrev_b32_e32 v8, 16, v3
	v_and_b32_e32 v9, 0xffff0000, v3
	s_delay_alu instid0(VALU_DEP_2) | instskip(NEXT) | instid1(VALU_DEP_2)
	v_cvt_f16_f32_e32 v3, v8
	v_cvt_f16_f32_e32 v8, v9
	s_branch .LBB150_1753
.LBB150_1742:
	s_mov_b32 s19, 0
                                        ; implicit-def: $vgpr8
                                        ; implicit-def: $vgpr3
	s_cbranch_execnz .LBB150_1821
.LBB150_1743:
	s_and_not1_b32 vcc_lo, exec_lo, s19
	s_cbranch_vccnz .LBB150_2703
	s_branch .LBB150_1870
.LBB150_1744:
	s_mov_b32 s19, 0
	s_mov_b32 s1, 0
                                        ; implicit-def: $vgpr8
                                        ; implicit-def: $vgpr3
	s_cbranch_execnz .LBB150_1784
	s_branch .LBB150_1817
.LBB150_1745:
	s_mov_b32 s20, -1
	s_mov_b32 s19, 0
	s_mov_b32 s1, 0
                                        ; implicit-def: $vgpr8
                                        ; implicit-def: $vgpr3
	s_branch .LBB150_1765
.LBB150_1746:
	s_mov_b32 s20, -1
	s_mov_b32 s19, 0
	s_mov_b32 s1, 0
                                        ; implicit-def: $vgpr8
                                        ; implicit-def: $vgpr3
	s_branch .LBB150_1759
.LBB150_1747:
	s_or_b32 s13, s16, exec_lo
	s_trap 2
	s_cbranch_execz .LBB150_1686
	s_branch .LBB150_1687
.LBB150_1748:
	s_mov_b32 s20, -1
	s_mov_b32 s19, 0
	s_mov_b32 s1, 0
	s_branch .LBB150_1752
.LBB150_1749:
	s_and_not1_saveexec_b32 s25, s25
	s_cbranch_execz .LBB150_1529
.LBB150_1750:
	v_add_f32_e32 v2, 0x42800000, v3
	s_and_not1_b32 s24, s24, exec_lo
	s_delay_alu instid0(VALU_DEP_1) | instskip(NEXT) | instid1(VALU_DEP_1)
	v_and_b32_e32 v2, 0xff, v2
	v_cmp_ne_u32_e32 vcc_lo, 0, v2
	s_and_b32 s26, vcc_lo, exec_lo
	s_delay_alu instid0(SALU_CYCLE_1)
	s_or_b32 s24, s24, s26
	s_or_b32 exec_lo, exec_lo, s25
	v_mov_b32_e32 v4, 0
	s_and_saveexec_b32 s25, s24
	s_cbranch_execnz .LBB150_1530
	s_branch .LBB150_1531
.LBB150_1751:
	s_mov_b32 s1, -1
	s_mov_b32 s19, 0
.LBB150_1752:
                                        ; implicit-def: $vgpr8
                                        ; implicit-def: $vgpr3
.LBB150_1753:
	s_and_b32 vcc_lo, exec_lo, s20
	s_cbranch_vccz .LBB150_1758
; %bb.1754:
	s_cmp_eq_u32 s0, 44
	s_cbranch_scc0 .LBB150_1756
; %bb.1755:
	global_load_u8 v3, v[4:5], off
	s_mov_b32 s1, 0
	s_mov_b32 s19, -1
	s_wait_loadcnt 0x0
	v_lshlrev_b32_e32 v8, 23, v3
	v_cmp_ne_u32_e32 vcc_lo, 0xff, v3
	s_delay_alu instid0(VALU_DEP_2) | instskip(NEXT) | instid1(VALU_DEP_1)
	v_cvt_f16_f32_e32 v8, v8
	v_cndmask_b32_e32 v8, 0x7e00, v8, vcc_lo
	v_cmp_ne_u32_e32 vcc_lo, 0, v3
	s_delay_alu instid0(VALU_DEP_2)
	v_cndmask_b32_e32 v3, 0, v8, vcc_lo
	s_branch .LBB150_1757
.LBB150_1756:
	s_mov_b32 s1, -1
                                        ; implicit-def: $vgpr3
.LBB150_1757:
	v_mov_b32_e32 v8, 0
.LBB150_1758:
	s_mov_b32 s20, 0
.LBB150_1759:
	s_delay_alu instid0(SALU_CYCLE_1)
	s_and_b32 vcc_lo, exec_lo, s20
	s_cbranch_vccz .LBB150_1764
; %bb.1760:
	s_cmp_eq_u32 s0, 29
	s_cbranch_scc0 .LBB150_1762
; %bb.1761:
	global_load_b64 v[8:9], v[4:5], off
	s_mov_b32 s1, 0
	s_mov_b32 s19, -1
	s_wait_loadcnt 0x0
	v_clz_i32_u32_e32 v3, v9
	s_delay_alu instid0(VALU_DEP_1) | instskip(NEXT) | instid1(VALU_DEP_1)
	v_min_u32_e32 v3, 32, v3
	v_lshlrev_b64_e32 v[8:9], v3, v[8:9]
	v_sub_nc_u32_e32 v3, 32, v3
	s_delay_alu instid0(VALU_DEP_2) | instskip(NEXT) | instid1(VALU_DEP_1)
	v_min_u32_e32 v8, 1, v8
	v_or_b32_e32 v8, v9, v8
	s_delay_alu instid0(VALU_DEP_1) | instskip(NEXT) | instid1(VALU_DEP_1)
	v_cvt_f32_u32_e32 v8, v8
	v_ldexp_f32 v3, v8, v3
	s_delay_alu instid0(VALU_DEP_1)
	v_cvt_f16_f32_e32 v3, v3
	s_branch .LBB150_1763
.LBB150_1762:
	s_mov_b32 s1, -1
                                        ; implicit-def: $vgpr3
.LBB150_1763:
	v_mov_b32_e32 v8, 0
.LBB150_1764:
	s_mov_b32 s20, 0
.LBB150_1765:
	s_delay_alu instid0(SALU_CYCLE_1)
	s_and_b32 vcc_lo, exec_lo, s20
	s_cbranch_vccz .LBB150_1783
; %bb.1766:
	s_cmp_lt_i32 s0, 27
	s_cbranch_scc1 .LBB150_1769
; %bb.1767:
	s_cmp_gt_i32 s0, 27
	s_cbranch_scc0 .LBB150_1770
; %bb.1768:
	global_load_b32 v3, v[4:5], off
	s_mov_b32 s19, 0
	s_wait_loadcnt 0x0
	v_cvt_f32_u32_e32 v3, v3
	s_delay_alu instid0(VALU_DEP_1)
	v_cvt_f16_f32_e32 v3, v3
	s_branch .LBB150_1771
.LBB150_1769:
	s_mov_b32 s19, -1
                                        ; implicit-def: $vgpr3
	s_branch .LBB150_1774
.LBB150_1770:
	s_mov_b32 s19, -1
                                        ; implicit-def: $vgpr3
.LBB150_1771:
	s_delay_alu instid0(SALU_CYCLE_1)
	s_and_not1_b32 vcc_lo, exec_lo, s19
	s_cbranch_vccnz .LBB150_1773
; %bb.1772:
	global_load_u16 v3, v[4:5], off
	s_wait_loadcnt 0x0
	v_cvt_f16_u16_e32 v3, v3
.LBB150_1773:
	s_mov_b32 s19, 0
.LBB150_1774:
	s_delay_alu instid0(SALU_CYCLE_1)
	s_and_not1_b32 vcc_lo, exec_lo, s19
	s_cbranch_vccnz .LBB150_1782
; %bb.1775:
	global_load_u8 v8, v[4:5], off
	s_mov_b32 s19, 0
	s_mov_b32 s20, exec_lo
	s_wait_loadcnt 0x0
	v_cmpx_lt_i16_e32 0x7f, v8
	s_xor_b32 s20, exec_lo, s20
	s_cbranch_execz .LBB150_1795
; %bb.1776:
	s_mov_b32 s19, -1
	s_mov_b32 s21, exec_lo
	v_cmpx_eq_u16_e32 0x80, v8
; %bb.1777:
	s_xor_b32 s19, exec_lo, -1
; %bb.1778:
	s_or_b32 exec_lo, exec_lo, s21
	s_delay_alu instid0(SALU_CYCLE_1)
	s_and_b32 s19, s19, exec_lo
	s_or_saveexec_b32 s20, s20
	v_mov_b32_e32 v3, 0x7e00
	s_xor_b32 exec_lo, exec_lo, s20
	s_cbranch_execnz .LBB150_1796
.LBB150_1779:
	s_or_b32 exec_lo, exec_lo, s20
	s_and_saveexec_b32 s20, s19
	s_cbranch_execz .LBB150_1781
.LBB150_1780:
	v_and_b32_e32 v3, 0xffff, v8
	s_delay_alu instid0(VALU_DEP_1) | instskip(SKIP_1) | instid1(VALU_DEP_2)
	v_and_b32_e32 v9, 7, v3
	v_bfe_u32 v12, v3, 3, 4
	v_clz_i32_u32_e32 v10, v9
	s_delay_alu instid0(VALU_DEP_2) | instskip(NEXT) | instid1(VALU_DEP_2)
	v_cmp_eq_u32_e32 vcc_lo, 0, v12
	v_min_u32_e32 v10, 32, v10
	s_delay_alu instid0(VALU_DEP_1) | instskip(NEXT) | instid1(VALU_DEP_1)
	v_subrev_nc_u32_e32 v11, 28, v10
	v_dual_lshlrev_b32 v3, v11, v3 :: v_dual_sub_nc_u32 v10, 29, v10
	s_delay_alu instid0(VALU_DEP_1) | instskip(NEXT) | instid1(VALU_DEP_1)
	v_dual_lshlrev_b32 v8, 24, v8 :: v_dual_bitop2_b32 v3, 7, v3 bitop3:0x40
	v_dual_cndmask_b32 v10, v12, v10 :: v_dual_cndmask_b32 v3, v9, v3
	s_delay_alu instid0(VALU_DEP_2) | instskip(NEXT) | instid1(VALU_DEP_2)
	v_and_b32_e32 v8, 0x80000000, v8
	v_lshl_add_u32 v9, v10, 23, 0x3b800000
	s_delay_alu instid0(VALU_DEP_3) | instskip(NEXT) | instid1(VALU_DEP_1)
	v_lshlrev_b32_e32 v3, 20, v3
	v_or3_b32 v3, v8, v9, v3
	s_delay_alu instid0(VALU_DEP_1)
	v_cvt_f16_f32_e32 v3, v3
.LBB150_1781:
	s_or_b32 exec_lo, exec_lo, s20
.LBB150_1782:
	v_mov_b32_e32 v8, 0
	s_mov_b32 s19, -1
.LBB150_1783:
	s_branch .LBB150_1817
.LBB150_1784:
	s_cmp_gt_i32 s0, 22
	s_cbranch_scc0 .LBB150_1794
; %bb.1785:
	s_cmp_lt_i32 s0, 24
	s_cbranch_scc1 .LBB150_1797
; %bb.1786:
	s_cmp_gt_i32 s0, 24
	s_cbranch_scc0 .LBB150_1798
; %bb.1787:
	global_load_u8 v8, v[4:5], off
	s_mov_b32 s19, exec_lo
	s_wait_loadcnt 0x0
	v_cmpx_lt_i16_e32 0x7f, v8
	s_xor_b32 s19, exec_lo, s19
	s_cbranch_execz .LBB150_1810
; %bb.1788:
	s_mov_b32 s18, -1
	s_mov_b32 s20, exec_lo
	v_cmpx_eq_u16_e32 0x80, v8
; %bb.1789:
	s_xor_b32 s18, exec_lo, -1
; %bb.1790:
	s_or_b32 exec_lo, exec_lo, s20
	s_delay_alu instid0(SALU_CYCLE_1)
	s_and_b32 s18, s18, exec_lo
	s_or_saveexec_b32 s19, s19
	v_mov_b32_e32 v3, 0x7e00
	s_xor_b32 exec_lo, exec_lo, s19
	s_cbranch_execnz .LBB150_1811
.LBB150_1791:
	s_or_b32 exec_lo, exec_lo, s19
	s_and_saveexec_b32 s19, s18
	s_cbranch_execz .LBB150_1793
.LBB150_1792:
	v_and_b32_e32 v3, 0xffff, v8
	s_delay_alu instid0(VALU_DEP_1) | instskip(SKIP_1) | instid1(VALU_DEP_2)
	v_and_b32_e32 v9, 3, v3
	v_bfe_u32 v12, v3, 2, 5
	v_clz_i32_u32_e32 v10, v9
	s_delay_alu instid0(VALU_DEP_2) | instskip(NEXT) | instid1(VALU_DEP_2)
	v_cmp_eq_u32_e32 vcc_lo, 0, v12
	v_min_u32_e32 v10, 32, v10
	s_delay_alu instid0(VALU_DEP_1) | instskip(NEXT) | instid1(VALU_DEP_1)
	v_subrev_nc_u32_e32 v11, 29, v10
	v_dual_lshlrev_b32 v3, v11, v3 :: v_dual_sub_nc_u32 v10, 30, v10
	s_delay_alu instid0(VALU_DEP_1) | instskip(NEXT) | instid1(VALU_DEP_1)
	v_dual_lshlrev_b32 v8, 24, v8 :: v_dual_bitop2_b32 v3, 3, v3 bitop3:0x40
	v_dual_cndmask_b32 v10, v12, v10 :: v_dual_cndmask_b32 v3, v9, v3
	s_delay_alu instid0(VALU_DEP_2) | instskip(NEXT) | instid1(VALU_DEP_2)
	v_and_b32_e32 v8, 0x80000000, v8
	v_lshl_add_u32 v9, v10, 23, 0x37800000
	s_delay_alu instid0(VALU_DEP_3) | instskip(NEXT) | instid1(VALU_DEP_1)
	v_lshlrev_b32_e32 v3, 21, v3
	v_or3_b32 v3, v8, v9, v3
	s_delay_alu instid0(VALU_DEP_1)
	v_cvt_f16_f32_e32 v3, v3
.LBB150_1793:
	s_or_b32 exec_lo, exec_lo, s19
	s_mov_b32 s18, 0
	s_branch .LBB150_1799
.LBB150_1794:
	s_mov_b32 s18, -1
                                        ; implicit-def: $vgpr3
	s_branch .LBB150_1805
.LBB150_1795:
	s_or_saveexec_b32 s20, s20
	v_mov_b32_e32 v3, 0x7e00
	s_xor_b32 exec_lo, exec_lo, s20
	s_cbranch_execz .LBB150_1779
.LBB150_1796:
	v_cmp_ne_u16_e32 vcc_lo, 0, v8
	v_mov_b32_e32 v3, v8
	s_and_not1_b32 s19, s19, exec_lo
	s_and_b32 s21, vcc_lo, exec_lo
	s_delay_alu instid0(SALU_CYCLE_1)
	s_or_b32 s19, s19, s21
	s_or_b32 exec_lo, exec_lo, s20
	s_and_saveexec_b32 s20, s19
	s_cbranch_execnz .LBB150_1780
	s_branch .LBB150_1781
.LBB150_1797:
	s_mov_b32 s18, -1
                                        ; implicit-def: $vgpr3
	s_branch .LBB150_1802
.LBB150_1798:
	s_mov_b32 s18, -1
                                        ; implicit-def: $vgpr3
.LBB150_1799:
	s_delay_alu instid0(SALU_CYCLE_1)
	s_and_b32 vcc_lo, exec_lo, s18
	s_cbranch_vccz .LBB150_1801
; %bb.1800:
	global_load_u8 v3, v[4:5], off
	s_wait_loadcnt 0x0
	v_lshlrev_b32_e32 v3, 24, v3
	s_delay_alu instid0(VALU_DEP_1) | instskip(NEXT) | instid1(VALU_DEP_1)
	v_and_b32_e32 v8, 0x7f000000, v3
	v_clz_i32_u32_e32 v9, v8
	v_cmp_ne_u32_e32 vcc_lo, 0, v8
	v_add_nc_u32_e32 v11, 0x1000000, v8
	s_delay_alu instid0(VALU_DEP_3) | instskip(NEXT) | instid1(VALU_DEP_1)
	v_min_u32_e32 v9, 32, v9
	v_sub_nc_u32_e64 v9, v9, 4 clamp
	s_delay_alu instid0(VALU_DEP_1) | instskip(NEXT) | instid1(VALU_DEP_1)
	v_dual_lshlrev_b32 v10, v9, v8 :: v_dual_lshlrev_b32 v9, 23, v9
	v_lshrrev_b32_e32 v10, 4, v10
	s_delay_alu instid0(VALU_DEP_1) | instskip(NEXT) | instid1(VALU_DEP_1)
	v_dual_sub_nc_u32 v9, v10, v9 :: v_dual_ashrrev_i32 v10, 8, v11
	v_add_nc_u32_e32 v9, 0x3c000000, v9
	s_delay_alu instid0(VALU_DEP_1) | instskip(NEXT) | instid1(VALU_DEP_1)
	v_and_or_b32 v9, 0x7f800000, v10, v9
	v_cndmask_b32_e32 v8, 0, v9, vcc_lo
	s_delay_alu instid0(VALU_DEP_1) | instskip(NEXT) | instid1(VALU_DEP_1)
	v_and_or_b32 v3, 0x80000000, v3, v8
	v_cvt_f16_f32_e32 v3, v3
.LBB150_1801:
	s_mov_b32 s18, 0
.LBB150_1802:
	s_delay_alu instid0(SALU_CYCLE_1)
	s_and_not1_b32 vcc_lo, exec_lo, s18
	s_cbranch_vccnz .LBB150_1804
; %bb.1803:
	global_load_u8 v3, v[4:5], off
	s_wait_loadcnt 0x0
	v_lshlrev_b32_e32 v8, 25, v3
	v_lshlrev_b16 v3, 8, v3
	s_delay_alu instid0(VALU_DEP_1) | instskip(SKIP_1) | instid1(VALU_DEP_2)
	v_and_or_b32 v10, 0x7f00, v3, 0.5
	v_bfe_i32 v3, v3, 0, 16
	v_dual_add_f32 v10, -0.5, v10 :: v_dual_lshrrev_b32 v9, 4, v8
	v_cmp_gt_u32_e32 vcc_lo, 0x8000000, v8
	s_delay_alu instid0(VALU_DEP_2) | instskip(NEXT) | instid1(VALU_DEP_1)
	v_or_b32_e32 v9, 0x70000000, v9
	v_mul_f32_e32 v9, 0x7800000, v9
	s_delay_alu instid0(VALU_DEP_1) | instskip(NEXT) | instid1(VALU_DEP_1)
	v_cndmask_b32_e32 v8, v9, v10, vcc_lo
	v_and_or_b32 v3, 0x80000000, v3, v8
	s_delay_alu instid0(VALU_DEP_1)
	v_cvt_f16_f32_e32 v3, v3
.LBB150_1804:
	s_mov_b32 s18, 0
	s_mov_b32 s19, -1
.LBB150_1805:
	s_and_not1_b32 vcc_lo, exec_lo, s18
	s_mov_b32 s18, 0
	s_cbranch_vccnz .LBB150_1816
; %bb.1806:
	s_cmp_gt_i32 s0, 14
	s_cbranch_scc0 .LBB150_1809
; %bb.1807:
	s_cmp_eq_u32 s0, 15
	s_cbranch_scc0 .LBB150_1812
; %bb.1808:
	global_load_u16 v3, v[4:5], off
	s_mov_b32 s1, 0
	s_mov_b32 s19, -1
	s_wait_loadcnt 0x0
	v_lshlrev_b32_e32 v3, 16, v3
	s_delay_alu instid0(VALU_DEP_1)
	v_cvt_f16_f32_e32 v3, v3
	s_branch .LBB150_1814
.LBB150_1809:
	s_mov_b32 s18, -1
	s_branch .LBB150_1813
.LBB150_1810:
	s_or_saveexec_b32 s19, s19
	v_mov_b32_e32 v3, 0x7e00
	s_xor_b32 exec_lo, exec_lo, s19
	s_cbranch_execz .LBB150_1791
.LBB150_1811:
	v_cmp_ne_u16_e32 vcc_lo, 0, v8
	v_mov_b32_e32 v3, v8
	s_and_not1_b32 s18, s18, exec_lo
	s_and_b32 s20, vcc_lo, exec_lo
	s_delay_alu instid0(SALU_CYCLE_1)
	s_or_b32 s18, s18, s20
	s_or_b32 exec_lo, exec_lo, s19
	s_and_saveexec_b32 s19, s18
	s_cbranch_execnz .LBB150_1792
	s_branch .LBB150_1793
.LBB150_1812:
	s_mov_b32 s1, -1
.LBB150_1813:
                                        ; implicit-def: $vgpr3
.LBB150_1814:
	s_and_b32 vcc_lo, exec_lo, s18
	s_mov_b32 s18, 0
	s_cbranch_vccz .LBB150_1816
; %bb.1815:
	s_cmp_lg_u32 s0, 11
	s_mov_b32 s18, -1
	s_cselect_b32 s1, -1, 0
.LBB150_1816:
	v_mov_b32_e32 v8, 0
.LBB150_1817:
	s_and_b32 vcc_lo, exec_lo, s1
	s_cbranch_vccnz .LBB150_1898
; %bb.1818:
	s_and_not1_b32 vcc_lo, exec_lo, s18
	s_cbranch_vccnz .LBB150_1820
.LBB150_1819:
	global_load_u8 v3, v[4:5], off
	v_mov_b32_e32 v8, 0
	s_mov_b32 s19, -1
	s_wait_loadcnt 0x0
	v_cmp_ne_u16_e32 vcc_lo, 0, v3
	v_cndmask_b32_e64 v3, 0, 0x3c00, vcc_lo
.LBB150_1820:
	s_branch .LBB150_1743
.LBB150_1821:
	s_and_b32 s0, 0xffff, s17
	s_delay_alu instid0(SALU_CYCLE_1)
	s_cmp_lt_i32 s0, 5
	s_cbranch_scc1 .LBB150_1826
; %bb.1822:
	s_cmp_lt_i32 s0, 8
	s_cbranch_scc1 .LBB150_1828
; %bb.1823:
	;; [unrolled: 3-line block ×3, first 2 shown]
	s_cmp_gt_i32 s0, 9
	s_cbranch_scc0 .LBB150_1830
; %bb.1825:
	global_load_b128 v[8:11], v[4:5], off
	s_mov_b32 s1, 0
	s_wait_loadcnt 0x0
	v_and_or_b32 v3, 0x1ff, v9, v8
	v_and_or_b32 v10, 0x1ff, v11, v10
	v_dual_lshrrev_b32 v8, 8, v9 :: v_dual_lshrrev_b32 v13, 8, v11
	v_bfe_u32 v12, v9, 20, 11
	s_delay_alu instid0(VALU_DEP_4) | instskip(SKIP_2) | instid1(VALU_DEP_4)
	v_cmp_ne_u32_e32 vcc_lo, 0, v3
	v_bfe_u32 v14, v11, 20, 11
	v_dual_lshrrev_b32 v9, 16, v9 :: v_dual_lshrrev_b32 v11, 16, v11
	v_sub_nc_u32_e32 v15, 0x3f1, v12
	v_cndmask_b32_e64 v3, 0, 1, vcc_lo
	v_cmp_ne_u32_e32 vcc_lo, 0, v10
	v_add_nc_u32_e32 v12, 0xfffffc10, v12
	s_delay_alu instid0(VALU_DEP_3) | instskip(SKIP_1) | instid1(VALU_DEP_1)
	v_and_or_b32 v3, 0xffe, v8, v3
	v_cndmask_b32_e64 v10, 0, 1, vcc_lo
	v_and_or_b32 v10, 0xffe, v13, v10
	v_med3_i32 v13, v15, 0, 13
	s_delay_alu instid0(VALU_DEP_4) | instskip(NEXT) | instid1(VALU_DEP_3)
	v_or_b32_e32 v15, 0x1000, v3
	v_or_b32_e32 v16, 0x1000, v10
	s_delay_alu instid0(VALU_DEP_2) | instskip(NEXT) | instid1(VALU_DEP_1)
	v_lshrrev_b32_e32 v17, v13, v15
	v_lshlrev_b32_e32 v13, v13, v17
	s_delay_alu instid0(VALU_DEP_1) | instskip(SKIP_2) | instid1(VALU_DEP_1)
	v_cmp_ne_u32_e32 vcc_lo, v13, v15
	v_lshl_or_b32 v15, v12, 12, v3
	v_cndmask_b32_e64 v13, 0, 1, vcc_lo
	v_or_b32_e32 v13, v17, v13
	v_sub_nc_u32_e32 v8, 0x3f1, v14
	v_add_nc_u32_e32 v14, 0xfffffc10, v14
	s_delay_alu instid0(VALU_DEP_2) | instskip(NEXT) | instid1(VALU_DEP_1)
	v_med3_i32 v8, v8, 0, 13
	v_lshrrev_b32_e32 v18, v8, v16
	s_delay_alu instid0(VALU_DEP_1) | instskip(NEXT) | instid1(VALU_DEP_1)
	v_lshlrev_b32_e32 v8, v8, v18
	v_cmp_ne_u32_e32 vcc_lo, v8, v16
	v_lshl_or_b32 v16, v14, 12, v10
	v_cndmask_b32_e64 v8, 0, 1, vcc_lo
	v_cmp_gt_i32_e32 vcc_lo, 1, v12
	s_delay_alu instid0(VALU_DEP_2) | instskip(SKIP_1) | instid1(VALU_DEP_2)
	v_dual_cndmask_b32 v13, v15, v13, vcc_lo :: v_dual_bitop2_b32 v8, v18, v8 bitop3:0x54
	v_cmp_gt_i32_e32 vcc_lo, 1, v14
	v_dual_lshrrev_b32 v13, 2, v13 :: v_dual_bitop2_b32 v15, 7, v13 bitop3:0x40
	s_delay_alu instid0(VALU_DEP_3) | instskip(NEXT) | instid1(VALU_DEP_1)
	v_cndmask_b32_e32 v8, v16, v8, vcc_lo
	v_dual_lshrrev_b32 v8, 2, v8 :: v_dual_bitop2_b32 v16, 7, v8 bitop3:0x40
	s_delay_alu instid0(VALU_DEP_3) | instskip(SKIP_4) | instid1(VALU_DEP_2)
	v_cmp_lt_i32_e32 vcc_lo, 5, v15
	v_cndmask_b32_e64 v17, 0, 1, vcc_lo
	v_cmp_eq_u32_e32 vcc_lo, 3, v15
	v_cndmask_b32_e64 v15, 0, 1, vcc_lo
	v_cmp_lt_i32_e32 vcc_lo, 5, v16
	v_or_b32_e32 v15, v15, v17
	v_cndmask_b32_e64 v18, 0, 1, vcc_lo
	v_cmp_eq_u32_e32 vcc_lo, 3, v16
	s_delay_alu instid0(VALU_DEP_3) | instskip(SKIP_2) | instid1(VALU_DEP_2)
	v_add_nc_u32_e32 v13, v13, v15
	v_cndmask_b32_e64 v16, 0, 1, vcc_lo
	v_cmp_ne_u32_e32 vcc_lo, 0, v3
	v_or_b32_e32 v16, v16, v18
	s_delay_alu instid0(VALU_DEP_1) | instskip(NEXT) | instid1(VALU_DEP_1)
	v_dual_mov_b32 v19, 0x7e00 :: v_dual_add_nc_u32 v8, v8, v16
	v_cndmask_b32_e32 v3, 0x7c00, v19, vcc_lo
	v_cmp_ne_u32_e32 vcc_lo, 0, v10
	v_cndmask_b32_e32 v10, 0x7c00, v19, vcc_lo
	v_cmp_gt_i32_e32 vcc_lo, 31, v12
	v_cndmask_b32_e32 v13, 0x7c00, v13, vcc_lo
	v_cmp_gt_i32_e32 vcc_lo, 31, v14
	v_cndmask_b32_e32 v8, 0x7c00, v8, vcc_lo
	v_cmp_eq_u32_e32 vcc_lo, 0x40f, v12
	s_delay_alu instid0(VALU_DEP_4) | instskip(SKIP_1) | instid1(VALU_DEP_2)
	v_cndmask_b32_e32 v3, v13, v3, vcc_lo
	v_cmp_eq_u32_e32 vcc_lo, 0x40f, v14
	v_and_or_b32 v3, 0x8000, v9, v3
	v_cndmask_b32_e32 v8, v8, v10, vcc_lo
	s_delay_alu instid0(VALU_DEP_1)
	v_and_or_b32 v8, 0x8000, v11, v8
	s_branch .LBB150_1831
.LBB150_1826:
                                        ; implicit-def: $vgpr8
                                        ; implicit-def: $vgpr3
	s_branch .LBB150_1850
.LBB150_1827:
	s_branch .LBB150_1870
.LBB150_1828:
	s_mov_b32 s1, -1
                                        ; implicit-def: $vgpr8
                                        ; implicit-def: $vgpr3
	s_branch .LBB150_1837
.LBB150_1829:
	s_mov_b32 s1, -1
                                        ; implicit-def: $vgpr8
                                        ; implicit-def: $vgpr3
	s_branch .LBB150_1834
.LBB150_1830:
	s_mov_b32 s1, -1
                                        ; implicit-def: $vgpr8
                                        ; implicit-def: $vgpr3
.LBB150_1831:
	s_delay_alu instid0(SALU_CYCLE_1)
	s_and_not1_b32 vcc_lo, exec_lo, s1
	s_cbranch_vccnz .LBB150_1833
; %bb.1832:
	global_load_b64 v[8:9], v[4:5], off
	s_wait_loadcnt 0x0
	v_cvt_f16_f32_e32 v3, v8
	v_cvt_f16_f32_e32 v8, v9
.LBB150_1833:
	s_mov_b32 s1, 0
.LBB150_1834:
	s_delay_alu instid0(SALU_CYCLE_1)
	s_and_not1_b32 vcc_lo, exec_lo, s1
	s_cbranch_vccnz .LBB150_1836
; %bb.1835:
	global_load_b32 v3, v[4:5], off
	s_wait_loadcnt 0x0
	v_lshrrev_b32_e32 v8, 16, v3
.LBB150_1836:
	s_mov_b32 s1, 0
.LBB150_1837:
	s_delay_alu instid0(SALU_CYCLE_1)
	s_and_not1_b32 vcc_lo, exec_lo, s1
	s_cbranch_vccnz .LBB150_1849
; %bb.1838:
	s_cmp_lt_i32 s0, 6
	s_cbranch_scc1 .LBB150_1841
; %bb.1839:
	s_cmp_gt_i32 s0, 6
	s_cbranch_scc0 .LBB150_1842
; %bb.1840:
	global_load_b64 v[8:9], v[4:5], off
	s_mov_b32 s1, 0
	s_wait_loadcnt 0x0
	v_and_or_b32 v3, 0x1ff, v9, v8
	v_lshrrev_b32_e32 v8, 8, v9
	v_bfe_u32 v10, v9, 20, 11
	s_delay_alu instid0(VALU_DEP_3) | instskip(NEXT) | instid1(VALU_DEP_2)
	v_cmp_ne_u32_e32 vcc_lo, 0, v3
	v_sub_nc_u32_e32 v11, 0x3f1, v10
	v_add_nc_u32_e32 v10, 0xfffffc10, v10
	v_cndmask_b32_e64 v3, 0, 1, vcc_lo
	s_delay_alu instid0(VALU_DEP_1) | instskip(NEXT) | instid1(VALU_DEP_4)
	v_and_or_b32 v3, 0xffe, v8, v3
	v_med3_i32 v8, v11, 0, 13
	s_delay_alu instid0(VALU_DEP_2) | instskip(NEXT) | instid1(VALU_DEP_1)
	v_or_b32_e32 v11, 0x1000, v3
	v_lshrrev_b32_e32 v12, v8, v11
	s_delay_alu instid0(VALU_DEP_1) | instskip(NEXT) | instid1(VALU_DEP_1)
	v_lshlrev_b32_e32 v8, v8, v12
	v_cmp_ne_u32_e32 vcc_lo, v8, v11
	v_lshl_or_b32 v11, v10, 12, v3
	v_cndmask_b32_e64 v8, 0, 1, vcc_lo
	v_cmp_gt_i32_e32 vcc_lo, 1, v10
	s_delay_alu instid0(VALU_DEP_2) | instskip(NEXT) | instid1(VALU_DEP_1)
	v_or_b32_e32 v8, v12, v8
	v_cndmask_b32_e32 v8, v11, v8, vcc_lo
	s_delay_alu instid0(VALU_DEP_1) | instskip(NEXT) | instid1(VALU_DEP_1)
	v_dual_lshrrev_b32 v8, 2, v8 :: v_dual_bitop2_b32 v11, 7, v8 bitop3:0x40
	v_cmp_lt_i32_e32 vcc_lo, 5, v11
	v_cndmask_b32_e64 v12, 0, 1, vcc_lo
	v_cmp_eq_u32_e32 vcc_lo, 3, v11
	v_cndmask_b32_e64 v11, 0, 1, vcc_lo
	v_cmp_ne_u32_e32 vcc_lo, 0, v3
	s_delay_alu instid0(VALU_DEP_2) | instskip(SKIP_1) | instid1(VALU_DEP_1)
	v_or_b32_e32 v11, v11, v12
	v_mov_b32_e32 v12, 0x7e00
	v_dual_cndmask_b32 v3, 0x7c00, v12 :: v_dual_add_nc_u32 v8, v8, v11
	v_cmp_gt_i32_e32 vcc_lo, 31, v10
	s_delay_alu instid0(VALU_DEP_2) | instskip(SKIP_1) | instid1(VALU_DEP_2)
	v_cndmask_b32_e32 v8, 0x7c00, v8, vcc_lo
	v_cmp_eq_u32_e32 vcc_lo, 0x40f, v10
	v_dual_cndmask_b32 v3, v8, v3 :: v_dual_lshrrev_b32 v8, 16, v9
	s_delay_alu instid0(VALU_DEP_1)
	v_and_or_b32 v3, 0x8000, v8, v3
	s_branch .LBB150_1843
.LBB150_1841:
	s_mov_b32 s1, -1
                                        ; implicit-def: $vgpr3
	s_branch .LBB150_1846
.LBB150_1842:
	s_mov_b32 s1, -1
                                        ; implicit-def: $vgpr3
.LBB150_1843:
	s_delay_alu instid0(SALU_CYCLE_1)
	s_and_not1_b32 vcc_lo, exec_lo, s1
	s_cbranch_vccnz .LBB150_1845
; %bb.1844:
	global_load_b32 v3, v[4:5], off
	s_wait_loadcnt 0x0
	v_cvt_f16_f32_e32 v3, v3
.LBB150_1845:
	s_mov_b32 s1, 0
.LBB150_1846:
	s_delay_alu instid0(SALU_CYCLE_1)
	s_and_not1_b32 vcc_lo, exec_lo, s1
	s_cbranch_vccnz .LBB150_1848
; %bb.1847:
	global_load_u16 v3, v[4:5], off
.LBB150_1848:
	v_mov_b32_e32 v8, 0
.LBB150_1849:
	s_cbranch_execnz .LBB150_1827
.LBB150_1850:
	s_cmp_lt_i32 s0, 2
	s_cbranch_scc1 .LBB150_1854
; %bb.1851:
	s_cmp_lt_i32 s0, 3
	s_cbranch_scc1 .LBB150_1855
; %bb.1852:
	s_cmp_gt_i32 s0, 3
	s_cbranch_scc0 .LBB150_1856
; %bb.1853:
	global_load_b64 v[8:9], v[4:5], off
	s_mov_b32 s1, 0
	s_wait_loadcnt 0x0
	v_xor_b32_e32 v3, v8, v9
	v_cls_i32_e32 v10, v9
	s_delay_alu instid0(VALU_DEP_2) | instskip(NEXT) | instid1(VALU_DEP_1)
	v_ashrrev_i32_e32 v3, 31, v3
	v_add_nc_u32_e32 v3, 32, v3
	s_delay_alu instid0(VALU_DEP_1) | instskip(NEXT) | instid1(VALU_DEP_1)
	v_add_min_u32_e64 v3, v10, -1, v3
	v_lshlrev_b64_e32 v[8:9], v3, v[8:9]
	v_sub_nc_u32_e32 v3, 32, v3
	s_delay_alu instid0(VALU_DEP_2) | instskip(NEXT) | instid1(VALU_DEP_1)
	v_min_u32_e32 v8, 1, v8
	v_or_b32_e32 v8, v9, v8
	s_delay_alu instid0(VALU_DEP_1) | instskip(NEXT) | instid1(VALU_DEP_1)
	v_cvt_f32_i32_e32 v8, v8
	v_ldexp_f32 v3, v8, v3
	s_delay_alu instid0(VALU_DEP_1)
	v_cvt_f16_f32_e32 v3, v3
	s_branch .LBB150_1857
.LBB150_1854:
	s_mov_b32 s1, -1
                                        ; implicit-def: $vgpr3
	s_branch .LBB150_1863
.LBB150_1855:
	s_mov_b32 s1, -1
                                        ; implicit-def: $vgpr3
	s_branch .LBB150_1860
.LBB150_1856:
	s_mov_b32 s1, -1
                                        ; implicit-def: $vgpr3
.LBB150_1857:
	s_delay_alu instid0(SALU_CYCLE_1)
	s_and_not1_b32 vcc_lo, exec_lo, s1
	s_cbranch_vccnz .LBB150_1859
; %bb.1858:
	s_wait_loadcnt 0x0
	global_load_b32 v3, v[4:5], off
	s_wait_loadcnt 0x0
	v_cvt_f32_i32_e32 v3, v3
	s_delay_alu instid0(VALU_DEP_1)
	v_cvt_f16_f32_e32 v3, v3
.LBB150_1859:
	s_mov_b32 s1, 0
.LBB150_1860:
	s_delay_alu instid0(SALU_CYCLE_1)
	s_and_not1_b32 vcc_lo, exec_lo, s1
	s_cbranch_vccnz .LBB150_1862
; %bb.1861:
	s_wait_loadcnt 0x0
	global_load_u16 v3, v[4:5], off
	s_wait_loadcnt 0x0
	v_cvt_f16_i16_e32 v3, v3
.LBB150_1862:
	s_mov_b32 s1, 0
.LBB150_1863:
	s_delay_alu instid0(SALU_CYCLE_1)
	s_and_not1_b32 vcc_lo, exec_lo, s1
	s_cbranch_vccnz .LBB150_1869
; %bb.1864:
	s_cmp_gt_i32 s0, 0
	s_mov_b32 s0, 0
	s_cbranch_scc0 .LBB150_1866
; %bb.1865:
	s_wait_loadcnt 0x0
	global_load_i8 v3, v[4:5], off
	s_wait_loadcnt 0x0
	v_cvt_f16_i16_e32 v3, v3
	s_branch .LBB150_1867
.LBB150_1866:
	s_mov_b32 s0, -1
                                        ; implicit-def: $vgpr3
.LBB150_1867:
	s_delay_alu instid0(SALU_CYCLE_1)
	s_and_not1_b32 vcc_lo, exec_lo, s0
	s_cbranch_vccnz .LBB150_1869
; %bb.1868:
	s_wait_loadcnt 0x0
	global_load_u8 v3, v[4:5], off
	s_wait_loadcnt 0x0
	v_cvt_f16_u16_e32 v3, v3
.LBB150_1869:
	v_mov_b32_e32 v8, 0
.LBB150_1870:
	s_cmp_lg_u32 s11, 0
	s_mov_b32 s18, 0
	s_cselect_b32 s11, -1, 0
	s_delay_alu instid0(SALU_CYCLE_1)
	s_and_b32 vcc_lo, exec_lo, s11
	s_cbranch_vccz .LBB150_1882
; %bb.1871:
	s_wait_loadcnt 0x0
	v_cmp_neq_f16_e32 vcc_lo, v1, v3
	v_cmp_neq_f16_e64 s0, v7, v8
	s_or_b32 s1, vcc_lo, s0
	s_and_not1_b32 vcc_lo, exec_lo, s18
	s_cbranch_vccnz .LBB150_1873
.LBB150_1872:
	s_wait_loadcnt 0x0
	v_cmp_eq_f16_e32 vcc_lo, v1, v3
	v_cmp_eq_f16_e64 s0, v7, v8
	s_and_not1_b32 s1, s1, exec_lo
	s_and_b32 s0, vcc_lo, s0
	s_delay_alu instid0(SALU_CYCLE_1) | instskip(NEXT) | instid1(SALU_CYCLE_1)
	s_and_b32 s0, s0, exec_lo
	s_or_b32 s1, s1, s0
.LBB150_1873:
	s_lshl_b32 s18, s9, 7
	s_cmp_lt_i32 s14, 11
	v_add_nc_u32_e32 v0, s18, v0
	s_wait_loadcnt 0x0
	s_delay_alu instid0(VALU_DEP_1) | instskip(SKIP_1) | instid1(VALU_DEP_1)
	v_ashrrev_i32_e32 v1, 31, v0
	s_wait_xcnt 0x0
	v_add_nc_u64_e32 v[4:5], s[6:7], v[0:1]
	s_cbranch_scc1 .LBB150_1880
; %bb.1874:
	s_and_b32 s0, 0xffff, s14
	s_mov_b32 s19, 0
	s_cmp_gt_i32 s0, 25
	s_cbranch_scc0 .LBB150_1883
; %bb.1875:
	s_cmp_gt_i32 s0, 28
	s_cbranch_scc0 .LBB150_1894
; %bb.1876:
	;; [unrolled: 3-line block ×4, first 2 shown]
	s_cmp_eq_u32 s0, 46
	s_mov_b32 s21, 0
	s_cbranch_scc0 .LBB150_1953
; %bb.1879:
	global_load_b32 v1, v[4:5], off
	s_mov_b32 s9, 0
	s_mov_b32 s20, -1
	s_wait_loadcnt 0x0
	v_lshlrev_b32_e32 v3, 16, v1
	v_and_b32_e32 v7, 0xffff0000, v1
	s_delay_alu instid0(VALU_DEP_2) | instskip(NEXT) | instid1(VALU_DEP_2)
	v_cvt_f16_f32_e32 v1, v3
	v_cvt_f16_f32_e32 v7, v7
	s_branch .LBB150_1955
.LBB150_1880:
	s_mov_b32 s20, 0
                                        ; implicit-def: $vgpr7
                                        ; implicit-def: $vgpr1
	s_cbranch_execnz .LBB150_1888
.LBB150_1881:
	s_and_not1_b32 vcc_lo, exec_lo, s20
	s_cbranch_vccnz .LBB150_2703
	s_branch .LBB150_1942
.LBB150_1882:
                                        ; implicit-def: $sgpr1
	s_branch .LBB150_1872
.LBB150_1883:
	s_mov_b32 s20, 0
	s_mov_b32 s9, 0
                                        ; implicit-def: $vgpr7
                                        ; implicit-def: $vgpr1
	s_cbranch_execnz .LBB150_1987
.LBB150_1884:
	s_and_b32 vcc_lo, exec_lo, s9
	s_cbranch_vccnz .LBB150_2020
.LBB150_1885:
	s_and_not1_b32 vcc_lo, exec_lo, s19
	s_cbranch_vccnz .LBB150_1887
.LBB150_1886:
	global_load_u8 v1, v[4:5], off
	v_mov_b32_e32 v7, 0
	s_mov_b32 s20, -1
	s_wait_loadcnt 0x0
	v_cmp_ne_u16_e32 vcc_lo, 0, v1
	v_cndmask_b32_e64 v1, 0, 0x3c00, vcc_lo
.LBB150_1887:
	s_branch .LBB150_1881
.LBB150_1888:
	s_and_b32 s0, 0xffff, s14
	s_delay_alu instid0(SALU_CYCLE_1)
	s_cmp_lt_i32 s0, 5
	s_cbranch_scc1 .LBB150_1893
; %bb.1889:
	s_cmp_lt_i32 s0, 8
	s_cbranch_scc1 .LBB150_1895
; %bb.1890:
	;; [unrolled: 3-line block ×3, first 2 shown]
	s_cmp_gt_i32 s0, 9
	s_cbranch_scc0 .LBB150_1900
; %bb.1892:
	global_load_b128 v[8:11], v[4:5], off
	v_mov_b32_e32 v17, 0x7e00
	s_mov_b32 s9, 0
	s_wait_loadcnt 0x0
	v_and_or_b32 v1, 0x1ff, v9, v8
	v_and_or_b32 v8, 0x1ff, v11, v10
	v_dual_lshrrev_b32 v3, 8, v9 :: v_dual_lshrrev_b32 v10, 8, v11
	v_bfe_u32 v7, v9, 20, 11
	s_delay_alu instid0(VALU_DEP_4) | instskip(SKIP_2) | instid1(VALU_DEP_4)
	v_cmp_ne_u32_e32 vcc_lo, 0, v1
	v_bfe_u32 v12, v11, 20, 11
	v_dual_lshrrev_b32 v9, 16, v9 :: v_dual_lshrrev_b32 v11, 16, v11
	v_sub_nc_u32_e32 v13, 0x3f1, v7
	v_cndmask_b32_e64 v1, 0, 1, vcc_lo
	v_cmp_ne_u32_e32 vcc_lo, 0, v8
	v_add_nc_u32_e32 v7, 0xfffffc10, v7
	s_delay_alu instid0(VALU_DEP_3) | instskip(SKIP_1) | instid1(VALU_DEP_1)
	v_and_or_b32 v1, 0xffe, v3, v1
	v_cndmask_b32_e64 v8, 0, 1, vcc_lo
	v_and_or_b32 v8, 0xffe, v10, v8
	v_med3_i32 v10, v13, 0, 13
	s_delay_alu instid0(VALU_DEP_4) | instskip(NEXT) | instid1(VALU_DEP_3)
	v_or_b32_e32 v13, 0x1000, v1
	v_or_b32_e32 v14, 0x1000, v8
	s_delay_alu instid0(VALU_DEP_2) | instskip(NEXT) | instid1(VALU_DEP_1)
	v_lshrrev_b32_e32 v15, v10, v13
	v_lshlrev_b32_e32 v10, v10, v15
	s_delay_alu instid0(VALU_DEP_1) | instskip(SKIP_2) | instid1(VALU_DEP_1)
	v_cmp_ne_u32_e32 vcc_lo, v10, v13
	v_lshl_or_b32 v13, v7, 12, v1
	v_cndmask_b32_e64 v10, 0, 1, vcc_lo
	v_or_b32_e32 v10, v15, v10
	v_sub_nc_u32_e32 v3, 0x3f1, v12
	s_delay_alu instid0(VALU_DEP_1) | instskip(NEXT) | instid1(VALU_DEP_1)
	v_med3_i32 v3, v3, 0, 13
	v_lshrrev_b32_e32 v16, v3, v14
	s_delay_alu instid0(VALU_DEP_1) | instskip(NEXT) | instid1(VALU_DEP_1)
	v_lshlrev_b32_e32 v3, v3, v16
	v_cmp_ne_u32_e32 vcc_lo, v3, v14
	v_cndmask_b32_e64 v3, 0, 1, vcc_lo
	v_cmp_gt_i32_e32 vcc_lo, 1, v7
	s_delay_alu instid0(VALU_DEP_2) | instskip(NEXT) | instid1(VALU_DEP_1)
	v_dual_cndmask_b32 v10, v13, v10, vcc_lo :: v_dual_bitop2_b32 v3, v16, v3 bitop3:0x54
	v_dual_lshrrev_b32 v10, 2, v10 :: v_dual_bitop2_b32 v13, 7, v10 bitop3:0x40
	v_add_nc_u32_e32 v12, 0xfffffc10, v12
	s_delay_alu instid0(VALU_DEP_1) | instskip(SKIP_1) | instid1(VALU_DEP_2)
	v_lshl_or_b32 v14, v12, 12, v8
	v_cmp_gt_i32_e32 vcc_lo, 1, v12
	v_cndmask_b32_e32 v3, v14, v3, vcc_lo
	v_cmp_lt_i32_e32 vcc_lo, 5, v13
	v_cndmask_b32_e64 v15, 0, 1, vcc_lo
	v_cmp_eq_u32_e32 vcc_lo, 3, v13
	v_cndmask_b32_e64 v13, 0, 1, vcc_lo
	s_delay_alu instid0(VALU_DEP_1) | instskip(SKIP_1) | instid1(VALU_DEP_2)
	v_or_b32_e32 v13, v13, v15
	v_dual_lshrrev_b32 v3, 2, v3 :: v_dual_bitop2_b32 v14, 7, v3 bitop3:0x40
	v_add_nc_u32_e32 v10, v10, v13
	s_delay_alu instid0(VALU_DEP_2) | instskip(SKIP_4) | instid1(VALU_DEP_2)
	v_cmp_lt_i32_e32 vcc_lo, 5, v14
	v_cndmask_b32_e64 v16, 0, 1, vcc_lo
	v_cmp_eq_u32_e32 vcc_lo, 3, v14
	v_cndmask_b32_e64 v14, 0, 1, vcc_lo
	v_cmp_ne_u32_e32 vcc_lo, 0, v1
	v_or_b32_e32 v14, v14, v16
	v_cndmask_b32_e32 v1, 0x7c00, v17, vcc_lo
	v_cmp_ne_u32_e32 vcc_lo, 0, v8
	s_delay_alu instid0(VALU_DEP_3) | instskip(SKIP_3) | instid1(VALU_DEP_4)
	v_dual_cndmask_b32 v8, 0x7c00, v17 :: v_dual_add_nc_u32 v3, v3, v14
	v_cmp_gt_i32_e32 vcc_lo, 31, v7
	v_cndmask_b32_e32 v10, 0x7c00, v10, vcc_lo
	v_cmp_gt_i32_e32 vcc_lo, 31, v12
	v_cndmask_b32_e32 v3, 0x7c00, v3, vcc_lo
	v_cmp_eq_u32_e32 vcc_lo, 0x40f, v7
	s_delay_alu instid0(VALU_DEP_4) | instskip(SKIP_1) | instid1(VALU_DEP_4)
	v_cndmask_b32_e32 v1, v10, v1, vcc_lo
	v_cmp_eq_u32_e32 vcc_lo, 0x40f, v12
	v_cndmask_b32_e32 v3, v3, v8, vcc_lo
	s_delay_alu instid0(VALU_DEP_3) | instskip(NEXT) | instid1(VALU_DEP_2)
	v_and_or_b32 v1, 0x8000, v9, v1
	v_and_or_b32 v7, 0x8000, v11, v3
	s_branch .LBB150_1901
.LBB150_1893:
	s_mov_b32 s9, -1
                                        ; implicit-def: $vgpr7
                                        ; implicit-def: $vgpr1
	s_branch .LBB150_1920
.LBB150_1894:
	s_mov_b32 s21, -1
	s_mov_b32 s20, 0
	s_mov_b32 s9, 0
                                        ; implicit-def: $vgpr7
                                        ; implicit-def: $vgpr1
	s_branch .LBB150_1968
.LBB150_1895:
	s_mov_b32 s9, -1
                                        ; implicit-def: $vgpr7
                                        ; implicit-def: $vgpr1
	s_branch .LBB150_1907
.LBB150_1896:
	s_mov_b32 s21, -1
	s_mov_b32 s20, 0
	s_mov_b32 s9, 0
                                        ; implicit-def: $vgpr7
                                        ; implicit-def: $vgpr1
	s_branch .LBB150_1962
.LBB150_1897:
	s_mov_b32 s9, -1
                                        ; implicit-def: $vgpr7
                                        ; implicit-def: $vgpr1
	s_branch .LBB150_1904
.LBB150_1898:
	s_or_b32 s13, s13, exec_lo
	s_trap 2
	s_cbranch_execz .LBB150_1819
	s_branch .LBB150_1820
.LBB150_1899:
	s_mov_b32 s21, -1
	s_mov_b32 s20, 0
	s_mov_b32 s9, 0
	s_branch .LBB150_1954
.LBB150_1900:
	s_mov_b32 s9, -1
                                        ; implicit-def: $vgpr7
                                        ; implicit-def: $vgpr1
.LBB150_1901:
	s_delay_alu instid0(SALU_CYCLE_1)
	s_and_not1_b32 vcc_lo, exec_lo, s9
	s_cbranch_vccnz .LBB150_1903
; %bb.1902:
	global_load_b64 v[8:9], v[4:5], off
	s_wait_loadcnt 0x0
	v_cvt_f16_f32_e32 v1, v8
	v_cvt_f16_f32_e32 v7, v9
.LBB150_1903:
	s_mov_b32 s9, 0
.LBB150_1904:
	s_delay_alu instid0(SALU_CYCLE_1)
	s_and_not1_b32 vcc_lo, exec_lo, s9
	s_cbranch_vccnz .LBB150_1906
; %bb.1905:
	global_load_b32 v1, v[4:5], off
	s_wait_loadcnt 0x0
	v_lshrrev_b32_e32 v7, 16, v1
.LBB150_1906:
	s_mov_b32 s9, 0
.LBB150_1907:
	s_delay_alu instid0(SALU_CYCLE_1)
	s_and_not1_b32 vcc_lo, exec_lo, s9
	s_cbranch_vccnz .LBB150_1919
; %bb.1908:
	s_cmp_lt_i32 s0, 6
	s_cbranch_scc1 .LBB150_1911
; %bb.1909:
	s_cmp_gt_i32 s0, 6
	s_cbranch_scc0 .LBB150_1912
; %bb.1910:
	global_load_b64 v[8:9], v[4:5], off
	s_mov_b32 s9, 0
	s_wait_loadcnt 0x0
	v_and_or_b32 v1, 0x1ff, v9, v8
	v_lshrrev_b32_e32 v3, 8, v9
	v_bfe_u32 v7, v9, 20, 11
	s_delay_alu instid0(VALU_DEP_3) | instskip(NEXT) | instid1(VALU_DEP_2)
	v_cmp_ne_u32_e32 vcc_lo, 0, v1
	v_sub_nc_u32_e32 v8, 0x3f1, v7
	v_add_nc_u32_e32 v7, 0xfffffc10, v7
	v_cndmask_b32_e64 v1, 0, 1, vcc_lo
	s_delay_alu instid0(VALU_DEP_1) | instskip(NEXT) | instid1(VALU_DEP_4)
	v_and_or_b32 v1, 0xffe, v3, v1
	v_med3_i32 v3, v8, 0, 13
	s_delay_alu instid0(VALU_DEP_2) | instskip(NEXT) | instid1(VALU_DEP_1)
	v_or_b32_e32 v8, 0x1000, v1
	v_lshrrev_b32_e32 v10, v3, v8
	s_delay_alu instid0(VALU_DEP_1) | instskip(NEXT) | instid1(VALU_DEP_1)
	v_lshlrev_b32_e32 v3, v3, v10
	v_cmp_ne_u32_e32 vcc_lo, v3, v8
	v_lshl_or_b32 v8, v7, 12, v1
	v_cndmask_b32_e64 v3, 0, 1, vcc_lo
	v_cmp_gt_i32_e32 vcc_lo, 1, v7
	s_delay_alu instid0(VALU_DEP_2) | instskip(NEXT) | instid1(VALU_DEP_1)
	v_or_b32_e32 v3, v10, v3
	v_cndmask_b32_e32 v3, v8, v3, vcc_lo
	s_delay_alu instid0(VALU_DEP_1) | instskip(NEXT) | instid1(VALU_DEP_1)
	v_dual_lshrrev_b32 v3, 2, v3 :: v_dual_bitop2_b32 v8, 7, v3 bitop3:0x40
	v_cmp_lt_i32_e32 vcc_lo, 5, v8
	v_cndmask_b32_e64 v10, 0, 1, vcc_lo
	v_cmp_eq_u32_e32 vcc_lo, 3, v8
	v_cndmask_b32_e64 v8, 0, 1, vcc_lo
	v_cmp_ne_u32_e32 vcc_lo, 0, v1
	s_delay_alu instid0(VALU_DEP_2) | instskip(NEXT) | instid1(VALU_DEP_1)
	v_or_b32_e32 v8, v8, v10
	v_dual_mov_b32 v10, 0x7e00 :: v_dual_add_nc_u32 v3, v3, v8
	s_delay_alu instid0(VALU_DEP_1) | instskip(SKIP_1) | instid1(VALU_DEP_3)
	v_cndmask_b32_e32 v1, 0x7c00, v10, vcc_lo
	v_cmp_gt_i32_e32 vcc_lo, 31, v7
	v_cndmask_b32_e32 v3, 0x7c00, v3, vcc_lo
	v_cmp_eq_u32_e32 vcc_lo, 0x40f, v7
	s_delay_alu instid0(VALU_DEP_2) | instskip(SKIP_1) | instid1(VALU_DEP_1)
	v_cndmask_b32_e32 v1, v3, v1, vcc_lo
	v_lshrrev_b32_e32 v3, 16, v9
	v_and_or_b32 v1, 0x8000, v3, v1
	s_branch .LBB150_1913
.LBB150_1911:
	s_mov_b32 s9, -1
                                        ; implicit-def: $vgpr1
	s_branch .LBB150_1916
.LBB150_1912:
	s_mov_b32 s9, -1
                                        ; implicit-def: $vgpr1
.LBB150_1913:
	s_delay_alu instid0(SALU_CYCLE_1)
	s_and_not1_b32 vcc_lo, exec_lo, s9
	s_cbranch_vccnz .LBB150_1915
; %bb.1914:
	global_load_b32 v1, v[4:5], off
	s_wait_loadcnt 0x0
	v_cvt_f16_f32_e32 v1, v1
.LBB150_1915:
	s_mov_b32 s9, 0
.LBB150_1916:
	s_delay_alu instid0(SALU_CYCLE_1)
	s_and_not1_b32 vcc_lo, exec_lo, s9
	s_cbranch_vccnz .LBB150_1918
; %bb.1917:
	global_load_u16 v1, v[4:5], off
.LBB150_1918:
	v_mov_b32_e32 v7, 0
.LBB150_1919:
	s_mov_b32 s9, 0
.LBB150_1920:
	s_delay_alu instid0(SALU_CYCLE_1)
	s_and_not1_b32 vcc_lo, exec_lo, s9
	s_cbranch_vccnz .LBB150_1941
; %bb.1921:
	s_cmp_lt_i32 s0, 2
	s_cbranch_scc1 .LBB150_1925
; %bb.1922:
	s_cmp_lt_i32 s0, 3
	s_cbranch_scc1 .LBB150_1926
; %bb.1923:
	s_cmp_gt_i32 s0, 3
	s_cbranch_scc0 .LBB150_1927
; %bb.1924:
	global_load_b64 v[8:9], v[4:5], off
	s_mov_b32 s9, 0
	s_wait_loadcnt 0x0
	v_xor_b32_e32 v1, v8, v9
	v_cls_i32_e32 v3, v9
	s_delay_alu instid0(VALU_DEP_2) | instskip(NEXT) | instid1(VALU_DEP_1)
	v_ashrrev_i32_e32 v1, 31, v1
	v_add_nc_u32_e32 v1, 32, v1
	s_delay_alu instid0(VALU_DEP_1) | instskip(NEXT) | instid1(VALU_DEP_1)
	v_add_min_u32_e64 v1, v3, -1, v1
	v_lshlrev_b64_e32 v[8:9], v1, v[8:9]
	v_sub_nc_u32_e32 v1, 32, v1
	s_delay_alu instid0(VALU_DEP_2) | instskip(NEXT) | instid1(VALU_DEP_1)
	v_min_u32_e32 v3, 1, v8
	v_or_b32_e32 v3, v9, v3
	s_delay_alu instid0(VALU_DEP_1) | instskip(NEXT) | instid1(VALU_DEP_1)
	v_cvt_f32_i32_e32 v3, v3
	v_ldexp_f32 v1, v3, v1
	s_delay_alu instid0(VALU_DEP_1)
	v_cvt_f16_f32_e32 v1, v1
	s_branch .LBB150_1928
.LBB150_1925:
	s_mov_b32 s9, -1
                                        ; implicit-def: $vgpr1
	s_branch .LBB150_1934
.LBB150_1926:
	s_mov_b32 s9, -1
                                        ; implicit-def: $vgpr1
	s_branch .LBB150_1931
.LBB150_1927:
	s_mov_b32 s9, -1
                                        ; implicit-def: $vgpr1
.LBB150_1928:
	s_delay_alu instid0(SALU_CYCLE_1)
	s_and_not1_b32 vcc_lo, exec_lo, s9
	s_cbranch_vccnz .LBB150_1930
; %bb.1929:
	s_wait_loadcnt 0x0
	global_load_b32 v1, v[4:5], off
	s_wait_loadcnt 0x0
	v_cvt_f32_i32_e32 v1, v1
	s_delay_alu instid0(VALU_DEP_1)
	v_cvt_f16_f32_e32 v1, v1
.LBB150_1930:
	s_mov_b32 s9, 0
.LBB150_1931:
	s_delay_alu instid0(SALU_CYCLE_1)
	s_and_not1_b32 vcc_lo, exec_lo, s9
	s_cbranch_vccnz .LBB150_1933
; %bb.1932:
	s_wait_loadcnt 0x0
	global_load_u16 v1, v[4:5], off
	s_wait_loadcnt 0x0
	v_cvt_f16_i16_e32 v1, v1
.LBB150_1933:
	s_mov_b32 s9, 0
.LBB150_1934:
	s_delay_alu instid0(SALU_CYCLE_1)
	s_and_not1_b32 vcc_lo, exec_lo, s9
	s_cbranch_vccnz .LBB150_1940
; %bb.1935:
	s_cmp_gt_i32 s0, 0
	s_mov_b32 s0, 0
	s_cbranch_scc0 .LBB150_1937
; %bb.1936:
	s_wait_loadcnt 0x0
	global_load_i8 v1, v[4:5], off
	s_wait_loadcnt 0x0
	v_cvt_f16_i16_e32 v1, v1
	s_branch .LBB150_1938
.LBB150_1937:
	s_mov_b32 s0, -1
                                        ; implicit-def: $vgpr1
.LBB150_1938:
	s_delay_alu instid0(SALU_CYCLE_1)
	s_and_not1_b32 vcc_lo, exec_lo, s0
	s_cbranch_vccnz .LBB150_1940
; %bb.1939:
	s_wait_loadcnt 0x0
	global_load_u8 v1, v[4:5], off
	s_wait_loadcnt 0x0
	v_cvt_f16_u16_e32 v1, v1
.LBB150_1940:
	v_mov_b32_e32 v7, 0
.LBB150_1941:
.LBB150_1942:
	s_lshl_b32 s19, s10, 7
	s_cmp_lt_i32 s17, 11
	v_add_nc_u32_e32 v2, s19, v2
	s_delay_alu instid0(VALU_DEP_1) | instskip(SKIP_1) | instid1(VALU_DEP_1)
	v_ashrrev_i32_e32 v3, 31, v2
	s_wait_xcnt 0x0
	v_add_nc_u64_e32 v[4:5], s[2:3], v[2:3]
	s_cbranch_scc1 .LBB150_1949
; %bb.1943:
	s_and_b32 s0, 0xffff, s17
	s_mov_b32 s10, 0
	s_cmp_gt_i32 s0, 25
	s_cbranch_scc0 .LBB150_1950
; %bb.1944:
	s_cmp_gt_i32 s0, 28
	s_cbranch_scc0 .LBB150_1951
; %bb.1945:
	;; [unrolled: 3-line block ×4, first 2 shown]
	s_cmp_eq_u32 s0, 46
	s_mov_b32 s21, 0
	s_cbranch_scc0 .LBB150_2021
; %bb.1948:
	global_load_b32 v3, v[4:5], off
	s_mov_b32 s9, 0
	s_mov_b32 s20, -1
	s_wait_loadcnt 0x0
	v_lshlrev_b32_e32 v8, 16, v3
	v_and_b32_e32 v9, 0xffff0000, v3
	s_delay_alu instid0(VALU_DEP_2) | instskip(NEXT) | instid1(VALU_DEP_2)
	v_cvt_f16_f32_e32 v3, v8
	v_cvt_f16_f32_e32 v8, v9
	s_branch .LBB150_2023
.LBB150_1949:
	s_mov_b32 s0, -1
	s_mov_b32 s20, 0
                                        ; implicit-def: $vgpr8
                                        ; implicit-def: $vgpr3
	s_branch .LBB150_2069
.LBB150_1950:
	s_mov_b32 s21, -1
	s_mov_b32 s20, 0
	s_mov_b32 s9, 0
                                        ; implicit-def: $vgpr8
                                        ; implicit-def: $vgpr3
	s_branch .LBB150_2054
.LBB150_1951:
	s_mov_b32 s21, -1
	s_mov_b32 s20, 0
	s_mov_b32 s9, 0
                                        ; implicit-def: $vgpr8
                                        ; implicit-def: $vgpr3
	s_branch .LBB150_2035
.LBB150_1952:
	s_mov_b32 s21, -1
	s_mov_b32 s20, 0
	s_mov_b32 s9, 0
                                        ; implicit-def: $vgpr8
                                        ; implicit-def: $vgpr3
	s_branch .LBB150_2029
.LBB150_1953:
	s_mov_b32 s9, -1
	s_mov_b32 s20, 0
.LBB150_1954:
                                        ; implicit-def: $vgpr7
                                        ; implicit-def: $vgpr1
.LBB150_1955:
	s_and_b32 vcc_lo, exec_lo, s21
	s_cbranch_vccz .LBB150_1961
; %bb.1956:
	s_cmp_eq_u32 s0, 44
	s_cbranch_scc0 .LBB150_1959
; %bb.1957:
	global_load_u8 v1, v[4:5], off
	s_mov_b32 s9, 0
	s_mov_b32 s20, -1
	s_wait_loadcnt 0x0
	v_lshlrev_b32_e32 v3, 23, v1
	v_cmp_ne_u32_e32 vcc_lo, 0xff, v1
	s_delay_alu instid0(VALU_DEP_2) | instskip(NEXT) | instid1(VALU_DEP_1)
	v_cvt_f16_f32_e32 v3, v3
	v_cndmask_b32_e32 v3, 0x7e00, v3, vcc_lo
	v_cmp_ne_u32_e32 vcc_lo, 0, v1
	s_delay_alu instid0(VALU_DEP_2)
	v_cndmask_b32_e32 v1, 0, v3, vcc_lo
	s_branch .LBB150_1960
.LBB150_1958:
	s_mov_b32 s21, -1
	s_mov_b32 s20, 0
	s_mov_b32 s9, 0
	s_branch .LBB150_2022
.LBB150_1959:
	s_mov_b32 s9, -1
                                        ; implicit-def: $vgpr1
.LBB150_1960:
	v_mov_b32_e32 v7, 0
.LBB150_1961:
	s_mov_b32 s21, 0
.LBB150_1962:
	s_delay_alu instid0(SALU_CYCLE_1)
	s_and_b32 vcc_lo, exec_lo, s21
	s_cbranch_vccz .LBB150_1967
; %bb.1963:
	s_cmp_eq_u32 s0, 29
	s_cbranch_scc0 .LBB150_1965
; %bb.1964:
	global_load_b64 v[8:9], v[4:5], off
	s_mov_b32 s9, 0
	s_mov_b32 s20, -1
	s_wait_loadcnt 0x0
	v_clz_i32_u32_e32 v1, v9
	s_delay_alu instid0(VALU_DEP_1) | instskip(NEXT) | instid1(VALU_DEP_1)
	v_min_u32_e32 v1, 32, v1
	v_lshlrev_b64_e32 v[8:9], v1, v[8:9]
	v_sub_nc_u32_e32 v1, 32, v1
	s_delay_alu instid0(VALU_DEP_2) | instskip(NEXT) | instid1(VALU_DEP_1)
	v_min_u32_e32 v3, 1, v8
	v_or_b32_e32 v3, v9, v3
	s_delay_alu instid0(VALU_DEP_1) | instskip(NEXT) | instid1(VALU_DEP_1)
	v_cvt_f32_u32_e32 v3, v3
	v_ldexp_f32 v1, v3, v1
	s_delay_alu instid0(VALU_DEP_1)
	v_cvt_f16_f32_e32 v1, v1
	s_branch .LBB150_1966
.LBB150_1965:
	s_mov_b32 s9, -1
                                        ; implicit-def: $vgpr1
.LBB150_1966:
	v_mov_b32_e32 v7, 0
.LBB150_1967:
	s_mov_b32 s21, 0
.LBB150_1968:
	s_delay_alu instid0(SALU_CYCLE_1)
	s_and_b32 vcc_lo, exec_lo, s21
	s_cbranch_vccz .LBB150_1986
; %bb.1969:
	s_cmp_lt_i32 s0, 27
	s_cbranch_scc1 .LBB150_1972
; %bb.1970:
	s_cmp_gt_i32 s0, 27
	s_cbranch_scc0 .LBB150_1973
; %bb.1971:
	global_load_b32 v1, v[4:5], off
	s_mov_b32 s20, 0
	s_wait_loadcnt 0x0
	v_cvt_f32_u32_e32 v1, v1
	s_delay_alu instid0(VALU_DEP_1)
	v_cvt_f16_f32_e32 v1, v1
	s_branch .LBB150_1974
.LBB150_1972:
	s_mov_b32 s20, -1
                                        ; implicit-def: $vgpr1
	s_branch .LBB150_1977
.LBB150_1973:
	s_mov_b32 s20, -1
                                        ; implicit-def: $vgpr1
.LBB150_1974:
	s_delay_alu instid0(SALU_CYCLE_1)
	s_and_not1_b32 vcc_lo, exec_lo, s20
	s_cbranch_vccnz .LBB150_1976
; %bb.1975:
	global_load_u16 v1, v[4:5], off
	s_wait_loadcnt 0x0
	v_cvt_f16_u16_e32 v1, v1
.LBB150_1976:
	s_mov_b32 s20, 0
.LBB150_1977:
	s_delay_alu instid0(SALU_CYCLE_1)
	s_and_not1_b32 vcc_lo, exec_lo, s20
	s_cbranch_vccnz .LBB150_1985
; %bb.1978:
	global_load_u8 v3, v[4:5], off
	s_mov_b32 s20, 0
	s_mov_b32 s21, exec_lo
	s_wait_loadcnt 0x0
	v_cmpx_lt_i16_e32 0x7f, v3
	s_xor_b32 s21, exec_lo, s21
	s_cbranch_execz .LBB150_1998
; %bb.1979:
	s_mov_b32 s20, -1
	s_mov_b32 s22, exec_lo
	v_cmpx_eq_u16_e32 0x80, v3
; %bb.1980:
	s_xor_b32 s20, exec_lo, -1
; %bb.1981:
	s_or_b32 exec_lo, exec_lo, s22
	s_delay_alu instid0(SALU_CYCLE_1)
	s_and_b32 s20, s20, exec_lo
	s_or_saveexec_b32 s21, s21
	v_mov_b32_e32 v1, 0x7e00
	s_xor_b32 exec_lo, exec_lo, s21
	s_cbranch_execnz .LBB150_1999
.LBB150_1982:
	s_or_b32 exec_lo, exec_lo, s21
	s_and_saveexec_b32 s21, s20
	s_cbranch_execz .LBB150_1984
.LBB150_1983:
	v_and_b32_e32 v1, 0xffff, v3
	s_delay_alu instid0(VALU_DEP_1) | instskip(SKIP_1) | instid1(VALU_DEP_2)
	v_and_b32_e32 v7, 7, v1
	v_bfe_u32 v10, v1, 3, 4
	v_clz_i32_u32_e32 v8, v7
	s_delay_alu instid0(VALU_DEP_2) | instskip(NEXT) | instid1(VALU_DEP_2)
	v_cmp_eq_u32_e32 vcc_lo, 0, v10
	v_min_u32_e32 v8, 32, v8
	s_delay_alu instid0(VALU_DEP_1) | instskip(NEXT) | instid1(VALU_DEP_1)
	v_subrev_nc_u32_e32 v9, 28, v8
	v_dual_lshlrev_b32 v1, v9, v1 :: v_dual_sub_nc_u32 v8, 29, v8
	s_delay_alu instid0(VALU_DEP_1) | instskip(NEXT) | instid1(VALU_DEP_1)
	v_dual_lshlrev_b32 v3, 24, v3 :: v_dual_bitop2_b32 v1, 7, v1 bitop3:0x40
	v_dual_cndmask_b32 v8, v10, v8 :: v_dual_cndmask_b32 v1, v7, v1
	s_delay_alu instid0(VALU_DEP_2) | instskip(NEXT) | instid1(VALU_DEP_2)
	v_and_b32_e32 v3, 0x80000000, v3
	v_lshl_add_u32 v7, v8, 23, 0x3b800000
	s_delay_alu instid0(VALU_DEP_3) | instskip(NEXT) | instid1(VALU_DEP_1)
	v_lshlrev_b32_e32 v1, 20, v1
	v_or3_b32 v1, v3, v7, v1
	s_delay_alu instid0(VALU_DEP_1)
	v_cvt_f16_f32_e32 v1, v1
.LBB150_1984:
	s_or_b32 exec_lo, exec_lo, s21
.LBB150_1985:
	v_mov_b32_e32 v7, 0
	s_mov_b32 s20, -1
.LBB150_1986:
	s_branch .LBB150_1884
.LBB150_1987:
	s_cmp_gt_i32 s0, 22
	s_cbranch_scc0 .LBB150_1997
; %bb.1988:
	s_cmp_lt_i32 s0, 24
	s_cbranch_scc1 .LBB150_2000
; %bb.1989:
	s_cmp_gt_i32 s0, 24
	s_cbranch_scc0 .LBB150_2001
; %bb.1990:
	global_load_u8 v3, v[4:5], off
	s_mov_b32 s20, exec_lo
	s_wait_loadcnt 0x0
	v_cmpx_lt_i16_e32 0x7f, v3
	s_xor_b32 s20, exec_lo, s20
	s_cbranch_execz .LBB150_2013
; %bb.1991:
	s_mov_b32 s19, -1
	s_mov_b32 s21, exec_lo
	v_cmpx_eq_u16_e32 0x80, v3
; %bb.1992:
	s_xor_b32 s19, exec_lo, -1
; %bb.1993:
	s_or_b32 exec_lo, exec_lo, s21
	s_delay_alu instid0(SALU_CYCLE_1)
	s_and_b32 s19, s19, exec_lo
	s_or_saveexec_b32 s20, s20
	v_mov_b32_e32 v1, 0x7e00
	s_xor_b32 exec_lo, exec_lo, s20
	s_cbranch_execnz .LBB150_2014
.LBB150_1994:
	s_or_b32 exec_lo, exec_lo, s20
	s_and_saveexec_b32 s20, s19
	s_cbranch_execz .LBB150_1996
.LBB150_1995:
	v_and_b32_e32 v1, 0xffff, v3
	s_delay_alu instid0(VALU_DEP_1) | instskip(SKIP_1) | instid1(VALU_DEP_2)
	v_and_b32_e32 v7, 3, v1
	v_bfe_u32 v10, v1, 2, 5
	v_clz_i32_u32_e32 v8, v7
	s_delay_alu instid0(VALU_DEP_2) | instskip(NEXT) | instid1(VALU_DEP_2)
	v_cmp_eq_u32_e32 vcc_lo, 0, v10
	v_min_u32_e32 v8, 32, v8
	s_delay_alu instid0(VALU_DEP_1) | instskip(NEXT) | instid1(VALU_DEP_1)
	v_subrev_nc_u32_e32 v9, 29, v8
	v_dual_lshlrev_b32 v1, v9, v1 :: v_dual_sub_nc_u32 v8, 30, v8
	s_delay_alu instid0(VALU_DEP_1) | instskip(NEXT) | instid1(VALU_DEP_1)
	v_dual_lshlrev_b32 v3, 24, v3 :: v_dual_bitop2_b32 v1, 3, v1 bitop3:0x40
	v_dual_cndmask_b32 v8, v10, v8 :: v_dual_cndmask_b32 v1, v7, v1
	s_delay_alu instid0(VALU_DEP_2) | instskip(NEXT) | instid1(VALU_DEP_2)
	v_and_b32_e32 v3, 0x80000000, v3
	v_lshl_add_u32 v7, v8, 23, 0x37800000
	s_delay_alu instid0(VALU_DEP_3) | instskip(NEXT) | instid1(VALU_DEP_1)
	v_lshlrev_b32_e32 v1, 21, v1
	v_or3_b32 v1, v3, v7, v1
	s_delay_alu instid0(VALU_DEP_1)
	v_cvt_f16_f32_e32 v1, v1
.LBB150_1996:
	s_or_b32 exec_lo, exec_lo, s20
	s_mov_b32 s19, 0
	s_branch .LBB150_2002
.LBB150_1997:
	s_mov_b32 s19, -1
                                        ; implicit-def: $vgpr1
	s_branch .LBB150_2008
.LBB150_1998:
	s_or_saveexec_b32 s21, s21
	v_mov_b32_e32 v1, 0x7e00
	s_xor_b32 exec_lo, exec_lo, s21
	s_cbranch_execz .LBB150_1982
.LBB150_1999:
	v_cmp_ne_u16_e32 vcc_lo, 0, v3
	v_mov_b32_e32 v1, v3
	s_and_not1_b32 s20, s20, exec_lo
	s_and_b32 s22, vcc_lo, exec_lo
	s_delay_alu instid0(SALU_CYCLE_1)
	s_or_b32 s20, s20, s22
	s_or_b32 exec_lo, exec_lo, s21
	s_and_saveexec_b32 s21, s20
	s_cbranch_execnz .LBB150_1983
	s_branch .LBB150_1984
.LBB150_2000:
	s_mov_b32 s19, -1
                                        ; implicit-def: $vgpr1
	s_branch .LBB150_2005
.LBB150_2001:
	s_mov_b32 s19, -1
                                        ; implicit-def: $vgpr1
.LBB150_2002:
	s_delay_alu instid0(SALU_CYCLE_1)
	s_and_b32 vcc_lo, exec_lo, s19
	s_cbranch_vccz .LBB150_2004
; %bb.2003:
	global_load_u8 v1, v[4:5], off
	s_wait_loadcnt 0x0
	v_lshlrev_b32_e32 v1, 24, v1
	s_delay_alu instid0(VALU_DEP_1) | instskip(NEXT) | instid1(VALU_DEP_1)
	v_and_b32_e32 v3, 0x7f000000, v1
	v_clz_i32_u32_e32 v7, v3
	v_add_nc_u32_e32 v9, 0x1000000, v3
	v_cmp_ne_u32_e32 vcc_lo, 0, v3
	s_delay_alu instid0(VALU_DEP_3) | instskip(NEXT) | instid1(VALU_DEP_1)
	v_min_u32_e32 v7, 32, v7
	v_sub_nc_u32_e64 v7, v7, 4 clamp
	s_delay_alu instid0(VALU_DEP_1) | instskip(NEXT) | instid1(VALU_DEP_1)
	v_lshlrev_b32_e32 v8, v7, v3
	v_dual_lshlrev_b32 v7, 23, v7 :: v_dual_lshrrev_b32 v8, 4, v8
	s_delay_alu instid0(VALU_DEP_1) | instskip(NEXT) | instid1(VALU_DEP_1)
	v_dual_sub_nc_u32 v7, v8, v7 :: v_dual_ashrrev_i32 v8, 8, v9
	v_add_nc_u32_e32 v7, 0x3c000000, v7
	s_delay_alu instid0(VALU_DEP_1) | instskip(NEXT) | instid1(VALU_DEP_1)
	v_and_or_b32 v7, 0x7f800000, v8, v7
	v_cndmask_b32_e32 v3, 0, v7, vcc_lo
	s_delay_alu instid0(VALU_DEP_1) | instskip(NEXT) | instid1(VALU_DEP_1)
	v_and_or_b32 v1, 0x80000000, v1, v3
	v_cvt_f16_f32_e32 v1, v1
.LBB150_2004:
	s_mov_b32 s19, 0
.LBB150_2005:
	s_delay_alu instid0(SALU_CYCLE_1)
	s_and_not1_b32 vcc_lo, exec_lo, s19
	s_cbranch_vccnz .LBB150_2007
; %bb.2006:
	global_load_u8 v1, v[4:5], off
	s_wait_loadcnt 0x0
	v_lshlrev_b32_e32 v3, 25, v1
	v_lshlrev_b16 v1, 8, v1
	s_delay_alu instid0(VALU_DEP_1) | instskip(SKIP_1) | instid1(VALU_DEP_2)
	v_and_or_b32 v8, 0x7f00, v1, 0.5
	v_bfe_i32 v1, v1, 0, 16
	v_dual_add_f32 v8, -0.5, v8 :: v_dual_lshrrev_b32 v7, 4, v3
	v_cmp_gt_u32_e32 vcc_lo, 0x8000000, v3
	s_delay_alu instid0(VALU_DEP_2) | instskip(NEXT) | instid1(VALU_DEP_1)
	v_or_b32_e32 v7, 0x70000000, v7
	v_mul_f32_e32 v7, 0x7800000, v7
	s_delay_alu instid0(VALU_DEP_1) | instskip(NEXT) | instid1(VALU_DEP_1)
	v_cndmask_b32_e32 v3, v7, v8, vcc_lo
	v_and_or_b32 v1, 0x80000000, v1, v3
	s_delay_alu instid0(VALU_DEP_1)
	v_cvt_f16_f32_e32 v1, v1
.LBB150_2007:
	s_mov_b32 s19, 0
	s_mov_b32 s20, -1
.LBB150_2008:
	s_and_not1_b32 vcc_lo, exec_lo, s19
	s_mov_b32 s19, 0
	s_cbranch_vccnz .LBB150_2019
; %bb.2009:
	s_cmp_gt_i32 s0, 14
	s_cbranch_scc0 .LBB150_2012
; %bb.2010:
	s_cmp_eq_u32 s0, 15
	s_cbranch_scc0 .LBB150_2015
; %bb.2011:
	global_load_u16 v1, v[4:5], off
	s_mov_b32 s9, 0
	s_mov_b32 s20, -1
	s_wait_loadcnt 0x0
	v_lshlrev_b32_e32 v1, 16, v1
	s_delay_alu instid0(VALU_DEP_1)
	v_cvt_f16_f32_e32 v1, v1
	s_branch .LBB150_2017
.LBB150_2012:
	s_mov_b32 s19, -1
	s_branch .LBB150_2016
.LBB150_2013:
	s_or_saveexec_b32 s20, s20
	v_mov_b32_e32 v1, 0x7e00
	s_xor_b32 exec_lo, exec_lo, s20
	s_cbranch_execz .LBB150_1994
.LBB150_2014:
	v_cmp_ne_u16_e32 vcc_lo, 0, v3
	v_mov_b32_e32 v1, v3
	s_and_not1_b32 s19, s19, exec_lo
	s_and_b32 s21, vcc_lo, exec_lo
	s_delay_alu instid0(SALU_CYCLE_1)
	s_or_b32 s19, s19, s21
	s_or_b32 exec_lo, exec_lo, s20
	s_and_saveexec_b32 s20, s19
	s_cbranch_execnz .LBB150_1995
	s_branch .LBB150_1996
.LBB150_2015:
	s_mov_b32 s9, -1
.LBB150_2016:
                                        ; implicit-def: $vgpr1
.LBB150_2017:
	s_and_b32 vcc_lo, exec_lo, s19
	s_mov_b32 s19, 0
	s_cbranch_vccz .LBB150_2019
; %bb.2018:
	s_cmp_lg_u32 s0, 11
	s_mov_b32 s19, -1
	s_cselect_b32 s9, -1, 0
.LBB150_2019:
	v_mov_b32_e32 v7, 0
	s_and_b32 vcc_lo, exec_lo, s9
	s_cbranch_vccz .LBB150_1885
.LBB150_2020:
	s_or_b32 s13, s13, exec_lo
	s_trap 2
	s_cbranch_execz .LBB150_1886
	s_branch .LBB150_1887
.LBB150_2021:
	s_mov_b32 s9, -1
	s_mov_b32 s20, 0
.LBB150_2022:
                                        ; implicit-def: $vgpr8
                                        ; implicit-def: $vgpr3
.LBB150_2023:
	s_and_b32 vcc_lo, exec_lo, s21
	s_cbranch_vccz .LBB150_2028
; %bb.2024:
	s_cmp_eq_u32 s0, 44
	s_cbranch_scc0 .LBB150_2026
; %bb.2025:
	global_load_u8 v3, v[4:5], off
	s_mov_b32 s9, 0
	s_mov_b32 s20, -1
	s_wait_loadcnt 0x0
	v_lshlrev_b32_e32 v8, 23, v3
	v_cmp_ne_u32_e32 vcc_lo, 0xff, v3
	s_delay_alu instid0(VALU_DEP_2) | instskip(NEXT) | instid1(VALU_DEP_1)
	v_cvt_f16_f32_e32 v8, v8
	v_cndmask_b32_e32 v8, 0x7e00, v8, vcc_lo
	v_cmp_ne_u32_e32 vcc_lo, 0, v3
	s_delay_alu instid0(VALU_DEP_2)
	v_cndmask_b32_e32 v3, 0, v8, vcc_lo
	s_branch .LBB150_2027
.LBB150_2026:
	s_mov_b32 s9, -1
                                        ; implicit-def: $vgpr3
.LBB150_2027:
	v_mov_b32_e32 v8, 0
.LBB150_2028:
	s_mov_b32 s21, 0
.LBB150_2029:
	s_delay_alu instid0(SALU_CYCLE_1)
	s_and_b32 vcc_lo, exec_lo, s21
	s_cbranch_vccz .LBB150_2034
; %bb.2030:
	s_cmp_eq_u32 s0, 29
	s_cbranch_scc0 .LBB150_2032
; %bb.2031:
	global_load_b64 v[8:9], v[4:5], off
	s_mov_b32 s9, 0
	s_mov_b32 s20, -1
	s_wait_loadcnt 0x0
	v_clz_i32_u32_e32 v3, v9
	s_delay_alu instid0(VALU_DEP_1) | instskip(NEXT) | instid1(VALU_DEP_1)
	v_min_u32_e32 v3, 32, v3
	v_lshlrev_b64_e32 v[8:9], v3, v[8:9]
	v_sub_nc_u32_e32 v3, 32, v3
	s_delay_alu instid0(VALU_DEP_2) | instskip(NEXT) | instid1(VALU_DEP_1)
	v_min_u32_e32 v8, 1, v8
	v_or_b32_e32 v8, v9, v8
	s_delay_alu instid0(VALU_DEP_1) | instskip(NEXT) | instid1(VALU_DEP_1)
	v_cvt_f32_u32_e32 v8, v8
	v_ldexp_f32 v3, v8, v3
	s_delay_alu instid0(VALU_DEP_1)
	v_cvt_f16_f32_e32 v3, v3
	s_branch .LBB150_2033
.LBB150_2032:
	s_mov_b32 s9, -1
                                        ; implicit-def: $vgpr3
.LBB150_2033:
	v_mov_b32_e32 v8, 0
.LBB150_2034:
	s_mov_b32 s21, 0
.LBB150_2035:
	s_delay_alu instid0(SALU_CYCLE_1)
	s_and_b32 vcc_lo, exec_lo, s21
	s_cbranch_vccz .LBB150_2053
; %bb.2036:
	s_cmp_lt_i32 s0, 27
	s_cbranch_scc1 .LBB150_2039
; %bb.2037:
	s_cmp_gt_i32 s0, 27
	s_cbranch_scc0 .LBB150_2040
; %bb.2038:
	global_load_b32 v3, v[4:5], off
	s_mov_b32 s20, 0
	s_wait_loadcnt 0x0
	v_cvt_f32_u32_e32 v3, v3
	s_delay_alu instid0(VALU_DEP_1)
	v_cvt_f16_f32_e32 v3, v3
	s_branch .LBB150_2041
.LBB150_2039:
	s_mov_b32 s20, -1
                                        ; implicit-def: $vgpr3
	s_branch .LBB150_2044
.LBB150_2040:
	s_mov_b32 s20, -1
                                        ; implicit-def: $vgpr3
.LBB150_2041:
	s_delay_alu instid0(SALU_CYCLE_1)
	s_and_not1_b32 vcc_lo, exec_lo, s20
	s_cbranch_vccnz .LBB150_2043
; %bb.2042:
	global_load_u16 v3, v[4:5], off
	s_wait_loadcnt 0x0
	v_cvt_f16_u16_e32 v3, v3
.LBB150_2043:
	s_mov_b32 s20, 0
.LBB150_2044:
	s_delay_alu instid0(SALU_CYCLE_1)
	s_and_not1_b32 vcc_lo, exec_lo, s20
	s_cbranch_vccnz .LBB150_2052
; %bb.2045:
	global_load_u8 v8, v[4:5], off
	s_mov_b32 s20, 0
	s_mov_b32 s21, exec_lo
	s_wait_loadcnt 0x0
	v_cmpx_lt_i16_e32 0x7f, v8
	s_xor_b32 s21, exec_lo, s21
	s_cbranch_execz .LBB150_2078
; %bb.2046:
	s_mov_b32 s20, -1
	s_mov_b32 s22, exec_lo
	v_cmpx_eq_u16_e32 0x80, v8
; %bb.2047:
	s_xor_b32 s20, exec_lo, -1
; %bb.2048:
	s_or_b32 exec_lo, exec_lo, s22
	s_delay_alu instid0(SALU_CYCLE_1)
	s_and_b32 s20, s20, exec_lo
	s_or_saveexec_b32 s21, s21
	v_mov_b32_e32 v3, 0x7e00
	s_xor_b32 exec_lo, exec_lo, s21
	s_cbranch_execnz .LBB150_2079
.LBB150_2049:
	s_or_b32 exec_lo, exec_lo, s21
	s_and_saveexec_b32 s21, s20
	s_cbranch_execz .LBB150_2051
.LBB150_2050:
	v_and_b32_e32 v3, 0xffff, v8
	s_delay_alu instid0(VALU_DEP_1) | instskip(SKIP_1) | instid1(VALU_DEP_2)
	v_and_b32_e32 v9, 7, v3
	v_bfe_u32 v12, v3, 3, 4
	v_clz_i32_u32_e32 v10, v9
	s_delay_alu instid0(VALU_DEP_2) | instskip(NEXT) | instid1(VALU_DEP_2)
	v_cmp_eq_u32_e32 vcc_lo, 0, v12
	v_min_u32_e32 v10, 32, v10
	s_delay_alu instid0(VALU_DEP_1) | instskip(NEXT) | instid1(VALU_DEP_1)
	v_subrev_nc_u32_e32 v11, 28, v10
	v_dual_lshlrev_b32 v3, v11, v3 :: v_dual_sub_nc_u32 v10, 29, v10
	s_delay_alu instid0(VALU_DEP_1) | instskip(NEXT) | instid1(VALU_DEP_1)
	v_dual_lshlrev_b32 v8, 24, v8 :: v_dual_bitop2_b32 v3, 7, v3 bitop3:0x40
	v_dual_cndmask_b32 v10, v12, v10 :: v_dual_cndmask_b32 v3, v9, v3
	s_delay_alu instid0(VALU_DEP_2) | instskip(NEXT) | instid1(VALU_DEP_2)
	v_and_b32_e32 v8, 0x80000000, v8
	v_lshl_add_u32 v9, v10, 23, 0x3b800000
	s_delay_alu instid0(VALU_DEP_3) | instskip(NEXT) | instid1(VALU_DEP_1)
	v_lshlrev_b32_e32 v3, 20, v3
	v_or3_b32 v3, v8, v9, v3
	s_delay_alu instid0(VALU_DEP_1)
	v_cvt_f16_f32_e32 v3, v3
.LBB150_2051:
	s_or_b32 exec_lo, exec_lo, s21
.LBB150_2052:
	v_mov_b32_e32 v8, 0
	s_mov_b32 s20, -1
.LBB150_2053:
	s_mov_b32 s21, 0
.LBB150_2054:
	s_delay_alu instid0(SALU_CYCLE_1)
	s_and_b32 vcc_lo, exec_lo, s21
	s_cbranch_vccz .LBB150_2065
; %bb.2055:
	s_cmp_gt_i32 s0, 22
	s_cbranch_scc0 .LBB150_2076
; %bb.2056:
	s_cmp_lt_i32 s0, 24
	s_cbranch_scc1 .LBB150_2080
; %bb.2057:
	s_cmp_gt_i32 s0, 24
	s_cbranch_scc0 .LBB150_2082
; %bb.2058:
	global_load_u8 v8, v[4:5], off
	s_mov_b32 s20, exec_lo
	s_wait_loadcnt 0x0
	v_cmpx_lt_i16_e32 0x7f, v8
	s_xor_b32 s20, exec_lo, s20
	s_cbranch_execz .LBB150_2094
; %bb.2059:
	s_mov_b32 s10, -1
	s_mov_b32 s21, exec_lo
	v_cmpx_eq_u16_e32 0x80, v8
; %bb.2060:
	s_xor_b32 s10, exec_lo, -1
; %bb.2061:
	s_or_b32 exec_lo, exec_lo, s21
	s_delay_alu instid0(SALU_CYCLE_1)
	s_and_b32 s10, s10, exec_lo
	s_or_saveexec_b32 s20, s20
	v_mov_b32_e32 v3, 0x7e00
	s_xor_b32 exec_lo, exec_lo, s20
	s_cbranch_execnz .LBB150_2095
.LBB150_2062:
	s_or_b32 exec_lo, exec_lo, s20
	s_and_saveexec_b32 s20, s10
	s_cbranch_execz .LBB150_2064
.LBB150_2063:
	v_and_b32_e32 v3, 0xffff, v8
	s_delay_alu instid0(VALU_DEP_1) | instskip(SKIP_1) | instid1(VALU_DEP_2)
	v_and_b32_e32 v9, 3, v3
	v_bfe_u32 v12, v3, 2, 5
	v_clz_i32_u32_e32 v10, v9
	s_delay_alu instid0(VALU_DEP_2) | instskip(NEXT) | instid1(VALU_DEP_2)
	v_cmp_eq_u32_e32 vcc_lo, 0, v12
	v_min_u32_e32 v10, 32, v10
	s_delay_alu instid0(VALU_DEP_1) | instskip(NEXT) | instid1(VALU_DEP_1)
	v_subrev_nc_u32_e32 v11, 29, v10
	v_dual_lshlrev_b32 v3, v11, v3 :: v_dual_sub_nc_u32 v10, 30, v10
	s_delay_alu instid0(VALU_DEP_1) | instskip(NEXT) | instid1(VALU_DEP_1)
	v_dual_lshlrev_b32 v8, 24, v8 :: v_dual_bitop2_b32 v3, 3, v3 bitop3:0x40
	v_dual_cndmask_b32 v10, v12, v10 :: v_dual_cndmask_b32 v3, v9, v3
	s_delay_alu instid0(VALU_DEP_2) | instskip(NEXT) | instid1(VALU_DEP_2)
	v_and_b32_e32 v8, 0x80000000, v8
	v_lshl_add_u32 v9, v10, 23, 0x37800000
	s_delay_alu instid0(VALU_DEP_3) | instskip(NEXT) | instid1(VALU_DEP_1)
	v_lshlrev_b32_e32 v3, 21, v3
	v_or3_b32 v3, v8, v9, v3
	s_delay_alu instid0(VALU_DEP_1)
	v_cvt_f16_f32_e32 v3, v3
.LBB150_2064:
	s_or_b32 exec_lo, exec_lo, s20
	s_mov_b32 s10, 0
	s_branch .LBB150_2083
.LBB150_2065:
	s_and_b32 vcc_lo, exec_lo, s9
	s_cbranch_vccnz .LBB150_2113
.LBB150_2066:
	s_and_not1_b32 vcc_lo, exec_lo, s10
	s_cbranch_vccnz .LBB150_2068
.LBB150_2067:
	global_load_u8 v3, v[4:5], off
	v_mov_b32_e32 v8, 0
	s_mov_b32 s20, -1
	s_wait_loadcnt 0x0
	v_cmp_ne_u16_e32 vcc_lo, 0, v3
	v_cndmask_b32_e64 v3, 0, 0x3c00, vcc_lo
.LBB150_2068:
	s_mov_b32 s0, 0
.LBB150_2069:
	s_delay_alu instid0(SALU_CYCLE_1)
	s_and_b32 vcc_lo, exec_lo, s0
	s_cbranch_vccz .LBB150_2144
; %bb.2070:
	s_and_b32 s0, 0xffff, s17
	s_delay_alu instid0(SALU_CYCLE_1)
	s_cmp_lt_i32 s0, 5
	s_cbranch_scc1 .LBB150_2075
; %bb.2071:
	s_cmp_lt_i32 s0, 8
	s_cbranch_scc1 .LBB150_2077
; %bb.2072:
	;; [unrolled: 3-line block ×3, first 2 shown]
	s_cmp_gt_i32 s0, 9
	s_cbranch_scc0 .LBB150_2096
; %bb.2074:
	global_load_b128 v[8:11], v[4:5], off
	s_mov_b32 s9, 0
	s_wait_loadcnt 0x0
	v_and_or_b32 v3, 0x1ff, v9, v8
	v_and_or_b32 v10, 0x1ff, v11, v10
	v_dual_lshrrev_b32 v8, 8, v9 :: v_dual_lshrrev_b32 v13, 8, v11
	v_bfe_u32 v12, v9, 20, 11
	s_delay_alu instid0(VALU_DEP_4) | instskip(SKIP_2) | instid1(VALU_DEP_4)
	v_cmp_ne_u32_e32 vcc_lo, 0, v3
	v_bfe_u32 v14, v11, 20, 11
	v_dual_lshrrev_b32 v9, 16, v9 :: v_dual_lshrrev_b32 v11, 16, v11
	v_sub_nc_u32_e32 v15, 0x3f1, v12
	v_cndmask_b32_e64 v3, 0, 1, vcc_lo
	v_cmp_ne_u32_e32 vcc_lo, 0, v10
	v_add_nc_u32_e32 v12, 0xfffffc10, v12
	s_delay_alu instid0(VALU_DEP_3) | instskip(SKIP_1) | instid1(VALU_DEP_1)
	v_and_or_b32 v3, 0xffe, v8, v3
	v_cndmask_b32_e64 v10, 0, 1, vcc_lo
	v_and_or_b32 v10, 0xffe, v13, v10
	v_med3_i32 v13, v15, 0, 13
	s_delay_alu instid0(VALU_DEP_4) | instskip(NEXT) | instid1(VALU_DEP_3)
	v_or_b32_e32 v15, 0x1000, v3
	v_or_b32_e32 v16, 0x1000, v10
	s_delay_alu instid0(VALU_DEP_2) | instskip(NEXT) | instid1(VALU_DEP_1)
	v_lshrrev_b32_e32 v17, v13, v15
	v_lshlrev_b32_e32 v13, v13, v17
	s_delay_alu instid0(VALU_DEP_1) | instskip(SKIP_2) | instid1(VALU_DEP_1)
	v_cmp_ne_u32_e32 vcc_lo, v13, v15
	v_lshl_or_b32 v15, v12, 12, v3
	v_cndmask_b32_e64 v13, 0, 1, vcc_lo
	v_or_b32_e32 v13, v17, v13
	v_sub_nc_u32_e32 v8, 0x3f1, v14
	v_add_nc_u32_e32 v14, 0xfffffc10, v14
	s_delay_alu instid0(VALU_DEP_2) | instskip(NEXT) | instid1(VALU_DEP_1)
	v_med3_i32 v8, v8, 0, 13
	v_lshrrev_b32_e32 v18, v8, v16
	s_delay_alu instid0(VALU_DEP_1) | instskip(NEXT) | instid1(VALU_DEP_1)
	v_lshlrev_b32_e32 v8, v8, v18
	v_cmp_ne_u32_e32 vcc_lo, v8, v16
	v_lshl_or_b32 v16, v14, 12, v10
	v_cndmask_b32_e64 v8, 0, 1, vcc_lo
	v_cmp_gt_i32_e32 vcc_lo, 1, v12
	s_delay_alu instid0(VALU_DEP_2) | instskip(SKIP_1) | instid1(VALU_DEP_2)
	v_dual_cndmask_b32 v13, v15, v13, vcc_lo :: v_dual_bitop2_b32 v8, v18, v8 bitop3:0x54
	v_cmp_gt_i32_e32 vcc_lo, 1, v14
	v_dual_lshrrev_b32 v13, 2, v13 :: v_dual_bitop2_b32 v15, 7, v13 bitop3:0x40
	s_delay_alu instid0(VALU_DEP_3) | instskip(NEXT) | instid1(VALU_DEP_1)
	v_cndmask_b32_e32 v8, v16, v8, vcc_lo
	v_dual_lshrrev_b32 v8, 2, v8 :: v_dual_bitop2_b32 v16, 7, v8 bitop3:0x40
	s_delay_alu instid0(VALU_DEP_3) | instskip(SKIP_4) | instid1(VALU_DEP_2)
	v_cmp_lt_i32_e32 vcc_lo, 5, v15
	v_cndmask_b32_e64 v17, 0, 1, vcc_lo
	v_cmp_eq_u32_e32 vcc_lo, 3, v15
	v_cndmask_b32_e64 v15, 0, 1, vcc_lo
	v_cmp_lt_i32_e32 vcc_lo, 5, v16
	v_or_b32_e32 v15, v15, v17
	v_cndmask_b32_e64 v18, 0, 1, vcc_lo
	v_cmp_eq_u32_e32 vcc_lo, 3, v16
	s_delay_alu instid0(VALU_DEP_3) | instskip(SKIP_2) | instid1(VALU_DEP_2)
	v_add_nc_u32_e32 v13, v13, v15
	v_cndmask_b32_e64 v16, 0, 1, vcc_lo
	v_cmp_ne_u32_e32 vcc_lo, 0, v3
	v_or_b32_e32 v16, v16, v18
	s_delay_alu instid0(VALU_DEP_1) | instskip(NEXT) | instid1(VALU_DEP_1)
	v_dual_mov_b32 v19, 0x7e00 :: v_dual_add_nc_u32 v8, v8, v16
	v_cndmask_b32_e32 v3, 0x7c00, v19, vcc_lo
	v_cmp_ne_u32_e32 vcc_lo, 0, v10
	v_cndmask_b32_e32 v10, 0x7c00, v19, vcc_lo
	v_cmp_gt_i32_e32 vcc_lo, 31, v12
	v_cndmask_b32_e32 v13, 0x7c00, v13, vcc_lo
	v_cmp_gt_i32_e32 vcc_lo, 31, v14
	v_cndmask_b32_e32 v8, 0x7c00, v8, vcc_lo
	v_cmp_eq_u32_e32 vcc_lo, 0x40f, v12
	s_delay_alu instid0(VALU_DEP_4) | instskip(SKIP_1) | instid1(VALU_DEP_2)
	v_cndmask_b32_e32 v3, v13, v3, vcc_lo
	v_cmp_eq_u32_e32 vcc_lo, 0x40f, v14
	v_and_or_b32 v3, 0x8000, v9, v3
	v_cndmask_b32_e32 v8, v8, v10, vcc_lo
	s_delay_alu instid0(VALU_DEP_1)
	v_and_or_b32 v8, 0x8000, v11, v8
	s_branch .LBB150_2097
.LBB150_2075:
	s_mov_b32 s9, -1
                                        ; implicit-def: $vgpr8
                                        ; implicit-def: $vgpr3
	s_branch .LBB150_2122
.LBB150_2076:
	s_mov_b32 s10, -1
                                        ; implicit-def: $vgpr3
	s_branch .LBB150_2089
.LBB150_2077:
	s_mov_b32 s9, -1
                                        ; implicit-def: $vgpr8
                                        ; implicit-def: $vgpr3
	s_branch .LBB150_2103
.LBB150_2078:
	s_or_saveexec_b32 s21, s21
	v_mov_b32_e32 v3, 0x7e00
	s_xor_b32 exec_lo, exec_lo, s21
	s_cbranch_execz .LBB150_2049
.LBB150_2079:
	v_cmp_ne_u16_e32 vcc_lo, 0, v8
	v_mov_b32_e32 v3, v8
	s_and_not1_b32 s20, s20, exec_lo
	s_and_b32 s22, vcc_lo, exec_lo
	s_delay_alu instid0(SALU_CYCLE_1)
	s_or_b32 s20, s20, s22
	s_or_b32 exec_lo, exec_lo, s21
	s_and_saveexec_b32 s21, s20
	s_cbranch_execnz .LBB150_2050
	s_branch .LBB150_2051
.LBB150_2080:
	s_mov_b32 s10, -1
                                        ; implicit-def: $vgpr3
	s_branch .LBB150_2086
.LBB150_2081:
	s_mov_b32 s9, -1
                                        ; implicit-def: $vgpr8
                                        ; implicit-def: $vgpr3
	s_branch .LBB150_2100
.LBB150_2082:
	s_mov_b32 s10, -1
                                        ; implicit-def: $vgpr3
.LBB150_2083:
	s_delay_alu instid0(SALU_CYCLE_1)
	s_and_b32 vcc_lo, exec_lo, s10
	s_cbranch_vccz .LBB150_2085
; %bb.2084:
	global_load_u8 v3, v[4:5], off
	s_wait_loadcnt 0x0
	v_lshlrev_b32_e32 v3, 24, v3
	s_delay_alu instid0(VALU_DEP_1) | instskip(NEXT) | instid1(VALU_DEP_1)
	v_and_b32_e32 v8, 0x7f000000, v3
	v_clz_i32_u32_e32 v9, v8
	v_cmp_ne_u32_e32 vcc_lo, 0, v8
	v_add_nc_u32_e32 v11, 0x1000000, v8
	s_delay_alu instid0(VALU_DEP_3) | instskip(NEXT) | instid1(VALU_DEP_1)
	v_min_u32_e32 v9, 32, v9
	v_sub_nc_u32_e64 v9, v9, 4 clamp
	s_delay_alu instid0(VALU_DEP_1) | instskip(NEXT) | instid1(VALU_DEP_1)
	v_dual_lshlrev_b32 v10, v9, v8 :: v_dual_lshlrev_b32 v9, 23, v9
	v_lshrrev_b32_e32 v10, 4, v10
	s_delay_alu instid0(VALU_DEP_1) | instskip(NEXT) | instid1(VALU_DEP_1)
	v_dual_sub_nc_u32 v9, v10, v9 :: v_dual_ashrrev_i32 v10, 8, v11
	v_add_nc_u32_e32 v9, 0x3c000000, v9
	s_delay_alu instid0(VALU_DEP_1) | instskip(NEXT) | instid1(VALU_DEP_1)
	v_and_or_b32 v9, 0x7f800000, v10, v9
	v_cndmask_b32_e32 v8, 0, v9, vcc_lo
	s_delay_alu instid0(VALU_DEP_1) | instskip(NEXT) | instid1(VALU_DEP_1)
	v_and_or_b32 v3, 0x80000000, v3, v8
	v_cvt_f16_f32_e32 v3, v3
.LBB150_2085:
	s_mov_b32 s10, 0
.LBB150_2086:
	s_delay_alu instid0(SALU_CYCLE_1)
	s_and_not1_b32 vcc_lo, exec_lo, s10
	s_cbranch_vccnz .LBB150_2088
; %bb.2087:
	global_load_u8 v3, v[4:5], off
	s_wait_loadcnt 0x0
	v_lshlrev_b32_e32 v8, 25, v3
	v_lshlrev_b16 v3, 8, v3
	s_delay_alu instid0(VALU_DEP_1) | instskip(SKIP_1) | instid1(VALU_DEP_2)
	v_and_or_b32 v10, 0x7f00, v3, 0.5
	v_bfe_i32 v3, v3, 0, 16
	v_dual_add_f32 v10, -0.5, v10 :: v_dual_lshrrev_b32 v9, 4, v8
	v_cmp_gt_u32_e32 vcc_lo, 0x8000000, v8
	s_delay_alu instid0(VALU_DEP_2) | instskip(NEXT) | instid1(VALU_DEP_1)
	v_or_b32_e32 v9, 0x70000000, v9
	v_mul_f32_e32 v9, 0x7800000, v9
	s_delay_alu instid0(VALU_DEP_1) | instskip(NEXT) | instid1(VALU_DEP_1)
	v_cndmask_b32_e32 v8, v9, v10, vcc_lo
	v_and_or_b32 v3, 0x80000000, v3, v8
	s_delay_alu instid0(VALU_DEP_1)
	v_cvt_f16_f32_e32 v3, v3
.LBB150_2088:
	s_mov_b32 s10, 0
	s_mov_b32 s20, -1
.LBB150_2089:
	s_and_not1_b32 vcc_lo, exec_lo, s10
	s_mov_b32 s10, 0
	s_cbranch_vccnz .LBB150_2112
; %bb.2090:
	s_cmp_gt_i32 s0, 14
	s_cbranch_scc0 .LBB150_2093
; %bb.2091:
	s_cmp_eq_u32 s0, 15
	s_cbranch_scc0 .LBB150_2108
; %bb.2092:
	global_load_u16 v3, v[4:5], off
	s_mov_b32 s9, 0
	s_mov_b32 s20, -1
	s_wait_loadcnt 0x0
	v_lshlrev_b32_e32 v3, 16, v3
	s_delay_alu instid0(VALU_DEP_1)
	v_cvt_f16_f32_e32 v3, v3
	s_branch .LBB150_2110
.LBB150_2093:
	s_mov_b32 s10, -1
	s_branch .LBB150_2109
.LBB150_2094:
	s_or_saveexec_b32 s20, s20
	v_mov_b32_e32 v3, 0x7e00
	s_xor_b32 exec_lo, exec_lo, s20
	s_cbranch_execz .LBB150_2062
.LBB150_2095:
	v_cmp_ne_u16_e32 vcc_lo, 0, v8
	v_mov_b32_e32 v3, v8
	s_and_not1_b32 s10, s10, exec_lo
	s_and_b32 s21, vcc_lo, exec_lo
	s_delay_alu instid0(SALU_CYCLE_1)
	s_or_b32 s10, s10, s21
	s_or_b32 exec_lo, exec_lo, s20
	s_and_saveexec_b32 s20, s10
	s_cbranch_execnz .LBB150_2063
	s_branch .LBB150_2064
.LBB150_2096:
	s_mov_b32 s9, -1
                                        ; implicit-def: $vgpr8
                                        ; implicit-def: $vgpr3
.LBB150_2097:
	s_delay_alu instid0(SALU_CYCLE_1)
	s_and_not1_b32 vcc_lo, exec_lo, s9
	s_cbranch_vccnz .LBB150_2099
; %bb.2098:
	global_load_b64 v[8:9], v[4:5], off
	s_wait_loadcnt 0x0
	v_cvt_f16_f32_e32 v3, v8
	v_cvt_f16_f32_e32 v8, v9
.LBB150_2099:
	s_mov_b32 s9, 0
.LBB150_2100:
	s_delay_alu instid0(SALU_CYCLE_1)
	s_and_not1_b32 vcc_lo, exec_lo, s9
	s_cbranch_vccnz .LBB150_2102
; %bb.2101:
	global_load_b32 v3, v[4:5], off
	s_wait_loadcnt 0x0
	v_lshrrev_b32_e32 v8, 16, v3
.LBB150_2102:
	s_mov_b32 s9, 0
.LBB150_2103:
	s_delay_alu instid0(SALU_CYCLE_1)
	s_and_not1_b32 vcc_lo, exec_lo, s9
	s_cbranch_vccnz .LBB150_2121
; %bb.2104:
	s_cmp_lt_i32 s0, 6
	s_cbranch_scc1 .LBB150_2107
; %bb.2105:
	s_cmp_gt_i32 s0, 6
	s_cbranch_scc0 .LBB150_2114
; %bb.2106:
	global_load_b64 v[8:9], v[4:5], off
	s_mov_b32 s9, 0
	s_wait_loadcnt 0x0
	v_and_or_b32 v3, 0x1ff, v9, v8
	v_lshrrev_b32_e32 v8, 8, v9
	v_bfe_u32 v10, v9, 20, 11
	s_delay_alu instid0(VALU_DEP_3) | instskip(NEXT) | instid1(VALU_DEP_2)
	v_cmp_ne_u32_e32 vcc_lo, 0, v3
	v_sub_nc_u32_e32 v11, 0x3f1, v10
	v_add_nc_u32_e32 v10, 0xfffffc10, v10
	v_cndmask_b32_e64 v3, 0, 1, vcc_lo
	s_delay_alu instid0(VALU_DEP_1) | instskip(NEXT) | instid1(VALU_DEP_4)
	v_and_or_b32 v3, 0xffe, v8, v3
	v_med3_i32 v8, v11, 0, 13
	s_delay_alu instid0(VALU_DEP_2) | instskip(NEXT) | instid1(VALU_DEP_1)
	v_or_b32_e32 v11, 0x1000, v3
	v_lshrrev_b32_e32 v12, v8, v11
	s_delay_alu instid0(VALU_DEP_1) | instskip(NEXT) | instid1(VALU_DEP_1)
	v_lshlrev_b32_e32 v8, v8, v12
	v_cmp_ne_u32_e32 vcc_lo, v8, v11
	v_lshl_or_b32 v11, v10, 12, v3
	v_cndmask_b32_e64 v8, 0, 1, vcc_lo
	v_cmp_gt_i32_e32 vcc_lo, 1, v10
	s_delay_alu instid0(VALU_DEP_2) | instskip(NEXT) | instid1(VALU_DEP_1)
	v_or_b32_e32 v8, v12, v8
	v_cndmask_b32_e32 v8, v11, v8, vcc_lo
	s_delay_alu instid0(VALU_DEP_1) | instskip(NEXT) | instid1(VALU_DEP_1)
	v_dual_lshrrev_b32 v8, 2, v8 :: v_dual_bitop2_b32 v11, 7, v8 bitop3:0x40
	v_cmp_lt_i32_e32 vcc_lo, 5, v11
	v_cndmask_b32_e64 v12, 0, 1, vcc_lo
	v_cmp_eq_u32_e32 vcc_lo, 3, v11
	v_cndmask_b32_e64 v11, 0, 1, vcc_lo
	v_cmp_ne_u32_e32 vcc_lo, 0, v3
	s_delay_alu instid0(VALU_DEP_2) | instskip(SKIP_1) | instid1(VALU_DEP_1)
	v_or_b32_e32 v11, v11, v12
	v_mov_b32_e32 v12, 0x7e00
	v_dual_cndmask_b32 v3, 0x7c00, v12 :: v_dual_add_nc_u32 v8, v8, v11
	v_cmp_gt_i32_e32 vcc_lo, 31, v10
	s_delay_alu instid0(VALU_DEP_2) | instskip(SKIP_1) | instid1(VALU_DEP_2)
	v_cndmask_b32_e32 v8, 0x7c00, v8, vcc_lo
	v_cmp_eq_u32_e32 vcc_lo, 0x40f, v10
	v_dual_cndmask_b32 v3, v8, v3 :: v_dual_lshrrev_b32 v8, 16, v9
	s_delay_alu instid0(VALU_DEP_1)
	v_and_or_b32 v3, 0x8000, v8, v3
	s_branch .LBB150_2115
.LBB150_2107:
	s_mov_b32 s9, -1
                                        ; implicit-def: $vgpr3
	s_branch .LBB150_2118
.LBB150_2108:
	s_mov_b32 s9, -1
.LBB150_2109:
                                        ; implicit-def: $vgpr3
.LBB150_2110:
	s_and_b32 vcc_lo, exec_lo, s10
	s_mov_b32 s10, 0
	s_cbranch_vccz .LBB150_2112
; %bb.2111:
	s_cmp_lg_u32 s0, 11
	s_mov_b32 s10, -1
	s_cselect_b32 s9, -1, 0
.LBB150_2112:
	v_mov_b32_e32 v8, 0
	s_and_b32 vcc_lo, exec_lo, s9
	s_cbranch_vccz .LBB150_2066
.LBB150_2113:
	s_or_b32 s13, s13, exec_lo
	s_trap 2
	s_cbranch_execz .LBB150_2067
	s_branch .LBB150_2068
.LBB150_2114:
	s_mov_b32 s9, -1
                                        ; implicit-def: $vgpr3
.LBB150_2115:
	s_delay_alu instid0(SALU_CYCLE_1)
	s_and_not1_b32 vcc_lo, exec_lo, s9
	s_cbranch_vccnz .LBB150_2117
; %bb.2116:
	global_load_b32 v3, v[4:5], off
	s_wait_loadcnt 0x0
	v_cvt_f16_f32_e32 v3, v3
.LBB150_2117:
	s_mov_b32 s9, 0
.LBB150_2118:
	s_delay_alu instid0(SALU_CYCLE_1)
	s_and_not1_b32 vcc_lo, exec_lo, s9
	s_cbranch_vccnz .LBB150_2120
; %bb.2119:
	global_load_u16 v3, v[4:5], off
.LBB150_2120:
	v_mov_b32_e32 v8, 0
.LBB150_2121:
	s_mov_b32 s9, 0
.LBB150_2122:
	s_delay_alu instid0(SALU_CYCLE_1)
	s_and_not1_b32 vcc_lo, exec_lo, s9
	s_cbranch_vccnz .LBB150_2143
; %bb.2123:
	s_cmp_lt_i32 s0, 2
	s_cbranch_scc1 .LBB150_2127
; %bb.2124:
	s_cmp_lt_i32 s0, 3
	s_cbranch_scc1 .LBB150_2128
; %bb.2125:
	s_cmp_gt_i32 s0, 3
	s_cbranch_scc0 .LBB150_2129
; %bb.2126:
	global_load_b64 v[8:9], v[4:5], off
	s_mov_b32 s9, 0
	s_wait_loadcnt 0x0
	v_xor_b32_e32 v3, v8, v9
	v_cls_i32_e32 v10, v9
	s_delay_alu instid0(VALU_DEP_2) | instskip(NEXT) | instid1(VALU_DEP_1)
	v_ashrrev_i32_e32 v3, 31, v3
	v_add_nc_u32_e32 v3, 32, v3
	s_delay_alu instid0(VALU_DEP_1) | instskip(NEXT) | instid1(VALU_DEP_1)
	v_add_min_u32_e64 v3, v10, -1, v3
	v_lshlrev_b64_e32 v[8:9], v3, v[8:9]
	v_sub_nc_u32_e32 v3, 32, v3
	s_delay_alu instid0(VALU_DEP_2) | instskip(NEXT) | instid1(VALU_DEP_1)
	v_min_u32_e32 v8, 1, v8
	v_or_b32_e32 v8, v9, v8
	s_delay_alu instid0(VALU_DEP_1) | instskip(NEXT) | instid1(VALU_DEP_1)
	v_cvt_f32_i32_e32 v8, v8
	v_ldexp_f32 v3, v8, v3
	s_delay_alu instid0(VALU_DEP_1)
	v_cvt_f16_f32_e32 v3, v3
	s_branch .LBB150_2130
.LBB150_2127:
	s_mov_b32 s9, -1
                                        ; implicit-def: $vgpr3
	s_branch .LBB150_2136
.LBB150_2128:
	s_mov_b32 s9, -1
                                        ; implicit-def: $vgpr3
	s_branch .LBB150_2133
.LBB150_2129:
	s_mov_b32 s9, -1
                                        ; implicit-def: $vgpr3
.LBB150_2130:
	s_delay_alu instid0(SALU_CYCLE_1)
	s_and_not1_b32 vcc_lo, exec_lo, s9
	s_cbranch_vccnz .LBB150_2132
; %bb.2131:
	s_wait_loadcnt 0x0
	global_load_b32 v3, v[4:5], off
	s_wait_loadcnt 0x0
	v_cvt_f32_i32_e32 v3, v3
	s_delay_alu instid0(VALU_DEP_1)
	v_cvt_f16_f32_e32 v3, v3
.LBB150_2132:
	s_mov_b32 s9, 0
.LBB150_2133:
	s_delay_alu instid0(SALU_CYCLE_1)
	s_and_not1_b32 vcc_lo, exec_lo, s9
	s_cbranch_vccnz .LBB150_2135
; %bb.2134:
	s_wait_loadcnt 0x0
	global_load_u16 v3, v[4:5], off
	s_wait_loadcnt 0x0
	v_cvt_f16_i16_e32 v3, v3
.LBB150_2135:
	s_mov_b32 s9, 0
.LBB150_2136:
	s_delay_alu instid0(SALU_CYCLE_1)
	s_and_not1_b32 vcc_lo, exec_lo, s9
	s_cbranch_vccnz .LBB150_2142
; %bb.2137:
	s_cmp_gt_i32 s0, 0
	s_mov_b32 s0, 0
	s_cbranch_scc0 .LBB150_2139
; %bb.2138:
	s_wait_loadcnt 0x0
	global_load_i8 v3, v[4:5], off
	s_wait_loadcnt 0x0
	v_cvt_f16_i16_e32 v3, v3
	s_branch .LBB150_2140
.LBB150_2139:
	s_mov_b32 s0, -1
                                        ; implicit-def: $vgpr3
.LBB150_2140:
	s_delay_alu instid0(SALU_CYCLE_1)
	s_and_not1_b32 vcc_lo, exec_lo, s0
	s_cbranch_vccnz .LBB150_2142
; %bb.2141:
	s_wait_loadcnt 0x0
	global_load_u8 v3, v[4:5], off
	s_wait_loadcnt 0x0
	v_cvt_f16_u16_e32 v3, v3
.LBB150_2142:
	v_mov_b32_e32 v8, 0
.LBB150_2143:
	s_mov_b32 s20, -1
.LBB150_2144:
	s_delay_alu instid0(SALU_CYCLE_1)
	s_and_not1_b32 vcc_lo, exec_lo, s20
	s_cbranch_vccnz .LBB150_2703
; %bb.2145:
	s_and_b32 vcc_lo, exec_lo, s11
	s_cbranch_vccz .LBB150_2147
; %bb.2146:
	s_wait_loadcnt 0x0
	v_cmp_neq_f16_e32 vcc_lo, v1, v3
	v_cmp_neq_f16_e64 s0, v7, v8
	s_or_b32 s9, vcc_lo, s0
	s_mov_b32 s0, 0
	s_branch .LBB150_2148
.LBB150_2147:
	s_mov_b32 s0, -1
                                        ; implicit-def: $sgpr9
.LBB150_2148:
	s_delay_alu instid0(SALU_CYCLE_1)
	s_and_not1_b32 vcc_lo, exec_lo, s0
	s_cbranch_vccnz .LBB150_2150
; %bb.2149:
	s_wait_loadcnt 0x0
	v_cmp_eq_f16_e32 vcc_lo, v1, v3
	v_cmp_eq_f16_e64 s0, v7, v8
	s_and_not1_b32 s9, s9, exec_lo
	s_and_b32 s0, vcc_lo, s0
	s_delay_alu instid0(SALU_CYCLE_1) | instskip(NEXT) | instid1(SALU_CYCLE_1)
	s_and_b32 s0, s0, exec_lo
	s_or_b32 s9, s9, s0
.LBB150_2150:
	v_add_nc_u32_e32 v0, s18, v0
	s_cmp_lt_i32 s14, 11
	s_wait_loadcnt 0x0
	s_delay_alu instid0(VALU_DEP_1) | instskip(SKIP_1) | instid1(VALU_DEP_1)
	v_ashrrev_i32_e32 v1, 31, v0
	s_wait_xcnt 0x0
	v_add_nc_u64_e32 v[4:5], s[6:7], v[0:1]
	s_cbranch_scc1 .LBB150_2157
; %bb.2151:
	s_and_b32 s0, 0xffff, s14
	s_mov_b32 s20, 0
	s_cmp_gt_i32 s0, 25
	s_cbranch_scc0 .LBB150_2158
; %bb.2152:
	s_cmp_gt_i32 s0, 28
	s_cbranch_scc0 .LBB150_2159
; %bb.2153:
	;; [unrolled: 3-line block ×4, first 2 shown]
	s_cmp_eq_u32 s0, 46
	s_mov_b32 s22, 0
	s_cbranch_scc0 .LBB150_2162
; %bb.2156:
	global_load_b32 v1, v[4:5], off
	s_mov_b32 s10, 0
	s_mov_b32 s21, -1
	s_wait_loadcnt 0x0
	v_lshlrev_b32_e32 v3, 16, v1
	v_and_b32_e32 v7, 0xffff0000, v1
	s_delay_alu instid0(VALU_DEP_2) | instskip(NEXT) | instid1(VALU_DEP_2)
	v_cvt_f16_f32_e32 v1, v3
	v_cvt_f16_f32_e32 v7, v7
	s_branch .LBB150_2164
.LBB150_2157:
	s_mov_b32 s0, -1
	s_mov_b32 s21, 0
                                        ; implicit-def: $vgpr7
                                        ; implicit-def: $vgpr1
	s_branch .LBB150_2210
.LBB150_2158:
	s_mov_b32 s22, -1
	s_mov_b32 s21, 0
	s_mov_b32 s10, 0
                                        ; implicit-def: $vgpr7
                                        ; implicit-def: $vgpr1
	s_branch .LBB150_2195
.LBB150_2159:
	s_mov_b32 s22, -1
	s_mov_b32 s21, 0
	s_mov_b32 s10, 0
                                        ; implicit-def: $vgpr7
                                        ; implicit-def: $vgpr1
	s_branch .LBB150_2176
.LBB150_2160:
	s_mov_b32 s22, -1
	s_mov_b32 s21, 0
	s_mov_b32 s10, 0
                                        ; implicit-def: $vgpr7
                                        ; implicit-def: $vgpr1
	s_branch .LBB150_2170
.LBB150_2161:
	s_mov_b32 s22, -1
	s_mov_b32 s21, 0
	s_mov_b32 s10, 0
	s_branch .LBB150_2163
.LBB150_2162:
	s_mov_b32 s10, -1
	s_mov_b32 s21, 0
.LBB150_2163:
                                        ; implicit-def: $vgpr7
                                        ; implicit-def: $vgpr1
.LBB150_2164:
	s_and_b32 vcc_lo, exec_lo, s22
	s_cbranch_vccz .LBB150_2169
; %bb.2165:
	s_cmp_eq_u32 s0, 44
	s_cbranch_scc0 .LBB150_2167
; %bb.2166:
	global_load_u8 v1, v[4:5], off
	s_mov_b32 s10, 0
	s_mov_b32 s21, -1
	s_wait_loadcnt 0x0
	v_lshlrev_b32_e32 v3, 23, v1
	v_cmp_ne_u32_e32 vcc_lo, 0xff, v1
	s_delay_alu instid0(VALU_DEP_2) | instskip(NEXT) | instid1(VALU_DEP_1)
	v_cvt_f16_f32_e32 v3, v3
	v_cndmask_b32_e32 v3, 0x7e00, v3, vcc_lo
	v_cmp_ne_u32_e32 vcc_lo, 0, v1
	s_delay_alu instid0(VALU_DEP_2)
	v_cndmask_b32_e32 v1, 0, v3, vcc_lo
	s_branch .LBB150_2168
.LBB150_2167:
	s_mov_b32 s10, -1
                                        ; implicit-def: $vgpr1
.LBB150_2168:
	v_mov_b32_e32 v7, 0
.LBB150_2169:
	s_mov_b32 s22, 0
.LBB150_2170:
	s_delay_alu instid0(SALU_CYCLE_1)
	s_and_b32 vcc_lo, exec_lo, s22
	s_cbranch_vccz .LBB150_2175
; %bb.2171:
	s_cmp_eq_u32 s0, 29
	s_cbranch_scc0 .LBB150_2173
; %bb.2172:
	global_load_b64 v[8:9], v[4:5], off
	s_mov_b32 s10, 0
	s_mov_b32 s21, -1
	s_wait_loadcnt 0x0
	v_clz_i32_u32_e32 v1, v9
	s_delay_alu instid0(VALU_DEP_1) | instskip(NEXT) | instid1(VALU_DEP_1)
	v_min_u32_e32 v1, 32, v1
	v_lshlrev_b64_e32 v[8:9], v1, v[8:9]
	v_sub_nc_u32_e32 v1, 32, v1
	s_delay_alu instid0(VALU_DEP_2) | instskip(NEXT) | instid1(VALU_DEP_1)
	v_min_u32_e32 v3, 1, v8
	v_or_b32_e32 v3, v9, v3
	s_delay_alu instid0(VALU_DEP_1) | instskip(NEXT) | instid1(VALU_DEP_1)
	v_cvt_f32_u32_e32 v3, v3
	v_ldexp_f32 v1, v3, v1
	s_delay_alu instid0(VALU_DEP_1)
	v_cvt_f16_f32_e32 v1, v1
	s_branch .LBB150_2174
.LBB150_2173:
	s_mov_b32 s10, -1
                                        ; implicit-def: $vgpr1
.LBB150_2174:
	v_mov_b32_e32 v7, 0
.LBB150_2175:
	s_mov_b32 s22, 0
.LBB150_2176:
	s_delay_alu instid0(SALU_CYCLE_1)
	s_and_b32 vcc_lo, exec_lo, s22
	s_cbranch_vccz .LBB150_2194
; %bb.2177:
	s_cmp_lt_i32 s0, 27
	s_cbranch_scc1 .LBB150_2180
; %bb.2178:
	s_cmp_gt_i32 s0, 27
	s_cbranch_scc0 .LBB150_2181
; %bb.2179:
	global_load_b32 v1, v[4:5], off
	s_mov_b32 s21, 0
	s_wait_loadcnt 0x0
	v_cvt_f32_u32_e32 v1, v1
	s_delay_alu instid0(VALU_DEP_1)
	v_cvt_f16_f32_e32 v1, v1
	s_branch .LBB150_2182
.LBB150_2180:
	s_mov_b32 s21, -1
                                        ; implicit-def: $vgpr1
	s_branch .LBB150_2185
.LBB150_2181:
	s_mov_b32 s21, -1
                                        ; implicit-def: $vgpr1
.LBB150_2182:
	s_delay_alu instid0(SALU_CYCLE_1)
	s_and_not1_b32 vcc_lo, exec_lo, s21
	s_cbranch_vccnz .LBB150_2184
; %bb.2183:
	global_load_u16 v1, v[4:5], off
	s_wait_loadcnt 0x0
	v_cvt_f16_u16_e32 v1, v1
.LBB150_2184:
	s_mov_b32 s21, 0
.LBB150_2185:
	s_delay_alu instid0(SALU_CYCLE_1)
	s_and_not1_b32 vcc_lo, exec_lo, s21
	s_cbranch_vccnz .LBB150_2193
; %bb.2186:
	global_load_u8 v3, v[4:5], off
	s_mov_b32 s21, 0
	s_mov_b32 s22, exec_lo
	s_wait_loadcnt 0x0
	v_cmpx_lt_i16_e32 0x7f, v3
	s_xor_b32 s22, exec_lo, s22
	s_cbranch_execz .LBB150_2219
; %bb.2187:
	s_mov_b32 s21, -1
	s_mov_b32 s23, exec_lo
	v_cmpx_eq_u16_e32 0x80, v3
; %bb.2188:
	s_xor_b32 s21, exec_lo, -1
; %bb.2189:
	s_or_b32 exec_lo, exec_lo, s23
	s_delay_alu instid0(SALU_CYCLE_1)
	s_and_b32 s21, s21, exec_lo
	s_or_saveexec_b32 s22, s22
	v_mov_b32_e32 v1, 0x7e00
	s_xor_b32 exec_lo, exec_lo, s22
	s_cbranch_execnz .LBB150_2220
.LBB150_2190:
	s_or_b32 exec_lo, exec_lo, s22
	s_and_saveexec_b32 s22, s21
	s_cbranch_execz .LBB150_2192
.LBB150_2191:
	v_and_b32_e32 v1, 0xffff, v3
	s_delay_alu instid0(VALU_DEP_1) | instskip(SKIP_1) | instid1(VALU_DEP_2)
	v_and_b32_e32 v7, 7, v1
	v_bfe_u32 v10, v1, 3, 4
	v_clz_i32_u32_e32 v8, v7
	s_delay_alu instid0(VALU_DEP_2) | instskip(NEXT) | instid1(VALU_DEP_2)
	v_cmp_eq_u32_e32 vcc_lo, 0, v10
	v_min_u32_e32 v8, 32, v8
	s_delay_alu instid0(VALU_DEP_1) | instskip(NEXT) | instid1(VALU_DEP_1)
	v_subrev_nc_u32_e32 v9, 28, v8
	v_dual_lshlrev_b32 v1, v9, v1 :: v_dual_sub_nc_u32 v8, 29, v8
	s_delay_alu instid0(VALU_DEP_1) | instskip(NEXT) | instid1(VALU_DEP_1)
	v_dual_lshlrev_b32 v3, 24, v3 :: v_dual_bitop2_b32 v1, 7, v1 bitop3:0x40
	v_dual_cndmask_b32 v8, v10, v8 :: v_dual_cndmask_b32 v1, v7, v1
	s_delay_alu instid0(VALU_DEP_2) | instskip(NEXT) | instid1(VALU_DEP_2)
	v_and_b32_e32 v3, 0x80000000, v3
	v_lshl_add_u32 v7, v8, 23, 0x3b800000
	s_delay_alu instid0(VALU_DEP_3) | instskip(NEXT) | instid1(VALU_DEP_1)
	v_lshlrev_b32_e32 v1, 20, v1
	v_or3_b32 v1, v3, v7, v1
	s_delay_alu instid0(VALU_DEP_1)
	v_cvt_f16_f32_e32 v1, v1
.LBB150_2192:
	s_or_b32 exec_lo, exec_lo, s22
.LBB150_2193:
	v_mov_b32_e32 v7, 0
	s_mov_b32 s21, -1
.LBB150_2194:
	s_mov_b32 s22, 0
.LBB150_2195:
	s_delay_alu instid0(SALU_CYCLE_1)
	s_and_b32 vcc_lo, exec_lo, s22
	s_cbranch_vccz .LBB150_2206
; %bb.2196:
	s_cmp_gt_i32 s0, 22
	s_cbranch_scc0 .LBB150_2217
; %bb.2197:
	s_cmp_lt_i32 s0, 24
	s_cbranch_scc1 .LBB150_2221
; %bb.2198:
	s_cmp_gt_i32 s0, 24
	s_cbranch_scc0 .LBB150_2223
; %bb.2199:
	global_load_u8 v3, v[4:5], off
	s_mov_b32 s21, exec_lo
	s_wait_loadcnt 0x0
	v_cmpx_lt_i16_e32 0x7f, v3
	s_xor_b32 s21, exec_lo, s21
	s_cbranch_execz .LBB150_2235
; %bb.2200:
	s_mov_b32 s20, -1
	s_mov_b32 s22, exec_lo
	v_cmpx_eq_u16_e32 0x80, v3
; %bb.2201:
	s_xor_b32 s20, exec_lo, -1
; %bb.2202:
	s_or_b32 exec_lo, exec_lo, s22
	s_delay_alu instid0(SALU_CYCLE_1)
	s_and_b32 s20, s20, exec_lo
	s_or_saveexec_b32 s21, s21
	v_mov_b32_e32 v1, 0x7e00
	s_xor_b32 exec_lo, exec_lo, s21
	s_cbranch_execnz .LBB150_2236
.LBB150_2203:
	s_or_b32 exec_lo, exec_lo, s21
	s_and_saveexec_b32 s21, s20
	s_cbranch_execz .LBB150_2205
.LBB150_2204:
	v_and_b32_e32 v1, 0xffff, v3
	s_delay_alu instid0(VALU_DEP_1) | instskip(SKIP_1) | instid1(VALU_DEP_2)
	v_and_b32_e32 v7, 3, v1
	v_bfe_u32 v10, v1, 2, 5
	v_clz_i32_u32_e32 v8, v7
	s_delay_alu instid0(VALU_DEP_2) | instskip(NEXT) | instid1(VALU_DEP_2)
	v_cmp_eq_u32_e32 vcc_lo, 0, v10
	v_min_u32_e32 v8, 32, v8
	s_delay_alu instid0(VALU_DEP_1) | instskip(NEXT) | instid1(VALU_DEP_1)
	v_subrev_nc_u32_e32 v9, 29, v8
	v_dual_lshlrev_b32 v1, v9, v1 :: v_dual_sub_nc_u32 v8, 30, v8
	s_delay_alu instid0(VALU_DEP_1) | instskip(NEXT) | instid1(VALU_DEP_1)
	v_dual_lshlrev_b32 v3, 24, v3 :: v_dual_bitop2_b32 v1, 3, v1 bitop3:0x40
	v_dual_cndmask_b32 v8, v10, v8 :: v_dual_cndmask_b32 v1, v7, v1
	s_delay_alu instid0(VALU_DEP_2) | instskip(NEXT) | instid1(VALU_DEP_2)
	v_and_b32_e32 v3, 0x80000000, v3
	v_lshl_add_u32 v7, v8, 23, 0x37800000
	s_delay_alu instid0(VALU_DEP_3) | instskip(NEXT) | instid1(VALU_DEP_1)
	v_lshlrev_b32_e32 v1, 21, v1
	v_or3_b32 v1, v3, v7, v1
	s_delay_alu instid0(VALU_DEP_1)
	v_cvt_f16_f32_e32 v1, v1
.LBB150_2205:
	s_or_b32 exec_lo, exec_lo, s21
	s_mov_b32 s20, 0
	s_branch .LBB150_2224
.LBB150_2206:
	s_and_b32 vcc_lo, exec_lo, s10
	s_cbranch_vccnz .LBB150_2254
.LBB150_2207:
	s_and_not1_b32 vcc_lo, exec_lo, s20
	s_cbranch_vccnz .LBB150_2209
.LBB150_2208:
	global_load_u8 v1, v[4:5], off
	v_mov_b32_e32 v7, 0
	s_mov_b32 s21, -1
	s_wait_loadcnt 0x0
	v_cmp_ne_u16_e32 vcc_lo, 0, v1
	v_cndmask_b32_e64 v1, 0, 0x3c00, vcc_lo
.LBB150_2209:
	s_mov_b32 s0, 0
.LBB150_2210:
	s_delay_alu instid0(SALU_CYCLE_1)
	s_and_b32 vcc_lo, exec_lo, s0
	s_cbranch_vccz .LBB150_2285
; %bb.2211:
	s_and_b32 s0, 0xffff, s14
	s_delay_alu instid0(SALU_CYCLE_1)
	s_cmp_lt_i32 s0, 5
	s_cbranch_scc1 .LBB150_2216
; %bb.2212:
	s_cmp_lt_i32 s0, 8
	s_cbranch_scc1 .LBB150_2218
; %bb.2213:
	;; [unrolled: 3-line block ×3, first 2 shown]
	s_cmp_gt_i32 s0, 9
	s_cbranch_scc0 .LBB150_2237
; %bb.2215:
	global_load_b128 v[8:11], v[4:5], off
	v_mov_b32_e32 v17, 0x7e00
	s_mov_b32 s10, 0
	s_wait_loadcnt 0x0
	v_and_or_b32 v1, 0x1ff, v9, v8
	v_and_or_b32 v8, 0x1ff, v11, v10
	v_dual_lshrrev_b32 v3, 8, v9 :: v_dual_lshrrev_b32 v10, 8, v11
	v_bfe_u32 v7, v9, 20, 11
	s_delay_alu instid0(VALU_DEP_4) | instskip(SKIP_2) | instid1(VALU_DEP_4)
	v_cmp_ne_u32_e32 vcc_lo, 0, v1
	v_bfe_u32 v12, v11, 20, 11
	v_dual_lshrrev_b32 v9, 16, v9 :: v_dual_lshrrev_b32 v11, 16, v11
	v_sub_nc_u32_e32 v13, 0x3f1, v7
	v_cndmask_b32_e64 v1, 0, 1, vcc_lo
	v_cmp_ne_u32_e32 vcc_lo, 0, v8
	v_add_nc_u32_e32 v7, 0xfffffc10, v7
	s_delay_alu instid0(VALU_DEP_3) | instskip(SKIP_1) | instid1(VALU_DEP_1)
	v_and_or_b32 v1, 0xffe, v3, v1
	v_cndmask_b32_e64 v8, 0, 1, vcc_lo
	v_and_or_b32 v8, 0xffe, v10, v8
	v_med3_i32 v10, v13, 0, 13
	s_delay_alu instid0(VALU_DEP_4) | instskip(NEXT) | instid1(VALU_DEP_3)
	v_or_b32_e32 v13, 0x1000, v1
	v_or_b32_e32 v14, 0x1000, v8
	s_delay_alu instid0(VALU_DEP_2) | instskip(NEXT) | instid1(VALU_DEP_1)
	v_lshrrev_b32_e32 v15, v10, v13
	v_lshlrev_b32_e32 v10, v10, v15
	s_delay_alu instid0(VALU_DEP_1) | instskip(SKIP_2) | instid1(VALU_DEP_1)
	v_cmp_ne_u32_e32 vcc_lo, v10, v13
	v_lshl_or_b32 v13, v7, 12, v1
	v_cndmask_b32_e64 v10, 0, 1, vcc_lo
	v_or_b32_e32 v10, v15, v10
	v_sub_nc_u32_e32 v3, 0x3f1, v12
	s_delay_alu instid0(VALU_DEP_1) | instskip(NEXT) | instid1(VALU_DEP_1)
	v_med3_i32 v3, v3, 0, 13
	v_lshrrev_b32_e32 v16, v3, v14
	s_delay_alu instid0(VALU_DEP_1) | instskip(NEXT) | instid1(VALU_DEP_1)
	v_lshlrev_b32_e32 v3, v3, v16
	v_cmp_ne_u32_e32 vcc_lo, v3, v14
	v_cndmask_b32_e64 v3, 0, 1, vcc_lo
	v_cmp_gt_i32_e32 vcc_lo, 1, v7
	s_delay_alu instid0(VALU_DEP_2) | instskip(NEXT) | instid1(VALU_DEP_1)
	v_dual_cndmask_b32 v10, v13, v10, vcc_lo :: v_dual_bitop2_b32 v3, v16, v3 bitop3:0x54
	v_dual_lshrrev_b32 v10, 2, v10 :: v_dual_bitop2_b32 v13, 7, v10 bitop3:0x40
	v_add_nc_u32_e32 v12, 0xfffffc10, v12
	s_delay_alu instid0(VALU_DEP_1) | instskip(SKIP_1) | instid1(VALU_DEP_2)
	v_lshl_or_b32 v14, v12, 12, v8
	v_cmp_gt_i32_e32 vcc_lo, 1, v12
	v_cndmask_b32_e32 v3, v14, v3, vcc_lo
	v_cmp_lt_i32_e32 vcc_lo, 5, v13
	v_cndmask_b32_e64 v15, 0, 1, vcc_lo
	v_cmp_eq_u32_e32 vcc_lo, 3, v13
	v_cndmask_b32_e64 v13, 0, 1, vcc_lo
	s_delay_alu instid0(VALU_DEP_1) | instskip(SKIP_1) | instid1(VALU_DEP_2)
	v_or_b32_e32 v13, v13, v15
	v_dual_lshrrev_b32 v3, 2, v3 :: v_dual_bitop2_b32 v14, 7, v3 bitop3:0x40
	v_add_nc_u32_e32 v10, v10, v13
	s_delay_alu instid0(VALU_DEP_2) | instskip(SKIP_4) | instid1(VALU_DEP_2)
	v_cmp_lt_i32_e32 vcc_lo, 5, v14
	v_cndmask_b32_e64 v16, 0, 1, vcc_lo
	v_cmp_eq_u32_e32 vcc_lo, 3, v14
	v_cndmask_b32_e64 v14, 0, 1, vcc_lo
	v_cmp_ne_u32_e32 vcc_lo, 0, v1
	v_or_b32_e32 v14, v14, v16
	v_cndmask_b32_e32 v1, 0x7c00, v17, vcc_lo
	v_cmp_ne_u32_e32 vcc_lo, 0, v8
	s_delay_alu instid0(VALU_DEP_3) | instskip(SKIP_3) | instid1(VALU_DEP_4)
	v_dual_cndmask_b32 v8, 0x7c00, v17 :: v_dual_add_nc_u32 v3, v3, v14
	v_cmp_gt_i32_e32 vcc_lo, 31, v7
	v_cndmask_b32_e32 v10, 0x7c00, v10, vcc_lo
	v_cmp_gt_i32_e32 vcc_lo, 31, v12
	v_cndmask_b32_e32 v3, 0x7c00, v3, vcc_lo
	v_cmp_eq_u32_e32 vcc_lo, 0x40f, v7
	s_delay_alu instid0(VALU_DEP_4) | instskip(SKIP_1) | instid1(VALU_DEP_4)
	v_cndmask_b32_e32 v1, v10, v1, vcc_lo
	v_cmp_eq_u32_e32 vcc_lo, 0x40f, v12
	v_cndmask_b32_e32 v3, v3, v8, vcc_lo
	s_delay_alu instid0(VALU_DEP_3) | instskip(NEXT) | instid1(VALU_DEP_2)
	v_and_or_b32 v1, 0x8000, v9, v1
	v_and_or_b32 v7, 0x8000, v11, v3
	s_branch .LBB150_2238
.LBB150_2216:
	s_mov_b32 s10, -1
                                        ; implicit-def: $vgpr7
                                        ; implicit-def: $vgpr1
	s_branch .LBB150_2263
.LBB150_2217:
	s_mov_b32 s20, -1
                                        ; implicit-def: $vgpr1
	s_branch .LBB150_2230
.LBB150_2218:
	s_mov_b32 s10, -1
                                        ; implicit-def: $vgpr7
                                        ; implicit-def: $vgpr1
	s_branch .LBB150_2244
.LBB150_2219:
	s_or_saveexec_b32 s22, s22
	v_mov_b32_e32 v1, 0x7e00
	s_xor_b32 exec_lo, exec_lo, s22
	s_cbranch_execz .LBB150_2190
.LBB150_2220:
	v_cmp_ne_u16_e32 vcc_lo, 0, v3
	v_mov_b32_e32 v1, v3
	s_and_not1_b32 s21, s21, exec_lo
	s_and_b32 s23, vcc_lo, exec_lo
	s_delay_alu instid0(SALU_CYCLE_1)
	s_or_b32 s21, s21, s23
	s_or_b32 exec_lo, exec_lo, s22
	s_and_saveexec_b32 s22, s21
	s_cbranch_execnz .LBB150_2191
	s_branch .LBB150_2192
.LBB150_2221:
	s_mov_b32 s20, -1
                                        ; implicit-def: $vgpr1
	s_branch .LBB150_2227
.LBB150_2222:
	s_mov_b32 s10, -1
                                        ; implicit-def: $vgpr7
                                        ; implicit-def: $vgpr1
	s_branch .LBB150_2241
.LBB150_2223:
	s_mov_b32 s20, -1
                                        ; implicit-def: $vgpr1
.LBB150_2224:
	s_delay_alu instid0(SALU_CYCLE_1)
	s_and_b32 vcc_lo, exec_lo, s20
	s_cbranch_vccz .LBB150_2226
; %bb.2225:
	global_load_u8 v1, v[4:5], off
	s_wait_loadcnt 0x0
	v_lshlrev_b32_e32 v1, 24, v1
	s_delay_alu instid0(VALU_DEP_1) | instskip(NEXT) | instid1(VALU_DEP_1)
	v_and_b32_e32 v3, 0x7f000000, v1
	v_clz_i32_u32_e32 v7, v3
	v_add_nc_u32_e32 v9, 0x1000000, v3
	v_cmp_ne_u32_e32 vcc_lo, 0, v3
	s_delay_alu instid0(VALU_DEP_3) | instskip(NEXT) | instid1(VALU_DEP_1)
	v_min_u32_e32 v7, 32, v7
	v_sub_nc_u32_e64 v7, v7, 4 clamp
	s_delay_alu instid0(VALU_DEP_1) | instskip(NEXT) | instid1(VALU_DEP_1)
	v_lshlrev_b32_e32 v8, v7, v3
	v_dual_lshlrev_b32 v7, 23, v7 :: v_dual_lshrrev_b32 v8, 4, v8
	s_delay_alu instid0(VALU_DEP_1) | instskip(NEXT) | instid1(VALU_DEP_1)
	v_dual_sub_nc_u32 v7, v8, v7 :: v_dual_ashrrev_i32 v8, 8, v9
	v_add_nc_u32_e32 v7, 0x3c000000, v7
	s_delay_alu instid0(VALU_DEP_1) | instskip(NEXT) | instid1(VALU_DEP_1)
	v_and_or_b32 v7, 0x7f800000, v8, v7
	v_cndmask_b32_e32 v3, 0, v7, vcc_lo
	s_delay_alu instid0(VALU_DEP_1) | instskip(NEXT) | instid1(VALU_DEP_1)
	v_and_or_b32 v1, 0x80000000, v1, v3
	v_cvt_f16_f32_e32 v1, v1
.LBB150_2226:
	s_mov_b32 s20, 0
.LBB150_2227:
	s_delay_alu instid0(SALU_CYCLE_1)
	s_and_not1_b32 vcc_lo, exec_lo, s20
	s_cbranch_vccnz .LBB150_2229
; %bb.2228:
	global_load_u8 v1, v[4:5], off
	s_wait_loadcnt 0x0
	v_lshlrev_b32_e32 v3, 25, v1
	v_lshlrev_b16 v1, 8, v1
	s_delay_alu instid0(VALU_DEP_1) | instskip(SKIP_1) | instid1(VALU_DEP_2)
	v_and_or_b32 v8, 0x7f00, v1, 0.5
	v_bfe_i32 v1, v1, 0, 16
	v_dual_add_f32 v8, -0.5, v8 :: v_dual_lshrrev_b32 v7, 4, v3
	v_cmp_gt_u32_e32 vcc_lo, 0x8000000, v3
	s_delay_alu instid0(VALU_DEP_2) | instskip(NEXT) | instid1(VALU_DEP_1)
	v_or_b32_e32 v7, 0x70000000, v7
	v_mul_f32_e32 v7, 0x7800000, v7
	s_delay_alu instid0(VALU_DEP_1) | instskip(NEXT) | instid1(VALU_DEP_1)
	v_cndmask_b32_e32 v3, v7, v8, vcc_lo
	v_and_or_b32 v1, 0x80000000, v1, v3
	s_delay_alu instid0(VALU_DEP_1)
	v_cvt_f16_f32_e32 v1, v1
.LBB150_2229:
	s_mov_b32 s20, 0
	s_mov_b32 s21, -1
.LBB150_2230:
	s_and_not1_b32 vcc_lo, exec_lo, s20
	s_mov_b32 s20, 0
	s_cbranch_vccnz .LBB150_2253
; %bb.2231:
	s_cmp_gt_i32 s0, 14
	s_cbranch_scc0 .LBB150_2234
; %bb.2232:
	s_cmp_eq_u32 s0, 15
	s_cbranch_scc0 .LBB150_2249
; %bb.2233:
	global_load_u16 v1, v[4:5], off
	s_mov_b32 s10, 0
	s_mov_b32 s21, -1
	s_wait_loadcnt 0x0
	v_lshlrev_b32_e32 v1, 16, v1
	s_delay_alu instid0(VALU_DEP_1)
	v_cvt_f16_f32_e32 v1, v1
	s_branch .LBB150_2251
.LBB150_2234:
	s_mov_b32 s20, -1
	s_branch .LBB150_2250
.LBB150_2235:
	s_or_saveexec_b32 s21, s21
	v_mov_b32_e32 v1, 0x7e00
	s_xor_b32 exec_lo, exec_lo, s21
	s_cbranch_execz .LBB150_2203
.LBB150_2236:
	v_cmp_ne_u16_e32 vcc_lo, 0, v3
	v_mov_b32_e32 v1, v3
	s_and_not1_b32 s20, s20, exec_lo
	s_and_b32 s22, vcc_lo, exec_lo
	s_delay_alu instid0(SALU_CYCLE_1)
	s_or_b32 s20, s20, s22
	s_or_b32 exec_lo, exec_lo, s21
	s_and_saveexec_b32 s21, s20
	s_cbranch_execnz .LBB150_2204
	s_branch .LBB150_2205
.LBB150_2237:
	s_mov_b32 s10, -1
                                        ; implicit-def: $vgpr7
                                        ; implicit-def: $vgpr1
.LBB150_2238:
	s_delay_alu instid0(SALU_CYCLE_1)
	s_and_not1_b32 vcc_lo, exec_lo, s10
	s_cbranch_vccnz .LBB150_2240
; %bb.2239:
	global_load_b64 v[8:9], v[4:5], off
	s_wait_loadcnt 0x0
	v_cvt_f16_f32_e32 v1, v8
	v_cvt_f16_f32_e32 v7, v9
.LBB150_2240:
	s_mov_b32 s10, 0
.LBB150_2241:
	s_delay_alu instid0(SALU_CYCLE_1)
	s_and_not1_b32 vcc_lo, exec_lo, s10
	s_cbranch_vccnz .LBB150_2243
; %bb.2242:
	global_load_b32 v1, v[4:5], off
	s_wait_loadcnt 0x0
	v_lshrrev_b32_e32 v7, 16, v1
.LBB150_2243:
	s_mov_b32 s10, 0
.LBB150_2244:
	s_delay_alu instid0(SALU_CYCLE_1)
	s_and_not1_b32 vcc_lo, exec_lo, s10
	s_cbranch_vccnz .LBB150_2262
; %bb.2245:
	s_cmp_lt_i32 s0, 6
	s_cbranch_scc1 .LBB150_2248
; %bb.2246:
	s_cmp_gt_i32 s0, 6
	s_cbranch_scc0 .LBB150_2255
; %bb.2247:
	global_load_b64 v[8:9], v[4:5], off
	s_mov_b32 s10, 0
	s_wait_loadcnt 0x0
	v_and_or_b32 v1, 0x1ff, v9, v8
	v_lshrrev_b32_e32 v3, 8, v9
	v_bfe_u32 v7, v9, 20, 11
	s_delay_alu instid0(VALU_DEP_3) | instskip(NEXT) | instid1(VALU_DEP_2)
	v_cmp_ne_u32_e32 vcc_lo, 0, v1
	v_sub_nc_u32_e32 v8, 0x3f1, v7
	v_add_nc_u32_e32 v7, 0xfffffc10, v7
	v_cndmask_b32_e64 v1, 0, 1, vcc_lo
	s_delay_alu instid0(VALU_DEP_1) | instskip(NEXT) | instid1(VALU_DEP_4)
	v_and_or_b32 v1, 0xffe, v3, v1
	v_med3_i32 v3, v8, 0, 13
	s_delay_alu instid0(VALU_DEP_2) | instskip(NEXT) | instid1(VALU_DEP_1)
	v_or_b32_e32 v8, 0x1000, v1
	v_lshrrev_b32_e32 v10, v3, v8
	s_delay_alu instid0(VALU_DEP_1) | instskip(NEXT) | instid1(VALU_DEP_1)
	v_lshlrev_b32_e32 v3, v3, v10
	v_cmp_ne_u32_e32 vcc_lo, v3, v8
	v_lshl_or_b32 v8, v7, 12, v1
	v_cndmask_b32_e64 v3, 0, 1, vcc_lo
	v_cmp_gt_i32_e32 vcc_lo, 1, v7
	s_delay_alu instid0(VALU_DEP_2) | instskip(NEXT) | instid1(VALU_DEP_1)
	v_or_b32_e32 v3, v10, v3
	v_cndmask_b32_e32 v3, v8, v3, vcc_lo
	s_delay_alu instid0(VALU_DEP_1) | instskip(NEXT) | instid1(VALU_DEP_1)
	v_dual_lshrrev_b32 v3, 2, v3 :: v_dual_bitop2_b32 v8, 7, v3 bitop3:0x40
	v_cmp_lt_i32_e32 vcc_lo, 5, v8
	v_cndmask_b32_e64 v10, 0, 1, vcc_lo
	v_cmp_eq_u32_e32 vcc_lo, 3, v8
	v_cndmask_b32_e64 v8, 0, 1, vcc_lo
	v_cmp_ne_u32_e32 vcc_lo, 0, v1
	s_delay_alu instid0(VALU_DEP_2) | instskip(NEXT) | instid1(VALU_DEP_1)
	v_or_b32_e32 v8, v8, v10
	v_dual_mov_b32 v10, 0x7e00 :: v_dual_add_nc_u32 v3, v3, v8
	s_delay_alu instid0(VALU_DEP_1) | instskip(SKIP_1) | instid1(VALU_DEP_3)
	v_cndmask_b32_e32 v1, 0x7c00, v10, vcc_lo
	v_cmp_gt_i32_e32 vcc_lo, 31, v7
	v_cndmask_b32_e32 v3, 0x7c00, v3, vcc_lo
	v_cmp_eq_u32_e32 vcc_lo, 0x40f, v7
	s_delay_alu instid0(VALU_DEP_2) | instskip(SKIP_1) | instid1(VALU_DEP_1)
	v_cndmask_b32_e32 v1, v3, v1, vcc_lo
	v_lshrrev_b32_e32 v3, 16, v9
	v_and_or_b32 v1, 0x8000, v3, v1
	s_branch .LBB150_2256
.LBB150_2248:
	s_mov_b32 s10, -1
                                        ; implicit-def: $vgpr1
	s_branch .LBB150_2259
.LBB150_2249:
	s_mov_b32 s10, -1
.LBB150_2250:
                                        ; implicit-def: $vgpr1
.LBB150_2251:
	s_and_b32 vcc_lo, exec_lo, s20
	s_mov_b32 s20, 0
	s_cbranch_vccz .LBB150_2253
; %bb.2252:
	s_cmp_lg_u32 s0, 11
	s_mov_b32 s20, -1
	s_cselect_b32 s10, -1, 0
.LBB150_2253:
	v_mov_b32_e32 v7, 0
	s_and_b32 vcc_lo, exec_lo, s10
	s_cbranch_vccz .LBB150_2207
.LBB150_2254:
	s_or_b32 s13, s13, exec_lo
	s_trap 2
	s_cbranch_execz .LBB150_2208
	s_branch .LBB150_2209
.LBB150_2255:
	s_mov_b32 s10, -1
                                        ; implicit-def: $vgpr1
.LBB150_2256:
	s_delay_alu instid0(SALU_CYCLE_1)
	s_and_not1_b32 vcc_lo, exec_lo, s10
	s_cbranch_vccnz .LBB150_2258
; %bb.2257:
	global_load_b32 v1, v[4:5], off
	s_wait_loadcnt 0x0
	v_cvt_f16_f32_e32 v1, v1
.LBB150_2258:
	s_mov_b32 s10, 0
.LBB150_2259:
	s_delay_alu instid0(SALU_CYCLE_1)
	s_and_not1_b32 vcc_lo, exec_lo, s10
	s_cbranch_vccnz .LBB150_2261
; %bb.2260:
	global_load_u16 v1, v[4:5], off
.LBB150_2261:
	v_mov_b32_e32 v7, 0
.LBB150_2262:
	s_mov_b32 s10, 0
.LBB150_2263:
	s_delay_alu instid0(SALU_CYCLE_1)
	s_and_not1_b32 vcc_lo, exec_lo, s10
	s_cbranch_vccnz .LBB150_2284
; %bb.2264:
	s_cmp_lt_i32 s0, 2
	s_cbranch_scc1 .LBB150_2268
; %bb.2265:
	s_cmp_lt_i32 s0, 3
	s_cbranch_scc1 .LBB150_2269
; %bb.2266:
	s_cmp_gt_i32 s0, 3
	s_cbranch_scc0 .LBB150_2270
; %bb.2267:
	global_load_b64 v[8:9], v[4:5], off
	s_mov_b32 s10, 0
	s_wait_loadcnt 0x0
	v_xor_b32_e32 v1, v8, v9
	v_cls_i32_e32 v3, v9
	s_delay_alu instid0(VALU_DEP_2) | instskip(NEXT) | instid1(VALU_DEP_1)
	v_ashrrev_i32_e32 v1, 31, v1
	v_add_nc_u32_e32 v1, 32, v1
	s_delay_alu instid0(VALU_DEP_1) | instskip(NEXT) | instid1(VALU_DEP_1)
	v_add_min_u32_e64 v1, v3, -1, v1
	v_lshlrev_b64_e32 v[8:9], v1, v[8:9]
	v_sub_nc_u32_e32 v1, 32, v1
	s_delay_alu instid0(VALU_DEP_2) | instskip(NEXT) | instid1(VALU_DEP_1)
	v_min_u32_e32 v3, 1, v8
	v_or_b32_e32 v3, v9, v3
	s_delay_alu instid0(VALU_DEP_1) | instskip(NEXT) | instid1(VALU_DEP_1)
	v_cvt_f32_i32_e32 v3, v3
	v_ldexp_f32 v1, v3, v1
	s_delay_alu instid0(VALU_DEP_1)
	v_cvt_f16_f32_e32 v1, v1
	s_branch .LBB150_2271
.LBB150_2268:
	s_mov_b32 s10, -1
                                        ; implicit-def: $vgpr1
	s_branch .LBB150_2277
.LBB150_2269:
	s_mov_b32 s10, -1
                                        ; implicit-def: $vgpr1
	s_branch .LBB150_2274
.LBB150_2270:
	s_mov_b32 s10, -1
                                        ; implicit-def: $vgpr1
.LBB150_2271:
	s_delay_alu instid0(SALU_CYCLE_1)
	s_and_not1_b32 vcc_lo, exec_lo, s10
	s_cbranch_vccnz .LBB150_2273
; %bb.2272:
	s_wait_loadcnt 0x0
	global_load_b32 v1, v[4:5], off
	s_wait_loadcnt 0x0
	v_cvt_f32_i32_e32 v1, v1
	s_delay_alu instid0(VALU_DEP_1)
	v_cvt_f16_f32_e32 v1, v1
.LBB150_2273:
	s_mov_b32 s10, 0
.LBB150_2274:
	s_delay_alu instid0(SALU_CYCLE_1)
	s_and_not1_b32 vcc_lo, exec_lo, s10
	s_cbranch_vccnz .LBB150_2276
; %bb.2275:
	s_wait_loadcnt 0x0
	global_load_u16 v1, v[4:5], off
	s_wait_loadcnt 0x0
	v_cvt_f16_i16_e32 v1, v1
.LBB150_2276:
	s_mov_b32 s10, 0
.LBB150_2277:
	s_delay_alu instid0(SALU_CYCLE_1)
	s_and_not1_b32 vcc_lo, exec_lo, s10
	s_cbranch_vccnz .LBB150_2283
; %bb.2278:
	s_cmp_gt_i32 s0, 0
	s_mov_b32 s0, 0
	s_cbranch_scc0 .LBB150_2280
; %bb.2279:
	s_wait_loadcnt 0x0
	global_load_i8 v1, v[4:5], off
	s_wait_loadcnt 0x0
	v_cvt_f16_i16_e32 v1, v1
	s_branch .LBB150_2281
.LBB150_2280:
	s_mov_b32 s0, -1
                                        ; implicit-def: $vgpr1
.LBB150_2281:
	s_delay_alu instid0(SALU_CYCLE_1)
	s_and_not1_b32 vcc_lo, exec_lo, s0
	s_cbranch_vccnz .LBB150_2283
; %bb.2282:
	s_wait_loadcnt 0x0
	global_load_u8 v1, v[4:5], off
	s_wait_loadcnt 0x0
	v_cvt_f16_u16_e32 v1, v1
.LBB150_2283:
	v_mov_b32_e32 v7, 0
.LBB150_2284:
	s_mov_b32 s21, -1
.LBB150_2285:
	s_delay_alu instid0(SALU_CYCLE_1)
	s_and_not1_b32 vcc_lo, exec_lo, s21
	s_cbranch_vccnz .LBB150_2703
; %bb.2286:
	v_add_nc_u32_e32 v2, s19, v2
	s_cmp_lt_i32 s17, 11
	s_delay_alu instid0(VALU_DEP_1) | instskip(SKIP_1) | instid1(VALU_DEP_1)
	v_ashrrev_i32_e32 v3, 31, v2
	s_wait_xcnt 0x0
	v_add_nc_u64_e32 v[4:5], s[2:3], v[2:3]
	s_cbranch_scc1 .LBB150_2293
; %bb.2287:
	s_and_b32 s0, 0xffff, s17
	s_mov_b32 s20, 0
	s_cmp_gt_i32 s0, 25
	s_cbranch_scc0 .LBB150_2294
; %bb.2288:
	s_cmp_gt_i32 s0, 28
	s_cbranch_scc0 .LBB150_2295
; %bb.2289:
	;; [unrolled: 3-line block ×4, first 2 shown]
	s_cmp_eq_u32 s0, 46
	s_mov_b32 s22, 0
	s_cbranch_scc0 .LBB150_2300
; %bb.2292:
	global_load_b32 v3, v[4:5], off
	s_mov_b32 s10, 0
	s_mov_b32 s21, -1
	s_wait_loadcnt 0x0
	v_lshlrev_b32_e32 v8, 16, v3
	v_and_b32_e32 v9, 0xffff0000, v3
	s_delay_alu instid0(VALU_DEP_2) | instskip(NEXT) | instid1(VALU_DEP_2)
	v_cvt_f16_f32_e32 v3, v8
	v_cvt_f16_f32_e32 v8, v9
	s_branch .LBB150_2302
.LBB150_2293:
	s_mov_b32 s0, -1
	s_mov_b32 s21, 0
                                        ; implicit-def: $vgpr8
                                        ; implicit-def: $vgpr3
	s_branch .LBB150_2348
.LBB150_2294:
	s_mov_b32 s22, -1
	s_mov_b32 s21, 0
	s_mov_b32 s10, 0
                                        ; implicit-def: $vgpr8
                                        ; implicit-def: $vgpr3
	s_branch .LBB150_2333
.LBB150_2295:
	s_mov_b32 s22, -1
	s_mov_b32 s21, 0
	s_mov_b32 s10, 0
                                        ; implicit-def: $vgpr8
                                        ; implicit-def: $vgpr3
	s_branch .LBB150_2314
.LBB150_2296:
	s_mov_b32 s22, -1
	s_mov_b32 s21, 0
	s_mov_b32 s10, 0
                                        ; implicit-def: $vgpr8
                                        ; implicit-def: $vgpr3
	s_branch .LBB150_2308
.LBB150_2297:
	s_mov_b32 s22, -1
	s_mov_b32 s21, 0
	s_mov_b32 s10, 0
	s_branch .LBB150_2301
.LBB150_2298:
	s_and_not1_saveexec_b32 s35, s35
	s_cbranch_execz .LBB150_1130
.LBB150_2299:
	v_add_f32_e32 v2, 0x42800000, v3
	s_and_not1_b32 s34, s34, exec_lo
	s_delay_alu instid0(VALU_DEP_1) | instskip(NEXT) | instid1(VALU_DEP_1)
	v_and_b32_e32 v2, 0xff, v2
	v_cmp_ne_u32_e32 vcc_lo, 0, v2
	s_and_b32 s36, vcc_lo, exec_lo
	s_delay_alu instid0(SALU_CYCLE_1)
	s_or_b32 s34, s34, s36
	s_or_b32 exec_lo, exec_lo, s35
	v_mov_b32_e32 v4, 0
	s_and_saveexec_b32 s35, s34
	s_cbranch_execnz .LBB150_1131
	s_branch .LBB150_1132
.LBB150_2300:
	s_mov_b32 s10, -1
	s_mov_b32 s21, 0
.LBB150_2301:
                                        ; implicit-def: $vgpr8
                                        ; implicit-def: $vgpr3
.LBB150_2302:
	s_and_b32 vcc_lo, exec_lo, s22
	s_cbranch_vccz .LBB150_2307
; %bb.2303:
	s_cmp_eq_u32 s0, 44
	s_cbranch_scc0 .LBB150_2305
; %bb.2304:
	global_load_u8 v3, v[4:5], off
	s_mov_b32 s10, 0
	s_mov_b32 s21, -1
	s_wait_loadcnt 0x0
	v_lshlrev_b32_e32 v8, 23, v3
	v_cmp_ne_u32_e32 vcc_lo, 0xff, v3
	s_delay_alu instid0(VALU_DEP_2) | instskip(NEXT) | instid1(VALU_DEP_1)
	v_cvt_f16_f32_e32 v8, v8
	v_cndmask_b32_e32 v8, 0x7e00, v8, vcc_lo
	v_cmp_ne_u32_e32 vcc_lo, 0, v3
	s_delay_alu instid0(VALU_DEP_2)
	v_cndmask_b32_e32 v3, 0, v8, vcc_lo
	s_branch .LBB150_2306
.LBB150_2305:
	s_mov_b32 s10, -1
                                        ; implicit-def: $vgpr3
.LBB150_2306:
	v_mov_b32_e32 v8, 0
.LBB150_2307:
	s_mov_b32 s22, 0
.LBB150_2308:
	s_delay_alu instid0(SALU_CYCLE_1)
	s_and_b32 vcc_lo, exec_lo, s22
	s_cbranch_vccz .LBB150_2313
; %bb.2309:
	s_cmp_eq_u32 s0, 29
	s_cbranch_scc0 .LBB150_2311
; %bb.2310:
	global_load_b64 v[8:9], v[4:5], off
	s_mov_b32 s10, 0
	s_mov_b32 s21, -1
	s_wait_loadcnt 0x0
	v_clz_i32_u32_e32 v3, v9
	s_delay_alu instid0(VALU_DEP_1) | instskip(NEXT) | instid1(VALU_DEP_1)
	v_min_u32_e32 v3, 32, v3
	v_lshlrev_b64_e32 v[8:9], v3, v[8:9]
	v_sub_nc_u32_e32 v3, 32, v3
	s_delay_alu instid0(VALU_DEP_2) | instskip(NEXT) | instid1(VALU_DEP_1)
	v_min_u32_e32 v8, 1, v8
	v_or_b32_e32 v8, v9, v8
	s_delay_alu instid0(VALU_DEP_1) | instskip(NEXT) | instid1(VALU_DEP_1)
	v_cvt_f32_u32_e32 v8, v8
	v_ldexp_f32 v3, v8, v3
	s_delay_alu instid0(VALU_DEP_1)
	v_cvt_f16_f32_e32 v3, v3
	s_branch .LBB150_2312
.LBB150_2311:
	s_mov_b32 s10, -1
                                        ; implicit-def: $vgpr3
.LBB150_2312:
	v_mov_b32_e32 v8, 0
.LBB150_2313:
	s_mov_b32 s22, 0
.LBB150_2314:
	s_delay_alu instid0(SALU_CYCLE_1)
	s_and_b32 vcc_lo, exec_lo, s22
	s_cbranch_vccz .LBB150_2332
; %bb.2315:
	s_cmp_lt_i32 s0, 27
	s_cbranch_scc1 .LBB150_2318
; %bb.2316:
	s_cmp_gt_i32 s0, 27
	s_cbranch_scc0 .LBB150_2319
; %bb.2317:
	global_load_b32 v3, v[4:5], off
	s_mov_b32 s21, 0
	s_wait_loadcnt 0x0
	v_cvt_f32_u32_e32 v3, v3
	s_delay_alu instid0(VALU_DEP_1)
	v_cvt_f16_f32_e32 v3, v3
	s_branch .LBB150_2320
.LBB150_2318:
	s_mov_b32 s21, -1
                                        ; implicit-def: $vgpr3
	s_branch .LBB150_2323
.LBB150_2319:
	s_mov_b32 s21, -1
                                        ; implicit-def: $vgpr3
.LBB150_2320:
	s_delay_alu instid0(SALU_CYCLE_1)
	s_and_not1_b32 vcc_lo, exec_lo, s21
	s_cbranch_vccnz .LBB150_2322
; %bb.2321:
	global_load_u16 v3, v[4:5], off
	s_wait_loadcnt 0x0
	v_cvt_f16_u16_e32 v3, v3
.LBB150_2322:
	s_mov_b32 s21, 0
.LBB150_2323:
	s_delay_alu instid0(SALU_CYCLE_1)
	s_and_not1_b32 vcc_lo, exec_lo, s21
	s_cbranch_vccnz .LBB150_2331
; %bb.2324:
	global_load_u8 v8, v[4:5], off
	s_mov_b32 s21, 0
	s_mov_b32 s22, exec_lo
	s_wait_loadcnt 0x0
	v_cmpx_lt_i16_e32 0x7f, v8
	s_xor_b32 s22, exec_lo, s22
	s_cbranch_execz .LBB150_2357
; %bb.2325:
	s_mov_b32 s21, -1
	s_mov_b32 s23, exec_lo
	v_cmpx_eq_u16_e32 0x80, v8
; %bb.2326:
	s_xor_b32 s21, exec_lo, -1
; %bb.2327:
	s_or_b32 exec_lo, exec_lo, s23
	s_delay_alu instid0(SALU_CYCLE_1)
	s_and_b32 s21, s21, exec_lo
	s_or_saveexec_b32 s22, s22
	v_mov_b32_e32 v3, 0x7e00
	s_xor_b32 exec_lo, exec_lo, s22
	s_cbranch_execnz .LBB150_2358
.LBB150_2328:
	s_or_b32 exec_lo, exec_lo, s22
	s_and_saveexec_b32 s22, s21
	s_cbranch_execz .LBB150_2330
.LBB150_2329:
	v_and_b32_e32 v3, 0xffff, v8
	s_delay_alu instid0(VALU_DEP_1) | instskip(SKIP_1) | instid1(VALU_DEP_2)
	v_and_b32_e32 v9, 7, v3
	v_bfe_u32 v12, v3, 3, 4
	v_clz_i32_u32_e32 v10, v9
	s_delay_alu instid0(VALU_DEP_2) | instskip(NEXT) | instid1(VALU_DEP_2)
	v_cmp_eq_u32_e32 vcc_lo, 0, v12
	v_min_u32_e32 v10, 32, v10
	s_delay_alu instid0(VALU_DEP_1) | instskip(NEXT) | instid1(VALU_DEP_1)
	v_subrev_nc_u32_e32 v11, 28, v10
	v_dual_lshlrev_b32 v3, v11, v3 :: v_dual_sub_nc_u32 v10, 29, v10
	s_delay_alu instid0(VALU_DEP_1) | instskip(NEXT) | instid1(VALU_DEP_1)
	v_dual_lshlrev_b32 v8, 24, v8 :: v_dual_bitop2_b32 v3, 7, v3 bitop3:0x40
	v_dual_cndmask_b32 v10, v12, v10 :: v_dual_cndmask_b32 v3, v9, v3
	s_delay_alu instid0(VALU_DEP_2) | instskip(NEXT) | instid1(VALU_DEP_2)
	v_and_b32_e32 v8, 0x80000000, v8
	v_lshl_add_u32 v9, v10, 23, 0x3b800000
	s_delay_alu instid0(VALU_DEP_3) | instskip(NEXT) | instid1(VALU_DEP_1)
	v_lshlrev_b32_e32 v3, 20, v3
	v_or3_b32 v3, v8, v9, v3
	s_delay_alu instid0(VALU_DEP_1)
	v_cvt_f16_f32_e32 v3, v3
.LBB150_2330:
	s_or_b32 exec_lo, exec_lo, s22
.LBB150_2331:
	v_mov_b32_e32 v8, 0
	s_mov_b32 s21, -1
.LBB150_2332:
	s_mov_b32 s22, 0
.LBB150_2333:
	s_delay_alu instid0(SALU_CYCLE_1)
	s_and_b32 vcc_lo, exec_lo, s22
	s_cbranch_vccz .LBB150_2344
; %bb.2334:
	s_cmp_gt_i32 s0, 22
	s_cbranch_scc0 .LBB150_2355
; %bb.2335:
	s_cmp_lt_i32 s0, 24
	s_cbranch_scc1 .LBB150_2359
; %bb.2336:
	s_cmp_gt_i32 s0, 24
	s_cbranch_scc0 .LBB150_2361
; %bb.2337:
	global_load_u8 v8, v[4:5], off
	s_mov_b32 s21, exec_lo
	s_wait_loadcnt 0x0
	v_cmpx_lt_i16_e32 0x7f, v8
	s_xor_b32 s21, exec_lo, s21
	s_cbranch_execz .LBB150_2373
; %bb.2338:
	s_mov_b32 s20, -1
	s_mov_b32 s22, exec_lo
	v_cmpx_eq_u16_e32 0x80, v8
; %bb.2339:
	s_xor_b32 s20, exec_lo, -1
; %bb.2340:
	s_or_b32 exec_lo, exec_lo, s22
	s_delay_alu instid0(SALU_CYCLE_1)
	s_and_b32 s20, s20, exec_lo
	s_or_saveexec_b32 s21, s21
	v_mov_b32_e32 v3, 0x7e00
	s_xor_b32 exec_lo, exec_lo, s21
	s_cbranch_execnz .LBB150_2374
.LBB150_2341:
	s_or_b32 exec_lo, exec_lo, s21
	s_and_saveexec_b32 s21, s20
	s_cbranch_execz .LBB150_2343
.LBB150_2342:
	v_and_b32_e32 v3, 0xffff, v8
	s_delay_alu instid0(VALU_DEP_1) | instskip(SKIP_1) | instid1(VALU_DEP_2)
	v_and_b32_e32 v9, 3, v3
	v_bfe_u32 v12, v3, 2, 5
	v_clz_i32_u32_e32 v10, v9
	s_delay_alu instid0(VALU_DEP_2) | instskip(NEXT) | instid1(VALU_DEP_2)
	v_cmp_eq_u32_e32 vcc_lo, 0, v12
	v_min_u32_e32 v10, 32, v10
	s_delay_alu instid0(VALU_DEP_1) | instskip(NEXT) | instid1(VALU_DEP_1)
	v_subrev_nc_u32_e32 v11, 29, v10
	v_dual_lshlrev_b32 v3, v11, v3 :: v_dual_sub_nc_u32 v10, 30, v10
	s_delay_alu instid0(VALU_DEP_1) | instskip(NEXT) | instid1(VALU_DEP_1)
	v_dual_lshlrev_b32 v8, 24, v8 :: v_dual_bitop2_b32 v3, 3, v3 bitop3:0x40
	v_dual_cndmask_b32 v10, v12, v10 :: v_dual_cndmask_b32 v3, v9, v3
	s_delay_alu instid0(VALU_DEP_2) | instskip(NEXT) | instid1(VALU_DEP_2)
	v_and_b32_e32 v8, 0x80000000, v8
	v_lshl_add_u32 v9, v10, 23, 0x37800000
	s_delay_alu instid0(VALU_DEP_3) | instskip(NEXT) | instid1(VALU_DEP_1)
	v_lshlrev_b32_e32 v3, 21, v3
	v_or3_b32 v3, v8, v9, v3
	s_delay_alu instid0(VALU_DEP_1)
	v_cvt_f16_f32_e32 v3, v3
.LBB150_2343:
	s_or_b32 exec_lo, exec_lo, s21
	s_mov_b32 s20, 0
	s_branch .LBB150_2362
.LBB150_2344:
	s_and_b32 vcc_lo, exec_lo, s10
	s_cbranch_vccnz .LBB150_2392
.LBB150_2345:
	s_and_not1_b32 vcc_lo, exec_lo, s20
	s_cbranch_vccnz .LBB150_2347
.LBB150_2346:
	global_load_u8 v3, v[4:5], off
	v_mov_b32_e32 v8, 0
	s_mov_b32 s21, -1
	s_wait_loadcnt 0x0
	v_cmp_ne_u16_e32 vcc_lo, 0, v3
	v_cndmask_b32_e64 v3, 0, 0x3c00, vcc_lo
.LBB150_2347:
	s_mov_b32 s0, 0
.LBB150_2348:
	s_delay_alu instid0(SALU_CYCLE_1)
	s_and_b32 vcc_lo, exec_lo, s0
	s_cbranch_vccz .LBB150_2423
; %bb.2349:
	s_and_b32 s0, 0xffff, s17
	s_delay_alu instid0(SALU_CYCLE_1)
	s_cmp_lt_i32 s0, 5
	s_cbranch_scc1 .LBB150_2354
; %bb.2350:
	s_cmp_lt_i32 s0, 8
	s_cbranch_scc1 .LBB150_2356
; %bb.2351:
	;; [unrolled: 3-line block ×3, first 2 shown]
	s_cmp_gt_i32 s0, 9
	s_cbranch_scc0 .LBB150_2375
; %bb.2353:
	global_load_b128 v[8:11], v[4:5], off
	s_mov_b32 s10, 0
	s_wait_loadcnt 0x0
	v_and_or_b32 v3, 0x1ff, v9, v8
	v_and_or_b32 v10, 0x1ff, v11, v10
	v_dual_lshrrev_b32 v8, 8, v9 :: v_dual_lshrrev_b32 v13, 8, v11
	v_bfe_u32 v12, v9, 20, 11
	s_delay_alu instid0(VALU_DEP_4) | instskip(SKIP_2) | instid1(VALU_DEP_4)
	v_cmp_ne_u32_e32 vcc_lo, 0, v3
	v_bfe_u32 v14, v11, 20, 11
	v_dual_lshrrev_b32 v9, 16, v9 :: v_dual_lshrrev_b32 v11, 16, v11
	v_sub_nc_u32_e32 v15, 0x3f1, v12
	v_cndmask_b32_e64 v3, 0, 1, vcc_lo
	v_cmp_ne_u32_e32 vcc_lo, 0, v10
	v_add_nc_u32_e32 v12, 0xfffffc10, v12
	s_delay_alu instid0(VALU_DEP_3) | instskip(SKIP_1) | instid1(VALU_DEP_1)
	v_and_or_b32 v3, 0xffe, v8, v3
	v_cndmask_b32_e64 v10, 0, 1, vcc_lo
	v_and_or_b32 v10, 0xffe, v13, v10
	v_med3_i32 v13, v15, 0, 13
	s_delay_alu instid0(VALU_DEP_4) | instskip(NEXT) | instid1(VALU_DEP_3)
	v_or_b32_e32 v15, 0x1000, v3
	v_or_b32_e32 v16, 0x1000, v10
	s_delay_alu instid0(VALU_DEP_2) | instskip(NEXT) | instid1(VALU_DEP_1)
	v_lshrrev_b32_e32 v17, v13, v15
	v_lshlrev_b32_e32 v13, v13, v17
	s_delay_alu instid0(VALU_DEP_1) | instskip(SKIP_2) | instid1(VALU_DEP_1)
	v_cmp_ne_u32_e32 vcc_lo, v13, v15
	v_lshl_or_b32 v15, v12, 12, v3
	v_cndmask_b32_e64 v13, 0, 1, vcc_lo
	v_or_b32_e32 v13, v17, v13
	v_sub_nc_u32_e32 v8, 0x3f1, v14
	v_add_nc_u32_e32 v14, 0xfffffc10, v14
	s_delay_alu instid0(VALU_DEP_2) | instskip(NEXT) | instid1(VALU_DEP_1)
	v_med3_i32 v8, v8, 0, 13
	v_lshrrev_b32_e32 v18, v8, v16
	s_delay_alu instid0(VALU_DEP_1) | instskip(NEXT) | instid1(VALU_DEP_1)
	v_lshlrev_b32_e32 v8, v8, v18
	v_cmp_ne_u32_e32 vcc_lo, v8, v16
	v_lshl_or_b32 v16, v14, 12, v10
	v_cndmask_b32_e64 v8, 0, 1, vcc_lo
	v_cmp_gt_i32_e32 vcc_lo, 1, v12
	s_delay_alu instid0(VALU_DEP_2) | instskip(SKIP_1) | instid1(VALU_DEP_2)
	v_dual_cndmask_b32 v13, v15, v13, vcc_lo :: v_dual_bitop2_b32 v8, v18, v8 bitop3:0x54
	v_cmp_gt_i32_e32 vcc_lo, 1, v14
	v_dual_lshrrev_b32 v13, 2, v13 :: v_dual_bitop2_b32 v15, 7, v13 bitop3:0x40
	s_delay_alu instid0(VALU_DEP_3) | instskip(NEXT) | instid1(VALU_DEP_1)
	v_cndmask_b32_e32 v8, v16, v8, vcc_lo
	v_dual_lshrrev_b32 v8, 2, v8 :: v_dual_bitop2_b32 v16, 7, v8 bitop3:0x40
	s_delay_alu instid0(VALU_DEP_3) | instskip(SKIP_4) | instid1(VALU_DEP_2)
	v_cmp_lt_i32_e32 vcc_lo, 5, v15
	v_cndmask_b32_e64 v17, 0, 1, vcc_lo
	v_cmp_eq_u32_e32 vcc_lo, 3, v15
	v_cndmask_b32_e64 v15, 0, 1, vcc_lo
	v_cmp_lt_i32_e32 vcc_lo, 5, v16
	v_or_b32_e32 v15, v15, v17
	v_cndmask_b32_e64 v18, 0, 1, vcc_lo
	v_cmp_eq_u32_e32 vcc_lo, 3, v16
	s_delay_alu instid0(VALU_DEP_3) | instskip(SKIP_2) | instid1(VALU_DEP_2)
	v_add_nc_u32_e32 v13, v13, v15
	v_cndmask_b32_e64 v16, 0, 1, vcc_lo
	v_cmp_ne_u32_e32 vcc_lo, 0, v3
	v_or_b32_e32 v16, v16, v18
	s_delay_alu instid0(VALU_DEP_1) | instskip(NEXT) | instid1(VALU_DEP_1)
	v_dual_mov_b32 v19, 0x7e00 :: v_dual_add_nc_u32 v8, v8, v16
	v_cndmask_b32_e32 v3, 0x7c00, v19, vcc_lo
	v_cmp_ne_u32_e32 vcc_lo, 0, v10
	v_cndmask_b32_e32 v10, 0x7c00, v19, vcc_lo
	v_cmp_gt_i32_e32 vcc_lo, 31, v12
	v_cndmask_b32_e32 v13, 0x7c00, v13, vcc_lo
	v_cmp_gt_i32_e32 vcc_lo, 31, v14
	v_cndmask_b32_e32 v8, 0x7c00, v8, vcc_lo
	v_cmp_eq_u32_e32 vcc_lo, 0x40f, v12
	s_delay_alu instid0(VALU_DEP_4) | instskip(SKIP_1) | instid1(VALU_DEP_2)
	v_cndmask_b32_e32 v3, v13, v3, vcc_lo
	v_cmp_eq_u32_e32 vcc_lo, 0x40f, v14
	v_and_or_b32 v3, 0x8000, v9, v3
	v_cndmask_b32_e32 v8, v8, v10, vcc_lo
	s_delay_alu instid0(VALU_DEP_1)
	v_and_or_b32 v8, 0x8000, v11, v8
	s_branch .LBB150_2376
.LBB150_2354:
	s_mov_b32 s10, -1
                                        ; implicit-def: $vgpr8
                                        ; implicit-def: $vgpr3
	s_branch .LBB150_2401
.LBB150_2355:
	s_mov_b32 s20, -1
                                        ; implicit-def: $vgpr3
	s_branch .LBB150_2368
.LBB150_2356:
	s_mov_b32 s10, -1
                                        ; implicit-def: $vgpr8
                                        ; implicit-def: $vgpr3
	s_branch .LBB150_2382
.LBB150_2357:
	s_or_saveexec_b32 s22, s22
	v_mov_b32_e32 v3, 0x7e00
	s_xor_b32 exec_lo, exec_lo, s22
	s_cbranch_execz .LBB150_2328
.LBB150_2358:
	v_cmp_ne_u16_e32 vcc_lo, 0, v8
	v_mov_b32_e32 v3, v8
	s_and_not1_b32 s21, s21, exec_lo
	s_and_b32 s23, vcc_lo, exec_lo
	s_delay_alu instid0(SALU_CYCLE_1)
	s_or_b32 s21, s21, s23
	s_or_b32 exec_lo, exec_lo, s22
	s_and_saveexec_b32 s22, s21
	s_cbranch_execnz .LBB150_2329
	s_branch .LBB150_2330
.LBB150_2359:
	s_mov_b32 s20, -1
                                        ; implicit-def: $vgpr3
	s_branch .LBB150_2365
.LBB150_2360:
	s_mov_b32 s10, -1
                                        ; implicit-def: $vgpr8
                                        ; implicit-def: $vgpr3
	s_branch .LBB150_2379
.LBB150_2361:
	s_mov_b32 s20, -1
                                        ; implicit-def: $vgpr3
.LBB150_2362:
	s_delay_alu instid0(SALU_CYCLE_1)
	s_and_b32 vcc_lo, exec_lo, s20
	s_cbranch_vccz .LBB150_2364
; %bb.2363:
	global_load_u8 v3, v[4:5], off
	s_wait_loadcnt 0x0
	v_lshlrev_b32_e32 v3, 24, v3
	s_delay_alu instid0(VALU_DEP_1) | instskip(NEXT) | instid1(VALU_DEP_1)
	v_and_b32_e32 v8, 0x7f000000, v3
	v_clz_i32_u32_e32 v9, v8
	v_cmp_ne_u32_e32 vcc_lo, 0, v8
	v_add_nc_u32_e32 v11, 0x1000000, v8
	s_delay_alu instid0(VALU_DEP_3) | instskip(NEXT) | instid1(VALU_DEP_1)
	v_min_u32_e32 v9, 32, v9
	v_sub_nc_u32_e64 v9, v9, 4 clamp
	s_delay_alu instid0(VALU_DEP_1) | instskip(NEXT) | instid1(VALU_DEP_1)
	v_dual_lshlrev_b32 v10, v9, v8 :: v_dual_lshlrev_b32 v9, 23, v9
	v_lshrrev_b32_e32 v10, 4, v10
	s_delay_alu instid0(VALU_DEP_1) | instskip(NEXT) | instid1(VALU_DEP_1)
	v_dual_sub_nc_u32 v9, v10, v9 :: v_dual_ashrrev_i32 v10, 8, v11
	v_add_nc_u32_e32 v9, 0x3c000000, v9
	s_delay_alu instid0(VALU_DEP_1) | instskip(NEXT) | instid1(VALU_DEP_1)
	v_and_or_b32 v9, 0x7f800000, v10, v9
	v_cndmask_b32_e32 v8, 0, v9, vcc_lo
	s_delay_alu instid0(VALU_DEP_1) | instskip(NEXT) | instid1(VALU_DEP_1)
	v_and_or_b32 v3, 0x80000000, v3, v8
	v_cvt_f16_f32_e32 v3, v3
.LBB150_2364:
	s_mov_b32 s20, 0
.LBB150_2365:
	s_delay_alu instid0(SALU_CYCLE_1)
	s_and_not1_b32 vcc_lo, exec_lo, s20
	s_cbranch_vccnz .LBB150_2367
; %bb.2366:
	global_load_u8 v3, v[4:5], off
	s_wait_loadcnt 0x0
	v_lshlrev_b32_e32 v8, 25, v3
	v_lshlrev_b16 v3, 8, v3
	s_delay_alu instid0(VALU_DEP_1) | instskip(SKIP_1) | instid1(VALU_DEP_2)
	v_and_or_b32 v10, 0x7f00, v3, 0.5
	v_bfe_i32 v3, v3, 0, 16
	v_dual_add_f32 v10, -0.5, v10 :: v_dual_lshrrev_b32 v9, 4, v8
	v_cmp_gt_u32_e32 vcc_lo, 0x8000000, v8
	s_delay_alu instid0(VALU_DEP_2) | instskip(NEXT) | instid1(VALU_DEP_1)
	v_or_b32_e32 v9, 0x70000000, v9
	v_mul_f32_e32 v9, 0x7800000, v9
	s_delay_alu instid0(VALU_DEP_1) | instskip(NEXT) | instid1(VALU_DEP_1)
	v_cndmask_b32_e32 v8, v9, v10, vcc_lo
	v_and_or_b32 v3, 0x80000000, v3, v8
	s_delay_alu instid0(VALU_DEP_1)
	v_cvt_f16_f32_e32 v3, v3
.LBB150_2367:
	s_mov_b32 s20, 0
	s_mov_b32 s21, -1
.LBB150_2368:
	s_and_not1_b32 vcc_lo, exec_lo, s20
	s_mov_b32 s20, 0
	s_cbranch_vccnz .LBB150_2391
; %bb.2369:
	s_cmp_gt_i32 s0, 14
	s_cbranch_scc0 .LBB150_2372
; %bb.2370:
	s_cmp_eq_u32 s0, 15
	s_cbranch_scc0 .LBB150_2387
; %bb.2371:
	global_load_u16 v3, v[4:5], off
	s_mov_b32 s10, 0
	s_mov_b32 s21, -1
	s_wait_loadcnt 0x0
	v_lshlrev_b32_e32 v3, 16, v3
	s_delay_alu instid0(VALU_DEP_1)
	v_cvt_f16_f32_e32 v3, v3
	s_branch .LBB150_2389
.LBB150_2372:
	s_mov_b32 s20, -1
	s_branch .LBB150_2388
.LBB150_2373:
	s_or_saveexec_b32 s21, s21
	v_mov_b32_e32 v3, 0x7e00
	s_xor_b32 exec_lo, exec_lo, s21
	s_cbranch_execz .LBB150_2341
.LBB150_2374:
	v_cmp_ne_u16_e32 vcc_lo, 0, v8
	v_mov_b32_e32 v3, v8
	s_and_not1_b32 s20, s20, exec_lo
	s_and_b32 s22, vcc_lo, exec_lo
	s_delay_alu instid0(SALU_CYCLE_1)
	s_or_b32 s20, s20, s22
	s_or_b32 exec_lo, exec_lo, s21
	s_and_saveexec_b32 s21, s20
	s_cbranch_execnz .LBB150_2342
	s_branch .LBB150_2343
.LBB150_2375:
	s_mov_b32 s10, -1
                                        ; implicit-def: $vgpr8
                                        ; implicit-def: $vgpr3
.LBB150_2376:
	s_delay_alu instid0(SALU_CYCLE_1)
	s_and_not1_b32 vcc_lo, exec_lo, s10
	s_cbranch_vccnz .LBB150_2378
; %bb.2377:
	global_load_b64 v[8:9], v[4:5], off
	s_wait_loadcnt 0x0
	v_cvt_f16_f32_e32 v3, v8
	v_cvt_f16_f32_e32 v8, v9
.LBB150_2378:
	s_mov_b32 s10, 0
.LBB150_2379:
	s_delay_alu instid0(SALU_CYCLE_1)
	s_and_not1_b32 vcc_lo, exec_lo, s10
	s_cbranch_vccnz .LBB150_2381
; %bb.2380:
	global_load_b32 v3, v[4:5], off
	s_wait_loadcnt 0x0
	v_lshrrev_b32_e32 v8, 16, v3
.LBB150_2381:
	s_mov_b32 s10, 0
.LBB150_2382:
	s_delay_alu instid0(SALU_CYCLE_1)
	s_and_not1_b32 vcc_lo, exec_lo, s10
	s_cbranch_vccnz .LBB150_2400
; %bb.2383:
	s_cmp_lt_i32 s0, 6
	s_cbranch_scc1 .LBB150_2386
; %bb.2384:
	s_cmp_gt_i32 s0, 6
	s_cbranch_scc0 .LBB150_2393
; %bb.2385:
	global_load_b64 v[8:9], v[4:5], off
	s_mov_b32 s10, 0
	s_wait_loadcnt 0x0
	v_and_or_b32 v3, 0x1ff, v9, v8
	v_lshrrev_b32_e32 v8, 8, v9
	v_bfe_u32 v10, v9, 20, 11
	s_delay_alu instid0(VALU_DEP_3) | instskip(NEXT) | instid1(VALU_DEP_2)
	v_cmp_ne_u32_e32 vcc_lo, 0, v3
	v_sub_nc_u32_e32 v11, 0x3f1, v10
	v_add_nc_u32_e32 v10, 0xfffffc10, v10
	v_cndmask_b32_e64 v3, 0, 1, vcc_lo
	s_delay_alu instid0(VALU_DEP_1) | instskip(NEXT) | instid1(VALU_DEP_4)
	v_and_or_b32 v3, 0xffe, v8, v3
	v_med3_i32 v8, v11, 0, 13
	s_delay_alu instid0(VALU_DEP_2) | instskip(NEXT) | instid1(VALU_DEP_1)
	v_or_b32_e32 v11, 0x1000, v3
	v_lshrrev_b32_e32 v12, v8, v11
	s_delay_alu instid0(VALU_DEP_1) | instskip(NEXT) | instid1(VALU_DEP_1)
	v_lshlrev_b32_e32 v8, v8, v12
	v_cmp_ne_u32_e32 vcc_lo, v8, v11
	v_lshl_or_b32 v11, v10, 12, v3
	v_cndmask_b32_e64 v8, 0, 1, vcc_lo
	v_cmp_gt_i32_e32 vcc_lo, 1, v10
	s_delay_alu instid0(VALU_DEP_2) | instskip(NEXT) | instid1(VALU_DEP_1)
	v_or_b32_e32 v8, v12, v8
	v_cndmask_b32_e32 v8, v11, v8, vcc_lo
	s_delay_alu instid0(VALU_DEP_1) | instskip(NEXT) | instid1(VALU_DEP_1)
	v_dual_lshrrev_b32 v8, 2, v8 :: v_dual_bitop2_b32 v11, 7, v8 bitop3:0x40
	v_cmp_lt_i32_e32 vcc_lo, 5, v11
	v_cndmask_b32_e64 v12, 0, 1, vcc_lo
	v_cmp_eq_u32_e32 vcc_lo, 3, v11
	v_cndmask_b32_e64 v11, 0, 1, vcc_lo
	v_cmp_ne_u32_e32 vcc_lo, 0, v3
	s_delay_alu instid0(VALU_DEP_2) | instskip(SKIP_1) | instid1(VALU_DEP_1)
	v_or_b32_e32 v11, v11, v12
	v_mov_b32_e32 v12, 0x7e00
	v_dual_cndmask_b32 v3, 0x7c00, v12 :: v_dual_add_nc_u32 v8, v8, v11
	v_cmp_gt_i32_e32 vcc_lo, 31, v10
	s_delay_alu instid0(VALU_DEP_2) | instskip(SKIP_1) | instid1(VALU_DEP_2)
	v_cndmask_b32_e32 v8, 0x7c00, v8, vcc_lo
	v_cmp_eq_u32_e32 vcc_lo, 0x40f, v10
	v_dual_cndmask_b32 v3, v8, v3 :: v_dual_lshrrev_b32 v8, 16, v9
	s_delay_alu instid0(VALU_DEP_1)
	v_and_or_b32 v3, 0x8000, v8, v3
	s_branch .LBB150_2394
.LBB150_2386:
	s_mov_b32 s10, -1
                                        ; implicit-def: $vgpr3
	s_branch .LBB150_2397
.LBB150_2387:
	s_mov_b32 s10, -1
.LBB150_2388:
                                        ; implicit-def: $vgpr3
.LBB150_2389:
	s_and_b32 vcc_lo, exec_lo, s20
	s_mov_b32 s20, 0
	s_cbranch_vccz .LBB150_2391
; %bb.2390:
	s_cmp_lg_u32 s0, 11
	s_mov_b32 s20, -1
	s_cselect_b32 s10, -1, 0
.LBB150_2391:
	v_mov_b32_e32 v8, 0
	s_and_b32 vcc_lo, exec_lo, s10
	s_cbranch_vccz .LBB150_2345
.LBB150_2392:
	s_or_b32 s13, s13, exec_lo
	s_trap 2
	s_cbranch_execz .LBB150_2346
	s_branch .LBB150_2347
.LBB150_2393:
	s_mov_b32 s10, -1
                                        ; implicit-def: $vgpr3
.LBB150_2394:
	s_delay_alu instid0(SALU_CYCLE_1)
	s_and_not1_b32 vcc_lo, exec_lo, s10
	s_cbranch_vccnz .LBB150_2396
; %bb.2395:
	global_load_b32 v3, v[4:5], off
	s_wait_loadcnt 0x0
	v_cvt_f16_f32_e32 v3, v3
.LBB150_2396:
	s_mov_b32 s10, 0
.LBB150_2397:
	s_delay_alu instid0(SALU_CYCLE_1)
	s_and_not1_b32 vcc_lo, exec_lo, s10
	s_cbranch_vccnz .LBB150_2399
; %bb.2398:
	global_load_u16 v3, v[4:5], off
.LBB150_2399:
	v_mov_b32_e32 v8, 0
.LBB150_2400:
	s_mov_b32 s10, 0
.LBB150_2401:
	s_delay_alu instid0(SALU_CYCLE_1)
	s_and_not1_b32 vcc_lo, exec_lo, s10
	s_cbranch_vccnz .LBB150_2422
; %bb.2402:
	s_cmp_lt_i32 s0, 2
	s_cbranch_scc1 .LBB150_2406
; %bb.2403:
	s_cmp_lt_i32 s0, 3
	s_cbranch_scc1 .LBB150_2407
; %bb.2404:
	s_cmp_gt_i32 s0, 3
	s_cbranch_scc0 .LBB150_2408
; %bb.2405:
	global_load_b64 v[8:9], v[4:5], off
	s_mov_b32 s10, 0
	s_wait_loadcnt 0x0
	v_xor_b32_e32 v3, v8, v9
	v_cls_i32_e32 v10, v9
	s_delay_alu instid0(VALU_DEP_2) | instskip(NEXT) | instid1(VALU_DEP_1)
	v_ashrrev_i32_e32 v3, 31, v3
	v_add_nc_u32_e32 v3, 32, v3
	s_delay_alu instid0(VALU_DEP_1) | instskip(NEXT) | instid1(VALU_DEP_1)
	v_add_min_u32_e64 v3, v10, -1, v3
	v_lshlrev_b64_e32 v[8:9], v3, v[8:9]
	v_sub_nc_u32_e32 v3, 32, v3
	s_delay_alu instid0(VALU_DEP_2) | instskip(NEXT) | instid1(VALU_DEP_1)
	v_min_u32_e32 v8, 1, v8
	v_or_b32_e32 v8, v9, v8
	s_delay_alu instid0(VALU_DEP_1) | instskip(NEXT) | instid1(VALU_DEP_1)
	v_cvt_f32_i32_e32 v8, v8
	v_ldexp_f32 v3, v8, v3
	s_delay_alu instid0(VALU_DEP_1)
	v_cvt_f16_f32_e32 v3, v3
	s_branch .LBB150_2409
.LBB150_2406:
	s_mov_b32 s10, -1
                                        ; implicit-def: $vgpr3
	s_branch .LBB150_2415
.LBB150_2407:
	s_mov_b32 s10, -1
                                        ; implicit-def: $vgpr3
	s_branch .LBB150_2412
.LBB150_2408:
	s_mov_b32 s10, -1
                                        ; implicit-def: $vgpr3
.LBB150_2409:
	s_delay_alu instid0(SALU_CYCLE_1)
	s_and_not1_b32 vcc_lo, exec_lo, s10
	s_cbranch_vccnz .LBB150_2411
; %bb.2410:
	s_wait_loadcnt 0x0
	global_load_b32 v3, v[4:5], off
	s_wait_loadcnt 0x0
	v_cvt_f32_i32_e32 v3, v3
	s_delay_alu instid0(VALU_DEP_1)
	v_cvt_f16_f32_e32 v3, v3
.LBB150_2411:
	s_mov_b32 s10, 0
.LBB150_2412:
	s_delay_alu instid0(SALU_CYCLE_1)
	s_and_not1_b32 vcc_lo, exec_lo, s10
	s_cbranch_vccnz .LBB150_2414
; %bb.2413:
	s_wait_loadcnt 0x0
	global_load_u16 v3, v[4:5], off
	s_wait_loadcnt 0x0
	v_cvt_f16_i16_e32 v3, v3
.LBB150_2414:
	s_mov_b32 s10, 0
.LBB150_2415:
	s_delay_alu instid0(SALU_CYCLE_1)
	s_and_not1_b32 vcc_lo, exec_lo, s10
	s_cbranch_vccnz .LBB150_2421
; %bb.2416:
	s_cmp_gt_i32 s0, 0
	s_mov_b32 s0, 0
	s_cbranch_scc0 .LBB150_2418
; %bb.2417:
	s_wait_loadcnt 0x0
	global_load_i8 v3, v[4:5], off
	s_wait_loadcnt 0x0
	v_cvt_f16_i16_e32 v3, v3
	s_branch .LBB150_2419
.LBB150_2418:
	s_mov_b32 s0, -1
                                        ; implicit-def: $vgpr3
.LBB150_2419:
	s_delay_alu instid0(SALU_CYCLE_1)
	s_and_not1_b32 vcc_lo, exec_lo, s0
	s_cbranch_vccnz .LBB150_2421
; %bb.2420:
	s_wait_loadcnt 0x0
	global_load_u8 v3, v[4:5], off
	s_wait_loadcnt 0x0
	v_cvt_f16_u16_e32 v3, v3
.LBB150_2421:
	v_mov_b32_e32 v8, 0
.LBB150_2422:
	s_mov_b32 s21, -1
.LBB150_2423:
	s_delay_alu instid0(SALU_CYCLE_1)
	s_and_not1_b32 vcc_lo, exec_lo, s21
	s_cbranch_vccnz .LBB150_2703
; %bb.2424:
	s_and_b32 vcc_lo, exec_lo, s11
	s_cbranch_vccz .LBB150_2426
; %bb.2425:
	s_wait_loadcnt 0x0
	v_cmp_neq_f16_e32 vcc_lo, v1, v3
	v_cmp_neq_f16_e64 s0, v7, v8
	s_or_b32 s10, vcc_lo, s0
	s_mov_b32 s0, 0
	s_branch .LBB150_2427
.LBB150_2426:
	s_mov_b32 s0, -1
                                        ; implicit-def: $sgpr10
.LBB150_2427:
	s_delay_alu instid0(SALU_CYCLE_1)
	s_and_not1_b32 vcc_lo, exec_lo, s0
	s_cbranch_vccnz .LBB150_2429
; %bb.2428:
	s_wait_loadcnt 0x0
	v_cmp_eq_f16_e32 vcc_lo, v1, v3
	v_cmp_eq_f16_e64 s0, v7, v8
	s_and_not1_b32 s10, s10, exec_lo
	s_and_b32 s0, vcc_lo, s0
	s_delay_alu instid0(SALU_CYCLE_1) | instskip(NEXT) | instid1(SALU_CYCLE_1)
	s_and_b32 s0, s0, exec_lo
	s_or_b32 s10, s10, s0
.LBB150_2429:
	v_add_nc_u32_e32 v0, s18, v0
	s_cmp_lt_i32 s14, 11
	s_wait_loadcnt 0x0
	s_delay_alu instid0(VALU_DEP_1) | instskip(NEXT) | instid1(VALU_DEP_1)
	v_ashrrev_i32_e32 v1, 31, v0
	v_add_nc_u64_e32 v[0:1], s[6:7], v[0:1]
	s_cbranch_scc1 .LBB150_2436
; %bb.2430:
	s_and_b32 s0, 0xffff, s14
	s_mov_b32 s7, 0
	s_cmp_gt_i32 s0, 25
	s_cbranch_scc0 .LBB150_2437
; %bb.2431:
	s_cmp_gt_i32 s0, 28
	s_cbranch_scc0 .LBB150_2438
; %bb.2432:
	;; [unrolled: 3-line block ×4, first 2 shown]
	s_cmp_eq_u32 s0, 46
	s_mov_b32 s20, 0
	s_cbranch_scc0 .LBB150_2441
; %bb.2435:
	global_load_b32 v3, v[0:1], off
	s_mov_b32 s6, 0
	s_mov_b32 s18, -1
	s_wait_loadcnt 0x0
	s_wait_xcnt 0x1
	v_lshlrev_b32_e32 v4, 16, v3
	v_and_b32_e32 v5, 0xffff0000, v3
	s_delay_alu instid0(VALU_DEP_2) | instskip(NEXT) | instid1(VALU_DEP_2)
	v_cvt_f16_f32_e32 v3, v4
	v_cvt_f16_f32_e32 v4, v5
	s_branch .LBB150_2443
.LBB150_2436:
	s_mov_b32 s0, -1
	s_mov_b32 s18, 0
                                        ; implicit-def: $vgpr4
                                        ; implicit-def: $vgpr3
	s_branch .LBB150_2489
.LBB150_2437:
	s_mov_b32 s20, -1
	s_mov_b32 s18, 0
	s_mov_b32 s6, 0
                                        ; implicit-def: $vgpr4
                                        ; implicit-def: $vgpr3
	s_branch .LBB150_2474
.LBB150_2438:
	s_mov_b32 s20, -1
	s_mov_b32 s18, 0
	s_mov_b32 s6, 0
                                        ; implicit-def: $vgpr4
                                        ; implicit-def: $vgpr3
	s_branch .LBB150_2455
.LBB150_2439:
	s_mov_b32 s20, -1
	s_mov_b32 s18, 0
	s_mov_b32 s6, 0
                                        ; implicit-def: $vgpr4
                                        ; implicit-def: $vgpr3
	s_branch .LBB150_2449
.LBB150_2440:
	s_mov_b32 s20, -1
	s_mov_b32 s18, 0
	s_mov_b32 s6, 0
	s_branch .LBB150_2442
.LBB150_2441:
	s_mov_b32 s6, -1
	s_mov_b32 s18, 0
.LBB150_2442:
                                        ; implicit-def: $vgpr4
                                        ; implicit-def: $vgpr3
.LBB150_2443:
	s_and_b32 vcc_lo, exec_lo, s20
	s_cbranch_vccz .LBB150_2448
; %bb.2444:
	s_cmp_eq_u32 s0, 44
	s_cbranch_scc0 .LBB150_2446
; %bb.2445:
	global_load_u8 v3, v[0:1], off
	s_mov_b32 s6, 0
	s_mov_b32 s18, -1
	s_wait_loadcnt 0x0
	s_wait_xcnt 0x1
	v_lshlrev_b32_e32 v4, 23, v3
	v_cmp_ne_u32_e32 vcc_lo, 0xff, v3
	s_delay_alu instid0(VALU_DEP_2) | instskip(NEXT) | instid1(VALU_DEP_1)
	v_cvt_f16_f32_e32 v4, v4
	v_cndmask_b32_e32 v4, 0x7e00, v4, vcc_lo
	v_cmp_ne_u32_e32 vcc_lo, 0, v3
	s_delay_alu instid0(VALU_DEP_2)
	v_cndmask_b32_e32 v3, 0, v4, vcc_lo
	s_branch .LBB150_2447
.LBB150_2446:
	s_mov_b32 s6, -1
                                        ; implicit-def: $vgpr3
.LBB150_2447:
	s_wait_xcnt 0x0
	v_mov_b32_e32 v4, 0
.LBB150_2448:
	s_mov_b32 s20, 0
.LBB150_2449:
	s_delay_alu instid0(SALU_CYCLE_1)
	s_and_b32 vcc_lo, exec_lo, s20
	s_cbranch_vccz .LBB150_2454
; %bb.2450:
	s_cmp_eq_u32 s0, 29
	s_cbranch_scc0 .LBB150_2452
; %bb.2451:
	global_load_b64 v[4:5], v[0:1], off
	s_mov_b32 s6, 0
	s_mov_b32 s18, -1
	s_wait_loadcnt 0x0
	v_clz_i32_u32_e32 v3, v5
	s_delay_alu instid0(VALU_DEP_1) | instskip(NEXT) | instid1(VALU_DEP_1)
	v_min_u32_e32 v3, 32, v3
	v_lshlrev_b64_e32 v[4:5], v3, v[4:5]
	v_sub_nc_u32_e32 v3, 32, v3
	s_delay_alu instid0(VALU_DEP_2) | instskip(NEXT) | instid1(VALU_DEP_1)
	v_min_u32_e32 v4, 1, v4
	v_or_b32_e32 v4, v5, v4
	s_delay_alu instid0(VALU_DEP_1) | instskip(NEXT) | instid1(VALU_DEP_1)
	v_cvt_f32_u32_e32 v4, v4
	v_ldexp_f32 v3, v4, v3
	s_delay_alu instid0(VALU_DEP_1)
	v_cvt_f16_f32_e32 v3, v3
	s_branch .LBB150_2453
.LBB150_2452:
	s_mov_b32 s6, -1
                                        ; implicit-def: $vgpr3
.LBB150_2453:
	s_wait_xcnt 0x0
	v_mov_b32_e32 v4, 0
.LBB150_2454:
	s_mov_b32 s20, 0
.LBB150_2455:
	s_delay_alu instid0(SALU_CYCLE_1)
	s_and_b32 vcc_lo, exec_lo, s20
	s_cbranch_vccz .LBB150_2473
; %bb.2456:
	s_cmp_lt_i32 s0, 27
	s_cbranch_scc1 .LBB150_2459
; %bb.2457:
	s_cmp_gt_i32 s0, 27
	s_cbranch_scc0 .LBB150_2460
; %bb.2458:
	global_load_b32 v3, v[0:1], off
	s_mov_b32 s18, 0
	s_wait_loadcnt 0x0
	v_cvt_f32_u32_e32 v3, v3
	s_delay_alu instid0(VALU_DEP_1)
	v_cvt_f16_f32_e32 v3, v3
	s_branch .LBB150_2461
.LBB150_2459:
	s_mov_b32 s18, -1
                                        ; implicit-def: $vgpr3
	s_branch .LBB150_2464
.LBB150_2460:
	s_mov_b32 s18, -1
                                        ; implicit-def: $vgpr3
.LBB150_2461:
	s_delay_alu instid0(SALU_CYCLE_1)
	s_and_not1_b32 vcc_lo, exec_lo, s18
	s_cbranch_vccnz .LBB150_2463
; %bb.2462:
	global_load_u16 v3, v[0:1], off
	s_wait_loadcnt 0x0
	v_cvt_f16_u16_e32 v3, v3
.LBB150_2463:
	s_mov_b32 s18, 0
.LBB150_2464:
	s_delay_alu instid0(SALU_CYCLE_1)
	s_and_not1_b32 vcc_lo, exec_lo, s18
	s_cbranch_vccnz .LBB150_2472
; %bb.2465:
	global_load_u8 v4, v[0:1], off
	s_mov_b32 s18, 0
	s_mov_b32 s20, exec_lo
	s_wait_loadcnt 0x0
	v_cmpx_lt_i16_e32 0x7f, v4
	s_xor_b32 s20, exec_lo, s20
	s_cbranch_execz .LBB150_2498
; %bb.2466:
	s_mov_b32 s18, -1
	s_mov_b32 s21, exec_lo
	v_cmpx_eq_u16_e32 0x80, v4
; %bb.2467:
	s_xor_b32 s18, exec_lo, -1
; %bb.2468:
	s_or_b32 exec_lo, exec_lo, s21
	s_delay_alu instid0(SALU_CYCLE_1)
	s_and_b32 s18, s18, exec_lo
	s_or_saveexec_b32 s20, s20
	v_mov_b32_e32 v3, 0x7e00
	s_xor_b32 exec_lo, exec_lo, s20
	s_cbranch_execnz .LBB150_2499
.LBB150_2469:
	s_or_b32 exec_lo, exec_lo, s20
	s_and_saveexec_b32 s20, s18
	s_cbranch_execz .LBB150_2471
.LBB150_2470:
	v_and_b32_e32 v3, 0xffff, v4
	s_delay_alu instid0(VALU_DEP_1) | instskip(SKIP_1) | instid1(VALU_DEP_2)
	v_dual_lshlrev_b32 v4, 24, v4 :: v_dual_bitop2_b32 v5, 7, v3 bitop3:0x40
	v_bfe_u32 v9, v3, 3, 4
	v_and_b32_e32 v4, 0x80000000, v4
	s_delay_alu instid0(VALU_DEP_3) | instskip(NEXT) | instid1(VALU_DEP_3)
	v_clz_i32_u32_e32 v7, v5
	v_cmp_eq_u32_e32 vcc_lo, 0, v9
	s_delay_alu instid0(VALU_DEP_2) | instskip(NEXT) | instid1(VALU_DEP_1)
	v_min_u32_e32 v7, 32, v7
	v_subrev_nc_u32_e32 v8, 28, v7
	v_sub_nc_u32_e32 v7, 29, v7
	s_delay_alu instid0(VALU_DEP_2) | instskip(NEXT) | instid1(VALU_DEP_2)
	v_lshlrev_b32_e32 v3, v8, v3
	v_cndmask_b32_e32 v7, v9, v7, vcc_lo
	s_delay_alu instid0(VALU_DEP_2) | instskip(NEXT) | instid1(VALU_DEP_1)
	v_and_b32_e32 v3, 7, v3
	v_cndmask_b32_e32 v3, v5, v3, vcc_lo
	s_delay_alu instid0(VALU_DEP_3) | instskip(NEXT) | instid1(VALU_DEP_2)
	v_lshl_add_u32 v5, v7, 23, 0x3b800000
	v_lshlrev_b32_e32 v3, 20, v3
	s_delay_alu instid0(VALU_DEP_1) | instskip(NEXT) | instid1(VALU_DEP_1)
	v_or3_b32 v3, v4, v5, v3
	v_cvt_f16_f32_e32 v3, v3
.LBB150_2471:
	s_or_b32 exec_lo, exec_lo, s20
.LBB150_2472:
	s_wait_xcnt 0x0
	v_mov_b32_e32 v4, 0
	s_mov_b32 s18, -1
.LBB150_2473:
	s_mov_b32 s20, 0
.LBB150_2474:
	s_delay_alu instid0(SALU_CYCLE_1)
	s_and_b32 vcc_lo, exec_lo, s20
	s_cbranch_vccz .LBB150_2485
; %bb.2475:
	s_cmp_gt_i32 s0, 22
	s_cbranch_scc0 .LBB150_2496
; %bb.2476:
	s_cmp_lt_i32 s0, 24
	s_cbranch_scc1 .LBB150_2500
; %bb.2477:
	s_cmp_gt_i32 s0, 24
	s_cbranch_scc0 .LBB150_2502
; %bb.2478:
	global_load_u8 v4, v[0:1], off
	s_mov_b32 s18, exec_lo
	s_wait_loadcnt 0x0
	v_cmpx_lt_i16_e32 0x7f, v4
	s_xor_b32 s18, exec_lo, s18
	s_cbranch_execz .LBB150_2514
; %bb.2479:
	s_mov_b32 s7, -1
	s_mov_b32 s20, exec_lo
	v_cmpx_eq_u16_e32 0x80, v4
; %bb.2480:
	s_xor_b32 s7, exec_lo, -1
; %bb.2481:
	s_or_b32 exec_lo, exec_lo, s20
	s_delay_alu instid0(SALU_CYCLE_1)
	s_and_b32 s7, s7, exec_lo
	s_or_saveexec_b32 s18, s18
	v_mov_b32_e32 v3, 0x7e00
	s_xor_b32 exec_lo, exec_lo, s18
	s_cbranch_execnz .LBB150_2515
.LBB150_2482:
	s_or_b32 exec_lo, exec_lo, s18
	s_and_saveexec_b32 s18, s7
	s_cbranch_execz .LBB150_2484
.LBB150_2483:
	v_and_b32_e32 v3, 0xffff, v4
	s_delay_alu instid0(VALU_DEP_1) | instskip(SKIP_1) | instid1(VALU_DEP_2)
	v_dual_lshlrev_b32 v4, 24, v4 :: v_dual_bitop2_b32 v5, 3, v3 bitop3:0x40
	v_bfe_u32 v9, v3, 2, 5
	v_and_b32_e32 v4, 0x80000000, v4
	s_delay_alu instid0(VALU_DEP_3) | instskip(NEXT) | instid1(VALU_DEP_3)
	v_clz_i32_u32_e32 v7, v5
	v_cmp_eq_u32_e32 vcc_lo, 0, v9
	s_delay_alu instid0(VALU_DEP_2) | instskip(NEXT) | instid1(VALU_DEP_1)
	v_min_u32_e32 v7, 32, v7
	v_subrev_nc_u32_e32 v8, 29, v7
	v_sub_nc_u32_e32 v7, 30, v7
	s_delay_alu instid0(VALU_DEP_2) | instskip(NEXT) | instid1(VALU_DEP_2)
	v_lshlrev_b32_e32 v3, v8, v3
	v_cndmask_b32_e32 v7, v9, v7, vcc_lo
	s_delay_alu instid0(VALU_DEP_2) | instskip(NEXT) | instid1(VALU_DEP_1)
	v_and_b32_e32 v3, 3, v3
	v_cndmask_b32_e32 v3, v5, v3, vcc_lo
	s_delay_alu instid0(VALU_DEP_3) | instskip(NEXT) | instid1(VALU_DEP_2)
	v_lshl_add_u32 v5, v7, 23, 0x37800000
	v_lshlrev_b32_e32 v3, 21, v3
	s_delay_alu instid0(VALU_DEP_1) | instskip(NEXT) | instid1(VALU_DEP_1)
	v_or3_b32 v3, v4, v5, v3
	v_cvt_f16_f32_e32 v3, v3
.LBB150_2484:
	s_or_b32 exec_lo, exec_lo, s18
	s_mov_b32 s7, 0
	s_branch .LBB150_2503
.LBB150_2485:
	s_and_b32 vcc_lo, exec_lo, s6
	s_cbranch_vccnz .LBB150_2533
.LBB150_2486:
	s_and_not1_b32 vcc_lo, exec_lo, s7
	s_cbranch_vccnz .LBB150_2488
.LBB150_2487:
	global_load_u8 v3, v[0:1], off
	s_wait_xcnt 0x1
	v_mov_b32_e32 v4, 0
	s_mov_b32 s18, -1
	s_wait_loadcnt 0x0
	v_cmp_ne_u16_e32 vcc_lo, 0, v3
	v_cndmask_b32_e64 v3, 0, 0x3c00, vcc_lo
.LBB150_2488:
	s_mov_b32 s0, 0
.LBB150_2489:
	s_delay_alu instid0(SALU_CYCLE_1)
	s_and_b32 vcc_lo, exec_lo, s0
	s_cbranch_vccz .LBB150_2564
; %bb.2490:
	s_and_b32 s0, 0xffff, s14
	s_delay_alu instid0(SALU_CYCLE_1)
	s_cmp_lt_i32 s0, 5
	s_cbranch_scc1 .LBB150_2495
; %bb.2491:
	s_cmp_lt_i32 s0, 8
	s_cbranch_scc1 .LBB150_2497
; %bb.2492:
	;; [unrolled: 3-line block ×3, first 2 shown]
	s_cmp_gt_i32 s0, 9
	s_cbranch_scc0 .LBB150_2516
; %bb.2494:
	global_load_b128 v[8:11], v[0:1], off
	v_mov_b32_e32 v16, 0x7e00
	s_mov_b32 s6, 0
	s_wait_loadcnt 0x0
	v_and_or_b32 v3, 0x1ff, v9, v8
	v_and_or_b32 v7, 0x1ff, v11, v10
	s_wait_xcnt 0x1
	v_dual_lshrrev_b32 v4, 8, v9 :: v_dual_lshrrev_b32 v8, 8, v11
	v_bfe_u32 v5, v9, 20, 11
	v_cmp_ne_u32_e32 vcc_lo, 0, v3
	v_bfe_u32 v10, v11, 20, 11
	v_dual_lshrrev_b32 v9, 16, v9 :: v_dual_lshrrev_b32 v11, 16, v11
	s_delay_alu instid0(VALU_DEP_4) | instskip(SKIP_2) | instid1(VALU_DEP_2)
	v_sub_nc_u32_e32 v12, 0x3f1, v5
	v_cndmask_b32_e64 v3, 0, 1, vcc_lo
	v_cmp_ne_u32_e32 vcc_lo, 0, v7
	v_and_or_b32 v3, 0xffe, v4, v3
	v_cndmask_b32_e64 v7, 0, 1, vcc_lo
	v_sub_nc_u32_e32 v4, 0x3f1, v10
	v_add_nc_u32_e32 v10, 0xfffffc10, v10
	s_delay_alu instid0(VALU_DEP_3) | instskip(SKIP_3) | instid1(VALU_DEP_4)
	v_and_or_b32 v7, 0xffe, v8, v7
	v_med3_i32 v8, v12, 0, 13
	v_or_b32_e32 v12, 0x1000, v3
	v_med3_i32 v4, v4, 0, 13
	v_or_b32_e32 v13, 0x1000, v7
	s_delay_alu instid0(VALU_DEP_3) | instskip(NEXT) | instid1(VALU_DEP_1)
	v_lshrrev_b32_e32 v14, v8, v12
	v_lshlrev_b32_e32 v8, v8, v14
	s_delay_alu instid0(VALU_DEP_1) | instskip(SKIP_1) | instid1(VALU_DEP_1)
	v_cmp_ne_u32_e32 vcc_lo, v8, v12
	v_cndmask_b32_e64 v8, 0, 1, vcc_lo
	v_dual_lshrrev_b32 v15, v4, v13 :: v_dual_bitop2_b32 v8, v14, v8 bitop3:0x54
	s_delay_alu instid0(VALU_DEP_1) | instskip(SKIP_1) | instid1(VALU_DEP_2)
	v_lshlrev_b32_e32 v4, v4, v15
	v_add_nc_u32_e32 v5, 0xfffffc10, v5
	v_cmp_ne_u32_e32 vcc_lo, v4, v13
	s_delay_alu instid0(VALU_DEP_2) | instskip(SKIP_3) | instid1(VALU_DEP_2)
	v_lshl_or_b32 v12, v5, 12, v3
	v_lshl_or_b32 v13, v10, 12, v7
	v_cndmask_b32_e64 v4, 0, 1, vcc_lo
	v_cmp_gt_i32_e32 vcc_lo, 1, v5
	v_or_b32_e32 v4, v15, v4
	v_cndmask_b32_e32 v8, v12, v8, vcc_lo
	v_cmp_gt_i32_e32 vcc_lo, 1, v10
	s_delay_alu instid0(VALU_DEP_2) | instskip(NEXT) | instid1(VALU_DEP_4)
	v_and_b32_e32 v12, 7, v8
	v_cndmask_b32_e32 v4, v13, v4, vcc_lo
	s_delay_alu instid0(VALU_DEP_2) | instskip(SKIP_3) | instid1(VALU_DEP_1)
	v_cmp_lt_i32_e32 vcc_lo, 5, v12
	v_cndmask_b32_e64 v14, 0, 1, vcc_lo
	v_cmp_eq_u32_e32 vcc_lo, 3, v12
	v_cndmask_b32_e64 v12, 0, 1, vcc_lo
	v_or_b32_e32 v12, v12, v14
	v_dual_lshrrev_b32 v4, 2, v4 :: v_dual_bitop2_b32 v13, 7, v4 bitop3:0x40
	s_delay_alu instid0(VALU_DEP_1) | instskip(SKIP_4) | instid1(VALU_DEP_2)
	v_cmp_lt_i32_e32 vcc_lo, 5, v13
	v_cndmask_b32_e64 v15, 0, 1, vcc_lo
	v_cmp_eq_u32_e32 vcc_lo, 3, v13
	v_cndmask_b32_e64 v13, 0, 1, vcc_lo
	v_cmp_ne_u32_e32 vcc_lo, 0, v3
	v_dual_lshrrev_b32 v8, 2, v8 :: v_dual_bitop2_b32 v13, v13, v15 bitop3:0x54
	v_cndmask_b32_e32 v3, 0x7c00, v16, vcc_lo
	v_cmp_ne_u32_e32 vcc_lo, 0, v7
	s_delay_alu instid0(VALU_DEP_3) | instskip(NEXT) | instid1(VALU_DEP_4)
	v_add_nc_u32_e32 v4, v4, v13
	v_add_nc_u32_e32 v8, v8, v12
	v_cndmask_b32_e32 v7, 0x7c00, v16, vcc_lo
	v_cmp_gt_i32_e32 vcc_lo, 31, v5
	s_delay_alu instid0(VALU_DEP_3) | instskip(SKIP_3) | instid1(VALU_DEP_4)
	v_cndmask_b32_e32 v8, 0x7c00, v8, vcc_lo
	v_cmp_gt_i32_e32 vcc_lo, 31, v10
	v_cndmask_b32_e32 v4, 0x7c00, v4, vcc_lo
	v_cmp_eq_u32_e32 vcc_lo, 0x40f, v5
	v_cndmask_b32_e32 v3, v8, v3, vcc_lo
	v_cmp_eq_u32_e32 vcc_lo, 0x40f, v10
	s_delay_alu instid0(VALU_DEP_2) | instskip(SKIP_1) | instid1(VALU_DEP_1)
	v_and_or_b32 v3, 0x8000, v9, v3
	v_cndmask_b32_e32 v4, v4, v7, vcc_lo
	v_and_or_b32 v4, 0x8000, v11, v4
	s_branch .LBB150_2517
.LBB150_2495:
	s_mov_b32 s6, -1
                                        ; implicit-def: $vgpr4
                                        ; implicit-def: $vgpr3
	s_branch .LBB150_2542
.LBB150_2496:
	s_mov_b32 s7, -1
                                        ; implicit-def: $vgpr3
	s_branch .LBB150_2509
.LBB150_2497:
	s_mov_b32 s6, -1
                                        ; implicit-def: $vgpr4
                                        ; implicit-def: $vgpr3
	s_branch .LBB150_2523
.LBB150_2498:
	s_or_saveexec_b32 s20, s20
	v_mov_b32_e32 v3, 0x7e00
	s_xor_b32 exec_lo, exec_lo, s20
	s_cbranch_execz .LBB150_2469
.LBB150_2499:
	v_cmp_ne_u16_e32 vcc_lo, 0, v4
	v_mov_b32_e32 v3, v4
	s_and_not1_b32 s18, s18, exec_lo
	s_and_b32 s21, vcc_lo, exec_lo
	s_delay_alu instid0(SALU_CYCLE_1)
	s_or_b32 s18, s18, s21
	s_or_b32 exec_lo, exec_lo, s20
	s_and_saveexec_b32 s20, s18
	s_cbranch_execnz .LBB150_2470
	s_branch .LBB150_2471
.LBB150_2500:
	s_mov_b32 s7, -1
                                        ; implicit-def: $vgpr3
	s_branch .LBB150_2506
.LBB150_2501:
	s_mov_b32 s6, -1
                                        ; implicit-def: $vgpr4
                                        ; implicit-def: $vgpr3
	s_branch .LBB150_2520
.LBB150_2502:
	s_mov_b32 s7, -1
                                        ; implicit-def: $vgpr3
.LBB150_2503:
	s_delay_alu instid0(SALU_CYCLE_1)
	s_and_b32 vcc_lo, exec_lo, s7
	s_cbranch_vccz .LBB150_2505
; %bb.2504:
	global_load_u8 v3, v[0:1], off
	s_wait_loadcnt 0x0
	v_lshlrev_b32_e32 v3, 24, v3
	s_wait_xcnt 0x1
	s_delay_alu instid0(VALU_DEP_1) | instskip(NEXT) | instid1(VALU_DEP_1)
	v_and_b32_e32 v4, 0x7f000000, v3
	v_clz_i32_u32_e32 v5, v4
	v_add_nc_u32_e32 v8, 0x1000000, v4
	v_cmp_ne_u32_e32 vcc_lo, 0, v4
	s_delay_alu instid0(VALU_DEP_3) | instskip(NEXT) | instid1(VALU_DEP_1)
	v_min_u32_e32 v5, 32, v5
	v_sub_nc_u32_e64 v5, v5, 4 clamp
	s_delay_alu instid0(VALU_DEP_1) | instskip(NEXT) | instid1(VALU_DEP_1)
	v_dual_lshlrev_b32 v7, v5, v4 :: v_dual_lshlrev_b32 v5, 23, v5
	v_lshrrev_b32_e32 v7, 4, v7
	s_delay_alu instid0(VALU_DEP_1) | instskip(NEXT) | instid1(VALU_DEP_1)
	v_dual_sub_nc_u32 v5, v7, v5 :: v_dual_ashrrev_i32 v7, 8, v8
	v_add_nc_u32_e32 v5, 0x3c000000, v5
	s_delay_alu instid0(VALU_DEP_1) | instskip(NEXT) | instid1(VALU_DEP_1)
	v_and_or_b32 v5, 0x7f800000, v7, v5
	v_cndmask_b32_e32 v4, 0, v5, vcc_lo
	s_delay_alu instid0(VALU_DEP_1) | instskip(NEXT) | instid1(VALU_DEP_1)
	v_and_or_b32 v3, 0x80000000, v3, v4
	v_cvt_f16_f32_e32 v3, v3
.LBB150_2505:
	s_mov_b32 s7, 0
.LBB150_2506:
	s_delay_alu instid0(SALU_CYCLE_1)
	s_and_not1_b32 vcc_lo, exec_lo, s7
	s_cbranch_vccnz .LBB150_2508
; %bb.2507:
	global_load_u8 v3, v[0:1], off
	s_wait_loadcnt 0x0
	s_wait_xcnt 0x1
	v_lshlrev_b32_e32 v4, 25, v3
	v_lshlrev_b16 v3, 8, v3
	s_delay_alu instid0(VALU_DEP_1) | instskip(NEXT) | instid1(VALU_DEP_3)
	v_and_or_b32 v7, 0x7f00, v3, 0.5
	v_lshrrev_b32_e32 v5, 4, v4
	v_bfe_i32 v3, v3, 0, 16
	s_delay_alu instid0(VALU_DEP_3) | instskip(NEXT) | instid1(VALU_DEP_3)
	v_add_f32_e32 v7, -0.5, v7
	v_or_b32_e32 v5, 0x70000000, v5
	s_delay_alu instid0(VALU_DEP_1) | instskip(SKIP_1) | instid1(VALU_DEP_2)
	v_mul_f32_e32 v5, 0x7800000, v5
	v_cmp_gt_u32_e32 vcc_lo, 0x8000000, v4
	v_cndmask_b32_e32 v4, v5, v7, vcc_lo
	s_delay_alu instid0(VALU_DEP_1) | instskip(NEXT) | instid1(VALU_DEP_1)
	v_and_or_b32 v3, 0x80000000, v3, v4
	v_cvt_f16_f32_e32 v3, v3
.LBB150_2508:
	s_mov_b32 s7, 0
	s_mov_b32 s18, -1
.LBB150_2509:
	s_and_not1_b32 vcc_lo, exec_lo, s7
	s_mov_b32 s7, 0
	s_cbranch_vccnz .LBB150_2532
; %bb.2510:
	s_cmp_gt_i32 s0, 14
	s_cbranch_scc0 .LBB150_2513
; %bb.2511:
	s_cmp_eq_u32 s0, 15
	s_cbranch_scc0 .LBB150_2528
; %bb.2512:
	global_load_u16 v3, v[0:1], off
	s_mov_b32 s6, 0
	s_mov_b32 s18, -1
	s_wait_loadcnt 0x0
	v_lshlrev_b32_e32 v3, 16, v3
	s_delay_alu instid0(VALU_DEP_1)
	v_cvt_f16_f32_e32 v3, v3
	s_branch .LBB150_2530
.LBB150_2513:
	s_mov_b32 s7, -1
	s_branch .LBB150_2529
.LBB150_2514:
	s_or_saveexec_b32 s18, s18
	v_mov_b32_e32 v3, 0x7e00
	s_xor_b32 exec_lo, exec_lo, s18
	s_cbranch_execz .LBB150_2482
.LBB150_2515:
	v_cmp_ne_u16_e32 vcc_lo, 0, v4
	v_mov_b32_e32 v3, v4
	s_and_not1_b32 s7, s7, exec_lo
	s_and_b32 s20, vcc_lo, exec_lo
	s_delay_alu instid0(SALU_CYCLE_1)
	s_or_b32 s7, s7, s20
	s_or_b32 exec_lo, exec_lo, s18
	s_and_saveexec_b32 s18, s7
	s_cbranch_execnz .LBB150_2483
	s_branch .LBB150_2484
.LBB150_2516:
	s_mov_b32 s6, -1
                                        ; implicit-def: $vgpr4
                                        ; implicit-def: $vgpr3
.LBB150_2517:
	s_delay_alu instid0(SALU_CYCLE_1)
	s_and_not1_b32 vcc_lo, exec_lo, s6
	s_cbranch_vccnz .LBB150_2519
; %bb.2518:
	global_load_b64 v[4:5], v[0:1], off
	s_wait_loadcnt 0x0
	v_cvt_f16_f32_e32 v3, v4
	v_cvt_f16_f32_e32 v4, v5
.LBB150_2519:
	s_mov_b32 s6, 0
.LBB150_2520:
	s_delay_alu instid0(SALU_CYCLE_1)
	s_and_not1_b32 vcc_lo, exec_lo, s6
	s_cbranch_vccnz .LBB150_2522
; %bb.2521:
	global_load_b32 v3, v[0:1], off
	s_wait_loadcnt 0x0
	s_wait_xcnt 0x1
	v_lshrrev_b32_e32 v4, 16, v3
.LBB150_2522:
	s_mov_b32 s6, 0
.LBB150_2523:
	s_delay_alu instid0(SALU_CYCLE_1)
	s_and_not1_b32 vcc_lo, exec_lo, s6
	s_cbranch_vccnz .LBB150_2541
; %bb.2524:
	s_cmp_lt_i32 s0, 6
	s_cbranch_scc1 .LBB150_2527
; %bb.2525:
	s_cmp_gt_i32 s0, 6
	s_cbranch_scc0 .LBB150_2534
; %bb.2526:
	global_load_b64 v[4:5], v[0:1], off
	s_mov_b32 s6, 0
	s_wait_loadcnt 0x0
	v_and_or_b32 v3, 0x1ff, v5, v4
	v_lshrrev_b32_e32 v4, 8, v5
	v_bfe_u32 v7, v5, 20, 11
	s_delay_alu instid0(VALU_DEP_3) | instskip(NEXT) | instid1(VALU_DEP_2)
	v_cmp_ne_u32_e32 vcc_lo, 0, v3
	v_sub_nc_u32_e32 v8, 0x3f1, v7
	v_cndmask_b32_e64 v3, 0, 1, vcc_lo
	s_delay_alu instid0(VALU_DEP_1) | instskip(NEXT) | instid1(VALU_DEP_3)
	v_and_or_b32 v3, 0xffe, v4, v3
	v_med3_i32 v4, v8, 0, 13
	s_delay_alu instid0(VALU_DEP_2) | instskip(NEXT) | instid1(VALU_DEP_1)
	v_or_b32_e32 v8, 0x1000, v3
	v_lshrrev_b32_e32 v9, v4, v8
	s_delay_alu instid0(VALU_DEP_1) | instskip(NEXT) | instid1(VALU_DEP_1)
	v_lshlrev_b32_e32 v4, v4, v9
	v_cmp_ne_u32_e32 vcc_lo, v4, v8
	v_cndmask_b32_e64 v4, 0, 1, vcc_lo
	s_delay_alu instid0(VALU_DEP_1) | instskip(SKIP_1) | instid1(VALU_DEP_1)
	v_or_b32_e32 v4, v9, v4
	v_add_nc_u32_e32 v7, 0xfffffc10, v7
	v_lshl_or_b32 v8, v7, 12, v3
	v_cmp_gt_i32_e32 vcc_lo, 1, v7
	s_delay_alu instid0(VALU_DEP_2) | instskip(NEXT) | instid1(VALU_DEP_1)
	v_cndmask_b32_e32 v4, v8, v4, vcc_lo
	v_dual_lshrrev_b32 v4, 2, v4 :: v_dual_bitop2_b32 v8, 7, v4 bitop3:0x40
	s_delay_alu instid0(VALU_DEP_1) | instskip(SKIP_4) | instid1(VALU_DEP_2)
	v_cmp_lt_i32_e32 vcc_lo, 5, v8
	v_cndmask_b32_e64 v9, 0, 1, vcc_lo
	v_cmp_eq_u32_e32 vcc_lo, 3, v8
	v_cndmask_b32_e64 v8, 0, 1, vcc_lo
	v_cmp_ne_u32_e32 vcc_lo, 0, v3
	v_or_b32_e32 v8, v8, v9
	s_delay_alu instid0(VALU_DEP_1) | instskip(NEXT) | instid1(VALU_DEP_1)
	v_dual_mov_b32 v9, 0x7e00 :: v_dual_add_nc_u32 v4, v4, v8
	v_cndmask_b32_e32 v3, 0x7c00, v9, vcc_lo
	v_cmp_gt_i32_e32 vcc_lo, 31, v7
	s_delay_alu instid0(VALU_DEP_3) | instskip(SKIP_1) | instid1(VALU_DEP_2)
	v_cndmask_b32_e32 v4, 0x7c00, v4, vcc_lo
	v_cmp_eq_u32_e32 vcc_lo, 0x40f, v7
	v_dual_cndmask_b32 v3, v4, v3 :: v_dual_lshrrev_b32 v4, 16, v5
	s_delay_alu instid0(VALU_DEP_1)
	v_and_or_b32 v3, 0x8000, v4, v3
	s_branch .LBB150_2535
.LBB150_2527:
	s_mov_b32 s6, -1
                                        ; implicit-def: $vgpr3
	s_branch .LBB150_2538
.LBB150_2528:
	s_mov_b32 s6, -1
.LBB150_2529:
                                        ; implicit-def: $vgpr3
.LBB150_2530:
	s_and_b32 vcc_lo, exec_lo, s7
	s_mov_b32 s7, 0
	s_cbranch_vccz .LBB150_2532
; %bb.2531:
	s_cmp_lg_u32 s0, 11
	s_mov_b32 s7, -1
	s_cselect_b32 s6, -1, 0
.LBB150_2532:
	s_wait_xcnt 0x0
	v_mov_b32_e32 v4, 0
	s_and_b32 vcc_lo, exec_lo, s6
	s_cbranch_vccz .LBB150_2486
.LBB150_2533:
	s_or_b32 s13, s13, exec_lo
	s_trap 2
	s_cbranch_execz .LBB150_2487
	s_branch .LBB150_2488
.LBB150_2534:
	s_mov_b32 s6, -1
                                        ; implicit-def: $vgpr3
.LBB150_2535:
	s_delay_alu instid0(SALU_CYCLE_1)
	s_and_not1_b32 vcc_lo, exec_lo, s6
	s_cbranch_vccnz .LBB150_2537
; %bb.2536:
	global_load_b32 v3, v[0:1], off
	s_wait_loadcnt 0x0
	v_cvt_f16_f32_e32 v3, v3
.LBB150_2537:
	s_mov_b32 s6, 0
.LBB150_2538:
	s_delay_alu instid0(SALU_CYCLE_1)
	s_and_not1_b32 vcc_lo, exec_lo, s6
	s_cbranch_vccnz .LBB150_2540
; %bb.2539:
	global_load_u16 v3, v[0:1], off
.LBB150_2540:
	s_wait_xcnt 0x0
	v_mov_b32_e32 v4, 0
.LBB150_2541:
	s_mov_b32 s6, 0
.LBB150_2542:
	s_delay_alu instid0(SALU_CYCLE_1)
	s_and_not1_b32 vcc_lo, exec_lo, s6
	s_cbranch_vccnz .LBB150_2563
; %bb.2543:
	s_cmp_lt_i32 s0, 2
	s_cbranch_scc1 .LBB150_2547
; %bb.2544:
	s_cmp_lt_i32 s0, 3
	s_cbranch_scc1 .LBB150_2548
; %bb.2545:
	s_cmp_gt_i32 s0, 3
	s_cbranch_scc0 .LBB150_2549
; %bb.2546:
	global_load_b64 v[4:5], v[0:1], off
	s_mov_b32 s6, 0
	s_wait_loadcnt 0x0
	v_xor_b32_e32 v3, v4, v5
	v_cls_i32_e32 v7, v5
	s_delay_alu instid0(VALU_DEP_2) | instskip(NEXT) | instid1(VALU_DEP_1)
	v_ashrrev_i32_e32 v3, 31, v3
	v_add_nc_u32_e32 v3, 32, v3
	s_delay_alu instid0(VALU_DEP_1) | instskip(NEXT) | instid1(VALU_DEP_1)
	v_add_min_u32_e64 v3, v7, -1, v3
	v_lshlrev_b64_e32 v[4:5], v3, v[4:5]
	v_sub_nc_u32_e32 v3, 32, v3
	s_delay_alu instid0(VALU_DEP_2) | instskip(NEXT) | instid1(VALU_DEP_1)
	v_min_u32_e32 v4, 1, v4
	v_or_b32_e32 v4, v5, v4
	s_delay_alu instid0(VALU_DEP_1) | instskip(NEXT) | instid1(VALU_DEP_1)
	v_cvt_f32_i32_e32 v4, v4
	v_ldexp_f32 v3, v4, v3
	s_delay_alu instid0(VALU_DEP_1)
	v_cvt_f16_f32_e32 v3, v3
	s_branch .LBB150_2550
.LBB150_2547:
	s_mov_b32 s6, -1
                                        ; implicit-def: $vgpr3
	s_branch .LBB150_2556
.LBB150_2548:
	s_mov_b32 s6, -1
                                        ; implicit-def: $vgpr3
	s_branch .LBB150_2553
.LBB150_2549:
	s_mov_b32 s6, -1
                                        ; implicit-def: $vgpr3
.LBB150_2550:
	s_delay_alu instid0(SALU_CYCLE_1)
	s_and_not1_b32 vcc_lo, exec_lo, s6
	s_cbranch_vccnz .LBB150_2552
; %bb.2551:
	s_wait_loadcnt 0x0
	global_load_b32 v3, v[0:1], off
	s_wait_loadcnt 0x0
	v_cvt_f32_i32_e32 v3, v3
	s_delay_alu instid0(VALU_DEP_1)
	v_cvt_f16_f32_e32 v3, v3
.LBB150_2552:
	s_mov_b32 s6, 0
.LBB150_2553:
	s_delay_alu instid0(SALU_CYCLE_1)
	s_and_not1_b32 vcc_lo, exec_lo, s6
	s_cbranch_vccnz .LBB150_2555
; %bb.2554:
	s_wait_loadcnt 0x0
	global_load_u16 v3, v[0:1], off
	s_wait_loadcnt 0x0
	v_cvt_f16_i16_e32 v3, v3
.LBB150_2555:
	s_mov_b32 s6, 0
.LBB150_2556:
	s_delay_alu instid0(SALU_CYCLE_1)
	s_and_not1_b32 vcc_lo, exec_lo, s6
	s_cbranch_vccnz .LBB150_2562
; %bb.2557:
	s_cmp_gt_i32 s0, 0
	s_mov_b32 s0, 0
	s_cbranch_scc0 .LBB150_2559
; %bb.2558:
	s_wait_loadcnt 0x0
	global_load_i8 v3, v[0:1], off
	s_wait_loadcnt 0x0
	v_cvt_f16_i16_e32 v3, v3
	s_branch .LBB150_2560
.LBB150_2559:
	s_mov_b32 s0, -1
                                        ; implicit-def: $vgpr3
.LBB150_2560:
	s_delay_alu instid0(SALU_CYCLE_1)
	s_and_not1_b32 vcc_lo, exec_lo, s0
	s_cbranch_vccnz .LBB150_2562
; %bb.2561:
	global_load_u8 v0, v[0:1], off
	s_wait_loadcnt 0x0
	v_cvt_f16_u16_e32 v3, v0
.LBB150_2562:
	s_wait_xcnt 0x0
	v_mov_b32_e32 v4, 0
.LBB150_2563:
	s_mov_b32 s18, -1
.LBB150_2564:
	s_delay_alu instid0(SALU_CYCLE_1)
	s_and_not1_b32 vcc_lo, exec_lo, s18
	s_cbranch_vccnz .LBB150_2703
; %bb.2565:
	s_wait_xcnt 0x0
	v_add_nc_u32_e32 v0, s19, v2
	s_cmp_lt_i32 s17, 11
	s_delay_alu instid0(VALU_DEP_1) | instskip(NEXT) | instid1(VALU_DEP_1)
	v_ashrrev_i32_e32 v1, 31, v0
	v_add_nc_u64_e32 v[0:1], s[2:3], v[0:1]
	s_cbranch_scc1 .LBB150_2572
; %bb.2566:
	s_and_b32 s0, 0xffff, s17
	s_mov_b32 s3, 0
	s_cmp_gt_i32 s0, 25
	s_cbranch_scc0 .LBB150_2573
; %bb.2567:
	s_cmp_gt_i32 s0, 28
	s_cbranch_scc0 .LBB150_2574
; %bb.2568:
	;; [unrolled: 3-line block ×4, first 2 shown]
	s_cmp_eq_u32 s0, 46
	s_mov_b32 s7, 0
	s_cbranch_scc0 .LBB150_2577
; %bb.2571:
	global_load_b32 v2, v[0:1], off
	s_mov_b32 s2, 0
	s_mov_b32 s6, -1
	s_wait_loadcnt 0x0
	v_lshlrev_b32_e32 v5, 16, v2
	v_and_b32_e32 v7, 0xffff0000, v2
	s_delay_alu instid0(VALU_DEP_2) | instskip(NEXT) | instid1(VALU_DEP_2)
	v_cvt_f16_f32_e32 v2, v5
	v_cvt_f16_f32_e32 v5, v7
	s_branch .LBB150_2579
.LBB150_2572:
	s_mov_b32 s0, -1
	s_mov_b32 s6, 0
                                        ; implicit-def: $vgpr5
                                        ; implicit-def: $vgpr2
	s_branch .LBB150_2625
.LBB150_2573:
	s_mov_b32 s7, -1
	s_mov_b32 s6, 0
	s_mov_b32 s2, 0
                                        ; implicit-def: $vgpr5
                                        ; implicit-def: $vgpr2
	s_branch .LBB150_2610
.LBB150_2574:
	s_mov_b32 s7, -1
	s_mov_b32 s6, 0
	s_mov_b32 s2, 0
                                        ; implicit-def: $vgpr5
                                        ; implicit-def: $vgpr2
	s_branch .LBB150_2591
.LBB150_2575:
	s_mov_b32 s7, -1
	s_mov_b32 s6, 0
	s_mov_b32 s2, 0
                                        ; implicit-def: $vgpr5
                                        ; implicit-def: $vgpr2
	s_branch .LBB150_2585
.LBB150_2576:
	s_mov_b32 s7, -1
	s_mov_b32 s6, 0
	s_mov_b32 s2, 0
	s_branch .LBB150_2578
.LBB150_2577:
	s_mov_b32 s2, -1
	s_mov_b32 s6, 0
.LBB150_2578:
                                        ; implicit-def: $vgpr5
                                        ; implicit-def: $vgpr2
.LBB150_2579:
	s_and_b32 vcc_lo, exec_lo, s7
	s_cbranch_vccz .LBB150_2584
; %bb.2580:
	s_cmp_eq_u32 s0, 44
	s_cbranch_scc0 .LBB150_2582
; %bb.2581:
	global_load_u8 v2, v[0:1], off
	s_mov_b32 s2, 0
	s_mov_b32 s6, -1
	s_wait_loadcnt 0x0
	v_lshlrev_b32_e32 v5, 23, v2
	v_cmp_ne_u32_e32 vcc_lo, 0xff, v2
	s_delay_alu instid0(VALU_DEP_2) | instskip(NEXT) | instid1(VALU_DEP_1)
	v_cvt_f16_f32_e32 v5, v5
	v_cndmask_b32_e32 v5, 0x7e00, v5, vcc_lo
	v_cmp_ne_u32_e32 vcc_lo, 0, v2
	s_delay_alu instid0(VALU_DEP_2)
	v_cndmask_b32_e32 v2, 0, v5, vcc_lo
	s_branch .LBB150_2583
.LBB150_2582:
	s_mov_b32 s2, -1
                                        ; implicit-def: $vgpr2
.LBB150_2583:
	v_mov_b32_e32 v5, 0
.LBB150_2584:
	s_mov_b32 s7, 0
.LBB150_2585:
	s_delay_alu instid0(SALU_CYCLE_1)
	s_and_b32 vcc_lo, exec_lo, s7
	s_cbranch_vccz .LBB150_2590
; %bb.2586:
	s_cmp_eq_u32 s0, 29
	s_cbranch_scc0 .LBB150_2588
; %bb.2587:
	global_load_b64 v[8:9], v[0:1], off
	s_mov_b32 s2, 0
	s_mov_b32 s6, -1
	s_wait_loadcnt 0x0
	v_clz_i32_u32_e32 v2, v9
	s_delay_alu instid0(VALU_DEP_1) | instskip(NEXT) | instid1(VALU_DEP_1)
	v_min_u32_e32 v2, 32, v2
	v_lshlrev_b64_e32 v[8:9], v2, v[8:9]
	v_sub_nc_u32_e32 v2, 32, v2
	s_delay_alu instid0(VALU_DEP_2) | instskip(NEXT) | instid1(VALU_DEP_1)
	v_min_u32_e32 v5, 1, v8
	v_or_b32_e32 v5, v9, v5
	s_delay_alu instid0(VALU_DEP_1) | instskip(NEXT) | instid1(VALU_DEP_1)
	v_cvt_f32_u32_e32 v5, v5
	v_ldexp_f32 v2, v5, v2
	s_delay_alu instid0(VALU_DEP_1)
	v_cvt_f16_f32_e32 v2, v2
	s_branch .LBB150_2589
.LBB150_2588:
	s_mov_b32 s2, -1
                                        ; implicit-def: $vgpr2
.LBB150_2589:
	v_mov_b32_e32 v5, 0
.LBB150_2590:
	s_mov_b32 s7, 0
.LBB150_2591:
	s_delay_alu instid0(SALU_CYCLE_1)
	s_and_b32 vcc_lo, exec_lo, s7
	s_cbranch_vccz .LBB150_2609
; %bb.2592:
	s_cmp_lt_i32 s0, 27
	s_cbranch_scc1 .LBB150_2595
; %bb.2593:
	s_cmp_gt_i32 s0, 27
	s_cbranch_scc0 .LBB150_2596
; %bb.2594:
	global_load_b32 v2, v[0:1], off
	s_mov_b32 s6, 0
	s_wait_loadcnt 0x0
	v_cvt_f32_u32_e32 v2, v2
	s_delay_alu instid0(VALU_DEP_1)
	v_cvt_f16_f32_e32 v2, v2
	s_branch .LBB150_2597
.LBB150_2595:
	s_mov_b32 s6, -1
                                        ; implicit-def: $vgpr2
	s_branch .LBB150_2600
.LBB150_2596:
	s_mov_b32 s6, -1
                                        ; implicit-def: $vgpr2
.LBB150_2597:
	s_delay_alu instid0(SALU_CYCLE_1)
	s_and_not1_b32 vcc_lo, exec_lo, s6
	s_cbranch_vccnz .LBB150_2599
; %bb.2598:
	global_load_u16 v2, v[0:1], off
	s_wait_loadcnt 0x0
	v_cvt_f16_u16_e32 v2, v2
.LBB150_2599:
	s_mov_b32 s6, 0
.LBB150_2600:
	s_delay_alu instid0(SALU_CYCLE_1)
	s_and_not1_b32 vcc_lo, exec_lo, s6
	s_cbranch_vccnz .LBB150_2608
; %bb.2601:
	global_load_u8 v5, v[0:1], off
	s_mov_b32 s6, 0
	s_mov_b32 s7, exec_lo
	s_wait_loadcnt 0x0
	v_cmpx_lt_i16_e32 0x7f, v5
	s_xor_b32 s7, exec_lo, s7
	s_cbranch_execz .LBB150_2634
; %bb.2602:
	s_mov_b32 s6, -1
	s_mov_b32 s14, exec_lo
	v_cmpx_eq_u16_e32 0x80, v5
; %bb.2603:
	s_xor_b32 s6, exec_lo, -1
; %bb.2604:
	s_or_b32 exec_lo, exec_lo, s14
	s_delay_alu instid0(SALU_CYCLE_1)
	s_and_b32 s6, s6, exec_lo
	s_or_saveexec_b32 s7, s7
	v_mov_b32_e32 v2, 0x7e00
	s_xor_b32 exec_lo, exec_lo, s7
	s_cbranch_execnz .LBB150_2635
.LBB150_2605:
	s_or_b32 exec_lo, exec_lo, s7
	s_and_saveexec_b32 s7, s6
	s_cbranch_execz .LBB150_2607
.LBB150_2606:
	v_and_b32_e32 v2, 0xffff, v5
	s_delay_alu instid0(VALU_DEP_1) | instskip(SKIP_1) | instid1(VALU_DEP_2)
	v_and_b32_e32 v7, 7, v2
	v_bfe_u32 v10, v2, 3, 4
	v_clz_i32_u32_e32 v8, v7
	s_delay_alu instid0(VALU_DEP_2) | instskip(NEXT) | instid1(VALU_DEP_2)
	v_cmp_eq_u32_e32 vcc_lo, 0, v10
	v_min_u32_e32 v8, 32, v8
	s_delay_alu instid0(VALU_DEP_1) | instskip(NEXT) | instid1(VALU_DEP_1)
	v_subrev_nc_u32_e32 v9, 28, v8
	v_dual_lshlrev_b32 v2, v9, v2 :: v_dual_sub_nc_u32 v8, 29, v8
	s_delay_alu instid0(VALU_DEP_1) | instskip(NEXT) | instid1(VALU_DEP_1)
	v_dual_lshlrev_b32 v5, 24, v5 :: v_dual_bitop2_b32 v2, 7, v2 bitop3:0x40
	v_dual_cndmask_b32 v8, v10, v8, vcc_lo :: v_dual_cndmask_b32 v2, v7, v2, vcc_lo
	s_delay_alu instid0(VALU_DEP_2) | instskip(NEXT) | instid1(VALU_DEP_2)
	v_and_b32_e32 v5, 0x80000000, v5
	v_lshl_add_u32 v7, v8, 23, 0x3b800000
	s_delay_alu instid0(VALU_DEP_3) | instskip(NEXT) | instid1(VALU_DEP_1)
	v_lshlrev_b32_e32 v2, 20, v2
	v_or3_b32 v2, v5, v7, v2
	s_delay_alu instid0(VALU_DEP_1)
	v_cvt_f16_f32_e32 v2, v2
.LBB150_2607:
	s_or_b32 exec_lo, exec_lo, s7
.LBB150_2608:
	v_mov_b32_e32 v5, 0
	s_mov_b32 s6, -1
.LBB150_2609:
	s_mov_b32 s7, 0
.LBB150_2610:
	s_delay_alu instid0(SALU_CYCLE_1)
	s_and_b32 vcc_lo, exec_lo, s7
	s_cbranch_vccz .LBB150_2621
; %bb.2611:
	s_cmp_gt_i32 s0, 22
	s_cbranch_scc0 .LBB150_2632
; %bb.2612:
	s_cmp_lt_i32 s0, 24
	s_cbranch_scc1 .LBB150_2636
; %bb.2613:
	s_cmp_gt_i32 s0, 24
	s_cbranch_scc0 .LBB150_2638
; %bb.2614:
	global_load_u8 v5, v[0:1], off
	s_mov_b32 s6, exec_lo
	s_wait_loadcnt 0x0
	v_cmpx_lt_i16_e32 0x7f, v5
	s_xor_b32 s6, exec_lo, s6
	s_cbranch_execz .LBB150_2650
; %bb.2615:
	s_mov_b32 s3, -1
	s_mov_b32 s7, exec_lo
	v_cmpx_eq_u16_e32 0x80, v5
; %bb.2616:
	s_xor_b32 s3, exec_lo, -1
; %bb.2617:
	s_or_b32 exec_lo, exec_lo, s7
	s_delay_alu instid0(SALU_CYCLE_1)
	s_and_b32 s3, s3, exec_lo
	s_or_saveexec_b32 s6, s6
	v_mov_b32_e32 v2, 0x7e00
	s_xor_b32 exec_lo, exec_lo, s6
	s_cbranch_execnz .LBB150_2651
.LBB150_2618:
	s_or_b32 exec_lo, exec_lo, s6
	s_and_saveexec_b32 s6, s3
	s_cbranch_execz .LBB150_2620
.LBB150_2619:
	v_and_b32_e32 v2, 0xffff, v5
	s_delay_alu instid0(VALU_DEP_1) | instskip(SKIP_1) | instid1(VALU_DEP_2)
	v_and_b32_e32 v7, 3, v2
	v_bfe_u32 v10, v2, 2, 5
	v_clz_i32_u32_e32 v8, v7
	s_delay_alu instid0(VALU_DEP_2) | instskip(NEXT) | instid1(VALU_DEP_2)
	v_cmp_eq_u32_e32 vcc_lo, 0, v10
	v_min_u32_e32 v8, 32, v8
	s_delay_alu instid0(VALU_DEP_1) | instskip(NEXT) | instid1(VALU_DEP_1)
	v_subrev_nc_u32_e32 v9, 29, v8
	v_dual_lshlrev_b32 v2, v9, v2 :: v_dual_sub_nc_u32 v8, 30, v8
	s_delay_alu instid0(VALU_DEP_1) | instskip(NEXT) | instid1(VALU_DEP_1)
	v_dual_lshlrev_b32 v5, 24, v5 :: v_dual_bitop2_b32 v2, 3, v2 bitop3:0x40
	v_dual_cndmask_b32 v8, v10, v8, vcc_lo :: v_dual_cndmask_b32 v2, v7, v2, vcc_lo
	s_delay_alu instid0(VALU_DEP_2) | instskip(NEXT) | instid1(VALU_DEP_2)
	v_and_b32_e32 v5, 0x80000000, v5
	v_lshl_add_u32 v7, v8, 23, 0x37800000
	s_delay_alu instid0(VALU_DEP_3) | instskip(NEXT) | instid1(VALU_DEP_1)
	v_lshlrev_b32_e32 v2, 21, v2
	v_or3_b32 v2, v5, v7, v2
	s_delay_alu instid0(VALU_DEP_1)
	v_cvt_f16_f32_e32 v2, v2
.LBB150_2620:
	s_or_b32 exec_lo, exec_lo, s6
	s_mov_b32 s3, 0
	s_branch .LBB150_2639
.LBB150_2621:
	s_and_b32 vcc_lo, exec_lo, s2
	s_cbranch_vccnz .LBB150_2669
.LBB150_2622:
	s_and_not1_b32 vcc_lo, exec_lo, s3
	s_cbranch_vccnz .LBB150_2624
.LBB150_2623:
	global_load_u8 v2, v[0:1], off
	v_mov_b32_e32 v5, 0
	s_mov_b32 s6, -1
	s_wait_loadcnt 0x0
	v_cmp_ne_u16_e32 vcc_lo, 0, v2
	v_cndmask_b32_e64 v2, 0, 0x3c00, vcc_lo
.LBB150_2624:
	s_mov_b32 s0, 0
.LBB150_2625:
	s_delay_alu instid0(SALU_CYCLE_1)
	s_and_b32 vcc_lo, exec_lo, s0
	s_cbranch_vccz .LBB150_2700
; %bb.2626:
	s_and_b32 s0, 0xffff, s17
	s_delay_alu instid0(SALU_CYCLE_1)
	s_cmp_lt_i32 s0, 5
	s_cbranch_scc1 .LBB150_2631
; %bb.2627:
	s_cmp_lt_i32 s0, 8
	s_cbranch_scc1 .LBB150_2633
; %bb.2628:
	;; [unrolled: 3-line block ×3, first 2 shown]
	s_cmp_gt_i32 s0, 9
	s_cbranch_scc0 .LBB150_2652
; %bb.2630:
	global_load_b128 v[8:11], v[0:1], off
	s_mov_b32 s2, 0
	s_wait_loadcnt 0x0
	v_and_or_b32 v2, 0x1ff, v9, v8
	v_and_or_b32 v8, 0x1ff, v11, v10
	v_dual_lshrrev_b32 v5, 8, v9 :: v_dual_lshrrev_b32 v10, 8, v11
	v_bfe_u32 v7, v9, 20, 11
	s_delay_alu instid0(VALU_DEP_4) | instskip(SKIP_2) | instid1(VALU_DEP_4)
	v_cmp_ne_u32_e32 vcc_lo, 0, v2
	v_bfe_u32 v12, v11, 20, 11
	v_dual_lshrrev_b32 v9, 16, v9 :: v_dual_lshrrev_b32 v11, 16, v11
	v_sub_nc_u32_e32 v13, 0x3f1, v7
	v_cndmask_b32_e64 v2, 0, 1, vcc_lo
	v_cmp_ne_u32_e32 vcc_lo, 0, v8
	v_add_nc_u32_e32 v7, 0xfffffc10, v7
	s_delay_alu instid0(VALU_DEP_3) | instskip(SKIP_1) | instid1(VALU_DEP_1)
	v_and_or_b32 v2, 0xffe, v5, v2
	v_cndmask_b32_e64 v8, 0, 1, vcc_lo
	v_and_or_b32 v8, 0xffe, v10, v8
	v_med3_i32 v10, v13, 0, 13
	s_delay_alu instid0(VALU_DEP_4) | instskip(NEXT) | instid1(VALU_DEP_3)
	v_or_b32_e32 v13, 0x1000, v2
	v_or_b32_e32 v14, 0x1000, v8
	s_delay_alu instid0(VALU_DEP_2) | instskip(NEXT) | instid1(VALU_DEP_1)
	v_lshrrev_b32_e32 v15, v10, v13
	v_lshlrev_b32_e32 v10, v10, v15
	s_delay_alu instid0(VALU_DEP_1) | instskip(SKIP_2) | instid1(VALU_DEP_1)
	v_cmp_ne_u32_e32 vcc_lo, v10, v13
	v_lshl_or_b32 v13, v7, 12, v2
	v_cndmask_b32_e64 v10, 0, 1, vcc_lo
	v_or_b32_e32 v10, v15, v10
	v_sub_nc_u32_e32 v5, 0x3f1, v12
	s_delay_alu instid0(VALU_DEP_1) | instskip(NEXT) | instid1(VALU_DEP_1)
	v_med3_i32 v5, v5, 0, 13
	v_lshrrev_b32_e32 v16, v5, v14
	s_delay_alu instid0(VALU_DEP_1) | instskip(NEXT) | instid1(VALU_DEP_1)
	v_lshlrev_b32_e32 v5, v5, v16
	v_cmp_ne_u32_e32 vcc_lo, v5, v14
	v_cndmask_b32_e64 v5, 0, 1, vcc_lo
	v_cmp_gt_i32_e32 vcc_lo, 1, v7
	s_delay_alu instid0(VALU_DEP_2) | instskip(NEXT) | instid1(VALU_DEP_1)
	v_dual_cndmask_b32 v10, v13, v10, vcc_lo :: v_dual_bitop2_b32 v5, v16, v5 bitop3:0x54
	v_dual_lshrrev_b32 v10, 2, v10 :: v_dual_bitop2_b32 v13, 7, v10 bitop3:0x40
	v_add_nc_u32_e32 v12, 0xfffffc10, v12
	s_delay_alu instid0(VALU_DEP_1) | instskip(SKIP_1) | instid1(VALU_DEP_2)
	v_lshl_or_b32 v14, v12, 12, v8
	v_cmp_gt_i32_e32 vcc_lo, 1, v12
	v_cndmask_b32_e32 v5, v14, v5, vcc_lo
	v_cmp_lt_i32_e32 vcc_lo, 5, v13
	s_delay_alu instid0(VALU_DEP_2)
	v_and_b32_e32 v14, 7, v5
	v_cndmask_b32_e64 v15, 0, 1, vcc_lo
	v_cmp_eq_u32_e32 vcc_lo, 3, v13
	v_lshrrev_b32_e32 v5, 2, v5
	v_cndmask_b32_e64 v13, 0, 1, vcc_lo
	v_cmp_lt_i32_e32 vcc_lo, 5, v14
	s_delay_alu instid0(VALU_DEP_2) | instskip(SKIP_2) | instid1(VALU_DEP_3)
	v_or_b32_e32 v13, v13, v15
	v_cndmask_b32_e64 v16, 0, 1, vcc_lo
	v_cmp_eq_u32_e32 vcc_lo, 3, v14
	v_dual_mov_b32 v17, 0x7e00 :: v_dual_add_nc_u32 v10, v10, v13
	v_cndmask_b32_e64 v14, 0, 1, vcc_lo
	v_cmp_ne_u32_e32 vcc_lo, 0, v2
	s_delay_alu instid0(VALU_DEP_2) | instskip(NEXT) | instid1(VALU_DEP_4)
	v_or_b32_e32 v14, v14, v16
	v_cndmask_b32_e32 v2, 0x7c00, v17, vcc_lo
	v_cmp_ne_u32_e32 vcc_lo, 0, v8
	s_delay_alu instid0(VALU_DEP_3) | instskip(SKIP_3) | instid1(VALU_DEP_4)
	v_dual_cndmask_b32 v8, 0x7c00, v17 :: v_dual_add_nc_u32 v5, v5, v14
	v_cmp_gt_i32_e32 vcc_lo, 31, v7
	v_cndmask_b32_e32 v10, 0x7c00, v10, vcc_lo
	v_cmp_gt_i32_e32 vcc_lo, 31, v12
	v_cndmask_b32_e32 v5, 0x7c00, v5, vcc_lo
	v_cmp_eq_u32_e32 vcc_lo, 0x40f, v7
	s_delay_alu instid0(VALU_DEP_4) | instskip(SKIP_1) | instid1(VALU_DEP_2)
	v_cndmask_b32_e32 v2, v10, v2, vcc_lo
	v_cmp_eq_u32_e32 vcc_lo, 0x40f, v12
	v_and_or_b32 v2, 0x8000, v9, v2
	v_cndmask_b32_e32 v5, v5, v8, vcc_lo
	s_delay_alu instid0(VALU_DEP_1)
	v_and_or_b32 v5, 0x8000, v11, v5
	s_branch .LBB150_2653
.LBB150_2631:
	s_mov_b32 s2, -1
                                        ; implicit-def: $vgpr5
                                        ; implicit-def: $vgpr2
	s_branch .LBB150_2678
.LBB150_2632:
	s_mov_b32 s3, -1
                                        ; implicit-def: $vgpr2
	s_branch .LBB150_2645
.LBB150_2633:
	s_mov_b32 s2, -1
                                        ; implicit-def: $vgpr5
                                        ; implicit-def: $vgpr2
	s_branch .LBB150_2659
.LBB150_2634:
	s_or_saveexec_b32 s7, s7
	v_mov_b32_e32 v2, 0x7e00
	s_xor_b32 exec_lo, exec_lo, s7
	s_cbranch_execz .LBB150_2605
.LBB150_2635:
	v_cmp_ne_u16_e32 vcc_lo, 0, v5
	v_mov_b32_e32 v2, v5
	s_and_not1_b32 s6, s6, exec_lo
	s_and_b32 s14, vcc_lo, exec_lo
	s_delay_alu instid0(SALU_CYCLE_1)
	s_or_b32 s6, s6, s14
	s_or_b32 exec_lo, exec_lo, s7
	s_and_saveexec_b32 s7, s6
	s_cbranch_execnz .LBB150_2606
	s_branch .LBB150_2607
.LBB150_2636:
	s_mov_b32 s3, -1
                                        ; implicit-def: $vgpr2
	s_branch .LBB150_2642
.LBB150_2637:
	s_mov_b32 s2, -1
                                        ; implicit-def: $vgpr5
                                        ; implicit-def: $vgpr2
	s_branch .LBB150_2656
.LBB150_2638:
	s_mov_b32 s3, -1
                                        ; implicit-def: $vgpr2
.LBB150_2639:
	s_delay_alu instid0(SALU_CYCLE_1)
	s_and_b32 vcc_lo, exec_lo, s3
	s_cbranch_vccz .LBB150_2641
; %bb.2640:
	global_load_u8 v2, v[0:1], off
	s_wait_loadcnt 0x0
	v_lshlrev_b32_e32 v2, 24, v2
	s_delay_alu instid0(VALU_DEP_1) | instskip(NEXT) | instid1(VALU_DEP_1)
	v_and_b32_e32 v5, 0x7f000000, v2
	v_clz_i32_u32_e32 v7, v5
	v_add_nc_u32_e32 v9, 0x1000000, v5
	v_cmp_ne_u32_e32 vcc_lo, 0, v5
	s_delay_alu instid0(VALU_DEP_3) | instskip(NEXT) | instid1(VALU_DEP_1)
	v_min_u32_e32 v7, 32, v7
	v_sub_nc_u32_e64 v7, v7, 4 clamp
	s_delay_alu instid0(VALU_DEP_1) | instskip(NEXT) | instid1(VALU_DEP_1)
	v_dual_lshlrev_b32 v8, v7, v5 :: v_dual_lshlrev_b32 v7, 23, v7
	v_lshrrev_b32_e32 v8, 4, v8
	s_delay_alu instid0(VALU_DEP_1) | instskip(NEXT) | instid1(VALU_DEP_1)
	v_dual_sub_nc_u32 v7, v8, v7 :: v_dual_ashrrev_i32 v8, 8, v9
	v_add_nc_u32_e32 v7, 0x3c000000, v7
	s_delay_alu instid0(VALU_DEP_1) | instskip(NEXT) | instid1(VALU_DEP_1)
	v_and_or_b32 v7, 0x7f800000, v8, v7
	v_cndmask_b32_e32 v5, 0, v7, vcc_lo
	s_delay_alu instid0(VALU_DEP_1) | instskip(NEXT) | instid1(VALU_DEP_1)
	v_and_or_b32 v2, 0x80000000, v2, v5
	v_cvt_f16_f32_e32 v2, v2
.LBB150_2641:
	s_mov_b32 s3, 0
.LBB150_2642:
	s_delay_alu instid0(SALU_CYCLE_1)
	s_and_not1_b32 vcc_lo, exec_lo, s3
	s_cbranch_vccnz .LBB150_2644
; %bb.2643:
	global_load_u8 v2, v[0:1], off
	s_wait_loadcnt 0x0
	v_lshlrev_b32_e32 v5, 25, v2
	v_lshlrev_b16 v2, 8, v2
	s_delay_alu instid0(VALU_DEP_1) | instskip(SKIP_1) | instid1(VALU_DEP_2)
	v_and_or_b32 v8, 0x7f00, v2, 0.5
	v_bfe_i32 v2, v2, 0, 16
	v_dual_add_f32 v8, -0.5, v8 :: v_dual_lshrrev_b32 v7, 4, v5
	v_cmp_gt_u32_e32 vcc_lo, 0x8000000, v5
	s_delay_alu instid0(VALU_DEP_2) | instskip(NEXT) | instid1(VALU_DEP_1)
	v_or_b32_e32 v7, 0x70000000, v7
	v_mul_f32_e32 v7, 0x7800000, v7
	s_delay_alu instid0(VALU_DEP_1) | instskip(NEXT) | instid1(VALU_DEP_1)
	v_cndmask_b32_e32 v5, v7, v8, vcc_lo
	v_and_or_b32 v2, 0x80000000, v2, v5
	s_delay_alu instid0(VALU_DEP_1)
	v_cvt_f16_f32_e32 v2, v2
.LBB150_2644:
	s_mov_b32 s3, 0
	s_mov_b32 s6, -1
.LBB150_2645:
	s_and_not1_b32 vcc_lo, exec_lo, s3
	s_mov_b32 s3, 0
	s_cbranch_vccnz .LBB150_2668
; %bb.2646:
	s_cmp_gt_i32 s0, 14
	s_cbranch_scc0 .LBB150_2649
; %bb.2647:
	s_cmp_eq_u32 s0, 15
	s_cbranch_scc0 .LBB150_2664
; %bb.2648:
	global_load_u16 v2, v[0:1], off
	s_mov_b32 s2, 0
	s_mov_b32 s6, -1
	s_wait_loadcnt 0x0
	v_lshlrev_b32_e32 v2, 16, v2
	s_delay_alu instid0(VALU_DEP_1)
	v_cvt_f16_f32_e32 v2, v2
	s_branch .LBB150_2666
.LBB150_2649:
	s_mov_b32 s3, -1
	s_branch .LBB150_2665
.LBB150_2650:
	s_or_saveexec_b32 s6, s6
	v_mov_b32_e32 v2, 0x7e00
	s_xor_b32 exec_lo, exec_lo, s6
	s_cbranch_execz .LBB150_2618
.LBB150_2651:
	v_cmp_ne_u16_e32 vcc_lo, 0, v5
	v_mov_b32_e32 v2, v5
	s_and_not1_b32 s3, s3, exec_lo
	s_and_b32 s7, vcc_lo, exec_lo
	s_delay_alu instid0(SALU_CYCLE_1)
	s_or_b32 s3, s3, s7
	s_or_b32 exec_lo, exec_lo, s6
	s_and_saveexec_b32 s6, s3
	s_cbranch_execnz .LBB150_2619
	s_branch .LBB150_2620
.LBB150_2652:
	s_mov_b32 s2, -1
                                        ; implicit-def: $vgpr5
                                        ; implicit-def: $vgpr2
.LBB150_2653:
	s_delay_alu instid0(SALU_CYCLE_1)
	s_and_not1_b32 vcc_lo, exec_lo, s2
	s_cbranch_vccnz .LBB150_2655
; %bb.2654:
	global_load_b64 v[8:9], v[0:1], off
	s_wait_loadcnt 0x0
	v_cvt_f16_f32_e32 v2, v8
	v_cvt_f16_f32_e32 v5, v9
.LBB150_2655:
	s_mov_b32 s2, 0
.LBB150_2656:
	s_delay_alu instid0(SALU_CYCLE_1)
	s_and_not1_b32 vcc_lo, exec_lo, s2
	s_cbranch_vccnz .LBB150_2658
; %bb.2657:
	global_load_b32 v2, v[0:1], off
	s_wait_loadcnt 0x0
	v_lshrrev_b32_e32 v5, 16, v2
.LBB150_2658:
	s_mov_b32 s2, 0
.LBB150_2659:
	s_delay_alu instid0(SALU_CYCLE_1)
	s_and_not1_b32 vcc_lo, exec_lo, s2
	s_cbranch_vccnz .LBB150_2677
; %bb.2660:
	s_cmp_lt_i32 s0, 6
	s_cbranch_scc1 .LBB150_2663
; %bb.2661:
	s_cmp_gt_i32 s0, 6
	s_cbranch_scc0 .LBB150_2670
; %bb.2662:
	global_load_b64 v[8:9], v[0:1], off
	s_mov_b32 s2, 0
	s_wait_loadcnt 0x0
	v_and_or_b32 v2, 0x1ff, v9, v8
	v_lshrrev_b32_e32 v5, 8, v9
	v_bfe_u32 v7, v9, 20, 11
	s_delay_alu instid0(VALU_DEP_3) | instskip(NEXT) | instid1(VALU_DEP_2)
	v_cmp_ne_u32_e32 vcc_lo, 0, v2
	v_sub_nc_u32_e32 v8, 0x3f1, v7
	v_add_nc_u32_e32 v7, 0xfffffc10, v7
	v_cndmask_b32_e64 v2, 0, 1, vcc_lo
	s_delay_alu instid0(VALU_DEP_1) | instskip(NEXT) | instid1(VALU_DEP_4)
	v_and_or_b32 v2, 0xffe, v5, v2
	v_med3_i32 v5, v8, 0, 13
	s_delay_alu instid0(VALU_DEP_2) | instskip(NEXT) | instid1(VALU_DEP_1)
	v_or_b32_e32 v8, 0x1000, v2
	v_lshrrev_b32_e32 v10, v5, v8
	s_delay_alu instid0(VALU_DEP_1) | instskip(NEXT) | instid1(VALU_DEP_1)
	v_lshlrev_b32_e32 v5, v5, v10
	v_cmp_ne_u32_e32 vcc_lo, v5, v8
	v_lshl_or_b32 v8, v7, 12, v2
	v_cndmask_b32_e64 v5, 0, 1, vcc_lo
	v_cmp_gt_i32_e32 vcc_lo, 1, v7
	s_delay_alu instid0(VALU_DEP_2) | instskip(NEXT) | instid1(VALU_DEP_1)
	v_or_b32_e32 v5, v10, v5
	v_cndmask_b32_e32 v5, v8, v5, vcc_lo
	s_delay_alu instid0(VALU_DEP_1) | instskip(NEXT) | instid1(VALU_DEP_1)
	v_dual_lshrrev_b32 v5, 2, v5 :: v_dual_bitop2_b32 v8, 7, v5 bitop3:0x40
	v_cmp_lt_i32_e32 vcc_lo, 5, v8
	v_cndmask_b32_e64 v10, 0, 1, vcc_lo
	v_cmp_eq_u32_e32 vcc_lo, 3, v8
	v_cndmask_b32_e64 v8, 0, 1, vcc_lo
	v_cmp_ne_u32_e32 vcc_lo, 0, v2
	s_delay_alu instid0(VALU_DEP_2) | instskip(NEXT) | instid1(VALU_DEP_1)
	v_or_b32_e32 v8, v8, v10
	v_dual_mov_b32 v10, 0x7e00 :: v_dual_add_nc_u32 v5, v5, v8
	s_delay_alu instid0(VALU_DEP_1) | instskip(SKIP_1) | instid1(VALU_DEP_3)
	v_cndmask_b32_e32 v2, 0x7c00, v10, vcc_lo
	v_cmp_gt_i32_e32 vcc_lo, 31, v7
	v_cndmask_b32_e32 v5, 0x7c00, v5, vcc_lo
	v_cmp_eq_u32_e32 vcc_lo, 0x40f, v7
	s_delay_alu instid0(VALU_DEP_2) | instskip(NEXT) | instid1(VALU_DEP_1)
	v_dual_cndmask_b32 v2, v5, v2 :: v_dual_lshrrev_b32 v5, 16, v9
	v_and_or_b32 v2, 0x8000, v5, v2
	s_branch .LBB150_2671
.LBB150_2663:
	s_mov_b32 s2, -1
                                        ; implicit-def: $vgpr2
	s_branch .LBB150_2674
.LBB150_2664:
	s_mov_b32 s2, -1
.LBB150_2665:
                                        ; implicit-def: $vgpr2
.LBB150_2666:
	s_and_b32 vcc_lo, exec_lo, s3
	s_mov_b32 s3, 0
	s_cbranch_vccz .LBB150_2668
; %bb.2667:
	s_cmp_lg_u32 s0, 11
	s_mov_b32 s3, -1
	s_cselect_b32 s2, -1, 0
.LBB150_2668:
	v_mov_b32_e32 v5, 0
	s_and_b32 vcc_lo, exec_lo, s2
	s_cbranch_vccz .LBB150_2622
.LBB150_2669:
	s_or_b32 s13, s13, exec_lo
	s_trap 2
	s_cbranch_execz .LBB150_2623
	s_branch .LBB150_2624
.LBB150_2670:
	s_mov_b32 s2, -1
                                        ; implicit-def: $vgpr2
.LBB150_2671:
	s_delay_alu instid0(SALU_CYCLE_1)
	s_and_not1_b32 vcc_lo, exec_lo, s2
	s_cbranch_vccnz .LBB150_2673
; %bb.2672:
	global_load_b32 v2, v[0:1], off
	s_wait_loadcnt 0x0
	v_cvt_f16_f32_e32 v2, v2
.LBB150_2673:
	s_mov_b32 s2, 0
.LBB150_2674:
	s_delay_alu instid0(SALU_CYCLE_1)
	s_and_not1_b32 vcc_lo, exec_lo, s2
	s_cbranch_vccnz .LBB150_2676
; %bb.2675:
	global_load_u16 v2, v[0:1], off
.LBB150_2676:
	v_mov_b32_e32 v5, 0
.LBB150_2677:
	s_mov_b32 s2, 0
.LBB150_2678:
	s_delay_alu instid0(SALU_CYCLE_1)
	s_and_not1_b32 vcc_lo, exec_lo, s2
	s_cbranch_vccnz .LBB150_2699
; %bb.2679:
	s_cmp_lt_i32 s0, 2
	s_cbranch_scc1 .LBB150_2683
; %bb.2680:
	s_cmp_lt_i32 s0, 3
	s_cbranch_scc1 .LBB150_2684
; %bb.2681:
	s_cmp_gt_i32 s0, 3
	s_cbranch_scc0 .LBB150_2685
; %bb.2682:
	global_load_b64 v[8:9], v[0:1], off
	s_mov_b32 s2, 0
	s_wait_loadcnt 0x0
	v_xor_b32_e32 v2, v8, v9
	v_cls_i32_e32 v5, v9
	s_delay_alu instid0(VALU_DEP_2) | instskip(NEXT) | instid1(VALU_DEP_1)
	v_ashrrev_i32_e32 v2, 31, v2
	v_add_nc_u32_e32 v2, 32, v2
	s_delay_alu instid0(VALU_DEP_1) | instskip(NEXT) | instid1(VALU_DEP_1)
	v_add_min_u32_e64 v2, v5, -1, v2
	v_lshlrev_b64_e32 v[8:9], v2, v[8:9]
	v_sub_nc_u32_e32 v2, 32, v2
	s_delay_alu instid0(VALU_DEP_2) | instskip(NEXT) | instid1(VALU_DEP_1)
	v_min_u32_e32 v5, 1, v8
	v_or_b32_e32 v5, v9, v5
	s_delay_alu instid0(VALU_DEP_1) | instskip(NEXT) | instid1(VALU_DEP_1)
	v_cvt_f32_i32_e32 v5, v5
	v_ldexp_f32 v2, v5, v2
	s_delay_alu instid0(VALU_DEP_1)
	v_cvt_f16_f32_e32 v2, v2
	s_branch .LBB150_2686
.LBB150_2683:
	s_mov_b32 s2, -1
                                        ; implicit-def: $vgpr2
	s_branch .LBB150_2692
.LBB150_2684:
	s_mov_b32 s2, -1
                                        ; implicit-def: $vgpr2
	s_branch .LBB150_2689
.LBB150_2685:
	s_mov_b32 s2, -1
                                        ; implicit-def: $vgpr2
.LBB150_2686:
	s_delay_alu instid0(SALU_CYCLE_1)
	s_and_not1_b32 vcc_lo, exec_lo, s2
	s_cbranch_vccnz .LBB150_2688
; %bb.2687:
	s_wait_loadcnt 0x0
	global_load_b32 v2, v[0:1], off
	s_wait_loadcnt 0x0
	v_cvt_f32_i32_e32 v2, v2
	s_delay_alu instid0(VALU_DEP_1)
	v_cvt_f16_f32_e32 v2, v2
.LBB150_2688:
	s_mov_b32 s2, 0
.LBB150_2689:
	s_delay_alu instid0(SALU_CYCLE_1)
	s_and_not1_b32 vcc_lo, exec_lo, s2
	s_cbranch_vccnz .LBB150_2691
; %bb.2690:
	s_wait_loadcnt 0x0
	global_load_u16 v2, v[0:1], off
	s_wait_loadcnt 0x0
	v_cvt_f16_i16_e32 v2, v2
.LBB150_2691:
	s_mov_b32 s2, 0
.LBB150_2692:
	s_delay_alu instid0(SALU_CYCLE_1)
	s_and_not1_b32 vcc_lo, exec_lo, s2
	s_cbranch_vccnz .LBB150_2698
; %bb.2693:
	s_cmp_gt_i32 s0, 0
	s_mov_b32 s0, 0
	s_cbranch_scc0 .LBB150_2695
; %bb.2694:
	s_wait_loadcnt 0x0
	global_load_i8 v2, v[0:1], off
	s_wait_loadcnt 0x0
	v_cvt_f16_i16_e32 v2, v2
	s_branch .LBB150_2696
.LBB150_2695:
	s_mov_b32 s0, -1
                                        ; implicit-def: $vgpr2
.LBB150_2696:
	s_delay_alu instid0(SALU_CYCLE_1)
	s_and_not1_b32 vcc_lo, exec_lo, s0
	s_cbranch_vccnz .LBB150_2698
; %bb.2697:
	global_load_u8 v0, v[0:1], off
	s_wait_loadcnt 0x0
	v_cvt_f16_u16_e32 v2, v0
.LBB150_2698:
	v_mov_b32_e32 v5, 0
.LBB150_2699:
	s_mov_b32 s6, -1
.LBB150_2700:
	s_delay_alu instid0(SALU_CYCLE_1)
	s_and_not1_b32 vcc_lo, exec_lo, s6
	s_cbranch_vccnz .LBB150_2703
; %bb.2701:
	s_and_b32 vcc_lo, exec_lo, s11
	s_cbranch_vccz .LBB150_2749
; %bb.2702:
	s_wait_loadcnt 0x0
	v_cmp_neq_f16_e32 vcc_lo, v3, v2
	v_cmp_neq_f16_e64 s0, v4, v5
	s_or_b32 s17, vcc_lo, s0
	s_mov_b32 s0, 0
	s_branch .LBB150_2750
.LBB150_2703:
	s_mov_b32 s0, 0
	s_mov_b32 s2, 0
                                        ; implicit-def: $sgpr17
.LBB150_2704:
                                        ; implicit-def: $sgpr18
                                        ; implicit-def: $vgpr0_vgpr1
.LBB150_2705:
	s_and_not1_b32 s1, s16, exec_lo
	s_and_b32 s3, s13, exec_lo
	s_and_b32 s0, s0, exec_lo
	;; [unrolled: 1-line block ×3, first 2 shown]
	s_or_b32 s16, s1, s3
.LBB150_2706:
	s_wait_xcnt 0x0
	s_or_b32 exec_lo, exec_lo, s15
	s_and_saveexec_b32 s1, s16
	s_cbranch_execz .LBB150_2709
; %bb.2707:
	; divergent unreachable
	s_or_b32 exec_lo, exec_lo, s1
	s_and_saveexec_b32 s1, s13
	s_delay_alu instid0(SALU_CYCLE_1)
	s_xor_b32 s1, exec_lo, s1
	s_cbranch_execnz .LBB150_2710
.LBB150_2708:
	s_or_b32 exec_lo, exec_lo, s1
	s_and_saveexec_b32 s1, s0
	s_cbranch_execnz .LBB150_2711
	s_branch .LBB150_2748
.LBB150_2709:
	s_or_b32 exec_lo, exec_lo, s1
	s_and_saveexec_b32 s1, s13
	s_delay_alu instid0(SALU_CYCLE_1)
	s_xor_b32 s1, exec_lo, s1
	s_cbranch_execz .LBB150_2708
.LBB150_2710:
	s_wait_loadcnt 0x0
	v_cndmask_b32_e64 v2, 0, 1, s17
	global_store_b8 v[0:1], v2, off
	s_wait_xcnt 0x0
	s_or_b32 exec_lo, exec_lo, s1
	s_and_saveexec_b32 s1, s0
	s_cbranch_execz .LBB150_2748
.LBB150_2711:
	s_sext_i32_i16 s1, s18
	s_mov_b32 s0, -1
	s_cmp_lt_i32 s1, 5
	s_cbranch_scc1 .LBB150_2732
; %bb.2712:
	s_cmp_lt_i32 s1, 8
	s_cbranch_scc1 .LBB150_2722
; %bb.2713:
	;; [unrolled: 3-line block ×3, first 2 shown]
	s_cmp_gt_i32 s1, 9
	s_cbranch_scc0 .LBB150_2716
; %bb.2715:
	s_wait_loadcnt 0x0
	v_cndmask_b32_e64 v2, 0, 1, s17
	v_mov_b32_e32 v4, 0
	s_mov_b32 s0, 0
	s_delay_alu instid0(VALU_DEP_2) | instskip(NEXT) | instid1(VALU_DEP_2)
	v_cvt_f64_u32_e32 v[2:3], v2
	v_mov_b32_e32 v5, v4
	global_store_b128 v[0:1], v[2:5], off
.LBB150_2716:
	s_and_not1_b32 vcc_lo, exec_lo, s0
	s_cbranch_vccnz .LBB150_2718
; %bb.2717:
	s_wait_loadcnt 0x0
	v_cndmask_b32_e64 v2, 0, 1.0, s17
	v_mov_b32_e32 v3, 0
	global_store_b64 v[0:1], v[2:3], off
.LBB150_2718:
	s_mov_b32 s0, 0
.LBB150_2719:
	s_delay_alu instid0(SALU_CYCLE_1)
	s_and_not1_b32 vcc_lo, exec_lo, s0
	s_cbranch_vccnz .LBB150_2721
; %bb.2720:
	s_wait_loadcnt 0x0
	v_cndmask_b32_e64 v2, 0, 1.0, s17
	s_delay_alu instid0(VALU_DEP_1) | instskip(NEXT) | instid1(VALU_DEP_1)
	v_cvt_f16_f32_e32 v2, v2
	v_and_b32_e32 v2, 0xffff, v2
	global_store_b32 v[0:1], v2, off
.LBB150_2721:
	s_mov_b32 s0, 0
.LBB150_2722:
	s_delay_alu instid0(SALU_CYCLE_1)
	s_and_not1_b32 vcc_lo, exec_lo, s0
	s_cbranch_vccnz .LBB150_2731
; %bb.2723:
	s_sext_i32_i16 s1, s18
	s_mov_b32 s0, -1
	s_cmp_lt_i32 s1, 6
	s_cbranch_scc1 .LBB150_2729
; %bb.2724:
	s_cmp_gt_i32 s1, 6
	s_cbranch_scc0 .LBB150_2726
; %bb.2725:
	s_wait_loadcnt 0x0
	v_cndmask_b32_e64 v2, 0, 1, s17
	s_mov_b32 s0, 0
	s_delay_alu instid0(VALU_DEP_1)
	v_cvt_f64_u32_e32 v[2:3], v2
	global_store_b64 v[0:1], v[2:3], off
.LBB150_2726:
	s_and_not1_b32 vcc_lo, exec_lo, s0
	s_cbranch_vccnz .LBB150_2728
; %bb.2727:
	s_wait_loadcnt 0x0
	v_cndmask_b32_e64 v2, 0, 1.0, s17
	global_store_b32 v[0:1], v2, off
.LBB150_2728:
	s_mov_b32 s0, 0
.LBB150_2729:
	s_delay_alu instid0(SALU_CYCLE_1)
	s_and_not1_b32 vcc_lo, exec_lo, s0
	s_cbranch_vccnz .LBB150_2731
; %bb.2730:
	s_wait_loadcnt 0x0
	v_cndmask_b32_e64 v2, 0, 1.0, s17
	s_delay_alu instid0(VALU_DEP_1)
	v_cvt_f16_f32_e32 v2, v2
	global_store_b16 v[0:1], v2, off
.LBB150_2731:
	s_mov_b32 s0, 0
.LBB150_2732:
	s_delay_alu instid0(SALU_CYCLE_1)
	s_and_not1_b32 vcc_lo, exec_lo, s0
	s_cbranch_vccnz .LBB150_2748
; %bb.2733:
	s_sext_i32_i16 s1, s18
	s_mov_b32 s0, -1
	s_cmp_lt_i32 s1, 2
	s_cbranch_scc1 .LBB150_2743
; %bb.2734:
	s_cmp_lt_i32 s1, 3
	s_cbranch_scc1 .LBB150_2740
; %bb.2735:
	s_cmp_gt_i32 s1, 3
	s_cbranch_scc0 .LBB150_2737
; %bb.2736:
	s_mov_b32 s0, 0
	s_wait_loadcnt 0x0
	v_cndmask_b32_e64 v2, 0, 1, s17
	v_mov_b32_e32 v3, s0
	global_store_b64 v[0:1], v[2:3], off
.LBB150_2737:
	s_and_not1_b32 vcc_lo, exec_lo, s0
	s_cbranch_vccnz .LBB150_2739
; %bb.2738:
	s_wait_loadcnt 0x0
	v_cndmask_b32_e64 v2, 0, 1, s17
	global_store_b32 v[0:1], v2, off
.LBB150_2739:
	s_mov_b32 s0, 0
.LBB150_2740:
	s_delay_alu instid0(SALU_CYCLE_1)
	s_and_not1_b32 vcc_lo, exec_lo, s0
	s_cbranch_vccnz .LBB150_2742
; %bb.2741:
	s_wait_loadcnt 0x0
	v_cndmask_b32_e64 v2, 0, 1, s17
	global_store_b16 v[0:1], v2, off
.LBB150_2742:
	s_mov_b32 s0, 0
.LBB150_2743:
	s_delay_alu instid0(SALU_CYCLE_1)
	s_and_not1_b32 vcc_lo, exec_lo, s0
	s_cbranch_vccnz .LBB150_2748
; %bb.2744:
	s_wait_loadcnt 0x0
	v_cndmask_b32_e64 v2, 0, 1, s17
	s_sext_i32_i16 s0, s18
	s_delay_alu instid0(SALU_CYCLE_1)
	s_cmp_gt_i32 s0, 0
	s_mov_b32 s0, -1
	s_cbranch_scc0 .LBB150_2746
; %bb.2745:
	s_mov_b32 s0, 0
	global_store_b8 v[0:1], v2, off
.LBB150_2746:
	s_and_not1_b32 vcc_lo, exec_lo, s0
	s_cbranch_vccnz .LBB150_2748
; %bb.2747:
	global_store_b8 v[0:1], v2, off
	s_endpgm
.LBB150_2748:
	s_endpgm
.LBB150_2749:
	s_mov_b32 s0, -1
                                        ; implicit-def: $sgpr17
.LBB150_2750:
	s_delay_alu instid0(SALU_CYCLE_1)
	s_and_not1_b32 vcc_lo, exec_lo, s0
	s_cbranch_vccnz .LBB150_2752
; %bb.2751:
	s_wait_loadcnt 0x0
	v_cmp_eq_f16_e32 vcc_lo, v3, v2
	v_cmp_eq_f16_e64 s0, v4, v5
	s_and_not1_b32 s2, s17, exec_lo
	s_and_b32 s0, vcc_lo, s0
	s_delay_alu instid0(SALU_CYCLE_1) | instskip(NEXT) | instid1(SALU_CYCLE_1)
	s_and_b32 s0, s0, exec_lo
	s_or_b32 s17, s2, s0
.LBB150_2752:
	s_wait_xcnt 0x0
	v_mul_lo_u32 v0, s8, v6
	s_and_b32 s18, s12, 0xff
	s_delay_alu instid0(SALU_CYCLE_1) | instskip(NEXT) | instid1(VALU_DEP_1)
	s_cmp_lt_i32 s18, 11
	v_ashrrev_i32_e32 v1, 31, v0
	s_wait_loadcnt 0x0
	s_delay_alu instid0(VALU_DEP_1)
	v_add_nc_u64_e32 v[2:3], s[4:5], v[0:1]
	s_cbranch_scc1 .LBB150_2830
; %bb.2753:
	s_and_b32 s2, 0xffff, s18
	s_mov_b32 s7, -1
	s_mov_b32 s3, 0
	s_cmp_gt_i32 s2, 25
	s_mov_b32 s6, 0
	s_mov_b32 s0, 0
	s_cbranch_scc0 .LBB150_2786
; %bb.2754:
	s_cmp_gt_i32 s2, 28
	s_cbranch_scc0 .LBB150_2769
; %bb.2755:
	s_cmp_gt_i32 s2, 43
	;; [unrolled: 3-line block ×3, first 2 shown]
	s_cbranch_scc0 .LBB150_2759
; %bb.2757:
	s_mov_b32 s0, -1
	s_mov_b32 s7, 0
	s_cmp_eq_u32 s2, 46
	s_cbranch_scc0 .LBB150_2759
; %bb.2758:
	v_cndmask_b32_e64 v1, 0, 1.0, s1
	s_mov_b32 s0, 0
	s_mov_b32 s6, -1
	s_delay_alu instid0(VALU_DEP_1) | instskip(NEXT) | instid1(VALU_DEP_1)
	v_bfe_u32 v4, v1, 16, 1
	v_add3_u32 v1, v1, v4, 0x7fff
	s_delay_alu instid0(VALU_DEP_1)
	v_lshrrev_b32_e32 v1, 16, v1
	global_store_b32 v[2:3], v1, off
.LBB150_2759:
	s_and_b32 vcc_lo, exec_lo, s7
	s_cbranch_vccz .LBB150_2764
; %bb.2760:
	s_cmp_eq_u32 s2, 44
	s_mov_b32 s0, -1
	s_cbranch_scc0 .LBB150_2764
; %bb.2761:
	v_cndmask_b32_e64 v5, 0, 1.0, s1
	s_mov_b32 s6, exec_lo
	s_wait_xcnt 0x0
	s_delay_alu instid0(VALU_DEP_1) | instskip(NEXT) | instid1(VALU_DEP_1)
	v_dual_mov_b32 v4, 0xff :: v_dual_lshrrev_b32 v1, 23, v5
	v_cmpx_ne_u32_e32 0xff, v1
; %bb.2762:
	v_and_b32_e32 v4, 0x400000, v5
	v_and_or_b32 v5, 0x3fffff, v5, v1
	s_delay_alu instid0(VALU_DEP_2) | instskip(NEXT) | instid1(VALU_DEP_2)
	v_cmp_ne_u32_e32 vcc_lo, 0, v4
	v_cmp_ne_u32_e64 s0, 0, v5
	s_and_b32 s0, vcc_lo, s0
	s_delay_alu instid0(SALU_CYCLE_1) | instskip(NEXT) | instid1(VALU_DEP_1)
	v_cndmask_b32_e64 v4, 0, 1, s0
	v_add_nc_u32_e32 v4, v1, v4
; %bb.2763:
	s_or_b32 exec_lo, exec_lo, s6
	s_mov_b32 s0, 0
	s_mov_b32 s6, -1
	global_store_b8 v[2:3], v4, off
.LBB150_2764:
	s_mov_b32 s7, 0
.LBB150_2765:
	s_delay_alu instid0(SALU_CYCLE_1)
	s_and_b32 vcc_lo, exec_lo, s7
	s_cbranch_vccz .LBB150_2768
; %bb.2766:
	s_cmp_eq_u32 s2, 29
	s_mov_b32 s0, -1
	s_cbranch_scc0 .LBB150_2768
; %bb.2767:
	s_mov_b32 s0, 0
	s_wait_xcnt 0x0
	v_cndmask_b32_e64 v4, 0, 1, s1
	v_mov_b32_e32 v5, s0
	s_mov_b32 s6, -1
	global_store_b64 v[2:3], v[4:5], off
.LBB150_2768:
	s_mov_b32 s7, 0
.LBB150_2769:
	s_delay_alu instid0(SALU_CYCLE_1)
	s_and_b32 vcc_lo, exec_lo, s7
	s_cbranch_vccz .LBB150_2785
; %bb.2770:
	s_cmp_lt_i32 s2, 27
	s_mov_b32 s6, -1
	s_cbranch_scc1 .LBB150_2776
; %bb.2771:
	s_cmp_gt_i32 s2, 27
	s_cbranch_scc0 .LBB150_2773
; %bb.2772:
	s_wait_xcnt 0x0
	v_cndmask_b32_e64 v1, 0, 1, s1
	s_mov_b32 s6, 0
	global_store_b32 v[2:3], v1, off
.LBB150_2773:
	s_and_not1_b32 vcc_lo, exec_lo, s6
	s_cbranch_vccnz .LBB150_2775
; %bb.2774:
	s_wait_xcnt 0x0
	v_cndmask_b32_e64 v1, 0, 1, s1
	global_store_b16 v[2:3], v1, off
.LBB150_2775:
	s_mov_b32 s6, 0
.LBB150_2776:
	s_delay_alu instid0(SALU_CYCLE_1)
	s_and_not1_b32 vcc_lo, exec_lo, s6
	s_cbranch_vccnz .LBB150_2784
; %bb.2777:
	s_wait_xcnt 0x0
	v_cndmask_b32_e64 v4, 0, 1.0, s1
	v_mov_b32_e32 v5, 0x80
	s_mov_b32 s6, exec_lo
	s_delay_alu instid0(VALU_DEP_2)
	v_cmpx_gt_u32_e32 0x43800000, v4
	s_cbranch_execz .LBB150_2783
; %bb.2778:
	s_mov_b32 s7, 0
	s_mov_b32 s11, exec_lo
                                        ; implicit-def: $vgpr1
	v_cmpx_lt_u32_e32 0x3bffffff, v4
	s_xor_b32 s11, exec_lo, s11
	s_cbranch_execz .LBB150_3187
; %bb.2779:
	v_bfe_u32 v1, v4, 20, 1
	s_mov_b32 s7, exec_lo
	s_delay_alu instid0(VALU_DEP_1) | instskip(NEXT) | instid1(VALU_DEP_1)
	v_add3_u32 v1, v4, v1, 0x487ffff
                                        ; implicit-def: $vgpr4
	v_lshrrev_b32_e32 v1, 20, v1
	s_and_not1_saveexec_b32 s11, s11
	s_cbranch_execnz .LBB150_3188
.LBB150_2780:
	s_or_b32 exec_lo, exec_lo, s11
	v_mov_b32_e32 v5, 0
	s_and_saveexec_b32 s11, s7
.LBB150_2781:
	v_mov_b32_e32 v5, v1
.LBB150_2782:
	s_or_b32 exec_lo, exec_lo, s11
.LBB150_2783:
	s_delay_alu instid0(SALU_CYCLE_1)
	s_or_b32 exec_lo, exec_lo, s6
	global_store_b8 v[2:3], v5, off
.LBB150_2784:
	s_mov_b32 s6, -1
.LBB150_2785:
	s_mov_b32 s7, 0
.LBB150_2786:
	s_delay_alu instid0(SALU_CYCLE_1)
	s_and_b32 vcc_lo, exec_lo, s7
	s_cbranch_vccz .LBB150_2826
; %bb.2787:
	s_cmp_gt_i32 s2, 22
	s_mov_b32 s3, -1
	s_cbranch_scc0 .LBB150_2819
; %bb.2788:
	s_cmp_lt_i32 s2, 24
	s_cbranch_scc1 .LBB150_2808
; %bb.2789:
	s_cmp_gt_i32 s2, 24
	s_cbranch_scc0 .LBB150_2797
; %bb.2790:
	s_wait_xcnt 0x0
	v_cndmask_b32_e64 v4, 0, 1.0, s1
	v_mov_b32_e32 v5, 0x80
	s_mov_b32 s3, exec_lo
	s_delay_alu instid0(VALU_DEP_2)
	v_cmpx_gt_u32_e32 0x47800000, v4
	s_cbranch_execz .LBB150_2796
; %bb.2791:
	s_mov_b32 s6, 0
	s_mov_b32 s7, exec_lo
                                        ; implicit-def: $vgpr1
	v_cmpx_lt_u32_e32 0x37ffffff, v4
	s_xor_b32 s7, exec_lo, s7
	s_cbranch_execz .LBB150_3190
; %bb.2792:
	v_bfe_u32 v1, v4, 21, 1
	s_mov_b32 s6, exec_lo
	s_delay_alu instid0(VALU_DEP_1) | instskip(NEXT) | instid1(VALU_DEP_1)
	v_add3_u32 v1, v4, v1, 0x88fffff
                                        ; implicit-def: $vgpr4
	v_lshrrev_b32_e32 v1, 21, v1
	s_and_not1_saveexec_b32 s7, s7
	s_cbranch_execnz .LBB150_3191
.LBB150_2793:
	s_or_b32 exec_lo, exec_lo, s7
	v_mov_b32_e32 v5, 0
	s_and_saveexec_b32 s7, s6
.LBB150_2794:
	v_mov_b32_e32 v5, v1
.LBB150_2795:
	s_or_b32 exec_lo, exec_lo, s7
.LBB150_2796:
	s_delay_alu instid0(SALU_CYCLE_1)
	s_or_b32 exec_lo, exec_lo, s3
	s_mov_b32 s3, 0
	global_store_b8 v[2:3], v5, off
.LBB150_2797:
	s_and_b32 vcc_lo, exec_lo, s3
	s_cbranch_vccz .LBB150_2807
; %bb.2798:
	s_wait_xcnt 0x0
	v_cndmask_b32_e64 v4, 0, 1.0, s1
	s_mov_b32 s3, exec_lo
                                        ; implicit-def: $vgpr1
	s_delay_alu instid0(VALU_DEP_1)
	v_cmpx_gt_u32_e32 0x43f00000, v4
	s_xor_b32 s3, exec_lo, s3
	s_cbranch_execz .LBB150_2804
; %bb.2799:
	s_mov_b32 s6, exec_lo
                                        ; implicit-def: $vgpr1
	v_cmpx_lt_u32_e32 0x3c7fffff, v4
	s_xor_b32 s6, exec_lo, s6
; %bb.2800:
	v_bfe_u32 v1, v4, 20, 1
	s_delay_alu instid0(VALU_DEP_1) | instskip(NEXT) | instid1(VALU_DEP_1)
	v_add3_u32 v1, v4, v1, 0x407ffff
	v_and_b32_e32 v4, 0xff00000, v1
	v_lshrrev_b32_e32 v1, 20, v1
	s_delay_alu instid0(VALU_DEP_2) | instskip(NEXT) | instid1(VALU_DEP_2)
	v_cmp_ne_u32_e32 vcc_lo, 0x7f00000, v4
                                        ; implicit-def: $vgpr4
	v_cndmask_b32_e32 v1, 0x7e, v1, vcc_lo
; %bb.2801:
	s_and_not1_saveexec_b32 s6, s6
; %bb.2802:
	v_add_f32_e32 v1, 0x46800000, v4
; %bb.2803:
	s_or_b32 exec_lo, exec_lo, s6
                                        ; implicit-def: $vgpr4
.LBB150_2804:
	s_and_not1_saveexec_b32 s3, s3
; %bb.2805:
	v_mov_b32_e32 v1, 0x7f
	v_cmp_lt_u32_e32 vcc_lo, 0x7f800000, v4
	s_delay_alu instid0(VALU_DEP_2)
	v_cndmask_b32_e32 v1, 0x7e, v1, vcc_lo
; %bb.2806:
	s_or_b32 exec_lo, exec_lo, s3
	global_store_b8 v[2:3], v1, off
.LBB150_2807:
	s_mov_b32 s3, 0
.LBB150_2808:
	s_delay_alu instid0(SALU_CYCLE_1)
	s_and_not1_b32 vcc_lo, exec_lo, s3
	s_cbranch_vccnz .LBB150_2818
; %bb.2809:
	s_wait_xcnt 0x0
	v_cndmask_b32_e64 v4, 0, 1.0, s1
	s_mov_b32 s3, exec_lo
                                        ; implicit-def: $vgpr1
	s_delay_alu instid0(VALU_DEP_1)
	v_cmpx_gt_u32_e32 0x47800000, v4
	s_xor_b32 s3, exec_lo, s3
	s_cbranch_execz .LBB150_2815
; %bb.2810:
	s_mov_b32 s6, exec_lo
                                        ; implicit-def: $vgpr1
	v_cmpx_lt_u32_e32 0x387fffff, v4
	s_xor_b32 s6, exec_lo, s6
; %bb.2811:
	v_bfe_u32 v1, v4, 21, 1
	s_delay_alu instid0(VALU_DEP_1) | instskip(NEXT) | instid1(VALU_DEP_1)
	v_add3_u32 v1, v4, v1, 0x80fffff
                                        ; implicit-def: $vgpr4
	v_lshrrev_b32_e32 v1, 21, v1
; %bb.2812:
	s_and_not1_saveexec_b32 s6, s6
; %bb.2813:
	v_add_f32_e32 v1, 0x43000000, v4
; %bb.2814:
	s_or_b32 exec_lo, exec_lo, s6
                                        ; implicit-def: $vgpr4
.LBB150_2815:
	s_and_not1_saveexec_b32 s3, s3
; %bb.2816:
	v_mov_b32_e32 v1, 0x7f
	v_cmp_lt_u32_e32 vcc_lo, 0x7f800000, v4
	s_delay_alu instid0(VALU_DEP_2)
	v_cndmask_b32_e32 v1, 0x7c, v1, vcc_lo
; %bb.2817:
	s_or_b32 exec_lo, exec_lo, s3
	global_store_b8 v[2:3], v1, off
.LBB150_2818:
	s_mov_b32 s3, 0
	s_mov_b32 s6, -1
.LBB150_2819:
	s_and_not1_b32 vcc_lo, exec_lo, s3
	s_mov_b32 s3, 0
	s_cbranch_vccnz .LBB150_2826
; %bb.2820:
	s_cmp_gt_i32 s2, 14
	s_mov_b32 s3, -1
	s_cbranch_scc0 .LBB150_2824
; %bb.2821:
	s_cmp_eq_u32 s2, 15
	s_mov_b32 s0, -1
	s_cbranch_scc0 .LBB150_2823
; %bb.2822:
	s_wait_xcnt 0x0
	v_cndmask_b32_e64 v1, 0, 1.0, s1
	s_mov_b32 s0, 0
	s_mov_b32 s6, -1
	s_delay_alu instid0(VALU_DEP_1) | instskip(NEXT) | instid1(VALU_DEP_1)
	v_bfe_u32 v4, v1, 16, 1
	v_add3_u32 v1, v1, v4, 0x7fff
	global_store_d16_hi_b16 v[2:3], v1, off
.LBB150_2823:
	s_mov_b32 s3, 0
.LBB150_2824:
	s_delay_alu instid0(SALU_CYCLE_1)
	s_and_b32 vcc_lo, exec_lo, s3
	s_mov_b32 s3, 0
	s_cbranch_vccz .LBB150_2826
; %bb.2825:
	s_cmp_lg_u32 s2, 11
	s_mov_b32 s3, -1
	s_cselect_b32 s0, -1, 0
.LBB150_2826:
	s_delay_alu instid0(SALU_CYCLE_1)
	s_and_b32 vcc_lo, exec_lo, s0
	s_cbranch_vccnz .LBB150_3189
; %bb.2827:
	s_and_not1_b32 vcc_lo, exec_lo, s3
	s_cbranch_vccnz .LBB150_2829
.LBB150_2828:
	s_wait_xcnt 0x0
	v_cndmask_b32_e64 v1, 0, 1, s1
	s_mov_b32 s6, -1
	global_store_b8 v[2:3], v1, off
.LBB150_2829:
	s_mov_b32 s0, 0
	s_branch .LBB150_2831
.LBB150_2830:
	s_mov_b32 s0, -1
	s_mov_b32 s6, 0
.LBB150_2831:
	s_and_b32 vcc_lo, exec_lo, s0
	s_cbranch_vccz .LBB150_2870
; %bb.2832:
	s_and_b32 s0, 0xffff, s18
	s_mov_b32 s2, -1
	s_cmp_lt_i32 s0, 5
	s_cbranch_scc1 .LBB150_2853
; %bb.2833:
	s_cmp_lt_i32 s0, 8
	s_cbranch_scc1 .LBB150_2843
; %bb.2834:
	;; [unrolled: 3-line block ×3, first 2 shown]
	s_cmp_gt_i32 s0, 9
	s_cbranch_scc0 .LBB150_2837
; %bb.2836:
	s_wait_xcnt 0x0
	v_cndmask_b32_e64 v1, 0, 1, s1
	v_mov_b32_e32 v6, 0
	s_mov_b32 s2, 0
	s_delay_alu instid0(VALU_DEP_2) | instskip(NEXT) | instid1(VALU_DEP_2)
	v_cvt_f64_u32_e32 v[4:5], v1
	v_mov_b32_e32 v7, v6
	global_store_b128 v[2:3], v[4:7], off
.LBB150_2837:
	s_and_not1_b32 vcc_lo, exec_lo, s2
	s_cbranch_vccnz .LBB150_2839
; %bb.2838:
	s_wait_xcnt 0x0
	v_cndmask_b32_e64 v4, 0, 1.0, s1
	v_mov_b32_e32 v5, 0
	global_store_b64 v[2:3], v[4:5], off
.LBB150_2839:
	s_mov_b32 s2, 0
.LBB150_2840:
	s_delay_alu instid0(SALU_CYCLE_1)
	s_and_not1_b32 vcc_lo, exec_lo, s2
	s_cbranch_vccnz .LBB150_2842
; %bb.2841:
	s_wait_xcnt 0x0
	v_cndmask_b32_e64 v1, 0, 1.0, s1
	s_delay_alu instid0(VALU_DEP_1) | instskip(NEXT) | instid1(VALU_DEP_1)
	v_cvt_f16_f32_e32 v1, v1
	v_and_b32_e32 v1, 0xffff, v1
	global_store_b32 v[2:3], v1, off
.LBB150_2842:
	s_mov_b32 s2, 0
.LBB150_2843:
	s_delay_alu instid0(SALU_CYCLE_1)
	s_and_not1_b32 vcc_lo, exec_lo, s2
	s_cbranch_vccnz .LBB150_2852
; %bb.2844:
	s_cmp_lt_i32 s0, 6
	s_mov_b32 s2, -1
	s_cbranch_scc1 .LBB150_2850
; %bb.2845:
	s_cmp_gt_i32 s0, 6
	s_cbranch_scc0 .LBB150_2847
; %bb.2846:
	s_wait_xcnt 0x0
	v_cndmask_b32_e64 v1, 0, 1, s1
	s_mov_b32 s2, 0
	s_delay_alu instid0(VALU_DEP_1)
	v_cvt_f64_u32_e32 v[4:5], v1
	global_store_b64 v[2:3], v[4:5], off
.LBB150_2847:
	s_and_not1_b32 vcc_lo, exec_lo, s2
	s_cbranch_vccnz .LBB150_2849
; %bb.2848:
	s_wait_xcnt 0x0
	v_cndmask_b32_e64 v1, 0, 1.0, s1
	global_store_b32 v[2:3], v1, off
.LBB150_2849:
	s_mov_b32 s2, 0
.LBB150_2850:
	s_delay_alu instid0(SALU_CYCLE_1)
	s_and_not1_b32 vcc_lo, exec_lo, s2
	s_cbranch_vccnz .LBB150_2852
; %bb.2851:
	s_wait_xcnt 0x0
	v_cndmask_b32_e64 v1, 0, 1.0, s1
	s_delay_alu instid0(VALU_DEP_1)
	v_cvt_f16_f32_e32 v1, v1
	global_store_b16 v[2:3], v1, off
.LBB150_2852:
	s_mov_b32 s2, 0
.LBB150_2853:
	s_delay_alu instid0(SALU_CYCLE_1)
	s_and_not1_b32 vcc_lo, exec_lo, s2
	s_cbranch_vccnz .LBB150_2869
; %bb.2854:
	s_cmp_lt_i32 s0, 2
	s_mov_b32 s2, -1
	s_cbranch_scc1 .LBB150_2864
; %bb.2855:
	s_cmp_lt_i32 s0, 3
	s_cbranch_scc1 .LBB150_2861
; %bb.2856:
	s_cmp_gt_i32 s0, 3
	s_cbranch_scc0 .LBB150_2858
; %bb.2857:
	s_mov_b32 s2, 0
	s_wait_xcnt 0x0
	v_cndmask_b32_e64 v4, 0, 1, s1
	v_mov_b32_e32 v5, s2
	global_store_b64 v[2:3], v[4:5], off
.LBB150_2858:
	s_and_not1_b32 vcc_lo, exec_lo, s2
	s_cbranch_vccnz .LBB150_2860
; %bb.2859:
	s_wait_xcnt 0x0
	v_cndmask_b32_e64 v1, 0, 1, s1
	global_store_b32 v[2:3], v1, off
.LBB150_2860:
	s_mov_b32 s2, 0
.LBB150_2861:
	s_delay_alu instid0(SALU_CYCLE_1)
	s_and_not1_b32 vcc_lo, exec_lo, s2
	s_cbranch_vccnz .LBB150_2863
; %bb.2862:
	s_wait_xcnt 0x0
	v_cndmask_b32_e64 v1, 0, 1, s1
	global_store_b16 v[2:3], v1, off
.LBB150_2863:
	s_mov_b32 s2, 0
.LBB150_2864:
	s_delay_alu instid0(SALU_CYCLE_1)
	s_and_not1_b32 vcc_lo, exec_lo, s2
	s_cbranch_vccnz .LBB150_2869
; %bb.2865:
	s_wait_xcnt 0x0
	v_cndmask_b32_e64 v1, 0, 1, s1
	s_cmp_gt_i32 s0, 0
	s_mov_b32 s0, -1
	s_cbranch_scc0 .LBB150_2867
; %bb.2866:
	s_mov_b32 s0, 0
	global_store_b8 v[2:3], v1, off
.LBB150_2867:
	s_and_not1_b32 vcc_lo, exec_lo, s0
	s_cbranch_vccnz .LBB150_2869
; %bb.2868:
	global_store_b8 v[2:3], v1, off
.LBB150_2869:
	s_mov_b32 s6, -1
.LBB150_2870:
	s_delay_alu instid0(SALU_CYCLE_1)
	s_and_not1_b32 vcc_lo, exec_lo, s6
	s_cbranch_vccnz .LBB150_3185
; %bb.2871:
	s_lshl_b32 s1, s8, 7
	s_cmp_lt_i32 s18, 11
	v_add_nc_u32_e32 v0, s1, v0
	s_wait_xcnt 0x0
	s_delay_alu instid0(VALU_DEP_1) | instskip(NEXT) | instid1(VALU_DEP_1)
	v_ashrrev_i32_e32 v1, 31, v0
	v_add_nc_u64_e32 v[2:3], s[4:5], v[0:1]
	s_cbranch_scc1 .LBB150_2949
; %bb.2872:
	s_and_b32 s2, 0xffff, s18
	s_mov_b32 s7, -1
	s_mov_b32 s3, 0
	s_cmp_gt_i32 s2, 25
	s_mov_b32 s6, 0
	s_mov_b32 s0, 0
	s_cbranch_scc0 .LBB150_2905
; %bb.2873:
	s_cmp_gt_i32 s2, 28
	s_cbranch_scc0 .LBB150_2888
; %bb.2874:
	s_cmp_gt_i32 s2, 43
	;; [unrolled: 3-line block ×3, first 2 shown]
	s_cbranch_scc0 .LBB150_2878
; %bb.2876:
	s_mov_b32 s0, -1
	s_mov_b32 s7, 0
	s_cmp_eq_u32 s2, 46
	s_cbranch_scc0 .LBB150_2878
; %bb.2877:
	v_cndmask_b32_e64 v1, 0, 1.0, s9
	s_mov_b32 s0, 0
	s_mov_b32 s6, -1
	s_delay_alu instid0(VALU_DEP_1) | instskip(NEXT) | instid1(VALU_DEP_1)
	v_bfe_u32 v4, v1, 16, 1
	v_add3_u32 v1, v1, v4, 0x7fff
	s_delay_alu instid0(VALU_DEP_1)
	v_lshrrev_b32_e32 v1, 16, v1
	global_store_b32 v[2:3], v1, off
.LBB150_2878:
	s_and_b32 vcc_lo, exec_lo, s7
	s_cbranch_vccz .LBB150_2883
; %bb.2879:
	s_cmp_eq_u32 s2, 44
	s_mov_b32 s0, -1
	s_cbranch_scc0 .LBB150_2883
; %bb.2880:
	v_cndmask_b32_e64 v5, 0, 1.0, s9
	s_mov_b32 s6, exec_lo
	s_wait_xcnt 0x0
	s_delay_alu instid0(VALU_DEP_1) | instskip(NEXT) | instid1(VALU_DEP_1)
	v_dual_mov_b32 v4, 0xff :: v_dual_lshrrev_b32 v1, 23, v5
	v_cmpx_ne_u32_e32 0xff, v1
; %bb.2881:
	v_and_b32_e32 v4, 0x400000, v5
	v_and_or_b32 v5, 0x3fffff, v5, v1
	s_delay_alu instid0(VALU_DEP_2) | instskip(NEXT) | instid1(VALU_DEP_2)
	v_cmp_ne_u32_e32 vcc_lo, 0, v4
	v_cmp_ne_u32_e64 s0, 0, v5
	s_and_b32 s0, vcc_lo, s0
	s_delay_alu instid0(SALU_CYCLE_1) | instskip(NEXT) | instid1(VALU_DEP_1)
	v_cndmask_b32_e64 v4, 0, 1, s0
	v_add_nc_u32_e32 v4, v1, v4
; %bb.2882:
	s_or_b32 exec_lo, exec_lo, s6
	s_mov_b32 s0, 0
	s_mov_b32 s6, -1
	global_store_b8 v[2:3], v4, off
.LBB150_2883:
	s_mov_b32 s7, 0
.LBB150_2884:
	s_delay_alu instid0(SALU_CYCLE_1)
	s_and_b32 vcc_lo, exec_lo, s7
	s_cbranch_vccz .LBB150_2887
; %bb.2885:
	s_cmp_eq_u32 s2, 29
	s_mov_b32 s0, -1
	s_cbranch_scc0 .LBB150_2887
; %bb.2886:
	s_mov_b32 s0, 0
	s_wait_xcnt 0x0
	v_cndmask_b32_e64 v4, 0, 1, s9
	v_mov_b32_e32 v5, s0
	s_mov_b32 s6, -1
	global_store_b64 v[2:3], v[4:5], off
.LBB150_2887:
	s_mov_b32 s7, 0
.LBB150_2888:
	s_delay_alu instid0(SALU_CYCLE_1)
	s_and_b32 vcc_lo, exec_lo, s7
	s_cbranch_vccz .LBB150_2904
; %bb.2889:
	s_cmp_lt_i32 s2, 27
	s_mov_b32 s6, -1
	s_cbranch_scc1 .LBB150_2895
; %bb.2890:
	s_cmp_gt_i32 s2, 27
	s_cbranch_scc0 .LBB150_2892
; %bb.2891:
	s_wait_xcnt 0x0
	v_cndmask_b32_e64 v1, 0, 1, s9
	s_mov_b32 s6, 0
	global_store_b32 v[2:3], v1, off
.LBB150_2892:
	s_and_not1_b32 vcc_lo, exec_lo, s6
	s_cbranch_vccnz .LBB150_2894
; %bb.2893:
	s_wait_xcnt 0x0
	v_cndmask_b32_e64 v1, 0, 1, s9
	global_store_b16 v[2:3], v1, off
.LBB150_2894:
	s_mov_b32 s6, 0
.LBB150_2895:
	s_delay_alu instid0(SALU_CYCLE_1)
	s_and_not1_b32 vcc_lo, exec_lo, s6
	s_cbranch_vccnz .LBB150_2903
; %bb.2896:
	s_wait_xcnt 0x0
	v_cndmask_b32_e64 v4, 0, 1.0, s9
	v_mov_b32_e32 v5, 0x80
	s_mov_b32 s6, exec_lo
	s_delay_alu instid0(VALU_DEP_2)
	v_cmpx_gt_u32_e32 0x43800000, v4
	s_cbranch_execz .LBB150_2902
; %bb.2897:
	s_mov_b32 s7, 0
	s_mov_b32 s8, exec_lo
                                        ; implicit-def: $vgpr1
	v_cmpx_lt_u32_e32 0x3bffffff, v4
	s_xor_b32 s8, exec_lo, s8
	s_cbranch_execz .LBB150_3192
; %bb.2898:
	v_bfe_u32 v1, v4, 20, 1
	s_mov_b32 s7, exec_lo
	s_delay_alu instid0(VALU_DEP_1) | instskip(NEXT) | instid1(VALU_DEP_1)
	v_add3_u32 v1, v4, v1, 0x487ffff
                                        ; implicit-def: $vgpr4
	v_lshrrev_b32_e32 v1, 20, v1
	s_and_not1_saveexec_b32 s8, s8
	s_cbranch_execnz .LBB150_3193
.LBB150_2899:
	s_or_b32 exec_lo, exec_lo, s8
	v_mov_b32_e32 v5, 0
	s_and_saveexec_b32 s8, s7
.LBB150_2900:
	v_mov_b32_e32 v5, v1
.LBB150_2901:
	s_or_b32 exec_lo, exec_lo, s8
.LBB150_2902:
	s_delay_alu instid0(SALU_CYCLE_1)
	s_or_b32 exec_lo, exec_lo, s6
	global_store_b8 v[2:3], v5, off
.LBB150_2903:
	s_mov_b32 s6, -1
.LBB150_2904:
	s_mov_b32 s7, 0
.LBB150_2905:
	s_delay_alu instid0(SALU_CYCLE_1)
	s_and_b32 vcc_lo, exec_lo, s7
	s_cbranch_vccz .LBB150_2945
; %bb.2906:
	s_cmp_gt_i32 s2, 22
	s_mov_b32 s3, -1
	s_cbranch_scc0 .LBB150_2938
; %bb.2907:
	s_cmp_lt_i32 s2, 24
	s_cbranch_scc1 .LBB150_2927
; %bb.2908:
	s_cmp_gt_i32 s2, 24
	s_cbranch_scc0 .LBB150_2916
; %bb.2909:
	s_wait_xcnt 0x0
	v_cndmask_b32_e64 v4, 0, 1.0, s9
	v_mov_b32_e32 v5, 0x80
	s_mov_b32 s3, exec_lo
	s_delay_alu instid0(VALU_DEP_2)
	v_cmpx_gt_u32_e32 0x47800000, v4
	s_cbranch_execz .LBB150_2915
; %bb.2910:
	s_mov_b32 s6, 0
	s_mov_b32 s7, exec_lo
                                        ; implicit-def: $vgpr1
	v_cmpx_lt_u32_e32 0x37ffffff, v4
	s_xor_b32 s7, exec_lo, s7
	s_cbranch_execz .LBB150_3195
; %bb.2911:
	v_bfe_u32 v1, v4, 21, 1
	s_mov_b32 s6, exec_lo
	s_delay_alu instid0(VALU_DEP_1) | instskip(NEXT) | instid1(VALU_DEP_1)
	v_add3_u32 v1, v4, v1, 0x88fffff
                                        ; implicit-def: $vgpr4
	v_lshrrev_b32_e32 v1, 21, v1
	s_and_not1_saveexec_b32 s7, s7
	s_cbranch_execnz .LBB150_3196
.LBB150_2912:
	s_or_b32 exec_lo, exec_lo, s7
	v_mov_b32_e32 v5, 0
	s_and_saveexec_b32 s7, s6
.LBB150_2913:
	v_mov_b32_e32 v5, v1
.LBB150_2914:
	s_or_b32 exec_lo, exec_lo, s7
.LBB150_2915:
	s_delay_alu instid0(SALU_CYCLE_1)
	s_or_b32 exec_lo, exec_lo, s3
	s_mov_b32 s3, 0
	global_store_b8 v[2:3], v5, off
.LBB150_2916:
	s_and_b32 vcc_lo, exec_lo, s3
	s_cbranch_vccz .LBB150_2926
; %bb.2917:
	s_wait_xcnt 0x0
	v_cndmask_b32_e64 v4, 0, 1.0, s9
	s_mov_b32 s3, exec_lo
                                        ; implicit-def: $vgpr1
	s_delay_alu instid0(VALU_DEP_1)
	v_cmpx_gt_u32_e32 0x43f00000, v4
	s_xor_b32 s3, exec_lo, s3
	s_cbranch_execz .LBB150_2923
; %bb.2918:
	s_mov_b32 s6, exec_lo
                                        ; implicit-def: $vgpr1
	v_cmpx_lt_u32_e32 0x3c7fffff, v4
	s_xor_b32 s6, exec_lo, s6
; %bb.2919:
	v_bfe_u32 v1, v4, 20, 1
	s_delay_alu instid0(VALU_DEP_1) | instskip(NEXT) | instid1(VALU_DEP_1)
	v_add3_u32 v1, v4, v1, 0x407ffff
	v_and_b32_e32 v4, 0xff00000, v1
	v_lshrrev_b32_e32 v1, 20, v1
	s_delay_alu instid0(VALU_DEP_2) | instskip(NEXT) | instid1(VALU_DEP_2)
	v_cmp_ne_u32_e32 vcc_lo, 0x7f00000, v4
                                        ; implicit-def: $vgpr4
	v_cndmask_b32_e32 v1, 0x7e, v1, vcc_lo
; %bb.2920:
	s_and_not1_saveexec_b32 s6, s6
; %bb.2921:
	v_add_f32_e32 v1, 0x46800000, v4
; %bb.2922:
	s_or_b32 exec_lo, exec_lo, s6
                                        ; implicit-def: $vgpr4
.LBB150_2923:
	s_and_not1_saveexec_b32 s3, s3
; %bb.2924:
	v_mov_b32_e32 v1, 0x7f
	v_cmp_lt_u32_e32 vcc_lo, 0x7f800000, v4
	s_delay_alu instid0(VALU_DEP_2)
	v_cndmask_b32_e32 v1, 0x7e, v1, vcc_lo
; %bb.2925:
	s_or_b32 exec_lo, exec_lo, s3
	global_store_b8 v[2:3], v1, off
.LBB150_2926:
	s_mov_b32 s3, 0
.LBB150_2927:
	s_delay_alu instid0(SALU_CYCLE_1)
	s_and_not1_b32 vcc_lo, exec_lo, s3
	s_cbranch_vccnz .LBB150_2937
; %bb.2928:
	s_wait_xcnt 0x0
	v_cndmask_b32_e64 v4, 0, 1.0, s9
	s_mov_b32 s3, exec_lo
                                        ; implicit-def: $vgpr1
	s_delay_alu instid0(VALU_DEP_1)
	v_cmpx_gt_u32_e32 0x47800000, v4
	s_xor_b32 s3, exec_lo, s3
	s_cbranch_execz .LBB150_2934
; %bb.2929:
	s_mov_b32 s6, exec_lo
                                        ; implicit-def: $vgpr1
	v_cmpx_lt_u32_e32 0x387fffff, v4
	s_xor_b32 s6, exec_lo, s6
; %bb.2930:
	v_bfe_u32 v1, v4, 21, 1
	s_delay_alu instid0(VALU_DEP_1) | instskip(NEXT) | instid1(VALU_DEP_1)
	v_add3_u32 v1, v4, v1, 0x80fffff
                                        ; implicit-def: $vgpr4
	v_lshrrev_b32_e32 v1, 21, v1
; %bb.2931:
	s_and_not1_saveexec_b32 s6, s6
; %bb.2932:
	v_add_f32_e32 v1, 0x43000000, v4
; %bb.2933:
	s_or_b32 exec_lo, exec_lo, s6
                                        ; implicit-def: $vgpr4
.LBB150_2934:
	s_and_not1_saveexec_b32 s3, s3
; %bb.2935:
	v_mov_b32_e32 v1, 0x7f
	v_cmp_lt_u32_e32 vcc_lo, 0x7f800000, v4
	s_delay_alu instid0(VALU_DEP_2)
	v_cndmask_b32_e32 v1, 0x7c, v1, vcc_lo
; %bb.2936:
	s_or_b32 exec_lo, exec_lo, s3
	global_store_b8 v[2:3], v1, off
.LBB150_2937:
	s_mov_b32 s3, 0
	s_mov_b32 s6, -1
.LBB150_2938:
	s_and_not1_b32 vcc_lo, exec_lo, s3
	s_mov_b32 s3, 0
	s_cbranch_vccnz .LBB150_2945
; %bb.2939:
	s_cmp_gt_i32 s2, 14
	s_mov_b32 s3, -1
	s_cbranch_scc0 .LBB150_2943
; %bb.2940:
	s_cmp_eq_u32 s2, 15
	s_mov_b32 s0, -1
	s_cbranch_scc0 .LBB150_2942
; %bb.2941:
	s_wait_xcnt 0x0
	v_cndmask_b32_e64 v1, 0, 1.0, s9
	s_mov_b32 s0, 0
	s_mov_b32 s6, -1
	s_delay_alu instid0(VALU_DEP_1) | instskip(NEXT) | instid1(VALU_DEP_1)
	v_bfe_u32 v4, v1, 16, 1
	v_add3_u32 v1, v1, v4, 0x7fff
	global_store_d16_hi_b16 v[2:3], v1, off
.LBB150_2942:
	s_mov_b32 s3, 0
.LBB150_2943:
	s_delay_alu instid0(SALU_CYCLE_1)
	s_and_b32 vcc_lo, exec_lo, s3
	s_mov_b32 s3, 0
	s_cbranch_vccz .LBB150_2945
; %bb.2944:
	s_cmp_lg_u32 s2, 11
	s_mov_b32 s3, -1
	s_cselect_b32 s0, -1, 0
.LBB150_2945:
	s_delay_alu instid0(SALU_CYCLE_1)
	s_and_b32 vcc_lo, exec_lo, s0
	s_cbranch_vccnz .LBB150_3194
; %bb.2946:
	s_and_not1_b32 vcc_lo, exec_lo, s3
	s_cbranch_vccnz .LBB150_2948
.LBB150_2947:
	s_wait_xcnt 0x0
	v_cndmask_b32_e64 v1, 0, 1, s9
	s_mov_b32 s6, -1
	global_store_b8 v[2:3], v1, off
.LBB150_2948:
	s_mov_b32 s0, 0
	s_branch .LBB150_2950
.LBB150_2949:
	s_mov_b32 s0, -1
	s_mov_b32 s6, 0
.LBB150_2950:
	s_and_b32 vcc_lo, exec_lo, s0
	s_cbranch_vccz .LBB150_2989
; %bb.2951:
	s_and_b32 s0, 0xffff, s18
	s_mov_b32 s2, -1
	s_cmp_lt_i32 s0, 5
	s_cbranch_scc1 .LBB150_2972
; %bb.2952:
	s_cmp_lt_i32 s0, 8
	s_cbranch_scc1 .LBB150_2962
; %bb.2953:
	;; [unrolled: 3-line block ×3, first 2 shown]
	s_cmp_gt_i32 s0, 9
	s_cbranch_scc0 .LBB150_2956
; %bb.2955:
	s_wait_xcnt 0x0
	v_cndmask_b32_e64 v1, 0, 1, s9
	v_mov_b32_e32 v6, 0
	s_mov_b32 s2, 0
	s_delay_alu instid0(VALU_DEP_2) | instskip(NEXT) | instid1(VALU_DEP_2)
	v_cvt_f64_u32_e32 v[4:5], v1
	v_mov_b32_e32 v7, v6
	global_store_b128 v[2:3], v[4:7], off
.LBB150_2956:
	s_and_not1_b32 vcc_lo, exec_lo, s2
	s_cbranch_vccnz .LBB150_2958
; %bb.2957:
	s_wait_xcnt 0x0
	v_cndmask_b32_e64 v4, 0, 1.0, s9
	v_mov_b32_e32 v5, 0
	global_store_b64 v[2:3], v[4:5], off
.LBB150_2958:
	s_mov_b32 s2, 0
.LBB150_2959:
	s_delay_alu instid0(SALU_CYCLE_1)
	s_and_not1_b32 vcc_lo, exec_lo, s2
	s_cbranch_vccnz .LBB150_2961
; %bb.2960:
	s_wait_xcnt 0x0
	v_cndmask_b32_e64 v1, 0, 1.0, s9
	s_delay_alu instid0(VALU_DEP_1) | instskip(NEXT) | instid1(VALU_DEP_1)
	v_cvt_f16_f32_e32 v1, v1
	v_and_b32_e32 v1, 0xffff, v1
	global_store_b32 v[2:3], v1, off
.LBB150_2961:
	s_mov_b32 s2, 0
.LBB150_2962:
	s_delay_alu instid0(SALU_CYCLE_1)
	s_and_not1_b32 vcc_lo, exec_lo, s2
	s_cbranch_vccnz .LBB150_2971
; %bb.2963:
	s_cmp_lt_i32 s0, 6
	s_mov_b32 s2, -1
	s_cbranch_scc1 .LBB150_2969
; %bb.2964:
	s_cmp_gt_i32 s0, 6
	s_cbranch_scc0 .LBB150_2966
; %bb.2965:
	s_wait_xcnt 0x0
	v_cndmask_b32_e64 v1, 0, 1, s9
	s_mov_b32 s2, 0
	s_delay_alu instid0(VALU_DEP_1)
	v_cvt_f64_u32_e32 v[4:5], v1
	global_store_b64 v[2:3], v[4:5], off
.LBB150_2966:
	s_and_not1_b32 vcc_lo, exec_lo, s2
	s_cbranch_vccnz .LBB150_2968
; %bb.2967:
	s_wait_xcnt 0x0
	v_cndmask_b32_e64 v1, 0, 1.0, s9
	global_store_b32 v[2:3], v1, off
.LBB150_2968:
	s_mov_b32 s2, 0
.LBB150_2969:
	s_delay_alu instid0(SALU_CYCLE_1)
	s_and_not1_b32 vcc_lo, exec_lo, s2
	s_cbranch_vccnz .LBB150_2971
; %bb.2970:
	s_wait_xcnt 0x0
	v_cndmask_b32_e64 v1, 0, 1.0, s9
	s_delay_alu instid0(VALU_DEP_1)
	v_cvt_f16_f32_e32 v1, v1
	global_store_b16 v[2:3], v1, off
.LBB150_2971:
	s_mov_b32 s2, 0
.LBB150_2972:
	s_delay_alu instid0(SALU_CYCLE_1)
	s_and_not1_b32 vcc_lo, exec_lo, s2
	s_cbranch_vccnz .LBB150_2988
; %bb.2973:
	s_cmp_lt_i32 s0, 2
	s_mov_b32 s2, -1
	s_cbranch_scc1 .LBB150_2983
; %bb.2974:
	s_cmp_lt_i32 s0, 3
	s_cbranch_scc1 .LBB150_2980
; %bb.2975:
	s_cmp_gt_i32 s0, 3
	s_cbranch_scc0 .LBB150_2977
; %bb.2976:
	s_mov_b32 s2, 0
	s_wait_xcnt 0x0
	v_cndmask_b32_e64 v4, 0, 1, s9
	v_mov_b32_e32 v5, s2
	global_store_b64 v[2:3], v[4:5], off
.LBB150_2977:
	s_and_not1_b32 vcc_lo, exec_lo, s2
	s_cbranch_vccnz .LBB150_2979
; %bb.2978:
	s_wait_xcnt 0x0
	v_cndmask_b32_e64 v1, 0, 1, s9
	global_store_b32 v[2:3], v1, off
.LBB150_2979:
	s_mov_b32 s2, 0
.LBB150_2980:
	s_delay_alu instid0(SALU_CYCLE_1)
	s_and_not1_b32 vcc_lo, exec_lo, s2
	s_cbranch_vccnz .LBB150_2982
; %bb.2981:
	s_wait_xcnt 0x0
	v_cndmask_b32_e64 v1, 0, 1, s9
	global_store_b16 v[2:3], v1, off
.LBB150_2982:
	s_mov_b32 s2, 0
.LBB150_2983:
	s_delay_alu instid0(SALU_CYCLE_1)
	s_and_not1_b32 vcc_lo, exec_lo, s2
	s_cbranch_vccnz .LBB150_2988
; %bb.2984:
	s_wait_xcnt 0x0
	v_cndmask_b32_e64 v1, 0, 1, s9
	s_cmp_gt_i32 s0, 0
	s_mov_b32 s0, -1
	s_cbranch_scc0 .LBB150_2986
; %bb.2985:
	s_mov_b32 s0, 0
	global_store_b8 v[2:3], v1, off
.LBB150_2986:
	s_and_not1_b32 vcc_lo, exec_lo, s0
	s_cbranch_vccnz .LBB150_2988
; %bb.2987:
	global_store_b8 v[2:3], v1, off
.LBB150_2988:
	s_mov_b32 s6, -1
.LBB150_2989:
	s_delay_alu instid0(SALU_CYCLE_1)
	s_and_not1_b32 vcc_lo, exec_lo, s6
	s_cbranch_vccnz .LBB150_3185
; %bb.2990:
	v_add_nc_u32_e32 v0, s1, v0
	s_cmp_lt_i32 s18, 11
	s_wait_xcnt 0x0
	s_delay_alu instid0(VALU_DEP_1) | instskip(NEXT) | instid1(VALU_DEP_1)
	v_ashrrev_i32_e32 v1, 31, v0
	v_add_nc_u64_e32 v[2:3], s[4:5], v[0:1]
	s_cbranch_scc1 .LBB150_3068
; %bb.2991:
	s_and_b32 s2, 0xffff, s18
	s_mov_b32 s7, -1
	s_mov_b32 s3, 0
	s_cmp_gt_i32 s2, 25
	s_mov_b32 s6, 0
	s_mov_b32 s0, 0
	s_cbranch_scc0 .LBB150_3024
; %bb.2992:
	s_cmp_gt_i32 s2, 28
	s_cbranch_scc0 .LBB150_3007
; %bb.2993:
	s_cmp_gt_i32 s2, 43
	;; [unrolled: 3-line block ×3, first 2 shown]
	s_cbranch_scc0 .LBB150_2997
; %bb.2995:
	s_mov_b32 s0, -1
	s_mov_b32 s7, 0
	s_cmp_eq_u32 s2, 46
	s_cbranch_scc0 .LBB150_2997
; %bb.2996:
	v_cndmask_b32_e64 v1, 0, 1.0, s10
	s_mov_b32 s0, 0
	s_mov_b32 s6, -1
	s_delay_alu instid0(VALU_DEP_1) | instskip(NEXT) | instid1(VALU_DEP_1)
	v_bfe_u32 v4, v1, 16, 1
	v_add3_u32 v1, v1, v4, 0x7fff
	s_delay_alu instid0(VALU_DEP_1)
	v_lshrrev_b32_e32 v1, 16, v1
	global_store_b32 v[2:3], v1, off
.LBB150_2997:
	s_and_b32 vcc_lo, exec_lo, s7
	s_cbranch_vccz .LBB150_3002
; %bb.2998:
	s_cmp_eq_u32 s2, 44
	s_mov_b32 s0, -1
	s_cbranch_scc0 .LBB150_3002
; %bb.2999:
	v_cndmask_b32_e64 v5, 0, 1.0, s10
	s_mov_b32 s6, exec_lo
	s_wait_xcnt 0x0
	s_delay_alu instid0(VALU_DEP_1) | instskip(NEXT) | instid1(VALU_DEP_1)
	v_dual_mov_b32 v4, 0xff :: v_dual_lshrrev_b32 v1, 23, v5
	v_cmpx_ne_u32_e32 0xff, v1
; %bb.3000:
	v_and_b32_e32 v4, 0x400000, v5
	v_and_or_b32 v5, 0x3fffff, v5, v1
	s_delay_alu instid0(VALU_DEP_2) | instskip(NEXT) | instid1(VALU_DEP_2)
	v_cmp_ne_u32_e32 vcc_lo, 0, v4
	v_cmp_ne_u32_e64 s0, 0, v5
	s_and_b32 s0, vcc_lo, s0
	s_delay_alu instid0(SALU_CYCLE_1) | instskip(NEXT) | instid1(VALU_DEP_1)
	v_cndmask_b32_e64 v4, 0, 1, s0
	v_add_nc_u32_e32 v4, v1, v4
; %bb.3001:
	s_or_b32 exec_lo, exec_lo, s6
	s_mov_b32 s0, 0
	s_mov_b32 s6, -1
	global_store_b8 v[2:3], v4, off
.LBB150_3002:
	s_mov_b32 s7, 0
.LBB150_3003:
	s_delay_alu instid0(SALU_CYCLE_1)
	s_and_b32 vcc_lo, exec_lo, s7
	s_cbranch_vccz .LBB150_3006
; %bb.3004:
	s_cmp_eq_u32 s2, 29
	s_mov_b32 s0, -1
	s_cbranch_scc0 .LBB150_3006
; %bb.3005:
	s_mov_b32 s0, 0
	s_wait_xcnt 0x0
	v_cndmask_b32_e64 v4, 0, 1, s10
	v_mov_b32_e32 v5, s0
	s_mov_b32 s6, -1
	global_store_b64 v[2:3], v[4:5], off
.LBB150_3006:
	s_mov_b32 s7, 0
.LBB150_3007:
	s_delay_alu instid0(SALU_CYCLE_1)
	s_and_b32 vcc_lo, exec_lo, s7
	s_cbranch_vccz .LBB150_3023
; %bb.3008:
	s_cmp_lt_i32 s2, 27
	s_mov_b32 s6, -1
	s_cbranch_scc1 .LBB150_3014
; %bb.3009:
	s_cmp_gt_i32 s2, 27
	s_cbranch_scc0 .LBB150_3011
; %bb.3010:
	s_wait_xcnt 0x0
	v_cndmask_b32_e64 v1, 0, 1, s10
	s_mov_b32 s6, 0
	global_store_b32 v[2:3], v1, off
.LBB150_3011:
	s_and_not1_b32 vcc_lo, exec_lo, s6
	s_cbranch_vccnz .LBB150_3013
; %bb.3012:
	s_wait_xcnt 0x0
	v_cndmask_b32_e64 v1, 0, 1, s10
	global_store_b16 v[2:3], v1, off
.LBB150_3013:
	s_mov_b32 s6, 0
.LBB150_3014:
	s_delay_alu instid0(SALU_CYCLE_1)
	s_and_not1_b32 vcc_lo, exec_lo, s6
	s_cbranch_vccnz .LBB150_3022
; %bb.3015:
	s_wait_xcnt 0x0
	v_cndmask_b32_e64 v4, 0, 1.0, s10
	v_mov_b32_e32 v5, 0x80
	s_mov_b32 s6, exec_lo
	s_delay_alu instid0(VALU_DEP_2)
	v_cmpx_gt_u32_e32 0x43800000, v4
	s_cbranch_execz .LBB150_3021
; %bb.3016:
	s_mov_b32 s7, 0
	s_mov_b32 s8, exec_lo
                                        ; implicit-def: $vgpr1
	v_cmpx_lt_u32_e32 0x3bffffff, v4
	s_xor_b32 s8, exec_lo, s8
	s_cbranch_execz .LBB150_3197
; %bb.3017:
	v_bfe_u32 v1, v4, 20, 1
	s_mov_b32 s7, exec_lo
	s_delay_alu instid0(VALU_DEP_1) | instskip(NEXT) | instid1(VALU_DEP_1)
	v_add3_u32 v1, v4, v1, 0x487ffff
                                        ; implicit-def: $vgpr4
	v_lshrrev_b32_e32 v1, 20, v1
	s_and_not1_saveexec_b32 s8, s8
	s_cbranch_execnz .LBB150_3198
.LBB150_3018:
	s_or_b32 exec_lo, exec_lo, s8
	v_mov_b32_e32 v5, 0
	s_and_saveexec_b32 s8, s7
.LBB150_3019:
	v_mov_b32_e32 v5, v1
.LBB150_3020:
	s_or_b32 exec_lo, exec_lo, s8
.LBB150_3021:
	s_delay_alu instid0(SALU_CYCLE_1)
	s_or_b32 exec_lo, exec_lo, s6
	global_store_b8 v[2:3], v5, off
.LBB150_3022:
	s_mov_b32 s6, -1
.LBB150_3023:
	s_mov_b32 s7, 0
.LBB150_3024:
	s_delay_alu instid0(SALU_CYCLE_1)
	s_and_b32 vcc_lo, exec_lo, s7
	s_cbranch_vccz .LBB150_3064
; %bb.3025:
	s_cmp_gt_i32 s2, 22
	s_mov_b32 s3, -1
	s_cbranch_scc0 .LBB150_3057
; %bb.3026:
	s_cmp_lt_i32 s2, 24
	s_cbranch_scc1 .LBB150_3046
; %bb.3027:
	s_cmp_gt_i32 s2, 24
	s_cbranch_scc0 .LBB150_3035
; %bb.3028:
	s_wait_xcnt 0x0
	v_cndmask_b32_e64 v4, 0, 1.0, s10
	v_mov_b32_e32 v5, 0x80
	s_mov_b32 s3, exec_lo
	s_delay_alu instid0(VALU_DEP_2)
	v_cmpx_gt_u32_e32 0x47800000, v4
	s_cbranch_execz .LBB150_3034
; %bb.3029:
	s_mov_b32 s6, 0
	s_mov_b32 s7, exec_lo
                                        ; implicit-def: $vgpr1
	v_cmpx_lt_u32_e32 0x37ffffff, v4
	s_xor_b32 s7, exec_lo, s7
	s_cbranch_execz .LBB150_3200
; %bb.3030:
	v_bfe_u32 v1, v4, 21, 1
	s_mov_b32 s6, exec_lo
	s_delay_alu instid0(VALU_DEP_1) | instskip(NEXT) | instid1(VALU_DEP_1)
	v_add3_u32 v1, v4, v1, 0x88fffff
                                        ; implicit-def: $vgpr4
	v_lshrrev_b32_e32 v1, 21, v1
	s_and_not1_saveexec_b32 s7, s7
	s_cbranch_execnz .LBB150_3201
.LBB150_3031:
	s_or_b32 exec_lo, exec_lo, s7
	v_mov_b32_e32 v5, 0
	s_and_saveexec_b32 s7, s6
.LBB150_3032:
	v_mov_b32_e32 v5, v1
.LBB150_3033:
	s_or_b32 exec_lo, exec_lo, s7
.LBB150_3034:
	s_delay_alu instid0(SALU_CYCLE_1)
	s_or_b32 exec_lo, exec_lo, s3
	s_mov_b32 s3, 0
	global_store_b8 v[2:3], v5, off
.LBB150_3035:
	s_and_b32 vcc_lo, exec_lo, s3
	s_cbranch_vccz .LBB150_3045
; %bb.3036:
	s_wait_xcnt 0x0
	v_cndmask_b32_e64 v4, 0, 1.0, s10
	s_mov_b32 s3, exec_lo
                                        ; implicit-def: $vgpr1
	s_delay_alu instid0(VALU_DEP_1)
	v_cmpx_gt_u32_e32 0x43f00000, v4
	s_xor_b32 s3, exec_lo, s3
	s_cbranch_execz .LBB150_3042
; %bb.3037:
	s_mov_b32 s6, exec_lo
                                        ; implicit-def: $vgpr1
	v_cmpx_lt_u32_e32 0x3c7fffff, v4
	s_xor_b32 s6, exec_lo, s6
; %bb.3038:
	v_bfe_u32 v1, v4, 20, 1
	s_delay_alu instid0(VALU_DEP_1) | instskip(NEXT) | instid1(VALU_DEP_1)
	v_add3_u32 v1, v4, v1, 0x407ffff
	v_and_b32_e32 v4, 0xff00000, v1
	v_lshrrev_b32_e32 v1, 20, v1
	s_delay_alu instid0(VALU_DEP_2) | instskip(NEXT) | instid1(VALU_DEP_2)
	v_cmp_ne_u32_e32 vcc_lo, 0x7f00000, v4
                                        ; implicit-def: $vgpr4
	v_cndmask_b32_e32 v1, 0x7e, v1, vcc_lo
; %bb.3039:
	s_and_not1_saveexec_b32 s6, s6
; %bb.3040:
	v_add_f32_e32 v1, 0x46800000, v4
; %bb.3041:
	s_or_b32 exec_lo, exec_lo, s6
                                        ; implicit-def: $vgpr4
.LBB150_3042:
	s_and_not1_saveexec_b32 s3, s3
; %bb.3043:
	v_mov_b32_e32 v1, 0x7f
	v_cmp_lt_u32_e32 vcc_lo, 0x7f800000, v4
	s_delay_alu instid0(VALU_DEP_2)
	v_cndmask_b32_e32 v1, 0x7e, v1, vcc_lo
; %bb.3044:
	s_or_b32 exec_lo, exec_lo, s3
	global_store_b8 v[2:3], v1, off
.LBB150_3045:
	s_mov_b32 s3, 0
.LBB150_3046:
	s_delay_alu instid0(SALU_CYCLE_1)
	s_and_not1_b32 vcc_lo, exec_lo, s3
	s_cbranch_vccnz .LBB150_3056
; %bb.3047:
	s_wait_xcnt 0x0
	v_cndmask_b32_e64 v4, 0, 1.0, s10
	s_mov_b32 s3, exec_lo
                                        ; implicit-def: $vgpr1
	s_delay_alu instid0(VALU_DEP_1)
	v_cmpx_gt_u32_e32 0x47800000, v4
	s_xor_b32 s3, exec_lo, s3
	s_cbranch_execz .LBB150_3053
; %bb.3048:
	s_mov_b32 s6, exec_lo
                                        ; implicit-def: $vgpr1
	v_cmpx_lt_u32_e32 0x387fffff, v4
	s_xor_b32 s6, exec_lo, s6
; %bb.3049:
	v_bfe_u32 v1, v4, 21, 1
	s_delay_alu instid0(VALU_DEP_1) | instskip(NEXT) | instid1(VALU_DEP_1)
	v_add3_u32 v1, v4, v1, 0x80fffff
                                        ; implicit-def: $vgpr4
	v_lshrrev_b32_e32 v1, 21, v1
; %bb.3050:
	s_and_not1_saveexec_b32 s6, s6
; %bb.3051:
	v_add_f32_e32 v1, 0x43000000, v4
; %bb.3052:
	s_or_b32 exec_lo, exec_lo, s6
                                        ; implicit-def: $vgpr4
.LBB150_3053:
	s_and_not1_saveexec_b32 s3, s3
; %bb.3054:
	v_mov_b32_e32 v1, 0x7f
	v_cmp_lt_u32_e32 vcc_lo, 0x7f800000, v4
	s_delay_alu instid0(VALU_DEP_2)
	v_cndmask_b32_e32 v1, 0x7c, v1, vcc_lo
; %bb.3055:
	s_or_b32 exec_lo, exec_lo, s3
	global_store_b8 v[2:3], v1, off
.LBB150_3056:
	s_mov_b32 s3, 0
	s_mov_b32 s6, -1
.LBB150_3057:
	s_and_not1_b32 vcc_lo, exec_lo, s3
	s_mov_b32 s3, 0
	s_cbranch_vccnz .LBB150_3064
; %bb.3058:
	s_cmp_gt_i32 s2, 14
	s_mov_b32 s3, -1
	s_cbranch_scc0 .LBB150_3062
; %bb.3059:
	s_cmp_eq_u32 s2, 15
	s_mov_b32 s0, -1
	s_cbranch_scc0 .LBB150_3061
; %bb.3060:
	s_wait_xcnt 0x0
	v_cndmask_b32_e64 v1, 0, 1.0, s10
	s_mov_b32 s0, 0
	s_mov_b32 s6, -1
	s_delay_alu instid0(VALU_DEP_1) | instskip(NEXT) | instid1(VALU_DEP_1)
	v_bfe_u32 v4, v1, 16, 1
	v_add3_u32 v1, v1, v4, 0x7fff
	global_store_d16_hi_b16 v[2:3], v1, off
.LBB150_3061:
	s_mov_b32 s3, 0
.LBB150_3062:
	s_delay_alu instid0(SALU_CYCLE_1)
	s_and_b32 vcc_lo, exec_lo, s3
	s_mov_b32 s3, 0
	s_cbranch_vccz .LBB150_3064
; %bb.3063:
	s_cmp_lg_u32 s2, 11
	s_mov_b32 s3, -1
	s_cselect_b32 s0, -1, 0
.LBB150_3064:
	s_delay_alu instid0(SALU_CYCLE_1)
	s_and_b32 vcc_lo, exec_lo, s0
	s_cbranch_vccnz .LBB150_3199
; %bb.3065:
	s_and_not1_b32 vcc_lo, exec_lo, s3
	s_cbranch_vccnz .LBB150_3067
.LBB150_3066:
	s_wait_xcnt 0x0
	v_cndmask_b32_e64 v1, 0, 1, s10
	s_mov_b32 s6, -1
	global_store_b8 v[2:3], v1, off
.LBB150_3067:
	s_mov_b32 s0, 0
	s_branch .LBB150_3069
.LBB150_3068:
	s_mov_b32 s0, -1
	s_mov_b32 s6, 0
.LBB150_3069:
	s_and_b32 vcc_lo, exec_lo, s0
	s_cbranch_vccz .LBB150_3108
; %bb.3070:
	s_and_b32 s0, 0xffff, s18
	s_mov_b32 s2, -1
	s_cmp_lt_i32 s0, 5
	s_cbranch_scc1 .LBB150_3091
; %bb.3071:
	s_cmp_lt_i32 s0, 8
	s_cbranch_scc1 .LBB150_3081
; %bb.3072:
	;; [unrolled: 3-line block ×3, first 2 shown]
	s_cmp_gt_i32 s0, 9
	s_cbranch_scc0 .LBB150_3075
; %bb.3074:
	s_wait_xcnt 0x0
	v_cndmask_b32_e64 v1, 0, 1, s10
	v_mov_b32_e32 v6, 0
	s_mov_b32 s2, 0
	s_delay_alu instid0(VALU_DEP_2) | instskip(NEXT) | instid1(VALU_DEP_2)
	v_cvt_f64_u32_e32 v[4:5], v1
	v_mov_b32_e32 v7, v6
	global_store_b128 v[2:3], v[4:7], off
.LBB150_3075:
	s_and_not1_b32 vcc_lo, exec_lo, s2
	s_cbranch_vccnz .LBB150_3077
; %bb.3076:
	s_wait_xcnt 0x0
	v_cndmask_b32_e64 v4, 0, 1.0, s10
	v_mov_b32_e32 v5, 0
	global_store_b64 v[2:3], v[4:5], off
.LBB150_3077:
	s_mov_b32 s2, 0
.LBB150_3078:
	s_delay_alu instid0(SALU_CYCLE_1)
	s_and_not1_b32 vcc_lo, exec_lo, s2
	s_cbranch_vccnz .LBB150_3080
; %bb.3079:
	s_wait_xcnt 0x0
	v_cndmask_b32_e64 v1, 0, 1.0, s10
	s_delay_alu instid0(VALU_DEP_1) | instskip(NEXT) | instid1(VALU_DEP_1)
	v_cvt_f16_f32_e32 v1, v1
	v_and_b32_e32 v1, 0xffff, v1
	global_store_b32 v[2:3], v1, off
.LBB150_3080:
	s_mov_b32 s2, 0
.LBB150_3081:
	s_delay_alu instid0(SALU_CYCLE_1)
	s_and_not1_b32 vcc_lo, exec_lo, s2
	s_cbranch_vccnz .LBB150_3090
; %bb.3082:
	s_cmp_lt_i32 s0, 6
	s_mov_b32 s2, -1
	s_cbranch_scc1 .LBB150_3088
; %bb.3083:
	s_cmp_gt_i32 s0, 6
	s_cbranch_scc0 .LBB150_3085
; %bb.3084:
	s_wait_xcnt 0x0
	v_cndmask_b32_e64 v1, 0, 1, s10
	s_mov_b32 s2, 0
	s_delay_alu instid0(VALU_DEP_1)
	v_cvt_f64_u32_e32 v[4:5], v1
	global_store_b64 v[2:3], v[4:5], off
.LBB150_3085:
	s_and_not1_b32 vcc_lo, exec_lo, s2
	s_cbranch_vccnz .LBB150_3087
; %bb.3086:
	s_wait_xcnt 0x0
	v_cndmask_b32_e64 v1, 0, 1.0, s10
	global_store_b32 v[2:3], v1, off
.LBB150_3087:
	s_mov_b32 s2, 0
.LBB150_3088:
	s_delay_alu instid0(SALU_CYCLE_1)
	s_and_not1_b32 vcc_lo, exec_lo, s2
	s_cbranch_vccnz .LBB150_3090
; %bb.3089:
	s_wait_xcnt 0x0
	v_cndmask_b32_e64 v1, 0, 1.0, s10
	s_delay_alu instid0(VALU_DEP_1)
	v_cvt_f16_f32_e32 v1, v1
	global_store_b16 v[2:3], v1, off
.LBB150_3090:
	s_mov_b32 s2, 0
.LBB150_3091:
	s_delay_alu instid0(SALU_CYCLE_1)
	s_and_not1_b32 vcc_lo, exec_lo, s2
	s_cbranch_vccnz .LBB150_3107
; %bb.3092:
	s_cmp_lt_i32 s0, 2
	s_mov_b32 s2, -1
	s_cbranch_scc1 .LBB150_3102
; %bb.3093:
	s_cmp_lt_i32 s0, 3
	s_cbranch_scc1 .LBB150_3099
; %bb.3094:
	s_cmp_gt_i32 s0, 3
	s_cbranch_scc0 .LBB150_3096
; %bb.3095:
	s_mov_b32 s2, 0
	s_wait_xcnt 0x0
	v_cndmask_b32_e64 v4, 0, 1, s10
	v_mov_b32_e32 v5, s2
	global_store_b64 v[2:3], v[4:5], off
.LBB150_3096:
	s_and_not1_b32 vcc_lo, exec_lo, s2
	s_cbranch_vccnz .LBB150_3098
; %bb.3097:
	s_wait_xcnt 0x0
	v_cndmask_b32_e64 v1, 0, 1, s10
	global_store_b32 v[2:3], v1, off
.LBB150_3098:
	s_mov_b32 s2, 0
.LBB150_3099:
	s_delay_alu instid0(SALU_CYCLE_1)
	s_and_not1_b32 vcc_lo, exec_lo, s2
	s_cbranch_vccnz .LBB150_3101
; %bb.3100:
	s_wait_xcnt 0x0
	v_cndmask_b32_e64 v1, 0, 1, s10
	global_store_b16 v[2:3], v1, off
.LBB150_3101:
	s_mov_b32 s2, 0
.LBB150_3102:
	s_delay_alu instid0(SALU_CYCLE_1)
	s_and_not1_b32 vcc_lo, exec_lo, s2
	s_cbranch_vccnz .LBB150_3107
; %bb.3103:
	s_wait_xcnt 0x0
	v_cndmask_b32_e64 v1, 0, 1, s10
	s_cmp_gt_i32 s0, 0
	s_mov_b32 s0, -1
	s_cbranch_scc0 .LBB150_3105
; %bb.3104:
	s_mov_b32 s0, 0
	global_store_b8 v[2:3], v1, off
.LBB150_3105:
	s_and_not1_b32 vcc_lo, exec_lo, s0
	s_cbranch_vccnz .LBB150_3107
; %bb.3106:
	global_store_b8 v[2:3], v1, off
.LBB150_3107:
	s_mov_b32 s6, -1
.LBB150_3108:
	s_delay_alu instid0(SALU_CYCLE_1)
	s_and_not1_b32 vcc_lo, exec_lo, s6
	s_cbranch_vccnz .LBB150_3185
; %bb.3109:
	v_add_nc_u32_e32 v0, s1, v0
	s_cmp_lt_i32 s18, 11
	s_wait_xcnt 0x0
	s_delay_alu instid0(VALU_DEP_1) | instskip(NEXT) | instid1(VALU_DEP_1)
	v_ashrrev_i32_e32 v1, 31, v0
	v_add_nc_u64_e32 v[0:1], s[4:5], v[0:1]
	s_cbranch_scc1 .LBB150_3186
; %bb.3110:
	s_and_b32 s1, 0xffff, s18
	s_mov_b32 s3, -1
	s_mov_b32 s2, 0
	s_cmp_gt_i32 s1, 25
	s_mov_b32 s0, 0
	s_cbranch_scc0 .LBB150_3143
; %bb.3111:
	s_cmp_gt_i32 s1, 28
	s_cbranch_scc0 .LBB150_3127
; %bb.3112:
	s_cmp_gt_i32 s1, 43
	;; [unrolled: 3-line block ×3, first 2 shown]
	s_cbranch_scc0 .LBB150_3117
; %bb.3114:
	s_cmp_eq_u32 s1, 46
	s_mov_b32 s0, -1
	s_cbranch_scc0 .LBB150_3116
; %bb.3115:
	v_cndmask_b32_e64 v2, 0, 1.0, s17
	s_mov_b32 s0, 0
	s_delay_alu instid0(VALU_DEP_1) | instskip(NEXT) | instid1(VALU_DEP_1)
	v_bfe_u32 v3, v2, 16, 1
	v_add3_u32 v2, v2, v3, 0x7fff
	s_delay_alu instid0(VALU_DEP_1)
	v_lshrrev_b32_e32 v2, 16, v2
	global_store_b32 v[0:1], v2, off
.LBB150_3116:
	s_mov_b32 s3, 0
.LBB150_3117:
	s_delay_alu instid0(SALU_CYCLE_1)
	s_and_b32 vcc_lo, exec_lo, s3
	s_cbranch_vccz .LBB150_3122
; %bb.3118:
	s_cmp_eq_u32 s1, 44
	s_mov_b32 s0, -1
	s_cbranch_scc0 .LBB150_3122
; %bb.3119:
	v_cndmask_b32_e64 v4, 0, 1.0, s17
	s_mov_b32 s3, exec_lo
	s_wait_xcnt 0x0
	s_delay_alu instid0(VALU_DEP_1) | instskip(NEXT) | instid1(VALU_DEP_1)
	v_dual_mov_b32 v3, 0xff :: v_dual_lshrrev_b32 v2, 23, v4
	v_cmpx_ne_u32_e32 0xff, v2
; %bb.3120:
	v_and_b32_e32 v3, 0x400000, v4
	v_and_or_b32 v4, 0x3fffff, v4, v2
	s_delay_alu instid0(VALU_DEP_2) | instskip(NEXT) | instid1(VALU_DEP_2)
	v_cmp_ne_u32_e32 vcc_lo, 0, v3
	v_cmp_ne_u32_e64 s0, 0, v4
	s_and_b32 s0, vcc_lo, s0
	s_delay_alu instid0(SALU_CYCLE_1) | instskip(NEXT) | instid1(VALU_DEP_1)
	v_cndmask_b32_e64 v3, 0, 1, s0
	v_add_nc_u32_e32 v3, v2, v3
; %bb.3121:
	s_or_b32 exec_lo, exec_lo, s3
	s_mov_b32 s0, 0
	global_store_b8 v[0:1], v3, off
.LBB150_3122:
	s_mov_b32 s3, 0
.LBB150_3123:
	s_delay_alu instid0(SALU_CYCLE_1)
	s_and_b32 vcc_lo, exec_lo, s3
	s_cbranch_vccz .LBB150_3126
; %bb.3124:
	s_cmp_eq_u32 s1, 29
	s_mov_b32 s0, -1
	s_cbranch_scc0 .LBB150_3126
; %bb.3125:
	s_mov_b32 s0, 0
	s_wait_xcnt 0x0
	v_cndmask_b32_e64 v2, 0, 1, s17
	v_mov_b32_e32 v3, s0
	global_store_b64 v[0:1], v[2:3], off
.LBB150_3126:
	s_mov_b32 s3, 0
.LBB150_3127:
	s_delay_alu instid0(SALU_CYCLE_1)
	s_and_b32 vcc_lo, exec_lo, s3
	s_cbranch_vccz .LBB150_3142
; %bb.3128:
	s_cmp_lt_i32 s1, 27
	s_mov_b32 s3, -1
	s_cbranch_scc1 .LBB150_3134
; %bb.3129:
	s_wait_xcnt 0x0
	v_cndmask_b32_e64 v2, 0, 1, s17
	s_cmp_gt_i32 s1, 27
	s_cbranch_scc0 .LBB150_3131
; %bb.3130:
	s_mov_b32 s3, 0
	global_store_b32 v[0:1], v2, off
.LBB150_3131:
	s_and_not1_b32 vcc_lo, exec_lo, s3
	s_cbranch_vccnz .LBB150_3133
; %bb.3132:
	global_store_b16 v[0:1], v2, off
.LBB150_3133:
	s_mov_b32 s3, 0
.LBB150_3134:
	s_delay_alu instid0(SALU_CYCLE_1)
	s_and_not1_b32 vcc_lo, exec_lo, s3
	s_cbranch_vccnz .LBB150_3142
; %bb.3135:
	s_wait_xcnt 0x0
	v_cndmask_b32_e64 v3, 0, 1.0, s17
	v_mov_b32_e32 v4, 0x80
	s_mov_b32 s3, exec_lo
	s_delay_alu instid0(VALU_DEP_2)
	v_cmpx_gt_u32_e32 0x43800000, v3
	s_cbranch_execz .LBB150_3141
; %bb.3136:
	s_mov_b32 s4, 0
	s_mov_b32 s5, exec_lo
                                        ; implicit-def: $vgpr2
	v_cmpx_lt_u32_e32 0x3bffffff, v3
	s_xor_b32 s5, exec_lo, s5
	s_cbranch_execz .LBB150_3202
; %bb.3137:
	v_bfe_u32 v2, v3, 20, 1
	s_mov_b32 s4, exec_lo
	s_delay_alu instid0(VALU_DEP_1) | instskip(NEXT) | instid1(VALU_DEP_1)
	v_add3_u32 v2, v3, v2, 0x487ffff
                                        ; implicit-def: $vgpr3
	v_lshrrev_b32_e32 v2, 20, v2
	s_and_not1_saveexec_b32 s5, s5
	s_cbranch_execnz .LBB150_3203
.LBB150_3138:
	s_or_b32 exec_lo, exec_lo, s5
	v_mov_b32_e32 v4, 0
	s_and_saveexec_b32 s5, s4
.LBB150_3139:
	v_mov_b32_e32 v4, v2
.LBB150_3140:
	s_or_b32 exec_lo, exec_lo, s5
.LBB150_3141:
	s_delay_alu instid0(SALU_CYCLE_1)
	s_or_b32 exec_lo, exec_lo, s3
	global_store_b8 v[0:1], v4, off
.LBB150_3142:
	s_mov_b32 s3, 0
.LBB150_3143:
	s_delay_alu instid0(SALU_CYCLE_1)
	s_and_b32 vcc_lo, exec_lo, s3
	s_cbranch_vccz .LBB150_3183
; %bb.3144:
	s_cmp_gt_i32 s1, 22
	s_mov_b32 s2, -1
	s_cbranch_scc0 .LBB150_3176
; %bb.3145:
	s_cmp_lt_i32 s1, 24
	s_cbranch_scc1 .LBB150_3165
; %bb.3146:
	s_cmp_gt_i32 s1, 24
	s_cbranch_scc0 .LBB150_3154
; %bb.3147:
	s_wait_xcnt 0x0
	v_cndmask_b32_e64 v3, 0, 1.0, s17
	v_mov_b32_e32 v4, 0x80
	s_mov_b32 s2, exec_lo
	s_delay_alu instid0(VALU_DEP_2)
	v_cmpx_gt_u32_e32 0x47800000, v3
	s_cbranch_execz .LBB150_3153
; %bb.3148:
	s_mov_b32 s3, 0
	s_mov_b32 s4, exec_lo
                                        ; implicit-def: $vgpr2
	v_cmpx_lt_u32_e32 0x37ffffff, v3
	s_xor_b32 s4, exec_lo, s4
	s_cbranch_execz .LBB150_3205
; %bb.3149:
	v_bfe_u32 v2, v3, 21, 1
	s_mov_b32 s3, exec_lo
	s_delay_alu instid0(VALU_DEP_1) | instskip(NEXT) | instid1(VALU_DEP_1)
	v_add3_u32 v2, v3, v2, 0x88fffff
                                        ; implicit-def: $vgpr3
	v_lshrrev_b32_e32 v2, 21, v2
	s_and_not1_saveexec_b32 s4, s4
	s_cbranch_execnz .LBB150_3206
.LBB150_3150:
	s_or_b32 exec_lo, exec_lo, s4
	v_mov_b32_e32 v4, 0
	s_and_saveexec_b32 s4, s3
.LBB150_3151:
	v_mov_b32_e32 v4, v2
.LBB150_3152:
	s_or_b32 exec_lo, exec_lo, s4
.LBB150_3153:
	s_delay_alu instid0(SALU_CYCLE_1)
	s_or_b32 exec_lo, exec_lo, s2
	s_mov_b32 s2, 0
	global_store_b8 v[0:1], v4, off
.LBB150_3154:
	s_and_b32 vcc_lo, exec_lo, s2
	s_cbranch_vccz .LBB150_3164
; %bb.3155:
	s_wait_xcnt 0x0
	v_cndmask_b32_e64 v3, 0, 1.0, s17
	s_mov_b32 s2, exec_lo
                                        ; implicit-def: $vgpr2
	s_delay_alu instid0(VALU_DEP_1)
	v_cmpx_gt_u32_e32 0x43f00000, v3
	s_xor_b32 s2, exec_lo, s2
	s_cbranch_execz .LBB150_3161
; %bb.3156:
	s_mov_b32 s3, exec_lo
                                        ; implicit-def: $vgpr2
	v_cmpx_lt_u32_e32 0x3c7fffff, v3
	s_xor_b32 s3, exec_lo, s3
; %bb.3157:
	v_bfe_u32 v2, v3, 20, 1
	s_delay_alu instid0(VALU_DEP_1) | instskip(NEXT) | instid1(VALU_DEP_1)
	v_add3_u32 v2, v3, v2, 0x407ffff
	v_and_b32_e32 v3, 0xff00000, v2
	v_lshrrev_b32_e32 v2, 20, v2
	s_delay_alu instid0(VALU_DEP_2) | instskip(NEXT) | instid1(VALU_DEP_2)
	v_cmp_ne_u32_e32 vcc_lo, 0x7f00000, v3
                                        ; implicit-def: $vgpr3
	v_cndmask_b32_e32 v2, 0x7e, v2, vcc_lo
; %bb.3158:
	s_and_not1_saveexec_b32 s3, s3
; %bb.3159:
	v_add_f32_e32 v2, 0x46800000, v3
; %bb.3160:
	s_or_b32 exec_lo, exec_lo, s3
                                        ; implicit-def: $vgpr3
.LBB150_3161:
	s_and_not1_saveexec_b32 s2, s2
; %bb.3162:
	v_mov_b32_e32 v2, 0x7f
	v_cmp_lt_u32_e32 vcc_lo, 0x7f800000, v3
	s_delay_alu instid0(VALU_DEP_2)
	v_cndmask_b32_e32 v2, 0x7e, v2, vcc_lo
; %bb.3163:
	s_or_b32 exec_lo, exec_lo, s2
	global_store_b8 v[0:1], v2, off
.LBB150_3164:
	s_mov_b32 s2, 0
.LBB150_3165:
	s_delay_alu instid0(SALU_CYCLE_1)
	s_and_not1_b32 vcc_lo, exec_lo, s2
	s_cbranch_vccnz .LBB150_3175
; %bb.3166:
	s_wait_xcnt 0x0
	v_cndmask_b32_e64 v3, 0, 1.0, s17
	s_mov_b32 s2, exec_lo
                                        ; implicit-def: $vgpr2
	s_delay_alu instid0(VALU_DEP_1)
	v_cmpx_gt_u32_e32 0x47800000, v3
	s_xor_b32 s2, exec_lo, s2
	s_cbranch_execz .LBB150_3172
; %bb.3167:
	s_mov_b32 s3, exec_lo
                                        ; implicit-def: $vgpr2
	v_cmpx_lt_u32_e32 0x387fffff, v3
	s_xor_b32 s3, exec_lo, s3
; %bb.3168:
	v_bfe_u32 v2, v3, 21, 1
	s_delay_alu instid0(VALU_DEP_1) | instskip(NEXT) | instid1(VALU_DEP_1)
	v_add3_u32 v2, v3, v2, 0x80fffff
                                        ; implicit-def: $vgpr3
	v_lshrrev_b32_e32 v2, 21, v2
; %bb.3169:
	s_and_not1_saveexec_b32 s3, s3
; %bb.3170:
	v_add_f32_e32 v2, 0x43000000, v3
; %bb.3171:
	s_or_b32 exec_lo, exec_lo, s3
                                        ; implicit-def: $vgpr3
.LBB150_3172:
	s_and_not1_saveexec_b32 s2, s2
; %bb.3173:
	v_mov_b32_e32 v2, 0x7f
	v_cmp_lt_u32_e32 vcc_lo, 0x7f800000, v3
	s_delay_alu instid0(VALU_DEP_2)
	v_cndmask_b32_e32 v2, 0x7c, v2, vcc_lo
; %bb.3174:
	s_or_b32 exec_lo, exec_lo, s2
	global_store_b8 v[0:1], v2, off
.LBB150_3175:
	s_mov_b32 s2, 0
.LBB150_3176:
	s_delay_alu instid0(SALU_CYCLE_1)
	s_and_not1_b32 vcc_lo, exec_lo, s2
	s_mov_b32 s2, 0
	s_cbranch_vccnz .LBB150_3183
; %bb.3177:
	s_cmp_gt_i32 s1, 14
	s_mov_b32 s2, -1
	s_cbranch_scc0 .LBB150_3181
; %bb.3178:
	s_cmp_eq_u32 s1, 15
	s_mov_b32 s0, -1
	s_cbranch_scc0 .LBB150_3180
; %bb.3179:
	s_wait_xcnt 0x0
	v_cndmask_b32_e64 v2, 0, 1.0, s17
	s_mov_b32 s0, 0
	s_delay_alu instid0(VALU_DEP_1) | instskip(NEXT) | instid1(VALU_DEP_1)
	v_bfe_u32 v3, v2, 16, 1
	v_add3_u32 v2, v2, v3, 0x7fff
	global_store_d16_hi_b16 v[0:1], v2, off
.LBB150_3180:
	s_mov_b32 s2, 0
.LBB150_3181:
	s_delay_alu instid0(SALU_CYCLE_1)
	s_and_b32 vcc_lo, exec_lo, s2
	s_mov_b32 s2, 0
	s_cbranch_vccz .LBB150_3183
; %bb.3182:
	s_cmp_lg_u32 s1, 11
	s_mov_b32 s2, -1
	s_cselect_b32 s0, -1, 0
.LBB150_3183:
	s_delay_alu instid0(SALU_CYCLE_1)
	s_and_b32 vcc_lo, exec_lo, s0
	s_cbranch_vccnz .LBB150_3204
.LBB150_3184:
	s_mov_b32 s0, 0
	s_branch .LBB150_2705
.LBB150_3185:
	s_mov_b32 s0, 0
	s_mov_b32 s2, 0
	s_branch .LBB150_2704
.LBB150_3186:
	s_mov_b32 s2, 0
	s_mov_b32 s0, -1
	s_branch .LBB150_2705
.LBB150_3187:
	s_and_not1_saveexec_b32 s11, s11
	s_cbranch_execz .LBB150_2780
.LBB150_3188:
	v_add_f32_e32 v1, 0x46000000, v4
	s_and_not1_b32 s7, s7, exec_lo
	s_delay_alu instid0(VALU_DEP_1) | instskip(NEXT) | instid1(VALU_DEP_1)
	v_and_b32_e32 v1, 0xff, v1
	v_cmp_ne_u32_e32 vcc_lo, 0, v1
	s_and_b32 s12, vcc_lo, exec_lo
	s_delay_alu instid0(SALU_CYCLE_1)
	s_or_b32 s7, s7, s12
	s_or_b32 exec_lo, exec_lo, s11
	v_mov_b32_e32 v5, 0
	s_and_saveexec_b32 s11, s7
	s_cbranch_execnz .LBB150_2781
	s_branch .LBB150_2782
.LBB150_3189:
	s_or_b32 s13, s13, exec_lo
	s_trap 2
	s_cbranch_execz .LBB150_2828
	s_branch .LBB150_2829
.LBB150_3190:
	s_and_not1_saveexec_b32 s7, s7
	s_cbranch_execz .LBB150_2793
.LBB150_3191:
	v_add_f32_e32 v1, 0x42800000, v4
	s_and_not1_b32 s6, s6, exec_lo
	s_delay_alu instid0(VALU_DEP_1) | instskip(NEXT) | instid1(VALU_DEP_1)
	v_and_b32_e32 v1, 0xff, v1
	v_cmp_ne_u32_e32 vcc_lo, 0, v1
	s_and_b32 s11, vcc_lo, exec_lo
	s_delay_alu instid0(SALU_CYCLE_1)
	s_or_b32 s6, s6, s11
	s_or_b32 exec_lo, exec_lo, s7
	v_mov_b32_e32 v5, 0
	s_and_saveexec_b32 s7, s6
	s_cbranch_execnz .LBB150_2794
	s_branch .LBB150_2795
.LBB150_3192:
	s_and_not1_saveexec_b32 s8, s8
	s_cbranch_execz .LBB150_2899
.LBB150_3193:
	v_add_f32_e32 v1, 0x46000000, v4
	s_and_not1_b32 s7, s7, exec_lo
	s_delay_alu instid0(VALU_DEP_1) | instskip(NEXT) | instid1(VALU_DEP_1)
	v_and_b32_e32 v1, 0xff, v1
	v_cmp_ne_u32_e32 vcc_lo, 0, v1
	s_and_b32 s11, vcc_lo, exec_lo
	s_delay_alu instid0(SALU_CYCLE_1)
	s_or_b32 s7, s7, s11
	s_or_b32 exec_lo, exec_lo, s8
	v_mov_b32_e32 v5, 0
	s_and_saveexec_b32 s8, s7
	s_cbranch_execnz .LBB150_2900
	s_branch .LBB150_2901
.LBB150_3194:
	s_or_b32 s13, s13, exec_lo
	s_trap 2
	s_cbranch_execz .LBB150_2947
	s_branch .LBB150_2948
.LBB150_3195:
	s_and_not1_saveexec_b32 s7, s7
	s_cbranch_execz .LBB150_2912
.LBB150_3196:
	v_add_f32_e32 v1, 0x42800000, v4
	s_and_not1_b32 s6, s6, exec_lo
	s_delay_alu instid0(VALU_DEP_1) | instskip(NEXT) | instid1(VALU_DEP_1)
	v_and_b32_e32 v1, 0xff, v1
	v_cmp_ne_u32_e32 vcc_lo, 0, v1
	s_and_b32 s8, vcc_lo, exec_lo
	s_delay_alu instid0(SALU_CYCLE_1)
	s_or_b32 s6, s6, s8
	s_or_b32 exec_lo, exec_lo, s7
	v_mov_b32_e32 v5, 0
	s_and_saveexec_b32 s7, s6
	s_cbranch_execnz .LBB150_2913
	s_branch .LBB150_2914
.LBB150_3197:
	s_and_not1_saveexec_b32 s8, s8
	s_cbranch_execz .LBB150_3018
.LBB150_3198:
	v_add_f32_e32 v1, 0x46000000, v4
	s_and_not1_b32 s7, s7, exec_lo
	s_delay_alu instid0(VALU_DEP_1) | instskip(NEXT) | instid1(VALU_DEP_1)
	v_and_b32_e32 v1, 0xff, v1
	v_cmp_ne_u32_e32 vcc_lo, 0, v1
	s_and_b32 s9, vcc_lo, exec_lo
	s_delay_alu instid0(SALU_CYCLE_1)
	s_or_b32 s7, s7, s9
	s_or_b32 exec_lo, exec_lo, s8
	v_mov_b32_e32 v5, 0
	s_and_saveexec_b32 s8, s7
	s_cbranch_execnz .LBB150_3019
	s_branch .LBB150_3020
.LBB150_3199:
	s_or_b32 s13, s13, exec_lo
	s_trap 2
	s_cbranch_execz .LBB150_3066
	s_branch .LBB150_3067
.LBB150_3200:
	s_and_not1_saveexec_b32 s7, s7
	s_cbranch_execz .LBB150_3031
.LBB150_3201:
	v_add_f32_e32 v1, 0x42800000, v4
	s_and_not1_b32 s6, s6, exec_lo
	s_delay_alu instid0(VALU_DEP_1) | instskip(NEXT) | instid1(VALU_DEP_1)
	v_and_b32_e32 v1, 0xff, v1
	v_cmp_ne_u32_e32 vcc_lo, 0, v1
	s_and_b32 s8, vcc_lo, exec_lo
	s_delay_alu instid0(SALU_CYCLE_1)
	s_or_b32 s6, s6, s8
	s_or_b32 exec_lo, exec_lo, s7
	v_mov_b32_e32 v5, 0
	s_and_saveexec_b32 s7, s6
	s_cbranch_execnz .LBB150_3032
	s_branch .LBB150_3033
.LBB150_3202:
	s_and_not1_saveexec_b32 s5, s5
	s_cbranch_execz .LBB150_3138
.LBB150_3203:
	v_add_f32_e32 v2, 0x46000000, v3
	s_and_not1_b32 s4, s4, exec_lo
	s_delay_alu instid0(VALU_DEP_1) | instskip(NEXT) | instid1(VALU_DEP_1)
	v_and_b32_e32 v2, 0xff, v2
	v_cmp_ne_u32_e32 vcc_lo, 0, v2
	s_and_b32 s6, vcc_lo, exec_lo
	s_delay_alu instid0(SALU_CYCLE_1)
	s_or_b32 s4, s4, s6
	s_or_b32 exec_lo, exec_lo, s5
	v_mov_b32_e32 v4, 0
	s_and_saveexec_b32 s5, s4
	s_cbranch_execnz .LBB150_3139
	s_branch .LBB150_3140
.LBB150_3204:
	s_mov_b32 s2, 0
	s_or_b32 s13, s13, exec_lo
	s_trap 2
	s_branch .LBB150_3184
.LBB150_3205:
	s_and_not1_saveexec_b32 s4, s4
	s_cbranch_execz .LBB150_3150
.LBB150_3206:
	v_add_f32_e32 v2, 0x42800000, v3
	s_and_not1_b32 s3, s3, exec_lo
	s_delay_alu instid0(VALU_DEP_1) | instskip(NEXT) | instid1(VALU_DEP_1)
	v_and_b32_e32 v2, 0xff, v2
	v_cmp_ne_u32_e32 vcc_lo, 0, v2
	s_and_b32 s5, vcc_lo, exec_lo
	s_delay_alu instid0(SALU_CYCLE_1)
	s_or_b32 s3, s3, s5
	s_or_b32 exec_lo, exec_lo, s4
	v_mov_b32_e32 v4, 0
	s_and_saveexec_b32 s4, s3
	s_cbranch_execnz .LBB150_3151
	s_branch .LBB150_3152
	.section	.rodata,"a",@progbits
	.p2align	6, 0x0
	.amdhsa_kernel _ZN2at6native32elementwise_kernel_manual_unrollILi128ELi4EZNS0_15gpu_kernel_implINS0_13BinaryFunctorIN3c107complexINS4_4HalfEEES7_bNS0_12_GLOBAL__N_116CompareEqFunctorIS7_EEEEEEvRNS_18TensorIteratorBaseERKT_EUlibE_EEviT1_
		.amdhsa_group_segment_fixed_size 0
		.amdhsa_private_segment_fixed_size 0
		.amdhsa_kernarg_size 56
		.amdhsa_user_sgpr_count 2
		.amdhsa_user_sgpr_dispatch_ptr 0
		.amdhsa_user_sgpr_queue_ptr 0
		.amdhsa_user_sgpr_kernarg_segment_ptr 1
		.amdhsa_user_sgpr_dispatch_id 0
		.amdhsa_user_sgpr_kernarg_preload_length 0
		.amdhsa_user_sgpr_kernarg_preload_offset 0
		.amdhsa_user_sgpr_private_segment_size 0
		.amdhsa_wavefront_size32 1
		.amdhsa_uses_dynamic_stack 0
		.amdhsa_enable_private_segment 0
		.amdhsa_system_sgpr_workgroup_id_x 1
		.amdhsa_system_sgpr_workgroup_id_y 0
		.amdhsa_system_sgpr_workgroup_id_z 0
		.amdhsa_system_sgpr_workgroup_info 0
		.amdhsa_system_vgpr_workitem_id 0
		.amdhsa_next_free_vgpr 20
		.amdhsa_next_free_sgpr 37
		.amdhsa_named_barrier_count 0
		.amdhsa_reserve_vcc 1
		.amdhsa_float_round_mode_32 0
		.amdhsa_float_round_mode_16_64 0
		.amdhsa_float_denorm_mode_32 3
		.amdhsa_float_denorm_mode_16_64 3
		.amdhsa_fp16_overflow 0
		.amdhsa_memory_ordered 1
		.amdhsa_forward_progress 1
		.amdhsa_inst_pref_size 255
		.amdhsa_round_robin_scheduling 0
		.amdhsa_exception_fp_ieee_invalid_op 0
		.amdhsa_exception_fp_denorm_src 0
		.amdhsa_exception_fp_ieee_div_zero 0
		.amdhsa_exception_fp_ieee_overflow 0
		.amdhsa_exception_fp_ieee_underflow 0
		.amdhsa_exception_fp_ieee_inexact 0
		.amdhsa_exception_int_div_zero 0
	.end_amdhsa_kernel
	.section	.text._ZN2at6native32elementwise_kernel_manual_unrollILi128ELi4EZNS0_15gpu_kernel_implINS0_13BinaryFunctorIN3c107complexINS4_4HalfEEES7_bNS0_12_GLOBAL__N_116CompareEqFunctorIS7_EEEEEEvRNS_18TensorIteratorBaseERKT_EUlibE_EEviT1_,"axG",@progbits,_ZN2at6native32elementwise_kernel_manual_unrollILi128ELi4EZNS0_15gpu_kernel_implINS0_13BinaryFunctorIN3c107complexINS4_4HalfEEES7_bNS0_12_GLOBAL__N_116CompareEqFunctorIS7_EEEEEEvRNS_18TensorIteratorBaseERKT_EUlibE_EEviT1_,comdat
.Lfunc_end150:
	.size	_ZN2at6native32elementwise_kernel_manual_unrollILi128ELi4EZNS0_15gpu_kernel_implINS0_13BinaryFunctorIN3c107complexINS4_4HalfEEES7_bNS0_12_GLOBAL__N_116CompareEqFunctorIS7_EEEEEEvRNS_18TensorIteratorBaseERKT_EUlibE_EEviT1_, .Lfunc_end150-_ZN2at6native32elementwise_kernel_manual_unrollILi128ELi4EZNS0_15gpu_kernel_implINS0_13BinaryFunctorIN3c107complexINS4_4HalfEEES7_bNS0_12_GLOBAL__N_116CompareEqFunctorIS7_EEEEEEvRNS_18TensorIteratorBaseERKT_EUlibE_EEviT1_
                                        ; -- End function
	.set _ZN2at6native32elementwise_kernel_manual_unrollILi128ELi4EZNS0_15gpu_kernel_implINS0_13BinaryFunctorIN3c107complexINS4_4HalfEEES7_bNS0_12_GLOBAL__N_116CompareEqFunctorIS7_EEEEEEvRNS_18TensorIteratorBaseERKT_EUlibE_EEviT1_.num_vgpr, 20
	.set _ZN2at6native32elementwise_kernel_manual_unrollILi128ELi4EZNS0_15gpu_kernel_implINS0_13BinaryFunctorIN3c107complexINS4_4HalfEEES7_bNS0_12_GLOBAL__N_116CompareEqFunctorIS7_EEEEEEvRNS_18TensorIteratorBaseERKT_EUlibE_EEviT1_.num_agpr, 0
	.set _ZN2at6native32elementwise_kernel_manual_unrollILi128ELi4EZNS0_15gpu_kernel_implINS0_13BinaryFunctorIN3c107complexINS4_4HalfEEES7_bNS0_12_GLOBAL__N_116CompareEqFunctorIS7_EEEEEEvRNS_18TensorIteratorBaseERKT_EUlibE_EEviT1_.numbered_sgpr, 37
	.set _ZN2at6native32elementwise_kernel_manual_unrollILi128ELi4EZNS0_15gpu_kernel_implINS0_13BinaryFunctorIN3c107complexINS4_4HalfEEES7_bNS0_12_GLOBAL__N_116CompareEqFunctorIS7_EEEEEEvRNS_18TensorIteratorBaseERKT_EUlibE_EEviT1_.num_named_barrier, 0
	.set _ZN2at6native32elementwise_kernel_manual_unrollILi128ELi4EZNS0_15gpu_kernel_implINS0_13BinaryFunctorIN3c107complexINS4_4HalfEEES7_bNS0_12_GLOBAL__N_116CompareEqFunctorIS7_EEEEEEvRNS_18TensorIteratorBaseERKT_EUlibE_EEviT1_.private_seg_size, 0
	.set _ZN2at6native32elementwise_kernel_manual_unrollILi128ELi4EZNS0_15gpu_kernel_implINS0_13BinaryFunctorIN3c107complexINS4_4HalfEEES7_bNS0_12_GLOBAL__N_116CompareEqFunctorIS7_EEEEEEvRNS_18TensorIteratorBaseERKT_EUlibE_EEviT1_.uses_vcc, 1
	.set _ZN2at6native32elementwise_kernel_manual_unrollILi128ELi4EZNS0_15gpu_kernel_implINS0_13BinaryFunctorIN3c107complexINS4_4HalfEEES7_bNS0_12_GLOBAL__N_116CompareEqFunctorIS7_EEEEEEvRNS_18TensorIteratorBaseERKT_EUlibE_EEviT1_.uses_flat_scratch, 0
	.set _ZN2at6native32elementwise_kernel_manual_unrollILi128ELi4EZNS0_15gpu_kernel_implINS0_13BinaryFunctorIN3c107complexINS4_4HalfEEES7_bNS0_12_GLOBAL__N_116CompareEqFunctorIS7_EEEEEEvRNS_18TensorIteratorBaseERKT_EUlibE_EEviT1_.has_dyn_sized_stack, 0
	.set _ZN2at6native32elementwise_kernel_manual_unrollILi128ELi4EZNS0_15gpu_kernel_implINS0_13BinaryFunctorIN3c107complexINS4_4HalfEEES7_bNS0_12_GLOBAL__N_116CompareEqFunctorIS7_EEEEEEvRNS_18TensorIteratorBaseERKT_EUlibE_EEviT1_.has_recursion, 0
	.set _ZN2at6native32elementwise_kernel_manual_unrollILi128ELi4EZNS0_15gpu_kernel_implINS0_13BinaryFunctorIN3c107complexINS4_4HalfEEES7_bNS0_12_GLOBAL__N_116CompareEqFunctorIS7_EEEEEEvRNS_18TensorIteratorBaseERKT_EUlibE_EEviT1_.has_indirect_call, 0
	.section	.AMDGPU.csdata,"",@progbits
; Kernel info:
; codeLenInByte = 69536
; TotalNumSgprs: 39
; NumVgprs: 20
; ScratchSize: 0
; MemoryBound: 0
; FloatMode: 240
; IeeeMode: 1
; LDSByteSize: 0 bytes/workgroup (compile time only)
; SGPRBlocks: 0
; VGPRBlocks: 1
; NumSGPRsForWavesPerEU: 39
; NumVGPRsForWavesPerEU: 20
; NamedBarCnt: 0
; Occupancy: 16
; WaveLimiterHint : 0
; COMPUTE_PGM_RSRC2:SCRATCH_EN: 0
; COMPUTE_PGM_RSRC2:USER_SGPR: 2
; COMPUTE_PGM_RSRC2:TRAP_HANDLER: 0
; COMPUTE_PGM_RSRC2:TGID_X_EN: 1
; COMPUTE_PGM_RSRC2:TGID_Y_EN: 0
; COMPUTE_PGM_RSRC2:TGID_Z_EN: 0
; COMPUTE_PGM_RSRC2:TIDIG_COMP_CNT: 0
	.section	.text._ZN2at6native32elementwise_kernel_manual_unrollILi128ELi4EZNS0_15gpu_kernel_implINS0_13BinaryFunctorIN3c107complexINS4_4HalfEEES7_bNS0_12_GLOBAL__N_116CompareEqFunctorIS7_EEEEEEvRNS_18TensorIteratorBaseERKT_EUlibE0_EEviT1_,"axG",@progbits,_ZN2at6native32elementwise_kernel_manual_unrollILi128ELi4EZNS0_15gpu_kernel_implINS0_13BinaryFunctorIN3c107complexINS4_4HalfEEES7_bNS0_12_GLOBAL__N_116CompareEqFunctorIS7_EEEEEEvRNS_18TensorIteratorBaseERKT_EUlibE0_EEviT1_,comdat
	.globl	_ZN2at6native32elementwise_kernel_manual_unrollILi128ELi4EZNS0_15gpu_kernel_implINS0_13BinaryFunctorIN3c107complexINS4_4HalfEEES7_bNS0_12_GLOBAL__N_116CompareEqFunctorIS7_EEEEEEvRNS_18TensorIteratorBaseERKT_EUlibE0_EEviT1_ ; -- Begin function _ZN2at6native32elementwise_kernel_manual_unrollILi128ELi4EZNS0_15gpu_kernel_implINS0_13BinaryFunctorIN3c107complexINS4_4HalfEEES7_bNS0_12_GLOBAL__N_116CompareEqFunctorIS7_EEEEEEvRNS_18TensorIteratorBaseERKT_EUlibE0_EEviT1_
	.p2align	8
	.type	_ZN2at6native32elementwise_kernel_manual_unrollILi128ELi4EZNS0_15gpu_kernel_implINS0_13BinaryFunctorIN3c107complexINS4_4HalfEEES7_bNS0_12_GLOBAL__N_116CompareEqFunctorIS7_EEEEEEvRNS_18TensorIteratorBaseERKT_EUlibE0_EEviT1_,@function
_ZN2at6native32elementwise_kernel_manual_unrollILi128ELi4EZNS0_15gpu_kernel_implINS0_13BinaryFunctorIN3c107complexINS4_4HalfEEES7_bNS0_12_GLOBAL__N_116CompareEqFunctorIS7_EEEEEEvRNS_18TensorIteratorBaseERKT_EUlibE0_EEviT1_: ; @_ZN2at6native32elementwise_kernel_manual_unrollILi128ELi4EZNS0_15gpu_kernel_implINS0_13BinaryFunctorIN3c107complexINS4_4HalfEEES7_bNS0_12_GLOBAL__N_116CompareEqFunctorIS7_EEEEEEvRNS_18TensorIteratorBaseERKT_EUlibE0_EEviT1_
; %bb.0:
	s_clause 0x1
	s_load_b32 s28, s[0:1], 0x8
	s_load_b32 s37, s[0:1], 0x0
	s_bfe_u32 s2, ttmp6, 0x4000c
	s_and_b32 s3, ttmp6, 15
	s_add_co_i32 s2, s2, 1
	s_getreg_b32 s4, hwreg(HW_REG_IB_STS2, 6, 4)
	s_mul_i32 s2, ttmp9, s2
	s_mov_b32 s30, 0
	s_add_co_i32 s3, s3, s2
	s_cmp_eq_u32 s4, 0
	s_mov_b32 s43, -1
	s_cselect_b32 s2, ttmp9, s3
	s_mov_b32 s10, 0
	v_lshl_or_b32 v0, s2, 9, v0
	s_add_nc_u64 s[2:3], s[0:1], 8
	s_wait_xcnt 0x0
	s_mov_b32 s0, exec_lo
	s_delay_alu instid0(VALU_DEP_1) | instskip(SKIP_2) | instid1(SALU_CYCLE_1)
	v_or_b32_e32 v1, 0x180, v0
	s_wait_kmcnt 0x0
	s_add_co_i32 s29, s28, -1
	s_cmp_gt_u32 s29, 1
	s_cselect_b32 s31, -1, 0
	v_cmpx_le_i32_e64 s37, v1
	s_xor_b32 s33, exec_lo, s0
	s_cbranch_execz .LBB151_1650
; %bb.1:
	s_clause 0x4
	s_load_b128 s[12:15], s[2:3], 0x4
	s_load_b256 s[4:11], s[2:3], 0x188
	s_load_b64 s[0:1], s[2:3], 0x14
	s_load_b128 s[16:19], s[2:3], 0xc4
	s_load_b64 s[22:23], s[2:3], 0xd4
	s_cmp_lg_u32 s28, 0
	s_mov_b32 s21, 0
	s_cselect_b32 s38, -1, 0
	s_min_u32 s36, s29, 15
	s_cmp_gt_u32 s28, 1
	s_mov_b32 s25, s21
	s_cselect_b32 s35, -1, 0
	s_mov_b32 s41, s21
	s_mov_b32 s40, s21
	;; [unrolled: 1-line block ×3, first 2 shown]
	s_mov_b32 s42, exec_lo
	s_wait_kmcnt 0x0
	s_mov_b32 s20, s13
	s_lshr_b32 s34, s11, 8
	s_lshr_b32 s13, s11, 16
	s_cmp_lg_u32 s10, 0
	s_mov_b32 s24, s0
	s_cselect_b32 s10, -1, 0
	v_cmpx_gt_i32_e64 s37, v0
	s_cbranch_execz .LBB151_406
; %bb.2:
	s_and_not1_b32 vcc_lo, exec_lo, s31
	s_cbranch_vccnz .LBB151_8
; %bb.3:
	s_and_not1_b32 vcc_lo, exec_lo, s38
	s_cbranch_vccnz .LBB151_9
; %bb.4:
	v_dual_mov_b32 v2, 0 :: v_dual_mov_b32 v1, v0
	v_dual_mov_b32 v6, 0 :: v_dual_mov_b32 v4, 0
	s_add_co_i32 s0, s36, 1
	s_mov_b64 s[26:27], 0xffffffffffffffe8
	s_and_b32 s0, s0, 30
	s_add_nc_u64 s[26:27], s[2:3], s[26:27]
.LBB151_5:                              ; =>This Inner Loop Header: Depth=1
	s_clause 0x1
	s_load_b128 s[44:47], s[26:27], 0x1c
	s_load_b64 s[40:41], s[26:27], 0x2c
	s_add_co_i32 s0, s0, -2
	s_delay_alu instid0(SALU_CYCLE_1) | instskip(SKIP_2) | instid1(VALU_DEP_1)
	s_cmp_lg_u32 s0, 0
	s_wait_kmcnt 0x0
	v_mul_hi_u32 v3, s45, v1
	v_add_nc_u32_e32 v3, v1, v3
	s_delay_alu instid0(VALU_DEP_1) | instskip(NEXT) | instid1(VALU_DEP_1)
	v_lshrrev_b32_e32 v3, s46, v3
	v_mul_hi_u32 v5, s40, v3
	v_mul_lo_u32 v7, v3, s44
	s_clause 0x1
	s_load_b128 s[48:51], s[26:27], 0xdc
	s_load_b64 s[44:45], s[26:27], 0xec
	s_wait_xcnt 0x0
	s_add_nc_u64 s[26:27], s[26:27], 24
	s_delay_alu instid0(VALU_DEP_1) | instskip(NEXT) | instid1(VALU_DEP_1)
	v_dual_add_nc_u32 v5, v3, v5 :: v_dual_sub_nc_u32 v7, v1, v7
	v_lshrrev_b32_e32 v1, s41, v5
	s_wait_kmcnt 0x0
	s_delay_alu instid0(VALU_DEP_2) | instskip(NEXT) | instid1(VALU_DEP_2)
	v_mad_u32 v2, v7, s48, v2
	v_mul_lo_u32 v5, v1, s47
	v_mad_u32 v4, v7, s50, v4
	v_mad_u32 v6, v7, s49, v6
	s_delay_alu instid0(VALU_DEP_3) | instskip(NEXT) | instid1(VALU_DEP_1)
	v_sub_nc_u32_e32 v3, v3, v5
	v_mad_u32 v2, v3, s51, v2
	s_delay_alu instid0(VALU_DEP_4) | instskip(NEXT) | instid1(VALU_DEP_4)
	v_mad_u32 v4, v3, s45, v4
	v_mad_u32 v6, v3, s44, v6
	s_cbranch_scc1 .LBB151_5
; %bb.6:
	s_bitcmp1_b32 s36, 0
	s_cselect_b32 s0, -1, 0
	s_delay_alu instid0(SALU_CYCLE_1)
	s_and_b32 vcc_lo, exec_lo, s0
	s_cbranch_vccnz .LBB151_10
; %bb.7:
	s_clause 0x1
	s_load_b96 s[44:46], s[26:27], 0x1c
	s_load_b96 s[48:50], s[26:27], 0xdc
	s_wait_kmcnt 0x0
	v_mul_hi_u32 v3, s45, v1
	s_delay_alu instid0(VALU_DEP_1) | instskip(NEXT) | instid1(VALU_DEP_1)
	v_add_nc_u32_e32 v3, v1, v3
	v_lshrrev_b32_e32 v3, s46, v3
	s_delay_alu instid0(VALU_DEP_1) | instskip(NEXT) | instid1(VALU_DEP_1)
	v_mul_lo_u32 v3, v3, s44
	v_sub_nc_u32_e32 v1, v1, v3
	s_delay_alu instid0(VALU_DEP_1)
	v_mad_u32 v2, v1, s48, v2
	v_mad_u32 v6, v1, s49, v6
	;; [unrolled: 1-line block ×3, first 2 shown]
	s_cbranch_execz .LBB151_11
	s_branch .LBB151_13
.LBB151_8:
                                        ; implicit-def: $vgpr4
                                        ; implicit-def: $vgpr6
                                        ; implicit-def: $vgpr2
	s_branch .LBB151_11
.LBB151_9:
	v_dual_mov_b32 v4, 0 :: v_dual_mov_b32 v6, 0
	v_mov_b32_e32 v2, 0
.LBB151_10:
	s_cbranch_execnz .LBB151_13
.LBB151_11:
	v_mov_b32_e32 v1, 0
	s_and_not1_b32 vcc_lo, exec_lo, s35
	s_delay_alu instid0(VALU_DEP_1) | instskip(NEXT) | instid1(VALU_DEP_1)
	v_mul_u64_e32 v[2:3], s[20:21], v[0:1]
	v_add_nc_u32_e32 v2, v0, v3
	s_delay_alu instid0(VALU_DEP_1) | instskip(NEXT) | instid1(VALU_DEP_1)
	v_lshrrev_b32_e32 v8, s14, v2
	v_mul_lo_u32 v2, v8, s12
	s_delay_alu instid0(VALU_DEP_1) | instskip(NEXT) | instid1(VALU_DEP_1)
	v_sub_nc_u32_e32 v3, v0, v2
	v_mul_lo_u32 v2, v3, s16
	v_mul_lo_u32 v4, v3, s18
	;; [unrolled: 1-line block ×3, first 2 shown]
	s_cbranch_vccnz .LBB151_13
; %bb.12:
	v_mov_b32_e32 v9, v1
	s_delay_alu instid0(VALU_DEP_1) | instskip(NEXT) | instid1(VALU_DEP_1)
	v_mul_u64_e32 v[10:11], s[24:25], v[8:9]
	v_add_nc_u32_e32 v1, v8, v11
	s_delay_alu instid0(VALU_DEP_1) | instskip(NEXT) | instid1(VALU_DEP_1)
	v_lshrrev_b32_e32 v1, s1, v1
	v_mul_lo_u32 v1, v1, s15
	s_delay_alu instid0(VALU_DEP_1) | instskip(NEXT) | instid1(VALU_DEP_1)
	v_sub_nc_u32_e32 v1, v8, v1
	v_mad_u32 v2, v1, s19, v2
	v_mad_u32 v6, v1, s22, v6
	;; [unrolled: 1-line block ×3, first 2 shown]
.LBB151_13:
	v_mov_b32_e32 v7, 0
	s_and_b32 s0, s34, 0xff
	s_delay_alu instid0(SALU_CYCLE_1) | instskip(NEXT) | instid1(VALU_DEP_1)
	s_cmp_lt_i32 s0, 11
	v_add_nc_u64_e32 v[6:7], s[6:7], v[6:7]
	s_cbranch_scc1 .LBB151_20
; %bb.14:
	s_and_b32 s27, 0xffff, s0
	s_delay_alu instid0(SALU_CYCLE_1)
	s_cmp_gt_i32 s27, 25
	s_cbranch_scc0 .LBB151_29
; %bb.15:
	s_cmp_gt_i32 s27, 28
	s_cbranch_scc0 .LBB151_42
; %bb.16:
	;; [unrolled: 3-line block ×4, first 2 shown]
	s_cmp_eq_u32 s27, 46
	s_mov_b32 s40, 0
	s_cbranch_scc0 .LBB151_52
; %bb.19:
	global_load_b32 v1, v[6:7], off
	s_mov_b32 s39, -1
	s_mov_b32 s26, 0
	s_wait_loadcnt 0x0
	v_lshlrev_b32_e32 v3, 16, v1
	v_and_b32_e32 v5, 0xffff0000, v1
	s_delay_alu instid0(VALU_DEP_2) | instskip(NEXT) | instid1(VALU_DEP_2)
	v_cvt_f16_f32_e32 v1, v3
	v_cvt_f16_f32_e32 v3, v5
	s_branch .LBB151_54
.LBB151_20:
	s_mov_b32 s26, 0
	s_mov_b32 s39, 0
                                        ; implicit-def: $vgpr3
                                        ; implicit-def: $vgpr1
	s_cbranch_execnz .LBB151_122
.LBB151_21:
	s_and_not1_b32 vcc_lo, exec_lo, s39
	s_cbranch_vccnz .LBB151_171
.LBB151_22:
	v_mov_b32_e32 v5, 0
	s_and_b32 s0, s13, 0xff
	s_delay_alu instid0(SALU_CYCLE_1) | instskip(NEXT) | instid1(VALU_DEP_1)
	s_cmp_lt_i32 s0, 11
	v_add_nc_u64_e32 v[4:5], s[8:9], v[4:5]
	s_cbranch_scc1 .LBB151_30
; %bb.23:
	s_and_b32 s39, 0xffff, s0
	s_delay_alu instid0(SALU_CYCLE_1)
	s_cmp_gt_i32 s39, 25
	s_cbranch_scc0 .LBB151_43
; %bb.24:
	s_cmp_gt_i32 s39, 28
	s_cbranch_scc0 .LBB151_47
; %bb.25:
	;; [unrolled: 3-line block ×4, first 2 shown]
	s_cmp_eq_u32 s39, 46
	s_mov_b32 s41, 0
	s_cbranch_scc0 .LBB151_172
; %bb.28:
	global_load_b32 v6, v[4:5], off
	s_mov_b32 s40, -1
	s_mov_b32 s27, 0
	s_wait_loadcnt 0x0
	v_lshlrev_b32_e32 v7, 16, v6
	v_and_b32_e32 v8, 0xffff0000, v6
	s_delay_alu instid0(VALU_DEP_2) | instskip(NEXT) | instid1(VALU_DEP_2)
	v_cvt_f16_f32_e32 v6, v7
	v_cvt_f16_f32_e32 v7, v8
	s_branch .LBB151_174
.LBB151_29:
	s_mov_b32 s26, 0
	s_mov_b32 s39, 0
                                        ; implicit-def: $vgpr3
                                        ; implicit-def: $vgpr1
	s_cbranch_execnz .LBB151_87
	s_branch .LBB151_121
.LBB151_30:
	s_mov_b32 s27, 0
	s_mov_b32 s40, 0
                                        ; implicit-def: $vgpr7
                                        ; implicit-def: $vgpr6
	s_cbranch_execnz .LBB151_353
.LBB151_31:
	s_and_not1_b32 vcc_lo, exec_lo, s40
	s_cbranch_vccnz .LBB151_403
.LBB151_32:
	s_and_b32 vcc_lo, exec_lo, s10
	s_cbranch_vccz .LBB151_45
; %bb.33:
	s_wait_loadcnt 0x0
	v_cmp_neq_f16_e32 vcc_lo, v1, v6
	v_cmp_neq_f16_e64 s0, v3, v7
	s_or_b32 s39, vcc_lo, s0
	s_cbranch_execnz .LBB151_35
.LBB151_34:
	s_wait_loadcnt 0x0
	v_cmp_eq_f16_e32 vcc_lo, v1, v6
	v_cmp_eq_f16_e64 s0, v3, v7
	s_and_not1_b32 s39, s39, exec_lo
	s_and_b32 s0, vcc_lo, s0
	s_delay_alu instid0(SALU_CYCLE_1) | instskip(NEXT) | instid1(SALU_CYCLE_1)
	s_and_b32 s0, s0, exec_lo
	s_or_b32 s39, s39, s0
.LBB151_35:
	v_mov_b32_e32 v3, 0
	s_and_b32 s40, s11, 0xff
	s_delay_alu instid0(SALU_CYCLE_1) | instskip(NEXT) | instid1(VALU_DEP_1)
	s_cmp_lt_i32 s40, 11
	v_add_nc_u64_e32 v[2:3], s[4:5], v[2:3]
	s_cbranch_scc1 .LBB151_44
; %bb.36:
	s_and_b32 s41, 0xffff, s40
	s_delay_alu instid0(SALU_CYCLE_1)
	s_cmp_gt_i32 s41, 25
	s_cbranch_scc0 .LBB151_48
; %bb.37:
	s_cmp_gt_i32 s41, 28
	s_cbranch_scc0 .LBB151_51
; %bb.38:
	;; [unrolled: 3-line block ×4, first 2 shown]
	s_mov_b32 s44, 0
	s_mov_b32 s0, -1
	s_cmp_eq_u32 s41, 46
	s_mov_b32 s43, 0
	s_cbranch_scc0 .LBB151_178
; %bb.41:
	s_wait_loadcnt 0x0
	v_cndmask_b32_e64 v1, 0, 1.0, s39
	s_mov_b32 s43, -1
	s_mov_b32 s0, 0
	s_delay_alu instid0(VALU_DEP_1) | instskip(NEXT) | instid1(VALU_DEP_1)
	v_bfe_u32 v4, v1, 16, 1
	v_add3_u32 v1, v1, v4, 0x7fff
	s_delay_alu instid0(VALU_DEP_1)
	v_lshrrev_b32_e32 v1, 16, v1
	global_store_b32 v[2:3], v1, off
	s_branch .LBB151_178
.LBB151_42:
	s_mov_b32 s40, -1
	s_mov_b32 s26, 0
	s_mov_b32 s39, 0
                                        ; implicit-def: $vgpr3
                                        ; implicit-def: $vgpr1
	s_branch .LBB151_68
.LBB151_43:
	s_mov_b32 s41, -1
	s_mov_b32 s27, 0
	s_mov_b32 s40, 0
                                        ; implicit-def: $vgpr7
                                        ; implicit-def: $vgpr6
	s_branch .LBB151_316
.LBB151_44:
	s_mov_b32 s41, -1
	s_mov_b32 s0, 0
	s_mov_b32 s43, 0
	s_branch .LBB151_247
.LBB151_45:
                                        ; implicit-def: $sgpr39
	s_branch .LBB151_34
.LBB151_46:
	s_mov_b32 s40, -1
	s_mov_b32 s26, 0
	s_mov_b32 s39, 0
                                        ; implicit-def: $vgpr3
                                        ; implicit-def: $vgpr1
	s_branch .LBB151_62
.LBB151_47:
	s_mov_b32 s41, -1
	s_mov_b32 s27, 0
	s_mov_b32 s40, 0
                                        ; implicit-def: $vgpr7
                                        ; implicit-def: $vgpr6
	s_branch .LBB151_297
.LBB151_48:
	s_mov_b32 s44, -1
	s_mov_b32 s0, 0
	s_mov_b32 s43, 0
	s_branch .LBB151_205
.LBB151_49:
	s_mov_b32 s40, -1
	s_mov_b32 s26, 0
	s_branch .LBB151_53
.LBB151_50:
	s_mov_b32 s41, -1
	s_mov_b32 s27, 0
	s_mov_b32 s40, 0
                                        ; implicit-def: $vgpr7
                                        ; implicit-def: $vgpr6
	s_branch .LBB151_291
.LBB151_51:
	s_mov_b32 s44, -1
	s_mov_b32 s0, 0
	s_mov_b32 s43, 0
	s_branch .LBB151_188
.LBB151_52:
	s_mov_b32 s26, -1
.LBB151_53:
	s_mov_b32 s39, 0
                                        ; implicit-def: $vgpr3
                                        ; implicit-def: $vgpr1
.LBB151_54:
	s_and_b32 vcc_lo, exec_lo, s40
	s_cbranch_vccz .LBB151_61
; %bb.55:
	s_cmp_eq_u32 s27, 44
	s_cbranch_scc0 .LBB151_59
; %bb.56:
	global_load_u8 v1, v[6:7], off
	s_mov_b32 s26, 0
	s_mov_b32 s39, -1
	s_wait_loadcnt 0x0
	v_lshlrev_b32_e32 v3, 23, v1
	v_cmp_ne_u32_e32 vcc_lo, 0xff, v1
	s_delay_alu instid0(VALU_DEP_2) | instskip(NEXT) | instid1(VALU_DEP_1)
	v_cvt_f16_f32_e32 v3, v3
	v_cndmask_b32_e32 v3, 0x7e00, v3, vcc_lo
	v_cmp_ne_u32_e32 vcc_lo, 0, v1
	s_delay_alu instid0(VALU_DEP_2)
	v_cndmask_b32_e32 v1, 0, v3, vcc_lo
	s_branch .LBB151_60
.LBB151_57:
	s_mov_b32 s41, -1
	s_mov_b32 s27, 0
	s_branch .LBB151_173
.LBB151_58:
	s_mov_b32 s44, -1
	s_mov_b32 s0, 0
	s_mov_b32 s43, 0
	s_branch .LBB151_184
.LBB151_59:
	s_mov_b32 s26, -1
                                        ; implicit-def: $vgpr1
.LBB151_60:
	v_mov_b32_e32 v3, 0
.LBB151_61:
	s_mov_b32 s40, 0
.LBB151_62:
	s_delay_alu instid0(SALU_CYCLE_1)
	s_and_b32 vcc_lo, exec_lo, s40
	s_cbranch_vccz .LBB151_67
; %bb.63:
	s_cmp_eq_u32 s27, 29
	s_cbranch_scc0 .LBB151_65
; %bb.64:
	global_load_b64 v[8:9], v[6:7], off
	s_mov_b32 s39, -1
	s_mov_b32 s26, 0
	s_wait_loadcnt 0x0
	v_clz_i32_u32_e32 v1, v9
	s_delay_alu instid0(VALU_DEP_1) | instskip(NEXT) | instid1(VALU_DEP_1)
	v_min_u32_e32 v1, 32, v1
	v_lshlrev_b64_e32 v[8:9], v1, v[8:9]
	v_sub_nc_u32_e32 v1, 32, v1
	s_delay_alu instid0(VALU_DEP_2) | instskip(NEXT) | instid1(VALU_DEP_1)
	v_min_u32_e32 v3, 1, v8
	v_or_b32_e32 v3, v9, v3
	s_delay_alu instid0(VALU_DEP_1) | instskip(NEXT) | instid1(VALU_DEP_1)
	v_cvt_f32_u32_e32 v3, v3
	v_ldexp_f32 v1, v3, v1
	s_delay_alu instid0(VALU_DEP_1)
	v_cvt_f16_f32_e32 v1, v1
	s_branch .LBB151_66
.LBB151_65:
	s_mov_b32 s26, -1
                                        ; implicit-def: $vgpr1
.LBB151_66:
	v_mov_b32_e32 v3, 0
.LBB151_67:
	s_mov_b32 s40, 0
.LBB151_68:
	s_delay_alu instid0(SALU_CYCLE_1)
	s_and_b32 vcc_lo, exec_lo, s40
	s_cbranch_vccz .LBB151_86
; %bb.69:
	s_cmp_lt_i32 s27, 27
	s_cbranch_scc1 .LBB151_72
; %bb.70:
	s_cmp_gt_i32 s27, 27
	s_cbranch_scc0 .LBB151_73
; %bb.71:
	global_load_b32 v1, v[6:7], off
	s_mov_b32 s39, 0
	s_wait_loadcnt 0x0
	v_cvt_f32_u32_e32 v1, v1
	s_delay_alu instid0(VALU_DEP_1)
	v_cvt_f16_f32_e32 v1, v1
	s_branch .LBB151_74
.LBB151_72:
	s_mov_b32 s39, -1
                                        ; implicit-def: $vgpr1
	s_branch .LBB151_77
.LBB151_73:
	s_mov_b32 s39, -1
                                        ; implicit-def: $vgpr1
.LBB151_74:
	s_delay_alu instid0(SALU_CYCLE_1)
	s_and_not1_b32 vcc_lo, exec_lo, s39
	s_cbranch_vccnz .LBB151_76
; %bb.75:
	global_load_u16 v1, v[6:7], off
	s_wait_loadcnt 0x0
	v_cvt_f16_u16_e32 v1, v1
.LBB151_76:
	s_mov_b32 s39, 0
.LBB151_77:
	s_delay_alu instid0(SALU_CYCLE_1)
	s_and_not1_b32 vcc_lo, exec_lo, s39
	s_cbranch_vccnz .LBB151_85
; %bb.78:
	global_load_u8 v3, v[6:7], off
	s_mov_b32 s39, 0
	s_mov_b32 s40, exec_lo
	s_wait_loadcnt 0x0
	v_cmpx_lt_i16_e32 0x7f, v3
	s_xor_b32 s40, exec_lo, s40
	s_cbranch_execz .LBB151_98
; %bb.79:
	s_mov_b32 s39, -1
	s_mov_b32 s41, exec_lo
	v_cmpx_eq_u16_e32 0x80, v3
; %bb.80:
	s_xor_b32 s39, exec_lo, -1
; %bb.81:
	s_or_b32 exec_lo, exec_lo, s41
	s_delay_alu instid0(SALU_CYCLE_1)
	s_and_b32 s39, s39, exec_lo
	s_or_saveexec_b32 s40, s40
	v_mov_b32_e32 v1, 0x7e00
	s_xor_b32 exec_lo, exec_lo, s40
	s_cbranch_execnz .LBB151_99
.LBB151_82:
	s_or_b32 exec_lo, exec_lo, s40
	s_and_saveexec_b32 s40, s39
	s_cbranch_execz .LBB151_84
.LBB151_83:
	v_and_b32_e32 v1, 0xffff, v3
	s_delay_alu instid0(VALU_DEP_1) | instskip(SKIP_1) | instid1(VALU_DEP_2)
	v_and_b32_e32 v5, 7, v1
	v_bfe_u32 v10, v1, 3, 4
	v_clz_i32_u32_e32 v8, v5
	s_delay_alu instid0(VALU_DEP_2) | instskip(NEXT) | instid1(VALU_DEP_2)
	v_cmp_eq_u32_e32 vcc_lo, 0, v10
	v_min_u32_e32 v8, 32, v8
	s_delay_alu instid0(VALU_DEP_1) | instskip(NEXT) | instid1(VALU_DEP_1)
	v_subrev_nc_u32_e32 v9, 28, v8
	v_dual_lshlrev_b32 v1, v9, v1 :: v_dual_sub_nc_u32 v8, 29, v8
	s_delay_alu instid0(VALU_DEP_1) | instskip(NEXT) | instid1(VALU_DEP_1)
	v_dual_lshlrev_b32 v3, 24, v3 :: v_dual_bitop2_b32 v1, 7, v1 bitop3:0x40
	v_dual_cndmask_b32 v8, v10, v8 :: v_dual_cndmask_b32 v1, v5, v1
	s_delay_alu instid0(VALU_DEP_2) | instskip(NEXT) | instid1(VALU_DEP_2)
	v_and_b32_e32 v3, 0x80000000, v3
	v_lshl_add_u32 v5, v8, 23, 0x3b800000
	s_delay_alu instid0(VALU_DEP_3) | instskip(NEXT) | instid1(VALU_DEP_1)
	v_lshlrev_b32_e32 v1, 20, v1
	v_or3_b32 v1, v3, v5, v1
	s_delay_alu instid0(VALU_DEP_1)
	v_cvt_f16_f32_e32 v1, v1
.LBB151_84:
	s_or_b32 exec_lo, exec_lo, s40
.LBB151_85:
	v_mov_b32_e32 v3, 0
	s_mov_b32 s39, -1
.LBB151_86:
	s_branch .LBB151_121
.LBB151_87:
	s_cmp_gt_i32 s27, 22
	s_cbranch_scc0 .LBB151_97
; %bb.88:
	s_cmp_lt_i32 s27, 24
	s_cbranch_scc1 .LBB151_100
; %bb.89:
	s_cmp_gt_i32 s27, 24
	s_cbranch_scc0 .LBB151_101
; %bb.90:
	global_load_u8 v3, v[6:7], off
	s_mov_b32 s39, 0
	s_mov_b32 s40, exec_lo
	s_wait_loadcnt 0x0
	v_cmpx_lt_i16_e32 0x7f, v3
	s_xor_b32 s40, exec_lo, s40
	s_cbranch_execz .LBB151_112
; %bb.91:
	s_mov_b32 s39, -1
	s_mov_b32 s41, exec_lo
	v_cmpx_eq_u16_e32 0x80, v3
; %bb.92:
	s_xor_b32 s39, exec_lo, -1
; %bb.93:
	s_or_b32 exec_lo, exec_lo, s41
	s_delay_alu instid0(SALU_CYCLE_1)
	s_and_b32 s39, s39, exec_lo
	s_or_saveexec_b32 s40, s40
	v_mov_b32_e32 v1, 0x7e00
	s_xor_b32 exec_lo, exec_lo, s40
	s_cbranch_execnz .LBB151_113
.LBB151_94:
	s_or_b32 exec_lo, exec_lo, s40
	s_and_saveexec_b32 s40, s39
	s_cbranch_execz .LBB151_96
.LBB151_95:
	v_and_b32_e32 v1, 0xffff, v3
	s_delay_alu instid0(VALU_DEP_1) | instskip(SKIP_1) | instid1(VALU_DEP_2)
	v_and_b32_e32 v5, 3, v1
	v_bfe_u32 v10, v1, 2, 5
	v_clz_i32_u32_e32 v8, v5
	s_delay_alu instid0(VALU_DEP_2) | instskip(NEXT) | instid1(VALU_DEP_2)
	v_cmp_eq_u32_e32 vcc_lo, 0, v10
	v_min_u32_e32 v8, 32, v8
	s_delay_alu instid0(VALU_DEP_1) | instskip(NEXT) | instid1(VALU_DEP_1)
	v_subrev_nc_u32_e32 v9, 29, v8
	v_dual_lshlrev_b32 v1, v9, v1 :: v_dual_sub_nc_u32 v8, 30, v8
	s_delay_alu instid0(VALU_DEP_1) | instskip(NEXT) | instid1(VALU_DEP_1)
	v_dual_lshlrev_b32 v3, 24, v3 :: v_dual_bitop2_b32 v1, 3, v1 bitop3:0x40
	v_dual_cndmask_b32 v8, v10, v8 :: v_dual_cndmask_b32 v1, v5, v1
	s_delay_alu instid0(VALU_DEP_2) | instskip(NEXT) | instid1(VALU_DEP_2)
	v_and_b32_e32 v3, 0x80000000, v3
	v_lshl_add_u32 v5, v8, 23, 0x37800000
	s_delay_alu instid0(VALU_DEP_3) | instskip(NEXT) | instid1(VALU_DEP_1)
	v_lshlrev_b32_e32 v1, 21, v1
	v_or3_b32 v1, v3, v5, v1
	s_delay_alu instid0(VALU_DEP_1)
	v_cvt_f16_f32_e32 v1, v1
.LBB151_96:
	s_or_b32 exec_lo, exec_lo, s40
	s_mov_b32 s39, 0
	s_branch .LBB151_102
.LBB151_97:
                                        ; implicit-def: $vgpr1
	s_branch .LBB151_108
.LBB151_98:
	s_or_saveexec_b32 s40, s40
	v_mov_b32_e32 v1, 0x7e00
	s_xor_b32 exec_lo, exec_lo, s40
	s_cbranch_execz .LBB151_82
.LBB151_99:
	v_cmp_ne_u16_e32 vcc_lo, 0, v3
	v_mov_b32_e32 v1, v3
	s_and_not1_b32 s39, s39, exec_lo
	s_and_b32 s41, vcc_lo, exec_lo
	s_delay_alu instid0(SALU_CYCLE_1)
	s_or_b32 s39, s39, s41
	s_or_b32 exec_lo, exec_lo, s40
	s_and_saveexec_b32 s40, s39
	s_cbranch_execnz .LBB151_83
	s_branch .LBB151_84
.LBB151_100:
	s_mov_b32 s39, -1
                                        ; implicit-def: $vgpr1
	s_branch .LBB151_105
.LBB151_101:
	s_mov_b32 s39, -1
                                        ; implicit-def: $vgpr1
.LBB151_102:
	s_delay_alu instid0(SALU_CYCLE_1)
	s_and_b32 vcc_lo, exec_lo, s39
	s_cbranch_vccz .LBB151_104
; %bb.103:
	global_load_u8 v1, v[6:7], off
	s_wait_loadcnt 0x0
	v_lshlrev_b32_e32 v1, 24, v1
	s_delay_alu instid0(VALU_DEP_1) | instskip(NEXT) | instid1(VALU_DEP_1)
	v_and_b32_e32 v3, 0x7f000000, v1
	v_clz_i32_u32_e32 v5, v3
	v_add_nc_u32_e32 v9, 0x1000000, v3
	v_cmp_ne_u32_e32 vcc_lo, 0, v3
	s_delay_alu instid0(VALU_DEP_3) | instskip(NEXT) | instid1(VALU_DEP_1)
	v_min_u32_e32 v5, 32, v5
	v_sub_nc_u32_e64 v5, v5, 4 clamp
	s_delay_alu instid0(VALU_DEP_1) | instskip(NEXT) | instid1(VALU_DEP_1)
	v_dual_lshlrev_b32 v8, v5, v3 :: v_dual_lshlrev_b32 v5, 23, v5
	v_lshrrev_b32_e32 v8, 4, v8
	s_delay_alu instid0(VALU_DEP_1) | instskip(SKIP_1) | instid1(VALU_DEP_2)
	v_sub_nc_u32_e32 v5, v8, v5
	v_ashrrev_i32_e32 v8, 8, v9
	v_add_nc_u32_e32 v5, 0x3c000000, v5
	s_delay_alu instid0(VALU_DEP_1) | instskip(NEXT) | instid1(VALU_DEP_1)
	v_and_or_b32 v5, 0x7f800000, v8, v5
	v_cndmask_b32_e32 v3, 0, v5, vcc_lo
	s_delay_alu instid0(VALU_DEP_1) | instskip(NEXT) | instid1(VALU_DEP_1)
	v_and_or_b32 v1, 0x80000000, v1, v3
	v_cvt_f16_f32_e32 v1, v1
.LBB151_104:
	s_mov_b32 s39, 0
.LBB151_105:
	s_delay_alu instid0(SALU_CYCLE_1)
	s_and_not1_b32 vcc_lo, exec_lo, s39
	s_cbranch_vccnz .LBB151_107
; %bb.106:
	global_load_u8 v1, v[6:7], off
	s_wait_loadcnt 0x0
	v_lshlrev_b32_e32 v3, 25, v1
	v_lshlrev_b16 v1, 8, v1
	s_delay_alu instid0(VALU_DEP_1) | instskip(SKIP_1) | instid1(VALU_DEP_2)
	v_and_or_b32 v8, 0x7f00, v1, 0.5
	v_bfe_i32 v1, v1, 0, 16
	v_dual_add_f32 v8, -0.5, v8 :: v_dual_lshrrev_b32 v5, 4, v3
	v_cmp_gt_u32_e32 vcc_lo, 0x8000000, v3
	s_delay_alu instid0(VALU_DEP_2) | instskip(NEXT) | instid1(VALU_DEP_1)
	v_or_b32_e32 v5, 0x70000000, v5
	v_mul_f32_e32 v5, 0x7800000, v5
	s_delay_alu instid0(VALU_DEP_1) | instskip(NEXT) | instid1(VALU_DEP_1)
	v_cndmask_b32_e32 v3, v5, v8, vcc_lo
	v_and_or_b32 v1, 0x80000000, v1, v3
	s_delay_alu instid0(VALU_DEP_1)
	v_cvt_f16_f32_e32 v1, v1
.LBB151_107:
	s_mov_b32 s39, -1
	s_cbranch_execnz .LBB151_120
.LBB151_108:
	s_cmp_gt_i32 s27, 14
	s_cbranch_scc0 .LBB151_111
; %bb.109:
	s_cmp_eq_u32 s27, 15
	s_cbranch_scc0 .LBB151_114
; %bb.110:
	global_load_u16 v1, v[6:7], off
	s_mov_b32 s39, -1
	s_mov_b32 s26, 0
	s_wait_loadcnt 0x0
	v_lshlrev_b32_e32 v1, 16, v1
	s_delay_alu instid0(VALU_DEP_1)
	v_cvt_f16_f32_e32 v1, v1
	s_branch .LBB151_115
.LBB151_111:
	s_mov_b32 s40, -1
                                        ; implicit-def: $vgpr1
	s_branch .LBB151_116
.LBB151_112:
	s_or_saveexec_b32 s40, s40
	v_mov_b32_e32 v1, 0x7e00
	s_xor_b32 exec_lo, exec_lo, s40
	s_cbranch_execz .LBB151_94
.LBB151_113:
	v_cmp_ne_u16_e32 vcc_lo, 0, v3
	v_mov_b32_e32 v1, v3
	s_and_not1_b32 s39, s39, exec_lo
	s_and_b32 s41, vcc_lo, exec_lo
	s_delay_alu instid0(SALU_CYCLE_1)
	s_or_b32 s39, s39, s41
	s_or_b32 exec_lo, exec_lo, s40
	s_and_saveexec_b32 s40, s39
	s_cbranch_execnz .LBB151_95
	s_branch .LBB151_96
.LBB151_114:
	s_mov_b32 s26, -1
                                        ; implicit-def: $vgpr1
.LBB151_115:
	s_mov_b32 s40, 0
.LBB151_116:
	s_delay_alu instid0(SALU_CYCLE_1)
	s_and_b32 vcc_lo, exec_lo, s40
	s_cbranch_vccz .LBB151_120
; %bb.117:
	s_cmp_eq_u32 s27, 11
	s_cbranch_scc0 .LBB151_119
; %bb.118:
	global_load_u8 v1, v[6:7], off
	s_mov_b32 s26, 0
	s_mov_b32 s39, -1
	v_mov_b32_e32 v3, 0
	s_wait_loadcnt 0x0
	v_cmp_ne_u16_e32 vcc_lo, 0, v1
	v_cndmask_b32_e64 v1, 0, 0x3c00, vcc_lo
	s_branch .LBB151_121
.LBB151_119:
	s_mov_b32 s26, -1
                                        ; implicit-def: $vgpr1
.LBB151_120:
	v_mov_b32_e32 v3, 0
.LBB151_121:
	s_branch .LBB151_21
.LBB151_122:
	s_and_b32 s0, 0xffff, s0
	s_delay_alu instid0(SALU_CYCLE_1)
	s_cmp_lt_i32 s0, 5
	s_cbranch_scc1 .LBB151_127
; %bb.123:
	s_cmp_lt_i32 s0, 8
	s_cbranch_scc1 .LBB151_128
; %bb.124:
	;; [unrolled: 3-line block ×3, first 2 shown]
	s_cmp_gt_i32 s0, 9
	s_cbranch_scc0 .LBB151_130
; %bb.126:
	global_load_b128 v[8:11], v[6:7], off
	v_mov_b32_e32 v17, 0x7e00
	s_mov_b32 s27, 0
	s_wait_loadcnt 0x0
	v_and_or_b32 v1, 0x1ff, v9, v8
	v_and_or_b32 v8, 0x1ff, v11, v10
	v_dual_lshrrev_b32 v3, 8, v9 :: v_dual_lshrrev_b32 v10, 8, v11
	v_bfe_u32 v5, v9, 20, 11
	s_delay_alu instid0(VALU_DEP_4) | instskip(SKIP_2) | instid1(VALU_DEP_4)
	v_cmp_ne_u32_e32 vcc_lo, 0, v1
	v_bfe_u32 v12, v11, 20, 11
	v_dual_lshrrev_b32 v9, 16, v9 :: v_dual_lshrrev_b32 v11, 16, v11
	v_sub_nc_u32_e32 v13, 0x3f1, v5
	v_cndmask_b32_e64 v1, 0, 1, vcc_lo
	v_cmp_ne_u32_e32 vcc_lo, 0, v8
	v_add_nc_u32_e32 v5, 0xfffffc10, v5
	s_delay_alu instid0(VALU_DEP_3) | instskip(SKIP_1) | instid1(VALU_DEP_1)
	v_and_or_b32 v1, 0xffe, v3, v1
	v_cndmask_b32_e64 v8, 0, 1, vcc_lo
	v_and_or_b32 v8, 0xffe, v10, v8
	v_med3_i32 v10, v13, 0, 13
	s_delay_alu instid0(VALU_DEP_4) | instskip(NEXT) | instid1(VALU_DEP_3)
	v_or_b32_e32 v13, 0x1000, v1
	v_or_b32_e32 v14, 0x1000, v8
	s_delay_alu instid0(VALU_DEP_2) | instskip(NEXT) | instid1(VALU_DEP_1)
	v_lshrrev_b32_e32 v15, v10, v13
	v_lshlrev_b32_e32 v10, v10, v15
	s_delay_alu instid0(VALU_DEP_1) | instskip(SKIP_2) | instid1(VALU_DEP_1)
	v_cmp_ne_u32_e32 vcc_lo, v10, v13
	v_lshl_or_b32 v13, v5, 12, v1
	v_cndmask_b32_e64 v10, 0, 1, vcc_lo
	v_or_b32_e32 v10, v15, v10
	v_sub_nc_u32_e32 v3, 0x3f1, v12
	s_delay_alu instid0(VALU_DEP_1) | instskip(NEXT) | instid1(VALU_DEP_1)
	v_med3_i32 v3, v3, 0, 13
	v_lshrrev_b32_e32 v16, v3, v14
	s_delay_alu instid0(VALU_DEP_1) | instskip(NEXT) | instid1(VALU_DEP_1)
	v_lshlrev_b32_e32 v3, v3, v16
	v_cmp_ne_u32_e32 vcc_lo, v3, v14
	v_cndmask_b32_e64 v3, 0, 1, vcc_lo
	v_cmp_gt_i32_e32 vcc_lo, 1, v5
	s_delay_alu instid0(VALU_DEP_2) | instskip(NEXT) | instid1(VALU_DEP_1)
	v_dual_cndmask_b32 v10, v13, v10, vcc_lo :: v_dual_bitop2_b32 v3, v16, v3 bitop3:0x54
	v_dual_lshrrev_b32 v10, 2, v10 :: v_dual_bitop2_b32 v13, 7, v10 bitop3:0x40
	v_add_nc_u32_e32 v12, 0xfffffc10, v12
	s_delay_alu instid0(VALU_DEP_1) | instskip(SKIP_1) | instid1(VALU_DEP_2)
	v_lshl_or_b32 v14, v12, 12, v8
	v_cmp_gt_i32_e32 vcc_lo, 1, v12
	v_cndmask_b32_e32 v3, v14, v3, vcc_lo
	v_cmp_lt_i32_e32 vcc_lo, 5, v13
	v_cndmask_b32_e64 v15, 0, 1, vcc_lo
	v_cmp_eq_u32_e32 vcc_lo, 3, v13
	v_cndmask_b32_e64 v13, 0, 1, vcc_lo
	s_delay_alu instid0(VALU_DEP_1) | instskip(SKIP_1) | instid1(VALU_DEP_2)
	v_or_b32_e32 v13, v13, v15
	v_dual_lshrrev_b32 v3, 2, v3 :: v_dual_bitop2_b32 v14, 7, v3 bitop3:0x40
	v_add_nc_u32_e32 v10, v10, v13
	s_delay_alu instid0(VALU_DEP_2) | instskip(SKIP_4) | instid1(VALU_DEP_2)
	v_cmp_lt_i32_e32 vcc_lo, 5, v14
	v_cndmask_b32_e64 v16, 0, 1, vcc_lo
	v_cmp_eq_u32_e32 vcc_lo, 3, v14
	v_cndmask_b32_e64 v14, 0, 1, vcc_lo
	v_cmp_ne_u32_e32 vcc_lo, 0, v1
	v_or_b32_e32 v14, v14, v16
	v_cndmask_b32_e32 v1, 0x7c00, v17, vcc_lo
	v_cmp_ne_u32_e32 vcc_lo, 0, v8
	s_delay_alu instid0(VALU_DEP_3) | instskip(SKIP_3) | instid1(VALU_DEP_4)
	v_dual_cndmask_b32 v8, 0x7c00, v17 :: v_dual_add_nc_u32 v3, v3, v14
	v_cmp_gt_i32_e32 vcc_lo, 31, v5
	v_cndmask_b32_e32 v10, 0x7c00, v10, vcc_lo
	v_cmp_gt_i32_e32 vcc_lo, 31, v12
	v_cndmask_b32_e32 v3, 0x7c00, v3, vcc_lo
	v_cmp_eq_u32_e32 vcc_lo, 0x40f, v5
	s_delay_alu instid0(VALU_DEP_4) | instskip(SKIP_1) | instid1(VALU_DEP_4)
	v_cndmask_b32_e32 v1, v10, v1, vcc_lo
	v_cmp_eq_u32_e32 vcc_lo, 0x40f, v12
	v_cndmask_b32_e32 v3, v3, v8, vcc_lo
	s_delay_alu instid0(VALU_DEP_3) | instskip(NEXT) | instid1(VALU_DEP_2)
	v_and_or_b32 v1, 0x8000, v9, v1
	v_and_or_b32 v3, 0x8000, v11, v3
	s_branch .LBB151_131
.LBB151_127:
                                        ; implicit-def: $vgpr3
                                        ; implicit-def: $vgpr1
	s_branch .LBB151_150
.LBB151_128:
	s_mov_b32 s27, -1
                                        ; implicit-def: $vgpr3
                                        ; implicit-def: $vgpr1
	s_branch .LBB151_137
.LBB151_129:
	s_mov_b32 s27, -1
                                        ; implicit-def: $vgpr3
                                        ; implicit-def: $vgpr1
	s_branch .LBB151_134
.LBB151_130:
	s_mov_b32 s27, -1
                                        ; implicit-def: $vgpr3
                                        ; implicit-def: $vgpr1
.LBB151_131:
	s_delay_alu instid0(SALU_CYCLE_1)
	s_and_not1_b32 vcc_lo, exec_lo, s27
	s_cbranch_vccnz .LBB151_133
; %bb.132:
	global_load_b64 v[8:9], v[6:7], off
	s_wait_loadcnt 0x0
	v_cvt_f16_f32_e32 v1, v8
	v_cvt_f16_f32_e32 v3, v9
.LBB151_133:
	s_mov_b32 s27, 0
.LBB151_134:
	s_delay_alu instid0(SALU_CYCLE_1)
	s_and_not1_b32 vcc_lo, exec_lo, s27
	s_cbranch_vccnz .LBB151_136
; %bb.135:
	global_load_b32 v1, v[6:7], off
	s_wait_loadcnt 0x0
	v_lshrrev_b32_e32 v3, 16, v1
.LBB151_136:
	s_mov_b32 s27, 0
.LBB151_137:
	s_delay_alu instid0(SALU_CYCLE_1)
	s_and_not1_b32 vcc_lo, exec_lo, s27
	s_cbranch_vccnz .LBB151_149
; %bb.138:
	s_cmp_lt_i32 s0, 6
	s_cbranch_scc1 .LBB151_141
; %bb.139:
	s_cmp_gt_i32 s0, 6
	s_cbranch_scc0 .LBB151_142
; %bb.140:
	global_load_b64 v[8:9], v[6:7], off
	s_mov_b32 s27, 0
	s_wait_loadcnt 0x0
	v_and_or_b32 v1, 0x1ff, v9, v8
	v_lshrrev_b32_e32 v3, 8, v9
	v_bfe_u32 v5, v9, 20, 11
	s_delay_alu instid0(VALU_DEP_3) | instskip(NEXT) | instid1(VALU_DEP_2)
	v_cmp_ne_u32_e32 vcc_lo, 0, v1
	v_sub_nc_u32_e32 v8, 0x3f1, v5
	v_add_nc_u32_e32 v5, 0xfffffc10, v5
	v_cndmask_b32_e64 v1, 0, 1, vcc_lo
	s_delay_alu instid0(VALU_DEP_1) | instskip(NEXT) | instid1(VALU_DEP_4)
	v_and_or_b32 v1, 0xffe, v3, v1
	v_med3_i32 v3, v8, 0, 13
	s_delay_alu instid0(VALU_DEP_2) | instskip(NEXT) | instid1(VALU_DEP_1)
	v_or_b32_e32 v8, 0x1000, v1
	v_lshrrev_b32_e32 v10, v3, v8
	s_delay_alu instid0(VALU_DEP_1) | instskip(NEXT) | instid1(VALU_DEP_1)
	v_lshlrev_b32_e32 v3, v3, v10
	v_cmp_ne_u32_e32 vcc_lo, v3, v8
	v_lshl_or_b32 v8, v5, 12, v1
	v_cndmask_b32_e64 v3, 0, 1, vcc_lo
	v_cmp_gt_i32_e32 vcc_lo, 1, v5
	s_delay_alu instid0(VALU_DEP_2) | instskip(NEXT) | instid1(VALU_DEP_1)
	v_or_b32_e32 v3, v10, v3
	v_cndmask_b32_e32 v3, v8, v3, vcc_lo
	s_delay_alu instid0(VALU_DEP_1) | instskip(NEXT) | instid1(VALU_DEP_1)
	v_dual_lshrrev_b32 v3, 2, v3 :: v_dual_bitop2_b32 v8, 7, v3 bitop3:0x40
	v_cmp_lt_i32_e32 vcc_lo, 5, v8
	v_cndmask_b32_e64 v10, 0, 1, vcc_lo
	v_cmp_eq_u32_e32 vcc_lo, 3, v8
	v_cndmask_b32_e64 v8, 0, 1, vcc_lo
	v_cmp_ne_u32_e32 vcc_lo, 0, v1
	s_delay_alu instid0(VALU_DEP_2) | instskip(NEXT) | instid1(VALU_DEP_1)
	v_or_b32_e32 v8, v8, v10
	v_dual_mov_b32 v10, 0x7e00 :: v_dual_add_nc_u32 v3, v3, v8
	s_delay_alu instid0(VALU_DEP_1) | instskip(SKIP_1) | instid1(VALU_DEP_3)
	v_cndmask_b32_e32 v1, 0x7c00, v10, vcc_lo
	v_cmp_gt_i32_e32 vcc_lo, 31, v5
	v_cndmask_b32_e32 v3, 0x7c00, v3, vcc_lo
	v_cmp_eq_u32_e32 vcc_lo, 0x40f, v5
	s_delay_alu instid0(VALU_DEP_2) | instskip(SKIP_1) | instid1(VALU_DEP_1)
	v_cndmask_b32_e32 v1, v3, v1, vcc_lo
	v_lshrrev_b32_e32 v3, 16, v9
	v_and_or_b32 v1, 0x8000, v3, v1
	s_branch .LBB151_143
.LBB151_141:
	s_mov_b32 s27, -1
                                        ; implicit-def: $vgpr1
	s_branch .LBB151_146
.LBB151_142:
	s_mov_b32 s27, -1
                                        ; implicit-def: $vgpr1
.LBB151_143:
	s_delay_alu instid0(SALU_CYCLE_1)
	s_and_not1_b32 vcc_lo, exec_lo, s27
	s_cbranch_vccnz .LBB151_145
; %bb.144:
	global_load_b32 v1, v[6:7], off
	s_wait_loadcnt 0x0
	v_cvt_f16_f32_e32 v1, v1
.LBB151_145:
	s_mov_b32 s27, 0
.LBB151_146:
	s_delay_alu instid0(SALU_CYCLE_1)
	s_and_not1_b32 vcc_lo, exec_lo, s27
	s_cbranch_vccnz .LBB151_148
; %bb.147:
	global_load_u16 v1, v[6:7], off
.LBB151_148:
	v_mov_b32_e32 v3, 0
.LBB151_149:
	s_cbranch_execnz .LBB151_170
.LBB151_150:
	s_cmp_lt_i32 s0, 2
	s_cbranch_scc1 .LBB151_154
; %bb.151:
	s_cmp_lt_i32 s0, 3
	s_cbranch_scc1 .LBB151_155
; %bb.152:
	s_cmp_gt_i32 s0, 3
	s_cbranch_scc0 .LBB151_156
; %bb.153:
	global_load_b64 v[8:9], v[6:7], off
	s_mov_b32 s27, 0
	s_wait_loadcnt 0x0
	v_xor_b32_e32 v1, v8, v9
	v_cls_i32_e32 v3, v9
	s_delay_alu instid0(VALU_DEP_2) | instskip(NEXT) | instid1(VALU_DEP_1)
	v_ashrrev_i32_e32 v1, 31, v1
	v_add_nc_u32_e32 v1, 32, v1
	s_delay_alu instid0(VALU_DEP_1) | instskip(NEXT) | instid1(VALU_DEP_1)
	v_add_min_u32_e64 v1, v3, -1, v1
	v_lshlrev_b64_e32 v[8:9], v1, v[8:9]
	v_sub_nc_u32_e32 v1, 32, v1
	s_delay_alu instid0(VALU_DEP_2) | instskip(NEXT) | instid1(VALU_DEP_1)
	v_min_u32_e32 v3, 1, v8
	v_or_b32_e32 v3, v9, v3
	s_delay_alu instid0(VALU_DEP_1) | instskip(NEXT) | instid1(VALU_DEP_1)
	v_cvt_f32_i32_e32 v3, v3
	v_ldexp_f32 v1, v3, v1
	s_delay_alu instid0(VALU_DEP_1)
	v_cvt_f16_f32_e32 v1, v1
	s_branch .LBB151_157
.LBB151_154:
	s_mov_b32 s27, -1
                                        ; implicit-def: $vgpr1
	s_branch .LBB151_163
.LBB151_155:
	s_mov_b32 s27, -1
                                        ; implicit-def: $vgpr1
	s_branch .LBB151_160
.LBB151_156:
	s_mov_b32 s27, -1
                                        ; implicit-def: $vgpr1
.LBB151_157:
	s_delay_alu instid0(SALU_CYCLE_1)
	s_and_not1_b32 vcc_lo, exec_lo, s27
	s_cbranch_vccnz .LBB151_159
; %bb.158:
	s_wait_loadcnt 0x0
	global_load_b32 v1, v[6:7], off
	s_wait_loadcnt 0x0
	v_cvt_f32_i32_e32 v1, v1
	s_delay_alu instid0(VALU_DEP_1)
	v_cvt_f16_f32_e32 v1, v1
.LBB151_159:
	s_mov_b32 s27, 0
.LBB151_160:
	s_delay_alu instid0(SALU_CYCLE_1)
	s_and_not1_b32 vcc_lo, exec_lo, s27
	s_cbranch_vccnz .LBB151_162
; %bb.161:
	s_wait_loadcnt 0x0
	global_load_u16 v1, v[6:7], off
	s_wait_loadcnt 0x0
	v_cvt_f16_i16_e32 v1, v1
.LBB151_162:
	s_mov_b32 s27, 0
.LBB151_163:
	s_delay_alu instid0(SALU_CYCLE_1)
	s_and_not1_b32 vcc_lo, exec_lo, s27
	s_cbranch_vccnz .LBB151_169
; %bb.164:
	s_cmp_gt_i32 s0, 0
	s_mov_b32 s0, 0
	s_cbranch_scc0 .LBB151_166
; %bb.165:
	s_wait_loadcnt 0x0
	global_load_i8 v1, v[6:7], off
	s_wait_loadcnt 0x0
	v_cvt_f16_i16_e32 v1, v1
	s_branch .LBB151_167
.LBB151_166:
	s_mov_b32 s0, -1
                                        ; implicit-def: $vgpr1
.LBB151_167:
	s_delay_alu instid0(SALU_CYCLE_1)
	s_and_not1_b32 vcc_lo, exec_lo, s0
	s_cbranch_vccnz .LBB151_169
; %bb.168:
	s_wait_loadcnt 0x0
	global_load_u8 v1, v[6:7], off
	s_wait_loadcnt 0x0
	v_cvt_f16_u16_e32 v1, v1
.LBB151_169:
	v_mov_b32_e32 v3, 0
.LBB151_170:
	s_branch .LBB151_22
.LBB151_171:
	s_mov_b32 s0, 0
	s_mov_b32 s27, 0
	s_branch .LBB151_404
.LBB151_172:
	s_mov_b32 s27, -1
.LBB151_173:
	s_mov_b32 s40, 0
                                        ; implicit-def: $vgpr7
                                        ; implicit-def: $vgpr6
.LBB151_174:
	s_and_b32 vcc_lo, exec_lo, s41
	s_cbranch_vccz .LBB151_290
; %bb.175:
	s_cmp_eq_u32 s39, 44
	s_cbranch_scc0 .LBB151_288
; %bb.176:
	global_load_u8 v6, v[4:5], off
	s_mov_b32 s27, 0
	s_mov_b32 s40, -1
	s_wait_loadcnt 0x0
	v_lshlrev_b32_e32 v7, 23, v6
	v_cmp_ne_u32_e32 vcc_lo, 0xff, v6
	s_delay_alu instid0(VALU_DEP_2) | instskip(NEXT) | instid1(VALU_DEP_1)
	v_cvt_f16_f32_e32 v7, v7
	v_cndmask_b32_e32 v7, 0x7e00, v7, vcc_lo
	v_cmp_ne_u32_e32 vcc_lo, 0, v6
	s_delay_alu instid0(VALU_DEP_2)
	v_cndmask_b32_e32 v6, 0, v7, vcc_lo
	s_branch .LBB151_289
.LBB151_177:
	s_mov_b32 s44, -1
	s_mov_b32 s0, 0
	s_mov_b32 s43, 0
.LBB151_178:
	s_and_b32 vcc_lo, exec_lo, s44
	s_cbranch_vccz .LBB151_183
; %bb.179:
	s_cmp_eq_u32 s41, 44
	s_mov_b32 s0, -1
	s_cbranch_scc0 .LBB151_183
; %bb.180:
	v_cndmask_b32_e64 v5, 0, 1.0, s39
	s_mov_b32 s43, exec_lo
	s_wait_loadcnt 0x0
	s_delay_alu instid0(VALU_DEP_1) | instskip(NEXT) | instid1(VALU_DEP_1)
	v_dual_mov_b32 v4, 0xff :: v_dual_lshrrev_b32 v1, 23, v5
	v_cmpx_ne_u32_e32 0xff, v1
; %bb.181:
	v_and_b32_e32 v4, 0x400000, v5
	v_and_or_b32 v5, 0x3fffff, v5, v1
	s_delay_alu instid0(VALU_DEP_2) | instskip(NEXT) | instid1(VALU_DEP_2)
	v_cmp_ne_u32_e32 vcc_lo, 0, v4
	v_cmp_ne_u32_e64 s0, 0, v5
	s_and_b32 s0, vcc_lo, s0
	s_delay_alu instid0(SALU_CYCLE_1) | instskip(NEXT) | instid1(VALU_DEP_1)
	v_cndmask_b32_e64 v4, 0, 1, s0
	v_add_nc_u32_e32 v4, v1, v4
; %bb.182:
	s_or_b32 exec_lo, exec_lo, s43
	s_mov_b32 s43, -1
	s_mov_b32 s0, 0
	global_store_b8 v[2:3], v4, off
.LBB151_183:
	s_mov_b32 s44, 0
.LBB151_184:
	s_delay_alu instid0(SALU_CYCLE_1)
	s_and_b32 vcc_lo, exec_lo, s44
	s_cbranch_vccz .LBB151_187
; %bb.185:
	s_cmp_eq_u32 s41, 29
	s_mov_b32 s0, -1
	s_cbranch_scc0 .LBB151_187
; %bb.186:
	s_mov_b32 s0, 0
	s_wait_xcnt 0x0
	v_cndmask_b32_e64 v4, 0, 1, s39
	v_mov_b32_e32 v5, s0
	s_mov_b32 s43, -1
	s_mov_b32 s44, 0
	global_store_b64 v[2:3], v[4:5], off
	s_branch .LBB151_188
.LBB151_187:
	s_mov_b32 s44, 0
.LBB151_188:
	s_delay_alu instid0(SALU_CYCLE_1)
	s_and_b32 vcc_lo, exec_lo, s44
	s_cbranch_vccz .LBB151_204
; %bb.189:
	s_cmp_lt_i32 s41, 27
	s_mov_b32 s43, -1
	s_cbranch_scc1 .LBB151_195
; %bb.190:
	s_cmp_gt_i32 s41, 27
	s_cbranch_scc0 .LBB151_192
; %bb.191:
	s_wait_loadcnt 0x0
	v_cndmask_b32_e64 v1, 0, 1, s39
	s_mov_b32 s43, 0
	global_store_b32 v[2:3], v1, off
.LBB151_192:
	s_and_not1_b32 vcc_lo, exec_lo, s43
	s_cbranch_vccnz .LBB151_194
; %bb.193:
	s_wait_loadcnt 0x0
	v_cndmask_b32_e64 v1, 0, 1, s39
	global_store_b16 v[2:3], v1, off
.LBB151_194:
	s_mov_b32 s43, 0
.LBB151_195:
	s_delay_alu instid0(SALU_CYCLE_1)
	s_and_not1_b32 vcc_lo, exec_lo, s43
	s_cbranch_vccnz .LBB151_203
; %bb.196:
	s_wait_xcnt 0x0
	v_cndmask_b32_e64 v4, 0, 1.0, s39
	v_mov_b32_e32 v5, 0x80
	s_mov_b32 s43, exec_lo
	s_delay_alu instid0(VALU_DEP_2)
	v_cmpx_gt_u32_e32 0x43800000, v4
	s_cbranch_execz .LBB151_202
; %bb.197:
	s_mov_b32 s44, 0
	s_mov_b32 s45, exec_lo
                                        ; implicit-def: $vgpr1
	v_cmpx_lt_u32_e32 0x3bffffff, v4
	s_xor_b32 s45, exec_lo, s45
	s_cbranch_execz .LBB151_446
; %bb.198:
	s_wait_loadcnt 0x0
	v_bfe_u32 v1, v4, 20, 1
	s_mov_b32 s44, exec_lo
	s_delay_alu instid0(VALU_DEP_1) | instskip(NEXT) | instid1(VALU_DEP_1)
	v_add3_u32 v1, v4, v1, 0x487ffff
                                        ; implicit-def: $vgpr4
	v_lshrrev_b32_e32 v1, 20, v1
	s_and_not1_saveexec_b32 s45, s45
	s_cbranch_execnz .LBB151_447
.LBB151_199:
	s_or_b32 exec_lo, exec_lo, s45
	v_mov_b32_e32 v5, 0
	s_and_saveexec_b32 s45, s44
	s_cbranch_execz .LBB151_201
.LBB151_200:
	s_wait_loadcnt 0x0
	v_mov_b32_e32 v5, v1
.LBB151_201:
	s_or_b32 exec_lo, exec_lo, s45
.LBB151_202:
	s_delay_alu instid0(SALU_CYCLE_1)
	s_or_b32 exec_lo, exec_lo, s43
	global_store_b8 v[2:3], v5, off
.LBB151_203:
	s_mov_b32 s43, -1
.LBB151_204:
	s_mov_b32 s44, 0
.LBB151_205:
	s_delay_alu instid0(SALU_CYCLE_1)
	s_and_b32 vcc_lo, exec_lo, s44
	s_cbranch_vccz .LBB151_246
; %bb.206:
	s_cmp_gt_i32 s41, 22
	s_mov_b32 s44, -1
	s_cbranch_scc0 .LBB151_238
; %bb.207:
	s_cmp_lt_i32 s41, 24
	s_mov_b32 s43, -1
	s_cbranch_scc1 .LBB151_227
; %bb.208:
	s_cmp_gt_i32 s41, 24
	s_cbranch_scc0 .LBB151_216
; %bb.209:
	s_wait_xcnt 0x0
	v_cndmask_b32_e64 v4, 0, 1.0, s39
	v_mov_b32_e32 v5, 0x80
	s_mov_b32 s43, exec_lo
	s_delay_alu instid0(VALU_DEP_2)
	v_cmpx_gt_u32_e32 0x47800000, v4
	s_cbranch_execz .LBB151_215
; %bb.210:
	s_mov_b32 s44, 0
	s_mov_b32 s45, exec_lo
                                        ; implicit-def: $vgpr1
	v_cmpx_lt_u32_e32 0x37ffffff, v4
	s_xor_b32 s45, exec_lo, s45
	s_cbranch_execz .LBB151_570
; %bb.211:
	s_wait_loadcnt 0x0
	v_bfe_u32 v1, v4, 21, 1
	s_mov_b32 s44, exec_lo
	s_delay_alu instid0(VALU_DEP_1) | instskip(NEXT) | instid1(VALU_DEP_1)
	v_add3_u32 v1, v4, v1, 0x88fffff
                                        ; implicit-def: $vgpr4
	v_lshrrev_b32_e32 v1, 21, v1
	s_and_not1_saveexec_b32 s45, s45
	s_cbranch_execnz .LBB151_571
.LBB151_212:
	s_or_b32 exec_lo, exec_lo, s45
	v_mov_b32_e32 v5, 0
	s_and_saveexec_b32 s45, s44
	s_cbranch_execz .LBB151_214
.LBB151_213:
	s_wait_loadcnt 0x0
	v_mov_b32_e32 v5, v1
.LBB151_214:
	s_or_b32 exec_lo, exec_lo, s45
.LBB151_215:
	s_delay_alu instid0(SALU_CYCLE_1)
	s_or_b32 exec_lo, exec_lo, s43
	s_mov_b32 s43, 0
	global_store_b8 v[2:3], v5, off
.LBB151_216:
	s_and_b32 vcc_lo, exec_lo, s43
	s_cbranch_vccz .LBB151_226
; %bb.217:
	s_wait_xcnt 0x0
	v_cndmask_b32_e64 v4, 0, 1.0, s39
	s_mov_b32 s43, exec_lo
                                        ; implicit-def: $vgpr1
	s_delay_alu instid0(VALU_DEP_1)
	v_cmpx_gt_u32_e32 0x43f00000, v4
	s_xor_b32 s43, exec_lo, s43
	s_cbranch_execz .LBB151_223
; %bb.218:
	s_mov_b32 s44, exec_lo
                                        ; implicit-def: $vgpr1
	v_cmpx_lt_u32_e32 0x3c7fffff, v4
	s_xor_b32 s44, exec_lo, s44
	s_cbranch_execz .LBB151_220
; %bb.219:
	s_wait_loadcnt 0x0
	v_bfe_u32 v1, v4, 20, 1
	s_delay_alu instid0(VALU_DEP_1) | instskip(NEXT) | instid1(VALU_DEP_1)
	v_add3_u32 v1, v4, v1, 0x407ffff
	v_and_b32_e32 v4, 0xff00000, v1
	v_lshrrev_b32_e32 v1, 20, v1
	s_delay_alu instid0(VALU_DEP_2) | instskip(NEXT) | instid1(VALU_DEP_2)
	v_cmp_ne_u32_e32 vcc_lo, 0x7f00000, v4
                                        ; implicit-def: $vgpr4
	v_cndmask_b32_e32 v1, 0x7e, v1, vcc_lo
.LBB151_220:
	s_and_not1_saveexec_b32 s44, s44
	s_cbranch_execz .LBB151_222
; %bb.221:
	s_wait_loadcnt 0x0
	v_add_f32_e32 v1, 0x46800000, v4
.LBB151_222:
	s_or_b32 exec_lo, exec_lo, s44
                                        ; implicit-def: $vgpr4
.LBB151_223:
	s_and_not1_saveexec_b32 s43, s43
	s_cbranch_execz .LBB151_225
; %bb.224:
	s_wait_loadcnt 0x0
	v_mov_b32_e32 v1, 0x7f
	v_cmp_lt_u32_e32 vcc_lo, 0x7f800000, v4
	s_delay_alu instid0(VALU_DEP_2)
	v_cndmask_b32_e32 v1, 0x7e, v1, vcc_lo
.LBB151_225:
	s_or_b32 exec_lo, exec_lo, s43
	s_wait_loadcnt 0x0
	global_store_b8 v[2:3], v1, off
.LBB151_226:
	s_mov_b32 s43, 0
.LBB151_227:
	s_delay_alu instid0(SALU_CYCLE_1)
	s_and_not1_b32 vcc_lo, exec_lo, s43
	s_cbranch_vccnz .LBB151_237
; %bb.228:
	s_wait_xcnt 0x0
	v_cndmask_b32_e64 v4, 0, 1.0, s39
	s_mov_b32 s43, exec_lo
                                        ; implicit-def: $vgpr1
	s_delay_alu instid0(VALU_DEP_1)
	v_cmpx_gt_u32_e32 0x47800000, v4
	s_xor_b32 s43, exec_lo, s43
	s_cbranch_execz .LBB151_234
; %bb.229:
	s_mov_b32 s44, exec_lo
                                        ; implicit-def: $vgpr1
	v_cmpx_lt_u32_e32 0x387fffff, v4
	s_xor_b32 s44, exec_lo, s44
	s_cbranch_execz .LBB151_231
; %bb.230:
	s_wait_loadcnt 0x0
	v_bfe_u32 v1, v4, 21, 1
	s_delay_alu instid0(VALU_DEP_1) | instskip(NEXT) | instid1(VALU_DEP_1)
	v_add3_u32 v1, v4, v1, 0x80fffff
                                        ; implicit-def: $vgpr4
	v_lshrrev_b32_e32 v1, 21, v1
.LBB151_231:
	s_and_not1_saveexec_b32 s44, s44
	s_cbranch_execz .LBB151_233
; %bb.232:
	s_wait_loadcnt 0x0
	v_add_f32_e32 v1, 0x43000000, v4
.LBB151_233:
	s_or_b32 exec_lo, exec_lo, s44
                                        ; implicit-def: $vgpr4
.LBB151_234:
	s_and_not1_saveexec_b32 s43, s43
	s_cbranch_execz .LBB151_236
; %bb.235:
	s_wait_loadcnt 0x0
	v_mov_b32_e32 v1, 0x7f
	v_cmp_lt_u32_e32 vcc_lo, 0x7f800000, v4
	s_delay_alu instid0(VALU_DEP_2)
	v_cndmask_b32_e32 v1, 0x7c, v1, vcc_lo
.LBB151_236:
	s_or_b32 exec_lo, exec_lo, s43
	s_wait_loadcnt 0x0
	global_store_b8 v[2:3], v1, off
.LBB151_237:
	s_mov_b32 s44, 0
	s_mov_b32 s43, -1
.LBB151_238:
	s_and_not1_b32 vcc_lo, exec_lo, s44
	s_cbranch_vccnz .LBB151_246
; %bb.239:
	s_cmp_gt_i32 s41, 14
	s_mov_b32 s44, -1
	s_cbranch_scc0 .LBB151_243
; %bb.240:
	s_cmp_eq_u32 s41, 15
	s_mov_b32 s0, -1
	s_cbranch_scc0 .LBB151_242
; %bb.241:
	s_wait_loadcnt 0x0
	v_cndmask_b32_e64 v1, 0, 1.0, s39
	s_mov_b32 s43, -1
	s_mov_b32 s0, 0
	s_delay_alu instid0(VALU_DEP_1) | instskip(NEXT) | instid1(VALU_DEP_1)
	v_bfe_u32 v4, v1, 16, 1
	v_add3_u32 v1, v1, v4, 0x7fff
	global_store_d16_hi_b16 v[2:3], v1, off
.LBB151_242:
	s_mov_b32 s44, 0
.LBB151_243:
	s_delay_alu instid0(SALU_CYCLE_1)
	s_and_b32 vcc_lo, exec_lo, s44
	s_cbranch_vccz .LBB151_246
; %bb.244:
	s_cmp_eq_u32 s41, 11
	s_mov_b32 s0, -1
	s_cbranch_scc0 .LBB151_246
; %bb.245:
	s_wait_loadcnt 0x0
	v_cndmask_b32_e64 v1, 0, 1, s39
	s_mov_b32 s43, -1
	s_mov_b32 s0, 0
	global_store_b8 v[2:3], v1, off
.LBB151_246:
	s_mov_b32 s41, 0
.LBB151_247:
	s_delay_alu instid0(SALU_CYCLE_1)
	s_and_b32 vcc_lo, exec_lo, s41
	s_cbranch_vccz .LBB151_286
; %bb.248:
	s_and_b32 s40, 0xffff, s40
	s_mov_b32 s41, -1
	s_cmp_lt_i32 s40, 5
	s_cbranch_scc1 .LBB151_269
; %bb.249:
	s_cmp_lt_i32 s40, 8
	s_cbranch_scc1 .LBB151_259
; %bb.250:
	;; [unrolled: 3-line block ×3, first 2 shown]
	s_cmp_gt_i32 s40, 9
	s_cbranch_scc0 .LBB151_253
; %bb.252:
	s_wait_loadcnt 0x0
	v_cndmask_b32_e64 v1, 0, 1, s39
	v_mov_b32_e32 v6, 0
	s_mov_b32 s41, 0
	s_delay_alu instid0(VALU_DEP_2) | instskip(NEXT) | instid1(VALU_DEP_2)
	v_cvt_f64_u32_e32 v[4:5], v1
	v_mov_b32_e32 v7, v6
	global_store_b128 v[2:3], v[4:7], off
.LBB151_253:
	s_and_not1_b32 vcc_lo, exec_lo, s41
	s_cbranch_vccnz .LBB151_255
; %bb.254:
	s_wait_xcnt 0x0
	v_cndmask_b32_e64 v4, 0, 1.0, s39
	v_mov_b32_e32 v5, 0
	global_store_b64 v[2:3], v[4:5], off
.LBB151_255:
	s_mov_b32 s41, 0
.LBB151_256:
	s_delay_alu instid0(SALU_CYCLE_1)
	s_and_not1_b32 vcc_lo, exec_lo, s41
	s_cbranch_vccnz .LBB151_258
; %bb.257:
	s_wait_loadcnt 0x0
	v_cndmask_b32_e64 v1, 0, 1.0, s39
	s_delay_alu instid0(VALU_DEP_1) | instskip(NEXT) | instid1(VALU_DEP_1)
	v_cvt_f16_f32_e32 v1, v1
	v_and_b32_e32 v1, 0xffff, v1
	global_store_b32 v[2:3], v1, off
.LBB151_258:
	s_mov_b32 s41, 0
.LBB151_259:
	s_delay_alu instid0(SALU_CYCLE_1)
	s_and_not1_b32 vcc_lo, exec_lo, s41
	s_cbranch_vccnz .LBB151_268
; %bb.260:
	s_cmp_lt_i32 s40, 6
	s_mov_b32 s41, -1
	s_cbranch_scc1 .LBB151_266
; %bb.261:
	s_cmp_gt_i32 s40, 6
	s_cbranch_scc0 .LBB151_263
; %bb.262:
	s_wait_loadcnt 0x0
	v_cndmask_b32_e64 v1, 0, 1, s39
	s_mov_b32 s41, 0
	s_delay_alu instid0(VALU_DEP_1)
	v_cvt_f64_u32_e32 v[4:5], v1
	global_store_b64 v[2:3], v[4:5], off
.LBB151_263:
	s_and_not1_b32 vcc_lo, exec_lo, s41
	s_cbranch_vccnz .LBB151_265
; %bb.264:
	s_wait_loadcnt 0x0
	v_cndmask_b32_e64 v1, 0, 1.0, s39
	global_store_b32 v[2:3], v1, off
.LBB151_265:
	s_mov_b32 s41, 0
.LBB151_266:
	s_delay_alu instid0(SALU_CYCLE_1)
	s_and_not1_b32 vcc_lo, exec_lo, s41
	s_cbranch_vccnz .LBB151_268
; %bb.267:
	s_wait_loadcnt 0x0
	v_cndmask_b32_e64 v1, 0, 1.0, s39
	s_delay_alu instid0(VALU_DEP_1)
	v_cvt_f16_f32_e32 v1, v1
	global_store_b16 v[2:3], v1, off
.LBB151_268:
	s_mov_b32 s41, 0
.LBB151_269:
	s_delay_alu instid0(SALU_CYCLE_1)
	s_and_not1_b32 vcc_lo, exec_lo, s41
	s_cbranch_vccnz .LBB151_285
; %bb.270:
	s_cmp_lt_i32 s40, 2
	s_mov_b32 s41, -1
	s_cbranch_scc1 .LBB151_280
; %bb.271:
	s_cmp_lt_i32 s40, 3
	s_cbranch_scc1 .LBB151_277
; %bb.272:
	s_cmp_gt_i32 s40, 3
	s_cbranch_scc0 .LBB151_274
; %bb.273:
	s_mov_b32 s41, 0
	s_wait_xcnt 0x0
	v_cndmask_b32_e64 v4, 0, 1, s39
	v_mov_b32_e32 v5, s41
	global_store_b64 v[2:3], v[4:5], off
.LBB151_274:
	s_and_not1_b32 vcc_lo, exec_lo, s41
	s_cbranch_vccnz .LBB151_276
; %bb.275:
	s_wait_loadcnt 0x0
	v_cndmask_b32_e64 v1, 0, 1, s39
	global_store_b32 v[2:3], v1, off
.LBB151_276:
	s_mov_b32 s41, 0
.LBB151_277:
	s_delay_alu instid0(SALU_CYCLE_1)
	s_and_not1_b32 vcc_lo, exec_lo, s41
	s_cbranch_vccnz .LBB151_279
; %bb.278:
	s_wait_loadcnt 0x0
	v_cndmask_b32_e64 v1, 0, 1, s39
	global_store_b16 v[2:3], v1, off
.LBB151_279:
	s_mov_b32 s41, 0
.LBB151_280:
	s_delay_alu instid0(SALU_CYCLE_1)
	s_and_not1_b32 vcc_lo, exec_lo, s41
	s_cbranch_vccnz .LBB151_285
; %bb.281:
	s_cmp_gt_i32 s40, 0
	s_mov_b32 s40, -1
	s_cbranch_scc0 .LBB151_283
; %bb.282:
	s_wait_loadcnt 0x0
	v_cndmask_b32_e64 v1, 0, 1, s39
	s_mov_b32 s40, 0
	global_store_b8 v[2:3], v1, off
.LBB151_283:
	s_and_not1_b32 vcc_lo, exec_lo, s40
	s_cbranch_vccnz .LBB151_285
; %bb.284:
	s_wait_loadcnt 0x0
	v_cndmask_b32_e64 v1, 0, 1, s39
	global_store_b8 v[2:3], v1, off
.LBB151_285:
	s_mov_b32 s43, -1
.LBB151_286:
	s_delay_alu instid0(SALU_CYCLE_1)
	s_and_not1_b32 vcc_lo, exec_lo, s43
	s_cbranch_vccnz .LBB151_404
; %bb.287:
	v_add_nc_u32_e32 v0, 0x80, v0
	s_mov_b32 s43, -1
	s_branch .LBB151_405
.LBB151_288:
	s_mov_b32 s27, -1
                                        ; implicit-def: $vgpr6
.LBB151_289:
	s_wait_xcnt 0x0
	v_mov_b32_e32 v7, 0
.LBB151_290:
	s_mov_b32 s41, 0
.LBB151_291:
	s_delay_alu instid0(SALU_CYCLE_1)
	s_and_b32 vcc_lo, exec_lo, s41
	s_cbranch_vccz .LBB151_296
; %bb.292:
	s_cmp_eq_u32 s39, 29
	s_cbranch_scc0 .LBB151_294
; %bb.293:
	global_load_b64 v[6:7], v[4:5], off
	s_mov_b32 s40, -1
	s_mov_b32 s27, 0
	s_wait_loadcnt 0x0
	v_clz_i32_u32_e32 v8, v7
	s_delay_alu instid0(VALU_DEP_1) | instskip(NEXT) | instid1(VALU_DEP_1)
	v_min_u32_e32 v8, 32, v8
	v_lshlrev_b64_e32 v[6:7], v8, v[6:7]
	s_delay_alu instid0(VALU_DEP_1) | instskip(NEXT) | instid1(VALU_DEP_1)
	v_min_u32_e32 v6, 1, v6
	v_dual_sub_nc_u32 v7, 32, v8 :: v_dual_bitop2_b32 v6, v7, v6 bitop3:0x54
	s_delay_alu instid0(VALU_DEP_1) | instskip(NEXT) | instid1(VALU_DEP_1)
	v_cvt_f32_u32_e32 v6, v6
	v_ldexp_f32 v6, v6, v7
	s_delay_alu instid0(VALU_DEP_1)
	v_cvt_f16_f32_e32 v6, v6
	s_branch .LBB151_295
.LBB151_294:
	s_mov_b32 s27, -1
                                        ; implicit-def: $vgpr6
.LBB151_295:
	s_wait_xcnt 0x0
	v_mov_b32_e32 v7, 0
.LBB151_296:
	s_mov_b32 s41, 0
.LBB151_297:
	s_delay_alu instid0(SALU_CYCLE_1)
	s_and_b32 vcc_lo, exec_lo, s41
	s_cbranch_vccz .LBB151_315
; %bb.298:
	s_cmp_lt_i32 s39, 27
	s_cbranch_scc1 .LBB151_301
; %bb.299:
	s_cmp_gt_i32 s39, 27
	s_cbranch_scc0 .LBB151_302
; %bb.300:
	global_load_b32 v6, v[4:5], off
	s_mov_b32 s40, 0
	s_wait_loadcnt 0x0
	v_cvt_f32_u32_e32 v6, v6
	s_delay_alu instid0(VALU_DEP_1)
	v_cvt_f16_f32_e32 v6, v6
	s_branch .LBB151_303
.LBB151_301:
	s_mov_b32 s40, -1
                                        ; implicit-def: $vgpr6
	s_branch .LBB151_306
.LBB151_302:
	s_mov_b32 s40, -1
                                        ; implicit-def: $vgpr6
.LBB151_303:
	s_delay_alu instid0(SALU_CYCLE_1)
	s_and_not1_b32 vcc_lo, exec_lo, s40
	s_cbranch_vccnz .LBB151_305
; %bb.304:
	global_load_u16 v6, v[4:5], off
	s_wait_loadcnt 0x0
	v_cvt_f16_u16_e32 v6, v6
.LBB151_305:
	s_mov_b32 s40, 0
.LBB151_306:
	s_delay_alu instid0(SALU_CYCLE_1)
	s_and_not1_b32 vcc_lo, exec_lo, s40
	s_cbranch_vccnz .LBB151_314
; %bb.307:
	global_load_u8 v7, v[4:5], off
	s_mov_b32 s40, 0
	s_mov_b32 s41, exec_lo
	s_wait_loadcnt 0x0
	v_cmpx_lt_i16_e32 0x7f, v7
	s_xor_b32 s41, exec_lo, s41
	s_cbranch_execz .LBB151_328
; %bb.308:
	s_mov_b32 s40, -1
	s_mov_b32 s43, exec_lo
	v_cmpx_eq_u16_e32 0x80, v7
; %bb.309:
	s_xor_b32 s40, exec_lo, -1
; %bb.310:
	s_or_b32 exec_lo, exec_lo, s43
	s_delay_alu instid0(SALU_CYCLE_1)
	s_and_b32 s40, s40, exec_lo
	s_or_saveexec_b32 s41, s41
	v_mov_b32_e32 v6, 0x7e00
	s_xor_b32 exec_lo, exec_lo, s41
	s_cbranch_execnz .LBB151_329
.LBB151_311:
	s_or_b32 exec_lo, exec_lo, s41
	s_and_saveexec_b32 s41, s40
	s_cbranch_execz .LBB151_313
.LBB151_312:
	v_and_b32_e32 v6, 0xffff, v7
	s_delay_alu instid0(VALU_DEP_1) | instskip(SKIP_1) | instid1(VALU_DEP_2)
	v_and_b32_e32 v8, 7, v6
	v_bfe_u32 v11, v6, 3, 4
	v_clz_i32_u32_e32 v9, v8
	s_delay_alu instid0(VALU_DEP_2) | instskip(NEXT) | instid1(VALU_DEP_2)
	v_cmp_eq_u32_e32 vcc_lo, 0, v11
	v_min_u32_e32 v9, 32, v9
	s_delay_alu instid0(VALU_DEP_1) | instskip(NEXT) | instid1(VALU_DEP_1)
	v_subrev_nc_u32_e32 v10, 28, v9
	v_dual_lshlrev_b32 v6, v10, v6 :: v_dual_sub_nc_u32 v9, 29, v9
	s_delay_alu instid0(VALU_DEP_1) | instskip(NEXT) | instid1(VALU_DEP_1)
	v_dual_lshlrev_b32 v7, 24, v7 :: v_dual_bitop2_b32 v6, 7, v6 bitop3:0x40
	v_dual_cndmask_b32 v9, v11, v9 :: v_dual_cndmask_b32 v6, v8, v6
	s_delay_alu instid0(VALU_DEP_2) | instskip(NEXT) | instid1(VALU_DEP_2)
	v_and_b32_e32 v7, 0x80000000, v7
	v_lshl_add_u32 v8, v9, 23, 0x3b800000
	s_delay_alu instid0(VALU_DEP_3) | instskip(NEXT) | instid1(VALU_DEP_1)
	v_lshlrev_b32_e32 v6, 20, v6
	v_or3_b32 v6, v7, v8, v6
	s_delay_alu instid0(VALU_DEP_1)
	v_cvt_f16_f32_e32 v6, v6
.LBB151_313:
	s_or_b32 exec_lo, exec_lo, s41
.LBB151_314:
	s_wait_xcnt 0x0
	v_mov_b32_e32 v7, 0
	s_mov_b32 s40, -1
.LBB151_315:
	s_mov_b32 s41, 0
.LBB151_316:
	s_delay_alu instid0(SALU_CYCLE_1)
	s_and_b32 vcc_lo, exec_lo, s41
	s_cbranch_vccz .LBB151_352
; %bb.317:
	s_cmp_gt_i32 s39, 22
	s_cbranch_scc0 .LBB151_327
; %bb.318:
	s_cmp_lt_i32 s39, 24
	s_cbranch_scc1 .LBB151_330
; %bb.319:
	s_cmp_gt_i32 s39, 24
	s_cbranch_scc0 .LBB151_331
; %bb.320:
	global_load_u8 v7, v[4:5], off
	s_mov_b32 s40, 0
	s_mov_b32 s41, exec_lo
	s_wait_loadcnt 0x0
	v_cmpx_lt_i16_e32 0x7f, v7
	s_xor_b32 s41, exec_lo, s41
	s_cbranch_execz .LBB151_343
; %bb.321:
	s_mov_b32 s40, -1
	s_mov_b32 s43, exec_lo
	v_cmpx_eq_u16_e32 0x80, v7
; %bb.322:
	s_xor_b32 s40, exec_lo, -1
; %bb.323:
	s_or_b32 exec_lo, exec_lo, s43
	s_delay_alu instid0(SALU_CYCLE_1)
	s_and_b32 s40, s40, exec_lo
	s_or_saveexec_b32 s41, s41
	v_mov_b32_e32 v6, 0x7e00
	s_xor_b32 exec_lo, exec_lo, s41
	s_cbranch_execnz .LBB151_344
.LBB151_324:
	s_or_b32 exec_lo, exec_lo, s41
	s_and_saveexec_b32 s41, s40
	s_cbranch_execz .LBB151_326
.LBB151_325:
	v_and_b32_e32 v6, 0xffff, v7
	s_delay_alu instid0(VALU_DEP_1) | instskip(SKIP_1) | instid1(VALU_DEP_2)
	v_and_b32_e32 v8, 3, v6
	v_bfe_u32 v11, v6, 2, 5
	v_clz_i32_u32_e32 v9, v8
	s_delay_alu instid0(VALU_DEP_2) | instskip(NEXT) | instid1(VALU_DEP_2)
	v_cmp_eq_u32_e32 vcc_lo, 0, v11
	v_min_u32_e32 v9, 32, v9
	s_delay_alu instid0(VALU_DEP_1) | instskip(NEXT) | instid1(VALU_DEP_1)
	v_subrev_nc_u32_e32 v10, 29, v9
	v_dual_lshlrev_b32 v6, v10, v6 :: v_dual_sub_nc_u32 v9, 30, v9
	s_delay_alu instid0(VALU_DEP_1) | instskip(NEXT) | instid1(VALU_DEP_1)
	v_dual_lshlrev_b32 v7, 24, v7 :: v_dual_bitop2_b32 v6, 3, v6 bitop3:0x40
	v_dual_cndmask_b32 v9, v11, v9 :: v_dual_cndmask_b32 v6, v8, v6
	s_delay_alu instid0(VALU_DEP_2) | instskip(NEXT) | instid1(VALU_DEP_2)
	v_and_b32_e32 v7, 0x80000000, v7
	v_lshl_add_u32 v8, v9, 23, 0x37800000
	s_delay_alu instid0(VALU_DEP_3) | instskip(NEXT) | instid1(VALU_DEP_1)
	v_lshlrev_b32_e32 v6, 21, v6
	v_or3_b32 v6, v7, v8, v6
	s_delay_alu instid0(VALU_DEP_1)
	v_cvt_f16_f32_e32 v6, v6
.LBB151_326:
	s_or_b32 exec_lo, exec_lo, s41
	s_mov_b32 s40, 0
	s_branch .LBB151_332
.LBB151_327:
	s_mov_b32 s41, -1
                                        ; implicit-def: $vgpr6
	s_branch .LBB151_338
.LBB151_328:
	s_or_saveexec_b32 s41, s41
	v_mov_b32_e32 v6, 0x7e00
	s_xor_b32 exec_lo, exec_lo, s41
	s_cbranch_execz .LBB151_311
.LBB151_329:
	v_cmp_ne_u16_e32 vcc_lo, 0, v7
	v_mov_b32_e32 v6, v7
	s_and_not1_b32 s40, s40, exec_lo
	s_and_b32 s43, vcc_lo, exec_lo
	s_delay_alu instid0(SALU_CYCLE_1)
	s_or_b32 s40, s40, s43
	s_or_b32 exec_lo, exec_lo, s41
	s_and_saveexec_b32 s41, s40
	s_cbranch_execnz .LBB151_312
	s_branch .LBB151_313
.LBB151_330:
	s_mov_b32 s40, -1
                                        ; implicit-def: $vgpr6
	s_branch .LBB151_335
.LBB151_331:
	s_mov_b32 s40, -1
                                        ; implicit-def: $vgpr6
.LBB151_332:
	s_delay_alu instid0(SALU_CYCLE_1)
	s_and_b32 vcc_lo, exec_lo, s40
	s_cbranch_vccz .LBB151_334
; %bb.333:
	global_load_u8 v6, v[4:5], off
	s_wait_loadcnt 0x0
	v_lshlrev_b32_e32 v6, 24, v6
	s_delay_alu instid0(VALU_DEP_1) | instskip(NEXT) | instid1(VALU_DEP_1)
	v_and_b32_e32 v7, 0x7f000000, v6
	v_clz_i32_u32_e32 v8, v7
	v_cmp_ne_u32_e32 vcc_lo, 0, v7
	v_add_nc_u32_e32 v10, 0x1000000, v7
	s_delay_alu instid0(VALU_DEP_3) | instskip(NEXT) | instid1(VALU_DEP_1)
	v_min_u32_e32 v8, 32, v8
	v_sub_nc_u32_e64 v8, v8, 4 clamp
	s_delay_alu instid0(VALU_DEP_1) | instskip(NEXT) | instid1(VALU_DEP_1)
	v_dual_lshlrev_b32 v9, v8, v7 :: v_dual_lshlrev_b32 v8, 23, v8
	v_lshrrev_b32_e32 v9, 4, v9
	s_delay_alu instid0(VALU_DEP_1) | instskip(NEXT) | instid1(VALU_DEP_1)
	v_dual_sub_nc_u32 v8, v9, v8 :: v_dual_ashrrev_i32 v9, 8, v10
	v_add_nc_u32_e32 v8, 0x3c000000, v8
	s_delay_alu instid0(VALU_DEP_1) | instskip(NEXT) | instid1(VALU_DEP_1)
	v_and_or_b32 v8, 0x7f800000, v9, v8
	v_cndmask_b32_e32 v7, 0, v8, vcc_lo
	s_delay_alu instid0(VALU_DEP_1) | instskip(NEXT) | instid1(VALU_DEP_1)
	v_and_or_b32 v6, 0x80000000, v6, v7
	v_cvt_f16_f32_e32 v6, v6
.LBB151_334:
	s_mov_b32 s40, 0
.LBB151_335:
	s_delay_alu instid0(SALU_CYCLE_1)
	s_and_not1_b32 vcc_lo, exec_lo, s40
	s_cbranch_vccnz .LBB151_337
; %bb.336:
	global_load_u8 v6, v[4:5], off
	s_wait_loadcnt 0x0
	v_lshlrev_b32_e32 v7, 25, v6
	v_lshlrev_b16 v6, 8, v6
	s_delay_alu instid0(VALU_DEP_1) | instskip(SKIP_1) | instid1(VALU_DEP_2)
	v_and_or_b32 v9, 0x7f00, v6, 0.5
	v_bfe_i32 v6, v6, 0, 16
	v_dual_add_f32 v9, -0.5, v9 :: v_dual_lshrrev_b32 v8, 4, v7
	v_cmp_gt_u32_e32 vcc_lo, 0x8000000, v7
	s_delay_alu instid0(VALU_DEP_2) | instskip(NEXT) | instid1(VALU_DEP_1)
	v_or_b32_e32 v8, 0x70000000, v8
	v_mul_f32_e32 v8, 0x7800000, v8
	s_delay_alu instid0(VALU_DEP_1) | instskip(NEXT) | instid1(VALU_DEP_1)
	v_cndmask_b32_e32 v7, v8, v9, vcc_lo
	v_and_or_b32 v6, 0x80000000, v6, v7
	s_delay_alu instid0(VALU_DEP_1)
	v_cvt_f16_f32_e32 v6, v6
.LBB151_337:
	s_mov_b32 s41, 0
	s_mov_b32 s40, -1
.LBB151_338:
	s_and_not1_b32 vcc_lo, exec_lo, s41
	s_cbranch_vccnz .LBB151_351
; %bb.339:
	s_cmp_gt_i32 s39, 14
	s_cbranch_scc0 .LBB151_342
; %bb.340:
	s_cmp_eq_u32 s39, 15
	s_cbranch_scc0 .LBB151_345
; %bb.341:
	global_load_u16 v6, v[4:5], off
	s_mov_b32 s40, -1
	s_mov_b32 s27, 0
	s_wait_loadcnt 0x0
	v_lshlrev_b32_e32 v6, 16, v6
	s_delay_alu instid0(VALU_DEP_1)
	v_cvt_f16_f32_e32 v6, v6
	s_branch .LBB151_346
.LBB151_342:
	s_mov_b32 s41, -1
                                        ; implicit-def: $vgpr6
	s_branch .LBB151_347
.LBB151_343:
	s_or_saveexec_b32 s41, s41
	v_mov_b32_e32 v6, 0x7e00
	s_xor_b32 exec_lo, exec_lo, s41
	s_cbranch_execz .LBB151_324
.LBB151_344:
	v_cmp_ne_u16_e32 vcc_lo, 0, v7
	v_mov_b32_e32 v6, v7
	s_and_not1_b32 s40, s40, exec_lo
	s_and_b32 s43, vcc_lo, exec_lo
	s_delay_alu instid0(SALU_CYCLE_1)
	s_or_b32 s40, s40, s43
	s_or_b32 exec_lo, exec_lo, s41
	s_and_saveexec_b32 s41, s40
	s_cbranch_execnz .LBB151_325
	s_branch .LBB151_326
.LBB151_345:
	s_mov_b32 s27, -1
                                        ; implicit-def: $vgpr6
.LBB151_346:
	s_mov_b32 s41, 0
.LBB151_347:
	s_delay_alu instid0(SALU_CYCLE_1)
	s_and_b32 vcc_lo, exec_lo, s41
	s_cbranch_vccz .LBB151_351
; %bb.348:
	s_cmp_eq_u32 s39, 11
	s_cbranch_scc0 .LBB151_350
; %bb.349:
	global_load_u8 v6, v[4:5], off
	s_mov_b32 s27, 0
	s_mov_b32 s40, -1
	v_mov_b32_e32 v7, 0
	s_wait_loadcnt 0x0
	v_cmp_ne_u16_e32 vcc_lo, 0, v6
	v_cndmask_b32_e64 v6, 0, 0x3c00, vcc_lo
	s_branch .LBB151_352
.LBB151_350:
	s_mov_b32 s27, -1
                                        ; implicit-def: $vgpr6
.LBB151_351:
	s_wait_xcnt 0x0
	v_mov_b32_e32 v7, 0
.LBB151_352:
	s_branch .LBB151_31
.LBB151_353:
	s_and_b32 s0, 0xffff, s0
	s_delay_alu instid0(SALU_CYCLE_1)
	s_cmp_lt_i32 s0, 5
	s_cbranch_scc1 .LBB151_358
; %bb.354:
	s_cmp_lt_i32 s0, 8
	s_cbranch_scc1 .LBB151_359
; %bb.355:
	;; [unrolled: 3-line block ×3, first 2 shown]
	s_cmp_gt_i32 s0, 9
	s_cbranch_scc0 .LBB151_361
; %bb.357:
	global_load_b128 v[6:9], v[4:5], off
	v_mov_b32_e32 v18, 0x7e00
	s_mov_b32 s39, 0
	s_wait_loadcnt 0x0
	v_and_or_b32 v6, 0x1ff, v7, v6
	v_and_or_b32 v8, 0x1ff, v9, v8
	v_dual_lshrrev_b32 v10, 8, v7 :: v_dual_lshrrev_b32 v12, 8, v9
	v_bfe_u32 v11, v7, 20, 11
	s_delay_alu instid0(VALU_DEP_4) | instskip(SKIP_2) | instid1(VALU_DEP_4)
	v_cmp_ne_u32_e32 vcc_lo, 0, v6
	v_bfe_u32 v13, v9, 20, 11
	v_dual_lshrrev_b32 v7, 16, v7 :: v_dual_lshrrev_b32 v9, 16, v9
	v_sub_nc_u32_e32 v14, 0x3f1, v11
	v_cndmask_b32_e64 v6, 0, 1, vcc_lo
	v_cmp_ne_u32_e32 vcc_lo, 0, v8
	s_delay_alu instid0(VALU_DEP_2) | instskip(SKIP_2) | instid1(VALU_DEP_2)
	v_and_or_b32 v6, 0xffe, v10, v6
	v_cndmask_b32_e64 v8, 0, 1, vcc_lo
	v_sub_nc_u32_e32 v10, 0x3f1, v13
	v_and_or_b32 v8, 0xffe, v12, v8
	v_med3_i32 v12, v14, 0, 13
	v_or_b32_e32 v14, 0x1000, v6
	s_delay_alu instid0(VALU_DEP_4) | instskip(NEXT) | instid1(VALU_DEP_4)
	v_med3_i32 v10, v10, 0, 13
	v_or_b32_e32 v15, 0x1000, v8
	s_delay_alu instid0(VALU_DEP_1) | instskip(NEXT) | instid1(VALU_DEP_1)
	v_dual_lshrrev_b32 v16, v12, v14 :: v_dual_lshrrev_b32 v17, v10, v15
	v_dual_lshlrev_b32 v12, v12, v16 :: v_dual_lshlrev_b32 v10, v10, v17
	s_delay_alu instid0(VALU_DEP_1) | instskip(SKIP_1) | instid1(VALU_DEP_3)
	v_cmp_ne_u32_e32 vcc_lo, v12, v14
	v_cndmask_b32_e64 v12, 0, 1, vcc_lo
	v_cmp_ne_u32_e32 vcc_lo, v10, v15
	s_delay_alu instid0(VALU_DEP_2) | instskip(SKIP_2) | instid1(VALU_DEP_2)
	v_or_b32_e32 v12, v16, v12
	v_add_nc_u32_e32 v11, 0xfffffc10, v11
	v_cndmask_b32_e64 v10, 0, 1, vcc_lo
	v_lshl_or_b32 v14, v11, 12, v6
	v_cmp_gt_i32_e32 vcc_lo, 1, v11
	s_delay_alu instid0(VALU_DEP_2) | instskip(NEXT) | instid1(VALU_DEP_1)
	v_dual_cndmask_b32 v12, v14, v12, vcc_lo :: v_dual_bitop2_b32 v10, v17, v10 bitop3:0x54
	v_dual_lshrrev_b32 v12, 2, v12 :: v_dual_bitop2_b32 v14, 7, v12 bitop3:0x40
	v_add_nc_u32_e32 v13, 0xfffffc10, v13
	s_delay_alu instid0(VALU_DEP_1) | instskip(SKIP_1) | instid1(VALU_DEP_2)
	v_lshl_or_b32 v15, v13, 12, v8
	v_cmp_gt_i32_e32 vcc_lo, 1, v13
	v_cndmask_b32_e32 v10, v15, v10, vcc_lo
	v_cmp_lt_i32_e32 vcc_lo, 5, v14
	s_delay_alu instid0(VALU_DEP_2)
	v_and_b32_e32 v15, 7, v10
	v_cndmask_b32_e64 v16, 0, 1, vcc_lo
	v_cmp_eq_u32_e32 vcc_lo, 3, v14
	v_lshrrev_b32_e32 v10, 2, v10
	v_cndmask_b32_e64 v14, 0, 1, vcc_lo
	v_cmp_lt_i32_e32 vcc_lo, 5, v15
	v_cndmask_b32_e64 v17, 0, 1, vcc_lo
	v_cmp_eq_u32_e32 vcc_lo, 3, v15
	v_cndmask_b32_e64 v15, 0, 1, vcc_lo
	v_cmp_ne_u32_e32 vcc_lo, 0, v6
	v_cndmask_b32_e32 v6, 0x7c00, v18, vcc_lo
	v_or_b32_e32 v14, v14, v16
	v_cmp_ne_u32_e32 vcc_lo, 0, v8
	s_delay_alu instid0(VALU_DEP_2) | instskip(SKIP_2) | instid1(VALU_DEP_3)
	v_dual_add_nc_u32 v12, v12, v14 :: v_dual_bitop2_b32 v15, v15, v17 bitop3:0x54
	v_cndmask_b32_e32 v8, 0x7c00, v18, vcc_lo
	v_cmp_gt_i32_e32 vcc_lo, 31, v11
	v_add_nc_u32_e32 v10, v10, v15
	s_delay_alu instid0(VALU_DEP_4) | instskip(SKIP_1) | instid1(VALU_DEP_3)
	v_cndmask_b32_e32 v12, 0x7c00, v12, vcc_lo
	v_cmp_gt_i32_e32 vcc_lo, 31, v13
	v_cndmask_b32_e32 v10, 0x7c00, v10, vcc_lo
	v_cmp_eq_u32_e32 vcc_lo, 0x40f, v11
	s_delay_alu instid0(VALU_DEP_4) | instskip(SKIP_1) | instid1(VALU_DEP_2)
	v_cndmask_b32_e32 v6, v12, v6, vcc_lo
	v_cmp_eq_u32_e32 vcc_lo, 0x40f, v13
	v_and_or_b32 v6, 0x8000, v7, v6
	v_cndmask_b32_e32 v8, v10, v8, vcc_lo
	s_delay_alu instid0(VALU_DEP_1)
	v_and_or_b32 v7, 0x8000, v9, v8
	s_branch .LBB151_362
.LBB151_358:
	s_mov_b32 s39, -1
                                        ; implicit-def: $vgpr7
                                        ; implicit-def: $vgpr6
	s_branch .LBB151_381
.LBB151_359:
	s_mov_b32 s39, -1
                                        ; implicit-def: $vgpr7
                                        ; implicit-def: $vgpr6
	s_branch .LBB151_368
.LBB151_360:
	s_mov_b32 s39, -1
                                        ; implicit-def: $vgpr7
                                        ; implicit-def: $vgpr6
	s_branch .LBB151_365
.LBB151_361:
	s_mov_b32 s39, -1
                                        ; implicit-def: $vgpr7
                                        ; implicit-def: $vgpr6
.LBB151_362:
	s_delay_alu instid0(SALU_CYCLE_1)
	s_and_not1_b32 vcc_lo, exec_lo, s39
	s_cbranch_vccnz .LBB151_364
; %bb.363:
	global_load_b64 v[6:7], v[4:5], off
	s_wait_loadcnt 0x0
	v_cvt_f16_f32_e32 v6, v6
	v_cvt_f16_f32_e32 v7, v7
.LBB151_364:
	s_mov_b32 s39, 0
.LBB151_365:
	s_delay_alu instid0(SALU_CYCLE_1)
	s_and_not1_b32 vcc_lo, exec_lo, s39
	s_cbranch_vccnz .LBB151_367
; %bb.366:
	global_load_b32 v6, v[4:5], off
	s_wait_loadcnt 0x0
	v_lshrrev_b32_e32 v7, 16, v6
.LBB151_367:
	s_mov_b32 s39, 0
.LBB151_368:
	s_delay_alu instid0(SALU_CYCLE_1)
	s_and_not1_b32 vcc_lo, exec_lo, s39
	s_cbranch_vccnz .LBB151_380
; %bb.369:
	s_cmp_lt_i32 s0, 6
	s_cbranch_scc1 .LBB151_372
; %bb.370:
	s_cmp_gt_i32 s0, 6
	s_cbranch_scc0 .LBB151_373
; %bb.371:
	global_load_b64 v[6:7], v[4:5], off
	s_mov_b32 s39, 0
	s_wait_loadcnt 0x0
	v_and_or_b32 v6, 0x1ff, v7, v6
	v_lshrrev_b32_e32 v8, 8, v7
	v_bfe_u32 v9, v7, 20, 11
	v_lshrrev_b32_e32 v7, 16, v7
	s_delay_alu instid0(VALU_DEP_4) | instskip(NEXT) | instid1(VALU_DEP_3)
	v_cmp_ne_u32_e32 vcc_lo, 0, v6
	v_sub_nc_u32_e32 v10, 0x3f1, v9
	v_add_nc_u32_e32 v9, 0xfffffc10, v9
	v_cndmask_b32_e64 v6, 0, 1, vcc_lo
	s_delay_alu instid0(VALU_DEP_1) | instskip(NEXT) | instid1(VALU_DEP_4)
	v_and_or_b32 v6, 0xffe, v8, v6
	v_med3_i32 v8, v10, 0, 13
	s_delay_alu instid0(VALU_DEP_2) | instskip(NEXT) | instid1(VALU_DEP_1)
	v_or_b32_e32 v10, 0x1000, v6
	v_lshrrev_b32_e32 v11, v8, v10
	s_delay_alu instid0(VALU_DEP_1) | instskip(NEXT) | instid1(VALU_DEP_1)
	v_lshlrev_b32_e32 v8, v8, v11
	v_cmp_ne_u32_e32 vcc_lo, v8, v10
	v_lshl_or_b32 v10, v9, 12, v6
	v_cndmask_b32_e64 v8, 0, 1, vcc_lo
	v_cmp_gt_i32_e32 vcc_lo, 1, v9
	s_delay_alu instid0(VALU_DEP_2) | instskip(NEXT) | instid1(VALU_DEP_1)
	v_or_b32_e32 v8, v11, v8
	v_cndmask_b32_e32 v8, v10, v8, vcc_lo
	s_delay_alu instid0(VALU_DEP_1) | instskip(NEXT) | instid1(VALU_DEP_1)
	v_dual_lshrrev_b32 v8, 2, v8 :: v_dual_bitop2_b32 v10, 7, v8 bitop3:0x40
	v_cmp_lt_i32_e32 vcc_lo, 5, v10
	v_cndmask_b32_e64 v11, 0, 1, vcc_lo
	v_cmp_eq_u32_e32 vcc_lo, 3, v10
	v_cndmask_b32_e64 v10, 0, 1, vcc_lo
	v_cmp_ne_u32_e32 vcc_lo, 0, v6
	s_delay_alu instid0(VALU_DEP_2) | instskip(NEXT) | instid1(VALU_DEP_1)
	v_or_b32_e32 v10, v10, v11
	v_dual_mov_b32 v11, 0x7e00 :: v_dual_add_nc_u32 v8, v8, v10
	s_delay_alu instid0(VALU_DEP_1) | instskip(SKIP_1) | instid1(VALU_DEP_3)
	v_cndmask_b32_e32 v6, 0x7c00, v11, vcc_lo
	v_cmp_gt_i32_e32 vcc_lo, 31, v9
	v_cndmask_b32_e32 v8, 0x7c00, v8, vcc_lo
	v_cmp_eq_u32_e32 vcc_lo, 0x40f, v9
	s_delay_alu instid0(VALU_DEP_2) | instskip(NEXT) | instid1(VALU_DEP_1)
	v_cndmask_b32_e32 v6, v8, v6, vcc_lo
	v_and_or_b32 v6, 0x8000, v7, v6
	s_branch .LBB151_374
.LBB151_372:
	s_mov_b32 s39, -1
                                        ; implicit-def: $vgpr6
	s_branch .LBB151_377
.LBB151_373:
	s_mov_b32 s39, -1
                                        ; implicit-def: $vgpr6
.LBB151_374:
	s_delay_alu instid0(SALU_CYCLE_1)
	s_and_not1_b32 vcc_lo, exec_lo, s39
	s_cbranch_vccnz .LBB151_376
; %bb.375:
	global_load_b32 v6, v[4:5], off
	s_wait_loadcnt 0x0
	v_cvt_f16_f32_e32 v6, v6
.LBB151_376:
	s_mov_b32 s39, 0
.LBB151_377:
	s_delay_alu instid0(SALU_CYCLE_1)
	s_and_not1_b32 vcc_lo, exec_lo, s39
	s_cbranch_vccnz .LBB151_379
; %bb.378:
	global_load_u16 v6, v[4:5], off
.LBB151_379:
	s_wait_xcnt 0x0
	v_mov_b32_e32 v7, 0
.LBB151_380:
	s_mov_b32 s39, 0
.LBB151_381:
	s_delay_alu instid0(SALU_CYCLE_1)
	s_and_not1_b32 vcc_lo, exec_lo, s39
	s_cbranch_vccnz .LBB151_402
; %bb.382:
	s_cmp_lt_i32 s0, 2
	s_cbranch_scc1 .LBB151_386
; %bb.383:
	s_cmp_lt_i32 s0, 3
	s_cbranch_scc1 .LBB151_387
; %bb.384:
	s_cmp_gt_i32 s0, 3
	s_cbranch_scc0 .LBB151_388
; %bb.385:
	s_wait_loadcnt 0x0
	global_load_b64 v[6:7], v[4:5], off
	s_mov_b32 s39, 0
	s_wait_loadcnt 0x0
	v_xor_b32_e32 v8, v6, v7
	v_cls_i32_e32 v9, v7
	s_delay_alu instid0(VALU_DEP_2) | instskip(NEXT) | instid1(VALU_DEP_1)
	v_ashrrev_i32_e32 v8, 31, v8
	v_add_nc_u32_e32 v8, 32, v8
	s_delay_alu instid0(VALU_DEP_1) | instskip(NEXT) | instid1(VALU_DEP_1)
	v_add_min_u32_e64 v8, v9, -1, v8
	v_lshlrev_b64_e32 v[6:7], v8, v[6:7]
	s_delay_alu instid0(VALU_DEP_1) | instskip(NEXT) | instid1(VALU_DEP_1)
	v_min_u32_e32 v6, 1, v6
	v_dual_sub_nc_u32 v7, 32, v8 :: v_dual_bitop2_b32 v6, v7, v6 bitop3:0x54
	s_delay_alu instid0(VALU_DEP_1) | instskip(NEXT) | instid1(VALU_DEP_1)
	v_cvt_f32_i32_e32 v6, v6
	v_ldexp_f32 v6, v6, v7
	s_delay_alu instid0(VALU_DEP_1)
	v_cvt_f16_f32_e32 v6, v6
	s_branch .LBB151_389
.LBB151_386:
	s_mov_b32 s39, -1
                                        ; implicit-def: $vgpr6
	s_branch .LBB151_395
.LBB151_387:
	s_mov_b32 s39, -1
                                        ; implicit-def: $vgpr6
	s_branch .LBB151_392
.LBB151_388:
	s_mov_b32 s39, -1
                                        ; implicit-def: $vgpr6
.LBB151_389:
	s_delay_alu instid0(SALU_CYCLE_1)
	s_and_not1_b32 vcc_lo, exec_lo, s39
	s_cbranch_vccnz .LBB151_391
; %bb.390:
	s_wait_loadcnt 0x0
	global_load_b32 v6, v[4:5], off
	s_wait_loadcnt 0x0
	v_cvt_f32_i32_e32 v6, v6
	s_delay_alu instid0(VALU_DEP_1)
	v_cvt_f16_f32_e32 v6, v6
.LBB151_391:
	s_mov_b32 s39, 0
.LBB151_392:
	s_delay_alu instid0(SALU_CYCLE_1)
	s_and_not1_b32 vcc_lo, exec_lo, s39
	s_cbranch_vccnz .LBB151_394
; %bb.393:
	s_wait_loadcnt 0x0
	global_load_u16 v6, v[4:5], off
	s_wait_loadcnt 0x0
	v_cvt_f16_i16_e32 v6, v6
.LBB151_394:
	s_mov_b32 s39, 0
.LBB151_395:
	s_delay_alu instid0(SALU_CYCLE_1)
	s_and_not1_b32 vcc_lo, exec_lo, s39
	s_cbranch_vccnz .LBB151_401
; %bb.396:
	s_cmp_gt_i32 s0, 0
	s_mov_b32 s0, 0
	s_cbranch_scc0 .LBB151_398
; %bb.397:
	s_wait_loadcnt 0x0
	global_load_i8 v6, v[4:5], off
	s_wait_loadcnt 0x0
	v_cvt_f16_i16_e32 v6, v6
	s_branch .LBB151_399
.LBB151_398:
	s_mov_b32 s0, -1
                                        ; implicit-def: $vgpr6
.LBB151_399:
	s_delay_alu instid0(SALU_CYCLE_1)
	s_and_not1_b32 vcc_lo, exec_lo, s0
	s_cbranch_vccnz .LBB151_401
; %bb.400:
	global_load_u8 v4, v[4:5], off
	s_wait_loadcnt 0x0
	v_cvt_f16_u16_e32 v6, v4
.LBB151_401:
	s_wait_xcnt 0x0
	v_mov_b32_e32 v7, 0
.LBB151_402:
	s_branch .LBB151_32
.LBB151_403:
	s_mov_b32 s0, 0
.LBB151_404:
	s_mov_b32 s43, 0
                                        ; implicit-def: $vgpr0
.LBB151_405:
	s_and_b32 s39, s0, exec_lo
	s_and_b32 s40, s27, exec_lo
	;; [unrolled: 1-line block ×3, first 2 shown]
	s_or_not1_b32 s43, s43, exec_lo
.LBB151_406:
	s_wait_xcnt 0x0
	s_or_b32 exec_lo, exec_lo, s42
	s_mov_b32 s27, 0
	s_mov_b32 s26, 0
                                        ; implicit-def: $sgpr0
                                        ; implicit-def: $vgpr6_vgpr7
                                        ; implicit-def: $vgpr4
                                        ; implicit-def: $vgpr2
                                        ; implicit-def: $vgpr8
                                        ; implicit-def: $vgpr3
	s_and_saveexec_b32 s42, s43
	s_cbranch_execz .LBB151_414
; %bb.407:
	s_mov_b32 s48, -1
	s_mov_b32 s43, s41
	s_mov_b32 s45, s40
	;; [unrolled: 1-line block ×3, first 2 shown]
	s_mov_b32 s46, exec_lo
	v_cmpx_gt_i32_e64 s37, v0
	s_cbranch_execz .LBB151_825
; %bb.408:
	s_and_not1_b32 vcc_lo, exec_lo, s31
	s_cbranch_vccnz .LBB151_417
; %bb.409:
	s_and_not1_b32 vcc_lo, exec_lo, s38
	s_cbranch_vccnz .LBB151_418
; %bb.410:
	s_wait_loadcnt 0x0
	v_dual_mov_b32 v2, 0 :: v_dual_mov_b32 v1, v0
	v_dual_mov_b32 v6, 0 :: v_dual_mov_b32 v4, 0
	s_add_co_i32 s0, s36, 1
	s_mov_b64 s[26:27], 0xffffffffffffffe8
	s_and_b32 s0, s0, 30
	s_add_nc_u64 s[26:27], s[2:3], s[26:27]
.LBB151_411:                            ; =>This Inner Loop Header: Depth=1
	s_clause 0x1
	s_load_b128 s[48:51], s[26:27], 0x1c
	s_load_b64 s[44:45], s[26:27], 0x2c
	s_add_co_i32 s0, s0, -2
	s_delay_alu instid0(SALU_CYCLE_1) | instskip(SKIP_2) | instid1(VALU_DEP_1)
	s_cmp_eq_u32 s0, 0
	s_wait_kmcnt 0x0
	v_mul_hi_u32 v3, s49, v1
	v_add_nc_u32_e32 v3, v1, v3
	s_delay_alu instid0(VALU_DEP_1) | instskip(NEXT) | instid1(VALU_DEP_1)
	v_lshrrev_b32_e32 v3, s50, v3
	v_mul_hi_u32 v5, s44, v3
	v_mul_lo_u32 v7, v3, s48
	s_clause 0x1
	s_load_b128 s[52:55], s[26:27], 0xdc
	s_load_b64 s[48:49], s[26:27], 0xec
	s_wait_xcnt 0x0
	s_add_nc_u64 s[26:27], s[26:27], 24
	s_delay_alu instid0(VALU_DEP_1) | instskip(NEXT) | instid1(VALU_DEP_1)
	v_dual_add_nc_u32 v5, v3, v5 :: v_dual_sub_nc_u32 v7, v1, v7
	v_lshrrev_b32_e32 v1, s45, v5
	s_wait_kmcnt 0x0
	s_delay_alu instid0(VALU_DEP_2) | instskip(NEXT) | instid1(VALU_DEP_2)
	v_mad_u32 v2, v7, s52, v2
	v_mul_lo_u32 v5, v1, s51
	v_mad_u32 v4, v7, s54, v4
	v_mad_u32 v6, v7, s53, v6
	s_delay_alu instid0(VALU_DEP_3) | instskip(NEXT) | instid1(VALU_DEP_1)
	v_sub_nc_u32_e32 v3, v3, v5
	v_mad_u32 v2, v3, s55, v2
	s_delay_alu instid0(VALU_DEP_4) | instskip(NEXT) | instid1(VALU_DEP_4)
	v_mad_u32 v4, v3, s49, v4
	v_mad_u32 v6, v3, s48, v6
	s_cbranch_scc0 .LBB151_411
; %bb.412:
	s_bitcmp1_b32 s36, 0
	s_cselect_b32 s0, -1, 0
	s_delay_alu instid0(SALU_CYCLE_1)
	s_and_b32 vcc_lo, exec_lo, s0
	s_cbranch_vccnz .LBB151_419
; %bb.413:
	s_clause 0x1
	s_load_b96 s[48:50], s[26:27], 0x1c
	s_load_b96 s[52:54], s[26:27], 0xdc
	s_wait_kmcnt 0x0
	v_mul_hi_u32 v3, s49, v1
	s_delay_alu instid0(VALU_DEP_1) | instskip(NEXT) | instid1(VALU_DEP_1)
	v_add_nc_u32_e32 v3, v1, v3
	v_lshrrev_b32_e32 v3, s50, v3
	s_delay_alu instid0(VALU_DEP_1) | instskip(NEXT) | instid1(VALU_DEP_1)
	v_mul_lo_u32 v3, v3, s48
	v_sub_nc_u32_e32 v1, v1, v3
	s_delay_alu instid0(VALU_DEP_1)
	v_mad_u32 v2, v1, s52, v2
	v_mad_u32 v6, v1, s53, v6
	;; [unrolled: 1-line block ×3, first 2 shown]
	s_branch .LBB151_419
.LBB151_414:
	s_or_b32 exec_lo, exec_lo, s42
	s_mov_b32 s1, 0
	s_and_saveexec_b32 s6, s41
	s_cbranch_execnz .LBB151_1343
.LBB151_415:
	s_or_b32 exec_lo, exec_lo, s6
	s_and_saveexec_b32 s6, s21
	s_delay_alu instid0(SALU_CYCLE_1)
	s_xor_b32 s6, exec_lo, s6
	s_cbranch_execz .LBB151_1344
.LBB151_416:
	s_wait_loadcnt 0x0
	global_load_u8 v0, v[6:7], off
	v_mov_b32_e32 v8, 0
	s_or_b32 s26, s26, exec_lo
	s_wait_loadcnt 0x0
	v_cmp_ne_u16_e32 vcc_lo, 0, v0
	v_cndmask_b32_e64 v3, 0, 0x3c00, vcc_lo
	s_wait_xcnt 0x0
	s_or_b32 exec_lo, exec_lo, s6
	s_and_saveexec_b32 s6, s27
	s_cbranch_execz .LBB151_1392
	s_branch .LBB151_1345
.LBB151_417:
                                        ; implicit-def: $vgpr4
                                        ; implicit-def: $vgpr6
                                        ; implicit-def: $vgpr2
	s_branch .LBB151_420
.LBB151_418:
	s_wait_loadcnt 0x0
	v_dual_mov_b32 v4, 0 :: v_dual_mov_b32 v6, 0
	v_mov_b32_e32 v2, 0
.LBB151_419:
	s_cbranch_execnz .LBB151_422
.LBB151_420:
	s_wait_loadcnt 0x0
	v_mov_b32_e32 v1, 0
	s_and_not1_b32 vcc_lo, exec_lo, s35
	s_delay_alu instid0(VALU_DEP_1) | instskip(NEXT) | instid1(VALU_DEP_1)
	v_mul_u64_e32 v[2:3], s[20:21], v[0:1]
	v_add_nc_u32_e32 v2, v0, v3
	s_delay_alu instid0(VALU_DEP_1) | instskip(NEXT) | instid1(VALU_DEP_1)
	v_lshrrev_b32_e32 v8, s14, v2
	v_mul_lo_u32 v2, v8, s12
	s_delay_alu instid0(VALU_DEP_1) | instskip(NEXT) | instid1(VALU_DEP_1)
	v_sub_nc_u32_e32 v3, v0, v2
	v_mul_lo_u32 v2, v3, s16
	v_mul_lo_u32 v4, v3, s18
	;; [unrolled: 1-line block ×3, first 2 shown]
	s_cbranch_vccnz .LBB151_422
; %bb.421:
	v_mov_b32_e32 v9, v1
	s_delay_alu instid0(VALU_DEP_1) | instskip(NEXT) | instid1(VALU_DEP_1)
	v_mul_u64_e32 v[10:11], s[24:25], v[8:9]
	v_add_nc_u32_e32 v1, v8, v11
	s_delay_alu instid0(VALU_DEP_1) | instskip(NEXT) | instid1(VALU_DEP_1)
	v_lshrrev_b32_e32 v1, s1, v1
	v_mul_lo_u32 v1, v1, s15
	s_delay_alu instid0(VALU_DEP_1) | instskip(NEXT) | instid1(VALU_DEP_1)
	v_sub_nc_u32_e32 v1, v8, v1
	v_mad_u32 v2, v1, s19, v2
	v_mad_u32 v6, v1, s22, v6
	;; [unrolled: 1-line block ×3, first 2 shown]
.LBB151_422:
	v_mov_b32_e32 v7, 0
	s_and_b32 s0, s34, 0xff
	s_delay_alu instid0(SALU_CYCLE_1) | instskip(SKIP_1) | instid1(VALU_DEP_1)
	s_cmp_lt_i32 s0, 11
	s_wait_loadcnt 0x0
	v_add_nc_u64_e32 v[6:7], s[6:7], v[6:7]
	s_cbranch_scc1 .LBB151_429
; %bb.423:
	s_and_b32 s27, 0xffff, s0
	s_delay_alu instid0(SALU_CYCLE_1)
	s_cmp_gt_i32 s27, 25
	s_cbranch_scc0 .LBB151_438
; %bb.424:
	s_cmp_gt_i32 s27, 28
	s_cbranch_scc0 .LBB151_440
; %bb.425:
	;; [unrolled: 3-line block ×4, first 2 shown]
	s_cmp_eq_u32 s27, 46
	s_mov_b32 s44, 0
	s_cbranch_scc0 .LBB151_448
; %bb.428:
	global_load_b32 v1, v[6:7], off
	s_mov_b32 s43, -1
	s_mov_b32 s26, 0
	s_wait_loadcnt 0x0
	v_lshlrev_b32_e32 v3, 16, v1
	v_and_b32_e32 v5, 0xffff0000, v1
	s_delay_alu instid0(VALU_DEP_2) | instskip(NEXT) | instid1(VALU_DEP_2)
	v_cvt_f16_f32_e32 v1, v3
	v_cvt_f16_f32_e32 v3, v5
	s_branch .LBB151_450
.LBB151_429:
	s_mov_b32 s43, 0
	s_mov_b32 s26, s41
                                        ; implicit-def: $vgpr3
                                        ; implicit-def: $vgpr1
	s_cbranch_execnz .LBB151_519
.LBB151_430:
	s_and_not1_b32 vcc_lo, exec_lo, s43
	s_cbranch_vccnz .LBB151_569
.LBB151_431:
	v_mov_b32_e32 v5, 0
	s_and_b32 s0, s13, 0xff
	s_delay_alu instid0(SALU_CYCLE_1) | instskip(NEXT) | instid1(VALU_DEP_1)
	s_cmp_lt_i32 s0, 11
	v_add_nc_u64_e32 v[4:5], s[8:9], v[4:5]
	s_cbranch_scc1 .LBB151_439
; %bb.432:
	s_and_b32 s43, 0xffff, s0
	s_delay_alu instid0(SALU_CYCLE_1)
	s_cmp_gt_i32 s43, 25
	s_cbranch_scc0 .LBB151_441
; %bb.433:
	s_cmp_gt_i32 s43, 28
	s_cbranch_scc0 .LBB151_443
; %bb.434:
	;; [unrolled: 3-line block ×4, first 2 shown]
	s_cmp_eq_u32 s43, 46
	s_mov_b32 s45, 0
	s_cbranch_scc0 .LBB151_572
; %bb.437:
	global_load_b32 v6, v[4:5], off
	s_mov_b32 s44, -1
	s_mov_b32 s27, 0
	s_wait_loadcnt 0x0
	v_lshlrev_b32_e32 v7, 16, v6
	v_and_b32_e32 v8, 0xffff0000, v6
	s_delay_alu instid0(VALU_DEP_2) | instskip(NEXT) | instid1(VALU_DEP_2)
	v_cvt_f16_f32_e32 v6, v7
	v_cvt_f16_f32_e32 v7, v8
	s_branch .LBB151_574
.LBB151_438:
	s_mov_b32 s44, -1
	s_mov_b32 s43, 0
	s_mov_b32 s26, s41
                                        ; implicit-def: $vgpr3
                                        ; implicit-def: $vgpr1
	s_branch .LBB151_482
.LBB151_439:
	s_mov_b32 s43, -1
	s_mov_b32 s44, 0
	s_mov_b32 s27, s40
                                        ; implicit-def: $vgpr7
                                        ; implicit-def: $vgpr6
	s_branch .LBB151_642
.LBB151_440:
	s_mov_b32 s44, -1
	s_mov_b32 s43, 0
	s_mov_b32 s26, s41
                                        ; implicit-def: $vgpr3
                                        ; implicit-def: $vgpr1
	s_branch .LBB151_463
.LBB151_441:
	s_mov_b32 s45, -1
	s_mov_b32 s44, 0
	s_mov_b32 s27, s40
                                        ; implicit-def: $vgpr7
                                        ; implicit-def: $vgpr6
	s_branch .LBB151_605
.LBB151_442:
	s_mov_b32 s44, -1
	s_mov_b32 s43, 0
	s_mov_b32 s26, s41
                                        ; implicit-def: $vgpr3
                                        ; implicit-def: $vgpr1
	s_branch .LBB151_457
.LBB151_443:
	s_mov_b32 s45, -1
	s_mov_b32 s44, 0
	s_mov_b32 s27, s40
                                        ; implicit-def: $vgpr7
                                        ; implicit-def: $vgpr6
	s_branch .LBB151_586
.LBB151_444:
	s_mov_b32 s44, -1
	s_mov_b32 s43, 0
	s_mov_b32 s26, s41
	s_branch .LBB151_449
.LBB151_445:
	s_mov_b32 s45, -1
	s_mov_b32 s44, 0
	s_mov_b32 s27, s40
                                        ; implicit-def: $vgpr7
                                        ; implicit-def: $vgpr6
	s_branch .LBB151_580
.LBB151_446:
	s_and_not1_saveexec_b32 s45, s45
	s_cbranch_execz .LBB151_199
.LBB151_447:
	s_wait_loadcnt 0x0
	v_add_f32_e32 v1, 0x46000000, v4
	s_and_not1_b32 s44, s44, exec_lo
	s_delay_alu instid0(VALU_DEP_1) | instskip(NEXT) | instid1(VALU_DEP_1)
	v_and_b32_e32 v1, 0xff, v1
	v_cmp_ne_u32_e32 vcc_lo, 0, v1
	s_and_b32 s46, vcc_lo, exec_lo
	s_delay_alu instid0(SALU_CYCLE_1)
	s_or_b32 s44, s44, s46
	s_or_b32 exec_lo, exec_lo, s45
	v_mov_b32_e32 v5, 0
	s_and_saveexec_b32 s45, s44
	s_cbranch_execnz .LBB151_200
	s_branch .LBB151_201
.LBB151_448:
	s_mov_b32 s26, -1
	s_mov_b32 s43, 0
.LBB151_449:
                                        ; implicit-def: $vgpr3
                                        ; implicit-def: $vgpr1
.LBB151_450:
	s_and_b32 vcc_lo, exec_lo, s44
	s_cbranch_vccz .LBB151_456
; %bb.451:
	s_cmp_eq_u32 s27, 44
	s_cbranch_scc0 .LBB151_454
; %bb.452:
	global_load_u8 v1, v[6:7], off
	s_mov_b32 s26, 0
	s_mov_b32 s43, -1
	s_wait_loadcnt 0x0
	v_lshlrev_b32_e32 v3, 23, v1
	v_cmp_ne_u32_e32 vcc_lo, 0xff, v1
	s_delay_alu instid0(VALU_DEP_2) | instskip(NEXT) | instid1(VALU_DEP_1)
	v_cvt_f16_f32_e32 v3, v3
	v_cndmask_b32_e32 v3, 0x7e00, v3, vcc_lo
	v_cmp_ne_u32_e32 vcc_lo, 0, v1
	s_delay_alu instid0(VALU_DEP_2)
	v_cndmask_b32_e32 v1, 0, v3, vcc_lo
	s_branch .LBB151_455
.LBB151_453:
	s_mov_b32 s45, -1
	s_mov_b32 s44, 0
	s_mov_b32 s27, s40
	s_branch .LBB151_573
.LBB151_454:
	s_mov_b32 s26, -1
                                        ; implicit-def: $vgpr1
.LBB151_455:
	v_mov_b32_e32 v3, 0
.LBB151_456:
	s_mov_b32 s44, 0
.LBB151_457:
	s_delay_alu instid0(SALU_CYCLE_1)
	s_and_b32 vcc_lo, exec_lo, s44
	s_cbranch_vccz .LBB151_462
; %bb.458:
	s_cmp_eq_u32 s27, 29
	s_cbranch_scc0 .LBB151_460
; %bb.459:
	global_load_b64 v[8:9], v[6:7], off
	s_mov_b32 s43, -1
	s_mov_b32 s26, 0
	s_wait_loadcnt 0x0
	v_clz_i32_u32_e32 v1, v9
	s_delay_alu instid0(VALU_DEP_1) | instskip(NEXT) | instid1(VALU_DEP_1)
	v_min_u32_e32 v1, 32, v1
	v_lshlrev_b64_e32 v[8:9], v1, v[8:9]
	v_sub_nc_u32_e32 v1, 32, v1
	s_delay_alu instid0(VALU_DEP_2) | instskip(NEXT) | instid1(VALU_DEP_1)
	v_min_u32_e32 v3, 1, v8
	v_or_b32_e32 v3, v9, v3
	s_delay_alu instid0(VALU_DEP_1) | instskip(NEXT) | instid1(VALU_DEP_1)
	v_cvt_f32_u32_e32 v3, v3
	v_ldexp_f32 v1, v3, v1
	s_delay_alu instid0(VALU_DEP_1)
	v_cvt_f16_f32_e32 v1, v1
	s_branch .LBB151_461
.LBB151_460:
	s_mov_b32 s26, -1
                                        ; implicit-def: $vgpr1
.LBB151_461:
	v_mov_b32_e32 v3, 0
.LBB151_462:
	s_mov_b32 s44, 0
.LBB151_463:
	s_delay_alu instid0(SALU_CYCLE_1)
	s_and_b32 vcc_lo, exec_lo, s44
	s_cbranch_vccz .LBB151_481
; %bb.464:
	s_cmp_lt_i32 s27, 27
	s_cbranch_scc1 .LBB151_467
; %bb.465:
	s_cmp_gt_i32 s27, 27
	s_cbranch_scc0 .LBB151_468
; %bb.466:
	global_load_b32 v1, v[6:7], off
	s_mov_b32 s43, 0
	s_wait_loadcnt 0x0
	v_cvt_f32_u32_e32 v1, v1
	s_delay_alu instid0(VALU_DEP_1)
	v_cvt_f16_f32_e32 v1, v1
	s_branch .LBB151_469
.LBB151_467:
	s_mov_b32 s43, -1
                                        ; implicit-def: $vgpr1
	s_branch .LBB151_472
.LBB151_468:
	s_mov_b32 s43, -1
                                        ; implicit-def: $vgpr1
.LBB151_469:
	s_delay_alu instid0(SALU_CYCLE_1)
	s_and_not1_b32 vcc_lo, exec_lo, s43
	s_cbranch_vccnz .LBB151_471
; %bb.470:
	global_load_u16 v1, v[6:7], off
	s_wait_loadcnt 0x0
	v_cvt_f16_u16_e32 v1, v1
.LBB151_471:
	s_mov_b32 s43, 0
.LBB151_472:
	s_delay_alu instid0(SALU_CYCLE_1)
	s_and_not1_b32 vcc_lo, exec_lo, s43
	s_cbranch_vccnz .LBB151_480
; %bb.473:
	global_load_u8 v3, v[6:7], off
	s_mov_b32 s43, 0
	s_mov_b32 s44, exec_lo
	s_wait_loadcnt 0x0
	v_cmpx_lt_i16_e32 0x7f, v3
	s_xor_b32 s44, exec_lo, s44
	s_cbranch_execz .LBB151_494
; %bb.474:
	s_mov_b32 s43, -1
	s_mov_b32 s45, exec_lo
	v_cmpx_eq_u16_e32 0x80, v3
; %bb.475:
	s_xor_b32 s43, exec_lo, -1
; %bb.476:
	s_or_b32 exec_lo, exec_lo, s45
	s_delay_alu instid0(SALU_CYCLE_1)
	s_and_b32 s43, s43, exec_lo
	s_or_saveexec_b32 s44, s44
	v_mov_b32_e32 v1, 0x7e00
	s_xor_b32 exec_lo, exec_lo, s44
	s_cbranch_execnz .LBB151_495
.LBB151_477:
	s_or_b32 exec_lo, exec_lo, s44
	s_and_saveexec_b32 s44, s43
	s_cbranch_execz .LBB151_479
.LBB151_478:
	v_and_b32_e32 v1, 0xffff, v3
	s_delay_alu instid0(VALU_DEP_1) | instskip(SKIP_1) | instid1(VALU_DEP_2)
	v_and_b32_e32 v5, 7, v1
	v_bfe_u32 v10, v1, 3, 4
	v_clz_i32_u32_e32 v8, v5
	s_delay_alu instid0(VALU_DEP_2) | instskip(NEXT) | instid1(VALU_DEP_2)
	v_cmp_eq_u32_e32 vcc_lo, 0, v10
	v_min_u32_e32 v8, 32, v8
	s_delay_alu instid0(VALU_DEP_1) | instskip(NEXT) | instid1(VALU_DEP_1)
	v_subrev_nc_u32_e32 v9, 28, v8
	v_dual_lshlrev_b32 v1, v9, v1 :: v_dual_sub_nc_u32 v8, 29, v8
	s_delay_alu instid0(VALU_DEP_1) | instskip(NEXT) | instid1(VALU_DEP_1)
	v_dual_lshlrev_b32 v3, 24, v3 :: v_dual_bitop2_b32 v1, 7, v1 bitop3:0x40
	v_dual_cndmask_b32 v8, v10, v8 :: v_dual_cndmask_b32 v1, v5, v1
	s_delay_alu instid0(VALU_DEP_2) | instskip(NEXT) | instid1(VALU_DEP_2)
	v_and_b32_e32 v3, 0x80000000, v3
	v_lshl_add_u32 v5, v8, 23, 0x3b800000
	s_delay_alu instid0(VALU_DEP_3) | instskip(NEXT) | instid1(VALU_DEP_1)
	v_lshlrev_b32_e32 v1, 20, v1
	v_or3_b32 v1, v3, v5, v1
	s_delay_alu instid0(VALU_DEP_1)
	v_cvt_f16_f32_e32 v1, v1
.LBB151_479:
	s_or_b32 exec_lo, exec_lo, s44
.LBB151_480:
	v_mov_b32_e32 v3, 0
	s_mov_b32 s43, -1
.LBB151_481:
	s_mov_b32 s44, 0
.LBB151_482:
	s_delay_alu instid0(SALU_CYCLE_1)
	s_and_b32 vcc_lo, exec_lo, s44
	s_cbranch_vccz .LBB151_518
; %bb.483:
	s_cmp_gt_i32 s27, 22
	s_cbranch_scc0 .LBB151_493
; %bb.484:
	s_cmp_lt_i32 s27, 24
	s_cbranch_scc1 .LBB151_496
; %bb.485:
	s_cmp_gt_i32 s27, 24
	s_cbranch_scc0 .LBB151_497
; %bb.486:
	global_load_u8 v3, v[6:7], off
	s_mov_b32 s43, 0
	s_mov_b32 s44, exec_lo
	s_wait_loadcnt 0x0
	v_cmpx_lt_i16_e32 0x7f, v3
	s_xor_b32 s44, exec_lo, s44
	s_cbranch_execz .LBB151_509
; %bb.487:
	s_mov_b32 s43, -1
	s_mov_b32 s45, exec_lo
	v_cmpx_eq_u16_e32 0x80, v3
; %bb.488:
	s_xor_b32 s43, exec_lo, -1
; %bb.489:
	s_or_b32 exec_lo, exec_lo, s45
	s_delay_alu instid0(SALU_CYCLE_1)
	s_and_b32 s43, s43, exec_lo
	s_or_saveexec_b32 s44, s44
	v_mov_b32_e32 v1, 0x7e00
	s_xor_b32 exec_lo, exec_lo, s44
	s_cbranch_execnz .LBB151_510
.LBB151_490:
	s_or_b32 exec_lo, exec_lo, s44
	s_and_saveexec_b32 s44, s43
	s_cbranch_execz .LBB151_492
.LBB151_491:
	v_and_b32_e32 v1, 0xffff, v3
	s_delay_alu instid0(VALU_DEP_1) | instskip(SKIP_1) | instid1(VALU_DEP_2)
	v_and_b32_e32 v5, 3, v1
	v_bfe_u32 v10, v1, 2, 5
	v_clz_i32_u32_e32 v8, v5
	s_delay_alu instid0(VALU_DEP_2) | instskip(NEXT) | instid1(VALU_DEP_2)
	v_cmp_eq_u32_e32 vcc_lo, 0, v10
	v_min_u32_e32 v8, 32, v8
	s_delay_alu instid0(VALU_DEP_1) | instskip(NEXT) | instid1(VALU_DEP_1)
	v_subrev_nc_u32_e32 v9, 29, v8
	v_dual_lshlrev_b32 v1, v9, v1 :: v_dual_sub_nc_u32 v8, 30, v8
	s_delay_alu instid0(VALU_DEP_1) | instskip(NEXT) | instid1(VALU_DEP_1)
	v_dual_lshlrev_b32 v3, 24, v3 :: v_dual_bitop2_b32 v1, 3, v1 bitop3:0x40
	v_dual_cndmask_b32 v8, v10, v8 :: v_dual_cndmask_b32 v1, v5, v1
	s_delay_alu instid0(VALU_DEP_2) | instskip(NEXT) | instid1(VALU_DEP_2)
	v_and_b32_e32 v3, 0x80000000, v3
	v_lshl_add_u32 v5, v8, 23, 0x37800000
	s_delay_alu instid0(VALU_DEP_3) | instskip(NEXT) | instid1(VALU_DEP_1)
	v_lshlrev_b32_e32 v1, 21, v1
	v_or3_b32 v1, v3, v5, v1
	s_delay_alu instid0(VALU_DEP_1)
	v_cvt_f16_f32_e32 v1, v1
.LBB151_492:
	s_or_b32 exec_lo, exec_lo, s44
	s_mov_b32 s43, 0
	s_branch .LBB151_498
.LBB151_493:
	s_mov_b32 s44, -1
                                        ; implicit-def: $vgpr1
	s_branch .LBB151_504
.LBB151_494:
	s_or_saveexec_b32 s44, s44
	v_mov_b32_e32 v1, 0x7e00
	s_xor_b32 exec_lo, exec_lo, s44
	s_cbranch_execz .LBB151_477
.LBB151_495:
	v_cmp_ne_u16_e32 vcc_lo, 0, v3
	v_mov_b32_e32 v1, v3
	s_and_not1_b32 s43, s43, exec_lo
	s_and_b32 s45, vcc_lo, exec_lo
	s_delay_alu instid0(SALU_CYCLE_1)
	s_or_b32 s43, s43, s45
	s_or_b32 exec_lo, exec_lo, s44
	s_and_saveexec_b32 s44, s43
	s_cbranch_execnz .LBB151_478
	s_branch .LBB151_479
.LBB151_496:
	s_mov_b32 s43, -1
                                        ; implicit-def: $vgpr1
	s_branch .LBB151_501
.LBB151_497:
	s_mov_b32 s43, -1
                                        ; implicit-def: $vgpr1
.LBB151_498:
	s_delay_alu instid0(SALU_CYCLE_1)
	s_and_b32 vcc_lo, exec_lo, s43
	s_cbranch_vccz .LBB151_500
; %bb.499:
	global_load_u8 v1, v[6:7], off
	s_wait_loadcnt 0x0
	v_lshlrev_b32_e32 v1, 24, v1
	s_delay_alu instid0(VALU_DEP_1) | instskip(NEXT) | instid1(VALU_DEP_1)
	v_and_b32_e32 v3, 0x7f000000, v1
	v_clz_i32_u32_e32 v5, v3
	v_add_nc_u32_e32 v9, 0x1000000, v3
	v_cmp_ne_u32_e32 vcc_lo, 0, v3
	s_delay_alu instid0(VALU_DEP_3) | instskip(NEXT) | instid1(VALU_DEP_1)
	v_min_u32_e32 v5, 32, v5
	v_sub_nc_u32_e64 v5, v5, 4 clamp
	s_delay_alu instid0(VALU_DEP_1) | instskip(NEXT) | instid1(VALU_DEP_1)
	v_dual_lshlrev_b32 v8, v5, v3 :: v_dual_lshlrev_b32 v5, 23, v5
	v_lshrrev_b32_e32 v8, 4, v8
	s_delay_alu instid0(VALU_DEP_1) | instskip(SKIP_1) | instid1(VALU_DEP_2)
	v_sub_nc_u32_e32 v5, v8, v5
	v_ashrrev_i32_e32 v8, 8, v9
	v_add_nc_u32_e32 v5, 0x3c000000, v5
	s_delay_alu instid0(VALU_DEP_1) | instskip(NEXT) | instid1(VALU_DEP_1)
	v_and_or_b32 v5, 0x7f800000, v8, v5
	v_cndmask_b32_e32 v3, 0, v5, vcc_lo
	s_delay_alu instid0(VALU_DEP_1) | instskip(NEXT) | instid1(VALU_DEP_1)
	v_and_or_b32 v1, 0x80000000, v1, v3
	v_cvt_f16_f32_e32 v1, v1
.LBB151_500:
	s_mov_b32 s43, 0
.LBB151_501:
	s_delay_alu instid0(SALU_CYCLE_1)
	s_and_not1_b32 vcc_lo, exec_lo, s43
	s_cbranch_vccnz .LBB151_503
; %bb.502:
	global_load_u8 v1, v[6:7], off
	s_wait_loadcnt 0x0
	v_lshlrev_b32_e32 v3, 25, v1
	v_lshlrev_b16 v1, 8, v1
	s_delay_alu instid0(VALU_DEP_1) | instskip(SKIP_1) | instid1(VALU_DEP_2)
	v_and_or_b32 v8, 0x7f00, v1, 0.5
	v_bfe_i32 v1, v1, 0, 16
	v_dual_add_f32 v8, -0.5, v8 :: v_dual_lshrrev_b32 v5, 4, v3
	v_cmp_gt_u32_e32 vcc_lo, 0x8000000, v3
	s_delay_alu instid0(VALU_DEP_2) | instskip(NEXT) | instid1(VALU_DEP_1)
	v_or_b32_e32 v5, 0x70000000, v5
	v_mul_f32_e32 v5, 0x7800000, v5
	s_delay_alu instid0(VALU_DEP_1) | instskip(NEXT) | instid1(VALU_DEP_1)
	v_cndmask_b32_e32 v3, v5, v8, vcc_lo
	v_and_or_b32 v1, 0x80000000, v1, v3
	s_delay_alu instid0(VALU_DEP_1)
	v_cvt_f16_f32_e32 v1, v1
.LBB151_503:
	s_mov_b32 s44, 0
	s_mov_b32 s43, -1
.LBB151_504:
	s_and_not1_b32 vcc_lo, exec_lo, s44
	s_cbranch_vccnz .LBB151_517
; %bb.505:
	s_cmp_gt_i32 s27, 14
	s_cbranch_scc0 .LBB151_508
; %bb.506:
	s_cmp_eq_u32 s27, 15
	s_cbranch_scc0 .LBB151_511
; %bb.507:
	global_load_u16 v1, v[6:7], off
	s_mov_b32 s43, -1
	s_mov_b32 s26, 0
	s_wait_loadcnt 0x0
	v_lshlrev_b32_e32 v1, 16, v1
	s_delay_alu instid0(VALU_DEP_1)
	v_cvt_f16_f32_e32 v1, v1
	s_branch .LBB151_512
.LBB151_508:
	s_mov_b32 s44, -1
                                        ; implicit-def: $vgpr1
	s_branch .LBB151_513
.LBB151_509:
	s_or_saveexec_b32 s44, s44
	v_mov_b32_e32 v1, 0x7e00
	s_xor_b32 exec_lo, exec_lo, s44
	s_cbranch_execz .LBB151_490
.LBB151_510:
	v_cmp_ne_u16_e32 vcc_lo, 0, v3
	v_mov_b32_e32 v1, v3
	s_and_not1_b32 s43, s43, exec_lo
	s_and_b32 s45, vcc_lo, exec_lo
	s_delay_alu instid0(SALU_CYCLE_1)
	s_or_b32 s43, s43, s45
	s_or_b32 exec_lo, exec_lo, s44
	s_and_saveexec_b32 s44, s43
	s_cbranch_execnz .LBB151_491
	s_branch .LBB151_492
.LBB151_511:
	s_mov_b32 s26, -1
                                        ; implicit-def: $vgpr1
.LBB151_512:
	s_mov_b32 s44, 0
.LBB151_513:
	s_delay_alu instid0(SALU_CYCLE_1)
	s_and_b32 vcc_lo, exec_lo, s44
	s_cbranch_vccz .LBB151_517
; %bb.514:
	s_cmp_eq_u32 s27, 11
	s_cbranch_scc0 .LBB151_516
; %bb.515:
	global_load_u8 v1, v[6:7], off
	s_mov_b32 s26, 0
	s_mov_b32 s43, -1
	v_mov_b32_e32 v3, 0
	s_wait_loadcnt 0x0
	v_cmp_ne_u16_e32 vcc_lo, 0, v1
	v_cndmask_b32_e64 v1, 0, 0x3c00, vcc_lo
	s_branch .LBB151_518
.LBB151_516:
	s_mov_b32 s26, -1
                                        ; implicit-def: $vgpr1
.LBB151_517:
	v_mov_b32_e32 v3, 0
.LBB151_518:
	s_branch .LBB151_430
.LBB151_519:
	s_and_b32 s0, 0xffff, s0
	s_delay_alu instid0(SALU_CYCLE_1)
	s_cmp_lt_i32 s0, 5
	s_cbranch_scc1 .LBB151_524
; %bb.520:
	s_cmp_lt_i32 s0, 8
	s_cbranch_scc1 .LBB151_525
; %bb.521:
	;; [unrolled: 3-line block ×3, first 2 shown]
	s_cmp_gt_i32 s0, 9
	s_cbranch_scc0 .LBB151_527
; %bb.523:
	global_load_b128 v[8:11], v[6:7], off
	v_mov_b32_e32 v17, 0x7e00
	s_mov_b32 s27, 0
	s_wait_loadcnt 0x0
	v_and_or_b32 v1, 0x1ff, v9, v8
	v_and_or_b32 v8, 0x1ff, v11, v10
	v_dual_lshrrev_b32 v3, 8, v9 :: v_dual_lshrrev_b32 v10, 8, v11
	v_bfe_u32 v5, v9, 20, 11
	s_delay_alu instid0(VALU_DEP_4) | instskip(SKIP_2) | instid1(VALU_DEP_4)
	v_cmp_ne_u32_e32 vcc_lo, 0, v1
	v_bfe_u32 v12, v11, 20, 11
	v_dual_lshrrev_b32 v9, 16, v9 :: v_dual_lshrrev_b32 v11, 16, v11
	v_sub_nc_u32_e32 v13, 0x3f1, v5
	v_cndmask_b32_e64 v1, 0, 1, vcc_lo
	v_cmp_ne_u32_e32 vcc_lo, 0, v8
	v_add_nc_u32_e32 v5, 0xfffffc10, v5
	s_delay_alu instid0(VALU_DEP_3) | instskip(SKIP_1) | instid1(VALU_DEP_1)
	v_and_or_b32 v1, 0xffe, v3, v1
	v_cndmask_b32_e64 v8, 0, 1, vcc_lo
	v_and_or_b32 v8, 0xffe, v10, v8
	v_med3_i32 v10, v13, 0, 13
	s_delay_alu instid0(VALU_DEP_4) | instskip(NEXT) | instid1(VALU_DEP_3)
	v_or_b32_e32 v13, 0x1000, v1
	v_or_b32_e32 v14, 0x1000, v8
	s_delay_alu instid0(VALU_DEP_2) | instskip(NEXT) | instid1(VALU_DEP_1)
	v_lshrrev_b32_e32 v15, v10, v13
	v_lshlrev_b32_e32 v10, v10, v15
	s_delay_alu instid0(VALU_DEP_1) | instskip(SKIP_2) | instid1(VALU_DEP_1)
	v_cmp_ne_u32_e32 vcc_lo, v10, v13
	v_lshl_or_b32 v13, v5, 12, v1
	v_cndmask_b32_e64 v10, 0, 1, vcc_lo
	v_or_b32_e32 v10, v15, v10
	v_sub_nc_u32_e32 v3, 0x3f1, v12
	s_delay_alu instid0(VALU_DEP_1) | instskip(NEXT) | instid1(VALU_DEP_1)
	v_med3_i32 v3, v3, 0, 13
	v_lshrrev_b32_e32 v16, v3, v14
	s_delay_alu instid0(VALU_DEP_1) | instskip(NEXT) | instid1(VALU_DEP_1)
	v_lshlrev_b32_e32 v3, v3, v16
	v_cmp_ne_u32_e32 vcc_lo, v3, v14
	v_cndmask_b32_e64 v3, 0, 1, vcc_lo
	v_cmp_gt_i32_e32 vcc_lo, 1, v5
	s_delay_alu instid0(VALU_DEP_2) | instskip(NEXT) | instid1(VALU_DEP_1)
	v_dual_cndmask_b32 v10, v13, v10, vcc_lo :: v_dual_bitop2_b32 v3, v16, v3 bitop3:0x54
	v_dual_lshrrev_b32 v10, 2, v10 :: v_dual_bitop2_b32 v13, 7, v10 bitop3:0x40
	v_add_nc_u32_e32 v12, 0xfffffc10, v12
	s_delay_alu instid0(VALU_DEP_1) | instskip(SKIP_1) | instid1(VALU_DEP_2)
	v_lshl_or_b32 v14, v12, 12, v8
	v_cmp_gt_i32_e32 vcc_lo, 1, v12
	v_cndmask_b32_e32 v3, v14, v3, vcc_lo
	v_cmp_lt_i32_e32 vcc_lo, 5, v13
	v_cndmask_b32_e64 v15, 0, 1, vcc_lo
	v_cmp_eq_u32_e32 vcc_lo, 3, v13
	v_cndmask_b32_e64 v13, 0, 1, vcc_lo
	s_delay_alu instid0(VALU_DEP_1) | instskip(SKIP_1) | instid1(VALU_DEP_2)
	v_or_b32_e32 v13, v13, v15
	v_dual_lshrrev_b32 v3, 2, v3 :: v_dual_bitop2_b32 v14, 7, v3 bitop3:0x40
	v_add_nc_u32_e32 v10, v10, v13
	s_delay_alu instid0(VALU_DEP_2) | instskip(SKIP_4) | instid1(VALU_DEP_2)
	v_cmp_lt_i32_e32 vcc_lo, 5, v14
	v_cndmask_b32_e64 v16, 0, 1, vcc_lo
	v_cmp_eq_u32_e32 vcc_lo, 3, v14
	v_cndmask_b32_e64 v14, 0, 1, vcc_lo
	v_cmp_ne_u32_e32 vcc_lo, 0, v1
	v_or_b32_e32 v14, v14, v16
	v_cndmask_b32_e32 v1, 0x7c00, v17, vcc_lo
	v_cmp_ne_u32_e32 vcc_lo, 0, v8
	s_delay_alu instid0(VALU_DEP_3) | instskip(SKIP_3) | instid1(VALU_DEP_4)
	v_dual_cndmask_b32 v8, 0x7c00, v17 :: v_dual_add_nc_u32 v3, v3, v14
	v_cmp_gt_i32_e32 vcc_lo, 31, v5
	v_cndmask_b32_e32 v10, 0x7c00, v10, vcc_lo
	v_cmp_gt_i32_e32 vcc_lo, 31, v12
	v_cndmask_b32_e32 v3, 0x7c00, v3, vcc_lo
	v_cmp_eq_u32_e32 vcc_lo, 0x40f, v5
	s_delay_alu instid0(VALU_DEP_4) | instskip(SKIP_1) | instid1(VALU_DEP_4)
	v_cndmask_b32_e32 v1, v10, v1, vcc_lo
	v_cmp_eq_u32_e32 vcc_lo, 0x40f, v12
	v_cndmask_b32_e32 v3, v3, v8, vcc_lo
	s_delay_alu instid0(VALU_DEP_3) | instskip(NEXT) | instid1(VALU_DEP_2)
	v_and_or_b32 v1, 0x8000, v9, v1
	v_and_or_b32 v3, 0x8000, v11, v3
	s_branch .LBB151_528
.LBB151_524:
	s_mov_b32 s27, -1
                                        ; implicit-def: $vgpr3
                                        ; implicit-def: $vgpr1
	s_branch .LBB151_547
.LBB151_525:
	s_mov_b32 s27, -1
                                        ; implicit-def: $vgpr3
                                        ; implicit-def: $vgpr1
	s_branch .LBB151_534
.LBB151_526:
	s_mov_b32 s27, -1
                                        ; implicit-def: $vgpr3
                                        ; implicit-def: $vgpr1
	s_branch .LBB151_531
.LBB151_527:
	s_mov_b32 s27, -1
                                        ; implicit-def: $vgpr3
                                        ; implicit-def: $vgpr1
.LBB151_528:
	s_delay_alu instid0(SALU_CYCLE_1)
	s_and_not1_b32 vcc_lo, exec_lo, s27
	s_cbranch_vccnz .LBB151_530
; %bb.529:
	global_load_b64 v[8:9], v[6:7], off
	s_wait_loadcnt 0x0
	v_cvt_f16_f32_e32 v1, v8
	v_cvt_f16_f32_e32 v3, v9
.LBB151_530:
	s_mov_b32 s27, 0
.LBB151_531:
	s_delay_alu instid0(SALU_CYCLE_1)
	s_and_not1_b32 vcc_lo, exec_lo, s27
	s_cbranch_vccnz .LBB151_533
; %bb.532:
	global_load_b32 v1, v[6:7], off
	s_wait_loadcnt 0x0
	v_lshrrev_b32_e32 v3, 16, v1
.LBB151_533:
	s_mov_b32 s27, 0
.LBB151_534:
	s_delay_alu instid0(SALU_CYCLE_1)
	s_and_not1_b32 vcc_lo, exec_lo, s27
	s_cbranch_vccnz .LBB151_546
; %bb.535:
	s_cmp_lt_i32 s0, 6
	s_cbranch_scc1 .LBB151_538
; %bb.536:
	s_cmp_gt_i32 s0, 6
	s_cbranch_scc0 .LBB151_539
; %bb.537:
	global_load_b64 v[8:9], v[6:7], off
	s_mov_b32 s27, 0
	s_wait_loadcnt 0x0
	v_and_or_b32 v1, 0x1ff, v9, v8
	v_lshrrev_b32_e32 v3, 8, v9
	v_bfe_u32 v5, v9, 20, 11
	s_delay_alu instid0(VALU_DEP_3) | instskip(NEXT) | instid1(VALU_DEP_2)
	v_cmp_ne_u32_e32 vcc_lo, 0, v1
	v_sub_nc_u32_e32 v8, 0x3f1, v5
	v_add_nc_u32_e32 v5, 0xfffffc10, v5
	v_cndmask_b32_e64 v1, 0, 1, vcc_lo
	s_delay_alu instid0(VALU_DEP_1) | instskip(NEXT) | instid1(VALU_DEP_4)
	v_and_or_b32 v1, 0xffe, v3, v1
	v_med3_i32 v3, v8, 0, 13
	s_delay_alu instid0(VALU_DEP_2) | instskip(NEXT) | instid1(VALU_DEP_1)
	v_or_b32_e32 v8, 0x1000, v1
	v_lshrrev_b32_e32 v10, v3, v8
	s_delay_alu instid0(VALU_DEP_1) | instskip(NEXT) | instid1(VALU_DEP_1)
	v_lshlrev_b32_e32 v3, v3, v10
	v_cmp_ne_u32_e32 vcc_lo, v3, v8
	v_lshl_or_b32 v8, v5, 12, v1
	v_cndmask_b32_e64 v3, 0, 1, vcc_lo
	v_cmp_gt_i32_e32 vcc_lo, 1, v5
	s_delay_alu instid0(VALU_DEP_2) | instskip(NEXT) | instid1(VALU_DEP_1)
	v_or_b32_e32 v3, v10, v3
	v_cndmask_b32_e32 v3, v8, v3, vcc_lo
	s_delay_alu instid0(VALU_DEP_1) | instskip(NEXT) | instid1(VALU_DEP_1)
	v_dual_lshrrev_b32 v3, 2, v3 :: v_dual_bitop2_b32 v8, 7, v3 bitop3:0x40
	v_cmp_lt_i32_e32 vcc_lo, 5, v8
	v_cndmask_b32_e64 v10, 0, 1, vcc_lo
	v_cmp_eq_u32_e32 vcc_lo, 3, v8
	v_cndmask_b32_e64 v8, 0, 1, vcc_lo
	v_cmp_ne_u32_e32 vcc_lo, 0, v1
	s_delay_alu instid0(VALU_DEP_2) | instskip(NEXT) | instid1(VALU_DEP_1)
	v_or_b32_e32 v8, v8, v10
	v_dual_mov_b32 v10, 0x7e00 :: v_dual_add_nc_u32 v3, v3, v8
	s_delay_alu instid0(VALU_DEP_1) | instskip(SKIP_1) | instid1(VALU_DEP_3)
	v_cndmask_b32_e32 v1, 0x7c00, v10, vcc_lo
	v_cmp_gt_i32_e32 vcc_lo, 31, v5
	v_cndmask_b32_e32 v3, 0x7c00, v3, vcc_lo
	v_cmp_eq_u32_e32 vcc_lo, 0x40f, v5
	s_delay_alu instid0(VALU_DEP_2) | instskip(SKIP_1) | instid1(VALU_DEP_1)
	v_cndmask_b32_e32 v1, v3, v1, vcc_lo
	v_lshrrev_b32_e32 v3, 16, v9
	v_and_or_b32 v1, 0x8000, v3, v1
	s_branch .LBB151_540
.LBB151_538:
	s_mov_b32 s27, -1
                                        ; implicit-def: $vgpr1
	s_branch .LBB151_543
.LBB151_539:
	s_mov_b32 s27, -1
                                        ; implicit-def: $vgpr1
.LBB151_540:
	s_delay_alu instid0(SALU_CYCLE_1)
	s_and_not1_b32 vcc_lo, exec_lo, s27
	s_cbranch_vccnz .LBB151_542
; %bb.541:
	global_load_b32 v1, v[6:7], off
	s_wait_loadcnt 0x0
	v_cvt_f16_f32_e32 v1, v1
.LBB151_542:
	s_mov_b32 s27, 0
.LBB151_543:
	s_delay_alu instid0(SALU_CYCLE_1)
	s_and_not1_b32 vcc_lo, exec_lo, s27
	s_cbranch_vccnz .LBB151_545
; %bb.544:
	global_load_u16 v1, v[6:7], off
.LBB151_545:
	v_mov_b32_e32 v3, 0
.LBB151_546:
	s_mov_b32 s27, 0
.LBB151_547:
	s_delay_alu instid0(SALU_CYCLE_1)
	s_and_not1_b32 vcc_lo, exec_lo, s27
	s_cbranch_vccnz .LBB151_568
; %bb.548:
	s_cmp_lt_i32 s0, 2
	s_cbranch_scc1 .LBB151_552
; %bb.549:
	s_cmp_lt_i32 s0, 3
	s_cbranch_scc1 .LBB151_553
; %bb.550:
	s_cmp_gt_i32 s0, 3
	s_cbranch_scc0 .LBB151_554
; %bb.551:
	global_load_b64 v[8:9], v[6:7], off
	s_mov_b32 s27, 0
	s_wait_loadcnt 0x0
	v_xor_b32_e32 v1, v8, v9
	v_cls_i32_e32 v3, v9
	s_delay_alu instid0(VALU_DEP_2) | instskip(NEXT) | instid1(VALU_DEP_1)
	v_ashrrev_i32_e32 v1, 31, v1
	v_add_nc_u32_e32 v1, 32, v1
	s_delay_alu instid0(VALU_DEP_1) | instskip(NEXT) | instid1(VALU_DEP_1)
	v_add_min_u32_e64 v1, v3, -1, v1
	v_lshlrev_b64_e32 v[8:9], v1, v[8:9]
	v_sub_nc_u32_e32 v1, 32, v1
	s_delay_alu instid0(VALU_DEP_2) | instskip(NEXT) | instid1(VALU_DEP_1)
	v_min_u32_e32 v3, 1, v8
	v_or_b32_e32 v3, v9, v3
	s_delay_alu instid0(VALU_DEP_1) | instskip(NEXT) | instid1(VALU_DEP_1)
	v_cvt_f32_i32_e32 v3, v3
	v_ldexp_f32 v1, v3, v1
	s_delay_alu instid0(VALU_DEP_1)
	v_cvt_f16_f32_e32 v1, v1
	s_branch .LBB151_555
.LBB151_552:
	s_mov_b32 s27, -1
                                        ; implicit-def: $vgpr1
	s_branch .LBB151_561
.LBB151_553:
	s_mov_b32 s27, -1
                                        ; implicit-def: $vgpr1
	s_branch .LBB151_558
.LBB151_554:
	s_mov_b32 s27, -1
                                        ; implicit-def: $vgpr1
.LBB151_555:
	s_delay_alu instid0(SALU_CYCLE_1)
	s_and_not1_b32 vcc_lo, exec_lo, s27
	s_cbranch_vccnz .LBB151_557
; %bb.556:
	s_wait_loadcnt 0x0
	global_load_b32 v1, v[6:7], off
	s_wait_loadcnt 0x0
	v_cvt_f32_i32_e32 v1, v1
	s_delay_alu instid0(VALU_DEP_1)
	v_cvt_f16_f32_e32 v1, v1
.LBB151_557:
	s_mov_b32 s27, 0
.LBB151_558:
	s_delay_alu instid0(SALU_CYCLE_1)
	s_and_not1_b32 vcc_lo, exec_lo, s27
	s_cbranch_vccnz .LBB151_560
; %bb.559:
	s_wait_loadcnt 0x0
	global_load_u16 v1, v[6:7], off
	s_wait_loadcnt 0x0
	v_cvt_f16_i16_e32 v1, v1
.LBB151_560:
	s_mov_b32 s27, 0
.LBB151_561:
	s_delay_alu instid0(SALU_CYCLE_1)
	s_and_not1_b32 vcc_lo, exec_lo, s27
	s_cbranch_vccnz .LBB151_567
; %bb.562:
	s_cmp_gt_i32 s0, 0
	s_mov_b32 s0, 0
	s_cbranch_scc0 .LBB151_564
; %bb.563:
	s_wait_loadcnt 0x0
	global_load_i8 v1, v[6:7], off
	s_wait_loadcnt 0x0
	v_cvt_f16_i16_e32 v1, v1
	s_branch .LBB151_565
.LBB151_564:
	s_mov_b32 s0, -1
                                        ; implicit-def: $vgpr1
.LBB151_565:
	s_delay_alu instid0(SALU_CYCLE_1)
	s_and_not1_b32 vcc_lo, exec_lo, s0
	s_cbranch_vccnz .LBB151_567
; %bb.566:
	s_wait_loadcnt 0x0
	global_load_u8 v1, v[6:7], off
	s_wait_loadcnt 0x0
	v_cvt_f16_u16_e32 v1, v1
.LBB151_567:
	v_mov_b32_e32 v3, 0
.LBB151_568:
	s_branch .LBB151_431
.LBB151_569:
	s_mov_b32 s47, 0
	s_mov_b32 s0, s39
	;; [unrolled: 1-line block ×3, first 2 shown]
	s_branch .LBB151_823
.LBB151_570:
	s_and_not1_saveexec_b32 s45, s45
	s_cbranch_execz .LBB151_212
.LBB151_571:
	s_wait_loadcnt 0x0
	v_add_f32_e32 v1, 0x42800000, v4
	s_and_not1_b32 s44, s44, exec_lo
	s_delay_alu instid0(VALU_DEP_1) | instskip(NEXT) | instid1(VALU_DEP_1)
	v_and_b32_e32 v1, 0xff, v1
	v_cmp_ne_u32_e32 vcc_lo, 0, v1
	s_and_b32 s46, vcc_lo, exec_lo
	s_delay_alu instid0(SALU_CYCLE_1)
	s_or_b32 s44, s44, s46
	s_or_b32 exec_lo, exec_lo, s45
	v_mov_b32_e32 v5, 0
	s_and_saveexec_b32 s45, s44
	s_cbranch_execnz .LBB151_213
	s_branch .LBB151_214
.LBB151_572:
	s_mov_b32 s27, -1
	s_mov_b32 s44, 0
.LBB151_573:
                                        ; implicit-def: $vgpr7
                                        ; implicit-def: $vgpr6
.LBB151_574:
	s_and_b32 vcc_lo, exec_lo, s45
	s_cbranch_vccz .LBB151_579
; %bb.575:
	s_cmp_eq_u32 s43, 44
	s_cbranch_scc0 .LBB151_577
; %bb.576:
	global_load_u8 v6, v[4:5], off
	s_mov_b32 s27, 0
	s_mov_b32 s44, -1
	s_wait_loadcnt 0x0
	v_lshlrev_b32_e32 v7, 23, v6
	v_cmp_ne_u32_e32 vcc_lo, 0xff, v6
	s_delay_alu instid0(VALU_DEP_2) | instskip(NEXT) | instid1(VALU_DEP_1)
	v_cvt_f16_f32_e32 v7, v7
	v_cndmask_b32_e32 v7, 0x7e00, v7, vcc_lo
	v_cmp_ne_u32_e32 vcc_lo, 0, v6
	s_delay_alu instid0(VALU_DEP_2)
	v_cndmask_b32_e32 v6, 0, v7, vcc_lo
	s_branch .LBB151_578
.LBB151_577:
	s_mov_b32 s27, -1
                                        ; implicit-def: $vgpr6
.LBB151_578:
	s_wait_xcnt 0x0
	v_mov_b32_e32 v7, 0
.LBB151_579:
	s_mov_b32 s45, 0
.LBB151_580:
	s_delay_alu instid0(SALU_CYCLE_1)
	s_and_b32 vcc_lo, exec_lo, s45
	s_cbranch_vccz .LBB151_585
; %bb.581:
	s_cmp_eq_u32 s43, 29
	s_cbranch_scc0 .LBB151_583
; %bb.582:
	global_load_b64 v[6:7], v[4:5], off
	s_mov_b32 s44, -1
	s_mov_b32 s27, 0
	s_wait_loadcnt 0x0
	v_clz_i32_u32_e32 v8, v7
	s_delay_alu instid0(VALU_DEP_1) | instskip(NEXT) | instid1(VALU_DEP_1)
	v_min_u32_e32 v8, 32, v8
	v_lshlrev_b64_e32 v[6:7], v8, v[6:7]
	s_delay_alu instid0(VALU_DEP_1) | instskip(NEXT) | instid1(VALU_DEP_1)
	v_min_u32_e32 v6, 1, v6
	v_dual_sub_nc_u32 v7, 32, v8 :: v_dual_bitop2_b32 v6, v7, v6 bitop3:0x54
	s_delay_alu instid0(VALU_DEP_1) | instskip(NEXT) | instid1(VALU_DEP_1)
	v_cvt_f32_u32_e32 v6, v6
	v_ldexp_f32 v6, v6, v7
	s_delay_alu instid0(VALU_DEP_1)
	v_cvt_f16_f32_e32 v6, v6
	s_branch .LBB151_584
.LBB151_583:
	s_mov_b32 s27, -1
                                        ; implicit-def: $vgpr6
.LBB151_584:
	s_wait_xcnt 0x0
	v_mov_b32_e32 v7, 0
.LBB151_585:
	s_mov_b32 s45, 0
.LBB151_586:
	s_delay_alu instid0(SALU_CYCLE_1)
	s_and_b32 vcc_lo, exec_lo, s45
	s_cbranch_vccz .LBB151_604
; %bb.587:
	s_cmp_lt_i32 s43, 27
	s_cbranch_scc1 .LBB151_590
; %bb.588:
	s_cmp_gt_i32 s43, 27
	s_cbranch_scc0 .LBB151_591
; %bb.589:
	global_load_b32 v6, v[4:5], off
	s_mov_b32 s44, 0
	s_wait_loadcnt 0x0
	v_cvt_f32_u32_e32 v6, v6
	s_delay_alu instid0(VALU_DEP_1)
	v_cvt_f16_f32_e32 v6, v6
	s_branch .LBB151_592
.LBB151_590:
	s_mov_b32 s44, -1
                                        ; implicit-def: $vgpr6
	s_branch .LBB151_595
.LBB151_591:
	s_mov_b32 s44, -1
                                        ; implicit-def: $vgpr6
.LBB151_592:
	s_delay_alu instid0(SALU_CYCLE_1)
	s_and_not1_b32 vcc_lo, exec_lo, s44
	s_cbranch_vccnz .LBB151_594
; %bb.593:
	global_load_u16 v6, v[4:5], off
	s_wait_loadcnt 0x0
	v_cvt_f16_u16_e32 v6, v6
.LBB151_594:
	s_mov_b32 s44, 0
.LBB151_595:
	s_delay_alu instid0(SALU_CYCLE_1)
	s_and_not1_b32 vcc_lo, exec_lo, s44
	s_cbranch_vccnz .LBB151_603
; %bb.596:
	global_load_u8 v7, v[4:5], off
	s_mov_b32 s44, 0
	s_mov_b32 s45, exec_lo
	s_wait_loadcnt 0x0
	v_cmpx_lt_i16_e32 0x7f, v7
	s_xor_b32 s45, exec_lo, s45
	s_cbranch_execz .LBB151_617
; %bb.597:
	s_mov_b32 s44, -1
	s_mov_b32 s47, exec_lo
	v_cmpx_eq_u16_e32 0x80, v7
; %bb.598:
	s_xor_b32 s44, exec_lo, -1
; %bb.599:
	s_or_b32 exec_lo, exec_lo, s47
	s_delay_alu instid0(SALU_CYCLE_1)
	s_and_b32 s44, s44, exec_lo
	s_or_saveexec_b32 s45, s45
	v_mov_b32_e32 v6, 0x7e00
	s_xor_b32 exec_lo, exec_lo, s45
	s_cbranch_execnz .LBB151_618
.LBB151_600:
	s_or_b32 exec_lo, exec_lo, s45
	s_and_saveexec_b32 s45, s44
	s_cbranch_execz .LBB151_602
.LBB151_601:
	v_and_b32_e32 v6, 0xffff, v7
	s_delay_alu instid0(VALU_DEP_1) | instskip(SKIP_1) | instid1(VALU_DEP_2)
	v_and_b32_e32 v8, 7, v6
	v_bfe_u32 v11, v6, 3, 4
	v_clz_i32_u32_e32 v9, v8
	s_delay_alu instid0(VALU_DEP_2) | instskip(NEXT) | instid1(VALU_DEP_2)
	v_cmp_eq_u32_e32 vcc_lo, 0, v11
	v_min_u32_e32 v9, 32, v9
	s_delay_alu instid0(VALU_DEP_1) | instskip(NEXT) | instid1(VALU_DEP_1)
	v_subrev_nc_u32_e32 v10, 28, v9
	v_dual_lshlrev_b32 v6, v10, v6 :: v_dual_sub_nc_u32 v9, 29, v9
	s_delay_alu instid0(VALU_DEP_1) | instskip(NEXT) | instid1(VALU_DEP_1)
	v_dual_lshlrev_b32 v7, 24, v7 :: v_dual_bitop2_b32 v6, 7, v6 bitop3:0x40
	v_dual_cndmask_b32 v9, v11, v9 :: v_dual_cndmask_b32 v6, v8, v6
	s_delay_alu instid0(VALU_DEP_2) | instskip(NEXT) | instid1(VALU_DEP_2)
	v_and_b32_e32 v7, 0x80000000, v7
	v_lshl_add_u32 v8, v9, 23, 0x3b800000
	s_delay_alu instid0(VALU_DEP_3) | instskip(NEXT) | instid1(VALU_DEP_1)
	v_lshlrev_b32_e32 v6, 20, v6
	v_or3_b32 v6, v7, v8, v6
	s_delay_alu instid0(VALU_DEP_1)
	v_cvt_f16_f32_e32 v6, v6
.LBB151_602:
	s_or_b32 exec_lo, exec_lo, s45
.LBB151_603:
	s_wait_xcnt 0x0
	v_mov_b32_e32 v7, 0
	s_mov_b32 s44, -1
.LBB151_604:
	s_mov_b32 s45, 0
.LBB151_605:
	s_delay_alu instid0(SALU_CYCLE_1)
	s_and_b32 vcc_lo, exec_lo, s45
	s_cbranch_vccz .LBB151_641
; %bb.606:
	s_cmp_gt_i32 s43, 22
	s_cbranch_scc0 .LBB151_616
; %bb.607:
	s_cmp_lt_i32 s43, 24
	s_cbranch_scc1 .LBB151_619
; %bb.608:
	s_cmp_gt_i32 s43, 24
	s_cbranch_scc0 .LBB151_620
; %bb.609:
	global_load_u8 v7, v[4:5], off
	s_mov_b32 s44, 0
	s_mov_b32 s45, exec_lo
	s_wait_loadcnt 0x0
	v_cmpx_lt_i16_e32 0x7f, v7
	s_xor_b32 s45, exec_lo, s45
	s_cbranch_execz .LBB151_632
; %bb.610:
	s_mov_b32 s44, -1
	s_mov_b32 s47, exec_lo
	v_cmpx_eq_u16_e32 0x80, v7
; %bb.611:
	s_xor_b32 s44, exec_lo, -1
; %bb.612:
	s_or_b32 exec_lo, exec_lo, s47
	s_delay_alu instid0(SALU_CYCLE_1)
	s_and_b32 s44, s44, exec_lo
	s_or_saveexec_b32 s45, s45
	v_mov_b32_e32 v6, 0x7e00
	s_xor_b32 exec_lo, exec_lo, s45
	s_cbranch_execnz .LBB151_633
.LBB151_613:
	s_or_b32 exec_lo, exec_lo, s45
	s_and_saveexec_b32 s45, s44
	s_cbranch_execz .LBB151_615
.LBB151_614:
	v_and_b32_e32 v6, 0xffff, v7
	s_delay_alu instid0(VALU_DEP_1) | instskip(SKIP_1) | instid1(VALU_DEP_2)
	v_and_b32_e32 v8, 3, v6
	v_bfe_u32 v11, v6, 2, 5
	v_clz_i32_u32_e32 v9, v8
	s_delay_alu instid0(VALU_DEP_2) | instskip(NEXT) | instid1(VALU_DEP_2)
	v_cmp_eq_u32_e32 vcc_lo, 0, v11
	v_min_u32_e32 v9, 32, v9
	s_delay_alu instid0(VALU_DEP_1) | instskip(NEXT) | instid1(VALU_DEP_1)
	v_subrev_nc_u32_e32 v10, 29, v9
	v_dual_lshlrev_b32 v6, v10, v6 :: v_dual_sub_nc_u32 v9, 30, v9
	s_delay_alu instid0(VALU_DEP_1) | instskip(NEXT) | instid1(VALU_DEP_1)
	v_dual_lshlrev_b32 v7, 24, v7 :: v_dual_bitop2_b32 v6, 3, v6 bitop3:0x40
	v_dual_cndmask_b32 v9, v11, v9 :: v_dual_cndmask_b32 v6, v8, v6
	s_delay_alu instid0(VALU_DEP_2) | instskip(NEXT) | instid1(VALU_DEP_2)
	v_and_b32_e32 v7, 0x80000000, v7
	v_lshl_add_u32 v8, v9, 23, 0x37800000
	s_delay_alu instid0(VALU_DEP_3) | instskip(NEXT) | instid1(VALU_DEP_1)
	v_lshlrev_b32_e32 v6, 21, v6
	v_or3_b32 v6, v7, v8, v6
	s_delay_alu instid0(VALU_DEP_1)
	v_cvt_f16_f32_e32 v6, v6
.LBB151_615:
	s_or_b32 exec_lo, exec_lo, s45
	s_mov_b32 s44, 0
	s_branch .LBB151_621
.LBB151_616:
	s_mov_b32 s45, -1
                                        ; implicit-def: $vgpr6
	s_branch .LBB151_627
.LBB151_617:
	s_or_saveexec_b32 s45, s45
	v_mov_b32_e32 v6, 0x7e00
	s_xor_b32 exec_lo, exec_lo, s45
	s_cbranch_execz .LBB151_600
.LBB151_618:
	v_cmp_ne_u16_e32 vcc_lo, 0, v7
	v_mov_b32_e32 v6, v7
	s_and_not1_b32 s44, s44, exec_lo
	s_and_b32 s47, vcc_lo, exec_lo
	s_delay_alu instid0(SALU_CYCLE_1)
	s_or_b32 s44, s44, s47
	s_or_b32 exec_lo, exec_lo, s45
	s_and_saveexec_b32 s45, s44
	s_cbranch_execnz .LBB151_601
	s_branch .LBB151_602
.LBB151_619:
	s_mov_b32 s44, -1
                                        ; implicit-def: $vgpr6
	s_branch .LBB151_624
.LBB151_620:
	s_mov_b32 s44, -1
                                        ; implicit-def: $vgpr6
.LBB151_621:
	s_delay_alu instid0(SALU_CYCLE_1)
	s_and_b32 vcc_lo, exec_lo, s44
	s_cbranch_vccz .LBB151_623
; %bb.622:
	global_load_u8 v6, v[4:5], off
	s_wait_loadcnt 0x0
	v_lshlrev_b32_e32 v6, 24, v6
	s_delay_alu instid0(VALU_DEP_1) | instskip(NEXT) | instid1(VALU_DEP_1)
	v_and_b32_e32 v7, 0x7f000000, v6
	v_clz_i32_u32_e32 v8, v7
	v_cmp_ne_u32_e32 vcc_lo, 0, v7
	v_add_nc_u32_e32 v10, 0x1000000, v7
	s_delay_alu instid0(VALU_DEP_3) | instskip(NEXT) | instid1(VALU_DEP_1)
	v_min_u32_e32 v8, 32, v8
	v_sub_nc_u32_e64 v8, v8, 4 clamp
	s_delay_alu instid0(VALU_DEP_1) | instskip(NEXT) | instid1(VALU_DEP_1)
	v_dual_lshlrev_b32 v9, v8, v7 :: v_dual_lshlrev_b32 v8, 23, v8
	v_lshrrev_b32_e32 v9, 4, v9
	s_delay_alu instid0(VALU_DEP_1) | instskip(NEXT) | instid1(VALU_DEP_1)
	v_dual_sub_nc_u32 v8, v9, v8 :: v_dual_ashrrev_i32 v9, 8, v10
	v_add_nc_u32_e32 v8, 0x3c000000, v8
	s_delay_alu instid0(VALU_DEP_1) | instskip(NEXT) | instid1(VALU_DEP_1)
	v_and_or_b32 v8, 0x7f800000, v9, v8
	v_cndmask_b32_e32 v7, 0, v8, vcc_lo
	s_delay_alu instid0(VALU_DEP_1) | instskip(NEXT) | instid1(VALU_DEP_1)
	v_and_or_b32 v6, 0x80000000, v6, v7
	v_cvt_f16_f32_e32 v6, v6
.LBB151_623:
	s_mov_b32 s44, 0
.LBB151_624:
	s_delay_alu instid0(SALU_CYCLE_1)
	s_and_not1_b32 vcc_lo, exec_lo, s44
	s_cbranch_vccnz .LBB151_626
; %bb.625:
	global_load_u8 v6, v[4:5], off
	s_wait_loadcnt 0x0
	v_lshlrev_b32_e32 v7, 25, v6
	v_lshlrev_b16 v6, 8, v6
	s_delay_alu instid0(VALU_DEP_1) | instskip(SKIP_1) | instid1(VALU_DEP_2)
	v_and_or_b32 v9, 0x7f00, v6, 0.5
	v_bfe_i32 v6, v6, 0, 16
	v_dual_add_f32 v9, -0.5, v9 :: v_dual_lshrrev_b32 v8, 4, v7
	v_cmp_gt_u32_e32 vcc_lo, 0x8000000, v7
	s_delay_alu instid0(VALU_DEP_2) | instskip(NEXT) | instid1(VALU_DEP_1)
	v_or_b32_e32 v8, 0x70000000, v8
	v_mul_f32_e32 v8, 0x7800000, v8
	s_delay_alu instid0(VALU_DEP_1) | instskip(NEXT) | instid1(VALU_DEP_1)
	v_cndmask_b32_e32 v7, v8, v9, vcc_lo
	v_and_or_b32 v6, 0x80000000, v6, v7
	s_delay_alu instid0(VALU_DEP_1)
	v_cvt_f16_f32_e32 v6, v6
.LBB151_626:
	s_mov_b32 s45, 0
	s_mov_b32 s44, -1
.LBB151_627:
	s_and_not1_b32 vcc_lo, exec_lo, s45
	s_cbranch_vccnz .LBB151_640
; %bb.628:
	s_cmp_gt_i32 s43, 14
	s_cbranch_scc0 .LBB151_631
; %bb.629:
	s_cmp_eq_u32 s43, 15
	s_cbranch_scc0 .LBB151_634
; %bb.630:
	global_load_u16 v6, v[4:5], off
	s_mov_b32 s44, -1
	s_mov_b32 s27, 0
	s_wait_loadcnt 0x0
	v_lshlrev_b32_e32 v6, 16, v6
	s_delay_alu instid0(VALU_DEP_1)
	v_cvt_f16_f32_e32 v6, v6
	s_branch .LBB151_635
.LBB151_631:
	s_mov_b32 s45, -1
                                        ; implicit-def: $vgpr6
	s_branch .LBB151_636
.LBB151_632:
	s_or_saveexec_b32 s45, s45
	v_mov_b32_e32 v6, 0x7e00
	s_xor_b32 exec_lo, exec_lo, s45
	s_cbranch_execz .LBB151_613
.LBB151_633:
	v_cmp_ne_u16_e32 vcc_lo, 0, v7
	v_mov_b32_e32 v6, v7
	s_and_not1_b32 s44, s44, exec_lo
	s_and_b32 s47, vcc_lo, exec_lo
	s_delay_alu instid0(SALU_CYCLE_1)
	s_or_b32 s44, s44, s47
	s_or_b32 exec_lo, exec_lo, s45
	s_and_saveexec_b32 s45, s44
	s_cbranch_execnz .LBB151_614
	s_branch .LBB151_615
.LBB151_634:
	s_mov_b32 s27, -1
                                        ; implicit-def: $vgpr6
.LBB151_635:
	s_mov_b32 s45, 0
.LBB151_636:
	s_delay_alu instid0(SALU_CYCLE_1)
	s_and_b32 vcc_lo, exec_lo, s45
	s_cbranch_vccz .LBB151_640
; %bb.637:
	s_cmp_eq_u32 s43, 11
	s_cbranch_scc0 .LBB151_639
; %bb.638:
	global_load_u8 v6, v[4:5], off
	s_mov_b32 s27, 0
	s_mov_b32 s44, -1
	v_mov_b32_e32 v7, 0
	s_wait_loadcnt 0x0
	v_cmp_ne_u16_e32 vcc_lo, 0, v6
	v_cndmask_b32_e64 v6, 0, 0x3c00, vcc_lo
	s_branch .LBB151_641
.LBB151_639:
	s_mov_b32 s27, -1
                                        ; implicit-def: $vgpr6
.LBB151_640:
	s_wait_xcnt 0x0
	v_mov_b32_e32 v7, 0
.LBB151_641:
	s_mov_b32 s43, 0
.LBB151_642:
	s_delay_alu instid0(SALU_CYCLE_1)
	s_and_b32 vcc_lo, exec_lo, s43
	s_cbranch_vccz .LBB151_693
; %bb.643:
	s_and_b32 s0, 0xffff, s0
	s_delay_alu instid0(SALU_CYCLE_1)
	s_cmp_lt_i32 s0, 5
	s_cbranch_scc1 .LBB151_648
; %bb.644:
	s_cmp_lt_i32 s0, 8
	s_cbranch_scc1 .LBB151_649
; %bb.645:
	s_cmp_lt_i32 s0, 9
	s_cbranch_scc1 .LBB151_650
; %bb.646:
	s_cmp_gt_i32 s0, 9
	s_cbranch_scc0 .LBB151_651
; %bb.647:
	global_load_b128 v[6:9], v[4:5], off
	v_mov_b32_e32 v18, 0x7e00
	s_mov_b32 s43, 0
	s_wait_loadcnt 0x0
	v_and_or_b32 v6, 0x1ff, v7, v6
	v_and_or_b32 v8, 0x1ff, v9, v8
	v_dual_lshrrev_b32 v10, 8, v7 :: v_dual_lshrrev_b32 v12, 8, v9
	v_bfe_u32 v11, v7, 20, 11
	s_delay_alu instid0(VALU_DEP_4) | instskip(SKIP_2) | instid1(VALU_DEP_4)
	v_cmp_ne_u32_e32 vcc_lo, 0, v6
	v_bfe_u32 v13, v9, 20, 11
	v_dual_lshrrev_b32 v7, 16, v7 :: v_dual_lshrrev_b32 v9, 16, v9
	v_sub_nc_u32_e32 v14, 0x3f1, v11
	v_cndmask_b32_e64 v6, 0, 1, vcc_lo
	v_cmp_ne_u32_e32 vcc_lo, 0, v8
	s_delay_alu instid0(VALU_DEP_2) | instskip(SKIP_2) | instid1(VALU_DEP_2)
	v_and_or_b32 v6, 0xffe, v10, v6
	v_cndmask_b32_e64 v8, 0, 1, vcc_lo
	v_sub_nc_u32_e32 v10, 0x3f1, v13
	v_and_or_b32 v8, 0xffe, v12, v8
	v_med3_i32 v12, v14, 0, 13
	v_or_b32_e32 v14, 0x1000, v6
	s_delay_alu instid0(VALU_DEP_4) | instskip(NEXT) | instid1(VALU_DEP_4)
	v_med3_i32 v10, v10, 0, 13
	v_or_b32_e32 v15, 0x1000, v8
	s_delay_alu instid0(VALU_DEP_1) | instskip(NEXT) | instid1(VALU_DEP_1)
	v_dual_lshrrev_b32 v16, v12, v14 :: v_dual_lshrrev_b32 v17, v10, v15
	v_dual_lshlrev_b32 v12, v12, v16 :: v_dual_lshlrev_b32 v10, v10, v17
	s_delay_alu instid0(VALU_DEP_1) | instskip(SKIP_1) | instid1(VALU_DEP_3)
	v_cmp_ne_u32_e32 vcc_lo, v12, v14
	v_cndmask_b32_e64 v12, 0, 1, vcc_lo
	v_cmp_ne_u32_e32 vcc_lo, v10, v15
	s_delay_alu instid0(VALU_DEP_2) | instskip(SKIP_2) | instid1(VALU_DEP_2)
	v_or_b32_e32 v12, v16, v12
	v_add_nc_u32_e32 v11, 0xfffffc10, v11
	v_cndmask_b32_e64 v10, 0, 1, vcc_lo
	v_lshl_or_b32 v14, v11, 12, v6
	v_cmp_gt_i32_e32 vcc_lo, 1, v11
	s_delay_alu instid0(VALU_DEP_2) | instskip(NEXT) | instid1(VALU_DEP_1)
	v_dual_cndmask_b32 v12, v14, v12, vcc_lo :: v_dual_bitop2_b32 v10, v17, v10 bitop3:0x54
	v_dual_lshrrev_b32 v12, 2, v12 :: v_dual_bitop2_b32 v14, 7, v12 bitop3:0x40
	v_add_nc_u32_e32 v13, 0xfffffc10, v13
	s_delay_alu instid0(VALU_DEP_1) | instskip(SKIP_1) | instid1(VALU_DEP_2)
	v_lshl_or_b32 v15, v13, 12, v8
	v_cmp_gt_i32_e32 vcc_lo, 1, v13
	v_cndmask_b32_e32 v10, v15, v10, vcc_lo
	v_cmp_lt_i32_e32 vcc_lo, 5, v14
	s_delay_alu instid0(VALU_DEP_2)
	v_and_b32_e32 v15, 7, v10
	v_cndmask_b32_e64 v16, 0, 1, vcc_lo
	v_cmp_eq_u32_e32 vcc_lo, 3, v14
	v_lshrrev_b32_e32 v10, 2, v10
	v_cndmask_b32_e64 v14, 0, 1, vcc_lo
	v_cmp_lt_i32_e32 vcc_lo, 5, v15
	v_cndmask_b32_e64 v17, 0, 1, vcc_lo
	v_cmp_eq_u32_e32 vcc_lo, 3, v15
	v_cndmask_b32_e64 v15, 0, 1, vcc_lo
	v_cmp_ne_u32_e32 vcc_lo, 0, v6
	v_cndmask_b32_e32 v6, 0x7c00, v18, vcc_lo
	v_or_b32_e32 v14, v14, v16
	v_cmp_ne_u32_e32 vcc_lo, 0, v8
	s_delay_alu instid0(VALU_DEP_2) | instskip(SKIP_2) | instid1(VALU_DEP_3)
	v_dual_add_nc_u32 v12, v12, v14 :: v_dual_bitop2_b32 v15, v15, v17 bitop3:0x54
	v_cndmask_b32_e32 v8, 0x7c00, v18, vcc_lo
	v_cmp_gt_i32_e32 vcc_lo, 31, v11
	v_add_nc_u32_e32 v10, v10, v15
	s_delay_alu instid0(VALU_DEP_4) | instskip(SKIP_1) | instid1(VALU_DEP_3)
	v_cndmask_b32_e32 v12, 0x7c00, v12, vcc_lo
	v_cmp_gt_i32_e32 vcc_lo, 31, v13
	v_cndmask_b32_e32 v10, 0x7c00, v10, vcc_lo
	v_cmp_eq_u32_e32 vcc_lo, 0x40f, v11
	s_delay_alu instid0(VALU_DEP_4) | instskip(SKIP_1) | instid1(VALU_DEP_2)
	v_cndmask_b32_e32 v6, v12, v6, vcc_lo
	v_cmp_eq_u32_e32 vcc_lo, 0x40f, v13
	v_and_or_b32 v6, 0x8000, v7, v6
	v_cndmask_b32_e32 v8, v10, v8, vcc_lo
	s_delay_alu instid0(VALU_DEP_1)
	v_and_or_b32 v7, 0x8000, v9, v8
	s_branch .LBB151_652
.LBB151_648:
	s_mov_b32 s43, -1
                                        ; implicit-def: $vgpr7
                                        ; implicit-def: $vgpr6
	s_branch .LBB151_671
.LBB151_649:
	s_mov_b32 s43, -1
                                        ; implicit-def: $vgpr7
                                        ; implicit-def: $vgpr6
	s_branch .LBB151_658
.LBB151_650:
	s_mov_b32 s43, -1
                                        ; implicit-def: $vgpr7
                                        ; implicit-def: $vgpr6
	s_branch .LBB151_655
.LBB151_651:
	s_mov_b32 s43, -1
                                        ; implicit-def: $vgpr7
                                        ; implicit-def: $vgpr6
.LBB151_652:
	s_delay_alu instid0(SALU_CYCLE_1)
	s_and_not1_b32 vcc_lo, exec_lo, s43
	s_cbranch_vccnz .LBB151_654
; %bb.653:
	global_load_b64 v[6:7], v[4:5], off
	s_wait_loadcnt 0x0
	v_cvt_f16_f32_e32 v6, v6
	v_cvt_f16_f32_e32 v7, v7
.LBB151_654:
	s_mov_b32 s43, 0
.LBB151_655:
	s_delay_alu instid0(SALU_CYCLE_1)
	s_and_not1_b32 vcc_lo, exec_lo, s43
	s_cbranch_vccnz .LBB151_657
; %bb.656:
	global_load_b32 v6, v[4:5], off
	s_wait_loadcnt 0x0
	v_lshrrev_b32_e32 v7, 16, v6
.LBB151_657:
	s_mov_b32 s43, 0
.LBB151_658:
	s_delay_alu instid0(SALU_CYCLE_1)
	s_and_not1_b32 vcc_lo, exec_lo, s43
	s_cbranch_vccnz .LBB151_670
; %bb.659:
	s_cmp_lt_i32 s0, 6
	s_cbranch_scc1 .LBB151_662
; %bb.660:
	s_cmp_gt_i32 s0, 6
	s_cbranch_scc0 .LBB151_663
; %bb.661:
	global_load_b64 v[6:7], v[4:5], off
	s_mov_b32 s43, 0
	s_wait_loadcnt 0x0
	v_and_or_b32 v6, 0x1ff, v7, v6
	v_lshrrev_b32_e32 v8, 8, v7
	v_bfe_u32 v9, v7, 20, 11
	v_lshrrev_b32_e32 v7, 16, v7
	s_delay_alu instid0(VALU_DEP_4) | instskip(NEXT) | instid1(VALU_DEP_3)
	v_cmp_ne_u32_e32 vcc_lo, 0, v6
	v_sub_nc_u32_e32 v10, 0x3f1, v9
	v_add_nc_u32_e32 v9, 0xfffffc10, v9
	v_cndmask_b32_e64 v6, 0, 1, vcc_lo
	s_delay_alu instid0(VALU_DEP_1) | instskip(NEXT) | instid1(VALU_DEP_4)
	v_and_or_b32 v6, 0xffe, v8, v6
	v_med3_i32 v8, v10, 0, 13
	s_delay_alu instid0(VALU_DEP_2) | instskip(NEXT) | instid1(VALU_DEP_1)
	v_or_b32_e32 v10, 0x1000, v6
	v_lshrrev_b32_e32 v11, v8, v10
	s_delay_alu instid0(VALU_DEP_1) | instskip(NEXT) | instid1(VALU_DEP_1)
	v_lshlrev_b32_e32 v8, v8, v11
	v_cmp_ne_u32_e32 vcc_lo, v8, v10
	v_lshl_or_b32 v10, v9, 12, v6
	v_cndmask_b32_e64 v8, 0, 1, vcc_lo
	v_cmp_gt_i32_e32 vcc_lo, 1, v9
	s_delay_alu instid0(VALU_DEP_2) | instskip(NEXT) | instid1(VALU_DEP_1)
	v_or_b32_e32 v8, v11, v8
	v_cndmask_b32_e32 v8, v10, v8, vcc_lo
	s_delay_alu instid0(VALU_DEP_1) | instskip(NEXT) | instid1(VALU_DEP_1)
	v_dual_lshrrev_b32 v8, 2, v8 :: v_dual_bitop2_b32 v10, 7, v8 bitop3:0x40
	v_cmp_lt_i32_e32 vcc_lo, 5, v10
	v_cndmask_b32_e64 v11, 0, 1, vcc_lo
	v_cmp_eq_u32_e32 vcc_lo, 3, v10
	v_cndmask_b32_e64 v10, 0, 1, vcc_lo
	v_cmp_ne_u32_e32 vcc_lo, 0, v6
	s_delay_alu instid0(VALU_DEP_2) | instskip(NEXT) | instid1(VALU_DEP_1)
	v_or_b32_e32 v10, v10, v11
	v_dual_mov_b32 v11, 0x7e00 :: v_dual_add_nc_u32 v8, v8, v10
	s_delay_alu instid0(VALU_DEP_1) | instskip(SKIP_1) | instid1(VALU_DEP_3)
	v_cndmask_b32_e32 v6, 0x7c00, v11, vcc_lo
	v_cmp_gt_i32_e32 vcc_lo, 31, v9
	v_cndmask_b32_e32 v8, 0x7c00, v8, vcc_lo
	v_cmp_eq_u32_e32 vcc_lo, 0x40f, v9
	s_delay_alu instid0(VALU_DEP_2) | instskip(NEXT) | instid1(VALU_DEP_1)
	v_cndmask_b32_e32 v6, v8, v6, vcc_lo
	v_and_or_b32 v6, 0x8000, v7, v6
	s_branch .LBB151_664
.LBB151_662:
	s_mov_b32 s43, -1
                                        ; implicit-def: $vgpr6
	s_branch .LBB151_667
.LBB151_663:
	s_mov_b32 s43, -1
                                        ; implicit-def: $vgpr6
.LBB151_664:
	s_delay_alu instid0(SALU_CYCLE_1)
	s_and_not1_b32 vcc_lo, exec_lo, s43
	s_cbranch_vccnz .LBB151_666
; %bb.665:
	global_load_b32 v6, v[4:5], off
	s_wait_loadcnt 0x0
	v_cvt_f16_f32_e32 v6, v6
.LBB151_666:
	s_mov_b32 s43, 0
.LBB151_667:
	s_delay_alu instid0(SALU_CYCLE_1)
	s_and_not1_b32 vcc_lo, exec_lo, s43
	s_cbranch_vccnz .LBB151_669
; %bb.668:
	global_load_u16 v6, v[4:5], off
.LBB151_669:
	s_wait_xcnt 0x0
	v_mov_b32_e32 v7, 0
.LBB151_670:
	s_mov_b32 s43, 0
.LBB151_671:
	s_delay_alu instid0(SALU_CYCLE_1)
	s_and_not1_b32 vcc_lo, exec_lo, s43
	s_cbranch_vccnz .LBB151_692
; %bb.672:
	s_cmp_lt_i32 s0, 2
	s_cbranch_scc1 .LBB151_676
; %bb.673:
	s_cmp_lt_i32 s0, 3
	s_cbranch_scc1 .LBB151_677
; %bb.674:
	s_cmp_gt_i32 s0, 3
	s_cbranch_scc0 .LBB151_678
; %bb.675:
	s_wait_loadcnt 0x0
	global_load_b64 v[6:7], v[4:5], off
	s_mov_b32 s43, 0
	s_wait_loadcnt 0x0
	v_xor_b32_e32 v8, v6, v7
	v_cls_i32_e32 v9, v7
	s_delay_alu instid0(VALU_DEP_2) | instskip(NEXT) | instid1(VALU_DEP_1)
	v_ashrrev_i32_e32 v8, 31, v8
	v_add_nc_u32_e32 v8, 32, v8
	s_delay_alu instid0(VALU_DEP_1) | instskip(NEXT) | instid1(VALU_DEP_1)
	v_add_min_u32_e64 v8, v9, -1, v8
	v_lshlrev_b64_e32 v[6:7], v8, v[6:7]
	s_delay_alu instid0(VALU_DEP_1) | instskip(NEXT) | instid1(VALU_DEP_1)
	v_min_u32_e32 v6, 1, v6
	v_dual_sub_nc_u32 v7, 32, v8 :: v_dual_bitop2_b32 v6, v7, v6 bitop3:0x54
	s_delay_alu instid0(VALU_DEP_1) | instskip(NEXT) | instid1(VALU_DEP_1)
	v_cvt_f32_i32_e32 v6, v6
	v_ldexp_f32 v6, v6, v7
	s_delay_alu instid0(VALU_DEP_1)
	v_cvt_f16_f32_e32 v6, v6
	s_branch .LBB151_679
.LBB151_676:
	s_mov_b32 s43, -1
                                        ; implicit-def: $vgpr6
	s_branch .LBB151_685
.LBB151_677:
	s_mov_b32 s43, -1
                                        ; implicit-def: $vgpr6
	s_branch .LBB151_682
.LBB151_678:
	s_mov_b32 s43, -1
                                        ; implicit-def: $vgpr6
.LBB151_679:
	s_delay_alu instid0(SALU_CYCLE_1)
	s_and_not1_b32 vcc_lo, exec_lo, s43
	s_cbranch_vccnz .LBB151_681
; %bb.680:
	s_wait_loadcnt 0x0
	global_load_b32 v6, v[4:5], off
	s_wait_loadcnt 0x0
	v_cvt_f32_i32_e32 v6, v6
	s_delay_alu instid0(VALU_DEP_1)
	v_cvt_f16_f32_e32 v6, v6
.LBB151_681:
	s_mov_b32 s43, 0
.LBB151_682:
	s_delay_alu instid0(SALU_CYCLE_1)
	s_and_not1_b32 vcc_lo, exec_lo, s43
	s_cbranch_vccnz .LBB151_684
; %bb.683:
	s_wait_loadcnt 0x0
	global_load_u16 v6, v[4:5], off
	s_wait_loadcnt 0x0
	v_cvt_f16_i16_e32 v6, v6
.LBB151_684:
	s_mov_b32 s43, 0
.LBB151_685:
	s_delay_alu instid0(SALU_CYCLE_1)
	s_and_not1_b32 vcc_lo, exec_lo, s43
	s_cbranch_vccnz .LBB151_691
; %bb.686:
	s_cmp_gt_i32 s0, 0
	s_mov_b32 s0, 0
	s_cbranch_scc0 .LBB151_688
; %bb.687:
	s_wait_loadcnt 0x0
	global_load_i8 v6, v[4:5], off
	s_wait_loadcnt 0x0
	v_cvt_f16_i16_e32 v6, v6
	s_branch .LBB151_689
.LBB151_688:
	s_mov_b32 s0, -1
                                        ; implicit-def: $vgpr6
.LBB151_689:
	s_delay_alu instid0(SALU_CYCLE_1)
	s_and_not1_b32 vcc_lo, exec_lo, s0
	s_cbranch_vccnz .LBB151_691
; %bb.690:
	global_load_u8 v4, v[4:5], off
	s_wait_loadcnt 0x0
	v_cvt_f16_u16_e32 v6, v4
.LBB151_691:
	s_wait_xcnt 0x0
	v_mov_b32_e32 v7, 0
.LBB151_692:
	s_mov_b32 s44, -1
.LBB151_693:
	s_delay_alu instid0(SALU_CYCLE_1)
	s_and_not1_b32 vcc_lo, exec_lo, s44
	s_cbranch_vccnz .LBB151_696
; %bb.694:
	s_and_not1_b32 vcc_lo, exec_lo, s10
	s_cbranch_vccnz .LBB151_697
; %bb.695:
	s_wait_loadcnt 0x0
	v_cmp_neq_f16_e32 vcc_lo, v1, v6
	v_cmp_neq_f16_e64 s0, v3, v7
	s_or_b32 s43, vcc_lo, s0
	s_mov_b32 s0, 0
	s_branch .LBB151_698
.LBB151_696:
	s_mov_b32 s47, 0
	s_mov_b32 s0, s39
	s_branch .LBB151_823
.LBB151_697:
	s_mov_b32 s0, -1
                                        ; implicit-def: $sgpr43
.LBB151_698:
	s_delay_alu instid0(SALU_CYCLE_1)
	s_and_not1_b32 vcc_lo, exec_lo, s0
	s_cbranch_vccnz .LBB151_700
; %bb.699:
	s_wait_loadcnt 0x0
	v_cmp_eq_f16_e32 vcc_lo, v1, v6
	v_cmp_eq_f16_e64 s0, v3, v7
	s_and_not1_b32 s43, s43, exec_lo
	s_and_b32 s0, vcc_lo, s0
	s_delay_alu instid0(SALU_CYCLE_1) | instskip(NEXT) | instid1(SALU_CYCLE_1)
	s_and_b32 s0, s0, exec_lo
	s_or_b32 s43, s43, s0
.LBB151_700:
	v_mov_b32_e32 v3, 0
	s_and_b32 s44, s11, 0xff
	s_delay_alu instid0(SALU_CYCLE_1) | instskip(NEXT) | instid1(VALU_DEP_1)
	s_cmp_lt_i32 s44, 11
	v_add_nc_u64_e32 v[2:3], s[4:5], v[2:3]
	s_cbranch_scc1 .LBB151_707
; %bb.701:
	s_and_b32 s45, 0xffff, s44
	s_delay_alu instid0(SALU_CYCLE_1)
	s_cmp_gt_i32 s45, 25
	s_cbranch_scc0 .LBB151_708
; %bb.702:
	s_cmp_gt_i32 s45, 28
	s_cbranch_scc0 .LBB151_709
; %bb.703:
	;; [unrolled: 3-line block ×4, first 2 shown]
	s_mov_b32 s48, 0
	s_mov_b32 s0, -1
	s_cmp_eq_u32 s45, 46
	s_mov_b32 s47, 0
	s_cbranch_scc0 .LBB151_712
; %bb.706:
	s_wait_loadcnt 0x0
	v_cndmask_b32_e64 v1, 0, 1.0, s43
	s_mov_b32 s47, -1
	s_mov_b32 s0, 0
	s_wait_xcnt 0x0
	s_delay_alu instid0(VALU_DEP_1) | instskip(NEXT) | instid1(VALU_DEP_1)
	v_bfe_u32 v4, v1, 16, 1
	v_add3_u32 v1, v1, v4, 0x7fff
	s_delay_alu instid0(VALU_DEP_1)
	v_lshrrev_b32_e32 v1, 16, v1
	global_store_b32 v[2:3], v1, off
	s_branch .LBB151_712
.LBB151_707:
	s_mov_b32 s45, -1
	s_mov_b32 s47, 0
	s_mov_b32 s0, s39
	s_branch .LBB151_781
.LBB151_708:
	s_mov_b32 s48, -1
	s_mov_b32 s47, 0
	s_mov_b32 s0, s39
	s_branch .LBB151_739
.LBB151_709:
	s_mov_b32 s48, -1
	s_mov_b32 s47, 0
	s_mov_b32 s0, s39
	s_branch .LBB151_722
.LBB151_710:
	s_mov_b32 s48, -1
	s_mov_b32 s47, 0
	s_mov_b32 s0, s39
	s_branch .LBB151_718
.LBB151_711:
	s_mov_b32 s48, -1
	s_mov_b32 s47, 0
	s_mov_b32 s0, s39
.LBB151_712:
	s_and_b32 vcc_lo, exec_lo, s48
	s_cbranch_vccz .LBB151_717
; %bb.713:
	s_cmp_eq_u32 s45, 44
	s_mov_b32 s0, -1
	s_cbranch_scc0 .LBB151_717
; %bb.714:
	s_wait_xcnt 0x0
	v_cndmask_b32_e64 v5, 0, 1.0, s43
	s_mov_b32 s47, exec_lo
	s_wait_loadcnt 0x0
	s_delay_alu instid0(VALU_DEP_1) | instskip(NEXT) | instid1(VALU_DEP_1)
	v_dual_mov_b32 v4, 0xff :: v_dual_lshrrev_b32 v1, 23, v5
	v_cmpx_ne_u32_e32 0xff, v1
; %bb.715:
	v_and_b32_e32 v4, 0x400000, v5
	v_and_or_b32 v5, 0x3fffff, v5, v1
	s_delay_alu instid0(VALU_DEP_2) | instskip(NEXT) | instid1(VALU_DEP_2)
	v_cmp_ne_u32_e32 vcc_lo, 0, v4
	v_cmp_ne_u32_e64 s0, 0, v5
	s_and_b32 s0, vcc_lo, s0
	s_delay_alu instid0(SALU_CYCLE_1) | instskip(NEXT) | instid1(VALU_DEP_1)
	v_cndmask_b32_e64 v4, 0, 1, s0
	v_add_nc_u32_e32 v4, v1, v4
; %bb.716:
	s_or_b32 exec_lo, exec_lo, s47
	s_mov_b32 s47, -1
	s_mov_b32 s0, 0
	global_store_b8 v[2:3], v4, off
.LBB151_717:
	s_mov_b32 s48, 0
.LBB151_718:
	s_delay_alu instid0(SALU_CYCLE_1)
	s_and_b32 vcc_lo, exec_lo, s48
	s_cbranch_vccz .LBB151_721
; %bb.719:
	s_cmp_eq_u32 s45, 29
	s_mov_b32 s0, -1
	s_cbranch_scc0 .LBB151_721
; %bb.720:
	s_mov_b32 s0, 0
	s_wait_xcnt 0x0
	v_cndmask_b32_e64 v4, 0, 1, s43
	v_mov_b32_e32 v5, s0
	s_mov_b32 s47, -1
	s_mov_b32 s48, 0
	global_store_b64 v[2:3], v[4:5], off
	s_branch .LBB151_722
.LBB151_721:
	s_mov_b32 s48, 0
.LBB151_722:
	s_delay_alu instid0(SALU_CYCLE_1)
	s_and_b32 vcc_lo, exec_lo, s48
	s_cbranch_vccz .LBB151_738
; %bb.723:
	s_cmp_lt_i32 s45, 27
	s_mov_b32 s47, -1
	s_cbranch_scc1 .LBB151_729
; %bb.724:
	s_cmp_gt_i32 s45, 27
	s_cbranch_scc0 .LBB151_726
; %bb.725:
	s_wait_loadcnt 0x0
	v_cndmask_b32_e64 v1, 0, 1, s43
	s_mov_b32 s47, 0
	global_store_b32 v[2:3], v1, off
.LBB151_726:
	s_and_not1_b32 vcc_lo, exec_lo, s47
	s_cbranch_vccnz .LBB151_728
; %bb.727:
	s_wait_loadcnt 0x0
	v_cndmask_b32_e64 v1, 0, 1, s43
	global_store_b16 v[2:3], v1, off
.LBB151_728:
	s_mov_b32 s47, 0
.LBB151_729:
	s_delay_alu instid0(SALU_CYCLE_1)
	s_and_not1_b32 vcc_lo, exec_lo, s47
	s_cbranch_vccnz .LBB151_737
; %bb.730:
	s_wait_xcnt 0x0
	v_cndmask_b32_e64 v4, 0, 1.0, s43
	v_mov_b32_e32 v5, 0x80
	s_mov_b32 s47, exec_lo
	s_delay_alu instid0(VALU_DEP_2)
	v_cmpx_gt_u32_e32 0x43800000, v4
	s_cbranch_execz .LBB151_736
; %bb.731:
	s_mov_b32 s48, 0
	s_mov_b32 s49, exec_lo
                                        ; implicit-def: $vgpr1
	v_cmpx_lt_u32_e32 0x3bffffff, v4
	s_xor_b32 s49, exec_lo, s49
	s_cbranch_execz .LBB151_851
; %bb.732:
	s_wait_loadcnt 0x0
	v_bfe_u32 v1, v4, 20, 1
	s_mov_b32 s48, exec_lo
	s_delay_alu instid0(VALU_DEP_1) | instskip(NEXT) | instid1(VALU_DEP_1)
	v_add3_u32 v1, v4, v1, 0x487ffff
                                        ; implicit-def: $vgpr4
	v_lshrrev_b32_e32 v1, 20, v1
	s_and_not1_saveexec_b32 s49, s49
	s_cbranch_execnz .LBB151_852
.LBB151_733:
	s_or_b32 exec_lo, exec_lo, s49
	v_mov_b32_e32 v5, 0
	s_and_saveexec_b32 s49, s48
	s_cbranch_execz .LBB151_735
.LBB151_734:
	s_wait_loadcnt 0x0
	v_mov_b32_e32 v5, v1
.LBB151_735:
	s_or_b32 exec_lo, exec_lo, s49
.LBB151_736:
	s_delay_alu instid0(SALU_CYCLE_1)
	s_or_b32 exec_lo, exec_lo, s47
	global_store_b8 v[2:3], v5, off
.LBB151_737:
	s_mov_b32 s47, -1
.LBB151_738:
	s_mov_b32 s48, 0
.LBB151_739:
	s_delay_alu instid0(SALU_CYCLE_1)
	s_and_b32 vcc_lo, exec_lo, s48
	s_cbranch_vccz .LBB151_780
; %bb.740:
	s_cmp_gt_i32 s45, 22
	s_mov_b32 s48, -1
	s_cbranch_scc0 .LBB151_772
; %bb.741:
	s_cmp_lt_i32 s45, 24
	s_mov_b32 s47, -1
	s_cbranch_scc1 .LBB151_761
; %bb.742:
	s_cmp_gt_i32 s45, 24
	s_cbranch_scc0 .LBB151_750
; %bb.743:
	s_wait_xcnt 0x0
	v_cndmask_b32_e64 v4, 0, 1.0, s43
	v_mov_b32_e32 v5, 0x80
	s_mov_b32 s47, exec_lo
	s_delay_alu instid0(VALU_DEP_2)
	v_cmpx_gt_u32_e32 0x47800000, v4
	s_cbranch_execz .LBB151_749
; %bb.744:
	s_mov_b32 s48, 0
	s_mov_b32 s49, exec_lo
                                        ; implicit-def: $vgpr1
	v_cmpx_lt_u32_e32 0x37ffffff, v4
	s_xor_b32 s49, exec_lo, s49
	s_cbranch_execz .LBB151_988
; %bb.745:
	s_wait_loadcnt 0x0
	v_bfe_u32 v1, v4, 21, 1
	s_mov_b32 s48, exec_lo
	s_delay_alu instid0(VALU_DEP_1) | instskip(NEXT) | instid1(VALU_DEP_1)
	v_add3_u32 v1, v4, v1, 0x88fffff
                                        ; implicit-def: $vgpr4
	v_lshrrev_b32_e32 v1, 21, v1
	s_and_not1_saveexec_b32 s49, s49
	s_cbranch_execnz .LBB151_989
.LBB151_746:
	s_or_b32 exec_lo, exec_lo, s49
	v_mov_b32_e32 v5, 0
	s_and_saveexec_b32 s49, s48
	s_cbranch_execz .LBB151_748
.LBB151_747:
	s_wait_loadcnt 0x0
	v_mov_b32_e32 v5, v1
.LBB151_748:
	s_or_b32 exec_lo, exec_lo, s49
.LBB151_749:
	s_delay_alu instid0(SALU_CYCLE_1)
	s_or_b32 exec_lo, exec_lo, s47
	s_mov_b32 s47, 0
	global_store_b8 v[2:3], v5, off
.LBB151_750:
	s_and_b32 vcc_lo, exec_lo, s47
	s_cbranch_vccz .LBB151_760
; %bb.751:
	s_wait_xcnt 0x0
	v_cndmask_b32_e64 v4, 0, 1.0, s43
	s_mov_b32 s47, exec_lo
                                        ; implicit-def: $vgpr1
	s_delay_alu instid0(VALU_DEP_1)
	v_cmpx_gt_u32_e32 0x43f00000, v4
	s_xor_b32 s47, exec_lo, s47
	s_cbranch_execz .LBB151_757
; %bb.752:
	s_mov_b32 s48, exec_lo
                                        ; implicit-def: $vgpr1
	v_cmpx_lt_u32_e32 0x3c7fffff, v4
	s_xor_b32 s48, exec_lo, s48
	s_cbranch_execz .LBB151_754
; %bb.753:
	s_wait_loadcnt 0x0
	v_bfe_u32 v1, v4, 20, 1
	s_delay_alu instid0(VALU_DEP_1) | instskip(NEXT) | instid1(VALU_DEP_1)
	v_add3_u32 v1, v4, v1, 0x407ffff
	v_and_b32_e32 v4, 0xff00000, v1
	v_lshrrev_b32_e32 v1, 20, v1
	s_delay_alu instid0(VALU_DEP_2) | instskip(NEXT) | instid1(VALU_DEP_2)
	v_cmp_ne_u32_e32 vcc_lo, 0x7f00000, v4
                                        ; implicit-def: $vgpr4
	v_cndmask_b32_e32 v1, 0x7e, v1, vcc_lo
.LBB151_754:
	s_and_not1_saveexec_b32 s48, s48
	s_cbranch_execz .LBB151_756
; %bb.755:
	s_wait_loadcnt 0x0
	v_add_f32_e32 v1, 0x46800000, v4
.LBB151_756:
	s_or_b32 exec_lo, exec_lo, s48
                                        ; implicit-def: $vgpr4
.LBB151_757:
	s_and_not1_saveexec_b32 s47, s47
	s_cbranch_execz .LBB151_759
; %bb.758:
	s_wait_loadcnt 0x0
	v_mov_b32_e32 v1, 0x7f
	v_cmp_lt_u32_e32 vcc_lo, 0x7f800000, v4
	s_delay_alu instid0(VALU_DEP_2)
	v_cndmask_b32_e32 v1, 0x7e, v1, vcc_lo
.LBB151_759:
	s_or_b32 exec_lo, exec_lo, s47
	s_wait_loadcnt 0x0
	global_store_b8 v[2:3], v1, off
.LBB151_760:
	s_mov_b32 s47, 0
.LBB151_761:
	s_delay_alu instid0(SALU_CYCLE_1)
	s_and_not1_b32 vcc_lo, exec_lo, s47
	s_cbranch_vccnz .LBB151_771
; %bb.762:
	s_wait_xcnt 0x0
	v_cndmask_b32_e64 v4, 0, 1.0, s43
	s_mov_b32 s47, exec_lo
                                        ; implicit-def: $vgpr1
	s_delay_alu instid0(VALU_DEP_1)
	v_cmpx_gt_u32_e32 0x47800000, v4
	s_xor_b32 s47, exec_lo, s47
	s_cbranch_execz .LBB151_768
; %bb.763:
	s_mov_b32 s48, exec_lo
                                        ; implicit-def: $vgpr1
	v_cmpx_lt_u32_e32 0x387fffff, v4
	s_xor_b32 s48, exec_lo, s48
	s_cbranch_execz .LBB151_765
; %bb.764:
	s_wait_loadcnt 0x0
	v_bfe_u32 v1, v4, 21, 1
	s_delay_alu instid0(VALU_DEP_1) | instskip(NEXT) | instid1(VALU_DEP_1)
	v_add3_u32 v1, v4, v1, 0x80fffff
                                        ; implicit-def: $vgpr4
	v_lshrrev_b32_e32 v1, 21, v1
.LBB151_765:
	s_and_not1_saveexec_b32 s48, s48
	s_cbranch_execz .LBB151_767
; %bb.766:
	s_wait_loadcnt 0x0
	v_add_f32_e32 v1, 0x43000000, v4
.LBB151_767:
	s_or_b32 exec_lo, exec_lo, s48
                                        ; implicit-def: $vgpr4
.LBB151_768:
	s_and_not1_saveexec_b32 s47, s47
	s_cbranch_execz .LBB151_770
; %bb.769:
	s_wait_loadcnt 0x0
	v_mov_b32_e32 v1, 0x7f
	v_cmp_lt_u32_e32 vcc_lo, 0x7f800000, v4
	s_delay_alu instid0(VALU_DEP_2)
	v_cndmask_b32_e32 v1, 0x7c, v1, vcc_lo
.LBB151_770:
	s_or_b32 exec_lo, exec_lo, s47
	s_wait_loadcnt 0x0
	global_store_b8 v[2:3], v1, off
.LBB151_771:
	s_mov_b32 s48, 0
	s_mov_b32 s47, -1
.LBB151_772:
	s_and_not1_b32 vcc_lo, exec_lo, s48
	s_cbranch_vccnz .LBB151_780
; %bb.773:
	s_cmp_gt_i32 s45, 14
	s_mov_b32 s48, -1
	s_cbranch_scc0 .LBB151_777
; %bb.774:
	s_cmp_eq_u32 s45, 15
	s_mov_b32 s0, -1
	s_cbranch_scc0 .LBB151_776
; %bb.775:
	s_wait_loadcnt 0x0
	v_cndmask_b32_e64 v1, 0, 1.0, s43
	s_mov_b32 s47, -1
	s_mov_b32 s0, 0
	s_delay_alu instid0(VALU_DEP_1) | instskip(NEXT) | instid1(VALU_DEP_1)
	v_bfe_u32 v4, v1, 16, 1
	v_add3_u32 v1, v1, v4, 0x7fff
	global_store_d16_hi_b16 v[2:3], v1, off
.LBB151_776:
	s_mov_b32 s48, 0
.LBB151_777:
	s_delay_alu instid0(SALU_CYCLE_1)
	s_and_b32 vcc_lo, exec_lo, s48
	s_cbranch_vccz .LBB151_780
; %bb.778:
	s_cmp_eq_u32 s45, 11
	s_mov_b32 s0, -1
	s_cbranch_scc0 .LBB151_780
; %bb.779:
	s_wait_loadcnt 0x0
	v_cndmask_b32_e64 v1, 0, 1, s43
	s_mov_b32 s47, -1
	s_mov_b32 s0, 0
	global_store_b8 v[2:3], v1, off
.LBB151_780:
	s_mov_b32 s45, 0
.LBB151_781:
	s_delay_alu instid0(SALU_CYCLE_1)
	s_and_b32 vcc_lo, exec_lo, s45
	s_cbranch_vccz .LBB151_820
; %bb.782:
	s_and_b32 s44, 0xffff, s44
	s_mov_b32 s45, -1
	s_cmp_lt_i32 s44, 5
	s_cbranch_scc1 .LBB151_803
; %bb.783:
	s_cmp_lt_i32 s44, 8
	s_cbranch_scc1 .LBB151_793
; %bb.784:
	;; [unrolled: 3-line block ×3, first 2 shown]
	s_cmp_gt_i32 s44, 9
	s_cbranch_scc0 .LBB151_787
; %bb.786:
	s_wait_loadcnt 0x0
	v_cndmask_b32_e64 v1, 0, 1, s43
	v_mov_b32_e32 v6, 0
	s_mov_b32 s45, 0
	s_delay_alu instid0(VALU_DEP_2) | instskip(NEXT) | instid1(VALU_DEP_2)
	v_cvt_f64_u32_e32 v[4:5], v1
	v_mov_b32_e32 v7, v6
	global_store_b128 v[2:3], v[4:7], off
.LBB151_787:
	s_and_not1_b32 vcc_lo, exec_lo, s45
	s_cbranch_vccnz .LBB151_789
; %bb.788:
	s_wait_xcnt 0x0
	v_cndmask_b32_e64 v4, 0, 1.0, s43
	v_mov_b32_e32 v5, 0
	global_store_b64 v[2:3], v[4:5], off
.LBB151_789:
	s_mov_b32 s45, 0
.LBB151_790:
	s_delay_alu instid0(SALU_CYCLE_1)
	s_and_not1_b32 vcc_lo, exec_lo, s45
	s_cbranch_vccnz .LBB151_792
; %bb.791:
	s_wait_loadcnt 0x0
	v_cndmask_b32_e64 v1, 0, 1.0, s43
	s_delay_alu instid0(VALU_DEP_1) | instskip(NEXT) | instid1(VALU_DEP_1)
	v_cvt_f16_f32_e32 v1, v1
	v_and_b32_e32 v1, 0xffff, v1
	global_store_b32 v[2:3], v1, off
.LBB151_792:
	s_mov_b32 s45, 0
.LBB151_793:
	s_delay_alu instid0(SALU_CYCLE_1)
	s_and_not1_b32 vcc_lo, exec_lo, s45
	s_cbranch_vccnz .LBB151_802
; %bb.794:
	s_cmp_lt_i32 s44, 6
	s_mov_b32 s45, -1
	s_cbranch_scc1 .LBB151_800
; %bb.795:
	s_cmp_gt_i32 s44, 6
	s_cbranch_scc0 .LBB151_797
; %bb.796:
	s_wait_loadcnt 0x0
	v_cndmask_b32_e64 v1, 0, 1, s43
	s_mov_b32 s45, 0
	s_delay_alu instid0(VALU_DEP_1)
	v_cvt_f64_u32_e32 v[4:5], v1
	global_store_b64 v[2:3], v[4:5], off
.LBB151_797:
	s_and_not1_b32 vcc_lo, exec_lo, s45
	s_cbranch_vccnz .LBB151_799
; %bb.798:
	s_wait_loadcnt 0x0
	v_cndmask_b32_e64 v1, 0, 1.0, s43
	global_store_b32 v[2:3], v1, off
.LBB151_799:
	s_mov_b32 s45, 0
.LBB151_800:
	s_delay_alu instid0(SALU_CYCLE_1)
	s_and_not1_b32 vcc_lo, exec_lo, s45
	s_cbranch_vccnz .LBB151_802
; %bb.801:
	s_wait_loadcnt 0x0
	v_cndmask_b32_e64 v1, 0, 1.0, s43
	s_delay_alu instid0(VALU_DEP_1)
	v_cvt_f16_f32_e32 v1, v1
	global_store_b16 v[2:3], v1, off
.LBB151_802:
	s_mov_b32 s45, 0
.LBB151_803:
	s_delay_alu instid0(SALU_CYCLE_1)
	s_and_not1_b32 vcc_lo, exec_lo, s45
	s_cbranch_vccnz .LBB151_819
; %bb.804:
	s_cmp_lt_i32 s44, 2
	s_mov_b32 s45, -1
	s_cbranch_scc1 .LBB151_814
; %bb.805:
	s_cmp_lt_i32 s44, 3
	s_cbranch_scc1 .LBB151_811
; %bb.806:
	s_cmp_gt_i32 s44, 3
	s_cbranch_scc0 .LBB151_808
; %bb.807:
	s_mov_b32 s45, 0
	s_wait_xcnt 0x0
	v_cndmask_b32_e64 v4, 0, 1, s43
	v_mov_b32_e32 v5, s45
	global_store_b64 v[2:3], v[4:5], off
.LBB151_808:
	s_and_not1_b32 vcc_lo, exec_lo, s45
	s_cbranch_vccnz .LBB151_810
; %bb.809:
	s_wait_loadcnt 0x0
	v_cndmask_b32_e64 v1, 0, 1, s43
	global_store_b32 v[2:3], v1, off
.LBB151_810:
	s_mov_b32 s45, 0
.LBB151_811:
	s_delay_alu instid0(SALU_CYCLE_1)
	s_and_not1_b32 vcc_lo, exec_lo, s45
	s_cbranch_vccnz .LBB151_813
; %bb.812:
	s_wait_loadcnt 0x0
	v_cndmask_b32_e64 v1, 0, 1, s43
	global_store_b16 v[2:3], v1, off
.LBB151_813:
	s_mov_b32 s45, 0
.LBB151_814:
	s_delay_alu instid0(SALU_CYCLE_1)
	s_and_not1_b32 vcc_lo, exec_lo, s45
	s_cbranch_vccnz .LBB151_819
; %bb.815:
	s_wait_loadcnt 0x0
	v_cndmask_b32_e64 v1, 0, 1, s43
	s_cmp_gt_i32 s44, 0
	s_mov_b32 s43, -1
	s_cbranch_scc0 .LBB151_817
; %bb.816:
	s_mov_b32 s43, 0
	global_store_b8 v[2:3], v1, off
.LBB151_817:
	s_and_not1_b32 vcc_lo, exec_lo, s43
	s_cbranch_vccnz .LBB151_819
; %bb.818:
	global_store_b8 v[2:3], v1, off
.LBB151_819:
	s_mov_b32 s47, -1
.LBB151_820:
	s_delay_alu instid0(SALU_CYCLE_1)
	s_and_not1_b32 vcc_lo, exec_lo, s47
	s_cbranch_vccnz .LBB151_822
; %bb.821:
	v_add_nc_u32_e32 v0, 0x80, v0
	s_mov_b32 s47, -1
	s_branch .LBB151_824
.LBB151_822:
	s_mov_b32 s47, 0
.LBB151_823:
                                        ; implicit-def: $vgpr0
.LBB151_824:
	s_and_not1_b32 s43, s39, exec_lo
	s_and_b32 s0, s0, exec_lo
	s_and_b32 s27, s27, exec_lo
	s_or_b32 s44, s43, s0
	s_and_not1_b32 s0, s40, exec_lo
	s_and_not1_b32 s43, s41, exec_lo
	s_and_b32 s26, s26, exec_lo
	s_or_b32 s45, s0, s27
	s_or_b32 s43, s43, s26
	s_or_not1_b32 s48, s47, exec_lo
.LBB151_825:
	s_wait_xcnt 0x0
	s_or_b32 exec_lo, exec_lo, s46
	s_mov_b32 s47, 0
	s_mov_b32 s27, 0
	;; [unrolled: 1-line block ×3, first 2 shown]
                                        ; implicit-def: $sgpr0
                                        ; implicit-def: $vgpr6_vgpr7
                                        ; implicit-def: $vgpr4
                                        ; implicit-def: $vgpr2
                                        ; implicit-def: $vgpr8
                                        ; implicit-def: $vgpr3
	s_and_saveexec_b32 s46, s48
	s_cbranch_execz .LBB151_1342
; %bb.826:
	s_mov_b32 s52, -1
	s_mov_b32 s48, s43
	s_mov_b32 s50, s45
	;; [unrolled: 1-line block ×3, first 2 shown]
	s_mov_b32 s47, exec_lo
	v_cmpx_gt_i32_e64 s37, v0
	s_cbranch_execz .LBB151_1243
; %bb.827:
	s_and_not1_b32 vcc_lo, exec_lo, s31
	s_cbranch_vccnz .LBB151_833
; %bb.828:
	s_and_not1_b32 vcc_lo, exec_lo, s38
	s_cbranch_vccnz .LBB151_834
; %bb.829:
	s_wait_loadcnt 0x0
	v_dual_mov_b32 v2, 0 :: v_dual_mov_b32 v1, v0
	v_dual_mov_b32 v6, 0 :: v_dual_mov_b32 v4, 0
	s_add_co_i32 s0, s36, 1
	s_mov_b64 s[26:27], 0xffffffffffffffe8
	s_and_b32 s0, s0, 30
	s_add_nc_u64 s[26:27], s[2:3], s[26:27]
.LBB151_830:                            ; =>This Inner Loop Header: Depth=1
	s_clause 0x1
	s_load_b128 s[48:51], s[26:27], 0x1c
	s_load_b64 s[56:57], s[26:27], 0x2c
	s_add_co_i32 s0, s0, -2
	s_delay_alu instid0(SALU_CYCLE_1) | instskip(SKIP_2) | instid1(VALU_DEP_1)
	s_cmp_eq_u32 s0, 0
	s_wait_kmcnt 0x0
	v_mul_hi_u32 v3, s49, v1
	v_add_nc_u32_e32 v3, v1, v3
	s_delay_alu instid0(VALU_DEP_1) | instskip(NEXT) | instid1(VALU_DEP_1)
	v_lshrrev_b32_e32 v3, s50, v3
	v_mul_hi_u32 v5, s56, v3
	v_mul_lo_u32 v7, v3, s48
	s_clause 0x1
	s_load_b128 s[52:55], s[26:27], 0xdc
	s_load_b64 s[48:49], s[26:27], 0xec
	s_wait_xcnt 0x0
	s_add_nc_u64 s[26:27], s[26:27], 24
	s_delay_alu instid0(VALU_DEP_1) | instskip(NEXT) | instid1(VALU_DEP_1)
	v_dual_add_nc_u32 v5, v3, v5 :: v_dual_sub_nc_u32 v7, v1, v7
	v_lshrrev_b32_e32 v1, s57, v5
	s_wait_kmcnt 0x0
	s_delay_alu instid0(VALU_DEP_2) | instskip(NEXT) | instid1(VALU_DEP_2)
	v_mad_u32 v2, v7, s52, v2
	v_mul_lo_u32 v5, v1, s51
	v_mad_u32 v4, v7, s54, v4
	v_mad_u32 v6, v7, s53, v6
	s_delay_alu instid0(VALU_DEP_3) | instskip(NEXT) | instid1(VALU_DEP_1)
	v_sub_nc_u32_e32 v3, v3, v5
	v_mad_u32 v2, v3, s55, v2
	s_delay_alu instid0(VALU_DEP_4) | instskip(NEXT) | instid1(VALU_DEP_4)
	v_mad_u32 v4, v3, s49, v4
	v_mad_u32 v6, v3, s48, v6
	s_cbranch_scc0 .LBB151_830
; %bb.831:
	s_bitcmp1_b32 s36, 0
	s_cselect_b32 s0, -1, 0
	s_delay_alu instid0(SALU_CYCLE_1)
	s_and_b32 vcc_lo, exec_lo, s0
	s_cbranch_vccnz .LBB151_835
; %bb.832:
	s_clause 0x1
	s_load_b96 s[48:50], s[26:27], 0x1c
	s_load_b96 s[52:54], s[26:27], 0xdc
	s_wait_kmcnt 0x0
	v_mul_hi_u32 v3, s49, v1
	s_delay_alu instid0(VALU_DEP_1) | instskip(NEXT) | instid1(VALU_DEP_1)
	v_add_nc_u32_e32 v3, v1, v3
	v_lshrrev_b32_e32 v3, s50, v3
	s_delay_alu instid0(VALU_DEP_1) | instskip(NEXT) | instid1(VALU_DEP_1)
	v_mul_lo_u32 v3, v3, s48
	v_sub_nc_u32_e32 v1, v1, v3
	s_delay_alu instid0(VALU_DEP_1)
	v_mad_u32 v2, v1, s52, v2
	v_mad_u32 v6, v1, s53, v6
	;; [unrolled: 1-line block ×3, first 2 shown]
	s_branch .LBB151_835
.LBB151_833:
	s_mov_b32 s0, -1
                                        ; implicit-def: $vgpr4
                                        ; implicit-def: $vgpr6
                                        ; implicit-def: $vgpr2
	s_branch .LBB151_836
.LBB151_834:
	s_wait_loadcnt 0x0
	v_dual_mov_b32 v4, 0 :: v_dual_mov_b32 v6, 0
	v_mov_b32_e32 v2, 0
.LBB151_835:
	s_mov_b32 s0, 0
.LBB151_836:
	s_delay_alu instid0(SALU_CYCLE_1)
	s_and_not1_b32 vcc_lo, exec_lo, s0
	s_cbranch_vccnz .LBB151_839
; %bb.837:
	s_wait_loadcnt 0x0
	v_mov_b32_e32 v1, 0
	s_and_not1_b32 vcc_lo, exec_lo, s35
	s_delay_alu instid0(VALU_DEP_1) | instskip(NEXT) | instid1(VALU_DEP_1)
	v_mul_u64_e32 v[2:3], s[20:21], v[0:1]
	v_add_nc_u32_e32 v2, v0, v3
	s_delay_alu instid0(VALU_DEP_1) | instskip(NEXT) | instid1(VALU_DEP_1)
	v_lshrrev_b32_e32 v8, s14, v2
	v_mul_lo_u32 v2, v8, s12
	s_delay_alu instid0(VALU_DEP_1) | instskip(NEXT) | instid1(VALU_DEP_1)
	v_sub_nc_u32_e32 v3, v0, v2
	v_mul_lo_u32 v2, v3, s16
	v_mul_lo_u32 v4, v3, s18
	;; [unrolled: 1-line block ×3, first 2 shown]
	s_cbranch_vccnz .LBB151_839
; %bb.838:
	v_mov_b32_e32 v9, v1
	s_delay_alu instid0(VALU_DEP_1) | instskip(NEXT) | instid1(VALU_DEP_1)
	v_mul_u64_e32 v[10:11], s[24:25], v[8:9]
	v_add_nc_u32_e32 v1, v8, v11
	s_delay_alu instid0(VALU_DEP_1) | instskip(NEXT) | instid1(VALU_DEP_1)
	v_lshrrev_b32_e32 v1, s1, v1
	v_mul_lo_u32 v1, v1, s15
	s_delay_alu instid0(VALU_DEP_1) | instskip(NEXT) | instid1(VALU_DEP_1)
	v_sub_nc_u32_e32 v1, v8, v1
	v_mad_u32 v2, v1, s19, v2
	v_mad_u32 v6, v1, s22, v6
	;; [unrolled: 1-line block ×3, first 2 shown]
.LBB151_839:
	v_mov_b32_e32 v7, 0
	s_and_b32 s0, s34, 0xff
	s_delay_alu instid0(SALU_CYCLE_1) | instskip(SKIP_1) | instid1(VALU_DEP_1)
	s_cmp_lt_i32 s0, 11
	s_wait_loadcnt 0x0
	v_add_nc_u64_e32 v[6:7], s[6:7], v[6:7]
	s_cbranch_scc1 .LBB151_846
; %bb.840:
	s_and_b32 s27, 0xffff, s0
	s_delay_alu instid0(SALU_CYCLE_1)
	s_cmp_gt_i32 s27, 25
	s_cbranch_scc0 .LBB151_847
; %bb.841:
	s_cmp_gt_i32 s27, 28
	s_cbranch_scc0 .LBB151_848
; %bb.842:
	;; [unrolled: 3-line block ×4, first 2 shown]
	s_cmp_eq_u32 s27, 46
	s_mov_b32 s49, 0
	s_cbranch_scc0 .LBB151_853
; %bb.845:
	global_load_b32 v1, v[6:7], off
	s_mov_b32 s48, -1
	s_mov_b32 s26, 0
	s_wait_loadcnt 0x0
	v_lshlrev_b32_e32 v3, 16, v1
	v_and_b32_e32 v5, 0xffff0000, v1
	s_delay_alu instid0(VALU_DEP_2) | instskip(NEXT) | instid1(VALU_DEP_2)
	v_cvt_f16_f32_e32 v1, v3
	v_cvt_f16_f32_e32 v3, v5
	s_branch .LBB151_855
.LBB151_846:
	s_mov_b32 s27, -1
	s_mov_b32 s48, 0
	s_mov_b32 s26, s43
                                        ; implicit-def: $vgpr3
                                        ; implicit-def: $vgpr1
	s_branch .LBB151_923
.LBB151_847:
	s_mov_b32 s49, -1
	s_mov_b32 s48, 0
	s_mov_b32 s26, s43
                                        ; implicit-def: $vgpr3
                                        ; implicit-def: $vgpr1
	s_branch .LBB151_886
.LBB151_848:
	s_mov_b32 s49, -1
	s_mov_b32 s48, 0
	s_mov_b32 s26, s43
                                        ; implicit-def: $vgpr3
                                        ; implicit-def: $vgpr1
	s_branch .LBB151_867
.LBB151_849:
	s_mov_b32 s49, -1
	s_mov_b32 s48, 0
	s_mov_b32 s26, s43
                                        ; implicit-def: $vgpr3
                                        ; implicit-def: $vgpr1
	s_branch .LBB151_861
.LBB151_850:
	s_mov_b32 s49, -1
	s_mov_b32 s48, 0
	s_mov_b32 s26, s43
	s_branch .LBB151_854
.LBB151_851:
	s_and_not1_saveexec_b32 s49, s49
	s_cbranch_execz .LBB151_733
.LBB151_852:
	s_wait_loadcnt 0x0
	v_add_f32_e32 v1, 0x46000000, v4
	s_and_not1_b32 s48, s48, exec_lo
	s_delay_alu instid0(VALU_DEP_1) | instskip(NEXT) | instid1(VALU_DEP_1)
	v_and_b32_e32 v1, 0xff, v1
	v_cmp_ne_u32_e32 vcc_lo, 0, v1
	s_and_b32 s50, vcc_lo, exec_lo
	s_delay_alu instid0(SALU_CYCLE_1)
	s_or_b32 s48, s48, s50
	s_or_b32 exec_lo, exec_lo, s49
	v_mov_b32_e32 v5, 0
	s_and_saveexec_b32 s49, s48
	s_cbranch_execnz .LBB151_734
	s_branch .LBB151_735
.LBB151_853:
	s_mov_b32 s26, -1
	s_mov_b32 s48, 0
.LBB151_854:
                                        ; implicit-def: $vgpr3
                                        ; implicit-def: $vgpr1
.LBB151_855:
	s_and_b32 vcc_lo, exec_lo, s49
	s_cbranch_vccz .LBB151_860
; %bb.856:
	s_cmp_eq_u32 s27, 44
	s_cbranch_scc0 .LBB151_858
; %bb.857:
	global_load_u8 v1, v[6:7], off
	s_mov_b32 s26, 0
	s_mov_b32 s48, -1
	s_wait_loadcnt 0x0
	v_lshlrev_b32_e32 v3, 23, v1
	v_cmp_ne_u32_e32 vcc_lo, 0xff, v1
	s_delay_alu instid0(VALU_DEP_2) | instskip(NEXT) | instid1(VALU_DEP_1)
	v_cvt_f16_f32_e32 v3, v3
	v_cndmask_b32_e32 v3, 0x7e00, v3, vcc_lo
	v_cmp_ne_u32_e32 vcc_lo, 0, v1
	s_delay_alu instid0(VALU_DEP_2)
	v_cndmask_b32_e32 v1, 0, v3, vcc_lo
	s_branch .LBB151_859
.LBB151_858:
	s_mov_b32 s26, -1
                                        ; implicit-def: $vgpr1
.LBB151_859:
	v_mov_b32_e32 v3, 0
.LBB151_860:
	s_mov_b32 s49, 0
.LBB151_861:
	s_delay_alu instid0(SALU_CYCLE_1)
	s_and_b32 vcc_lo, exec_lo, s49
	s_cbranch_vccz .LBB151_866
; %bb.862:
	s_cmp_eq_u32 s27, 29
	s_cbranch_scc0 .LBB151_864
; %bb.863:
	global_load_b64 v[8:9], v[6:7], off
	s_mov_b32 s48, -1
	s_mov_b32 s26, 0
	s_wait_loadcnt 0x0
	v_clz_i32_u32_e32 v1, v9
	s_delay_alu instid0(VALU_DEP_1) | instskip(NEXT) | instid1(VALU_DEP_1)
	v_min_u32_e32 v1, 32, v1
	v_lshlrev_b64_e32 v[8:9], v1, v[8:9]
	v_sub_nc_u32_e32 v1, 32, v1
	s_delay_alu instid0(VALU_DEP_2) | instskip(NEXT) | instid1(VALU_DEP_1)
	v_min_u32_e32 v3, 1, v8
	v_or_b32_e32 v3, v9, v3
	s_delay_alu instid0(VALU_DEP_1) | instskip(NEXT) | instid1(VALU_DEP_1)
	v_cvt_f32_u32_e32 v3, v3
	v_ldexp_f32 v1, v3, v1
	s_delay_alu instid0(VALU_DEP_1)
	v_cvt_f16_f32_e32 v1, v1
	s_branch .LBB151_865
.LBB151_864:
	s_mov_b32 s26, -1
                                        ; implicit-def: $vgpr1
.LBB151_865:
	v_mov_b32_e32 v3, 0
.LBB151_866:
	s_mov_b32 s49, 0
.LBB151_867:
	s_delay_alu instid0(SALU_CYCLE_1)
	s_and_b32 vcc_lo, exec_lo, s49
	s_cbranch_vccz .LBB151_885
; %bb.868:
	s_cmp_lt_i32 s27, 27
	s_cbranch_scc1 .LBB151_871
; %bb.869:
	s_cmp_gt_i32 s27, 27
	s_cbranch_scc0 .LBB151_872
; %bb.870:
	global_load_b32 v1, v[6:7], off
	s_mov_b32 s48, 0
	s_wait_loadcnt 0x0
	v_cvt_f32_u32_e32 v1, v1
	s_delay_alu instid0(VALU_DEP_1)
	v_cvt_f16_f32_e32 v1, v1
	s_branch .LBB151_873
.LBB151_871:
	s_mov_b32 s48, -1
                                        ; implicit-def: $vgpr1
	s_branch .LBB151_876
.LBB151_872:
	s_mov_b32 s48, -1
                                        ; implicit-def: $vgpr1
.LBB151_873:
	s_delay_alu instid0(SALU_CYCLE_1)
	s_and_not1_b32 vcc_lo, exec_lo, s48
	s_cbranch_vccnz .LBB151_875
; %bb.874:
	global_load_u16 v1, v[6:7], off
	s_wait_loadcnt 0x0
	v_cvt_f16_u16_e32 v1, v1
.LBB151_875:
	s_mov_b32 s48, 0
.LBB151_876:
	s_delay_alu instid0(SALU_CYCLE_1)
	s_and_not1_b32 vcc_lo, exec_lo, s48
	s_cbranch_vccnz .LBB151_884
; %bb.877:
	global_load_u8 v3, v[6:7], off
	s_mov_b32 s48, 0
	s_mov_b32 s49, exec_lo
	s_wait_loadcnt 0x0
	v_cmpx_lt_i16_e32 0x7f, v3
	s_xor_b32 s49, exec_lo, s49
	s_cbranch_execz .LBB151_898
; %bb.878:
	s_mov_b32 s48, -1
	s_mov_b32 s50, exec_lo
	v_cmpx_eq_u16_e32 0x80, v3
; %bb.879:
	s_xor_b32 s48, exec_lo, -1
; %bb.880:
	s_or_b32 exec_lo, exec_lo, s50
	s_delay_alu instid0(SALU_CYCLE_1)
	s_and_b32 s48, s48, exec_lo
	s_or_saveexec_b32 s49, s49
	v_mov_b32_e32 v1, 0x7e00
	s_xor_b32 exec_lo, exec_lo, s49
	s_cbranch_execnz .LBB151_899
.LBB151_881:
	s_or_b32 exec_lo, exec_lo, s49
	s_and_saveexec_b32 s49, s48
	s_cbranch_execz .LBB151_883
.LBB151_882:
	v_and_b32_e32 v1, 0xffff, v3
	s_delay_alu instid0(VALU_DEP_1) | instskip(SKIP_1) | instid1(VALU_DEP_2)
	v_and_b32_e32 v5, 7, v1
	v_bfe_u32 v10, v1, 3, 4
	v_clz_i32_u32_e32 v8, v5
	s_delay_alu instid0(VALU_DEP_2) | instskip(NEXT) | instid1(VALU_DEP_2)
	v_cmp_eq_u32_e32 vcc_lo, 0, v10
	v_min_u32_e32 v8, 32, v8
	s_delay_alu instid0(VALU_DEP_1) | instskip(NEXT) | instid1(VALU_DEP_1)
	v_subrev_nc_u32_e32 v9, 28, v8
	v_dual_lshlrev_b32 v1, v9, v1 :: v_dual_sub_nc_u32 v8, 29, v8
	s_delay_alu instid0(VALU_DEP_1) | instskip(NEXT) | instid1(VALU_DEP_1)
	v_dual_lshlrev_b32 v3, 24, v3 :: v_dual_bitop2_b32 v1, 7, v1 bitop3:0x40
	v_dual_cndmask_b32 v8, v10, v8 :: v_dual_cndmask_b32 v1, v5, v1
	s_delay_alu instid0(VALU_DEP_2) | instskip(NEXT) | instid1(VALU_DEP_2)
	v_and_b32_e32 v3, 0x80000000, v3
	v_lshl_add_u32 v5, v8, 23, 0x3b800000
	s_delay_alu instid0(VALU_DEP_3) | instskip(NEXT) | instid1(VALU_DEP_1)
	v_lshlrev_b32_e32 v1, 20, v1
	v_or3_b32 v1, v3, v5, v1
	s_delay_alu instid0(VALU_DEP_1)
	v_cvt_f16_f32_e32 v1, v1
.LBB151_883:
	s_or_b32 exec_lo, exec_lo, s49
.LBB151_884:
	v_mov_b32_e32 v3, 0
	s_mov_b32 s48, -1
.LBB151_885:
	s_mov_b32 s49, 0
.LBB151_886:
	s_delay_alu instid0(SALU_CYCLE_1)
	s_and_b32 vcc_lo, exec_lo, s49
	s_cbranch_vccz .LBB151_922
; %bb.887:
	s_cmp_gt_i32 s27, 22
	s_cbranch_scc0 .LBB151_897
; %bb.888:
	s_cmp_lt_i32 s27, 24
	s_cbranch_scc1 .LBB151_900
; %bb.889:
	s_cmp_gt_i32 s27, 24
	s_cbranch_scc0 .LBB151_901
; %bb.890:
	global_load_u8 v3, v[6:7], off
	s_mov_b32 s48, 0
	s_mov_b32 s49, exec_lo
	s_wait_loadcnt 0x0
	v_cmpx_lt_i16_e32 0x7f, v3
	s_xor_b32 s49, exec_lo, s49
	s_cbranch_execz .LBB151_913
; %bb.891:
	s_mov_b32 s48, -1
	s_mov_b32 s50, exec_lo
	v_cmpx_eq_u16_e32 0x80, v3
; %bb.892:
	s_xor_b32 s48, exec_lo, -1
; %bb.893:
	s_or_b32 exec_lo, exec_lo, s50
	s_delay_alu instid0(SALU_CYCLE_1)
	s_and_b32 s48, s48, exec_lo
	s_or_saveexec_b32 s49, s49
	v_mov_b32_e32 v1, 0x7e00
	s_xor_b32 exec_lo, exec_lo, s49
	s_cbranch_execnz .LBB151_914
.LBB151_894:
	s_or_b32 exec_lo, exec_lo, s49
	s_and_saveexec_b32 s49, s48
	s_cbranch_execz .LBB151_896
.LBB151_895:
	v_and_b32_e32 v1, 0xffff, v3
	s_delay_alu instid0(VALU_DEP_1) | instskip(SKIP_1) | instid1(VALU_DEP_2)
	v_and_b32_e32 v5, 3, v1
	v_bfe_u32 v10, v1, 2, 5
	v_clz_i32_u32_e32 v8, v5
	s_delay_alu instid0(VALU_DEP_2) | instskip(NEXT) | instid1(VALU_DEP_2)
	v_cmp_eq_u32_e32 vcc_lo, 0, v10
	v_min_u32_e32 v8, 32, v8
	s_delay_alu instid0(VALU_DEP_1) | instskip(NEXT) | instid1(VALU_DEP_1)
	v_subrev_nc_u32_e32 v9, 29, v8
	v_dual_lshlrev_b32 v1, v9, v1 :: v_dual_sub_nc_u32 v8, 30, v8
	s_delay_alu instid0(VALU_DEP_1) | instskip(NEXT) | instid1(VALU_DEP_1)
	v_dual_lshlrev_b32 v3, 24, v3 :: v_dual_bitop2_b32 v1, 3, v1 bitop3:0x40
	v_dual_cndmask_b32 v8, v10, v8 :: v_dual_cndmask_b32 v1, v5, v1
	s_delay_alu instid0(VALU_DEP_2) | instskip(NEXT) | instid1(VALU_DEP_2)
	v_and_b32_e32 v3, 0x80000000, v3
	v_lshl_add_u32 v5, v8, 23, 0x37800000
	s_delay_alu instid0(VALU_DEP_3) | instskip(NEXT) | instid1(VALU_DEP_1)
	v_lshlrev_b32_e32 v1, 21, v1
	v_or3_b32 v1, v3, v5, v1
	s_delay_alu instid0(VALU_DEP_1)
	v_cvt_f16_f32_e32 v1, v1
.LBB151_896:
	s_or_b32 exec_lo, exec_lo, s49
	s_mov_b32 s48, 0
	s_branch .LBB151_902
.LBB151_897:
	s_mov_b32 s49, -1
                                        ; implicit-def: $vgpr1
	s_branch .LBB151_908
.LBB151_898:
	s_or_saveexec_b32 s49, s49
	v_mov_b32_e32 v1, 0x7e00
	s_xor_b32 exec_lo, exec_lo, s49
	s_cbranch_execz .LBB151_881
.LBB151_899:
	v_cmp_ne_u16_e32 vcc_lo, 0, v3
	v_mov_b32_e32 v1, v3
	s_and_not1_b32 s48, s48, exec_lo
	s_and_b32 s50, vcc_lo, exec_lo
	s_delay_alu instid0(SALU_CYCLE_1)
	s_or_b32 s48, s48, s50
	s_or_b32 exec_lo, exec_lo, s49
	s_and_saveexec_b32 s49, s48
	s_cbranch_execnz .LBB151_882
	s_branch .LBB151_883
.LBB151_900:
	s_mov_b32 s48, -1
                                        ; implicit-def: $vgpr1
	s_branch .LBB151_905
.LBB151_901:
	s_mov_b32 s48, -1
                                        ; implicit-def: $vgpr1
.LBB151_902:
	s_delay_alu instid0(SALU_CYCLE_1)
	s_and_b32 vcc_lo, exec_lo, s48
	s_cbranch_vccz .LBB151_904
; %bb.903:
	global_load_u8 v1, v[6:7], off
	s_wait_loadcnt 0x0
	v_lshlrev_b32_e32 v1, 24, v1
	s_delay_alu instid0(VALU_DEP_1) | instskip(NEXT) | instid1(VALU_DEP_1)
	v_and_b32_e32 v3, 0x7f000000, v1
	v_clz_i32_u32_e32 v5, v3
	v_add_nc_u32_e32 v9, 0x1000000, v3
	v_cmp_ne_u32_e32 vcc_lo, 0, v3
	s_delay_alu instid0(VALU_DEP_3) | instskip(NEXT) | instid1(VALU_DEP_1)
	v_min_u32_e32 v5, 32, v5
	v_sub_nc_u32_e64 v5, v5, 4 clamp
	s_delay_alu instid0(VALU_DEP_1) | instskip(NEXT) | instid1(VALU_DEP_1)
	v_dual_lshlrev_b32 v8, v5, v3 :: v_dual_lshlrev_b32 v5, 23, v5
	v_lshrrev_b32_e32 v8, 4, v8
	s_delay_alu instid0(VALU_DEP_1) | instskip(SKIP_1) | instid1(VALU_DEP_2)
	v_sub_nc_u32_e32 v5, v8, v5
	v_ashrrev_i32_e32 v8, 8, v9
	v_add_nc_u32_e32 v5, 0x3c000000, v5
	s_delay_alu instid0(VALU_DEP_1) | instskip(NEXT) | instid1(VALU_DEP_1)
	v_and_or_b32 v5, 0x7f800000, v8, v5
	v_cndmask_b32_e32 v3, 0, v5, vcc_lo
	s_delay_alu instid0(VALU_DEP_1) | instskip(NEXT) | instid1(VALU_DEP_1)
	v_and_or_b32 v1, 0x80000000, v1, v3
	v_cvt_f16_f32_e32 v1, v1
.LBB151_904:
	s_mov_b32 s48, 0
.LBB151_905:
	s_delay_alu instid0(SALU_CYCLE_1)
	s_and_not1_b32 vcc_lo, exec_lo, s48
	s_cbranch_vccnz .LBB151_907
; %bb.906:
	global_load_u8 v1, v[6:7], off
	s_wait_loadcnt 0x0
	v_lshlrev_b32_e32 v3, 25, v1
	v_lshlrev_b16 v1, 8, v1
	s_delay_alu instid0(VALU_DEP_1) | instskip(SKIP_1) | instid1(VALU_DEP_2)
	v_and_or_b32 v8, 0x7f00, v1, 0.5
	v_bfe_i32 v1, v1, 0, 16
	v_dual_add_f32 v8, -0.5, v8 :: v_dual_lshrrev_b32 v5, 4, v3
	v_cmp_gt_u32_e32 vcc_lo, 0x8000000, v3
	s_delay_alu instid0(VALU_DEP_2) | instskip(NEXT) | instid1(VALU_DEP_1)
	v_or_b32_e32 v5, 0x70000000, v5
	v_mul_f32_e32 v5, 0x7800000, v5
	s_delay_alu instid0(VALU_DEP_1) | instskip(NEXT) | instid1(VALU_DEP_1)
	v_cndmask_b32_e32 v3, v5, v8, vcc_lo
	v_and_or_b32 v1, 0x80000000, v1, v3
	s_delay_alu instid0(VALU_DEP_1)
	v_cvt_f16_f32_e32 v1, v1
.LBB151_907:
	s_mov_b32 s49, 0
	s_mov_b32 s48, -1
.LBB151_908:
	s_and_not1_b32 vcc_lo, exec_lo, s49
	s_cbranch_vccnz .LBB151_921
; %bb.909:
	s_cmp_gt_i32 s27, 14
	s_cbranch_scc0 .LBB151_912
; %bb.910:
	s_cmp_eq_u32 s27, 15
	s_cbranch_scc0 .LBB151_915
; %bb.911:
	global_load_u16 v1, v[6:7], off
	s_mov_b32 s48, -1
	s_mov_b32 s26, 0
	s_wait_loadcnt 0x0
	v_lshlrev_b32_e32 v1, 16, v1
	s_delay_alu instid0(VALU_DEP_1)
	v_cvt_f16_f32_e32 v1, v1
	s_branch .LBB151_916
.LBB151_912:
	s_mov_b32 s49, -1
                                        ; implicit-def: $vgpr1
	s_branch .LBB151_917
.LBB151_913:
	s_or_saveexec_b32 s49, s49
	v_mov_b32_e32 v1, 0x7e00
	s_xor_b32 exec_lo, exec_lo, s49
	s_cbranch_execz .LBB151_894
.LBB151_914:
	v_cmp_ne_u16_e32 vcc_lo, 0, v3
	v_mov_b32_e32 v1, v3
	s_and_not1_b32 s48, s48, exec_lo
	s_and_b32 s50, vcc_lo, exec_lo
	s_delay_alu instid0(SALU_CYCLE_1)
	s_or_b32 s48, s48, s50
	s_or_b32 exec_lo, exec_lo, s49
	s_and_saveexec_b32 s49, s48
	s_cbranch_execnz .LBB151_895
	s_branch .LBB151_896
.LBB151_915:
	s_mov_b32 s26, -1
                                        ; implicit-def: $vgpr1
.LBB151_916:
	s_mov_b32 s49, 0
.LBB151_917:
	s_delay_alu instid0(SALU_CYCLE_1)
	s_and_b32 vcc_lo, exec_lo, s49
	s_cbranch_vccz .LBB151_921
; %bb.918:
	s_cmp_eq_u32 s27, 11
	s_cbranch_scc0 .LBB151_920
; %bb.919:
	global_load_u8 v1, v[6:7], off
	s_mov_b32 s26, 0
	s_mov_b32 s48, -1
	v_mov_b32_e32 v3, 0
	s_wait_loadcnt 0x0
	v_cmp_ne_u16_e32 vcc_lo, 0, v1
	v_cndmask_b32_e64 v1, 0, 0x3c00, vcc_lo
	s_branch .LBB151_922
.LBB151_920:
	s_mov_b32 s26, -1
                                        ; implicit-def: $vgpr1
.LBB151_921:
	v_mov_b32_e32 v3, 0
.LBB151_922:
	s_mov_b32 s27, 0
.LBB151_923:
	s_delay_alu instid0(SALU_CYCLE_1)
	s_and_b32 vcc_lo, exec_lo, s27
	s_cbranch_vccz .LBB151_974
; %bb.924:
	s_and_b32 s0, 0xffff, s0
	s_delay_alu instid0(SALU_CYCLE_1)
	s_cmp_lt_i32 s0, 5
	s_cbranch_scc1 .LBB151_929
; %bb.925:
	s_cmp_lt_i32 s0, 8
	s_cbranch_scc1 .LBB151_930
; %bb.926:
	;; [unrolled: 3-line block ×3, first 2 shown]
	s_cmp_gt_i32 s0, 9
	s_cbranch_scc0 .LBB151_932
; %bb.928:
	global_load_b128 v[8:11], v[6:7], off
	v_mov_b32_e32 v17, 0x7e00
	s_mov_b32 s27, 0
	s_wait_loadcnt 0x0
	v_and_or_b32 v1, 0x1ff, v9, v8
	v_and_or_b32 v8, 0x1ff, v11, v10
	v_dual_lshrrev_b32 v3, 8, v9 :: v_dual_lshrrev_b32 v10, 8, v11
	v_bfe_u32 v5, v9, 20, 11
	s_delay_alu instid0(VALU_DEP_4) | instskip(SKIP_2) | instid1(VALU_DEP_4)
	v_cmp_ne_u32_e32 vcc_lo, 0, v1
	v_bfe_u32 v12, v11, 20, 11
	v_dual_lshrrev_b32 v9, 16, v9 :: v_dual_lshrrev_b32 v11, 16, v11
	v_sub_nc_u32_e32 v13, 0x3f1, v5
	v_cndmask_b32_e64 v1, 0, 1, vcc_lo
	v_cmp_ne_u32_e32 vcc_lo, 0, v8
	v_add_nc_u32_e32 v5, 0xfffffc10, v5
	s_delay_alu instid0(VALU_DEP_3) | instskip(SKIP_1) | instid1(VALU_DEP_1)
	v_and_or_b32 v1, 0xffe, v3, v1
	v_cndmask_b32_e64 v8, 0, 1, vcc_lo
	v_and_or_b32 v8, 0xffe, v10, v8
	v_med3_i32 v10, v13, 0, 13
	s_delay_alu instid0(VALU_DEP_4) | instskip(NEXT) | instid1(VALU_DEP_3)
	v_or_b32_e32 v13, 0x1000, v1
	v_or_b32_e32 v14, 0x1000, v8
	s_delay_alu instid0(VALU_DEP_2) | instskip(NEXT) | instid1(VALU_DEP_1)
	v_lshrrev_b32_e32 v15, v10, v13
	v_lshlrev_b32_e32 v10, v10, v15
	s_delay_alu instid0(VALU_DEP_1) | instskip(SKIP_2) | instid1(VALU_DEP_1)
	v_cmp_ne_u32_e32 vcc_lo, v10, v13
	v_lshl_or_b32 v13, v5, 12, v1
	v_cndmask_b32_e64 v10, 0, 1, vcc_lo
	v_or_b32_e32 v10, v15, v10
	v_sub_nc_u32_e32 v3, 0x3f1, v12
	s_delay_alu instid0(VALU_DEP_1) | instskip(NEXT) | instid1(VALU_DEP_1)
	v_med3_i32 v3, v3, 0, 13
	v_lshrrev_b32_e32 v16, v3, v14
	s_delay_alu instid0(VALU_DEP_1) | instskip(NEXT) | instid1(VALU_DEP_1)
	v_lshlrev_b32_e32 v3, v3, v16
	v_cmp_ne_u32_e32 vcc_lo, v3, v14
	v_cndmask_b32_e64 v3, 0, 1, vcc_lo
	v_cmp_gt_i32_e32 vcc_lo, 1, v5
	s_delay_alu instid0(VALU_DEP_2) | instskip(NEXT) | instid1(VALU_DEP_1)
	v_dual_cndmask_b32 v10, v13, v10, vcc_lo :: v_dual_bitop2_b32 v3, v16, v3 bitop3:0x54
	v_dual_lshrrev_b32 v10, 2, v10 :: v_dual_bitop2_b32 v13, 7, v10 bitop3:0x40
	v_add_nc_u32_e32 v12, 0xfffffc10, v12
	s_delay_alu instid0(VALU_DEP_1) | instskip(SKIP_1) | instid1(VALU_DEP_2)
	v_lshl_or_b32 v14, v12, 12, v8
	v_cmp_gt_i32_e32 vcc_lo, 1, v12
	v_cndmask_b32_e32 v3, v14, v3, vcc_lo
	v_cmp_lt_i32_e32 vcc_lo, 5, v13
	v_cndmask_b32_e64 v15, 0, 1, vcc_lo
	v_cmp_eq_u32_e32 vcc_lo, 3, v13
	v_cndmask_b32_e64 v13, 0, 1, vcc_lo
	s_delay_alu instid0(VALU_DEP_1) | instskip(SKIP_1) | instid1(VALU_DEP_2)
	v_or_b32_e32 v13, v13, v15
	v_dual_lshrrev_b32 v3, 2, v3 :: v_dual_bitop2_b32 v14, 7, v3 bitop3:0x40
	v_add_nc_u32_e32 v10, v10, v13
	s_delay_alu instid0(VALU_DEP_2) | instskip(SKIP_4) | instid1(VALU_DEP_2)
	v_cmp_lt_i32_e32 vcc_lo, 5, v14
	v_cndmask_b32_e64 v16, 0, 1, vcc_lo
	v_cmp_eq_u32_e32 vcc_lo, 3, v14
	v_cndmask_b32_e64 v14, 0, 1, vcc_lo
	v_cmp_ne_u32_e32 vcc_lo, 0, v1
	v_or_b32_e32 v14, v14, v16
	v_cndmask_b32_e32 v1, 0x7c00, v17, vcc_lo
	v_cmp_ne_u32_e32 vcc_lo, 0, v8
	s_delay_alu instid0(VALU_DEP_3) | instskip(SKIP_3) | instid1(VALU_DEP_4)
	v_dual_cndmask_b32 v8, 0x7c00, v17 :: v_dual_add_nc_u32 v3, v3, v14
	v_cmp_gt_i32_e32 vcc_lo, 31, v5
	v_cndmask_b32_e32 v10, 0x7c00, v10, vcc_lo
	v_cmp_gt_i32_e32 vcc_lo, 31, v12
	v_cndmask_b32_e32 v3, 0x7c00, v3, vcc_lo
	v_cmp_eq_u32_e32 vcc_lo, 0x40f, v5
	s_delay_alu instid0(VALU_DEP_4) | instskip(SKIP_1) | instid1(VALU_DEP_4)
	v_cndmask_b32_e32 v1, v10, v1, vcc_lo
	v_cmp_eq_u32_e32 vcc_lo, 0x40f, v12
	v_cndmask_b32_e32 v3, v3, v8, vcc_lo
	s_delay_alu instid0(VALU_DEP_3) | instskip(NEXT) | instid1(VALU_DEP_2)
	v_and_or_b32 v1, 0x8000, v9, v1
	v_and_or_b32 v3, 0x8000, v11, v3
	s_branch .LBB151_933
.LBB151_929:
	s_mov_b32 s27, -1
                                        ; implicit-def: $vgpr3
                                        ; implicit-def: $vgpr1
	s_branch .LBB151_952
.LBB151_930:
	s_mov_b32 s27, -1
                                        ; implicit-def: $vgpr3
                                        ; implicit-def: $vgpr1
	s_branch .LBB151_939
.LBB151_931:
	s_mov_b32 s27, -1
                                        ; implicit-def: $vgpr3
                                        ; implicit-def: $vgpr1
	s_branch .LBB151_936
.LBB151_932:
	s_mov_b32 s27, -1
                                        ; implicit-def: $vgpr3
                                        ; implicit-def: $vgpr1
.LBB151_933:
	s_delay_alu instid0(SALU_CYCLE_1)
	s_and_not1_b32 vcc_lo, exec_lo, s27
	s_cbranch_vccnz .LBB151_935
; %bb.934:
	global_load_b64 v[8:9], v[6:7], off
	s_wait_loadcnt 0x0
	v_cvt_f16_f32_e32 v1, v8
	v_cvt_f16_f32_e32 v3, v9
.LBB151_935:
	s_mov_b32 s27, 0
.LBB151_936:
	s_delay_alu instid0(SALU_CYCLE_1)
	s_and_not1_b32 vcc_lo, exec_lo, s27
	s_cbranch_vccnz .LBB151_938
; %bb.937:
	global_load_b32 v1, v[6:7], off
	s_wait_loadcnt 0x0
	v_lshrrev_b32_e32 v3, 16, v1
.LBB151_938:
	s_mov_b32 s27, 0
.LBB151_939:
	s_delay_alu instid0(SALU_CYCLE_1)
	s_and_not1_b32 vcc_lo, exec_lo, s27
	s_cbranch_vccnz .LBB151_951
; %bb.940:
	s_cmp_lt_i32 s0, 6
	s_cbranch_scc1 .LBB151_943
; %bb.941:
	s_cmp_gt_i32 s0, 6
	s_cbranch_scc0 .LBB151_944
; %bb.942:
	global_load_b64 v[8:9], v[6:7], off
	s_mov_b32 s27, 0
	s_wait_loadcnt 0x0
	v_and_or_b32 v1, 0x1ff, v9, v8
	v_lshrrev_b32_e32 v3, 8, v9
	v_bfe_u32 v5, v9, 20, 11
	s_delay_alu instid0(VALU_DEP_3) | instskip(NEXT) | instid1(VALU_DEP_2)
	v_cmp_ne_u32_e32 vcc_lo, 0, v1
	v_sub_nc_u32_e32 v8, 0x3f1, v5
	v_add_nc_u32_e32 v5, 0xfffffc10, v5
	v_cndmask_b32_e64 v1, 0, 1, vcc_lo
	s_delay_alu instid0(VALU_DEP_1) | instskip(NEXT) | instid1(VALU_DEP_4)
	v_and_or_b32 v1, 0xffe, v3, v1
	v_med3_i32 v3, v8, 0, 13
	s_delay_alu instid0(VALU_DEP_2) | instskip(NEXT) | instid1(VALU_DEP_1)
	v_or_b32_e32 v8, 0x1000, v1
	v_lshrrev_b32_e32 v10, v3, v8
	s_delay_alu instid0(VALU_DEP_1) | instskip(NEXT) | instid1(VALU_DEP_1)
	v_lshlrev_b32_e32 v3, v3, v10
	v_cmp_ne_u32_e32 vcc_lo, v3, v8
	v_lshl_or_b32 v8, v5, 12, v1
	v_cndmask_b32_e64 v3, 0, 1, vcc_lo
	v_cmp_gt_i32_e32 vcc_lo, 1, v5
	s_delay_alu instid0(VALU_DEP_2) | instskip(NEXT) | instid1(VALU_DEP_1)
	v_or_b32_e32 v3, v10, v3
	v_cndmask_b32_e32 v3, v8, v3, vcc_lo
	s_delay_alu instid0(VALU_DEP_1) | instskip(NEXT) | instid1(VALU_DEP_1)
	v_dual_lshrrev_b32 v3, 2, v3 :: v_dual_bitop2_b32 v8, 7, v3 bitop3:0x40
	v_cmp_lt_i32_e32 vcc_lo, 5, v8
	v_cndmask_b32_e64 v10, 0, 1, vcc_lo
	v_cmp_eq_u32_e32 vcc_lo, 3, v8
	v_cndmask_b32_e64 v8, 0, 1, vcc_lo
	v_cmp_ne_u32_e32 vcc_lo, 0, v1
	s_delay_alu instid0(VALU_DEP_2) | instskip(NEXT) | instid1(VALU_DEP_1)
	v_or_b32_e32 v8, v8, v10
	v_dual_mov_b32 v10, 0x7e00 :: v_dual_add_nc_u32 v3, v3, v8
	s_delay_alu instid0(VALU_DEP_1) | instskip(SKIP_1) | instid1(VALU_DEP_3)
	v_cndmask_b32_e32 v1, 0x7c00, v10, vcc_lo
	v_cmp_gt_i32_e32 vcc_lo, 31, v5
	v_cndmask_b32_e32 v3, 0x7c00, v3, vcc_lo
	v_cmp_eq_u32_e32 vcc_lo, 0x40f, v5
	s_delay_alu instid0(VALU_DEP_2) | instskip(SKIP_1) | instid1(VALU_DEP_1)
	v_cndmask_b32_e32 v1, v3, v1, vcc_lo
	v_lshrrev_b32_e32 v3, 16, v9
	v_and_or_b32 v1, 0x8000, v3, v1
	s_branch .LBB151_945
.LBB151_943:
	s_mov_b32 s27, -1
                                        ; implicit-def: $vgpr1
	s_branch .LBB151_948
.LBB151_944:
	s_mov_b32 s27, -1
                                        ; implicit-def: $vgpr1
.LBB151_945:
	s_delay_alu instid0(SALU_CYCLE_1)
	s_and_not1_b32 vcc_lo, exec_lo, s27
	s_cbranch_vccnz .LBB151_947
; %bb.946:
	global_load_b32 v1, v[6:7], off
	s_wait_loadcnt 0x0
	v_cvt_f16_f32_e32 v1, v1
.LBB151_947:
	s_mov_b32 s27, 0
.LBB151_948:
	s_delay_alu instid0(SALU_CYCLE_1)
	s_and_not1_b32 vcc_lo, exec_lo, s27
	s_cbranch_vccnz .LBB151_950
; %bb.949:
	global_load_u16 v1, v[6:7], off
.LBB151_950:
	v_mov_b32_e32 v3, 0
.LBB151_951:
	s_mov_b32 s27, 0
.LBB151_952:
	s_delay_alu instid0(SALU_CYCLE_1)
	s_and_not1_b32 vcc_lo, exec_lo, s27
	s_cbranch_vccnz .LBB151_973
; %bb.953:
	s_cmp_lt_i32 s0, 2
	s_cbranch_scc1 .LBB151_957
; %bb.954:
	s_cmp_lt_i32 s0, 3
	s_cbranch_scc1 .LBB151_958
; %bb.955:
	s_cmp_gt_i32 s0, 3
	s_cbranch_scc0 .LBB151_959
; %bb.956:
	global_load_b64 v[8:9], v[6:7], off
	s_mov_b32 s27, 0
	s_wait_loadcnt 0x0
	v_xor_b32_e32 v1, v8, v9
	v_cls_i32_e32 v3, v9
	s_delay_alu instid0(VALU_DEP_2) | instskip(NEXT) | instid1(VALU_DEP_1)
	v_ashrrev_i32_e32 v1, 31, v1
	v_add_nc_u32_e32 v1, 32, v1
	s_delay_alu instid0(VALU_DEP_1) | instskip(NEXT) | instid1(VALU_DEP_1)
	v_add_min_u32_e64 v1, v3, -1, v1
	v_lshlrev_b64_e32 v[8:9], v1, v[8:9]
	v_sub_nc_u32_e32 v1, 32, v1
	s_delay_alu instid0(VALU_DEP_2) | instskip(NEXT) | instid1(VALU_DEP_1)
	v_min_u32_e32 v3, 1, v8
	v_or_b32_e32 v3, v9, v3
	s_delay_alu instid0(VALU_DEP_1) | instskip(NEXT) | instid1(VALU_DEP_1)
	v_cvt_f32_i32_e32 v3, v3
	v_ldexp_f32 v1, v3, v1
	s_delay_alu instid0(VALU_DEP_1)
	v_cvt_f16_f32_e32 v1, v1
	s_branch .LBB151_960
.LBB151_957:
	s_mov_b32 s27, -1
                                        ; implicit-def: $vgpr1
	s_branch .LBB151_966
.LBB151_958:
	s_mov_b32 s27, -1
                                        ; implicit-def: $vgpr1
	s_branch .LBB151_963
.LBB151_959:
	s_mov_b32 s27, -1
                                        ; implicit-def: $vgpr1
.LBB151_960:
	s_delay_alu instid0(SALU_CYCLE_1)
	s_and_not1_b32 vcc_lo, exec_lo, s27
	s_cbranch_vccnz .LBB151_962
; %bb.961:
	s_wait_loadcnt 0x0
	global_load_b32 v1, v[6:7], off
	s_wait_loadcnt 0x0
	v_cvt_f32_i32_e32 v1, v1
	s_delay_alu instid0(VALU_DEP_1)
	v_cvt_f16_f32_e32 v1, v1
.LBB151_962:
	s_mov_b32 s27, 0
.LBB151_963:
	s_delay_alu instid0(SALU_CYCLE_1)
	s_and_not1_b32 vcc_lo, exec_lo, s27
	s_cbranch_vccnz .LBB151_965
; %bb.964:
	s_wait_loadcnt 0x0
	global_load_u16 v1, v[6:7], off
	s_wait_loadcnt 0x0
	v_cvt_f16_i16_e32 v1, v1
.LBB151_965:
	s_mov_b32 s27, 0
.LBB151_966:
	s_delay_alu instid0(SALU_CYCLE_1)
	s_and_not1_b32 vcc_lo, exec_lo, s27
	s_cbranch_vccnz .LBB151_972
; %bb.967:
	s_cmp_gt_i32 s0, 0
	s_mov_b32 s0, 0
	s_cbranch_scc0 .LBB151_969
; %bb.968:
	s_wait_loadcnt 0x0
	global_load_i8 v1, v[6:7], off
	s_wait_loadcnt 0x0
	v_cvt_f16_i16_e32 v1, v1
	s_branch .LBB151_970
.LBB151_969:
	s_mov_b32 s0, -1
                                        ; implicit-def: $vgpr1
.LBB151_970:
	s_delay_alu instid0(SALU_CYCLE_1)
	s_and_not1_b32 vcc_lo, exec_lo, s0
	s_cbranch_vccnz .LBB151_972
; %bb.971:
	s_wait_loadcnt 0x0
	global_load_u8 v1, v[6:7], off
	s_wait_loadcnt 0x0
	v_cvt_f16_u16_e32 v1, v1
.LBB151_972:
	v_mov_b32_e32 v3, 0
.LBB151_973:
	s_mov_b32 s48, -1
.LBB151_974:
	s_delay_alu instid0(SALU_CYCLE_1)
	s_and_not1_b32 vcc_lo, exec_lo, s48
	s_cbranch_vccnz .LBB151_982
; %bb.975:
	v_mov_b32_e32 v5, 0
	s_and_b32 s0, s13, 0xff
	s_delay_alu instid0(SALU_CYCLE_1) | instskip(NEXT) | instid1(VALU_DEP_1)
	s_cmp_lt_i32 s0, 11
	v_add_nc_u64_e32 v[4:5], s[8:9], v[4:5]
	s_cbranch_scc1 .LBB151_983
; %bb.976:
	s_and_b32 s48, 0xffff, s0
	s_delay_alu instid0(SALU_CYCLE_1)
	s_cmp_gt_i32 s48, 25
	s_cbranch_scc0 .LBB151_984
; %bb.977:
	s_cmp_gt_i32 s48, 28
	s_cbranch_scc0 .LBB151_985
; %bb.978:
	;; [unrolled: 3-line block ×4, first 2 shown]
	s_cmp_eq_u32 s48, 46
	s_mov_b32 s50, 0
	s_cbranch_scc0 .LBB151_990
; %bb.981:
	global_load_b32 v6, v[4:5], off
	s_mov_b32 s49, -1
	s_mov_b32 s27, 0
	s_wait_loadcnt 0x0
	v_lshlrev_b32_e32 v7, 16, v6
	v_and_b32_e32 v8, 0xffff0000, v6
	s_delay_alu instid0(VALU_DEP_2) | instskip(NEXT) | instid1(VALU_DEP_2)
	v_cvt_f16_f32_e32 v6, v7
	v_cvt_f16_f32_e32 v7, v8
	s_branch .LBB151_992
.LBB151_982:
	s_mov_b32 s51, 0
	s_mov_b32 s0, s44
	;; [unrolled: 1-line block ×3, first 2 shown]
	s_branch .LBB151_1241
.LBB151_983:
	s_mov_b32 s48, -1
	s_mov_b32 s49, 0
	s_mov_b32 s27, s45
                                        ; implicit-def: $vgpr7
                                        ; implicit-def: $vgpr6
	s_branch .LBB151_1060
.LBB151_984:
	s_mov_b32 s50, -1
	s_mov_b32 s49, 0
	s_mov_b32 s27, s45
                                        ; implicit-def: $vgpr7
                                        ; implicit-def: $vgpr6
	s_branch .LBB151_1023
.LBB151_985:
	s_mov_b32 s50, -1
	s_mov_b32 s49, 0
	s_mov_b32 s27, s45
                                        ; implicit-def: $vgpr7
                                        ; implicit-def: $vgpr6
	s_branch .LBB151_1004
.LBB151_986:
	s_mov_b32 s50, -1
	s_mov_b32 s49, 0
	s_mov_b32 s27, s45
                                        ; implicit-def: $vgpr7
                                        ; implicit-def: $vgpr6
	s_branch .LBB151_998
.LBB151_987:
	s_mov_b32 s50, -1
	s_mov_b32 s49, 0
	s_mov_b32 s27, s45
	s_branch .LBB151_991
.LBB151_988:
	s_and_not1_saveexec_b32 s49, s49
	s_cbranch_execz .LBB151_746
.LBB151_989:
	s_wait_loadcnt 0x0
	v_add_f32_e32 v1, 0x42800000, v4
	s_and_not1_b32 s48, s48, exec_lo
	s_delay_alu instid0(VALU_DEP_1) | instskip(NEXT) | instid1(VALU_DEP_1)
	v_and_b32_e32 v1, 0xff, v1
	v_cmp_ne_u32_e32 vcc_lo, 0, v1
	s_and_b32 s50, vcc_lo, exec_lo
	s_delay_alu instid0(SALU_CYCLE_1)
	s_or_b32 s48, s48, s50
	s_or_b32 exec_lo, exec_lo, s49
	v_mov_b32_e32 v5, 0
	s_and_saveexec_b32 s49, s48
	s_cbranch_execnz .LBB151_747
	s_branch .LBB151_748
.LBB151_990:
	s_mov_b32 s27, -1
	s_mov_b32 s49, 0
.LBB151_991:
                                        ; implicit-def: $vgpr7
                                        ; implicit-def: $vgpr6
.LBB151_992:
	s_and_b32 vcc_lo, exec_lo, s50
	s_cbranch_vccz .LBB151_997
; %bb.993:
	s_cmp_eq_u32 s48, 44
	s_cbranch_scc0 .LBB151_995
; %bb.994:
	global_load_u8 v6, v[4:5], off
	s_mov_b32 s27, 0
	s_mov_b32 s49, -1
	s_wait_loadcnt 0x0
	v_lshlrev_b32_e32 v7, 23, v6
	v_cmp_ne_u32_e32 vcc_lo, 0xff, v6
	s_delay_alu instid0(VALU_DEP_2) | instskip(NEXT) | instid1(VALU_DEP_1)
	v_cvt_f16_f32_e32 v7, v7
	v_cndmask_b32_e32 v7, 0x7e00, v7, vcc_lo
	v_cmp_ne_u32_e32 vcc_lo, 0, v6
	s_delay_alu instid0(VALU_DEP_2)
	v_cndmask_b32_e32 v6, 0, v7, vcc_lo
	s_branch .LBB151_996
.LBB151_995:
	s_mov_b32 s27, -1
                                        ; implicit-def: $vgpr6
.LBB151_996:
	s_wait_xcnt 0x0
	v_mov_b32_e32 v7, 0
.LBB151_997:
	s_mov_b32 s50, 0
.LBB151_998:
	s_delay_alu instid0(SALU_CYCLE_1)
	s_and_b32 vcc_lo, exec_lo, s50
	s_cbranch_vccz .LBB151_1003
; %bb.999:
	s_cmp_eq_u32 s48, 29
	s_cbranch_scc0 .LBB151_1001
; %bb.1000:
	global_load_b64 v[6:7], v[4:5], off
	s_mov_b32 s49, -1
	s_mov_b32 s27, 0
	s_wait_loadcnt 0x0
	v_clz_i32_u32_e32 v8, v7
	s_delay_alu instid0(VALU_DEP_1) | instskip(NEXT) | instid1(VALU_DEP_1)
	v_min_u32_e32 v8, 32, v8
	v_lshlrev_b64_e32 v[6:7], v8, v[6:7]
	s_delay_alu instid0(VALU_DEP_1) | instskip(NEXT) | instid1(VALU_DEP_1)
	v_min_u32_e32 v6, 1, v6
	v_dual_sub_nc_u32 v7, 32, v8 :: v_dual_bitop2_b32 v6, v7, v6 bitop3:0x54
	s_delay_alu instid0(VALU_DEP_1) | instskip(NEXT) | instid1(VALU_DEP_1)
	v_cvt_f32_u32_e32 v6, v6
	v_ldexp_f32 v6, v6, v7
	s_delay_alu instid0(VALU_DEP_1)
	v_cvt_f16_f32_e32 v6, v6
	s_branch .LBB151_1002
.LBB151_1001:
	s_mov_b32 s27, -1
                                        ; implicit-def: $vgpr6
.LBB151_1002:
	s_wait_xcnt 0x0
	v_mov_b32_e32 v7, 0
.LBB151_1003:
	s_mov_b32 s50, 0
.LBB151_1004:
	s_delay_alu instid0(SALU_CYCLE_1)
	s_and_b32 vcc_lo, exec_lo, s50
	s_cbranch_vccz .LBB151_1022
; %bb.1005:
	s_cmp_lt_i32 s48, 27
	s_cbranch_scc1 .LBB151_1008
; %bb.1006:
	s_cmp_gt_i32 s48, 27
	s_cbranch_scc0 .LBB151_1009
; %bb.1007:
	global_load_b32 v6, v[4:5], off
	s_mov_b32 s49, 0
	s_wait_loadcnt 0x0
	v_cvt_f32_u32_e32 v6, v6
	s_delay_alu instid0(VALU_DEP_1)
	v_cvt_f16_f32_e32 v6, v6
	s_branch .LBB151_1010
.LBB151_1008:
	s_mov_b32 s49, -1
                                        ; implicit-def: $vgpr6
	s_branch .LBB151_1013
.LBB151_1009:
	s_mov_b32 s49, -1
                                        ; implicit-def: $vgpr6
.LBB151_1010:
	s_delay_alu instid0(SALU_CYCLE_1)
	s_and_not1_b32 vcc_lo, exec_lo, s49
	s_cbranch_vccnz .LBB151_1012
; %bb.1011:
	global_load_u16 v6, v[4:5], off
	s_wait_loadcnt 0x0
	v_cvt_f16_u16_e32 v6, v6
.LBB151_1012:
	s_mov_b32 s49, 0
.LBB151_1013:
	s_delay_alu instid0(SALU_CYCLE_1)
	s_and_not1_b32 vcc_lo, exec_lo, s49
	s_cbranch_vccnz .LBB151_1021
; %bb.1014:
	global_load_u8 v7, v[4:5], off
	s_mov_b32 s49, 0
	s_mov_b32 s50, exec_lo
	s_wait_loadcnt 0x0
	v_cmpx_lt_i16_e32 0x7f, v7
	s_xor_b32 s50, exec_lo, s50
	s_cbranch_execz .LBB151_1035
; %bb.1015:
	s_mov_b32 s49, -1
	s_mov_b32 s51, exec_lo
	v_cmpx_eq_u16_e32 0x80, v7
; %bb.1016:
	s_xor_b32 s49, exec_lo, -1
; %bb.1017:
	s_or_b32 exec_lo, exec_lo, s51
	s_delay_alu instid0(SALU_CYCLE_1)
	s_and_b32 s49, s49, exec_lo
	s_or_saveexec_b32 s50, s50
	v_mov_b32_e32 v6, 0x7e00
	s_xor_b32 exec_lo, exec_lo, s50
	s_cbranch_execnz .LBB151_1036
.LBB151_1018:
	s_or_b32 exec_lo, exec_lo, s50
	s_and_saveexec_b32 s50, s49
	s_cbranch_execz .LBB151_1020
.LBB151_1019:
	v_and_b32_e32 v6, 0xffff, v7
	s_delay_alu instid0(VALU_DEP_1) | instskip(SKIP_1) | instid1(VALU_DEP_2)
	v_and_b32_e32 v8, 7, v6
	v_bfe_u32 v11, v6, 3, 4
	v_clz_i32_u32_e32 v9, v8
	s_delay_alu instid0(VALU_DEP_2) | instskip(NEXT) | instid1(VALU_DEP_2)
	v_cmp_eq_u32_e32 vcc_lo, 0, v11
	v_min_u32_e32 v9, 32, v9
	s_delay_alu instid0(VALU_DEP_1) | instskip(NEXT) | instid1(VALU_DEP_1)
	v_subrev_nc_u32_e32 v10, 28, v9
	v_dual_lshlrev_b32 v6, v10, v6 :: v_dual_sub_nc_u32 v9, 29, v9
	s_delay_alu instid0(VALU_DEP_1) | instskip(NEXT) | instid1(VALU_DEP_1)
	v_dual_lshlrev_b32 v7, 24, v7 :: v_dual_bitop2_b32 v6, 7, v6 bitop3:0x40
	v_dual_cndmask_b32 v9, v11, v9 :: v_dual_cndmask_b32 v6, v8, v6
	s_delay_alu instid0(VALU_DEP_2) | instskip(NEXT) | instid1(VALU_DEP_2)
	v_and_b32_e32 v7, 0x80000000, v7
	v_lshl_add_u32 v8, v9, 23, 0x3b800000
	s_delay_alu instid0(VALU_DEP_3) | instskip(NEXT) | instid1(VALU_DEP_1)
	v_lshlrev_b32_e32 v6, 20, v6
	v_or3_b32 v6, v7, v8, v6
	s_delay_alu instid0(VALU_DEP_1)
	v_cvt_f16_f32_e32 v6, v6
.LBB151_1020:
	s_or_b32 exec_lo, exec_lo, s50
.LBB151_1021:
	s_wait_xcnt 0x0
	v_mov_b32_e32 v7, 0
	s_mov_b32 s49, -1
.LBB151_1022:
	s_mov_b32 s50, 0
.LBB151_1023:
	s_delay_alu instid0(SALU_CYCLE_1)
	s_and_b32 vcc_lo, exec_lo, s50
	s_cbranch_vccz .LBB151_1059
; %bb.1024:
	s_cmp_gt_i32 s48, 22
	s_cbranch_scc0 .LBB151_1034
; %bb.1025:
	s_cmp_lt_i32 s48, 24
	s_cbranch_scc1 .LBB151_1037
; %bb.1026:
	s_cmp_gt_i32 s48, 24
	s_cbranch_scc0 .LBB151_1038
; %bb.1027:
	global_load_u8 v7, v[4:5], off
	s_mov_b32 s49, 0
	s_mov_b32 s50, exec_lo
	s_wait_loadcnt 0x0
	v_cmpx_lt_i16_e32 0x7f, v7
	s_xor_b32 s50, exec_lo, s50
	s_cbranch_execz .LBB151_1050
; %bb.1028:
	s_mov_b32 s49, -1
	s_mov_b32 s51, exec_lo
	v_cmpx_eq_u16_e32 0x80, v7
; %bb.1029:
	s_xor_b32 s49, exec_lo, -1
; %bb.1030:
	s_or_b32 exec_lo, exec_lo, s51
	s_delay_alu instid0(SALU_CYCLE_1)
	s_and_b32 s49, s49, exec_lo
	s_or_saveexec_b32 s50, s50
	v_mov_b32_e32 v6, 0x7e00
	s_xor_b32 exec_lo, exec_lo, s50
	s_cbranch_execnz .LBB151_1051
.LBB151_1031:
	s_or_b32 exec_lo, exec_lo, s50
	s_and_saveexec_b32 s50, s49
	s_cbranch_execz .LBB151_1033
.LBB151_1032:
	v_and_b32_e32 v6, 0xffff, v7
	s_delay_alu instid0(VALU_DEP_1) | instskip(SKIP_1) | instid1(VALU_DEP_2)
	v_and_b32_e32 v8, 3, v6
	v_bfe_u32 v11, v6, 2, 5
	v_clz_i32_u32_e32 v9, v8
	s_delay_alu instid0(VALU_DEP_2) | instskip(NEXT) | instid1(VALU_DEP_2)
	v_cmp_eq_u32_e32 vcc_lo, 0, v11
	v_min_u32_e32 v9, 32, v9
	s_delay_alu instid0(VALU_DEP_1) | instskip(NEXT) | instid1(VALU_DEP_1)
	v_subrev_nc_u32_e32 v10, 29, v9
	v_dual_lshlrev_b32 v6, v10, v6 :: v_dual_sub_nc_u32 v9, 30, v9
	s_delay_alu instid0(VALU_DEP_1) | instskip(NEXT) | instid1(VALU_DEP_1)
	v_dual_lshlrev_b32 v7, 24, v7 :: v_dual_bitop2_b32 v6, 3, v6 bitop3:0x40
	v_dual_cndmask_b32 v9, v11, v9 :: v_dual_cndmask_b32 v6, v8, v6
	s_delay_alu instid0(VALU_DEP_2) | instskip(NEXT) | instid1(VALU_DEP_2)
	v_and_b32_e32 v7, 0x80000000, v7
	v_lshl_add_u32 v8, v9, 23, 0x37800000
	s_delay_alu instid0(VALU_DEP_3) | instskip(NEXT) | instid1(VALU_DEP_1)
	v_lshlrev_b32_e32 v6, 21, v6
	v_or3_b32 v6, v7, v8, v6
	s_delay_alu instid0(VALU_DEP_1)
	v_cvt_f16_f32_e32 v6, v6
.LBB151_1033:
	s_or_b32 exec_lo, exec_lo, s50
	s_mov_b32 s49, 0
	s_branch .LBB151_1039
.LBB151_1034:
	s_mov_b32 s50, -1
                                        ; implicit-def: $vgpr6
	s_branch .LBB151_1045
.LBB151_1035:
	s_or_saveexec_b32 s50, s50
	v_mov_b32_e32 v6, 0x7e00
	s_xor_b32 exec_lo, exec_lo, s50
	s_cbranch_execz .LBB151_1018
.LBB151_1036:
	v_cmp_ne_u16_e32 vcc_lo, 0, v7
	v_mov_b32_e32 v6, v7
	s_and_not1_b32 s49, s49, exec_lo
	s_and_b32 s51, vcc_lo, exec_lo
	s_delay_alu instid0(SALU_CYCLE_1)
	s_or_b32 s49, s49, s51
	s_or_b32 exec_lo, exec_lo, s50
	s_and_saveexec_b32 s50, s49
	s_cbranch_execnz .LBB151_1019
	s_branch .LBB151_1020
.LBB151_1037:
	s_mov_b32 s49, -1
                                        ; implicit-def: $vgpr6
	s_branch .LBB151_1042
.LBB151_1038:
	s_mov_b32 s49, -1
                                        ; implicit-def: $vgpr6
.LBB151_1039:
	s_delay_alu instid0(SALU_CYCLE_1)
	s_and_b32 vcc_lo, exec_lo, s49
	s_cbranch_vccz .LBB151_1041
; %bb.1040:
	global_load_u8 v6, v[4:5], off
	s_wait_loadcnt 0x0
	v_lshlrev_b32_e32 v6, 24, v6
	s_delay_alu instid0(VALU_DEP_1) | instskip(NEXT) | instid1(VALU_DEP_1)
	v_and_b32_e32 v7, 0x7f000000, v6
	v_clz_i32_u32_e32 v8, v7
	v_cmp_ne_u32_e32 vcc_lo, 0, v7
	v_add_nc_u32_e32 v10, 0x1000000, v7
	s_delay_alu instid0(VALU_DEP_3) | instskip(NEXT) | instid1(VALU_DEP_1)
	v_min_u32_e32 v8, 32, v8
	v_sub_nc_u32_e64 v8, v8, 4 clamp
	s_delay_alu instid0(VALU_DEP_1) | instskip(NEXT) | instid1(VALU_DEP_1)
	v_dual_lshlrev_b32 v9, v8, v7 :: v_dual_lshlrev_b32 v8, 23, v8
	v_lshrrev_b32_e32 v9, 4, v9
	s_delay_alu instid0(VALU_DEP_1) | instskip(NEXT) | instid1(VALU_DEP_1)
	v_dual_sub_nc_u32 v8, v9, v8 :: v_dual_ashrrev_i32 v9, 8, v10
	v_add_nc_u32_e32 v8, 0x3c000000, v8
	s_delay_alu instid0(VALU_DEP_1) | instskip(NEXT) | instid1(VALU_DEP_1)
	v_and_or_b32 v8, 0x7f800000, v9, v8
	v_cndmask_b32_e32 v7, 0, v8, vcc_lo
	s_delay_alu instid0(VALU_DEP_1) | instskip(NEXT) | instid1(VALU_DEP_1)
	v_and_or_b32 v6, 0x80000000, v6, v7
	v_cvt_f16_f32_e32 v6, v6
.LBB151_1041:
	s_mov_b32 s49, 0
.LBB151_1042:
	s_delay_alu instid0(SALU_CYCLE_1)
	s_and_not1_b32 vcc_lo, exec_lo, s49
	s_cbranch_vccnz .LBB151_1044
; %bb.1043:
	global_load_u8 v6, v[4:5], off
	s_wait_loadcnt 0x0
	v_lshlrev_b32_e32 v7, 25, v6
	v_lshlrev_b16 v6, 8, v6
	s_delay_alu instid0(VALU_DEP_1) | instskip(SKIP_1) | instid1(VALU_DEP_2)
	v_and_or_b32 v9, 0x7f00, v6, 0.5
	v_bfe_i32 v6, v6, 0, 16
	v_dual_add_f32 v9, -0.5, v9 :: v_dual_lshrrev_b32 v8, 4, v7
	v_cmp_gt_u32_e32 vcc_lo, 0x8000000, v7
	s_delay_alu instid0(VALU_DEP_2) | instskip(NEXT) | instid1(VALU_DEP_1)
	v_or_b32_e32 v8, 0x70000000, v8
	v_mul_f32_e32 v8, 0x7800000, v8
	s_delay_alu instid0(VALU_DEP_1) | instskip(NEXT) | instid1(VALU_DEP_1)
	v_cndmask_b32_e32 v7, v8, v9, vcc_lo
	v_and_or_b32 v6, 0x80000000, v6, v7
	s_delay_alu instid0(VALU_DEP_1)
	v_cvt_f16_f32_e32 v6, v6
.LBB151_1044:
	s_mov_b32 s50, 0
	s_mov_b32 s49, -1
.LBB151_1045:
	s_and_not1_b32 vcc_lo, exec_lo, s50
	s_cbranch_vccnz .LBB151_1058
; %bb.1046:
	s_cmp_gt_i32 s48, 14
	s_cbranch_scc0 .LBB151_1049
; %bb.1047:
	s_cmp_eq_u32 s48, 15
	s_cbranch_scc0 .LBB151_1052
; %bb.1048:
	global_load_u16 v6, v[4:5], off
	s_mov_b32 s49, -1
	s_mov_b32 s27, 0
	s_wait_loadcnt 0x0
	v_lshlrev_b32_e32 v6, 16, v6
	s_delay_alu instid0(VALU_DEP_1)
	v_cvt_f16_f32_e32 v6, v6
	s_branch .LBB151_1053
.LBB151_1049:
	s_mov_b32 s50, -1
                                        ; implicit-def: $vgpr6
	s_branch .LBB151_1054
.LBB151_1050:
	s_or_saveexec_b32 s50, s50
	v_mov_b32_e32 v6, 0x7e00
	s_xor_b32 exec_lo, exec_lo, s50
	s_cbranch_execz .LBB151_1031
.LBB151_1051:
	v_cmp_ne_u16_e32 vcc_lo, 0, v7
	v_mov_b32_e32 v6, v7
	s_and_not1_b32 s49, s49, exec_lo
	s_and_b32 s51, vcc_lo, exec_lo
	s_delay_alu instid0(SALU_CYCLE_1)
	s_or_b32 s49, s49, s51
	s_or_b32 exec_lo, exec_lo, s50
	s_and_saveexec_b32 s50, s49
	s_cbranch_execnz .LBB151_1032
	s_branch .LBB151_1033
.LBB151_1052:
	s_mov_b32 s27, -1
                                        ; implicit-def: $vgpr6
.LBB151_1053:
	s_mov_b32 s50, 0
.LBB151_1054:
	s_delay_alu instid0(SALU_CYCLE_1)
	s_and_b32 vcc_lo, exec_lo, s50
	s_cbranch_vccz .LBB151_1058
; %bb.1055:
	s_cmp_eq_u32 s48, 11
	s_cbranch_scc0 .LBB151_1057
; %bb.1056:
	global_load_u8 v6, v[4:5], off
	s_mov_b32 s27, 0
	s_mov_b32 s49, -1
	v_mov_b32_e32 v7, 0
	s_wait_loadcnt 0x0
	v_cmp_ne_u16_e32 vcc_lo, 0, v6
	v_cndmask_b32_e64 v6, 0, 0x3c00, vcc_lo
	s_branch .LBB151_1059
.LBB151_1057:
	s_mov_b32 s27, -1
                                        ; implicit-def: $vgpr6
.LBB151_1058:
	s_wait_xcnt 0x0
	v_mov_b32_e32 v7, 0
.LBB151_1059:
	s_mov_b32 s48, 0
.LBB151_1060:
	s_delay_alu instid0(SALU_CYCLE_1)
	s_and_b32 vcc_lo, exec_lo, s48
	s_cbranch_vccz .LBB151_1111
; %bb.1061:
	s_and_b32 s0, 0xffff, s0
	s_delay_alu instid0(SALU_CYCLE_1)
	s_cmp_lt_i32 s0, 5
	s_cbranch_scc1 .LBB151_1066
; %bb.1062:
	s_cmp_lt_i32 s0, 8
	s_cbranch_scc1 .LBB151_1067
; %bb.1063:
	;; [unrolled: 3-line block ×3, first 2 shown]
	s_cmp_gt_i32 s0, 9
	s_cbranch_scc0 .LBB151_1069
; %bb.1065:
	global_load_b128 v[6:9], v[4:5], off
	v_mov_b32_e32 v18, 0x7e00
	s_mov_b32 s48, 0
	s_wait_loadcnt 0x0
	v_and_or_b32 v6, 0x1ff, v7, v6
	v_and_or_b32 v8, 0x1ff, v9, v8
	v_dual_lshrrev_b32 v10, 8, v7 :: v_dual_lshrrev_b32 v12, 8, v9
	v_bfe_u32 v11, v7, 20, 11
	s_delay_alu instid0(VALU_DEP_4) | instskip(SKIP_2) | instid1(VALU_DEP_4)
	v_cmp_ne_u32_e32 vcc_lo, 0, v6
	v_bfe_u32 v13, v9, 20, 11
	v_dual_lshrrev_b32 v7, 16, v7 :: v_dual_lshrrev_b32 v9, 16, v9
	v_sub_nc_u32_e32 v14, 0x3f1, v11
	v_cndmask_b32_e64 v6, 0, 1, vcc_lo
	v_cmp_ne_u32_e32 vcc_lo, 0, v8
	s_delay_alu instid0(VALU_DEP_2) | instskip(SKIP_2) | instid1(VALU_DEP_2)
	v_and_or_b32 v6, 0xffe, v10, v6
	v_cndmask_b32_e64 v8, 0, 1, vcc_lo
	v_sub_nc_u32_e32 v10, 0x3f1, v13
	v_and_or_b32 v8, 0xffe, v12, v8
	v_med3_i32 v12, v14, 0, 13
	v_or_b32_e32 v14, 0x1000, v6
	s_delay_alu instid0(VALU_DEP_4) | instskip(NEXT) | instid1(VALU_DEP_4)
	v_med3_i32 v10, v10, 0, 13
	v_or_b32_e32 v15, 0x1000, v8
	s_delay_alu instid0(VALU_DEP_1) | instskip(NEXT) | instid1(VALU_DEP_1)
	v_dual_lshrrev_b32 v16, v12, v14 :: v_dual_lshrrev_b32 v17, v10, v15
	v_dual_lshlrev_b32 v12, v12, v16 :: v_dual_lshlrev_b32 v10, v10, v17
	s_delay_alu instid0(VALU_DEP_1) | instskip(SKIP_1) | instid1(VALU_DEP_3)
	v_cmp_ne_u32_e32 vcc_lo, v12, v14
	v_cndmask_b32_e64 v12, 0, 1, vcc_lo
	v_cmp_ne_u32_e32 vcc_lo, v10, v15
	s_delay_alu instid0(VALU_DEP_2) | instskip(SKIP_2) | instid1(VALU_DEP_2)
	v_or_b32_e32 v12, v16, v12
	v_add_nc_u32_e32 v11, 0xfffffc10, v11
	v_cndmask_b32_e64 v10, 0, 1, vcc_lo
	v_lshl_or_b32 v14, v11, 12, v6
	v_cmp_gt_i32_e32 vcc_lo, 1, v11
	s_delay_alu instid0(VALU_DEP_2) | instskip(NEXT) | instid1(VALU_DEP_1)
	v_dual_cndmask_b32 v12, v14, v12, vcc_lo :: v_dual_bitop2_b32 v10, v17, v10 bitop3:0x54
	v_dual_lshrrev_b32 v12, 2, v12 :: v_dual_bitop2_b32 v14, 7, v12 bitop3:0x40
	v_add_nc_u32_e32 v13, 0xfffffc10, v13
	s_delay_alu instid0(VALU_DEP_1) | instskip(SKIP_1) | instid1(VALU_DEP_2)
	v_lshl_or_b32 v15, v13, 12, v8
	v_cmp_gt_i32_e32 vcc_lo, 1, v13
	v_cndmask_b32_e32 v10, v15, v10, vcc_lo
	v_cmp_lt_i32_e32 vcc_lo, 5, v14
	s_delay_alu instid0(VALU_DEP_2)
	v_and_b32_e32 v15, 7, v10
	v_cndmask_b32_e64 v16, 0, 1, vcc_lo
	v_cmp_eq_u32_e32 vcc_lo, 3, v14
	v_lshrrev_b32_e32 v10, 2, v10
	v_cndmask_b32_e64 v14, 0, 1, vcc_lo
	v_cmp_lt_i32_e32 vcc_lo, 5, v15
	v_cndmask_b32_e64 v17, 0, 1, vcc_lo
	v_cmp_eq_u32_e32 vcc_lo, 3, v15
	v_cndmask_b32_e64 v15, 0, 1, vcc_lo
	v_cmp_ne_u32_e32 vcc_lo, 0, v6
	v_cndmask_b32_e32 v6, 0x7c00, v18, vcc_lo
	v_or_b32_e32 v14, v14, v16
	v_cmp_ne_u32_e32 vcc_lo, 0, v8
	s_delay_alu instid0(VALU_DEP_2) | instskip(SKIP_2) | instid1(VALU_DEP_3)
	v_dual_add_nc_u32 v12, v12, v14 :: v_dual_bitop2_b32 v15, v15, v17 bitop3:0x54
	v_cndmask_b32_e32 v8, 0x7c00, v18, vcc_lo
	v_cmp_gt_i32_e32 vcc_lo, 31, v11
	v_add_nc_u32_e32 v10, v10, v15
	s_delay_alu instid0(VALU_DEP_4) | instskip(SKIP_1) | instid1(VALU_DEP_3)
	v_cndmask_b32_e32 v12, 0x7c00, v12, vcc_lo
	v_cmp_gt_i32_e32 vcc_lo, 31, v13
	v_cndmask_b32_e32 v10, 0x7c00, v10, vcc_lo
	v_cmp_eq_u32_e32 vcc_lo, 0x40f, v11
	s_delay_alu instid0(VALU_DEP_4) | instskip(SKIP_1) | instid1(VALU_DEP_2)
	v_cndmask_b32_e32 v6, v12, v6, vcc_lo
	v_cmp_eq_u32_e32 vcc_lo, 0x40f, v13
	v_and_or_b32 v6, 0x8000, v7, v6
	v_cndmask_b32_e32 v8, v10, v8, vcc_lo
	s_delay_alu instid0(VALU_DEP_1)
	v_and_or_b32 v7, 0x8000, v9, v8
	s_branch .LBB151_1070
.LBB151_1066:
	s_mov_b32 s48, -1
                                        ; implicit-def: $vgpr7
                                        ; implicit-def: $vgpr6
	s_branch .LBB151_1089
.LBB151_1067:
	s_mov_b32 s48, -1
                                        ; implicit-def: $vgpr7
                                        ; implicit-def: $vgpr6
	s_branch .LBB151_1076
.LBB151_1068:
	s_mov_b32 s48, -1
                                        ; implicit-def: $vgpr7
                                        ; implicit-def: $vgpr6
	s_branch .LBB151_1073
.LBB151_1069:
	s_mov_b32 s48, -1
                                        ; implicit-def: $vgpr7
                                        ; implicit-def: $vgpr6
.LBB151_1070:
	s_delay_alu instid0(SALU_CYCLE_1)
	s_and_not1_b32 vcc_lo, exec_lo, s48
	s_cbranch_vccnz .LBB151_1072
; %bb.1071:
	global_load_b64 v[6:7], v[4:5], off
	s_wait_loadcnt 0x0
	v_cvt_f16_f32_e32 v6, v6
	v_cvt_f16_f32_e32 v7, v7
.LBB151_1072:
	s_mov_b32 s48, 0
.LBB151_1073:
	s_delay_alu instid0(SALU_CYCLE_1)
	s_and_not1_b32 vcc_lo, exec_lo, s48
	s_cbranch_vccnz .LBB151_1075
; %bb.1074:
	global_load_b32 v6, v[4:5], off
	s_wait_loadcnt 0x0
	v_lshrrev_b32_e32 v7, 16, v6
.LBB151_1075:
	s_mov_b32 s48, 0
.LBB151_1076:
	s_delay_alu instid0(SALU_CYCLE_1)
	s_and_not1_b32 vcc_lo, exec_lo, s48
	s_cbranch_vccnz .LBB151_1088
; %bb.1077:
	s_cmp_lt_i32 s0, 6
	s_cbranch_scc1 .LBB151_1080
; %bb.1078:
	s_cmp_gt_i32 s0, 6
	s_cbranch_scc0 .LBB151_1081
; %bb.1079:
	global_load_b64 v[6:7], v[4:5], off
	s_mov_b32 s48, 0
	s_wait_loadcnt 0x0
	v_and_or_b32 v6, 0x1ff, v7, v6
	v_lshrrev_b32_e32 v8, 8, v7
	v_bfe_u32 v9, v7, 20, 11
	v_lshrrev_b32_e32 v7, 16, v7
	s_delay_alu instid0(VALU_DEP_4) | instskip(NEXT) | instid1(VALU_DEP_3)
	v_cmp_ne_u32_e32 vcc_lo, 0, v6
	v_sub_nc_u32_e32 v10, 0x3f1, v9
	v_add_nc_u32_e32 v9, 0xfffffc10, v9
	v_cndmask_b32_e64 v6, 0, 1, vcc_lo
	s_delay_alu instid0(VALU_DEP_1) | instskip(NEXT) | instid1(VALU_DEP_4)
	v_and_or_b32 v6, 0xffe, v8, v6
	v_med3_i32 v8, v10, 0, 13
	s_delay_alu instid0(VALU_DEP_2) | instskip(NEXT) | instid1(VALU_DEP_1)
	v_or_b32_e32 v10, 0x1000, v6
	v_lshrrev_b32_e32 v11, v8, v10
	s_delay_alu instid0(VALU_DEP_1) | instskip(NEXT) | instid1(VALU_DEP_1)
	v_lshlrev_b32_e32 v8, v8, v11
	v_cmp_ne_u32_e32 vcc_lo, v8, v10
	v_lshl_or_b32 v10, v9, 12, v6
	v_cndmask_b32_e64 v8, 0, 1, vcc_lo
	v_cmp_gt_i32_e32 vcc_lo, 1, v9
	s_delay_alu instid0(VALU_DEP_2) | instskip(NEXT) | instid1(VALU_DEP_1)
	v_or_b32_e32 v8, v11, v8
	v_cndmask_b32_e32 v8, v10, v8, vcc_lo
	s_delay_alu instid0(VALU_DEP_1) | instskip(NEXT) | instid1(VALU_DEP_1)
	v_dual_lshrrev_b32 v8, 2, v8 :: v_dual_bitop2_b32 v10, 7, v8 bitop3:0x40
	v_cmp_lt_i32_e32 vcc_lo, 5, v10
	v_cndmask_b32_e64 v11, 0, 1, vcc_lo
	v_cmp_eq_u32_e32 vcc_lo, 3, v10
	v_cndmask_b32_e64 v10, 0, 1, vcc_lo
	v_cmp_ne_u32_e32 vcc_lo, 0, v6
	s_delay_alu instid0(VALU_DEP_2) | instskip(NEXT) | instid1(VALU_DEP_1)
	v_or_b32_e32 v10, v10, v11
	v_dual_mov_b32 v11, 0x7e00 :: v_dual_add_nc_u32 v8, v8, v10
	s_delay_alu instid0(VALU_DEP_1) | instskip(SKIP_1) | instid1(VALU_DEP_3)
	v_cndmask_b32_e32 v6, 0x7c00, v11, vcc_lo
	v_cmp_gt_i32_e32 vcc_lo, 31, v9
	v_cndmask_b32_e32 v8, 0x7c00, v8, vcc_lo
	v_cmp_eq_u32_e32 vcc_lo, 0x40f, v9
	s_delay_alu instid0(VALU_DEP_2) | instskip(NEXT) | instid1(VALU_DEP_1)
	v_cndmask_b32_e32 v6, v8, v6, vcc_lo
	v_and_or_b32 v6, 0x8000, v7, v6
	s_branch .LBB151_1082
.LBB151_1080:
	s_mov_b32 s48, -1
                                        ; implicit-def: $vgpr6
	s_branch .LBB151_1085
.LBB151_1081:
	s_mov_b32 s48, -1
                                        ; implicit-def: $vgpr6
.LBB151_1082:
	s_delay_alu instid0(SALU_CYCLE_1)
	s_and_not1_b32 vcc_lo, exec_lo, s48
	s_cbranch_vccnz .LBB151_1084
; %bb.1083:
	global_load_b32 v6, v[4:5], off
	s_wait_loadcnt 0x0
	v_cvt_f16_f32_e32 v6, v6
.LBB151_1084:
	s_mov_b32 s48, 0
.LBB151_1085:
	s_delay_alu instid0(SALU_CYCLE_1)
	s_and_not1_b32 vcc_lo, exec_lo, s48
	s_cbranch_vccnz .LBB151_1087
; %bb.1086:
	global_load_u16 v6, v[4:5], off
.LBB151_1087:
	s_wait_xcnt 0x0
	v_mov_b32_e32 v7, 0
.LBB151_1088:
	s_mov_b32 s48, 0
.LBB151_1089:
	s_delay_alu instid0(SALU_CYCLE_1)
	s_and_not1_b32 vcc_lo, exec_lo, s48
	s_cbranch_vccnz .LBB151_1110
; %bb.1090:
	s_cmp_lt_i32 s0, 2
	s_cbranch_scc1 .LBB151_1094
; %bb.1091:
	s_cmp_lt_i32 s0, 3
	s_cbranch_scc1 .LBB151_1095
; %bb.1092:
	s_cmp_gt_i32 s0, 3
	s_cbranch_scc0 .LBB151_1096
; %bb.1093:
	s_wait_loadcnt 0x0
	global_load_b64 v[6:7], v[4:5], off
	s_mov_b32 s48, 0
	s_wait_loadcnt 0x0
	v_xor_b32_e32 v8, v6, v7
	v_cls_i32_e32 v9, v7
	s_delay_alu instid0(VALU_DEP_2) | instskip(NEXT) | instid1(VALU_DEP_1)
	v_ashrrev_i32_e32 v8, 31, v8
	v_add_nc_u32_e32 v8, 32, v8
	s_delay_alu instid0(VALU_DEP_1) | instskip(NEXT) | instid1(VALU_DEP_1)
	v_add_min_u32_e64 v8, v9, -1, v8
	v_lshlrev_b64_e32 v[6:7], v8, v[6:7]
	s_delay_alu instid0(VALU_DEP_1) | instskip(NEXT) | instid1(VALU_DEP_1)
	v_min_u32_e32 v6, 1, v6
	v_dual_sub_nc_u32 v7, 32, v8 :: v_dual_bitop2_b32 v6, v7, v6 bitop3:0x54
	s_delay_alu instid0(VALU_DEP_1) | instskip(NEXT) | instid1(VALU_DEP_1)
	v_cvt_f32_i32_e32 v6, v6
	v_ldexp_f32 v6, v6, v7
	s_delay_alu instid0(VALU_DEP_1)
	v_cvt_f16_f32_e32 v6, v6
	s_branch .LBB151_1097
.LBB151_1094:
	s_mov_b32 s48, -1
                                        ; implicit-def: $vgpr6
	s_branch .LBB151_1103
.LBB151_1095:
	s_mov_b32 s48, -1
                                        ; implicit-def: $vgpr6
	s_branch .LBB151_1100
.LBB151_1096:
	s_mov_b32 s48, -1
                                        ; implicit-def: $vgpr6
.LBB151_1097:
	s_delay_alu instid0(SALU_CYCLE_1)
	s_and_not1_b32 vcc_lo, exec_lo, s48
	s_cbranch_vccnz .LBB151_1099
; %bb.1098:
	s_wait_loadcnt 0x0
	global_load_b32 v6, v[4:5], off
	s_wait_loadcnt 0x0
	v_cvt_f32_i32_e32 v6, v6
	s_delay_alu instid0(VALU_DEP_1)
	v_cvt_f16_f32_e32 v6, v6
.LBB151_1099:
	s_mov_b32 s48, 0
.LBB151_1100:
	s_delay_alu instid0(SALU_CYCLE_1)
	s_and_not1_b32 vcc_lo, exec_lo, s48
	s_cbranch_vccnz .LBB151_1102
; %bb.1101:
	s_wait_loadcnt 0x0
	global_load_u16 v6, v[4:5], off
	s_wait_loadcnt 0x0
	v_cvt_f16_i16_e32 v6, v6
.LBB151_1102:
	s_mov_b32 s48, 0
.LBB151_1103:
	s_delay_alu instid0(SALU_CYCLE_1)
	s_and_not1_b32 vcc_lo, exec_lo, s48
	s_cbranch_vccnz .LBB151_1109
; %bb.1104:
	s_cmp_gt_i32 s0, 0
	s_mov_b32 s0, 0
	s_cbranch_scc0 .LBB151_1106
; %bb.1105:
	s_wait_loadcnt 0x0
	global_load_i8 v6, v[4:5], off
	s_wait_loadcnt 0x0
	v_cvt_f16_i16_e32 v6, v6
	s_branch .LBB151_1107
.LBB151_1106:
	s_mov_b32 s0, -1
                                        ; implicit-def: $vgpr6
.LBB151_1107:
	s_delay_alu instid0(SALU_CYCLE_1)
	s_and_not1_b32 vcc_lo, exec_lo, s0
	s_cbranch_vccnz .LBB151_1109
; %bb.1108:
	global_load_u8 v4, v[4:5], off
	s_wait_loadcnt 0x0
	v_cvt_f16_u16_e32 v6, v4
.LBB151_1109:
	s_wait_xcnt 0x0
	v_mov_b32_e32 v7, 0
.LBB151_1110:
	s_mov_b32 s49, -1
.LBB151_1111:
	s_delay_alu instid0(SALU_CYCLE_1)
	s_and_not1_b32 vcc_lo, exec_lo, s49
	s_cbranch_vccnz .LBB151_1114
; %bb.1112:
	s_and_not1_b32 vcc_lo, exec_lo, s10
	s_cbranch_vccnz .LBB151_1115
; %bb.1113:
	s_wait_loadcnt 0x0
	v_cmp_neq_f16_e32 vcc_lo, v1, v6
	v_cmp_neq_f16_e64 s0, v3, v7
	s_or_b32 s48, vcc_lo, s0
	s_mov_b32 s0, 0
	s_branch .LBB151_1116
.LBB151_1114:
	s_mov_b32 s51, 0
	s_mov_b32 s0, s44
	s_branch .LBB151_1241
.LBB151_1115:
	s_mov_b32 s0, -1
                                        ; implicit-def: $sgpr48
.LBB151_1116:
	s_delay_alu instid0(SALU_CYCLE_1)
	s_and_not1_b32 vcc_lo, exec_lo, s0
	s_cbranch_vccnz .LBB151_1118
; %bb.1117:
	s_wait_loadcnt 0x0
	v_cmp_eq_f16_e32 vcc_lo, v1, v6
	v_cmp_eq_f16_e64 s0, v3, v7
	s_and_not1_b32 s48, s48, exec_lo
	s_and_b32 s0, vcc_lo, s0
	s_delay_alu instid0(SALU_CYCLE_1) | instskip(NEXT) | instid1(SALU_CYCLE_1)
	s_and_b32 s0, s0, exec_lo
	s_or_b32 s48, s48, s0
.LBB151_1118:
	v_mov_b32_e32 v3, 0
	s_and_b32 s49, s11, 0xff
	s_delay_alu instid0(SALU_CYCLE_1) | instskip(NEXT) | instid1(VALU_DEP_1)
	s_cmp_lt_i32 s49, 11
	v_add_nc_u64_e32 v[2:3], s[4:5], v[2:3]
	s_cbranch_scc1 .LBB151_1125
; %bb.1119:
	s_and_b32 s50, 0xffff, s49
	s_delay_alu instid0(SALU_CYCLE_1)
	s_cmp_gt_i32 s50, 25
	s_cbranch_scc0 .LBB151_1126
; %bb.1120:
	s_cmp_gt_i32 s50, 28
	s_cbranch_scc0 .LBB151_1127
; %bb.1121:
	;; [unrolled: 3-line block ×4, first 2 shown]
	s_mov_b32 s52, 0
	s_mov_b32 s0, -1
	s_cmp_eq_u32 s50, 46
	s_mov_b32 s51, 0
	s_cbranch_scc0 .LBB151_1130
; %bb.1124:
	s_wait_loadcnt 0x0
	v_cndmask_b32_e64 v1, 0, 1.0, s48
	s_mov_b32 s51, -1
	s_mov_b32 s0, 0
	s_wait_xcnt 0x0
	s_delay_alu instid0(VALU_DEP_1) | instskip(NEXT) | instid1(VALU_DEP_1)
	v_bfe_u32 v4, v1, 16, 1
	v_add3_u32 v1, v1, v4, 0x7fff
	s_delay_alu instid0(VALU_DEP_1)
	v_lshrrev_b32_e32 v1, 16, v1
	global_store_b32 v[2:3], v1, off
	s_branch .LBB151_1130
.LBB151_1125:
	s_mov_b32 s50, -1
	s_mov_b32 s51, 0
	s_mov_b32 s0, s44
	s_branch .LBB151_1199
.LBB151_1126:
	s_mov_b32 s52, -1
	s_mov_b32 s51, 0
	s_mov_b32 s0, s44
	s_branch .LBB151_1157
.LBB151_1127:
	s_mov_b32 s52, -1
	s_mov_b32 s51, 0
	s_mov_b32 s0, s44
	s_branch .LBB151_1140
.LBB151_1128:
	s_mov_b32 s52, -1
	s_mov_b32 s51, 0
	s_mov_b32 s0, s44
	s_branch .LBB151_1136
.LBB151_1129:
	s_mov_b32 s52, -1
	s_mov_b32 s51, 0
	s_mov_b32 s0, s44
.LBB151_1130:
	s_and_b32 vcc_lo, exec_lo, s52
	s_cbranch_vccz .LBB151_1135
; %bb.1131:
	s_cmp_eq_u32 s50, 44
	s_mov_b32 s0, -1
	s_cbranch_scc0 .LBB151_1135
; %bb.1132:
	s_wait_xcnt 0x0
	v_cndmask_b32_e64 v5, 0, 1.0, s48
	s_mov_b32 s51, exec_lo
	s_wait_loadcnt 0x0
	s_delay_alu instid0(VALU_DEP_1) | instskip(NEXT) | instid1(VALU_DEP_1)
	v_dual_mov_b32 v4, 0xff :: v_dual_lshrrev_b32 v1, 23, v5
	v_cmpx_ne_u32_e32 0xff, v1
; %bb.1133:
	v_and_b32_e32 v4, 0x400000, v5
	v_and_or_b32 v5, 0x3fffff, v5, v1
	s_delay_alu instid0(VALU_DEP_2) | instskip(NEXT) | instid1(VALU_DEP_2)
	v_cmp_ne_u32_e32 vcc_lo, 0, v4
	v_cmp_ne_u32_e64 s0, 0, v5
	s_and_b32 s0, vcc_lo, s0
	s_delay_alu instid0(SALU_CYCLE_1) | instskip(NEXT) | instid1(VALU_DEP_1)
	v_cndmask_b32_e64 v4, 0, 1, s0
	v_add_nc_u32_e32 v4, v1, v4
; %bb.1134:
	s_or_b32 exec_lo, exec_lo, s51
	s_mov_b32 s51, -1
	s_mov_b32 s0, 0
	global_store_b8 v[2:3], v4, off
.LBB151_1135:
	s_mov_b32 s52, 0
.LBB151_1136:
	s_delay_alu instid0(SALU_CYCLE_1)
	s_and_b32 vcc_lo, exec_lo, s52
	s_cbranch_vccz .LBB151_1139
; %bb.1137:
	s_cmp_eq_u32 s50, 29
	s_mov_b32 s0, -1
	s_cbranch_scc0 .LBB151_1139
; %bb.1138:
	s_mov_b32 s0, 0
	s_wait_xcnt 0x0
	v_cndmask_b32_e64 v4, 0, 1, s48
	v_mov_b32_e32 v5, s0
	s_mov_b32 s51, -1
	s_mov_b32 s52, 0
	global_store_b64 v[2:3], v[4:5], off
	s_branch .LBB151_1140
.LBB151_1139:
	s_mov_b32 s52, 0
.LBB151_1140:
	s_delay_alu instid0(SALU_CYCLE_1)
	s_and_b32 vcc_lo, exec_lo, s52
	s_cbranch_vccz .LBB151_1156
; %bb.1141:
	s_cmp_lt_i32 s50, 27
	s_mov_b32 s51, -1
	s_cbranch_scc1 .LBB151_1147
; %bb.1142:
	s_cmp_gt_i32 s50, 27
	s_cbranch_scc0 .LBB151_1144
; %bb.1143:
	s_wait_loadcnt 0x0
	v_cndmask_b32_e64 v1, 0, 1, s48
	s_mov_b32 s51, 0
	global_store_b32 v[2:3], v1, off
.LBB151_1144:
	s_and_not1_b32 vcc_lo, exec_lo, s51
	s_cbranch_vccnz .LBB151_1146
; %bb.1145:
	s_wait_loadcnt 0x0
	v_cndmask_b32_e64 v1, 0, 1, s48
	global_store_b16 v[2:3], v1, off
.LBB151_1146:
	s_mov_b32 s51, 0
.LBB151_1147:
	s_delay_alu instid0(SALU_CYCLE_1)
	s_and_not1_b32 vcc_lo, exec_lo, s51
	s_cbranch_vccnz .LBB151_1155
; %bb.1148:
	s_wait_xcnt 0x0
	v_cndmask_b32_e64 v4, 0, 1.0, s48
	v_mov_b32_e32 v5, 0x80
	s_mov_b32 s51, exec_lo
	s_delay_alu instid0(VALU_DEP_2)
	v_cmpx_gt_u32_e32 0x43800000, v4
	s_cbranch_execz .LBB151_1154
; %bb.1149:
	s_mov_b32 s52, 0
	s_mov_b32 s53, exec_lo
                                        ; implicit-def: $vgpr1
	v_cmpx_lt_u32_e32 0x3bffffff, v4
	s_xor_b32 s53, exec_lo, s53
	s_cbranch_execz .LBB151_1269
; %bb.1150:
	s_wait_loadcnt 0x0
	v_bfe_u32 v1, v4, 20, 1
	s_mov_b32 s52, exec_lo
	s_delay_alu instid0(VALU_DEP_1) | instskip(NEXT) | instid1(VALU_DEP_1)
	v_add3_u32 v1, v4, v1, 0x487ffff
                                        ; implicit-def: $vgpr4
	v_lshrrev_b32_e32 v1, 20, v1
	s_and_not1_saveexec_b32 s53, s53
	s_cbranch_execnz .LBB151_1270
.LBB151_1151:
	s_or_b32 exec_lo, exec_lo, s53
	v_mov_b32_e32 v5, 0
	s_and_saveexec_b32 s53, s52
	s_cbranch_execz .LBB151_1153
.LBB151_1152:
	s_wait_loadcnt 0x0
	v_mov_b32_e32 v5, v1
.LBB151_1153:
	s_or_b32 exec_lo, exec_lo, s53
.LBB151_1154:
	s_delay_alu instid0(SALU_CYCLE_1)
	s_or_b32 exec_lo, exec_lo, s51
	global_store_b8 v[2:3], v5, off
.LBB151_1155:
	s_mov_b32 s51, -1
.LBB151_1156:
	s_mov_b32 s52, 0
.LBB151_1157:
	s_delay_alu instid0(SALU_CYCLE_1)
	s_and_b32 vcc_lo, exec_lo, s52
	s_cbranch_vccz .LBB151_1198
; %bb.1158:
	s_cmp_gt_i32 s50, 22
	s_mov_b32 s52, -1
	s_cbranch_scc0 .LBB151_1190
; %bb.1159:
	s_cmp_lt_i32 s50, 24
	s_mov_b32 s51, -1
	s_cbranch_scc1 .LBB151_1179
; %bb.1160:
	s_cmp_gt_i32 s50, 24
	s_cbranch_scc0 .LBB151_1168
; %bb.1161:
	s_wait_xcnt 0x0
	v_cndmask_b32_e64 v4, 0, 1.0, s48
	v_mov_b32_e32 v5, 0x80
	s_mov_b32 s51, exec_lo
	s_delay_alu instid0(VALU_DEP_2)
	v_cmpx_gt_u32_e32 0x47800000, v4
	s_cbranch_execz .LBB151_1167
; %bb.1162:
	s_mov_b32 s52, 0
	s_mov_b32 s53, exec_lo
                                        ; implicit-def: $vgpr1
	v_cmpx_lt_u32_e32 0x37ffffff, v4
	s_xor_b32 s53, exec_lo, s53
	s_cbranch_execz .LBB151_2388
; %bb.1163:
	s_wait_loadcnt 0x0
	v_bfe_u32 v1, v4, 21, 1
	s_mov_b32 s52, exec_lo
	s_delay_alu instid0(VALU_DEP_1) | instskip(NEXT) | instid1(VALU_DEP_1)
	v_add3_u32 v1, v4, v1, 0x88fffff
                                        ; implicit-def: $vgpr4
	v_lshrrev_b32_e32 v1, 21, v1
	s_and_not1_saveexec_b32 s53, s53
	s_cbranch_execnz .LBB151_2389
.LBB151_1164:
	s_or_b32 exec_lo, exec_lo, s53
	v_mov_b32_e32 v5, 0
	s_and_saveexec_b32 s53, s52
	s_cbranch_execz .LBB151_1166
.LBB151_1165:
	s_wait_loadcnt 0x0
	v_mov_b32_e32 v5, v1
.LBB151_1166:
	s_or_b32 exec_lo, exec_lo, s53
.LBB151_1167:
	s_delay_alu instid0(SALU_CYCLE_1)
	s_or_b32 exec_lo, exec_lo, s51
	s_mov_b32 s51, 0
	global_store_b8 v[2:3], v5, off
.LBB151_1168:
	s_and_b32 vcc_lo, exec_lo, s51
	s_cbranch_vccz .LBB151_1178
; %bb.1169:
	s_wait_xcnt 0x0
	v_cndmask_b32_e64 v4, 0, 1.0, s48
	s_mov_b32 s51, exec_lo
                                        ; implicit-def: $vgpr1
	s_delay_alu instid0(VALU_DEP_1)
	v_cmpx_gt_u32_e32 0x43f00000, v4
	s_xor_b32 s51, exec_lo, s51
	s_cbranch_execz .LBB151_1175
; %bb.1170:
	s_mov_b32 s52, exec_lo
                                        ; implicit-def: $vgpr1
	v_cmpx_lt_u32_e32 0x3c7fffff, v4
	s_xor_b32 s52, exec_lo, s52
	s_cbranch_execz .LBB151_1172
; %bb.1171:
	s_wait_loadcnt 0x0
	v_bfe_u32 v1, v4, 20, 1
	s_delay_alu instid0(VALU_DEP_1) | instskip(NEXT) | instid1(VALU_DEP_1)
	v_add3_u32 v1, v4, v1, 0x407ffff
	v_and_b32_e32 v4, 0xff00000, v1
	v_lshrrev_b32_e32 v1, 20, v1
	s_delay_alu instid0(VALU_DEP_2) | instskip(NEXT) | instid1(VALU_DEP_2)
	v_cmp_ne_u32_e32 vcc_lo, 0x7f00000, v4
                                        ; implicit-def: $vgpr4
	v_cndmask_b32_e32 v1, 0x7e, v1, vcc_lo
.LBB151_1172:
	s_and_not1_saveexec_b32 s52, s52
	s_cbranch_execz .LBB151_1174
; %bb.1173:
	s_wait_loadcnt 0x0
	v_add_f32_e32 v1, 0x46800000, v4
.LBB151_1174:
	s_or_b32 exec_lo, exec_lo, s52
                                        ; implicit-def: $vgpr4
.LBB151_1175:
	s_and_not1_saveexec_b32 s51, s51
	s_cbranch_execz .LBB151_1177
; %bb.1176:
	s_wait_loadcnt 0x0
	v_mov_b32_e32 v1, 0x7f
	v_cmp_lt_u32_e32 vcc_lo, 0x7f800000, v4
	s_delay_alu instid0(VALU_DEP_2)
	v_cndmask_b32_e32 v1, 0x7e, v1, vcc_lo
.LBB151_1177:
	s_or_b32 exec_lo, exec_lo, s51
	s_wait_loadcnt 0x0
	global_store_b8 v[2:3], v1, off
.LBB151_1178:
	s_mov_b32 s51, 0
.LBB151_1179:
	s_delay_alu instid0(SALU_CYCLE_1)
	s_and_not1_b32 vcc_lo, exec_lo, s51
	s_cbranch_vccnz .LBB151_1189
; %bb.1180:
	s_wait_xcnt 0x0
	v_cndmask_b32_e64 v4, 0, 1.0, s48
	s_mov_b32 s51, exec_lo
                                        ; implicit-def: $vgpr1
	s_delay_alu instid0(VALU_DEP_1)
	v_cmpx_gt_u32_e32 0x47800000, v4
	s_xor_b32 s51, exec_lo, s51
	s_cbranch_execz .LBB151_1186
; %bb.1181:
	s_mov_b32 s52, exec_lo
                                        ; implicit-def: $vgpr1
	v_cmpx_lt_u32_e32 0x387fffff, v4
	s_xor_b32 s52, exec_lo, s52
	s_cbranch_execz .LBB151_1183
; %bb.1182:
	s_wait_loadcnt 0x0
	v_bfe_u32 v1, v4, 21, 1
	s_delay_alu instid0(VALU_DEP_1) | instskip(NEXT) | instid1(VALU_DEP_1)
	v_add3_u32 v1, v4, v1, 0x80fffff
                                        ; implicit-def: $vgpr4
	v_lshrrev_b32_e32 v1, 21, v1
.LBB151_1183:
	s_and_not1_saveexec_b32 s52, s52
	s_cbranch_execz .LBB151_1185
; %bb.1184:
	s_wait_loadcnt 0x0
	v_add_f32_e32 v1, 0x43000000, v4
.LBB151_1185:
	s_or_b32 exec_lo, exec_lo, s52
                                        ; implicit-def: $vgpr4
.LBB151_1186:
	s_and_not1_saveexec_b32 s51, s51
	s_cbranch_execz .LBB151_1188
; %bb.1187:
	s_wait_loadcnt 0x0
	v_mov_b32_e32 v1, 0x7f
	v_cmp_lt_u32_e32 vcc_lo, 0x7f800000, v4
	s_delay_alu instid0(VALU_DEP_2)
	v_cndmask_b32_e32 v1, 0x7c, v1, vcc_lo
.LBB151_1188:
	s_or_b32 exec_lo, exec_lo, s51
	s_wait_loadcnt 0x0
	global_store_b8 v[2:3], v1, off
.LBB151_1189:
	s_mov_b32 s52, 0
	s_mov_b32 s51, -1
.LBB151_1190:
	s_and_not1_b32 vcc_lo, exec_lo, s52
	s_cbranch_vccnz .LBB151_1198
; %bb.1191:
	s_cmp_gt_i32 s50, 14
	s_mov_b32 s52, -1
	s_cbranch_scc0 .LBB151_1195
; %bb.1192:
	s_cmp_eq_u32 s50, 15
	s_mov_b32 s0, -1
	s_cbranch_scc0 .LBB151_1194
; %bb.1193:
	s_wait_loadcnt 0x0
	v_cndmask_b32_e64 v1, 0, 1.0, s48
	s_mov_b32 s51, -1
	s_mov_b32 s0, 0
	s_delay_alu instid0(VALU_DEP_1) | instskip(NEXT) | instid1(VALU_DEP_1)
	v_bfe_u32 v4, v1, 16, 1
	v_add3_u32 v1, v1, v4, 0x7fff
	global_store_d16_hi_b16 v[2:3], v1, off
.LBB151_1194:
	s_mov_b32 s52, 0
.LBB151_1195:
	s_delay_alu instid0(SALU_CYCLE_1)
	s_and_b32 vcc_lo, exec_lo, s52
	s_cbranch_vccz .LBB151_1198
; %bb.1196:
	s_cmp_eq_u32 s50, 11
	s_mov_b32 s0, -1
	s_cbranch_scc0 .LBB151_1198
; %bb.1197:
	s_wait_loadcnt 0x0
	v_cndmask_b32_e64 v1, 0, 1, s48
	s_mov_b32 s51, -1
	s_mov_b32 s0, 0
	global_store_b8 v[2:3], v1, off
.LBB151_1198:
	s_mov_b32 s50, 0
.LBB151_1199:
	s_delay_alu instid0(SALU_CYCLE_1)
	s_and_b32 vcc_lo, exec_lo, s50
	s_cbranch_vccz .LBB151_1238
; %bb.1200:
	s_and_b32 s49, 0xffff, s49
	s_mov_b32 s50, -1
	s_cmp_lt_i32 s49, 5
	s_cbranch_scc1 .LBB151_1221
; %bb.1201:
	s_cmp_lt_i32 s49, 8
	s_cbranch_scc1 .LBB151_1211
; %bb.1202:
	s_cmp_lt_i32 s49, 9
	s_cbranch_scc1 .LBB151_1208
; %bb.1203:
	s_cmp_gt_i32 s49, 9
	s_cbranch_scc0 .LBB151_1205
; %bb.1204:
	s_wait_loadcnt 0x0
	v_cndmask_b32_e64 v1, 0, 1, s48
	v_mov_b32_e32 v6, 0
	s_mov_b32 s50, 0
	s_delay_alu instid0(VALU_DEP_2) | instskip(NEXT) | instid1(VALU_DEP_2)
	v_cvt_f64_u32_e32 v[4:5], v1
	v_mov_b32_e32 v7, v6
	global_store_b128 v[2:3], v[4:7], off
.LBB151_1205:
	s_and_not1_b32 vcc_lo, exec_lo, s50
	s_cbranch_vccnz .LBB151_1207
; %bb.1206:
	s_wait_xcnt 0x0
	v_cndmask_b32_e64 v4, 0, 1.0, s48
	v_mov_b32_e32 v5, 0
	global_store_b64 v[2:3], v[4:5], off
.LBB151_1207:
	s_mov_b32 s50, 0
.LBB151_1208:
	s_delay_alu instid0(SALU_CYCLE_1)
	s_and_not1_b32 vcc_lo, exec_lo, s50
	s_cbranch_vccnz .LBB151_1210
; %bb.1209:
	s_wait_loadcnt 0x0
	v_cndmask_b32_e64 v1, 0, 1.0, s48
	s_delay_alu instid0(VALU_DEP_1) | instskip(NEXT) | instid1(VALU_DEP_1)
	v_cvt_f16_f32_e32 v1, v1
	v_and_b32_e32 v1, 0xffff, v1
	global_store_b32 v[2:3], v1, off
.LBB151_1210:
	s_mov_b32 s50, 0
.LBB151_1211:
	s_delay_alu instid0(SALU_CYCLE_1)
	s_and_not1_b32 vcc_lo, exec_lo, s50
	s_cbranch_vccnz .LBB151_1220
; %bb.1212:
	s_cmp_lt_i32 s49, 6
	s_mov_b32 s50, -1
	s_cbranch_scc1 .LBB151_1218
; %bb.1213:
	s_cmp_gt_i32 s49, 6
	s_cbranch_scc0 .LBB151_1215
; %bb.1214:
	s_wait_loadcnt 0x0
	v_cndmask_b32_e64 v1, 0, 1, s48
	s_mov_b32 s50, 0
	s_delay_alu instid0(VALU_DEP_1)
	v_cvt_f64_u32_e32 v[4:5], v1
	global_store_b64 v[2:3], v[4:5], off
.LBB151_1215:
	s_and_not1_b32 vcc_lo, exec_lo, s50
	s_cbranch_vccnz .LBB151_1217
; %bb.1216:
	s_wait_loadcnt 0x0
	v_cndmask_b32_e64 v1, 0, 1.0, s48
	global_store_b32 v[2:3], v1, off
.LBB151_1217:
	s_mov_b32 s50, 0
.LBB151_1218:
	s_delay_alu instid0(SALU_CYCLE_1)
	s_and_not1_b32 vcc_lo, exec_lo, s50
	s_cbranch_vccnz .LBB151_1220
; %bb.1219:
	s_wait_loadcnt 0x0
	v_cndmask_b32_e64 v1, 0, 1.0, s48
	s_delay_alu instid0(VALU_DEP_1)
	v_cvt_f16_f32_e32 v1, v1
	global_store_b16 v[2:3], v1, off
.LBB151_1220:
	s_mov_b32 s50, 0
.LBB151_1221:
	s_delay_alu instid0(SALU_CYCLE_1)
	s_and_not1_b32 vcc_lo, exec_lo, s50
	s_cbranch_vccnz .LBB151_1237
; %bb.1222:
	s_cmp_lt_i32 s49, 2
	s_mov_b32 s50, -1
	s_cbranch_scc1 .LBB151_1232
; %bb.1223:
	s_cmp_lt_i32 s49, 3
	s_cbranch_scc1 .LBB151_1229
; %bb.1224:
	s_cmp_gt_i32 s49, 3
	s_cbranch_scc0 .LBB151_1226
; %bb.1225:
	s_mov_b32 s50, 0
	s_wait_xcnt 0x0
	v_cndmask_b32_e64 v4, 0, 1, s48
	v_mov_b32_e32 v5, s50
	global_store_b64 v[2:3], v[4:5], off
.LBB151_1226:
	s_and_not1_b32 vcc_lo, exec_lo, s50
	s_cbranch_vccnz .LBB151_1228
; %bb.1227:
	s_wait_loadcnt 0x0
	v_cndmask_b32_e64 v1, 0, 1, s48
	global_store_b32 v[2:3], v1, off
.LBB151_1228:
	s_mov_b32 s50, 0
.LBB151_1229:
	s_delay_alu instid0(SALU_CYCLE_1)
	s_and_not1_b32 vcc_lo, exec_lo, s50
	s_cbranch_vccnz .LBB151_1231
; %bb.1230:
	s_wait_loadcnt 0x0
	v_cndmask_b32_e64 v1, 0, 1, s48
	global_store_b16 v[2:3], v1, off
.LBB151_1231:
	s_mov_b32 s50, 0
.LBB151_1232:
	s_delay_alu instid0(SALU_CYCLE_1)
	s_and_not1_b32 vcc_lo, exec_lo, s50
	s_cbranch_vccnz .LBB151_1237
; %bb.1233:
	s_wait_loadcnt 0x0
	v_cndmask_b32_e64 v1, 0, 1, s48
	s_cmp_gt_i32 s49, 0
	s_mov_b32 s48, -1
	s_cbranch_scc0 .LBB151_1235
; %bb.1234:
	s_mov_b32 s48, 0
	global_store_b8 v[2:3], v1, off
.LBB151_1235:
	s_and_not1_b32 vcc_lo, exec_lo, s48
	s_cbranch_vccnz .LBB151_1237
; %bb.1236:
	global_store_b8 v[2:3], v1, off
.LBB151_1237:
	s_mov_b32 s51, -1
.LBB151_1238:
	s_delay_alu instid0(SALU_CYCLE_1)
	s_and_not1_b32 vcc_lo, exec_lo, s51
	s_cbranch_vccnz .LBB151_1240
; %bb.1239:
	v_add_nc_u32_e32 v0, 0x80, v0
	s_mov_b32 s51, -1
	s_branch .LBB151_1242
.LBB151_1240:
	s_mov_b32 s51, 0
.LBB151_1241:
                                        ; implicit-def: $vgpr0
.LBB151_1242:
	s_and_not1_b32 s48, s44, exec_lo
	s_and_b32 s0, s0, exec_lo
	s_and_b32 s27, s27, exec_lo
	s_or_b32 s49, s48, s0
	s_and_not1_b32 s0, s45, exec_lo
	s_and_not1_b32 s48, s43, exec_lo
	s_and_b32 s26, s26, exec_lo
	s_or_b32 s50, s0, s27
	s_or_b32 s48, s48, s26
	s_or_not1_b32 s52, s51, exec_lo
.LBB151_1243:
	s_wait_xcnt 0x0
	s_or_b32 exec_lo, exec_lo, s47
	s_mov_b32 s51, 0
	s_mov_b32 s27, 0
	;; [unrolled: 1-line block ×3, first 2 shown]
                                        ; implicit-def: $sgpr0
                                        ; implicit-def: $vgpr6_vgpr7
                                        ; implicit-def: $vgpr4
                                        ; implicit-def: $vgpr2
                                        ; implicit-def: $vgpr8
                                        ; implicit-def: $vgpr3
	s_and_saveexec_b32 s47, s52
	s_cbranch_execz .LBB151_1341
; %bb.1244:
	v_cmp_gt_i32_e32 vcc_lo, s37, v0
	s_mov_b32 s52, s48
                                        ; implicit-def: $sgpr0
                                        ; implicit-def: $vgpr6_vgpr7
                                        ; implicit-def: $vgpr4
                                        ; implicit-def: $vgpr2
                                        ; implicit-def: $vgpr8
                                        ; implicit-def: $vgpr3
	s_and_saveexec_b32 s37, vcc_lo
	s_cbranch_execz .LBB151_1340
; %bb.1245:
	s_and_not1_b32 vcc_lo, exec_lo, s31
	s_cbranch_vccnz .LBB151_1251
; %bb.1246:
	s_and_not1_b32 vcc_lo, exec_lo, s38
	s_cbranch_vccnz .LBB151_1252
; %bb.1247:
	s_wait_loadcnt 0x0
	v_dual_mov_b32 v2, 0 :: v_dual_mov_b32 v1, v0
	v_dual_mov_b32 v6, 0 :: v_dual_mov_b32 v4, 0
	s_add_co_i32 s0, s36, 1
	s_mov_b64 s[26:27], 0xffffffffffffffe8
	s_and_b32 s0, s0, 30
	s_add_nc_u64 s[26:27], s[2:3], s[26:27]
.LBB151_1248:                           ; =>This Inner Loop Header: Depth=1
	s_clause 0x1
	s_load_b128 s[52:55], s[26:27], 0x1c
	s_load_b64 s[60:61], s[26:27], 0x2c
	s_add_co_i32 s0, s0, -2
	s_delay_alu instid0(SALU_CYCLE_1) | instskip(SKIP_2) | instid1(VALU_DEP_1)
	s_cmp_eq_u32 s0, 0
	s_wait_kmcnt 0x0
	v_mul_hi_u32 v3, s53, v1
	v_add_nc_u32_e32 v3, v1, v3
	s_delay_alu instid0(VALU_DEP_1) | instskip(NEXT) | instid1(VALU_DEP_1)
	v_lshrrev_b32_e32 v3, s54, v3
	v_mul_hi_u32 v5, s60, v3
	v_mul_lo_u32 v7, v3, s52
	s_clause 0x1
	s_load_b128 s[56:59], s[26:27], 0xdc
	s_load_b64 s[52:53], s[26:27], 0xec
	s_wait_xcnt 0x0
	s_add_nc_u64 s[26:27], s[26:27], 24
	s_delay_alu instid0(VALU_DEP_1) | instskip(NEXT) | instid1(VALU_DEP_1)
	v_dual_add_nc_u32 v5, v3, v5 :: v_dual_sub_nc_u32 v7, v1, v7
	v_lshrrev_b32_e32 v1, s61, v5
	s_wait_kmcnt 0x0
	s_delay_alu instid0(VALU_DEP_2) | instskip(NEXT) | instid1(VALU_DEP_2)
	v_mad_u32 v2, v7, s56, v2
	v_mul_lo_u32 v5, v1, s55
	v_mad_u32 v4, v7, s58, v4
	v_mad_u32 v6, v7, s57, v6
	s_delay_alu instid0(VALU_DEP_3) | instskip(NEXT) | instid1(VALU_DEP_1)
	v_sub_nc_u32_e32 v3, v3, v5
	v_mad_u32 v2, v3, s59, v2
	s_delay_alu instid0(VALU_DEP_4) | instskip(NEXT) | instid1(VALU_DEP_4)
	v_mad_u32 v4, v3, s53, v4
	v_mad_u32 v6, v3, s52, v6
	s_cbranch_scc0 .LBB151_1248
; %bb.1249:
	s_bitcmp1_b32 s36, 0
	s_cselect_b32 s0, -1, 0
	s_delay_alu instid0(SALU_CYCLE_1)
	s_and_b32 vcc_lo, exec_lo, s0
	s_cbranch_vccnz .LBB151_1253
; %bb.1250:
	s_clause 0x1
	s_load_b96 s[52:54], s[26:27], 0x1c
	s_load_b96 s[56:58], s[26:27], 0xdc
	s_wait_kmcnt 0x0
	v_mul_hi_u32 v3, s53, v1
	s_delay_alu instid0(VALU_DEP_1) | instskip(NEXT) | instid1(VALU_DEP_1)
	v_add_nc_u32_e32 v3, v1, v3
	v_lshrrev_b32_e32 v3, s54, v3
	s_delay_alu instid0(VALU_DEP_1) | instskip(NEXT) | instid1(VALU_DEP_1)
	v_mul_lo_u32 v3, v3, s52
	v_sub_nc_u32_e32 v1, v1, v3
	s_delay_alu instid0(VALU_DEP_1)
	v_mad_u32 v2, v1, s56, v2
	v_mad_u32 v6, v1, s57, v6
	;; [unrolled: 1-line block ×3, first 2 shown]
	s_branch .LBB151_1253
.LBB151_1251:
	s_mov_b32 s0, -1
                                        ; implicit-def: $vgpr4
                                        ; implicit-def: $vgpr6
                                        ; implicit-def: $vgpr2
	s_branch .LBB151_1254
.LBB151_1252:
	s_wait_loadcnt 0x0
	v_dual_mov_b32 v4, 0 :: v_dual_mov_b32 v6, 0
	v_mov_b32_e32 v2, 0
.LBB151_1253:
	s_mov_b32 s0, 0
.LBB151_1254:
	s_delay_alu instid0(SALU_CYCLE_1)
	s_and_not1_b32 vcc_lo, exec_lo, s0
	s_cbranch_vccnz .LBB151_1257
; %bb.1255:
	s_wait_loadcnt 0x0
	v_mov_b32_e32 v1, 0
	s_and_not1_b32 vcc_lo, exec_lo, s35
	s_delay_alu instid0(VALU_DEP_1) | instskip(NEXT) | instid1(VALU_DEP_1)
	v_mul_u64_e32 v[2:3], s[20:21], v[0:1]
	v_add_nc_u32_e32 v2, v0, v3
	s_delay_alu instid0(VALU_DEP_1) | instskip(NEXT) | instid1(VALU_DEP_1)
	v_lshrrev_b32_e32 v8, s14, v2
	v_mul_lo_u32 v2, v8, s12
	s_delay_alu instid0(VALU_DEP_1) | instskip(NEXT) | instid1(VALU_DEP_1)
	v_sub_nc_u32_e32 v0, v0, v2
	v_mul_lo_u32 v2, v0, s16
	v_mul_lo_u32 v4, v0, s18
	;; [unrolled: 1-line block ×3, first 2 shown]
	s_cbranch_vccnz .LBB151_1257
; %bb.1256:
	v_mov_b32_e32 v9, v1
	s_delay_alu instid0(VALU_DEP_1) | instskip(NEXT) | instid1(VALU_DEP_1)
	v_mul_u64_e32 v[0:1], s[24:25], v[8:9]
	v_add_nc_u32_e32 v0, v8, v1
	s_delay_alu instid0(VALU_DEP_1) | instskip(NEXT) | instid1(VALU_DEP_1)
	v_lshrrev_b32_e32 v0, s1, v0
	v_mul_lo_u32 v0, v0, s15
	s_delay_alu instid0(VALU_DEP_1) | instskip(NEXT) | instid1(VALU_DEP_1)
	v_sub_nc_u32_e32 v0, v8, v0
	v_mad_u32 v2, v0, s19, v2
	v_mad_u32 v6, v0, s22, v6
	;; [unrolled: 1-line block ×3, first 2 shown]
.LBB151_1257:
	v_mov_b32_e32 v7, 0
	s_and_b32 s0, s34, 0xff
	s_delay_alu instid0(SALU_CYCLE_1) | instskip(SKIP_1) | instid1(VALU_DEP_1)
	s_cmp_lt_i32 s0, 11
	s_wait_loadcnt 0x0
	v_add_nc_u64_e32 v[6:7], s[6:7], v[6:7]
	s_cbranch_scc1 .LBB151_1264
; %bb.1258:
	s_and_b32 s1, 0xffff, s0
	s_mov_b32 s7, 0
	s_cmp_gt_i32 s1, 25
	s_cbranch_scc0 .LBB151_1265
; %bb.1259:
	s_cmp_gt_i32 s1, 28
	s_cbranch_scc0 .LBB151_1266
; %bb.1260:
	s_cmp_gt_i32 s1, 43
	s_cbranch_scc0 .LBB151_1267
; %bb.1261:
	s_cmp_gt_i32 s1, 45
	s_cbranch_scc0 .LBB151_1268
; %bb.1262:
	s_cmp_eq_u32 s1, 46
	s_mov_b32 s14, 0
	s_cbranch_scc0 .LBB151_1271
; %bb.1263:
	global_load_b32 v0, v[6:7], off
	s_mov_b32 s6, 0
	s_mov_b32 s12, -1
	s_wait_loadcnt 0x0
	v_lshlrev_b32_e32 v1, 16, v0
	v_and_b32_e32 v0, 0xffff0000, v0
	s_delay_alu instid0(VALU_DEP_2) | instskip(NEXT) | instid1(VALU_DEP_2)
	v_cvt_f16_f32_e32 v3, v1
	v_cvt_f16_f32_e32 v8, v0
	s_branch .LBB151_1273
.LBB151_1264:
	s_mov_b32 s1, -1
	s_mov_b32 s12, 0
	s_mov_b32 s7, 0
	;; [unrolled: 1-line block ×3, first 2 shown]
                                        ; implicit-def: $vgpr8
                                        ; implicit-def: $vgpr3
	s_branch .LBB151_1339
.LBB151_1265:
	s_mov_b32 s14, -1
	s_mov_b32 s12, 0
	s_mov_b32 s6, s48
                                        ; implicit-def: $vgpr8
                                        ; implicit-def: $vgpr3
	s_branch .LBB151_1304
.LBB151_1266:
	s_mov_b32 s14, -1
	s_mov_b32 s12, 0
	s_mov_b32 s6, s48
                                        ; implicit-def: $vgpr8
                                        ; implicit-def: $vgpr3
	s_branch .LBB151_1285
.LBB151_1267:
	s_mov_b32 s14, -1
	s_mov_b32 s12, 0
	s_mov_b32 s6, s48
                                        ; implicit-def: $vgpr8
                                        ; implicit-def: $vgpr3
	s_branch .LBB151_1279
.LBB151_1268:
	s_mov_b32 s14, -1
	s_mov_b32 s12, 0
	s_mov_b32 s6, s48
	s_branch .LBB151_1272
.LBB151_1269:
	s_and_not1_saveexec_b32 s53, s53
	s_cbranch_execz .LBB151_1151
.LBB151_1270:
	s_wait_loadcnt 0x0
	v_add_f32_e32 v1, 0x46000000, v4
	s_and_not1_b32 s52, s52, exec_lo
	s_delay_alu instid0(VALU_DEP_1) | instskip(NEXT) | instid1(VALU_DEP_1)
	v_and_b32_e32 v1, 0xff, v1
	v_cmp_ne_u32_e32 vcc_lo, 0, v1
	s_and_b32 s54, vcc_lo, exec_lo
	s_delay_alu instid0(SALU_CYCLE_1)
	s_or_b32 s52, s52, s54
	s_or_b32 exec_lo, exec_lo, s53
	v_mov_b32_e32 v5, 0
	s_and_saveexec_b32 s53, s52
	s_cbranch_execnz .LBB151_1152
	s_branch .LBB151_1153
.LBB151_1271:
	s_mov_b32 s6, -1
	s_mov_b32 s12, 0
.LBB151_1272:
                                        ; implicit-def: $vgpr8
                                        ; implicit-def: $vgpr3
.LBB151_1273:
	s_and_b32 vcc_lo, exec_lo, s14
	s_cbranch_vccz .LBB151_1278
; %bb.1274:
	s_cmp_eq_u32 s1, 44
	s_cbranch_scc0 .LBB151_1276
; %bb.1275:
	global_load_u8 v0, v[6:7], off
	s_mov_b32 s6, 0
	s_mov_b32 s12, -1
	s_wait_loadcnt 0x0
	v_lshlrev_b32_e32 v1, 23, v0
	v_cmp_ne_u32_e32 vcc_lo, 0xff, v0
	s_delay_alu instid0(VALU_DEP_2) | instskip(NEXT) | instid1(VALU_DEP_1)
	v_cvt_f16_f32_e32 v1, v1
	v_cndmask_b32_e32 v1, 0x7e00, v1, vcc_lo
	v_cmp_ne_u32_e32 vcc_lo, 0, v0
	s_delay_alu instid0(VALU_DEP_2)
	v_cndmask_b32_e32 v3, 0, v1, vcc_lo
	s_branch .LBB151_1277
.LBB151_1276:
	s_mov_b32 s6, -1
                                        ; implicit-def: $vgpr3
.LBB151_1277:
	v_mov_b32_e32 v8, 0
.LBB151_1278:
	s_mov_b32 s14, 0
.LBB151_1279:
	s_delay_alu instid0(SALU_CYCLE_1)
	s_and_b32 vcc_lo, exec_lo, s14
	s_cbranch_vccz .LBB151_1284
; %bb.1280:
	s_cmp_eq_u32 s1, 29
	s_cbranch_scc0 .LBB151_1282
; %bb.1281:
	global_load_b64 v[0:1], v[6:7], off
	s_mov_b32 s6, 0
	s_mov_b32 s12, -1
	s_wait_loadcnt 0x0
	v_clz_i32_u32_e32 v3, v1
	s_delay_alu instid0(VALU_DEP_1) | instskip(NEXT) | instid1(VALU_DEP_1)
	v_min_u32_e32 v3, 32, v3
	v_lshlrev_b64_e32 v[0:1], v3, v[0:1]
	s_delay_alu instid0(VALU_DEP_1) | instskip(NEXT) | instid1(VALU_DEP_1)
	v_min_u32_e32 v0, 1, v0
	v_dual_sub_nc_u32 v1, 32, v3 :: v_dual_bitop2_b32 v0, v1, v0 bitop3:0x54
	s_delay_alu instid0(VALU_DEP_1) | instskip(NEXT) | instid1(VALU_DEP_1)
	v_cvt_f32_u32_e32 v0, v0
	v_ldexp_f32 v0, v0, v1
	s_delay_alu instid0(VALU_DEP_1)
	v_cvt_f16_f32_e32 v3, v0
	s_branch .LBB151_1283
.LBB151_1282:
	s_mov_b32 s6, -1
                                        ; implicit-def: $vgpr3
.LBB151_1283:
	v_mov_b32_e32 v8, 0
.LBB151_1284:
	s_mov_b32 s14, 0
.LBB151_1285:
	s_delay_alu instid0(SALU_CYCLE_1)
	s_and_b32 vcc_lo, exec_lo, s14
	s_cbranch_vccz .LBB151_1303
; %bb.1286:
	s_cmp_lt_i32 s1, 27
	s_cbranch_scc1 .LBB151_1289
; %bb.1287:
	s_cmp_gt_i32 s1, 27
	s_cbranch_scc0 .LBB151_1290
; %bb.1288:
	global_load_b32 v0, v[6:7], off
	s_mov_b32 s12, 0
	s_wait_loadcnt 0x0
	v_cvt_f32_u32_e32 v0, v0
	s_delay_alu instid0(VALU_DEP_1)
	v_cvt_f16_f32_e32 v3, v0
	s_branch .LBB151_1291
.LBB151_1289:
	s_mov_b32 s12, -1
                                        ; implicit-def: $vgpr3
	s_branch .LBB151_1294
.LBB151_1290:
	s_mov_b32 s12, -1
                                        ; implicit-def: $vgpr3
.LBB151_1291:
	s_delay_alu instid0(SALU_CYCLE_1)
	s_and_not1_b32 vcc_lo, exec_lo, s12
	s_cbranch_vccnz .LBB151_1293
; %bb.1292:
	global_load_u16 v0, v[6:7], off
	s_wait_loadcnt 0x0
	v_cvt_f16_u16_e32 v3, v0
.LBB151_1293:
	s_mov_b32 s12, 0
.LBB151_1294:
	s_delay_alu instid0(SALU_CYCLE_1)
	s_and_not1_b32 vcc_lo, exec_lo, s12
	s_cbranch_vccnz .LBB151_1302
; %bb.1295:
	global_load_u8 v0, v[6:7], off
	s_mov_b32 s12, 0
	s_mov_b32 s14, exec_lo
	s_wait_loadcnt 0x0
	v_cmpx_lt_i16_e32 0x7f, v0
	s_xor_b32 s14, exec_lo, s14
	s_cbranch_execz .LBB151_1316
; %bb.1296:
	s_mov_b32 s12, -1
	s_mov_b32 s15, exec_lo
	v_cmpx_eq_u16_e32 0x80, v0
; %bb.1297:
	s_xor_b32 s12, exec_lo, -1
; %bb.1298:
	s_or_b32 exec_lo, exec_lo, s15
	s_delay_alu instid0(SALU_CYCLE_1)
	s_and_b32 s12, s12, exec_lo
	s_or_saveexec_b32 s14, s14
	v_mov_b32_e32 v3, 0x7e00
	s_xor_b32 exec_lo, exec_lo, s14
	s_cbranch_execnz .LBB151_1317
.LBB151_1299:
	s_or_b32 exec_lo, exec_lo, s14
	s_and_saveexec_b32 s14, s12
	s_cbranch_execz .LBB151_1301
.LBB151_1300:
	v_and_b32_e32 v1, 0xffff, v0
	s_delay_alu instid0(VALU_DEP_1) | instskip(SKIP_1) | instid1(VALU_DEP_2)
	v_dual_lshlrev_b32 v0, 24, v0 :: v_dual_bitop2_b32 v3, 7, v1 bitop3:0x40
	v_bfe_u32 v9, v1, 3, 4
	v_and_b32_e32 v0, 0x80000000, v0
	s_delay_alu instid0(VALU_DEP_3) | instskip(NEXT) | instid1(VALU_DEP_3)
	v_clz_i32_u32_e32 v5, v3
	v_cmp_eq_u32_e32 vcc_lo, 0, v9
	s_delay_alu instid0(VALU_DEP_2) | instskip(NEXT) | instid1(VALU_DEP_1)
	v_min_u32_e32 v5, 32, v5
	v_subrev_nc_u32_e32 v8, 28, v5
	v_sub_nc_u32_e32 v5, 29, v5
	s_delay_alu instid0(VALU_DEP_2) | instskip(NEXT) | instid1(VALU_DEP_2)
	v_lshlrev_b32_e32 v1, v8, v1
	v_cndmask_b32_e32 v5, v9, v5, vcc_lo
	s_delay_alu instid0(VALU_DEP_2) | instskip(NEXT) | instid1(VALU_DEP_1)
	v_and_b32_e32 v1, 7, v1
	v_cndmask_b32_e32 v1, v3, v1, vcc_lo
	s_delay_alu instid0(VALU_DEP_3) | instskip(NEXT) | instid1(VALU_DEP_2)
	v_lshl_add_u32 v3, v5, 23, 0x3b800000
	v_lshlrev_b32_e32 v1, 20, v1
	s_delay_alu instid0(VALU_DEP_1) | instskip(NEXT) | instid1(VALU_DEP_1)
	v_or3_b32 v0, v0, v3, v1
	v_cvt_f16_f32_e32 v3, v0
.LBB151_1301:
	s_or_b32 exec_lo, exec_lo, s14
.LBB151_1302:
	v_mov_b32_e32 v8, 0
	s_mov_b32 s12, -1
.LBB151_1303:
	s_mov_b32 s14, 0
.LBB151_1304:
	s_delay_alu instid0(SALU_CYCLE_1)
	s_and_b32 vcc_lo, exec_lo, s14
	s_cbranch_vccz .LBB151_1338
; %bb.1305:
	s_cmp_gt_i32 s1, 22
	s_cbranch_scc0 .LBB151_1315
; %bb.1306:
	s_cmp_lt_i32 s1, 24
	s_cbranch_scc1 .LBB151_1318
; %bb.1307:
	s_cmp_gt_i32 s1, 24
	s_cbranch_scc0 .LBB151_1319
; %bb.1308:
	global_load_u8 v0, v[6:7], off
	s_mov_b32 s12, exec_lo
	s_wait_loadcnt 0x0
	v_cmpx_lt_i16_e32 0x7f, v0
	s_xor_b32 s12, exec_lo, s12
	s_cbranch_execz .LBB151_1331
; %bb.1309:
	s_mov_b32 s7, -1
	s_mov_b32 s14, exec_lo
	v_cmpx_eq_u16_e32 0x80, v0
; %bb.1310:
	s_xor_b32 s7, exec_lo, -1
; %bb.1311:
	s_or_b32 exec_lo, exec_lo, s14
	s_delay_alu instid0(SALU_CYCLE_1)
	s_and_b32 s7, s7, exec_lo
	s_or_saveexec_b32 s12, s12
	v_mov_b32_e32 v3, 0x7e00
	s_xor_b32 exec_lo, exec_lo, s12
	s_cbranch_execnz .LBB151_1332
.LBB151_1312:
	s_or_b32 exec_lo, exec_lo, s12
	s_and_saveexec_b32 s12, s7
	s_cbranch_execz .LBB151_1314
.LBB151_1313:
	v_and_b32_e32 v1, 0xffff, v0
	s_delay_alu instid0(VALU_DEP_1) | instskip(SKIP_1) | instid1(VALU_DEP_2)
	v_dual_lshlrev_b32 v0, 24, v0 :: v_dual_bitop2_b32 v3, 3, v1 bitop3:0x40
	v_bfe_u32 v9, v1, 2, 5
	v_and_b32_e32 v0, 0x80000000, v0
	s_delay_alu instid0(VALU_DEP_3) | instskip(NEXT) | instid1(VALU_DEP_3)
	v_clz_i32_u32_e32 v5, v3
	v_cmp_eq_u32_e32 vcc_lo, 0, v9
	s_delay_alu instid0(VALU_DEP_2) | instskip(NEXT) | instid1(VALU_DEP_1)
	v_min_u32_e32 v5, 32, v5
	v_subrev_nc_u32_e32 v8, 29, v5
	v_sub_nc_u32_e32 v5, 30, v5
	s_delay_alu instid0(VALU_DEP_2) | instskip(NEXT) | instid1(VALU_DEP_2)
	v_lshlrev_b32_e32 v1, v8, v1
	v_cndmask_b32_e32 v5, v9, v5, vcc_lo
	s_delay_alu instid0(VALU_DEP_2) | instskip(NEXT) | instid1(VALU_DEP_1)
	v_and_b32_e32 v1, 3, v1
	v_cndmask_b32_e32 v1, v3, v1, vcc_lo
	s_delay_alu instid0(VALU_DEP_3) | instskip(NEXT) | instid1(VALU_DEP_2)
	v_lshl_add_u32 v3, v5, 23, 0x37800000
	v_lshlrev_b32_e32 v1, 21, v1
	s_delay_alu instid0(VALU_DEP_1) | instskip(NEXT) | instid1(VALU_DEP_1)
	v_or3_b32 v0, v0, v3, v1
	v_cvt_f16_f32_e32 v3, v0
.LBB151_1314:
	s_or_b32 exec_lo, exec_lo, s12
	s_mov_b32 s7, 0
	s_branch .LBB151_1320
.LBB151_1315:
	s_mov_b32 s7, -1
                                        ; implicit-def: $vgpr3
	s_branch .LBB151_1326
.LBB151_1316:
	s_or_saveexec_b32 s14, s14
	v_mov_b32_e32 v3, 0x7e00
	s_xor_b32 exec_lo, exec_lo, s14
	s_cbranch_execz .LBB151_1299
.LBB151_1317:
	v_cmp_ne_u16_e32 vcc_lo, 0, v0
	v_mov_b32_e32 v3, v0
	s_and_not1_b32 s12, s12, exec_lo
	s_and_b32 s15, vcc_lo, exec_lo
	s_delay_alu instid0(SALU_CYCLE_1)
	s_or_b32 s12, s12, s15
	s_or_b32 exec_lo, exec_lo, s14
	s_and_saveexec_b32 s14, s12
	s_cbranch_execnz .LBB151_1300
	s_branch .LBB151_1301
.LBB151_1318:
	s_mov_b32 s7, -1
                                        ; implicit-def: $vgpr3
	s_branch .LBB151_1323
.LBB151_1319:
	s_mov_b32 s7, -1
                                        ; implicit-def: $vgpr3
.LBB151_1320:
	s_delay_alu instid0(SALU_CYCLE_1)
	s_and_b32 vcc_lo, exec_lo, s7
	s_cbranch_vccz .LBB151_1322
; %bb.1321:
	global_load_u8 v0, v[6:7], off
	s_wait_loadcnt 0x0
	v_lshlrev_b32_e32 v0, 24, v0
	s_delay_alu instid0(VALU_DEP_1) | instskip(NEXT) | instid1(VALU_DEP_1)
	v_and_b32_e32 v1, 0x7f000000, v0
	v_clz_i32_u32_e32 v3, v1
	v_cmp_ne_u32_e32 vcc_lo, 0, v1
	v_add_nc_u32_e32 v8, 0x1000000, v1
	s_delay_alu instid0(VALU_DEP_3) | instskip(NEXT) | instid1(VALU_DEP_1)
	v_min_u32_e32 v3, 32, v3
	v_sub_nc_u32_e64 v3, v3, 4 clamp
	s_delay_alu instid0(VALU_DEP_1) | instskip(NEXT) | instid1(VALU_DEP_1)
	v_dual_lshlrev_b32 v5, v3, v1 :: v_dual_lshlrev_b32 v3, 23, v3
	v_lshrrev_b32_e32 v5, 4, v5
	s_delay_alu instid0(VALU_DEP_1) | instskip(NEXT) | instid1(VALU_DEP_1)
	v_dual_sub_nc_u32 v3, v5, v3 :: v_dual_ashrrev_i32 v5, 8, v8
	v_add_nc_u32_e32 v3, 0x3c000000, v3
	s_delay_alu instid0(VALU_DEP_1) | instskip(NEXT) | instid1(VALU_DEP_1)
	v_and_or_b32 v3, 0x7f800000, v5, v3
	v_cndmask_b32_e32 v1, 0, v3, vcc_lo
	s_delay_alu instid0(VALU_DEP_1) | instskip(NEXT) | instid1(VALU_DEP_1)
	v_and_or_b32 v0, 0x80000000, v0, v1
	v_cvt_f16_f32_e32 v3, v0
.LBB151_1322:
	s_mov_b32 s7, 0
.LBB151_1323:
	s_delay_alu instid0(SALU_CYCLE_1)
	s_and_not1_b32 vcc_lo, exec_lo, s7
	s_cbranch_vccnz .LBB151_1325
; %bb.1324:
	global_load_u8 v0, v[6:7], off
	s_wait_loadcnt 0x0
	v_lshlrev_b32_e32 v1, 25, v0
	v_lshlrev_b16 v0, 8, v0
	s_delay_alu instid0(VALU_DEP_1) | instskip(SKIP_1) | instid1(VALU_DEP_2)
	v_and_or_b32 v5, 0x7f00, v0, 0.5
	v_bfe_i32 v0, v0, 0, 16
	v_add_f32_e32 v5, -0.5, v5
	v_lshrrev_b32_e32 v3, 4, v1
	v_cmp_gt_u32_e32 vcc_lo, 0x8000000, v1
	s_delay_alu instid0(VALU_DEP_2) | instskip(NEXT) | instid1(VALU_DEP_1)
	v_or_b32_e32 v3, 0x70000000, v3
	v_mul_f32_e32 v3, 0x7800000, v3
	s_delay_alu instid0(VALU_DEP_1) | instskip(NEXT) | instid1(VALU_DEP_1)
	v_cndmask_b32_e32 v1, v3, v5, vcc_lo
	v_and_or_b32 v0, 0x80000000, v0, v1
	s_delay_alu instid0(VALU_DEP_1)
	v_cvt_f16_f32_e32 v3, v0
.LBB151_1325:
	s_mov_b32 s7, 0
	s_mov_b32 s12, -1
.LBB151_1326:
	s_and_not1_b32 vcc_lo, exec_lo, s7
	s_mov_b32 s7, 0
	s_cbranch_vccnz .LBB151_1337
; %bb.1327:
	s_cmp_gt_i32 s1, 14
	s_cbranch_scc0 .LBB151_1330
; %bb.1328:
	s_cmp_eq_u32 s1, 15
	s_cbranch_scc0 .LBB151_1333
; %bb.1329:
	global_load_u16 v0, v[6:7], off
	s_mov_b32 s6, 0
	s_mov_b32 s12, -1
	s_wait_loadcnt 0x0
	v_lshlrev_b32_e32 v0, 16, v0
	s_delay_alu instid0(VALU_DEP_1)
	v_cvt_f16_f32_e32 v3, v0
	s_branch .LBB151_1335
.LBB151_1330:
	s_mov_b32 s7, -1
	s_branch .LBB151_1334
.LBB151_1331:
	s_or_saveexec_b32 s12, s12
	v_mov_b32_e32 v3, 0x7e00
	s_xor_b32 exec_lo, exec_lo, s12
	s_cbranch_execz .LBB151_1312
.LBB151_1332:
	v_cmp_ne_u16_e32 vcc_lo, 0, v0
	v_mov_b32_e32 v3, v0
	s_and_not1_b32 s7, s7, exec_lo
	s_and_b32 s14, vcc_lo, exec_lo
	s_delay_alu instid0(SALU_CYCLE_1)
	s_or_b32 s7, s7, s14
	s_or_b32 exec_lo, exec_lo, s12
	s_and_saveexec_b32 s12, s7
	s_cbranch_execnz .LBB151_1313
	s_branch .LBB151_1314
.LBB151_1333:
	s_mov_b32 s6, -1
.LBB151_1334:
                                        ; implicit-def: $vgpr3
.LBB151_1335:
	s_and_b32 vcc_lo, exec_lo, s7
	s_mov_b32 s7, 0
	s_cbranch_vccz .LBB151_1337
; %bb.1336:
	s_cmp_lg_u32 s1, 11
	s_mov_b32 s7, -1
	s_cselect_b32 s1, -1, 0
	s_and_not1_b32 s6, s6, exec_lo
	s_and_b32 s1, s1, exec_lo
	s_delay_alu instid0(SALU_CYCLE_1)
	s_or_b32 s6, s6, s1
.LBB151_1337:
	v_mov_b32_e32 v8, 0
.LBB151_1338:
	s_mov_b32 s1, 0
.LBB151_1339:
	s_delay_alu instid0(SALU_CYCLE_1)
	s_and_b32 s27, s1, exec_lo
	s_and_not1_b32 s1, s48, exec_lo
	s_and_b32 s6, s6, exec_lo
	s_and_b32 s26, s12, exec_lo
	;; [unrolled: 1-line block ×3, first 2 shown]
	s_or_b32 s52, s1, s6
.LBB151_1340:
	s_wait_xcnt 0x0
	s_or_b32 exec_lo, exec_lo, s37
	s_delay_alu instid0(SALU_CYCLE_1)
	s_and_not1_b32 s1, s48, exec_lo
	s_and_b32 s6, s52, exec_lo
	s_and_b32 s26, s26, exec_lo
	;; [unrolled: 1-line block ×4, first 2 shown]
	s_or_b32 s48, s1, s6
.LBB151_1341:
	s_or_b32 exec_lo, exec_lo, s47
	s_delay_alu instid0(SALU_CYCLE_1)
	s_and_not1_b32 s1, s44, exec_lo
	s_and_b32 s6, s49, exec_lo
	s_and_not1_b32 s7, s45, exec_lo
	s_and_b32 s12, s50, exec_lo
	s_or_b32 s44, s1, s6
	s_and_not1_b32 s1, s43, exec_lo
	s_and_b32 s6, s48, exec_lo
	s_or_b32 s45, s7, s12
	s_and_b32 s26, s26, exec_lo
	s_and_b32 s27, s27, exec_lo
	;; [unrolled: 1-line block ×3, first 2 shown]
	s_or_b32 s43, s1, s6
.LBB151_1342:
	s_or_b32 exec_lo, exec_lo, s46
	s_delay_alu instid0(SALU_CYCLE_1)
	s_and_not1_b32 s1, s39, exec_lo
	s_and_b32 s6, s44, exec_lo
	s_and_not1_b32 s7, s40, exec_lo
	s_and_b32 s12, s45, exec_lo
	s_or_b32 s39, s1, s6
	s_and_not1_b32 s1, s41, exec_lo
	s_and_b32 s6, s43, exec_lo
	s_or_b32 s40, s7, s12
	s_and_b32 s26, s26, exec_lo
	s_and_b32 s27, s27, exec_lo
	;; [unrolled: 1-line block ×3, first 2 shown]
	s_or_b32 s41, s1, s6
	s_or_b32 exec_lo, exec_lo, s42
	s_mov_b32 s1, 0
	s_and_saveexec_b32 s6, s41
	s_cbranch_execz .LBB151_415
.LBB151_1343:
	s_mov_b32 s1, exec_lo
	s_and_not1_b32 s21, s21, exec_lo
	s_trap 2
	s_or_b32 exec_lo, exec_lo, s6
	s_and_saveexec_b32 s6, s21
	s_delay_alu instid0(SALU_CYCLE_1)
	s_xor_b32 s6, exec_lo, s6
	s_cbranch_execnz .LBB151_416
.LBB151_1344:
	s_or_b32 exec_lo, exec_lo, s6
	s_and_saveexec_b32 s6, s27
	s_cbranch_execz .LBB151_1392
.LBB151_1345:
	s_sext_i32_i16 s7, s0
	s_delay_alu instid0(SALU_CYCLE_1)
	s_cmp_lt_i32 s7, 5
	s_cbranch_scc1 .LBB151_1350
; %bb.1346:
	s_cmp_lt_i32 s7, 8
	s_cbranch_scc1 .LBB151_1351
; %bb.1347:
	s_cmp_lt_i32 s7, 9
	s_cbranch_scc1 .LBB151_1352
; %bb.1348:
	s_cmp_gt_i32 s7, 9
	s_cbranch_scc0 .LBB151_1353
; %bb.1349:
	s_wait_loadcnt 0x0
	global_load_b128 v[8:11], v[6:7], off
	s_mov_b32 s7, 0
	s_wait_loadcnt 0x0
	v_and_or_b32 v0, 0x1ff, v9, v8
	v_and_or_b32 v5, 0x1ff, v11, v10
	v_dual_lshrrev_b32 v1, 8, v9 :: v_dual_lshrrev_b32 v8, 8, v11
	v_bfe_u32 v3, v9, 20, 11
	s_delay_alu instid0(VALU_DEP_4) | instskip(SKIP_2) | instid1(VALU_DEP_4)
	v_cmp_ne_u32_e32 vcc_lo, 0, v0
	v_bfe_u32 v10, v11, 20, 11
	v_dual_lshrrev_b32 v9, 16, v9 :: v_dual_lshrrev_b32 v11, 16, v11
	v_sub_nc_u32_e32 v12, 0x3f1, v3
	v_cndmask_b32_e64 v0, 0, 1, vcc_lo
	v_cmp_ne_u32_e32 vcc_lo, 0, v5
	v_add_nc_u32_e32 v3, 0xfffffc10, v3
	s_delay_alu instid0(VALU_DEP_3) | instskip(SKIP_1) | instid1(VALU_DEP_1)
	v_and_or_b32 v0, 0xffe, v1, v0
	v_cndmask_b32_e64 v5, 0, 1, vcc_lo
	v_and_or_b32 v5, 0xffe, v8, v5
	v_med3_i32 v8, v12, 0, 13
	s_delay_alu instid0(VALU_DEP_4) | instskip(NEXT) | instid1(VALU_DEP_3)
	v_or_b32_e32 v12, 0x1000, v0
	v_or_b32_e32 v13, 0x1000, v5
	s_delay_alu instid0(VALU_DEP_2) | instskip(NEXT) | instid1(VALU_DEP_1)
	v_lshrrev_b32_e32 v14, v8, v12
	v_lshlrev_b32_e32 v8, v8, v14
	s_delay_alu instid0(VALU_DEP_1) | instskip(SKIP_2) | instid1(VALU_DEP_1)
	v_cmp_ne_u32_e32 vcc_lo, v8, v12
	v_lshl_or_b32 v12, v3, 12, v0
	v_cndmask_b32_e64 v8, 0, 1, vcc_lo
	v_or_b32_e32 v8, v14, v8
	v_sub_nc_u32_e32 v1, 0x3f1, v10
	v_add_nc_u32_e32 v10, 0xfffffc10, v10
	s_delay_alu instid0(VALU_DEP_2) | instskip(NEXT) | instid1(VALU_DEP_1)
	v_med3_i32 v1, v1, 0, 13
	v_lshrrev_b32_e32 v15, v1, v13
	s_delay_alu instid0(VALU_DEP_1) | instskip(NEXT) | instid1(VALU_DEP_1)
	v_lshlrev_b32_e32 v1, v1, v15
	v_cmp_ne_u32_e32 vcc_lo, v1, v13
	v_lshl_or_b32 v13, v10, 12, v5
	v_cndmask_b32_e64 v1, 0, 1, vcc_lo
	v_cmp_gt_i32_e32 vcc_lo, 1, v3
	s_delay_alu instid0(VALU_DEP_2) | instskip(SKIP_1) | instid1(VALU_DEP_2)
	v_dual_cndmask_b32 v8, v12, v8, vcc_lo :: v_dual_bitop2_b32 v1, v15, v1 bitop3:0x54
	v_cmp_gt_i32_e32 vcc_lo, 1, v10
	v_dual_lshrrev_b32 v8, 2, v8 :: v_dual_bitop2_b32 v12, 7, v8 bitop3:0x40
	s_delay_alu instid0(VALU_DEP_3) | instskip(NEXT) | instid1(VALU_DEP_2)
	v_cndmask_b32_e32 v1, v13, v1, vcc_lo
	v_cmp_lt_i32_e32 vcc_lo, 5, v12
	v_cndmask_b32_e64 v14, 0, 1, vcc_lo
	v_cmp_eq_u32_e32 vcc_lo, 3, v12
	v_cndmask_b32_e64 v12, 0, 1, vcc_lo
	s_delay_alu instid0(VALU_DEP_1) | instskip(SKIP_1) | instid1(VALU_DEP_2)
	v_or_b32_e32 v12, v12, v14
	v_dual_lshrrev_b32 v1, 2, v1 :: v_dual_bitop2_b32 v13, 7, v1 bitop3:0x40
	v_add_nc_u32_e32 v8, v8, v12
	s_delay_alu instid0(VALU_DEP_2) | instskip(SKIP_4) | instid1(VALU_DEP_2)
	v_cmp_lt_i32_e32 vcc_lo, 5, v13
	v_cndmask_b32_e64 v15, 0, 1, vcc_lo
	v_cmp_eq_u32_e32 vcc_lo, 3, v13
	v_cndmask_b32_e64 v13, 0, 1, vcc_lo
	v_cmp_ne_u32_e32 vcc_lo, 0, v0
	v_or_b32_e32 v13, v13, v15
	s_delay_alu instid0(VALU_DEP_1) | instskip(NEXT) | instid1(VALU_DEP_1)
	v_dual_mov_b32 v16, 0x7e00 :: v_dual_add_nc_u32 v1, v1, v13
	v_cndmask_b32_e32 v0, 0x7c00, v16, vcc_lo
	v_cmp_ne_u32_e32 vcc_lo, 0, v5
	v_cndmask_b32_e32 v5, 0x7c00, v16, vcc_lo
	v_cmp_gt_i32_e32 vcc_lo, 31, v3
	v_cndmask_b32_e32 v8, 0x7c00, v8, vcc_lo
	v_cmp_gt_i32_e32 vcc_lo, 31, v10
	v_cndmask_b32_e32 v1, 0x7c00, v1, vcc_lo
	v_cmp_eq_u32_e32 vcc_lo, 0x40f, v3
	s_delay_alu instid0(VALU_DEP_4) | instskip(SKIP_1) | instid1(VALU_DEP_2)
	v_cndmask_b32_e32 v0, v8, v0, vcc_lo
	v_cmp_eq_u32_e32 vcc_lo, 0x40f, v10
	v_and_or_b32 v3, 0x8000, v9, v0
	v_cndmask_b32_e32 v1, v1, v5, vcc_lo
	s_delay_alu instid0(VALU_DEP_1)
	v_and_or_b32 v8, 0x8000, v11, v1
	s_branch .LBB151_1354
.LBB151_1350:
                                        ; implicit-def: $vgpr8
                                        ; implicit-def: $vgpr3
	s_branch .LBB151_1372
.LBB151_1351:
                                        ; implicit-def: $vgpr8
                                        ; implicit-def: $vgpr3
	s_branch .LBB151_1360
.LBB151_1352:
	s_mov_b32 s7, -1
                                        ; implicit-def: $vgpr8
                                        ; implicit-def: $vgpr3
	s_branch .LBB151_1357
.LBB151_1353:
	s_mov_b32 s7, -1
                                        ; implicit-def: $vgpr8
                                        ; implicit-def: $vgpr3
.LBB151_1354:
	s_delay_alu instid0(SALU_CYCLE_1)
	s_and_not1_b32 vcc_lo, exec_lo, s7
	s_cbranch_vccnz .LBB151_1356
; %bb.1355:
	s_wait_loadcnt 0x0
	global_load_b64 v[0:1], v[6:7], off
	s_wait_loadcnt 0x0
	v_cvt_f16_f32_e32 v3, v0
	v_cvt_f16_f32_e32 v8, v1
.LBB151_1356:
	s_mov_b32 s7, 0
.LBB151_1357:
	s_delay_alu instid0(SALU_CYCLE_1)
	s_and_not1_b32 vcc_lo, exec_lo, s7
	s_cbranch_vccnz .LBB151_1359
; %bb.1358:
	s_wait_loadcnt 0x0
	global_load_b32 v3, v[6:7], off
	s_wait_loadcnt 0x0
	v_lshrrev_b32_e32 v8, 16, v3
.LBB151_1359:
	s_cbranch_execnz .LBB151_1371
.LBB151_1360:
	s_sext_i32_i16 s7, s0
	s_delay_alu instid0(SALU_CYCLE_1)
	s_cmp_lt_i32 s7, 6
	s_cbranch_scc1 .LBB151_1363
; %bb.1361:
	s_cmp_gt_i32 s7, 6
	s_cbranch_scc0 .LBB151_1364
; %bb.1362:
	s_wait_loadcnt 0x0
	global_load_b64 v[0:1], v[6:7], off
	s_mov_b32 s7, 0
	s_wait_loadcnt 0x0
	v_and_or_b32 v0, 0x1ff, v1, v0
	v_lshrrev_b32_e32 v3, 8, v1
	v_bfe_u32 v5, v1, 20, 11
	v_lshrrev_b32_e32 v1, 16, v1
	s_delay_alu instid0(VALU_DEP_4) | instskip(NEXT) | instid1(VALU_DEP_3)
	v_cmp_ne_u32_e32 vcc_lo, 0, v0
	v_sub_nc_u32_e32 v8, 0x3f1, v5
	v_add_nc_u32_e32 v5, 0xfffffc10, v5
	v_cndmask_b32_e64 v0, 0, 1, vcc_lo
	s_delay_alu instid0(VALU_DEP_1) | instskip(NEXT) | instid1(VALU_DEP_4)
	v_and_or_b32 v0, 0xffe, v3, v0
	v_med3_i32 v3, v8, 0, 13
	s_delay_alu instid0(VALU_DEP_2) | instskip(NEXT) | instid1(VALU_DEP_1)
	v_or_b32_e32 v8, 0x1000, v0
	v_lshrrev_b32_e32 v9, v3, v8
	s_delay_alu instid0(VALU_DEP_1) | instskip(NEXT) | instid1(VALU_DEP_1)
	v_lshlrev_b32_e32 v3, v3, v9
	v_cmp_ne_u32_e32 vcc_lo, v3, v8
	v_lshl_or_b32 v8, v5, 12, v0
	v_cndmask_b32_e64 v3, 0, 1, vcc_lo
	v_cmp_gt_i32_e32 vcc_lo, 1, v5
	s_delay_alu instid0(VALU_DEP_2) | instskip(NEXT) | instid1(VALU_DEP_1)
	v_or_b32_e32 v3, v9, v3
	v_cndmask_b32_e32 v3, v8, v3, vcc_lo
	s_delay_alu instid0(VALU_DEP_1) | instskip(NEXT) | instid1(VALU_DEP_1)
	v_dual_lshrrev_b32 v3, 2, v3 :: v_dual_bitop2_b32 v8, 7, v3 bitop3:0x40
	v_cmp_lt_i32_e32 vcc_lo, 5, v8
	v_cndmask_b32_e64 v9, 0, 1, vcc_lo
	v_cmp_eq_u32_e32 vcc_lo, 3, v8
	v_cndmask_b32_e64 v8, 0, 1, vcc_lo
	v_cmp_ne_u32_e32 vcc_lo, 0, v0
	s_delay_alu instid0(VALU_DEP_2) | instskip(SKIP_1) | instid1(VALU_DEP_1)
	v_or_b32_e32 v8, v8, v9
	v_mov_b32_e32 v9, 0x7e00
	v_dual_cndmask_b32 v0, 0x7c00, v9 :: v_dual_add_nc_u32 v3, v3, v8
	v_cmp_gt_i32_e32 vcc_lo, 31, v5
	s_delay_alu instid0(VALU_DEP_2) | instskip(SKIP_1) | instid1(VALU_DEP_2)
	v_cndmask_b32_e32 v3, 0x7c00, v3, vcc_lo
	v_cmp_eq_u32_e32 vcc_lo, 0x40f, v5
	v_cndmask_b32_e32 v0, v3, v0, vcc_lo
	s_delay_alu instid0(VALU_DEP_1)
	v_and_or_b32 v3, 0x8000, v1, v0
	s_branch .LBB151_1365
.LBB151_1363:
	s_mov_b32 s7, -1
                                        ; implicit-def: $vgpr3
	s_branch .LBB151_1368
.LBB151_1364:
	s_mov_b32 s7, -1
                                        ; implicit-def: $vgpr3
.LBB151_1365:
	s_delay_alu instid0(SALU_CYCLE_1)
	s_and_not1_b32 vcc_lo, exec_lo, s7
	s_cbranch_vccnz .LBB151_1367
; %bb.1366:
	s_wait_loadcnt 0x0
	global_load_b32 v0, v[6:7], off
	s_wait_loadcnt 0x0
	v_cvt_f16_f32_e32 v3, v0
.LBB151_1367:
	s_mov_b32 s7, 0
.LBB151_1368:
	s_delay_alu instid0(SALU_CYCLE_1)
	s_and_not1_b32 vcc_lo, exec_lo, s7
	s_cbranch_vccnz .LBB151_1370
; %bb.1369:
	s_wait_loadcnt 0x0
	global_load_u16 v3, v[6:7], off
.LBB151_1370:
	v_mov_b32_e32 v8, 0
.LBB151_1371:
	s_cbranch_execnz .LBB151_1391
.LBB151_1372:
	s_sext_i32_i16 s7, s0
	s_delay_alu instid0(SALU_CYCLE_1)
	s_cmp_lt_i32 s7, 2
	s_cbranch_scc1 .LBB151_1376
; %bb.1373:
	s_cmp_lt_i32 s7, 3
	s_cbranch_scc1 .LBB151_1377
; %bb.1374:
	s_cmp_gt_i32 s7, 3
	s_cbranch_scc0 .LBB151_1378
; %bb.1375:
	s_wait_loadcnt 0x0
	global_load_b64 v[0:1], v[6:7], off
	s_mov_b32 s7, 0
	s_wait_loadcnt 0x0
	v_xor_b32_e32 v3, v0, v1
	v_cls_i32_e32 v5, v1
	s_delay_alu instid0(VALU_DEP_2) | instskip(NEXT) | instid1(VALU_DEP_1)
	v_ashrrev_i32_e32 v3, 31, v3
	v_add_nc_u32_e32 v3, 32, v3
	s_delay_alu instid0(VALU_DEP_1) | instskip(NEXT) | instid1(VALU_DEP_1)
	v_add_min_u32_e64 v3, v5, -1, v3
	v_lshlrev_b64_e32 v[0:1], v3, v[0:1]
	s_delay_alu instid0(VALU_DEP_1) | instskip(NEXT) | instid1(VALU_DEP_1)
	v_min_u32_e32 v0, 1, v0
	v_dual_sub_nc_u32 v1, 32, v3 :: v_dual_bitop2_b32 v0, v1, v0 bitop3:0x54
	s_delay_alu instid0(VALU_DEP_1) | instskip(NEXT) | instid1(VALU_DEP_1)
	v_cvt_f32_i32_e32 v0, v0
	v_ldexp_f32 v0, v0, v1
	s_delay_alu instid0(VALU_DEP_1)
	v_cvt_f16_f32_e32 v3, v0
	s_branch .LBB151_1379
.LBB151_1376:
                                        ; implicit-def: $vgpr3
	s_branch .LBB151_1385
.LBB151_1377:
	s_mov_b32 s7, -1
                                        ; implicit-def: $vgpr3
	s_branch .LBB151_1382
.LBB151_1378:
	s_mov_b32 s7, -1
                                        ; implicit-def: $vgpr3
.LBB151_1379:
	s_delay_alu instid0(SALU_CYCLE_1)
	s_and_not1_b32 vcc_lo, exec_lo, s7
	s_cbranch_vccnz .LBB151_1381
; %bb.1380:
	s_wait_loadcnt 0x0
	global_load_b32 v0, v[6:7], off
	s_wait_loadcnt 0x0
	v_cvt_f32_i32_e32 v0, v0
	s_delay_alu instid0(VALU_DEP_1)
	v_cvt_f16_f32_e32 v3, v0
.LBB151_1381:
	s_mov_b32 s7, 0
.LBB151_1382:
	s_delay_alu instid0(SALU_CYCLE_1)
	s_and_not1_b32 vcc_lo, exec_lo, s7
	s_cbranch_vccnz .LBB151_1384
; %bb.1383:
	s_wait_loadcnt 0x0
	global_load_u16 v0, v[6:7], off
	s_wait_loadcnt 0x0
	v_cvt_f16_i16_e32 v3, v0
.LBB151_1384:
	s_cbranch_execnz .LBB151_1390
.LBB151_1385:
	s_sext_i32_i16 s0, s0
	s_delay_alu instid0(SALU_CYCLE_1)
	s_cmp_gt_i32 s0, 0
	s_mov_b32 s0, 0
	s_cbranch_scc0 .LBB151_1387
; %bb.1386:
	s_wait_loadcnt 0x0
	global_load_i8 v0, v[6:7], off
	s_wait_loadcnt 0x0
	v_cvt_f16_i16_e32 v3, v0
	s_branch .LBB151_1388
.LBB151_1387:
	s_mov_b32 s0, -1
                                        ; implicit-def: $vgpr3
.LBB151_1388:
	s_delay_alu instid0(SALU_CYCLE_1)
	s_and_not1_b32 vcc_lo, exec_lo, s0
	s_cbranch_vccnz .LBB151_1390
; %bb.1389:
	s_wait_loadcnt 0x0
	global_load_u8 v0, v[6:7], off
	s_wait_loadcnt 0x0
	v_cvt_f16_u16_e32 v3, v0
.LBB151_1390:
	v_mov_b32_e32 v8, 0
.LBB151_1391:
	s_or_b32 s26, s26, exec_lo
.LBB151_1392:
	s_wait_xcnt 0x0
	s_or_b32 exec_lo, exec_lo, s6
	s_mov_b32 s14, 0
	s_mov_b32 s7, 0
	;; [unrolled: 1-line block ×3, first 2 shown]
                                        ; implicit-def: $sgpr0
                                        ; implicit-def: $vgpr0_vgpr1
                                        ; implicit-def: $vgpr6
                                        ; implicit-def: $vgpr5
	s_and_saveexec_b32 s6, s26
	s_cbranch_execz .LBB151_1400
; %bb.1393:
	v_mov_b32_e32 v5, 0
	s_and_b32 s0, s13, 0xff
	s_delay_alu instid0(SALU_CYCLE_1) | instskip(SKIP_1) | instid1(VALU_DEP_1)
	s_cmp_lt_i32 s0, 11
	s_wait_loadcnt 0x0
	v_add_nc_u64_e32 v[0:1], s[8:9], v[4:5]
	s_cbranch_scc1 .LBB151_1403
; %bb.1394:
	s_and_b32 s7, 0xffff, s0
	s_mov_b32 s9, 0
	s_cmp_gt_i32 s7, 25
	s_cbranch_scc0 .LBB151_1404
; %bb.1395:
	s_cmp_gt_i32 s7, 28
	s_cbranch_scc0 .LBB151_1405
; %bb.1396:
	;; [unrolled: 3-line block ×4, first 2 shown]
	s_cmp_eq_u32 s7, 46
	s_mov_b32 s13, 0
	s_cbranch_scc0 .LBB151_1408
; %bb.1399:
	global_load_b32 v4, v[0:1], off
	s_mov_b32 s8, 0
	s_mov_b32 s12, -1
	s_wait_loadcnt 0x0
	v_lshlrev_b32_e32 v5, 16, v4
	v_and_b32_e32 v4, 0xffff0000, v4
	s_delay_alu instid0(VALU_DEP_2) | instskip(NEXT) | instid1(VALU_DEP_2)
	v_cvt_f16_f32_e32 v5, v5
	v_cvt_f16_f32_e32 v6, v4
	s_branch .LBB151_1410
.LBB151_1400:
	s_or_b32 exec_lo, exec_lo, s6
	s_and_saveexec_b32 s6, s40
	s_cbranch_execnz .LBB151_1476
.LBB151_1401:
	s_or_b32 exec_lo, exec_lo, s6
	s_and_saveexec_b32 s6, s14
	s_delay_alu instid0(SALU_CYCLE_1)
	s_xor_b32 s6, exec_lo, s6
	s_cbranch_execz .LBB151_1477
.LBB151_1402:
	s_wait_loadcnt 0x0
	global_load_u8 v4, v[0:1], off
	v_mov_b32_e32 v6, 0
	s_or_b32 s12, s12, exec_lo
	s_wait_loadcnt 0x0
	v_cmp_ne_u16_e32 vcc_lo, 0, v4
	v_cndmask_b32_e64 v5, 0, 0x3c00, vcc_lo
	s_wait_xcnt 0x0
	s_or_b32 exec_lo, exec_lo, s6
	s_and_saveexec_b32 s6, s7
	s_cbranch_execz .LBB151_1525
	s_branch .LBB151_1478
.LBB151_1403:
	s_mov_b32 s7, -1
	s_mov_b32 s9, 0
	s_mov_b32 s8, s40
                                        ; implicit-def: $vgpr6
                                        ; implicit-def: $vgpr5
	s_branch .LBB151_1475
.LBB151_1404:
	s_mov_b32 s8, s40
                                        ; implicit-def: $vgpr6
                                        ; implicit-def: $vgpr5
	s_cbranch_execnz .LBB151_1441
	s_branch .LBB151_1474
.LBB151_1405:
	s_mov_b32 s13, -1
	s_mov_b32 s8, s40
                                        ; implicit-def: $vgpr6
                                        ; implicit-def: $vgpr5
	s_branch .LBB151_1422
.LBB151_1406:
	s_mov_b32 s13, -1
	s_mov_b32 s8, s40
                                        ; implicit-def: $vgpr6
                                        ; implicit-def: $vgpr5
	s_branch .LBB151_1416
.LBB151_1407:
	s_mov_b32 s13, -1
	s_mov_b32 s8, s40
	s_branch .LBB151_1409
.LBB151_1408:
	s_mov_b32 s8, -1
.LBB151_1409:
                                        ; implicit-def: $vgpr6
                                        ; implicit-def: $vgpr5
.LBB151_1410:
	s_and_b32 vcc_lo, exec_lo, s13
	s_cbranch_vccz .LBB151_1415
; %bb.1411:
	s_cmp_eq_u32 s7, 44
	s_cbranch_scc0 .LBB151_1413
; %bb.1412:
	global_load_u8 v4, v[0:1], off
	s_mov_b32 s8, 0
	s_mov_b32 s12, -1
	s_wait_loadcnt 0x0
	v_lshlrev_b32_e32 v5, 23, v4
	v_cmp_ne_u32_e32 vcc_lo, 0xff, v4
	s_delay_alu instid0(VALU_DEP_2) | instskip(NEXT) | instid1(VALU_DEP_1)
	v_cvt_f16_f32_e32 v5, v5
	v_cndmask_b32_e32 v5, 0x7e00, v5, vcc_lo
	v_cmp_ne_u32_e32 vcc_lo, 0, v4
	s_delay_alu instid0(VALU_DEP_2)
	v_cndmask_b32_e32 v5, 0, v5, vcc_lo
	s_branch .LBB151_1414
.LBB151_1413:
	s_mov_b32 s8, -1
                                        ; implicit-def: $vgpr5
.LBB151_1414:
	v_mov_b32_e32 v6, 0
.LBB151_1415:
	s_mov_b32 s13, 0
.LBB151_1416:
	s_delay_alu instid0(SALU_CYCLE_1)
	s_and_b32 vcc_lo, exec_lo, s13
	s_cbranch_vccz .LBB151_1421
; %bb.1417:
	s_cmp_eq_u32 s7, 29
	s_cbranch_scc0 .LBB151_1419
; %bb.1418:
	global_load_b64 v[4:5], v[0:1], off
	s_mov_b32 s8, 0
	s_mov_b32 s12, -1
	s_wait_loadcnt 0x0
	v_clz_i32_u32_e32 v6, v5
	s_delay_alu instid0(VALU_DEP_1) | instskip(NEXT) | instid1(VALU_DEP_1)
	v_min_u32_e32 v6, 32, v6
	v_lshlrev_b64_e32 v[4:5], v6, v[4:5]
	s_delay_alu instid0(VALU_DEP_1) | instskip(NEXT) | instid1(VALU_DEP_1)
	v_min_u32_e32 v4, 1, v4
	v_dual_sub_nc_u32 v5, 32, v6 :: v_dual_bitop2_b32 v4, v5, v4 bitop3:0x54
	s_delay_alu instid0(VALU_DEP_1) | instskip(NEXT) | instid1(VALU_DEP_1)
	v_cvt_f32_u32_e32 v4, v4
	v_ldexp_f32 v4, v4, v5
	s_delay_alu instid0(VALU_DEP_1)
	v_cvt_f16_f32_e32 v5, v4
	s_branch .LBB151_1420
.LBB151_1419:
	s_mov_b32 s8, -1
                                        ; implicit-def: $vgpr5
.LBB151_1420:
	v_mov_b32_e32 v6, 0
.LBB151_1421:
	s_mov_b32 s13, 0
.LBB151_1422:
	s_delay_alu instid0(SALU_CYCLE_1)
	s_and_b32 vcc_lo, exec_lo, s13
	s_cbranch_vccz .LBB151_1440
; %bb.1423:
	s_cmp_lt_i32 s7, 27
	s_cbranch_scc1 .LBB151_1426
; %bb.1424:
	s_cmp_gt_i32 s7, 27
	s_cbranch_scc0 .LBB151_1427
; %bb.1425:
	global_load_b32 v4, v[0:1], off
	s_mov_b32 s12, 0
	s_wait_loadcnt 0x0
	v_cvt_f32_u32_e32 v4, v4
	s_delay_alu instid0(VALU_DEP_1)
	v_cvt_f16_f32_e32 v5, v4
	s_branch .LBB151_1428
.LBB151_1426:
	s_mov_b32 s12, -1
                                        ; implicit-def: $vgpr5
	s_branch .LBB151_1431
.LBB151_1427:
	s_mov_b32 s12, -1
                                        ; implicit-def: $vgpr5
.LBB151_1428:
	s_delay_alu instid0(SALU_CYCLE_1)
	s_and_not1_b32 vcc_lo, exec_lo, s12
	s_cbranch_vccnz .LBB151_1430
; %bb.1429:
	global_load_u16 v4, v[0:1], off
	s_wait_loadcnt 0x0
	v_cvt_f16_u16_e32 v5, v4
.LBB151_1430:
	s_mov_b32 s12, 0
.LBB151_1431:
	s_delay_alu instid0(SALU_CYCLE_1)
	s_and_not1_b32 vcc_lo, exec_lo, s12
	s_cbranch_vccnz .LBB151_1439
; %bb.1432:
	global_load_u8 v4, v[0:1], off
	s_mov_b32 s12, 0
	s_mov_b32 s13, exec_lo
	s_wait_loadcnt 0x0
	v_cmpx_lt_i16_e32 0x7f, v4
	s_xor_b32 s13, exec_lo, s13
	s_cbranch_execz .LBB151_1452
; %bb.1433:
	s_mov_b32 s12, -1
	s_mov_b32 s14, exec_lo
	v_cmpx_eq_u16_e32 0x80, v4
; %bb.1434:
	s_xor_b32 s12, exec_lo, -1
; %bb.1435:
	s_or_b32 exec_lo, exec_lo, s14
	s_delay_alu instid0(SALU_CYCLE_1)
	s_and_b32 s12, s12, exec_lo
	s_or_saveexec_b32 s13, s13
	v_mov_b32_e32 v5, 0x7e00
	s_xor_b32 exec_lo, exec_lo, s13
	s_cbranch_execnz .LBB151_1453
.LBB151_1436:
	s_or_b32 exec_lo, exec_lo, s13
	s_and_saveexec_b32 s13, s12
	s_cbranch_execz .LBB151_1438
.LBB151_1437:
	v_and_b32_e32 v5, 0xffff, v4
	s_delay_alu instid0(VALU_DEP_1) | instskip(SKIP_1) | instid1(VALU_DEP_2)
	v_and_b32_e32 v6, 7, v5
	v_bfe_u32 v10, v5, 3, 4
	v_clz_i32_u32_e32 v7, v6
	s_delay_alu instid0(VALU_DEP_2) | instskip(NEXT) | instid1(VALU_DEP_2)
	v_cmp_eq_u32_e32 vcc_lo, 0, v10
	v_min_u32_e32 v7, 32, v7
	s_delay_alu instid0(VALU_DEP_1) | instskip(NEXT) | instid1(VALU_DEP_1)
	v_subrev_nc_u32_e32 v9, 28, v7
	v_dual_lshlrev_b32 v5, v9, v5 :: v_dual_sub_nc_u32 v7, 29, v7
	s_delay_alu instid0(VALU_DEP_1) | instskip(NEXT) | instid1(VALU_DEP_2)
	v_dual_lshlrev_b32 v4, 24, v4 :: v_dual_bitop2_b32 v5, 7, v5 bitop3:0x40
	v_cndmask_b32_e32 v7, v10, v7, vcc_lo
	s_delay_alu instid0(VALU_DEP_2) | instskip(NEXT) | instid1(VALU_DEP_3)
	v_cndmask_b32_e32 v5, v6, v5, vcc_lo
	v_and_b32_e32 v4, 0x80000000, v4
	s_delay_alu instid0(VALU_DEP_3) | instskip(NEXT) | instid1(VALU_DEP_3)
	v_lshl_add_u32 v6, v7, 23, 0x3b800000
	v_lshlrev_b32_e32 v5, 20, v5
	s_delay_alu instid0(VALU_DEP_1) | instskip(NEXT) | instid1(VALU_DEP_1)
	v_or3_b32 v4, v4, v6, v5
	v_cvt_f16_f32_e32 v5, v4
.LBB151_1438:
	s_or_b32 exec_lo, exec_lo, s13
.LBB151_1439:
	v_mov_b32_e32 v6, 0
	s_mov_b32 s12, -1
.LBB151_1440:
	s_branch .LBB151_1474
.LBB151_1441:
	s_cmp_gt_i32 s7, 22
	s_cbranch_scc0 .LBB151_1451
; %bb.1442:
	s_cmp_lt_i32 s7, 24
	s_cbranch_scc1 .LBB151_1454
; %bb.1443:
	s_cmp_gt_i32 s7, 24
	s_cbranch_scc0 .LBB151_1455
; %bb.1444:
	global_load_u8 v4, v[0:1], off
	s_mov_b32 s12, exec_lo
	s_wait_loadcnt 0x0
	v_cmpx_lt_i16_e32 0x7f, v4
	s_xor_b32 s12, exec_lo, s12
	s_cbranch_execz .LBB151_1467
; %bb.1445:
	s_mov_b32 s9, -1
	s_mov_b32 s13, exec_lo
	v_cmpx_eq_u16_e32 0x80, v4
; %bb.1446:
	s_xor_b32 s9, exec_lo, -1
; %bb.1447:
	s_or_b32 exec_lo, exec_lo, s13
	s_delay_alu instid0(SALU_CYCLE_1)
	s_and_b32 s9, s9, exec_lo
	s_or_saveexec_b32 s12, s12
	v_mov_b32_e32 v5, 0x7e00
	s_xor_b32 exec_lo, exec_lo, s12
	s_cbranch_execnz .LBB151_1468
.LBB151_1448:
	s_or_b32 exec_lo, exec_lo, s12
	s_and_saveexec_b32 s12, s9
	s_cbranch_execz .LBB151_1450
.LBB151_1449:
	v_and_b32_e32 v5, 0xffff, v4
	s_delay_alu instid0(VALU_DEP_1) | instskip(SKIP_1) | instid1(VALU_DEP_2)
	v_and_b32_e32 v6, 3, v5
	v_bfe_u32 v10, v5, 2, 5
	v_clz_i32_u32_e32 v7, v6
	s_delay_alu instid0(VALU_DEP_2) | instskip(NEXT) | instid1(VALU_DEP_2)
	v_cmp_eq_u32_e32 vcc_lo, 0, v10
	v_min_u32_e32 v7, 32, v7
	s_delay_alu instid0(VALU_DEP_1) | instskip(NEXT) | instid1(VALU_DEP_1)
	v_subrev_nc_u32_e32 v9, 29, v7
	v_dual_lshlrev_b32 v5, v9, v5 :: v_dual_sub_nc_u32 v7, 30, v7
	s_delay_alu instid0(VALU_DEP_1) | instskip(NEXT) | instid1(VALU_DEP_2)
	v_dual_lshlrev_b32 v4, 24, v4 :: v_dual_bitop2_b32 v5, 3, v5 bitop3:0x40
	v_cndmask_b32_e32 v7, v10, v7, vcc_lo
	s_delay_alu instid0(VALU_DEP_2) | instskip(NEXT) | instid1(VALU_DEP_3)
	v_cndmask_b32_e32 v5, v6, v5, vcc_lo
	v_and_b32_e32 v4, 0x80000000, v4
	s_delay_alu instid0(VALU_DEP_3) | instskip(NEXT) | instid1(VALU_DEP_3)
	v_lshl_add_u32 v6, v7, 23, 0x37800000
	v_lshlrev_b32_e32 v5, 21, v5
	s_delay_alu instid0(VALU_DEP_1) | instskip(NEXT) | instid1(VALU_DEP_1)
	v_or3_b32 v4, v4, v6, v5
	v_cvt_f16_f32_e32 v5, v4
.LBB151_1450:
	s_or_b32 exec_lo, exec_lo, s12
	s_mov_b32 s9, 0
	s_branch .LBB151_1456
.LBB151_1451:
	s_mov_b32 s9, -1
                                        ; implicit-def: $vgpr5
	s_branch .LBB151_1462
.LBB151_1452:
	s_or_saveexec_b32 s13, s13
	v_mov_b32_e32 v5, 0x7e00
	s_xor_b32 exec_lo, exec_lo, s13
	s_cbranch_execz .LBB151_1436
.LBB151_1453:
	v_cmp_ne_u16_e32 vcc_lo, 0, v4
	v_mov_b32_e32 v5, v4
	s_and_not1_b32 s12, s12, exec_lo
	s_and_b32 s14, vcc_lo, exec_lo
	s_delay_alu instid0(SALU_CYCLE_1)
	s_or_b32 s12, s12, s14
	s_or_b32 exec_lo, exec_lo, s13
	s_and_saveexec_b32 s13, s12
	s_cbranch_execnz .LBB151_1437
	s_branch .LBB151_1438
.LBB151_1454:
	s_mov_b32 s9, -1
                                        ; implicit-def: $vgpr5
	s_branch .LBB151_1459
.LBB151_1455:
	s_mov_b32 s9, -1
                                        ; implicit-def: $vgpr5
.LBB151_1456:
	s_delay_alu instid0(SALU_CYCLE_1)
	s_and_b32 vcc_lo, exec_lo, s9
	s_cbranch_vccz .LBB151_1458
; %bb.1457:
	global_load_u8 v4, v[0:1], off
	s_wait_loadcnt 0x0
	v_lshlrev_b32_e32 v4, 24, v4
	s_delay_alu instid0(VALU_DEP_1) | instskip(NEXT) | instid1(VALU_DEP_1)
	v_and_b32_e32 v5, 0x7f000000, v4
	v_clz_i32_u32_e32 v6, v5
	v_add_nc_u32_e32 v9, 0x1000000, v5
	v_cmp_ne_u32_e32 vcc_lo, 0, v5
	s_delay_alu instid0(VALU_DEP_3) | instskip(NEXT) | instid1(VALU_DEP_1)
	v_min_u32_e32 v6, 32, v6
	v_sub_nc_u32_e64 v6, v6, 4 clamp
	s_delay_alu instid0(VALU_DEP_1) | instskip(NEXT) | instid1(VALU_DEP_1)
	v_dual_lshlrev_b32 v7, v6, v5 :: v_dual_lshlrev_b32 v6, 23, v6
	v_lshrrev_b32_e32 v7, 4, v7
	s_delay_alu instid0(VALU_DEP_1) | instskip(NEXT) | instid1(VALU_DEP_1)
	v_dual_sub_nc_u32 v6, v7, v6 :: v_dual_ashrrev_i32 v7, 8, v9
	v_add_nc_u32_e32 v6, 0x3c000000, v6
	s_delay_alu instid0(VALU_DEP_1) | instskip(NEXT) | instid1(VALU_DEP_1)
	v_and_or_b32 v6, 0x7f800000, v7, v6
	v_cndmask_b32_e32 v5, 0, v6, vcc_lo
	s_delay_alu instid0(VALU_DEP_1) | instskip(NEXT) | instid1(VALU_DEP_1)
	v_and_or_b32 v4, 0x80000000, v4, v5
	v_cvt_f16_f32_e32 v5, v4
.LBB151_1458:
	s_mov_b32 s9, 0
.LBB151_1459:
	s_delay_alu instid0(SALU_CYCLE_1)
	s_and_not1_b32 vcc_lo, exec_lo, s9
	s_cbranch_vccnz .LBB151_1461
; %bb.1460:
	global_load_u8 v4, v[0:1], off
	s_wait_loadcnt 0x0
	v_lshlrev_b32_e32 v5, 25, v4
	v_lshlrev_b16 v4, 8, v4
	s_delay_alu instid0(VALU_DEP_1) | instskip(SKIP_1) | instid1(VALU_DEP_2)
	v_and_or_b32 v7, 0x7f00, v4, 0.5
	v_bfe_i32 v4, v4, 0, 16
	v_dual_add_f32 v7, -0.5, v7 :: v_dual_lshrrev_b32 v6, 4, v5
	v_cmp_gt_u32_e32 vcc_lo, 0x8000000, v5
	s_delay_alu instid0(VALU_DEP_2) | instskip(NEXT) | instid1(VALU_DEP_1)
	v_or_b32_e32 v6, 0x70000000, v6
	v_mul_f32_e32 v6, 0x7800000, v6
	s_delay_alu instid0(VALU_DEP_1) | instskip(NEXT) | instid1(VALU_DEP_1)
	v_cndmask_b32_e32 v5, v6, v7, vcc_lo
	v_and_or_b32 v4, 0x80000000, v4, v5
	s_delay_alu instid0(VALU_DEP_1)
	v_cvt_f16_f32_e32 v5, v4
.LBB151_1461:
	s_mov_b32 s9, 0
	s_mov_b32 s12, -1
.LBB151_1462:
	s_and_not1_b32 vcc_lo, exec_lo, s9
	s_mov_b32 s9, 0
	s_cbranch_vccnz .LBB151_1473
; %bb.1463:
	s_cmp_gt_i32 s7, 14
	s_cbranch_scc0 .LBB151_1466
; %bb.1464:
	s_cmp_eq_u32 s7, 15
	s_cbranch_scc0 .LBB151_1469
; %bb.1465:
	global_load_u16 v4, v[0:1], off
	s_mov_b32 s8, 0
	s_mov_b32 s12, -1
	s_wait_loadcnt 0x0
	v_lshlrev_b32_e32 v4, 16, v4
	s_delay_alu instid0(VALU_DEP_1)
	v_cvt_f16_f32_e32 v5, v4
	s_branch .LBB151_1471
.LBB151_1466:
	s_mov_b32 s9, -1
	s_branch .LBB151_1470
.LBB151_1467:
	s_or_saveexec_b32 s12, s12
	v_mov_b32_e32 v5, 0x7e00
	s_xor_b32 exec_lo, exec_lo, s12
	s_cbranch_execz .LBB151_1448
.LBB151_1468:
	v_cmp_ne_u16_e32 vcc_lo, 0, v4
	v_mov_b32_e32 v5, v4
	s_and_not1_b32 s9, s9, exec_lo
	s_and_b32 s13, vcc_lo, exec_lo
	s_delay_alu instid0(SALU_CYCLE_1)
	s_or_b32 s9, s9, s13
	s_or_b32 exec_lo, exec_lo, s12
	s_and_saveexec_b32 s12, s9
	s_cbranch_execnz .LBB151_1449
	s_branch .LBB151_1450
.LBB151_1469:
	s_mov_b32 s8, -1
.LBB151_1470:
                                        ; implicit-def: $vgpr5
.LBB151_1471:
	s_and_b32 vcc_lo, exec_lo, s9
	s_mov_b32 s9, 0
	s_cbranch_vccz .LBB151_1473
; %bb.1472:
	s_cmp_lg_u32 s7, 11
	s_mov_b32 s9, -1
	s_cselect_b32 s7, -1, 0
	s_and_not1_b32 s8, s8, exec_lo
	s_and_b32 s7, s7, exec_lo
	s_delay_alu instid0(SALU_CYCLE_1)
	s_or_b32 s8, s8, s7
.LBB151_1473:
	v_mov_b32_e32 v6, 0
.LBB151_1474:
	s_mov_b32 s7, 0
.LBB151_1475:
	s_and_not1_b32 s13, s40, exec_lo
	s_and_b32 s8, s8, exec_lo
	s_and_b32 s12, s12, exec_lo
	;; [unrolled: 1-line block ×4, first 2 shown]
	s_or_b32 s40, s13, s8
	s_wait_xcnt 0x0
	s_or_b32 exec_lo, exec_lo, s6
	s_and_saveexec_b32 s6, s40
	s_cbranch_execz .LBB151_1401
.LBB151_1476:
	s_or_b32 s1, s1, exec_lo
	s_and_not1_b32 s14, s14, exec_lo
	s_trap 2
	s_or_b32 exec_lo, exec_lo, s6
	s_and_saveexec_b32 s6, s14
	s_delay_alu instid0(SALU_CYCLE_1)
	s_xor_b32 s6, exec_lo, s6
	s_cbranch_execnz .LBB151_1402
.LBB151_1477:
	s_or_b32 exec_lo, exec_lo, s6
	s_and_saveexec_b32 s6, s7
	s_cbranch_execz .LBB151_1525
.LBB151_1478:
	s_sext_i32_i16 s7, s0
	s_delay_alu instid0(SALU_CYCLE_1)
	s_cmp_lt_i32 s7, 5
	s_cbranch_scc1 .LBB151_1483
; %bb.1479:
	s_cmp_lt_i32 s7, 8
	s_cbranch_scc1 .LBB151_1484
; %bb.1480:
	;; [unrolled: 3-line block ×3, first 2 shown]
	s_cmp_gt_i32 s7, 9
	s_cbranch_scc0 .LBB151_1486
; %bb.1482:
	s_wait_loadcnt 0x0
	global_load_b128 v[4:7], v[0:1], off
	v_mov_b32_e32 v17, 0x7e00
	s_mov_b32 s7, 0
	s_wait_loadcnt 0x0
	v_and_or_b32 v4, 0x1ff, v5, v4
	v_and_or_b32 v6, 0x1ff, v7, v6
	v_dual_lshrrev_b32 v9, 8, v5 :: v_dual_lshrrev_b32 v11, 8, v7
	v_bfe_u32 v10, v5, 20, 11
	s_delay_alu instid0(VALU_DEP_4) | instskip(SKIP_2) | instid1(VALU_DEP_4)
	v_cmp_ne_u32_e32 vcc_lo, 0, v4
	v_bfe_u32 v12, v7, 20, 11
	v_dual_lshrrev_b32 v5, 16, v5 :: v_dual_lshrrev_b32 v7, 16, v7
	v_sub_nc_u32_e32 v13, 0x3f1, v10
	v_cndmask_b32_e64 v4, 0, 1, vcc_lo
	v_cmp_ne_u32_e32 vcc_lo, 0, v6
	s_delay_alu instid0(VALU_DEP_2) | instskip(SKIP_2) | instid1(VALU_DEP_2)
	v_and_or_b32 v4, 0xffe, v9, v4
	v_cndmask_b32_e64 v6, 0, 1, vcc_lo
	v_sub_nc_u32_e32 v9, 0x3f1, v12
	v_and_or_b32 v6, 0xffe, v11, v6
	v_med3_i32 v11, v13, 0, 13
	v_or_b32_e32 v13, 0x1000, v4
	s_delay_alu instid0(VALU_DEP_4) | instskip(NEXT) | instid1(VALU_DEP_4)
	v_med3_i32 v9, v9, 0, 13
	v_or_b32_e32 v14, 0x1000, v6
	s_delay_alu instid0(VALU_DEP_1) | instskip(NEXT) | instid1(VALU_DEP_1)
	v_dual_lshrrev_b32 v15, v11, v13 :: v_dual_lshrrev_b32 v16, v9, v14
	v_dual_lshlrev_b32 v11, v11, v15 :: v_dual_lshlrev_b32 v9, v9, v16
	s_delay_alu instid0(VALU_DEP_1) | instskip(SKIP_1) | instid1(VALU_DEP_3)
	v_cmp_ne_u32_e32 vcc_lo, v11, v13
	v_cndmask_b32_e64 v11, 0, 1, vcc_lo
	v_cmp_ne_u32_e32 vcc_lo, v9, v14
	s_delay_alu instid0(VALU_DEP_2) | instskip(SKIP_2) | instid1(VALU_DEP_2)
	v_or_b32_e32 v11, v15, v11
	v_add_nc_u32_e32 v10, 0xfffffc10, v10
	v_cndmask_b32_e64 v9, 0, 1, vcc_lo
	v_lshl_or_b32 v13, v10, 12, v4
	v_cmp_gt_i32_e32 vcc_lo, 1, v10
	s_delay_alu instid0(VALU_DEP_2) | instskip(NEXT) | instid1(VALU_DEP_1)
	v_dual_cndmask_b32 v11, v13, v11, vcc_lo :: v_dual_bitop2_b32 v9, v16, v9 bitop3:0x54
	v_dual_lshrrev_b32 v11, 2, v11 :: v_dual_bitop2_b32 v13, 7, v11 bitop3:0x40
	v_add_nc_u32_e32 v12, 0xfffffc10, v12
	s_delay_alu instid0(VALU_DEP_1) | instskip(SKIP_1) | instid1(VALU_DEP_2)
	v_lshl_or_b32 v14, v12, 12, v6
	v_cmp_gt_i32_e32 vcc_lo, 1, v12
	v_cndmask_b32_e32 v9, v14, v9, vcc_lo
	v_cmp_lt_i32_e32 vcc_lo, 5, v13
	s_delay_alu instid0(VALU_DEP_2)
	v_and_b32_e32 v14, 7, v9
	v_cndmask_b32_e64 v15, 0, 1, vcc_lo
	v_cmp_eq_u32_e32 vcc_lo, 3, v13
	v_lshrrev_b32_e32 v9, 2, v9
	v_cndmask_b32_e64 v13, 0, 1, vcc_lo
	v_cmp_lt_i32_e32 vcc_lo, 5, v14
	s_delay_alu instid0(VALU_DEP_2) | instskip(SKIP_2) | instid1(VALU_DEP_3)
	v_or_b32_e32 v13, v13, v15
	v_cndmask_b32_e64 v16, 0, 1, vcc_lo
	v_cmp_eq_u32_e32 vcc_lo, 3, v14
	v_add_nc_u32_e32 v11, v11, v13
	v_cndmask_b32_e64 v14, 0, 1, vcc_lo
	v_cmp_ne_u32_e32 vcc_lo, 0, v4
	s_delay_alu instid0(VALU_DEP_2) | instskip(SKIP_2) | instid1(VALU_DEP_3)
	v_or_b32_e32 v14, v14, v16
	v_cndmask_b32_e32 v4, 0x7c00, v17, vcc_lo
	v_cmp_ne_u32_e32 vcc_lo, 0, v6
	v_dual_cndmask_b32 v6, 0x7c00, v17 :: v_dual_add_nc_u32 v9, v9, v14
	v_cmp_gt_i32_e32 vcc_lo, 31, v10
	v_cndmask_b32_e32 v11, 0x7c00, v11, vcc_lo
	v_cmp_gt_i32_e32 vcc_lo, 31, v12
	s_delay_alu instid0(VALU_DEP_4) | instskip(SKIP_1) | instid1(VALU_DEP_4)
	v_cndmask_b32_e32 v9, 0x7c00, v9, vcc_lo
	v_cmp_eq_u32_e32 vcc_lo, 0x40f, v10
	v_cndmask_b32_e32 v4, v11, v4, vcc_lo
	v_cmp_eq_u32_e32 vcc_lo, 0x40f, v12
	s_delay_alu instid0(VALU_DEP_2) | instskip(SKIP_1) | instid1(VALU_DEP_1)
	v_and_or_b32 v5, 0x8000, v5, v4
	v_cndmask_b32_e32 v6, v9, v6, vcc_lo
	v_and_or_b32 v6, 0x8000, v7, v6
	s_branch .LBB151_1487
.LBB151_1483:
                                        ; implicit-def: $vgpr6
                                        ; implicit-def: $vgpr5
	s_branch .LBB151_1505
.LBB151_1484:
                                        ; implicit-def: $vgpr6
                                        ; implicit-def: $vgpr5
	s_branch .LBB151_1493
.LBB151_1485:
	s_mov_b32 s7, -1
                                        ; implicit-def: $vgpr6
                                        ; implicit-def: $vgpr5
	s_branch .LBB151_1490
.LBB151_1486:
	s_mov_b32 s7, -1
                                        ; implicit-def: $vgpr6
                                        ; implicit-def: $vgpr5
.LBB151_1487:
	s_delay_alu instid0(SALU_CYCLE_1)
	s_and_not1_b32 vcc_lo, exec_lo, s7
	s_cbranch_vccnz .LBB151_1489
; %bb.1488:
	s_wait_loadcnt 0x0
	global_load_b64 v[6:7], v[0:1], off
	s_wait_loadcnt 0x0
	v_cvt_f16_f32_e32 v5, v6
	v_cvt_f16_f32_e32 v6, v7
.LBB151_1489:
	s_mov_b32 s7, 0
.LBB151_1490:
	s_delay_alu instid0(SALU_CYCLE_1)
	s_and_not1_b32 vcc_lo, exec_lo, s7
	s_cbranch_vccnz .LBB151_1492
; %bb.1491:
	s_wait_loadcnt 0x0
	global_load_b32 v5, v[0:1], off
	s_wait_loadcnt 0x0
	v_lshrrev_b32_e32 v6, 16, v5
.LBB151_1492:
	s_cbranch_execnz .LBB151_1504
.LBB151_1493:
	s_sext_i32_i16 s7, s0
	s_delay_alu instid0(SALU_CYCLE_1)
	s_cmp_lt_i32 s7, 6
	s_cbranch_scc1 .LBB151_1496
; %bb.1494:
	s_cmp_gt_i32 s7, 6
	s_cbranch_scc0 .LBB151_1497
; %bb.1495:
	s_wait_loadcnt 0x0
	global_load_b64 v[4:5], v[0:1], off
	s_mov_b32 s7, 0
	s_wait_loadcnt 0x0
	v_and_or_b32 v4, 0x1ff, v5, v4
	v_lshrrev_b32_e32 v6, 8, v5
	v_bfe_u32 v7, v5, 20, 11
	v_lshrrev_b32_e32 v5, 16, v5
	s_delay_alu instid0(VALU_DEP_4) | instskip(NEXT) | instid1(VALU_DEP_3)
	v_cmp_ne_u32_e32 vcc_lo, 0, v4
	v_sub_nc_u32_e32 v9, 0x3f1, v7
	v_add_nc_u32_e32 v7, 0xfffffc10, v7
	v_cndmask_b32_e64 v4, 0, 1, vcc_lo
	s_delay_alu instid0(VALU_DEP_1) | instskip(NEXT) | instid1(VALU_DEP_4)
	v_and_or_b32 v4, 0xffe, v6, v4
	v_med3_i32 v6, v9, 0, 13
	s_delay_alu instid0(VALU_DEP_2) | instskip(NEXT) | instid1(VALU_DEP_1)
	v_or_b32_e32 v9, 0x1000, v4
	v_lshrrev_b32_e32 v10, v6, v9
	s_delay_alu instid0(VALU_DEP_1) | instskip(NEXT) | instid1(VALU_DEP_1)
	v_lshlrev_b32_e32 v6, v6, v10
	v_cmp_ne_u32_e32 vcc_lo, v6, v9
	v_lshl_or_b32 v9, v7, 12, v4
	v_cndmask_b32_e64 v6, 0, 1, vcc_lo
	v_cmp_gt_i32_e32 vcc_lo, 1, v7
	s_delay_alu instid0(VALU_DEP_2) | instskip(NEXT) | instid1(VALU_DEP_1)
	v_or_b32_e32 v6, v10, v6
	v_cndmask_b32_e32 v6, v9, v6, vcc_lo
	s_delay_alu instid0(VALU_DEP_1) | instskip(NEXT) | instid1(VALU_DEP_1)
	v_dual_lshrrev_b32 v6, 2, v6 :: v_dual_bitop2_b32 v9, 7, v6 bitop3:0x40
	v_cmp_lt_i32_e32 vcc_lo, 5, v9
	v_cndmask_b32_e64 v10, 0, 1, vcc_lo
	v_cmp_eq_u32_e32 vcc_lo, 3, v9
	v_cndmask_b32_e64 v9, 0, 1, vcc_lo
	v_cmp_ne_u32_e32 vcc_lo, 0, v4
	s_delay_alu instid0(VALU_DEP_2) | instskip(SKIP_1) | instid1(VALU_DEP_2)
	v_or_b32_e32 v9, v9, v10
	v_mov_b32_e32 v10, 0x7e00
	v_add_nc_u32_e32 v6, v6, v9
	s_delay_alu instid0(VALU_DEP_2) | instskip(SKIP_1) | instid1(VALU_DEP_3)
	v_cndmask_b32_e32 v4, 0x7c00, v10, vcc_lo
	v_cmp_gt_i32_e32 vcc_lo, 31, v7
	v_cndmask_b32_e32 v6, 0x7c00, v6, vcc_lo
	v_cmp_eq_u32_e32 vcc_lo, 0x40f, v7
	s_delay_alu instid0(VALU_DEP_2) | instskip(NEXT) | instid1(VALU_DEP_1)
	v_cndmask_b32_e32 v4, v6, v4, vcc_lo
	v_and_or_b32 v5, 0x8000, v5, v4
	s_branch .LBB151_1498
.LBB151_1496:
	s_mov_b32 s7, -1
                                        ; implicit-def: $vgpr5
	s_branch .LBB151_1501
.LBB151_1497:
	s_mov_b32 s7, -1
                                        ; implicit-def: $vgpr5
.LBB151_1498:
	s_delay_alu instid0(SALU_CYCLE_1)
	s_and_not1_b32 vcc_lo, exec_lo, s7
	s_cbranch_vccnz .LBB151_1500
; %bb.1499:
	s_wait_loadcnt 0x0
	global_load_b32 v4, v[0:1], off
	s_wait_loadcnt 0x0
	v_cvt_f16_f32_e32 v5, v4
.LBB151_1500:
	s_mov_b32 s7, 0
.LBB151_1501:
	s_delay_alu instid0(SALU_CYCLE_1)
	s_and_not1_b32 vcc_lo, exec_lo, s7
	s_cbranch_vccnz .LBB151_1503
; %bb.1502:
	s_wait_loadcnt 0x0
	global_load_u16 v5, v[0:1], off
.LBB151_1503:
	s_wait_loadcnt 0x0
	v_mov_b32_e32 v6, 0
.LBB151_1504:
	s_cbranch_execnz .LBB151_1524
.LBB151_1505:
	s_sext_i32_i16 s7, s0
	s_delay_alu instid0(SALU_CYCLE_1)
	s_cmp_lt_i32 s7, 2
	s_cbranch_scc1 .LBB151_1509
; %bb.1506:
	s_cmp_lt_i32 s7, 3
	s_cbranch_scc1 .LBB151_1510
; %bb.1507:
	s_cmp_gt_i32 s7, 3
	s_cbranch_scc0 .LBB151_1511
; %bb.1508:
	s_wait_loadcnt 0x0
	global_load_b64 v[4:5], v[0:1], off
	s_mov_b32 s7, 0
	s_wait_loadcnt 0x0
	v_xor_b32_e32 v6, v4, v5
	v_cls_i32_e32 v7, v5
	s_delay_alu instid0(VALU_DEP_2) | instskip(NEXT) | instid1(VALU_DEP_1)
	v_ashrrev_i32_e32 v6, 31, v6
	v_add_nc_u32_e32 v6, 32, v6
	s_delay_alu instid0(VALU_DEP_1) | instskip(NEXT) | instid1(VALU_DEP_1)
	v_add_min_u32_e64 v6, v7, -1, v6
	v_lshlrev_b64_e32 v[4:5], v6, v[4:5]
	s_delay_alu instid0(VALU_DEP_1) | instskip(NEXT) | instid1(VALU_DEP_1)
	v_min_u32_e32 v4, 1, v4
	v_dual_sub_nc_u32 v5, 32, v6 :: v_dual_bitop2_b32 v4, v5, v4 bitop3:0x54
	s_delay_alu instid0(VALU_DEP_1) | instskip(NEXT) | instid1(VALU_DEP_1)
	v_cvt_f32_i32_e32 v4, v4
	v_ldexp_f32 v4, v4, v5
	s_delay_alu instid0(VALU_DEP_1)
	v_cvt_f16_f32_e32 v5, v4
	s_branch .LBB151_1512
.LBB151_1509:
                                        ; implicit-def: $vgpr5
	s_branch .LBB151_1518
.LBB151_1510:
	s_mov_b32 s7, -1
                                        ; implicit-def: $vgpr5
	s_branch .LBB151_1515
.LBB151_1511:
	s_mov_b32 s7, -1
                                        ; implicit-def: $vgpr5
.LBB151_1512:
	s_delay_alu instid0(SALU_CYCLE_1)
	s_and_not1_b32 vcc_lo, exec_lo, s7
	s_cbranch_vccnz .LBB151_1514
; %bb.1513:
	s_wait_loadcnt 0x0
	global_load_b32 v4, v[0:1], off
	s_wait_loadcnt 0x0
	v_cvt_f32_i32_e32 v4, v4
	s_delay_alu instid0(VALU_DEP_1)
	v_cvt_f16_f32_e32 v5, v4
.LBB151_1514:
	s_mov_b32 s7, 0
.LBB151_1515:
	s_delay_alu instid0(SALU_CYCLE_1)
	s_and_not1_b32 vcc_lo, exec_lo, s7
	s_cbranch_vccnz .LBB151_1517
; %bb.1516:
	s_wait_loadcnt 0x0
	global_load_u16 v4, v[0:1], off
	s_wait_loadcnt 0x0
	v_cvt_f16_i16_e32 v5, v4
.LBB151_1517:
	s_cbranch_execnz .LBB151_1523
.LBB151_1518:
	s_sext_i32_i16 s0, s0
	s_delay_alu instid0(SALU_CYCLE_1)
	s_cmp_gt_i32 s0, 0
	s_mov_b32 s0, 0
	s_cbranch_scc0 .LBB151_1520
; %bb.1519:
	s_wait_loadcnt 0x0
	global_load_i8 v4, v[0:1], off
	s_wait_loadcnt 0x0
	v_cvt_f16_i16_e32 v5, v4
	s_branch .LBB151_1521
.LBB151_1520:
	s_mov_b32 s0, -1
                                        ; implicit-def: $vgpr5
.LBB151_1521:
	s_delay_alu instid0(SALU_CYCLE_1)
	s_and_not1_b32 vcc_lo, exec_lo, s0
	s_cbranch_vccnz .LBB151_1523
; %bb.1522:
	s_wait_loadcnt 0x0
	global_load_u8 v0, v[0:1], off
	s_wait_loadcnt 0x0
	v_cvt_f16_u16_e32 v5, v0
.LBB151_1523:
	s_wait_loadcnt 0x0
	v_mov_b32_e32 v6, 0
.LBB151_1524:
	s_or_b32 s12, s12, exec_lo
.LBB151_1525:
	s_wait_xcnt 0x0
	s_or_b32 exec_lo, exec_lo, s6
	s_mov_b32 s0, 0
	s_mov_b32 s9, 0
                                        ; implicit-def: $sgpr6
                                        ; implicit-def: $sgpr7
                                        ; implicit-def: $vgpr0_vgpr1
	s_and_saveexec_b32 s8, s12
	s_cbranch_execz .LBB151_1536
; %bb.1526:
	s_and_not1_b32 vcc_lo, exec_lo, s10
	s_cbranch_vccnz .LBB151_1540
; %bb.1527:
	s_wait_loadcnt 0x0
	v_cmp_neq_f16_e32 vcc_lo, v3, v5
	v_cmp_neq_f16_e64 s0, v8, v6
	s_or_b32 s6, vcc_lo, s0
	s_cbranch_execnz .LBB151_1529
.LBB151_1528:
	s_wait_loadcnt 0x0
	v_cmp_eq_f16_e32 vcc_lo, v3, v5
	v_cmp_eq_f16_e64 s0, v8, v6
	s_and_not1_b32 s6, s6, exec_lo
	s_and_b32 s0, vcc_lo, s0
	s_delay_alu instid0(SALU_CYCLE_1) | instskip(NEXT) | instid1(SALU_CYCLE_1)
	s_and_b32 s0, s0, exec_lo
	s_or_b32 s6, s6, s0
.LBB151_1529:
	s_wait_loadcnt 0x0
	v_mov_b32_e32 v3, 0
	s_and_b32 s7, s11, 0xff
	s_delay_alu instid0(SALU_CYCLE_1) | instskip(NEXT) | instid1(VALU_DEP_1)
	s_cmp_lt_i32 s7, 11
	v_add_nc_u64_e32 v[0:1], s[4:5], v[2:3]
	s_cbranch_scc1 .LBB151_1539
; %bb.1530:
	s_and_b32 s4, 0xffff, s7
	s_mov_b32 s5, -1
	s_cmp_gt_i32 s4, 25
	s_mov_b32 s0, s39
	s_cbranch_scc0 .LBB151_1568
; %bb.1531:
	s_cmp_gt_i32 s4, 28
	s_mov_b32 s0, s39
	s_cbranch_scc0 .LBB151_1552
; %bb.1532:
	s_cmp_gt_i32 s4, 43
	s_mov_b32 s0, s39
	s_cbranch_scc0 .LBB151_1548
; %bb.1533:
	s_cmp_gt_i32 s4, 45
	s_mov_b32 s0, s39
	s_cbranch_scc0 .LBB151_1542
; %bb.1534:
	s_cmp_eq_u32 s4, 46
	s_mov_b32 s0, -1
	s_cbranch_scc0 .LBB151_1541
; %bb.1535:
	v_cndmask_b32_e64 v2, 0, 1.0, s6
	s_mov_b32 s0, 0
	s_mov_b32 s5, 0
	s_delay_alu instid0(VALU_DEP_1) | instskip(NEXT) | instid1(VALU_DEP_1)
	v_bfe_u32 v3, v2, 16, 1
	v_add3_u32 v2, v2, v3, 0x7fff
	s_delay_alu instid0(VALU_DEP_1)
	v_lshrrev_b32_e32 v2, 16, v2
	global_store_b32 v[0:1], v2, off
	s_branch .LBB151_1542
.LBB151_1536:
	s_or_b32 exec_lo, exec_lo, s8
	s_and_saveexec_b32 s4, s39
	s_cbranch_execnz .LBB151_1610
.LBB151_1537:
	s_or_b32 exec_lo, exec_lo, s4
	s_and_saveexec_b32 s4, s0
	s_delay_alu instid0(SALU_CYCLE_1)
	s_xor_b32 s0, exec_lo, s4
	s_cbranch_execz .LBB151_1611
.LBB151_1538:
	v_cndmask_b32_e64 v2, 0, 1, s6
	s_wait_loadcnt 0x0
	global_store_b8 v[0:1], v2, off
	s_wait_xcnt 0x0
	s_or_b32 exec_lo, exec_lo, s0
	s_and_saveexec_b32 s0, s9
	s_delay_alu instid0(SALU_CYCLE_1)
	s_xor_b32 s0, exec_lo, s0
	s_cbranch_execz .LBB151_1649
	s_branch .LBB151_1612
.LBB151_1539:
	s_mov_b32 s10, 0
	s_mov_b32 s5, -1
	s_mov_b32 s0, s39
	s_branch .LBB151_1609
.LBB151_1540:
                                        ; implicit-def: $sgpr6
	s_branch .LBB151_1528
.LBB151_1541:
	s_mov_b32 s5, 0
.LBB151_1542:
	s_delay_alu instid0(SALU_CYCLE_1)
	s_and_b32 vcc_lo, exec_lo, s5
	s_cbranch_vccz .LBB151_1547
; %bb.1543:
	s_cmp_eq_u32 s4, 44
	s_mov_b32 s0, -1
	s_cbranch_scc0 .LBB151_1547
; %bb.1544:
	v_cndmask_b32_e64 v4, 0, 1.0, s6
	s_mov_b32 s5, exec_lo
	s_wait_xcnt 0x0
	s_delay_alu instid0(VALU_DEP_1) | instskip(NEXT) | instid1(VALU_DEP_1)
	v_dual_mov_b32 v3, 0xff :: v_dual_lshrrev_b32 v2, 23, v4
	v_cmpx_ne_u32_e32 0xff, v2
; %bb.1545:
	v_and_b32_e32 v3, 0x400000, v4
	v_and_or_b32 v4, 0x3fffff, v4, v2
	s_delay_alu instid0(VALU_DEP_2) | instskip(NEXT) | instid1(VALU_DEP_2)
	v_cmp_ne_u32_e32 vcc_lo, 0, v3
	v_cmp_ne_u32_e64 s0, 0, v4
	s_and_b32 s0, vcc_lo, s0
	s_delay_alu instid0(SALU_CYCLE_1) | instskip(NEXT) | instid1(VALU_DEP_1)
	v_cndmask_b32_e64 v3, 0, 1, s0
	v_add_nc_u32_e32 v3, v2, v3
; %bb.1546:
	s_or_b32 exec_lo, exec_lo, s5
	s_mov_b32 s0, 0
	global_store_b8 v[0:1], v3, off
.LBB151_1547:
	s_mov_b32 s5, 0
.LBB151_1548:
	s_delay_alu instid0(SALU_CYCLE_1)
	s_and_b32 vcc_lo, exec_lo, s5
	s_cbranch_vccz .LBB151_1551
; %bb.1549:
	s_cmp_eq_u32 s4, 29
	s_mov_b32 s0, -1
	s_cbranch_scc0 .LBB151_1551
; %bb.1550:
	s_mov_b32 s0, 0
	s_wait_xcnt 0x0
	v_cndmask_b32_e64 v2, 0, 1, s6
	v_mov_b32_e32 v3, s0
	s_mov_b32 s5, 0
	global_store_b64 v[0:1], v[2:3], off
	s_branch .LBB151_1552
.LBB151_1551:
	s_mov_b32 s5, 0
.LBB151_1552:
	s_delay_alu instid0(SALU_CYCLE_1)
	s_and_b32 vcc_lo, exec_lo, s5
	s_cbranch_vccz .LBB151_1567
; %bb.1553:
	s_cmp_lt_i32 s4, 27
	s_mov_b32 s5, -1
	s_cbranch_scc1 .LBB151_1559
; %bb.1554:
	s_cmp_gt_i32 s4, 27
	s_cbranch_scc0 .LBB151_1556
; %bb.1555:
	s_wait_xcnt 0x0
	v_cndmask_b32_e64 v2, 0, 1, s6
	s_mov_b32 s5, 0
	global_store_b32 v[0:1], v2, off
.LBB151_1556:
	s_and_not1_b32 vcc_lo, exec_lo, s5
	s_cbranch_vccnz .LBB151_1558
; %bb.1557:
	s_wait_xcnt 0x0
	v_cndmask_b32_e64 v2, 0, 1, s6
	global_store_b16 v[0:1], v2, off
.LBB151_1558:
	s_mov_b32 s5, 0
.LBB151_1559:
	s_delay_alu instid0(SALU_CYCLE_1)
	s_and_not1_b32 vcc_lo, exec_lo, s5
	s_cbranch_vccnz .LBB151_1567
; %bb.1560:
	s_wait_xcnt 0x0
	v_cndmask_b32_e64 v3, 0, 1.0, s6
	v_mov_b32_e32 v4, 0x80
	s_mov_b32 s5, exec_lo
	s_delay_alu instid0(VALU_DEP_2)
	v_cmpx_gt_u32_e32 0x43800000, v3
	s_cbranch_execz .LBB151_1566
; %bb.1561:
	s_mov_b32 s10, exec_lo
                                        ; implicit-def: $vgpr2
	v_cmpx_lt_u32_e32 0x3bffffff, v3
	s_xor_b32 s10, exec_lo, s10
	s_cbranch_execz .LBB151_1708
; %bb.1562:
	v_bfe_u32 v2, v3, 20, 1
	s_mov_b32 s9, exec_lo
	s_delay_alu instid0(VALU_DEP_1) | instskip(NEXT) | instid1(VALU_DEP_1)
	v_add3_u32 v2, v3, v2, 0x487ffff
                                        ; implicit-def: $vgpr3
	v_lshrrev_b32_e32 v2, 20, v2
	s_and_not1_saveexec_b32 s10, s10
	s_cbranch_execnz .LBB151_1709
.LBB151_1563:
	s_or_b32 exec_lo, exec_lo, s10
	v_mov_b32_e32 v4, 0
	s_and_saveexec_b32 s10, s9
.LBB151_1564:
	v_mov_b32_e32 v4, v2
.LBB151_1565:
	s_or_b32 exec_lo, exec_lo, s10
.LBB151_1566:
	s_delay_alu instid0(SALU_CYCLE_1)
	s_or_b32 exec_lo, exec_lo, s5
	global_store_b8 v[0:1], v4, off
.LBB151_1567:
	s_mov_b32 s5, 0
.LBB151_1568:
	s_delay_alu instid0(SALU_CYCLE_1)
	s_and_b32 vcc_lo, exec_lo, s5
	s_mov_b32 s5, 0
	s_cbranch_vccz .LBB151_1608
; %bb.1569:
	s_cmp_gt_i32 s4, 22
	s_mov_b32 s9, -1
	s_cbranch_scc0 .LBB151_1601
; %bb.1570:
	s_cmp_lt_i32 s4, 24
	s_cbranch_scc1 .LBB151_1590
; %bb.1571:
	s_cmp_gt_i32 s4, 24
	s_cbranch_scc0 .LBB151_1579
; %bb.1572:
	s_wait_xcnt 0x0
	v_cndmask_b32_e64 v3, 0, 1.0, s6
	v_mov_b32_e32 v4, 0x80
	s_mov_b32 s9, exec_lo
	s_delay_alu instid0(VALU_DEP_2)
	v_cmpx_gt_u32_e32 0x47800000, v3
	s_cbranch_execz .LBB151_1578
; %bb.1573:
	s_mov_b32 s10, 0
	s_mov_b32 s11, exec_lo
                                        ; implicit-def: $vgpr2
	v_cmpx_lt_u32_e32 0x37ffffff, v3
	s_xor_b32 s11, exec_lo, s11
	s_cbranch_execz .LBB151_1839
; %bb.1574:
	v_bfe_u32 v2, v3, 21, 1
	s_mov_b32 s10, exec_lo
	s_delay_alu instid0(VALU_DEP_1) | instskip(NEXT) | instid1(VALU_DEP_1)
	v_add3_u32 v2, v3, v2, 0x88fffff
                                        ; implicit-def: $vgpr3
	v_lshrrev_b32_e32 v2, 21, v2
	s_and_not1_saveexec_b32 s11, s11
	s_cbranch_execnz .LBB151_1840
.LBB151_1575:
	s_or_b32 exec_lo, exec_lo, s11
	v_mov_b32_e32 v4, 0
	s_and_saveexec_b32 s11, s10
.LBB151_1576:
	v_mov_b32_e32 v4, v2
.LBB151_1577:
	s_or_b32 exec_lo, exec_lo, s11
.LBB151_1578:
	s_delay_alu instid0(SALU_CYCLE_1)
	s_or_b32 exec_lo, exec_lo, s9
	s_mov_b32 s9, 0
	global_store_b8 v[0:1], v4, off
.LBB151_1579:
	s_and_b32 vcc_lo, exec_lo, s9
	s_cbranch_vccz .LBB151_1589
; %bb.1580:
	s_wait_xcnt 0x0
	v_cndmask_b32_e64 v3, 0, 1.0, s6
	s_mov_b32 s9, exec_lo
                                        ; implicit-def: $vgpr2
	s_delay_alu instid0(VALU_DEP_1)
	v_cmpx_gt_u32_e32 0x43f00000, v3
	s_xor_b32 s9, exec_lo, s9
	s_cbranch_execz .LBB151_1586
; %bb.1581:
	s_mov_b32 s10, exec_lo
                                        ; implicit-def: $vgpr2
	v_cmpx_lt_u32_e32 0x3c7fffff, v3
	s_xor_b32 s10, exec_lo, s10
; %bb.1582:
	v_bfe_u32 v2, v3, 20, 1
	s_delay_alu instid0(VALU_DEP_1) | instskip(NEXT) | instid1(VALU_DEP_1)
	v_add3_u32 v2, v3, v2, 0x407ffff
	v_and_b32_e32 v3, 0xff00000, v2
	v_lshrrev_b32_e32 v2, 20, v2
	s_delay_alu instid0(VALU_DEP_2) | instskip(NEXT) | instid1(VALU_DEP_2)
	v_cmp_ne_u32_e32 vcc_lo, 0x7f00000, v3
                                        ; implicit-def: $vgpr3
	v_cndmask_b32_e32 v2, 0x7e, v2, vcc_lo
; %bb.1583:
	s_and_not1_saveexec_b32 s10, s10
; %bb.1584:
	v_add_f32_e32 v2, 0x46800000, v3
; %bb.1585:
	s_or_b32 exec_lo, exec_lo, s10
                                        ; implicit-def: $vgpr3
.LBB151_1586:
	s_and_not1_saveexec_b32 s9, s9
; %bb.1587:
	v_mov_b32_e32 v2, 0x7f
	v_cmp_lt_u32_e32 vcc_lo, 0x7f800000, v3
	s_delay_alu instid0(VALU_DEP_2)
	v_cndmask_b32_e32 v2, 0x7e, v2, vcc_lo
; %bb.1588:
	s_or_b32 exec_lo, exec_lo, s9
	global_store_b8 v[0:1], v2, off
.LBB151_1589:
	s_mov_b32 s9, 0
.LBB151_1590:
	s_delay_alu instid0(SALU_CYCLE_1)
	s_and_not1_b32 vcc_lo, exec_lo, s9
	s_cbranch_vccnz .LBB151_1600
; %bb.1591:
	s_wait_xcnt 0x0
	v_cndmask_b32_e64 v3, 0, 1.0, s6
	s_mov_b32 s9, exec_lo
                                        ; implicit-def: $vgpr2
	s_delay_alu instid0(VALU_DEP_1)
	v_cmpx_gt_u32_e32 0x47800000, v3
	s_xor_b32 s9, exec_lo, s9
	s_cbranch_execz .LBB151_1597
; %bb.1592:
	s_mov_b32 s10, exec_lo
                                        ; implicit-def: $vgpr2
	v_cmpx_lt_u32_e32 0x387fffff, v3
	s_xor_b32 s10, exec_lo, s10
; %bb.1593:
	v_bfe_u32 v2, v3, 21, 1
	s_delay_alu instid0(VALU_DEP_1) | instskip(NEXT) | instid1(VALU_DEP_1)
	v_add3_u32 v2, v3, v2, 0x80fffff
                                        ; implicit-def: $vgpr3
	v_lshrrev_b32_e32 v2, 21, v2
; %bb.1594:
	s_and_not1_saveexec_b32 s10, s10
; %bb.1595:
	v_add_f32_e32 v2, 0x43000000, v3
; %bb.1596:
	s_or_b32 exec_lo, exec_lo, s10
                                        ; implicit-def: $vgpr3
.LBB151_1597:
	s_and_not1_saveexec_b32 s9, s9
; %bb.1598:
	v_mov_b32_e32 v2, 0x7f
	v_cmp_lt_u32_e32 vcc_lo, 0x7f800000, v3
	s_delay_alu instid0(VALU_DEP_2)
	v_cndmask_b32_e32 v2, 0x7c, v2, vcc_lo
; %bb.1599:
	s_or_b32 exec_lo, exec_lo, s9
	global_store_b8 v[0:1], v2, off
.LBB151_1600:
	s_mov_b32 s9, 0
.LBB151_1601:
	s_delay_alu instid0(SALU_CYCLE_1)
	s_and_not1_b32 vcc_lo, exec_lo, s9
	s_mov_b32 s10, 0
	s_cbranch_vccnz .LBB151_1609
; %bb.1602:
	s_cmp_gt_i32 s4, 14
	s_mov_b32 s9, -1
	s_cbranch_scc0 .LBB151_1606
; %bb.1603:
	s_cmp_eq_u32 s4, 15
	s_mov_b32 s0, -1
	s_cbranch_scc0 .LBB151_1605
; %bb.1604:
	s_wait_xcnt 0x0
	v_cndmask_b32_e64 v2, 0, 1.0, s6
	s_mov_b32 s0, 0
	s_delay_alu instid0(VALU_DEP_1) | instskip(NEXT) | instid1(VALU_DEP_1)
	v_bfe_u32 v3, v2, 16, 1
	v_add3_u32 v2, v2, v3, 0x7fff
	global_store_d16_hi_b16 v[0:1], v2, off
.LBB151_1605:
	s_mov_b32 s9, 0
.LBB151_1606:
	s_delay_alu instid0(SALU_CYCLE_1)
	s_and_b32 vcc_lo, exec_lo, s9
	s_cbranch_vccz .LBB151_1609
; %bb.1607:
	s_cmp_lg_u32 s4, 11
	s_mov_b32 s10, -1
	s_cselect_b32 s4, -1, 0
	s_and_not1_b32 s0, s0, exec_lo
	s_and_b32 s4, s4, exec_lo
	s_delay_alu instid0(SALU_CYCLE_1)
	s_or_b32 s0, s0, s4
	s_branch .LBB151_1609
.LBB151_1608:
	s_mov_b32 s10, 0
.LBB151_1609:
	s_and_b32 s9, s5, exec_lo
	s_and_not1_b32 s4, s39, exec_lo
	s_and_b32 s5, s0, exec_lo
	s_and_b32 s0, s10, exec_lo
	s_or_b32 s39, s4, s5
	s_wait_xcnt 0x0
	s_or_b32 exec_lo, exec_lo, s8
	s_and_saveexec_b32 s4, s39
	s_cbranch_execz .LBB151_1537
.LBB151_1610:
	s_or_b32 s1, s1, exec_lo
	s_and_not1_b32 s0, s0, exec_lo
	s_trap 2
	s_or_b32 exec_lo, exec_lo, s4
	s_and_saveexec_b32 s4, s0
	s_delay_alu instid0(SALU_CYCLE_1)
	s_xor_b32 s0, exec_lo, s4
	s_cbranch_execnz .LBB151_1538
.LBB151_1611:
	s_or_b32 exec_lo, exec_lo, s0
	s_and_saveexec_b32 s0, s9
	s_delay_alu instid0(SALU_CYCLE_1)
	s_xor_b32 s0, exec_lo, s0
	s_cbranch_execz .LBB151_1649
.LBB151_1612:
	s_sext_i32_i16 s5, s7
	s_mov_b32 s4, -1
	s_cmp_lt_i32 s5, 5
	s_cbranch_scc1 .LBB151_1633
; %bb.1613:
	s_cmp_lt_i32 s5, 8
	s_cbranch_scc1 .LBB151_1623
; %bb.1614:
	;; [unrolled: 3-line block ×3, first 2 shown]
	s_cmp_gt_i32 s5, 9
	s_cbranch_scc0 .LBB151_1617
; %bb.1616:
	v_cndmask_b32_e64 v2, 0, 1, s6
	v_mov_b32_e32 v4, 0
	s_mov_b32 s4, 0
	s_wait_loadcnt 0x0
	s_delay_alu instid0(VALU_DEP_2) | instskip(NEXT) | instid1(VALU_DEP_2)
	v_cvt_f64_u32_e32 v[2:3], v2
	v_mov_b32_e32 v5, v4
	global_store_b128 v[0:1], v[2:5], off
.LBB151_1617:
	s_and_not1_b32 vcc_lo, exec_lo, s4
	s_cbranch_vccnz .LBB151_1619
; %bb.1618:
	s_wait_xcnt 0x0
	v_cndmask_b32_e64 v2, 0, 1.0, s6
	s_wait_loadcnt 0x0
	v_mov_b32_e32 v3, 0
	global_store_b64 v[0:1], v[2:3], off
.LBB151_1619:
	s_mov_b32 s4, 0
.LBB151_1620:
	s_delay_alu instid0(SALU_CYCLE_1)
	s_and_not1_b32 vcc_lo, exec_lo, s4
	s_cbranch_vccnz .LBB151_1622
; %bb.1621:
	s_wait_xcnt 0x0
	v_cndmask_b32_e64 v2, 0, 1.0, s6
	s_delay_alu instid0(VALU_DEP_1) | instskip(NEXT) | instid1(VALU_DEP_1)
	v_cvt_f16_f32_e32 v2, v2
	v_and_b32_e32 v2, 0xffff, v2
	s_wait_loadcnt 0x0
	global_store_b32 v[0:1], v2, off
.LBB151_1622:
	s_mov_b32 s4, 0
.LBB151_1623:
	s_delay_alu instid0(SALU_CYCLE_1)
	s_and_not1_b32 vcc_lo, exec_lo, s4
	s_cbranch_vccnz .LBB151_1632
; %bb.1624:
	s_sext_i32_i16 s5, s7
	s_mov_b32 s4, -1
	s_cmp_lt_i32 s5, 6
	s_cbranch_scc1 .LBB151_1630
; %bb.1625:
	s_cmp_gt_i32 s5, 6
	s_cbranch_scc0 .LBB151_1627
; %bb.1626:
	s_wait_xcnt 0x0
	v_cndmask_b32_e64 v2, 0, 1, s6
	s_mov_b32 s4, 0
	s_wait_loadcnt 0x0
	s_delay_alu instid0(VALU_DEP_1)
	v_cvt_f64_u32_e32 v[2:3], v2
	global_store_b64 v[0:1], v[2:3], off
.LBB151_1627:
	s_and_not1_b32 vcc_lo, exec_lo, s4
	s_cbranch_vccnz .LBB151_1629
; %bb.1628:
	s_wait_xcnt 0x0
	v_cndmask_b32_e64 v2, 0, 1.0, s6
	s_wait_loadcnt 0x0
	global_store_b32 v[0:1], v2, off
.LBB151_1629:
	s_mov_b32 s4, 0
.LBB151_1630:
	s_delay_alu instid0(SALU_CYCLE_1)
	s_and_not1_b32 vcc_lo, exec_lo, s4
	s_cbranch_vccnz .LBB151_1632
; %bb.1631:
	s_wait_xcnt 0x0
	v_cndmask_b32_e64 v2, 0, 1.0, s6
	s_delay_alu instid0(VALU_DEP_1)
	v_cvt_f16_f32_e32 v2, v2
	s_wait_loadcnt 0x0
	global_store_b16 v[0:1], v2, off
.LBB151_1632:
	s_mov_b32 s4, 0
.LBB151_1633:
	s_delay_alu instid0(SALU_CYCLE_1)
	s_and_not1_b32 vcc_lo, exec_lo, s4
	s_cbranch_vccnz .LBB151_1649
; %bb.1634:
	s_sext_i32_i16 s5, s7
	s_mov_b32 s4, -1
	s_cmp_lt_i32 s5, 2
	s_cbranch_scc1 .LBB151_1644
; %bb.1635:
	s_cmp_lt_i32 s5, 3
	s_cbranch_scc1 .LBB151_1641
; %bb.1636:
	s_cmp_gt_i32 s5, 3
	s_cbranch_scc0 .LBB151_1638
; %bb.1637:
	s_mov_b32 s4, 0
	s_wait_xcnt 0x0
	v_cndmask_b32_e64 v2, 0, 1, s6
	s_wait_loadcnt 0x0
	v_mov_b32_e32 v3, s4
	global_store_b64 v[0:1], v[2:3], off
.LBB151_1638:
	s_and_not1_b32 vcc_lo, exec_lo, s4
	s_cbranch_vccnz .LBB151_1640
; %bb.1639:
	s_wait_xcnt 0x0
	v_cndmask_b32_e64 v2, 0, 1, s6
	s_wait_loadcnt 0x0
	global_store_b32 v[0:1], v2, off
.LBB151_1640:
	s_mov_b32 s4, 0
.LBB151_1641:
	s_delay_alu instid0(SALU_CYCLE_1)
	s_and_not1_b32 vcc_lo, exec_lo, s4
	s_cbranch_vccnz .LBB151_1643
; %bb.1642:
	s_wait_xcnt 0x0
	v_cndmask_b32_e64 v2, 0, 1, s6
	s_wait_loadcnt 0x0
	global_store_b16 v[0:1], v2, off
.LBB151_1643:
	s_mov_b32 s4, 0
.LBB151_1644:
	s_delay_alu instid0(SALU_CYCLE_1)
	s_and_not1_b32 vcc_lo, exec_lo, s4
	s_cbranch_vccnz .LBB151_1649
; %bb.1645:
	s_wait_xcnt 0x0
	v_cndmask_b32_e64 v2, 0, 1, s6
	s_sext_i32_i16 s4, s7
	s_delay_alu instid0(SALU_CYCLE_1)
	s_cmp_gt_i32 s4, 0
	s_mov_b32 s4, -1
	s_cbranch_scc0 .LBB151_1647
; %bb.1646:
	s_mov_b32 s4, 0
	s_wait_loadcnt 0x0
	global_store_b8 v[0:1], v2, off
.LBB151_1647:
	s_and_not1_b32 vcc_lo, exec_lo, s4
	s_cbranch_vccnz .LBB151_1649
; %bb.1648:
	s_wait_loadcnt 0x0
	global_store_b8 v[0:1], v2, off
.LBB151_1649:
	s_wait_xcnt 0x0
	s_or_b32 exec_lo, exec_lo, s0
	s_delay_alu instid0(SALU_CYCLE_1)
	s_and_b32 s10, s1, exec_lo
                                        ; implicit-def: $vgpr1
                                        ; implicit-def: $vgpr0
.LBB151_1650:
	s_or_saveexec_b32 s11, s33
	s_mov_b32 s0, 0
                                        ; implicit-def: $sgpr6
                                        ; implicit-def: $vgpr2_vgpr3
                                        ; implicit-def: $sgpr7
	s_xor_b32 exec_lo, exec_lo, s11
	s_cbranch_execz .LBB151_2796
; %bb.1651:
	s_wait_loadcnt 0x0
	v_cndmask_b32_e64 v3, 0, 1, s31
	s_and_not1_b32 vcc_lo, exec_lo, s31
	s_cbranch_vccnz .LBB151_1657
; %bb.1652:
	s_cmp_lg_u32 s28, 0
	s_mov_b32 s4, 0
	s_cbranch_scc0 .LBB151_1661
; %bb.1653:
	s_min_u32 s5, s29, 15
	v_dual_mov_b32 v6, 0 :: v_dual_mov_b32 v2, v0
	v_dual_mov_b32 v22, 0 :: v_dual_mov_b32 v20, 0
	s_add_co_i32 s6, s5, 1
	s_mov_b64 s[0:1], 0xffffffffffffffe8
	s_and_b32 s6, s6, 30
	s_add_nc_u64 s[0:1], s[2:3], s[0:1]
.LBB151_1654:                           ; =>This Inner Loop Header: Depth=1
	s_clause 0x1
	s_load_b128 s[12:15], s[0:1], 0x1c
	s_load_b64 s[8:9], s[0:1], 0x2c
	s_add_co_i32 s6, s6, -2
	s_delay_alu instid0(SALU_CYCLE_1) | instskip(SKIP_2) | instid1(VALU_DEP_1)
	s_cmp_lg_u32 s6, 0
	s_wait_kmcnt 0x0
	v_mul_hi_u32 v4, s13, v2
	v_add_nc_u32_e32 v4, v2, v4
	s_delay_alu instid0(VALU_DEP_1) | instskip(NEXT) | instid1(VALU_DEP_1)
	v_lshrrev_b32_e32 v4, s14, v4
	v_mul_hi_u32 v5, s8, v4
	v_mul_lo_u32 v7, v4, s12
	s_clause 0x1
	s_load_b128 s[16:19], s[0:1], 0xdc
	s_load_b64 s[12:13], s[0:1], 0xec
	s_wait_xcnt 0x0
	s_add_nc_u64 s[0:1], s[0:1], 24
	s_delay_alu instid0(VALU_DEP_1) | instskip(NEXT) | instid1(VALU_DEP_1)
	v_dual_add_nc_u32 v5, v4, v5 :: v_dual_sub_nc_u32 v7, v2, v7
	v_lshrrev_b32_e32 v2, s9, v5
	s_wait_kmcnt 0x0
	s_delay_alu instid0(VALU_DEP_2) | instskip(NEXT) | instid1(VALU_DEP_2)
	v_mad_u32 v6, v7, s16, v6
	v_mul_lo_u32 v5, v2, s15
	v_mad_u32 v8, v7, s18, v20
	v_mad_u32 v7, v7, s17, v22
	s_delay_alu instid0(VALU_DEP_3) | instskip(NEXT) | instid1(VALU_DEP_1)
	v_sub_nc_u32_e32 v4, v4, v5
	v_mad_u32 v6, v4, s19, v6
	s_delay_alu instid0(VALU_DEP_4) | instskip(NEXT) | instid1(VALU_DEP_4)
	v_mad_u32 v20, v4, s13, v8
	v_mad_u32 v22, v4, s12, v7
	s_cbranch_scc1 .LBB151_1654
; %bb.1655:
	s_bitcmp1_b32 s5, 0
	s_cselect_b32 s5, -1, 0
	s_delay_alu instid0(SALU_CYCLE_1)
	s_and_b32 vcc_lo, exec_lo, s5
	s_cbranch_vccnz .LBB151_1658
; %bb.1656:
	s_clause 0x1
	s_load_b96 s[12:14], s[0:1], 0x1c
	s_load_b96 s[16:18], s[0:1], 0xdc
	s_wait_kmcnt 0x0
	v_mul_hi_u32 v4, s13, v2
	s_delay_alu instid0(VALU_DEP_1) | instskip(NEXT) | instid1(VALU_DEP_1)
	v_add_nc_u32_e32 v4, v2, v4
	v_lshrrev_b32_e32 v4, s14, v4
	s_delay_alu instid0(VALU_DEP_1) | instskip(NEXT) | instid1(VALU_DEP_1)
	v_mul_lo_u32 v4, v4, s12
	v_sub_nc_u32_e32 v2, v2, v4
	s_delay_alu instid0(VALU_DEP_1)
	v_mad_u32 v6, v2, s16, v6
	v_mad_u32 v22, v2, s17, v22
	;; [unrolled: 1-line block ×3, first 2 shown]
	s_and_not1_b32 vcc_lo, exec_lo, s4
	s_cbranch_vccz .LBB151_1659
	s_branch .LBB151_1662
.LBB151_1657:
	s_mov_b32 s4, -1
                                        ; implicit-def: $vgpr20
                                        ; implicit-def: $vgpr22
                                        ; implicit-def: $vgpr6
.LBB151_1658:
	s_delay_alu instid0(SALU_CYCLE_1)
	s_and_not1_b32 vcc_lo, exec_lo, s4
	s_cbranch_vccnz .LBB151_1662
.LBB151_1659:
	s_clause 0x1
	s_load_b96 s[4:6], s[2:3], 0x4
	s_load_b96 s[12:14], s[2:3], 0xc4
	s_cmp_lt_u32 s28, 2
	s_wait_kmcnt 0x0
	v_mul_hi_u32 v2, s5, v0
	s_delay_alu instid0(VALU_DEP_1) | instskip(NEXT) | instid1(VALU_DEP_1)
	v_add_nc_u32_e32 v2, v0, v2
	v_lshrrev_b32_e32 v2, s6, v2
	s_delay_alu instid0(VALU_DEP_1) | instskip(NEXT) | instid1(VALU_DEP_1)
	v_mul_lo_u32 v4, v2, s4
	v_sub_nc_u32_e32 v4, v0, v4
	s_delay_alu instid0(VALU_DEP_1)
	v_mul_lo_u32 v6, v4, s12
	v_mul_lo_u32 v20, v4, s14
	;; [unrolled: 1-line block ×3, first 2 shown]
	s_cbranch_scc1 .LBB151_1662
; %bb.1660:
	s_clause 0x1
	s_load_b96 s[4:6], s[2:3], 0x10
	s_load_b96 s[12:14], s[2:3], 0xd0
	s_wait_kmcnt 0x0
	v_mul_hi_u32 v4, s5, v2
	s_delay_alu instid0(VALU_DEP_1) | instskip(NEXT) | instid1(VALU_DEP_1)
	v_add_nc_u32_e32 v4, v2, v4
	v_lshrrev_b32_e32 v4, s6, v4
	s_delay_alu instid0(VALU_DEP_1) | instskip(NEXT) | instid1(VALU_DEP_1)
	v_mul_lo_u32 v4, v4, s4
	v_sub_nc_u32_e32 v2, v2, v4
	s_delay_alu instid0(VALU_DEP_1)
	v_mad_u32 v6, v2, s12, v6
	v_mad_u32 v22, v2, s13, v22
	;; [unrolled: 1-line block ×3, first 2 shown]
	s_branch .LBB151_1662
.LBB151_1661:
	v_dual_mov_b32 v20, 0 :: v_dual_mov_b32 v22, 0
	v_mov_b32_e32 v6, 0
	s_and_not1_b32 vcc_lo, exec_lo, s4
	s_cbranch_vccz .LBB151_1659
.LBB151_1662:
	v_cmp_ne_u32_e32 vcc_lo, 1, v3
	v_add_nc_u32_e32 v2, 0x80, v0
	s_cbranch_vccnz .LBB151_1668
; %bb.1663:
	s_cmp_lg_u32 s28, 0
	s_mov_b32 s4, 0
	s_cbranch_scc0 .LBB151_1672
; %bb.1664:
	s_min_u32 s5, s29, 15
	v_dual_mov_b32 v4, 0 :: v_dual_mov_b32 v5, v2
	v_dual_mov_b32 v18, 0 :: v_dual_mov_b32 v16, 0
	s_add_co_i32 s6, s5, 1
	s_mov_b64 s[0:1], 0xffffffffffffffe8
	s_and_b32 s6, s6, 30
	s_add_nc_u64 s[0:1], s[2:3], s[0:1]
.LBB151_1665:                           ; =>This Inner Loop Header: Depth=1
	s_clause 0x1
	s_load_b128 s[12:15], s[0:1], 0x1c
	s_load_b64 s[8:9], s[0:1], 0x2c
	s_add_co_i32 s6, s6, -2
	s_delay_alu instid0(SALU_CYCLE_1) | instskip(SKIP_2) | instid1(VALU_DEP_1)
	s_cmp_lg_u32 s6, 0
	s_wait_kmcnt 0x0
	v_mul_hi_u32 v7, s13, v5
	v_add_nc_u32_e32 v7, v5, v7
	s_delay_alu instid0(VALU_DEP_1) | instskip(NEXT) | instid1(VALU_DEP_1)
	v_lshrrev_b32_e32 v7, s14, v7
	v_mul_hi_u32 v8, s8, v7
	v_mul_lo_u32 v9, v7, s12
	s_clause 0x1
	s_load_b128 s[16:19], s[0:1], 0xdc
	s_load_b64 s[12:13], s[0:1], 0xec
	s_wait_xcnt 0x0
	s_add_nc_u64 s[0:1], s[0:1], 24
	s_delay_alu instid0(VALU_DEP_1) | instskip(NEXT) | instid1(VALU_DEP_1)
	v_dual_add_nc_u32 v8, v7, v8 :: v_dual_sub_nc_u32 v9, v5, v9
	v_lshrrev_b32_e32 v5, s9, v8
	s_wait_kmcnt 0x0
	s_delay_alu instid0(VALU_DEP_2) | instskip(NEXT) | instid1(VALU_DEP_2)
	v_mad_u32 v4, v9, s16, v4
	v_mul_lo_u32 v8, v5, s15
	v_mad_u32 v10, v9, s18, v16
	v_mad_u32 v9, v9, s17, v18
	s_delay_alu instid0(VALU_DEP_3) | instskip(NEXT) | instid1(VALU_DEP_1)
	v_sub_nc_u32_e32 v7, v7, v8
	v_mad_u32 v4, v7, s19, v4
	s_delay_alu instid0(VALU_DEP_4) | instskip(NEXT) | instid1(VALU_DEP_4)
	v_mad_u32 v16, v7, s13, v10
	v_mad_u32 v18, v7, s12, v9
	s_cbranch_scc1 .LBB151_1665
; %bb.1666:
	s_bitcmp1_b32 s5, 0
	s_cselect_b32 s5, -1, 0
	s_delay_alu instid0(SALU_CYCLE_1)
	s_and_b32 vcc_lo, exec_lo, s5
	s_cbranch_vccnz .LBB151_1669
; %bb.1667:
	s_clause 0x1
	s_load_b96 s[12:14], s[0:1], 0x1c
	s_load_b96 s[16:18], s[0:1], 0xdc
	s_wait_kmcnt 0x0
	v_mul_hi_u32 v7, s13, v5
	s_delay_alu instid0(VALU_DEP_1) | instskip(NEXT) | instid1(VALU_DEP_1)
	v_add_nc_u32_e32 v7, v5, v7
	v_lshrrev_b32_e32 v7, s14, v7
	s_delay_alu instid0(VALU_DEP_1) | instskip(NEXT) | instid1(VALU_DEP_1)
	v_mul_lo_u32 v7, v7, s12
	v_sub_nc_u32_e32 v5, v5, v7
	s_delay_alu instid0(VALU_DEP_1)
	v_mad_u32 v4, v5, s16, v4
	v_mad_u32 v18, v5, s17, v18
	;; [unrolled: 1-line block ×3, first 2 shown]
	s_and_not1_b32 vcc_lo, exec_lo, s4
	s_cbranch_vccz .LBB151_1670
	s_branch .LBB151_1673
.LBB151_1668:
	s_mov_b32 s4, -1
                                        ; implicit-def: $vgpr16
                                        ; implicit-def: $vgpr18
                                        ; implicit-def: $vgpr4
.LBB151_1669:
	s_delay_alu instid0(SALU_CYCLE_1)
	s_and_not1_b32 vcc_lo, exec_lo, s4
	s_cbranch_vccnz .LBB151_1673
.LBB151_1670:
	s_clause 0x1
	s_load_b96 s[4:6], s[2:3], 0x4
	s_load_b96 s[12:14], s[2:3], 0xc4
	s_cmp_lt_u32 s28, 2
	s_wait_kmcnt 0x0
	v_mul_hi_u32 v4, s5, v2
	s_delay_alu instid0(VALU_DEP_1) | instskip(NEXT) | instid1(VALU_DEP_1)
	v_add_nc_u32_e32 v4, v2, v4
	v_lshrrev_b32_e32 v5, s6, v4
	s_delay_alu instid0(VALU_DEP_1) | instskip(NEXT) | instid1(VALU_DEP_1)
	v_mul_lo_u32 v4, v5, s4
	v_sub_nc_u32_e32 v2, v2, v4
	s_delay_alu instid0(VALU_DEP_1)
	v_mul_lo_u32 v4, v2, s12
	v_mul_lo_u32 v16, v2, s14
	;; [unrolled: 1-line block ×3, first 2 shown]
	s_cbranch_scc1 .LBB151_1673
; %bb.1671:
	s_clause 0x1
	s_load_b96 s[4:6], s[2:3], 0x10
	s_load_b96 s[12:14], s[2:3], 0xd0
	s_wait_kmcnt 0x0
	v_mul_hi_u32 v2, s5, v5
	s_delay_alu instid0(VALU_DEP_1) | instskip(NEXT) | instid1(VALU_DEP_1)
	v_add_nc_u32_e32 v2, v5, v2
	v_lshrrev_b32_e32 v2, s6, v2
	s_delay_alu instid0(VALU_DEP_1) | instskip(NEXT) | instid1(VALU_DEP_1)
	v_mul_lo_u32 v2, v2, s4
	v_sub_nc_u32_e32 v2, v5, v2
	s_delay_alu instid0(VALU_DEP_1)
	v_mad_u32 v4, v2, s12, v4
	v_mad_u32 v18, v2, s13, v18
	;; [unrolled: 1-line block ×3, first 2 shown]
	s_branch .LBB151_1673
.LBB151_1672:
	v_dual_mov_b32 v16, 0 :: v_dual_mov_b32 v18, 0
	v_mov_b32_e32 v4, 0
	s_and_not1_b32 vcc_lo, exec_lo, s4
	s_cbranch_vccz .LBB151_1670
.LBB151_1673:
	v_cmp_ne_u32_e32 vcc_lo, 1, v3
	v_add_nc_u32_e32 v0, 0x100, v0
	s_cbranch_vccnz .LBB151_1679
; %bb.1674:
	s_cmp_lg_u32 s28, 0
	s_mov_b32 s4, 0
	s_cbranch_scc0 .LBB151_1683
; %bb.1675:
	s_min_u32 s5, s29, 15
	v_dual_mov_b32 v2, 0 :: v_dual_mov_b32 v5, v0
	v_dual_mov_b32 v14, 0 :: v_dual_mov_b32 v12, 0
	s_add_co_i32 s6, s5, 1
	s_mov_b64 s[0:1], 0xffffffffffffffe8
	s_and_b32 s6, s6, 30
	s_add_nc_u64 s[0:1], s[2:3], s[0:1]
.LBB151_1676:                           ; =>This Inner Loop Header: Depth=1
	s_clause 0x1
	s_load_b128 s[12:15], s[0:1], 0x1c
	s_load_b64 s[8:9], s[0:1], 0x2c
	s_add_co_i32 s6, s6, -2
	s_delay_alu instid0(SALU_CYCLE_1) | instskip(SKIP_2) | instid1(VALU_DEP_1)
	s_cmp_lg_u32 s6, 0
	s_wait_kmcnt 0x0
	v_mul_hi_u32 v7, s13, v5
	v_add_nc_u32_e32 v7, v5, v7
	s_delay_alu instid0(VALU_DEP_1) | instskip(NEXT) | instid1(VALU_DEP_1)
	v_lshrrev_b32_e32 v7, s14, v7
	v_mul_hi_u32 v8, s8, v7
	v_mul_lo_u32 v9, v7, s12
	s_clause 0x1
	s_load_b128 s[16:19], s[0:1], 0xdc
	s_load_b64 s[12:13], s[0:1], 0xec
	s_wait_xcnt 0x0
	s_add_nc_u64 s[0:1], s[0:1], 24
	s_delay_alu instid0(VALU_DEP_1) | instskip(NEXT) | instid1(VALU_DEP_1)
	v_dual_add_nc_u32 v8, v7, v8 :: v_dual_sub_nc_u32 v9, v5, v9
	v_lshrrev_b32_e32 v5, s9, v8
	s_wait_kmcnt 0x0
	s_delay_alu instid0(VALU_DEP_2) | instskip(NEXT) | instid1(VALU_DEP_2)
	v_mad_u32 v2, v9, s16, v2
	v_mul_lo_u32 v8, v5, s15
	v_mad_u32 v10, v9, s18, v12
	v_mad_u32 v9, v9, s17, v14
	s_delay_alu instid0(VALU_DEP_3) | instskip(NEXT) | instid1(VALU_DEP_1)
	v_sub_nc_u32_e32 v7, v7, v8
	v_mad_u32 v2, v7, s19, v2
	s_delay_alu instid0(VALU_DEP_4) | instskip(NEXT) | instid1(VALU_DEP_4)
	v_mad_u32 v12, v7, s13, v10
	v_mad_u32 v14, v7, s12, v9
	s_cbranch_scc1 .LBB151_1676
; %bb.1677:
	s_bitcmp1_b32 s5, 0
	s_cselect_b32 s5, -1, 0
	s_delay_alu instid0(SALU_CYCLE_1)
	s_and_b32 vcc_lo, exec_lo, s5
	s_cbranch_vccnz .LBB151_1680
; %bb.1678:
	s_clause 0x1
	s_load_b96 s[12:14], s[0:1], 0x1c
	s_load_b96 s[16:18], s[0:1], 0xdc
	s_wait_kmcnt 0x0
	v_mul_hi_u32 v7, s13, v5
	s_delay_alu instid0(VALU_DEP_1) | instskip(NEXT) | instid1(VALU_DEP_1)
	v_add_nc_u32_e32 v7, v5, v7
	v_lshrrev_b32_e32 v7, s14, v7
	s_delay_alu instid0(VALU_DEP_1) | instskip(NEXT) | instid1(VALU_DEP_1)
	v_mul_lo_u32 v7, v7, s12
	v_sub_nc_u32_e32 v5, v5, v7
	s_delay_alu instid0(VALU_DEP_1)
	v_mad_u32 v2, v5, s16, v2
	v_mad_u32 v14, v5, s17, v14
	;; [unrolled: 1-line block ×3, first 2 shown]
	s_and_not1_b32 vcc_lo, exec_lo, s4
	s_cbranch_vccz .LBB151_1681
	s_branch .LBB151_1684
.LBB151_1679:
	s_mov_b32 s4, -1
                                        ; implicit-def: $vgpr12
                                        ; implicit-def: $vgpr14
                                        ; implicit-def: $vgpr2
.LBB151_1680:
	s_delay_alu instid0(SALU_CYCLE_1)
	s_and_not1_b32 vcc_lo, exec_lo, s4
	s_cbranch_vccnz .LBB151_1684
.LBB151_1681:
	s_clause 0x1
	s_load_b96 s[4:6], s[2:3], 0x4
	s_load_b96 s[12:14], s[2:3], 0xc4
	s_cmp_lt_u32 s28, 2
	s_wait_kmcnt 0x0
	v_mul_hi_u32 v2, s5, v0
	s_delay_alu instid0(VALU_DEP_1) | instskip(NEXT) | instid1(VALU_DEP_1)
	v_add_nc_u32_e32 v2, v0, v2
	v_lshrrev_b32_e32 v5, s6, v2
	s_delay_alu instid0(VALU_DEP_1) | instskip(NEXT) | instid1(VALU_DEP_1)
	v_mul_lo_u32 v2, v5, s4
	v_sub_nc_u32_e32 v0, v0, v2
	s_delay_alu instid0(VALU_DEP_1)
	v_mul_lo_u32 v2, v0, s12
	v_mul_lo_u32 v12, v0, s14
	;; [unrolled: 1-line block ×3, first 2 shown]
	s_cbranch_scc1 .LBB151_1684
; %bb.1682:
	s_clause 0x1
	s_load_b96 s[4:6], s[2:3], 0x10
	s_load_b96 s[12:14], s[2:3], 0xd0
	s_wait_kmcnt 0x0
	v_mul_hi_u32 v0, s5, v5
	s_delay_alu instid0(VALU_DEP_1) | instskip(NEXT) | instid1(VALU_DEP_1)
	v_add_nc_u32_e32 v0, v5, v0
	v_lshrrev_b32_e32 v0, s6, v0
	s_delay_alu instid0(VALU_DEP_1) | instskip(NEXT) | instid1(VALU_DEP_1)
	v_mul_lo_u32 v0, v0, s4
	v_sub_nc_u32_e32 v0, v5, v0
	s_delay_alu instid0(VALU_DEP_1)
	v_mad_u32 v2, v0, s12, v2
	v_mad_u32 v14, v0, s13, v14
	;; [unrolled: 1-line block ×3, first 2 shown]
	s_branch .LBB151_1684
.LBB151_1683:
	v_dual_mov_b32 v12, 0 :: v_dual_mov_b32 v14, 0
	v_mov_b32_e32 v2, 0
	s_and_not1_b32 vcc_lo, exec_lo, s4
	s_cbranch_vccz .LBB151_1681
.LBB151_1684:
	v_cmp_ne_u32_e32 vcc_lo, 1, v3
	s_cbranch_vccnz .LBB151_1690
; %bb.1685:
	s_cmp_lg_u32 s28, 0
	s_mov_b32 s4, 0
	s_cbranch_scc0 .LBB151_1694
; %bb.1686:
	s_min_u32 s5, s29, 15
	v_dual_mov_b32 v0, 0 :: v_dual_mov_b32 v3, v1
	v_dual_mov_b32 v10, 0 :: v_dual_mov_b32 v8, 0
	s_add_co_i32 s6, s5, 1
	s_mov_b64 s[0:1], 0xffffffffffffffe8
	s_and_b32 s6, s6, 30
	s_add_nc_u64 s[0:1], s[2:3], s[0:1]
.LBB151_1687:                           ; =>This Inner Loop Header: Depth=1
	s_clause 0x1
	s_load_b128 s[12:15], s[0:1], 0x1c
	s_load_b64 s[8:9], s[0:1], 0x2c
	s_add_co_i32 s6, s6, -2
	s_delay_alu instid0(SALU_CYCLE_1) | instskip(SKIP_2) | instid1(VALU_DEP_1)
	s_cmp_lg_u32 s6, 0
	s_wait_kmcnt 0x0
	v_mul_hi_u32 v5, s13, v3
	v_add_nc_u32_e32 v5, v3, v5
	s_delay_alu instid0(VALU_DEP_1) | instskip(NEXT) | instid1(VALU_DEP_1)
	v_lshrrev_b32_e32 v5, s14, v5
	v_mul_hi_u32 v7, s8, v5
	v_mul_lo_u32 v9, v5, s12
	s_clause 0x1
	s_load_b128 s[16:19], s[0:1], 0xdc
	s_load_b64 s[12:13], s[0:1], 0xec
	s_wait_xcnt 0x0
	s_add_nc_u64 s[0:1], s[0:1], 24
	s_delay_alu instid0(VALU_DEP_1) | instskip(NEXT) | instid1(VALU_DEP_1)
	v_dual_add_nc_u32 v7, v5, v7 :: v_dual_sub_nc_u32 v9, v3, v9
	v_lshrrev_b32_e32 v3, s9, v7
	s_wait_kmcnt 0x0
	s_delay_alu instid0(VALU_DEP_2) | instskip(NEXT) | instid1(VALU_DEP_2)
	v_mad_u32 v0, v9, s16, v0
	v_mul_lo_u32 v7, v3, s15
	v_mad_u32 v8, v9, s18, v8
	v_mad_u32 v9, v9, s17, v10
	s_delay_alu instid0(VALU_DEP_3) | instskip(NEXT) | instid1(VALU_DEP_1)
	v_sub_nc_u32_e32 v5, v5, v7
	v_mad_u32 v0, v5, s19, v0
	s_delay_alu instid0(VALU_DEP_4) | instskip(NEXT) | instid1(VALU_DEP_4)
	v_mad_u32 v8, v5, s13, v8
	v_mad_u32 v10, v5, s12, v9
	s_cbranch_scc1 .LBB151_1687
; %bb.1688:
	s_bitcmp1_b32 s5, 0
	s_cselect_b32 s5, -1, 0
	s_delay_alu instid0(SALU_CYCLE_1)
	s_and_b32 vcc_lo, exec_lo, s5
	s_cbranch_vccnz .LBB151_1691
; %bb.1689:
	s_clause 0x1
	s_load_b96 s[12:14], s[0:1], 0x1c
	s_load_b96 s[16:18], s[0:1], 0xdc
	s_wait_kmcnt 0x0
	v_mul_hi_u32 v5, s13, v3
	s_delay_alu instid0(VALU_DEP_1) | instskip(NEXT) | instid1(VALU_DEP_1)
	v_add_nc_u32_e32 v5, v3, v5
	v_lshrrev_b32_e32 v5, s14, v5
	s_delay_alu instid0(VALU_DEP_1) | instskip(NEXT) | instid1(VALU_DEP_1)
	v_mul_lo_u32 v5, v5, s12
	v_sub_nc_u32_e32 v3, v3, v5
	s_delay_alu instid0(VALU_DEP_1)
	v_mad_u32 v0, v3, s16, v0
	v_mad_u32 v10, v3, s17, v10
	;; [unrolled: 1-line block ×3, first 2 shown]
	s_and_not1_b32 vcc_lo, exec_lo, s4
	s_cbranch_vccz .LBB151_1692
	s_branch .LBB151_1695
.LBB151_1690:
	s_mov_b32 s4, -1
                                        ; implicit-def: $vgpr8
                                        ; implicit-def: $vgpr10
                                        ; implicit-def: $vgpr0
.LBB151_1691:
	s_delay_alu instid0(SALU_CYCLE_1)
	s_and_not1_b32 vcc_lo, exec_lo, s4
	s_cbranch_vccnz .LBB151_1695
.LBB151_1692:
	s_clause 0x1
	s_load_b96 s[4:6], s[2:3], 0x4
	s_load_b96 s[12:14], s[2:3], 0xc4
	s_cmp_lt_u32 s28, 2
	s_wait_kmcnt 0x0
	v_mul_hi_u32 v0, s5, v1
	s_delay_alu instid0(VALU_DEP_1) | instskip(NEXT) | instid1(VALU_DEP_1)
	v_add_nc_u32_e32 v0, v1, v0
	v_lshrrev_b32_e32 v3, s6, v0
	s_delay_alu instid0(VALU_DEP_1) | instskip(NEXT) | instid1(VALU_DEP_1)
	v_mul_lo_u32 v0, v3, s4
	v_sub_nc_u32_e32 v1, v1, v0
	s_delay_alu instid0(VALU_DEP_1)
	v_mul_lo_u32 v0, v1, s12
	v_mul_lo_u32 v8, v1, s14
	;; [unrolled: 1-line block ×3, first 2 shown]
	s_cbranch_scc1 .LBB151_1695
; %bb.1693:
	s_clause 0x1
	s_load_b96 s[4:6], s[2:3], 0x10
	s_load_b96 s[12:14], s[2:3], 0xd0
	s_wait_kmcnt 0x0
	v_mul_hi_u32 v1, s5, v3
	s_delay_alu instid0(VALU_DEP_1) | instskip(NEXT) | instid1(VALU_DEP_1)
	v_add_nc_u32_e32 v1, v3, v1
	v_lshrrev_b32_e32 v1, s6, v1
	s_delay_alu instid0(VALU_DEP_1) | instskip(NEXT) | instid1(VALU_DEP_1)
	v_mul_lo_u32 v1, v1, s4
	v_sub_nc_u32_e32 v1, v3, v1
	s_delay_alu instid0(VALU_DEP_1)
	v_mad_u32 v0, v1, s12, v0
	v_mad_u32 v10, v1, s13, v10
	v_mad_u32 v8, v1, s14, v8
	s_branch .LBB151_1695
.LBB151_1694:
	v_dual_mov_b32 v8, 0 :: v_dual_mov_b32 v10, 0
	v_mov_b32_e32 v0, 0
	s_and_not1_b32 vcc_lo, exec_lo, s4
	s_cbranch_vccz .LBB151_1692
.LBB151_1695:
	v_mov_b32_e32 v23, 0
	s_load_b128 s[4:7], s[2:3], 0x188
	global_load_u8 v1, v23, s[2:3] offset:421
	s_wait_kmcnt 0x0
	v_add_nc_u64_e32 v[22:23], s[6:7], v[22:23]
	s_wait_loadcnt 0x0
	v_and_b32_e32 v3, 0xffff, v1
	v_readfirstlane_b32 s14, v1
	s_delay_alu instid0(VALU_DEP_2)
	v_cmp_gt_i32_e32 vcc_lo, 11, v3
	s_cbranch_vccnz .LBB151_1702
; %bb.1696:
	s_and_b32 s0, 0xffff, s14
	s_mov_b32 s8, 0
	s_cmp_gt_i32 s0, 25
	s_cbranch_scc0 .LBB151_1704
; %bb.1697:
	s_cmp_gt_i32 s0, 28
	s_cbranch_scc0 .LBB151_1705
; %bb.1698:
	;; [unrolled: 3-line block ×4, first 2 shown]
	s_cmp_eq_u32 s0, 46
	s_mov_b32 s12, 0
	s_cbranch_scc0 .LBB151_1710
; %bb.1701:
	global_load_b32 v1, v[22:23], off
	s_mov_b32 s1, 0
	s_mov_b32 s9, -1
	s_wait_loadcnt 0x0
	v_lshlrev_b32_e32 v3, 16, v1
	v_and_b32_e32 v5, 0xffff0000, v1
	s_delay_alu instid0(VALU_DEP_2) | instskip(NEXT) | instid1(VALU_DEP_2)
	v_cvt_f16_f32_e32 v1, v3
	v_cvt_f16_f32_e32 v3, v5
	s_branch .LBB151_1712
.LBB151_1702:
	s_mov_b32 s9, 0
	s_mov_b32 s1, s10
                                        ; implicit-def: $vgpr3
                                        ; implicit-def: $vgpr1
	s_cbranch_execnz .LBB151_1778
.LBB151_1703:
	s_and_not1_b32 vcc_lo, exec_lo, s9
	s_cbranch_vccz .LBB151_1825
	s_branch .LBB151_2793
.LBB151_1704:
	s_mov_b32 s9, 0
	s_mov_b32 s1, 0
                                        ; implicit-def: $vgpr3
                                        ; implicit-def: $vgpr1
	s_cbranch_execnz .LBB151_1742
	s_branch .LBB151_1774
.LBB151_1705:
	s_mov_b32 s9, 0
	s_mov_b32 s1, 0
                                        ; implicit-def: $vgpr3
                                        ; implicit-def: $vgpr1
	s_cbranch_execnz .LBB151_1724
	s_branch .LBB151_1741
.LBB151_1706:
	s_mov_b32 s12, -1
	s_mov_b32 s9, 0
	s_mov_b32 s1, 0
                                        ; implicit-def: $vgpr3
                                        ; implicit-def: $vgpr1
	s_branch .LBB151_1718
.LBB151_1707:
	s_mov_b32 s12, -1
	s_mov_b32 s9, 0
	s_mov_b32 s1, 0
	s_branch .LBB151_1711
.LBB151_1708:
	s_and_not1_saveexec_b32 s10, s10
	s_cbranch_execz .LBB151_1563
.LBB151_1709:
	v_add_f32_e32 v2, 0x46000000, v3
	s_and_not1_b32 s9, s9, exec_lo
	s_delay_alu instid0(VALU_DEP_1) | instskip(NEXT) | instid1(VALU_DEP_1)
	v_and_b32_e32 v2, 0xff, v2
	v_cmp_ne_u32_e32 vcc_lo, 0, v2
	s_and_b32 s11, vcc_lo, exec_lo
	s_delay_alu instid0(SALU_CYCLE_1)
	s_or_b32 s9, s9, s11
	s_or_b32 exec_lo, exec_lo, s10
	v_mov_b32_e32 v4, 0
	s_and_saveexec_b32 s10, s9
	s_cbranch_execnz .LBB151_1564
	s_branch .LBB151_1565
.LBB151_1710:
	s_mov_b32 s1, -1
	s_mov_b32 s9, 0
.LBB151_1711:
                                        ; implicit-def: $vgpr3
                                        ; implicit-def: $vgpr1
.LBB151_1712:
	s_and_b32 vcc_lo, exec_lo, s12
	s_cbranch_vccz .LBB151_1717
; %bb.1713:
	s_cmp_eq_u32 s0, 44
	s_cbranch_scc0 .LBB151_1715
; %bb.1714:
	global_load_u8 v1, v[22:23], off
	s_mov_b32 s1, 0
	s_mov_b32 s9, -1
	s_wait_loadcnt 0x0
	v_lshlrev_b32_e32 v3, 23, v1
	v_cmp_ne_u32_e32 vcc_lo, 0xff, v1
	s_delay_alu instid0(VALU_DEP_2) | instskip(NEXT) | instid1(VALU_DEP_1)
	v_cvt_f16_f32_e32 v3, v3
	v_cndmask_b32_e32 v3, 0x7e00, v3, vcc_lo
	v_cmp_ne_u32_e32 vcc_lo, 0, v1
	s_delay_alu instid0(VALU_DEP_2)
	v_cndmask_b32_e32 v1, 0, v3, vcc_lo
	s_branch .LBB151_1716
.LBB151_1715:
	s_mov_b32 s1, -1
                                        ; implicit-def: $vgpr1
.LBB151_1716:
	v_mov_b32_e32 v3, 0
.LBB151_1717:
	s_mov_b32 s12, 0
.LBB151_1718:
	s_delay_alu instid0(SALU_CYCLE_1)
	s_and_b32 vcc_lo, exec_lo, s12
	s_cbranch_vccz .LBB151_1723
; %bb.1719:
	s_cmp_eq_u32 s0, 29
	s_cbranch_scc0 .LBB151_1721
; %bb.1720:
	global_load_b64 v[24:25], v[22:23], off
	s_mov_b32 s1, 0
	s_mov_b32 s9, -1
	s_wait_loadcnt 0x0
	v_clz_i32_u32_e32 v1, v25
	s_delay_alu instid0(VALU_DEP_1) | instskip(NEXT) | instid1(VALU_DEP_1)
	v_min_u32_e32 v1, 32, v1
	v_lshlrev_b64_e32 v[24:25], v1, v[24:25]
	v_sub_nc_u32_e32 v1, 32, v1
	s_delay_alu instid0(VALU_DEP_2) | instskip(NEXT) | instid1(VALU_DEP_1)
	v_min_u32_e32 v3, 1, v24
	v_or_b32_e32 v3, v25, v3
	s_delay_alu instid0(VALU_DEP_1) | instskip(NEXT) | instid1(VALU_DEP_1)
	v_cvt_f32_u32_e32 v3, v3
	v_ldexp_f32 v1, v3, v1
	s_delay_alu instid0(VALU_DEP_1)
	v_cvt_f16_f32_e32 v1, v1
	s_branch .LBB151_1722
.LBB151_1721:
	s_mov_b32 s1, -1
                                        ; implicit-def: $vgpr1
.LBB151_1722:
	v_mov_b32_e32 v3, 0
.LBB151_1723:
	s_branch .LBB151_1741
.LBB151_1724:
	s_cmp_lt_i32 s0, 27
	s_cbranch_scc1 .LBB151_1727
; %bb.1725:
	s_cmp_gt_i32 s0, 27
	s_cbranch_scc0 .LBB151_1728
; %bb.1726:
	global_load_b32 v1, v[22:23], off
	s_mov_b32 s9, 0
	s_wait_loadcnt 0x0
	v_cvt_f32_u32_e32 v1, v1
	s_delay_alu instid0(VALU_DEP_1)
	v_cvt_f16_f32_e32 v1, v1
	s_branch .LBB151_1729
.LBB151_1727:
	s_mov_b32 s9, -1
                                        ; implicit-def: $vgpr1
	s_branch .LBB151_1732
.LBB151_1728:
	s_mov_b32 s9, -1
                                        ; implicit-def: $vgpr1
.LBB151_1729:
	s_delay_alu instid0(SALU_CYCLE_1)
	s_and_not1_b32 vcc_lo, exec_lo, s9
	s_cbranch_vccnz .LBB151_1731
; %bb.1730:
	global_load_u16 v1, v[22:23], off
	s_wait_loadcnt 0x0
	v_cvt_f16_u16_e32 v1, v1
.LBB151_1731:
	s_mov_b32 s9, 0
.LBB151_1732:
	s_delay_alu instid0(SALU_CYCLE_1)
	s_and_not1_b32 vcc_lo, exec_lo, s9
	s_cbranch_vccnz .LBB151_1740
; %bb.1733:
	global_load_u8 v3, v[22:23], off
	s_mov_b32 s9, 0
	s_mov_b32 s12, exec_lo
	s_wait_loadcnt 0x0
	v_cmpx_lt_i16_e32 0x7f, v3
	s_xor_b32 s12, exec_lo, s12
	s_cbranch_execz .LBB151_1753
; %bb.1734:
	s_mov_b32 s9, -1
	s_mov_b32 s13, exec_lo
	v_cmpx_eq_u16_e32 0x80, v3
; %bb.1735:
	s_xor_b32 s9, exec_lo, -1
; %bb.1736:
	s_or_b32 exec_lo, exec_lo, s13
	s_delay_alu instid0(SALU_CYCLE_1)
	s_and_b32 s9, s9, exec_lo
	s_or_saveexec_b32 s12, s12
	v_mov_b32_e32 v1, 0x7e00
	s_xor_b32 exec_lo, exec_lo, s12
	s_cbranch_execnz .LBB151_1754
.LBB151_1737:
	s_or_b32 exec_lo, exec_lo, s12
	s_and_saveexec_b32 s12, s9
	s_cbranch_execz .LBB151_1739
.LBB151_1738:
	v_and_b32_e32 v1, 0xffff, v3
	s_delay_alu instid0(VALU_DEP_1) | instskip(SKIP_1) | instid1(VALU_DEP_2)
	v_and_b32_e32 v5, 7, v1
	v_bfe_u32 v11, v1, 3, 4
	v_clz_i32_u32_e32 v7, v5
	s_delay_alu instid0(VALU_DEP_2) | instskip(NEXT) | instid1(VALU_DEP_2)
	v_cmp_eq_u32_e32 vcc_lo, 0, v11
	v_min_u32_e32 v7, 32, v7
	s_delay_alu instid0(VALU_DEP_1) | instskip(NEXT) | instid1(VALU_DEP_1)
	v_subrev_nc_u32_e32 v9, 28, v7
	v_dual_lshlrev_b32 v1, v9, v1 :: v_dual_sub_nc_u32 v7, 29, v7
	s_delay_alu instid0(VALU_DEP_1) | instskip(NEXT) | instid1(VALU_DEP_1)
	v_dual_lshlrev_b32 v3, 24, v3 :: v_dual_bitop2_b32 v1, 7, v1 bitop3:0x40
	v_dual_cndmask_b32 v1, v5, v1, vcc_lo :: v_dual_cndmask_b32 v7, v11, v7, vcc_lo
	s_delay_alu instid0(VALU_DEP_2) | instskip(NEXT) | instid1(VALU_DEP_2)
	v_and_b32_e32 v3, 0x80000000, v3
	v_lshlrev_b32_e32 v1, 20, v1
	s_delay_alu instid0(VALU_DEP_3) | instskip(NEXT) | instid1(VALU_DEP_1)
	v_lshl_add_u32 v5, v7, 23, 0x3b800000
	v_or3_b32 v1, v3, v5, v1
	s_delay_alu instid0(VALU_DEP_1)
	v_cvt_f16_f32_e32 v1, v1
.LBB151_1739:
	s_or_b32 exec_lo, exec_lo, s12
.LBB151_1740:
	v_mov_b32_e32 v3, 0
	s_mov_b32 s9, -1
.LBB151_1741:
	s_branch .LBB151_1774
.LBB151_1742:
	s_cmp_gt_i32 s0, 22
	s_cbranch_scc0 .LBB151_1752
; %bb.1743:
	s_cmp_lt_i32 s0, 24
	s_cbranch_scc1 .LBB151_1755
; %bb.1744:
	s_cmp_gt_i32 s0, 24
	s_cbranch_scc0 .LBB151_1756
; %bb.1745:
	global_load_u8 v3, v[22:23], off
	s_mov_b32 s9, exec_lo
	s_wait_loadcnt 0x0
	v_cmpx_lt_i16_e32 0x7f, v3
	s_xor_b32 s9, exec_lo, s9
	s_cbranch_execz .LBB151_1767
; %bb.1746:
	s_mov_b32 s8, -1
	s_mov_b32 s12, exec_lo
	v_cmpx_eq_u16_e32 0x80, v3
; %bb.1747:
	s_xor_b32 s8, exec_lo, -1
; %bb.1748:
	s_or_b32 exec_lo, exec_lo, s12
	s_delay_alu instid0(SALU_CYCLE_1)
	s_and_b32 s8, s8, exec_lo
	s_or_saveexec_b32 s9, s9
	v_mov_b32_e32 v1, 0x7e00
	s_xor_b32 exec_lo, exec_lo, s9
	s_cbranch_execnz .LBB151_1768
.LBB151_1749:
	s_or_b32 exec_lo, exec_lo, s9
	s_and_saveexec_b32 s9, s8
	s_cbranch_execz .LBB151_1751
.LBB151_1750:
	v_and_b32_e32 v1, 0xffff, v3
	s_delay_alu instid0(VALU_DEP_1) | instskip(SKIP_1) | instid1(VALU_DEP_2)
	v_and_b32_e32 v5, 3, v1
	v_bfe_u32 v11, v1, 2, 5
	v_clz_i32_u32_e32 v7, v5
	s_delay_alu instid0(VALU_DEP_2) | instskip(NEXT) | instid1(VALU_DEP_2)
	v_cmp_eq_u32_e32 vcc_lo, 0, v11
	v_min_u32_e32 v7, 32, v7
	s_delay_alu instid0(VALU_DEP_1) | instskip(NEXT) | instid1(VALU_DEP_1)
	v_subrev_nc_u32_e32 v9, 29, v7
	v_dual_lshlrev_b32 v1, v9, v1 :: v_dual_sub_nc_u32 v7, 30, v7
	s_delay_alu instid0(VALU_DEP_1) | instskip(NEXT) | instid1(VALU_DEP_1)
	v_dual_lshlrev_b32 v3, 24, v3 :: v_dual_bitop2_b32 v1, 3, v1 bitop3:0x40
	v_dual_cndmask_b32 v1, v5, v1, vcc_lo :: v_dual_cndmask_b32 v7, v11, v7, vcc_lo
	s_delay_alu instid0(VALU_DEP_2) | instskip(NEXT) | instid1(VALU_DEP_2)
	v_and_b32_e32 v3, 0x80000000, v3
	v_lshlrev_b32_e32 v1, 21, v1
	s_delay_alu instid0(VALU_DEP_3) | instskip(NEXT) | instid1(VALU_DEP_1)
	v_lshl_add_u32 v5, v7, 23, 0x37800000
	v_or3_b32 v1, v3, v5, v1
	s_delay_alu instid0(VALU_DEP_1)
	v_cvt_f16_f32_e32 v1, v1
.LBB151_1751:
	s_or_b32 exec_lo, exec_lo, s9
	s_mov_b32 s8, 0
	s_branch .LBB151_1757
.LBB151_1752:
                                        ; implicit-def: $vgpr1
	s_mov_b32 s8, 0
	s_branch .LBB151_1763
.LBB151_1753:
	s_or_saveexec_b32 s12, s12
	v_mov_b32_e32 v1, 0x7e00
	s_xor_b32 exec_lo, exec_lo, s12
	s_cbranch_execz .LBB151_1737
.LBB151_1754:
	v_cmp_ne_u16_e32 vcc_lo, 0, v3
	v_mov_b32_e32 v1, v3
	s_and_not1_b32 s9, s9, exec_lo
	s_and_b32 s13, vcc_lo, exec_lo
	s_delay_alu instid0(SALU_CYCLE_1)
	s_or_b32 s9, s9, s13
	s_or_b32 exec_lo, exec_lo, s12
	s_and_saveexec_b32 s12, s9
	s_cbranch_execnz .LBB151_1738
	s_branch .LBB151_1739
.LBB151_1755:
	s_mov_b32 s8, -1
                                        ; implicit-def: $vgpr1
	s_branch .LBB151_1760
.LBB151_1756:
	s_mov_b32 s8, -1
                                        ; implicit-def: $vgpr1
.LBB151_1757:
	s_delay_alu instid0(SALU_CYCLE_1)
	s_and_b32 vcc_lo, exec_lo, s8
	s_cbranch_vccz .LBB151_1759
; %bb.1758:
	global_load_u8 v1, v[22:23], off
	s_wait_loadcnt 0x0
	v_lshlrev_b32_e32 v1, 24, v1
	s_delay_alu instid0(VALU_DEP_1) | instskip(NEXT) | instid1(VALU_DEP_1)
	v_and_b32_e32 v3, 0x7f000000, v1
	v_clz_i32_u32_e32 v5, v3
	v_add_nc_u32_e32 v9, 0x1000000, v3
	v_cmp_ne_u32_e32 vcc_lo, 0, v3
	s_delay_alu instid0(VALU_DEP_3) | instskip(NEXT) | instid1(VALU_DEP_1)
	v_min_u32_e32 v5, 32, v5
	v_sub_nc_u32_e64 v5, v5, 4 clamp
	s_delay_alu instid0(VALU_DEP_1) | instskip(NEXT) | instid1(VALU_DEP_1)
	v_dual_lshlrev_b32 v7, v5, v3 :: v_dual_lshlrev_b32 v5, 23, v5
	v_lshrrev_b32_e32 v7, 4, v7
	s_delay_alu instid0(VALU_DEP_1) | instskip(SKIP_1) | instid1(VALU_DEP_2)
	v_sub_nc_u32_e32 v5, v7, v5
	v_ashrrev_i32_e32 v7, 8, v9
	v_add_nc_u32_e32 v5, 0x3c000000, v5
	s_delay_alu instid0(VALU_DEP_1) | instskip(NEXT) | instid1(VALU_DEP_1)
	v_and_or_b32 v5, 0x7f800000, v7, v5
	v_cndmask_b32_e32 v3, 0, v5, vcc_lo
	s_delay_alu instid0(VALU_DEP_1) | instskip(NEXT) | instid1(VALU_DEP_1)
	v_and_or_b32 v1, 0x80000000, v1, v3
	v_cvt_f16_f32_e32 v1, v1
.LBB151_1759:
	s_mov_b32 s8, 0
.LBB151_1760:
	s_delay_alu instid0(SALU_CYCLE_1)
	s_and_not1_b32 vcc_lo, exec_lo, s8
	s_cbranch_vccnz .LBB151_1762
; %bb.1761:
	global_load_u8 v1, v[22:23], off
	s_wait_loadcnt 0x0
	v_lshlrev_b32_e32 v3, 25, v1
	v_lshlrev_b16 v1, 8, v1
	s_delay_alu instid0(VALU_DEP_1) | instskip(SKIP_1) | instid1(VALU_DEP_2)
	v_and_or_b32 v7, 0x7f00, v1, 0.5
	v_bfe_i32 v1, v1, 0, 16
	v_add_f32_e32 v7, -0.5, v7
	v_lshrrev_b32_e32 v5, 4, v3
	v_cmp_gt_u32_e32 vcc_lo, 0x8000000, v3
	s_delay_alu instid0(VALU_DEP_2) | instskip(NEXT) | instid1(VALU_DEP_1)
	v_or_b32_e32 v5, 0x70000000, v5
	v_mul_f32_e32 v5, 0x7800000, v5
	s_delay_alu instid0(VALU_DEP_1) | instskip(NEXT) | instid1(VALU_DEP_1)
	v_cndmask_b32_e32 v3, v5, v7, vcc_lo
	v_and_or_b32 v1, 0x80000000, v1, v3
	s_delay_alu instid0(VALU_DEP_1)
	v_cvt_f16_f32_e32 v1, v1
.LBB151_1762:
	s_mov_b32 s9, -1
	s_mov_b32 s8, 0
	s_cbranch_execnz .LBB151_1773
.LBB151_1763:
	s_cmp_gt_i32 s0, 14
	s_cbranch_scc0 .LBB151_1766
; %bb.1764:
	s_cmp_eq_u32 s0, 15
	s_cbranch_scc0 .LBB151_1769
; %bb.1765:
	global_load_u16 v1, v[22:23], off
	s_mov_b32 s1, 0
	s_mov_b32 s9, -1
	s_wait_loadcnt 0x0
	v_lshlrev_b32_e32 v1, 16, v1
	s_delay_alu instid0(VALU_DEP_1)
	v_cvt_f16_f32_e32 v1, v1
	s_branch .LBB151_1771
.LBB151_1766:
	s_mov_b32 s8, -1
	s_branch .LBB151_1770
.LBB151_1767:
	s_or_saveexec_b32 s9, s9
	v_mov_b32_e32 v1, 0x7e00
	s_xor_b32 exec_lo, exec_lo, s9
	s_cbranch_execz .LBB151_1749
.LBB151_1768:
	v_cmp_ne_u16_e32 vcc_lo, 0, v3
	v_mov_b32_e32 v1, v3
	s_and_not1_b32 s8, s8, exec_lo
	s_and_b32 s12, vcc_lo, exec_lo
	s_delay_alu instid0(SALU_CYCLE_1)
	s_or_b32 s8, s8, s12
	s_or_b32 exec_lo, exec_lo, s9
	s_and_saveexec_b32 s9, s8
	s_cbranch_execnz .LBB151_1750
	s_branch .LBB151_1751
.LBB151_1769:
	s_mov_b32 s1, -1
.LBB151_1770:
                                        ; implicit-def: $vgpr1
.LBB151_1771:
	s_and_b32 vcc_lo, exec_lo, s8
	s_mov_b32 s8, 0
	s_cbranch_vccz .LBB151_1773
; %bb.1772:
	s_cmp_lg_u32 s0, 11
	s_mov_b32 s8, -1
	s_cselect_b32 s1, -1, 0
.LBB151_1773:
	v_mov_b32_e32 v3, 0
.LBB151_1774:
	s_and_b32 vcc_lo, exec_lo, s1
	s_mov_b32 s1, s10
	s_cbranch_vccnz .LBB151_1837
; %bb.1775:
	s_and_not1_b32 vcc_lo, exec_lo, s8
	s_cbranch_vccnz .LBB151_1777
.LBB151_1776:
	global_load_u8 v1, v[22:23], off
	v_mov_b32_e32 v3, 0
	s_mov_b32 s9, -1
	s_wait_loadcnt 0x0
	v_cmp_ne_u16_e32 vcc_lo, 0, v1
	v_cndmask_b32_e64 v1, 0, 0x3c00, vcc_lo
.LBB151_1777:
	s_branch .LBB151_1703
.LBB151_1778:
	s_and_b32 s0, 0xffff, s14
	s_delay_alu instid0(SALU_CYCLE_1)
	s_cmp_lt_i32 s0, 5
	s_cbranch_scc1 .LBB151_1783
; %bb.1779:
	s_cmp_lt_i32 s0, 8
	s_cbranch_scc1 .LBB151_1785
; %bb.1780:
	;; [unrolled: 3-line block ×3, first 2 shown]
	s_cmp_gt_i32 s0, 9
	s_cbranch_scc0 .LBB151_1787
; %bb.1782:
	global_load_b128 v[24:27], v[22:23], off
	v_mov_b32_e32 v21, 0x7e00
	s_mov_b32 s8, 0
	s_wait_loadcnt 0x0
	v_and_or_b32 v1, 0x1ff, v25, v24
	v_and_or_b32 v7, 0x1ff, v27, v26
	v_dual_lshrrev_b32 v3, 8, v25 :: v_dual_lshrrev_b32 v9, 8, v27
	v_bfe_u32 v5, v25, 20, 11
	s_delay_alu instid0(VALU_DEP_4) | instskip(SKIP_1) | instid1(VALU_DEP_3)
	v_cmp_ne_u32_e32 vcc_lo, 0, v1
	v_bfe_u32 v11, v27, 20, 11
	v_sub_nc_u32_e32 v13, 0x3f1, v5
	v_cndmask_b32_e64 v1, 0, 1, vcc_lo
	v_cmp_ne_u32_e32 vcc_lo, 0, v7
	v_add_nc_u32_e32 v5, 0xfffffc10, v5
	s_delay_alu instid0(VALU_DEP_3) | instskip(SKIP_3) | instid1(VALU_DEP_3)
	v_and_or_b32 v1, 0xffe, v3, v1
	v_cndmask_b32_e64 v7, 0, 1, vcc_lo
	v_sub_nc_u32_e32 v3, 0x3f1, v11
	v_add_nc_u32_e32 v11, 0xfffffc10, v11
	v_and_or_b32 v7, 0xffe, v9, v7
	v_med3_i32 v9, v13, 0, 13
	v_or_b32_e32 v13, 0x1000, v1
	v_med3_i32 v3, v3, 0, 13
	s_delay_alu instid0(VALU_DEP_4) | instskip(NEXT) | instid1(VALU_DEP_1)
	v_or_b32_e32 v15, 0x1000, v7
	v_dual_lshrrev_b32 v17, v9, v13 :: v_dual_lshrrev_b32 v19, v3, v15
	s_delay_alu instid0(VALU_DEP_1) | instskip(NEXT) | instid1(VALU_DEP_1)
	v_dual_lshlrev_b32 v9, v9, v17 :: v_dual_lshlrev_b32 v3, v3, v19
	v_cmp_ne_u32_e32 vcc_lo, v9, v13
	v_lshl_or_b32 v13, v5, 12, v1
	v_cndmask_b32_e64 v9, 0, 1, vcc_lo
	s_delay_alu instid0(VALU_DEP_4) | instskip(SKIP_3) | instid1(VALU_DEP_2)
	v_cmp_ne_u32_e32 vcc_lo, v3, v15
	v_lshl_or_b32 v15, v11, 12, v7
	v_cndmask_b32_e64 v3, 0, 1, vcc_lo
	v_cmp_gt_i32_e32 vcc_lo, 1, v5
	v_or_b32_e32 v3, v19, v3
	v_or_b32_e32 v9, v17, v9
	s_delay_alu instid0(VALU_DEP_1) | instskip(SKIP_1) | instid1(VALU_DEP_2)
	v_cndmask_b32_e32 v9, v13, v9, vcc_lo
	v_cmp_gt_i32_e32 vcc_lo, 1, v11
	v_dual_lshrrev_b32 v9, 2, v9 :: v_dual_bitop2_b32 v13, 7, v9 bitop3:0x40
	v_cndmask_b32_e32 v3, v15, v3, vcc_lo
	s_delay_alu instid0(VALU_DEP_2) | instskip(NEXT) | instid1(VALU_DEP_2)
	v_cmp_lt_i32_e32 vcc_lo, 5, v13
	v_dual_lshrrev_b32 v3, 2, v3 :: v_dual_bitop2_b32 v15, 7, v3 bitop3:0x40
	v_cndmask_b32_e64 v17, 0, 1, vcc_lo
	v_cmp_eq_u32_e32 vcc_lo, 3, v13
	v_cndmask_b32_e64 v13, 0, 1, vcc_lo
	s_delay_alu instid0(VALU_DEP_4) | instskip(SKIP_4) | instid1(VALU_DEP_2)
	v_cmp_lt_i32_e32 vcc_lo, 5, v15
	v_cndmask_b32_e64 v19, 0, 1, vcc_lo
	v_cmp_eq_u32_e32 vcc_lo, 3, v15
	v_cndmask_b32_e64 v15, 0, 1, vcc_lo
	v_cmp_ne_u32_e32 vcc_lo, 0, v1
	v_or_b32_e32 v15, v15, v19
	v_or_b32_e32 v13, v13, v17
	v_cndmask_b32_e32 v1, 0x7c00, v21, vcc_lo
	v_cmp_ne_u32_e32 vcc_lo, 0, v7
	s_delay_alu instid0(VALU_DEP_4) | instskip(NEXT) | instid1(VALU_DEP_4)
	v_dual_lshrrev_b32 v17, 16, v25 :: v_dual_add_nc_u32 v3, v3, v15
	v_dual_add_nc_u32 v9, v9, v13 :: v_dual_lshrrev_b32 v13, 16, v27
	v_cndmask_b32_e32 v7, 0x7c00, v21, vcc_lo
	v_cmp_gt_i32_e32 vcc_lo, 31, v5
	s_delay_alu instid0(VALU_DEP_3) | instskip(SKIP_3) | instid1(VALU_DEP_4)
	v_cndmask_b32_e32 v9, 0x7c00, v9, vcc_lo
	v_cmp_gt_i32_e32 vcc_lo, 31, v11
	v_cndmask_b32_e32 v3, 0x7c00, v3, vcc_lo
	v_cmp_eq_u32_e32 vcc_lo, 0x40f, v5
	v_cndmask_b32_e32 v1, v9, v1, vcc_lo
	v_cmp_eq_u32_e32 vcc_lo, 0x40f, v11
	s_delay_alu instid0(VALU_DEP_4) | instskip(NEXT) | instid1(VALU_DEP_3)
	v_cndmask_b32_e32 v3, v3, v7, vcc_lo
	v_and_or_b32 v1, 0x8000, v17, v1
	s_delay_alu instid0(VALU_DEP_2)
	v_and_or_b32 v3, 0x8000, v13, v3
	s_branch .LBB151_1788
.LBB151_1783:
                                        ; implicit-def: $vgpr3
                                        ; implicit-def: $vgpr1
	s_branch .LBB151_1806
.LBB151_1784:
	s_branch .LBB151_1825
.LBB151_1785:
                                        ; implicit-def: $vgpr3
                                        ; implicit-def: $vgpr1
	s_branch .LBB151_1794
.LBB151_1786:
	s_mov_b32 s8, -1
                                        ; implicit-def: $vgpr3
                                        ; implicit-def: $vgpr1
	s_branch .LBB151_1791
.LBB151_1787:
	s_mov_b32 s8, -1
                                        ; implicit-def: $vgpr3
                                        ; implicit-def: $vgpr1
.LBB151_1788:
	s_delay_alu instid0(SALU_CYCLE_1)
	s_and_not1_b32 vcc_lo, exec_lo, s8
	s_cbranch_vccnz .LBB151_1790
; %bb.1789:
	global_load_b64 v[24:25], v[22:23], off
	s_wait_loadcnt 0x0
	v_cvt_f16_f32_e32 v1, v24
	v_cvt_f16_f32_e32 v3, v25
.LBB151_1790:
	s_mov_b32 s8, 0
.LBB151_1791:
	s_delay_alu instid0(SALU_CYCLE_1)
	s_and_not1_b32 vcc_lo, exec_lo, s8
	s_cbranch_vccnz .LBB151_1793
; %bb.1792:
	global_load_b32 v1, v[22:23], off
	s_wait_loadcnt 0x0
	v_lshrrev_b32_e32 v3, 16, v1
.LBB151_1793:
	s_cbranch_execnz .LBB151_1805
.LBB151_1794:
	s_cmp_lt_i32 s0, 6
	s_cbranch_scc1 .LBB151_1797
; %bb.1795:
	s_cmp_gt_i32 s0, 6
	s_cbranch_scc0 .LBB151_1798
; %bb.1796:
	global_load_b64 v[24:25], v[22:23], off
	s_mov_b32 s8, 0
	s_wait_loadcnt 0x0
	v_and_or_b32 v1, 0x1ff, v25, v24
	v_lshrrev_b32_e32 v3, 8, v25
	v_bfe_u32 v5, v25, 20, 11
	s_delay_alu instid0(VALU_DEP_3) | instskip(NEXT) | instid1(VALU_DEP_2)
	v_cmp_ne_u32_e32 vcc_lo, 0, v1
	v_sub_nc_u32_e32 v7, 0x3f1, v5
	v_add_nc_u32_e32 v5, 0xfffffc10, v5
	v_cndmask_b32_e64 v1, 0, 1, vcc_lo
	s_delay_alu instid0(VALU_DEP_1) | instskip(NEXT) | instid1(VALU_DEP_4)
	v_and_or_b32 v1, 0xffe, v3, v1
	v_med3_i32 v3, v7, 0, 13
	s_delay_alu instid0(VALU_DEP_2) | instskip(NEXT) | instid1(VALU_DEP_1)
	v_or_b32_e32 v7, 0x1000, v1
	v_lshrrev_b32_e32 v9, v3, v7
	s_delay_alu instid0(VALU_DEP_1) | instskip(NEXT) | instid1(VALU_DEP_1)
	v_lshlrev_b32_e32 v3, v3, v9
	v_cmp_ne_u32_e32 vcc_lo, v3, v7
	v_lshl_or_b32 v7, v5, 12, v1
	v_cndmask_b32_e64 v3, 0, 1, vcc_lo
	v_cmp_gt_i32_e32 vcc_lo, 1, v5
	s_delay_alu instid0(VALU_DEP_2) | instskip(NEXT) | instid1(VALU_DEP_1)
	v_or_b32_e32 v3, v9, v3
	v_cndmask_b32_e32 v3, v7, v3, vcc_lo
	s_delay_alu instid0(VALU_DEP_1) | instskip(NEXT) | instid1(VALU_DEP_1)
	v_and_b32_e32 v7, 7, v3
	v_cmp_lt_i32_e32 vcc_lo, 5, v7
	v_cndmask_b32_e64 v9, 0, 1, vcc_lo
	v_cmp_eq_u32_e32 vcc_lo, 3, v7
	v_cndmask_b32_e64 v7, 0, 1, vcc_lo
	v_cmp_ne_u32_e32 vcc_lo, 0, v1
	s_delay_alu instid0(VALU_DEP_2) | instskip(SKIP_1) | instid1(VALU_DEP_2)
	v_dual_lshrrev_b32 v3, 2, v3 :: v_dual_bitop2_b32 v7, v7, v9 bitop3:0x54
	v_mov_b32_e32 v9, 0x7e00
	v_add_nc_u32_e32 v3, v3, v7
	s_delay_alu instid0(VALU_DEP_2) | instskip(SKIP_1) | instid1(VALU_DEP_3)
	v_cndmask_b32_e32 v1, 0x7c00, v9, vcc_lo
	v_cmp_gt_i32_e32 vcc_lo, 31, v5
	v_cndmask_b32_e32 v3, 0x7c00, v3, vcc_lo
	v_cmp_eq_u32_e32 vcc_lo, 0x40f, v5
	s_delay_alu instid0(VALU_DEP_2) | instskip(SKIP_1) | instid1(VALU_DEP_1)
	v_cndmask_b32_e32 v1, v3, v1, vcc_lo
	v_lshrrev_b32_e32 v3, 16, v25
	v_and_or_b32 v1, 0x8000, v3, v1
	s_branch .LBB151_1799
.LBB151_1797:
	s_mov_b32 s8, -1
                                        ; implicit-def: $vgpr1
	s_branch .LBB151_1802
.LBB151_1798:
	s_mov_b32 s8, -1
                                        ; implicit-def: $vgpr1
.LBB151_1799:
	s_delay_alu instid0(SALU_CYCLE_1)
	s_and_not1_b32 vcc_lo, exec_lo, s8
	s_cbranch_vccnz .LBB151_1801
; %bb.1800:
	global_load_b32 v1, v[22:23], off
	s_wait_loadcnt 0x0
	v_cvt_f16_f32_e32 v1, v1
.LBB151_1801:
	s_mov_b32 s8, 0
.LBB151_1802:
	s_delay_alu instid0(SALU_CYCLE_1)
	s_and_not1_b32 vcc_lo, exec_lo, s8
	s_cbranch_vccnz .LBB151_1804
; %bb.1803:
	global_load_u16 v1, v[22:23], off
.LBB151_1804:
	v_mov_b32_e32 v3, 0
.LBB151_1805:
	s_cbranch_execnz .LBB151_1784
.LBB151_1806:
	s_cmp_lt_i32 s0, 2
	s_cbranch_scc1 .LBB151_1810
; %bb.1807:
	s_cmp_lt_i32 s0, 3
	s_cbranch_scc1 .LBB151_1811
; %bb.1808:
	s_cmp_gt_i32 s0, 3
	s_cbranch_scc0 .LBB151_1812
; %bb.1809:
	global_load_b64 v[24:25], v[22:23], off
	s_mov_b32 s8, 0
	s_wait_loadcnt 0x0
	v_xor_b32_e32 v1, v24, v25
	v_cls_i32_e32 v3, v25
	s_delay_alu instid0(VALU_DEP_2) | instskip(NEXT) | instid1(VALU_DEP_1)
	v_ashrrev_i32_e32 v1, 31, v1
	v_add_nc_u32_e32 v1, 32, v1
	s_delay_alu instid0(VALU_DEP_1) | instskip(NEXT) | instid1(VALU_DEP_1)
	v_add_min_u32_e64 v1, v3, -1, v1
	v_lshlrev_b64_e32 v[24:25], v1, v[24:25]
	v_sub_nc_u32_e32 v1, 32, v1
	s_delay_alu instid0(VALU_DEP_2) | instskip(NEXT) | instid1(VALU_DEP_1)
	v_min_u32_e32 v3, 1, v24
	v_or_b32_e32 v3, v25, v3
	s_delay_alu instid0(VALU_DEP_1) | instskip(NEXT) | instid1(VALU_DEP_1)
	v_cvt_f32_i32_e32 v3, v3
	v_ldexp_f32 v1, v3, v1
	s_delay_alu instid0(VALU_DEP_1)
	v_cvt_f16_f32_e32 v1, v1
	s_branch .LBB151_1813
.LBB151_1810:
                                        ; implicit-def: $vgpr1
	s_branch .LBB151_1819
.LBB151_1811:
	s_mov_b32 s8, -1
                                        ; implicit-def: $vgpr1
	s_branch .LBB151_1816
.LBB151_1812:
	s_mov_b32 s8, -1
                                        ; implicit-def: $vgpr1
.LBB151_1813:
	s_delay_alu instid0(SALU_CYCLE_1)
	s_and_not1_b32 vcc_lo, exec_lo, s8
	s_cbranch_vccnz .LBB151_1815
; %bb.1814:
	s_wait_loadcnt 0x0
	global_load_b32 v1, v[22:23], off
	s_wait_loadcnt 0x0
	v_cvt_f32_i32_e32 v1, v1
	s_delay_alu instid0(VALU_DEP_1)
	v_cvt_f16_f32_e32 v1, v1
.LBB151_1815:
	s_mov_b32 s8, 0
.LBB151_1816:
	s_delay_alu instid0(SALU_CYCLE_1)
	s_and_not1_b32 vcc_lo, exec_lo, s8
	s_cbranch_vccnz .LBB151_1818
; %bb.1817:
	s_wait_loadcnt 0x0
	global_load_u16 v1, v[22:23], off
	s_wait_loadcnt 0x0
	v_cvt_f16_i16_e32 v1, v1
.LBB151_1818:
	s_cbranch_execnz .LBB151_1824
.LBB151_1819:
	s_cmp_gt_i32 s0, 0
	s_mov_b32 s0, 0
	s_cbranch_scc0 .LBB151_1821
; %bb.1820:
	s_wait_loadcnt 0x0
	global_load_i8 v1, v[22:23], off
	s_wait_loadcnt 0x0
	v_cvt_f16_i16_e32 v1, v1
	s_branch .LBB151_1822
.LBB151_1821:
	s_mov_b32 s0, -1
                                        ; implicit-def: $vgpr1
.LBB151_1822:
	s_delay_alu instid0(SALU_CYCLE_1)
	s_and_not1_b32 vcc_lo, exec_lo, s0
	s_cbranch_vccnz .LBB151_1824
; %bb.1823:
	s_wait_loadcnt 0x0
	global_load_u8 v1, v[22:23], off
	s_wait_loadcnt 0x0
	v_cvt_f16_u16_e32 v1, v1
.LBB151_1824:
	v_mov_b32_e32 v3, 0
.LBB151_1825:
	v_mov_b32_e32 v21, 0
	s_load_b64 s[8:9], s[2:3], 0x198
	global_load_u8 v5, v21, s[2:3] offset:422
	s_wait_kmcnt 0x0
	v_add_nc_u64_e32 v[20:21], s[8:9], v[20:21]
	s_wait_loadcnt 0x0
	v_and_b32_e32 v7, 0xffff, v5
	v_readfirstlane_b32 s16, v5
	s_delay_alu instid0(VALU_DEP_2)
	v_cmp_gt_i32_e32 vcc_lo, 11, v7
	s_cbranch_vccnz .LBB151_1832
; %bb.1826:
	s_and_b32 s0, 0xffff, s16
	s_mov_b32 s13, 0
	s_cmp_gt_i32 s0, 25
	s_cbranch_scc0 .LBB151_1834
; %bb.1827:
	s_cmp_gt_i32 s0, 28
	s_cbranch_scc0 .LBB151_1835
; %bb.1828:
	;; [unrolled: 3-line block ×4, first 2 shown]
	s_cmp_eq_u32 s0, 46
	s_mov_b32 s17, 0
	s_cbranch_scc0 .LBB151_1841
; %bb.1831:
	global_load_b32 v5, v[20:21], off
	s_mov_b32 s12, 0
	s_mov_b32 s15, -1
	s_wait_loadcnt 0x0
	v_lshlrev_b32_e32 v7, 16, v5
	v_and_b32_e32 v9, 0xffff0000, v5
	s_delay_alu instid0(VALU_DEP_2) | instskip(NEXT) | instid1(VALU_DEP_2)
	v_cvt_f16_f32_e32 v5, v7
	v_cvt_f16_f32_e32 v7, v9
	s_branch .LBB151_1843
.LBB151_1832:
	s_mov_b32 s15, 0
                                        ; implicit-def: $vgpr7
                                        ; implicit-def: $vgpr5
	s_cbranch_execnz .LBB151_1911
.LBB151_1833:
	s_and_not1_b32 vcc_lo, exec_lo, s15
	s_cbranch_vccnz .LBB151_2793
	s_branch .LBB151_1960
.LBB151_1834:
	s_mov_b32 s15, 0
	s_mov_b32 s12, 0
                                        ; implicit-def: $vgpr7
                                        ; implicit-def: $vgpr5
	s_cbranch_execnz .LBB151_1874
	s_branch .LBB151_1907
.LBB151_1835:
	s_mov_b32 s17, -1
	s_mov_b32 s15, 0
	s_mov_b32 s12, 0
                                        ; implicit-def: $vgpr7
                                        ; implicit-def: $vgpr5
	s_branch .LBB151_1855
.LBB151_1836:
	s_mov_b32 s17, -1
	s_mov_b32 s15, 0
	s_mov_b32 s12, 0
                                        ; implicit-def: $vgpr7
                                        ; implicit-def: $vgpr5
	s_branch .LBB151_1849
.LBB151_1837:
	s_or_b32 s1, s10, exec_lo
	s_trap 2
	s_cbranch_execz .LBB151_1776
	s_branch .LBB151_1777
.LBB151_1838:
	s_mov_b32 s17, -1
	s_mov_b32 s15, 0
	s_mov_b32 s12, 0
	s_branch .LBB151_1842
.LBB151_1839:
	s_and_not1_saveexec_b32 s11, s11
	s_cbranch_execz .LBB151_1575
.LBB151_1840:
	v_add_f32_e32 v2, 0x42800000, v3
	s_and_not1_b32 s10, s10, exec_lo
	s_delay_alu instid0(VALU_DEP_1) | instskip(NEXT) | instid1(VALU_DEP_1)
	v_and_b32_e32 v2, 0xff, v2
	v_cmp_ne_u32_e32 vcc_lo, 0, v2
	s_and_b32 s12, vcc_lo, exec_lo
	s_delay_alu instid0(SALU_CYCLE_1)
	s_or_b32 s10, s10, s12
	s_or_b32 exec_lo, exec_lo, s11
	v_mov_b32_e32 v4, 0
	s_and_saveexec_b32 s11, s10
	s_cbranch_execnz .LBB151_1576
	s_branch .LBB151_1577
.LBB151_1841:
	s_mov_b32 s12, -1
	s_mov_b32 s15, 0
.LBB151_1842:
                                        ; implicit-def: $vgpr7
                                        ; implicit-def: $vgpr5
.LBB151_1843:
	s_and_b32 vcc_lo, exec_lo, s17
	s_cbranch_vccz .LBB151_1848
; %bb.1844:
	s_cmp_eq_u32 s0, 44
	s_cbranch_scc0 .LBB151_1846
; %bb.1845:
	global_load_u8 v5, v[20:21], off
	s_mov_b32 s12, 0
	s_mov_b32 s15, -1
	s_wait_loadcnt 0x0
	v_lshlrev_b32_e32 v7, 23, v5
	v_cmp_ne_u32_e32 vcc_lo, 0xff, v5
	s_delay_alu instid0(VALU_DEP_2) | instskip(NEXT) | instid1(VALU_DEP_1)
	v_cvt_f16_f32_e32 v7, v7
	v_cndmask_b32_e32 v7, 0x7e00, v7, vcc_lo
	v_cmp_ne_u32_e32 vcc_lo, 0, v5
	s_delay_alu instid0(VALU_DEP_2)
	v_cndmask_b32_e32 v5, 0, v7, vcc_lo
	s_branch .LBB151_1847
.LBB151_1846:
	s_mov_b32 s12, -1
                                        ; implicit-def: $vgpr5
.LBB151_1847:
	v_mov_b32_e32 v7, 0
.LBB151_1848:
	s_mov_b32 s17, 0
.LBB151_1849:
	s_delay_alu instid0(SALU_CYCLE_1)
	s_and_b32 vcc_lo, exec_lo, s17
	s_cbranch_vccz .LBB151_1854
; %bb.1850:
	s_cmp_eq_u32 s0, 29
	s_cbranch_scc0 .LBB151_1852
; %bb.1851:
	global_load_b64 v[22:23], v[20:21], off
	s_mov_b32 s12, 0
	s_mov_b32 s15, -1
	s_wait_loadcnt 0x0
	v_clz_i32_u32_e32 v5, v23
	s_delay_alu instid0(VALU_DEP_1) | instskip(NEXT) | instid1(VALU_DEP_1)
	v_min_u32_e32 v5, 32, v5
	v_lshlrev_b64_e32 v[22:23], v5, v[22:23]
	v_sub_nc_u32_e32 v5, 32, v5
	s_delay_alu instid0(VALU_DEP_2) | instskip(NEXT) | instid1(VALU_DEP_1)
	v_min_u32_e32 v7, 1, v22
	v_or_b32_e32 v7, v23, v7
	s_delay_alu instid0(VALU_DEP_1) | instskip(NEXT) | instid1(VALU_DEP_1)
	v_cvt_f32_u32_e32 v7, v7
	v_ldexp_f32 v5, v7, v5
	s_delay_alu instid0(VALU_DEP_1)
	v_cvt_f16_f32_e32 v5, v5
	s_branch .LBB151_1853
.LBB151_1852:
	s_mov_b32 s12, -1
                                        ; implicit-def: $vgpr5
.LBB151_1853:
	v_mov_b32_e32 v7, 0
.LBB151_1854:
	s_mov_b32 s17, 0
.LBB151_1855:
	s_delay_alu instid0(SALU_CYCLE_1)
	s_and_b32 vcc_lo, exec_lo, s17
	s_cbranch_vccz .LBB151_1873
; %bb.1856:
	s_cmp_lt_i32 s0, 27
	s_cbranch_scc1 .LBB151_1859
; %bb.1857:
	s_cmp_gt_i32 s0, 27
	s_cbranch_scc0 .LBB151_1860
; %bb.1858:
	global_load_b32 v5, v[20:21], off
	s_mov_b32 s15, 0
	s_wait_loadcnt 0x0
	v_cvt_f32_u32_e32 v5, v5
	s_delay_alu instid0(VALU_DEP_1)
	v_cvt_f16_f32_e32 v5, v5
	s_branch .LBB151_1861
.LBB151_1859:
	s_mov_b32 s15, -1
                                        ; implicit-def: $vgpr5
	s_branch .LBB151_1864
.LBB151_1860:
	s_mov_b32 s15, -1
                                        ; implicit-def: $vgpr5
.LBB151_1861:
	s_delay_alu instid0(SALU_CYCLE_1)
	s_and_not1_b32 vcc_lo, exec_lo, s15
	s_cbranch_vccnz .LBB151_1863
; %bb.1862:
	global_load_u16 v5, v[20:21], off
	s_wait_loadcnt 0x0
	v_cvt_f16_u16_e32 v5, v5
.LBB151_1863:
	s_mov_b32 s15, 0
.LBB151_1864:
	s_delay_alu instid0(SALU_CYCLE_1)
	s_and_not1_b32 vcc_lo, exec_lo, s15
	s_cbranch_vccnz .LBB151_1872
; %bb.1865:
	global_load_u8 v7, v[20:21], off
	s_mov_b32 s15, 0
	s_mov_b32 s17, exec_lo
	s_wait_loadcnt 0x0
	v_cmpx_lt_i16_e32 0x7f, v7
	s_xor_b32 s17, exec_lo, s17
	s_cbranch_execz .LBB151_1885
; %bb.1866:
	s_mov_b32 s15, -1
	s_mov_b32 s18, exec_lo
	v_cmpx_eq_u16_e32 0x80, v7
; %bb.1867:
	s_xor_b32 s15, exec_lo, -1
; %bb.1868:
	s_or_b32 exec_lo, exec_lo, s18
	s_delay_alu instid0(SALU_CYCLE_1)
	s_and_b32 s15, s15, exec_lo
	s_or_saveexec_b32 s17, s17
	v_mov_b32_e32 v5, 0x7e00
	s_xor_b32 exec_lo, exec_lo, s17
	s_cbranch_execnz .LBB151_1886
.LBB151_1869:
	s_or_b32 exec_lo, exec_lo, s17
	s_and_saveexec_b32 s17, s15
	s_cbranch_execz .LBB151_1871
.LBB151_1870:
	v_and_b32_e32 v5, 0xffff, v7
	s_delay_alu instid0(VALU_DEP_1) | instskip(SKIP_1) | instid1(VALU_DEP_2)
	v_and_b32_e32 v9, 7, v5
	v_bfe_u32 v15, v5, 3, 4
	v_clz_i32_u32_e32 v11, v9
	s_delay_alu instid0(VALU_DEP_2) | instskip(NEXT) | instid1(VALU_DEP_2)
	v_cmp_eq_u32_e32 vcc_lo, 0, v15
	v_min_u32_e32 v11, 32, v11
	s_delay_alu instid0(VALU_DEP_1) | instskip(NEXT) | instid1(VALU_DEP_1)
	v_subrev_nc_u32_e32 v13, 28, v11
	v_dual_lshlrev_b32 v5, v13, v5 :: v_dual_sub_nc_u32 v11, 29, v11
	s_delay_alu instid0(VALU_DEP_1) | instskip(NEXT) | instid1(VALU_DEP_1)
	v_dual_lshlrev_b32 v7, 24, v7 :: v_dual_bitop2_b32 v5, 7, v5 bitop3:0x40
	v_dual_cndmask_b32 v5, v9, v5, vcc_lo :: v_dual_cndmask_b32 v11, v15, v11, vcc_lo
	s_delay_alu instid0(VALU_DEP_2) | instskip(NEXT) | instid1(VALU_DEP_2)
	v_and_b32_e32 v7, 0x80000000, v7
	v_lshlrev_b32_e32 v5, 20, v5
	s_delay_alu instid0(VALU_DEP_3) | instskip(NEXT) | instid1(VALU_DEP_1)
	v_lshl_add_u32 v9, v11, 23, 0x3b800000
	v_or3_b32 v5, v7, v9, v5
	s_delay_alu instid0(VALU_DEP_1)
	v_cvt_f16_f32_e32 v5, v5
.LBB151_1871:
	s_or_b32 exec_lo, exec_lo, s17
.LBB151_1872:
	v_mov_b32_e32 v7, 0
	s_mov_b32 s15, -1
.LBB151_1873:
	s_branch .LBB151_1907
.LBB151_1874:
	s_cmp_gt_i32 s0, 22
	s_cbranch_scc0 .LBB151_1884
; %bb.1875:
	s_cmp_lt_i32 s0, 24
	s_cbranch_scc1 .LBB151_1887
; %bb.1876:
	s_cmp_gt_i32 s0, 24
	s_cbranch_scc0 .LBB151_1888
; %bb.1877:
	global_load_u8 v7, v[20:21], off
	s_mov_b32 s15, exec_lo
	s_wait_loadcnt 0x0
	v_cmpx_lt_i16_e32 0x7f, v7
	s_xor_b32 s15, exec_lo, s15
	s_cbranch_execz .LBB151_1900
; %bb.1878:
	s_mov_b32 s13, -1
	s_mov_b32 s17, exec_lo
	v_cmpx_eq_u16_e32 0x80, v7
; %bb.1879:
	s_xor_b32 s13, exec_lo, -1
; %bb.1880:
	s_or_b32 exec_lo, exec_lo, s17
	s_delay_alu instid0(SALU_CYCLE_1)
	s_and_b32 s13, s13, exec_lo
	s_or_saveexec_b32 s15, s15
	v_mov_b32_e32 v5, 0x7e00
	s_xor_b32 exec_lo, exec_lo, s15
	s_cbranch_execnz .LBB151_1901
.LBB151_1881:
	s_or_b32 exec_lo, exec_lo, s15
	s_and_saveexec_b32 s15, s13
	s_cbranch_execz .LBB151_1883
.LBB151_1882:
	v_and_b32_e32 v5, 0xffff, v7
	s_delay_alu instid0(VALU_DEP_1) | instskip(SKIP_1) | instid1(VALU_DEP_2)
	v_and_b32_e32 v9, 3, v5
	v_bfe_u32 v15, v5, 2, 5
	v_clz_i32_u32_e32 v11, v9
	s_delay_alu instid0(VALU_DEP_2) | instskip(NEXT) | instid1(VALU_DEP_2)
	v_cmp_eq_u32_e32 vcc_lo, 0, v15
	v_min_u32_e32 v11, 32, v11
	s_delay_alu instid0(VALU_DEP_1) | instskip(NEXT) | instid1(VALU_DEP_1)
	v_subrev_nc_u32_e32 v13, 29, v11
	v_dual_lshlrev_b32 v5, v13, v5 :: v_dual_sub_nc_u32 v11, 30, v11
	s_delay_alu instid0(VALU_DEP_1) | instskip(NEXT) | instid1(VALU_DEP_1)
	v_dual_lshlrev_b32 v7, 24, v7 :: v_dual_bitop2_b32 v5, 3, v5 bitop3:0x40
	v_dual_cndmask_b32 v5, v9, v5, vcc_lo :: v_dual_cndmask_b32 v11, v15, v11, vcc_lo
	s_delay_alu instid0(VALU_DEP_2) | instskip(NEXT) | instid1(VALU_DEP_2)
	v_and_b32_e32 v7, 0x80000000, v7
	v_lshlrev_b32_e32 v5, 21, v5
	s_delay_alu instid0(VALU_DEP_3) | instskip(NEXT) | instid1(VALU_DEP_1)
	v_lshl_add_u32 v9, v11, 23, 0x37800000
	v_or3_b32 v5, v7, v9, v5
	s_delay_alu instid0(VALU_DEP_1)
	v_cvt_f16_f32_e32 v5, v5
.LBB151_1883:
	s_or_b32 exec_lo, exec_lo, s15
	s_mov_b32 s13, 0
	s_branch .LBB151_1889
.LBB151_1884:
	s_mov_b32 s13, -1
                                        ; implicit-def: $vgpr5
	s_branch .LBB151_1895
.LBB151_1885:
	s_or_saveexec_b32 s17, s17
	v_mov_b32_e32 v5, 0x7e00
	s_xor_b32 exec_lo, exec_lo, s17
	s_cbranch_execz .LBB151_1869
.LBB151_1886:
	v_cmp_ne_u16_e32 vcc_lo, 0, v7
	v_mov_b32_e32 v5, v7
	s_and_not1_b32 s15, s15, exec_lo
	s_and_b32 s18, vcc_lo, exec_lo
	s_delay_alu instid0(SALU_CYCLE_1)
	s_or_b32 s15, s15, s18
	s_or_b32 exec_lo, exec_lo, s17
	s_and_saveexec_b32 s17, s15
	s_cbranch_execnz .LBB151_1870
	s_branch .LBB151_1871
.LBB151_1887:
	s_mov_b32 s13, -1
                                        ; implicit-def: $vgpr5
	s_branch .LBB151_1892
.LBB151_1888:
	s_mov_b32 s13, -1
                                        ; implicit-def: $vgpr5
.LBB151_1889:
	s_delay_alu instid0(SALU_CYCLE_1)
	s_and_b32 vcc_lo, exec_lo, s13
	s_cbranch_vccz .LBB151_1891
; %bb.1890:
	global_load_u8 v5, v[20:21], off
	s_wait_loadcnt 0x0
	v_lshlrev_b32_e32 v5, 24, v5
	s_delay_alu instid0(VALU_DEP_1) | instskip(NEXT) | instid1(VALU_DEP_1)
	v_and_b32_e32 v7, 0x7f000000, v5
	v_clz_i32_u32_e32 v9, v7
	v_add_nc_u32_e32 v13, 0x1000000, v7
	v_cmp_ne_u32_e32 vcc_lo, 0, v7
	s_delay_alu instid0(VALU_DEP_3) | instskip(NEXT) | instid1(VALU_DEP_1)
	v_min_u32_e32 v9, 32, v9
	v_sub_nc_u32_e64 v9, v9, 4 clamp
	s_delay_alu instid0(VALU_DEP_1) | instskip(NEXT) | instid1(VALU_DEP_1)
	v_dual_lshlrev_b32 v11, v9, v7 :: v_dual_lshlrev_b32 v9, 23, v9
	v_lshrrev_b32_e32 v11, 4, v11
	s_delay_alu instid0(VALU_DEP_1) | instskip(SKIP_1) | instid1(VALU_DEP_2)
	v_sub_nc_u32_e32 v9, v11, v9
	v_ashrrev_i32_e32 v11, 8, v13
	v_add_nc_u32_e32 v9, 0x3c000000, v9
	s_delay_alu instid0(VALU_DEP_1) | instskip(NEXT) | instid1(VALU_DEP_1)
	v_and_or_b32 v9, 0x7f800000, v11, v9
	v_cndmask_b32_e32 v7, 0, v9, vcc_lo
	s_delay_alu instid0(VALU_DEP_1) | instskip(NEXT) | instid1(VALU_DEP_1)
	v_and_or_b32 v5, 0x80000000, v5, v7
	v_cvt_f16_f32_e32 v5, v5
.LBB151_1891:
	s_mov_b32 s13, 0
.LBB151_1892:
	s_delay_alu instid0(SALU_CYCLE_1)
	s_and_not1_b32 vcc_lo, exec_lo, s13
	s_cbranch_vccnz .LBB151_1894
; %bb.1893:
	global_load_u8 v5, v[20:21], off
	s_wait_loadcnt 0x0
	v_lshlrev_b32_e32 v7, 25, v5
	v_lshlrev_b16 v5, 8, v5
	s_delay_alu instid0(VALU_DEP_1) | instskip(SKIP_1) | instid1(VALU_DEP_2)
	v_and_or_b32 v11, 0x7f00, v5, 0.5
	v_bfe_i32 v5, v5, 0, 16
	v_add_f32_e32 v11, -0.5, v11
	v_lshrrev_b32_e32 v9, 4, v7
	v_cmp_gt_u32_e32 vcc_lo, 0x8000000, v7
	s_delay_alu instid0(VALU_DEP_2) | instskip(NEXT) | instid1(VALU_DEP_1)
	v_or_b32_e32 v9, 0x70000000, v9
	v_mul_f32_e32 v9, 0x7800000, v9
	s_delay_alu instid0(VALU_DEP_1) | instskip(NEXT) | instid1(VALU_DEP_1)
	v_cndmask_b32_e32 v7, v9, v11, vcc_lo
	v_and_or_b32 v5, 0x80000000, v5, v7
	s_delay_alu instid0(VALU_DEP_1)
	v_cvt_f16_f32_e32 v5, v5
.LBB151_1894:
	s_mov_b32 s13, 0
	s_mov_b32 s15, -1
.LBB151_1895:
	s_and_not1_b32 vcc_lo, exec_lo, s13
	s_mov_b32 s13, 0
	s_cbranch_vccnz .LBB151_1906
; %bb.1896:
	s_cmp_gt_i32 s0, 14
	s_cbranch_scc0 .LBB151_1899
; %bb.1897:
	s_cmp_eq_u32 s0, 15
	s_cbranch_scc0 .LBB151_1902
; %bb.1898:
	global_load_u16 v5, v[20:21], off
	s_mov_b32 s12, 0
	s_mov_b32 s15, -1
	s_wait_loadcnt 0x0
	v_lshlrev_b32_e32 v5, 16, v5
	s_delay_alu instid0(VALU_DEP_1)
	v_cvt_f16_f32_e32 v5, v5
	s_branch .LBB151_1904
.LBB151_1899:
	s_mov_b32 s13, -1
	s_branch .LBB151_1903
.LBB151_1900:
	s_or_saveexec_b32 s15, s15
	v_mov_b32_e32 v5, 0x7e00
	s_xor_b32 exec_lo, exec_lo, s15
	s_cbranch_execz .LBB151_1881
.LBB151_1901:
	v_cmp_ne_u16_e32 vcc_lo, 0, v7
	v_mov_b32_e32 v5, v7
	s_and_not1_b32 s13, s13, exec_lo
	s_and_b32 s17, vcc_lo, exec_lo
	s_delay_alu instid0(SALU_CYCLE_1)
	s_or_b32 s13, s13, s17
	s_or_b32 exec_lo, exec_lo, s15
	s_and_saveexec_b32 s15, s13
	s_cbranch_execnz .LBB151_1882
	s_branch .LBB151_1883
.LBB151_1902:
	s_mov_b32 s12, -1
.LBB151_1903:
                                        ; implicit-def: $vgpr5
.LBB151_1904:
	s_and_b32 vcc_lo, exec_lo, s13
	s_mov_b32 s13, 0
	s_cbranch_vccz .LBB151_1906
; %bb.1905:
	s_cmp_lg_u32 s0, 11
	s_mov_b32 s13, -1
	s_cselect_b32 s12, -1, 0
.LBB151_1906:
	v_mov_b32_e32 v7, 0
.LBB151_1907:
	s_and_b32 vcc_lo, exec_lo, s12
	s_cbranch_vccnz .LBB151_1988
; %bb.1908:
	s_and_not1_b32 vcc_lo, exec_lo, s13
	s_cbranch_vccnz .LBB151_1910
.LBB151_1909:
	global_load_u8 v5, v[20:21], off
	v_mov_b32_e32 v7, 0
	s_mov_b32 s15, -1
	s_wait_loadcnt 0x0
	v_cmp_ne_u16_e32 vcc_lo, 0, v5
	v_cndmask_b32_e64 v5, 0, 0x3c00, vcc_lo
.LBB151_1910:
	s_branch .LBB151_1833
.LBB151_1911:
	s_and_b32 s0, 0xffff, s16
	s_delay_alu instid0(SALU_CYCLE_1)
	s_cmp_lt_i32 s0, 5
	s_cbranch_scc1 .LBB151_1916
; %bb.1912:
	s_cmp_lt_i32 s0, 8
	s_cbranch_scc1 .LBB151_1918
; %bb.1913:
	;; [unrolled: 3-line block ×3, first 2 shown]
	s_cmp_gt_i32 s0, 9
	s_cbranch_scc0 .LBB151_1920
; %bb.1915:
	global_load_b128 v[22:25], v[20:21], off
	s_mov_b32 s12, 0
	s_wait_loadcnt 0x0
	v_and_or_b32 v5, 0x1ff, v23, v22
	v_and_or_b32 v11, 0x1ff, v25, v24
	v_dual_lshrrev_b32 v7, 8, v23 :: v_dual_lshrrev_b32 v13, 8, v25
	v_bfe_u32 v9, v23, 20, 11
	s_delay_alu instid0(VALU_DEP_4) | instskip(SKIP_1) | instid1(VALU_DEP_3)
	v_cmp_ne_u32_e32 vcc_lo, 0, v5
	v_bfe_u32 v15, v25, 20, 11
	v_sub_nc_u32_e32 v17, 0x3f1, v9
	v_cndmask_b32_e64 v5, 0, 1, vcc_lo
	v_cmp_ne_u32_e32 vcc_lo, 0, v11
	v_add_nc_u32_e32 v9, 0xfffffc10, v9
	s_delay_alu instid0(VALU_DEP_3) | instskip(SKIP_3) | instid1(VALU_DEP_3)
	v_and_or_b32 v5, 0xffe, v7, v5
	v_cndmask_b32_e64 v11, 0, 1, vcc_lo
	v_sub_nc_u32_e32 v7, 0x3f1, v15
	v_add_nc_u32_e32 v15, 0xfffffc10, v15
	v_and_or_b32 v11, 0xffe, v13, v11
	v_med3_i32 v13, v17, 0, 13
	v_or_b32_e32 v17, 0x1000, v5
	v_med3_i32 v7, v7, 0, 13
	s_delay_alu instid0(VALU_DEP_4) | instskip(NEXT) | instid1(VALU_DEP_1)
	v_or_b32_e32 v19, 0x1000, v11
	v_dual_lshrrev_b32 v22, v13, v17 :: v_dual_lshrrev_b32 v24, v7, v19
	s_delay_alu instid0(VALU_DEP_1) | instskip(NEXT) | instid1(VALU_DEP_1)
	v_dual_lshlrev_b32 v13, v13, v22 :: v_dual_lshlrev_b32 v7, v7, v24
	v_cmp_ne_u32_e32 vcc_lo, v13, v17
	v_lshl_or_b32 v17, v9, 12, v5
	v_cndmask_b32_e64 v13, 0, 1, vcc_lo
	s_delay_alu instid0(VALU_DEP_4) | instskip(SKIP_3) | instid1(VALU_DEP_2)
	v_cmp_ne_u32_e32 vcc_lo, v7, v19
	v_lshl_or_b32 v19, v15, 12, v11
	v_cndmask_b32_e64 v7, 0, 1, vcc_lo
	v_cmp_gt_i32_e32 vcc_lo, 1, v9
	v_or_b32_e32 v7, v24, v7
	v_or_b32_e32 v13, v22, v13
	s_delay_alu instid0(VALU_DEP_1) | instskip(SKIP_1) | instid1(VALU_DEP_2)
	v_cndmask_b32_e32 v13, v17, v13, vcc_lo
	v_cmp_gt_i32_e32 vcc_lo, 1, v15
	v_dual_lshrrev_b32 v13, 2, v13 :: v_dual_bitop2_b32 v17, 7, v13 bitop3:0x40
	v_cndmask_b32_e32 v7, v19, v7, vcc_lo
	s_delay_alu instid0(VALU_DEP_2) | instskip(NEXT) | instid1(VALU_DEP_2)
	v_cmp_lt_i32_e32 vcc_lo, 5, v17
	v_dual_lshrrev_b32 v7, 2, v7 :: v_dual_bitop2_b32 v19, 7, v7 bitop3:0x40
	v_cndmask_b32_e64 v22, 0, 1, vcc_lo
	v_cmp_eq_u32_e32 vcc_lo, 3, v17
	v_cndmask_b32_e64 v17, 0, 1, vcc_lo
	s_delay_alu instid0(VALU_DEP_4) | instskip(NEXT) | instid1(VALU_DEP_2)
	v_cmp_lt_i32_e32 vcc_lo, 5, v19
	v_dual_lshrrev_b32 v22, 16, v23 :: v_dual_bitop2_b32 v17, v17, v22 bitop3:0x54
	v_cndmask_b32_e64 v24, 0, 1, vcc_lo
	v_cmp_eq_u32_e32 vcc_lo, 3, v19
	s_delay_alu instid0(VALU_DEP_3) | instskip(SKIP_3) | instid1(VALU_DEP_2)
	v_dual_mov_b32 v26, 0x7e00 :: v_dual_add_nc_u32 v13, v13, v17
	v_lshrrev_b32_e32 v17, 16, v25
	v_cndmask_b32_e64 v19, 0, 1, vcc_lo
	v_cmp_ne_u32_e32 vcc_lo, 0, v5
	v_or_b32_e32 v19, v19, v24
	v_cndmask_b32_e32 v5, 0x7c00, v26, vcc_lo
	v_cmp_ne_u32_e32 vcc_lo, 0, v11
	v_cndmask_b32_e32 v11, 0x7c00, v26, vcc_lo
	v_cmp_gt_i32_e32 vcc_lo, 31, v9
	v_cndmask_b32_e32 v13, 0x7c00, v13, vcc_lo
	v_add_nc_u32_e32 v7, v7, v19
	v_cmp_gt_i32_e32 vcc_lo, 31, v15
	s_delay_alu instid0(VALU_DEP_2) | instskip(SKIP_3) | instid1(VALU_DEP_2)
	v_cndmask_b32_e32 v7, 0x7c00, v7, vcc_lo
	v_cmp_eq_u32_e32 vcc_lo, 0x40f, v9
	v_cndmask_b32_e32 v5, v13, v5, vcc_lo
	v_cmp_eq_u32_e32 vcc_lo, 0x40f, v15
	v_and_or_b32 v5, 0x8000, v22, v5
	v_cndmask_b32_e32 v7, v7, v11, vcc_lo
	s_delay_alu instid0(VALU_DEP_1)
	v_and_or_b32 v7, 0x8000, v17, v7
	s_branch .LBB151_1921
.LBB151_1916:
                                        ; implicit-def: $vgpr7
                                        ; implicit-def: $vgpr5
	s_branch .LBB151_1940
.LBB151_1917:
	s_branch .LBB151_1960
.LBB151_1918:
	s_mov_b32 s12, -1
                                        ; implicit-def: $vgpr7
                                        ; implicit-def: $vgpr5
	s_branch .LBB151_1927
.LBB151_1919:
	s_mov_b32 s12, -1
                                        ; implicit-def: $vgpr7
                                        ; implicit-def: $vgpr5
	s_branch .LBB151_1924
.LBB151_1920:
	s_mov_b32 s12, -1
                                        ; implicit-def: $vgpr7
                                        ; implicit-def: $vgpr5
.LBB151_1921:
	s_delay_alu instid0(SALU_CYCLE_1)
	s_and_not1_b32 vcc_lo, exec_lo, s12
	s_cbranch_vccnz .LBB151_1923
; %bb.1922:
	global_load_b64 v[22:23], v[20:21], off
	s_wait_loadcnt 0x0
	v_cvt_f16_f32_e32 v5, v22
	v_cvt_f16_f32_e32 v7, v23
.LBB151_1923:
	s_mov_b32 s12, 0
.LBB151_1924:
	s_delay_alu instid0(SALU_CYCLE_1)
	s_and_not1_b32 vcc_lo, exec_lo, s12
	s_cbranch_vccnz .LBB151_1926
; %bb.1925:
	global_load_b32 v5, v[20:21], off
	s_wait_loadcnt 0x0
	v_lshrrev_b32_e32 v7, 16, v5
.LBB151_1926:
	s_mov_b32 s12, 0
.LBB151_1927:
	s_delay_alu instid0(SALU_CYCLE_1)
	s_and_not1_b32 vcc_lo, exec_lo, s12
	s_cbranch_vccnz .LBB151_1939
; %bb.1928:
	s_cmp_lt_i32 s0, 6
	s_cbranch_scc1 .LBB151_1931
; %bb.1929:
	s_cmp_gt_i32 s0, 6
	s_cbranch_scc0 .LBB151_1932
; %bb.1930:
	global_load_b64 v[22:23], v[20:21], off
	s_mov_b32 s12, 0
	s_wait_loadcnt 0x0
	v_and_or_b32 v5, 0x1ff, v23, v22
	v_lshrrev_b32_e32 v7, 8, v23
	v_bfe_u32 v9, v23, 20, 11
	s_delay_alu instid0(VALU_DEP_3) | instskip(NEXT) | instid1(VALU_DEP_2)
	v_cmp_ne_u32_e32 vcc_lo, 0, v5
	v_sub_nc_u32_e32 v11, 0x3f1, v9
	v_add_nc_u32_e32 v9, 0xfffffc10, v9
	v_cndmask_b32_e64 v5, 0, 1, vcc_lo
	s_delay_alu instid0(VALU_DEP_1) | instskip(NEXT) | instid1(VALU_DEP_4)
	v_and_or_b32 v5, 0xffe, v7, v5
	v_med3_i32 v7, v11, 0, 13
	s_delay_alu instid0(VALU_DEP_2) | instskip(NEXT) | instid1(VALU_DEP_1)
	v_or_b32_e32 v11, 0x1000, v5
	v_lshrrev_b32_e32 v13, v7, v11
	s_delay_alu instid0(VALU_DEP_1) | instskip(NEXT) | instid1(VALU_DEP_1)
	v_lshlrev_b32_e32 v7, v7, v13
	v_cmp_ne_u32_e32 vcc_lo, v7, v11
	v_lshl_or_b32 v11, v9, 12, v5
	v_cndmask_b32_e64 v7, 0, 1, vcc_lo
	v_cmp_gt_i32_e32 vcc_lo, 1, v9
	s_delay_alu instid0(VALU_DEP_2) | instskip(NEXT) | instid1(VALU_DEP_1)
	v_or_b32_e32 v7, v13, v7
	v_cndmask_b32_e32 v7, v11, v7, vcc_lo
	s_delay_alu instid0(VALU_DEP_1) | instskip(NEXT) | instid1(VALU_DEP_1)
	v_dual_lshrrev_b32 v7, 2, v7 :: v_dual_bitop2_b32 v11, 7, v7 bitop3:0x40
	v_cmp_lt_i32_e32 vcc_lo, 5, v11
	v_cndmask_b32_e64 v13, 0, 1, vcc_lo
	v_cmp_eq_u32_e32 vcc_lo, 3, v11
	v_cndmask_b32_e64 v11, 0, 1, vcc_lo
	v_cmp_ne_u32_e32 vcc_lo, 0, v5
	s_delay_alu instid0(VALU_DEP_2) | instskip(SKIP_1) | instid1(VALU_DEP_2)
	v_or_b32_e32 v11, v11, v13
	v_mov_b32_e32 v13, 0x7e00
	v_add_nc_u32_e32 v7, v7, v11
	s_delay_alu instid0(VALU_DEP_2) | instskip(SKIP_1) | instid1(VALU_DEP_3)
	v_cndmask_b32_e32 v5, 0x7c00, v13, vcc_lo
	v_cmp_gt_i32_e32 vcc_lo, 31, v9
	v_cndmask_b32_e32 v7, 0x7c00, v7, vcc_lo
	v_cmp_eq_u32_e32 vcc_lo, 0x40f, v9
	s_delay_alu instid0(VALU_DEP_2) | instskip(NEXT) | instid1(VALU_DEP_1)
	v_dual_cndmask_b32 v5, v7, v5, vcc_lo :: v_dual_lshrrev_b32 v7, 16, v23
	v_and_or_b32 v5, 0x8000, v7, v5
	s_branch .LBB151_1933
.LBB151_1931:
	s_mov_b32 s12, -1
                                        ; implicit-def: $vgpr5
	s_branch .LBB151_1936
.LBB151_1932:
	s_mov_b32 s12, -1
                                        ; implicit-def: $vgpr5
.LBB151_1933:
	s_delay_alu instid0(SALU_CYCLE_1)
	s_and_not1_b32 vcc_lo, exec_lo, s12
	s_cbranch_vccnz .LBB151_1935
; %bb.1934:
	global_load_b32 v5, v[20:21], off
	s_wait_loadcnt 0x0
	v_cvt_f16_f32_e32 v5, v5
.LBB151_1935:
	s_mov_b32 s12, 0
.LBB151_1936:
	s_delay_alu instid0(SALU_CYCLE_1)
	s_and_not1_b32 vcc_lo, exec_lo, s12
	s_cbranch_vccnz .LBB151_1938
; %bb.1937:
	global_load_u16 v5, v[20:21], off
.LBB151_1938:
	v_mov_b32_e32 v7, 0
.LBB151_1939:
	s_cbranch_execnz .LBB151_1917
.LBB151_1940:
	s_cmp_lt_i32 s0, 2
	s_cbranch_scc1 .LBB151_1944
; %bb.1941:
	s_cmp_lt_i32 s0, 3
	s_cbranch_scc1 .LBB151_1945
; %bb.1942:
	s_cmp_gt_i32 s0, 3
	s_cbranch_scc0 .LBB151_1946
; %bb.1943:
	global_load_b64 v[22:23], v[20:21], off
	s_mov_b32 s12, 0
	s_wait_loadcnt 0x0
	v_xor_b32_e32 v5, v22, v23
	v_cls_i32_e32 v7, v23
	s_delay_alu instid0(VALU_DEP_2) | instskip(NEXT) | instid1(VALU_DEP_1)
	v_ashrrev_i32_e32 v5, 31, v5
	v_add_nc_u32_e32 v5, 32, v5
	s_delay_alu instid0(VALU_DEP_1) | instskip(NEXT) | instid1(VALU_DEP_1)
	v_add_min_u32_e64 v5, v7, -1, v5
	v_lshlrev_b64_e32 v[22:23], v5, v[22:23]
	v_sub_nc_u32_e32 v5, 32, v5
	s_delay_alu instid0(VALU_DEP_2) | instskip(NEXT) | instid1(VALU_DEP_1)
	v_min_u32_e32 v7, 1, v22
	v_or_b32_e32 v7, v23, v7
	s_delay_alu instid0(VALU_DEP_1) | instskip(NEXT) | instid1(VALU_DEP_1)
	v_cvt_f32_i32_e32 v7, v7
	v_ldexp_f32 v5, v7, v5
	s_delay_alu instid0(VALU_DEP_1)
	v_cvt_f16_f32_e32 v5, v5
	s_branch .LBB151_1947
.LBB151_1944:
	s_mov_b32 s12, -1
                                        ; implicit-def: $vgpr5
	s_branch .LBB151_1953
.LBB151_1945:
	s_mov_b32 s12, -1
                                        ; implicit-def: $vgpr5
	s_branch .LBB151_1950
.LBB151_1946:
	s_mov_b32 s12, -1
                                        ; implicit-def: $vgpr5
.LBB151_1947:
	s_delay_alu instid0(SALU_CYCLE_1)
	s_and_not1_b32 vcc_lo, exec_lo, s12
	s_cbranch_vccnz .LBB151_1949
; %bb.1948:
	s_wait_loadcnt 0x0
	global_load_b32 v5, v[20:21], off
	s_wait_loadcnt 0x0
	v_cvt_f32_i32_e32 v5, v5
	s_delay_alu instid0(VALU_DEP_1)
	v_cvt_f16_f32_e32 v5, v5
.LBB151_1949:
	s_mov_b32 s12, 0
.LBB151_1950:
	s_delay_alu instid0(SALU_CYCLE_1)
	s_and_not1_b32 vcc_lo, exec_lo, s12
	s_cbranch_vccnz .LBB151_1952
; %bb.1951:
	s_wait_loadcnt 0x0
	global_load_u16 v5, v[20:21], off
	s_wait_loadcnt 0x0
	v_cvt_f16_i16_e32 v5, v5
.LBB151_1952:
	s_mov_b32 s12, 0
.LBB151_1953:
	s_delay_alu instid0(SALU_CYCLE_1)
	s_and_not1_b32 vcc_lo, exec_lo, s12
	s_cbranch_vccnz .LBB151_1959
; %bb.1954:
	s_cmp_gt_i32 s0, 0
	s_mov_b32 s0, 0
	s_cbranch_scc0 .LBB151_1956
; %bb.1955:
	s_wait_loadcnt 0x0
	global_load_i8 v5, v[20:21], off
	s_wait_loadcnt 0x0
	v_cvt_f16_i16_e32 v5, v5
	s_branch .LBB151_1957
.LBB151_1956:
	s_mov_b32 s0, -1
                                        ; implicit-def: $vgpr5
.LBB151_1957:
	s_delay_alu instid0(SALU_CYCLE_1)
	s_and_not1_b32 vcc_lo, exec_lo, s0
	s_cbranch_vccnz .LBB151_1959
; %bb.1958:
	s_wait_loadcnt 0x0
	global_load_u8 v5, v[20:21], off
	s_wait_loadcnt 0x0
	v_cvt_f16_u16_e32 v5, v5
.LBB151_1959:
	v_mov_b32_e32 v7, 0
.LBB151_1960:
	s_load_b32 s0, s[2:3], 0x1a0
	s_mov_b32 s15, 0
	s_wait_kmcnt 0x0
	s_cmp_lg_u32 s0, 0
	s_cselect_b32 s13, -1, 0
	s_delay_alu instid0(SALU_CYCLE_1)
	s_and_b32 vcc_lo, exec_lo, s13
	s_cbranch_vccz .LBB151_1972
; %bb.1961:
	s_wait_loadcnt 0x0
	v_cmp_neq_f16_e32 vcc_lo, v1, v5
	v_cmp_neq_f16_e64 s0, v3, v7
	s_or_b32 s12, vcc_lo, s0
	s_and_not1_b32 vcc_lo, exec_lo, s15
	s_cbranch_vccnz .LBB151_1963
.LBB151_1962:
	s_wait_loadcnt 0x0
	v_cmp_eq_f16_e32 vcc_lo, v1, v5
	v_cmp_eq_f16_e64 s0, v3, v7
	s_and_not1_b32 s12, s12, exec_lo
	s_and_b32 s0, vcc_lo, s0
	s_delay_alu instid0(SALU_CYCLE_1) | instskip(NEXT) | instid1(SALU_CYCLE_1)
	s_and_b32 s0, s0, exec_lo
	s_or_b32 s12, s12, s0
.LBB151_1963:
	v_mov_b32_e32 v19, 0
	s_and_b32 s15, 0xffff, s14
	s_delay_alu instid0(SALU_CYCLE_1) | instskip(NEXT) | instid1(VALU_DEP_1)
	s_cmp_lt_i32 s15, 11
	v_add_nc_u64_e32 v[18:19], s[6:7], v[18:19]
	s_cbranch_scc1 .LBB151_1970
; %bb.1964:
	s_cmp_gt_i32 s15, 25
	s_mov_b32 s14, 0
	s_cbranch_scc0 .LBB151_1973
; %bb.1965:
	s_cmp_gt_i32 s15, 28
	s_cbranch_scc0 .LBB151_1984
; %bb.1966:
	s_cmp_gt_i32 s15, 43
	;; [unrolled: 3-line block ×3, first 2 shown]
	s_cbranch_scc0 .LBB151_1989
; %bb.1968:
	s_cmp_eq_u32 s15, 46
	s_mov_b32 s18, 0
	s_cbranch_scc0 .LBB151_2043
; %bb.1969:
	global_load_b32 v1, v[18:19], off
	s_mov_b32 s0, 0
	s_mov_b32 s17, -1
	s_wait_loadcnt 0x0
	v_lshlrev_b32_e32 v3, 16, v1
	v_and_b32_e32 v5, 0xffff0000, v1
	s_delay_alu instid0(VALU_DEP_2) | instskip(NEXT) | instid1(VALU_DEP_2)
	v_cvt_f16_f32_e32 v1, v3
	v_cvt_f16_f32_e32 v3, v5
	s_branch .LBB151_2045
.LBB151_1970:
	s_mov_b32 s17, 0
                                        ; implicit-def: $vgpr3
                                        ; implicit-def: $vgpr1
	s_cbranch_execnz .LBB151_1978
.LBB151_1971:
	s_and_not1_b32 vcc_lo, exec_lo, s17
	s_cbranch_vccnz .LBB151_2793
	s_branch .LBB151_2032
.LBB151_1972:
                                        ; implicit-def: $sgpr12
	s_branch .LBB151_1962
.LBB151_1973:
	s_mov_b32 s17, 0
	s_mov_b32 s0, 0
                                        ; implicit-def: $vgpr3
                                        ; implicit-def: $vgpr1
	s_cbranch_execnz .LBB151_2077
.LBB151_1974:
	s_and_b32 vcc_lo, exec_lo, s0
	s_cbranch_vccnz .LBB151_2110
.LBB151_1975:
	s_and_not1_b32 vcc_lo, exec_lo, s14
	s_cbranch_vccnz .LBB151_1977
.LBB151_1976:
	global_load_u8 v1, v[18:19], off
	v_mov_b32_e32 v3, 0
	s_mov_b32 s17, -1
	s_wait_loadcnt 0x0
	v_cmp_ne_u16_e32 vcc_lo, 0, v1
	v_cndmask_b32_e64 v1, 0, 0x3c00, vcc_lo
.LBB151_1977:
	s_branch .LBB151_1971
.LBB151_1978:
	s_cmp_lt_i32 s15, 5
	s_cbranch_scc1 .LBB151_1983
; %bb.1979:
	s_cmp_lt_i32 s15, 8
	s_cbranch_scc1 .LBB151_1985
; %bb.1980:
	s_cmp_lt_i32 s15, 9
	s_cbranch_scc1 .LBB151_1987
; %bb.1981:
	s_cmp_gt_i32 s15, 9
	s_cbranch_scc0 .LBB151_1990
; %bb.1982:
	global_load_b128 v[20:23], v[18:19], off
	s_mov_b32 s0, 0
	s_wait_loadcnt 0x0
	v_and_or_b32 v1, 0x1ff, v21, v20
	v_and_or_b32 v7, 0x1ff, v23, v22
	v_dual_lshrrev_b32 v3, 8, v21 :: v_dual_lshrrev_b32 v9, 8, v23
	v_bfe_u32 v5, v21, 20, 11
	s_delay_alu instid0(VALU_DEP_4) | instskip(SKIP_2) | instid1(VALU_DEP_4)
	v_cmp_ne_u32_e32 vcc_lo, 0, v1
	v_bfe_u32 v11, v23, 20, 11
	v_mov_b32_e32 v22, 0x7e00
	v_sub_nc_u32_e32 v13, 0x3f1, v5
	v_cndmask_b32_e64 v1, 0, 1, vcc_lo
	v_cmp_ne_u32_e32 vcc_lo, 0, v7
	v_add_nc_u32_e32 v5, 0xfffffc10, v5
	s_delay_alu instid0(VALU_DEP_3) | instskip(SKIP_3) | instid1(VALU_DEP_3)
	v_and_or_b32 v1, 0xffe, v3, v1
	v_cndmask_b32_e64 v7, 0, 1, vcc_lo
	v_sub_nc_u32_e32 v3, 0x3f1, v11
	v_add_nc_u32_e32 v11, 0xfffffc10, v11
	v_and_or_b32 v7, 0xffe, v9, v7
	v_med3_i32 v9, v13, 0, 13
	v_or_b32_e32 v13, 0x1000, v1
	v_med3_i32 v3, v3, 0, 13
	s_delay_alu instid0(VALU_DEP_4) | instskip(NEXT) | instid1(VALU_DEP_1)
	v_or_b32_e32 v15, 0x1000, v7
	v_dual_lshrrev_b32 v17, v9, v13 :: v_dual_lshrrev_b32 v20, v3, v15
	s_delay_alu instid0(VALU_DEP_1) | instskip(NEXT) | instid1(VALU_DEP_1)
	v_dual_lshlrev_b32 v9, v9, v17 :: v_dual_lshlrev_b32 v3, v3, v20
	v_cmp_ne_u32_e32 vcc_lo, v9, v13
	v_lshl_or_b32 v13, v5, 12, v1
	v_cndmask_b32_e64 v9, 0, 1, vcc_lo
	s_delay_alu instid0(VALU_DEP_4) | instskip(SKIP_3) | instid1(VALU_DEP_2)
	v_cmp_ne_u32_e32 vcc_lo, v3, v15
	v_lshl_or_b32 v15, v11, 12, v7
	v_cndmask_b32_e64 v3, 0, 1, vcc_lo
	v_cmp_gt_i32_e32 vcc_lo, 1, v5
	v_or_b32_e32 v3, v20, v3
	v_or_b32_e32 v9, v17, v9
	s_delay_alu instid0(VALU_DEP_1) | instskip(SKIP_1) | instid1(VALU_DEP_2)
	v_cndmask_b32_e32 v9, v13, v9, vcc_lo
	v_cmp_gt_i32_e32 vcc_lo, 1, v11
	v_dual_lshrrev_b32 v9, 2, v9 :: v_dual_bitop2_b32 v13, 7, v9 bitop3:0x40
	v_cndmask_b32_e32 v3, v15, v3, vcc_lo
	s_delay_alu instid0(VALU_DEP_2) | instskip(NEXT) | instid1(VALU_DEP_2)
	v_cmp_lt_i32_e32 vcc_lo, 5, v13
	v_dual_lshrrev_b32 v3, 2, v3 :: v_dual_bitop2_b32 v15, 7, v3 bitop3:0x40
	v_cndmask_b32_e64 v17, 0, 1, vcc_lo
	v_cmp_eq_u32_e32 vcc_lo, 3, v13
	v_cndmask_b32_e64 v13, 0, 1, vcc_lo
	s_delay_alu instid0(VALU_DEP_4) | instskip(SKIP_4) | instid1(VALU_DEP_2)
	v_cmp_lt_i32_e32 vcc_lo, 5, v15
	v_cndmask_b32_e64 v20, 0, 1, vcc_lo
	v_cmp_eq_u32_e32 vcc_lo, 3, v15
	v_cndmask_b32_e64 v15, 0, 1, vcc_lo
	v_cmp_ne_u32_e32 vcc_lo, 0, v1
	v_or_b32_e32 v15, v15, v20
	v_or_b32_e32 v13, v13, v17
	v_lshrrev_b32_e32 v17, 16, v21
	v_cndmask_b32_e32 v1, 0x7c00, v22, vcc_lo
	v_cmp_ne_u32_e32 vcc_lo, 0, v7
	s_delay_alu instid0(VALU_DEP_4) | instskip(SKIP_2) | instid1(VALU_DEP_3)
	v_dual_add_nc_u32 v3, v3, v15 :: v_dual_add_nc_u32 v9, v9, v13
	v_cndmask_b32_e32 v7, 0x7c00, v22, vcc_lo
	v_cmp_gt_i32_e32 vcc_lo, 31, v5
	v_cndmask_b32_e32 v9, 0x7c00, v9, vcc_lo
	v_cmp_gt_i32_e32 vcc_lo, 31, v11
	v_cndmask_b32_e32 v3, 0x7c00, v3, vcc_lo
	v_cmp_eq_u32_e32 vcc_lo, 0x40f, v5
	s_delay_alu instid0(VALU_DEP_4) | instskip(SKIP_1) | instid1(VALU_DEP_2)
	v_dual_lshrrev_b32 v13, 16, v23 :: v_dual_cndmask_b32 v1, v9, v1, vcc_lo
	v_cmp_eq_u32_e32 vcc_lo, 0x40f, v11
	v_and_or_b32 v1, 0x8000, v17, v1
	v_cndmask_b32_e32 v3, v3, v7, vcc_lo
	s_delay_alu instid0(VALU_DEP_1)
	v_and_or_b32 v3, 0x8000, v13, v3
	s_branch .LBB151_1991
.LBB151_1983:
	s_mov_b32 s0, -1
                                        ; implicit-def: $vgpr3
                                        ; implicit-def: $vgpr1
	s_branch .LBB151_2010
.LBB151_1984:
	s_mov_b32 s18, -1
	s_mov_b32 s17, 0
	s_mov_b32 s0, 0
                                        ; implicit-def: $vgpr3
                                        ; implicit-def: $vgpr1
	s_branch .LBB151_2058
.LBB151_1985:
	s_mov_b32 s0, -1
                                        ; implicit-def: $vgpr3
                                        ; implicit-def: $vgpr1
	s_branch .LBB151_1997
.LBB151_1986:
	s_mov_b32 s18, -1
	s_mov_b32 s17, 0
	s_mov_b32 s0, 0
                                        ; implicit-def: $vgpr3
                                        ; implicit-def: $vgpr1
	s_branch .LBB151_2052
.LBB151_1987:
	s_mov_b32 s0, -1
                                        ; implicit-def: $vgpr3
                                        ; implicit-def: $vgpr1
	s_branch .LBB151_1994
.LBB151_1988:
	s_or_b32 s1, s1, exec_lo
	s_trap 2
	s_cbranch_execz .LBB151_1909
	s_branch .LBB151_1910
.LBB151_1989:
	s_mov_b32 s18, -1
	s_mov_b32 s17, 0
	s_mov_b32 s0, 0
	s_branch .LBB151_2044
.LBB151_1990:
	s_mov_b32 s0, -1
                                        ; implicit-def: $vgpr3
                                        ; implicit-def: $vgpr1
.LBB151_1991:
	s_delay_alu instid0(SALU_CYCLE_1)
	s_and_not1_b32 vcc_lo, exec_lo, s0
	s_cbranch_vccnz .LBB151_1993
; %bb.1992:
	global_load_b64 v[20:21], v[18:19], off
	s_wait_loadcnt 0x0
	v_cvt_f16_f32_e32 v1, v20
	v_cvt_f16_f32_e32 v3, v21
.LBB151_1993:
	s_mov_b32 s0, 0
.LBB151_1994:
	s_delay_alu instid0(SALU_CYCLE_1)
	s_and_not1_b32 vcc_lo, exec_lo, s0
	s_cbranch_vccnz .LBB151_1996
; %bb.1995:
	global_load_b32 v1, v[18:19], off
	s_wait_loadcnt 0x0
	v_lshrrev_b32_e32 v3, 16, v1
.LBB151_1996:
	s_mov_b32 s0, 0
.LBB151_1997:
	s_delay_alu instid0(SALU_CYCLE_1)
	s_and_not1_b32 vcc_lo, exec_lo, s0
	s_cbranch_vccnz .LBB151_2009
; %bb.1998:
	s_cmp_lt_i32 s15, 6
	s_cbranch_scc1 .LBB151_2001
; %bb.1999:
	s_cmp_gt_i32 s15, 6
	s_cbranch_scc0 .LBB151_2002
; %bb.2000:
	global_load_b64 v[20:21], v[18:19], off
	s_mov_b32 s0, 0
	s_wait_loadcnt 0x0
	v_and_or_b32 v1, 0x1ff, v21, v20
	v_lshrrev_b32_e32 v3, 8, v21
	v_bfe_u32 v5, v21, 20, 11
	s_delay_alu instid0(VALU_DEP_3) | instskip(NEXT) | instid1(VALU_DEP_2)
	v_cmp_ne_u32_e32 vcc_lo, 0, v1
	v_sub_nc_u32_e32 v7, 0x3f1, v5
	v_add_nc_u32_e32 v5, 0xfffffc10, v5
	v_cndmask_b32_e64 v1, 0, 1, vcc_lo
	s_delay_alu instid0(VALU_DEP_1) | instskip(NEXT) | instid1(VALU_DEP_4)
	v_and_or_b32 v1, 0xffe, v3, v1
	v_med3_i32 v3, v7, 0, 13
	s_delay_alu instid0(VALU_DEP_2) | instskip(NEXT) | instid1(VALU_DEP_1)
	v_or_b32_e32 v7, 0x1000, v1
	v_lshrrev_b32_e32 v9, v3, v7
	s_delay_alu instid0(VALU_DEP_1) | instskip(NEXT) | instid1(VALU_DEP_1)
	v_lshlrev_b32_e32 v3, v3, v9
	v_cmp_ne_u32_e32 vcc_lo, v3, v7
	v_lshl_or_b32 v7, v5, 12, v1
	v_cndmask_b32_e64 v3, 0, 1, vcc_lo
	v_cmp_gt_i32_e32 vcc_lo, 1, v5
	s_delay_alu instid0(VALU_DEP_2) | instskip(NEXT) | instid1(VALU_DEP_1)
	v_or_b32_e32 v3, v9, v3
	v_cndmask_b32_e32 v3, v7, v3, vcc_lo
	s_delay_alu instid0(VALU_DEP_1) | instskip(NEXT) | instid1(VALU_DEP_1)
	v_and_b32_e32 v7, 7, v3
	v_cmp_lt_i32_e32 vcc_lo, 5, v7
	v_cndmask_b32_e64 v9, 0, 1, vcc_lo
	v_cmp_eq_u32_e32 vcc_lo, 3, v7
	v_cndmask_b32_e64 v7, 0, 1, vcc_lo
	v_cmp_ne_u32_e32 vcc_lo, 0, v1
	s_delay_alu instid0(VALU_DEP_2) | instskip(SKIP_1) | instid1(VALU_DEP_2)
	v_dual_lshrrev_b32 v3, 2, v3 :: v_dual_bitop2_b32 v7, v7, v9 bitop3:0x54
	v_mov_b32_e32 v9, 0x7e00
	v_add_nc_u32_e32 v3, v3, v7
	s_delay_alu instid0(VALU_DEP_2) | instskip(SKIP_1) | instid1(VALU_DEP_3)
	v_cndmask_b32_e32 v1, 0x7c00, v9, vcc_lo
	v_cmp_gt_i32_e32 vcc_lo, 31, v5
	v_cndmask_b32_e32 v3, 0x7c00, v3, vcc_lo
	v_cmp_eq_u32_e32 vcc_lo, 0x40f, v5
	s_delay_alu instid0(VALU_DEP_2) | instskip(SKIP_1) | instid1(VALU_DEP_1)
	v_cndmask_b32_e32 v1, v3, v1, vcc_lo
	v_lshrrev_b32_e32 v3, 16, v21
	v_and_or_b32 v1, 0x8000, v3, v1
	s_branch .LBB151_2003
.LBB151_2001:
	s_mov_b32 s0, -1
                                        ; implicit-def: $vgpr1
	s_branch .LBB151_2006
.LBB151_2002:
	s_mov_b32 s0, -1
                                        ; implicit-def: $vgpr1
.LBB151_2003:
	s_delay_alu instid0(SALU_CYCLE_1)
	s_and_not1_b32 vcc_lo, exec_lo, s0
	s_cbranch_vccnz .LBB151_2005
; %bb.2004:
	global_load_b32 v1, v[18:19], off
	s_wait_loadcnt 0x0
	v_cvt_f16_f32_e32 v1, v1
.LBB151_2005:
	s_mov_b32 s0, 0
.LBB151_2006:
	s_delay_alu instid0(SALU_CYCLE_1)
	s_and_not1_b32 vcc_lo, exec_lo, s0
	s_cbranch_vccnz .LBB151_2008
; %bb.2007:
	global_load_u16 v1, v[18:19], off
.LBB151_2008:
	v_mov_b32_e32 v3, 0
.LBB151_2009:
	s_mov_b32 s0, 0
.LBB151_2010:
	s_delay_alu instid0(SALU_CYCLE_1)
	s_and_not1_b32 vcc_lo, exec_lo, s0
	s_cbranch_vccnz .LBB151_2031
; %bb.2011:
	s_cmp_lt_i32 s15, 2
	s_cbranch_scc1 .LBB151_2015
; %bb.2012:
	s_cmp_lt_i32 s15, 3
	s_cbranch_scc1 .LBB151_2016
; %bb.2013:
	s_cmp_gt_i32 s15, 3
	s_cbranch_scc0 .LBB151_2017
; %bb.2014:
	global_load_b64 v[20:21], v[18:19], off
	s_mov_b32 s0, 0
	s_wait_loadcnt 0x0
	v_xor_b32_e32 v1, v20, v21
	v_cls_i32_e32 v3, v21
	s_delay_alu instid0(VALU_DEP_2) | instskip(NEXT) | instid1(VALU_DEP_1)
	v_ashrrev_i32_e32 v1, 31, v1
	v_add_nc_u32_e32 v1, 32, v1
	s_delay_alu instid0(VALU_DEP_1) | instskip(NEXT) | instid1(VALU_DEP_1)
	v_add_min_u32_e64 v1, v3, -1, v1
	v_lshlrev_b64_e32 v[20:21], v1, v[20:21]
	v_sub_nc_u32_e32 v1, 32, v1
	s_delay_alu instid0(VALU_DEP_2) | instskip(NEXT) | instid1(VALU_DEP_1)
	v_min_u32_e32 v3, 1, v20
	v_or_b32_e32 v3, v21, v3
	s_delay_alu instid0(VALU_DEP_1) | instskip(NEXT) | instid1(VALU_DEP_1)
	v_cvt_f32_i32_e32 v3, v3
	v_ldexp_f32 v1, v3, v1
	s_delay_alu instid0(VALU_DEP_1)
	v_cvt_f16_f32_e32 v1, v1
	s_branch .LBB151_2018
.LBB151_2015:
	s_mov_b32 s0, -1
                                        ; implicit-def: $vgpr1
	s_branch .LBB151_2024
.LBB151_2016:
	s_mov_b32 s0, -1
                                        ; implicit-def: $vgpr1
	s_branch .LBB151_2021
.LBB151_2017:
	s_mov_b32 s0, -1
                                        ; implicit-def: $vgpr1
.LBB151_2018:
	s_delay_alu instid0(SALU_CYCLE_1)
	s_and_not1_b32 vcc_lo, exec_lo, s0
	s_cbranch_vccnz .LBB151_2020
; %bb.2019:
	s_wait_loadcnt 0x0
	global_load_b32 v1, v[18:19], off
	s_wait_loadcnt 0x0
	v_cvt_f32_i32_e32 v1, v1
	s_delay_alu instid0(VALU_DEP_1)
	v_cvt_f16_f32_e32 v1, v1
.LBB151_2020:
	s_mov_b32 s0, 0
.LBB151_2021:
	s_delay_alu instid0(SALU_CYCLE_1)
	s_and_not1_b32 vcc_lo, exec_lo, s0
	s_cbranch_vccnz .LBB151_2023
; %bb.2022:
	s_wait_loadcnt 0x0
	global_load_u16 v1, v[18:19], off
	s_wait_loadcnt 0x0
	v_cvt_f16_i16_e32 v1, v1
.LBB151_2023:
	s_mov_b32 s0, 0
.LBB151_2024:
	s_delay_alu instid0(SALU_CYCLE_1)
	s_and_not1_b32 vcc_lo, exec_lo, s0
	s_cbranch_vccnz .LBB151_2030
; %bb.2025:
	s_cmp_gt_i32 s15, 0
	s_mov_b32 s0, 0
	s_cbranch_scc0 .LBB151_2027
; %bb.2026:
	s_wait_loadcnt 0x0
	global_load_i8 v1, v[18:19], off
	s_wait_loadcnt 0x0
	v_cvt_f16_i16_e32 v1, v1
	s_branch .LBB151_2028
.LBB151_2027:
	s_mov_b32 s0, -1
                                        ; implicit-def: $vgpr1
.LBB151_2028:
	s_delay_alu instid0(SALU_CYCLE_1)
	s_and_not1_b32 vcc_lo, exec_lo, s0
	s_cbranch_vccnz .LBB151_2030
; %bb.2029:
	s_wait_loadcnt 0x0
	global_load_u8 v1, v[18:19], off
	s_wait_loadcnt 0x0
	v_cvt_f16_u16_e32 v1, v1
.LBB151_2030:
	v_mov_b32_e32 v3, 0
.LBB151_2031:
.LBB151_2032:
	v_mov_b32_e32 v17, 0
	s_and_b32 s16, 0xffff, s16
	s_delay_alu instid0(SALU_CYCLE_1) | instskip(NEXT) | instid1(VALU_DEP_1)
	s_cmp_lt_i32 s16, 11
	v_add_nc_u64_e32 v[16:17], s[8:9], v[16:17]
	s_cbranch_scc1 .LBB151_2039
; %bb.2033:
	s_cmp_gt_i32 s16, 25
	s_mov_b32 s14, 0
	s_cbranch_scc0 .LBB151_2040
; %bb.2034:
	s_cmp_gt_i32 s16, 28
	s_cbranch_scc0 .LBB151_2041
; %bb.2035:
	s_cmp_gt_i32 s16, 43
	;; [unrolled: 3-line block ×3, first 2 shown]
	s_cbranch_scc0 .LBB151_2048
; %bb.2037:
	s_cmp_eq_u32 s16, 46
	s_mov_b32 s18, 0
	s_cbranch_scc0 .LBB151_2111
; %bb.2038:
	s_wait_loadcnt 0x0
	global_load_b32 v5, v[16:17], off
	s_mov_b32 s0, 0
	s_mov_b32 s17, -1
	s_wait_loadcnt 0x0
	v_lshlrev_b32_e32 v7, 16, v5
	v_and_b32_e32 v9, 0xffff0000, v5
	s_delay_alu instid0(VALU_DEP_2) | instskip(NEXT) | instid1(VALU_DEP_2)
	v_cvt_f16_f32_e32 v5, v7
	v_cvt_f16_f32_e32 v7, v9
	s_branch .LBB151_2113
.LBB151_2039:
	s_mov_b32 s0, -1
	s_mov_b32 s17, 0
                                        ; implicit-def: $vgpr7
                                        ; implicit-def: $vgpr5
	s_branch .LBB151_2159
.LBB151_2040:
	s_mov_b32 s18, -1
	s_mov_b32 s17, 0
	s_mov_b32 s0, 0
                                        ; implicit-def: $vgpr7
                                        ; implicit-def: $vgpr5
	s_branch .LBB151_2144
.LBB151_2041:
	s_mov_b32 s18, -1
	s_mov_b32 s17, 0
	s_mov_b32 s0, 0
                                        ; implicit-def: $vgpr7
                                        ; implicit-def: $vgpr5
	s_branch .LBB151_2125
.LBB151_2042:
	s_mov_b32 s18, -1
	s_mov_b32 s17, 0
	s_mov_b32 s0, 0
                                        ; implicit-def: $vgpr7
                                        ; implicit-def: $vgpr5
	s_branch .LBB151_2119
.LBB151_2043:
	s_mov_b32 s0, -1
	s_mov_b32 s17, 0
.LBB151_2044:
                                        ; implicit-def: $vgpr3
                                        ; implicit-def: $vgpr1
.LBB151_2045:
	s_and_b32 vcc_lo, exec_lo, s18
	s_cbranch_vccz .LBB151_2051
; %bb.2046:
	s_cmp_eq_u32 s15, 44
	s_cbranch_scc0 .LBB151_2049
; %bb.2047:
	global_load_u8 v1, v[18:19], off
	s_mov_b32 s0, 0
	s_mov_b32 s17, -1
	s_wait_loadcnt 0x0
	v_lshlrev_b32_e32 v3, 23, v1
	v_cmp_ne_u32_e32 vcc_lo, 0xff, v1
	s_delay_alu instid0(VALU_DEP_2) | instskip(NEXT) | instid1(VALU_DEP_1)
	v_cvt_f16_f32_e32 v3, v3
	v_cndmask_b32_e32 v3, 0x7e00, v3, vcc_lo
	v_cmp_ne_u32_e32 vcc_lo, 0, v1
	s_delay_alu instid0(VALU_DEP_2)
	v_cndmask_b32_e32 v1, 0, v3, vcc_lo
	s_branch .LBB151_2050
.LBB151_2048:
	s_mov_b32 s18, -1
	s_mov_b32 s17, 0
	s_mov_b32 s0, 0
	s_branch .LBB151_2112
.LBB151_2049:
	s_mov_b32 s0, -1
                                        ; implicit-def: $vgpr1
.LBB151_2050:
	v_mov_b32_e32 v3, 0
.LBB151_2051:
	s_mov_b32 s18, 0
.LBB151_2052:
	s_delay_alu instid0(SALU_CYCLE_1)
	s_and_b32 vcc_lo, exec_lo, s18
	s_cbranch_vccz .LBB151_2057
; %bb.2053:
	s_cmp_eq_u32 s15, 29
	s_cbranch_scc0 .LBB151_2055
; %bb.2054:
	global_load_b64 v[20:21], v[18:19], off
	s_mov_b32 s0, 0
	s_mov_b32 s17, -1
	s_wait_loadcnt 0x0
	v_clz_i32_u32_e32 v1, v21
	s_delay_alu instid0(VALU_DEP_1) | instskip(NEXT) | instid1(VALU_DEP_1)
	v_min_u32_e32 v1, 32, v1
	v_lshlrev_b64_e32 v[20:21], v1, v[20:21]
	v_sub_nc_u32_e32 v1, 32, v1
	s_delay_alu instid0(VALU_DEP_2) | instskip(NEXT) | instid1(VALU_DEP_1)
	v_min_u32_e32 v3, 1, v20
	v_or_b32_e32 v3, v21, v3
	s_delay_alu instid0(VALU_DEP_1) | instskip(NEXT) | instid1(VALU_DEP_1)
	v_cvt_f32_u32_e32 v3, v3
	v_ldexp_f32 v1, v3, v1
	s_delay_alu instid0(VALU_DEP_1)
	v_cvt_f16_f32_e32 v1, v1
	s_branch .LBB151_2056
.LBB151_2055:
	s_mov_b32 s0, -1
                                        ; implicit-def: $vgpr1
.LBB151_2056:
	v_mov_b32_e32 v3, 0
.LBB151_2057:
	s_mov_b32 s18, 0
.LBB151_2058:
	s_delay_alu instid0(SALU_CYCLE_1)
	s_and_b32 vcc_lo, exec_lo, s18
	s_cbranch_vccz .LBB151_2076
; %bb.2059:
	s_cmp_lt_i32 s15, 27
	s_cbranch_scc1 .LBB151_2062
; %bb.2060:
	s_cmp_gt_i32 s15, 27
	s_cbranch_scc0 .LBB151_2063
; %bb.2061:
	global_load_b32 v1, v[18:19], off
	s_mov_b32 s17, 0
	s_wait_loadcnt 0x0
	v_cvt_f32_u32_e32 v1, v1
	s_delay_alu instid0(VALU_DEP_1)
	v_cvt_f16_f32_e32 v1, v1
	s_branch .LBB151_2064
.LBB151_2062:
	s_mov_b32 s17, -1
                                        ; implicit-def: $vgpr1
	s_branch .LBB151_2067
.LBB151_2063:
	s_mov_b32 s17, -1
                                        ; implicit-def: $vgpr1
.LBB151_2064:
	s_delay_alu instid0(SALU_CYCLE_1)
	s_and_not1_b32 vcc_lo, exec_lo, s17
	s_cbranch_vccnz .LBB151_2066
; %bb.2065:
	global_load_u16 v1, v[18:19], off
	s_wait_loadcnt 0x0
	v_cvt_f16_u16_e32 v1, v1
.LBB151_2066:
	s_mov_b32 s17, 0
.LBB151_2067:
	s_delay_alu instid0(SALU_CYCLE_1)
	s_and_not1_b32 vcc_lo, exec_lo, s17
	s_cbranch_vccnz .LBB151_2075
; %bb.2068:
	global_load_u8 v3, v[18:19], off
	s_mov_b32 s17, 0
	s_mov_b32 s18, exec_lo
	s_wait_loadcnt 0x0
	v_cmpx_lt_i16_e32 0x7f, v3
	s_xor_b32 s18, exec_lo, s18
	s_cbranch_execz .LBB151_2088
; %bb.2069:
	s_mov_b32 s17, -1
	s_mov_b32 s19, exec_lo
	v_cmpx_eq_u16_e32 0x80, v3
; %bb.2070:
	s_xor_b32 s17, exec_lo, -1
; %bb.2071:
	s_or_b32 exec_lo, exec_lo, s19
	s_delay_alu instid0(SALU_CYCLE_1)
	s_and_b32 s17, s17, exec_lo
	s_or_saveexec_b32 s18, s18
	v_mov_b32_e32 v1, 0x7e00
	s_xor_b32 exec_lo, exec_lo, s18
	s_cbranch_execnz .LBB151_2089
.LBB151_2072:
	s_or_b32 exec_lo, exec_lo, s18
	s_and_saveexec_b32 s18, s17
	s_cbranch_execz .LBB151_2074
.LBB151_2073:
	v_and_b32_e32 v1, 0xffff, v3
	s_delay_alu instid0(VALU_DEP_1) | instskip(SKIP_1) | instid1(VALU_DEP_2)
	v_and_b32_e32 v5, 7, v1
	v_bfe_u32 v11, v1, 3, 4
	v_clz_i32_u32_e32 v7, v5
	s_delay_alu instid0(VALU_DEP_2) | instskip(NEXT) | instid1(VALU_DEP_2)
	v_cmp_eq_u32_e32 vcc_lo, 0, v11
	v_min_u32_e32 v7, 32, v7
	s_delay_alu instid0(VALU_DEP_1) | instskip(NEXT) | instid1(VALU_DEP_1)
	v_subrev_nc_u32_e32 v9, 28, v7
	v_dual_lshlrev_b32 v1, v9, v1 :: v_dual_sub_nc_u32 v7, 29, v7
	s_delay_alu instid0(VALU_DEP_1) | instskip(NEXT) | instid1(VALU_DEP_1)
	v_dual_lshlrev_b32 v3, 24, v3 :: v_dual_bitop2_b32 v1, 7, v1 bitop3:0x40
	v_dual_cndmask_b32 v1, v5, v1, vcc_lo :: v_dual_cndmask_b32 v7, v11, v7, vcc_lo
	s_delay_alu instid0(VALU_DEP_2) | instskip(NEXT) | instid1(VALU_DEP_2)
	v_and_b32_e32 v3, 0x80000000, v3
	v_lshlrev_b32_e32 v1, 20, v1
	s_delay_alu instid0(VALU_DEP_3) | instskip(NEXT) | instid1(VALU_DEP_1)
	v_lshl_add_u32 v5, v7, 23, 0x3b800000
	v_or3_b32 v1, v3, v5, v1
	s_delay_alu instid0(VALU_DEP_1)
	v_cvt_f16_f32_e32 v1, v1
.LBB151_2074:
	s_or_b32 exec_lo, exec_lo, s18
.LBB151_2075:
	v_mov_b32_e32 v3, 0
	s_mov_b32 s17, -1
.LBB151_2076:
	s_branch .LBB151_1974
.LBB151_2077:
	s_cmp_gt_i32 s15, 22
	s_cbranch_scc0 .LBB151_2087
; %bb.2078:
	s_cmp_lt_i32 s15, 24
	s_cbranch_scc1 .LBB151_2090
; %bb.2079:
	s_cmp_gt_i32 s15, 24
	s_cbranch_scc0 .LBB151_2091
; %bb.2080:
	global_load_u8 v3, v[18:19], off
	s_mov_b32 s17, exec_lo
	s_wait_loadcnt 0x0
	v_cmpx_lt_i16_e32 0x7f, v3
	s_xor_b32 s17, exec_lo, s17
	s_cbranch_execz .LBB151_2103
; %bb.2081:
	s_mov_b32 s14, -1
	s_mov_b32 s18, exec_lo
	v_cmpx_eq_u16_e32 0x80, v3
; %bb.2082:
	s_xor_b32 s14, exec_lo, -1
; %bb.2083:
	s_or_b32 exec_lo, exec_lo, s18
	s_delay_alu instid0(SALU_CYCLE_1)
	s_and_b32 s14, s14, exec_lo
	s_or_saveexec_b32 s17, s17
	v_mov_b32_e32 v1, 0x7e00
	s_xor_b32 exec_lo, exec_lo, s17
	s_cbranch_execnz .LBB151_2104
.LBB151_2084:
	s_or_b32 exec_lo, exec_lo, s17
	s_and_saveexec_b32 s17, s14
	s_cbranch_execz .LBB151_2086
.LBB151_2085:
	v_and_b32_e32 v1, 0xffff, v3
	s_delay_alu instid0(VALU_DEP_1) | instskip(SKIP_1) | instid1(VALU_DEP_2)
	v_and_b32_e32 v5, 3, v1
	v_bfe_u32 v11, v1, 2, 5
	v_clz_i32_u32_e32 v7, v5
	s_delay_alu instid0(VALU_DEP_2) | instskip(NEXT) | instid1(VALU_DEP_2)
	v_cmp_eq_u32_e32 vcc_lo, 0, v11
	v_min_u32_e32 v7, 32, v7
	s_delay_alu instid0(VALU_DEP_1) | instskip(NEXT) | instid1(VALU_DEP_1)
	v_subrev_nc_u32_e32 v9, 29, v7
	v_dual_lshlrev_b32 v1, v9, v1 :: v_dual_sub_nc_u32 v7, 30, v7
	s_delay_alu instid0(VALU_DEP_1) | instskip(NEXT) | instid1(VALU_DEP_1)
	v_dual_lshlrev_b32 v3, 24, v3 :: v_dual_bitop2_b32 v1, 3, v1 bitop3:0x40
	v_dual_cndmask_b32 v1, v5, v1, vcc_lo :: v_dual_cndmask_b32 v7, v11, v7, vcc_lo
	s_delay_alu instid0(VALU_DEP_2) | instskip(NEXT) | instid1(VALU_DEP_2)
	v_and_b32_e32 v3, 0x80000000, v3
	v_lshlrev_b32_e32 v1, 21, v1
	s_delay_alu instid0(VALU_DEP_3) | instskip(NEXT) | instid1(VALU_DEP_1)
	v_lshl_add_u32 v5, v7, 23, 0x37800000
	v_or3_b32 v1, v3, v5, v1
	s_delay_alu instid0(VALU_DEP_1)
	v_cvt_f16_f32_e32 v1, v1
.LBB151_2086:
	s_or_b32 exec_lo, exec_lo, s17
	s_mov_b32 s14, 0
	s_branch .LBB151_2092
.LBB151_2087:
	s_mov_b32 s14, -1
                                        ; implicit-def: $vgpr1
	s_branch .LBB151_2098
.LBB151_2088:
	s_or_saveexec_b32 s18, s18
	v_mov_b32_e32 v1, 0x7e00
	s_xor_b32 exec_lo, exec_lo, s18
	s_cbranch_execz .LBB151_2072
.LBB151_2089:
	v_cmp_ne_u16_e32 vcc_lo, 0, v3
	v_mov_b32_e32 v1, v3
	s_and_not1_b32 s17, s17, exec_lo
	s_and_b32 s19, vcc_lo, exec_lo
	s_delay_alu instid0(SALU_CYCLE_1)
	s_or_b32 s17, s17, s19
	s_or_b32 exec_lo, exec_lo, s18
	s_and_saveexec_b32 s18, s17
	s_cbranch_execnz .LBB151_2073
	s_branch .LBB151_2074
.LBB151_2090:
	s_mov_b32 s14, -1
                                        ; implicit-def: $vgpr1
	s_branch .LBB151_2095
.LBB151_2091:
	s_mov_b32 s14, -1
                                        ; implicit-def: $vgpr1
.LBB151_2092:
	s_delay_alu instid0(SALU_CYCLE_1)
	s_and_b32 vcc_lo, exec_lo, s14
	s_cbranch_vccz .LBB151_2094
; %bb.2093:
	global_load_u8 v1, v[18:19], off
	s_wait_loadcnt 0x0
	v_lshlrev_b32_e32 v1, 24, v1
	s_delay_alu instid0(VALU_DEP_1) | instskip(NEXT) | instid1(VALU_DEP_1)
	v_and_b32_e32 v3, 0x7f000000, v1
	v_clz_i32_u32_e32 v5, v3
	v_add_nc_u32_e32 v9, 0x1000000, v3
	v_cmp_ne_u32_e32 vcc_lo, 0, v3
	s_delay_alu instid0(VALU_DEP_3) | instskip(NEXT) | instid1(VALU_DEP_1)
	v_min_u32_e32 v5, 32, v5
	v_sub_nc_u32_e64 v5, v5, 4 clamp
	s_delay_alu instid0(VALU_DEP_1) | instskip(NEXT) | instid1(VALU_DEP_1)
	v_dual_lshlrev_b32 v7, v5, v3 :: v_dual_lshlrev_b32 v5, 23, v5
	v_lshrrev_b32_e32 v7, 4, v7
	s_delay_alu instid0(VALU_DEP_1) | instskip(SKIP_1) | instid1(VALU_DEP_2)
	v_sub_nc_u32_e32 v5, v7, v5
	v_ashrrev_i32_e32 v7, 8, v9
	v_add_nc_u32_e32 v5, 0x3c000000, v5
	s_delay_alu instid0(VALU_DEP_1) | instskip(NEXT) | instid1(VALU_DEP_1)
	v_and_or_b32 v5, 0x7f800000, v7, v5
	v_cndmask_b32_e32 v3, 0, v5, vcc_lo
	s_delay_alu instid0(VALU_DEP_1) | instskip(NEXT) | instid1(VALU_DEP_1)
	v_and_or_b32 v1, 0x80000000, v1, v3
	v_cvt_f16_f32_e32 v1, v1
.LBB151_2094:
	s_mov_b32 s14, 0
.LBB151_2095:
	s_delay_alu instid0(SALU_CYCLE_1)
	s_and_not1_b32 vcc_lo, exec_lo, s14
	s_cbranch_vccnz .LBB151_2097
; %bb.2096:
	global_load_u8 v1, v[18:19], off
	s_wait_loadcnt 0x0
	v_lshlrev_b32_e32 v3, 25, v1
	v_lshlrev_b16 v1, 8, v1
	s_delay_alu instid0(VALU_DEP_1) | instskip(SKIP_1) | instid1(VALU_DEP_2)
	v_and_or_b32 v7, 0x7f00, v1, 0.5
	v_bfe_i32 v1, v1, 0, 16
	v_add_f32_e32 v7, -0.5, v7
	v_lshrrev_b32_e32 v5, 4, v3
	v_cmp_gt_u32_e32 vcc_lo, 0x8000000, v3
	s_delay_alu instid0(VALU_DEP_2) | instskip(NEXT) | instid1(VALU_DEP_1)
	v_or_b32_e32 v5, 0x70000000, v5
	v_mul_f32_e32 v5, 0x7800000, v5
	s_delay_alu instid0(VALU_DEP_1) | instskip(NEXT) | instid1(VALU_DEP_1)
	v_cndmask_b32_e32 v3, v5, v7, vcc_lo
	v_and_or_b32 v1, 0x80000000, v1, v3
	s_delay_alu instid0(VALU_DEP_1)
	v_cvt_f16_f32_e32 v1, v1
.LBB151_2097:
	s_mov_b32 s14, 0
	s_mov_b32 s17, -1
.LBB151_2098:
	s_and_not1_b32 vcc_lo, exec_lo, s14
	s_mov_b32 s14, 0
	s_cbranch_vccnz .LBB151_2109
; %bb.2099:
	s_cmp_gt_i32 s15, 14
	s_cbranch_scc0 .LBB151_2102
; %bb.2100:
	s_cmp_eq_u32 s15, 15
	s_cbranch_scc0 .LBB151_2105
; %bb.2101:
	global_load_u16 v1, v[18:19], off
	s_mov_b32 s0, 0
	s_mov_b32 s17, -1
	s_wait_loadcnt 0x0
	v_lshlrev_b32_e32 v1, 16, v1
	s_delay_alu instid0(VALU_DEP_1)
	v_cvt_f16_f32_e32 v1, v1
	s_branch .LBB151_2107
.LBB151_2102:
	s_mov_b32 s14, -1
	s_branch .LBB151_2106
.LBB151_2103:
	s_or_saveexec_b32 s17, s17
	v_mov_b32_e32 v1, 0x7e00
	s_xor_b32 exec_lo, exec_lo, s17
	s_cbranch_execz .LBB151_2084
.LBB151_2104:
	v_cmp_ne_u16_e32 vcc_lo, 0, v3
	v_mov_b32_e32 v1, v3
	s_and_not1_b32 s14, s14, exec_lo
	s_and_b32 s18, vcc_lo, exec_lo
	s_delay_alu instid0(SALU_CYCLE_1)
	s_or_b32 s14, s14, s18
	s_or_b32 exec_lo, exec_lo, s17
	s_and_saveexec_b32 s17, s14
	s_cbranch_execnz .LBB151_2085
	s_branch .LBB151_2086
.LBB151_2105:
	s_mov_b32 s0, -1
.LBB151_2106:
                                        ; implicit-def: $vgpr1
.LBB151_2107:
	s_and_b32 vcc_lo, exec_lo, s14
	s_mov_b32 s14, 0
	s_cbranch_vccz .LBB151_2109
; %bb.2108:
	s_cmp_lg_u32 s15, 11
	s_mov_b32 s14, -1
	s_cselect_b32 s0, -1, 0
.LBB151_2109:
	v_mov_b32_e32 v3, 0
	s_and_b32 vcc_lo, exec_lo, s0
	s_cbranch_vccz .LBB151_1975
.LBB151_2110:
	s_or_b32 s1, s1, exec_lo
	s_trap 2
	s_cbranch_execz .LBB151_1976
	s_branch .LBB151_1977
.LBB151_2111:
	s_mov_b32 s0, -1
	s_mov_b32 s17, 0
.LBB151_2112:
                                        ; implicit-def: $vgpr7
                                        ; implicit-def: $vgpr5
.LBB151_2113:
	s_and_b32 vcc_lo, exec_lo, s18
	s_cbranch_vccz .LBB151_2118
; %bb.2114:
	s_cmp_eq_u32 s16, 44
	s_cbranch_scc0 .LBB151_2116
; %bb.2115:
	s_wait_loadcnt 0x0
	global_load_u8 v5, v[16:17], off
	s_mov_b32 s0, 0
	s_mov_b32 s17, -1
	s_wait_loadcnt 0x0
	v_lshlrev_b32_e32 v7, 23, v5
	v_cmp_ne_u32_e32 vcc_lo, 0xff, v5
	s_delay_alu instid0(VALU_DEP_2) | instskip(NEXT) | instid1(VALU_DEP_1)
	v_cvt_f16_f32_e32 v7, v7
	v_cndmask_b32_e32 v7, 0x7e00, v7, vcc_lo
	v_cmp_ne_u32_e32 vcc_lo, 0, v5
	s_delay_alu instid0(VALU_DEP_2)
	v_cndmask_b32_e32 v5, 0, v7, vcc_lo
	s_branch .LBB151_2117
.LBB151_2116:
	s_mov_b32 s0, -1
                                        ; implicit-def: $vgpr5
.LBB151_2117:
	v_mov_b32_e32 v7, 0
.LBB151_2118:
	s_mov_b32 s18, 0
.LBB151_2119:
	s_delay_alu instid0(SALU_CYCLE_1)
	s_and_b32 vcc_lo, exec_lo, s18
	s_cbranch_vccz .LBB151_2124
; %bb.2120:
	s_cmp_eq_u32 s16, 29
	s_cbranch_scc0 .LBB151_2122
; %bb.2121:
	global_load_b64 v[18:19], v[16:17], off
	s_mov_b32 s0, 0
	s_mov_b32 s17, -1
	s_wait_loadcnt 0x0
	v_clz_i32_u32_e32 v5, v19
	s_delay_alu instid0(VALU_DEP_1) | instskip(NEXT) | instid1(VALU_DEP_1)
	v_min_u32_e32 v5, 32, v5
	v_lshlrev_b64_e32 v[18:19], v5, v[18:19]
	v_sub_nc_u32_e32 v5, 32, v5
	s_delay_alu instid0(VALU_DEP_2) | instskip(NEXT) | instid1(VALU_DEP_1)
	v_min_u32_e32 v7, 1, v18
	v_or_b32_e32 v7, v19, v7
	s_delay_alu instid0(VALU_DEP_1) | instskip(NEXT) | instid1(VALU_DEP_1)
	v_cvt_f32_u32_e32 v7, v7
	v_ldexp_f32 v5, v7, v5
	s_delay_alu instid0(VALU_DEP_1)
	v_cvt_f16_f32_e32 v5, v5
	s_branch .LBB151_2123
.LBB151_2122:
	s_mov_b32 s0, -1
                                        ; implicit-def: $vgpr5
.LBB151_2123:
	v_mov_b32_e32 v7, 0
.LBB151_2124:
	s_mov_b32 s18, 0
.LBB151_2125:
	s_delay_alu instid0(SALU_CYCLE_1)
	s_and_b32 vcc_lo, exec_lo, s18
	s_cbranch_vccz .LBB151_2143
; %bb.2126:
	s_cmp_lt_i32 s16, 27
	s_cbranch_scc1 .LBB151_2129
; %bb.2127:
	s_cmp_gt_i32 s16, 27
	s_cbranch_scc0 .LBB151_2130
; %bb.2128:
	s_wait_loadcnt 0x0
	global_load_b32 v5, v[16:17], off
	s_mov_b32 s17, 0
	s_wait_loadcnt 0x0
	v_cvt_f32_u32_e32 v5, v5
	s_delay_alu instid0(VALU_DEP_1)
	v_cvt_f16_f32_e32 v5, v5
	s_branch .LBB151_2131
.LBB151_2129:
	s_mov_b32 s17, -1
                                        ; implicit-def: $vgpr5
	s_branch .LBB151_2134
.LBB151_2130:
	s_mov_b32 s17, -1
                                        ; implicit-def: $vgpr5
.LBB151_2131:
	s_delay_alu instid0(SALU_CYCLE_1)
	s_and_not1_b32 vcc_lo, exec_lo, s17
	s_cbranch_vccnz .LBB151_2133
; %bb.2132:
	s_wait_loadcnt 0x0
	global_load_u16 v5, v[16:17], off
	s_wait_loadcnt 0x0
	v_cvt_f16_u16_e32 v5, v5
.LBB151_2133:
	s_mov_b32 s17, 0
.LBB151_2134:
	s_delay_alu instid0(SALU_CYCLE_1)
	s_and_not1_b32 vcc_lo, exec_lo, s17
	s_cbranch_vccnz .LBB151_2142
; %bb.2135:
	global_load_u8 v7, v[16:17], off
	s_mov_b32 s17, 0
	s_mov_b32 s18, exec_lo
	s_wait_loadcnt 0x0
	v_cmpx_lt_i16_e32 0x7f, v7
	s_xor_b32 s18, exec_lo, s18
	s_cbranch_execz .LBB151_2168
; %bb.2136:
	s_mov_b32 s17, -1
	s_mov_b32 s19, exec_lo
	v_cmpx_eq_u16_e32 0x80, v7
; %bb.2137:
	s_xor_b32 s17, exec_lo, -1
; %bb.2138:
	s_or_b32 exec_lo, exec_lo, s19
	s_delay_alu instid0(SALU_CYCLE_1)
	s_and_b32 s17, s17, exec_lo
	s_or_saveexec_b32 s18, s18
	v_mov_b32_e32 v5, 0x7e00
	s_xor_b32 exec_lo, exec_lo, s18
	s_cbranch_execnz .LBB151_2169
.LBB151_2139:
	s_or_b32 exec_lo, exec_lo, s18
	s_and_saveexec_b32 s18, s17
	s_cbranch_execz .LBB151_2141
.LBB151_2140:
	v_and_b32_e32 v5, 0xffff, v7
	s_delay_alu instid0(VALU_DEP_1) | instskip(SKIP_1) | instid1(VALU_DEP_2)
	v_and_b32_e32 v9, 7, v5
	v_bfe_u32 v15, v5, 3, 4
	v_clz_i32_u32_e32 v11, v9
	s_delay_alu instid0(VALU_DEP_2) | instskip(NEXT) | instid1(VALU_DEP_2)
	v_cmp_eq_u32_e32 vcc_lo, 0, v15
	v_min_u32_e32 v11, 32, v11
	s_delay_alu instid0(VALU_DEP_1) | instskip(NEXT) | instid1(VALU_DEP_1)
	v_subrev_nc_u32_e32 v13, 28, v11
	v_dual_lshlrev_b32 v5, v13, v5 :: v_dual_sub_nc_u32 v11, 29, v11
	s_delay_alu instid0(VALU_DEP_1) | instskip(NEXT) | instid1(VALU_DEP_1)
	v_dual_lshlrev_b32 v7, 24, v7 :: v_dual_bitop2_b32 v5, 7, v5 bitop3:0x40
	v_dual_cndmask_b32 v5, v9, v5, vcc_lo :: v_dual_cndmask_b32 v11, v15, v11, vcc_lo
	s_delay_alu instid0(VALU_DEP_2) | instskip(NEXT) | instid1(VALU_DEP_2)
	v_and_b32_e32 v7, 0x80000000, v7
	v_lshlrev_b32_e32 v5, 20, v5
	s_delay_alu instid0(VALU_DEP_3) | instskip(NEXT) | instid1(VALU_DEP_1)
	v_lshl_add_u32 v9, v11, 23, 0x3b800000
	v_or3_b32 v5, v7, v9, v5
	s_delay_alu instid0(VALU_DEP_1)
	v_cvt_f16_f32_e32 v5, v5
.LBB151_2141:
	s_or_b32 exec_lo, exec_lo, s18
.LBB151_2142:
	v_mov_b32_e32 v7, 0
	s_mov_b32 s17, -1
.LBB151_2143:
	s_mov_b32 s18, 0
.LBB151_2144:
	s_delay_alu instid0(SALU_CYCLE_1)
	s_and_b32 vcc_lo, exec_lo, s18
	s_cbranch_vccz .LBB151_2155
; %bb.2145:
	s_cmp_gt_i32 s16, 22
	s_cbranch_scc0 .LBB151_2166
; %bb.2146:
	s_cmp_lt_i32 s16, 24
	s_cbranch_scc1 .LBB151_2170
; %bb.2147:
	s_cmp_gt_i32 s16, 24
	s_cbranch_scc0 .LBB151_2172
; %bb.2148:
	global_load_u8 v7, v[16:17], off
	s_mov_b32 s17, exec_lo
	s_wait_loadcnt 0x0
	v_cmpx_lt_i16_e32 0x7f, v7
	s_xor_b32 s17, exec_lo, s17
	s_cbranch_execz .LBB151_2184
; %bb.2149:
	s_mov_b32 s14, -1
	s_mov_b32 s18, exec_lo
	v_cmpx_eq_u16_e32 0x80, v7
; %bb.2150:
	s_xor_b32 s14, exec_lo, -1
; %bb.2151:
	s_or_b32 exec_lo, exec_lo, s18
	s_delay_alu instid0(SALU_CYCLE_1)
	s_and_b32 s14, s14, exec_lo
	s_or_saveexec_b32 s17, s17
	v_mov_b32_e32 v5, 0x7e00
	s_xor_b32 exec_lo, exec_lo, s17
	s_cbranch_execnz .LBB151_2185
.LBB151_2152:
	s_or_b32 exec_lo, exec_lo, s17
	s_and_saveexec_b32 s17, s14
	s_cbranch_execz .LBB151_2154
.LBB151_2153:
	v_and_b32_e32 v5, 0xffff, v7
	s_delay_alu instid0(VALU_DEP_1) | instskip(SKIP_1) | instid1(VALU_DEP_2)
	v_and_b32_e32 v9, 3, v5
	v_bfe_u32 v15, v5, 2, 5
	v_clz_i32_u32_e32 v11, v9
	s_delay_alu instid0(VALU_DEP_2) | instskip(NEXT) | instid1(VALU_DEP_2)
	v_cmp_eq_u32_e32 vcc_lo, 0, v15
	v_min_u32_e32 v11, 32, v11
	s_delay_alu instid0(VALU_DEP_1) | instskip(NEXT) | instid1(VALU_DEP_1)
	v_subrev_nc_u32_e32 v13, 29, v11
	v_dual_lshlrev_b32 v5, v13, v5 :: v_dual_sub_nc_u32 v11, 30, v11
	s_delay_alu instid0(VALU_DEP_1) | instskip(NEXT) | instid1(VALU_DEP_1)
	v_dual_lshlrev_b32 v7, 24, v7 :: v_dual_bitop2_b32 v5, 3, v5 bitop3:0x40
	v_dual_cndmask_b32 v5, v9, v5, vcc_lo :: v_dual_cndmask_b32 v11, v15, v11, vcc_lo
	s_delay_alu instid0(VALU_DEP_2) | instskip(NEXT) | instid1(VALU_DEP_2)
	v_and_b32_e32 v7, 0x80000000, v7
	v_lshlrev_b32_e32 v5, 21, v5
	s_delay_alu instid0(VALU_DEP_3) | instskip(NEXT) | instid1(VALU_DEP_1)
	v_lshl_add_u32 v9, v11, 23, 0x37800000
	v_or3_b32 v5, v7, v9, v5
	s_delay_alu instid0(VALU_DEP_1)
	v_cvt_f16_f32_e32 v5, v5
.LBB151_2154:
	s_or_b32 exec_lo, exec_lo, s17
	s_mov_b32 s14, 0
	s_branch .LBB151_2173
.LBB151_2155:
	s_and_b32 vcc_lo, exec_lo, s0
	s_cbranch_vccnz .LBB151_2203
.LBB151_2156:
	s_and_not1_b32 vcc_lo, exec_lo, s14
	s_cbranch_vccnz .LBB151_2158
.LBB151_2157:
	s_wait_loadcnt 0x0
	global_load_u8 v5, v[16:17], off
	v_mov_b32_e32 v7, 0
	s_mov_b32 s17, -1
	s_wait_loadcnt 0x0
	v_cmp_ne_u16_e32 vcc_lo, 0, v5
	v_cndmask_b32_e64 v5, 0, 0x3c00, vcc_lo
.LBB151_2158:
	s_mov_b32 s0, 0
.LBB151_2159:
	s_delay_alu instid0(SALU_CYCLE_1)
	s_and_b32 vcc_lo, exec_lo, s0
	s_cbranch_vccz .LBB151_2234
; %bb.2160:
	s_cmp_lt_i32 s16, 5
	s_cbranch_scc1 .LBB151_2165
; %bb.2161:
	s_cmp_lt_i32 s16, 8
	s_cbranch_scc1 .LBB151_2167
	;; [unrolled: 3-line block ×3, first 2 shown]
; %bb.2163:
	s_cmp_gt_i32 s16, 9
	s_cbranch_scc0 .LBB151_2186
; %bb.2164:
	global_load_b128 v[18:21], v[16:17], off
	v_mov_b32_e32 v24, 0x7e00
	s_mov_b32 s0, 0
	s_wait_loadcnt 0x0
	v_and_or_b32 v5, 0x1ff, v19, v18
	v_and_or_b32 v11, 0x1ff, v21, v20
	v_dual_lshrrev_b32 v7, 8, v19 :: v_dual_lshrrev_b32 v13, 8, v21
	v_bfe_u32 v9, v19, 20, 11
	s_delay_alu instid0(VALU_DEP_4) | instskip(SKIP_2) | instid1(VALU_DEP_4)
	v_cmp_ne_u32_e32 vcc_lo, 0, v5
	v_bfe_u32 v15, v21, 20, 11
	v_lshrrev_b32_e32 v19, 16, v19
	v_sub_nc_u32_e32 v18, 0x3f1, v9
	v_cndmask_b32_e64 v5, 0, 1, vcc_lo
	v_cmp_ne_u32_e32 vcc_lo, 0, v11
	v_add_nc_u32_e32 v9, 0xfffffc10, v9
	s_delay_alu instid0(VALU_DEP_3) | instskip(SKIP_3) | instid1(VALU_DEP_3)
	v_and_or_b32 v5, 0xffe, v7, v5
	v_cndmask_b32_e64 v11, 0, 1, vcc_lo
	v_sub_nc_u32_e32 v7, 0x3f1, v15
	v_add_nc_u32_e32 v15, 0xfffffc10, v15
	v_and_or_b32 v11, 0xffe, v13, v11
	v_med3_i32 v13, v18, 0, 13
	v_or_b32_e32 v18, 0x1000, v5
	v_med3_i32 v7, v7, 0, 13
	s_delay_alu instid0(VALU_DEP_4) | instskip(NEXT) | instid1(VALU_DEP_1)
	v_or_b32_e32 v20, 0x1000, v11
	v_dual_lshrrev_b32 v22, v13, v18 :: v_dual_lshrrev_b32 v23, v7, v20
	s_delay_alu instid0(VALU_DEP_1) | instskip(NEXT) | instid1(VALU_DEP_1)
	v_dual_lshlrev_b32 v13, v13, v22 :: v_dual_lshlrev_b32 v7, v7, v23
	v_cmp_ne_u32_e32 vcc_lo, v13, v18
	v_lshl_or_b32 v18, v9, 12, v5
	v_cndmask_b32_e64 v13, 0, 1, vcc_lo
	s_delay_alu instid0(VALU_DEP_4) | instskip(SKIP_1) | instid1(VALU_DEP_3)
	v_cmp_ne_u32_e32 vcc_lo, v7, v20
	v_lshl_or_b32 v20, v15, 12, v11
	v_or_b32_e32 v13, v22, v13
	v_cndmask_b32_e64 v7, 0, 1, vcc_lo
	v_cmp_gt_i32_e32 vcc_lo, 1, v9
	s_delay_alu instid0(VALU_DEP_2) | instskip(SKIP_1) | instid1(VALU_DEP_2)
	v_dual_cndmask_b32 v13, v18, v13, vcc_lo :: v_dual_bitop2_b32 v7, v23, v7 bitop3:0x54
	v_cmp_gt_i32_e32 vcc_lo, 1, v15
	v_dual_lshrrev_b32 v13, 2, v13 :: v_dual_bitop2_b32 v18, 7, v13 bitop3:0x40
	s_delay_alu instid0(VALU_DEP_3) | instskip(NEXT) | instid1(VALU_DEP_2)
	v_cndmask_b32_e32 v7, v20, v7, vcc_lo
	v_cmp_lt_i32_e32 vcc_lo, 5, v18
	v_cndmask_b32_e64 v22, 0, 1, vcc_lo
	v_cmp_eq_u32_e32 vcc_lo, 3, v18
	v_cndmask_b32_e64 v18, 0, 1, vcc_lo
	s_delay_alu instid0(VALU_DEP_1) | instskip(SKIP_1) | instid1(VALU_DEP_2)
	v_or_b32_e32 v18, v18, v22
	v_dual_lshrrev_b32 v7, 2, v7 :: v_dual_bitop2_b32 v20, 7, v7 bitop3:0x40
	v_add_nc_u32_e32 v13, v13, v18
	s_delay_alu instid0(VALU_DEP_2)
	v_cmp_lt_i32_e32 vcc_lo, 5, v20
	v_lshrrev_b32_e32 v18, 16, v21
	v_cndmask_b32_e64 v23, 0, 1, vcc_lo
	v_cmp_eq_u32_e32 vcc_lo, 3, v20
	v_cndmask_b32_e64 v20, 0, 1, vcc_lo
	v_cmp_ne_u32_e32 vcc_lo, 0, v5
	s_delay_alu instid0(VALU_DEP_2) | instskip(SKIP_2) | instid1(VALU_DEP_3)
	v_or_b32_e32 v20, v20, v23
	v_cndmask_b32_e32 v5, 0x7c00, v24, vcc_lo
	v_cmp_ne_u32_e32 vcc_lo, 0, v11
	v_add_nc_u32_e32 v7, v7, v20
	v_cndmask_b32_e32 v11, 0x7c00, v24, vcc_lo
	v_cmp_gt_i32_e32 vcc_lo, 31, v9
	v_cndmask_b32_e32 v13, 0x7c00, v13, vcc_lo
	v_cmp_gt_i32_e32 vcc_lo, 31, v15
	v_cndmask_b32_e32 v7, 0x7c00, v7, vcc_lo
	v_cmp_eq_u32_e32 vcc_lo, 0x40f, v9
	s_delay_alu instid0(VALU_DEP_4) | instskip(SKIP_1) | instid1(VALU_DEP_4)
	v_cndmask_b32_e32 v5, v13, v5, vcc_lo
	v_cmp_eq_u32_e32 vcc_lo, 0x40f, v15
	v_cndmask_b32_e32 v7, v7, v11, vcc_lo
	s_delay_alu instid0(VALU_DEP_3) | instskip(NEXT) | instid1(VALU_DEP_2)
	v_and_or_b32 v5, 0x8000, v19, v5
	v_and_or_b32 v7, 0x8000, v18, v7
	s_branch .LBB151_2187
.LBB151_2165:
	s_mov_b32 s0, -1
                                        ; implicit-def: $vgpr7
                                        ; implicit-def: $vgpr5
	s_branch .LBB151_2212
.LBB151_2166:
	s_mov_b32 s14, -1
                                        ; implicit-def: $vgpr5
	s_branch .LBB151_2179
.LBB151_2167:
	s_mov_b32 s0, -1
                                        ; implicit-def: $vgpr7
                                        ; implicit-def: $vgpr5
	s_branch .LBB151_2193
.LBB151_2168:
	s_or_saveexec_b32 s18, s18
	v_mov_b32_e32 v5, 0x7e00
	s_xor_b32 exec_lo, exec_lo, s18
	s_cbranch_execz .LBB151_2139
.LBB151_2169:
	v_cmp_ne_u16_e32 vcc_lo, 0, v7
	v_mov_b32_e32 v5, v7
	s_and_not1_b32 s17, s17, exec_lo
	s_and_b32 s19, vcc_lo, exec_lo
	s_delay_alu instid0(SALU_CYCLE_1)
	s_or_b32 s17, s17, s19
	s_or_b32 exec_lo, exec_lo, s18
	s_and_saveexec_b32 s18, s17
	s_cbranch_execnz .LBB151_2140
	s_branch .LBB151_2141
.LBB151_2170:
	s_mov_b32 s14, -1
                                        ; implicit-def: $vgpr5
	s_branch .LBB151_2176
.LBB151_2171:
	s_mov_b32 s0, -1
                                        ; implicit-def: $vgpr7
                                        ; implicit-def: $vgpr5
	s_branch .LBB151_2190
.LBB151_2172:
	s_mov_b32 s14, -1
                                        ; implicit-def: $vgpr5
.LBB151_2173:
	s_delay_alu instid0(SALU_CYCLE_1)
	s_and_b32 vcc_lo, exec_lo, s14
	s_cbranch_vccz .LBB151_2175
; %bb.2174:
	s_wait_loadcnt 0x0
	global_load_u8 v5, v[16:17], off
	s_wait_loadcnt 0x0
	v_lshlrev_b32_e32 v5, 24, v5
	s_delay_alu instid0(VALU_DEP_1) | instskip(NEXT) | instid1(VALU_DEP_1)
	v_and_b32_e32 v7, 0x7f000000, v5
	v_clz_i32_u32_e32 v9, v7
	v_add_nc_u32_e32 v13, 0x1000000, v7
	v_cmp_ne_u32_e32 vcc_lo, 0, v7
	s_delay_alu instid0(VALU_DEP_3) | instskip(NEXT) | instid1(VALU_DEP_1)
	v_min_u32_e32 v9, 32, v9
	v_sub_nc_u32_e64 v9, v9, 4 clamp
	s_delay_alu instid0(VALU_DEP_1) | instskip(NEXT) | instid1(VALU_DEP_1)
	v_dual_lshlrev_b32 v11, v9, v7 :: v_dual_lshlrev_b32 v9, 23, v9
	v_lshrrev_b32_e32 v11, 4, v11
	s_delay_alu instid0(VALU_DEP_1) | instskip(SKIP_1) | instid1(VALU_DEP_2)
	v_sub_nc_u32_e32 v9, v11, v9
	v_ashrrev_i32_e32 v11, 8, v13
	v_add_nc_u32_e32 v9, 0x3c000000, v9
	s_delay_alu instid0(VALU_DEP_1) | instskip(NEXT) | instid1(VALU_DEP_1)
	v_and_or_b32 v9, 0x7f800000, v11, v9
	v_cndmask_b32_e32 v7, 0, v9, vcc_lo
	s_delay_alu instid0(VALU_DEP_1) | instskip(NEXT) | instid1(VALU_DEP_1)
	v_and_or_b32 v5, 0x80000000, v5, v7
	v_cvt_f16_f32_e32 v5, v5
.LBB151_2175:
	s_mov_b32 s14, 0
.LBB151_2176:
	s_delay_alu instid0(SALU_CYCLE_1)
	s_and_not1_b32 vcc_lo, exec_lo, s14
	s_cbranch_vccnz .LBB151_2178
; %bb.2177:
	s_wait_loadcnt 0x0
	global_load_u8 v5, v[16:17], off
	s_wait_loadcnt 0x0
	v_lshlrev_b32_e32 v7, 25, v5
	v_lshlrev_b16 v5, 8, v5
	s_delay_alu instid0(VALU_DEP_1) | instskip(SKIP_1) | instid1(VALU_DEP_2)
	v_and_or_b32 v11, 0x7f00, v5, 0.5
	v_bfe_i32 v5, v5, 0, 16
	v_add_f32_e32 v11, -0.5, v11
	v_lshrrev_b32_e32 v9, 4, v7
	v_cmp_gt_u32_e32 vcc_lo, 0x8000000, v7
	s_delay_alu instid0(VALU_DEP_2) | instskip(NEXT) | instid1(VALU_DEP_1)
	v_or_b32_e32 v9, 0x70000000, v9
	v_mul_f32_e32 v9, 0x7800000, v9
	s_delay_alu instid0(VALU_DEP_1) | instskip(NEXT) | instid1(VALU_DEP_1)
	v_cndmask_b32_e32 v7, v9, v11, vcc_lo
	v_and_or_b32 v5, 0x80000000, v5, v7
	s_delay_alu instid0(VALU_DEP_1)
	v_cvt_f16_f32_e32 v5, v5
.LBB151_2178:
	s_mov_b32 s14, 0
	s_mov_b32 s17, -1
.LBB151_2179:
	s_and_not1_b32 vcc_lo, exec_lo, s14
	s_mov_b32 s14, 0
	s_cbranch_vccnz .LBB151_2202
; %bb.2180:
	s_cmp_gt_i32 s16, 14
	s_cbranch_scc0 .LBB151_2183
; %bb.2181:
	s_cmp_eq_u32 s16, 15
	s_cbranch_scc0 .LBB151_2198
; %bb.2182:
	s_wait_loadcnt 0x0
	global_load_u16 v5, v[16:17], off
	s_mov_b32 s0, 0
	s_mov_b32 s17, -1
	s_wait_loadcnt 0x0
	v_lshlrev_b32_e32 v5, 16, v5
	s_delay_alu instid0(VALU_DEP_1)
	v_cvt_f16_f32_e32 v5, v5
	s_branch .LBB151_2200
.LBB151_2183:
	s_mov_b32 s14, -1
	s_branch .LBB151_2199
.LBB151_2184:
	s_or_saveexec_b32 s17, s17
	v_mov_b32_e32 v5, 0x7e00
	s_xor_b32 exec_lo, exec_lo, s17
	s_cbranch_execz .LBB151_2152
.LBB151_2185:
	v_cmp_ne_u16_e32 vcc_lo, 0, v7
	v_mov_b32_e32 v5, v7
	s_and_not1_b32 s14, s14, exec_lo
	s_and_b32 s18, vcc_lo, exec_lo
	s_delay_alu instid0(SALU_CYCLE_1)
	s_or_b32 s14, s14, s18
	s_or_b32 exec_lo, exec_lo, s17
	s_and_saveexec_b32 s17, s14
	s_cbranch_execnz .LBB151_2153
	s_branch .LBB151_2154
.LBB151_2186:
	s_mov_b32 s0, -1
                                        ; implicit-def: $vgpr7
                                        ; implicit-def: $vgpr5
.LBB151_2187:
	s_delay_alu instid0(SALU_CYCLE_1)
	s_and_not1_b32 vcc_lo, exec_lo, s0
	s_cbranch_vccnz .LBB151_2189
; %bb.2188:
	global_load_b64 v[18:19], v[16:17], off
	s_wait_loadcnt 0x0
	v_cvt_f16_f32_e32 v5, v18
	v_cvt_f16_f32_e32 v7, v19
.LBB151_2189:
	s_mov_b32 s0, 0
.LBB151_2190:
	s_delay_alu instid0(SALU_CYCLE_1)
	s_and_not1_b32 vcc_lo, exec_lo, s0
	s_cbranch_vccnz .LBB151_2192
; %bb.2191:
	s_wait_loadcnt 0x0
	global_load_b32 v5, v[16:17], off
	s_wait_loadcnt 0x0
	v_lshrrev_b32_e32 v7, 16, v5
.LBB151_2192:
	s_mov_b32 s0, 0
.LBB151_2193:
	s_delay_alu instid0(SALU_CYCLE_1)
	s_and_not1_b32 vcc_lo, exec_lo, s0
	s_cbranch_vccnz .LBB151_2211
; %bb.2194:
	s_cmp_lt_i32 s16, 6
	s_cbranch_scc1 .LBB151_2197
; %bb.2195:
	s_cmp_gt_i32 s16, 6
	s_cbranch_scc0 .LBB151_2204
; %bb.2196:
	global_load_b64 v[18:19], v[16:17], off
	s_mov_b32 s0, 0
	s_wait_loadcnt 0x0
	v_and_or_b32 v5, 0x1ff, v19, v18
	v_lshrrev_b32_e32 v7, 8, v19
	v_bfe_u32 v9, v19, 20, 11
	s_delay_alu instid0(VALU_DEP_3) | instskip(NEXT) | instid1(VALU_DEP_2)
	v_cmp_ne_u32_e32 vcc_lo, 0, v5
	v_sub_nc_u32_e32 v11, 0x3f1, v9
	v_add_nc_u32_e32 v9, 0xfffffc10, v9
	v_cndmask_b32_e64 v5, 0, 1, vcc_lo
	s_delay_alu instid0(VALU_DEP_1) | instskip(NEXT) | instid1(VALU_DEP_4)
	v_and_or_b32 v5, 0xffe, v7, v5
	v_med3_i32 v7, v11, 0, 13
	s_delay_alu instid0(VALU_DEP_2) | instskip(NEXT) | instid1(VALU_DEP_1)
	v_or_b32_e32 v11, 0x1000, v5
	v_lshrrev_b32_e32 v13, v7, v11
	s_delay_alu instid0(VALU_DEP_1) | instskip(NEXT) | instid1(VALU_DEP_1)
	v_lshlrev_b32_e32 v7, v7, v13
	v_cmp_ne_u32_e32 vcc_lo, v7, v11
	v_lshl_or_b32 v11, v9, 12, v5
	v_cndmask_b32_e64 v7, 0, 1, vcc_lo
	v_cmp_gt_i32_e32 vcc_lo, 1, v9
	s_delay_alu instid0(VALU_DEP_2) | instskip(NEXT) | instid1(VALU_DEP_1)
	v_or_b32_e32 v7, v13, v7
	v_cndmask_b32_e32 v7, v11, v7, vcc_lo
	s_delay_alu instid0(VALU_DEP_1) | instskip(NEXT) | instid1(VALU_DEP_1)
	v_dual_lshrrev_b32 v7, 2, v7 :: v_dual_bitop2_b32 v11, 7, v7 bitop3:0x40
	v_cmp_lt_i32_e32 vcc_lo, 5, v11
	v_cndmask_b32_e64 v13, 0, 1, vcc_lo
	v_cmp_eq_u32_e32 vcc_lo, 3, v11
	v_cndmask_b32_e64 v11, 0, 1, vcc_lo
	v_cmp_ne_u32_e32 vcc_lo, 0, v5
	s_delay_alu instid0(VALU_DEP_2) | instskip(SKIP_1) | instid1(VALU_DEP_2)
	v_or_b32_e32 v11, v11, v13
	v_mov_b32_e32 v13, 0x7e00
	v_add_nc_u32_e32 v7, v7, v11
	s_delay_alu instid0(VALU_DEP_2) | instskip(SKIP_1) | instid1(VALU_DEP_3)
	v_cndmask_b32_e32 v5, 0x7c00, v13, vcc_lo
	v_cmp_gt_i32_e32 vcc_lo, 31, v9
	v_cndmask_b32_e32 v7, 0x7c00, v7, vcc_lo
	v_cmp_eq_u32_e32 vcc_lo, 0x40f, v9
	s_delay_alu instid0(VALU_DEP_2) | instskip(NEXT) | instid1(VALU_DEP_1)
	v_dual_cndmask_b32 v5, v7, v5, vcc_lo :: v_dual_lshrrev_b32 v7, 16, v19
	v_and_or_b32 v5, 0x8000, v7, v5
	s_branch .LBB151_2205
.LBB151_2197:
	s_mov_b32 s0, -1
                                        ; implicit-def: $vgpr5
	s_branch .LBB151_2208
.LBB151_2198:
	s_mov_b32 s0, -1
.LBB151_2199:
                                        ; implicit-def: $vgpr5
.LBB151_2200:
	s_and_b32 vcc_lo, exec_lo, s14
	s_mov_b32 s14, 0
	s_cbranch_vccz .LBB151_2202
; %bb.2201:
	s_cmp_lg_u32 s16, 11
	s_mov_b32 s14, -1
	s_cselect_b32 s0, -1, 0
.LBB151_2202:
	v_mov_b32_e32 v7, 0
	s_and_b32 vcc_lo, exec_lo, s0
	s_cbranch_vccz .LBB151_2156
.LBB151_2203:
	s_or_b32 s1, s1, exec_lo
	s_trap 2
	s_cbranch_execz .LBB151_2157
	s_branch .LBB151_2158
.LBB151_2204:
	s_mov_b32 s0, -1
                                        ; implicit-def: $vgpr5
.LBB151_2205:
	s_delay_alu instid0(SALU_CYCLE_1)
	s_and_not1_b32 vcc_lo, exec_lo, s0
	s_cbranch_vccnz .LBB151_2207
; %bb.2206:
	s_wait_loadcnt 0x0
	global_load_b32 v5, v[16:17], off
	s_wait_loadcnt 0x0
	v_cvt_f16_f32_e32 v5, v5
.LBB151_2207:
	s_mov_b32 s0, 0
.LBB151_2208:
	s_delay_alu instid0(SALU_CYCLE_1)
	s_and_not1_b32 vcc_lo, exec_lo, s0
	s_cbranch_vccnz .LBB151_2210
; %bb.2209:
	s_wait_loadcnt 0x0
	global_load_u16 v5, v[16:17], off
.LBB151_2210:
	v_mov_b32_e32 v7, 0
.LBB151_2211:
	s_mov_b32 s0, 0
.LBB151_2212:
	s_delay_alu instid0(SALU_CYCLE_1)
	s_and_not1_b32 vcc_lo, exec_lo, s0
	s_cbranch_vccnz .LBB151_2233
; %bb.2213:
	s_cmp_lt_i32 s16, 2
	s_cbranch_scc1 .LBB151_2217
; %bb.2214:
	s_cmp_lt_i32 s16, 3
	s_cbranch_scc1 .LBB151_2218
; %bb.2215:
	s_cmp_gt_i32 s16, 3
	s_cbranch_scc0 .LBB151_2219
; %bb.2216:
	global_load_b64 v[18:19], v[16:17], off
	s_mov_b32 s0, 0
	s_wait_loadcnt 0x0
	v_xor_b32_e32 v5, v18, v19
	v_cls_i32_e32 v7, v19
	s_delay_alu instid0(VALU_DEP_2) | instskip(NEXT) | instid1(VALU_DEP_1)
	v_ashrrev_i32_e32 v5, 31, v5
	v_add_nc_u32_e32 v5, 32, v5
	s_delay_alu instid0(VALU_DEP_1) | instskip(NEXT) | instid1(VALU_DEP_1)
	v_add_min_u32_e64 v5, v7, -1, v5
	v_lshlrev_b64_e32 v[18:19], v5, v[18:19]
	v_sub_nc_u32_e32 v5, 32, v5
	s_delay_alu instid0(VALU_DEP_2) | instskip(NEXT) | instid1(VALU_DEP_1)
	v_min_u32_e32 v7, 1, v18
	v_or_b32_e32 v7, v19, v7
	s_delay_alu instid0(VALU_DEP_1) | instskip(NEXT) | instid1(VALU_DEP_1)
	v_cvt_f32_i32_e32 v7, v7
	v_ldexp_f32 v5, v7, v5
	s_delay_alu instid0(VALU_DEP_1)
	v_cvt_f16_f32_e32 v5, v5
	s_branch .LBB151_2220
.LBB151_2217:
	s_mov_b32 s0, -1
                                        ; implicit-def: $vgpr5
	s_branch .LBB151_2226
.LBB151_2218:
	s_mov_b32 s0, -1
                                        ; implicit-def: $vgpr5
	s_branch .LBB151_2223
.LBB151_2219:
	s_mov_b32 s0, -1
                                        ; implicit-def: $vgpr5
.LBB151_2220:
	s_delay_alu instid0(SALU_CYCLE_1)
	s_and_not1_b32 vcc_lo, exec_lo, s0
	s_cbranch_vccnz .LBB151_2222
; %bb.2221:
	s_wait_loadcnt 0x0
	global_load_b32 v5, v[16:17], off
	s_wait_loadcnt 0x0
	v_cvt_f32_i32_e32 v5, v5
	s_delay_alu instid0(VALU_DEP_1)
	v_cvt_f16_f32_e32 v5, v5
.LBB151_2222:
	s_mov_b32 s0, 0
.LBB151_2223:
	s_delay_alu instid0(SALU_CYCLE_1)
	s_and_not1_b32 vcc_lo, exec_lo, s0
	s_cbranch_vccnz .LBB151_2225
; %bb.2224:
	s_wait_loadcnt 0x0
	global_load_u16 v5, v[16:17], off
	s_wait_loadcnt 0x0
	v_cvt_f16_i16_e32 v5, v5
.LBB151_2225:
	s_mov_b32 s0, 0
.LBB151_2226:
	s_delay_alu instid0(SALU_CYCLE_1)
	s_and_not1_b32 vcc_lo, exec_lo, s0
	s_cbranch_vccnz .LBB151_2232
; %bb.2227:
	s_cmp_gt_i32 s16, 0
	s_mov_b32 s0, 0
	s_cbranch_scc0 .LBB151_2229
; %bb.2228:
	s_wait_loadcnt 0x0
	global_load_i8 v5, v[16:17], off
	s_wait_loadcnt 0x0
	v_cvt_f16_i16_e32 v5, v5
	s_branch .LBB151_2230
.LBB151_2229:
	s_mov_b32 s0, -1
                                        ; implicit-def: $vgpr5
.LBB151_2230:
	s_delay_alu instid0(SALU_CYCLE_1)
	s_and_not1_b32 vcc_lo, exec_lo, s0
	s_cbranch_vccnz .LBB151_2232
; %bb.2231:
	s_wait_loadcnt 0x0
	global_load_u8 v5, v[16:17], off
	s_wait_loadcnt 0x0
	v_cvt_f16_u16_e32 v5, v5
.LBB151_2232:
	v_mov_b32_e32 v7, 0
.LBB151_2233:
	s_mov_b32 s17, -1
.LBB151_2234:
	s_delay_alu instid0(SALU_CYCLE_1)
	s_and_not1_b32 vcc_lo, exec_lo, s17
	s_cbranch_vccnz .LBB151_2793
; %bb.2235:
	s_and_b32 vcc_lo, exec_lo, s13
	s_cbranch_vccz .LBB151_2237
; %bb.2236:
	s_wait_loadcnt 0x0
	v_cmp_neq_f16_e32 vcc_lo, v1, v5
	v_cmp_neq_f16_e64 s0, v3, v7
	s_or_b32 s14, vcc_lo, s0
	s_mov_b32 s0, 0
	s_branch .LBB151_2238
.LBB151_2237:
	s_mov_b32 s0, -1
                                        ; implicit-def: $sgpr14
.LBB151_2238:
	s_delay_alu instid0(SALU_CYCLE_1)
	s_and_not1_b32 vcc_lo, exec_lo, s0
	s_cbranch_vccnz .LBB151_2240
; %bb.2239:
	s_wait_loadcnt 0x0
	v_cmp_eq_f16_e32 vcc_lo, v1, v5
	v_cmp_eq_f16_e64 s0, v3, v7
	s_and_not1_b32 s14, s14, exec_lo
	s_and_b32 s0, vcc_lo, s0
	s_delay_alu instid0(SALU_CYCLE_1) | instskip(NEXT) | instid1(SALU_CYCLE_1)
	s_and_b32 s0, s0, exec_lo
	s_or_b32 s14, s14, s0
.LBB151_2240:
	v_mov_b32_e32 v15, 0
	s_cmp_lt_i32 s15, 11
	s_delay_alu instid0(VALU_DEP_1)
	v_add_nc_u64_e32 v[14:15], s[6:7], v[14:15]
	s_cbranch_scc1 .LBB151_2247
; %bb.2241:
	s_cmp_gt_i32 s15, 25
	s_mov_b32 s17, 0
	s_cbranch_scc0 .LBB151_2248
; %bb.2242:
	s_cmp_gt_i32 s15, 28
	s_cbranch_scc0 .LBB151_2249
; %bb.2243:
	s_cmp_gt_i32 s15, 43
	;; [unrolled: 3-line block ×3, first 2 shown]
	s_cbranch_scc0 .LBB151_2251
; %bb.2245:
	s_cmp_eq_u32 s15, 46
	s_mov_b32 s19, 0
	s_cbranch_scc0 .LBB151_2252
; %bb.2246:
	s_wait_loadcnt 0x0
	global_load_b32 v1, v[14:15], off
	s_mov_b32 s0, 0
	s_mov_b32 s18, -1
	s_wait_loadcnt 0x0
	v_lshlrev_b32_e32 v3, 16, v1
	v_and_b32_e32 v5, 0xffff0000, v1
	s_delay_alu instid0(VALU_DEP_2) | instskip(NEXT) | instid1(VALU_DEP_2)
	v_cvt_f16_f32_e32 v1, v3
	v_cvt_f16_f32_e32 v3, v5
	s_branch .LBB151_2254
.LBB151_2247:
	s_mov_b32 s0, -1
	s_mov_b32 s18, 0
                                        ; implicit-def: $vgpr3
                                        ; implicit-def: $vgpr1
	s_branch .LBB151_2300
.LBB151_2248:
	s_mov_b32 s19, -1
	s_mov_b32 s18, 0
	s_mov_b32 s0, 0
                                        ; implicit-def: $vgpr3
                                        ; implicit-def: $vgpr1
	s_branch .LBB151_2285
.LBB151_2249:
	s_mov_b32 s19, -1
	s_mov_b32 s18, 0
	s_mov_b32 s0, 0
                                        ; implicit-def: $vgpr3
                                        ; implicit-def: $vgpr1
	s_branch .LBB151_2266
.LBB151_2250:
	s_mov_b32 s19, -1
	s_mov_b32 s18, 0
	s_mov_b32 s0, 0
                                        ; implicit-def: $vgpr3
                                        ; implicit-def: $vgpr1
	s_branch .LBB151_2260
.LBB151_2251:
	s_mov_b32 s19, -1
	s_mov_b32 s18, 0
	s_mov_b32 s0, 0
	s_branch .LBB151_2253
.LBB151_2252:
	s_mov_b32 s0, -1
	s_mov_b32 s18, 0
.LBB151_2253:
                                        ; implicit-def: $vgpr3
                                        ; implicit-def: $vgpr1
.LBB151_2254:
	s_and_b32 vcc_lo, exec_lo, s19
	s_cbranch_vccz .LBB151_2259
; %bb.2255:
	s_cmp_eq_u32 s15, 44
	s_cbranch_scc0 .LBB151_2257
; %bb.2256:
	s_wait_loadcnt 0x0
	global_load_u8 v1, v[14:15], off
	s_mov_b32 s0, 0
	s_mov_b32 s18, -1
	s_wait_loadcnt 0x0
	v_lshlrev_b32_e32 v3, 23, v1
	v_cmp_ne_u32_e32 vcc_lo, 0xff, v1
	s_delay_alu instid0(VALU_DEP_2) | instskip(NEXT) | instid1(VALU_DEP_1)
	v_cvt_f16_f32_e32 v3, v3
	v_cndmask_b32_e32 v3, 0x7e00, v3, vcc_lo
	v_cmp_ne_u32_e32 vcc_lo, 0, v1
	s_delay_alu instid0(VALU_DEP_2)
	v_cndmask_b32_e32 v1, 0, v3, vcc_lo
	s_branch .LBB151_2258
.LBB151_2257:
	s_mov_b32 s0, -1
                                        ; implicit-def: $vgpr1
.LBB151_2258:
	v_mov_b32_e32 v3, 0
.LBB151_2259:
	s_mov_b32 s19, 0
.LBB151_2260:
	s_delay_alu instid0(SALU_CYCLE_1)
	s_and_b32 vcc_lo, exec_lo, s19
	s_cbranch_vccz .LBB151_2265
; %bb.2261:
	s_cmp_eq_u32 s15, 29
	s_cbranch_scc0 .LBB151_2263
; %bb.2262:
	global_load_b64 v[16:17], v[14:15], off
	s_mov_b32 s0, 0
	s_mov_b32 s18, -1
	s_wait_loadcnt 0x0
	v_clz_i32_u32_e32 v1, v17
	s_delay_alu instid0(VALU_DEP_1) | instskip(NEXT) | instid1(VALU_DEP_1)
	v_min_u32_e32 v1, 32, v1
	v_lshlrev_b64_e32 v[16:17], v1, v[16:17]
	v_sub_nc_u32_e32 v1, 32, v1
	s_delay_alu instid0(VALU_DEP_2) | instskip(NEXT) | instid1(VALU_DEP_1)
	v_min_u32_e32 v3, 1, v16
	v_or_b32_e32 v3, v17, v3
	s_delay_alu instid0(VALU_DEP_1) | instskip(NEXT) | instid1(VALU_DEP_1)
	v_cvt_f32_u32_e32 v3, v3
	v_ldexp_f32 v1, v3, v1
	s_delay_alu instid0(VALU_DEP_1)
	v_cvt_f16_f32_e32 v1, v1
	s_branch .LBB151_2264
.LBB151_2263:
	s_mov_b32 s0, -1
                                        ; implicit-def: $vgpr1
.LBB151_2264:
	v_mov_b32_e32 v3, 0
.LBB151_2265:
	s_mov_b32 s19, 0
.LBB151_2266:
	s_delay_alu instid0(SALU_CYCLE_1)
	s_and_b32 vcc_lo, exec_lo, s19
	s_cbranch_vccz .LBB151_2284
; %bb.2267:
	s_cmp_lt_i32 s15, 27
	s_cbranch_scc1 .LBB151_2270
; %bb.2268:
	s_cmp_gt_i32 s15, 27
	s_cbranch_scc0 .LBB151_2271
; %bb.2269:
	s_wait_loadcnt 0x0
	global_load_b32 v1, v[14:15], off
	s_mov_b32 s18, 0
	s_wait_loadcnt 0x0
	v_cvt_f32_u32_e32 v1, v1
	s_delay_alu instid0(VALU_DEP_1)
	v_cvt_f16_f32_e32 v1, v1
	s_branch .LBB151_2272
.LBB151_2270:
	s_mov_b32 s18, -1
                                        ; implicit-def: $vgpr1
	s_branch .LBB151_2275
.LBB151_2271:
	s_mov_b32 s18, -1
                                        ; implicit-def: $vgpr1
.LBB151_2272:
	s_delay_alu instid0(SALU_CYCLE_1)
	s_and_not1_b32 vcc_lo, exec_lo, s18
	s_cbranch_vccnz .LBB151_2274
; %bb.2273:
	s_wait_loadcnt 0x0
	global_load_u16 v1, v[14:15], off
	s_wait_loadcnt 0x0
	v_cvt_f16_u16_e32 v1, v1
.LBB151_2274:
	s_mov_b32 s18, 0
.LBB151_2275:
	s_delay_alu instid0(SALU_CYCLE_1)
	s_and_not1_b32 vcc_lo, exec_lo, s18
	s_cbranch_vccnz .LBB151_2283
; %bb.2276:
	global_load_u8 v3, v[14:15], off
	s_mov_b32 s18, 0
	s_mov_b32 s19, exec_lo
	s_wait_loadcnt 0x0
	v_cmpx_lt_i16_e32 0x7f, v3
	s_xor_b32 s19, exec_lo, s19
	s_cbranch_execz .LBB151_2309
; %bb.2277:
	s_mov_b32 s18, -1
	s_mov_b32 s20, exec_lo
	v_cmpx_eq_u16_e32 0x80, v3
; %bb.2278:
	s_xor_b32 s18, exec_lo, -1
; %bb.2279:
	s_or_b32 exec_lo, exec_lo, s20
	s_delay_alu instid0(SALU_CYCLE_1)
	s_and_b32 s18, s18, exec_lo
	s_or_saveexec_b32 s19, s19
	v_mov_b32_e32 v1, 0x7e00
	s_xor_b32 exec_lo, exec_lo, s19
	s_cbranch_execnz .LBB151_2310
.LBB151_2280:
	s_or_b32 exec_lo, exec_lo, s19
	s_and_saveexec_b32 s19, s18
	s_cbranch_execz .LBB151_2282
.LBB151_2281:
	v_and_b32_e32 v1, 0xffff, v3
	s_delay_alu instid0(VALU_DEP_1) | instskip(SKIP_1) | instid1(VALU_DEP_2)
	v_and_b32_e32 v5, 7, v1
	v_bfe_u32 v11, v1, 3, 4
	v_clz_i32_u32_e32 v7, v5
	s_delay_alu instid0(VALU_DEP_2) | instskip(NEXT) | instid1(VALU_DEP_2)
	v_cmp_eq_u32_e32 vcc_lo, 0, v11
	v_min_u32_e32 v7, 32, v7
	s_delay_alu instid0(VALU_DEP_1) | instskip(NEXT) | instid1(VALU_DEP_1)
	v_subrev_nc_u32_e32 v9, 28, v7
	v_dual_lshlrev_b32 v1, v9, v1 :: v_dual_sub_nc_u32 v7, 29, v7
	s_delay_alu instid0(VALU_DEP_1) | instskip(NEXT) | instid1(VALU_DEP_1)
	v_dual_lshlrev_b32 v3, 24, v3 :: v_dual_bitop2_b32 v1, 7, v1 bitop3:0x40
	v_dual_cndmask_b32 v1, v5, v1, vcc_lo :: v_dual_cndmask_b32 v7, v11, v7, vcc_lo
	s_delay_alu instid0(VALU_DEP_2) | instskip(NEXT) | instid1(VALU_DEP_2)
	v_and_b32_e32 v3, 0x80000000, v3
	v_lshlrev_b32_e32 v1, 20, v1
	s_delay_alu instid0(VALU_DEP_3) | instskip(NEXT) | instid1(VALU_DEP_1)
	v_lshl_add_u32 v5, v7, 23, 0x3b800000
	v_or3_b32 v1, v3, v5, v1
	s_delay_alu instid0(VALU_DEP_1)
	v_cvt_f16_f32_e32 v1, v1
.LBB151_2282:
	s_or_b32 exec_lo, exec_lo, s19
.LBB151_2283:
	v_mov_b32_e32 v3, 0
	s_mov_b32 s18, -1
.LBB151_2284:
	s_mov_b32 s19, 0
.LBB151_2285:
	s_delay_alu instid0(SALU_CYCLE_1)
	s_and_b32 vcc_lo, exec_lo, s19
	s_cbranch_vccz .LBB151_2296
; %bb.2286:
	s_cmp_gt_i32 s15, 22
	s_cbranch_scc0 .LBB151_2307
; %bb.2287:
	s_cmp_lt_i32 s15, 24
	s_cbranch_scc1 .LBB151_2311
; %bb.2288:
	s_cmp_gt_i32 s15, 24
	s_cbranch_scc0 .LBB151_2313
; %bb.2289:
	global_load_u8 v3, v[14:15], off
	s_mov_b32 s18, exec_lo
	s_wait_loadcnt 0x0
	v_cmpx_lt_i16_e32 0x7f, v3
	s_xor_b32 s18, exec_lo, s18
	s_cbranch_execz .LBB151_2325
; %bb.2290:
	s_mov_b32 s17, -1
	s_mov_b32 s19, exec_lo
	v_cmpx_eq_u16_e32 0x80, v3
; %bb.2291:
	s_xor_b32 s17, exec_lo, -1
; %bb.2292:
	s_or_b32 exec_lo, exec_lo, s19
	s_delay_alu instid0(SALU_CYCLE_1)
	s_and_b32 s17, s17, exec_lo
	s_or_saveexec_b32 s18, s18
	v_mov_b32_e32 v1, 0x7e00
	s_xor_b32 exec_lo, exec_lo, s18
	s_cbranch_execnz .LBB151_2326
.LBB151_2293:
	s_or_b32 exec_lo, exec_lo, s18
	s_and_saveexec_b32 s18, s17
	s_cbranch_execz .LBB151_2295
.LBB151_2294:
	v_and_b32_e32 v1, 0xffff, v3
	s_delay_alu instid0(VALU_DEP_1) | instskip(SKIP_1) | instid1(VALU_DEP_2)
	v_and_b32_e32 v5, 3, v1
	v_bfe_u32 v11, v1, 2, 5
	v_clz_i32_u32_e32 v7, v5
	s_delay_alu instid0(VALU_DEP_2) | instskip(NEXT) | instid1(VALU_DEP_2)
	v_cmp_eq_u32_e32 vcc_lo, 0, v11
	v_min_u32_e32 v7, 32, v7
	s_delay_alu instid0(VALU_DEP_1) | instskip(NEXT) | instid1(VALU_DEP_1)
	v_subrev_nc_u32_e32 v9, 29, v7
	v_dual_lshlrev_b32 v1, v9, v1 :: v_dual_sub_nc_u32 v7, 30, v7
	s_delay_alu instid0(VALU_DEP_1) | instskip(NEXT) | instid1(VALU_DEP_1)
	v_dual_lshlrev_b32 v3, 24, v3 :: v_dual_bitop2_b32 v1, 3, v1 bitop3:0x40
	v_dual_cndmask_b32 v1, v5, v1, vcc_lo :: v_dual_cndmask_b32 v7, v11, v7, vcc_lo
	s_delay_alu instid0(VALU_DEP_2) | instskip(NEXT) | instid1(VALU_DEP_2)
	v_and_b32_e32 v3, 0x80000000, v3
	v_lshlrev_b32_e32 v1, 21, v1
	s_delay_alu instid0(VALU_DEP_3) | instskip(NEXT) | instid1(VALU_DEP_1)
	v_lshl_add_u32 v5, v7, 23, 0x37800000
	v_or3_b32 v1, v3, v5, v1
	s_delay_alu instid0(VALU_DEP_1)
	v_cvt_f16_f32_e32 v1, v1
.LBB151_2295:
	s_or_b32 exec_lo, exec_lo, s18
	s_mov_b32 s17, 0
	s_branch .LBB151_2314
.LBB151_2296:
	s_and_b32 vcc_lo, exec_lo, s0
	s_cbranch_vccnz .LBB151_2344
.LBB151_2297:
	s_and_not1_b32 vcc_lo, exec_lo, s17
	s_cbranch_vccnz .LBB151_2299
.LBB151_2298:
	s_wait_loadcnt 0x0
	global_load_u8 v1, v[14:15], off
	v_mov_b32_e32 v3, 0
	s_mov_b32 s18, -1
	s_wait_loadcnt 0x0
	v_cmp_ne_u16_e32 vcc_lo, 0, v1
	v_cndmask_b32_e64 v1, 0, 0x3c00, vcc_lo
.LBB151_2299:
	s_mov_b32 s0, 0
.LBB151_2300:
	s_delay_alu instid0(SALU_CYCLE_1)
	s_and_b32 vcc_lo, exec_lo, s0
	s_cbranch_vccz .LBB151_2375
; %bb.2301:
	s_cmp_lt_i32 s15, 5
	s_cbranch_scc1 .LBB151_2306
; %bb.2302:
	s_cmp_lt_i32 s15, 8
	s_cbranch_scc1 .LBB151_2308
	;; [unrolled: 3-line block ×3, first 2 shown]
; %bb.2304:
	s_cmp_gt_i32 s15, 9
	s_cbranch_scc0 .LBB151_2327
; %bb.2305:
	global_load_b128 v[16:19], v[14:15], off
	v_mov_b32_e32 v21, 0x7e00
	s_mov_b32 s0, 0
	s_wait_loadcnt 0x0
	v_and_or_b32 v1, 0x1ff, v17, v16
	v_and_or_b32 v7, 0x1ff, v19, v18
	v_dual_lshrrev_b32 v3, 8, v17 :: v_dual_lshrrev_b32 v9, 8, v19
	v_bfe_u32 v5, v17, 20, 11
	s_delay_alu instid0(VALU_DEP_4) | instskip(SKIP_2) | instid1(VALU_DEP_4)
	v_cmp_ne_u32_e32 vcc_lo, 0, v1
	v_bfe_u32 v11, v19, 20, 11
	v_lshrrev_b32_e32 v17, 16, v17
	v_sub_nc_u32_e32 v13, 0x3f1, v5
	v_cndmask_b32_e64 v1, 0, 1, vcc_lo
	v_cmp_ne_u32_e32 vcc_lo, 0, v7
	v_add_nc_u32_e32 v5, 0xfffffc10, v5
	s_delay_alu instid0(VALU_DEP_3) | instskip(SKIP_3) | instid1(VALU_DEP_3)
	v_and_or_b32 v1, 0xffe, v3, v1
	v_cndmask_b32_e64 v7, 0, 1, vcc_lo
	v_sub_nc_u32_e32 v3, 0x3f1, v11
	v_add_nc_u32_e32 v11, 0xfffffc10, v11
	v_and_or_b32 v7, 0xffe, v9, v7
	v_med3_i32 v9, v13, 0, 13
	v_or_b32_e32 v13, 0x1000, v1
	v_med3_i32 v3, v3, 0, 13
	s_delay_alu instid0(VALU_DEP_4) | instskip(NEXT) | instid1(VALU_DEP_1)
	v_or_b32_e32 v16, 0x1000, v7
	v_dual_lshrrev_b32 v18, v9, v13 :: v_dual_lshrrev_b32 v20, v3, v16
	s_delay_alu instid0(VALU_DEP_1) | instskip(NEXT) | instid1(VALU_DEP_1)
	v_dual_lshlrev_b32 v9, v9, v18 :: v_dual_lshlrev_b32 v3, v3, v20
	v_cmp_ne_u32_e32 vcc_lo, v9, v13
	v_lshl_or_b32 v13, v5, 12, v1
	v_cndmask_b32_e64 v9, 0, 1, vcc_lo
	s_delay_alu instid0(VALU_DEP_4) | instskip(SKIP_3) | instid1(VALU_DEP_2)
	v_cmp_ne_u32_e32 vcc_lo, v3, v16
	v_lshl_or_b32 v16, v11, 12, v7
	v_cndmask_b32_e64 v3, 0, 1, vcc_lo
	v_cmp_gt_i32_e32 vcc_lo, 1, v5
	v_or_b32_e32 v3, v20, v3
	v_or_b32_e32 v9, v18, v9
	s_delay_alu instid0(VALU_DEP_1) | instskip(SKIP_1) | instid1(VALU_DEP_2)
	v_cndmask_b32_e32 v9, v13, v9, vcc_lo
	v_cmp_gt_i32_e32 vcc_lo, 1, v11
	v_dual_lshrrev_b32 v9, 2, v9 :: v_dual_bitop2_b32 v13, 7, v9 bitop3:0x40
	v_cndmask_b32_e32 v3, v16, v3, vcc_lo
	s_delay_alu instid0(VALU_DEP_2) | instskip(NEXT) | instid1(VALU_DEP_2)
	v_cmp_lt_i32_e32 vcc_lo, 5, v13
	v_dual_lshrrev_b32 v3, 2, v3 :: v_dual_bitop2_b32 v16, 7, v3 bitop3:0x40
	v_cndmask_b32_e64 v18, 0, 1, vcc_lo
	v_cmp_eq_u32_e32 vcc_lo, 3, v13
	v_cndmask_b32_e64 v13, 0, 1, vcc_lo
	s_delay_alu instid0(VALU_DEP_4) | instskip(NEXT) | instid1(VALU_DEP_2)
	v_cmp_lt_i32_e32 vcc_lo, 5, v16
	v_or_b32_e32 v13, v13, v18
	v_cndmask_b32_e64 v20, 0, 1, vcc_lo
	v_cmp_eq_u32_e32 vcc_lo, 3, v16
	s_delay_alu instid0(VALU_DEP_3) | instskip(SKIP_2) | instid1(VALU_DEP_2)
	v_dual_add_nc_u32 v9, v9, v13 :: v_dual_lshrrev_b32 v13, 16, v19
	v_cndmask_b32_e64 v16, 0, 1, vcc_lo
	v_cmp_ne_u32_e32 vcc_lo, 0, v1
	v_or_b32_e32 v16, v16, v20
	v_cndmask_b32_e32 v1, 0x7c00, v21, vcc_lo
	v_cmp_ne_u32_e32 vcc_lo, 0, v7
	s_delay_alu instid0(VALU_DEP_3)
	v_add_nc_u32_e32 v3, v3, v16
	v_cndmask_b32_e32 v7, 0x7c00, v21, vcc_lo
	v_cmp_gt_i32_e32 vcc_lo, 31, v5
	v_cndmask_b32_e32 v9, 0x7c00, v9, vcc_lo
	v_cmp_gt_i32_e32 vcc_lo, 31, v11
	v_cndmask_b32_e32 v3, 0x7c00, v3, vcc_lo
	v_cmp_eq_u32_e32 vcc_lo, 0x40f, v5
	s_delay_alu instid0(VALU_DEP_4) | instskip(SKIP_1) | instid1(VALU_DEP_4)
	v_cndmask_b32_e32 v1, v9, v1, vcc_lo
	v_cmp_eq_u32_e32 vcc_lo, 0x40f, v11
	v_cndmask_b32_e32 v3, v3, v7, vcc_lo
	s_delay_alu instid0(VALU_DEP_3) | instskip(NEXT) | instid1(VALU_DEP_2)
	v_and_or_b32 v1, 0x8000, v17, v1
	v_and_or_b32 v3, 0x8000, v13, v3
	s_branch .LBB151_2328
.LBB151_2306:
	s_mov_b32 s0, -1
                                        ; implicit-def: $vgpr3
                                        ; implicit-def: $vgpr1
	s_branch .LBB151_2353
.LBB151_2307:
	s_mov_b32 s17, -1
                                        ; implicit-def: $vgpr1
	s_branch .LBB151_2320
.LBB151_2308:
	s_mov_b32 s0, -1
                                        ; implicit-def: $vgpr3
                                        ; implicit-def: $vgpr1
	s_branch .LBB151_2334
.LBB151_2309:
	s_or_saveexec_b32 s19, s19
	v_mov_b32_e32 v1, 0x7e00
	s_xor_b32 exec_lo, exec_lo, s19
	s_cbranch_execz .LBB151_2280
.LBB151_2310:
	v_cmp_ne_u16_e32 vcc_lo, 0, v3
	v_mov_b32_e32 v1, v3
	s_and_not1_b32 s18, s18, exec_lo
	s_and_b32 s20, vcc_lo, exec_lo
	s_delay_alu instid0(SALU_CYCLE_1)
	s_or_b32 s18, s18, s20
	s_or_b32 exec_lo, exec_lo, s19
	s_and_saveexec_b32 s19, s18
	s_cbranch_execnz .LBB151_2281
	s_branch .LBB151_2282
.LBB151_2311:
	s_mov_b32 s17, -1
                                        ; implicit-def: $vgpr1
	s_branch .LBB151_2317
.LBB151_2312:
	s_mov_b32 s0, -1
                                        ; implicit-def: $vgpr3
                                        ; implicit-def: $vgpr1
	s_branch .LBB151_2331
.LBB151_2313:
	s_mov_b32 s17, -1
                                        ; implicit-def: $vgpr1
.LBB151_2314:
	s_delay_alu instid0(SALU_CYCLE_1)
	s_and_b32 vcc_lo, exec_lo, s17
	s_cbranch_vccz .LBB151_2316
; %bb.2315:
	s_wait_loadcnt 0x0
	global_load_u8 v1, v[14:15], off
	s_wait_loadcnt 0x0
	v_lshlrev_b32_e32 v1, 24, v1
	s_delay_alu instid0(VALU_DEP_1) | instskip(NEXT) | instid1(VALU_DEP_1)
	v_and_b32_e32 v3, 0x7f000000, v1
	v_clz_i32_u32_e32 v5, v3
	v_add_nc_u32_e32 v9, 0x1000000, v3
	v_cmp_ne_u32_e32 vcc_lo, 0, v3
	s_delay_alu instid0(VALU_DEP_3) | instskip(NEXT) | instid1(VALU_DEP_1)
	v_min_u32_e32 v5, 32, v5
	v_sub_nc_u32_e64 v5, v5, 4 clamp
	s_delay_alu instid0(VALU_DEP_1) | instskip(NEXT) | instid1(VALU_DEP_1)
	v_dual_lshlrev_b32 v7, v5, v3 :: v_dual_lshlrev_b32 v5, 23, v5
	v_lshrrev_b32_e32 v7, 4, v7
	s_delay_alu instid0(VALU_DEP_1) | instskip(SKIP_1) | instid1(VALU_DEP_2)
	v_sub_nc_u32_e32 v5, v7, v5
	v_ashrrev_i32_e32 v7, 8, v9
	v_add_nc_u32_e32 v5, 0x3c000000, v5
	s_delay_alu instid0(VALU_DEP_1) | instskip(NEXT) | instid1(VALU_DEP_1)
	v_and_or_b32 v5, 0x7f800000, v7, v5
	v_cndmask_b32_e32 v3, 0, v5, vcc_lo
	s_delay_alu instid0(VALU_DEP_1) | instskip(NEXT) | instid1(VALU_DEP_1)
	v_and_or_b32 v1, 0x80000000, v1, v3
	v_cvt_f16_f32_e32 v1, v1
.LBB151_2316:
	s_mov_b32 s17, 0
.LBB151_2317:
	s_delay_alu instid0(SALU_CYCLE_1)
	s_and_not1_b32 vcc_lo, exec_lo, s17
	s_cbranch_vccnz .LBB151_2319
; %bb.2318:
	s_wait_loadcnt 0x0
	global_load_u8 v1, v[14:15], off
	s_wait_loadcnt 0x0
	v_lshlrev_b32_e32 v3, 25, v1
	v_lshlrev_b16 v1, 8, v1
	s_delay_alu instid0(VALU_DEP_1) | instskip(SKIP_1) | instid1(VALU_DEP_2)
	v_and_or_b32 v7, 0x7f00, v1, 0.5
	v_bfe_i32 v1, v1, 0, 16
	v_add_f32_e32 v7, -0.5, v7
	v_lshrrev_b32_e32 v5, 4, v3
	v_cmp_gt_u32_e32 vcc_lo, 0x8000000, v3
	s_delay_alu instid0(VALU_DEP_2) | instskip(NEXT) | instid1(VALU_DEP_1)
	v_or_b32_e32 v5, 0x70000000, v5
	v_mul_f32_e32 v5, 0x7800000, v5
	s_delay_alu instid0(VALU_DEP_1) | instskip(NEXT) | instid1(VALU_DEP_1)
	v_cndmask_b32_e32 v3, v5, v7, vcc_lo
	v_and_or_b32 v1, 0x80000000, v1, v3
	s_delay_alu instid0(VALU_DEP_1)
	v_cvt_f16_f32_e32 v1, v1
.LBB151_2319:
	s_mov_b32 s17, 0
	s_mov_b32 s18, -1
.LBB151_2320:
	s_and_not1_b32 vcc_lo, exec_lo, s17
	s_mov_b32 s17, 0
	s_cbranch_vccnz .LBB151_2343
; %bb.2321:
	s_cmp_gt_i32 s15, 14
	s_cbranch_scc0 .LBB151_2324
; %bb.2322:
	s_cmp_eq_u32 s15, 15
	s_cbranch_scc0 .LBB151_2339
; %bb.2323:
	s_wait_loadcnt 0x0
	global_load_u16 v1, v[14:15], off
	s_mov_b32 s0, 0
	s_mov_b32 s18, -1
	s_wait_loadcnt 0x0
	v_lshlrev_b32_e32 v1, 16, v1
	s_delay_alu instid0(VALU_DEP_1)
	v_cvt_f16_f32_e32 v1, v1
	s_branch .LBB151_2341
.LBB151_2324:
	s_mov_b32 s17, -1
	s_branch .LBB151_2340
.LBB151_2325:
	s_or_saveexec_b32 s18, s18
	v_mov_b32_e32 v1, 0x7e00
	s_xor_b32 exec_lo, exec_lo, s18
	s_cbranch_execz .LBB151_2293
.LBB151_2326:
	v_cmp_ne_u16_e32 vcc_lo, 0, v3
	v_mov_b32_e32 v1, v3
	s_and_not1_b32 s17, s17, exec_lo
	s_and_b32 s19, vcc_lo, exec_lo
	s_delay_alu instid0(SALU_CYCLE_1)
	s_or_b32 s17, s17, s19
	s_or_b32 exec_lo, exec_lo, s18
	s_and_saveexec_b32 s18, s17
	s_cbranch_execnz .LBB151_2294
	s_branch .LBB151_2295
.LBB151_2327:
	s_mov_b32 s0, -1
                                        ; implicit-def: $vgpr3
                                        ; implicit-def: $vgpr1
.LBB151_2328:
	s_delay_alu instid0(SALU_CYCLE_1)
	s_and_not1_b32 vcc_lo, exec_lo, s0
	s_cbranch_vccnz .LBB151_2330
; %bb.2329:
	global_load_b64 v[16:17], v[14:15], off
	s_wait_loadcnt 0x0
	v_cvt_f16_f32_e32 v1, v16
	v_cvt_f16_f32_e32 v3, v17
.LBB151_2330:
	s_mov_b32 s0, 0
.LBB151_2331:
	s_delay_alu instid0(SALU_CYCLE_1)
	s_and_not1_b32 vcc_lo, exec_lo, s0
	s_cbranch_vccnz .LBB151_2333
; %bb.2332:
	s_wait_loadcnt 0x0
	global_load_b32 v1, v[14:15], off
	s_wait_loadcnt 0x0
	v_lshrrev_b32_e32 v3, 16, v1
.LBB151_2333:
	s_mov_b32 s0, 0
.LBB151_2334:
	s_delay_alu instid0(SALU_CYCLE_1)
	s_and_not1_b32 vcc_lo, exec_lo, s0
	s_cbranch_vccnz .LBB151_2352
; %bb.2335:
	s_cmp_lt_i32 s15, 6
	s_cbranch_scc1 .LBB151_2338
; %bb.2336:
	s_cmp_gt_i32 s15, 6
	s_cbranch_scc0 .LBB151_2345
; %bb.2337:
	global_load_b64 v[16:17], v[14:15], off
	s_mov_b32 s0, 0
	s_wait_loadcnt 0x0
	v_and_or_b32 v1, 0x1ff, v17, v16
	v_lshrrev_b32_e32 v3, 8, v17
	v_bfe_u32 v5, v17, 20, 11
	s_delay_alu instid0(VALU_DEP_3) | instskip(NEXT) | instid1(VALU_DEP_2)
	v_cmp_ne_u32_e32 vcc_lo, 0, v1
	v_sub_nc_u32_e32 v7, 0x3f1, v5
	v_add_nc_u32_e32 v5, 0xfffffc10, v5
	v_cndmask_b32_e64 v1, 0, 1, vcc_lo
	s_delay_alu instid0(VALU_DEP_1) | instskip(NEXT) | instid1(VALU_DEP_4)
	v_and_or_b32 v1, 0xffe, v3, v1
	v_med3_i32 v3, v7, 0, 13
	s_delay_alu instid0(VALU_DEP_2) | instskip(NEXT) | instid1(VALU_DEP_1)
	v_or_b32_e32 v7, 0x1000, v1
	v_lshrrev_b32_e32 v9, v3, v7
	s_delay_alu instid0(VALU_DEP_1) | instskip(NEXT) | instid1(VALU_DEP_1)
	v_lshlrev_b32_e32 v3, v3, v9
	v_cmp_ne_u32_e32 vcc_lo, v3, v7
	v_lshl_or_b32 v7, v5, 12, v1
	v_cndmask_b32_e64 v3, 0, 1, vcc_lo
	v_cmp_gt_i32_e32 vcc_lo, 1, v5
	s_delay_alu instid0(VALU_DEP_2) | instskip(NEXT) | instid1(VALU_DEP_1)
	v_or_b32_e32 v3, v9, v3
	v_cndmask_b32_e32 v3, v7, v3, vcc_lo
	s_delay_alu instid0(VALU_DEP_1) | instskip(NEXT) | instid1(VALU_DEP_1)
	v_and_b32_e32 v7, 7, v3
	v_cmp_lt_i32_e32 vcc_lo, 5, v7
	v_cndmask_b32_e64 v9, 0, 1, vcc_lo
	v_cmp_eq_u32_e32 vcc_lo, 3, v7
	v_cndmask_b32_e64 v7, 0, 1, vcc_lo
	v_cmp_ne_u32_e32 vcc_lo, 0, v1
	s_delay_alu instid0(VALU_DEP_2) | instskip(SKIP_1) | instid1(VALU_DEP_2)
	v_dual_lshrrev_b32 v3, 2, v3 :: v_dual_bitop2_b32 v7, v7, v9 bitop3:0x54
	v_mov_b32_e32 v9, 0x7e00
	v_add_nc_u32_e32 v3, v3, v7
	s_delay_alu instid0(VALU_DEP_2) | instskip(SKIP_1) | instid1(VALU_DEP_3)
	v_cndmask_b32_e32 v1, 0x7c00, v9, vcc_lo
	v_cmp_gt_i32_e32 vcc_lo, 31, v5
	v_cndmask_b32_e32 v3, 0x7c00, v3, vcc_lo
	v_cmp_eq_u32_e32 vcc_lo, 0x40f, v5
	s_delay_alu instid0(VALU_DEP_2) | instskip(SKIP_1) | instid1(VALU_DEP_1)
	v_cndmask_b32_e32 v1, v3, v1, vcc_lo
	v_lshrrev_b32_e32 v3, 16, v17
	v_and_or_b32 v1, 0x8000, v3, v1
	s_branch .LBB151_2346
.LBB151_2338:
	s_mov_b32 s0, -1
                                        ; implicit-def: $vgpr1
	s_branch .LBB151_2349
.LBB151_2339:
	s_mov_b32 s0, -1
.LBB151_2340:
                                        ; implicit-def: $vgpr1
.LBB151_2341:
	s_and_b32 vcc_lo, exec_lo, s17
	s_mov_b32 s17, 0
	s_cbranch_vccz .LBB151_2343
; %bb.2342:
	s_cmp_lg_u32 s15, 11
	s_mov_b32 s17, -1
	s_cselect_b32 s0, -1, 0
.LBB151_2343:
	v_mov_b32_e32 v3, 0
	s_and_b32 vcc_lo, exec_lo, s0
	s_cbranch_vccz .LBB151_2297
.LBB151_2344:
	s_or_b32 s1, s1, exec_lo
	s_trap 2
	s_cbranch_execz .LBB151_2298
	s_branch .LBB151_2299
.LBB151_2345:
	s_mov_b32 s0, -1
                                        ; implicit-def: $vgpr1
.LBB151_2346:
	s_delay_alu instid0(SALU_CYCLE_1)
	s_and_not1_b32 vcc_lo, exec_lo, s0
	s_cbranch_vccnz .LBB151_2348
; %bb.2347:
	s_wait_loadcnt 0x0
	global_load_b32 v1, v[14:15], off
	s_wait_loadcnt 0x0
	v_cvt_f16_f32_e32 v1, v1
.LBB151_2348:
	s_mov_b32 s0, 0
.LBB151_2349:
	s_delay_alu instid0(SALU_CYCLE_1)
	s_and_not1_b32 vcc_lo, exec_lo, s0
	s_cbranch_vccnz .LBB151_2351
; %bb.2350:
	s_wait_loadcnt 0x0
	global_load_u16 v1, v[14:15], off
.LBB151_2351:
	v_mov_b32_e32 v3, 0
.LBB151_2352:
	s_mov_b32 s0, 0
.LBB151_2353:
	s_delay_alu instid0(SALU_CYCLE_1)
	s_and_not1_b32 vcc_lo, exec_lo, s0
	s_cbranch_vccnz .LBB151_2374
; %bb.2354:
	s_cmp_lt_i32 s15, 2
	s_cbranch_scc1 .LBB151_2358
; %bb.2355:
	s_cmp_lt_i32 s15, 3
	s_cbranch_scc1 .LBB151_2359
; %bb.2356:
	s_cmp_gt_i32 s15, 3
	s_cbranch_scc0 .LBB151_2360
; %bb.2357:
	global_load_b64 v[16:17], v[14:15], off
	s_mov_b32 s0, 0
	s_wait_loadcnt 0x0
	v_xor_b32_e32 v1, v16, v17
	v_cls_i32_e32 v3, v17
	s_delay_alu instid0(VALU_DEP_2) | instskip(NEXT) | instid1(VALU_DEP_1)
	v_ashrrev_i32_e32 v1, 31, v1
	v_add_nc_u32_e32 v1, 32, v1
	s_delay_alu instid0(VALU_DEP_1) | instskip(NEXT) | instid1(VALU_DEP_1)
	v_add_min_u32_e64 v1, v3, -1, v1
	v_lshlrev_b64_e32 v[16:17], v1, v[16:17]
	v_sub_nc_u32_e32 v1, 32, v1
	s_delay_alu instid0(VALU_DEP_2) | instskip(NEXT) | instid1(VALU_DEP_1)
	v_min_u32_e32 v3, 1, v16
	v_or_b32_e32 v3, v17, v3
	s_delay_alu instid0(VALU_DEP_1) | instskip(NEXT) | instid1(VALU_DEP_1)
	v_cvt_f32_i32_e32 v3, v3
	v_ldexp_f32 v1, v3, v1
	s_delay_alu instid0(VALU_DEP_1)
	v_cvt_f16_f32_e32 v1, v1
	s_branch .LBB151_2361
.LBB151_2358:
	s_mov_b32 s0, -1
                                        ; implicit-def: $vgpr1
	s_branch .LBB151_2367
.LBB151_2359:
	s_mov_b32 s0, -1
                                        ; implicit-def: $vgpr1
	s_branch .LBB151_2364
.LBB151_2360:
	s_mov_b32 s0, -1
                                        ; implicit-def: $vgpr1
.LBB151_2361:
	s_delay_alu instid0(SALU_CYCLE_1)
	s_and_not1_b32 vcc_lo, exec_lo, s0
	s_cbranch_vccnz .LBB151_2363
; %bb.2362:
	s_wait_loadcnt 0x0
	global_load_b32 v1, v[14:15], off
	s_wait_loadcnt 0x0
	v_cvt_f32_i32_e32 v1, v1
	s_delay_alu instid0(VALU_DEP_1)
	v_cvt_f16_f32_e32 v1, v1
.LBB151_2363:
	s_mov_b32 s0, 0
.LBB151_2364:
	s_delay_alu instid0(SALU_CYCLE_1)
	s_and_not1_b32 vcc_lo, exec_lo, s0
	s_cbranch_vccnz .LBB151_2366
; %bb.2365:
	s_wait_loadcnt 0x0
	global_load_u16 v1, v[14:15], off
	s_wait_loadcnt 0x0
	v_cvt_f16_i16_e32 v1, v1
.LBB151_2366:
	s_mov_b32 s0, 0
.LBB151_2367:
	s_delay_alu instid0(SALU_CYCLE_1)
	s_and_not1_b32 vcc_lo, exec_lo, s0
	s_cbranch_vccnz .LBB151_2373
; %bb.2368:
	s_cmp_gt_i32 s15, 0
	s_mov_b32 s0, 0
	s_cbranch_scc0 .LBB151_2370
; %bb.2369:
	s_wait_loadcnt 0x0
	global_load_i8 v1, v[14:15], off
	s_wait_loadcnt 0x0
	v_cvt_f16_i16_e32 v1, v1
	s_branch .LBB151_2371
.LBB151_2370:
	s_mov_b32 s0, -1
                                        ; implicit-def: $vgpr1
.LBB151_2371:
	s_delay_alu instid0(SALU_CYCLE_1)
	s_and_not1_b32 vcc_lo, exec_lo, s0
	s_cbranch_vccnz .LBB151_2373
; %bb.2372:
	s_wait_loadcnt 0x0
	global_load_u8 v1, v[14:15], off
	s_wait_loadcnt 0x0
	v_cvt_f16_u16_e32 v1, v1
.LBB151_2373:
	v_mov_b32_e32 v3, 0
.LBB151_2374:
	s_mov_b32 s18, -1
.LBB151_2375:
	s_delay_alu instid0(SALU_CYCLE_1)
	s_and_not1_b32 vcc_lo, exec_lo, s18
	s_cbranch_vccnz .LBB151_2793
; %bb.2376:
	v_mov_b32_e32 v13, 0
	s_cmp_lt_i32 s16, 11
	s_delay_alu instid0(VALU_DEP_1)
	v_add_nc_u64_e32 v[12:13], s[8:9], v[12:13]
	s_cbranch_scc1 .LBB151_2383
; %bb.2377:
	s_cmp_gt_i32 s16, 25
	s_mov_b32 s17, 0
	s_cbranch_scc0 .LBB151_2384
; %bb.2378:
	s_cmp_gt_i32 s16, 28
	s_cbranch_scc0 .LBB151_2385
; %bb.2379:
	s_cmp_gt_i32 s16, 43
	;; [unrolled: 3-line block ×3, first 2 shown]
	s_cbranch_scc0 .LBB151_2387
; %bb.2381:
	s_cmp_eq_u32 s16, 46
	s_mov_b32 s19, 0
	s_cbranch_scc0 .LBB151_2390
; %bb.2382:
	s_wait_loadcnt 0x0
	global_load_b32 v5, v[12:13], off
	s_mov_b32 s0, 0
	s_mov_b32 s18, -1
	s_wait_loadcnt 0x0
	v_lshlrev_b32_e32 v7, 16, v5
	v_and_b32_e32 v9, 0xffff0000, v5
	s_delay_alu instid0(VALU_DEP_2) | instskip(NEXT) | instid1(VALU_DEP_2)
	v_cvt_f16_f32_e32 v5, v7
	v_cvt_f16_f32_e32 v7, v9
	s_branch .LBB151_2392
.LBB151_2383:
	s_mov_b32 s0, -1
	s_mov_b32 s18, 0
                                        ; implicit-def: $vgpr7
                                        ; implicit-def: $vgpr5
	s_branch .LBB151_2438
.LBB151_2384:
	s_mov_b32 s19, -1
	s_mov_b32 s18, 0
	s_mov_b32 s0, 0
                                        ; implicit-def: $vgpr7
                                        ; implicit-def: $vgpr5
	s_branch .LBB151_2423
.LBB151_2385:
	s_mov_b32 s19, -1
	s_mov_b32 s18, 0
	s_mov_b32 s0, 0
                                        ; implicit-def: $vgpr7
                                        ; implicit-def: $vgpr5
	s_branch .LBB151_2404
.LBB151_2386:
	s_mov_b32 s19, -1
	s_mov_b32 s18, 0
	s_mov_b32 s0, 0
                                        ; implicit-def: $vgpr7
                                        ; implicit-def: $vgpr5
	s_branch .LBB151_2398
.LBB151_2387:
	s_mov_b32 s19, -1
	s_mov_b32 s18, 0
	s_mov_b32 s0, 0
	s_branch .LBB151_2391
.LBB151_2388:
	s_and_not1_saveexec_b32 s53, s53
	s_cbranch_execz .LBB151_1164
.LBB151_2389:
	s_wait_loadcnt 0x0
	v_add_f32_e32 v1, 0x42800000, v4
	s_and_not1_b32 s52, s52, exec_lo
	s_delay_alu instid0(VALU_DEP_1) | instskip(NEXT) | instid1(VALU_DEP_1)
	v_and_b32_e32 v1, 0xff, v1
	v_cmp_ne_u32_e32 vcc_lo, 0, v1
	s_and_b32 s54, vcc_lo, exec_lo
	s_delay_alu instid0(SALU_CYCLE_1)
	s_or_b32 s52, s52, s54
	s_or_b32 exec_lo, exec_lo, s53
	v_mov_b32_e32 v5, 0
	s_and_saveexec_b32 s53, s52
	s_cbranch_execnz .LBB151_1165
	s_branch .LBB151_1166
.LBB151_2390:
	s_mov_b32 s0, -1
	s_mov_b32 s18, 0
.LBB151_2391:
                                        ; implicit-def: $vgpr7
                                        ; implicit-def: $vgpr5
.LBB151_2392:
	s_and_b32 vcc_lo, exec_lo, s19
	s_cbranch_vccz .LBB151_2397
; %bb.2393:
	s_cmp_eq_u32 s16, 44
	s_cbranch_scc0 .LBB151_2395
; %bb.2394:
	s_wait_loadcnt 0x0
	global_load_u8 v5, v[12:13], off
	s_mov_b32 s0, 0
	s_mov_b32 s18, -1
	s_wait_loadcnt 0x0
	v_lshlrev_b32_e32 v7, 23, v5
	v_cmp_ne_u32_e32 vcc_lo, 0xff, v5
	s_delay_alu instid0(VALU_DEP_2) | instskip(NEXT) | instid1(VALU_DEP_1)
	v_cvt_f16_f32_e32 v7, v7
	v_cndmask_b32_e32 v7, 0x7e00, v7, vcc_lo
	v_cmp_ne_u32_e32 vcc_lo, 0, v5
	s_delay_alu instid0(VALU_DEP_2)
	v_cndmask_b32_e32 v5, 0, v7, vcc_lo
	s_branch .LBB151_2396
.LBB151_2395:
	s_mov_b32 s0, -1
                                        ; implicit-def: $vgpr5
.LBB151_2396:
	v_mov_b32_e32 v7, 0
.LBB151_2397:
	s_mov_b32 s19, 0
.LBB151_2398:
	s_delay_alu instid0(SALU_CYCLE_1)
	s_and_b32 vcc_lo, exec_lo, s19
	s_cbranch_vccz .LBB151_2403
; %bb.2399:
	s_cmp_eq_u32 s16, 29
	s_cbranch_scc0 .LBB151_2401
; %bb.2400:
	global_load_b64 v[14:15], v[12:13], off
	s_mov_b32 s0, 0
	s_mov_b32 s18, -1
	s_wait_loadcnt 0x0
	v_clz_i32_u32_e32 v5, v15
	s_delay_alu instid0(VALU_DEP_1) | instskip(NEXT) | instid1(VALU_DEP_1)
	v_min_u32_e32 v5, 32, v5
	v_lshlrev_b64_e32 v[14:15], v5, v[14:15]
	v_sub_nc_u32_e32 v5, 32, v5
	s_delay_alu instid0(VALU_DEP_2) | instskip(NEXT) | instid1(VALU_DEP_1)
	v_min_u32_e32 v7, 1, v14
	v_or_b32_e32 v7, v15, v7
	s_delay_alu instid0(VALU_DEP_1) | instskip(NEXT) | instid1(VALU_DEP_1)
	v_cvt_f32_u32_e32 v7, v7
	v_ldexp_f32 v5, v7, v5
	s_delay_alu instid0(VALU_DEP_1)
	v_cvt_f16_f32_e32 v5, v5
	s_branch .LBB151_2402
.LBB151_2401:
	s_mov_b32 s0, -1
                                        ; implicit-def: $vgpr5
.LBB151_2402:
	v_mov_b32_e32 v7, 0
.LBB151_2403:
	s_mov_b32 s19, 0
.LBB151_2404:
	s_delay_alu instid0(SALU_CYCLE_1)
	s_and_b32 vcc_lo, exec_lo, s19
	s_cbranch_vccz .LBB151_2422
; %bb.2405:
	s_cmp_lt_i32 s16, 27
	s_cbranch_scc1 .LBB151_2408
; %bb.2406:
	s_cmp_gt_i32 s16, 27
	s_cbranch_scc0 .LBB151_2409
; %bb.2407:
	s_wait_loadcnt 0x0
	global_load_b32 v5, v[12:13], off
	s_mov_b32 s18, 0
	s_wait_loadcnt 0x0
	v_cvt_f32_u32_e32 v5, v5
	s_delay_alu instid0(VALU_DEP_1)
	v_cvt_f16_f32_e32 v5, v5
	s_branch .LBB151_2410
.LBB151_2408:
	s_mov_b32 s18, -1
                                        ; implicit-def: $vgpr5
	s_branch .LBB151_2413
.LBB151_2409:
	s_mov_b32 s18, -1
                                        ; implicit-def: $vgpr5
.LBB151_2410:
	s_delay_alu instid0(SALU_CYCLE_1)
	s_and_not1_b32 vcc_lo, exec_lo, s18
	s_cbranch_vccnz .LBB151_2412
; %bb.2411:
	s_wait_loadcnt 0x0
	global_load_u16 v5, v[12:13], off
	s_wait_loadcnt 0x0
	v_cvt_f16_u16_e32 v5, v5
.LBB151_2412:
	s_mov_b32 s18, 0
.LBB151_2413:
	s_delay_alu instid0(SALU_CYCLE_1)
	s_and_not1_b32 vcc_lo, exec_lo, s18
	s_cbranch_vccnz .LBB151_2421
; %bb.2414:
	global_load_u8 v7, v[12:13], off
	s_mov_b32 s18, 0
	s_mov_b32 s19, exec_lo
	s_wait_loadcnt 0x0
	v_cmpx_lt_i16_e32 0x7f, v7
	s_xor_b32 s19, exec_lo, s19
	s_cbranch_execz .LBB151_2447
; %bb.2415:
	s_mov_b32 s18, -1
	s_mov_b32 s20, exec_lo
	v_cmpx_eq_u16_e32 0x80, v7
; %bb.2416:
	s_xor_b32 s18, exec_lo, -1
; %bb.2417:
	s_or_b32 exec_lo, exec_lo, s20
	s_delay_alu instid0(SALU_CYCLE_1)
	s_and_b32 s18, s18, exec_lo
	s_or_saveexec_b32 s19, s19
	v_mov_b32_e32 v5, 0x7e00
	s_xor_b32 exec_lo, exec_lo, s19
	s_cbranch_execnz .LBB151_2448
.LBB151_2418:
	s_or_b32 exec_lo, exec_lo, s19
	s_and_saveexec_b32 s19, s18
	s_cbranch_execz .LBB151_2420
.LBB151_2419:
	v_and_b32_e32 v5, 0xffff, v7
	s_delay_alu instid0(VALU_DEP_1) | instskip(SKIP_1) | instid1(VALU_DEP_2)
	v_and_b32_e32 v9, 7, v5
	v_bfe_u32 v15, v5, 3, 4
	v_clz_i32_u32_e32 v11, v9
	s_delay_alu instid0(VALU_DEP_2) | instskip(NEXT) | instid1(VALU_DEP_2)
	v_cmp_eq_u32_e32 vcc_lo, 0, v15
	v_min_u32_e32 v11, 32, v11
	s_delay_alu instid0(VALU_DEP_1) | instskip(NEXT) | instid1(VALU_DEP_1)
	v_subrev_nc_u32_e32 v14, 28, v11
	v_dual_lshlrev_b32 v5, v14, v5 :: v_dual_sub_nc_u32 v11, 29, v11
	s_delay_alu instid0(VALU_DEP_1) | instskip(NEXT) | instid1(VALU_DEP_1)
	v_dual_lshlrev_b32 v7, 24, v7 :: v_dual_bitop2_b32 v5, 7, v5 bitop3:0x40
	v_dual_cndmask_b32 v5, v9, v5, vcc_lo :: v_dual_cndmask_b32 v11, v15, v11, vcc_lo
	s_delay_alu instid0(VALU_DEP_2) | instskip(NEXT) | instid1(VALU_DEP_2)
	v_and_b32_e32 v7, 0x80000000, v7
	v_lshlrev_b32_e32 v5, 20, v5
	s_delay_alu instid0(VALU_DEP_3) | instskip(NEXT) | instid1(VALU_DEP_1)
	v_lshl_add_u32 v9, v11, 23, 0x3b800000
	v_or3_b32 v5, v7, v9, v5
	s_delay_alu instid0(VALU_DEP_1)
	v_cvt_f16_f32_e32 v5, v5
.LBB151_2420:
	s_or_b32 exec_lo, exec_lo, s19
.LBB151_2421:
	v_mov_b32_e32 v7, 0
	s_mov_b32 s18, -1
.LBB151_2422:
	s_mov_b32 s19, 0
.LBB151_2423:
	s_delay_alu instid0(SALU_CYCLE_1)
	s_and_b32 vcc_lo, exec_lo, s19
	s_cbranch_vccz .LBB151_2434
; %bb.2424:
	s_cmp_gt_i32 s16, 22
	s_cbranch_scc0 .LBB151_2445
; %bb.2425:
	s_cmp_lt_i32 s16, 24
	s_cbranch_scc1 .LBB151_2449
; %bb.2426:
	s_cmp_gt_i32 s16, 24
	s_cbranch_scc0 .LBB151_2451
; %bb.2427:
	global_load_u8 v7, v[12:13], off
	s_mov_b32 s18, exec_lo
	s_wait_loadcnt 0x0
	v_cmpx_lt_i16_e32 0x7f, v7
	s_xor_b32 s18, exec_lo, s18
	s_cbranch_execz .LBB151_2463
; %bb.2428:
	s_mov_b32 s17, -1
	s_mov_b32 s19, exec_lo
	v_cmpx_eq_u16_e32 0x80, v7
; %bb.2429:
	s_xor_b32 s17, exec_lo, -1
; %bb.2430:
	s_or_b32 exec_lo, exec_lo, s19
	s_delay_alu instid0(SALU_CYCLE_1)
	s_and_b32 s17, s17, exec_lo
	s_or_saveexec_b32 s18, s18
	v_mov_b32_e32 v5, 0x7e00
	s_xor_b32 exec_lo, exec_lo, s18
	s_cbranch_execnz .LBB151_2464
.LBB151_2431:
	s_or_b32 exec_lo, exec_lo, s18
	s_and_saveexec_b32 s18, s17
	s_cbranch_execz .LBB151_2433
.LBB151_2432:
	v_and_b32_e32 v5, 0xffff, v7
	s_delay_alu instid0(VALU_DEP_1) | instskip(SKIP_1) | instid1(VALU_DEP_2)
	v_and_b32_e32 v9, 3, v5
	v_bfe_u32 v15, v5, 2, 5
	v_clz_i32_u32_e32 v11, v9
	s_delay_alu instid0(VALU_DEP_2) | instskip(NEXT) | instid1(VALU_DEP_2)
	v_cmp_eq_u32_e32 vcc_lo, 0, v15
	v_min_u32_e32 v11, 32, v11
	s_delay_alu instid0(VALU_DEP_1) | instskip(NEXT) | instid1(VALU_DEP_1)
	v_subrev_nc_u32_e32 v14, 29, v11
	v_dual_lshlrev_b32 v5, v14, v5 :: v_dual_sub_nc_u32 v11, 30, v11
	s_delay_alu instid0(VALU_DEP_1) | instskip(NEXT) | instid1(VALU_DEP_1)
	v_dual_lshlrev_b32 v7, 24, v7 :: v_dual_bitop2_b32 v5, 3, v5 bitop3:0x40
	v_dual_cndmask_b32 v5, v9, v5, vcc_lo :: v_dual_cndmask_b32 v11, v15, v11, vcc_lo
	s_delay_alu instid0(VALU_DEP_2) | instskip(NEXT) | instid1(VALU_DEP_2)
	v_and_b32_e32 v7, 0x80000000, v7
	v_lshlrev_b32_e32 v5, 21, v5
	s_delay_alu instid0(VALU_DEP_3) | instskip(NEXT) | instid1(VALU_DEP_1)
	v_lshl_add_u32 v9, v11, 23, 0x37800000
	v_or3_b32 v5, v7, v9, v5
	s_delay_alu instid0(VALU_DEP_1)
	v_cvt_f16_f32_e32 v5, v5
.LBB151_2433:
	s_or_b32 exec_lo, exec_lo, s18
	s_mov_b32 s17, 0
	s_branch .LBB151_2452
.LBB151_2434:
	s_and_b32 vcc_lo, exec_lo, s0
	s_cbranch_vccnz .LBB151_2482
.LBB151_2435:
	s_and_not1_b32 vcc_lo, exec_lo, s17
	s_cbranch_vccnz .LBB151_2437
.LBB151_2436:
	s_wait_loadcnt 0x0
	global_load_u8 v5, v[12:13], off
	v_mov_b32_e32 v7, 0
	s_mov_b32 s18, -1
	s_wait_loadcnt 0x0
	v_cmp_ne_u16_e32 vcc_lo, 0, v5
	v_cndmask_b32_e64 v5, 0, 0x3c00, vcc_lo
.LBB151_2437:
	s_mov_b32 s0, 0
.LBB151_2438:
	s_delay_alu instid0(SALU_CYCLE_1)
	s_and_b32 vcc_lo, exec_lo, s0
	s_cbranch_vccz .LBB151_2513
; %bb.2439:
	s_cmp_lt_i32 s16, 5
	s_cbranch_scc1 .LBB151_2444
; %bb.2440:
	s_cmp_lt_i32 s16, 8
	s_cbranch_scc1 .LBB151_2446
	;; [unrolled: 3-line block ×3, first 2 shown]
; %bb.2442:
	s_cmp_gt_i32 s16, 9
	s_cbranch_scc0 .LBB151_2465
; %bb.2443:
	global_load_b128 v[14:17], v[12:13], off
	s_mov_b32 s0, 0
	s_wait_loadcnt 0x0
	v_and_or_b32 v5, 0x1ff, v15, v14
	v_and_or_b32 v11, 0x1ff, v17, v16
	v_dual_lshrrev_b32 v7, 8, v15 :: v_dual_lshrrev_b32 v14, 8, v17
	v_bfe_u32 v9, v15, 20, 11
	s_delay_alu instid0(VALU_DEP_4) | instskip(SKIP_2) | instid1(VALU_DEP_4)
	v_cmp_ne_u32_e32 vcc_lo, 0, v5
	v_bfe_u32 v16, v17, 20, 11
	v_dual_lshrrev_b32 v15, 16, v15 :: v_dual_lshrrev_b32 v17, 16, v17
	v_sub_nc_u32_e32 v18, 0x3f1, v9
	v_cndmask_b32_e64 v5, 0, 1, vcc_lo
	v_cmp_ne_u32_e32 vcc_lo, 0, v11
	v_add_nc_u32_e32 v9, 0xfffffc10, v9
	s_delay_alu instid0(VALU_DEP_3) | instskip(SKIP_1) | instid1(VALU_DEP_1)
	v_and_or_b32 v5, 0xffe, v7, v5
	v_cndmask_b32_e64 v11, 0, 1, vcc_lo
	v_and_or_b32 v11, 0xffe, v14, v11
	v_med3_i32 v14, v18, 0, 13
	s_delay_alu instid0(VALU_DEP_4) | instskip(NEXT) | instid1(VALU_DEP_3)
	v_or_b32_e32 v18, 0x1000, v5
	v_or_b32_e32 v19, 0x1000, v11
	s_delay_alu instid0(VALU_DEP_2) | instskip(NEXT) | instid1(VALU_DEP_1)
	v_lshrrev_b32_e32 v20, v14, v18
	v_lshlrev_b32_e32 v14, v14, v20
	s_delay_alu instid0(VALU_DEP_1) | instskip(SKIP_2) | instid1(VALU_DEP_1)
	v_cmp_ne_u32_e32 vcc_lo, v14, v18
	v_lshl_or_b32 v18, v9, 12, v5
	v_cndmask_b32_e64 v14, 0, 1, vcc_lo
	v_or_b32_e32 v14, v20, v14
	v_sub_nc_u32_e32 v7, 0x3f1, v16
	v_add_nc_u32_e32 v16, 0xfffffc10, v16
	s_delay_alu instid0(VALU_DEP_2) | instskip(NEXT) | instid1(VALU_DEP_1)
	v_med3_i32 v7, v7, 0, 13
	v_lshrrev_b32_e32 v21, v7, v19
	s_delay_alu instid0(VALU_DEP_1) | instskip(NEXT) | instid1(VALU_DEP_1)
	v_lshlrev_b32_e32 v7, v7, v21
	v_cmp_ne_u32_e32 vcc_lo, v7, v19
	v_lshl_or_b32 v19, v16, 12, v11
	v_cndmask_b32_e64 v7, 0, 1, vcc_lo
	v_cmp_gt_i32_e32 vcc_lo, 1, v9
	s_delay_alu instid0(VALU_DEP_2) | instskip(SKIP_1) | instid1(VALU_DEP_2)
	v_dual_cndmask_b32 v14, v18, v14, vcc_lo :: v_dual_bitop2_b32 v7, v21, v7 bitop3:0x54
	v_cmp_gt_i32_e32 vcc_lo, 1, v16
	v_dual_lshrrev_b32 v14, 2, v14 :: v_dual_bitop2_b32 v18, 7, v14 bitop3:0x40
	s_delay_alu instid0(VALU_DEP_3) | instskip(NEXT) | instid1(VALU_DEP_2)
	v_cndmask_b32_e32 v7, v19, v7, vcc_lo
	v_cmp_lt_i32_e32 vcc_lo, 5, v18
	v_cndmask_b32_e64 v20, 0, 1, vcc_lo
	v_cmp_eq_u32_e32 vcc_lo, 3, v18
	v_cndmask_b32_e64 v18, 0, 1, vcc_lo
	s_delay_alu instid0(VALU_DEP_1) | instskip(SKIP_1) | instid1(VALU_DEP_2)
	v_or_b32_e32 v18, v18, v20
	v_dual_lshrrev_b32 v7, 2, v7 :: v_dual_bitop2_b32 v19, 7, v7 bitop3:0x40
	v_add_nc_u32_e32 v14, v14, v18
	s_delay_alu instid0(VALU_DEP_2) | instskip(SKIP_4) | instid1(VALU_DEP_2)
	v_cmp_lt_i32_e32 vcc_lo, 5, v19
	v_cndmask_b32_e64 v21, 0, 1, vcc_lo
	v_cmp_eq_u32_e32 vcc_lo, 3, v19
	v_cndmask_b32_e64 v19, 0, 1, vcc_lo
	v_cmp_ne_u32_e32 vcc_lo, 0, v5
	v_or_b32_e32 v19, v19, v21
	s_delay_alu instid0(VALU_DEP_1) | instskip(NEXT) | instid1(VALU_DEP_1)
	v_dual_mov_b32 v22, 0x7e00 :: v_dual_add_nc_u32 v7, v7, v19
	v_cndmask_b32_e32 v5, 0x7c00, v22, vcc_lo
	v_cmp_ne_u32_e32 vcc_lo, 0, v11
	v_cndmask_b32_e32 v11, 0x7c00, v22, vcc_lo
	v_cmp_gt_i32_e32 vcc_lo, 31, v9
	v_cndmask_b32_e32 v14, 0x7c00, v14, vcc_lo
	v_cmp_gt_i32_e32 vcc_lo, 31, v16
	v_cndmask_b32_e32 v7, 0x7c00, v7, vcc_lo
	v_cmp_eq_u32_e32 vcc_lo, 0x40f, v9
	s_delay_alu instid0(VALU_DEP_4) | instskip(SKIP_1) | instid1(VALU_DEP_2)
	v_cndmask_b32_e32 v5, v14, v5, vcc_lo
	v_cmp_eq_u32_e32 vcc_lo, 0x40f, v16
	v_and_or_b32 v5, 0x8000, v15, v5
	v_cndmask_b32_e32 v7, v7, v11, vcc_lo
	s_delay_alu instid0(VALU_DEP_1)
	v_and_or_b32 v7, 0x8000, v17, v7
	s_branch .LBB151_2466
.LBB151_2444:
	s_mov_b32 s0, -1
                                        ; implicit-def: $vgpr7
                                        ; implicit-def: $vgpr5
	s_branch .LBB151_2491
.LBB151_2445:
	s_mov_b32 s17, -1
                                        ; implicit-def: $vgpr5
	s_branch .LBB151_2458
.LBB151_2446:
	s_mov_b32 s0, -1
                                        ; implicit-def: $vgpr7
                                        ; implicit-def: $vgpr5
	s_branch .LBB151_2472
.LBB151_2447:
	s_or_saveexec_b32 s19, s19
	v_mov_b32_e32 v5, 0x7e00
	s_xor_b32 exec_lo, exec_lo, s19
	s_cbranch_execz .LBB151_2418
.LBB151_2448:
	v_cmp_ne_u16_e32 vcc_lo, 0, v7
	v_mov_b32_e32 v5, v7
	s_and_not1_b32 s18, s18, exec_lo
	s_and_b32 s20, vcc_lo, exec_lo
	s_delay_alu instid0(SALU_CYCLE_1)
	s_or_b32 s18, s18, s20
	s_or_b32 exec_lo, exec_lo, s19
	s_and_saveexec_b32 s19, s18
	s_cbranch_execnz .LBB151_2419
	s_branch .LBB151_2420
.LBB151_2449:
	s_mov_b32 s17, -1
                                        ; implicit-def: $vgpr5
	s_branch .LBB151_2455
.LBB151_2450:
	s_mov_b32 s0, -1
                                        ; implicit-def: $vgpr7
                                        ; implicit-def: $vgpr5
	s_branch .LBB151_2469
.LBB151_2451:
	s_mov_b32 s17, -1
                                        ; implicit-def: $vgpr5
.LBB151_2452:
	s_delay_alu instid0(SALU_CYCLE_1)
	s_and_b32 vcc_lo, exec_lo, s17
	s_cbranch_vccz .LBB151_2454
; %bb.2453:
	s_wait_loadcnt 0x0
	global_load_u8 v5, v[12:13], off
	s_wait_loadcnt 0x0
	v_lshlrev_b32_e32 v5, 24, v5
	s_delay_alu instid0(VALU_DEP_1) | instskip(NEXT) | instid1(VALU_DEP_1)
	v_and_b32_e32 v7, 0x7f000000, v5
	v_clz_i32_u32_e32 v9, v7
	v_cmp_ne_u32_e32 vcc_lo, 0, v7
	s_wait_xcnt 0x1
	v_add_nc_u32_e32 v14, 0x1000000, v7
	s_delay_alu instid0(VALU_DEP_3) | instskip(NEXT) | instid1(VALU_DEP_1)
	v_min_u32_e32 v9, 32, v9
	v_sub_nc_u32_e64 v9, v9, 4 clamp
	s_delay_alu instid0(VALU_DEP_1) | instskip(NEXT) | instid1(VALU_DEP_1)
	v_dual_lshlrev_b32 v11, v9, v7 :: v_dual_lshlrev_b32 v9, 23, v9
	v_lshrrev_b32_e32 v11, 4, v11
	s_delay_alu instid0(VALU_DEP_1) | instskip(NEXT) | instid1(VALU_DEP_1)
	v_dual_sub_nc_u32 v9, v11, v9 :: v_dual_ashrrev_i32 v11, 8, v14
	v_add_nc_u32_e32 v9, 0x3c000000, v9
	s_delay_alu instid0(VALU_DEP_1) | instskip(NEXT) | instid1(VALU_DEP_1)
	v_and_or_b32 v9, 0x7f800000, v11, v9
	v_cndmask_b32_e32 v7, 0, v9, vcc_lo
	s_delay_alu instid0(VALU_DEP_1) | instskip(NEXT) | instid1(VALU_DEP_1)
	v_and_or_b32 v5, 0x80000000, v5, v7
	v_cvt_f16_f32_e32 v5, v5
.LBB151_2454:
	s_mov_b32 s17, 0
.LBB151_2455:
	s_delay_alu instid0(SALU_CYCLE_1)
	s_and_not1_b32 vcc_lo, exec_lo, s17
	s_cbranch_vccnz .LBB151_2457
; %bb.2456:
	s_wait_loadcnt 0x0
	global_load_u8 v5, v[12:13], off
	s_wait_loadcnt 0x0
	v_lshlrev_b32_e32 v7, 25, v5
	v_lshlrev_b16 v5, 8, v5
	s_delay_alu instid0(VALU_DEP_1) | instskip(SKIP_1) | instid1(VALU_DEP_2)
	v_and_or_b32 v11, 0x7f00, v5, 0.5
	v_bfe_i32 v5, v5, 0, 16
	v_add_f32_e32 v11, -0.5, v11
	v_lshrrev_b32_e32 v9, 4, v7
	v_cmp_gt_u32_e32 vcc_lo, 0x8000000, v7
	s_delay_alu instid0(VALU_DEP_2) | instskip(NEXT) | instid1(VALU_DEP_1)
	v_or_b32_e32 v9, 0x70000000, v9
	v_mul_f32_e32 v9, 0x7800000, v9
	s_delay_alu instid0(VALU_DEP_1) | instskip(NEXT) | instid1(VALU_DEP_1)
	v_cndmask_b32_e32 v7, v9, v11, vcc_lo
	v_and_or_b32 v5, 0x80000000, v5, v7
	s_delay_alu instid0(VALU_DEP_1)
	v_cvt_f16_f32_e32 v5, v5
.LBB151_2457:
	s_mov_b32 s17, 0
	s_mov_b32 s18, -1
.LBB151_2458:
	s_and_not1_b32 vcc_lo, exec_lo, s17
	s_mov_b32 s17, 0
	s_cbranch_vccnz .LBB151_2481
; %bb.2459:
	s_cmp_gt_i32 s16, 14
	s_cbranch_scc0 .LBB151_2462
; %bb.2460:
	s_cmp_eq_u32 s16, 15
	s_cbranch_scc0 .LBB151_2477
; %bb.2461:
	s_wait_loadcnt 0x0
	global_load_u16 v5, v[12:13], off
	s_mov_b32 s0, 0
	s_mov_b32 s18, -1
	s_wait_loadcnt 0x0
	v_lshlrev_b32_e32 v5, 16, v5
	s_delay_alu instid0(VALU_DEP_1)
	v_cvt_f16_f32_e32 v5, v5
	s_branch .LBB151_2479
.LBB151_2462:
	s_mov_b32 s17, -1
	s_branch .LBB151_2478
.LBB151_2463:
	s_or_saveexec_b32 s18, s18
	v_mov_b32_e32 v5, 0x7e00
	s_xor_b32 exec_lo, exec_lo, s18
	s_cbranch_execz .LBB151_2431
.LBB151_2464:
	v_cmp_ne_u16_e32 vcc_lo, 0, v7
	v_mov_b32_e32 v5, v7
	s_and_not1_b32 s17, s17, exec_lo
	s_and_b32 s19, vcc_lo, exec_lo
	s_delay_alu instid0(SALU_CYCLE_1)
	s_or_b32 s17, s17, s19
	s_or_b32 exec_lo, exec_lo, s18
	s_and_saveexec_b32 s18, s17
	s_cbranch_execnz .LBB151_2432
	s_branch .LBB151_2433
.LBB151_2465:
	s_mov_b32 s0, -1
                                        ; implicit-def: $vgpr7
                                        ; implicit-def: $vgpr5
.LBB151_2466:
	s_delay_alu instid0(SALU_CYCLE_1)
	s_and_not1_b32 vcc_lo, exec_lo, s0
	s_cbranch_vccnz .LBB151_2468
; %bb.2467:
	global_load_b64 v[14:15], v[12:13], off
	s_wait_loadcnt 0x0
	v_cvt_f16_f32_e32 v5, v14
	v_cvt_f16_f32_e32 v7, v15
.LBB151_2468:
	s_mov_b32 s0, 0
.LBB151_2469:
	s_delay_alu instid0(SALU_CYCLE_1)
	s_and_not1_b32 vcc_lo, exec_lo, s0
	s_cbranch_vccnz .LBB151_2471
; %bb.2470:
	s_wait_loadcnt 0x0
	global_load_b32 v5, v[12:13], off
	s_wait_loadcnt 0x0
	v_lshrrev_b32_e32 v7, 16, v5
.LBB151_2471:
	s_mov_b32 s0, 0
.LBB151_2472:
	s_delay_alu instid0(SALU_CYCLE_1)
	s_and_not1_b32 vcc_lo, exec_lo, s0
	s_cbranch_vccnz .LBB151_2490
; %bb.2473:
	s_cmp_lt_i32 s16, 6
	s_cbranch_scc1 .LBB151_2476
; %bb.2474:
	s_cmp_gt_i32 s16, 6
	s_cbranch_scc0 .LBB151_2483
; %bb.2475:
	global_load_b64 v[14:15], v[12:13], off
	s_mov_b32 s0, 0
	s_wait_loadcnt 0x0
	v_and_or_b32 v5, 0x1ff, v15, v14
	v_lshrrev_b32_e32 v7, 8, v15
	v_bfe_u32 v9, v15, 20, 11
	s_delay_alu instid0(VALU_DEP_3) | instskip(NEXT) | instid1(VALU_DEP_2)
	v_cmp_ne_u32_e32 vcc_lo, 0, v5
	v_sub_nc_u32_e32 v11, 0x3f1, v9
	v_add_nc_u32_e32 v9, 0xfffffc10, v9
	v_cndmask_b32_e64 v5, 0, 1, vcc_lo
	s_delay_alu instid0(VALU_DEP_1) | instskip(NEXT) | instid1(VALU_DEP_4)
	v_and_or_b32 v5, 0xffe, v7, v5
	v_med3_i32 v7, v11, 0, 13
	s_delay_alu instid0(VALU_DEP_2) | instskip(NEXT) | instid1(VALU_DEP_1)
	v_or_b32_e32 v11, 0x1000, v5
	v_lshrrev_b32_e32 v14, v7, v11
	s_delay_alu instid0(VALU_DEP_1) | instskip(NEXT) | instid1(VALU_DEP_1)
	v_lshlrev_b32_e32 v7, v7, v14
	v_cmp_ne_u32_e32 vcc_lo, v7, v11
	v_lshl_or_b32 v11, v9, 12, v5
	v_cndmask_b32_e64 v7, 0, 1, vcc_lo
	v_cmp_gt_i32_e32 vcc_lo, 1, v9
	s_delay_alu instid0(VALU_DEP_2) | instskip(NEXT) | instid1(VALU_DEP_1)
	v_or_b32_e32 v7, v14, v7
	v_cndmask_b32_e32 v7, v11, v7, vcc_lo
	s_delay_alu instid0(VALU_DEP_1) | instskip(NEXT) | instid1(VALU_DEP_1)
	v_dual_lshrrev_b32 v7, 2, v7 :: v_dual_bitop2_b32 v11, 7, v7 bitop3:0x40
	v_cmp_lt_i32_e32 vcc_lo, 5, v11
	v_cndmask_b32_e64 v14, 0, 1, vcc_lo
	v_cmp_eq_u32_e32 vcc_lo, 3, v11
	v_cndmask_b32_e64 v11, 0, 1, vcc_lo
	v_cmp_ne_u32_e32 vcc_lo, 0, v5
	s_delay_alu instid0(VALU_DEP_2) | instskip(NEXT) | instid1(VALU_DEP_1)
	v_or_b32_e32 v11, v11, v14
	v_dual_mov_b32 v14, 0x7e00 :: v_dual_add_nc_u32 v7, v7, v11
	s_delay_alu instid0(VALU_DEP_1) | instskip(SKIP_1) | instid1(VALU_DEP_3)
	v_cndmask_b32_e32 v5, 0x7c00, v14, vcc_lo
	v_cmp_gt_i32_e32 vcc_lo, 31, v9
	v_cndmask_b32_e32 v7, 0x7c00, v7, vcc_lo
	v_cmp_eq_u32_e32 vcc_lo, 0x40f, v9
	s_delay_alu instid0(VALU_DEP_2) | instskip(NEXT) | instid1(VALU_DEP_1)
	v_dual_cndmask_b32 v5, v7, v5, vcc_lo :: v_dual_lshrrev_b32 v7, 16, v15
	v_and_or_b32 v5, 0x8000, v7, v5
	s_branch .LBB151_2484
.LBB151_2476:
	s_mov_b32 s0, -1
                                        ; implicit-def: $vgpr5
	s_branch .LBB151_2487
.LBB151_2477:
	s_mov_b32 s0, -1
.LBB151_2478:
                                        ; implicit-def: $vgpr5
.LBB151_2479:
	s_and_b32 vcc_lo, exec_lo, s17
	s_mov_b32 s17, 0
	s_cbranch_vccz .LBB151_2481
; %bb.2480:
	s_cmp_lg_u32 s16, 11
	s_mov_b32 s17, -1
	s_cselect_b32 s0, -1, 0
.LBB151_2481:
	v_mov_b32_e32 v7, 0
	s_and_b32 vcc_lo, exec_lo, s0
	s_cbranch_vccz .LBB151_2435
.LBB151_2482:
	s_or_b32 s1, s1, exec_lo
	s_trap 2
	s_cbranch_execz .LBB151_2436
	s_branch .LBB151_2437
.LBB151_2483:
	s_mov_b32 s0, -1
                                        ; implicit-def: $vgpr5
.LBB151_2484:
	s_delay_alu instid0(SALU_CYCLE_1)
	s_and_not1_b32 vcc_lo, exec_lo, s0
	s_cbranch_vccnz .LBB151_2486
; %bb.2485:
	s_wait_loadcnt 0x0
	global_load_b32 v5, v[12:13], off
	s_wait_loadcnt 0x0
	v_cvt_f16_f32_e32 v5, v5
.LBB151_2486:
	s_mov_b32 s0, 0
.LBB151_2487:
	s_delay_alu instid0(SALU_CYCLE_1)
	s_and_not1_b32 vcc_lo, exec_lo, s0
	s_cbranch_vccnz .LBB151_2489
; %bb.2488:
	s_wait_loadcnt 0x0
	global_load_u16 v5, v[12:13], off
.LBB151_2489:
	v_mov_b32_e32 v7, 0
.LBB151_2490:
	s_mov_b32 s0, 0
.LBB151_2491:
	s_delay_alu instid0(SALU_CYCLE_1)
	s_and_not1_b32 vcc_lo, exec_lo, s0
	s_cbranch_vccnz .LBB151_2512
; %bb.2492:
	s_cmp_lt_i32 s16, 2
	s_cbranch_scc1 .LBB151_2496
; %bb.2493:
	s_cmp_lt_i32 s16, 3
	s_cbranch_scc1 .LBB151_2497
; %bb.2494:
	s_cmp_gt_i32 s16, 3
	s_cbranch_scc0 .LBB151_2498
; %bb.2495:
	global_load_b64 v[14:15], v[12:13], off
	s_mov_b32 s0, 0
	s_wait_loadcnt 0x0
	v_xor_b32_e32 v5, v14, v15
	v_cls_i32_e32 v7, v15
	s_delay_alu instid0(VALU_DEP_2) | instskip(NEXT) | instid1(VALU_DEP_1)
	v_ashrrev_i32_e32 v5, 31, v5
	v_add_nc_u32_e32 v5, 32, v5
	s_delay_alu instid0(VALU_DEP_1) | instskip(NEXT) | instid1(VALU_DEP_1)
	v_add_min_u32_e64 v5, v7, -1, v5
	v_lshlrev_b64_e32 v[14:15], v5, v[14:15]
	v_sub_nc_u32_e32 v5, 32, v5
	s_delay_alu instid0(VALU_DEP_2) | instskip(NEXT) | instid1(VALU_DEP_1)
	v_min_u32_e32 v7, 1, v14
	v_or_b32_e32 v7, v15, v7
	s_delay_alu instid0(VALU_DEP_1) | instskip(NEXT) | instid1(VALU_DEP_1)
	v_cvt_f32_i32_e32 v7, v7
	v_ldexp_f32 v5, v7, v5
	s_delay_alu instid0(VALU_DEP_1)
	v_cvt_f16_f32_e32 v5, v5
	s_branch .LBB151_2499
.LBB151_2496:
	s_mov_b32 s0, -1
                                        ; implicit-def: $vgpr5
	s_branch .LBB151_2505
.LBB151_2497:
	s_mov_b32 s0, -1
                                        ; implicit-def: $vgpr5
	s_branch .LBB151_2502
.LBB151_2498:
	s_mov_b32 s0, -1
                                        ; implicit-def: $vgpr5
.LBB151_2499:
	s_delay_alu instid0(SALU_CYCLE_1)
	s_and_not1_b32 vcc_lo, exec_lo, s0
	s_cbranch_vccnz .LBB151_2501
; %bb.2500:
	s_wait_loadcnt 0x0
	global_load_b32 v5, v[12:13], off
	s_wait_loadcnt 0x0
	v_cvt_f32_i32_e32 v5, v5
	s_delay_alu instid0(VALU_DEP_1)
	v_cvt_f16_f32_e32 v5, v5
.LBB151_2501:
	s_mov_b32 s0, 0
.LBB151_2502:
	s_delay_alu instid0(SALU_CYCLE_1)
	s_and_not1_b32 vcc_lo, exec_lo, s0
	s_cbranch_vccnz .LBB151_2504
; %bb.2503:
	s_wait_loadcnt 0x0
	global_load_u16 v5, v[12:13], off
	s_wait_loadcnt 0x0
	v_cvt_f16_i16_e32 v5, v5
.LBB151_2504:
	s_mov_b32 s0, 0
.LBB151_2505:
	s_delay_alu instid0(SALU_CYCLE_1)
	s_and_not1_b32 vcc_lo, exec_lo, s0
	s_cbranch_vccnz .LBB151_2511
; %bb.2506:
	s_cmp_gt_i32 s16, 0
	s_mov_b32 s0, 0
	s_cbranch_scc0 .LBB151_2508
; %bb.2507:
	s_wait_loadcnt 0x0
	global_load_i8 v5, v[12:13], off
	s_wait_loadcnt 0x0
	v_cvt_f16_i16_e32 v5, v5
	s_branch .LBB151_2509
.LBB151_2508:
	s_mov_b32 s0, -1
                                        ; implicit-def: $vgpr5
.LBB151_2509:
	s_delay_alu instid0(SALU_CYCLE_1)
	s_and_not1_b32 vcc_lo, exec_lo, s0
	s_cbranch_vccnz .LBB151_2511
; %bb.2510:
	s_wait_loadcnt 0x0
	global_load_u8 v5, v[12:13], off
	s_wait_loadcnt 0x0
	v_cvt_f16_u16_e32 v5, v5
.LBB151_2511:
	v_mov_b32_e32 v7, 0
.LBB151_2512:
	s_mov_b32 s18, -1
.LBB151_2513:
	s_delay_alu instid0(SALU_CYCLE_1)
	s_and_not1_b32 vcc_lo, exec_lo, s18
	s_cbranch_vccnz .LBB151_2793
; %bb.2514:
	s_and_b32 vcc_lo, exec_lo, s13
	s_cbranch_vccz .LBB151_2516
; %bb.2515:
	s_wait_loadcnt 0x0
	v_cmp_neq_f16_e32 vcc_lo, v1, v5
	v_cmp_neq_f16_e64 s0, v3, v7
	s_or_b32 s17, vcc_lo, s0
	s_mov_b32 s0, 0
	s_branch .LBB151_2517
.LBB151_2516:
	s_mov_b32 s0, -1
                                        ; implicit-def: $sgpr17
.LBB151_2517:
	s_delay_alu instid0(SALU_CYCLE_1)
	s_and_not1_b32 vcc_lo, exec_lo, s0
	s_cbranch_vccnz .LBB151_2519
; %bb.2518:
	s_wait_loadcnt 0x0
	v_cmp_eq_f16_e32 vcc_lo, v1, v5
	v_cmp_eq_f16_e64 s0, v3, v7
	s_and_not1_b32 s17, s17, exec_lo
	s_and_b32 s0, vcc_lo, s0
	s_delay_alu instid0(SALU_CYCLE_1) | instskip(NEXT) | instid1(SALU_CYCLE_1)
	s_and_b32 s0, s0, exec_lo
	s_or_b32 s17, s17, s0
.LBB151_2519:
	v_mov_b32_e32 v11, 0
	s_cmp_lt_i32 s15, 11
	s_delay_alu instid0(VALU_DEP_1)
	v_add_nc_u64_e32 v[10:11], s[6:7], v[10:11]
	s_cbranch_scc1 .LBB151_2526
; %bb.2520:
	s_cmp_gt_i32 s15, 25
	s_mov_b32 s6, 0
	s_cbranch_scc0 .LBB151_2527
; %bb.2521:
	s_cmp_gt_i32 s15, 28
	s_cbranch_scc0 .LBB151_2528
; %bb.2522:
	s_cmp_gt_i32 s15, 43
	;; [unrolled: 3-line block ×3, first 2 shown]
	s_cbranch_scc0 .LBB151_2530
; %bb.2524:
	s_cmp_eq_u32 s15, 46
	s_mov_b32 s18, 0
	s_cbranch_scc0 .LBB151_2531
; %bb.2525:
	s_wait_loadcnt 0x0
	global_load_b32 v1, v[10:11], off
	s_mov_b32 s0, 0
	s_mov_b32 s7, -1
	s_wait_loadcnt 0x0
	v_lshlrev_b32_e32 v3, 16, v1
	v_and_b32_e32 v5, 0xffff0000, v1
	s_delay_alu instid0(VALU_DEP_2) | instskip(NEXT) | instid1(VALU_DEP_2)
	v_cvt_f16_f32_e32 v1, v3
	v_cvt_f16_f32_e32 v3, v5
	s_branch .LBB151_2533
.LBB151_2526:
	s_mov_b32 s0, -1
	s_mov_b32 s7, 0
                                        ; implicit-def: $vgpr3
                                        ; implicit-def: $vgpr1
	s_branch .LBB151_2579
.LBB151_2527:
	s_mov_b32 s18, -1
	s_mov_b32 s7, 0
	s_mov_b32 s0, 0
                                        ; implicit-def: $vgpr3
                                        ; implicit-def: $vgpr1
	s_branch .LBB151_2564
.LBB151_2528:
	s_mov_b32 s18, -1
	s_mov_b32 s7, 0
	s_mov_b32 s0, 0
                                        ; implicit-def: $vgpr3
                                        ; implicit-def: $vgpr1
	s_branch .LBB151_2545
.LBB151_2529:
	s_mov_b32 s18, -1
	s_mov_b32 s7, 0
	s_mov_b32 s0, 0
                                        ; implicit-def: $vgpr3
                                        ; implicit-def: $vgpr1
	s_branch .LBB151_2539
.LBB151_2530:
	s_mov_b32 s18, -1
	s_mov_b32 s7, 0
	s_mov_b32 s0, 0
	s_branch .LBB151_2532
.LBB151_2531:
	s_mov_b32 s0, -1
	s_mov_b32 s7, 0
.LBB151_2532:
                                        ; implicit-def: $vgpr3
                                        ; implicit-def: $vgpr1
.LBB151_2533:
	s_and_b32 vcc_lo, exec_lo, s18
	s_cbranch_vccz .LBB151_2538
; %bb.2534:
	s_cmp_eq_u32 s15, 44
	s_cbranch_scc0 .LBB151_2536
; %bb.2535:
	s_wait_loadcnt 0x0
	global_load_u8 v1, v[10:11], off
	s_mov_b32 s0, 0
	s_mov_b32 s7, -1
	s_wait_loadcnt 0x0
	v_lshlrev_b32_e32 v3, 23, v1
	v_cmp_ne_u32_e32 vcc_lo, 0xff, v1
	s_delay_alu instid0(VALU_DEP_2) | instskip(NEXT) | instid1(VALU_DEP_1)
	v_cvt_f16_f32_e32 v3, v3
	v_cndmask_b32_e32 v3, 0x7e00, v3, vcc_lo
	v_cmp_ne_u32_e32 vcc_lo, 0, v1
	s_delay_alu instid0(VALU_DEP_2)
	v_cndmask_b32_e32 v1, 0, v3, vcc_lo
	s_branch .LBB151_2537
.LBB151_2536:
	s_mov_b32 s0, -1
                                        ; implicit-def: $vgpr1
.LBB151_2537:
	v_mov_b32_e32 v3, 0
.LBB151_2538:
	s_mov_b32 s18, 0
.LBB151_2539:
	s_delay_alu instid0(SALU_CYCLE_1)
	s_and_b32 vcc_lo, exec_lo, s18
	s_cbranch_vccz .LBB151_2544
; %bb.2540:
	s_cmp_eq_u32 s15, 29
	s_cbranch_scc0 .LBB151_2542
; %bb.2541:
	global_load_b64 v[12:13], v[10:11], off
	s_mov_b32 s0, 0
	s_mov_b32 s7, -1
	s_wait_loadcnt 0x0
	v_clz_i32_u32_e32 v1, v13
	s_delay_alu instid0(VALU_DEP_1) | instskip(NEXT) | instid1(VALU_DEP_1)
	v_min_u32_e32 v1, 32, v1
	v_lshlrev_b64_e32 v[12:13], v1, v[12:13]
	v_sub_nc_u32_e32 v1, 32, v1
	s_delay_alu instid0(VALU_DEP_2) | instskip(NEXT) | instid1(VALU_DEP_1)
	v_min_u32_e32 v3, 1, v12
	v_or_b32_e32 v3, v13, v3
	s_delay_alu instid0(VALU_DEP_1) | instskip(NEXT) | instid1(VALU_DEP_1)
	v_cvt_f32_u32_e32 v3, v3
	v_ldexp_f32 v1, v3, v1
	s_delay_alu instid0(VALU_DEP_1)
	v_cvt_f16_f32_e32 v1, v1
	s_branch .LBB151_2543
.LBB151_2542:
	s_mov_b32 s0, -1
                                        ; implicit-def: $vgpr1
.LBB151_2543:
	v_mov_b32_e32 v3, 0
.LBB151_2544:
	s_mov_b32 s18, 0
.LBB151_2545:
	s_delay_alu instid0(SALU_CYCLE_1)
	s_and_b32 vcc_lo, exec_lo, s18
	s_cbranch_vccz .LBB151_2563
; %bb.2546:
	s_cmp_lt_i32 s15, 27
	s_cbranch_scc1 .LBB151_2549
; %bb.2547:
	s_cmp_gt_i32 s15, 27
	s_cbranch_scc0 .LBB151_2550
; %bb.2548:
	s_wait_loadcnt 0x0
	global_load_b32 v1, v[10:11], off
	s_mov_b32 s7, 0
	s_wait_loadcnt 0x0
	v_cvt_f32_u32_e32 v1, v1
	s_delay_alu instid0(VALU_DEP_1)
	v_cvt_f16_f32_e32 v1, v1
	s_branch .LBB151_2551
.LBB151_2549:
	s_mov_b32 s7, -1
                                        ; implicit-def: $vgpr1
	s_branch .LBB151_2554
.LBB151_2550:
	s_mov_b32 s7, -1
                                        ; implicit-def: $vgpr1
.LBB151_2551:
	s_delay_alu instid0(SALU_CYCLE_1)
	s_and_not1_b32 vcc_lo, exec_lo, s7
	s_cbranch_vccnz .LBB151_2553
; %bb.2552:
	s_wait_loadcnt 0x0
	global_load_u16 v1, v[10:11], off
	s_wait_loadcnt 0x0
	v_cvt_f16_u16_e32 v1, v1
.LBB151_2553:
	s_mov_b32 s7, 0
.LBB151_2554:
	s_delay_alu instid0(SALU_CYCLE_1)
	s_and_not1_b32 vcc_lo, exec_lo, s7
	s_cbranch_vccnz .LBB151_2562
; %bb.2555:
	global_load_u8 v3, v[10:11], off
	s_mov_b32 s7, 0
	s_mov_b32 s18, exec_lo
	s_wait_loadcnt 0x0
	v_cmpx_lt_i16_e32 0x7f, v3
	s_xor_b32 s18, exec_lo, s18
	s_cbranch_execz .LBB151_2588
; %bb.2556:
	s_mov_b32 s7, -1
	s_mov_b32 s19, exec_lo
	v_cmpx_eq_u16_e32 0x80, v3
; %bb.2557:
	s_xor_b32 s7, exec_lo, -1
; %bb.2558:
	s_or_b32 exec_lo, exec_lo, s19
	s_delay_alu instid0(SALU_CYCLE_1)
	s_and_b32 s7, s7, exec_lo
	s_or_saveexec_b32 s18, s18
	v_mov_b32_e32 v1, 0x7e00
	s_xor_b32 exec_lo, exec_lo, s18
	s_cbranch_execnz .LBB151_2589
.LBB151_2559:
	s_or_b32 exec_lo, exec_lo, s18
	s_and_saveexec_b32 s18, s7
	s_cbranch_execz .LBB151_2561
.LBB151_2560:
	v_and_b32_e32 v1, 0xffff, v3
	s_delay_alu instid0(VALU_DEP_1) | instskip(SKIP_1) | instid1(VALU_DEP_2)
	v_and_b32_e32 v5, 7, v1
	v_bfe_u32 v12, v1, 3, 4
	v_clz_i32_u32_e32 v7, v5
	s_delay_alu instid0(VALU_DEP_2) | instskip(NEXT) | instid1(VALU_DEP_2)
	v_cmp_eq_u32_e32 vcc_lo, 0, v12
	v_min_u32_e32 v7, 32, v7
	s_delay_alu instid0(VALU_DEP_1) | instskip(NEXT) | instid1(VALU_DEP_1)
	v_subrev_nc_u32_e32 v9, 28, v7
	v_dual_lshlrev_b32 v1, v9, v1 :: v_dual_sub_nc_u32 v7, 29, v7
	s_delay_alu instid0(VALU_DEP_1) | instskip(NEXT) | instid1(VALU_DEP_1)
	v_dual_lshlrev_b32 v3, 24, v3 :: v_dual_bitop2_b32 v1, 7, v1 bitop3:0x40
	v_dual_cndmask_b32 v1, v5, v1, vcc_lo :: v_dual_cndmask_b32 v7, v12, v7, vcc_lo
	s_delay_alu instid0(VALU_DEP_2) | instskip(NEXT) | instid1(VALU_DEP_2)
	v_and_b32_e32 v3, 0x80000000, v3
	v_lshlrev_b32_e32 v1, 20, v1
	s_delay_alu instid0(VALU_DEP_3) | instskip(NEXT) | instid1(VALU_DEP_1)
	v_lshl_add_u32 v5, v7, 23, 0x3b800000
	v_or3_b32 v1, v3, v5, v1
	s_delay_alu instid0(VALU_DEP_1)
	v_cvt_f16_f32_e32 v1, v1
.LBB151_2561:
	s_or_b32 exec_lo, exec_lo, s18
.LBB151_2562:
	v_mov_b32_e32 v3, 0
	s_mov_b32 s7, -1
.LBB151_2563:
	s_mov_b32 s18, 0
.LBB151_2564:
	s_delay_alu instid0(SALU_CYCLE_1)
	s_and_b32 vcc_lo, exec_lo, s18
	s_cbranch_vccz .LBB151_2575
; %bb.2565:
	s_cmp_gt_i32 s15, 22
	s_cbranch_scc0 .LBB151_2586
; %bb.2566:
	s_cmp_lt_i32 s15, 24
	s_cbranch_scc1 .LBB151_2590
; %bb.2567:
	s_cmp_gt_i32 s15, 24
	s_cbranch_scc0 .LBB151_2592
; %bb.2568:
	global_load_u8 v3, v[10:11], off
	s_mov_b32 s7, exec_lo
	s_wait_loadcnt 0x0
	v_cmpx_lt_i16_e32 0x7f, v3
	s_xor_b32 s7, exec_lo, s7
	s_cbranch_execz .LBB151_2604
; %bb.2569:
	s_mov_b32 s6, -1
	s_mov_b32 s18, exec_lo
	v_cmpx_eq_u16_e32 0x80, v3
; %bb.2570:
	s_xor_b32 s6, exec_lo, -1
; %bb.2571:
	s_or_b32 exec_lo, exec_lo, s18
	s_delay_alu instid0(SALU_CYCLE_1)
	s_and_b32 s6, s6, exec_lo
	s_or_saveexec_b32 s7, s7
	v_mov_b32_e32 v1, 0x7e00
	s_xor_b32 exec_lo, exec_lo, s7
	s_cbranch_execnz .LBB151_2605
.LBB151_2572:
	s_or_b32 exec_lo, exec_lo, s7
	s_and_saveexec_b32 s7, s6
	s_cbranch_execz .LBB151_2574
.LBB151_2573:
	v_and_b32_e32 v1, 0xffff, v3
	s_delay_alu instid0(VALU_DEP_1) | instskip(SKIP_1) | instid1(VALU_DEP_2)
	v_and_b32_e32 v5, 3, v1
	v_bfe_u32 v12, v1, 2, 5
	v_clz_i32_u32_e32 v7, v5
	s_delay_alu instid0(VALU_DEP_2) | instskip(NEXT) | instid1(VALU_DEP_2)
	v_cmp_eq_u32_e32 vcc_lo, 0, v12
	v_min_u32_e32 v7, 32, v7
	s_delay_alu instid0(VALU_DEP_1) | instskip(NEXT) | instid1(VALU_DEP_1)
	v_subrev_nc_u32_e32 v9, 29, v7
	v_dual_lshlrev_b32 v1, v9, v1 :: v_dual_sub_nc_u32 v7, 30, v7
	s_delay_alu instid0(VALU_DEP_1) | instskip(NEXT) | instid1(VALU_DEP_1)
	v_dual_lshlrev_b32 v3, 24, v3 :: v_dual_bitop2_b32 v1, 3, v1 bitop3:0x40
	v_dual_cndmask_b32 v1, v5, v1, vcc_lo :: v_dual_cndmask_b32 v7, v12, v7, vcc_lo
	s_delay_alu instid0(VALU_DEP_2) | instskip(NEXT) | instid1(VALU_DEP_2)
	v_and_b32_e32 v3, 0x80000000, v3
	v_lshlrev_b32_e32 v1, 21, v1
	s_delay_alu instid0(VALU_DEP_3) | instskip(NEXT) | instid1(VALU_DEP_1)
	v_lshl_add_u32 v5, v7, 23, 0x37800000
	v_or3_b32 v1, v3, v5, v1
	s_delay_alu instid0(VALU_DEP_1)
	v_cvt_f16_f32_e32 v1, v1
.LBB151_2574:
	s_or_b32 exec_lo, exec_lo, s7
	s_mov_b32 s6, 0
	s_branch .LBB151_2593
.LBB151_2575:
	s_and_b32 vcc_lo, exec_lo, s0
	s_cbranch_vccnz .LBB151_2623
.LBB151_2576:
	s_and_not1_b32 vcc_lo, exec_lo, s6
	s_cbranch_vccnz .LBB151_2578
.LBB151_2577:
	s_wait_loadcnt 0x0
	global_load_u8 v1, v[10:11], off
	v_mov_b32_e32 v3, 0
	s_mov_b32 s7, -1
	s_wait_loadcnt 0x0
	v_cmp_ne_u16_e32 vcc_lo, 0, v1
	v_cndmask_b32_e64 v1, 0, 0x3c00, vcc_lo
.LBB151_2578:
	s_mov_b32 s0, 0
.LBB151_2579:
	s_delay_alu instid0(SALU_CYCLE_1)
	s_and_b32 vcc_lo, exec_lo, s0
	s_cbranch_vccz .LBB151_2654
; %bb.2580:
	s_cmp_lt_i32 s15, 5
	s_cbranch_scc1 .LBB151_2585
; %bb.2581:
	s_cmp_lt_i32 s15, 8
	s_cbranch_scc1 .LBB151_2587
	;; [unrolled: 3-line block ×3, first 2 shown]
; %bb.2583:
	s_cmp_gt_i32 s15, 9
	s_cbranch_scc0 .LBB151_2606
; %bb.2584:
	global_load_b128 v[12:15], v[10:11], off
	v_mov_b32_e32 v19, 0x7e00
	s_mov_b32 s0, 0
	s_wait_loadcnt 0x0
	v_and_or_b32 v1, 0x1ff, v13, v12
	v_and_or_b32 v7, 0x1ff, v15, v14
	v_dual_lshrrev_b32 v3, 8, v13 :: v_dual_lshrrev_b32 v9, 8, v15
	v_bfe_u32 v5, v13, 20, 11
	s_delay_alu instid0(VALU_DEP_4) | instskip(SKIP_2) | instid1(VALU_DEP_4)
	v_cmp_ne_u32_e32 vcc_lo, 0, v1
	v_bfe_u32 v12, v15, 20, 11
	v_lshrrev_b32_e32 v13, 16, v13
	v_sub_nc_u32_e32 v14, 0x3f1, v5
	v_cndmask_b32_e64 v1, 0, 1, vcc_lo
	v_cmp_ne_u32_e32 vcc_lo, 0, v7
	v_add_nc_u32_e32 v5, 0xfffffc10, v5
	s_delay_alu instid0(VALU_DEP_3) | instskip(SKIP_2) | instid1(VALU_DEP_2)
	v_and_or_b32 v1, 0xffe, v3, v1
	v_cndmask_b32_e64 v7, 0, 1, vcc_lo
	v_sub_nc_u32_e32 v3, 0x3f1, v12
	v_and_or_b32 v7, 0xffe, v9, v7
	v_med3_i32 v9, v14, 0, 13
	v_or_b32_e32 v14, 0x1000, v1
	s_delay_alu instid0(VALU_DEP_4) | instskip(NEXT) | instid1(VALU_DEP_4)
	v_med3_i32 v3, v3, 0, 13
	v_or_b32_e32 v16, 0x1000, v7
	s_delay_alu instid0(VALU_DEP_1) | instskip(NEXT) | instid1(VALU_DEP_1)
	v_dual_lshrrev_b32 v17, v9, v14 :: v_dual_lshrrev_b32 v18, v3, v16
	v_dual_lshlrev_b32 v9, v9, v17 :: v_dual_lshlrev_b32 v3, v3, v18
	s_delay_alu instid0(VALU_DEP_1) | instskip(SKIP_2) | instid1(VALU_DEP_4)
	v_cmp_ne_u32_e32 vcc_lo, v9, v14
	v_lshl_or_b32 v14, v5, 12, v1
	v_cndmask_b32_e64 v9, 0, 1, vcc_lo
	v_cmp_ne_u32_e32 vcc_lo, v3, v16
	s_delay_alu instid0(VALU_DEP_2) | instskip(SKIP_2) | instid1(VALU_DEP_3)
	v_or_b32_e32 v9, v17, v9
	v_cndmask_b32_e64 v3, 0, 1, vcc_lo
	v_cmp_gt_i32_e32 vcc_lo, 1, v5
	v_dual_cndmask_b32 v9, v14, v9 :: v_dual_add_nc_u32 v12, 0xfffffc10, v12
	s_delay_alu instid0(VALU_DEP_1) | instskip(NEXT) | instid1(VALU_DEP_4)
	v_lshl_or_b32 v16, v12, 12, v7
	v_or_b32_e32 v3, v18, v3
	v_cmp_gt_i32_e32 vcc_lo, 1, v12
	s_delay_alu instid0(VALU_DEP_4) | instskip(NEXT) | instid1(VALU_DEP_3)
	v_dual_lshrrev_b32 v9, 2, v9 :: v_dual_bitop2_b32 v14, 7, v9 bitop3:0x40
	v_cndmask_b32_e32 v3, v16, v3, vcc_lo
	s_delay_alu instid0(VALU_DEP_2) | instskip(NEXT) | instid1(VALU_DEP_2)
	v_cmp_lt_i32_e32 vcc_lo, 5, v14
	v_dual_lshrrev_b32 v3, 2, v3 :: v_dual_bitop2_b32 v16, 7, v3 bitop3:0x40
	v_cndmask_b32_e64 v17, 0, 1, vcc_lo
	v_cmp_eq_u32_e32 vcc_lo, 3, v14
	v_cndmask_b32_e64 v14, 0, 1, vcc_lo
	s_delay_alu instid0(VALU_DEP_4) | instskip(NEXT) | instid1(VALU_DEP_2)
	v_cmp_lt_i32_e32 vcc_lo, 5, v16
	v_or_b32_e32 v14, v14, v17
	v_cndmask_b32_e64 v18, 0, 1, vcc_lo
	v_cmp_eq_u32_e32 vcc_lo, 3, v16
	s_delay_alu instid0(VALU_DEP_3)
	v_dual_add_nc_u32 v9, v9, v14 :: v_dual_lshrrev_b32 v14, 16, v15
	v_cndmask_b32_e64 v16, 0, 1, vcc_lo
	v_cmp_ne_u32_e32 vcc_lo, 0, v1
	v_cndmask_b32_e32 v1, 0x7c00, v19, vcc_lo
	v_cmp_ne_u32_e32 vcc_lo, 0, v7
	v_cndmask_b32_e32 v7, 0x7c00, v19, vcc_lo
	v_cmp_gt_i32_e32 vcc_lo, 31, v5
	v_cndmask_b32_e32 v9, 0x7c00, v9, vcc_lo
	v_or_b32_e32 v16, v16, v18
	v_cmp_gt_i32_e32 vcc_lo, 31, v12
	s_delay_alu instid0(VALU_DEP_2) | instskip(NEXT) | instid1(VALU_DEP_1)
	v_add_nc_u32_e32 v3, v3, v16
	v_cndmask_b32_e32 v3, 0x7c00, v3, vcc_lo
	v_cmp_eq_u32_e32 vcc_lo, 0x40f, v5
	v_cndmask_b32_e32 v1, v9, v1, vcc_lo
	v_cmp_eq_u32_e32 vcc_lo, 0x40f, v12
	s_delay_alu instid0(VALU_DEP_2) | instskip(SKIP_1) | instid1(VALU_DEP_1)
	v_and_or_b32 v1, 0x8000, v13, v1
	v_cndmask_b32_e32 v3, v3, v7, vcc_lo
	v_and_or_b32 v3, 0x8000, v14, v3
	s_branch .LBB151_2607
.LBB151_2585:
	s_mov_b32 s0, -1
                                        ; implicit-def: $vgpr3
                                        ; implicit-def: $vgpr1
	s_branch .LBB151_2632
.LBB151_2586:
	s_mov_b32 s6, -1
                                        ; implicit-def: $vgpr1
	s_branch .LBB151_2599
.LBB151_2587:
	s_mov_b32 s0, -1
                                        ; implicit-def: $vgpr3
                                        ; implicit-def: $vgpr1
	s_branch .LBB151_2613
.LBB151_2588:
	s_or_saveexec_b32 s18, s18
	v_mov_b32_e32 v1, 0x7e00
	s_xor_b32 exec_lo, exec_lo, s18
	s_cbranch_execz .LBB151_2559
.LBB151_2589:
	v_cmp_ne_u16_e32 vcc_lo, 0, v3
	v_mov_b32_e32 v1, v3
	s_and_not1_b32 s7, s7, exec_lo
	s_and_b32 s19, vcc_lo, exec_lo
	s_delay_alu instid0(SALU_CYCLE_1)
	s_or_b32 s7, s7, s19
	s_or_b32 exec_lo, exec_lo, s18
	s_and_saveexec_b32 s18, s7
	s_cbranch_execnz .LBB151_2560
	s_branch .LBB151_2561
.LBB151_2590:
	s_mov_b32 s6, -1
                                        ; implicit-def: $vgpr1
	s_branch .LBB151_2596
.LBB151_2591:
	s_mov_b32 s0, -1
                                        ; implicit-def: $vgpr3
                                        ; implicit-def: $vgpr1
	s_branch .LBB151_2610
.LBB151_2592:
	s_mov_b32 s6, -1
                                        ; implicit-def: $vgpr1
.LBB151_2593:
	s_delay_alu instid0(SALU_CYCLE_1)
	s_and_b32 vcc_lo, exec_lo, s6
	s_cbranch_vccz .LBB151_2595
; %bb.2594:
	s_wait_loadcnt 0x0
	global_load_u8 v1, v[10:11], off
	s_wait_loadcnt 0x0
	v_lshlrev_b32_e32 v1, 24, v1
	s_delay_alu instid0(VALU_DEP_1) | instskip(NEXT) | instid1(VALU_DEP_1)
	v_and_b32_e32 v3, 0x7f000000, v1
	v_clz_i32_u32_e32 v5, v3
	v_add_nc_u32_e32 v9, 0x1000000, v3
	v_cmp_ne_u32_e32 vcc_lo, 0, v3
	s_delay_alu instid0(VALU_DEP_3) | instskip(NEXT) | instid1(VALU_DEP_1)
	v_min_u32_e32 v5, 32, v5
	v_sub_nc_u32_e64 v5, v5, 4 clamp
	s_delay_alu instid0(VALU_DEP_1) | instskip(NEXT) | instid1(VALU_DEP_1)
	v_dual_lshlrev_b32 v7, v5, v3 :: v_dual_lshlrev_b32 v5, 23, v5
	v_lshrrev_b32_e32 v7, 4, v7
	s_delay_alu instid0(VALU_DEP_1) | instskip(SKIP_1) | instid1(VALU_DEP_2)
	v_sub_nc_u32_e32 v5, v7, v5
	v_ashrrev_i32_e32 v7, 8, v9
	v_add_nc_u32_e32 v5, 0x3c000000, v5
	s_delay_alu instid0(VALU_DEP_1) | instskip(NEXT) | instid1(VALU_DEP_1)
	v_and_or_b32 v5, 0x7f800000, v7, v5
	v_cndmask_b32_e32 v3, 0, v5, vcc_lo
	s_delay_alu instid0(VALU_DEP_1) | instskip(NEXT) | instid1(VALU_DEP_1)
	v_and_or_b32 v1, 0x80000000, v1, v3
	v_cvt_f16_f32_e32 v1, v1
.LBB151_2595:
	s_mov_b32 s6, 0
.LBB151_2596:
	s_delay_alu instid0(SALU_CYCLE_1)
	s_and_not1_b32 vcc_lo, exec_lo, s6
	s_cbranch_vccnz .LBB151_2598
; %bb.2597:
	s_wait_loadcnt 0x0
	global_load_u8 v1, v[10:11], off
	s_wait_loadcnt 0x0
	v_lshlrev_b32_e32 v3, 25, v1
	v_lshlrev_b16 v1, 8, v1
	s_delay_alu instid0(VALU_DEP_1) | instskip(SKIP_1) | instid1(VALU_DEP_2)
	v_and_or_b32 v7, 0x7f00, v1, 0.5
	v_bfe_i32 v1, v1, 0, 16
	v_add_f32_e32 v7, -0.5, v7
	v_lshrrev_b32_e32 v5, 4, v3
	v_cmp_gt_u32_e32 vcc_lo, 0x8000000, v3
	s_delay_alu instid0(VALU_DEP_2) | instskip(NEXT) | instid1(VALU_DEP_1)
	v_or_b32_e32 v5, 0x70000000, v5
	v_mul_f32_e32 v5, 0x7800000, v5
	s_delay_alu instid0(VALU_DEP_1) | instskip(NEXT) | instid1(VALU_DEP_1)
	v_cndmask_b32_e32 v3, v5, v7, vcc_lo
	v_and_or_b32 v1, 0x80000000, v1, v3
	s_delay_alu instid0(VALU_DEP_1)
	v_cvt_f16_f32_e32 v1, v1
.LBB151_2598:
	s_mov_b32 s6, 0
	s_mov_b32 s7, -1
.LBB151_2599:
	s_and_not1_b32 vcc_lo, exec_lo, s6
	s_mov_b32 s6, 0
	s_cbranch_vccnz .LBB151_2622
; %bb.2600:
	s_cmp_gt_i32 s15, 14
	s_cbranch_scc0 .LBB151_2603
; %bb.2601:
	s_cmp_eq_u32 s15, 15
	s_cbranch_scc0 .LBB151_2618
; %bb.2602:
	s_wait_loadcnt 0x0
	global_load_u16 v1, v[10:11], off
	s_mov_b32 s0, 0
	s_mov_b32 s7, -1
	s_wait_loadcnt 0x0
	v_lshlrev_b32_e32 v1, 16, v1
	s_delay_alu instid0(VALU_DEP_1)
	v_cvt_f16_f32_e32 v1, v1
	s_branch .LBB151_2620
.LBB151_2603:
	s_mov_b32 s6, -1
	s_branch .LBB151_2619
.LBB151_2604:
	s_or_saveexec_b32 s7, s7
	v_mov_b32_e32 v1, 0x7e00
	s_xor_b32 exec_lo, exec_lo, s7
	s_cbranch_execz .LBB151_2572
.LBB151_2605:
	v_cmp_ne_u16_e32 vcc_lo, 0, v3
	v_mov_b32_e32 v1, v3
	s_and_not1_b32 s6, s6, exec_lo
	s_and_b32 s18, vcc_lo, exec_lo
	s_delay_alu instid0(SALU_CYCLE_1)
	s_or_b32 s6, s6, s18
	s_or_b32 exec_lo, exec_lo, s7
	s_and_saveexec_b32 s7, s6
	s_cbranch_execnz .LBB151_2573
	s_branch .LBB151_2574
.LBB151_2606:
	s_mov_b32 s0, -1
                                        ; implicit-def: $vgpr3
                                        ; implicit-def: $vgpr1
.LBB151_2607:
	s_delay_alu instid0(SALU_CYCLE_1)
	s_and_not1_b32 vcc_lo, exec_lo, s0
	s_cbranch_vccnz .LBB151_2609
; %bb.2608:
	global_load_b64 v[12:13], v[10:11], off
	s_wait_loadcnt 0x0
	v_cvt_f16_f32_e32 v1, v12
	v_cvt_f16_f32_e32 v3, v13
.LBB151_2609:
	s_mov_b32 s0, 0
.LBB151_2610:
	s_delay_alu instid0(SALU_CYCLE_1)
	s_and_not1_b32 vcc_lo, exec_lo, s0
	s_cbranch_vccnz .LBB151_2612
; %bb.2611:
	s_wait_loadcnt 0x0
	global_load_b32 v1, v[10:11], off
	s_wait_loadcnt 0x0
	v_lshrrev_b32_e32 v3, 16, v1
.LBB151_2612:
	s_mov_b32 s0, 0
.LBB151_2613:
	s_delay_alu instid0(SALU_CYCLE_1)
	s_and_not1_b32 vcc_lo, exec_lo, s0
	s_cbranch_vccnz .LBB151_2631
; %bb.2614:
	s_cmp_lt_i32 s15, 6
	s_cbranch_scc1 .LBB151_2617
; %bb.2615:
	s_cmp_gt_i32 s15, 6
	s_cbranch_scc0 .LBB151_2624
; %bb.2616:
	global_load_b64 v[12:13], v[10:11], off
	s_mov_b32 s0, 0
	s_wait_loadcnt 0x0
	v_and_or_b32 v1, 0x1ff, v13, v12
	v_lshrrev_b32_e32 v3, 8, v13
	v_bfe_u32 v5, v13, 20, 11
	s_delay_alu instid0(VALU_DEP_3) | instskip(NEXT) | instid1(VALU_DEP_2)
	v_cmp_ne_u32_e32 vcc_lo, 0, v1
	v_sub_nc_u32_e32 v7, 0x3f1, v5
	v_add_nc_u32_e32 v5, 0xfffffc10, v5
	v_cndmask_b32_e64 v1, 0, 1, vcc_lo
	s_delay_alu instid0(VALU_DEP_1) | instskip(NEXT) | instid1(VALU_DEP_4)
	v_and_or_b32 v1, 0xffe, v3, v1
	v_med3_i32 v3, v7, 0, 13
	s_delay_alu instid0(VALU_DEP_2) | instskip(NEXT) | instid1(VALU_DEP_1)
	v_or_b32_e32 v7, 0x1000, v1
	v_lshrrev_b32_e32 v9, v3, v7
	s_delay_alu instid0(VALU_DEP_1) | instskip(NEXT) | instid1(VALU_DEP_1)
	v_lshlrev_b32_e32 v3, v3, v9
	v_cmp_ne_u32_e32 vcc_lo, v3, v7
	v_lshl_or_b32 v7, v5, 12, v1
	v_cndmask_b32_e64 v3, 0, 1, vcc_lo
	v_cmp_gt_i32_e32 vcc_lo, 1, v5
	s_delay_alu instid0(VALU_DEP_2) | instskip(NEXT) | instid1(VALU_DEP_1)
	v_or_b32_e32 v3, v9, v3
	v_cndmask_b32_e32 v3, v7, v3, vcc_lo
	s_delay_alu instid0(VALU_DEP_1) | instskip(NEXT) | instid1(VALU_DEP_1)
	v_and_b32_e32 v7, 7, v3
	v_cmp_lt_i32_e32 vcc_lo, 5, v7
	v_cndmask_b32_e64 v9, 0, 1, vcc_lo
	v_cmp_eq_u32_e32 vcc_lo, 3, v7
	v_cndmask_b32_e64 v7, 0, 1, vcc_lo
	v_cmp_ne_u32_e32 vcc_lo, 0, v1
	s_delay_alu instid0(VALU_DEP_2) | instskip(SKIP_1) | instid1(VALU_DEP_2)
	v_dual_lshrrev_b32 v3, 2, v3 :: v_dual_bitop2_b32 v7, v7, v9 bitop3:0x54
	v_mov_b32_e32 v9, 0x7e00
	v_add_nc_u32_e32 v3, v3, v7
	s_delay_alu instid0(VALU_DEP_2) | instskip(SKIP_1) | instid1(VALU_DEP_3)
	v_cndmask_b32_e32 v1, 0x7c00, v9, vcc_lo
	v_cmp_gt_i32_e32 vcc_lo, 31, v5
	v_cndmask_b32_e32 v3, 0x7c00, v3, vcc_lo
	v_cmp_eq_u32_e32 vcc_lo, 0x40f, v5
	s_delay_alu instid0(VALU_DEP_2) | instskip(SKIP_1) | instid1(VALU_DEP_1)
	v_cndmask_b32_e32 v1, v3, v1, vcc_lo
	v_lshrrev_b32_e32 v3, 16, v13
	v_and_or_b32 v1, 0x8000, v3, v1
	s_branch .LBB151_2625
.LBB151_2617:
	s_mov_b32 s0, -1
                                        ; implicit-def: $vgpr1
	s_branch .LBB151_2628
.LBB151_2618:
	s_mov_b32 s0, -1
.LBB151_2619:
                                        ; implicit-def: $vgpr1
.LBB151_2620:
	s_and_b32 vcc_lo, exec_lo, s6
	s_mov_b32 s6, 0
	s_cbranch_vccz .LBB151_2622
; %bb.2621:
	s_cmp_lg_u32 s15, 11
	s_mov_b32 s6, -1
	s_cselect_b32 s0, -1, 0
.LBB151_2622:
	v_mov_b32_e32 v3, 0
	s_and_b32 vcc_lo, exec_lo, s0
	s_cbranch_vccz .LBB151_2576
.LBB151_2623:
	s_or_b32 s1, s1, exec_lo
	s_trap 2
	s_cbranch_execz .LBB151_2577
	s_branch .LBB151_2578
.LBB151_2624:
	s_mov_b32 s0, -1
                                        ; implicit-def: $vgpr1
.LBB151_2625:
	s_delay_alu instid0(SALU_CYCLE_1)
	s_and_not1_b32 vcc_lo, exec_lo, s0
	s_cbranch_vccnz .LBB151_2627
; %bb.2626:
	s_wait_loadcnt 0x0
	global_load_b32 v1, v[10:11], off
	s_wait_loadcnt 0x0
	v_cvt_f16_f32_e32 v1, v1
.LBB151_2627:
	s_mov_b32 s0, 0
.LBB151_2628:
	s_delay_alu instid0(SALU_CYCLE_1)
	s_and_not1_b32 vcc_lo, exec_lo, s0
	s_cbranch_vccnz .LBB151_2630
; %bb.2629:
	s_wait_loadcnt 0x0
	global_load_u16 v1, v[10:11], off
.LBB151_2630:
	v_mov_b32_e32 v3, 0
.LBB151_2631:
	s_mov_b32 s0, 0
.LBB151_2632:
	s_delay_alu instid0(SALU_CYCLE_1)
	s_and_not1_b32 vcc_lo, exec_lo, s0
	s_cbranch_vccnz .LBB151_2653
; %bb.2633:
	s_cmp_lt_i32 s15, 2
	s_cbranch_scc1 .LBB151_2637
; %bb.2634:
	s_cmp_lt_i32 s15, 3
	s_cbranch_scc1 .LBB151_2638
; %bb.2635:
	s_cmp_gt_i32 s15, 3
	s_cbranch_scc0 .LBB151_2639
; %bb.2636:
	global_load_b64 v[12:13], v[10:11], off
	s_mov_b32 s0, 0
	s_wait_loadcnt 0x0
	v_xor_b32_e32 v1, v12, v13
	v_cls_i32_e32 v3, v13
	s_delay_alu instid0(VALU_DEP_2) | instskip(NEXT) | instid1(VALU_DEP_1)
	v_ashrrev_i32_e32 v1, 31, v1
	v_add_nc_u32_e32 v1, 32, v1
	s_delay_alu instid0(VALU_DEP_1) | instskip(NEXT) | instid1(VALU_DEP_1)
	v_add_min_u32_e64 v1, v3, -1, v1
	v_lshlrev_b64_e32 v[12:13], v1, v[12:13]
	v_sub_nc_u32_e32 v1, 32, v1
	s_delay_alu instid0(VALU_DEP_2) | instskip(NEXT) | instid1(VALU_DEP_1)
	v_min_u32_e32 v3, 1, v12
	v_or_b32_e32 v3, v13, v3
	s_delay_alu instid0(VALU_DEP_1) | instskip(NEXT) | instid1(VALU_DEP_1)
	v_cvt_f32_i32_e32 v3, v3
	v_ldexp_f32 v1, v3, v1
	s_delay_alu instid0(VALU_DEP_1)
	v_cvt_f16_f32_e32 v1, v1
	s_branch .LBB151_2640
.LBB151_2637:
	s_mov_b32 s0, -1
                                        ; implicit-def: $vgpr1
	s_branch .LBB151_2646
.LBB151_2638:
	s_mov_b32 s0, -1
                                        ; implicit-def: $vgpr1
	s_branch .LBB151_2643
.LBB151_2639:
	s_mov_b32 s0, -1
                                        ; implicit-def: $vgpr1
.LBB151_2640:
	s_delay_alu instid0(SALU_CYCLE_1)
	s_and_not1_b32 vcc_lo, exec_lo, s0
	s_cbranch_vccnz .LBB151_2642
; %bb.2641:
	s_wait_loadcnt 0x0
	global_load_b32 v1, v[10:11], off
	s_wait_loadcnt 0x0
	v_cvt_f32_i32_e32 v1, v1
	s_delay_alu instid0(VALU_DEP_1)
	v_cvt_f16_f32_e32 v1, v1
.LBB151_2642:
	s_mov_b32 s0, 0
.LBB151_2643:
	s_delay_alu instid0(SALU_CYCLE_1)
	s_and_not1_b32 vcc_lo, exec_lo, s0
	s_cbranch_vccnz .LBB151_2645
; %bb.2644:
	s_wait_loadcnt 0x0
	global_load_u16 v1, v[10:11], off
	s_wait_loadcnt 0x0
	v_cvt_f16_i16_e32 v1, v1
.LBB151_2645:
	s_mov_b32 s0, 0
.LBB151_2646:
	s_delay_alu instid0(SALU_CYCLE_1)
	s_and_not1_b32 vcc_lo, exec_lo, s0
	s_cbranch_vccnz .LBB151_2652
; %bb.2647:
	s_cmp_gt_i32 s15, 0
	s_mov_b32 s0, 0
	s_cbranch_scc0 .LBB151_2649
; %bb.2648:
	s_wait_loadcnt 0x0
	global_load_i8 v1, v[10:11], off
	s_wait_loadcnt 0x0
	v_cvt_f16_i16_e32 v1, v1
	s_branch .LBB151_2650
.LBB151_2649:
	s_mov_b32 s0, -1
                                        ; implicit-def: $vgpr1
.LBB151_2650:
	s_delay_alu instid0(SALU_CYCLE_1)
	s_and_not1_b32 vcc_lo, exec_lo, s0
	s_cbranch_vccnz .LBB151_2652
; %bb.2651:
	s_wait_loadcnt 0x0
	global_load_u8 v1, v[10:11], off
	s_wait_loadcnt 0x0
	v_cvt_f16_u16_e32 v1, v1
.LBB151_2652:
	v_mov_b32_e32 v3, 0
.LBB151_2653:
	s_mov_b32 s7, -1
.LBB151_2654:
	s_delay_alu instid0(SALU_CYCLE_1)
	s_and_not1_b32 vcc_lo, exec_lo, s7
	s_cbranch_vccnz .LBB151_2793
; %bb.2655:
	v_mov_b32_e32 v9, 0
	s_cmp_lt_i32 s16, 11
	s_delay_alu instid0(VALU_DEP_1)
	v_add_nc_u64_e32 v[8:9], s[8:9], v[8:9]
	s_cbranch_scc1 .LBB151_2662
; %bb.2656:
	s_cmp_gt_i32 s16, 25
	s_mov_b32 s6, 0
	s_cbranch_scc0 .LBB151_2663
; %bb.2657:
	s_cmp_gt_i32 s16, 28
	s_cbranch_scc0 .LBB151_2664
; %bb.2658:
	s_cmp_gt_i32 s16, 43
	;; [unrolled: 3-line block ×3, first 2 shown]
	s_cbranch_scc0 .LBB151_2666
; %bb.2660:
	s_cmp_eq_u32 s16, 46
	s_mov_b32 s8, 0
	s_cbranch_scc0 .LBB151_2667
; %bb.2661:
	s_wait_loadcnt 0x0
	global_load_b32 v5, v[8:9], off
	s_mov_b32 s0, 0
	s_mov_b32 s7, -1
	s_wait_loadcnt 0x0
	v_lshlrev_b32_e32 v7, 16, v5
	s_wait_xcnt 0x1
	v_and_b32_e32 v10, 0xffff0000, v5
	s_delay_alu instid0(VALU_DEP_2) | instskip(NEXT) | instid1(VALU_DEP_2)
	v_cvt_f16_f32_e32 v5, v7
	v_cvt_f16_f32_e32 v7, v10
	s_branch .LBB151_2669
.LBB151_2662:
	s_mov_b32 s0, -1
	s_mov_b32 s7, 0
                                        ; implicit-def: $vgpr7
                                        ; implicit-def: $vgpr5
	s_branch .LBB151_2715
.LBB151_2663:
	s_mov_b32 s8, -1
	s_mov_b32 s7, 0
	s_mov_b32 s0, 0
                                        ; implicit-def: $vgpr7
                                        ; implicit-def: $vgpr5
	s_branch .LBB151_2700
.LBB151_2664:
	s_mov_b32 s8, -1
	s_mov_b32 s7, 0
	s_mov_b32 s0, 0
                                        ; implicit-def: $vgpr7
                                        ; implicit-def: $vgpr5
	s_branch .LBB151_2681
.LBB151_2665:
	s_mov_b32 s8, -1
	s_mov_b32 s7, 0
	s_mov_b32 s0, 0
                                        ; implicit-def: $vgpr7
                                        ; implicit-def: $vgpr5
	s_branch .LBB151_2675
.LBB151_2666:
	s_mov_b32 s8, -1
	s_mov_b32 s7, 0
	s_mov_b32 s0, 0
	s_branch .LBB151_2668
.LBB151_2667:
	s_mov_b32 s0, -1
	s_mov_b32 s7, 0
.LBB151_2668:
                                        ; implicit-def: $vgpr7
                                        ; implicit-def: $vgpr5
.LBB151_2669:
	s_and_b32 vcc_lo, exec_lo, s8
	s_cbranch_vccz .LBB151_2674
; %bb.2670:
	s_cmp_eq_u32 s16, 44
	s_cbranch_scc0 .LBB151_2672
; %bb.2671:
	s_wait_loadcnt 0x0
	global_load_u8 v5, v[8:9], off
	s_mov_b32 s0, 0
	s_mov_b32 s7, -1
	s_wait_loadcnt 0x0
	v_lshlrev_b32_e32 v7, 23, v5
	v_cmp_ne_u32_e32 vcc_lo, 0xff, v5
	s_delay_alu instid0(VALU_DEP_2) | instskip(NEXT) | instid1(VALU_DEP_1)
	v_cvt_f16_f32_e32 v7, v7
	v_cndmask_b32_e32 v7, 0x7e00, v7, vcc_lo
	v_cmp_ne_u32_e32 vcc_lo, 0, v5
	s_delay_alu instid0(VALU_DEP_2)
	v_cndmask_b32_e32 v5, 0, v7, vcc_lo
	s_branch .LBB151_2673
.LBB151_2672:
	s_mov_b32 s0, -1
                                        ; implicit-def: $vgpr5
.LBB151_2673:
	v_mov_b32_e32 v7, 0
.LBB151_2674:
	s_mov_b32 s8, 0
.LBB151_2675:
	s_delay_alu instid0(SALU_CYCLE_1)
	s_and_b32 vcc_lo, exec_lo, s8
	s_cbranch_vccz .LBB151_2680
; %bb.2676:
	s_cmp_eq_u32 s16, 29
	s_cbranch_scc0 .LBB151_2678
; %bb.2677:
	global_load_b64 v[10:11], v[8:9], off
	s_mov_b32 s0, 0
	s_mov_b32 s7, -1
	s_wait_loadcnt 0x0
	v_clz_i32_u32_e32 v5, v11
	s_delay_alu instid0(VALU_DEP_1) | instskip(NEXT) | instid1(VALU_DEP_1)
	v_min_u32_e32 v5, 32, v5
	v_lshlrev_b64_e32 v[10:11], v5, v[10:11]
	v_sub_nc_u32_e32 v5, 32, v5
	s_delay_alu instid0(VALU_DEP_2) | instskip(NEXT) | instid1(VALU_DEP_1)
	v_min_u32_e32 v7, 1, v10
	v_or_b32_e32 v7, v11, v7
	s_delay_alu instid0(VALU_DEP_1) | instskip(NEXT) | instid1(VALU_DEP_1)
	v_cvt_f32_u32_e32 v7, v7
	v_ldexp_f32 v5, v7, v5
	s_delay_alu instid0(VALU_DEP_1)
	v_cvt_f16_f32_e32 v5, v5
	s_branch .LBB151_2679
.LBB151_2678:
	s_mov_b32 s0, -1
                                        ; implicit-def: $vgpr5
.LBB151_2679:
	v_mov_b32_e32 v7, 0
.LBB151_2680:
	s_mov_b32 s8, 0
.LBB151_2681:
	s_delay_alu instid0(SALU_CYCLE_1)
	s_and_b32 vcc_lo, exec_lo, s8
	s_cbranch_vccz .LBB151_2699
; %bb.2682:
	s_cmp_lt_i32 s16, 27
	s_cbranch_scc1 .LBB151_2685
; %bb.2683:
	s_cmp_gt_i32 s16, 27
	s_cbranch_scc0 .LBB151_2686
; %bb.2684:
	s_wait_loadcnt 0x0
	global_load_b32 v5, v[8:9], off
	s_mov_b32 s7, 0
	s_wait_loadcnt 0x0
	v_cvt_f32_u32_e32 v5, v5
	s_delay_alu instid0(VALU_DEP_1)
	v_cvt_f16_f32_e32 v5, v5
	s_branch .LBB151_2687
.LBB151_2685:
	s_mov_b32 s7, -1
                                        ; implicit-def: $vgpr5
	s_branch .LBB151_2690
.LBB151_2686:
	s_mov_b32 s7, -1
                                        ; implicit-def: $vgpr5
.LBB151_2687:
	s_delay_alu instid0(SALU_CYCLE_1)
	s_and_not1_b32 vcc_lo, exec_lo, s7
	s_cbranch_vccnz .LBB151_2689
; %bb.2688:
	s_wait_loadcnt 0x0
	global_load_u16 v5, v[8:9], off
	s_wait_loadcnt 0x0
	v_cvt_f16_u16_e32 v5, v5
.LBB151_2689:
	s_mov_b32 s7, 0
.LBB151_2690:
	s_delay_alu instid0(SALU_CYCLE_1)
	s_and_not1_b32 vcc_lo, exec_lo, s7
	s_cbranch_vccnz .LBB151_2698
; %bb.2691:
	global_load_u8 v7, v[8:9], off
	s_mov_b32 s7, 0
	s_mov_b32 s8, exec_lo
	s_wait_loadcnt 0x0
	v_cmpx_lt_i16_e32 0x7f, v7
	s_xor_b32 s8, exec_lo, s8
	s_cbranch_execz .LBB151_2724
; %bb.2692:
	s_mov_b32 s7, -1
	s_mov_b32 s9, exec_lo
	v_cmpx_eq_u16_e32 0x80, v7
; %bb.2693:
	s_xor_b32 s7, exec_lo, -1
; %bb.2694:
	s_or_b32 exec_lo, exec_lo, s9
	s_delay_alu instid0(SALU_CYCLE_1)
	s_and_b32 s7, s7, exec_lo
	s_or_saveexec_b32 s8, s8
	v_mov_b32_e32 v5, 0x7e00
	s_xor_b32 exec_lo, exec_lo, s8
	s_cbranch_execnz .LBB151_2725
.LBB151_2695:
	s_or_b32 exec_lo, exec_lo, s8
	s_and_saveexec_b32 s8, s7
	s_cbranch_execz .LBB151_2697
.LBB151_2696:
	v_and_b32_e32 v5, 0xffff, v7
	s_delay_alu instid0(VALU_DEP_1) | instskip(SKIP_1) | instid1(VALU_DEP_2)
	v_and_b32_e32 v10, 7, v5
	v_bfe_u32 v13, v5, 3, 4
	v_clz_i32_u32_e32 v11, v10
	s_delay_alu instid0(VALU_DEP_2) | instskip(NEXT) | instid1(VALU_DEP_2)
	v_cmp_eq_u32_e32 vcc_lo, 0, v13
	v_min_u32_e32 v11, 32, v11
	s_delay_alu instid0(VALU_DEP_1) | instskip(NEXT) | instid1(VALU_DEP_1)
	v_subrev_nc_u32_e32 v12, 28, v11
	v_dual_lshlrev_b32 v5, v12, v5 :: v_dual_sub_nc_u32 v11, 29, v11
	s_delay_alu instid0(VALU_DEP_1) | instskip(NEXT) | instid1(VALU_DEP_1)
	v_dual_lshlrev_b32 v7, 24, v7 :: v_dual_bitop2_b32 v5, 7, v5 bitop3:0x40
	v_dual_cndmask_b32 v5, v10, v5, vcc_lo :: v_dual_cndmask_b32 v11, v13, v11, vcc_lo
	s_delay_alu instid0(VALU_DEP_2) | instskip(NEXT) | instid1(VALU_DEP_2)
	v_and_b32_e32 v7, 0x80000000, v7
	v_lshlrev_b32_e32 v5, 20, v5
	s_delay_alu instid0(VALU_DEP_3) | instskip(NEXT) | instid1(VALU_DEP_1)
	v_lshl_add_u32 v10, v11, 23, 0x3b800000
	v_or3_b32 v5, v7, v10, v5
	s_delay_alu instid0(VALU_DEP_1)
	v_cvt_f16_f32_e32 v5, v5
.LBB151_2697:
	s_or_b32 exec_lo, exec_lo, s8
.LBB151_2698:
	v_mov_b32_e32 v7, 0
	s_mov_b32 s7, -1
.LBB151_2699:
	s_mov_b32 s8, 0
.LBB151_2700:
	s_delay_alu instid0(SALU_CYCLE_1)
	s_and_b32 vcc_lo, exec_lo, s8
	s_cbranch_vccz .LBB151_2711
; %bb.2701:
	s_cmp_gt_i32 s16, 22
	s_cbranch_scc0 .LBB151_2722
; %bb.2702:
	s_cmp_lt_i32 s16, 24
	s_cbranch_scc1 .LBB151_2726
; %bb.2703:
	s_cmp_gt_i32 s16, 24
	s_cbranch_scc0 .LBB151_2728
; %bb.2704:
	global_load_u8 v7, v[8:9], off
	s_mov_b32 s7, exec_lo
	s_wait_loadcnt 0x0
	v_cmpx_lt_i16_e32 0x7f, v7
	s_xor_b32 s7, exec_lo, s7
	s_cbranch_execz .LBB151_2740
; %bb.2705:
	s_mov_b32 s6, -1
	s_mov_b32 s8, exec_lo
	v_cmpx_eq_u16_e32 0x80, v7
; %bb.2706:
	s_xor_b32 s6, exec_lo, -1
; %bb.2707:
	s_or_b32 exec_lo, exec_lo, s8
	s_delay_alu instid0(SALU_CYCLE_1)
	s_and_b32 s6, s6, exec_lo
	s_or_saveexec_b32 s7, s7
	v_mov_b32_e32 v5, 0x7e00
	s_xor_b32 exec_lo, exec_lo, s7
	s_cbranch_execnz .LBB151_2741
.LBB151_2708:
	s_or_b32 exec_lo, exec_lo, s7
	s_and_saveexec_b32 s7, s6
	s_cbranch_execz .LBB151_2710
.LBB151_2709:
	v_and_b32_e32 v5, 0xffff, v7
	s_delay_alu instid0(VALU_DEP_1) | instskip(SKIP_1) | instid1(VALU_DEP_2)
	v_and_b32_e32 v10, 3, v5
	v_bfe_u32 v13, v5, 2, 5
	v_clz_i32_u32_e32 v11, v10
	s_delay_alu instid0(VALU_DEP_2) | instskip(NEXT) | instid1(VALU_DEP_2)
	v_cmp_eq_u32_e32 vcc_lo, 0, v13
	v_min_u32_e32 v11, 32, v11
	s_delay_alu instid0(VALU_DEP_1) | instskip(NEXT) | instid1(VALU_DEP_1)
	v_subrev_nc_u32_e32 v12, 29, v11
	v_dual_lshlrev_b32 v5, v12, v5 :: v_dual_sub_nc_u32 v11, 30, v11
	s_delay_alu instid0(VALU_DEP_1) | instskip(NEXT) | instid1(VALU_DEP_1)
	v_dual_lshlrev_b32 v7, 24, v7 :: v_dual_bitop2_b32 v5, 3, v5 bitop3:0x40
	v_dual_cndmask_b32 v5, v10, v5, vcc_lo :: v_dual_cndmask_b32 v11, v13, v11, vcc_lo
	s_delay_alu instid0(VALU_DEP_2) | instskip(NEXT) | instid1(VALU_DEP_2)
	v_and_b32_e32 v7, 0x80000000, v7
	v_lshlrev_b32_e32 v5, 21, v5
	s_delay_alu instid0(VALU_DEP_3) | instskip(NEXT) | instid1(VALU_DEP_1)
	v_lshl_add_u32 v10, v11, 23, 0x37800000
	v_or3_b32 v5, v7, v10, v5
	s_delay_alu instid0(VALU_DEP_1)
	v_cvt_f16_f32_e32 v5, v5
.LBB151_2710:
	s_or_b32 exec_lo, exec_lo, s7
	s_mov_b32 s6, 0
	s_branch .LBB151_2729
.LBB151_2711:
	s_and_b32 vcc_lo, exec_lo, s0
	s_cbranch_vccnz .LBB151_2759
.LBB151_2712:
	s_and_not1_b32 vcc_lo, exec_lo, s6
	s_cbranch_vccnz .LBB151_2714
.LBB151_2713:
	s_wait_loadcnt 0x0
	global_load_u8 v5, v[8:9], off
	v_mov_b32_e32 v7, 0
	s_mov_b32 s7, -1
	s_wait_loadcnt 0x0
	v_cmp_ne_u16_e32 vcc_lo, 0, v5
	v_cndmask_b32_e64 v5, 0, 0x3c00, vcc_lo
.LBB151_2714:
	s_mov_b32 s0, 0
.LBB151_2715:
	s_delay_alu instid0(SALU_CYCLE_1)
	s_and_b32 vcc_lo, exec_lo, s0
	s_cbranch_vccz .LBB151_2790
; %bb.2716:
	s_cmp_lt_i32 s16, 5
	s_cbranch_scc1 .LBB151_2721
; %bb.2717:
	s_cmp_lt_i32 s16, 8
	s_cbranch_scc1 .LBB151_2723
; %bb.2718:
	s_cmp_lt_i32 s16, 9
	s_cbranch_scc1 .LBB151_2727
; %bb.2719:
	s_cmp_gt_i32 s16, 9
	s_cbranch_scc0 .LBB151_2742
; %bb.2720:
	global_load_b128 v[10:13], v[8:9], off
	s_mov_b32 s0, 0
	s_wait_loadcnt 0x0
	v_and_or_b32 v5, 0x1ff, v11, v10
	v_and_or_b32 v12, 0x1ff, v13, v12
	v_dual_lshrrev_b32 v7, 8, v11 :: v_dual_lshrrev_b32 v14, 8, v13
	v_bfe_u32 v10, v11, 20, 11
	s_delay_alu instid0(VALU_DEP_4) | instskip(SKIP_2) | instid1(VALU_DEP_4)
	v_cmp_ne_u32_e32 vcc_lo, 0, v5
	v_bfe_u32 v15, v13, 20, 11
	v_dual_lshrrev_b32 v11, 16, v11 :: v_dual_lshrrev_b32 v13, 16, v13
	v_sub_nc_u32_e32 v16, 0x3f1, v10
	v_cndmask_b32_e64 v5, 0, 1, vcc_lo
	v_cmp_ne_u32_e32 vcc_lo, 0, v12
	v_add_nc_u32_e32 v10, 0xfffffc10, v10
	s_delay_alu instid0(VALU_DEP_3) | instskip(SKIP_1) | instid1(VALU_DEP_1)
	v_and_or_b32 v5, 0xffe, v7, v5
	v_cndmask_b32_e64 v12, 0, 1, vcc_lo
	v_and_or_b32 v12, 0xffe, v14, v12
	v_med3_i32 v14, v16, 0, 13
	s_delay_alu instid0(VALU_DEP_4) | instskip(NEXT) | instid1(VALU_DEP_3)
	v_or_b32_e32 v16, 0x1000, v5
	v_or_b32_e32 v17, 0x1000, v12
	s_delay_alu instid0(VALU_DEP_2) | instskip(NEXT) | instid1(VALU_DEP_1)
	v_lshrrev_b32_e32 v18, v14, v16
	v_lshlrev_b32_e32 v14, v14, v18
	s_delay_alu instid0(VALU_DEP_1) | instskip(SKIP_2) | instid1(VALU_DEP_1)
	v_cmp_ne_u32_e32 vcc_lo, v14, v16
	v_lshl_or_b32 v16, v10, 12, v5
	v_cndmask_b32_e64 v14, 0, 1, vcc_lo
	v_or_b32_e32 v14, v18, v14
	v_sub_nc_u32_e32 v7, 0x3f1, v15
	v_add_nc_u32_e32 v15, 0xfffffc10, v15
	s_delay_alu instid0(VALU_DEP_2) | instskip(NEXT) | instid1(VALU_DEP_1)
	v_med3_i32 v7, v7, 0, 13
	v_lshrrev_b32_e32 v19, v7, v17
	s_delay_alu instid0(VALU_DEP_1) | instskip(NEXT) | instid1(VALU_DEP_1)
	v_lshlrev_b32_e32 v7, v7, v19
	v_cmp_ne_u32_e32 vcc_lo, v7, v17
	v_lshl_or_b32 v17, v15, 12, v12
	v_cndmask_b32_e64 v7, 0, 1, vcc_lo
	v_cmp_gt_i32_e32 vcc_lo, 1, v10
	s_delay_alu instid0(VALU_DEP_2) | instskip(SKIP_1) | instid1(VALU_DEP_2)
	v_dual_cndmask_b32 v14, v16, v14, vcc_lo :: v_dual_bitop2_b32 v7, v19, v7 bitop3:0x54
	v_cmp_gt_i32_e32 vcc_lo, 1, v15
	v_dual_lshrrev_b32 v14, 2, v14 :: v_dual_bitop2_b32 v16, 7, v14 bitop3:0x40
	s_delay_alu instid0(VALU_DEP_3) | instskip(NEXT) | instid1(VALU_DEP_2)
	v_cndmask_b32_e32 v7, v17, v7, vcc_lo
	v_cmp_lt_i32_e32 vcc_lo, 5, v16
	v_cndmask_b32_e64 v18, 0, 1, vcc_lo
	v_cmp_eq_u32_e32 vcc_lo, 3, v16
	v_cndmask_b32_e64 v16, 0, 1, vcc_lo
	s_delay_alu instid0(VALU_DEP_1) | instskip(SKIP_1) | instid1(VALU_DEP_2)
	v_or_b32_e32 v16, v16, v18
	v_dual_lshrrev_b32 v7, 2, v7 :: v_dual_bitop2_b32 v17, 7, v7 bitop3:0x40
	v_add_nc_u32_e32 v14, v14, v16
	s_delay_alu instid0(VALU_DEP_2) | instskip(SKIP_4) | instid1(VALU_DEP_2)
	v_cmp_lt_i32_e32 vcc_lo, 5, v17
	v_cndmask_b32_e64 v19, 0, 1, vcc_lo
	v_cmp_eq_u32_e32 vcc_lo, 3, v17
	v_cndmask_b32_e64 v17, 0, 1, vcc_lo
	v_cmp_ne_u32_e32 vcc_lo, 0, v5
	v_or_b32_e32 v17, v17, v19
	s_delay_alu instid0(VALU_DEP_1) | instskip(NEXT) | instid1(VALU_DEP_1)
	v_dual_mov_b32 v20, 0x7e00 :: v_dual_add_nc_u32 v7, v7, v17
	v_cndmask_b32_e32 v5, 0x7c00, v20, vcc_lo
	v_cmp_ne_u32_e32 vcc_lo, 0, v12
	v_cndmask_b32_e32 v12, 0x7c00, v20, vcc_lo
	v_cmp_gt_i32_e32 vcc_lo, 31, v10
	v_cndmask_b32_e32 v14, 0x7c00, v14, vcc_lo
	v_cmp_gt_i32_e32 vcc_lo, 31, v15
	v_cndmask_b32_e32 v7, 0x7c00, v7, vcc_lo
	v_cmp_eq_u32_e32 vcc_lo, 0x40f, v10
	s_delay_alu instid0(VALU_DEP_4) | instskip(SKIP_1) | instid1(VALU_DEP_2)
	v_cndmask_b32_e32 v5, v14, v5, vcc_lo
	v_cmp_eq_u32_e32 vcc_lo, 0x40f, v15
	v_and_or_b32 v5, 0x8000, v11, v5
	v_cndmask_b32_e32 v7, v7, v12, vcc_lo
	s_delay_alu instid0(VALU_DEP_1)
	v_and_or_b32 v7, 0x8000, v13, v7
	s_branch .LBB151_2743
.LBB151_2721:
	s_mov_b32 s0, -1
                                        ; implicit-def: $vgpr7
                                        ; implicit-def: $vgpr5
	s_branch .LBB151_2768
.LBB151_2722:
	s_mov_b32 s6, -1
                                        ; implicit-def: $vgpr5
	s_branch .LBB151_2735
.LBB151_2723:
	s_mov_b32 s0, -1
                                        ; implicit-def: $vgpr7
                                        ; implicit-def: $vgpr5
	s_branch .LBB151_2749
.LBB151_2724:
	s_or_saveexec_b32 s8, s8
	v_mov_b32_e32 v5, 0x7e00
	s_xor_b32 exec_lo, exec_lo, s8
	s_cbranch_execz .LBB151_2695
.LBB151_2725:
	v_cmp_ne_u16_e32 vcc_lo, 0, v7
	v_mov_b32_e32 v5, v7
	s_and_not1_b32 s7, s7, exec_lo
	s_and_b32 s9, vcc_lo, exec_lo
	s_delay_alu instid0(SALU_CYCLE_1)
	s_or_b32 s7, s7, s9
	s_or_b32 exec_lo, exec_lo, s8
	s_and_saveexec_b32 s8, s7
	s_cbranch_execnz .LBB151_2696
	s_branch .LBB151_2697
.LBB151_2726:
	s_mov_b32 s6, -1
                                        ; implicit-def: $vgpr5
	s_branch .LBB151_2732
.LBB151_2727:
	s_mov_b32 s0, -1
                                        ; implicit-def: $vgpr7
                                        ; implicit-def: $vgpr5
	s_branch .LBB151_2746
.LBB151_2728:
	s_mov_b32 s6, -1
                                        ; implicit-def: $vgpr5
.LBB151_2729:
	s_delay_alu instid0(SALU_CYCLE_1)
	s_and_b32 vcc_lo, exec_lo, s6
	s_cbranch_vccz .LBB151_2731
; %bb.2730:
	s_wait_loadcnt 0x0
	global_load_u8 v5, v[8:9], off
	s_wait_loadcnt 0x0
	v_lshlrev_b32_e32 v5, 24, v5
	s_delay_alu instid0(VALU_DEP_1) | instskip(SKIP_1) | instid1(VALU_DEP_1)
	v_and_b32_e32 v7, 0x7f000000, v5
	s_wait_xcnt 0x1
	v_clz_i32_u32_e32 v10, v7
	v_cmp_ne_u32_e32 vcc_lo, 0, v7
	v_add_nc_u32_e32 v12, 0x1000000, v7
	s_delay_alu instid0(VALU_DEP_3) | instskip(NEXT) | instid1(VALU_DEP_1)
	v_min_u32_e32 v10, 32, v10
	v_sub_nc_u32_e64 v10, v10, 4 clamp
	s_delay_alu instid0(VALU_DEP_1) | instskip(NEXT) | instid1(VALU_DEP_1)
	v_dual_lshlrev_b32 v11, v10, v7 :: v_dual_lshlrev_b32 v10, 23, v10
	v_lshrrev_b32_e32 v11, 4, v11
	s_delay_alu instid0(VALU_DEP_1) | instskip(NEXT) | instid1(VALU_DEP_1)
	v_dual_sub_nc_u32 v10, v11, v10 :: v_dual_ashrrev_i32 v11, 8, v12
	v_add_nc_u32_e32 v10, 0x3c000000, v10
	s_delay_alu instid0(VALU_DEP_1) | instskip(NEXT) | instid1(VALU_DEP_1)
	v_and_or_b32 v10, 0x7f800000, v11, v10
	v_cndmask_b32_e32 v7, 0, v10, vcc_lo
	s_delay_alu instid0(VALU_DEP_1) | instskip(NEXT) | instid1(VALU_DEP_1)
	v_and_or_b32 v5, 0x80000000, v5, v7
	v_cvt_f16_f32_e32 v5, v5
.LBB151_2731:
	s_mov_b32 s6, 0
.LBB151_2732:
	s_delay_alu instid0(SALU_CYCLE_1)
	s_and_not1_b32 vcc_lo, exec_lo, s6
	s_cbranch_vccnz .LBB151_2734
; %bb.2733:
	s_wait_loadcnt 0x0
	global_load_u8 v5, v[8:9], off
	s_wait_loadcnt 0x0
	v_lshlrev_b32_e32 v7, 25, v5
	v_lshlrev_b16 v5, 8, v5
	s_wait_xcnt 0x1
	s_delay_alu instid0(VALU_DEP_1) | instskip(SKIP_1) | instid1(VALU_DEP_2)
	v_and_or_b32 v11, 0x7f00, v5, 0.5
	v_bfe_i32 v5, v5, 0, 16
	v_add_f32_e32 v11, -0.5, v11
	v_lshrrev_b32_e32 v10, 4, v7
	v_cmp_gt_u32_e32 vcc_lo, 0x8000000, v7
	s_delay_alu instid0(VALU_DEP_2) | instskip(NEXT) | instid1(VALU_DEP_1)
	v_or_b32_e32 v10, 0x70000000, v10
	v_mul_f32_e32 v10, 0x7800000, v10
	s_delay_alu instid0(VALU_DEP_1) | instskip(NEXT) | instid1(VALU_DEP_1)
	v_cndmask_b32_e32 v7, v10, v11, vcc_lo
	v_and_or_b32 v5, 0x80000000, v5, v7
	s_delay_alu instid0(VALU_DEP_1)
	v_cvt_f16_f32_e32 v5, v5
.LBB151_2734:
	s_mov_b32 s6, 0
	s_mov_b32 s7, -1
.LBB151_2735:
	s_and_not1_b32 vcc_lo, exec_lo, s6
	s_mov_b32 s6, 0
	s_cbranch_vccnz .LBB151_2758
; %bb.2736:
	s_cmp_gt_i32 s16, 14
	s_cbranch_scc0 .LBB151_2739
; %bb.2737:
	s_cmp_eq_u32 s16, 15
	s_cbranch_scc0 .LBB151_2754
; %bb.2738:
	s_wait_loadcnt 0x0
	global_load_u16 v5, v[8:9], off
	s_mov_b32 s0, 0
	s_mov_b32 s7, -1
	s_wait_loadcnt 0x0
	v_lshlrev_b32_e32 v5, 16, v5
	s_delay_alu instid0(VALU_DEP_1)
	v_cvt_f16_f32_e32 v5, v5
	s_branch .LBB151_2756
.LBB151_2739:
	s_mov_b32 s6, -1
	s_branch .LBB151_2755
.LBB151_2740:
	s_or_saveexec_b32 s7, s7
	v_mov_b32_e32 v5, 0x7e00
	s_xor_b32 exec_lo, exec_lo, s7
	s_cbranch_execz .LBB151_2708
.LBB151_2741:
	v_cmp_ne_u16_e32 vcc_lo, 0, v7
	v_mov_b32_e32 v5, v7
	s_and_not1_b32 s6, s6, exec_lo
	s_and_b32 s8, vcc_lo, exec_lo
	s_delay_alu instid0(SALU_CYCLE_1)
	s_or_b32 s6, s6, s8
	s_or_b32 exec_lo, exec_lo, s7
	s_and_saveexec_b32 s7, s6
	s_cbranch_execnz .LBB151_2709
	s_branch .LBB151_2710
.LBB151_2742:
	s_mov_b32 s0, -1
                                        ; implicit-def: $vgpr7
                                        ; implicit-def: $vgpr5
.LBB151_2743:
	s_delay_alu instid0(SALU_CYCLE_1)
	s_and_not1_b32 vcc_lo, exec_lo, s0
	s_cbranch_vccnz .LBB151_2745
; %bb.2744:
	global_load_b64 v[10:11], v[8:9], off
	s_wait_loadcnt 0x0
	v_cvt_f16_f32_e32 v5, v10
	v_cvt_f16_f32_e32 v7, v11
.LBB151_2745:
	s_mov_b32 s0, 0
.LBB151_2746:
	s_delay_alu instid0(SALU_CYCLE_1)
	s_and_not1_b32 vcc_lo, exec_lo, s0
	s_cbranch_vccnz .LBB151_2748
; %bb.2747:
	s_wait_loadcnt 0x0
	global_load_b32 v5, v[8:9], off
	s_wait_loadcnt 0x0
	v_lshrrev_b32_e32 v7, 16, v5
.LBB151_2748:
	s_mov_b32 s0, 0
.LBB151_2749:
	s_delay_alu instid0(SALU_CYCLE_1)
	s_and_not1_b32 vcc_lo, exec_lo, s0
	s_cbranch_vccnz .LBB151_2767
; %bb.2750:
	s_cmp_lt_i32 s16, 6
	s_cbranch_scc1 .LBB151_2753
; %bb.2751:
	s_cmp_gt_i32 s16, 6
	s_cbranch_scc0 .LBB151_2760
; %bb.2752:
	global_load_b64 v[10:11], v[8:9], off
	s_mov_b32 s0, 0
	s_wait_loadcnt 0x0
	v_and_or_b32 v5, 0x1ff, v11, v10
	v_lshrrev_b32_e32 v7, 8, v11
	v_bfe_u32 v10, v11, 20, 11
	s_delay_alu instid0(VALU_DEP_3) | instskip(NEXT) | instid1(VALU_DEP_2)
	v_cmp_ne_u32_e32 vcc_lo, 0, v5
	v_sub_nc_u32_e32 v12, 0x3f1, v10
	v_add_nc_u32_e32 v10, 0xfffffc10, v10
	v_cndmask_b32_e64 v5, 0, 1, vcc_lo
	s_delay_alu instid0(VALU_DEP_1) | instskip(NEXT) | instid1(VALU_DEP_4)
	v_and_or_b32 v5, 0xffe, v7, v5
	v_med3_i32 v7, v12, 0, 13
	s_delay_alu instid0(VALU_DEP_2) | instskip(NEXT) | instid1(VALU_DEP_1)
	v_or_b32_e32 v12, 0x1000, v5
	v_lshrrev_b32_e32 v13, v7, v12
	s_delay_alu instid0(VALU_DEP_1) | instskip(NEXT) | instid1(VALU_DEP_1)
	v_lshlrev_b32_e32 v7, v7, v13
	v_cmp_ne_u32_e32 vcc_lo, v7, v12
	v_lshl_or_b32 v12, v10, 12, v5
	v_cndmask_b32_e64 v7, 0, 1, vcc_lo
	v_cmp_gt_i32_e32 vcc_lo, 1, v10
	s_delay_alu instid0(VALU_DEP_2) | instskip(NEXT) | instid1(VALU_DEP_1)
	v_or_b32_e32 v7, v13, v7
	v_cndmask_b32_e32 v7, v12, v7, vcc_lo
	s_delay_alu instid0(VALU_DEP_1) | instskip(NEXT) | instid1(VALU_DEP_1)
	v_dual_lshrrev_b32 v7, 2, v7 :: v_dual_bitop2_b32 v12, 7, v7 bitop3:0x40
	v_cmp_lt_i32_e32 vcc_lo, 5, v12
	v_cndmask_b32_e64 v13, 0, 1, vcc_lo
	v_cmp_eq_u32_e32 vcc_lo, 3, v12
	v_cndmask_b32_e64 v12, 0, 1, vcc_lo
	v_cmp_ne_u32_e32 vcc_lo, 0, v5
	s_delay_alu instid0(VALU_DEP_2) | instskip(SKIP_1) | instid1(VALU_DEP_2)
	v_or_b32_e32 v12, v12, v13
	v_mov_b32_e32 v13, 0x7e00
	v_add_nc_u32_e32 v7, v7, v12
	s_delay_alu instid0(VALU_DEP_2) | instskip(SKIP_1) | instid1(VALU_DEP_3)
	v_cndmask_b32_e32 v5, 0x7c00, v13, vcc_lo
	v_cmp_gt_i32_e32 vcc_lo, 31, v10
	v_cndmask_b32_e32 v7, 0x7c00, v7, vcc_lo
	v_cmp_eq_u32_e32 vcc_lo, 0x40f, v10
	s_delay_alu instid0(VALU_DEP_2) | instskip(NEXT) | instid1(VALU_DEP_1)
	v_dual_cndmask_b32 v5, v7, v5, vcc_lo :: v_dual_lshrrev_b32 v7, 16, v11
	v_and_or_b32 v5, 0x8000, v7, v5
	s_branch .LBB151_2761
.LBB151_2753:
	s_mov_b32 s0, -1
                                        ; implicit-def: $vgpr5
	s_branch .LBB151_2764
.LBB151_2754:
	s_mov_b32 s0, -1
.LBB151_2755:
                                        ; implicit-def: $vgpr5
.LBB151_2756:
	s_and_b32 vcc_lo, exec_lo, s6
	s_mov_b32 s6, 0
	s_cbranch_vccz .LBB151_2758
; %bb.2757:
	s_cmp_lg_u32 s16, 11
	s_mov_b32 s6, -1
	s_cselect_b32 s0, -1, 0
.LBB151_2758:
	v_mov_b32_e32 v7, 0
	s_and_b32 vcc_lo, exec_lo, s0
	s_cbranch_vccz .LBB151_2712
.LBB151_2759:
	s_or_b32 s1, s1, exec_lo
	s_trap 2
	s_cbranch_execz .LBB151_2713
	s_branch .LBB151_2714
.LBB151_2760:
	s_mov_b32 s0, -1
                                        ; implicit-def: $vgpr5
.LBB151_2761:
	s_delay_alu instid0(SALU_CYCLE_1)
	s_and_not1_b32 vcc_lo, exec_lo, s0
	s_cbranch_vccnz .LBB151_2763
; %bb.2762:
	s_wait_loadcnt 0x0
	global_load_b32 v5, v[8:9], off
	s_wait_loadcnt 0x0
	v_cvt_f16_f32_e32 v5, v5
.LBB151_2763:
	s_mov_b32 s0, 0
.LBB151_2764:
	s_delay_alu instid0(SALU_CYCLE_1)
	s_and_not1_b32 vcc_lo, exec_lo, s0
	s_cbranch_vccnz .LBB151_2766
; %bb.2765:
	s_wait_loadcnt 0x0
	global_load_u16 v5, v[8:9], off
.LBB151_2766:
	v_mov_b32_e32 v7, 0
.LBB151_2767:
	s_mov_b32 s0, 0
.LBB151_2768:
	s_delay_alu instid0(SALU_CYCLE_1)
	s_and_not1_b32 vcc_lo, exec_lo, s0
	s_cbranch_vccnz .LBB151_2789
; %bb.2769:
	s_cmp_lt_i32 s16, 2
	s_cbranch_scc1 .LBB151_2773
; %bb.2770:
	s_cmp_lt_i32 s16, 3
	s_cbranch_scc1 .LBB151_2774
; %bb.2771:
	s_cmp_gt_i32 s16, 3
	s_cbranch_scc0 .LBB151_2775
; %bb.2772:
	global_load_b64 v[10:11], v[8:9], off
	s_mov_b32 s0, 0
	s_wait_loadcnt 0x0
	v_xor_b32_e32 v5, v10, v11
	v_cls_i32_e32 v7, v11
	s_delay_alu instid0(VALU_DEP_2) | instskip(NEXT) | instid1(VALU_DEP_1)
	v_ashrrev_i32_e32 v5, 31, v5
	v_add_nc_u32_e32 v5, 32, v5
	s_delay_alu instid0(VALU_DEP_1) | instskip(NEXT) | instid1(VALU_DEP_1)
	v_add_min_u32_e64 v5, v7, -1, v5
	v_lshlrev_b64_e32 v[10:11], v5, v[10:11]
	v_sub_nc_u32_e32 v5, 32, v5
	s_delay_alu instid0(VALU_DEP_2) | instskip(NEXT) | instid1(VALU_DEP_1)
	v_min_u32_e32 v7, 1, v10
	v_or_b32_e32 v7, v11, v7
	s_delay_alu instid0(VALU_DEP_1) | instskip(NEXT) | instid1(VALU_DEP_1)
	v_cvt_f32_i32_e32 v7, v7
	v_ldexp_f32 v5, v7, v5
	s_delay_alu instid0(VALU_DEP_1)
	v_cvt_f16_f32_e32 v5, v5
	s_branch .LBB151_2776
.LBB151_2773:
	s_mov_b32 s0, -1
                                        ; implicit-def: $vgpr5
	s_branch .LBB151_2782
.LBB151_2774:
	s_mov_b32 s0, -1
                                        ; implicit-def: $vgpr5
	s_branch .LBB151_2779
.LBB151_2775:
	s_mov_b32 s0, -1
                                        ; implicit-def: $vgpr5
.LBB151_2776:
	s_delay_alu instid0(SALU_CYCLE_1)
	s_and_not1_b32 vcc_lo, exec_lo, s0
	s_cbranch_vccnz .LBB151_2778
; %bb.2777:
	s_wait_loadcnt 0x0
	global_load_b32 v5, v[8:9], off
	s_wait_loadcnt 0x0
	v_cvt_f32_i32_e32 v5, v5
	s_delay_alu instid0(VALU_DEP_1)
	v_cvt_f16_f32_e32 v5, v5
.LBB151_2778:
	s_mov_b32 s0, 0
.LBB151_2779:
	s_delay_alu instid0(SALU_CYCLE_1)
	s_and_not1_b32 vcc_lo, exec_lo, s0
	s_cbranch_vccnz .LBB151_2781
; %bb.2780:
	s_wait_loadcnt 0x0
	global_load_u16 v5, v[8:9], off
	s_wait_loadcnt 0x0
	v_cvt_f16_i16_e32 v5, v5
.LBB151_2781:
	s_mov_b32 s0, 0
.LBB151_2782:
	s_delay_alu instid0(SALU_CYCLE_1)
	s_and_not1_b32 vcc_lo, exec_lo, s0
	s_cbranch_vccnz .LBB151_2788
; %bb.2783:
	s_cmp_gt_i32 s16, 0
	s_mov_b32 s0, 0
	s_cbranch_scc0 .LBB151_2785
; %bb.2784:
	s_wait_loadcnt 0x0
	global_load_i8 v5, v[8:9], off
	s_wait_loadcnt 0x0
	v_cvt_f16_i16_e32 v5, v5
	s_branch .LBB151_2786
.LBB151_2785:
	s_mov_b32 s0, -1
                                        ; implicit-def: $vgpr5
.LBB151_2786:
	s_delay_alu instid0(SALU_CYCLE_1)
	s_and_not1_b32 vcc_lo, exec_lo, s0
	s_cbranch_vccnz .LBB151_2788
; %bb.2787:
	s_wait_loadcnt 0x0
	global_load_u8 v5, v[8:9], off
	s_wait_loadcnt 0x0
	v_cvt_f16_u16_e32 v5, v5
.LBB151_2788:
	v_mov_b32_e32 v7, 0
.LBB151_2789:
	s_mov_b32 s7, -1
.LBB151_2790:
	s_delay_alu instid0(SALU_CYCLE_1)
	s_and_not1_b32 vcc_lo, exec_lo, s7
	s_cbranch_vccnz .LBB151_2793
; %bb.2791:
	s_and_b32 vcc_lo, exec_lo, s13
	s_cbranch_vccz .LBB151_2839
; %bb.2792:
	s_wait_loadcnt 0x0
	v_cmp_neq_f16_e32 vcc_lo, v1, v5
	v_cmp_neq_f16_e64 s0, v3, v7
	s_or_b32 s6, vcc_lo, s0
	s_mov_b32 s0, 0
	s_branch .LBB151_2840
.LBB151_2793:
	s_mov_b32 s0, 0
	s_mov_b32 s3, 0
                                        ; implicit-def: $sgpr6
.LBB151_2794:
                                        ; implicit-def: $vgpr2_vgpr3
                                        ; implicit-def: $sgpr7
.LBB151_2795:
	s_and_not1_b32 s2, s10, exec_lo
	s_and_b32 s1, s1, exec_lo
	s_and_b32 s0, s0, exec_lo
	s_and_b32 s30, s3, exec_lo
	s_or_b32 s10, s2, s1
.LBB151_2796:
	s_wait_xcnt 0x0
	s_or_b32 exec_lo, exec_lo, s11
	s_and_saveexec_b32 s1, s10
	s_cbranch_execz .LBB151_2799
; %bb.2797:
	; divergent unreachable
	s_or_b32 exec_lo, exec_lo, s1
	s_and_saveexec_b32 s1, s30
	s_delay_alu instid0(SALU_CYCLE_1)
	s_xor_b32 s1, exec_lo, s1
	s_cbranch_execnz .LBB151_2800
.LBB151_2798:
	s_or_b32 exec_lo, exec_lo, s1
	s_and_saveexec_b32 s1, s0
	s_cbranch_execnz .LBB151_2801
	s_branch .LBB151_2838
.LBB151_2799:
	s_or_b32 exec_lo, exec_lo, s1
	s_and_saveexec_b32 s1, s30
	s_delay_alu instid0(SALU_CYCLE_1)
	s_xor_b32 s1, exec_lo, s1
	s_cbranch_execz .LBB151_2798
.LBB151_2800:
	v_cndmask_b32_e64 v0, 0, 1, s6
	s_wait_loadcnt 0x0
	global_store_b8 v[2:3], v0, off
	s_wait_xcnt 0x0
	s_or_b32 exec_lo, exec_lo, s1
	s_and_saveexec_b32 s1, s0
	s_cbranch_execz .LBB151_2838
.LBB151_2801:
	s_sext_i32_i16 s1, s7
	s_mov_b32 s0, -1
	s_cmp_lt_i32 s1, 5
	s_cbranch_scc1 .LBB151_2822
; %bb.2802:
	s_cmp_lt_i32 s1, 8
	s_cbranch_scc1 .LBB151_2812
; %bb.2803:
	s_cmp_lt_i32 s1, 9
	s_cbranch_scc1 .LBB151_2809
; %bb.2804:
	s_cmp_gt_i32 s1, 9
	s_cbranch_scc0 .LBB151_2806
; %bb.2805:
	v_cndmask_b32_e64 v0, 0, 1, s6
	s_wait_loadcnt 0x0
	v_mov_b32_e32 v6, 0
	s_mov_b32 s0, 0
	s_delay_alu instid0(VALU_DEP_2) | instskip(NEXT) | instid1(VALU_DEP_2)
	v_cvt_f64_u32_e32 v[4:5], v0
	v_mov_b32_e32 v7, v6
	global_store_b128 v[2:3], v[4:7], off
.LBB151_2806:
	s_and_not1_b32 vcc_lo, exec_lo, s0
	s_cbranch_vccnz .LBB151_2808
; %bb.2807:
	v_cndmask_b32_e64 v0, 0, 1.0, s6
	s_wait_loadcnt 0x0
	v_mov_b32_e32 v1, 0
	global_store_b64 v[2:3], v[0:1], off
.LBB151_2808:
	s_mov_b32 s0, 0
.LBB151_2809:
	s_delay_alu instid0(SALU_CYCLE_1)
	s_and_not1_b32 vcc_lo, exec_lo, s0
	s_cbranch_vccnz .LBB151_2811
; %bb.2810:
	s_wait_xcnt 0x0
	v_cndmask_b32_e64 v0, 0, 1.0, s6
	s_delay_alu instid0(VALU_DEP_1) | instskip(NEXT) | instid1(VALU_DEP_1)
	v_cvt_f16_f32_e32 v0, v0
	v_and_b32_e32 v0, 0xffff, v0
	s_wait_loadcnt 0x0
	global_store_b32 v[2:3], v0, off
.LBB151_2811:
	s_mov_b32 s0, 0
.LBB151_2812:
	s_delay_alu instid0(SALU_CYCLE_1)
	s_and_not1_b32 vcc_lo, exec_lo, s0
	s_cbranch_vccnz .LBB151_2821
; %bb.2813:
	s_sext_i32_i16 s1, s7
	s_mov_b32 s0, -1
	s_cmp_lt_i32 s1, 6
	s_cbranch_scc1 .LBB151_2819
; %bb.2814:
	s_cmp_gt_i32 s1, 6
	s_cbranch_scc0 .LBB151_2816
; %bb.2815:
	s_wait_xcnt 0x0
	v_cndmask_b32_e64 v0, 0, 1, s6
	s_mov_b32 s0, 0
	s_wait_loadcnt 0x0
	s_delay_alu instid0(VALU_DEP_1)
	v_cvt_f64_u32_e32 v[0:1], v0
	global_store_b64 v[2:3], v[0:1], off
.LBB151_2816:
	s_and_not1_b32 vcc_lo, exec_lo, s0
	s_cbranch_vccnz .LBB151_2818
; %bb.2817:
	s_wait_xcnt 0x0
	v_cndmask_b32_e64 v0, 0, 1.0, s6
	s_wait_loadcnt 0x0
	global_store_b32 v[2:3], v0, off
.LBB151_2818:
	s_mov_b32 s0, 0
.LBB151_2819:
	s_delay_alu instid0(SALU_CYCLE_1)
	s_and_not1_b32 vcc_lo, exec_lo, s0
	s_cbranch_vccnz .LBB151_2821
; %bb.2820:
	s_wait_xcnt 0x0
	v_cndmask_b32_e64 v0, 0, 1.0, s6
	s_delay_alu instid0(VALU_DEP_1)
	v_cvt_f16_f32_e32 v0, v0
	s_wait_loadcnt 0x0
	global_store_b16 v[2:3], v0, off
.LBB151_2821:
	s_mov_b32 s0, 0
.LBB151_2822:
	s_delay_alu instid0(SALU_CYCLE_1)
	s_and_not1_b32 vcc_lo, exec_lo, s0
	s_cbranch_vccnz .LBB151_2838
; %bb.2823:
	s_sext_i32_i16 s1, s7
	s_mov_b32 s0, -1
	s_cmp_lt_i32 s1, 2
	s_cbranch_scc1 .LBB151_2833
; %bb.2824:
	s_cmp_lt_i32 s1, 3
	s_cbranch_scc1 .LBB151_2830
; %bb.2825:
	s_cmp_gt_i32 s1, 3
	s_cbranch_scc0 .LBB151_2827
; %bb.2826:
	s_mov_b32 s0, 0
	s_wait_xcnt 0x0
	v_cndmask_b32_e64 v0, 0, 1, s6
	s_wait_loadcnt 0x0
	v_mov_b32_e32 v1, s0
	global_store_b64 v[2:3], v[0:1], off
.LBB151_2827:
	s_and_not1_b32 vcc_lo, exec_lo, s0
	s_cbranch_vccnz .LBB151_2829
; %bb.2828:
	s_wait_xcnt 0x0
	v_cndmask_b32_e64 v0, 0, 1, s6
	s_wait_loadcnt 0x0
	global_store_b32 v[2:3], v0, off
.LBB151_2829:
	s_mov_b32 s0, 0
.LBB151_2830:
	s_delay_alu instid0(SALU_CYCLE_1)
	s_and_not1_b32 vcc_lo, exec_lo, s0
	s_cbranch_vccnz .LBB151_2832
; %bb.2831:
	s_wait_xcnt 0x0
	v_cndmask_b32_e64 v0, 0, 1, s6
	s_wait_loadcnt 0x0
	global_store_b16 v[2:3], v0, off
.LBB151_2832:
	s_mov_b32 s0, 0
.LBB151_2833:
	s_delay_alu instid0(SALU_CYCLE_1)
	s_and_not1_b32 vcc_lo, exec_lo, s0
	s_cbranch_vccnz .LBB151_2838
; %bb.2834:
	s_sext_i32_i16 s0, s7
	s_delay_alu instid0(SALU_CYCLE_1)
	s_cmp_gt_i32 s0, 0
	s_mov_b32 s0, -1
	s_cbranch_scc0 .LBB151_2836
; %bb.2835:
	s_wait_xcnt 0x0
	v_cndmask_b32_e64 v0, 0, 1, s6
	s_mov_b32 s0, 0
	s_wait_loadcnt 0x0
	global_store_b8 v[2:3], v0, off
.LBB151_2836:
	s_and_not1_b32 vcc_lo, exec_lo, s0
	s_cbranch_vccnz .LBB151_2838
; %bb.2837:
	s_wait_xcnt 0x0
	v_cndmask_b32_e64 v0, 0, 1, s6
	s_wait_loadcnt 0x0
	global_store_b8 v[2:3], v0, off
	s_endpgm
.LBB151_2838:
	s_endpgm
.LBB151_2839:
	s_mov_b32 s0, -1
                                        ; implicit-def: $sgpr6
.LBB151_2840:
	s_delay_alu instid0(SALU_CYCLE_1)
	s_and_not1_b32 vcc_lo, exec_lo, s0
	s_cbranch_vccnz .LBB151_2842
; %bb.2841:
	s_wait_loadcnt 0x0
	v_cmp_eq_f16_e32 vcc_lo, v1, v5
	v_cmp_eq_f16_e64 s0, v3, v7
	s_and_not1_b32 s6, s6, exec_lo
	s_and_b32 s0, vcc_lo, s0
	s_delay_alu instid0(SALU_CYCLE_1) | instskip(NEXT) | instid1(SALU_CYCLE_1)
	s_and_b32 s0, s0, exec_lo
	s_or_b32 s6, s6, s0
.LBB151_2842:
	s_load_b32 s0, s[2:3], 0x1a4
	v_mov_b32_e32 v7, 0
	s_delay_alu instid0(VALU_DEP_1) | instskip(SKIP_2) | instid1(SALU_CYCLE_1)
	v_add_nc_u64_e32 v[6:7], s[4:5], v[6:7]
	s_wait_kmcnt 0x0
	s_and_b32 s7, s0, 0xff
	s_cmp_lt_i32 s7, 11
	s_cbranch_scc1 .LBB151_2920
; %bb.2843:
	s_and_b32 s2, 0xffff, s7
	s_mov_b32 s9, -1
	s_mov_b32 s3, 0
	s_cmp_gt_i32 s2, 25
	s_mov_b32 s8, 0
	s_mov_b32 s0, 0
	s_cbranch_scc0 .LBB151_2876
; %bb.2844:
	s_cmp_gt_i32 s2, 28
	s_cbranch_scc0 .LBB151_2859
; %bb.2845:
	s_cmp_gt_i32 s2, 43
	;; [unrolled: 3-line block ×3, first 2 shown]
	s_cbranch_scc0 .LBB151_2849
; %bb.2847:
	s_mov_b32 s0, -1
	s_mov_b32 s9, 0
	s_cmp_eq_u32 s2, 46
	s_cbranch_scc0 .LBB151_2849
; %bb.2848:
	s_wait_loadcnt 0x0
	v_cndmask_b32_e64 v1, 0, 1.0, s12
	s_mov_b32 s0, 0
	s_mov_b32 s8, -1
	s_delay_alu instid0(VALU_DEP_1) | instskip(NEXT) | instid1(VALU_DEP_1)
	v_bfe_u32 v3, v1, 16, 1
	v_add3_u32 v1, v1, v3, 0x7fff
	s_delay_alu instid0(VALU_DEP_1)
	v_lshrrev_b32_e32 v1, 16, v1
	global_store_b32 v[6:7], v1, off
.LBB151_2849:
	s_and_b32 vcc_lo, exec_lo, s9
	s_cbranch_vccz .LBB151_2854
; %bb.2850:
	s_cmp_eq_u32 s2, 44
	s_mov_b32 s0, -1
	s_cbranch_scc0 .LBB151_2854
; %bb.2851:
	s_wait_loadcnt 0x0
	v_cndmask_b32_e64 v5, 0, 1.0, s12
	v_mov_b32_e32 v3, 0xff
	s_mov_b32 s8, exec_lo
	s_wait_xcnt 0x0
	s_delay_alu instid0(VALU_DEP_2) | instskip(NEXT) | instid1(VALU_DEP_1)
	v_lshrrev_b32_e32 v1, 23, v5
	v_cmpx_ne_u32_e32 0xff, v1
; %bb.2852:
	v_and_b32_e32 v3, 0x400000, v5
	v_and_or_b32 v5, 0x3fffff, v5, v1
	s_delay_alu instid0(VALU_DEP_2) | instskip(NEXT) | instid1(VALU_DEP_2)
	v_cmp_ne_u32_e32 vcc_lo, 0, v3
	v_cmp_ne_u32_e64 s0, 0, v5
	s_and_b32 s0, vcc_lo, s0
	s_delay_alu instid0(SALU_CYCLE_1) | instskip(NEXT) | instid1(VALU_DEP_1)
	v_cndmask_b32_e64 v3, 0, 1, s0
	v_add_nc_u32_e32 v3, v1, v3
; %bb.2853:
	s_or_b32 exec_lo, exec_lo, s8
	s_mov_b32 s0, 0
	s_mov_b32 s8, -1
	global_store_b8 v[6:7], v3, off
.LBB151_2854:
	s_mov_b32 s9, 0
.LBB151_2855:
	s_delay_alu instid0(SALU_CYCLE_1)
	s_and_b32 vcc_lo, exec_lo, s9
	s_cbranch_vccz .LBB151_2858
; %bb.2856:
	s_cmp_eq_u32 s2, 29
	s_mov_b32 s0, -1
	s_cbranch_scc0 .LBB151_2858
; %bb.2857:
	s_mov_b32 s0, 0
	v_cndmask_b32_e64 v8, 0, 1, s12
	v_mov_b32_e32 v9, s0
	s_mov_b32 s8, -1
	global_store_b64 v[6:7], v[8:9], off
.LBB151_2858:
	s_mov_b32 s9, 0
.LBB151_2859:
	s_delay_alu instid0(SALU_CYCLE_1)
	s_and_b32 vcc_lo, exec_lo, s9
	s_cbranch_vccz .LBB151_2875
; %bb.2860:
	s_cmp_lt_i32 s2, 27
	s_mov_b32 s8, -1
	s_cbranch_scc1 .LBB151_2866
; %bb.2861:
	s_cmp_gt_i32 s2, 27
	s_cbranch_scc0 .LBB151_2863
; %bb.2862:
	s_wait_loadcnt 0x0
	v_cndmask_b32_e64 v1, 0, 1, s12
	s_mov_b32 s8, 0
	global_store_b32 v[6:7], v1, off
.LBB151_2863:
	s_and_not1_b32 vcc_lo, exec_lo, s8
	s_cbranch_vccnz .LBB151_2865
; %bb.2864:
	s_wait_loadcnt 0x0
	v_cndmask_b32_e64 v1, 0, 1, s12
	global_store_b16 v[6:7], v1, off
.LBB151_2865:
	s_mov_b32 s8, 0
.LBB151_2866:
	s_delay_alu instid0(SALU_CYCLE_1)
	s_and_not1_b32 vcc_lo, exec_lo, s8
	s_cbranch_vccnz .LBB151_2874
; %bb.2867:
	s_wait_xcnt 0x0
	v_cndmask_b32_e64 v3, 0, 1.0, s12
	s_wait_loadcnt 0x0
	v_mov_b32_e32 v5, 0x80
	s_mov_b32 s8, exec_lo
	s_delay_alu instid0(VALU_DEP_2)
	v_cmpx_gt_u32_e32 0x43800000, v3
	s_cbranch_execz .LBB151_2873
; %bb.2868:
	s_mov_b32 s9, 0
	s_mov_b32 s13, exec_lo
                                        ; implicit-def: $vgpr1
	v_cmpx_lt_u32_e32 0x3bffffff, v3
	s_xor_b32 s13, exec_lo, s13
	s_cbranch_execz .LBB151_3277
; %bb.2869:
	v_bfe_u32 v1, v3, 20, 1
	s_mov_b32 s9, exec_lo
	s_delay_alu instid0(VALU_DEP_1) | instskip(NEXT) | instid1(VALU_DEP_1)
	v_add3_u32 v1, v3, v1, 0x487ffff
                                        ; implicit-def: $vgpr3
	v_lshrrev_b32_e32 v1, 20, v1
	s_and_not1_saveexec_b32 s13, s13
	s_cbranch_execnz .LBB151_3278
.LBB151_2870:
	s_or_b32 exec_lo, exec_lo, s13
	v_mov_b32_e32 v5, 0
	s_and_saveexec_b32 s13, s9
.LBB151_2871:
	v_mov_b32_e32 v5, v1
.LBB151_2872:
	s_or_b32 exec_lo, exec_lo, s13
.LBB151_2873:
	s_delay_alu instid0(SALU_CYCLE_1)
	s_or_b32 exec_lo, exec_lo, s8
	global_store_b8 v[6:7], v5, off
.LBB151_2874:
	s_mov_b32 s8, -1
.LBB151_2875:
	s_mov_b32 s9, 0
.LBB151_2876:
	s_delay_alu instid0(SALU_CYCLE_1)
	s_and_b32 vcc_lo, exec_lo, s9
	s_cbranch_vccz .LBB151_2916
; %bb.2877:
	s_cmp_gt_i32 s2, 22
	s_mov_b32 s3, -1
	s_cbranch_scc0 .LBB151_2909
; %bb.2878:
	s_cmp_lt_i32 s2, 24
	s_cbranch_scc1 .LBB151_2898
; %bb.2879:
	s_cmp_gt_i32 s2, 24
	s_cbranch_scc0 .LBB151_2887
; %bb.2880:
	s_wait_xcnt 0x0
	v_cndmask_b32_e64 v3, 0, 1.0, s12
	s_wait_loadcnt 0x0
	v_mov_b32_e32 v5, 0x80
	s_mov_b32 s3, exec_lo
	s_delay_alu instid0(VALU_DEP_2)
	v_cmpx_gt_u32_e32 0x47800000, v3
	s_cbranch_execz .LBB151_2886
; %bb.2881:
	s_mov_b32 s8, 0
	s_mov_b32 s9, exec_lo
                                        ; implicit-def: $vgpr1
	v_cmpx_lt_u32_e32 0x37ffffff, v3
	s_xor_b32 s9, exec_lo, s9
	s_cbranch_execz .LBB151_3280
; %bb.2882:
	v_bfe_u32 v1, v3, 21, 1
	s_mov_b32 s8, exec_lo
	s_delay_alu instid0(VALU_DEP_1) | instskip(NEXT) | instid1(VALU_DEP_1)
	v_add3_u32 v1, v3, v1, 0x88fffff
                                        ; implicit-def: $vgpr3
	v_lshrrev_b32_e32 v1, 21, v1
	s_and_not1_saveexec_b32 s9, s9
	s_cbranch_execnz .LBB151_3281
.LBB151_2883:
	s_or_b32 exec_lo, exec_lo, s9
	v_mov_b32_e32 v5, 0
	s_and_saveexec_b32 s9, s8
.LBB151_2884:
	v_mov_b32_e32 v5, v1
.LBB151_2885:
	s_or_b32 exec_lo, exec_lo, s9
.LBB151_2886:
	s_delay_alu instid0(SALU_CYCLE_1)
	s_or_b32 exec_lo, exec_lo, s3
	s_mov_b32 s3, 0
	global_store_b8 v[6:7], v5, off
.LBB151_2887:
	s_and_b32 vcc_lo, exec_lo, s3
	s_cbranch_vccz .LBB151_2897
; %bb.2888:
	s_wait_xcnt 0x0
	v_cndmask_b32_e64 v3, 0, 1.0, s12
	s_mov_b32 s3, exec_lo
                                        ; implicit-def: $vgpr1
	s_delay_alu instid0(VALU_DEP_1)
	v_cmpx_gt_u32_e32 0x43f00000, v3
	s_xor_b32 s3, exec_lo, s3
	s_cbranch_execz .LBB151_2894
; %bb.2889:
	s_mov_b32 s8, exec_lo
                                        ; implicit-def: $vgpr1
	v_cmpx_lt_u32_e32 0x3c7fffff, v3
	s_xor_b32 s8, exec_lo, s8
	s_cbranch_execz .LBB151_2891
; %bb.2890:
	s_wait_loadcnt 0x0
	v_bfe_u32 v1, v3, 20, 1
	s_delay_alu instid0(VALU_DEP_1) | instskip(NEXT) | instid1(VALU_DEP_1)
	v_add3_u32 v1, v3, v1, 0x407ffff
	v_and_b32_e32 v3, 0xff00000, v1
	v_lshrrev_b32_e32 v1, 20, v1
	s_delay_alu instid0(VALU_DEP_2) | instskip(NEXT) | instid1(VALU_DEP_2)
	v_cmp_ne_u32_e32 vcc_lo, 0x7f00000, v3
                                        ; implicit-def: $vgpr3
	v_cndmask_b32_e32 v1, 0x7e, v1, vcc_lo
.LBB151_2891:
	s_and_not1_saveexec_b32 s8, s8
	s_cbranch_execz .LBB151_2893
; %bb.2892:
	s_wait_loadcnt 0x0
	v_add_f32_e32 v1, 0x46800000, v3
.LBB151_2893:
	s_or_b32 exec_lo, exec_lo, s8
                                        ; implicit-def: $vgpr3
.LBB151_2894:
	s_and_not1_saveexec_b32 s3, s3
	s_cbranch_execz .LBB151_2896
; %bb.2895:
	s_wait_loadcnt 0x0
	v_mov_b32_e32 v1, 0x7f
	v_cmp_lt_u32_e32 vcc_lo, 0x7f800000, v3
	s_delay_alu instid0(VALU_DEP_2)
	v_cndmask_b32_e32 v1, 0x7e, v1, vcc_lo
.LBB151_2896:
	s_or_b32 exec_lo, exec_lo, s3
	s_wait_loadcnt 0x0
	global_store_b8 v[6:7], v1, off
.LBB151_2897:
	s_mov_b32 s3, 0
.LBB151_2898:
	s_delay_alu instid0(SALU_CYCLE_1)
	s_and_not1_b32 vcc_lo, exec_lo, s3
	s_cbranch_vccnz .LBB151_2908
; %bb.2899:
	s_wait_xcnt 0x0
	v_cndmask_b32_e64 v3, 0, 1.0, s12
	s_mov_b32 s3, exec_lo
                                        ; implicit-def: $vgpr1
	s_delay_alu instid0(VALU_DEP_1)
	v_cmpx_gt_u32_e32 0x47800000, v3
	s_xor_b32 s3, exec_lo, s3
	s_cbranch_execz .LBB151_2905
; %bb.2900:
	s_mov_b32 s8, exec_lo
                                        ; implicit-def: $vgpr1
	v_cmpx_lt_u32_e32 0x387fffff, v3
	s_xor_b32 s8, exec_lo, s8
	s_cbranch_execz .LBB151_2902
; %bb.2901:
	s_wait_loadcnt 0x0
	v_bfe_u32 v1, v3, 21, 1
	s_delay_alu instid0(VALU_DEP_1) | instskip(NEXT) | instid1(VALU_DEP_1)
	v_add3_u32 v1, v3, v1, 0x80fffff
                                        ; implicit-def: $vgpr3
	v_lshrrev_b32_e32 v1, 21, v1
.LBB151_2902:
	s_and_not1_saveexec_b32 s8, s8
	s_cbranch_execz .LBB151_2904
; %bb.2903:
	s_wait_loadcnt 0x0
	v_add_f32_e32 v1, 0x43000000, v3
.LBB151_2904:
	s_or_b32 exec_lo, exec_lo, s8
                                        ; implicit-def: $vgpr3
.LBB151_2905:
	s_and_not1_saveexec_b32 s3, s3
	s_cbranch_execz .LBB151_2907
; %bb.2906:
	s_wait_loadcnt 0x0
	v_mov_b32_e32 v1, 0x7f
	v_cmp_lt_u32_e32 vcc_lo, 0x7f800000, v3
	s_delay_alu instid0(VALU_DEP_2)
	v_cndmask_b32_e32 v1, 0x7c, v1, vcc_lo
.LBB151_2907:
	s_or_b32 exec_lo, exec_lo, s3
	s_wait_loadcnt 0x0
	global_store_b8 v[6:7], v1, off
.LBB151_2908:
	s_mov_b32 s3, 0
	s_mov_b32 s8, -1
.LBB151_2909:
	s_and_not1_b32 vcc_lo, exec_lo, s3
	s_mov_b32 s3, 0
	s_cbranch_vccnz .LBB151_2916
; %bb.2910:
	s_cmp_gt_i32 s2, 14
	s_mov_b32 s3, -1
	s_cbranch_scc0 .LBB151_2914
; %bb.2911:
	s_cmp_eq_u32 s2, 15
	s_mov_b32 s0, -1
	s_cbranch_scc0 .LBB151_2913
; %bb.2912:
	s_wait_loadcnt 0x0
	v_cndmask_b32_e64 v1, 0, 1.0, s12
	s_mov_b32 s0, 0
	s_mov_b32 s8, -1
	s_delay_alu instid0(VALU_DEP_1) | instskip(NEXT) | instid1(VALU_DEP_1)
	v_bfe_u32 v3, v1, 16, 1
	v_add3_u32 v1, v1, v3, 0x7fff
	global_store_d16_hi_b16 v[6:7], v1, off
.LBB151_2913:
	s_mov_b32 s3, 0
.LBB151_2914:
	s_delay_alu instid0(SALU_CYCLE_1)
	s_and_b32 vcc_lo, exec_lo, s3
	s_mov_b32 s3, 0
	s_cbranch_vccz .LBB151_2916
; %bb.2915:
	s_cmp_lg_u32 s2, 11
	s_mov_b32 s3, -1
	s_cselect_b32 s0, -1, 0
.LBB151_2916:
	s_delay_alu instid0(SALU_CYCLE_1)
	s_and_b32 vcc_lo, exec_lo, s0
	s_cbranch_vccnz .LBB151_3279
; %bb.2917:
	s_and_not1_b32 vcc_lo, exec_lo, s3
	s_cbranch_vccnz .LBB151_2919
.LBB151_2918:
	s_wait_loadcnt 0x0
	v_cndmask_b32_e64 v1, 0, 1, s12
	s_mov_b32 s8, -1
	global_store_b8 v[6:7], v1, off
.LBB151_2919:
	s_mov_b32 s0, 0
	s_branch .LBB151_2921
.LBB151_2920:
	s_mov_b32 s0, -1
	s_mov_b32 s8, 0
.LBB151_2921:
	s_and_b32 vcc_lo, exec_lo, s0
	s_cbranch_vccz .LBB151_2960
; %bb.2922:
	s_and_b32 s0, 0xffff, s7
	s_mov_b32 s2, -1
	s_cmp_lt_i32 s0, 5
	s_cbranch_scc1 .LBB151_2943
; %bb.2923:
	s_cmp_lt_i32 s0, 8
	s_cbranch_scc1 .LBB151_2933
; %bb.2924:
	;; [unrolled: 3-line block ×3, first 2 shown]
	s_cmp_gt_i32 s0, 9
	s_cbranch_scc0 .LBB151_2927
; %bb.2926:
	s_wait_loadcnt 0x0
	v_cndmask_b32_e64 v1, 0, 1, s12
	v_mov_b32_e32 v10, 0
	s_mov_b32 s2, 0
	s_delay_alu instid0(VALU_DEP_2) | instskip(NEXT) | instid1(VALU_DEP_2)
	v_cvt_f64_u32_e32 v[8:9], v1
	v_mov_b32_e32 v11, v10
	global_store_b128 v[6:7], v[8:11], off
.LBB151_2927:
	s_and_not1_b32 vcc_lo, exec_lo, s2
	s_cbranch_vccnz .LBB151_2929
; %bb.2928:
	s_wait_xcnt 0x0
	v_cndmask_b32_e64 v8, 0, 1.0, s12
	v_mov_b32_e32 v9, 0
	global_store_b64 v[6:7], v[8:9], off
.LBB151_2929:
	s_mov_b32 s2, 0
.LBB151_2930:
	s_delay_alu instid0(SALU_CYCLE_1)
	s_and_not1_b32 vcc_lo, exec_lo, s2
	s_cbranch_vccnz .LBB151_2932
; %bb.2931:
	s_wait_loadcnt 0x0
	v_cndmask_b32_e64 v1, 0, 1.0, s12
	s_delay_alu instid0(VALU_DEP_1) | instskip(NEXT) | instid1(VALU_DEP_1)
	v_cvt_f16_f32_e32 v1, v1
	v_and_b32_e32 v1, 0xffff, v1
	global_store_b32 v[6:7], v1, off
.LBB151_2932:
	s_mov_b32 s2, 0
.LBB151_2933:
	s_delay_alu instid0(SALU_CYCLE_1)
	s_and_not1_b32 vcc_lo, exec_lo, s2
	s_cbranch_vccnz .LBB151_2942
; %bb.2934:
	s_cmp_lt_i32 s0, 6
	s_mov_b32 s2, -1
	s_cbranch_scc1 .LBB151_2940
; %bb.2935:
	s_cmp_gt_i32 s0, 6
	s_cbranch_scc0 .LBB151_2937
; %bb.2936:
	s_wait_loadcnt 0x0
	v_cndmask_b32_e64 v1, 0, 1, s12
	s_mov_b32 s2, 0
	s_delay_alu instid0(VALU_DEP_1)
	v_cvt_f64_u32_e32 v[8:9], v1
	global_store_b64 v[6:7], v[8:9], off
.LBB151_2937:
	s_and_not1_b32 vcc_lo, exec_lo, s2
	s_cbranch_vccnz .LBB151_2939
; %bb.2938:
	s_wait_loadcnt 0x0
	v_cndmask_b32_e64 v1, 0, 1.0, s12
	global_store_b32 v[6:7], v1, off
.LBB151_2939:
	s_mov_b32 s2, 0
.LBB151_2940:
	s_delay_alu instid0(SALU_CYCLE_1)
	s_and_not1_b32 vcc_lo, exec_lo, s2
	s_cbranch_vccnz .LBB151_2942
; %bb.2941:
	s_wait_loadcnt 0x0
	v_cndmask_b32_e64 v1, 0, 1.0, s12
	s_delay_alu instid0(VALU_DEP_1)
	v_cvt_f16_f32_e32 v1, v1
	global_store_b16 v[6:7], v1, off
.LBB151_2942:
	s_mov_b32 s2, 0
.LBB151_2943:
	s_delay_alu instid0(SALU_CYCLE_1)
	s_and_not1_b32 vcc_lo, exec_lo, s2
	s_cbranch_vccnz .LBB151_2959
; %bb.2944:
	s_cmp_lt_i32 s0, 2
	s_mov_b32 s2, -1
	s_cbranch_scc1 .LBB151_2954
; %bb.2945:
	s_cmp_lt_i32 s0, 3
	s_cbranch_scc1 .LBB151_2951
; %bb.2946:
	s_cmp_gt_i32 s0, 3
	s_cbranch_scc0 .LBB151_2948
; %bb.2947:
	s_mov_b32 s2, 0
	s_wait_xcnt 0x0
	v_cndmask_b32_e64 v8, 0, 1, s12
	v_mov_b32_e32 v9, s2
	global_store_b64 v[6:7], v[8:9], off
.LBB151_2948:
	s_and_not1_b32 vcc_lo, exec_lo, s2
	s_cbranch_vccnz .LBB151_2950
; %bb.2949:
	s_wait_loadcnt 0x0
	v_cndmask_b32_e64 v1, 0, 1, s12
	global_store_b32 v[6:7], v1, off
.LBB151_2950:
	s_mov_b32 s2, 0
.LBB151_2951:
	s_delay_alu instid0(SALU_CYCLE_1)
	s_and_not1_b32 vcc_lo, exec_lo, s2
	s_cbranch_vccnz .LBB151_2953
; %bb.2952:
	s_wait_loadcnt 0x0
	v_cndmask_b32_e64 v1, 0, 1, s12
	global_store_b16 v[6:7], v1, off
.LBB151_2953:
	s_mov_b32 s2, 0
.LBB151_2954:
	s_delay_alu instid0(SALU_CYCLE_1)
	s_and_not1_b32 vcc_lo, exec_lo, s2
	s_cbranch_vccnz .LBB151_2959
; %bb.2955:
	s_wait_loadcnt 0x0
	v_cndmask_b32_e64 v1, 0, 1, s12
	s_cmp_gt_i32 s0, 0
	s_mov_b32 s0, -1
	s_cbranch_scc0 .LBB151_2957
; %bb.2956:
	s_mov_b32 s0, 0
	global_store_b8 v[6:7], v1, off
.LBB151_2957:
	s_and_not1_b32 vcc_lo, exec_lo, s0
	s_cbranch_vccnz .LBB151_2959
; %bb.2958:
	global_store_b8 v[6:7], v1, off
.LBB151_2959:
	s_mov_b32 s8, -1
.LBB151_2960:
	s_delay_alu instid0(SALU_CYCLE_1)
	s_and_not1_b32 vcc_lo, exec_lo, s8
	s_cbranch_vccnz .LBB151_3275
; %bb.2961:
	s_wait_loadcnt 0x0
	v_mov_b32_e32 v5, 0
	s_and_b32 s2, 0xffff, s7
	s_delay_alu instid0(SALU_CYCLE_1) | instskip(NEXT) | instid1(VALU_DEP_1)
	s_cmp_lt_i32 s2, 11
	v_add_nc_u64_e32 v[4:5], s[4:5], v[4:5]
	s_cbranch_scc1 .LBB151_3039
; %bb.2962:
	s_mov_b32 s9, -1
	s_mov_b32 s3, 0
	s_cmp_gt_i32 s2, 25
	s_mov_b32 s8, 0
	s_mov_b32 s0, 0
	s_cbranch_scc0 .LBB151_2995
; %bb.2963:
	s_cmp_gt_i32 s2, 28
	s_cbranch_scc0 .LBB151_2978
; %bb.2964:
	s_cmp_gt_i32 s2, 43
	;; [unrolled: 3-line block ×3, first 2 shown]
	s_cbranch_scc0 .LBB151_2968
; %bb.2966:
	s_mov_b32 s0, -1
	s_mov_b32 s9, 0
	s_cmp_eq_u32 s2, 46
	s_cbranch_scc0 .LBB151_2968
; %bb.2967:
	v_cndmask_b32_e64 v1, 0, 1.0, s14
	s_mov_b32 s0, 0
	s_mov_b32 s8, -1
	s_delay_alu instid0(VALU_DEP_1) | instskip(NEXT) | instid1(VALU_DEP_1)
	v_bfe_u32 v3, v1, 16, 1
	v_add3_u32 v1, v1, v3, 0x7fff
	s_delay_alu instid0(VALU_DEP_1)
	v_lshrrev_b32_e32 v1, 16, v1
	global_store_b32 v[4:5], v1, off
.LBB151_2968:
	s_and_b32 vcc_lo, exec_lo, s9
	s_cbranch_vccz .LBB151_2973
; %bb.2969:
	s_cmp_eq_u32 s2, 44
	s_mov_b32 s0, -1
	s_cbranch_scc0 .LBB151_2973
; %bb.2970:
	v_cndmask_b32_e64 v6, 0, 1.0, s14
	v_mov_b32_e32 v3, 0xff
	s_mov_b32 s8, exec_lo
	s_wait_xcnt 0x0
	s_delay_alu instid0(VALU_DEP_2) | instskip(NEXT) | instid1(VALU_DEP_1)
	v_lshrrev_b32_e32 v1, 23, v6
	v_cmpx_ne_u32_e32 0xff, v1
; %bb.2971:
	v_and_b32_e32 v3, 0x400000, v6
	v_and_or_b32 v6, 0x3fffff, v6, v1
	s_delay_alu instid0(VALU_DEP_2) | instskip(NEXT) | instid1(VALU_DEP_2)
	v_cmp_ne_u32_e32 vcc_lo, 0, v3
	v_cmp_ne_u32_e64 s0, 0, v6
	s_and_b32 s0, vcc_lo, s0
	s_delay_alu instid0(SALU_CYCLE_1) | instskip(NEXT) | instid1(VALU_DEP_1)
	v_cndmask_b32_e64 v3, 0, 1, s0
	v_add_nc_u32_e32 v3, v1, v3
; %bb.2972:
	s_or_b32 exec_lo, exec_lo, s8
	s_mov_b32 s0, 0
	s_mov_b32 s8, -1
	global_store_b8 v[4:5], v3, off
.LBB151_2973:
	s_mov_b32 s9, 0
.LBB151_2974:
	s_delay_alu instid0(SALU_CYCLE_1)
	s_and_b32 vcc_lo, exec_lo, s9
	s_cbranch_vccz .LBB151_2977
; %bb.2975:
	s_cmp_eq_u32 s2, 29
	s_mov_b32 s0, -1
	s_cbranch_scc0 .LBB151_2977
; %bb.2976:
	s_mov_b32 s0, 0
	v_cndmask_b32_e64 v6, 0, 1, s14
	v_mov_b32_e32 v7, s0
	s_mov_b32 s8, -1
	global_store_b64 v[4:5], v[6:7], off
.LBB151_2977:
	s_mov_b32 s9, 0
.LBB151_2978:
	s_delay_alu instid0(SALU_CYCLE_1)
	s_and_b32 vcc_lo, exec_lo, s9
	s_cbranch_vccz .LBB151_2994
; %bb.2979:
	s_cmp_lt_i32 s2, 27
	s_mov_b32 s8, -1
	s_cbranch_scc1 .LBB151_2985
; %bb.2980:
	s_cmp_gt_i32 s2, 27
	s_cbranch_scc0 .LBB151_2982
; %bb.2981:
	s_wait_xcnt 0x0
	v_cndmask_b32_e64 v1, 0, 1, s14
	s_mov_b32 s8, 0
	global_store_b32 v[4:5], v1, off
.LBB151_2982:
	s_and_not1_b32 vcc_lo, exec_lo, s8
	s_cbranch_vccnz .LBB151_2984
; %bb.2983:
	s_wait_xcnt 0x0
	v_cndmask_b32_e64 v1, 0, 1, s14
	global_store_b16 v[4:5], v1, off
.LBB151_2984:
	s_mov_b32 s8, 0
.LBB151_2985:
	s_delay_alu instid0(SALU_CYCLE_1)
	s_and_not1_b32 vcc_lo, exec_lo, s8
	s_cbranch_vccnz .LBB151_2993
; %bb.2986:
	s_wait_xcnt 0x0
	v_cndmask_b32_e64 v3, 0, 1.0, s14
	v_mov_b32_e32 v6, 0x80
	s_mov_b32 s8, exec_lo
	s_delay_alu instid0(VALU_DEP_2)
	v_cmpx_gt_u32_e32 0x43800000, v3
	s_cbranch_execz .LBB151_2992
; %bb.2987:
	s_mov_b32 s9, 0
	s_mov_b32 s12, exec_lo
                                        ; implicit-def: $vgpr1
	v_cmpx_lt_u32_e32 0x3bffffff, v3
	s_xor_b32 s12, exec_lo, s12
	s_cbranch_execz .LBB151_3282
; %bb.2988:
	v_bfe_u32 v1, v3, 20, 1
	s_mov_b32 s9, exec_lo
	s_delay_alu instid0(VALU_DEP_1) | instskip(NEXT) | instid1(VALU_DEP_1)
	v_add3_u32 v1, v3, v1, 0x487ffff
                                        ; implicit-def: $vgpr3
	v_lshrrev_b32_e32 v1, 20, v1
	s_and_not1_saveexec_b32 s12, s12
	s_cbranch_execnz .LBB151_3283
.LBB151_2989:
	s_or_b32 exec_lo, exec_lo, s12
	v_mov_b32_e32 v6, 0
	s_and_saveexec_b32 s12, s9
.LBB151_2990:
	v_mov_b32_e32 v6, v1
.LBB151_2991:
	s_or_b32 exec_lo, exec_lo, s12
.LBB151_2992:
	s_delay_alu instid0(SALU_CYCLE_1)
	s_or_b32 exec_lo, exec_lo, s8
	global_store_b8 v[4:5], v6, off
.LBB151_2993:
	s_mov_b32 s8, -1
.LBB151_2994:
	s_mov_b32 s9, 0
.LBB151_2995:
	s_delay_alu instid0(SALU_CYCLE_1)
	s_and_b32 vcc_lo, exec_lo, s9
	s_cbranch_vccz .LBB151_3035
; %bb.2996:
	s_cmp_gt_i32 s2, 22
	s_mov_b32 s3, -1
	s_cbranch_scc0 .LBB151_3028
; %bb.2997:
	s_cmp_lt_i32 s2, 24
	s_cbranch_scc1 .LBB151_3017
; %bb.2998:
	s_cmp_gt_i32 s2, 24
	s_cbranch_scc0 .LBB151_3006
; %bb.2999:
	s_wait_xcnt 0x0
	v_cndmask_b32_e64 v3, 0, 1.0, s14
	v_mov_b32_e32 v6, 0x80
	s_mov_b32 s3, exec_lo
	s_delay_alu instid0(VALU_DEP_2)
	v_cmpx_gt_u32_e32 0x47800000, v3
	s_cbranch_execz .LBB151_3005
; %bb.3000:
	s_mov_b32 s8, 0
	s_mov_b32 s9, exec_lo
                                        ; implicit-def: $vgpr1
	v_cmpx_lt_u32_e32 0x37ffffff, v3
	s_xor_b32 s9, exec_lo, s9
	s_cbranch_execz .LBB151_3285
; %bb.3001:
	v_bfe_u32 v1, v3, 21, 1
	s_mov_b32 s8, exec_lo
	s_delay_alu instid0(VALU_DEP_1) | instskip(NEXT) | instid1(VALU_DEP_1)
	v_add3_u32 v1, v3, v1, 0x88fffff
                                        ; implicit-def: $vgpr3
	v_lshrrev_b32_e32 v1, 21, v1
	s_and_not1_saveexec_b32 s9, s9
	s_cbranch_execnz .LBB151_3286
.LBB151_3002:
	s_or_b32 exec_lo, exec_lo, s9
	v_mov_b32_e32 v6, 0
	s_and_saveexec_b32 s9, s8
.LBB151_3003:
	v_mov_b32_e32 v6, v1
.LBB151_3004:
	s_or_b32 exec_lo, exec_lo, s9
.LBB151_3005:
	s_delay_alu instid0(SALU_CYCLE_1)
	s_or_b32 exec_lo, exec_lo, s3
	s_mov_b32 s3, 0
	global_store_b8 v[4:5], v6, off
.LBB151_3006:
	s_and_b32 vcc_lo, exec_lo, s3
	s_cbranch_vccz .LBB151_3016
; %bb.3007:
	s_wait_xcnt 0x0
	v_cndmask_b32_e64 v3, 0, 1.0, s14
	s_mov_b32 s3, exec_lo
                                        ; implicit-def: $vgpr1
	s_delay_alu instid0(VALU_DEP_1)
	v_cmpx_gt_u32_e32 0x43f00000, v3
	s_xor_b32 s3, exec_lo, s3
	s_cbranch_execz .LBB151_3013
; %bb.3008:
	s_mov_b32 s8, exec_lo
                                        ; implicit-def: $vgpr1
	v_cmpx_lt_u32_e32 0x3c7fffff, v3
	s_xor_b32 s8, exec_lo, s8
; %bb.3009:
	v_bfe_u32 v1, v3, 20, 1
	s_delay_alu instid0(VALU_DEP_1) | instskip(NEXT) | instid1(VALU_DEP_1)
	v_add3_u32 v1, v3, v1, 0x407ffff
	v_and_b32_e32 v3, 0xff00000, v1
	v_lshrrev_b32_e32 v1, 20, v1
	s_delay_alu instid0(VALU_DEP_2) | instskip(NEXT) | instid1(VALU_DEP_2)
	v_cmp_ne_u32_e32 vcc_lo, 0x7f00000, v3
                                        ; implicit-def: $vgpr3
	v_cndmask_b32_e32 v1, 0x7e, v1, vcc_lo
; %bb.3010:
	s_and_not1_saveexec_b32 s8, s8
; %bb.3011:
	v_add_f32_e32 v1, 0x46800000, v3
; %bb.3012:
	s_or_b32 exec_lo, exec_lo, s8
                                        ; implicit-def: $vgpr3
.LBB151_3013:
	s_and_not1_saveexec_b32 s3, s3
; %bb.3014:
	v_mov_b32_e32 v1, 0x7f
	v_cmp_lt_u32_e32 vcc_lo, 0x7f800000, v3
	s_delay_alu instid0(VALU_DEP_2)
	v_cndmask_b32_e32 v1, 0x7e, v1, vcc_lo
; %bb.3015:
	s_or_b32 exec_lo, exec_lo, s3
	global_store_b8 v[4:5], v1, off
.LBB151_3016:
	s_mov_b32 s3, 0
.LBB151_3017:
	s_delay_alu instid0(SALU_CYCLE_1)
	s_and_not1_b32 vcc_lo, exec_lo, s3
	s_cbranch_vccnz .LBB151_3027
; %bb.3018:
	s_wait_xcnt 0x0
	v_cndmask_b32_e64 v3, 0, 1.0, s14
	s_mov_b32 s3, exec_lo
                                        ; implicit-def: $vgpr1
	s_delay_alu instid0(VALU_DEP_1)
	v_cmpx_gt_u32_e32 0x47800000, v3
	s_xor_b32 s3, exec_lo, s3
	s_cbranch_execz .LBB151_3024
; %bb.3019:
	s_mov_b32 s8, exec_lo
                                        ; implicit-def: $vgpr1
	v_cmpx_lt_u32_e32 0x387fffff, v3
	s_xor_b32 s8, exec_lo, s8
; %bb.3020:
	v_bfe_u32 v1, v3, 21, 1
	s_delay_alu instid0(VALU_DEP_1) | instskip(NEXT) | instid1(VALU_DEP_1)
	v_add3_u32 v1, v3, v1, 0x80fffff
                                        ; implicit-def: $vgpr3
	v_lshrrev_b32_e32 v1, 21, v1
; %bb.3021:
	s_and_not1_saveexec_b32 s8, s8
; %bb.3022:
	v_add_f32_e32 v1, 0x43000000, v3
; %bb.3023:
	s_or_b32 exec_lo, exec_lo, s8
                                        ; implicit-def: $vgpr3
.LBB151_3024:
	s_and_not1_saveexec_b32 s3, s3
; %bb.3025:
	v_mov_b32_e32 v1, 0x7f
	v_cmp_lt_u32_e32 vcc_lo, 0x7f800000, v3
	s_delay_alu instid0(VALU_DEP_2)
	v_cndmask_b32_e32 v1, 0x7c, v1, vcc_lo
; %bb.3026:
	s_or_b32 exec_lo, exec_lo, s3
	global_store_b8 v[4:5], v1, off
.LBB151_3027:
	s_mov_b32 s3, 0
	s_mov_b32 s8, -1
.LBB151_3028:
	s_and_not1_b32 vcc_lo, exec_lo, s3
	s_mov_b32 s3, 0
	s_cbranch_vccnz .LBB151_3035
; %bb.3029:
	s_cmp_gt_i32 s2, 14
	s_mov_b32 s3, -1
	s_cbranch_scc0 .LBB151_3033
; %bb.3030:
	s_cmp_eq_u32 s2, 15
	s_mov_b32 s0, -1
	s_cbranch_scc0 .LBB151_3032
; %bb.3031:
	s_wait_xcnt 0x0
	v_cndmask_b32_e64 v1, 0, 1.0, s14
	s_mov_b32 s0, 0
	s_mov_b32 s8, -1
	s_delay_alu instid0(VALU_DEP_1) | instskip(NEXT) | instid1(VALU_DEP_1)
	v_bfe_u32 v3, v1, 16, 1
	v_add3_u32 v1, v1, v3, 0x7fff
	global_store_d16_hi_b16 v[4:5], v1, off
.LBB151_3032:
	s_mov_b32 s3, 0
.LBB151_3033:
	s_delay_alu instid0(SALU_CYCLE_1)
	s_and_b32 vcc_lo, exec_lo, s3
	s_mov_b32 s3, 0
	s_cbranch_vccz .LBB151_3035
; %bb.3034:
	s_cmp_lg_u32 s2, 11
	s_mov_b32 s3, -1
	s_cselect_b32 s0, -1, 0
.LBB151_3035:
	s_delay_alu instid0(SALU_CYCLE_1)
	s_and_b32 vcc_lo, exec_lo, s0
	s_cbranch_vccnz .LBB151_3284
; %bb.3036:
	s_and_not1_b32 vcc_lo, exec_lo, s3
	s_cbranch_vccnz .LBB151_3038
.LBB151_3037:
	s_wait_xcnt 0x0
	v_cndmask_b32_e64 v1, 0, 1, s14
	s_mov_b32 s8, -1
	global_store_b8 v[4:5], v1, off
.LBB151_3038:
	s_mov_b32 s0, 0
	s_branch .LBB151_3040
.LBB151_3039:
	s_mov_b32 s0, -1
	s_mov_b32 s8, 0
.LBB151_3040:
	s_and_b32 vcc_lo, exec_lo, s0
	s_cbranch_vccz .LBB151_3079
; %bb.3041:
	s_cmp_lt_i32 s2, 5
	s_mov_b32 s0, -1
	s_cbranch_scc1 .LBB151_3062
; %bb.3042:
	s_cmp_lt_i32 s2, 8
	s_cbranch_scc1 .LBB151_3052
; %bb.3043:
	s_cmp_lt_i32 s2, 9
	s_cbranch_scc1 .LBB151_3049
; %bb.3044:
	s_cmp_gt_i32 s2, 9
	s_cbranch_scc0 .LBB151_3046
; %bb.3045:
	s_wait_xcnt 0x0
	v_cndmask_b32_e64 v1, 0, 1, s14
	v_mov_b32_e32 v8, 0
	s_mov_b32 s0, 0
	s_delay_alu instid0(VALU_DEP_2) | instskip(NEXT) | instid1(VALU_DEP_2)
	v_cvt_f64_u32_e32 v[6:7], v1
	v_mov_b32_e32 v9, v8
	global_store_b128 v[4:5], v[6:9], off
.LBB151_3046:
	s_and_not1_b32 vcc_lo, exec_lo, s0
	s_cbranch_vccnz .LBB151_3048
; %bb.3047:
	s_wait_xcnt 0x0
	v_cndmask_b32_e64 v6, 0, 1.0, s14
	v_mov_b32_e32 v7, 0
	global_store_b64 v[4:5], v[6:7], off
.LBB151_3048:
	s_mov_b32 s0, 0
.LBB151_3049:
	s_delay_alu instid0(SALU_CYCLE_1)
	s_and_not1_b32 vcc_lo, exec_lo, s0
	s_cbranch_vccnz .LBB151_3051
; %bb.3050:
	s_wait_xcnt 0x0
	v_cndmask_b32_e64 v1, 0, 1.0, s14
	s_delay_alu instid0(VALU_DEP_1) | instskip(NEXT) | instid1(VALU_DEP_1)
	v_cvt_f16_f32_e32 v1, v1
	v_and_b32_e32 v1, 0xffff, v1
	global_store_b32 v[4:5], v1, off
.LBB151_3051:
	s_mov_b32 s0, 0
.LBB151_3052:
	s_delay_alu instid0(SALU_CYCLE_1)
	s_and_not1_b32 vcc_lo, exec_lo, s0
	s_cbranch_vccnz .LBB151_3061
; %bb.3053:
	s_cmp_lt_i32 s2, 6
	s_mov_b32 s0, -1
	s_cbranch_scc1 .LBB151_3059
; %bb.3054:
	s_cmp_gt_i32 s2, 6
	s_cbranch_scc0 .LBB151_3056
; %bb.3055:
	s_wait_xcnt 0x0
	v_cndmask_b32_e64 v1, 0, 1, s14
	s_mov_b32 s0, 0
	s_delay_alu instid0(VALU_DEP_1)
	v_cvt_f64_u32_e32 v[6:7], v1
	global_store_b64 v[4:5], v[6:7], off
.LBB151_3056:
	s_and_not1_b32 vcc_lo, exec_lo, s0
	s_cbranch_vccnz .LBB151_3058
; %bb.3057:
	s_wait_xcnt 0x0
	v_cndmask_b32_e64 v1, 0, 1.0, s14
	global_store_b32 v[4:5], v1, off
.LBB151_3058:
	s_mov_b32 s0, 0
.LBB151_3059:
	s_delay_alu instid0(SALU_CYCLE_1)
	s_and_not1_b32 vcc_lo, exec_lo, s0
	s_cbranch_vccnz .LBB151_3061
; %bb.3060:
	s_wait_xcnt 0x0
	v_cndmask_b32_e64 v1, 0, 1.0, s14
	s_delay_alu instid0(VALU_DEP_1)
	v_cvt_f16_f32_e32 v1, v1
	global_store_b16 v[4:5], v1, off
.LBB151_3061:
	s_mov_b32 s0, 0
.LBB151_3062:
	s_delay_alu instid0(SALU_CYCLE_1)
	s_and_not1_b32 vcc_lo, exec_lo, s0
	s_cbranch_vccnz .LBB151_3078
; %bb.3063:
	s_cmp_lt_i32 s2, 2
	s_mov_b32 s0, -1
	s_cbranch_scc1 .LBB151_3073
; %bb.3064:
	s_cmp_lt_i32 s2, 3
	s_cbranch_scc1 .LBB151_3070
; %bb.3065:
	s_cmp_gt_i32 s2, 3
	s_cbranch_scc0 .LBB151_3067
; %bb.3066:
	s_mov_b32 s0, 0
	s_wait_xcnt 0x0
	v_cndmask_b32_e64 v6, 0, 1, s14
	v_mov_b32_e32 v7, s0
	global_store_b64 v[4:5], v[6:7], off
.LBB151_3067:
	s_and_not1_b32 vcc_lo, exec_lo, s0
	s_cbranch_vccnz .LBB151_3069
; %bb.3068:
	s_wait_xcnt 0x0
	v_cndmask_b32_e64 v1, 0, 1, s14
	global_store_b32 v[4:5], v1, off
.LBB151_3069:
	s_mov_b32 s0, 0
.LBB151_3070:
	s_delay_alu instid0(SALU_CYCLE_1)
	s_and_not1_b32 vcc_lo, exec_lo, s0
	s_cbranch_vccnz .LBB151_3072
; %bb.3071:
	s_wait_xcnt 0x0
	v_cndmask_b32_e64 v1, 0, 1, s14
	global_store_b16 v[4:5], v1, off
.LBB151_3072:
	s_mov_b32 s0, 0
.LBB151_3073:
	s_delay_alu instid0(SALU_CYCLE_1)
	s_and_not1_b32 vcc_lo, exec_lo, s0
	s_cbranch_vccnz .LBB151_3078
; %bb.3074:
	s_wait_xcnt 0x0
	v_cndmask_b32_e64 v1, 0, 1, s14
	s_cmp_gt_i32 s2, 0
	s_mov_b32 s0, -1
	s_cbranch_scc0 .LBB151_3076
; %bb.3075:
	s_mov_b32 s0, 0
	global_store_b8 v[4:5], v1, off
.LBB151_3076:
	s_and_not1_b32 vcc_lo, exec_lo, s0
	s_cbranch_vccnz .LBB151_3078
; %bb.3077:
	global_store_b8 v[4:5], v1, off
.LBB151_3078:
	s_mov_b32 s8, -1
.LBB151_3079:
	s_delay_alu instid0(SALU_CYCLE_1)
	s_and_not1_b32 vcc_lo, exec_lo, s8
	s_cbranch_vccnz .LBB151_3275
; %bb.3080:
	s_wait_xcnt 0x0
	v_mov_b32_e32 v3, 0
	s_cmp_lt_i32 s2, 11
	s_delay_alu instid0(VALU_DEP_1)
	v_add_nc_u64_e32 v[2:3], s[4:5], v[2:3]
	s_cbranch_scc1 .LBB151_3158
; %bb.3081:
	s_mov_b32 s9, -1
	s_mov_b32 s3, 0
	s_cmp_gt_i32 s2, 25
	s_mov_b32 s8, 0
	s_mov_b32 s0, 0
	s_cbranch_scc0 .LBB151_3114
; %bb.3082:
	s_cmp_gt_i32 s2, 28
	s_cbranch_scc0 .LBB151_3097
; %bb.3083:
	s_cmp_gt_i32 s2, 43
	;; [unrolled: 3-line block ×3, first 2 shown]
	s_cbranch_scc0 .LBB151_3087
; %bb.3085:
	s_mov_b32 s0, -1
	s_mov_b32 s9, 0
	s_cmp_eq_u32 s2, 46
	s_cbranch_scc0 .LBB151_3087
; %bb.3086:
	v_cndmask_b32_e64 v1, 0, 1.0, s17
	s_mov_b32 s0, 0
	s_mov_b32 s8, -1
	s_delay_alu instid0(VALU_DEP_1) | instskip(NEXT) | instid1(VALU_DEP_1)
	v_bfe_u32 v4, v1, 16, 1
	v_add3_u32 v1, v1, v4, 0x7fff
	s_delay_alu instid0(VALU_DEP_1)
	v_lshrrev_b32_e32 v1, 16, v1
	global_store_b32 v[2:3], v1, off
.LBB151_3087:
	s_and_b32 vcc_lo, exec_lo, s9
	s_cbranch_vccz .LBB151_3092
; %bb.3088:
	s_cmp_eq_u32 s2, 44
	s_mov_b32 s0, -1
	s_cbranch_scc0 .LBB151_3092
; %bb.3089:
	v_cndmask_b32_e64 v5, 0, 1.0, s17
	s_mov_b32 s8, exec_lo
	s_wait_xcnt 0x0
	s_delay_alu instid0(VALU_DEP_1) | instskip(NEXT) | instid1(VALU_DEP_1)
	v_dual_mov_b32 v4, 0xff :: v_dual_lshrrev_b32 v1, 23, v5
	v_cmpx_ne_u32_e32 0xff, v1
; %bb.3090:
	v_and_b32_e32 v4, 0x400000, v5
	v_and_or_b32 v5, 0x3fffff, v5, v1
	s_delay_alu instid0(VALU_DEP_2) | instskip(NEXT) | instid1(VALU_DEP_2)
	v_cmp_ne_u32_e32 vcc_lo, 0, v4
	v_cmp_ne_u32_e64 s0, 0, v5
	s_and_b32 s0, vcc_lo, s0
	s_delay_alu instid0(SALU_CYCLE_1) | instskip(NEXT) | instid1(VALU_DEP_1)
	v_cndmask_b32_e64 v4, 0, 1, s0
	v_add_nc_u32_e32 v4, v1, v4
; %bb.3091:
	s_or_b32 exec_lo, exec_lo, s8
	s_mov_b32 s0, 0
	s_mov_b32 s8, -1
	global_store_b8 v[2:3], v4, off
.LBB151_3092:
	s_mov_b32 s9, 0
.LBB151_3093:
	s_delay_alu instid0(SALU_CYCLE_1)
	s_and_b32 vcc_lo, exec_lo, s9
	s_cbranch_vccz .LBB151_3096
; %bb.3094:
	s_cmp_eq_u32 s2, 29
	s_mov_b32 s0, -1
	s_cbranch_scc0 .LBB151_3096
; %bb.3095:
	s_mov_b32 s0, 0
	s_wait_xcnt 0x0
	v_cndmask_b32_e64 v4, 0, 1, s17
	v_mov_b32_e32 v5, s0
	s_mov_b32 s8, -1
	global_store_b64 v[2:3], v[4:5], off
.LBB151_3096:
	s_mov_b32 s9, 0
.LBB151_3097:
	s_delay_alu instid0(SALU_CYCLE_1)
	s_and_b32 vcc_lo, exec_lo, s9
	s_cbranch_vccz .LBB151_3113
; %bb.3098:
	s_cmp_lt_i32 s2, 27
	s_mov_b32 s8, -1
	s_cbranch_scc1 .LBB151_3104
; %bb.3099:
	s_cmp_gt_i32 s2, 27
	s_cbranch_scc0 .LBB151_3101
; %bb.3100:
	s_wait_xcnt 0x0
	v_cndmask_b32_e64 v1, 0, 1, s17
	s_mov_b32 s8, 0
	global_store_b32 v[2:3], v1, off
.LBB151_3101:
	s_and_not1_b32 vcc_lo, exec_lo, s8
	s_cbranch_vccnz .LBB151_3103
; %bb.3102:
	s_wait_xcnt 0x0
	v_cndmask_b32_e64 v1, 0, 1, s17
	global_store_b16 v[2:3], v1, off
.LBB151_3103:
	s_mov_b32 s8, 0
.LBB151_3104:
	s_delay_alu instid0(SALU_CYCLE_1)
	s_and_not1_b32 vcc_lo, exec_lo, s8
	s_cbranch_vccnz .LBB151_3112
; %bb.3105:
	s_wait_xcnt 0x0
	v_cndmask_b32_e64 v4, 0, 1.0, s17
	v_mov_b32_e32 v5, 0x80
	s_mov_b32 s8, exec_lo
	s_delay_alu instid0(VALU_DEP_2)
	v_cmpx_gt_u32_e32 0x43800000, v4
	s_cbranch_execz .LBB151_3111
; %bb.3106:
	s_mov_b32 s9, 0
	s_mov_b32 s12, exec_lo
                                        ; implicit-def: $vgpr1
	v_cmpx_lt_u32_e32 0x3bffffff, v4
	s_xor_b32 s12, exec_lo, s12
	s_cbranch_execz .LBB151_3287
; %bb.3107:
	v_bfe_u32 v1, v4, 20, 1
	s_mov_b32 s9, exec_lo
	s_delay_alu instid0(VALU_DEP_1) | instskip(NEXT) | instid1(VALU_DEP_1)
	v_add3_u32 v1, v4, v1, 0x487ffff
                                        ; implicit-def: $vgpr4
	v_lshrrev_b32_e32 v1, 20, v1
	s_and_not1_saveexec_b32 s12, s12
	s_cbranch_execnz .LBB151_3288
.LBB151_3108:
	s_or_b32 exec_lo, exec_lo, s12
	v_mov_b32_e32 v5, 0
	s_and_saveexec_b32 s12, s9
.LBB151_3109:
	v_mov_b32_e32 v5, v1
.LBB151_3110:
	s_or_b32 exec_lo, exec_lo, s12
.LBB151_3111:
	s_delay_alu instid0(SALU_CYCLE_1)
	s_or_b32 exec_lo, exec_lo, s8
	global_store_b8 v[2:3], v5, off
.LBB151_3112:
	s_mov_b32 s8, -1
.LBB151_3113:
	s_mov_b32 s9, 0
.LBB151_3114:
	s_delay_alu instid0(SALU_CYCLE_1)
	s_and_b32 vcc_lo, exec_lo, s9
	s_cbranch_vccz .LBB151_3154
; %bb.3115:
	s_cmp_gt_i32 s2, 22
	s_mov_b32 s3, -1
	s_cbranch_scc0 .LBB151_3147
; %bb.3116:
	s_cmp_lt_i32 s2, 24
	s_cbranch_scc1 .LBB151_3136
; %bb.3117:
	s_cmp_gt_i32 s2, 24
	s_cbranch_scc0 .LBB151_3125
; %bb.3118:
	s_wait_xcnt 0x0
	v_cndmask_b32_e64 v4, 0, 1.0, s17
	v_mov_b32_e32 v5, 0x80
	s_mov_b32 s3, exec_lo
	s_delay_alu instid0(VALU_DEP_2)
	v_cmpx_gt_u32_e32 0x47800000, v4
	s_cbranch_execz .LBB151_3124
; %bb.3119:
	s_mov_b32 s8, 0
	s_mov_b32 s9, exec_lo
                                        ; implicit-def: $vgpr1
	v_cmpx_lt_u32_e32 0x37ffffff, v4
	s_xor_b32 s9, exec_lo, s9
	s_cbranch_execz .LBB151_3290
; %bb.3120:
	v_bfe_u32 v1, v4, 21, 1
	s_mov_b32 s8, exec_lo
	s_delay_alu instid0(VALU_DEP_1) | instskip(NEXT) | instid1(VALU_DEP_1)
	v_add3_u32 v1, v4, v1, 0x88fffff
                                        ; implicit-def: $vgpr4
	v_lshrrev_b32_e32 v1, 21, v1
	s_and_not1_saveexec_b32 s9, s9
	s_cbranch_execnz .LBB151_3291
.LBB151_3121:
	s_or_b32 exec_lo, exec_lo, s9
	v_mov_b32_e32 v5, 0
	s_and_saveexec_b32 s9, s8
.LBB151_3122:
	v_mov_b32_e32 v5, v1
.LBB151_3123:
	s_or_b32 exec_lo, exec_lo, s9
.LBB151_3124:
	s_delay_alu instid0(SALU_CYCLE_1)
	s_or_b32 exec_lo, exec_lo, s3
	s_mov_b32 s3, 0
	global_store_b8 v[2:3], v5, off
.LBB151_3125:
	s_and_b32 vcc_lo, exec_lo, s3
	s_cbranch_vccz .LBB151_3135
; %bb.3126:
	s_wait_xcnt 0x0
	v_cndmask_b32_e64 v4, 0, 1.0, s17
	s_mov_b32 s3, exec_lo
                                        ; implicit-def: $vgpr1
	s_delay_alu instid0(VALU_DEP_1)
	v_cmpx_gt_u32_e32 0x43f00000, v4
	s_xor_b32 s3, exec_lo, s3
	s_cbranch_execz .LBB151_3132
; %bb.3127:
	s_mov_b32 s8, exec_lo
                                        ; implicit-def: $vgpr1
	v_cmpx_lt_u32_e32 0x3c7fffff, v4
	s_xor_b32 s8, exec_lo, s8
; %bb.3128:
	v_bfe_u32 v1, v4, 20, 1
	s_delay_alu instid0(VALU_DEP_1) | instskip(NEXT) | instid1(VALU_DEP_1)
	v_add3_u32 v1, v4, v1, 0x407ffff
	v_and_b32_e32 v4, 0xff00000, v1
	v_lshrrev_b32_e32 v1, 20, v1
	s_delay_alu instid0(VALU_DEP_2) | instskip(NEXT) | instid1(VALU_DEP_2)
	v_cmp_ne_u32_e32 vcc_lo, 0x7f00000, v4
                                        ; implicit-def: $vgpr4
	v_cndmask_b32_e32 v1, 0x7e, v1, vcc_lo
; %bb.3129:
	s_and_not1_saveexec_b32 s8, s8
; %bb.3130:
	v_add_f32_e32 v1, 0x46800000, v4
; %bb.3131:
	s_or_b32 exec_lo, exec_lo, s8
                                        ; implicit-def: $vgpr4
.LBB151_3132:
	s_and_not1_saveexec_b32 s3, s3
; %bb.3133:
	v_mov_b32_e32 v1, 0x7f
	v_cmp_lt_u32_e32 vcc_lo, 0x7f800000, v4
	s_delay_alu instid0(VALU_DEP_2)
	v_cndmask_b32_e32 v1, 0x7e, v1, vcc_lo
; %bb.3134:
	s_or_b32 exec_lo, exec_lo, s3
	global_store_b8 v[2:3], v1, off
.LBB151_3135:
	s_mov_b32 s3, 0
.LBB151_3136:
	s_delay_alu instid0(SALU_CYCLE_1)
	s_and_not1_b32 vcc_lo, exec_lo, s3
	s_cbranch_vccnz .LBB151_3146
; %bb.3137:
	s_wait_xcnt 0x0
	v_cndmask_b32_e64 v4, 0, 1.0, s17
	s_mov_b32 s3, exec_lo
                                        ; implicit-def: $vgpr1
	s_delay_alu instid0(VALU_DEP_1)
	v_cmpx_gt_u32_e32 0x47800000, v4
	s_xor_b32 s3, exec_lo, s3
	s_cbranch_execz .LBB151_3143
; %bb.3138:
	s_mov_b32 s8, exec_lo
                                        ; implicit-def: $vgpr1
	v_cmpx_lt_u32_e32 0x387fffff, v4
	s_xor_b32 s8, exec_lo, s8
; %bb.3139:
	v_bfe_u32 v1, v4, 21, 1
	s_delay_alu instid0(VALU_DEP_1) | instskip(NEXT) | instid1(VALU_DEP_1)
	v_add3_u32 v1, v4, v1, 0x80fffff
                                        ; implicit-def: $vgpr4
	v_lshrrev_b32_e32 v1, 21, v1
; %bb.3140:
	s_and_not1_saveexec_b32 s8, s8
; %bb.3141:
	v_add_f32_e32 v1, 0x43000000, v4
; %bb.3142:
	s_or_b32 exec_lo, exec_lo, s8
                                        ; implicit-def: $vgpr4
.LBB151_3143:
	s_and_not1_saveexec_b32 s3, s3
; %bb.3144:
	v_mov_b32_e32 v1, 0x7f
	v_cmp_lt_u32_e32 vcc_lo, 0x7f800000, v4
	s_delay_alu instid0(VALU_DEP_2)
	v_cndmask_b32_e32 v1, 0x7c, v1, vcc_lo
; %bb.3145:
	s_or_b32 exec_lo, exec_lo, s3
	global_store_b8 v[2:3], v1, off
.LBB151_3146:
	s_mov_b32 s3, 0
	s_mov_b32 s8, -1
.LBB151_3147:
	s_and_not1_b32 vcc_lo, exec_lo, s3
	s_mov_b32 s3, 0
	s_cbranch_vccnz .LBB151_3154
; %bb.3148:
	s_cmp_gt_i32 s2, 14
	s_mov_b32 s3, -1
	s_cbranch_scc0 .LBB151_3152
; %bb.3149:
	s_cmp_eq_u32 s2, 15
	s_mov_b32 s0, -1
	s_cbranch_scc0 .LBB151_3151
; %bb.3150:
	s_wait_xcnt 0x0
	v_cndmask_b32_e64 v1, 0, 1.0, s17
	s_mov_b32 s0, 0
	s_mov_b32 s8, -1
	s_delay_alu instid0(VALU_DEP_1) | instskip(NEXT) | instid1(VALU_DEP_1)
	v_bfe_u32 v4, v1, 16, 1
	v_add3_u32 v1, v1, v4, 0x7fff
	global_store_d16_hi_b16 v[2:3], v1, off
.LBB151_3151:
	s_mov_b32 s3, 0
.LBB151_3152:
	s_delay_alu instid0(SALU_CYCLE_1)
	s_and_b32 vcc_lo, exec_lo, s3
	s_mov_b32 s3, 0
	s_cbranch_vccz .LBB151_3154
; %bb.3153:
	s_cmp_lg_u32 s2, 11
	s_mov_b32 s3, -1
	s_cselect_b32 s0, -1, 0
.LBB151_3154:
	s_delay_alu instid0(SALU_CYCLE_1)
	s_and_b32 vcc_lo, exec_lo, s0
	s_cbranch_vccnz .LBB151_3289
; %bb.3155:
	s_and_not1_b32 vcc_lo, exec_lo, s3
	s_cbranch_vccnz .LBB151_3157
.LBB151_3156:
	s_wait_xcnt 0x0
	v_cndmask_b32_e64 v1, 0, 1, s17
	s_mov_b32 s8, -1
	global_store_b8 v[2:3], v1, off
.LBB151_3157:
	s_mov_b32 s0, 0
	s_branch .LBB151_3159
.LBB151_3158:
	s_mov_b32 s0, -1
	s_mov_b32 s8, 0
.LBB151_3159:
	s_and_b32 vcc_lo, exec_lo, s0
	s_cbranch_vccz .LBB151_3198
; %bb.3160:
	s_cmp_lt_i32 s2, 5
	s_mov_b32 s0, -1
	s_cbranch_scc1 .LBB151_3181
; %bb.3161:
	s_cmp_lt_i32 s2, 8
	s_cbranch_scc1 .LBB151_3171
; %bb.3162:
	s_cmp_lt_i32 s2, 9
	s_cbranch_scc1 .LBB151_3168
; %bb.3163:
	s_cmp_gt_i32 s2, 9
	s_cbranch_scc0 .LBB151_3165
; %bb.3164:
	s_wait_xcnt 0x0
	v_cndmask_b32_e64 v1, 0, 1, s17
	v_mov_b32_e32 v6, 0
	s_mov_b32 s0, 0
	s_delay_alu instid0(VALU_DEP_2) | instskip(NEXT) | instid1(VALU_DEP_2)
	v_cvt_f64_u32_e32 v[4:5], v1
	v_mov_b32_e32 v7, v6
	global_store_b128 v[2:3], v[4:7], off
.LBB151_3165:
	s_and_not1_b32 vcc_lo, exec_lo, s0
	s_cbranch_vccnz .LBB151_3167
; %bb.3166:
	s_wait_xcnt 0x0
	v_cndmask_b32_e64 v4, 0, 1.0, s17
	v_mov_b32_e32 v5, 0
	global_store_b64 v[2:3], v[4:5], off
.LBB151_3167:
	s_mov_b32 s0, 0
.LBB151_3168:
	s_delay_alu instid0(SALU_CYCLE_1)
	s_and_not1_b32 vcc_lo, exec_lo, s0
	s_cbranch_vccnz .LBB151_3170
; %bb.3169:
	s_wait_xcnt 0x0
	v_cndmask_b32_e64 v1, 0, 1.0, s17
	s_delay_alu instid0(VALU_DEP_1) | instskip(NEXT) | instid1(VALU_DEP_1)
	v_cvt_f16_f32_e32 v1, v1
	v_and_b32_e32 v1, 0xffff, v1
	global_store_b32 v[2:3], v1, off
.LBB151_3170:
	s_mov_b32 s0, 0
.LBB151_3171:
	s_delay_alu instid0(SALU_CYCLE_1)
	s_and_not1_b32 vcc_lo, exec_lo, s0
	s_cbranch_vccnz .LBB151_3180
; %bb.3172:
	s_cmp_lt_i32 s2, 6
	s_mov_b32 s0, -1
	s_cbranch_scc1 .LBB151_3178
; %bb.3173:
	s_cmp_gt_i32 s2, 6
	s_cbranch_scc0 .LBB151_3175
; %bb.3174:
	s_wait_xcnt 0x0
	v_cndmask_b32_e64 v1, 0, 1, s17
	s_mov_b32 s0, 0
	s_delay_alu instid0(VALU_DEP_1)
	v_cvt_f64_u32_e32 v[4:5], v1
	global_store_b64 v[2:3], v[4:5], off
.LBB151_3175:
	s_and_not1_b32 vcc_lo, exec_lo, s0
	s_cbranch_vccnz .LBB151_3177
; %bb.3176:
	s_wait_xcnt 0x0
	v_cndmask_b32_e64 v1, 0, 1.0, s17
	global_store_b32 v[2:3], v1, off
.LBB151_3177:
	s_mov_b32 s0, 0
.LBB151_3178:
	s_delay_alu instid0(SALU_CYCLE_1)
	s_and_not1_b32 vcc_lo, exec_lo, s0
	s_cbranch_vccnz .LBB151_3180
; %bb.3179:
	s_wait_xcnt 0x0
	v_cndmask_b32_e64 v1, 0, 1.0, s17
	s_delay_alu instid0(VALU_DEP_1)
	v_cvt_f16_f32_e32 v1, v1
	global_store_b16 v[2:3], v1, off
.LBB151_3180:
	s_mov_b32 s0, 0
.LBB151_3181:
	s_delay_alu instid0(SALU_CYCLE_1)
	s_and_not1_b32 vcc_lo, exec_lo, s0
	s_cbranch_vccnz .LBB151_3197
; %bb.3182:
	s_cmp_lt_i32 s2, 2
	s_mov_b32 s0, -1
	s_cbranch_scc1 .LBB151_3192
; %bb.3183:
	s_cmp_lt_i32 s2, 3
	s_cbranch_scc1 .LBB151_3189
; %bb.3184:
	s_cmp_gt_i32 s2, 3
	s_cbranch_scc0 .LBB151_3186
; %bb.3185:
	s_mov_b32 s0, 0
	s_wait_xcnt 0x0
	v_cndmask_b32_e64 v4, 0, 1, s17
	v_mov_b32_e32 v5, s0
	global_store_b64 v[2:3], v[4:5], off
.LBB151_3186:
	s_and_not1_b32 vcc_lo, exec_lo, s0
	s_cbranch_vccnz .LBB151_3188
; %bb.3187:
	s_wait_xcnt 0x0
	v_cndmask_b32_e64 v1, 0, 1, s17
	global_store_b32 v[2:3], v1, off
.LBB151_3188:
	s_mov_b32 s0, 0
.LBB151_3189:
	s_delay_alu instid0(SALU_CYCLE_1)
	s_and_not1_b32 vcc_lo, exec_lo, s0
	s_cbranch_vccnz .LBB151_3191
; %bb.3190:
	s_wait_xcnt 0x0
	v_cndmask_b32_e64 v1, 0, 1, s17
	global_store_b16 v[2:3], v1, off
.LBB151_3191:
	s_mov_b32 s0, 0
.LBB151_3192:
	s_delay_alu instid0(SALU_CYCLE_1)
	s_and_not1_b32 vcc_lo, exec_lo, s0
	s_cbranch_vccnz .LBB151_3197
; %bb.3193:
	s_cmp_gt_i32 s2, 0
	s_mov_b32 s0, -1
	s_cbranch_scc0 .LBB151_3195
; %bb.3194:
	s_wait_xcnt 0x0
	v_cndmask_b32_e64 v1, 0, 1, s17
	s_mov_b32 s0, 0
	global_store_b8 v[2:3], v1, off
.LBB151_3195:
	s_and_not1_b32 vcc_lo, exec_lo, s0
	s_cbranch_vccnz .LBB151_3197
; %bb.3196:
	s_wait_xcnt 0x0
	v_cndmask_b32_e64 v1, 0, 1, s17
	global_store_b8 v[2:3], v1, off
.LBB151_3197:
	s_mov_b32 s8, -1
.LBB151_3198:
	s_delay_alu instid0(SALU_CYCLE_1)
	s_and_not1_b32 vcc_lo, exec_lo, s8
	s_cbranch_vccnz .LBB151_3275
; %bb.3199:
	s_wait_xcnt 0x0
	v_mov_b32_e32 v1, 0
	s_cmp_lt_i32 s2, 11
	s_delay_alu instid0(VALU_DEP_1)
	v_add_nc_u64_e32 v[2:3], s[4:5], v[0:1]
	s_cbranch_scc1 .LBB151_3276
; %bb.3200:
	s_mov_b32 s4, -1
	s_mov_b32 s3, 0
	s_cmp_gt_i32 s2, 25
	s_mov_b32 s0, 0
	s_cbranch_scc0 .LBB151_3233
; %bb.3201:
	s_cmp_gt_i32 s2, 28
	s_cbranch_scc0 .LBB151_3217
; %bb.3202:
	s_cmp_gt_i32 s2, 43
	;; [unrolled: 3-line block ×3, first 2 shown]
	s_cbranch_scc0 .LBB151_3207
; %bb.3204:
	s_cmp_eq_u32 s2, 46
	s_mov_b32 s0, -1
	s_cbranch_scc0 .LBB151_3206
; %bb.3205:
	v_cndmask_b32_e64 v0, 0, 1.0, s6
	s_mov_b32 s0, 0
	s_delay_alu instid0(VALU_DEP_1) | instskip(NEXT) | instid1(VALU_DEP_1)
	v_bfe_u32 v1, v0, 16, 1
	v_add3_u32 v0, v0, v1, 0x7fff
	s_delay_alu instid0(VALU_DEP_1)
	v_lshrrev_b32_e32 v0, 16, v0
	global_store_b32 v[2:3], v0, off
.LBB151_3206:
	s_mov_b32 s4, 0
.LBB151_3207:
	s_delay_alu instid0(SALU_CYCLE_1)
	s_and_b32 vcc_lo, exec_lo, s4
	s_cbranch_vccz .LBB151_3212
; %bb.3208:
	s_cmp_eq_u32 s2, 44
	s_mov_b32 s0, -1
	s_cbranch_scc0 .LBB151_3212
; %bb.3209:
	v_cndmask_b32_e64 v4, 0, 1.0, s6
	s_mov_b32 s4, exec_lo
	s_wait_xcnt 0x0
	s_delay_alu instid0(VALU_DEP_1) | instskip(NEXT) | instid1(VALU_DEP_1)
	v_dual_mov_b32 v1, 0xff :: v_dual_lshrrev_b32 v0, 23, v4
	v_cmpx_ne_u32_e32 0xff, v0
; %bb.3210:
	v_and_b32_e32 v1, 0x400000, v4
	v_and_or_b32 v4, 0x3fffff, v4, v0
	s_delay_alu instid0(VALU_DEP_2) | instskip(NEXT) | instid1(VALU_DEP_2)
	v_cmp_ne_u32_e32 vcc_lo, 0, v1
	v_cmp_ne_u32_e64 s0, 0, v4
	s_and_b32 s0, vcc_lo, s0
	s_delay_alu instid0(SALU_CYCLE_1) | instskip(NEXT) | instid1(VALU_DEP_1)
	v_cndmask_b32_e64 v1, 0, 1, s0
	v_add_nc_u32_e32 v1, v0, v1
; %bb.3211:
	s_or_b32 exec_lo, exec_lo, s4
	s_mov_b32 s0, 0
	global_store_b8 v[2:3], v1, off
.LBB151_3212:
	s_mov_b32 s4, 0
.LBB151_3213:
	s_delay_alu instid0(SALU_CYCLE_1)
	s_and_b32 vcc_lo, exec_lo, s4
	s_cbranch_vccz .LBB151_3216
; %bb.3214:
	s_cmp_eq_u32 s2, 29
	s_mov_b32 s0, -1
	s_cbranch_scc0 .LBB151_3216
; %bb.3215:
	s_mov_b32 s0, 0
	s_wait_xcnt 0x0
	v_cndmask_b32_e64 v0, 0, 1, s6
	v_mov_b32_e32 v1, s0
	global_store_b64 v[2:3], v[0:1], off
.LBB151_3216:
	s_mov_b32 s4, 0
.LBB151_3217:
	s_delay_alu instid0(SALU_CYCLE_1)
	s_and_b32 vcc_lo, exec_lo, s4
	s_cbranch_vccz .LBB151_3232
; %bb.3218:
	s_cmp_lt_i32 s2, 27
	s_mov_b32 s4, -1
	s_cbranch_scc1 .LBB151_3224
; %bb.3219:
	s_wait_xcnt 0x0
	v_cndmask_b32_e64 v0, 0, 1, s6
	s_cmp_gt_i32 s2, 27
	s_cbranch_scc0 .LBB151_3221
; %bb.3220:
	s_mov_b32 s4, 0
	global_store_b32 v[2:3], v0, off
.LBB151_3221:
	s_and_not1_b32 vcc_lo, exec_lo, s4
	s_cbranch_vccnz .LBB151_3223
; %bb.3222:
	global_store_b16 v[2:3], v0, off
.LBB151_3223:
	s_mov_b32 s4, 0
.LBB151_3224:
	s_delay_alu instid0(SALU_CYCLE_1)
	s_and_not1_b32 vcc_lo, exec_lo, s4
	s_cbranch_vccnz .LBB151_3232
; %bb.3225:
	s_wait_xcnt 0x0
	v_cndmask_b32_e64 v1, 0, 1.0, s6
	v_mov_b32_e32 v4, 0x80
	s_mov_b32 s4, exec_lo
	s_delay_alu instid0(VALU_DEP_2)
	v_cmpx_gt_u32_e32 0x43800000, v1
	s_cbranch_execz .LBB151_3231
; %bb.3226:
	s_mov_b32 s5, 0
	s_mov_b32 s8, exec_lo
                                        ; implicit-def: $vgpr0
	v_cmpx_lt_u32_e32 0x3bffffff, v1
	s_xor_b32 s8, exec_lo, s8
	s_cbranch_execz .LBB151_3292
; %bb.3227:
	v_bfe_u32 v0, v1, 20, 1
	s_mov_b32 s5, exec_lo
	s_delay_alu instid0(VALU_DEP_1) | instskip(NEXT) | instid1(VALU_DEP_1)
	v_add3_u32 v0, v1, v0, 0x487ffff
                                        ; implicit-def: $vgpr1
	v_lshrrev_b32_e32 v0, 20, v0
	s_and_not1_saveexec_b32 s8, s8
	s_cbranch_execnz .LBB151_3293
.LBB151_3228:
	s_or_b32 exec_lo, exec_lo, s8
	v_mov_b32_e32 v4, 0
	s_and_saveexec_b32 s8, s5
.LBB151_3229:
	v_mov_b32_e32 v4, v0
.LBB151_3230:
	s_or_b32 exec_lo, exec_lo, s8
.LBB151_3231:
	s_delay_alu instid0(SALU_CYCLE_1)
	s_or_b32 exec_lo, exec_lo, s4
	global_store_b8 v[2:3], v4, off
.LBB151_3232:
	s_mov_b32 s4, 0
.LBB151_3233:
	s_delay_alu instid0(SALU_CYCLE_1)
	s_and_b32 vcc_lo, exec_lo, s4
	s_cbranch_vccz .LBB151_3273
; %bb.3234:
	s_cmp_gt_i32 s2, 22
	s_mov_b32 s3, -1
	s_cbranch_scc0 .LBB151_3266
; %bb.3235:
	s_cmp_lt_i32 s2, 24
	s_cbranch_scc1 .LBB151_3255
; %bb.3236:
	s_cmp_gt_i32 s2, 24
	s_cbranch_scc0 .LBB151_3244
; %bb.3237:
	s_wait_xcnt 0x0
	v_cndmask_b32_e64 v1, 0, 1.0, s6
	v_mov_b32_e32 v4, 0x80
	s_mov_b32 s3, exec_lo
	s_delay_alu instid0(VALU_DEP_2)
	v_cmpx_gt_u32_e32 0x47800000, v1
	s_cbranch_execz .LBB151_3243
; %bb.3238:
	s_mov_b32 s4, 0
	s_mov_b32 s5, exec_lo
                                        ; implicit-def: $vgpr0
	v_cmpx_lt_u32_e32 0x37ffffff, v1
	s_xor_b32 s5, exec_lo, s5
	s_cbranch_execz .LBB151_3295
; %bb.3239:
	v_bfe_u32 v0, v1, 21, 1
	s_mov_b32 s4, exec_lo
	s_delay_alu instid0(VALU_DEP_1) | instskip(NEXT) | instid1(VALU_DEP_1)
	v_add3_u32 v0, v1, v0, 0x88fffff
                                        ; implicit-def: $vgpr1
	v_lshrrev_b32_e32 v0, 21, v0
	s_and_not1_saveexec_b32 s5, s5
	s_cbranch_execnz .LBB151_3296
.LBB151_3240:
	s_or_b32 exec_lo, exec_lo, s5
	v_mov_b32_e32 v4, 0
	s_and_saveexec_b32 s5, s4
.LBB151_3241:
	v_mov_b32_e32 v4, v0
.LBB151_3242:
	s_or_b32 exec_lo, exec_lo, s5
.LBB151_3243:
	s_delay_alu instid0(SALU_CYCLE_1)
	s_or_b32 exec_lo, exec_lo, s3
	s_mov_b32 s3, 0
	global_store_b8 v[2:3], v4, off
.LBB151_3244:
	s_and_b32 vcc_lo, exec_lo, s3
	s_cbranch_vccz .LBB151_3254
; %bb.3245:
	s_wait_xcnt 0x0
	v_cndmask_b32_e64 v1, 0, 1.0, s6
	s_mov_b32 s3, exec_lo
                                        ; implicit-def: $vgpr0
	s_delay_alu instid0(VALU_DEP_1)
	v_cmpx_gt_u32_e32 0x43f00000, v1
	s_xor_b32 s3, exec_lo, s3
	s_cbranch_execz .LBB151_3251
; %bb.3246:
	s_mov_b32 s4, exec_lo
                                        ; implicit-def: $vgpr0
	v_cmpx_lt_u32_e32 0x3c7fffff, v1
	s_xor_b32 s4, exec_lo, s4
; %bb.3247:
	v_bfe_u32 v0, v1, 20, 1
	s_delay_alu instid0(VALU_DEP_1) | instskip(NEXT) | instid1(VALU_DEP_1)
	v_add3_u32 v0, v1, v0, 0x407ffff
	v_and_b32_e32 v1, 0xff00000, v0
	v_lshrrev_b32_e32 v0, 20, v0
	s_delay_alu instid0(VALU_DEP_2) | instskip(NEXT) | instid1(VALU_DEP_2)
	v_cmp_ne_u32_e32 vcc_lo, 0x7f00000, v1
                                        ; implicit-def: $vgpr1
	v_cndmask_b32_e32 v0, 0x7e, v0, vcc_lo
; %bb.3248:
	s_and_not1_saveexec_b32 s4, s4
; %bb.3249:
	v_add_f32_e32 v0, 0x46800000, v1
; %bb.3250:
	s_or_b32 exec_lo, exec_lo, s4
                                        ; implicit-def: $vgpr1
.LBB151_3251:
	s_and_not1_saveexec_b32 s3, s3
; %bb.3252:
	v_mov_b32_e32 v0, 0x7f
	v_cmp_lt_u32_e32 vcc_lo, 0x7f800000, v1
	s_delay_alu instid0(VALU_DEP_2)
	v_cndmask_b32_e32 v0, 0x7e, v0, vcc_lo
; %bb.3253:
	s_or_b32 exec_lo, exec_lo, s3
	global_store_b8 v[2:3], v0, off
.LBB151_3254:
	s_mov_b32 s3, 0
.LBB151_3255:
	s_delay_alu instid0(SALU_CYCLE_1)
	s_and_not1_b32 vcc_lo, exec_lo, s3
	s_cbranch_vccnz .LBB151_3265
; %bb.3256:
	s_wait_xcnt 0x0
	v_cndmask_b32_e64 v1, 0, 1.0, s6
	s_mov_b32 s3, exec_lo
                                        ; implicit-def: $vgpr0
	s_delay_alu instid0(VALU_DEP_1)
	v_cmpx_gt_u32_e32 0x47800000, v1
	s_xor_b32 s3, exec_lo, s3
	s_cbranch_execz .LBB151_3262
; %bb.3257:
	s_mov_b32 s4, exec_lo
                                        ; implicit-def: $vgpr0
	v_cmpx_lt_u32_e32 0x387fffff, v1
	s_xor_b32 s4, exec_lo, s4
; %bb.3258:
	v_bfe_u32 v0, v1, 21, 1
	s_delay_alu instid0(VALU_DEP_1) | instskip(NEXT) | instid1(VALU_DEP_1)
	v_add3_u32 v0, v1, v0, 0x80fffff
                                        ; implicit-def: $vgpr1
	v_lshrrev_b32_e32 v0, 21, v0
; %bb.3259:
	s_and_not1_saveexec_b32 s4, s4
; %bb.3260:
	v_add_f32_e32 v0, 0x43000000, v1
; %bb.3261:
	s_or_b32 exec_lo, exec_lo, s4
                                        ; implicit-def: $vgpr1
.LBB151_3262:
	s_and_not1_saveexec_b32 s3, s3
; %bb.3263:
	v_mov_b32_e32 v0, 0x7f
	v_cmp_lt_u32_e32 vcc_lo, 0x7f800000, v1
	s_delay_alu instid0(VALU_DEP_2)
	v_cndmask_b32_e32 v0, 0x7c, v0, vcc_lo
; %bb.3264:
	s_or_b32 exec_lo, exec_lo, s3
	global_store_b8 v[2:3], v0, off
.LBB151_3265:
	s_mov_b32 s3, 0
.LBB151_3266:
	s_delay_alu instid0(SALU_CYCLE_1)
	s_and_not1_b32 vcc_lo, exec_lo, s3
	s_mov_b32 s3, 0
	s_cbranch_vccnz .LBB151_3273
; %bb.3267:
	s_cmp_gt_i32 s2, 14
	s_mov_b32 s3, -1
	s_cbranch_scc0 .LBB151_3271
; %bb.3268:
	s_cmp_eq_u32 s2, 15
	s_mov_b32 s0, -1
	s_cbranch_scc0 .LBB151_3270
; %bb.3269:
	s_wait_xcnt 0x0
	v_cndmask_b32_e64 v0, 0, 1.0, s6
	s_mov_b32 s0, 0
	s_delay_alu instid0(VALU_DEP_1) | instskip(NEXT) | instid1(VALU_DEP_1)
	v_bfe_u32 v1, v0, 16, 1
	v_add3_u32 v0, v0, v1, 0x7fff
	global_store_d16_hi_b16 v[2:3], v0, off
.LBB151_3270:
	s_mov_b32 s3, 0
.LBB151_3271:
	s_delay_alu instid0(SALU_CYCLE_1)
	s_and_b32 vcc_lo, exec_lo, s3
	s_mov_b32 s3, 0
	s_cbranch_vccz .LBB151_3273
; %bb.3272:
	s_cmp_lg_u32 s2, 11
	s_mov_b32 s3, -1
	s_cselect_b32 s0, -1, 0
.LBB151_3273:
	s_delay_alu instid0(SALU_CYCLE_1)
	s_and_b32 vcc_lo, exec_lo, s0
	s_cbranch_vccnz .LBB151_3294
.LBB151_3274:
	s_mov_b32 s0, 0
	s_branch .LBB151_2795
.LBB151_3275:
	s_mov_b32 s0, 0
	s_mov_b32 s3, 0
	s_branch .LBB151_2794
.LBB151_3276:
	s_mov_b32 s3, 0
	s_mov_b32 s0, -1
	s_branch .LBB151_2795
.LBB151_3277:
	s_and_not1_saveexec_b32 s13, s13
	s_cbranch_execz .LBB151_2870
.LBB151_3278:
	v_add_f32_e32 v1, 0x46000000, v3
	s_and_not1_b32 s9, s9, exec_lo
	s_delay_alu instid0(VALU_DEP_1) | instskip(NEXT) | instid1(VALU_DEP_1)
	v_and_b32_e32 v1, 0xff, v1
	v_cmp_ne_u32_e32 vcc_lo, 0, v1
	s_and_b32 s15, vcc_lo, exec_lo
	s_delay_alu instid0(SALU_CYCLE_1)
	s_or_b32 s9, s9, s15
	s_or_b32 exec_lo, exec_lo, s13
	v_mov_b32_e32 v5, 0
	s_and_saveexec_b32 s13, s9
	s_cbranch_execnz .LBB151_2871
	s_branch .LBB151_2872
.LBB151_3279:
	s_or_b32 s1, s1, exec_lo
	s_trap 2
	s_cbranch_execz .LBB151_2918
	s_branch .LBB151_2919
.LBB151_3280:
	s_and_not1_saveexec_b32 s9, s9
	s_cbranch_execz .LBB151_2883
.LBB151_3281:
	v_add_f32_e32 v1, 0x42800000, v3
	s_and_not1_b32 s8, s8, exec_lo
	s_delay_alu instid0(VALU_DEP_1) | instskip(NEXT) | instid1(VALU_DEP_1)
	v_and_b32_e32 v1, 0xff, v1
	v_cmp_ne_u32_e32 vcc_lo, 0, v1
	s_and_b32 s13, vcc_lo, exec_lo
	s_delay_alu instid0(SALU_CYCLE_1)
	s_or_b32 s8, s8, s13
	s_or_b32 exec_lo, exec_lo, s9
	v_mov_b32_e32 v5, 0
	s_and_saveexec_b32 s9, s8
	s_cbranch_execnz .LBB151_2884
	s_branch .LBB151_2885
.LBB151_3282:
	s_and_not1_saveexec_b32 s12, s12
	s_cbranch_execz .LBB151_2989
.LBB151_3283:
	v_add_f32_e32 v1, 0x46000000, v3
	s_and_not1_b32 s9, s9, exec_lo
	s_delay_alu instid0(VALU_DEP_1) | instskip(NEXT) | instid1(VALU_DEP_1)
	v_and_b32_e32 v1, 0xff, v1
	v_cmp_ne_u32_e32 vcc_lo, 0, v1
	s_and_b32 s13, vcc_lo, exec_lo
	s_delay_alu instid0(SALU_CYCLE_1)
	s_or_b32 s9, s9, s13
	s_or_b32 exec_lo, exec_lo, s12
	v_mov_b32_e32 v6, 0
	s_and_saveexec_b32 s12, s9
	s_cbranch_execnz .LBB151_2990
	s_branch .LBB151_2991
.LBB151_3284:
	s_or_b32 s1, s1, exec_lo
	s_trap 2
	s_cbranch_execz .LBB151_3037
	s_branch .LBB151_3038
.LBB151_3285:
	s_and_not1_saveexec_b32 s9, s9
	s_cbranch_execz .LBB151_3002
.LBB151_3286:
	v_add_f32_e32 v1, 0x42800000, v3
	s_and_not1_b32 s8, s8, exec_lo
	s_delay_alu instid0(VALU_DEP_1) | instskip(NEXT) | instid1(VALU_DEP_1)
	v_and_b32_e32 v1, 0xff, v1
	v_cmp_ne_u32_e32 vcc_lo, 0, v1
	s_and_b32 s12, vcc_lo, exec_lo
	s_delay_alu instid0(SALU_CYCLE_1)
	s_or_b32 s8, s8, s12
	s_or_b32 exec_lo, exec_lo, s9
	v_mov_b32_e32 v6, 0
	s_and_saveexec_b32 s9, s8
	s_cbranch_execnz .LBB151_3003
	s_branch .LBB151_3004
.LBB151_3287:
	s_and_not1_saveexec_b32 s12, s12
	s_cbranch_execz .LBB151_3108
.LBB151_3288:
	v_add_f32_e32 v1, 0x46000000, v4
	s_and_not1_b32 s9, s9, exec_lo
	s_delay_alu instid0(VALU_DEP_1) | instskip(NEXT) | instid1(VALU_DEP_1)
	v_and_b32_e32 v1, 0xff, v1
	v_cmp_ne_u32_e32 vcc_lo, 0, v1
	s_and_b32 s13, vcc_lo, exec_lo
	s_delay_alu instid0(SALU_CYCLE_1)
	s_or_b32 s9, s9, s13
	s_or_b32 exec_lo, exec_lo, s12
	v_mov_b32_e32 v5, 0
	s_and_saveexec_b32 s12, s9
	s_cbranch_execnz .LBB151_3109
	s_branch .LBB151_3110
.LBB151_3289:
	s_or_b32 s1, s1, exec_lo
	s_trap 2
	s_cbranch_execz .LBB151_3156
	s_branch .LBB151_3157
.LBB151_3290:
	s_and_not1_saveexec_b32 s9, s9
	s_cbranch_execz .LBB151_3121
.LBB151_3291:
	v_add_f32_e32 v1, 0x42800000, v4
	s_and_not1_b32 s8, s8, exec_lo
	s_delay_alu instid0(VALU_DEP_1) | instskip(NEXT) | instid1(VALU_DEP_1)
	v_and_b32_e32 v1, 0xff, v1
	v_cmp_ne_u32_e32 vcc_lo, 0, v1
	s_and_b32 s12, vcc_lo, exec_lo
	s_delay_alu instid0(SALU_CYCLE_1)
	s_or_b32 s8, s8, s12
	s_or_b32 exec_lo, exec_lo, s9
	v_mov_b32_e32 v5, 0
	s_and_saveexec_b32 s9, s8
	s_cbranch_execnz .LBB151_3122
	s_branch .LBB151_3123
.LBB151_3292:
	s_and_not1_saveexec_b32 s8, s8
	s_cbranch_execz .LBB151_3228
.LBB151_3293:
	v_add_f32_e32 v0, 0x46000000, v1
	s_and_not1_b32 s5, s5, exec_lo
	s_delay_alu instid0(VALU_DEP_1) | instskip(NEXT) | instid1(VALU_DEP_1)
	v_and_b32_e32 v0, 0xff, v0
	v_cmp_ne_u32_e32 vcc_lo, 0, v0
	s_and_b32 s9, vcc_lo, exec_lo
	s_delay_alu instid0(SALU_CYCLE_1)
	s_or_b32 s5, s5, s9
	s_or_b32 exec_lo, exec_lo, s8
	v_mov_b32_e32 v4, 0
	s_and_saveexec_b32 s8, s5
	s_cbranch_execnz .LBB151_3229
	s_branch .LBB151_3230
.LBB151_3294:
	s_mov_b32 s3, 0
	s_or_b32 s1, s1, exec_lo
	s_trap 2
	s_branch .LBB151_3274
.LBB151_3295:
	s_and_not1_saveexec_b32 s5, s5
	s_cbranch_execz .LBB151_3240
.LBB151_3296:
	v_add_f32_e32 v0, 0x42800000, v1
	s_and_not1_b32 s4, s4, exec_lo
	s_delay_alu instid0(VALU_DEP_1) | instskip(NEXT) | instid1(VALU_DEP_1)
	v_and_b32_e32 v0, 0xff, v0
	v_cmp_ne_u32_e32 vcc_lo, 0, v0
	s_and_b32 s8, vcc_lo, exec_lo
	s_delay_alu instid0(SALU_CYCLE_1)
	s_or_b32 s4, s4, s8
	s_or_b32 exec_lo, exec_lo, s5
	v_mov_b32_e32 v4, 0
	s_and_saveexec_b32 s5, s4
	s_cbranch_execnz .LBB151_3241
	s_branch .LBB151_3242
	.section	.rodata,"a",@progbits
	.p2align	6, 0x0
	.amdhsa_kernel _ZN2at6native32elementwise_kernel_manual_unrollILi128ELi4EZNS0_15gpu_kernel_implINS0_13BinaryFunctorIN3c107complexINS4_4HalfEEES7_bNS0_12_GLOBAL__N_116CompareEqFunctorIS7_EEEEEEvRNS_18TensorIteratorBaseERKT_EUlibE0_EEviT1_
		.amdhsa_group_segment_fixed_size 0
		.amdhsa_private_segment_fixed_size 0
		.amdhsa_kernarg_size 432
		.amdhsa_user_sgpr_count 2
		.amdhsa_user_sgpr_dispatch_ptr 0
		.amdhsa_user_sgpr_queue_ptr 0
		.amdhsa_user_sgpr_kernarg_segment_ptr 1
		.amdhsa_user_sgpr_dispatch_id 0
		.amdhsa_user_sgpr_kernarg_preload_length 0
		.amdhsa_user_sgpr_kernarg_preload_offset 0
		.amdhsa_user_sgpr_private_segment_size 0
		.amdhsa_wavefront_size32 1
		.amdhsa_uses_dynamic_stack 0
		.amdhsa_enable_private_segment 0
		.amdhsa_system_sgpr_workgroup_id_x 1
		.amdhsa_system_sgpr_workgroup_id_y 0
		.amdhsa_system_sgpr_workgroup_id_z 0
		.amdhsa_system_sgpr_workgroup_info 0
		.amdhsa_system_vgpr_workitem_id 0
		.amdhsa_next_free_vgpr 28
		.amdhsa_next_free_sgpr 62
		.amdhsa_named_barrier_count 0
		.amdhsa_reserve_vcc 1
		.amdhsa_float_round_mode_32 0
		.amdhsa_float_round_mode_16_64 0
		.amdhsa_float_denorm_mode_32 3
		.amdhsa_float_denorm_mode_16_64 3
		.amdhsa_fp16_overflow 0
		.amdhsa_memory_ordered 1
		.amdhsa_forward_progress 1
		.amdhsa_inst_pref_size 255
		.amdhsa_round_robin_scheduling 0
		.amdhsa_exception_fp_ieee_invalid_op 0
		.amdhsa_exception_fp_denorm_src 0
		.amdhsa_exception_fp_ieee_div_zero 0
		.amdhsa_exception_fp_ieee_overflow 0
		.amdhsa_exception_fp_ieee_underflow 0
		.amdhsa_exception_fp_ieee_inexact 0
		.amdhsa_exception_int_div_zero 0
	.end_amdhsa_kernel
	.section	.text._ZN2at6native32elementwise_kernel_manual_unrollILi128ELi4EZNS0_15gpu_kernel_implINS0_13BinaryFunctorIN3c107complexINS4_4HalfEEES7_bNS0_12_GLOBAL__N_116CompareEqFunctorIS7_EEEEEEvRNS_18TensorIteratorBaseERKT_EUlibE0_EEviT1_,"axG",@progbits,_ZN2at6native32elementwise_kernel_manual_unrollILi128ELi4EZNS0_15gpu_kernel_implINS0_13BinaryFunctorIN3c107complexINS4_4HalfEEES7_bNS0_12_GLOBAL__N_116CompareEqFunctorIS7_EEEEEEvRNS_18TensorIteratorBaseERKT_EUlibE0_EEviT1_,comdat
.Lfunc_end151:
	.size	_ZN2at6native32elementwise_kernel_manual_unrollILi128ELi4EZNS0_15gpu_kernel_implINS0_13BinaryFunctorIN3c107complexINS4_4HalfEEES7_bNS0_12_GLOBAL__N_116CompareEqFunctorIS7_EEEEEEvRNS_18TensorIteratorBaseERKT_EUlibE0_EEviT1_, .Lfunc_end151-_ZN2at6native32elementwise_kernel_manual_unrollILi128ELi4EZNS0_15gpu_kernel_implINS0_13BinaryFunctorIN3c107complexINS4_4HalfEEES7_bNS0_12_GLOBAL__N_116CompareEqFunctorIS7_EEEEEEvRNS_18TensorIteratorBaseERKT_EUlibE0_EEviT1_
                                        ; -- End function
	.set _ZN2at6native32elementwise_kernel_manual_unrollILi128ELi4EZNS0_15gpu_kernel_implINS0_13BinaryFunctorIN3c107complexINS4_4HalfEEES7_bNS0_12_GLOBAL__N_116CompareEqFunctorIS7_EEEEEEvRNS_18TensorIteratorBaseERKT_EUlibE0_EEviT1_.num_vgpr, 28
	.set _ZN2at6native32elementwise_kernel_manual_unrollILi128ELi4EZNS0_15gpu_kernel_implINS0_13BinaryFunctorIN3c107complexINS4_4HalfEEES7_bNS0_12_GLOBAL__N_116CompareEqFunctorIS7_EEEEEEvRNS_18TensorIteratorBaseERKT_EUlibE0_EEviT1_.num_agpr, 0
	.set _ZN2at6native32elementwise_kernel_manual_unrollILi128ELi4EZNS0_15gpu_kernel_implINS0_13BinaryFunctorIN3c107complexINS4_4HalfEEES7_bNS0_12_GLOBAL__N_116CompareEqFunctorIS7_EEEEEEvRNS_18TensorIteratorBaseERKT_EUlibE0_EEviT1_.numbered_sgpr, 62
	.set _ZN2at6native32elementwise_kernel_manual_unrollILi128ELi4EZNS0_15gpu_kernel_implINS0_13BinaryFunctorIN3c107complexINS4_4HalfEEES7_bNS0_12_GLOBAL__N_116CompareEqFunctorIS7_EEEEEEvRNS_18TensorIteratorBaseERKT_EUlibE0_EEviT1_.num_named_barrier, 0
	.set _ZN2at6native32elementwise_kernel_manual_unrollILi128ELi4EZNS0_15gpu_kernel_implINS0_13BinaryFunctorIN3c107complexINS4_4HalfEEES7_bNS0_12_GLOBAL__N_116CompareEqFunctorIS7_EEEEEEvRNS_18TensorIteratorBaseERKT_EUlibE0_EEviT1_.private_seg_size, 0
	.set _ZN2at6native32elementwise_kernel_manual_unrollILi128ELi4EZNS0_15gpu_kernel_implINS0_13BinaryFunctorIN3c107complexINS4_4HalfEEES7_bNS0_12_GLOBAL__N_116CompareEqFunctorIS7_EEEEEEvRNS_18TensorIteratorBaseERKT_EUlibE0_EEviT1_.uses_vcc, 1
	.set _ZN2at6native32elementwise_kernel_manual_unrollILi128ELi4EZNS0_15gpu_kernel_implINS0_13BinaryFunctorIN3c107complexINS4_4HalfEEES7_bNS0_12_GLOBAL__N_116CompareEqFunctorIS7_EEEEEEvRNS_18TensorIteratorBaseERKT_EUlibE0_EEviT1_.uses_flat_scratch, 0
	.set _ZN2at6native32elementwise_kernel_manual_unrollILi128ELi4EZNS0_15gpu_kernel_implINS0_13BinaryFunctorIN3c107complexINS4_4HalfEEES7_bNS0_12_GLOBAL__N_116CompareEqFunctorIS7_EEEEEEvRNS_18TensorIteratorBaseERKT_EUlibE0_EEviT1_.has_dyn_sized_stack, 0
	.set _ZN2at6native32elementwise_kernel_manual_unrollILi128ELi4EZNS0_15gpu_kernel_implINS0_13BinaryFunctorIN3c107complexINS4_4HalfEEES7_bNS0_12_GLOBAL__N_116CompareEqFunctorIS7_EEEEEEvRNS_18TensorIteratorBaseERKT_EUlibE0_EEviT1_.has_recursion, 0
	.set _ZN2at6native32elementwise_kernel_manual_unrollILi128ELi4EZNS0_15gpu_kernel_implINS0_13BinaryFunctorIN3c107complexINS4_4HalfEEES7_bNS0_12_GLOBAL__N_116CompareEqFunctorIS7_EEEEEEvRNS_18TensorIteratorBaseERKT_EUlibE0_EEviT1_.has_indirect_call, 0
	.section	.AMDGPU.csdata,"",@progbits
; Kernel info:
; codeLenInByte = 74264
; TotalNumSgprs: 64
; NumVgprs: 28
; ScratchSize: 0
; MemoryBound: 0
; FloatMode: 240
; IeeeMode: 1
; LDSByteSize: 0 bytes/workgroup (compile time only)
; SGPRBlocks: 0
; VGPRBlocks: 1
; NumSGPRsForWavesPerEU: 64
; NumVGPRsForWavesPerEU: 28
; NamedBarCnt: 0
; Occupancy: 16
; WaveLimiterHint : 1
; COMPUTE_PGM_RSRC2:SCRATCH_EN: 0
; COMPUTE_PGM_RSRC2:USER_SGPR: 2
; COMPUTE_PGM_RSRC2:TRAP_HANDLER: 0
; COMPUTE_PGM_RSRC2:TGID_X_EN: 1
; COMPUTE_PGM_RSRC2:TGID_Y_EN: 0
; COMPUTE_PGM_RSRC2:TGID_Z_EN: 0
; COMPUTE_PGM_RSRC2:TIDIG_COMP_CNT: 0
	.section	.text._ZN2at6native29vectorized_elementwise_kernelILi16ENS0_13AUnaryFunctorIN3c107complexINS3_4HalfEEES6_bNS0_12_GLOBAL__N_116CompareEqFunctorIS6_EEEESt5arrayIPcLm2EEEEviT0_T1_,"axG",@progbits,_ZN2at6native29vectorized_elementwise_kernelILi16ENS0_13AUnaryFunctorIN3c107complexINS3_4HalfEEES6_bNS0_12_GLOBAL__N_116CompareEqFunctorIS6_EEEESt5arrayIPcLm2EEEEviT0_T1_,comdat
	.globl	_ZN2at6native29vectorized_elementwise_kernelILi16ENS0_13AUnaryFunctorIN3c107complexINS3_4HalfEEES6_bNS0_12_GLOBAL__N_116CompareEqFunctorIS6_EEEESt5arrayIPcLm2EEEEviT0_T1_ ; -- Begin function _ZN2at6native29vectorized_elementwise_kernelILi16ENS0_13AUnaryFunctorIN3c107complexINS3_4HalfEEES6_bNS0_12_GLOBAL__N_116CompareEqFunctorIS6_EEEESt5arrayIPcLm2EEEEviT0_T1_
	.p2align	8
	.type	_ZN2at6native29vectorized_elementwise_kernelILi16ENS0_13AUnaryFunctorIN3c107complexINS3_4HalfEEES6_bNS0_12_GLOBAL__N_116CompareEqFunctorIS6_EEEESt5arrayIPcLm2EEEEviT0_T1_,@function
_ZN2at6native29vectorized_elementwise_kernelILi16ENS0_13AUnaryFunctorIN3c107complexINS3_4HalfEEES6_bNS0_12_GLOBAL__N_116CompareEqFunctorIS6_EEEESt5arrayIPcLm2EEEEviT0_T1_: ; @_ZN2at6native29vectorized_elementwise_kernelILi16ENS0_13AUnaryFunctorIN3c107complexINS3_4HalfEEES6_bNS0_12_GLOBAL__N_116CompareEqFunctorIS6_EEEESt5arrayIPcLm2EEEEviT0_T1_
; %bb.0:
	s_clause 0x1
	s_load_b96 s[8:10], s[0:1], 0x0
	s_load_b128 s[4:7], s[0:1], 0x10
	s_wait_xcnt 0x0
	s_bfe_u32 s0, ttmp6, 0x4000c
	s_and_b32 s1, ttmp6, 15
	s_add_co_i32 s0, s0, 1
	s_getreg_b32 s2, hwreg(HW_REG_IB_STS2, 6, 4)
	s_mul_i32 s0, ttmp9, s0
	s_delay_alu instid0(SALU_CYCLE_1) | instskip(SKIP_2) | instid1(SALU_CYCLE_1)
	s_add_co_i32 s1, s1, s0
	s_cmp_eq_u32 s2, 0
	s_cselect_b32 s0, ttmp9, s1
	s_lshl_b32 s2, s0, 12
	s_mov_b32 s0, -1
	s_wait_kmcnt 0x0
	s_sub_co_i32 s8, s8, s2
	s_delay_alu instid0(SALU_CYCLE_1)
	s_cmp_gt_i32 s8, 0xfff
	s_cbranch_scc0 .LBB152_50
; %bb.1:
	s_ashr_i32 s3, s2, 31
	v_lshlrev_b32_e32 v1, 6, v0
	s_lshl_b64 s[0:1], s[2:3], 2
	s_lshr_b32 s11, s10, 16
	s_add_nc_u64 s[0:1], s[6:7], s[0:1]
	s_cmp_lg_u32 s9, 0
	s_clause 0x3
	global_load_b128 v[14:17], v1, s[0:1]
	global_load_b128 v[10:13], v1, s[0:1] offset:16
	global_load_b128 v[2:5], v1, s[0:1] offset:48
	;; [unrolled: 1-line block ×3, first 2 shown]
	s_cselect_b32 s12, -1, 0
	s_delay_alu instid0(SALU_CYCLE_1)
	s_and_b32 vcc_lo, exec_lo, s12
	s_wait_loadcnt 0x3
	s_wait_xcnt 0x0
	v_lshrrev_b32_e32 v1, 16, v14
	s_cbranch_vccz .LBB152_196
; %bb.2:
	v_cmp_neq_f16_e32 vcc_lo, s10, v14
	s_delay_alu instid0(VALU_DEP_2)
	v_cmp_neq_f16_e64 s0, s11, v1
	s_or_b32 s1, vcc_lo, s0
	s_cbranch_execnz .LBB152_4
.LBB152_3:
	v_cmp_eq_f16_e32 vcc_lo, s10, v14
	s_delay_alu instid0(VALU_DEP_2) | instskip(SKIP_2) | instid1(SALU_CYCLE_1)
	v_cmp_eq_f16_e64 s0, s11, v1
	s_and_not1_b32 s1, s1, exec_lo
	s_and_b32 s0, vcc_lo, s0
	s_and_b32 s0, s0, exec_lo
	s_delay_alu instid0(SALU_CYCLE_1)
	s_or_b32 s1, s1, s0
.LBB152_4:
	v_cndmask_b32_e64 v1, 0, 1, s12
	v_lshrrev_b32_e32 v14, 16, v15
	s_and_not1_b32 vcc_lo, exec_lo, s12
	s_cbranch_vccnz .LBB152_197
; %bb.5:
	v_cmp_neq_f16_e32 vcc_lo, s10, v15
	s_delay_alu instid0(VALU_DEP_2)
	v_cmp_neq_f16_e64 s0, s11, v14
	s_or_b32 s12, vcc_lo, s0
	s_cbranch_execnz .LBB152_7
.LBB152_6:
	v_cmp_eq_f16_e32 vcc_lo, s10, v15
	v_cmp_eq_f16_e64 s0, s11, v14
	s_and_not1_b32 s12, s12, exec_lo
	s_and_b32 s0, vcc_lo, s0
	s_delay_alu instid0(SALU_CYCLE_1) | instskip(NEXT) | instid1(SALU_CYCLE_1)
	s_and_b32 s0, s0, exec_lo
	s_or_b32 s12, s12, s0
.LBB152_7:
	v_cmp_ne_u32_e32 vcc_lo, 1, v1
	v_lshrrev_b32_e32 v14, 16, v16
	s_cbranch_vccnz .LBB152_198
; %bb.8:
	v_cmp_neq_f16_e32 vcc_lo, s10, v16
	s_delay_alu instid0(VALU_DEP_2)
	v_cmp_neq_f16_e64 s0, s11, v14
	s_or_b32 s13, vcc_lo, s0
	s_cbranch_execnz .LBB152_10
.LBB152_9:
	v_cmp_eq_f16_e32 vcc_lo, s10, v16
	s_delay_alu instid0(VALU_DEP_2) | instskip(SKIP_2) | instid1(SALU_CYCLE_1)
	v_cmp_eq_f16_e64 s0, s11, v14
	s_and_not1_b32 s13, s13, exec_lo
	s_and_b32 s0, vcc_lo, s0
	s_and_b32 s0, s0, exec_lo
	s_delay_alu instid0(SALU_CYCLE_1)
	s_or_b32 s13, s13, s0
.LBB152_10:
	v_cmp_ne_u32_e32 vcc_lo, 1, v1
	v_lshrrev_b32_e32 v14, 16, v17
	s_cbranch_vccnz .LBB152_199
; %bb.11:
	v_cmp_neq_f16_e32 vcc_lo, s10, v17
	s_delay_alu instid0(VALU_DEP_2)
	v_cmp_neq_f16_e64 s0, s11, v14
	s_or_b32 s14, vcc_lo, s0
	s_cbranch_execnz .LBB152_13
.LBB152_12:
	v_cmp_eq_f16_e32 vcc_lo, s10, v17
	s_delay_alu instid0(VALU_DEP_2) | instskip(SKIP_2) | instid1(SALU_CYCLE_1)
	v_cmp_eq_f16_e64 s0, s11, v14
	s_and_not1_b32 s14, s14, exec_lo
	s_and_b32 s0, vcc_lo, s0
	s_and_b32 s0, s0, exec_lo
	s_delay_alu instid0(SALU_CYCLE_1)
	s_or_b32 s14, s14, s0
.LBB152_13:
	v_cmp_ne_u32_e32 vcc_lo, 1, v1
	s_wait_loadcnt 0x2
	v_lshrrev_b32_e32 v14, 16, v10
	s_cbranch_vccnz .LBB152_200
; %bb.14:
	v_cmp_neq_f16_e32 vcc_lo, s10, v10
	s_delay_alu instid0(VALU_DEP_2)
	v_cmp_neq_f16_e64 s0, s11, v14
	s_or_b32 s15, vcc_lo, s0
	s_cbranch_execnz .LBB152_16
.LBB152_15:
	v_cmp_eq_f16_e32 vcc_lo, s10, v10
	s_delay_alu instid0(VALU_DEP_2) | instskip(SKIP_2) | instid1(SALU_CYCLE_1)
	v_cmp_eq_f16_e64 s0, s11, v14
	s_and_not1_b32 s15, s15, exec_lo
	s_and_b32 s0, vcc_lo, s0
	s_and_b32 s0, s0, exec_lo
	s_delay_alu instid0(SALU_CYCLE_1)
	s_or_b32 s15, s15, s0
.LBB152_16:
	v_cmp_ne_u32_e32 vcc_lo, 1, v1
	v_lshrrev_b32_e32 v10, 16, v11
	s_cbranch_vccnz .LBB152_201
; %bb.17:
	v_cmp_neq_f16_e32 vcc_lo, s10, v11
	s_delay_alu instid0(VALU_DEP_2)
	v_cmp_neq_f16_e64 s0, s11, v10
	s_or_b32 s16, vcc_lo, s0
	s_cbranch_execnz .LBB152_19
.LBB152_18:
	v_cmp_eq_f16_e32 vcc_lo, s10, v11
	s_delay_alu instid0(VALU_DEP_2) | instskip(SKIP_2) | instid1(SALU_CYCLE_1)
	v_cmp_eq_f16_e64 s0, s11, v10
	s_and_not1_b32 s16, s16, exec_lo
	s_and_b32 s0, vcc_lo, s0
	s_and_b32 s0, s0, exec_lo
	s_delay_alu instid0(SALU_CYCLE_1)
	s_or_b32 s16, s16, s0
.LBB152_19:
	v_cmp_ne_u32_e32 vcc_lo, 1, v1
	v_lshrrev_b32_e32 v10, 16, v12
	s_cbranch_vccnz .LBB152_202
; %bb.20:
	v_cmp_neq_f16_e32 vcc_lo, s10, v12
	s_delay_alu instid0(VALU_DEP_2)
	v_cmp_neq_f16_e64 s0, s11, v10
	s_or_b32 s17, vcc_lo, s0
	s_cbranch_execnz .LBB152_22
.LBB152_21:
	v_cmp_eq_f16_e32 vcc_lo, s10, v12
	s_delay_alu instid0(VALU_DEP_2) | instskip(SKIP_2) | instid1(SALU_CYCLE_1)
	v_cmp_eq_f16_e64 s0, s11, v10
	s_and_not1_b32 s17, s17, exec_lo
	s_and_b32 s0, vcc_lo, s0
	s_and_b32 s0, s0, exec_lo
	s_delay_alu instid0(SALU_CYCLE_1)
	s_or_b32 s17, s17, s0
.LBB152_22:
	v_cmp_ne_u32_e32 vcc_lo, 1, v1
	v_lshrrev_b32_e32 v10, 16, v13
	s_cbranch_vccnz .LBB152_203
; %bb.23:
	v_cmp_neq_f16_e32 vcc_lo, s10, v13
	s_delay_alu instid0(VALU_DEP_2)
	v_cmp_neq_f16_e64 s0, s11, v10
	s_or_b32 s19, vcc_lo, s0
	s_cbranch_execnz .LBB152_25
.LBB152_24:
	v_cmp_eq_f16_e32 vcc_lo, s10, v13
	s_delay_alu instid0(VALU_DEP_2) | instskip(SKIP_2) | instid1(SALU_CYCLE_1)
	v_cmp_eq_f16_e64 s0, s11, v10
	s_and_not1_b32 s18, s19, exec_lo
	s_and_b32 s0, vcc_lo, s0
	s_and_b32 s0, s0, exec_lo
	s_delay_alu instid0(SALU_CYCLE_1)
	s_or_b32 s19, s18, s0
.LBB152_25:
	v_cmp_ne_u32_e32 vcc_lo, 1, v1
	s_wait_loadcnt 0x0
	v_lshrrev_b32_e32 v10, 16, v6
	s_cbranch_vccnz .LBB152_204
; %bb.26:
	v_cmp_neq_f16_e32 vcc_lo, s10, v6
	s_delay_alu instid0(VALU_DEP_2)
	v_cmp_neq_f16_e64 s0, s11, v10
	s_or_b32 s18, vcc_lo, s0
	s_cbranch_execnz .LBB152_28
.LBB152_27:
	v_cmp_eq_f16_e32 vcc_lo, s10, v6
	s_delay_alu instid0(VALU_DEP_2) | instskip(SKIP_2) | instid1(SALU_CYCLE_1)
	v_cmp_eq_f16_e64 s0, s11, v10
	s_and_not1_b32 s18, s18, exec_lo
	s_and_b32 s0, vcc_lo, s0
	s_and_b32 s0, s0, exec_lo
	s_delay_alu instid0(SALU_CYCLE_1)
	s_or_b32 s18, s18, s0
.LBB152_28:
	v_cmp_ne_u32_e32 vcc_lo, 1, v1
	v_lshrrev_b32_e32 v6, 16, v7
	s_cbranch_vccnz .LBB152_205
; %bb.29:
	v_cmp_neq_f16_e32 vcc_lo, s10, v7
	s_delay_alu instid0(VALU_DEP_2)
	v_cmp_neq_f16_e64 s0, s11, v6
	s_or_b32 s20, vcc_lo, s0
	s_cbranch_execnz .LBB152_31
.LBB152_30:
	v_cmp_eq_f16_e32 vcc_lo, s10, v7
	s_delay_alu instid0(VALU_DEP_2) | instskip(SKIP_2) | instid1(SALU_CYCLE_1)
	v_cmp_eq_f16_e64 s0, s11, v6
	s_and_not1_b32 s20, s20, exec_lo
	s_and_b32 s0, vcc_lo, s0
	s_and_b32 s0, s0, exec_lo
	s_delay_alu instid0(SALU_CYCLE_1)
	s_or_b32 s20, s20, s0
.LBB152_31:
	v_cmp_ne_u32_e32 vcc_lo, 1, v1
	v_lshrrev_b32_e32 v6, 16, v8
	s_cbranch_vccnz .LBB152_206
; %bb.32:
	v_cmp_neq_f16_e32 vcc_lo, s10, v8
	s_delay_alu instid0(VALU_DEP_2)
	v_cmp_neq_f16_e64 s0, s11, v6
	s_or_b32 s21, vcc_lo, s0
	s_cbranch_execnz .LBB152_34
.LBB152_33:
	v_cmp_eq_f16_e32 vcc_lo, s10, v8
	s_delay_alu instid0(VALU_DEP_2) | instskip(SKIP_2) | instid1(SALU_CYCLE_1)
	v_cmp_eq_f16_e64 s0, s11, v6
	s_and_not1_b32 s21, s21, exec_lo
	s_and_b32 s0, vcc_lo, s0
	s_and_b32 s0, s0, exec_lo
	s_delay_alu instid0(SALU_CYCLE_1)
	s_or_b32 s21, s21, s0
.LBB152_34:
	v_cmp_ne_u32_e32 vcc_lo, 1, v1
	v_lshrrev_b32_e32 v6, 16, v9
	s_cbranch_vccnz .LBB152_207
; %bb.35:
	v_cmp_neq_f16_e32 vcc_lo, s10, v9
	s_delay_alu instid0(VALU_DEP_2)
	v_cmp_neq_f16_e64 s0, s11, v6
	s_or_b32 s22, vcc_lo, s0
	s_cbranch_execnz .LBB152_37
.LBB152_36:
	v_cmp_eq_f16_e32 vcc_lo, s10, v9
	s_delay_alu instid0(VALU_DEP_2) | instskip(SKIP_2) | instid1(SALU_CYCLE_1)
	v_cmp_eq_f16_e64 s0, s11, v6
	s_and_not1_b32 s22, s22, exec_lo
	s_and_b32 s0, vcc_lo, s0
	s_and_b32 s0, s0, exec_lo
	s_delay_alu instid0(SALU_CYCLE_1)
	s_or_b32 s22, s22, s0
.LBB152_37:
	v_cmp_ne_u32_e32 vcc_lo, 1, v1
	v_lshrrev_b32_e32 v6, 16, v2
	s_cbranch_vccnz .LBB152_208
; %bb.38:
	v_cmp_neq_f16_e32 vcc_lo, s10, v2
	s_delay_alu instid0(VALU_DEP_2)
	v_cmp_neq_f16_e64 s0, s11, v6
	s_or_b32 s23, vcc_lo, s0
	s_cbranch_execnz .LBB152_40
.LBB152_39:
	v_cmp_eq_f16_e32 vcc_lo, s10, v2
	s_delay_alu instid0(VALU_DEP_2) | instskip(SKIP_2) | instid1(SALU_CYCLE_1)
	v_cmp_eq_f16_e64 s0, s11, v6
	s_and_not1_b32 s23, s23, exec_lo
	s_and_b32 s0, vcc_lo, s0
	s_and_b32 s0, s0, exec_lo
	s_delay_alu instid0(SALU_CYCLE_1)
	s_or_b32 s23, s23, s0
.LBB152_40:
	v_cmp_ne_u32_e32 vcc_lo, 1, v1
	v_lshrrev_b32_e32 v2, 16, v3
	s_cbranch_vccnz .LBB152_209
; %bb.41:
	v_cmp_neq_f16_e32 vcc_lo, s10, v3
	s_delay_alu instid0(VALU_DEP_2)
	v_cmp_neq_f16_e64 s0, s11, v2
	s_or_b32 s24, vcc_lo, s0
	s_cbranch_execnz .LBB152_43
.LBB152_42:
	v_cmp_eq_f16_e32 vcc_lo, s10, v3
	s_delay_alu instid0(VALU_DEP_2) | instskip(SKIP_2) | instid1(SALU_CYCLE_1)
	v_cmp_eq_f16_e64 s0, s11, v2
	s_and_not1_b32 s24, s24, exec_lo
	s_and_b32 s0, vcc_lo, s0
	s_and_b32 s0, s0, exec_lo
	s_delay_alu instid0(SALU_CYCLE_1)
	s_or_b32 s24, s24, s0
.LBB152_43:
	v_cmp_ne_u32_e32 vcc_lo, 1, v1
	v_lshrrev_b32_e32 v2, 16, v4
	s_cbranch_vccnz .LBB152_210
; %bb.44:
	v_cmp_neq_f16_e32 vcc_lo, s10, v4
	s_delay_alu instid0(VALU_DEP_2)
	v_cmp_neq_f16_e64 s0, s11, v2
	s_or_b32 s25, vcc_lo, s0
	s_cbranch_execnz .LBB152_46
.LBB152_45:
	v_cmp_eq_f16_e32 vcc_lo, s10, v4
	s_delay_alu instid0(VALU_DEP_2) | instskip(SKIP_2) | instid1(SALU_CYCLE_1)
	v_cmp_eq_f16_e64 s0, s11, v2
	s_and_not1_b32 s25, s25, exec_lo
	s_and_b32 s0, vcc_lo, s0
	s_and_b32 s0, s0, exec_lo
	s_delay_alu instid0(SALU_CYCLE_1)
	s_or_b32 s25, s25, s0
.LBB152_46:
	v_cmp_ne_u32_e32 vcc_lo, 1, v1
	v_lshrrev_b32_e32 v1, 16, v5
	s_cbranch_vccnz .LBB152_211
; %bb.47:
	v_cmp_neq_f16_e32 vcc_lo, s10, v5
	s_delay_alu instid0(VALU_DEP_2)
	v_cmp_neq_f16_e64 s0, s11, v1
	s_or_b32 s26, vcc_lo, s0
	s_cbranch_execnz .LBB152_49
.LBB152_48:
	v_cmp_eq_f16_e32 vcc_lo, s10, v5
	s_delay_alu instid0(VALU_DEP_2) | instskip(SKIP_2) | instid1(SALU_CYCLE_1)
	v_cmp_eq_f16_e64 s0, s11, v1
	s_and_not1_b32 s11, s26, exec_lo
	s_and_b32 s0, vcc_lo, s0
	s_and_b32 s0, s0, exec_lo
	s_delay_alu instid0(SALU_CYCLE_1)
	s_or_b32 s26, s11, s0
.LBB152_49:
	v_cndmask_b32_e64 v1, 0, 1, s16
	v_cndmask_b32_e64 v2, 0, 1, s19
	;; [unrolled: 1-line block ×5, first 2 shown]
	v_lshlrev_b16 v1, 8, v1
	v_lshlrev_b16 v2, 8, v2
	v_cndmask_b32_e64 v6, 0, 1, s1
	v_lshlrev_b16 v4, 8, v4
	v_cndmask_b32_e64 v7, 0, 1, s26
	v_cndmask_b32_e64 v8, 0, 1, s20
	v_or_b32_e32 v2, v5, v2
	v_or_b32_e32 v1, v3, v1
	v_or_b32_e32 v3, v6, v4
	v_cndmask_b32_e64 v4, 0, 1, s14
	v_cndmask_b32_e64 v5, 0, 1, s24
	;; [unrolled: 1-line block ×4, first 2 shown]
	v_and_b32_e32 v6, 0xffff, v3
	v_lshlrev_b16 v3, 8, v4
	v_cndmask_b32_e64 v4, 0, 1, s13
	v_lshlrev_b16 v5, 8, v5
	v_lshlrev_b16 v7, 8, v7
	v_cndmask_b32_e64 v11, 0, 1, s25
	v_lshlrev_b16 v8, 8, v8
	v_cndmask_b32_e64 v12, 0, 1, s18
	;; [unrolled: 2-line block ×3, first 2 shown]
	v_or_b32_e32 v3, v4, v3
	v_or_b32_e32 v4, v9, v5
	;; [unrolled: 1-line block ×5, first 2 shown]
	s_add_nc_u64 s[12:13], s[4:5], s[2:3]
	v_and_b32_e32 v4, 0xffff, v4
	v_lshlrev_b32_e32 v5, 16, v5
	v_and_b32_e32 v7, 0xffff, v7
	v_dual_lshlrev_b32 v8, 16, v8 :: v_dual_lshlrev_b32 v9, 16, v3
	v_lshlrev_b32_e32 v2, 16, v2
	v_and_b32_e32 v1, 0xffff, v1
	v_or_b32_e32 v5, v4, v5
	s_delay_alu instid0(VALU_DEP_4) | instskip(SKIP_1) | instid1(VALU_DEP_3)
	v_or_b32_e32 v4, v7, v8
	s_mov_b32 s0, 0
	v_or_b32_e32 v3, v1, v2
	v_or_b32_e32 v2, v6, v9
	global_store_b128 v0, v[2:5], s[12:13] scale_offset
.LBB152_50:
	s_and_b32 vcc_lo, exec_lo, s0
	s_cbranch_vccz .LBB152_195
; %bb.51:
	v_cmp_gt_i32_e64 s0, s8, v0
	v_dual_mov_b32 v7, 0 :: v_dual_bitop2_b32 v1, s2, v0 bitop3:0x54
	v_or_b32_e32 v6, 0x100, v0
	v_dual_mov_b32 v8, 0 :: v_dual_mov_b32 v9, 0
	v_dual_mov_b32 v10, 0 :: v_dual_mov_b32 v11, 0
	;; [unrolled: 1-line block ×6, first 2 shown]
	s_wait_xcnt 0x0
	v_dual_mov_b32 v3, 0 :: v_dual_mov_b32 v19, 0
	v_mov_b32_e32 v20, 0
	s_and_saveexec_b32 s1, s0
	s_cbranch_execz .LBB152_83
; %bb.52:
	global_load_b32 v20, v1, s[6:7] scale_offset
	v_or_b32_e32 v2, 0x100, v0
	v_dual_mov_b32 v19, 0 :: v_dual_mov_b32 v3, 0
	v_dual_mov_b32 v21, 0 :: v_dual_mov_b32 v18, 0
	v_dual_mov_b32 v17, 0 :: v_dual_mov_b32 v16, 0
	v_dual_mov_b32 v15, 0 :: v_dual_mov_b32 v14, 0
	v_dual_mov_b32 v13, 0 :: v_dual_mov_b32 v12, 0
	v_dual_mov_b32 v11, 0 :: v_dual_mov_b32 v10, 0
	v_dual_mov_b32 v9, 0 :: v_dual_mov_b32 v8, 0
	v_mov_b32_e32 v7, 0
	s_mov_b32 s3, exec_lo
	s_wait_xcnt 0x0
	v_cmpx_gt_u32_e64 s8, v2
	s_cbranch_execz .LBB152_82
; %bb.53:
	v_dual_mov_b32 v3, 0 :: v_dual_add_nc_u32 v2, s2, v0
	v_or_b32_e32 v4, 0x200, v0
	v_dual_mov_b32 v21, 0 :: v_dual_mov_b32 v18, 0
	global_load_b32 v19, v2, s[6:7] offset:1024 scale_offset
	v_dual_mov_b32 v17, 0 :: v_dual_mov_b32 v16, 0
	v_dual_mov_b32 v15, 0 :: v_dual_mov_b32 v14, 0
	;; [unrolled: 1-line block ×5, first 2 shown]
	v_mov_b32_e32 v7, 0
	s_mov_b32 s11, exec_lo
	s_wait_xcnt 0x0
	v_cmpx_gt_u32_e64 s8, v4
	s_cbranch_execz .LBB152_81
; %bb.54:
	v_lshl_add_u64 v[4:5], v[2:3], 2, s[6:7]
	v_or_b32_e32 v7, 0x300, v0
	v_dual_mov_b32 v18, 0 :: v_dual_mov_b32 v17, 0
	v_dual_mov_b32 v16, 0 :: v_dual_mov_b32 v15, 0
	global_load_b32 v2, v[4:5], off offset:2048
	v_cmp_gt_u32_e32 vcc_lo, s8, v7
	v_dual_mov_b32 v14, 0 :: v_dual_mov_b32 v13, 0
	v_dual_mov_b32 v12, 0 :: v_dual_mov_b32 v11, 0
	;; [unrolled: 1-line block ×4, first 2 shown]
	s_wait_xcnt 0x0
	s_and_saveexec_b32 s6, vcc_lo
	s_cbranch_execz .LBB152_80
; %bb.55:
	global_load_b32 v3, v[4:5], off offset:3072
	v_or_b32_e32 v7, 0x400, v0
	v_dual_mov_b32 v18, 0 :: v_dual_mov_b32 v17, 0
	v_dual_mov_b32 v16, 0 :: v_dual_mov_b32 v15, 0
	s_delay_alu instid0(VALU_DEP_3)
	v_cmp_gt_u32_e32 vcc_lo, s8, v7
	v_dual_mov_b32 v14, 0 :: v_dual_mov_b32 v13, 0
	v_dual_mov_b32 v12, 0 :: v_dual_mov_b32 v11, 0
	;; [unrolled: 1-line block ×4, first 2 shown]
	s_wait_xcnt 0x0
	s_and_saveexec_b32 s7, vcc_lo
	s_cbranch_execz .LBB152_79
; %bb.56:
	global_load_b32 v18, v[4:5], off offset:4096
	v_or_b32_e32 v7, 0x500, v0
	v_dual_mov_b32 v17, 0 :: v_dual_mov_b32 v16, 0
	v_dual_mov_b32 v15, 0 :: v_dual_mov_b32 v14, 0
	s_delay_alu instid0(VALU_DEP_3)
	v_cmp_gt_u32_e32 vcc_lo, s8, v7
	v_dual_mov_b32 v13, 0 :: v_dual_mov_b32 v12, 0
	v_dual_mov_b32 v11, 0 :: v_dual_mov_b32 v10, 0
	v_dual_mov_b32 v9, 0 :: v_dual_mov_b32 v8, 0
	v_mov_b32_e32 v7, 0
	s_wait_xcnt 0x0
	s_and_saveexec_b32 s12, vcc_lo
	s_cbranch_execz .LBB152_78
; %bb.57:
	global_load_b32 v17, v[4:5], off offset:5120
	v_or_b32_e32 v7, 0x600, v0
	v_dual_mov_b32 v16, 0 :: v_dual_mov_b32 v15, 0
	v_dual_mov_b32 v14, 0 :: v_dual_mov_b32 v13, 0
	s_delay_alu instid0(VALU_DEP_3)
	v_cmp_gt_u32_e32 vcc_lo, s8, v7
	v_dual_mov_b32 v12, 0 :: v_dual_mov_b32 v11, 0
	v_dual_mov_b32 v10, 0 :: v_dual_mov_b32 v9, 0
	;; [unrolled: 1-line block ×3, first 2 shown]
	s_wait_xcnt 0x0
	s_and_saveexec_b32 s13, vcc_lo
	s_cbranch_execz .LBB152_77
; %bb.58:
	global_load_b32 v16, v[4:5], off offset:6144
	v_or_b32_e32 v7, 0x700, v0
	v_dual_mov_b32 v15, 0 :: v_dual_mov_b32 v14, 0
	v_dual_mov_b32 v13, 0 :: v_dual_mov_b32 v12, 0
	s_delay_alu instid0(VALU_DEP_3)
	v_cmp_gt_u32_e32 vcc_lo, s8, v7
	v_dual_mov_b32 v11, 0 :: v_dual_mov_b32 v10, 0
	v_dual_mov_b32 v9, 0 :: v_dual_mov_b32 v8, 0
	v_mov_b32_e32 v7, 0
	s_wait_xcnt 0x0
	s_and_saveexec_b32 s14, vcc_lo
	s_cbranch_execz .LBB152_76
; %bb.59:
	global_load_b32 v15, v[4:5], off offset:7168
	v_or_b32_e32 v7, 0x800, v0
	v_dual_mov_b32 v14, 0 :: v_dual_mov_b32 v13, 0
	v_dual_mov_b32 v12, 0 :: v_dual_mov_b32 v11, 0
	s_delay_alu instid0(VALU_DEP_3)
	v_cmp_gt_u32_e32 vcc_lo, s8, v7
	v_dual_mov_b32 v10, 0 :: v_dual_mov_b32 v9, 0
	v_dual_mov_b32 v8, 0 :: v_dual_mov_b32 v7, 0
	s_wait_xcnt 0x0
	s_and_saveexec_b32 s15, vcc_lo
	s_cbranch_execz .LBB152_75
; %bb.60:
	global_load_b32 v14, v[4:5], off offset:8192
	v_or_b32_e32 v7, 0x900, v0
	v_dual_mov_b32 v13, 0 :: v_dual_mov_b32 v12, 0
	v_dual_mov_b32 v11, 0 :: v_dual_mov_b32 v10, 0
	s_delay_alu instid0(VALU_DEP_3)
	v_cmp_gt_u32_e32 vcc_lo, s8, v7
	v_dual_mov_b32 v9, 0 :: v_dual_mov_b32 v8, 0
	v_mov_b32_e32 v7, 0
	s_wait_xcnt 0x0
	s_and_saveexec_b32 s16, vcc_lo
	s_cbranch_execz .LBB152_74
; %bb.61:
	global_load_b32 v13, v[4:5], off offset:9216
	v_or_b32_e32 v7, 0xa00, v0
	v_dual_mov_b32 v12, 0 :: v_dual_mov_b32 v11, 0
	v_dual_mov_b32 v10, 0 :: v_dual_mov_b32 v9, 0
	s_delay_alu instid0(VALU_DEP_3)
	v_cmp_gt_u32_e32 vcc_lo, s8, v7
	v_dual_mov_b32 v8, 0 :: v_dual_mov_b32 v7, 0
	s_wait_xcnt 0x0
	s_and_saveexec_b32 s17, vcc_lo
	s_cbranch_execz .LBB152_73
; %bb.62:
	global_load_b32 v12, v[4:5], off offset:10240
	v_or_b32_e32 v7, 0xb00, v0
	v_dual_mov_b32 v11, 0 :: v_dual_mov_b32 v10, 0
	v_dual_mov_b32 v9, 0 :: v_dual_mov_b32 v8, 0
	s_delay_alu instid0(VALU_DEP_3)
	v_cmp_gt_u32_e32 vcc_lo, s8, v7
	v_mov_b32_e32 v7, 0
	s_wait_xcnt 0x0
	s_and_saveexec_b32 s18, vcc_lo
	s_cbranch_execz .LBB152_72
; %bb.63:
	global_load_b32 v11, v[4:5], off offset:11264
	v_or_b32_e32 v7, 0xc00, v0
	v_dual_mov_b32 v10, 0 :: v_dual_mov_b32 v9, 0
	v_mov_b32_e32 v8, 0
	s_delay_alu instid0(VALU_DEP_3)
	v_cmp_gt_u32_e32 vcc_lo, s8, v7
	v_mov_b32_e32 v7, 0
	s_wait_xcnt 0x0
	s_and_saveexec_b32 s19, vcc_lo
	s_cbranch_execz .LBB152_71
; %bb.64:
	global_load_b32 v10, v[4:5], off offset:12288
	v_or_b32_e32 v7, 0xd00, v0
	v_dual_mov_b32 v9, 0 :: v_dual_mov_b32 v8, 0
	s_delay_alu instid0(VALU_DEP_2)
	v_cmp_gt_u32_e32 vcc_lo, s8, v7
	v_mov_b32_e32 v7, 0
	s_wait_xcnt 0x0
	s_and_saveexec_b32 s20, vcc_lo
	s_cbranch_execz .LBB152_70
; %bb.65:
	global_load_b32 v9, v[4:5], off offset:13312
	v_or_b32_e32 v7, 0xe00, v0
	v_mov_b32_e32 v8, 0
	s_delay_alu instid0(VALU_DEP_2)
	v_cmp_gt_u32_e32 vcc_lo, s8, v7
	v_mov_b32_e32 v7, 0
	s_wait_xcnt 0x0
	s_and_saveexec_b32 s21, vcc_lo
	s_cbranch_execz .LBB152_69
; %bb.66:
	global_load_b32 v8, v[4:5], off offset:14336
	v_or_b32_e32 v7, 0xf00, v0
	s_delay_alu instid0(VALU_DEP_1)
	v_cmp_gt_u32_e32 vcc_lo, s8, v7
	v_mov_b32_e32 v7, 0
	s_wait_xcnt 0x0
	s_and_saveexec_b32 s22, vcc_lo
	s_cbranch_execz .LBB152_68
; %bb.67:
	global_load_b32 v7, v[4:5], off offset:15360
.LBB152_68:
	s_wait_xcnt 0x0
	s_or_b32 exec_lo, exec_lo, s22
.LBB152_69:
	s_delay_alu instid0(SALU_CYCLE_1)
	s_or_b32 exec_lo, exec_lo, s21
.LBB152_70:
	s_delay_alu instid0(SALU_CYCLE_1)
	s_or_b32 exec_lo, exec_lo, s20
.LBB152_71:
	s_delay_alu instid0(SALU_CYCLE_1)
	s_or_b32 exec_lo, exec_lo, s19
.LBB152_72:
	s_delay_alu instid0(SALU_CYCLE_1)
	s_or_b32 exec_lo, exec_lo, s18
.LBB152_73:
	s_delay_alu instid0(SALU_CYCLE_1)
	s_or_b32 exec_lo, exec_lo, s17
.LBB152_74:
	s_delay_alu instid0(SALU_CYCLE_1)
	s_or_b32 exec_lo, exec_lo, s16
.LBB152_75:
	s_delay_alu instid0(SALU_CYCLE_1)
	s_or_b32 exec_lo, exec_lo, s15
.LBB152_76:
	s_delay_alu instid0(SALU_CYCLE_1)
	s_or_b32 exec_lo, exec_lo, s14
.LBB152_77:
	s_delay_alu instid0(SALU_CYCLE_1)
	s_or_b32 exec_lo, exec_lo, s13
.LBB152_78:
	s_delay_alu instid0(SALU_CYCLE_1)
	s_or_b32 exec_lo, exec_lo, s12
.LBB152_79:
	s_delay_alu instid0(SALU_CYCLE_1)
	s_or_b32 exec_lo, exec_lo, s7
.LBB152_80:
	s_delay_alu instid0(SALU_CYCLE_1)
	s_or_b32 exec_lo, exec_lo, s6
	s_wait_loadcnt 0x0
	v_dual_mov_b32 v21, v3 :: v_dual_mov_b32 v3, v2
.LBB152_81:
	s_or_b32 exec_lo, exec_lo, s11
.LBB152_82:
	s_delay_alu instid0(SALU_CYCLE_1)
	s_or_b32 exec_lo, exec_lo, s3
.LBB152_83:
	s_delay_alu instid0(SALU_CYCLE_1)
	s_or_b32 exec_lo, exec_lo, s1
	s_lshr_b32 s3, s10, 16
	s_cmp_lg_u32 s9, 0
                                        ; implicit-def: $vgpr2
	s_cselect_b32 s6, -1, 0
	s_and_saveexec_b32 s7, s0
	s_cbranch_execz .LBB152_88
; %bb.84:
	s_wait_loadcnt 0x0
	v_lshrrev_b32_e32 v2, 16, v20
	s_and_b32 vcc_lo, exec_lo, s6
	s_cbranch_vccz .LBB152_212
; %bb.85:
	v_cmp_neq_f16_e32 vcc_lo, s10, v20
	s_delay_alu instid0(VALU_DEP_2)
	v_cmp_neq_f16_e64 s1, s3, v2
	s_or_b32 s9, vcc_lo, s1
	s_cbranch_execnz .LBB152_87
.LBB152_86:
	v_cmp_eq_f16_e32 vcc_lo, s10, v20
	v_cmp_eq_f16_e64 s1, s3, v2
	s_and_not1_b32 s9, s9, exec_lo
	s_and_b32 s1, vcc_lo, s1
	s_delay_alu instid0(SALU_CYCLE_1) | instskip(NEXT) | instid1(SALU_CYCLE_1)
	s_and_b32 s1, s1, exec_lo
	s_or_b32 s9, s9, s1
.LBB152_87:
	s_delay_alu instid0(SALU_CYCLE_1)
	v_cndmask_b32_e64 v2, 0, 1, s9
.LBB152_88:
	s_or_b32 exec_lo, exec_lo, s7
	v_cndmask_b32_e64 v5, 0, 1, s6
	s_mov_b32 s7, exec_lo
                                        ; implicit-def: $vgpr4
	v_cmpx_gt_i32_e64 s8, v6
	s_cbranch_execz .LBB152_93
; %bb.89:
	s_wait_loadcnt 0x0
	v_lshrrev_b32_e32 v4, 16, v19
	s_and_not1_b32 vcc_lo, exec_lo, s6
	s_cbranch_vccnz .LBB152_213
; %bb.90:
	v_cmp_neq_f16_e32 vcc_lo, s10, v19
	s_delay_alu instid0(VALU_DEP_2)
	v_cmp_neq_f16_e64 s1, s3, v4
	s_or_b32 s6, vcc_lo, s1
	s_cbranch_execnz .LBB152_92
.LBB152_91:
	v_cmp_eq_f16_e32 vcc_lo, s10, v19
	v_cmp_eq_f16_e64 s1, s3, v4
	s_and_not1_b32 s6, s6, exec_lo
	s_and_b32 s1, vcc_lo, s1
	s_delay_alu instid0(SALU_CYCLE_1) | instskip(NEXT) | instid1(SALU_CYCLE_1)
	s_and_b32 s1, s1, exec_lo
	s_or_b32 s6, s6, s1
.LBB152_92:
	s_delay_alu instid0(SALU_CYCLE_1)
	v_cndmask_b32_e64 v4, 0, 1, s6
.LBB152_93:
	s_or_b32 exec_lo, exec_lo, s7
	s_wait_loadcnt 0x0
	v_or_b32_e32 v19, 0x200, v0
	s_delay_alu instid0(VALU_DEP_1)
	v_cmp_gt_i32_e32 vcc_lo, s8, v19
                                        ; implicit-def: $vgpr19
	s_and_saveexec_b32 s6, vcc_lo
	s_cbranch_execz .LBB152_98
; %bb.94:
	v_cmp_ne_u32_e32 vcc_lo, 1, v5
	v_lshrrev_b32_e32 v19, 16, v3
	s_cbranch_vccnz .LBB152_214
; %bb.95:
	v_cmp_neq_f16_e32 vcc_lo, s10, v3
	s_delay_alu instid0(VALU_DEP_2)
	v_cmp_neq_f16_e64 s1, s3, v19
	s_or_b32 s7, vcc_lo, s1
	s_cbranch_execnz .LBB152_97
.LBB152_96:
	v_cmp_eq_f16_e32 vcc_lo, s10, v3
	s_delay_alu instid0(VALU_DEP_2) | instskip(SKIP_2) | instid1(SALU_CYCLE_1)
	v_cmp_eq_f16_e64 s1, s3, v19
	s_and_not1_b32 s7, s7, exec_lo
	s_and_b32 s1, vcc_lo, s1
	s_and_b32 s1, s1, exec_lo
	s_delay_alu instid0(SALU_CYCLE_1)
	s_or_b32 s7, s7, s1
.LBB152_97:
	s_delay_alu instid0(SALU_CYCLE_1)
	v_cndmask_b32_e64 v19, 0, 1, s7
.LBB152_98:
	s_or_b32 exec_lo, exec_lo, s6
	v_or_b32_e32 v3, 0x300, v0
	s_delay_alu instid0(VALU_DEP_1)
	v_cmp_gt_i32_e32 vcc_lo, s8, v3
                                        ; implicit-def: $vgpr3
	s_and_saveexec_b32 s6, vcc_lo
	s_cbranch_execz .LBB152_103
; %bb.99:
	v_cmp_ne_u32_e32 vcc_lo, 1, v5
	v_lshrrev_b32_e32 v3, 16, v21
	s_cbranch_vccnz .LBB152_215
; %bb.100:
	v_cmp_neq_f16_e32 vcc_lo, s10, v21
	s_delay_alu instid0(VALU_DEP_2)
	v_cmp_neq_f16_e64 s1, s3, v3
	s_or_b32 s7, vcc_lo, s1
	s_cbranch_execnz .LBB152_102
.LBB152_101:
	v_cmp_eq_f16_e32 vcc_lo, s10, v21
	s_delay_alu instid0(VALU_DEP_2) | instskip(SKIP_2) | instid1(SALU_CYCLE_1)
	v_cmp_eq_f16_e64 s1, s3, v3
	s_and_not1_b32 s7, s7, exec_lo
	s_and_b32 s1, vcc_lo, s1
	s_and_b32 s1, s1, exec_lo
	s_delay_alu instid0(SALU_CYCLE_1)
	s_or_b32 s7, s7, s1
.LBB152_102:
	s_delay_alu instid0(SALU_CYCLE_1)
	v_cndmask_b32_e64 v3, 0, 1, s7
.LBB152_103:
	s_or_b32 exec_lo, exec_lo, s6
	v_or_b32_e32 v20, 0x400, v0
	s_delay_alu instid0(VALU_DEP_1)
	v_cmp_gt_i32_e32 vcc_lo, s8, v20
                                        ; implicit-def: $vgpr20
	s_and_saveexec_b32 s6, vcc_lo
	s_cbranch_execz .LBB152_108
; %bb.104:
	v_cmp_ne_u32_e32 vcc_lo, 1, v5
	v_lshrrev_b32_e32 v20, 16, v18
	s_cbranch_vccnz .LBB152_216
; %bb.105:
	v_cmp_neq_f16_e32 vcc_lo, s10, v18
	s_delay_alu instid0(VALU_DEP_2)
	v_cmp_neq_f16_e64 s1, s3, v20
	s_or_b32 s7, vcc_lo, s1
	s_cbranch_execnz .LBB152_107
.LBB152_106:
	v_cmp_eq_f16_e32 vcc_lo, s10, v18
	s_delay_alu instid0(VALU_DEP_2) | instskip(SKIP_2) | instid1(SALU_CYCLE_1)
	v_cmp_eq_f16_e64 s1, s3, v20
	s_and_not1_b32 s7, s7, exec_lo
	s_and_b32 s1, vcc_lo, s1
	s_and_b32 s1, s1, exec_lo
	s_delay_alu instid0(SALU_CYCLE_1)
	s_or_b32 s7, s7, s1
.LBB152_107:
	s_delay_alu instid0(SALU_CYCLE_1)
	v_cndmask_b32_e64 v20, 0, 1, s7
.LBB152_108:
	s_or_b32 exec_lo, exec_lo, s6
	v_or_b32_e32 v18, 0x500, v0
	s_delay_alu instid0(VALU_DEP_1)
	v_cmp_gt_i32_e32 vcc_lo, s8, v18
                                        ; implicit-def: $vgpr18
	s_and_saveexec_b32 s6, vcc_lo
	s_cbranch_execz .LBB152_113
; %bb.109:
	v_cmp_ne_u32_e32 vcc_lo, 1, v5
	v_lshrrev_b32_e32 v18, 16, v17
	s_cbranch_vccnz .LBB152_217
; %bb.110:
	v_cmp_neq_f16_e32 vcc_lo, s10, v17
	s_delay_alu instid0(VALU_DEP_2)
	v_cmp_neq_f16_e64 s1, s3, v18
	s_or_b32 s7, vcc_lo, s1
	s_cbranch_execnz .LBB152_112
.LBB152_111:
	v_cmp_eq_f16_e32 vcc_lo, s10, v17
	s_delay_alu instid0(VALU_DEP_2) | instskip(SKIP_2) | instid1(SALU_CYCLE_1)
	v_cmp_eq_f16_e64 s1, s3, v18
	s_and_not1_b32 s7, s7, exec_lo
	s_and_b32 s1, vcc_lo, s1
	s_and_b32 s1, s1, exec_lo
	s_delay_alu instid0(SALU_CYCLE_1)
	s_or_b32 s7, s7, s1
.LBB152_112:
	s_delay_alu instid0(SALU_CYCLE_1)
	v_cndmask_b32_e64 v18, 0, 1, s7
.LBB152_113:
	s_or_b32 exec_lo, exec_lo, s6
	v_or_b32_e32 v17, 0x600, v0
	s_delay_alu instid0(VALU_DEP_1)
	v_cmp_gt_i32_e32 vcc_lo, s8, v17
                                        ; implicit-def: $vgpr17
	s_and_saveexec_b32 s6, vcc_lo
	s_cbranch_execz .LBB152_118
; %bb.114:
	v_cmp_ne_u32_e32 vcc_lo, 1, v5
	v_lshrrev_b32_e32 v17, 16, v16
	s_cbranch_vccnz .LBB152_218
; %bb.115:
	v_cmp_neq_f16_e32 vcc_lo, s10, v16
	s_delay_alu instid0(VALU_DEP_2)
	v_cmp_neq_f16_e64 s1, s3, v17
	s_or_b32 s7, vcc_lo, s1
	s_cbranch_execnz .LBB152_117
.LBB152_116:
	v_cmp_eq_f16_e32 vcc_lo, s10, v16
	s_delay_alu instid0(VALU_DEP_2) | instskip(SKIP_2) | instid1(SALU_CYCLE_1)
	v_cmp_eq_f16_e64 s1, s3, v17
	s_and_not1_b32 s7, s7, exec_lo
	s_and_b32 s1, vcc_lo, s1
	s_and_b32 s1, s1, exec_lo
	s_delay_alu instid0(SALU_CYCLE_1)
	s_or_b32 s7, s7, s1
.LBB152_117:
	s_delay_alu instid0(SALU_CYCLE_1)
	v_cndmask_b32_e64 v17, 0, 1, s7
.LBB152_118:
	s_or_b32 exec_lo, exec_lo, s6
	v_or_b32_e32 v16, 0x700, v0
	s_delay_alu instid0(VALU_DEP_1)
	v_cmp_gt_i32_e32 vcc_lo, s8, v16
                                        ; implicit-def: $vgpr16
	s_and_saveexec_b32 s6, vcc_lo
	s_cbranch_execz .LBB152_123
; %bb.119:
	v_cmp_ne_u32_e32 vcc_lo, 1, v5
	v_lshrrev_b32_e32 v16, 16, v15
	s_cbranch_vccnz .LBB152_219
; %bb.120:
	v_cmp_neq_f16_e32 vcc_lo, s10, v15
	s_delay_alu instid0(VALU_DEP_2)
	v_cmp_neq_f16_e64 s1, s3, v16
	s_or_b32 s7, vcc_lo, s1
	s_cbranch_execnz .LBB152_122
.LBB152_121:
	v_cmp_eq_f16_e32 vcc_lo, s10, v15
	s_delay_alu instid0(VALU_DEP_2) | instskip(SKIP_2) | instid1(SALU_CYCLE_1)
	v_cmp_eq_f16_e64 s1, s3, v16
	s_and_not1_b32 s7, s7, exec_lo
	s_and_b32 s1, vcc_lo, s1
	s_and_b32 s1, s1, exec_lo
	s_delay_alu instid0(SALU_CYCLE_1)
	s_or_b32 s7, s7, s1
.LBB152_122:
	s_delay_alu instid0(SALU_CYCLE_1)
	v_cndmask_b32_e64 v16, 0, 1, s7
.LBB152_123:
	s_or_b32 exec_lo, exec_lo, s6
	v_or_b32_e32 v15, 0x800, v0
	s_delay_alu instid0(VALU_DEP_1)
	v_cmp_gt_i32_e32 vcc_lo, s8, v15
                                        ; implicit-def: $vgpr15
	s_and_saveexec_b32 s6, vcc_lo
	s_cbranch_execz .LBB152_128
; %bb.124:
	v_cmp_ne_u32_e32 vcc_lo, 1, v5
	v_lshrrev_b32_e32 v15, 16, v14
	s_cbranch_vccnz .LBB152_220
; %bb.125:
	v_cmp_neq_f16_e32 vcc_lo, s10, v14
	s_delay_alu instid0(VALU_DEP_2)
	v_cmp_neq_f16_e64 s1, s3, v15
	s_or_b32 s7, vcc_lo, s1
	s_cbranch_execnz .LBB152_127
.LBB152_126:
	v_cmp_eq_f16_e32 vcc_lo, s10, v14
	s_delay_alu instid0(VALU_DEP_2) | instskip(SKIP_2) | instid1(SALU_CYCLE_1)
	v_cmp_eq_f16_e64 s1, s3, v15
	s_and_not1_b32 s7, s7, exec_lo
	s_and_b32 s1, vcc_lo, s1
	s_and_b32 s1, s1, exec_lo
	s_delay_alu instid0(SALU_CYCLE_1)
	s_or_b32 s7, s7, s1
.LBB152_127:
	s_delay_alu instid0(SALU_CYCLE_1)
	v_cndmask_b32_e64 v15, 0, 1, s7
.LBB152_128:
	s_or_b32 exec_lo, exec_lo, s6
	v_or_b32_e32 v14, 0x900, v0
	s_delay_alu instid0(VALU_DEP_1)
	v_cmp_gt_i32_e32 vcc_lo, s8, v14
                                        ; implicit-def: $vgpr14
	s_and_saveexec_b32 s6, vcc_lo
	s_cbranch_execz .LBB152_133
; %bb.129:
	v_cmp_ne_u32_e32 vcc_lo, 1, v5
	v_lshrrev_b32_e32 v14, 16, v13
	s_cbranch_vccnz .LBB152_221
; %bb.130:
	v_cmp_neq_f16_e32 vcc_lo, s10, v13
	s_delay_alu instid0(VALU_DEP_2)
	v_cmp_neq_f16_e64 s1, s3, v14
	s_or_b32 s7, vcc_lo, s1
	s_cbranch_execnz .LBB152_132
.LBB152_131:
	v_cmp_eq_f16_e32 vcc_lo, s10, v13
	s_delay_alu instid0(VALU_DEP_2) | instskip(SKIP_2) | instid1(SALU_CYCLE_1)
	v_cmp_eq_f16_e64 s1, s3, v14
	s_and_not1_b32 s7, s7, exec_lo
	s_and_b32 s1, vcc_lo, s1
	s_and_b32 s1, s1, exec_lo
	s_delay_alu instid0(SALU_CYCLE_1)
	s_or_b32 s7, s7, s1
.LBB152_132:
	s_delay_alu instid0(SALU_CYCLE_1)
	v_cndmask_b32_e64 v14, 0, 1, s7
.LBB152_133:
	s_or_b32 exec_lo, exec_lo, s6
	v_or_b32_e32 v13, 0xa00, v0
	s_delay_alu instid0(VALU_DEP_1)
	v_cmp_gt_i32_e32 vcc_lo, s8, v13
                                        ; implicit-def: $vgpr13
	s_and_saveexec_b32 s6, vcc_lo
	s_cbranch_execz .LBB152_138
; %bb.134:
	v_cmp_ne_u32_e32 vcc_lo, 1, v5
	v_lshrrev_b32_e32 v13, 16, v12
	s_cbranch_vccnz .LBB152_222
; %bb.135:
	v_cmp_neq_f16_e32 vcc_lo, s10, v12
	s_delay_alu instid0(VALU_DEP_2)
	v_cmp_neq_f16_e64 s1, s3, v13
	s_or_b32 s7, vcc_lo, s1
	s_cbranch_execnz .LBB152_137
.LBB152_136:
	v_cmp_eq_f16_e32 vcc_lo, s10, v12
	s_delay_alu instid0(VALU_DEP_2) | instskip(SKIP_2) | instid1(SALU_CYCLE_1)
	v_cmp_eq_f16_e64 s1, s3, v13
	s_and_not1_b32 s7, s7, exec_lo
	s_and_b32 s1, vcc_lo, s1
	s_and_b32 s1, s1, exec_lo
	s_delay_alu instid0(SALU_CYCLE_1)
	s_or_b32 s7, s7, s1
.LBB152_137:
	s_delay_alu instid0(SALU_CYCLE_1)
	v_cndmask_b32_e64 v13, 0, 1, s7
.LBB152_138:
	s_or_b32 exec_lo, exec_lo, s6
	v_or_b32_e32 v12, 0xb00, v0
	s_delay_alu instid0(VALU_DEP_1)
	v_cmp_gt_i32_e32 vcc_lo, s8, v12
                                        ; implicit-def: $vgpr12
	s_and_saveexec_b32 s6, vcc_lo
	s_cbranch_execz .LBB152_143
; %bb.139:
	v_cmp_ne_u32_e32 vcc_lo, 1, v5
	v_lshrrev_b32_e32 v12, 16, v11
	s_cbranch_vccnz .LBB152_223
; %bb.140:
	v_cmp_neq_f16_e32 vcc_lo, s10, v11
	s_delay_alu instid0(VALU_DEP_2)
	v_cmp_neq_f16_e64 s1, s3, v12
	s_or_b32 s7, vcc_lo, s1
	s_cbranch_execnz .LBB152_142
.LBB152_141:
	v_cmp_eq_f16_e32 vcc_lo, s10, v11
	s_delay_alu instid0(VALU_DEP_2) | instskip(SKIP_2) | instid1(SALU_CYCLE_1)
	v_cmp_eq_f16_e64 s1, s3, v12
	s_and_not1_b32 s7, s7, exec_lo
	s_and_b32 s1, vcc_lo, s1
	s_and_b32 s1, s1, exec_lo
	s_delay_alu instid0(SALU_CYCLE_1)
	s_or_b32 s7, s7, s1
.LBB152_142:
	s_delay_alu instid0(SALU_CYCLE_1)
	v_cndmask_b32_e64 v12, 0, 1, s7
.LBB152_143:
	s_or_b32 exec_lo, exec_lo, s6
	v_or_b32_e32 v11, 0xc00, v0
	s_delay_alu instid0(VALU_DEP_1)
	v_cmp_gt_i32_e32 vcc_lo, s8, v11
                                        ; implicit-def: $vgpr11
	s_and_saveexec_b32 s6, vcc_lo
	s_cbranch_execz .LBB152_148
; %bb.144:
	v_cmp_ne_u32_e32 vcc_lo, 1, v5
	v_lshrrev_b32_e32 v11, 16, v10
	s_cbranch_vccnz .LBB152_224
; %bb.145:
	v_cmp_neq_f16_e32 vcc_lo, s10, v10
	s_delay_alu instid0(VALU_DEP_2)
	v_cmp_neq_f16_e64 s1, s3, v11
	s_or_b32 s7, vcc_lo, s1
	s_cbranch_execnz .LBB152_147
.LBB152_146:
	v_cmp_eq_f16_e32 vcc_lo, s10, v10
	s_delay_alu instid0(VALU_DEP_2) | instskip(SKIP_2) | instid1(SALU_CYCLE_1)
	v_cmp_eq_f16_e64 s1, s3, v11
	s_and_not1_b32 s7, s7, exec_lo
	s_and_b32 s1, vcc_lo, s1
	s_and_b32 s1, s1, exec_lo
	s_delay_alu instid0(SALU_CYCLE_1)
	s_or_b32 s7, s7, s1
.LBB152_147:
	s_delay_alu instid0(SALU_CYCLE_1)
	v_cndmask_b32_e64 v11, 0, 1, s7
.LBB152_148:
	s_or_b32 exec_lo, exec_lo, s6
	v_or_b32_e32 v10, 0xd00, v0
	s_delay_alu instid0(VALU_DEP_1)
	v_cmp_gt_i32_e32 vcc_lo, s8, v10
                                        ; implicit-def: $vgpr10
	s_and_saveexec_b32 s6, vcc_lo
	s_cbranch_execz .LBB152_153
; %bb.149:
	v_cmp_ne_u32_e32 vcc_lo, 1, v5
	v_lshrrev_b32_e32 v10, 16, v9
	s_cbranch_vccnz .LBB152_225
; %bb.150:
	v_cmp_neq_f16_e32 vcc_lo, s10, v9
	s_delay_alu instid0(VALU_DEP_2)
	v_cmp_neq_f16_e64 s1, s3, v10
	s_or_b32 s7, vcc_lo, s1
	s_cbranch_execnz .LBB152_152
.LBB152_151:
	v_cmp_eq_f16_e32 vcc_lo, s10, v9
	s_delay_alu instid0(VALU_DEP_2) | instskip(SKIP_2) | instid1(SALU_CYCLE_1)
	v_cmp_eq_f16_e64 s1, s3, v10
	s_and_not1_b32 s7, s7, exec_lo
	s_and_b32 s1, vcc_lo, s1
	s_and_b32 s1, s1, exec_lo
	s_delay_alu instid0(SALU_CYCLE_1)
	s_or_b32 s7, s7, s1
.LBB152_152:
	s_delay_alu instid0(SALU_CYCLE_1)
	v_cndmask_b32_e64 v10, 0, 1, s7
.LBB152_153:
	s_or_b32 exec_lo, exec_lo, s6
	v_or_b32_e32 v9, 0xe00, v0
	s_delay_alu instid0(VALU_DEP_1)
	v_cmp_gt_i32_e32 vcc_lo, s8, v9
                                        ; implicit-def: $vgpr9
	s_and_saveexec_b32 s6, vcc_lo
	s_cbranch_execz .LBB152_158
; %bb.154:
	v_cmp_ne_u32_e32 vcc_lo, 1, v5
	v_lshrrev_b32_e32 v9, 16, v8
	s_cbranch_vccnz .LBB152_226
; %bb.155:
	v_cmp_neq_f16_e32 vcc_lo, s10, v8
	s_delay_alu instid0(VALU_DEP_2)
	v_cmp_neq_f16_e64 s1, s3, v9
	s_or_b32 s7, vcc_lo, s1
	s_cbranch_execnz .LBB152_157
.LBB152_156:
	v_cmp_eq_f16_e32 vcc_lo, s10, v8
	s_delay_alu instid0(VALU_DEP_2) | instskip(SKIP_2) | instid1(SALU_CYCLE_1)
	v_cmp_eq_f16_e64 s1, s3, v9
	s_and_not1_b32 s7, s7, exec_lo
	s_and_b32 s1, vcc_lo, s1
	s_and_b32 s1, s1, exec_lo
	s_delay_alu instid0(SALU_CYCLE_1)
	s_or_b32 s7, s7, s1
.LBB152_157:
	s_delay_alu instid0(SALU_CYCLE_1)
	v_cndmask_b32_e64 v9, 0, 1, s7
.LBB152_158:
	s_or_b32 exec_lo, exec_lo, s6
	v_or_b32_e32 v8, 0xf00, v0
	s_delay_alu instid0(VALU_DEP_1)
	v_cmp_gt_i32_e32 vcc_lo, s8, v8
                                        ; implicit-def: $vgpr8
	s_and_saveexec_b32 s6, vcc_lo
	s_cbranch_execz .LBB152_163
; %bb.159:
	v_cmp_ne_u32_e32 vcc_lo, 1, v5
	v_lshrrev_b32_e32 v5, 16, v7
	s_cbranch_vccnz .LBB152_227
; %bb.160:
	v_cmp_neq_f16_e32 vcc_lo, s10, v7
	s_delay_alu instid0(VALU_DEP_2)
	v_cmp_neq_f16_e64 s1, s3, v5
	s_or_b32 s7, vcc_lo, s1
	s_cbranch_execnz .LBB152_162
.LBB152_161:
	v_cmp_eq_f16_e32 vcc_lo, s10, v7
	s_delay_alu instid0(VALU_DEP_2) | instskip(SKIP_2) | instid1(SALU_CYCLE_1)
	v_cmp_eq_f16_e64 s1, s3, v5
	s_and_not1_b32 s3, s7, exec_lo
	s_and_b32 s1, vcc_lo, s1
	s_and_b32 s1, s1, exec_lo
	s_delay_alu instid0(SALU_CYCLE_1)
	s_or_b32 s7, s3, s1
.LBB152_162:
	s_delay_alu instid0(SALU_CYCLE_1)
	v_cndmask_b32_e64 v8, 0, 1, s7
.LBB152_163:
	s_or_b32 exec_lo, exec_lo, s6
	s_and_saveexec_b32 s1, s0
	s_delay_alu instid0(SALU_CYCLE_1)
	s_xor_b32 s0, exec_lo, s1
	s_cbranch_execz .LBB152_165
; %bb.164:
	v_mov_b32_e32 v0, v6
	global_store_b8 v1, v2, s[4:5]
.LBB152_165:
	s_wait_xcnt 0x0
	s_or_b32 exec_lo, exec_lo, s0
	s_delay_alu instid0(SALU_CYCLE_1)
	s_mov_b32 s0, exec_lo
	v_cmpx_gt_i32_e64 s8, v0
	s_cbranch_execnz .LBB152_181
; %bb.166:
	s_or_b32 exec_lo, exec_lo, s0
	s_delay_alu instid0(SALU_CYCLE_1)
	s_mov_b32 s0, exec_lo
	v_cmpx_gt_i32_e64 s8, v0
	s_cbranch_execnz .LBB152_182
.LBB152_167:
	s_or_b32 exec_lo, exec_lo, s0
	s_delay_alu instid0(SALU_CYCLE_1)
	s_mov_b32 s0, exec_lo
	v_cmpx_gt_i32_e64 s8, v0
	s_cbranch_execnz .LBB152_183
.LBB152_168:
	s_or_b32 exec_lo, exec_lo, s0
	s_delay_alu instid0(SALU_CYCLE_1)
	s_mov_b32 s0, exec_lo
	v_cmpx_gt_i32_e64 s8, v0
	s_cbranch_execnz .LBB152_184
.LBB152_169:
	s_or_b32 exec_lo, exec_lo, s0
	s_delay_alu instid0(SALU_CYCLE_1)
	s_mov_b32 s0, exec_lo
	v_cmpx_gt_i32_e64 s8, v0
	s_cbranch_execnz .LBB152_185
.LBB152_170:
	s_or_b32 exec_lo, exec_lo, s0
	s_delay_alu instid0(SALU_CYCLE_1)
	s_mov_b32 s0, exec_lo
	v_cmpx_gt_i32_e64 s8, v0
	s_cbranch_execnz .LBB152_186
.LBB152_171:
	s_or_b32 exec_lo, exec_lo, s0
	s_delay_alu instid0(SALU_CYCLE_1)
	s_mov_b32 s0, exec_lo
	v_cmpx_gt_i32_e64 s8, v0
	s_cbranch_execnz .LBB152_187
.LBB152_172:
	s_or_b32 exec_lo, exec_lo, s0
	s_delay_alu instid0(SALU_CYCLE_1)
	s_mov_b32 s0, exec_lo
	v_cmpx_gt_i32_e64 s8, v0
	s_cbranch_execnz .LBB152_188
.LBB152_173:
	s_or_b32 exec_lo, exec_lo, s0
	s_delay_alu instid0(SALU_CYCLE_1)
	s_mov_b32 s0, exec_lo
	v_cmpx_gt_i32_e64 s8, v0
	s_cbranch_execnz .LBB152_189
.LBB152_174:
	s_or_b32 exec_lo, exec_lo, s0
	s_delay_alu instid0(SALU_CYCLE_1)
	s_mov_b32 s0, exec_lo
	v_cmpx_gt_i32_e64 s8, v0
	s_cbranch_execnz .LBB152_190
.LBB152_175:
	s_or_b32 exec_lo, exec_lo, s0
	s_delay_alu instid0(SALU_CYCLE_1)
	s_mov_b32 s0, exec_lo
	v_cmpx_gt_i32_e64 s8, v0
	s_cbranch_execnz .LBB152_191
.LBB152_176:
	s_or_b32 exec_lo, exec_lo, s0
	s_delay_alu instid0(SALU_CYCLE_1)
	s_mov_b32 s0, exec_lo
	v_cmpx_gt_i32_e64 s8, v0
	s_cbranch_execnz .LBB152_192
.LBB152_177:
	s_or_b32 exec_lo, exec_lo, s0
	s_delay_alu instid0(SALU_CYCLE_1)
	s_mov_b32 s0, exec_lo
	v_cmpx_gt_i32_e64 s8, v0
	s_cbranch_execnz .LBB152_193
.LBB152_178:
	s_or_b32 exec_lo, exec_lo, s0
	s_delay_alu instid0(SALU_CYCLE_1)
	s_mov_b32 s0, exec_lo
	v_cmpx_gt_i32_e64 s8, v0
	s_cbranch_execnz .LBB152_194
.LBB152_179:
	s_or_b32 exec_lo, exec_lo, s0
	s_delay_alu instid0(SALU_CYCLE_1)
	s_mov_b32 s0, exec_lo
	v_cmpx_gt_i32_e64 s8, v0
	s_cbranch_execz .LBB152_195
.LBB152_180:
	v_add_nc_u32_e32 v0, s2, v0
	global_store_b8 v0, v8, s[4:5]
	s_endpgm
.LBB152_181:
	v_add_nc_u32_e32 v1, s2, v0
	v_add_nc_u32_e32 v0, 0x100, v0
	global_store_b8 v1, v4, s[4:5]
	s_wait_xcnt 0x0
	s_or_b32 exec_lo, exec_lo, s0
	s_delay_alu instid0(SALU_CYCLE_1)
	s_mov_b32 s0, exec_lo
	v_cmpx_gt_i32_e64 s8, v0
	s_cbranch_execz .LBB152_167
.LBB152_182:
	v_add_nc_u32_e32 v1, s2, v0
	v_add_nc_u32_e32 v0, 0x100, v0
	global_store_b8 v1, v19, s[4:5]
	s_wait_xcnt 0x0
	s_or_b32 exec_lo, exec_lo, s0
	s_delay_alu instid0(SALU_CYCLE_1)
	s_mov_b32 s0, exec_lo
	v_cmpx_gt_i32_e64 s8, v0
	s_cbranch_execz .LBB152_168
.LBB152_183:
	v_add_nc_u32_e32 v1, s2, v0
	v_add_nc_u32_e32 v0, 0x100, v0
	global_store_b8 v1, v3, s[4:5]
	s_wait_xcnt 0x0
	s_or_b32 exec_lo, exec_lo, s0
	s_delay_alu instid0(SALU_CYCLE_1)
	s_mov_b32 s0, exec_lo
	v_cmpx_gt_i32_e64 s8, v0
	s_cbranch_execz .LBB152_169
.LBB152_184:
	v_add_nc_u32_e32 v1, s2, v0
	v_add_nc_u32_e32 v0, 0x100, v0
	global_store_b8 v1, v20, s[4:5]
	s_wait_xcnt 0x0
	s_or_b32 exec_lo, exec_lo, s0
	s_delay_alu instid0(SALU_CYCLE_1)
	s_mov_b32 s0, exec_lo
	v_cmpx_gt_i32_e64 s8, v0
	s_cbranch_execz .LBB152_170
.LBB152_185:
	v_add_nc_u32_e32 v1, s2, v0
	v_add_nc_u32_e32 v0, 0x100, v0
	global_store_b8 v1, v18, s[4:5]
	s_wait_xcnt 0x0
	s_or_b32 exec_lo, exec_lo, s0
	s_delay_alu instid0(SALU_CYCLE_1)
	s_mov_b32 s0, exec_lo
	v_cmpx_gt_i32_e64 s8, v0
	s_cbranch_execz .LBB152_171
.LBB152_186:
	v_add_nc_u32_e32 v1, s2, v0
	v_add_nc_u32_e32 v0, 0x100, v0
	global_store_b8 v1, v17, s[4:5]
	s_wait_xcnt 0x0
	s_or_b32 exec_lo, exec_lo, s0
	s_delay_alu instid0(SALU_CYCLE_1)
	s_mov_b32 s0, exec_lo
	v_cmpx_gt_i32_e64 s8, v0
	s_cbranch_execz .LBB152_172
.LBB152_187:
	v_add_nc_u32_e32 v1, s2, v0
	v_add_nc_u32_e32 v0, 0x100, v0
	global_store_b8 v1, v16, s[4:5]
	s_wait_xcnt 0x0
	s_or_b32 exec_lo, exec_lo, s0
	s_delay_alu instid0(SALU_CYCLE_1)
	s_mov_b32 s0, exec_lo
	v_cmpx_gt_i32_e64 s8, v0
	s_cbranch_execz .LBB152_173
.LBB152_188:
	v_add_nc_u32_e32 v1, s2, v0
	v_add_nc_u32_e32 v0, 0x100, v0
	global_store_b8 v1, v15, s[4:5]
	s_wait_xcnt 0x0
	s_or_b32 exec_lo, exec_lo, s0
	s_delay_alu instid0(SALU_CYCLE_1)
	s_mov_b32 s0, exec_lo
	v_cmpx_gt_i32_e64 s8, v0
	s_cbranch_execz .LBB152_174
.LBB152_189:
	v_add_nc_u32_e32 v1, s2, v0
	v_add_nc_u32_e32 v0, 0x100, v0
	global_store_b8 v1, v14, s[4:5]
	s_wait_xcnt 0x0
	s_or_b32 exec_lo, exec_lo, s0
	s_delay_alu instid0(SALU_CYCLE_1)
	s_mov_b32 s0, exec_lo
	v_cmpx_gt_i32_e64 s8, v0
	s_cbranch_execz .LBB152_175
.LBB152_190:
	v_add_nc_u32_e32 v1, s2, v0
	v_add_nc_u32_e32 v0, 0x100, v0
	global_store_b8 v1, v13, s[4:5]
	s_wait_xcnt 0x0
	s_or_b32 exec_lo, exec_lo, s0
	s_delay_alu instid0(SALU_CYCLE_1)
	s_mov_b32 s0, exec_lo
	v_cmpx_gt_i32_e64 s8, v0
	s_cbranch_execz .LBB152_176
.LBB152_191:
	v_add_nc_u32_e32 v1, s2, v0
	v_add_nc_u32_e32 v0, 0x100, v0
	global_store_b8 v1, v12, s[4:5]
	s_wait_xcnt 0x0
	s_or_b32 exec_lo, exec_lo, s0
	s_delay_alu instid0(SALU_CYCLE_1)
	s_mov_b32 s0, exec_lo
	v_cmpx_gt_i32_e64 s8, v0
	s_cbranch_execz .LBB152_177
.LBB152_192:
	v_add_nc_u32_e32 v1, s2, v0
	v_add_nc_u32_e32 v0, 0x100, v0
	global_store_b8 v1, v11, s[4:5]
	s_wait_xcnt 0x0
	s_or_b32 exec_lo, exec_lo, s0
	s_delay_alu instid0(SALU_CYCLE_1)
	s_mov_b32 s0, exec_lo
	v_cmpx_gt_i32_e64 s8, v0
	s_cbranch_execz .LBB152_178
.LBB152_193:
	v_add_nc_u32_e32 v1, s2, v0
	v_add_nc_u32_e32 v0, 0x100, v0
	global_store_b8 v1, v10, s[4:5]
	s_wait_xcnt 0x0
	s_or_b32 exec_lo, exec_lo, s0
	s_delay_alu instid0(SALU_CYCLE_1)
	s_mov_b32 s0, exec_lo
	v_cmpx_gt_i32_e64 s8, v0
	s_cbranch_execz .LBB152_179
.LBB152_194:
	v_add_nc_u32_e32 v1, s2, v0
	v_add_nc_u32_e32 v0, 0x100, v0
	global_store_b8 v1, v9, s[4:5]
	s_wait_xcnt 0x0
	s_or_b32 exec_lo, exec_lo, s0
	s_delay_alu instid0(SALU_CYCLE_1)
	s_mov_b32 s0, exec_lo
	v_cmpx_gt_i32_e64 s8, v0
	s_cbranch_execnz .LBB152_180
.LBB152_195:
	s_endpgm
.LBB152_196:
                                        ; implicit-def: $sgpr1
	s_branch .LBB152_3
.LBB152_197:
                                        ; implicit-def: $sgpr12
	s_branch .LBB152_6
.LBB152_198:
                                        ; implicit-def: $sgpr13
	s_branch .LBB152_9
.LBB152_199:
                                        ; implicit-def: $sgpr14
	s_branch .LBB152_12
.LBB152_200:
                                        ; implicit-def: $sgpr15
	s_branch .LBB152_15
.LBB152_201:
                                        ; implicit-def: $sgpr16
	s_branch .LBB152_18
.LBB152_202:
                                        ; implicit-def: $sgpr17
	s_branch .LBB152_21
.LBB152_203:
                                        ; implicit-def: $sgpr19
	s_branch .LBB152_24
.LBB152_204:
                                        ; implicit-def: $sgpr18
	s_branch .LBB152_27
.LBB152_205:
                                        ; implicit-def: $sgpr20
	s_branch .LBB152_30
.LBB152_206:
                                        ; implicit-def: $sgpr21
	s_branch .LBB152_33
.LBB152_207:
                                        ; implicit-def: $sgpr22
	s_branch .LBB152_36
.LBB152_208:
                                        ; implicit-def: $sgpr23
	s_branch .LBB152_39
.LBB152_209:
                                        ; implicit-def: $sgpr24
	s_branch .LBB152_42
.LBB152_210:
                                        ; implicit-def: $sgpr25
	s_branch .LBB152_45
.LBB152_211:
                                        ; implicit-def: $sgpr26
	s_branch .LBB152_48
.LBB152_212:
                                        ; implicit-def: $sgpr9
	s_branch .LBB152_86
.LBB152_213:
                                        ; implicit-def: $sgpr6
	s_branch .LBB152_91
.LBB152_214:
                                        ; implicit-def: $sgpr7
	s_branch .LBB152_96
.LBB152_215:
                                        ; implicit-def: $sgpr7
	s_branch .LBB152_101
.LBB152_216:
                                        ; implicit-def: $sgpr7
	s_branch .LBB152_106
.LBB152_217:
                                        ; implicit-def: $sgpr7
	s_branch .LBB152_111
.LBB152_218:
                                        ; implicit-def: $sgpr7
	s_branch .LBB152_116
.LBB152_219:
                                        ; implicit-def: $sgpr7
	s_branch .LBB152_121
.LBB152_220:
                                        ; implicit-def: $sgpr7
	s_branch .LBB152_126
.LBB152_221:
                                        ; implicit-def: $sgpr7
	s_branch .LBB152_131
.LBB152_222:
                                        ; implicit-def: $sgpr7
	s_branch .LBB152_136
.LBB152_223:
                                        ; implicit-def: $sgpr7
	s_branch .LBB152_141
.LBB152_224:
                                        ; implicit-def: $sgpr7
	s_branch .LBB152_146
.LBB152_225:
                                        ; implicit-def: $sgpr7
	s_branch .LBB152_151
.LBB152_226:
                                        ; implicit-def: $sgpr7
	s_branch .LBB152_156
.LBB152_227:
                                        ; implicit-def: $sgpr7
	s_branch .LBB152_161
	.section	.rodata,"a",@progbits
	.p2align	6, 0x0
	.amdhsa_kernel _ZN2at6native29vectorized_elementwise_kernelILi16ENS0_13AUnaryFunctorIN3c107complexINS3_4HalfEEES6_bNS0_12_GLOBAL__N_116CompareEqFunctorIS6_EEEESt5arrayIPcLm2EEEEviT0_T1_
		.amdhsa_group_segment_fixed_size 0
		.amdhsa_private_segment_fixed_size 0
		.amdhsa_kernarg_size 32
		.amdhsa_user_sgpr_count 2
		.amdhsa_user_sgpr_dispatch_ptr 0
		.amdhsa_user_sgpr_queue_ptr 0
		.amdhsa_user_sgpr_kernarg_segment_ptr 1
		.amdhsa_user_sgpr_dispatch_id 0
		.amdhsa_user_sgpr_kernarg_preload_length 0
		.amdhsa_user_sgpr_kernarg_preload_offset 0
		.amdhsa_user_sgpr_private_segment_size 0
		.amdhsa_wavefront_size32 1
		.amdhsa_uses_dynamic_stack 0
		.amdhsa_enable_private_segment 0
		.amdhsa_system_sgpr_workgroup_id_x 1
		.amdhsa_system_sgpr_workgroup_id_y 0
		.amdhsa_system_sgpr_workgroup_id_z 0
		.amdhsa_system_sgpr_workgroup_info 0
		.amdhsa_system_vgpr_workitem_id 0
		.amdhsa_next_free_vgpr 22
		.amdhsa_next_free_sgpr 27
		.amdhsa_named_barrier_count 0
		.amdhsa_reserve_vcc 1
		.amdhsa_float_round_mode_32 0
		.amdhsa_float_round_mode_16_64 0
		.amdhsa_float_denorm_mode_32 3
		.amdhsa_float_denorm_mode_16_64 3
		.amdhsa_fp16_overflow 0
		.amdhsa_memory_ordered 1
		.amdhsa_forward_progress 1
		.amdhsa_inst_pref_size 48
		.amdhsa_round_robin_scheduling 0
		.amdhsa_exception_fp_ieee_invalid_op 0
		.amdhsa_exception_fp_denorm_src 0
		.amdhsa_exception_fp_ieee_div_zero 0
		.amdhsa_exception_fp_ieee_overflow 0
		.amdhsa_exception_fp_ieee_underflow 0
		.amdhsa_exception_fp_ieee_inexact 0
		.amdhsa_exception_int_div_zero 0
	.end_amdhsa_kernel
	.section	.text._ZN2at6native29vectorized_elementwise_kernelILi16ENS0_13AUnaryFunctorIN3c107complexINS3_4HalfEEES6_bNS0_12_GLOBAL__N_116CompareEqFunctorIS6_EEEESt5arrayIPcLm2EEEEviT0_T1_,"axG",@progbits,_ZN2at6native29vectorized_elementwise_kernelILi16ENS0_13AUnaryFunctorIN3c107complexINS3_4HalfEEES6_bNS0_12_GLOBAL__N_116CompareEqFunctorIS6_EEEESt5arrayIPcLm2EEEEviT0_T1_,comdat
.Lfunc_end152:
	.size	_ZN2at6native29vectorized_elementwise_kernelILi16ENS0_13AUnaryFunctorIN3c107complexINS3_4HalfEEES6_bNS0_12_GLOBAL__N_116CompareEqFunctorIS6_EEEESt5arrayIPcLm2EEEEviT0_T1_, .Lfunc_end152-_ZN2at6native29vectorized_elementwise_kernelILi16ENS0_13AUnaryFunctorIN3c107complexINS3_4HalfEEES6_bNS0_12_GLOBAL__N_116CompareEqFunctorIS6_EEEESt5arrayIPcLm2EEEEviT0_T1_
                                        ; -- End function
	.set _ZN2at6native29vectorized_elementwise_kernelILi16ENS0_13AUnaryFunctorIN3c107complexINS3_4HalfEEES6_bNS0_12_GLOBAL__N_116CompareEqFunctorIS6_EEEESt5arrayIPcLm2EEEEviT0_T1_.num_vgpr, 22
	.set _ZN2at6native29vectorized_elementwise_kernelILi16ENS0_13AUnaryFunctorIN3c107complexINS3_4HalfEEES6_bNS0_12_GLOBAL__N_116CompareEqFunctorIS6_EEEESt5arrayIPcLm2EEEEviT0_T1_.num_agpr, 0
	.set _ZN2at6native29vectorized_elementwise_kernelILi16ENS0_13AUnaryFunctorIN3c107complexINS3_4HalfEEES6_bNS0_12_GLOBAL__N_116CompareEqFunctorIS6_EEEESt5arrayIPcLm2EEEEviT0_T1_.numbered_sgpr, 27
	.set _ZN2at6native29vectorized_elementwise_kernelILi16ENS0_13AUnaryFunctorIN3c107complexINS3_4HalfEEES6_bNS0_12_GLOBAL__N_116CompareEqFunctorIS6_EEEESt5arrayIPcLm2EEEEviT0_T1_.num_named_barrier, 0
	.set _ZN2at6native29vectorized_elementwise_kernelILi16ENS0_13AUnaryFunctorIN3c107complexINS3_4HalfEEES6_bNS0_12_GLOBAL__N_116CompareEqFunctorIS6_EEEESt5arrayIPcLm2EEEEviT0_T1_.private_seg_size, 0
	.set _ZN2at6native29vectorized_elementwise_kernelILi16ENS0_13AUnaryFunctorIN3c107complexINS3_4HalfEEES6_bNS0_12_GLOBAL__N_116CompareEqFunctorIS6_EEEESt5arrayIPcLm2EEEEviT0_T1_.uses_vcc, 1
	.set _ZN2at6native29vectorized_elementwise_kernelILi16ENS0_13AUnaryFunctorIN3c107complexINS3_4HalfEEES6_bNS0_12_GLOBAL__N_116CompareEqFunctorIS6_EEEESt5arrayIPcLm2EEEEviT0_T1_.uses_flat_scratch, 0
	.set _ZN2at6native29vectorized_elementwise_kernelILi16ENS0_13AUnaryFunctorIN3c107complexINS3_4HalfEEES6_bNS0_12_GLOBAL__N_116CompareEqFunctorIS6_EEEESt5arrayIPcLm2EEEEviT0_T1_.has_dyn_sized_stack, 0
	.set _ZN2at6native29vectorized_elementwise_kernelILi16ENS0_13AUnaryFunctorIN3c107complexINS3_4HalfEEES6_bNS0_12_GLOBAL__N_116CompareEqFunctorIS6_EEEESt5arrayIPcLm2EEEEviT0_T1_.has_recursion, 0
	.set _ZN2at6native29vectorized_elementwise_kernelILi16ENS0_13AUnaryFunctorIN3c107complexINS3_4HalfEEES6_bNS0_12_GLOBAL__N_116CompareEqFunctorIS6_EEEESt5arrayIPcLm2EEEEviT0_T1_.has_indirect_call, 0
	.section	.AMDGPU.csdata,"",@progbits
; Kernel info:
; codeLenInByte = 6088
; TotalNumSgprs: 29
; NumVgprs: 22
; ScratchSize: 0
; MemoryBound: 1
; FloatMode: 240
; IeeeMode: 1
; LDSByteSize: 0 bytes/workgroup (compile time only)
; SGPRBlocks: 0
; VGPRBlocks: 1
; NumSGPRsForWavesPerEU: 29
; NumVGPRsForWavesPerEU: 22
; NamedBarCnt: 0
; Occupancy: 16
; WaveLimiterHint : 0
; COMPUTE_PGM_RSRC2:SCRATCH_EN: 0
; COMPUTE_PGM_RSRC2:USER_SGPR: 2
; COMPUTE_PGM_RSRC2:TRAP_HANDLER: 0
; COMPUTE_PGM_RSRC2:TGID_X_EN: 1
; COMPUTE_PGM_RSRC2:TGID_Y_EN: 0
; COMPUTE_PGM_RSRC2:TGID_Z_EN: 0
; COMPUTE_PGM_RSRC2:TIDIG_COMP_CNT: 0
	.section	.text._ZN2at6native29vectorized_elementwise_kernelILi8ENS0_13AUnaryFunctorIN3c107complexINS3_4HalfEEES6_bNS0_12_GLOBAL__N_116CompareEqFunctorIS6_EEEESt5arrayIPcLm2EEEEviT0_T1_,"axG",@progbits,_ZN2at6native29vectorized_elementwise_kernelILi8ENS0_13AUnaryFunctorIN3c107complexINS3_4HalfEEES6_bNS0_12_GLOBAL__N_116CompareEqFunctorIS6_EEEESt5arrayIPcLm2EEEEviT0_T1_,comdat
	.globl	_ZN2at6native29vectorized_elementwise_kernelILi8ENS0_13AUnaryFunctorIN3c107complexINS3_4HalfEEES6_bNS0_12_GLOBAL__N_116CompareEqFunctorIS6_EEEESt5arrayIPcLm2EEEEviT0_T1_ ; -- Begin function _ZN2at6native29vectorized_elementwise_kernelILi8ENS0_13AUnaryFunctorIN3c107complexINS3_4HalfEEES6_bNS0_12_GLOBAL__N_116CompareEqFunctorIS6_EEEESt5arrayIPcLm2EEEEviT0_T1_
	.p2align	8
	.type	_ZN2at6native29vectorized_elementwise_kernelILi8ENS0_13AUnaryFunctorIN3c107complexINS3_4HalfEEES6_bNS0_12_GLOBAL__N_116CompareEqFunctorIS6_EEEESt5arrayIPcLm2EEEEviT0_T1_,@function
_ZN2at6native29vectorized_elementwise_kernelILi8ENS0_13AUnaryFunctorIN3c107complexINS3_4HalfEEES6_bNS0_12_GLOBAL__N_116CompareEqFunctorIS6_EEEESt5arrayIPcLm2EEEEviT0_T1_: ; @_ZN2at6native29vectorized_elementwise_kernelILi8ENS0_13AUnaryFunctorIN3c107complexINS3_4HalfEEES6_bNS0_12_GLOBAL__N_116CompareEqFunctorIS6_EEEESt5arrayIPcLm2EEEEviT0_T1_
; %bb.0:
	s_clause 0x1
	s_load_b96 s[8:10], s[0:1], 0x0
	s_load_b128 s[4:7], s[0:1], 0x10
	s_wait_xcnt 0x0
	s_bfe_u32 s0, ttmp6, 0x4000c
	s_and_b32 s1, ttmp6, 15
	s_add_co_i32 s0, s0, 1
	s_getreg_b32 s2, hwreg(HW_REG_IB_STS2, 6, 4)
	s_mul_i32 s0, ttmp9, s0
	s_delay_alu instid0(SALU_CYCLE_1) | instskip(SKIP_2) | instid1(SALU_CYCLE_1)
	s_add_co_i32 s1, s1, s0
	s_cmp_eq_u32 s2, 0
	s_cselect_b32 s0, ttmp9, s1
	s_lshl_b32 s2, s0, 12
	s_mov_b32 s0, -1
	s_wait_kmcnt 0x0
	s_sub_co_i32 s8, s8, s2
	s_delay_alu instid0(SALU_CYCLE_1)
	s_cmp_gt_i32 s8, 0xfff
	s_cbranch_scc0 .LBB153_50
; %bb.1:
	s_ashr_i32 s3, s2, 31
	v_lshlrev_b32_e32 v1, 5, v0
	s_lshl_b64 s[0:1], s[2:3], 2
	s_lshr_b32 s11, s10, 16
	s_add_nc_u64 s[0:1], s[6:7], s[0:1]
	s_cmp_lg_u32 s9, 0
	s_clause 0x3
	global_load_b128 v[14:17], v1, s[0:1]
	global_load_b128 v[10:13], v1, s[0:1] offset:16
	global_load_b128 v[2:5], v1, s[0:1] offset:8208
	;; [unrolled: 1-line block ×3, first 2 shown]
	s_cselect_b32 s12, -1, 0
	s_delay_alu instid0(SALU_CYCLE_1)
	s_and_b32 vcc_lo, exec_lo, s12
	s_wait_loadcnt 0x3
	s_wait_xcnt 0x0
	v_lshrrev_b32_e32 v1, 16, v14
	s_cbranch_vccz .LBB153_196
; %bb.2:
	v_cmp_neq_f16_e32 vcc_lo, s10, v14
	s_delay_alu instid0(VALU_DEP_2)
	v_cmp_neq_f16_e64 s0, s11, v1
	s_or_b32 s1, vcc_lo, s0
	s_cbranch_execnz .LBB153_4
.LBB153_3:
	v_cmp_eq_f16_e32 vcc_lo, s10, v14
	s_delay_alu instid0(VALU_DEP_2) | instskip(SKIP_2) | instid1(SALU_CYCLE_1)
	v_cmp_eq_f16_e64 s0, s11, v1
	s_and_not1_b32 s1, s1, exec_lo
	s_and_b32 s0, vcc_lo, s0
	s_and_b32 s0, s0, exec_lo
	s_delay_alu instid0(SALU_CYCLE_1)
	s_or_b32 s1, s1, s0
.LBB153_4:
	v_cndmask_b32_e64 v1, 0, 1, s12
	v_lshrrev_b32_e32 v14, 16, v15
	s_and_not1_b32 vcc_lo, exec_lo, s12
	s_cbranch_vccnz .LBB153_197
; %bb.5:
	v_cmp_neq_f16_e32 vcc_lo, s10, v15
	s_delay_alu instid0(VALU_DEP_2)
	v_cmp_neq_f16_e64 s0, s11, v14
	s_or_b32 s12, vcc_lo, s0
	s_cbranch_execnz .LBB153_7
.LBB153_6:
	v_cmp_eq_f16_e32 vcc_lo, s10, v15
	v_cmp_eq_f16_e64 s0, s11, v14
	s_and_not1_b32 s12, s12, exec_lo
	s_and_b32 s0, vcc_lo, s0
	s_delay_alu instid0(SALU_CYCLE_1) | instskip(NEXT) | instid1(SALU_CYCLE_1)
	s_and_b32 s0, s0, exec_lo
	s_or_b32 s12, s12, s0
.LBB153_7:
	v_cmp_ne_u32_e32 vcc_lo, 1, v1
	v_lshrrev_b32_e32 v14, 16, v16
	s_cbranch_vccnz .LBB153_198
; %bb.8:
	v_cmp_neq_f16_e32 vcc_lo, s10, v16
	s_delay_alu instid0(VALU_DEP_2)
	v_cmp_neq_f16_e64 s0, s11, v14
	s_or_b32 s13, vcc_lo, s0
	s_cbranch_execnz .LBB153_10
.LBB153_9:
	v_cmp_eq_f16_e32 vcc_lo, s10, v16
	s_delay_alu instid0(VALU_DEP_2) | instskip(SKIP_2) | instid1(SALU_CYCLE_1)
	v_cmp_eq_f16_e64 s0, s11, v14
	s_and_not1_b32 s13, s13, exec_lo
	s_and_b32 s0, vcc_lo, s0
	s_and_b32 s0, s0, exec_lo
	s_delay_alu instid0(SALU_CYCLE_1)
	s_or_b32 s13, s13, s0
.LBB153_10:
	v_cmp_ne_u32_e32 vcc_lo, 1, v1
	v_lshrrev_b32_e32 v14, 16, v17
	s_cbranch_vccnz .LBB153_199
; %bb.11:
	v_cmp_neq_f16_e32 vcc_lo, s10, v17
	s_delay_alu instid0(VALU_DEP_2)
	v_cmp_neq_f16_e64 s0, s11, v14
	s_or_b32 s14, vcc_lo, s0
	s_cbranch_execnz .LBB153_13
.LBB153_12:
	v_cmp_eq_f16_e32 vcc_lo, s10, v17
	s_delay_alu instid0(VALU_DEP_2) | instskip(SKIP_2) | instid1(SALU_CYCLE_1)
	v_cmp_eq_f16_e64 s0, s11, v14
	s_and_not1_b32 s14, s14, exec_lo
	s_and_b32 s0, vcc_lo, s0
	s_and_b32 s0, s0, exec_lo
	s_delay_alu instid0(SALU_CYCLE_1)
	s_or_b32 s14, s14, s0
.LBB153_13:
	v_cmp_ne_u32_e32 vcc_lo, 1, v1
	s_wait_loadcnt 0x2
	v_lshrrev_b32_e32 v14, 16, v10
	s_cbranch_vccnz .LBB153_200
; %bb.14:
	v_cmp_neq_f16_e32 vcc_lo, s10, v10
	s_delay_alu instid0(VALU_DEP_2)
	v_cmp_neq_f16_e64 s0, s11, v14
	s_or_b32 s15, vcc_lo, s0
	s_cbranch_execnz .LBB153_16
.LBB153_15:
	v_cmp_eq_f16_e32 vcc_lo, s10, v10
	s_delay_alu instid0(VALU_DEP_2) | instskip(SKIP_2) | instid1(SALU_CYCLE_1)
	v_cmp_eq_f16_e64 s0, s11, v14
	s_and_not1_b32 s15, s15, exec_lo
	s_and_b32 s0, vcc_lo, s0
	s_and_b32 s0, s0, exec_lo
	s_delay_alu instid0(SALU_CYCLE_1)
	s_or_b32 s15, s15, s0
.LBB153_16:
	v_cmp_ne_u32_e32 vcc_lo, 1, v1
	v_lshrrev_b32_e32 v10, 16, v11
	s_cbranch_vccnz .LBB153_201
; %bb.17:
	v_cmp_neq_f16_e32 vcc_lo, s10, v11
	s_delay_alu instid0(VALU_DEP_2)
	v_cmp_neq_f16_e64 s0, s11, v10
	s_or_b32 s16, vcc_lo, s0
	s_cbranch_execnz .LBB153_19
.LBB153_18:
	v_cmp_eq_f16_e32 vcc_lo, s10, v11
	s_delay_alu instid0(VALU_DEP_2) | instskip(SKIP_2) | instid1(SALU_CYCLE_1)
	v_cmp_eq_f16_e64 s0, s11, v10
	s_and_not1_b32 s16, s16, exec_lo
	s_and_b32 s0, vcc_lo, s0
	s_and_b32 s0, s0, exec_lo
	s_delay_alu instid0(SALU_CYCLE_1)
	s_or_b32 s16, s16, s0
.LBB153_19:
	v_cmp_ne_u32_e32 vcc_lo, 1, v1
	v_lshrrev_b32_e32 v10, 16, v12
	s_cbranch_vccnz .LBB153_202
; %bb.20:
	v_cmp_neq_f16_e32 vcc_lo, s10, v12
	s_delay_alu instid0(VALU_DEP_2)
	v_cmp_neq_f16_e64 s0, s11, v10
	s_or_b32 s17, vcc_lo, s0
	s_cbranch_execnz .LBB153_22
.LBB153_21:
	v_cmp_eq_f16_e32 vcc_lo, s10, v12
	s_delay_alu instid0(VALU_DEP_2) | instskip(SKIP_2) | instid1(SALU_CYCLE_1)
	v_cmp_eq_f16_e64 s0, s11, v10
	s_and_not1_b32 s17, s17, exec_lo
	s_and_b32 s0, vcc_lo, s0
	s_and_b32 s0, s0, exec_lo
	s_delay_alu instid0(SALU_CYCLE_1)
	s_or_b32 s17, s17, s0
.LBB153_22:
	v_cmp_ne_u32_e32 vcc_lo, 1, v1
	v_lshrrev_b32_e32 v10, 16, v13
	s_cbranch_vccnz .LBB153_203
; %bb.23:
	v_cmp_neq_f16_e32 vcc_lo, s10, v13
	s_delay_alu instid0(VALU_DEP_2)
	v_cmp_neq_f16_e64 s0, s11, v10
	s_or_b32 s18, vcc_lo, s0
	s_cbranch_execnz .LBB153_25
.LBB153_24:
	v_cmp_eq_f16_e32 vcc_lo, s10, v13
	s_delay_alu instid0(VALU_DEP_2) | instskip(SKIP_2) | instid1(SALU_CYCLE_1)
	v_cmp_eq_f16_e64 s0, s11, v10
	s_and_not1_b32 s18, s18, exec_lo
	s_and_b32 s0, vcc_lo, s0
	s_and_b32 s0, s0, exec_lo
	s_delay_alu instid0(SALU_CYCLE_1)
	s_or_b32 s18, s18, s0
.LBB153_25:
	v_cmp_ne_u32_e32 vcc_lo, 1, v1
	s_wait_loadcnt 0x0
	v_lshrrev_b32_e32 v10, 16, v6
	s_cbranch_vccnz .LBB153_204
; %bb.26:
	v_cmp_neq_f16_e32 vcc_lo, s10, v6
	s_delay_alu instid0(VALU_DEP_2)
	v_cmp_neq_f16_e64 s0, s11, v10
	s_or_b32 s19, vcc_lo, s0
	s_cbranch_execnz .LBB153_28
.LBB153_27:
	v_cmp_eq_f16_e32 vcc_lo, s10, v6
	s_delay_alu instid0(VALU_DEP_2) | instskip(SKIP_2) | instid1(SALU_CYCLE_1)
	v_cmp_eq_f16_e64 s0, s11, v10
	s_and_not1_b32 s19, s19, exec_lo
	s_and_b32 s0, vcc_lo, s0
	s_and_b32 s0, s0, exec_lo
	s_delay_alu instid0(SALU_CYCLE_1)
	s_or_b32 s19, s19, s0
.LBB153_28:
	v_cmp_ne_u32_e32 vcc_lo, 1, v1
	v_lshrrev_b32_e32 v6, 16, v7
	s_cbranch_vccnz .LBB153_205
; %bb.29:
	v_cmp_neq_f16_e32 vcc_lo, s10, v7
	s_delay_alu instid0(VALU_DEP_2)
	v_cmp_neq_f16_e64 s0, s11, v6
	s_or_b32 s20, vcc_lo, s0
	s_cbranch_execnz .LBB153_31
.LBB153_30:
	v_cmp_eq_f16_e32 vcc_lo, s10, v7
	s_delay_alu instid0(VALU_DEP_2) | instskip(SKIP_2) | instid1(SALU_CYCLE_1)
	v_cmp_eq_f16_e64 s0, s11, v6
	s_and_not1_b32 s20, s20, exec_lo
	s_and_b32 s0, vcc_lo, s0
	s_and_b32 s0, s0, exec_lo
	s_delay_alu instid0(SALU_CYCLE_1)
	s_or_b32 s20, s20, s0
.LBB153_31:
	v_cmp_ne_u32_e32 vcc_lo, 1, v1
	v_lshrrev_b32_e32 v6, 16, v8
	s_cbranch_vccnz .LBB153_206
; %bb.32:
	v_cmp_neq_f16_e32 vcc_lo, s10, v8
	s_delay_alu instid0(VALU_DEP_2)
	v_cmp_neq_f16_e64 s0, s11, v6
	s_or_b32 s21, vcc_lo, s0
	s_cbranch_execnz .LBB153_34
.LBB153_33:
	v_cmp_eq_f16_e32 vcc_lo, s10, v8
	s_delay_alu instid0(VALU_DEP_2) | instskip(SKIP_2) | instid1(SALU_CYCLE_1)
	v_cmp_eq_f16_e64 s0, s11, v6
	s_and_not1_b32 s21, s21, exec_lo
	s_and_b32 s0, vcc_lo, s0
	s_and_b32 s0, s0, exec_lo
	s_delay_alu instid0(SALU_CYCLE_1)
	s_or_b32 s21, s21, s0
.LBB153_34:
	v_cmp_ne_u32_e32 vcc_lo, 1, v1
	v_lshrrev_b32_e32 v6, 16, v9
	s_cbranch_vccnz .LBB153_207
; %bb.35:
	v_cmp_neq_f16_e32 vcc_lo, s10, v9
	s_delay_alu instid0(VALU_DEP_2)
	v_cmp_neq_f16_e64 s0, s11, v6
	s_or_b32 s22, vcc_lo, s0
	s_cbranch_execnz .LBB153_37
.LBB153_36:
	v_cmp_eq_f16_e32 vcc_lo, s10, v9
	s_delay_alu instid0(VALU_DEP_2) | instskip(SKIP_2) | instid1(SALU_CYCLE_1)
	v_cmp_eq_f16_e64 s0, s11, v6
	s_and_not1_b32 s22, s22, exec_lo
	s_and_b32 s0, vcc_lo, s0
	s_and_b32 s0, s0, exec_lo
	s_delay_alu instid0(SALU_CYCLE_1)
	s_or_b32 s22, s22, s0
.LBB153_37:
	v_cmp_ne_u32_e32 vcc_lo, 1, v1
	v_lshrrev_b32_e32 v6, 16, v2
	s_cbranch_vccnz .LBB153_208
; %bb.38:
	v_cmp_neq_f16_e32 vcc_lo, s10, v2
	s_delay_alu instid0(VALU_DEP_2)
	v_cmp_neq_f16_e64 s0, s11, v6
	s_or_b32 s23, vcc_lo, s0
	s_cbranch_execnz .LBB153_40
.LBB153_39:
	v_cmp_eq_f16_e32 vcc_lo, s10, v2
	s_delay_alu instid0(VALU_DEP_2) | instskip(SKIP_2) | instid1(SALU_CYCLE_1)
	v_cmp_eq_f16_e64 s0, s11, v6
	s_and_not1_b32 s23, s23, exec_lo
	s_and_b32 s0, vcc_lo, s0
	s_and_b32 s0, s0, exec_lo
	s_delay_alu instid0(SALU_CYCLE_1)
	s_or_b32 s23, s23, s0
.LBB153_40:
	v_cmp_ne_u32_e32 vcc_lo, 1, v1
	v_lshrrev_b32_e32 v2, 16, v3
	s_cbranch_vccnz .LBB153_209
; %bb.41:
	v_cmp_neq_f16_e32 vcc_lo, s10, v3
	s_delay_alu instid0(VALU_DEP_2)
	v_cmp_neq_f16_e64 s0, s11, v2
	s_or_b32 s24, vcc_lo, s0
	s_cbranch_execnz .LBB153_43
.LBB153_42:
	v_cmp_eq_f16_e32 vcc_lo, s10, v3
	s_delay_alu instid0(VALU_DEP_2) | instskip(SKIP_2) | instid1(SALU_CYCLE_1)
	v_cmp_eq_f16_e64 s0, s11, v2
	s_and_not1_b32 s24, s24, exec_lo
	s_and_b32 s0, vcc_lo, s0
	s_and_b32 s0, s0, exec_lo
	s_delay_alu instid0(SALU_CYCLE_1)
	s_or_b32 s24, s24, s0
.LBB153_43:
	v_cmp_ne_u32_e32 vcc_lo, 1, v1
	v_lshrrev_b32_e32 v2, 16, v4
	s_cbranch_vccnz .LBB153_210
; %bb.44:
	v_cmp_neq_f16_e32 vcc_lo, s10, v4
	s_delay_alu instid0(VALU_DEP_2)
	v_cmp_neq_f16_e64 s0, s11, v2
	s_or_b32 s25, vcc_lo, s0
	s_cbranch_execnz .LBB153_46
.LBB153_45:
	v_cmp_eq_f16_e32 vcc_lo, s10, v4
	s_delay_alu instid0(VALU_DEP_2) | instskip(SKIP_2) | instid1(SALU_CYCLE_1)
	v_cmp_eq_f16_e64 s0, s11, v2
	s_and_not1_b32 s25, s25, exec_lo
	s_and_b32 s0, vcc_lo, s0
	s_and_b32 s0, s0, exec_lo
	s_delay_alu instid0(SALU_CYCLE_1)
	s_or_b32 s25, s25, s0
.LBB153_46:
	v_cmp_ne_u32_e32 vcc_lo, 1, v1
	v_lshrrev_b32_e32 v1, 16, v5
	s_cbranch_vccnz .LBB153_211
; %bb.47:
	v_cmp_neq_f16_e32 vcc_lo, s10, v5
	s_delay_alu instid0(VALU_DEP_2)
	v_cmp_neq_f16_e64 s0, s11, v1
	s_or_b32 s26, vcc_lo, s0
	s_cbranch_execnz .LBB153_49
.LBB153_48:
	v_cmp_eq_f16_e32 vcc_lo, s10, v5
	s_delay_alu instid0(VALU_DEP_2) | instskip(SKIP_2) | instid1(SALU_CYCLE_1)
	v_cmp_eq_f16_e64 s0, s11, v1
	s_and_not1_b32 s11, s26, exec_lo
	s_and_b32 s0, vcc_lo, s0
	s_and_b32 s0, s0, exec_lo
	s_delay_alu instid0(SALU_CYCLE_1)
	s_or_b32 s26, s11, s0
.LBB153_49:
	v_cndmask_b32_e64 v1, 0, 0x100, s20
	v_cndmask_b32_e64 v2, 0, 1, s19
	;; [unrolled: 1-line block ×6, first 2 shown]
	v_or_b32_e32 v1, v1, v2
	v_cndmask_b32_e64 v2, 0, 0x1000000, s22
	v_or_b32_e32 v4, v4, v5
	v_cndmask_b32_e64 v5, 0, 0x10000, s13
	v_or3_b32 v6, 0, 0, 0
	v_cndmask_b32_e64 v7, 0, 1, s23
	v_cndmask_b32_e64 v8, 0, 0x100, s24
	;; [unrolled: 1-line block ×4, first 2 shown]
	v_or3_b32 v1, v1, v3, v2
	v_or3_b32 v2, v4, v5, v9
	;; [unrolled: 1-line block ×3, first 2 shown]
	v_cndmask_b32_e64 v5, 0, 0x10000, s17
	v_or3_b32 v3, v6, v10, v11
	v_cndmask_b32_e64 v6, 0, 0x1000000, s18
	v_or3_b32 v2, v2, 0, 0
	v_cndmask_b32_e64 v4, 0, 0x10000, s25
	v_cndmask_b32_e64 v8, 0, 0x1000000, s26
	v_or3_b32 v1, v1, 0, 0
	v_or3_b32 v3, v3, v5, v6
	;; [unrolled: 1-line block ×3, first 2 shown]
	s_add_nc_u64 s[12:13], s[4:5], s[2:3]
	v_or3_b32 v5, v7, v4, v8
	v_or3_b32 v4, v1, 0, 0
	s_mov_b32 s0, 0
	s_clause 0x1
	global_store_b64 v0, v[2:3], s[12:13] scale_offset
	global_store_b64 v0, v[4:5], s[12:13] offset:2048 scale_offset
.LBB153_50:
	s_and_b32 vcc_lo, exec_lo, s0
	s_cbranch_vccz .LBB153_195
; %bb.51:
	v_cmp_gt_i32_e64 s0, s8, v0
	v_dual_mov_b32 v7, 0 :: v_dual_bitop2_b32 v1, s2, v0 bitop3:0x54
	v_or_b32_e32 v6, 0x100, v0
	v_dual_mov_b32 v8, 0 :: v_dual_mov_b32 v9, 0
	v_dual_mov_b32 v10, 0 :: v_dual_mov_b32 v11, 0
	;; [unrolled: 1-line block ×6, first 2 shown]
	s_wait_xcnt 0x1
	v_dual_mov_b32 v3, 0 :: v_dual_mov_b32 v19, 0
	v_mov_b32_e32 v20, 0
	s_wait_xcnt 0x0
	s_and_saveexec_b32 s1, s0
	s_cbranch_execz .LBB153_83
; %bb.52:
	global_load_b32 v20, v1, s[6:7] scale_offset
	v_or_b32_e32 v2, 0x100, v0
	v_dual_mov_b32 v19, 0 :: v_dual_mov_b32 v3, 0
	v_dual_mov_b32 v21, 0 :: v_dual_mov_b32 v18, 0
	;; [unrolled: 1-line block ×7, first 2 shown]
	v_mov_b32_e32 v7, 0
	s_mov_b32 s3, exec_lo
	s_wait_xcnt 0x0
	v_cmpx_gt_u32_e64 s8, v2
	s_cbranch_execz .LBB153_82
; %bb.53:
	v_dual_mov_b32 v3, 0 :: v_dual_add_nc_u32 v2, s2, v0
	v_or_b32_e32 v4, 0x200, v0
	v_dual_mov_b32 v21, 0 :: v_dual_mov_b32 v18, 0
	global_load_b32 v19, v2, s[6:7] offset:1024 scale_offset
	v_dual_mov_b32 v17, 0 :: v_dual_mov_b32 v16, 0
	v_dual_mov_b32 v15, 0 :: v_dual_mov_b32 v14, 0
	;; [unrolled: 1-line block ×5, first 2 shown]
	v_mov_b32_e32 v7, 0
	s_mov_b32 s11, exec_lo
	s_wait_xcnt 0x0
	v_cmpx_gt_u32_e64 s8, v4
	s_cbranch_execz .LBB153_81
; %bb.54:
	v_lshl_add_u64 v[4:5], v[2:3], 2, s[6:7]
	v_or_b32_e32 v7, 0x300, v0
	v_dual_mov_b32 v18, 0 :: v_dual_mov_b32 v17, 0
	v_dual_mov_b32 v16, 0 :: v_dual_mov_b32 v15, 0
	global_load_b32 v2, v[4:5], off offset:2048
	v_cmp_gt_u32_e32 vcc_lo, s8, v7
	v_dual_mov_b32 v14, 0 :: v_dual_mov_b32 v13, 0
	v_dual_mov_b32 v12, 0 :: v_dual_mov_b32 v11, 0
	v_dual_mov_b32 v10, 0 :: v_dual_mov_b32 v9, 0
	v_dual_mov_b32 v8, 0 :: v_dual_mov_b32 v7, 0
	s_wait_xcnt 0x0
	s_and_saveexec_b32 s6, vcc_lo
	s_cbranch_execz .LBB153_80
; %bb.55:
	global_load_b32 v3, v[4:5], off offset:3072
	v_or_b32_e32 v7, 0x400, v0
	v_dual_mov_b32 v18, 0 :: v_dual_mov_b32 v17, 0
	v_dual_mov_b32 v16, 0 :: v_dual_mov_b32 v15, 0
	s_delay_alu instid0(VALU_DEP_3)
	v_cmp_gt_u32_e32 vcc_lo, s8, v7
	v_dual_mov_b32 v14, 0 :: v_dual_mov_b32 v13, 0
	v_dual_mov_b32 v12, 0 :: v_dual_mov_b32 v11, 0
	;; [unrolled: 1-line block ×4, first 2 shown]
	s_wait_xcnt 0x0
	s_and_saveexec_b32 s7, vcc_lo
	s_cbranch_execz .LBB153_79
; %bb.56:
	global_load_b32 v18, v[4:5], off offset:4096
	v_or_b32_e32 v7, 0x500, v0
	v_dual_mov_b32 v17, 0 :: v_dual_mov_b32 v16, 0
	v_dual_mov_b32 v15, 0 :: v_dual_mov_b32 v14, 0
	s_delay_alu instid0(VALU_DEP_3)
	v_cmp_gt_u32_e32 vcc_lo, s8, v7
	v_dual_mov_b32 v13, 0 :: v_dual_mov_b32 v12, 0
	v_dual_mov_b32 v11, 0 :: v_dual_mov_b32 v10, 0
	;; [unrolled: 1-line block ×3, first 2 shown]
	v_mov_b32_e32 v7, 0
	s_wait_xcnt 0x0
	s_and_saveexec_b32 s12, vcc_lo
	s_cbranch_execz .LBB153_78
; %bb.57:
	global_load_b32 v17, v[4:5], off offset:5120
	v_or_b32_e32 v7, 0x600, v0
	v_dual_mov_b32 v16, 0 :: v_dual_mov_b32 v15, 0
	v_dual_mov_b32 v14, 0 :: v_dual_mov_b32 v13, 0
	s_delay_alu instid0(VALU_DEP_3)
	v_cmp_gt_u32_e32 vcc_lo, s8, v7
	v_dual_mov_b32 v12, 0 :: v_dual_mov_b32 v11, 0
	v_dual_mov_b32 v10, 0 :: v_dual_mov_b32 v9, 0
	;; [unrolled: 1-line block ×3, first 2 shown]
	s_wait_xcnt 0x0
	s_and_saveexec_b32 s13, vcc_lo
	s_cbranch_execz .LBB153_77
; %bb.58:
	global_load_b32 v16, v[4:5], off offset:6144
	v_or_b32_e32 v7, 0x700, v0
	v_dual_mov_b32 v15, 0 :: v_dual_mov_b32 v14, 0
	v_dual_mov_b32 v13, 0 :: v_dual_mov_b32 v12, 0
	s_delay_alu instid0(VALU_DEP_3)
	v_cmp_gt_u32_e32 vcc_lo, s8, v7
	v_dual_mov_b32 v11, 0 :: v_dual_mov_b32 v10, 0
	v_dual_mov_b32 v9, 0 :: v_dual_mov_b32 v8, 0
	v_mov_b32_e32 v7, 0
	s_wait_xcnt 0x0
	s_and_saveexec_b32 s14, vcc_lo
	s_cbranch_execz .LBB153_76
; %bb.59:
	global_load_b32 v15, v[4:5], off offset:7168
	v_or_b32_e32 v7, 0x800, v0
	v_dual_mov_b32 v14, 0 :: v_dual_mov_b32 v13, 0
	v_dual_mov_b32 v12, 0 :: v_dual_mov_b32 v11, 0
	s_delay_alu instid0(VALU_DEP_3)
	v_cmp_gt_u32_e32 vcc_lo, s8, v7
	v_dual_mov_b32 v10, 0 :: v_dual_mov_b32 v9, 0
	v_dual_mov_b32 v8, 0 :: v_dual_mov_b32 v7, 0
	s_wait_xcnt 0x0
	s_and_saveexec_b32 s15, vcc_lo
	s_cbranch_execz .LBB153_75
; %bb.60:
	global_load_b32 v14, v[4:5], off offset:8192
	v_or_b32_e32 v7, 0x900, v0
	v_dual_mov_b32 v13, 0 :: v_dual_mov_b32 v12, 0
	v_dual_mov_b32 v11, 0 :: v_dual_mov_b32 v10, 0
	s_delay_alu instid0(VALU_DEP_3)
	v_cmp_gt_u32_e32 vcc_lo, s8, v7
	v_dual_mov_b32 v9, 0 :: v_dual_mov_b32 v8, 0
	v_mov_b32_e32 v7, 0
	s_wait_xcnt 0x0
	s_and_saveexec_b32 s16, vcc_lo
	s_cbranch_execz .LBB153_74
; %bb.61:
	global_load_b32 v13, v[4:5], off offset:9216
	v_or_b32_e32 v7, 0xa00, v0
	v_dual_mov_b32 v12, 0 :: v_dual_mov_b32 v11, 0
	v_dual_mov_b32 v10, 0 :: v_dual_mov_b32 v9, 0
	s_delay_alu instid0(VALU_DEP_3)
	v_cmp_gt_u32_e32 vcc_lo, s8, v7
	v_dual_mov_b32 v8, 0 :: v_dual_mov_b32 v7, 0
	s_wait_xcnt 0x0
	s_and_saveexec_b32 s17, vcc_lo
	s_cbranch_execz .LBB153_73
; %bb.62:
	global_load_b32 v12, v[4:5], off offset:10240
	v_or_b32_e32 v7, 0xb00, v0
	v_dual_mov_b32 v11, 0 :: v_dual_mov_b32 v10, 0
	v_dual_mov_b32 v9, 0 :: v_dual_mov_b32 v8, 0
	s_delay_alu instid0(VALU_DEP_3)
	v_cmp_gt_u32_e32 vcc_lo, s8, v7
	v_mov_b32_e32 v7, 0
	s_wait_xcnt 0x0
	s_and_saveexec_b32 s18, vcc_lo
	s_cbranch_execz .LBB153_72
; %bb.63:
	global_load_b32 v11, v[4:5], off offset:11264
	v_or_b32_e32 v7, 0xc00, v0
	v_dual_mov_b32 v10, 0 :: v_dual_mov_b32 v9, 0
	v_mov_b32_e32 v8, 0
	s_delay_alu instid0(VALU_DEP_3)
	v_cmp_gt_u32_e32 vcc_lo, s8, v7
	v_mov_b32_e32 v7, 0
	s_wait_xcnt 0x0
	s_and_saveexec_b32 s19, vcc_lo
	s_cbranch_execz .LBB153_71
; %bb.64:
	global_load_b32 v10, v[4:5], off offset:12288
	v_or_b32_e32 v7, 0xd00, v0
	v_dual_mov_b32 v9, 0 :: v_dual_mov_b32 v8, 0
	s_delay_alu instid0(VALU_DEP_2)
	v_cmp_gt_u32_e32 vcc_lo, s8, v7
	v_mov_b32_e32 v7, 0
	s_wait_xcnt 0x0
	s_and_saveexec_b32 s20, vcc_lo
	s_cbranch_execz .LBB153_70
; %bb.65:
	global_load_b32 v9, v[4:5], off offset:13312
	v_or_b32_e32 v7, 0xe00, v0
	v_mov_b32_e32 v8, 0
	s_delay_alu instid0(VALU_DEP_2)
	v_cmp_gt_u32_e32 vcc_lo, s8, v7
	v_mov_b32_e32 v7, 0
	s_wait_xcnt 0x0
	s_and_saveexec_b32 s21, vcc_lo
	s_cbranch_execz .LBB153_69
; %bb.66:
	global_load_b32 v8, v[4:5], off offset:14336
	v_or_b32_e32 v7, 0xf00, v0
	s_delay_alu instid0(VALU_DEP_1)
	v_cmp_gt_u32_e32 vcc_lo, s8, v7
	v_mov_b32_e32 v7, 0
	s_wait_xcnt 0x0
	s_and_saveexec_b32 s22, vcc_lo
	s_cbranch_execz .LBB153_68
; %bb.67:
	global_load_b32 v7, v[4:5], off offset:15360
.LBB153_68:
	s_wait_xcnt 0x0
	s_or_b32 exec_lo, exec_lo, s22
.LBB153_69:
	s_delay_alu instid0(SALU_CYCLE_1)
	s_or_b32 exec_lo, exec_lo, s21
.LBB153_70:
	s_delay_alu instid0(SALU_CYCLE_1)
	s_or_b32 exec_lo, exec_lo, s20
.LBB153_71:
	s_delay_alu instid0(SALU_CYCLE_1)
	s_or_b32 exec_lo, exec_lo, s19
.LBB153_72:
	s_delay_alu instid0(SALU_CYCLE_1)
	s_or_b32 exec_lo, exec_lo, s18
.LBB153_73:
	s_delay_alu instid0(SALU_CYCLE_1)
	s_or_b32 exec_lo, exec_lo, s17
.LBB153_74:
	s_delay_alu instid0(SALU_CYCLE_1)
	s_or_b32 exec_lo, exec_lo, s16
.LBB153_75:
	s_delay_alu instid0(SALU_CYCLE_1)
	s_or_b32 exec_lo, exec_lo, s15
.LBB153_76:
	s_delay_alu instid0(SALU_CYCLE_1)
	s_or_b32 exec_lo, exec_lo, s14
.LBB153_77:
	s_delay_alu instid0(SALU_CYCLE_1)
	s_or_b32 exec_lo, exec_lo, s13
.LBB153_78:
	s_delay_alu instid0(SALU_CYCLE_1)
	s_or_b32 exec_lo, exec_lo, s12
.LBB153_79:
	s_delay_alu instid0(SALU_CYCLE_1)
	s_or_b32 exec_lo, exec_lo, s7
.LBB153_80:
	s_delay_alu instid0(SALU_CYCLE_1)
	s_or_b32 exec_lo, exec_lo, s6
	s_wait_loadcnt 0x0
	v_dual_mov_b32 v21, v3 :: v_dual_mov_b32 v3, v2
.LBB153_81:
	s_or_b32 exec_lo, exec_lo, s11
.LBB153_82:
	s_delay_alu instid0(SALU_CYCLE_1)
	s_or_b32 exec_lo, exec_lo, s3
.LBB153_83:
	s_delay_alu instid0(SALU_CYCLE_1)
	s_or_b32 exec_lo, exec_lo, s1
	s_lshr_b32 s3, s10, 16
	s_cmp_lg_u32 s9, 0
                                        ; implicit-def: $vgpr2
	s_cselect_b32 s6, -1, 0
	s_and_saveexec_b32 s7, s0
	s_cbranch_execz .LBB153_88
; %bb.84:
	s_wait_loadcnt 0x0
	v_lshrrev_b32_e32 v2, 16, v20
	s_and_b32 vcc_lo, exec_lo, s6
	s_cbranch_vccz .LBB153_212
; %bb.85:
	v_cmp_neq_f16_e32 vcc_lo, s10, v20
	s_delay_alu instid0(VALU_DEP_2)
	v_cmp_neq_f16_e64 s1, s3, v2
	s_or_b32 s9, vcc_lo, s1
	s_cbranch_execnz .LBB153_87
.LBB153_86:
	v_cmp_eq_f16_e32 vcc_lo, s10, v20
	v_cmp_eq_f16_e64 s1, s3, v2
	s_and_not1_b32 s9, s9, exec_lo
	s_and_b32 s1, vcc_lo, s1
	s_delay_alu instid0(SALU_CYCLE_1) | instskip(NEXT) | instid1(SALU_CYCLE_1)
	s_and_b32 s1, s1, exec_lo
	s_or_b32 s9, s9, s1
.LBB153_87:
	s_delay_alu instid0(SALU_CYCLE_1)
	v_cndmask_b32_e64 v2, 0, 1, s9
.LBB153_88:
	s_or_b32 exec_lo, exec_lo, s7
	v_cndmask_b32_e64 v5, 0, 1, s6
	s_mov_b32 s7, exec_lo
                                        ; implicit-def: $vgpr4
	v_cmpx_gt_i32_e64 s8, v6
	s_cbranch_execz .LBB153_93
; %bb.89:
	s_wait_loadcnt 0x0
	v_lshrrev_b32_e32 v4, 16, v19
	s_and_not1_b32 vcc_lo, exec_lo, s6
	s_cbranch_vccnz .LBB153_213
; %bb.90:
	v_cmp_neq_f16_e32 vcc_lo, s10, v19
	s_delay_alu instid0(VALU_DEP_2)
	v_cmp_neq_f16_e64 s1, s3, v4
	s_or_b32 s6, vcc_lo, s1
	s_cbranch_execnz .LBB153_92
.LBB153_91:
	v_cmp_eq_f16_e32 vcc_lo, s10, v19
	v_cmp_eq_f16_e64 s1, s3, v4
	s_and_not1_b32 s6, s6, exec_lo
	s_and_b32 s1, vcc_lo, s1
	s_delay_alu instid0(SALU_CYCLE_1) | instskip(NEXT) | instid1(SALU_CYCLE_1)
	s_and_b32 s1, s1, exec_lo
	s_or_b32 s6, s6, s1
.LBB153_92:
	s_delay_alu instid0(SALU_CYCLE_1)
	v_cndmask_b32_e64 v4, 0, 1, s6
.LBB153_93:
	s_or_b32 exec_lo, exec_lo, s7
	s_wait_loadcnt 0x0
	v_or_b32_e32 v19, 0x200, v0
	s_delay_alu instid0(VALU_DEP_1)
	v_cmp_gt_i32_e32 vcc_lo, s8, v19
                                        ; implicit-def: $vgpr19
	s_and_saveexec_b32 s6, vcc_lo
	s_cbranch_execz .LBB153_98
; %bb.94:
	v_cmp_ne_u32_e32 vcc_lo, 1, v5
	v_lshrrev_b32_e32 v19, 16, v3
	s_cbranch_vccnz .LBB153_214
; %bb.95:
	v_cmp_neq_f16_e32 vcc_lo, s10, v3
	s_delay_alu instid0(VALU_DEP_2)
	v_cmp_neq_f16_e64 s1, s3, v19
	s_or_b32 s7, vcc_lo, s1
	s_cbranch_execnz .LBB153_97
.LBB153_96:
	v_cmp_eq_f16_e32 vcc_lo, s10, v3
	s_delay_alu instid0(VALU_DEP_2) | instskip(SKIP_2) | instid1(SALU_CYCLE_1)
	v_cmp_eq_f16_e64 s1, s3, v19
	s_and_not1_b32 s7, s7, exec_lo
	s_and_b32 s1, vcc_lo, s1
	s_and_b32 s1, s1, exec_lo
	s_delay_alu instid0(SALU_CYCLE_1)
	s_or_b32 s7, s7, s1
.LBB153_97:
	s_delay_alu instid0(SALU_CYCLE_1)
	v_cndmask_b32_e64 v19, 0, 1, s7
.LBB153_98:
	s_or_b32 exec_lo, exec_lo, s6
	v_or_b32_e32 v3, 0x300, v0
	s_delay_alu instid0(VALU_DEP_1)
	v_cmp_gt_i32_e32 vcc_lo, s8, v3
                                        ; implicit-def: $vgpr3
	s_and_saveexec_b32 s6, vcc_lo
	s_cbranch_execz .LBB153_103
; %bb.99:
	v_cmp_ne_u32_e32 vcc_lo, 1, v5
	v_lshrrev_b32_e32 v3, 16, v21
	s_cbranch_vccnz .LBB153_215
; %bb.100:
	v_cmp_neq_f16_e32 vcc_lo, s10, v21
	s_delay_alu instid0(VALU_DEP_2)
	v_cmp_neq_f16_e64 s1, s3, v3
	s_or_b32 s7, vcc_lo, s1
	s_cbranch_execnz .LBB153_102
.LBB153_101:
	v_cmp_eq_f16_e32 vcc_lo, s10, v21
	s_delay_alu instid0(VALU_DEP_2) | instskip(SKIP_2) | instid1(SALU_CYCLE_1)
	v_cmp_eq_f16_e64 s1, s3, v3
	s_and_not1_b32 s7, s7, exec_lo
	s_and_b32 s1, vcc_lo, s1
	s_and_b32 s1, s1, exec_lo
	s_delay_alu instid0(SALU_CYCLE_1)
	s_or_b32 s7, s7, s1
.LBB153_102:
	s_delay_alu instid0(SALU_CYCLE_1)
	v_cndmask_b32_e64 v3, 0, 1, s7
.LBB153_103:
	s_or_b32 exec_lo, exec_lo, s6
	v_or_b32_e32 v20, 0x400, v0
	s_delay_alu instid0(VALU_DEP_1)
	v_cmp_gt_i32_e32 vcc_lo, s8, v20
                                        ; implicit-def: $vgpr20
	s_and_saveexec_b32 s6, vcc_lo
	s_cbranch_execz .LBB153_108
; %bb.104:
	v_cmp_ne_u32_e32 vcc_lo, 1, v5
	v_lshrrev_b32_e32 v20, 16, v18
	s_cbranch_vccnz .LBB153_216
; %bb.105:
	v_cmp_neq_f16_e32 vcc_lo, s10, v18
	s_delay_alu instid0(VALU_DEP_2)
	v_cmp_neq_f16_e64 s1, s3, v20
	s_or_b32 s7, vcc_lo, s1
	s_cbranch_execnz .LBB153_107
.LBB153_106:
	v_cmp_eq_f16_e32 vcc_lo, s10, v18
	s_delay_alu instid0(VALU_DEP_2) | instskip(SKIP_2) | instid1(SALU_CYCLE_1)
	v_cmp_eq_f16_e64 s1, s3, v20
	s_and_not1_b32 s7, s7, exec_lo
	s_and_b32 s1, vcc_lo, s1
	s_and_b32 s1, s1, exec_lo
	s_delay_alu instid0(SALU_CYCLE_1)
	s_or_b32 s7, s7, s1
.LBB153_107:
	s_delay_alu instid0(SALU_CYCLE_1)
	v_cndmask_b32_e64 v20, 0, 1, s7
.LBB153_108:
	s_or_b32 exec_lo, exec_lo, s6
	v_or_b32_e32 v18, 0x500, v0
	s_delay_alu instid0(VALU_DEP_1)
	v_cmp_gt_i32_e32 vcc_lo, s8, v18
                                        ; implicit-def: $vgpr18
	s_and_saveexec_b32 s6, vcc_lo
	s_cbranch_execz .LBB153_113
; %bb.109:
	v_cmp_ne_u32_e32 vcc_lo, 1, v5
	v_lshrrev_b32_e32 v18, 16, v17
	s_cbranch_vccnz .LBB153_217
; %bb.110:
	v_cmp_neq_f16_e32 vcc_lo, s10, v17
	s_delay_alu instid0(VALU_DEP_2)
	v_cmp_neq_f16_e64 s1, s3, v18
	s_or_b32 s7, vcc_lo, s1
	s_cbranch_execnz .LBB153_112
.LBB153_111:
	v_cmp_eq_f16_e32 vcc_lo, s10, v17
	s_delay_alu instid0(VALU_DEP_2) | instskip(SKIP_2) | instid1(SALU_CYCLE_1)
	v_cmp_eq_f16_e64 s1, s3, v18
	s_and_not1_b32 s7, s7, exec_lo
	s_and_b32 s1, vcc_lo, s1
	s_and_b32 s1, s1, exec_lo
	s_delay_alu instid0(SALU_CYCLE_1)
	s_or_b32 s7, s7, s1
.LBB153_112:
	s_delay_alu instid0(SALU_CYCLE_1)
	v_cndmask_b32_e64 v18, 0, 1, s7
.LBB153_113:
	s_or_b32 exec_lo, exec_lo, s6
	v_or_b32_e32 v17, 0x600, v0
	s_delay_alu instid0(VALU_DEP_1)
	v_cmp_gt_i32_e32 vcc_lo, s8, v17
                                        ; implicit-def: $vgpr17
	s_and_saveexec_b32 s6, vcc_lo
	s_cbranch_execz .LBB153_118
; %bb.114:
	v_cmp_ne_u32_e32 vcc_lo, 1, v5
	v_lshrrev_b32_e32 v17, 16, v16
	s_cbranch_vccnz .LBB153_218
; %bb.115:
	v_cmp_neq_f16_e32 vcc_lo, s10, v16
	s_delay_alu instid0(VALU_DEP_2)
	v_cmp_neq_f16_e64 s1, s3, v17
	s_or_b32 s7, vcc_lo, s1
	s_cbranch_execnz .LBB153_117
.LBB153_116:
	v_cmp_eq_f16_e32 vcc_lo, s10, v16
	s_delay_alu instid0(VALU_DEP_2) | instskip(SKIP_2) | instid1(SALU_CYCLE_1)
	v_cmp_eq_f16_e64 s1, s3, v17
	s_and_not1_b32 s7, s7, exec_lo
	s_and_b32 s1, vcc_lo, s1
	s_and_b32 s1, s1, exec_lo
	s_delay_alu instid0(SALU_CYCLE_1)
	s_or_b32 s7, s7, s1
.LBB153_117:
	s_delay_alu instid0(SALU_CYCLE_1)
	v_cndmask_b32_e64 v17, 0, 1, s7
.LBB153_118:
	s_or_b32 exec_lo, exec_lo, s6
	v_or_b32_e32 v16, 0x700, v0
	s_delay_alu instid0(VALU_DEP_1)
	v_cmp_gt_i32_e32 vcc_lo, s8, v16
                                        ; implicit-def: $vgpr16
	s_and_saveexec_b32 s6, vcc_lo
	s_cbranch_execz .LBB153_123
; %bb.119:
	v_cmp_ne_u32_e32 vcc_lo, 1, v5
	v_lshrrev_b32_e32 v16, 16, v15
	s_cbranch_vccnz .LBB153_219
; %bb.120:
	v_cmp_neq_f16_e32 vcc_lo, s10, v15
	s_delay_alu instid0(VALU_DEP_2)
	v_cmp_neq_f16_e64 s1, s3, v16
	s_or_b32 s7, vcc_lo, s1
	s_cbranch_execnz .LBB153_122
.LBB153_121:
	v_cmp_eq_f16_e32 vcc_lo, s10, v15
	s_delay_alu instid0(VALU_DEP_2) | instskip(SKIP_2) | instid1(SALU_CYCLE_1)
	v_cmp_eq_f16_e64 s1, s3, v16
	s_and_not1_b32 s7, s7, exec_lo
	s_and_b32 s1, vcc_lo, s1
	s_and_b32 s1, s1, exec_lo
	s_delay_alu instid0(SALU_CYCLE_1)
	s_or_b32 s7, s7, s1
.LBB153_122:
	s_delay_alu instid0(SALU_CYCLE_1)
	v_cndmask_b32_e64 v16, 0, 1, s7
.LBB153_123:
	s_or_b32 exec_lo, exec_lo, s6
	v_or_b32_e32 v15, 0x800, v0
	s_delay_alu instid0(VALU_DEP_1)
	v_cmp_gt_i32_e32 vcc_lo, s8, v15
                                        ; implicit-def: $vgpr15
	s_and_saveexec_b32 s6, vcc_lo
	s_cbranch_execz .LBB153_128
; %bb.124:
	v_cmp_ne_u32_e32 vcc_lo, 1, v5
	v_lshrrev_b32_e32 v15, 16, v14
	s_cbranch_vccnz .LBB153_220
; %bb.125:
	v_cmp_neq_f16_e32 vcc_lo, s10, v14
	s_delay_alu instid0(VALU_DEP_2)
	v_cmp_neq_f16_e64 s1, s3, v15
	s_or_b32 s7, vcc_lo, s1
	s_cbranch_execnz .LBB153_127
.LBB153_126:
	v_cmp_eq_f16_e32 vcc_lo, s10, v14
	s_delay_alu instid0(VALU_DEP_2) | instskip(SKIP_2) | instid1(SALU_CYCLE_1)
	v_cmp_eq_f16_e64 s1, s3, v15
	s_and_not1_b32 s7, s7, exec_lo
	s_and_b32 s1, vcc_lo, s1
	s_and_b32 s1, s1, exec_lo
	s_delay_alu instid0(SALU_CYCLE_1)
	s_or_b32 s7, s7, s1
.LBB153_127:
	s_delay_alu instid0(SALU_CYCLE_1)
	v_cndmask_b32_e64 v15, 0, 1, s7
.LBB153_128:
	s_or_b32 exec_lo, exec_lo, s6
	v_or_b32_e32 v14, 0x900, v0
	s_delay_alu instid0(VALU_DEP_1)
	v_cmp_gt_i32_e32 vcc_lo, s8, v14
                                        ; implicit-def: $vgpr14
	s_and_saveexec_b32 s6, vcc_lo
	s_cbranch_execz .LBB153_133
; %bb.129:
	v_cmp_ne_u32_e32 vcc_lo, 1, v5
	v_lshrrev_b32_e32 v14, 16, v13
	s_cbranch_vccnz .LBB153_221
; %bb.130:
	v_cmp_neq_f16_e32 vcc_lo, s10, v13
	s_delay_alu instid0(VALU_DEP_2)
	v_cmp_neq_f16_e64 s1, s3, v14
	s_or_b32 s7, vcc_lo, s1
	s_cbranch_execnz .LBB153_132
.LBB153_131:
	v_cmp_eq_f16_e32 vcc_lo, s10, v13
	s_delay_alu instid0(VALU_DEP_2) | instskip(SKIP_2) | instid1(SALU_CYCLE_1)
	v_cmp_eq_f16_e64 s1, s3, v14
	s_and_not1_b32 s7, s7, exec_lo
	s_and_b32 s1, vcc_lo, s1
	s_and_b32 s1, s1, exec_lo
	s_delay_alu instid0(SALU_CYCLE_1)
	s_or_b32 s7, s7, s1
.LBB153_132:
	s_delay_alu instid0(SALU_CYCLE_1)
	v_cndmask_b32_e64 v14, 0, 1, s7
.LBB153_133:
	s_or_b32 exec_lo, exec_lo, s6
	v_or_b32_e32 v13, 0xa00, v0
	s_delay_alu instid0(VALU_DEP_1)
	v_cmp_gt_i32_e32 vcc_lo, s8, v13
                                        ; implicit-def: $vgpr13
	s_and_saveexec_b32 s6, vcc_lo
	s_cbranch_execz .LBB153_138
; %bb.134:
	v_cmp_ne_u32_e32 vcc_lo, 1, v5
	v_lshrrev_b32_e32 v13, 16, v12
	s_cbranch_vccnz .LBB153_222
; %bb.135:
	v_cmp_neq_f16_e32 vcc_lo, s10, v12
	s_delay_alu instid0(VALU_DEP_2)
	v_cmp_neq_f16_e64 s1, s3, v13
	s_or_b32 s7, vcc_lo, s1
	s_cbranch_execnz .LBB153_137
.LBB153_136:
	v_cmp_eq_f16_e32 vcc_lo, s10, v12
	s_delay_alu instid0(VALU_DEP_2) | instskip(SKIP_2) | instid1(SALU_CYCLE_1)
	v_cmp_eq_f16_e64 s1, s3, v13
	s_and_not1_b32 s7, s7, exec_lo
	s_and_b32 s1, vcc_lo, s1
	s_and_b32 s1, s1, exec_lo
	s_delay_alu instid0(SALU_CYCLE_1)
	s_or_b32 s7, s7, s1
.LBB153_137:
	s_delay_alu instid0(SALU_CYCLE_1)
	v_cndmask_b32_e64 v13, 0, 1, s7
.LBB153_138:
	s_or_b32 exec_lo, exec_lo, s6
	v_or_b32_e32 v12, 0xb00, v0
	s_delay_alu instid0(VALU_DEP_1)
	v_cmp_gt_i32_e32 vcc_lo, s8, v12
                                        ; implicit-def: $vgpr12
	s_and_saveexec_b32 s6, vcc_lo
	s_cbranch_execz .LBB153_143
; %bb.139:
	v_cmp_ne_u32_e32 vcc_lo, 1, v5
	v_lshrrev_b32_e32 v12, 16, v11
	s_cbranch_vccnz .LBB153_223
; %bb.140:
	v_cmp_neq_f16_e32 vcc_lo, s10, v11
	s_delay_alu instid0(VALU_DEP_2)
	v_cmp_neq_f16_e64 s1, s3, v12
	s_or_b32 s7, vcc_lo, s1
	s_cbranch_execnz .LBB153_142
.LBB153_141:
	v_cmp_eq_f16_e32 vcc_lo, s10, v11
	s_delay_alu instid0(VALU_DEP_2) | instskip(SKIP_2) | instid1(SALU_CYCLE_1)
	v_cmp_eq_f16_e64 s1, s3, v12
	s_and_not1_b32 s7, s7, exec_lo
	s_and_b32 s1, vcc_lo, s1
	s_and_b32 s1, s1, exec_lo
	s_delay_alu instid0(SALU_CYCLE_1)
	s_or_b32 s7, s7, s1
.LBB153_142:
	s_delay_alu instid0(SALU_CYCLE_1)
	v_cndmask_b32_e64 v12, 0, 1, s7
.LBB153_143:
	s_or_b32 exec_lo, exec_lo, s6
	v_or_b32_e32 v11, 0xc00, v0
	s_delay_alu instid0(VALU_DEP_1)
	v_cmp_gt_i32_e32 vcc_lo, s8, v11
                                        ; implicit-def: $vgpr11
	s_and_saveexec_b32 s6, vcc_lo
	s_cbranch_execz .LBB153_148
; %bb.144:
	v_cmp_ne_u32_e32 vcc_lo, 1, v5
	v_lshrrev_b32_e32 v11, 16, v10
	s_cbranch_vccnz .LBB153_224
; %bb.145:
	v_cmp_neq_f16_e32 vcc_lo, s10, v10
	s_delay_alu instid0(VALU_DEP_2)
	v_cmp_neq_f16_e64 s1, s3, v11
	s_or_b32 s7, vcc_lo, s1
	s_cbranch_execnz .LBB153_147
.LBB153_146:
	v_cmp_eq_f16_e32 vcc_lo, s10, v10
	s_delay_alu instid0(VALU_DEP_2) | instskip(SKIP_2) | instid1(SALU_CYCLE_1)
	v_cmp_eq_f16_e64 s1, s3, v11
	s_and_not1_b32 s7, s7, exec_lo
	s_and_b32 s1, vcc_lo, s1
	s_and_b32 s1, s1, exec_lo
	s_delay_alu instid0(SALU_CYCLE_1)
	s_or_b32 s7, s7, s1
.LBB153_147:
	s_delay_alu instid0(SALU_CYCLE_1)
	v_cndmask_b32_e64 v11, 0, 1, s7
.LBB153_148:
	s_or_b32 exec_lo, exec_lo, s6
	v_or_b32_e32 v10, 0xd00, v0
	s_delay_alu instid0(VALU_DEP_1)
	v_cmp_gt_i32_e32 vcc_lo, s8, v10
                                        ; implicit-def: $vgpr10
	s_and_saveexec_b32 s6, vcc_lo
	s_cbranch_execz .LBB153_153
; %bb.149:
	v_cmp_ne_u32_e32 vcc_lo, 1, v5
	v_lshrrev_b32_e32 v10, 16, v9
	s_cbranch_vccnz .LBB153_225
; %bb.150:
	v_cmp_neq_f16_e32 vcc_lo, s10, v9
	s_delay_alu instid0(VALU_DEP_2)
	v_cmp_neq_f16_e64 s1, s3, v10
	s_or_b32 s7, vcc_lo, s1
	s_cbranch_execnz .LBB153_152
.LBB153_151:
	v_cmp_eq_f16_e32 vcc_lo, s10, v9
	s_delay_alu instid0(VALU_DEP_2) | instskip(SKIP_2) | instid1(SALU_CYCLE_1)
	v_cmp_eq_f16_e64 s1, s3, v10
	s_and_not1_b32 s7, s7, exec_lo
	s_and_b32 s1, vcc_lo, s1
	s_and_b32 s1, s1, exec_lo
	s_delay_alu instid0(SALU_CYCLE_1)
	s_or_b32 s7, s7, s1
.LBB153_152:
	s_delay_alu instid0(SALU_CYCLE_1)
	v_cndmask_b32_e64 v10, 0, 1, s7
.LBB153_153:
	s_or_b32 exec_lo, exec_lo, s6
	v_or_b32_e32 v9, 0xe00, v0
	s_delay_alu instid0(VALU_DEP_1)
	v_cmp_gt_i32_e32 vcc_lo, s8, v9
                                        ; implicit-def: $vgpr9
	s_and_saveexec_b32 s6, vcc_lo
	s_cbranch_execz .LBB153_158
; %bb.154:
	v_cmp_ne_u32_e32 vcc_lo, 1, v5
	v_lshrrev_b32_e32 v9, 16, v8
	s_cbranch_vccnz .LBB153_226
; %bb.155:
	v_cmp_neq_f16_e32 vcc_lo, s10, v8
	s_delay_alu instid0(VALU_DEP_2)
	v_cmp_neq_f16_e64 s1, s3, v9
	s_or_b32 s7, vcc_lo, s1
	s_cbranch_execnz .LBB153_157
.LBB153_156:
	v_cmp_eq_f16_e32 vcc_lo, s10, v8
	s_delay_alu instid0(VALU_DEP_2) | instskip(SKIP_2) | instid1(SALU_CYCLE_1)
	v_cmp_eq_f16_e64 s1, s3, v9
	s_and_not1_b32 s7, s7, exec_lo
	s_and_b32 s1, vcc_lo, s1
	s_and_b32 s1, s1, exec_lo
	s_delay_alu instid0(SALU_CYCLE_1)
	s_or_b32 s7, s7, s1
.LBB153_157:
	s_delay_alu instid0(SALU_CYCLE_1)
	v_cndmask_b32_e64 v9, 0, 1, s7
.LBB153_158:
	s_or_b32 exec_lo, exec_lo, s6
	v_or_b32_e32 v8, 0xf00, v0
	s_delay_alu instid0(VALU_DEP_1)
	v_cmp_gt_i32_e32 vcc_lo, s8, v8
                                        ; implicit-def: $vgpr8
	s_and_saveexec_b32 s6, vcc_lo
	s_cbranch_execz .LBB153_163
; %bb.159:
	v_cmp_ne_u32_e32 vcc_lo, 1, v5
	v_lshrrev_b32_e32 v5, 16, v7
	s_cbranch_vccnz .LBB153_227
; %bb.160:
	v_cmp_neq_f16_e32 vcc_lo, s10, v7
	s_delay_alu instid0(VALU_DEP_2)
	v_cmp_neq_f16_e64 s1, s3, v5
	s_or_b32 s7, vcc_lo, s1
	s_cbranch_execnz .LBB153_162
.LBB153_161:
	v_cmp_eq_f16_e32 vcc_lo, s10, v7
	s_delay_alu instid0(VALU_DEP_2) | instskip(SKIP_2) | instid1(SALU_CYCLE_1)
	v_cmp_eq_f16_e64 s1, s3, v5
	s_and_not1_b32 s3, s7, exec_lo
	s_and_b32 s1, vcc_lo, s1
	s_and_b32 s1, s1, exec_lo
	s_delay_alu instid0(SALU_CYCLE_1)
	s_or_b32 s7, s3, s1
.LBB153_162:
	s_delay_alu instid0(SALU_CYCLE_1)
	v_cndmask_b32_e64 v8, 0, 1, s7
.LBB153_163:
	s_or_b32 exec_lo, exec_lo, s6
	s_and_saveexec_b32 s1, s0
	s_delay_alu instid0(SALU_CYCLE_1)
	s_xor_b32 s0, exec_lo, s1
	s_cbranch_execz .LBB153_165
; %bb.164:
	v_mov_b32_e32 v0, v6
	global_store_b8 v1, v2, s[4:5]
.LBB153_165:
	s_wait_xcnt 0x0
	s_or_b32 exec_lo, exec_lo, s0
	s_delay_alu instid0(SALU_CYCLE_1)
	s_mov_b32 s0, exec_lo
	v_cmpx_gt_i32_e64 s8, v0
	s_cbranch_execnz .LBB153_181
; %bb.166:
	s_or_b32 exec_lo, exec_lo, s0
	s_delay_alu instid0(SALU_CYCLE_1)
	s_mov_b32 s0, exec_lo
	v_cmpx_gt_i32_e64 s8, v0
	s_cbranch_execnz .LBB153_182
.LBB153_167:
	s_or_b32 exec_lo, exec_lo, s0
	s_delay_alu instid0(SALU_CYCLE_1)
	s_mov_b32 s0, exec_lo
	v_cmpx_gt_i32_e64 s8, v0
	s_cbranch_execnz .LBB153_183
.LBB153_168:
	s_or_b32 exec_lo, exec_lo, s0
	s_delay_alu instid0(SALU_CYCLE_1)
	s_mov_b32 s0, exec_lo
	v_cmpx_gt_i32_e64 s8, v0
	s_cbranch_execnz .LBB153_184
.LBB153_169:
	s_or_b32 exec_lo, exec_lo, s0
	s_delay_alu instid0(SALU_CYCLE_1)
	s_mov_b32 s0, exec_lo
	v_cmpx_gt_i32_e64 s8, v0
	s_cbranch_execnz .LBB153_185
.LBB153_170:
	s_or_b32 exec_lo, exec_lo, s0
	s_delay_alu instid0(SALU_CYCLE_1)
	s_mov_b32 s0, exec_lo
	v_cmpx_gt_i32_e64 s8, v0
	s_cbranch_execnz .LBB153_186
.LBB153_171:
	s_or_b32 exec_lo, exec_lo, s0
	s_delay_alu instid0(SALU_CYCLE_1)
	s_mov_b32 s0, exec_lo
	v_cmpx_gt_i32_e64 s8, v0
	s_cbranch_execnz .LBB153_187
.LBB153_172:
	s_or_b32 exec_lo, exec_lo, s0
	s_delay_alu instid0(SALU_CYCLE_1)
	s_mov_b32 s0, exec_lo
	v_cmpx_gt_i32_e64 s8, v0
	s_cbranch_execnz .LBB153_188
.LBB153_173:
	s_or_b32 exec_lo, exec_lo, s0
	s_delay_alu instid0(SALU_CYCLE_1)
	s_mov_b32 s0, exec_lo
	v_cmpx_gt_i32_e64 s8, v0
	s_cbranch_execnz .LBB153_189
.LBB153_174:
	s_or_b32 exec_lo, exec_lo, s0
	s_delay_alu instid0(SALU_CYCLE_1)
	s_mov_b32 s0, exec_lo
	v_cmpx_gt_i32_e64 s8, v0
	s_cbranch_execnz .LBB153_190
.LBB153_175:
	s_or_b32 exec_lo, exec_lo, s0
	s_delay_alu instid0(SALU_CYCLE_1)
	s_mov_b32 s0, exec_lo
	v_cmpx_gt_i32_e64 s8, v0
	s_cbranch_execnz .LBB153_191
.LBB153_176:
	s_or_b32 exec_lo, exec_lo, s0
	s_delay_alu instid0(SALU_CYCLE_1)
	s_mov_b32 s0, exec_lo
	v_cmpx_gt_i32_e64 s8, v0
	s_cbranch_execnz .LBB153_192
.LBB153_177:
	s_or_b32 exec_lo, exec_lo, s0
	s_delay_alu instid0(SALU_CYCLE_1)
	s_mov_b32 s0, exec_lo
	v_cmpx_gt_i32_e64 s8, v0
	s_cbranch_execnz .LBB153_193
.LBB153_178:
	s_or_b32 exec_lo, exec_lo, s0
	s_delay_alu instid0(SALU_CYCLE_1)
	s_mov_b32 s0, exec_lo
	v_cmpx_gt_i32_e64 s8, v0
	s_cbranch_execnz .LBB153_194
.LBB153_179:
	s_or_b32 exec_lo, exec_lo, s0
	s_delay_alu instid0(SALU_CYCLE_1)
	s_mov_b32 s0, exec_lo
	v_cmpx_gt_i32_e64 s8, v0
	s_cbranch_execz .LBB153_195
.LBB153_180:
	v_add_nc_u32_e32 v0, s2, v0
	global_store_b8 v0, v8, s[4:5]
	s_endpgm
.LBB153_181:
	v_add_nc_u32_e32 v1, s2, v0
	v_add_nc_u32_e32 v0, 0x100, v0
	global_store_b8 v1, v4, s[4:5]
	s_wait_xcnt 0x0
	s_or_b32 exec_lo, exec_lo, s0
	s_delay_alu instid0(SALU_CYCLE_1)
	s_mov_b32 s0, exec_lo
	v_cmpx_gt_i32_e64 s8, v0
	s_cbranch_execz .LBB153_167
.LBB153_182:
	v_add_nc_u32_e32 v1, s2, v0
	v_add_nc_u32_e32 v0, 0x100, v0
	global_store_b8 v1, v19, s[4:5]
	s_wait_xcnt 0x0
	s_or_b32 exec_lo, exec_lo, s0
	s_delay_alu instid0(SALU_CYCLE_1)
	s_mov_b32 s0, exec_lo
	v_cmpx_gt_i32_e64 s8, v0
	s_cbranch_execz .LBB153_168
.LBB153_183:
	v_add_nc_u32_e32 v1, s2, v0
	v_add_nc_u32_e32 v0, 0x100, v0
	global_store_b8 v1, v3, s[4:5]
	s_wait_xcnt 0x0
	s_or_b32 exec_lo, exec_lo, s0
	s_delay_alu instid0(SALU_CYCLE_1)
	s_mov_b32 s0, exec_lo
	v_cmpx_gt_i32_e64 s8, v0
	s_cbranch_execz .LBB153_169
.LBB153_184:
	v_add_nc_u32_e32 v1, s2, v0
	v_add_nc_u32_e32 v0, 0x100, v0
	global_store_b8 v1, v20, s[4:5]
	s_wait_xcnt 0x0
	s_or_b32 exec_lo, exec_lo, s0
	s_delay_alu instid0(SALU_CYCLE_1)
	s_mov_b32 s0, exec_lo
	v_cmpx_gt_i32_e64 s8, v0
	s_cbranch_execz .LBB153_170
.LBB153_185:
	v_add_nc_u32_e32 v1, s2, v0
	v_add_nc_u32_e32 v0, 0x100, v0
	global_store_b8 v1, v18, s[4:5]
	s_wait_xcnt 0x0
	s_or_b32 exec_lo, exec_lo, s0
	s_delay_alu instid0(SALU_CYCLE_1)
	s_mov_b32 s0, exec_lo
	v_cmpx_gt_i32_e64 s8, v0
	s_cbranch_execz .LBB153_171
.LBB153_186:
	v_add_nc_u32_e32 v1, s2, v0
	v_add_nc_u32_e32 v0, 0x100, v0
	global_store_b8 v1, v17, s[4:5]
	s_wait_xcnt 0x0
	s_or_b32 exec_lo, exec_lo, s0
	s_delay_alu instid0(SALU_CYCLE_1)
	s_mov_b32 s0, exec_lo
	v_cmpx_gt_i32_e64 s8, v0
	s_cbranch_execz .LBB153_172
.LBB153_187:
	v_add_nc_u32_e32 v1, s2, v0
	v_add_nc_u32_e32 v0, 0x100, v0
	global_store_b8 v1, v16, s[4:5]
	s_wait_xcnt 0x0
	s_or_b32 exec_lo, exec_lo, s0
	s_delay_alu instid0(SALU_CYCLE_1)
	s_mov_b32 s0, exec_lo
	v_cmpx_gt_i32_e64 s8, v0
	s_cbranch_execz .LBB153_173
.LBB153_188:
	v_add_nc_u32_e32 v1, s2, v0
	v_add_nc_u32_e32 v0, 0x100, v0
	global_store_b8 v1, v15, s[4:5]
	s_wait_xcnt 0x0
	s_or_b32 exec_lo, exec_lo, s0
	s_delay_alu instid0(SALU_CYCLE_1)
	s_mov_b32 s0, exec_lo
	v_cmpx_gt_i32_e64 s8, v0
	s_cbranch_execz .LBB153_174
.LBB153_189:
	v_add_nc_u32_e32 v1, s2, v0
	v_add_nc_u32_e32 v0, 0x100, v0
	global_store_b8 v1, v14, s[4:5]
	s_wait_xcnt 0x0
	s_or_b32 exec_lo, exec_lo, s0
	s_delay_alu instid0(SALU_CYCLE_1)
	s_mov_b32 s0, exec_lo
	v_cmpx_gt_i32_e64 s8, v0
	s_cbranch_execz .LBB153_175
.LBB153_190:
	v_add_nc_u32_e32 v1, s2, v0
	v_add_nc_u32_e32 v0, 0x100, v0
	global_store_b8 v1, v13, s[4:5]
	s_wait_xcnt 0x0
	s_or_b32 exec_lo, exec_lo, s0
	s_delay_alu instid0(SALU_CYCLE_1)
	s_mov_b32 s0, exec_lo
	v_cmpx_gt_i32_e64 s8, v0
	s_cbranch_execz .LBB153_176
.LBB153_191:
	v_add_nc_u32_e32 v1, s2, v0
	v_add_nc_u32_e32 v0, 0x100, v0
	global_store_b8 v1, v12, s[4:5]
	s_wait_xcnt 0x0
	s_or_b32 exec_lo, exec_lo, s0
	s_delay_alu instid0(SALU_CYCLE_1)
	s_mov_b32 s0, exec_lo
	v_cmpx_gt_i32_e64 s8, v0
	s_cbranch_execz .LBB153_177
.LBB153_192:
	v_add_nc_u32_e32 v1, s2, v0
	v_add_nc_u32_e32 v0, 0x100, v0
	global_store_b8 v1, v11, s[4:5]
	s_wait_xcnt 0x0
	s_or_b32 exec_lo, exec_lo, s0
	s_delay_alu instid0(SALU_CYCLE_1)
	s_mov_b32 s0, exec_lo
	v_cmpx_gt_i32_e64 s8, v0
	s_cbranch_execz .LBB153_178
.LBB153_193:
	v_add_nc_u32_e32 v1, s2, v0
	v_add_nc_u32_e32 v0, 0x100, v0
	global_store_b8 v1, v10, s[4:5]
	s_wait_xcnt 0x0
	s_or_b32 exec_lo, exec_lo, s0
	s_delay_alu instid0(SALU_CYCLE_1)
	s_mov_b32 s0, exec_lo
	v_cmpx_gt_i32_e64 s8, v0
	s_cbranch_execz .LBB153_179
.LBB153_194:
	v_add_nc_u32_e32 v1, s2, v0
	v_add_nc_u32_e32 v0, 0x100, v0
	global_store_b8 v1, v9, s[4:5]
	s_wait_xcnt 0x0
	s_or_b32 exec_lo, exec_lo, s0
	s_delay_alu instid0(SALU_CYCLE_1)
	s_mov_b32 s0, exec_lo
	v_cmpx_gt_i32_e64 s8, v0
	s_cbranch_execnz .LBB153_180
.LBB153_195:
	s_endpgm
.LBB153_196:
                                        ; implicit-def: $sgpr1
	s_branch .LBB153_3
.LBB153_197:
                                        ; implicit-def: $sgpr12
	s_branch .LBB153_6
.LBB153_198:
                                        ; implicit-def: $sgpr13
	s_branch .LBB153_9
.LBB153_199:
                                        ; implicit-def: $sgpr14
	s_branch .LBB153_12
.LBB153_200:
                                        ; implicit-def: $sgpr15
	s_branch .LBB153_15
.LBB153_201:
                                        ; implicit-def: $sgpr16
	s_branch .LBB153_18
.LBB153_202:
                                        ; implicit-def: $sgpr17
	s_branch .LBB153_21
.LBB153_203:
                                        ; implicit-def: $sgpr18
	s_branch .LBB153_24
.LBB153_204:
                                        ; implicit-def: $sgpr19
	s_branch .LBB153_27
.LBB153_205:
                                        ; implicit-def: $sgpr20
	s_branch .LBB153_30
.LBB153_206:
                                        ; implicit-def: $sgpr21
	s_branch .LBB153_33
.LBB153_207:
                                        ; implicit-def: $sgpr22
	s_branch .LBB153_36
.LBB153_208:
                                        ; implicit-def: $sgpr23
	s_branch .LBB153_39
.LBB153_209:
                                        ; implicit-def: $sgpr24
	s_branch .LBB153_42
.LBB153_210:
                                        ; implicit-def: $sgpr25
	s_branch .LBB153_45
.LBB153_211:
                                        ; implicit-def: $sgpr26
	s_branch .LBB153_48
.LBB153_212:
                                        ; implicit-def: $sgpr9
	s_branch .LBB153_86
.LBB153_213:
                                        ; implicit-def: $sgpr6
	s_branch .LBB153_91
.LBB153_214:
                                        ; implicit-def: $sgpr7
	s_branch .LBB153_96
.LBB153_215:
                                        ; implicit-def: $sgpr7
	s_branch .LBB153_101
.LBB153_216:
                                        ; implicit-def: $sgpr7
	s_branch .LBB153_106
.LBB153_217:
                                        ; implicit-def: $sgpr7
	s_branch .LBB153_111
.LBB153_218:
                                        ; implicit-def: $sgpr7
	s_branch .LBB153_116
.LBB153_219:
                                        ; implicit-def: $sgpr7
	s_branch .LBB153_121
.LBB153_220:
                                        ; implicit-def: $sgpr7
	s_branch .LBB153_126
.LBB153_221:
                                        ; implicit-def: $sgpr7
	s_branch .LBB153_131
.LBB153_222:
                                        ; implicit-def: $sgpr7
	s_branch .LBB153_136
.LBB153_223:
                                        ; implicit-def: $sgpr7
	s_branch .LBB153_141
.LBB153_224:
                                        ; implicit-def: $sgpr7
	s_branch .LBB153_146
.LBB153_225:
                                        ; implicit-def: $sgpr7
	s_branch .LBB153_151
.LBB153_226:
                                        ; implicit-def: $sgpr7
	s_branch .LBB153_156
.LBB153_227:
                                        ; implicit-def: $sgpr7
	s_branch .LBB153_161
	.section	.rodata,"a",@progbits
	.p2align	6, 0x0
	.amdhsa_kernel _ZN2at6native29vectorized_elementwise_kernelILi8ENS0_13AUnaryFunctorIN3c107complexINS3_4HalfEEES6_bNS0_12_GLOBAL__N_116CompareEqFunctorIS6_EEEESt5arrayIPcLm2EEEEviT0_T1_
		.amdhsa_group_segment_fixed_size 0
		.amdhsa_private_segment_fixed_size 0
		.amdhsa_kernarg_size 32
		.amdhsa_user_sgpr_count 2
		.amdhsa_user_sgpr_dispatch_ptr 0
		.amdhsa_user_sgpr_queue_ptr 0
		.amdhsa_user_sgpr_kernarg_segment_ptr 1
		.amdhsa_user_sgpr_dispatch_id 0
		.amdhsa_user_sgpr_kernarg_preload_length 0
		.amdhsa_user_sgpr_kernarg_preload_offset 0
		.amdhsa_user_sgpr_private_segment_size 0
		.amdhsa_wavefront_size32 1
		.amdhsa_uses_dynamic_stack 0
		.amdhsa_enable_private_segment 0
		.amdhsa_system_sgpr_workgroup_id_x 1
		.amdhsa_system_sgpr_workgroup_id_y 0
		.amdhsa_system_sgpr_workgroup_id_z 0
		.amdhsa_system_sgpr_workgroup_info 0
		.amdhsa_system_vgpr_workitem_id 0
		.amdhsa_next_free_vgpr 22
		.amdhsa_next_free_sgpr 27
		.amdhsa_named_barrier_count 0
		.amdhsa_reserve_vcc 1
		.amdhsa_float_round_mode_32 0
		.amdhsa_float_round_mode_16_64 0
		.amdhsa_float_denorm_mode_32 3
		.amdhsa_float_denorm_mode_16_64 3
		.amdhsa_fp16_overflow 0
		.amdhsa_memory_ordered 1
		.amdhsa_forward_progress 1
		.amdhsa_inst_pref_size 48
		.amdhsa_round_robin_scheduling 0
		.amdhsa_exception_fp_ieee_invalid_op 0
		.amdhsa_exception_fp_denorm_src 0
		.amdhsa_exception_fp_ieee_div_zero 0
		.amdhsa_exception_fp_ieee_overflow 0
		.amdhsa_exception_fp_ieee_underflow 0
		.amdhsa_exception_fp_ieee_inexact 0
		.amdhsa_exception_int_div_zero 0
	.end_amdhsa_kernel
	.section	.text._ZN2at6native29vectorized_elementwise_kernelILi8ENS0_13AUnaryFunctorIN3c107complexINS3_4HalfEEES6_bNS0_12_GLOBAL__N_116CompareEqFunctorIS6_EEEESt5arrayIPcLm2EEEEviT0_T1_,"axG",@progbits,_ZN2at6native29vectorized_elementwise_kernelILi8ENS0_13AUnaryFunctorIN3c107complexINS3_4HalfEEES6_bNS0_12_GLOBAL__N_116CompareEqFunctorIS6_EEEESt5arrayIPcLm2EEEEviT0_T1_,comdat
.Lfunc_end153:
	.size	_ZN2at6native29vectorized_elementwise_kernelILi8ENS0_13AUnaryFunctorIN3c107complexINS3_4HalfEEES6_bNS0_12_GLOBAL__N_116CompareEqFunctorIS6_EEEESt5arrayIPcLm2EEEEviT0_T1_, .Lfunc_end153-_ZN2at6native29vectorized_elementwise_kernelILi8ENS0_13AUnaryFunctorIN3c107complexINS3_4HalfEEES6_bNS0_12_GLOBAL__N_116CompareEqFunctorIS6_EEEESt5arrayIPcLm2EEEEviT0_T1_
                                        ; -- End function
	.set _ZN2at6native29vectorized_elementwise_kernelILi8ENS0_13AUnaryFunctorIN3c107complexINS3_4HalfEEES6_bNS0_12_GLOBAL__N_116CompareEqFunctorIS6_EEEESt5arrayIPcLm2EEEEviT0_T1_.num_vgpr, 22
	.set _ZN2at6native29vectorized_elementwise_kernelILi8ENS0_13AUnaryFunctorIN3c107complexINS3_4HalfEEES6_bNS0_12_GLOBAL__N_116CompareEqFunctorIS6_EEEESt5arrayIPcLm2EEEEviT0_T1_.num_agpr, 0
	.set _ZN2at6native29vectorized_elementwise_kernelILi8ENS0_13AUnaryFunctorIN3c107complexINS3_4HalfEEES6_bNS0_12_GLOBAL__N_116CompareEqFunctorIS6_EEEESt5arrayIPcLm2EEEEviT0_T1_.numbered_sgpr, 27
	.set _ZN2at6native29vectorized_elementwise_kernelILi8ENS0_13AUnaryFunctorIN3c107complexINS3_4HalfEEES6_bNS0_12_GLOBAL__N_116CompareEqFunctorIS6_EEEESt5arrayIPcLm2EEEEviT0_T1_.num_named_barrier, 0
	.set _ZN2at6native29vectorized_elementwise_kernelILi8ENS0_13AUnaryFunctorIN3c107complexINS3_4HalfEEES6_bNS0_12_GLOBAL__N_116CompareEqFunctorIS6_EEEESt5arrayIPcLm2EEEEviT0_T1_.private_seg_size, 0
	.set _ZN2at6native29vectorized_elementwise_kernelILi8ENS0_13AUnaryFunctorIN3c107complexINS3_4HalfEEES6_bNS0_12_GLOBAL__N_116CompareEqFunctorIS6_EEEESt5arrayIPcLm2EEEEviT0_T1_.uses_vcc, 1
	.set _ZN2at6native29vectorized_elementwise_kernelILi8ENS0_13AUnaryFunctorIN3c107complexINS3_4HalfEEES6_bNS0_12_GLOBAL__N_116CompareEqFunctorIS6_EEEESt5arrayIPcLm2EEEEviT0_T1_.uses_flat_scratch, 0
	.set _ZN2at6native29vectorized_elementwise_kernelILi8ENS0_13AUnaryFunctorIN3c107complexINS3_4HalfEEES6_bNS0_12_GLOBAL__N_116CompareEqFunctorIS6_EEEESt5arrayIPcLm2EEEEviT0_T1_.has_dyn_sized_stack, 0
	.set _ZN2at6native29vectorized_elementwise_kernelILi8ENS0_13AUnaryFunctorIN3c107complexINS3_4HalfEEES6_bNS0_12_GLOBAL__N_116CompareEqFunctorIS6_EEEESt5arrayIPcLm2EEEEviT0_T1_.has_recursion, 0
	.set _ZN2at6native29vectorized_elementwise_kernelILi8ENS0_13AUnaryFunctorIN3c107complexINS3_4HalfEEES6_bNS0_12_GLOBAL__N_116CompareEqFunctorIS6_EEEESt5arrayIPcLm2EEEEviT0_T1_.has_indirect_call, 0
	.section	.AMDGPU.csdata,"",@progbits
; Kernel info:
; codeLenInByte = 6084
; TotalNumSgprs: 29
; NumVgprs: 22
; ScratchSize: 0
; MemoryBound: 0
; FloatMode: 240
; IeeeMode: 1
; LDSByteSize: 0 bytes/workgroup (compile time only)
; SGPRBlocks: 0
; VGPRBlocks: 1
; NumSGPRsForWavesPerEU: 29
; NumVGPRsForWavesPerEU: 22
; NamedBarCnt: 0
; Occupancy: 16
; WaveLimiterHint : 1
; COMPUTE_PGM_RSRC2:SCRATCH_EN: 0
; COMPUTE_PGM_RSRC2:USER_SGPR: 2
; COMPUTE_PGM_RSRC2:TRAP_HANDLER: 0
; COMPUTE_PGM_RSRC2:TGID_X_EN: 1
; COMPUTE_PGM_RSRC2:TGID_Y_EN: 0
; COMPUTE_PGM_RSRC2:TGID_Z_EN: 0
; COMPUTE_PGM_RSRC2:TIDIG_COMP_CNT: 0
	.section	.text._ZN2at6native29vectorized_elementwise_kernelILi4ENS0_13AUnaryFunctorIN3c107complexINS3_4HalfEEES6_bNS0_12_GLOBAL__N_116CompareEqFunctorIS6_EEEESt5arrayIPcLm2EEEEviT0_T1_,"axG",@progbits,_ZN2at6native29vectorized_elementwise_kernelILi4ENS0_13AUnaryFunctorIN3c107complexINS3_4HalfEEES6_bNS0_12_GLOBAL__N_116CompareEqFunctorIS6_EEEESt5arrayIPcLm2EEEEviT0_T1_,comdat
	.globl	_ZN2at6native29vectorized_elementwise_kernelILi4ENS0_13AUnaryFunctorIN3c107complexINS3_4HalfEEES6_bNS0_12_GLOBAL__N_116CompareEqFunctorIS6_EEEESt5arrayIPcLm2EEEEviT0_T1_ ; -- Begin function _ZN2at6native29vectorized_elementwise_kernelILi4ENS0_13AUnaryFunctorIN3c107complexINS3_4HalfEEES6_bNS0_12_GLOBAL__N_116CompareEqFunctorIS6_EEEESt5arrayIPcLm2EEEEviT0_T1_
	.p2align	8
	.type	_ZN2at6native29vectorized_elementwise_kernelILi4ENS0_13AUnaryFunctorIN3c107complexINS3_4HalfEEES6_bNS0_12_GLOBAL__N_116CompareEqFunctorIS6_EEEESt5arrayIPcLm2EEEEviT0_T1_,@function
_ZN2at6native29vectorized_elementwise_kernelILi4ENS0_13AUnaryFunctorIN3c107complexINS3_4HalfEEES6_bNS0_12_GLOBAL__N_116CompareEqFunctorIS6_EEEESt5arrayIPcLm2EEEEviT0_T1_: ; @_ZN2at6native29vectorized_elementwise_kernelILi4ENS0_13AUnaryFunctorIN3c107complexINS3_4HalfEEES6_bNS0_12_GLOBAL__N_116CompareEqFunctorIS6_EEEESt5arrayIPcLm2EEEEviT0_T1_
; %bb.0:
	s_clause 0x1
	s_load_b96 s[8:10], s[0:1], 0x0
	s_load_b128 s[4:7], s[0:1], 0x10
	s_wait_xcnt 0x0
	s_bfe_u32 s0, ttmp6, 0x4000c
	s_and_b32 s1, ttmp6, 15
	s_add_co_i32 s0, s0, 1
	s_getreg_b32 s2, hwreg(HW_REG_IB_STS2, 6, 4)
	s_mul_i32 s0, ttmp9, s0
	s_delay_alu instid0(SALU_CYCLE_1) | instskip(SKIP_2) | instid1(SALU_CYCLE_1)
	s_add_co_i32 s1, s1, s0
	s_cmp_eq_u32 s2, 0
	s_cselect_b32 s0, ttmp9, s1
	s_lshl_b32 s2, s0, 12
	s_mov_b32 s0, -1
	s_wait_kmcnt 0x0
	s_sub_co_i32 s8, s8, s2
	s_delay_alu instid0(SALU_CYCLE_1)
	s_cmp_gt_i32 s8, 0xfff
	s_cbranch_scc0 .LBB154_50
; %bb.1:
	s_ashr_i32 s3, s2, 31
	s_lshr_b32 s11, s10, 16
	s_lshl_b64 s[0:1], s[2:3], 2
	s_cmp_lg_u32 s9, 0
	s_add_nc_u64 s[0:1], s[6:7], s[0:1]
	s_cselect_b32 s12, -1, 0
	s_clause 0x3
	global_load_b128 v[14:17], v0, s[0:1] scale_offset
	global_load_b128 v[10:13], v0, s[0:1] offset:4096 scale_offset
	global_load_b128 v[6:9], v0, s[0:1] offset:8192 scale_offset
	;; [unrolled: 1-line block ×3, first 2 shown]
	s_and_b32 vcc_lo, exec_lo, s12
	s_wait_loadcnt 0x3
	v_lshrrev_b32_e32 v1, 16, v14
	s_cbranch_vccz .LBB154_196
; %bb.2:
	v_cmp_neq_f16_e32 vcc_lo, s10, v14
	s_wait_xcnt 0x0
	s_delay_alu instid0(VALU_DEP_2)
	v_cmp_neq_f16_e64 s0, s11, v1
	s_or_b32 s1, vcc_lo, s0
	s_cbranch_execnz .LBB154_4
.LBB154_3:
	v_cmp_eq_f16_e32 vcc_lo, s10, v14
	v_cmp_eq_f16_e64 s0, s11, v1
	s_and_not1_b32 s1, s1, exec_lo
	s_and_b32 s0, vcc_lo, s0
	s_delay_alu instid0(SALU_CYCLE_1) | instskip(NEXT) | instid1(SALU_CYCLE_1)
	s_and_b32 s0, s0, exec_lo
	s_or_b32 s1, s1, s0
.LBB154_4:
	v_cndmask_b32_e64 v1, 0, 1, s12
	v_lshrrev_b32_e32 v14, 16, v15
	s_and_not1_b32 vcc_lo, exec_lo, s12
	s_cbranch_vccnz .LBB154_197
; %bb.5:
	v_cmp_neq_f16_e32 vcc_lo, s10, v15
	s_delay_alu instid0(VALU_DEP_2)
	v_cmp_neq_f16_e64 s0, s11, v14
	s_or_b32 s12, vcc_lo, s0
	s_cbranch_execnz .LBB154_7
.LBB154_6:
	v_cmp_eq_f16_e32 vcc_lo, s10, v15
	v_cmp_eq_f16_e64 s0, s11, v14
	s_and_not1_b32 s12, s12, exec_lo
	s_and_b32 s0, vcc_lo, s0
	s_delay_alu instid0(SALU_CYCLE_1) | instskip(NEXT) | instid1(SALU_CYCLE_1)
	s_and_b32 s0, s0, exec_lo
	s_or_b32 s12, s12, s0
.LBB154_7:
	v_cmp_ne_u32_e32 vcc_lo, 1, v1
	v_lshrrev_b32_e32 v14, 16, v16
	s_cbranch_vccnz .LBB154_198
; %bb.8:
	v_cmp_neq_f16_e32 vcc_lo, s10, v16
	s_delay_alu instid0(VALU_DEP_2)
	v_cmp_neq_f16_e64 s0, s11, v14
	s_or_b32 s13, vcc_lo, s0
	s_cbranch_execnz .LBB154_10
.LBB154_9:
	v_cmp_eq_f16_e32 vcc_lo, s10, v16
	s_delay_alu instid0(VALU_DEP_2) | instskip(SKIP_2) | instid1(SALU_CYCLE_1)
	v_cmp_eq_f16_e64 s0, s11, v14
	s_and_not1_b32 s13, s13, exec_lo
	s_and_b32 s0, vcc_lo, s0
	s_and_b32 s0, s0, exec_lo
	s_delay_alu instid0(SALU_CYCLE_1)
	s_or_b32 s13, s13, s0
.LBB154_10:
	v_cmp_ne_u32_e32 vcc_lo, 1, v1
	v_lshrrev_b32_e32 v14, 16, v17
	s_cbranch_vccnz .LBB154_199
; %bb.11:
	v_cmp_neq_f16_e32 vcc_lo, s10, v17
	s_delay_alu instid0(VALU_DEP_2)
	v_cmp_neq_f16_e64 s0, s11, v14
	s_or_b32 s14, vcc_lo, s0
	s_cbranch_execnz .LBB154_13
.LBB154_12:
	v_cmp_eq_f16_e32 vcc_lo, s10, v17
	s_delay_alu instid0(VALU_DEP_2) | instskip(SKIP_2) | instid1(SALU_CYCLE_1)
	v_cmp_eq_f16_e64 s0, s11, v14
	s_and_not1_b32 s14, s14, exec_lo
	s_and_b32 s0, vcc_lo, s0
	s_and_b32 s0, s0, exec_lo
	s_delay_alu instid0(SALU_CYCLE_1)
	s_or_b32 s14, s14, s0
.LBB154_13:
	v_cmp_ne_u32_e32 vcc_lo, 1, v1
	s_wait_loadcnt 0x2
	v_lshrrev_b32_e32 v14, 16, v10
	s_cbranch_vccnz .LBB154_200
; %bb.14:
	v_cmp_neq_f16_e32 vcc_lo, s10, v10
	s_delay_alu instid0(VALU_DEP_2)
	v_cmp_neq_f16_e64 s0, s11, v14
	s_or_b32 s15, vcc_lo, s0
	s_cbranch_execnz .LBB154_16
.LBB154_15:
	v_cmp_eq_f16_e32 vcc_lo, s10, v10
	s_delay_alu instid0(VALU_DEP_2) | instskip(SKIP_2) | instid1(SALU_CYCLE_1)
	v_cmp_eq_f16_e64 s0, s11, v14
	s_and_not1_b32 s15, s15, exec_lo
	s_and_b32 s0, vcc_lo, s0
	s_and_b32 s0, s0, exec_lo
	s_delay_alu instid0(SALU_CYCLE_1)
	s_or_b32 s15, s15, s0
.LBB154_16:
	v_cmp_ne_u32_e32 vcc_lo, 1, v1
	v_lshrrev_b32_e32 v10, 16, v11
	s_cbranch_vccnz .LBB154_201
; %bb.17:
	v_cmp_neq_f16_e32 vcc_lo, s10, v11
	s_delay_alu instid0(VALU_DEP_2)
	v_cmp_neq_f16_e64 s0, s11, v10
	s_or_b32 s16, vcc_lo, s0
	s_cbranch_execnz .LBB154_19
.LBB154_18:
	v_cmp_eq_f16_e32 vcc_lo, s10, v11
	s_delay_alu instid0(VALU_DEP_2) | instskip(SKIP_2) | instid1(SALU_CYCLE_1)
	v_cmp_eq_f16_e64 s0, s11, v10
	s_and_not1_b32 s16, s16, exec_lo
	s_and_b32 s0, vcc_lo, s0
	s_and_b32 s0, s0, exec_lo
	s_delay_alu instid0(SALU_CYCLE_1)
	s_or_b32 s16, s16, s0
.LBB154_19:
	v_cmp_ne_u32_e32 vcc_lo, 1, v1
	v_lshrrev_b32_e32 v10, 16, v12
	s_cbranch_vccnz .LBB154_202
; %bb.20:
	v_cmp_neq_f16_e32 vcc_lo, s10, v12
	s_delay_alu instid0(VALU_DEP_2)
	v_cmp_neq_f16_e64 s0, s11, v10
	s_or_b32 s17, vcc_lo, s0
	s_cbranch_execnz .LBB154_22
.LBB154_21:
	v_cmp_eq_f16_e32 vcc_lo, s10, v12
	s_delay_alu instid0(VALU_DEP_2) | instskip(SKIP_2) | instid1(SALU_CYCLE_1)
	v_cmp_eq_f16_e64 s0, s11, v10
	s_and_not1_b32 s17, s17, exec_lo
	s_and_b32 s0, vcc_lo, s0
	s_and_b32 s0, s0, exec_lo
	s_delay_alu instid0(SALU_CYCLE_1)
	s_or_b32 s17, s17, s0
.LBB154_22:
	v_cmp_ne_u32_e32 vcc_lo, 1, v1
	v_lshrrev_b32_e32 v10, 16, v13
	s_cbranch_vccnz .LBB154_203
; %bb.23:
	v_cmp_neq_f16_e32 vcc_lo, s10, v13
	s_delay_alu instid0(VALU_DEP_2)
	v_cmp_neq_f16_e64 s0, s11, v10
	s_or_b32 s18, vcc_lo, s0
	s_cbranch_execnz .LBB154_25
.LBB154_24:
	v_cmp_eq_f16_e32 vcc_lo, s10, v13
	s_delay_alu instid0(VALU_DEP_2) | instskip(SKIP_2) | instid1(SALU_CYCLE_1)
	v_cmp_eq_f16_e64 s0, s11, v10
	s_and_not1_b32 s18, s18, exec_lo
	s_and_b32 s0, vcc_lo, s0
	s_and_b32 s0, s0, exec_lo
	s_delay_alu instid0(SALU_CYCLE_1)
	s_or_b32 s18, s18, s0
.LBB154_25:
	v_cmp_ne_u32_e32 vcc_lo, 1, v1
	s_wait_loadcnt 0x1
	v_lshrrev_b32_e32 v10, 16, v6
	s_cbranch_vccnz .LBB154_204
; %bb.26:
	v_cmp_neq_f16_e32 vcc_lo, s10, v6
	s_delay_alu instid0(VALU_DEP_2)
	v_cmp_neq_f16_e64 s0, s11, v10
	s_or_b32 s19, vcc_lo, s0
	s_cbranch_execnz .LBB154_28
.LBB154_27:
	v_cmp_eq_f16_e32 vcc_lo, s10, v6
	s_delay_alu instid0(VALU_DEP_2) | instskip(SKIP_2) | instid1(SALU_CYCLE_1)
	v_cmp_eq_f16_e64 s0, s11, v10
	s_and_not1_b32 s19, s19, exec_lo
	s_and_b32 s0, vcc_lo, s0
	s_and_b32 s0, s0, exec_lo
	s_delay_alu instid0(SALU_CYCLE_1)
	s_or_b32 s19, s19, s0
.LBB154_28:
	v_cmp_ne_u32_e32 vcc_lo, 1, v1
	v_lshrrev_b32_e32 v6, 16, v7
	s_cbranch_vccnz .LBB154_205
; %bb.29:
	v_cmp_neq_f16_e32 vcc_lo, s10, v7
	s_delay_alu instid0(VALU_DEP_2)
	v_cmp_neq_f16_e64 s0, s11, v6
	s_or_b32 s20, vcc_lo, s0
	s_cbranch_execnz .LBB154_31
.LBB154_30:
	v_cmp_eq_f16_e32 vcc_lo, s10, v7
	s_delay_alu instid0(VALU_DEP_2) | instskip(SKIP_2) | instid1(SALU_CYCLE_1)
	v_cmp_eq_f16_e64 s0, s11, v6
	s_and_not1_b32 s20, s20, exec_lo
	s_and_b32 s0, vcc_lo, s0
	s_and_b32 s0, s0, exec_lo
	s_delay_alu instid0(SALU_CYCLE_1)
	s_or_b32 s20, s20, s0
.LBB154_31:
	v_cmp_ne_u32_e32 vcc_lo, 1, v1
	v_lshrrev_b32_e32 v6, 16, v8
	s_cbranch_vccnz .LBB154_206
; %bb.32:
	v_cmp_neq_f16_e32 vcc_lo, s10, v8
	s_delay_alu instid0(VALU_DEP_2)
	v_cmp_neq_f16_e64 s0, s11, v6
	s_or_b32 s21, vcc_lo, s0
	s_cbranch_execnz .LBB154_34
.LBB154_33:
	v_cmp_eq_f16_e32 vcc_lo, s10, v8
	s_delay_alu instid0(VALU_DEP_2) | instskip(SKIP_2) | instid1(SALU_CYCLE_1)
	v_cmp_eq_f16_e64 s0, s11, v6
	s_and_not1_b32 s21, s21, exec_lo
	s_and_b32 s0, vcc_lo, s0
	s_and_b32 s0, s0, exec_lo
	s_delay_alu instid0(SALU_CYCLE_1)
	s_or_b32 s21, s21, s0
.LBB154_34:
	v_cmp_ne_u32_e32 vcc_lo, 1, v1
	v_lshrrev_b32_e32 v6, 16, v9
	s_cbranch_vccnz .LBB154_207
; %bb.35:
	v_cmp_neq_f16_e32 vcc_lo, s10, v9
	s_delay_alu instid0(VALU_DEP_2)
	v_cmp_neq_f16_e64 s0, s11, v6
	s_or_b32 s22, vcc_lo, s0
	s_cbranch_execnz .LBB154_37
.LBB154_36:
	v_cmp_eq_f16_e32 vcc_lo, s10, v9
	s_delay_alu instid0(VALU_DEP_2) | instskip(SKIP_2) | instid1(SALU_CYCLE_1)
	v_cmp_eq_f16_e64 s0, s11, v6
	s_and_not1_b32 s22, s22, exec_lo
	s_and_b32 s0, vcc_lo, s0
	s_and_b32 s0, s0, exec_lo
	s_delay_alu instid0(SALU_CYCLE_1)
	s_or_b32 s22, s22, s0
.LBB154_37:
	v_cmp_ne_u32_e32 vcc_lo, 1, v1
	s_wait_loadcnt 0x0
	v_lshrrev_b32_e32 v6, 16, v2
	s_cbranch_vccnz .LBB154_208
; %bb.38:
	v_cmp_neq_f16_e32 vcc_lo, s10, v2
	s_delay_alu instid0(VALU_DEP_2)
	v_cmp_neq_f16_e64 s0, s11, v6
	s_or_b32 s23, vcc_lo, s0
	s_cbranch_execnz .LBB154_40
.LBB154_39:
	v_cmp_eq_f16_e32 vcc_lo, s10, v2
	s_delay_alu instid0(VALU_DEP_2) | instskip(SKIP_2) | instid1(SALU_CYCLE_1)
	v_cmp_eq_f16_e64 s0, s11, v6
	s_and_not1_b32 s23, s23, exec_lo
	s_and_b32 s0, vcc_lo, s0
	s_and_b32 s0, s0, exec_lo
	s_delay_alu instid0(SALU_CYCLE_1)
	s_or_b32 s23, s23, s0
.LBB154_40:
	v_cmp_ne_u32_e32 vcc_lo, 1, v1
	v_lshrrev_b32_e32 v2, 16, v3
	s_cbranch_vccnz .LBB154_209
; %bb.41:
	v_cmp_neq_f16_e32 vcc_lo, s10, v3
	s_delay_alu instid0(VALU_DEP_2)
	v_cmp_neq_f16_e64 s0, s11, v2
	s_or_b32 s24, vcc_lo, s0
	s_cbranch_execnz .LBB154_43
.LBB154_42:
	v_cmp_eq_f16_e32 vcc_lo, s10, v3
	s_delay_alu instid0(VALU_DEP_2) | instskip(SKIP_2) | instid1(SALU_CYCLE_1)
	v_cmp_eq_f16_e64 s0, s11, v2
	s_and_not1_b32 s24, s24, exec_lo
	s_and_b32 s0, vcc_lo, s0
	s_and_b32 s0, s0, exec_lo
	s_delay_alu instid0(SALU_CYCLE_1)
	s_or_b32 s24, s24, s0
.LBB154_43:
	v_cmp_ne_u32_e32 vcc_lo, 1, v1
	v_lshrrev_b32_e32 v2, 16, v4
	s_cbranch_vccnz .LBB154_210
; %bb.44:
	v_cmp_neq_f16_e32 vcc_lo, s10, v4
	s_delay_alu instid0(VALU_DEP_2)
	v_cmp_neq_f16_e64 s0, s11, v2
	s_or_b32 s25, vcc_lo, s0
	s_cbranch_execnz .LBB154_46
.LBB154_45:
	v_cmp_eq_f16_e32 vcc_lo, s10, v4
	s_delay_alu instid0(VALU_DEP_2) | instskip(SKIP_2) | instid1(SALU_CYCLE_1)
	v_cmp_eq_f16_e64 s0, s11, v2
	s_and_not1_b32 s25, s25, exec_lo
	s_and_b32 s0, vcc_lo, s0
	s_and_b32 s0, s0, exec_lo
	s_delay_alu instid0(SALU_CYCLE_1)
	s_or_b32 s25, s25, s0
.LBB154_46:
	v_cmp_ne_u32_e32 vcc_lo, 1, v1
	v_lshrrev_b32_e32 v1, 16, v5
	s_cbranch_vccnz .LBB154_211
; %bb.47:
	v_cmp_neq_f16_e32 vcc_lo, s10, v5
	s_delay_alu instid0(VALU_DEP_2)
	v_cmp_neq_f16_e64 s0, s11, v1
	s_or_b32 s26, vcc_lo, s0
	s_cbranch_execnz .LBB154_49
.LBB154_48:
	v_cmp_eq_f16_e32 vcc_lo, s10, v5
	s_delay_alu instid0(VALU_DEP_2) | instskip(SKIP_2) | instid1(SALU_CYCLE_1)
	v_cmp_eq_f16_e64 s0, s11, v1
	s_and_not1_b32 s11, s26, exec_lo
	s_and_b32 s0, vcc_lo, s0
	s_and_b32 s0, s0, exec_lo
	s_delay_alu instid0(SALU_CYCLE_1)
	s_or_b32 s26, s11, s0
.LBB154_49:
	v_cndmask_b32_e64 v1, 0, 0x100, s24
	v_cndmask_b32_e64 v2, 0, 1, s23
	;; [unrolled: 1-line block ×6, first 2 shown]
	v_or_b32_e32 v1, v1, v2
	v_cndmask_b32_e64 v10, 0, 0x1000000, s14
	v_or_b32_e32 v2, v3, v4
	v_cndmask_b32_e64 v3, 0, 0x100, s16
	v_cndmask_b32_e64 v4, 0, 1, s15
	v_or_b32_e32 v6, v6, v7
	v_cndmask_b32_e64 v7, 0, 0x10000, s13
	v_cndmask_b32_e64 v11, 0, 0x1000000, s18
	;; [unrolled: 1-line block ×3, first 2 shown]
	v_or_b32_e32 v3, v3, v4
	v_cndmask_b32_e64 v4, 0, 0x10000, s17
	v_cndmask_b32_e64 v9, 0, 0x1000000, s22
	;; [unrolled: 1-line block ×4, first 2 shown]
	v_or3_b32 v6, v6, v7, v10
	v_or3_b32 v3, v3, v4, v11
	;; [unrolled: 1-line block ×3, first 2 shown]
	s_add_nc_u64 s[12:13], s[4:5], s[2:3]
	v_or3_b32 v1, v1, v5, v12
	s_mov_b32 s0, 0
	s_clause 0x3
	global_store_b32 v0, v6, s[12:13] scale_offset
	global_store_b32 v0, v3, s[12:13] offset:1024 scale_offset
	global_store_b32 v0, v2, s[12:13] offset:2048 scale_offset
	;; [unrolled: 1-line block ×3, first 2 shown]
.LBB154_50:
	s_and_b32 vcc_lo, exec_lo, s0
	s_cbranch_vccz .LBB154_195
; %bb.51:
	v_cmp_gt_i32_e64 s0, s8, v0
	s_wait_xcnt 0x0
	v_dual_mov_b32 v7, 0 :: v_dual_bitop2_b32 v1, s2, v0 bitop3:0x54
	v_or_b32_e32 v6, 0x100, v0
	v_dual_mov_b32 v8, 0 :: v_dual_mov_b32 v9, 0
	v_dual_mov_b32 v10, 0 :: v_dual_mov_b32 v11, 0
	;; [unrolled: 1-line block ×7, first 2 shown]
	v_mov_b32_e32 v20, 0
	s_and_saveexec_b32 s1, s0
	s_cbranch_execz .LBB154_83
; %bb.52:
	global_load_b32 v20, v1, s[6:7] scale_offset
	v_or_b32_e32 v2, 0x100, v0
	v_dual_mov_b32 v19, 0 :: v_dual_mov_b32 v3, 0
	v_dual_mov_b32 v21, 0 :: v_dual_mov_b32 v18, 0
	v_dual_mov_b32 v17, 0 :: v_dual_mov_b32 v16, 0
	v_dual_mov_b32 v15, 0 :: v_dual_mov_b32 v14, 0
	v_dual_mov_b32 v13, 0 :: v_dual_mov_b32 v12, 0
	v_dual_mov_b32 v11, 0 :: v_dual_mov_b32 v10, 0
	v_dual_mov_b32 v9, 0 :: v_dual_mov_b32 v8, 0
	v_mov_b32_e32 v7, 0
	s_mov_b32 s3, exec_lo
	s_wait_xcnt 0x0
	v_cmpx_gt_u32_e64 s8, v2
	s_cbranch_execz .LBB154_82
; %bb.53:
	v_dual_mov_b32 v3, 0 :: v_dual_add_nc_u32 v2, s2, v0
	v_or_b32_e32 v4, 0x200, v0
	v_dual_mov_b32 v21, 0 :: v_dual_mov_b32 v18, 0
	global_load_b32 v19, v2, s[6:7] offset:1024 scale_offset
	v_dual_mov_b32 v17, 0 :: v_dual_mov_b32 v16, 0
	v_dual_mov_b32 v15, 0 :: v_dual_mov_b32 v14, 0
	;; [unrolled: 1-line block ×5, first 2 shown]
	v_mov_b32_e32 v7, 0
	s_mov_b32 s11, exec_lo
	s_wait_xcnt 0x0
	v_cmpx_gt_u32_e64 s8, v4
	s_cbranch_execz .LBB154_81
; %bb.54:
	v_lshl_add_u64 v[4:5], v[2:3], 2, s[6:7]
	v_or_b32_e32 v7, 0x300, v0
	v_dual_mov_b32 v18, 0 :: v_dual_mov_b32 v17, 0
	v_dual_mov_b32 v16, 0 :: v_dual_mov_b32 v15, 0
	global_load_b32 v2, v[4:5], off offset:2048
	v_cmp_gt_u32_e32 vcc_lo, s8, v7
	v_dual_mov_b32 v14, 0 :: v_dual_mov_b32 v13, 0
	v_dual_mov_b32 v12, 0 :: v_dual_mov_b32 v11, 0
	;; [unrolled: 1-line block ×4, first 2 shown]
	s_wait_xcnt 0x0
	s_and_saveexec_b32 s6, vcc_lo
	s_cbranch_execz .LBB154_80
; %bb.55:
	global_load_b32 v3, v[4:5], off offset:3072
	v_or_b32_e32 v7, 0x400, v0
	v_dual_mov_b32 v18, 0 :: v_dual_mov_b32 v17, 0
	v_dual_mov_b32 v16, 0 :: v_dual_mov_b32 v15, 0
	s_delay_alu instid0(VALU_DEP_3)
	v_cmp_gt_u32_e32 vcc_lo, s8, v7
	v_dual_mov_b32 v14, 0 :: v_dual_mov_b32 v13, 0
	v_dual_mov_b32 v12, 0 :: v_dual_mov_b32 v11, 0
	;; [unrolled: 1-line block ×4, first 2 shown]
	s_wait_xcnt 0x0
	s_and_saveexec_b32 s7, vcc_lo
	s_cbranch_execz .LBB154_79
; %bb.56:
	global_load_b32 v18, v[4:5], off offset:4096
	v_or_b32_e32 v7, 0x500, v0
	v_dual_mov_b32 v17, 0 :: v_dual_mov_b32 v16, 0
	v_dual_mov_b32 v15, 0 :: v_dual_mov_b32 v14, 0
	s_delay_alu instid0(VALU_DEP_3)
	v_cmp_gt_u32_e32 vcc_lo, s8, v7
	v_dual_mov_b32 v13, 0 :: v_dual_mov_b32 v12, 0
	v_dual_mov_b32 v11, 0 :: v_dual_mov_b32 v10, 0
	v_dual_mov_b32 v9, 0 :: v_dual_mov_b32 v8, 0
	v_mov_b32_e32 v7, 0
	s_wait_xcnt 0x0
	s_and_saveexec_b32 s12, vcc_lo
	s_cbranch_execz .LBB154_78
; %bb.57:
	global_load_b32 v17, v[4:5], off offset:5120
	v_or_b32_e32 v7, 0x600, v0
	v_dual_mov_b32 v16, 0 :: v_dual_mov_b32 v15, 0
	v_dual_mov_b32 v14, 0 :: v_dual_mov_b32 v13, 0
	s_delay_alu instid0(VALU_DEP_3)
	v_cmp_gt_u32_e32 vcc_lo, s8, v7
	v_dual_mov_b32 v12, 0 :: v_dual_mov_b32 v11, 0
	v_dual_mov_b32 v10, 0 :: v_dual_mov_b32 v9, 0
	;; [unrolled: 1-line block ×3, first 2 shown]
	s_wait_xcnt 0x0
	s_and_saveexec_b32 s13, vcc_lo
	s_cbranch_execz .LBB154_77
; %bb.58:
	global_load_b32 v16, v[4:5], off offset:6144
	v_or_b32_e32 v7, 0x700, v0
	v_dual_mov_b32 v15, 0 :: v_dual_mov_b32 v14, 0
	v_dual_mov_b32 v13, 0 :: v_dual_mov_b32 v12, 0
	s_delay_alu instid0(VALU_DEP_3)
	v_cmp_gt_u32_e32 vcc_lo, s8, v7
	v_dual_mov_b32 v11, 0 :: v_dual_mov_b32 v10, 0
	v_dual_mov_b32 v9, 0 :: v_dual_mov_b32 v8, 0
	v_mov_b32_e32 v7, 0
	s_wait_xcnt 0x0
	s_and_saveexec_b32 s14, vcc_lo
	s_cbranch_execz .LBB154_76
; %bb.59:
	global_load_b32 v15, v[4:5], off offset:7168
	v_or_b32_e32 v7, 0x800, v0
	v_dual_mov_b32 v14, 0 :: v_dual_mov_b32 v13, 0
	v_dual_mov_b32 v12, 0 :: v_dual_mov_b32 v11, 0
	s_delay_alu instid0(VALU_DEP_3)
	v_cmp_gt_u32_e32 vcc_lo, s8, v7
	v_dual_mov_b32 v10, 0 :: v_dual_mov_b32 v9, 0
	v_dual_mov_b32 v8, 0 :: v_dual_mov_b32 v7, 0
	s_wait_xcnt 0x0
	s_and_saveexec_b32 s15, vcc_lo
	s_cbranch_execz .LBB154_75
; %bb.60:
	global_load_b32 v14, v[4:5], off offset:8192
	v_or_b32_e32 v7, 0x900, v0
	v_dual_mov_b32 v13, 0 :: v_dual_mov_b32 v12, 0
	v_dual_mov_b32 v11, 0 :: v_dual_mov_b32 v10, 0
	s_delay_alu instid0(VALU_DEP_3)
	v_cmp_gt_u32_e32 vcc_lo, s8, v7
	v_dual_mov_b32 v9, 0 :: v_dual_mov_b32 v8, 0
	v_mov_b32_e32 v7, 0
	s_wait_xcnt 0x0
	s_and_saveexec_b32 s16, vcc_lo
	s_cbranch_execz .LBB154_74
; %bb.61:
	global_load_b32 v13, v[4:5], off offset:9216
	v_or_b32_e32 v7, 0xa00, v0
	v_dual_mov_b32 v12, 0 :: v_dual_mov_b32 v11, 0
	v_dual_mov_b32 v10, 0 :: v_dual_mov_b32 v9, 0
	s_delay_alu instid0(VALU_DEP_3)
	v_cmp_gt_u32_e32 vcc_lo, s8, v7
	v_dual_mov_b32 v8, 0 :: v_dual_mov_b32 v7, 0
	s_wait_xcnt 0x0
	s_and_saveexec_b32 s17, vcc_lo
	s_cbranch_execz .LBB154_73
; %bb.62:
	global_load_b32 v12, v[4:5], off offset:10240
	v_or_b32_e32 v7, 0xb00, v0
	v_dual_mov_b32 v11, 0 :: v_dual_mov_b32 v10, 0
	v_dual_mov_b32 v9, 0 :: v_dual_mov_b32 v8, 0
	s_delay_alu instid0(VALU_DEP_3)
	v_cmp_gt_u32_e32 vcc_lo, s8, v7
	v_mov_b32_e32 v7, 0
	s_wait_xcnt 0x0
	s_and_saveexec_b32 s18, vcc_lo
	s_cbranch_execz .LBB154_72
; %bb.63:
	global_load_b32 v11, v[4:5], off offset:11264
	v_or_b32_e32 v7, 0xc00, v0
	v_dual_mov_b32 v10, 0 :: v_dual_mov_b32 v9, 0
	v_mov_b32_e32 v8, 0
	s_delay_alu instid0(VALU_DEP_3)
	v_cmp_gt_u32_e32 vcc_lo, s8, v7
	v_mov_b32_e32 v7, 0
	s_wait_xcnt 0x0
	s_and_saveexec_b32 s19, vcc_lo
	s_cbranch_execz .LBB154_71
; %bb.64:
	global_load_b32 v10, v[4:5], off offset:12288
	v_or_b32_e32 v7, 0xd00, v0
	v_dual_mov_b32 v9, 0 :: v_dual_mov_b32 v8, 0
	s_delay_alu instid0(VALU_DEP_2)
	v_cmp_gt_u32_e32 vcc_lo, s8, v7
	v_mov_b32_e32 v7, 0
	s_wait_xcnt 0x0
	s_and_saveexec_b32 s20, vcc_lo
	s_cbranch_execz .LBB154_70
; %bb.65:
	global_load_b32 v9, v[4:5], off offset:13312
	v_or_b32_e32 v7, 0xe00, v0
	v_mov_b32_e32 v8, 0
	s_delay_alu instid0(VALU_DEP_2)
	v_cmp_gt_u32_e32 vcc_lo, s8, v7
	v_mov_b32_e32 v7, 0
	s_wait_xcnt 0x0
	s_and_saveexec_b32 s21, vcc_lo
	s_cbranch_execz .LBB154_69
; %bb.66:
	global_load_b32 v8, v[4:5], off offset:14336
	v_or_b32_e32 v7, 0xf00, v0
	s_delay_alu instid0(VALU_DEP_1)
	v_cmp_gt_u32_e32 vcc_lo, s8, v7
	v_mov_b32_e32 v7, 0
	s_wait_xcnt 0x0
	s_and_saveexec_b32 s22, vcc_lo
	s_cbranch_execz .LBB154_68
; %bb.67:
	global_load_b32 v7, v[4:5], off offset:15360
.LBB154_68:
	s_wait_xcnt 0x0
	s_or_b32 exec_lo, exec_lo, s22
.LBB154_69:
	s_delay_alu instid0(SALU_CYCLE_1)
	s_or_b32 exec_lo, exec_lo, s21
.LBB154_70:
	s_delay_alu instid0(SALU_CYCLE_1)
	s_or_b32 exec_lo, exec_lo, s20
.LBB154_71:
	s_delay_alu instid0(SALU_CYCLE_1)
	s_or_b32 exec_lo, exec_lo, s19
.LBB154_72:
	s_delay_alu instid0(SALU_CYCLE_1)
	s_or_b32 exec_lo, exec_lo, s18
.LBB154_73:
	s_delay_alu instid0(SALU_CYCLE_1)
	s_or_b32 exec_lo, exec_lo, s17
.LBB154_74:
	s_delay_alu instid0(SALU_CYCLE_1)
	s_or_b32 exec_lo, exec_lo, s16
.LBB154_75:
	s_delay_alu instid0(SALU_CYCLE_1)
	s_or_b32 exec_lo, exec_lo, s15
.LBB154_76:
	s_delay_alu instid0(SALU_CYCLE_1)
	s_or_b32 exec_lo, exec_lo, s14
.LBB154_77:
	s_delay_alu instid0(SALU_CYCLE_1)
	s_or_b32 exec_lo, exec_lo, s13
.LBB154_78:
	s_delay_alu instid0(SALU_CYCLE_1)
	s_or_b32 exec_lo, exec_lo, s12
.LBB154_79:
	s_delay_alu instid0(SALU_CYCLE_1)
	s_or_b32 exec_lo, exec_lo, s7
.LBB154_80:
	s_delay_alu instid0(SALU_CYCLE_1)
	s_or_b32 exec_lo, exec_lo, s6
	s_wait_loadcnt 0x0
	v_dual_mov_b32 v21, v3 :: v_dual_mov_b32 v3, v2
.LBB154_81:
	s_or_b32 exec_lo, exec_lo, s11
.LBB154_82:
	s_delay_alu instid0(SALU_CYCLE_1)
	s_or_b32 exec_lo, exec_lo, s3
.LBB154_83:
	s_delay_alu instid0(SALU_CYCLE_1)
	s_or_b32 exec_lo, exec_lo, s1
	s_lshr_b32 s3, s10, 16
	s_cmp_lg_u32 s9, 0
                                        ; implicit-def: $vgpr2
	s_cselect_b32 s6, -1, 0
	s_and_saveexec_b32 s7, s0
	s_cbranch_execz .LBB154_88
; %bb.84:
	s_wait_loadcnt 0x0
	v_lshrrev_b32_e32 v2, 16, v20
	s_and_b32 vcc_lo, exec_lo, s6
	s_cbranch_vccz .LBB154_212
; %bb.85:
	v_cmp_neq_f16_e32 vcc_lo, s10, v20
	s_delay_alu instid0(VALU_DEP_2)
	v_cmp_neq_f16_e64 s1, s3, v2
	s_or_b32 s9, vcc_lo, s1
	s_cbranch_execnz .LBB154_87
.LBB154_86:
	v_cmp_eq_f16_e32 vcc_lo, s10, v20
	v_cmp_eq_f16_e64 s1, s3, v2
	s_and_not1_b32 s9, s9, exec_lo
	s_and_b32 s1, vcc_lo, s1
	s_delay_alu instid0(SALU_CYCLE_1) | instskip(NEXT) | instid1(SALU_CYCLE_1)
	s_and_b32 s1, s1, exec_lo
	s_or_b32 s9, s9, s1
.LBB154_87:
	s_delay_alu instid0(SALU_CYCLE_1)
	v_cndmask_b32_e64 v2, 0, 1, s9
.LBB154_88:
	s_or_b32 exec_lo, exec_lo, s7
	v_cndmask_b32_e64 v5, 0, 1, s6
	s_mov_b32 s7, exec_lo
                                        ; implicit-def: $vgpr4
	v_cmpx_gt_i32_e64 s8, v6
	s_cbranch_execz .LBB154_93
; %bb.89:
	s_wait_loadcnt 0x0
	v_lshrrev_b32_e32 v4, 16, v19
	s_and_not1_b32 vcc_lo, exec_lo, s6
	s_cbranch_vccnz .LBB154_213
; %bb.90:
	v_cmp_neq_f16_e32 vcc_lo, s10, v19
	s_delay_alu instid0(VALU_DEP_2)
	v_cmp_neq_f16_e64 s1, s3, v4
	s_or_b32 s6, vcc_lo, s1
	s_cbranch_execnz .LBB154_92
.LBB154_91:
	v_cmp_eq_f16_e32 vcc_lo, s10, v19
	v_cmp_eq_f16_e64 s1, s3, v4
	s_and_not1_b32 s6, s6, exec_lo
	s_and_b32 s1, vcc_lo, s1
	s_delay_alu instid0(SALU_CYCLE_1) | instskip(NEXT) | instid1(SALU_CYCLE_1)
	s_and_b32 s1, s1, exec_lo
	s_or_b32 s6, s6, s1
.LBB154_92:
	s_delay_alu instid0(SALU_CYCLE_1)
	v_cndmask_b32_e64 v4, 0, 1, s6
.LBB154_93:
	s_or_b32 exec_lo, exec_lo, s7
	s_wait_loadcnt 0x0
	v_or_b32_e32 v19, 0x200, v0
	s_delay_alu instid0(VALU_DEP_1)
	v_cmp_gt_i32_e32 vcc_lo, s8, v19
                                        ; implicit-def: $vgpr19
	s_and_saveexec_b32 s6, vcc_lo
	s_cbranch_execz .LBB154_98
; %bb.94:
	v_cmp_ne_u32_e32 vcc_lo, 1, v5
	v_lshrrev_b32_e32 v19, 16, v3
	s_cbranch_vccnz .LBB154_214
; %bb.95:
	v_cmp_neq_f16_e32 vcc_lo, s10, v3
	s_delay_alu instid0(VALU_DEP_2)
	v_cmp_neq_f16_e64 s1, s3, v19
	s_or_b32 s7, vcc_lo, s1
	s_cbranch_execnz .LBB154_97
.LBB154_96:
	v_cmp_eq_f16_e32 vcc_lo, s10, v3
	s_delay_alu instid0(VALU_DEP_2) | instskip(SKIP_2) | instid1(SALU_CYCLE_1)
	v_cmp_eq_f16_e64 s1, s3, v19
	s_and_not1_b32 s7, s7, exec_lo
	s_and_b32 s1, vcc_lo, s1
	s_and_b32 s1, s1, exec_lo
	s_delay_alu instid0(SALU_CYCLE_1)
	s_or_b32 s7, s7, s1
.LBB154_97:
	s_delay_alu instid0(SALU_CYCLE_1)
	v_cndmask_b32_e64 v19, 0, 1, s7
.LBB154_98:
	s_or_b32 exec_lo, exec_lo, s6
	v_or_b32_e32 v3, 0x300, v0
	s_delay_alu instid0(VALU_DEP_1)
	v_cmp_gt_i32_e32 vcc_lo, s8, v3
                                        ; implicit-def: $vgpr3
	s_and_saveexec_b32 s6, vcc_lo
	s_cbranch_execz .LBB154_103
; %bb.99:
	v_cmp_ne_u32_e32 vcc_lo, 1, v5
	v_lshrrev_b32_e32 v3, 16, v21
	s_cbranch_vccnz .LBB154_215
; %bb.100:
	v_cmp_neq_f16_e32 vcc_lo, s10, v21
	s_delay_alu instid0(VALU_DEP_2)
	v_cmp_neq_f16_e64 s1, s3, v3
	s_or_b32 s7, vcc_lo, s1
	s_cbranch_execnz .LBB154_102
.LBB154_101:
	v_cmp_eq_f16_e32 vcc_lo, s10, v21
	s_delay_alu instid0(VALU_DEP_2) | instskip(SKIP_2) | instid1(SALU_CYCLE_1)
	v_cmp_eq_f16_e64 s1, s3, v3
	s_and_not1_b32 s7, s7, exec_lo
	s_and_b32 s1, vcc_lo, s1
	s_and_b32 s1, s1, exec_lo
	s_delay_alu instid0(SALU_CYCLE_1)
	s_or_b32 s7, s7, s1
.LBB154_102:
	s_delay_alu instid0(SALU_CYCLE_1)
	v_cndmask_b32_e64 v3, 0, 1, s7
.LBB154_103:
	s_or_b32 exec_lo, exec_lo, s6
	v_or_b32_e32 v20, 0x400, v0
	s_delay_alu instid0(VALU_DEP_1)
	v_cmp_gt_i32_e32 vcc_lo, s8, v20
                                        ; implicit-def: $vgpr20
	s_and_saveexec_b32 s6, vcc_lo
	s_cbranch_execz .LBB154_108
; %bb.104:
	v_cmp_ne_u32_e32 vcc_lo, 1, v5
	v_lshrrev_b32_e32 v20, 16, v18
	s_cbranch_vccnz .LBB154_216
; %bb.105:
	v_cmp_neq_f16_e32 vcc_lo, s10, v18
	s_delay_alu instid0(VALU_DEP_2)
	v_cmp_neq_f16_e64 s1, s3, v20
	s_or_b32 s7, vcc_lo, s1
	s_cbranch_execnz .LBB154_107
.LBB154_106:
	v_cmp_eq_f16_e32 vcc_lo, s10, v18
	s_delay_alu instid0(VALU_DEP_2) | instskip(SKIP_2) | instid1(SALU_CYCLE_1)
	v_cmp_eq_f16_e64 s1, s3, v20
	s_and_not1_b32 s7, s7, exec_lo
	s_and_b32 s1, vcc_lo, s1
	s_and_b32 s1, s1, exec_lo
	s_delay_alu instid0(SALU_CYCLE_1)
	s_or_b32 s7, s7, s1
.LBB154_107:
	s_delay_alu instid0(SALU_CYCLE_1)
	v_cndmask_b32_e64 v20, 0, 1, s7
.LBB154_108:
	s_or_b32 exec_lo, exec_lo, s6
	v_or_b32_e32 v18, 0x500, v0
	s_delay_alu instid0(VALU_DEP_1)
	v_cmp_gt_i32_e32 vcc_lo, s8, v18
                                        ; implicit-def: $vgpr18
	s_and_saveexec_b32 s6, vcc_lo
	s_cbranch_execz .LBB154_113
; %bb.109:
	v_cmp_ne_u32_e32 vcc_lo, 1, v5
	v_lshrrev_b32_e32 v18, 16, v17
	s_cbranch_vccnz .LBB154_217
; %bb.110:
	v_cmp_neq_f16_e32 vcc_lo, s10, v17
	s_delay_alu instid0(VALU_DEP_2)
	v_cmp_neq_f16_e64 s1, s3, v18
	s_or_b32 s7, vcc_lo, s1
	s_cbranch_execnz .LBB154_112
.LBB154_111:
	v_cmp_eq_f16_e32 vcc_lo, s10, v17
	s_delay_alu instid0(VALU_DEP_2) | instskip(SKIP_2) | instid1(SALU_CYCLE_1)
	v_cmp_eq_f16_e64 s1, s3, v18
	s_and_not1_b32 s7, s7, exec_lo
	s_and_b32 s1, vcc_lo, s1
	s_and_b32 s1, s1, exec_lo
	s_delay_alu instid0(SALU_CYCLE_1)
	s_or_b32 s7, s7, s1
.LBB154_112:
	s_delay_alu instid0(SALU_CYCLE_1)
	v_cndmask_b32_e64 v18, 0, 1, s7
.LBB154_113:
	s_or_b32 exec_lo, exec_lo, s6
	v_or_b32_e32 v17, 0x600, v0
	s_delay_alu instid0(VALU_DEP_1)
	v_cmp_gt_i32_e32 vcc_lo, s8, v17
                                        ; implicit-def: $vgpr17
	s_and_saveexec_b32 s6, vcc_lo
	s_cbranch_execz .LBB154_118
; %bb.114:
	v_cmp_ne_u32_e32 vcc_lo, 1, v5
	v_lshrrev_b32_e32 v17, 16, v16
	s_cbranch_vccnz .LBB154_218
; %bb.115:
	v_cmp_neq_f16_e32 vcc_lo, s10, v16
	s_delay_alu instid0(VALU_DEP_2)
	v_cmp_neq_f16_e64 s1, s3, v17
	s_or_b32 s7, vcc_lo, s1
	s_cbranch_execnz .LBB154_117
.LBB154_116:
	v_cmp_eq_f16_e32 vcc_lo, s10, v16
	s_delay_alu instid0(VALU_DEP_2) | instskip(SKIP_2) | instid1(SALU_CYCLE_1)
	v_cmp_eq_f16_e64 s1, s3, v17
	s_and_not1_b32 s7, s7, exec_lo
	s_and_b32 s1, vcc_lo, s1
	s_and_b32 s1, s1, exec_lo
	s_delay_alu instid0(SALU_CYCLE_1)
	s_or_b32 s7, s7, s1
.LBB154_117:
	s_delay_alu instid0(SALU_CYCLE_1)
	v_cndmask_b32_e64 v17, 0, 1, s7
.LBB154_118:
	s_or_b32 exec_lo, exec_lo, s6
	v_or_b32_e32 v16, 0x700, v0
	s_delay_alu instid0(VALU_DEP_1)
	v_cmp_gt_i32_e32 vcc_lo, s8, v16
                                        ; implicit-def: $vgpr16
	s_and_saveexec_b32 s6, vcc_lo
	s_cbranch_execz .LBB154_123
; %bb.119:
	v_cmp_ne_u32_e32 vcc_lo, 1, v5
	v_lshrrev_b32_e32 v16, 16, v15
	s_cbranch_vccnz .LBB154_219
; %bb.120:
	v_cmp_neq_f16_e32 vcc_lo, s10, v15
	s_delay_alu instid0(VALU_DEP_2)
	v_cmp_neq_f16_e64 s1, s3, v16
	s_or_b32 s7, vcc_lo, s1
	s_cbranch_execnz .LBB154_122
.LBB154_121:
	v_cmp_eq_f16_e32 vcc_lo, s10, v15
	s_delay_alu instid0(VALU_DEP_2) | instskip(SKIP_2) | instid1(SALU_CYCLE_1)
	v_cmp_eq_f16_e64 s1, s3, v16
	s_and_not1_b32 s7, s7, exec_lo
	s_and_b32 s1, vcc_lo, s1
	s_and_b32 s1, s1, exec_lo
	s_delay_alu instid0(SALU_CYCLE_1)
	s_or_b32 s7, s7, s1
.LBB154_122:
	s_delay_alu instid0(SALU_CYCLE_1)
	v_cndmask_b32_e64 v16, 0, 1, s7
.LBB154_123:
	s_or_b32 exec_lo, exec_lo, s6
	v_or_b32_e32 v15, 0x800, v0
	s_delay_alu instid0(VALU_DEP_1)
	v_cmp_gt_i32_e32 vcc_lo, s8, v15
                                        ; implicit-def: $vgpr15
	s_and_saveexec_b32 s6, vcc_lo
	s_cbranch_execz .LBB154_128
; %bb.124:
	v_cmp_ne_u32_e32 vcc_lo, 1, v5
	v_lshrrev_b32_e32 v15, 16, v14
	s_cbranch_vccnz .LBB154_220
; %bb.125:
	v_cmp_neq_f16_e32 vcc_lo, s10, v14
	s_delay_alu instid0(VALU_DEP_2)
	v_cmp_neq_f16_e64 s1, s3, v15
	s_or_b32 s7, vcc_lo, s1
	s_cbranch_execnz .LBB154_127
.LBB154_126:
	v_cmp_eq_f16_e32 vcc_lo, s10, v14
	s_delay_alu instid0(VALU_DEP_2) | instskip(SKIP_2) | instid1(SALU_CYCLE_1)
	v_cmp_eq_f16_e64 s1, s3, v15
	s_and_not1_b32 s7, s7, exec_lo
	s_and_b32 s1, vcc_lo, s1
	s_and_b32 s1, s1, exec_lo
	s_delay_alu instid0(SALU_CYCLE_1)
	s_or_b32 s7, s7, s1
.LBB154_127:
	s_delay_alu instid0(SALU_CYCLE_1)
	v_cndmask_b32_e64 v15, 0, 1, s7
.LBB154_128:
	s_or_b32 exec_lo, exec_lo, s6
	v_or_b32_e32 v14, 0x900, v0
	s_delay_alu instid0(VALU_DEP_1)
	v_cmp_gt_i32_e32 vcc_lo, s8, v14
                                        ; implicit-def: $vgpr14
	s_and_saveexec_b32 s6, vcc_lo
	s_cbranch_execz .LBB154_133
; %bb.129:
	v_cmp_ne_u32_e32 vcc_lo, 1, v5
	v_lshrrev_b32_e32 v14, 16, v13
	s_cbranch_vccnz .LBB154_221
; %bb.130:
	v_cmp_neq_f16_e32 vcc_lo, s10, v13
	s_delay_alu instid0(VALU_DEP_2)
	v_cmp_neq_f16_e64 s1, s3, v14
	s_or_b32 s7, vcc_lo, s1
	s_cbranch_execnz .LBB154_132
.LBB154_131:
	v_cmp_eq_f16_e32 vcc_lo, s10, v13
	s_delay_alu instid0(VALU_DEP_2) | instskip(SKIP_2) | instid1(SALU_CYCLE_1)
	v_cmp_eq_f16_e64 s1, s3, v14
	s_and_not1_b32 s7, s7, exec_lo
	s_and_b32 s1, vcc_lo, s1
	s_and_b32 s1, s1, exec_lo
	s_delay_alu instid0(SALU_CYCLE_1)
	s_or_b32 s7, s7, s1
.LBB154_132:
	s_delay_alu instid0(SALU_CYCLE_1)
	v_cndmask_b32_e64 v14, 0, 1, s7
.LBB154_133:
	s_or_b32 exec_lo, exec_lo, s6
	v_or_b32_e32 v13, 0xa00, v0
	s_delay_alu instid0(VALU_DEP_1)
	v_cmp_gt_i32_e32 vcc_lo, s8, v13
                                        ; implicit-def: $vgpr13
	s_and_saveexec_b32 s6, vcc_lo
	s_cbranch_execz .LBB154_138
; %bb.134:
	v_cmp_ne_u32_e32 vcc_lo, 1, v5
	v_lshrrev_b32_e32 v13, 16, v12
	s_cbranch_vccnz .LBB154_222
; %bb.135:
	v_cmp_neq_f16_e32 vcc_lo, s10, v12
	s_delay_alu instid0(VALU_DEP_2)
	v_cmp_neq_f16_e64 s1, s3, v13
	s_or_b32 s7, vcc_lo, s1
	s_cbranch_execnz .LBB154_137
.LBB154_136:
	v_cmp_eq_f16_e32 vcc_lo, s10, v12
	s_delay_alu instid0(VALU_DEP_2) | instskip(SKIP_2) | instid1(SALU_CYCLE_1)
	v_cmp_eq_f16_e64 s1, s3, v13
	s_and_not1_b32 s7, s7, exec_lo
	s_and_b32 s1, vcc_lo, s1
	s_and_b32 s1, s1, exec_lo
	s_delay_alu instid0(SALU_CYCLE_1)
	s_or_b32 s7, s7, s1
.LBB154_137:
	s_delay_alu instid0(SALU_CYCLE_1)
	v_cndmask_b32_e64 v13, 0, 1, s7
.LBB154_138:
	s_or_b32 exec_lo, exec_lo, s6
	v_or_b32_e32 v12, 0xb00, v0
	s_delay_alu instid0(VALU_DEP_1)
	v_cmp_gt_i32_e32 vcc_lo, s8, v12
                                        ; implicit-def: $vgpr12
	s_and_saveexec_b32 s6, vcc_lo
	s_cbranch_execz .LBB154_143
; %bb.139:
	v_cmp_ne_u32_e32 vcc_lo, 1, v5
	v_lshrrev_b32_e32 v12, 16, v11
	s_cbranch_vccnz .LBB154_223
; %bb.140:
	v_cmp_neq_f16_e32 vcc_lo, s10, v11
	s_delay_alu instid0(VALU_DEP_2)
	v_cmp_neq_f16_e64 s1, s3, v12
	s_or_b32 s7, vcc_lo, s1
	s_cbranch_execnz .LBB154_142
.LBB154_141:
	v_cmp_eq_f16_e32 vcc_lo, s10, v11
	s_delay_alu instid0(VALU_DEP_2) | instskip(SKIP_2) | instid1(SALU_CYCLE_1)
	v_cmp_eq_f16_e64 s1, s3, v12
	s_and_not1_b32 s7, s7, exec_lo
	s_and_b32 s1, vcc_lo, s1
	s_and_b32 s1, s1, exec_lo
	s_delay_alu instid0(SALU_CYCLE_1)
	s_or_b32 s7, s7, s1
.LBB154_142:
	s_delay_alu instid0(SALU_CYCLE_1)
	v_cndmask_b32_e64 v12, 0, 1, s7
.LBB154_143:
	s_or_b32 exec_lo, exec_lo, s6
	v_or_b32_e32 v11, 0xc00, v0
	s_delay_alu instid0(VALU_DEP_1)
	v_cmp_gt_i32_e32 vcc_lo, s8, v11
                                        ; implicit-def: $vgpr11
	s_and_saveexec_b32 s6, vcc_lo
	s_cbranch_execz .LBB154_148
; %bb.144:
	v_cmp_ne_u32_e32 vcc_lo, 1, v5
	v_lshrrev_b32_e32 v11, 16, v10
	s_cbranch_vccnz .LBB154_224
; %bb.145:
	v_cmp_neq_f16_e32 vcc_lo, s10, v10
	s_delay_alu instid0(VALU_DEP_2)
	v_cmp_neq_f16_e64 s1, s3, v11
	s_or_b32 s7, vcc_lo, s1
	s_cbranch_execnz .LBB154_147
.LBB154_146:
	v_cmp_eq_f16_e32 vcc_lo, s10, v10
	s_delay_alu instid0(VALU_DEP_2) | instskip(SKIP_2) | instid1(SALU_CYCLE_1)
	v_cmp_eq_f16_e64 s1, s3, v11
	s_and_not1_b32 s7, s7, exec_lo
	s_and_b32 s1, vcc_lo, s1
	s_and_b32 s1, s1, exec_lo
	s_delay_alu instid0(SALU_CYCLE_1)
	s_or_b32 s7, s7, s1
.LBB154_147:
	s_delay_alu instid0(SALU_CYCLE_1)
	v_cndmask_b32_e64 v11, 0, 1, s7
.LBB154_148:
	s_or_b32 exec_lo, exec_lo, s6
	v_or_b32_e32 v10, 0xd00, v0
	s_delay_alu instid0(VALU_DEP_1)
	v_cmp_gt_i32_e32 vcc_lo, s8, v10
                                        ; implicit-def: $vgpr10
	s_and_saveexec_b32 s6, vcc_lo
	s_cbranch_execz .LBB154_153
; %bb.149:
	v_cmp_ne_u32_e32 vcc_lo, 1, v5
	v_lshrrev_b32_e32 v10, 16, v9
	s_cbranch_vccnz .LBB154_225
; %bb.150:
	v_cmp_neq_f16_e32 vcc_lo, s10, v9
	s_delay_alu instid0(VALU_DEP_2)
	v_cmp_neq_f16_e64 s1, s3, v10
	s_or_b32 s7, vcc_lo, s1
	s_cbranch_execnz .LBB154_152
.LBB154_151:
	v_cmp_eq_f16_e32 vcc_lo, s10, v9
	s_delay_alu instid0(VALU_DEP_2) | instskip(SKIP_2) | instid1(SALU_CYCLE_1)
	v_cmp_eq_f16_e64 s1, s3, v10
	s_and_not1_b32 s7, s7, exec_lo
	s_and_b32 s1, vcc_lo, s1
	s_and_b32 s1, s1, exec_lo
	s_delay_alu instid0(SALU_CYCLE_1)
	s_or_b32 s7, s7, s1
.LBB154_152:
	s_delay_alu instid0(SALU_CYCLE_1)
	v_cndmask_b32_e64 v10, 0, 1, s7
.LBB154_153:
	s_or_b32 exec_lo, exec_lo, s6
	v_or_b32_e32 v9, 0xe00, v0
	s_delay_alu instid0(VALU_DEP_1)
	v_cmp_gt_i32_e32 vcc_lo, s8, v9
                                        ; implicit-def: $vgpr9
	s_and_saveexec_b32 s6, vcc_lo
	s_cbranch_execz .LBB154_158
; %bb.154:
	v_cmp_ne_u32_e32 vcc_lo, 1, v5
	v_lshrrev_b32_e32 v9, 16, v8
	s_cbranch_vccnz .LBB154_226
; %bb.155:
	v_cmp_neq_f16_e32 vcc_lo, s10, v8
	s_delay_alu instid0(VALU_DEP_2)
	v_cmp_neq_f16_e64 s1, s3, v9
	s_or_b32 s7, vcc_lo, s1
	s_cbranch_execnz .LBB154_157
.LBB154_156:
	v_cmp_eq_f16_e32 vcc_lo, s10, v8
	s_delay_alu instid0(VALU_DEP_2) | instskip(SKIP_2) | instid1(SALU_CYCLE_1)
	v_cmp_eq_f16_e64 s1, s3, v9
	s_and_not1_b32 s7, s7, exec_lo
	s_and_b32 s1, vcc_lo, s1
	s_and_b32 s1, s1, exec_lo
	s_delay_alu instid0(SALU_CYCLE_1)
	s_or_b32 s7, s7, s1
.LBB154_157:
	s_delay_alu instid0(SALU_CYCLE_1)
	v_cndmask_b32_e64 v9, 0, 1, s7
.LBB154_158:
	s_or_b32 exec_lo, exec_lo, s6
	v_or_b32_e32 v8, 0xf00, v0
	s_delay_alu instid0(VALU_DEP_1)
	v_cmp_gt_i32_e32 vcc_lo, s8, v8
                                        ; implicit-def: $vgpr8
	s_and_saveexec_b32 s6, vcc_lo
	s_cbranch_execz .LBB154_163
; %bb.159:
	v_cmp_ne_u32_e32 vcc_lo, 1, v5
	v_lshrrev_b32_e32 v5, 16, v7
	s_cbranch_vccnz .LBB154_227
; %bb.160:
	v_cmp_neq_f16_e32 vcc_lo, s10, v7
	s_delay_alu instid0(VALU_DEP_2)
	v_cmp_neq_f16_e64 s1, s3, v5
	s_or_b32 s7, vcc_lo, s1
	s_cbranch_execnz .LBB154_162
.LBB154_161:
	v_cmp_eq_f16_e32 vcc_lo, s10, v7
	s_delay_alu instid0(VALU_DEP_2) | instskip(SKIP_2) | instid1(SALU_CYCLE_1)
	v_cmp_eq_f16_e64 s1, s3, v5
	s_and_not1_b32 s3, s7, exec_lo
	s_and_b32 s1, vcc_lo, s1
	s_and_b32 s1, s1, exec_lo
	s_delay_alu instid0(SALU_CYCLE_1)
	s_or_b32 s7, s3, s1
.LBB154_162:
	s_delay_alu instid0(SALU_CYCLE_1)
	v_cndmask_b32_e64 v8, 0, 1, s7
.LBB154_163:
	s_or_b32 exec_lo, exec_lo, s6
	s_and_saveexec_b32 s1, s0
	s_delay_alu instid0(SALU_CYCLE_1)
	s_xor_b32 s0, exec_lo, s1
	s_cbranch_execz .LBB154_165
; %bb.164:
	v_mov_b32_e32 v0, v6
	global_store_b8 v1, v2, s[4:5]
.LBB154_165:
	s_wait_xcnt 0x0
	s_or_b32 exec_lo, exec_lo, s0
	s_delay_alu instid0(SALU_CYCLE_1)
	s_mov_b32 s0, exec_lo
	v_cmpx_gt_i32_e64 s8, v0
	s_cbranch_execnz .LBB154_181
; %bb.166:
	s_or_b32 exec_lo, exec_lo, s0
	s_delay_alu instid0(SALU_CYCLE_1)
	s_mov_b32 s0, exec_lo
	v_cmpx_gt_i32_e64 s8, v0
	s_cbranch_execnz .LBB154_182
.LBB154_167:
	s_or_b32 exec_lo, exec_lo, s0
	s_delay_alu instid0(SALU_CYCLE_1)
	s_mov_b32 s0, exec_lo
	v_cmpx_gt_i32_e64 s8, v0
	s_cbranch_execnz .LBB154_183
.LBB154_168:
	s_or_b32 exec_lo, exec_lo, s0
	s_delay_alu instid0(SALU_CYCLE_1)
	s_mov_b32 s0, exec_lo
	v_cmpx_gt_i32_e64 s8, v0
	s_cbranch_execnz .LBB154_184
.LBB154_169:
	s_or_b32 exec_lo, exec_lo, s0
	s_delay_alu instid0(SALU_CYCLE_1)
	s_mov_b32 s0, exec_lo
	v_cmpx_gt_i32_e64 s8, v0
	s_cbranch_execnz .LBB154_185
.LBB154_170:
	s_or_b32 exec_lo, exec_lo, s0
	s_delay_alu instid0(SALU_CYCLE_1)
	s_mov_b32 s0, exec_lo
	v_cmpx_gt_i32_e64 s8, v0
	s_cbranch_execnz .LBB154_186
.LBB154_171:
	s_or_b32 exec_lo, exec_lo, s0
	s_delay_alu instid0(SALU_CYCLE_1)
	s_mov_b32 s0, exec_lo
	v_cmpx_gt_i32_e64 s8, v0
	s_cbranch_execnz .LBB154_187
.LBB154_172:
	s_or_b32 exec_lo, exec_lo, s0
	s_delay_alu instid0(SALU_CYCLE_1)
	s_mov_b32 s0, exec_lo
	v_cmpx_gt_i32_e64 s8, v0
	s_cbranch_execnz .LBB154_188
.LBB154_173:
	s_or_b32 exec_lo, exec_lo, s0
	s_delay_alu instid0(SALU_CYCLE_1)
	s_mov_b32 s0, exec_lo
	v_cmpx_gt_i32_e64 s8, v0
	s_cbranch_execnz .LBB154_189
.LBB154_174:
	s_or_b32 exec_lo, exec_lo, s0
	s_delay_alu instid0(SALU_CYCLE_1)
	s_mov_b32 s0, exec_lo
	v_cmpx_gt_i32_e64 s8, v0
	s_cbranch_execnz .LBB154_190
.LBB154_175:
	s_or_b32 exec_lo, exec_lo, s0
	s_delay_alu instid0(SALU_CYCLE_1)
	s_mov_b32 s0, exec_lo
	v_cmpx_gt_i32_e64 s8, v0
	s_cbranch_execnz .LBB154_191
.LBB154_176:
	s_or_b32 exec_lo, exec_lo, s0
	s_delay_alu instid0(SALU_CYCLE_1)
	s_mov_b32 s0, exec_lo
	v_cmpx_gt_i32_e64 s8, v0
	s_cbranch_execnz .LBB154_192
.LBB154_177:
	s_or_b32 exec_lo, exec_lo, s0
	s_delay_alu instid0(SALU_CYCLE_1)
	s_mov_b32 s0, exec_lo
	v_cmpx_gt_i32_e64 s8, v0
	s_cbranch_execnz .LBB154_193
.LBB154_178:
	s_or_b32 exec_lo, exec_lo, s0
	s_delay_alu instid0(SALU_CYCLE_1)
	s_mov_b32 s0, exec_lo
	v_cmpx_gt_i32_e64 s8, v0
	s_cbranch_execnz .LBB154_194
.LBB154_179:
	s_or_b32 exec_lo, exec_lo, s0
	s_delay_alu instid0(SALU_CYCLE_1)
	s_mov_b32 s0, exec_lo
	v_cmpx_gt_i32_e64 s8, v0
	s_cbranch_execz .LBB154_195
.LBB154_180:
	v_add_nc_u32_e32 v0, s2, v0
	global_store_b8 v0, v8, s[4:5]
	s_endpgm
.LBB154_181:
	v_add_nc_u32_e32 v1, s2, v0
	v_add_nc_u32_e32 v0, 0x100, v0
	global_store_b8 v1, v4, s[4:5]
	s_wait_xcnt 0x0
	s_or_b32 exec_lo, exec_lo, s0
	s_delay_alu instid0(SALU_CYCLE_1)
	s_mov_b32 s0, exec_lo
	v_cmpx_gt_i32_e64 s8, v0
	s_cbranch_execz .LBB154_167
.LBB154_182:
	v_add_nc_u32_e32 v1, s2, v0
	v_add_nc_u32_e32 v0, 0x100, v0
	global_store_b8 v1, v19, s[4:5]
	s_wait_xcnt 0x0
	s_or_b32 exec_lo, exec_lo, s0
	s_delay_alu instid0(SALU_CYCLE_1)
	s_mov_b32 s0, exec_lo
	v_cmpx_gt_i32_e64 s8, v0
	s_cbranch_execz .LBB154_168
.LBB154_183:
	v_add_nc_u32_e32 v1, s2, v0
	v_add_nc_u32_e32 v0, 0x100, v0
	global_store_b8 v1, v3, s[4:5]
	s_wait_xcnt 0x0
	s_or_b32 exec_lo, exec_lo, s0
	s_delay_alu instid0(SALU_CYCLE_1)
	s_mov_b32 s0, exec_lo
	v_cmpx_gt_i32_e64 s8, v0
	s_cbranch_execz .LBB154_169
.LBB154_184:
	v_add_nc_u32_e32 v1, s2, v0
	v_add_nc_u32_e32 v0, 0x100, v0
	global_store_b8 v1, v20, s[4:5]
	s_wait_xcnt 0x0
	s_or_b32 exec_lo, exec_lo, s0
	s_delay_alu instid0(SALU_CYCLE_1)
	s_mov_b32 s0, exec_lo
	v_cmpx_gt_i32_e64 s8, v0
	s_cbranch_execz .LBB154_170
.LBB154_185:
	v_add_nc_u32_e32 v1, s2, v0
	v_add_nc_u32_e32 v0, 0x100, v0
	global_store_b8 v1, v18, s[4:5]
	s_wait_xcnt 0x0
	s_or_b32 exec_lo, exec_lo, s0
	s_delay_alu instid0(SALU_CYCLE_1)
	s_mov_b32 s0, exec_lo
	v_cmpx_gt_i32_e64 s8, v0
	s_cbranch_execz .LBB154_171
.LBB154_186:
	v_add_nc_u32_e32 v1, s2, v0
	v_add_nc_u32_e32 v0, 0x100, v0
	global_store_b8 v1, v17, s[4:5]
	s_wait_xcnt 0x0
	s_or_b32 exec_lo, exec_lo, s0
	s_delay_alu instid0(SALU_CYCLE_1)
	s_mov_b32 s0, exec_lo
	v_cmpx_gt_i32_e64 s8, v0
	s_cbranch_execz .LBB154_172
.LBB154_187:
	v_add_nc_u32_e32 v1, s2, v0
	v_add_nc_u32_e32 v0, 0x100, v0
	global_store_b8 v1, v16, s[4:5]
	s_wait_xcnt 0x0
	s_or_b32 exec_lo, exec_lo, s0
	s_delay_alu instid0(SALU_CYCLE_1)
	s_mov_b32 s0, exec_lo
	v_cmpx_gt_i32_e64 s8, v0
	s_cbranch_execz .LBB154_173
.LBB154_188:
	v_add_nc_u32_e32 v1, s2, v0
	v_add_nc_u32_e32 v0, 0x100, v0
	global_store_b8 v1, v15, s[4:5]
	s_wait_xcnt 0x0
	s_or_b32 exec_lo, exec_lo, s0
	s_delay_alu instid0(SALU_CYCLE_1)
	s_mov_b32 s0, exec_lo
	v_cmpx_gt_i32_e64 s8, v0
	s_cbranch_execz .LBB154_174
.LBB154_189:
	v_add_nc_u32_e32 v1, s2, v0
	v_add_nc_u32_e32 v0, 0x100, v0
	global_store_b8 v1, v14, s[4:5]
	s_wait_xcnt 0x0
	s_or_b32 exec_lo, exec_lo, s0
	s_delay_alu instid0(SALU_CYCLE_1)
	s_mov_b32 s0, exec_lo
	v_cmpx_gt_i32_e64 s8, v0
	s_cbranch_execz .LBB154_175
.LBB154_190:
	v_add_nc_u32_e32 v1, s2, v0
	v_add_nc_u32_e32 v0, 0x100, v0
	global_store_b8 v1, v13, s[4:5]
	s_wait_xcnt 0x0
	s_or_b32 exec_lo, exec_lo, s0
	s_delay_alu instid0(SALU_CYCLE_1)
	s_mov_b32 s0, exec_lo
	v_cmpx_gt_i32_e64 s8, v0
	s_cbranch_execz .LBB154_176
.LBB154_191:
	v_add_nc_u32_e32 v1, s2, v0
	v_add_nc_u32_e32 v0, 0x100, v0
	global_store_b8 v1, v12, s[4:5]
	s_wait_xcnt 0x0
	s_or_b32 exec_lo, exec_lo, s0
	s_delay_alu instid0(SALU_CYCLE_1)
	s_mov_b32 s0, exec_lo
	v_cmpx_gt_i32_e64 s8, v0
	s_cbranch_execz .LBB154_177
.LBB154_192:
	v_add_nc_u32_e32 v1, s2, v0
	v_add_nc_u32_e32 v0, 0x100, v0
	global_store_b8 v1, v11, s[4:5]
	s_wait_xcnt 0x0
	s_or_b32 exec_lo, exec_lo, s0
	s_delay_alu instid0(SALU_CYCLE_1)
	s_mov_b32 s0, exec_lo
	v_cmpx_gt_i32_e64 s8, v0
	s_cbranch_execz .LBB154_178
.LBB154_193:
	v_add_nc_u32_e32 v1, s2, v0
	v_add_nc_u32_e32 v0, 0x100, v0
	global_store_b8 v1, v10, s[4:5]
	s_wait_xcnt 0x0
	s_or_b32 exec_lo, exec_lo, s0
	s_delay_alu instid0(SALU_CYCLE_1)
	s_mov_b32 s0, exec_lo
	v_cmpx_gt_i32_e64 s8, v0
	s_cbranch_execz .LBB154_179
.LBB154_194:
	v_add_nc_u32_e32 v1, s2, v0
	v_add_nc_u32_e32 v0, 0x100, v0
	global_store_b8 v1, v9, s[4:5]
	s_wait_xcnt 0x0
	s_or_b32 exec_lo, exec_lo, s0
	s_delay_alu instid0(SALU_CYCLE_1)
	s_mov_b32 s0, exec_lo
	v_cmpx_gt_i32_e64 s8, v0
	s_cbranch_execnz .LBB154_180
.LBB154_195:
	s_endpgm
.LBB154_196:
	s_wait_xcnt 0x0
                                        ; implicit-def: $sgpr1
	s_branch .LBB154_3
.LBB154_197:
                                        ; implicit-def: $sgpr12
	s_branch .LBB154_6
.LBB154_198:
                                        ; implicit-def: $sgpr13
	s_branch .LBB154_9
.LBB154_199:
                                        ; implicit-def: $sgpr14
	s_branch .LBB154_12
.LBB154_200:
                                        ; implicit-def: $sgpr15
	s_branch .LBB154_15
.LBB154_201:
                                        ; implicit-def: $sgpr16
	s_branch .LBB154_18
.LBB154_202:
                                        ; implicit-def: $sgpr17
	s_branch .LBB154_21
.LBB154_203:
                                        ; implicit-def: $sgpr18
	s_branch .LBB154_24
.LBB154_204:
                                        ; implicit-def: $sgpr19
	s_branch .LBB154_27
.LBB154_205:
                                        ; implicit-def: $sgpr20
	s_branch .LBB154_30
.LBB154_206:
                                        ; implicit-def: $sgpr21
	s_branch .LBB154_33
.LBB154_207:
                                        ; implicit-def: $sgpr22
	s_branch .LBB154_36
.LBB154_208:
                                        ; implicit-def: $sgpr23
	s_branch .LBB154_39
.LBB154_209:
                                        ; implicit-def: $sgpr24
	s_branch .LBB154_42
.LBB154_210:
                                        ; implicit-def: $sgpr25
	s_branch .LBB154_45
.LBB154_211:
                                        ; implicit-def: $sgpr26
	s_branch .LBB154_48
.LBB154_212:
                                        ; implicit-def: $sgpr9
	s_branch .LBB154_86
.LBB154_213:
                                        ; implicit-def: $sgpr6
	s_branch .LBB154_91
.LBB154_214:
                                        ; implicit-def: $sgpr7
	s_branch .LBB154_96
.LBB154_215:
                                        ; implicit-def: $sgpr7
	s_branch .LBB154_101
.LBB154_216:
                                        ; implicit-def: $sgpr7
	s_branch .LBB154_106
.LBB154_217:
                                        ; implicit-def: $sgpr7
	s_branch .LBB154_111
.LBB154_218:
                                        ; implicit-def: $sgpr7
	s_branch .LBB154_116
.LBB154_219:
                                        ; implicit-def: $sgpr7
	s_branch .LBB154_121
.LBB154_220:
                                        ; implicit-def: $sgpr7
	s_branch .LBB154_126
.LBB154_221:
                                        ; implicit-def: $sgpr7
	s_branch .LBB154_131
.LBB154_222:
                                        ; implicit-def: $sgpr7
	s_branch .LBB154_136
.LBB154_223:
                                        ; implicit-def: $sgpr7
	s_branch .LBB154_141
.LBB154_224:
                                        ; implicit-def: $sgpr7
	s_branch .LBB154_146
.LBB154_225:
                                        ; implicit-def: $sgpr7
	s_branch .LBB154_151
.LBB154_226:
                                        ; implicit-def: $sgpr7
	s_branch .LBB154_156
.LBB154_227:
                                        ; implicit-def: $sgpr7
	s_branch .LBB154_161
	.section	.rodata,"a",@progbits
	.p2align	6, 0x0
	.amdhsa_kernel _ZN2at6native29vectorized_elementwise_kernelILi4ENS0_13AUnaryFunctorIN3c107complexINS3_4HalfEEES6_bNS0_12_GLOBAL__N_116CompareEqFunctorIS6_EEEESt5arrayIPcLm2EEEEviT0_T1_
		.amdhsa_group_segment_fixed_size 0
		.amdhsa_private_segment_fixed_size 0
		.amdhsa_kernarg_size 32
		.amdhsa_user_sgpr_count 2
		.amdhsa_user_sgpr_dispatch_ptr 0
		.amdhsa_user_sgpr_queue_ptr 0
		.amdhsa_user_sgpr_kernarg_segment_ptr 1
		.amdhsa_user_sgpr_dispatch_id 0
		.amdhsa_user_sgpr_kernarg_preload_length 0
		.amdhsa_user_sgpr_kernarg_preload_offset 0
		.amdhsa_user_sgpr_private_segment_size 0
		.amdhsa_wavefront_size32 1
		.amdhsa_uses_dynamic_stack 0
		.amdhsa_enable_private_segment 0
		.amdhsa_system_sgpr_workgroup_id_x 1
		.amdhsa_system_sgpr_workgroup_id_y 0
		.amdhsa_system_sgpr_workgroup_id_z 0
		.amdhsa_system_sgpr_workgroup_info 0
		.amdhsa_system_vgpr_workitem_id 0
		.amdhsa_next_free_vgpr 22
		.amdhsa_next_free_sgpr 27
		.amdhsa_named_barrier_count 0
		.amdhsa_reserve_vcc 1
		.amdhsa_float_round_mode_32 0
		.amdhsa_float_round_mode_16_64 0
		.amdhsa_float_denorm_mode_32 3
		.amdhsa_float_denorm_mode_16_64 3
		.amdhsa_fp16_overflow 0
		.amdhsa_memory_ordered 1
		.amdhsa_forward_progress 1
		.amdhsa_inst_pref_size 48
		.amdhsa_round_robin_scheduling 0
		.amdhsa_exception_fp_ieee_invalid_op 0
		.amdhsa_exception_fp_denorm_src 0
		.amdhsa_exception_fp_ieee_div_zero 0
		.amdhsa_exception_fp_ieee_overflow 0
		.amdhsa_exception_fp_ieee_underflow 0
		.amdhsa_exception_fp_ieee_inexact 0
		.amdhsa_exception_int_div_zero 0
	.end_amdhsa_kernel
	.section	.text._ZN2at6native29vectorized_elementwise_kernelILi4ENS0_13AUnaryFunctorIN3c107complexINS3_4HalfEEES6_bNS0_12_GLOBAL__N_116CompareEqFunctorIS6_EEEESt5arrayIPcLm2EEEEviT0_T1_,"axG",@progbits,_ZN2at6native29vectorized_elementwise_kernelILi4ENS0_13AUnaryFunctorIN3c107complexINS3_4HalfEEES6_bNS0_12_GLOBAL__N_116CompareEqFunctorIS6_EEEESt5arrayIPcLm2EEEEviT0_T1_,comdat
.Lfunc_end154:
	.size	_ZN2at6native29vectorized_elementwise_kernelILi4ENS0_13AUnaryFunctorIN3c107complexINS3_4HalfEEES6_bNS0_12_GLOBAL__N_116CompareEqFunctorIS6_EEEESt5arrayIPcLm2EEEEviT0_T1_, .Lfunc_end154-_ZN2at6native29vectorized_elementwise_kernelILi4ENS0_13AUnaryFunctorIN3c107complexINS3_4HalfEEES6_bNS0_12_GLOBAL__N_116CompareEqFunctorIS6_EEEESt5arrayIPcLm2EEEEviT0_T1_
                                        ; -- End function
	.set _ZN2at6native29vectorized_elementwise_kernelILi4ENS0_13AUnaryFunctorIN3c107complexINS3_4HalfEEES6_bNS0_12_GLOBAL__N_116CompareEqFunctorIS6_EEEESt5arrayIPcLm2EEEEviT0_T1_.num_vgpr, 22
	.set _ZN2at6native29vectorized_elementwise_kernelILi4ENS0_13AUnaryFunctorIN3c107complexINS3_4HalfEEES6_bNS0_12_GLOBAL__N_116CompareEqFunctorIS6_EEEESt5arrayIPcLm2EEEEviT0_T1_.num_agpr, 0
	.set _ZN2at6native29vectorized_elementwise_kernelILi4ENS0_13AUnaryFunctorIN3c107complexINS3_4HalfEEES6_bNS0_12_GLOBAL__N_116CompareEqFunctorIS6_EEEESt5arrayIPcLm2EEEEviT0_T1_.numbered_sgpr, 27
	.set _ZN2at6native29vectorized_elementwise_kernelILi4ENS0_13AUnaryFunctorIN3c107complexINS3_4HalfEEES6_bNS0_12_GLOBAL__N_116CompareEqFunctorIS6_EEEESt5arrayIPcLm2EEEEviT0_T1_.num_named_barrier, 0
	.set _ZN2at6native29vectorized_elementwise_kernelILi4ENS0_13AUnaryFunctorIN3c107complexINS3_4HalfEEES6_bNS0_12_GLOBAL__N_116CompareEqFunctorIS6_EEEESt5arrayIPcLm2EEEEviT0_T1_.private_seg_size, 0
	.set _ZN2at6native29vectorized_elementwise_kernelILi4ENS0_13AUnaryFunctorIN3c107complexINS3_4HalfEEES6_bNS0_12_GLOBAL__N_116CompareEqFunctorIS6_EEEESt5arrayIPcLm2EEEEviT0_T1_.uses_vcc, 1
	.set _ZN2at6native29vectorized_elementwise_kernelILi4ENS0_13AUnaryFunctorIN3c107complexINS3_4HalfEEES6_bNS0_12_GLOBAL__N_116CompareEqFunctorIS6_EEEESt5arrayIPcLm2EEEEviT0_T1_.uses_flat_scratch, 0
	.set _ZN2at6native29vectorized_elementwise_kernelILi4ENS0_13AUnaryFunctorIN3c107complexINS3_4HalfEEES6_bNS0_12_GLOBAL__N_116CompareEqFunctorIS6_EEEESt5arrayIPcLm2EEEEviT0_T1_.has_dyn_sized_stack, 0
	.set _ZN2at6native29vectorized_elementwise_kernelILi4ENS0_13AUnaryFunctorIN3c107complexINS3_4HalfEEES6_bNS0_12_GLOBAL__N_116CompareEqFunctorIS6_EEEESt5arrayIPcLm2EEEEviT0_T1_.has_recursion, 0
	.set _ZN2at6native29vectorized_elementwise_kernelILi4ENS0_13AUnaryFunctorIN3c107complexINS3_4HalfEEES6_bNS0_12_GLOBAL__N_116CompareEqFunctorIS6_EEEESt5arrayIPcLm2EEEEviT0_T1_.has_indirect_call, 0
	.section	.AMDGPU.csdata,"",@progbits
; Kernel info:
; codeLenInByte = 6052
; TotalNumSgprs: 29
; NumVgprs: 22
; ScratchSize: 0
; MemoryBound: 0
; FloatMode: 240
; IeeeMode: 1
; LDSByteSize: 0 bytes/workgroup (compile time only)
; SGPRBlocks: 0
; VGPRBlocks: 1
; NumSGPRsForWavesPerEU: 29
; NumVGPRsForWavesPerEU: 22
; NamedBarCnt: 0
; Occupancy: 16
; WaveLimiterHint : 1
; COMPUTE_PGM_RSRC2:SCRATCH_EN: 0
; COMPUTE_PGM_RSRC2:USER_SGPR: 2
; COMPUTE_PGM_RSRC2:TRAP_HANDLER: 0
; COMPUTE_PGM_RSRC2:TGID_X_EN: 1
; COMPUTE_PGM_RSRC2:TGID_Y_EN: 0
; COMPUTE_PGM_RSRC2:TGID_Z_EN: 0
; COMPUTE_PGM_RSRC2:TIDIG_COMP_CNT: 0
	.section	.text._ZN2at6native29vectorized_elementwise_kernelILi2ENS0_13AUnaryFunctorIN3c107complexINS3_4HalfEEES6_bNS0_12_GLOBAL__N_116CompareEqFunctorIS6_EEEESt5arrayIPcLm2EEEEviT0_T1_,"axG",@progbits,_ZN2at6native29vectorized_elementwise_kernelILi2ENS0_13AUnaryFunctorIN3c107complexINS3_4HalfEEES6_bNS0_12_GLOBAL__N_116CompareEqFunctorIS6_EEEESt5arrayIPcLm2EEEEviT0_T1_,comdat
	.globl	_ZN2at6native29vectorized_elementwise_kernelILi2ENS0_13AUnaryFunctorIN3c107complexINS3_4HalfEEES6_bNS0_12_GLOBAL__N_116CompareEqFunctorIS6_EEEESt5arrayIPcLm2EEEEviT0_T1_ ; -- Begin function _ZN2at6native29vectorized_elementwise_kernelILi2ENS0_13AUnaryFunctorIN3c107complexINS3_4HalfEEES6_bNS0_12_GLOBAL__N_116CompareEqFunctorIS6_EEEESt5arrayIPcLm2EEEEviT0_T1_
	.p2align	8
	.type	_ZN2at6native29vectorized_elementwise_kernelILi2ENS0_13AUnaryFunctorIN3c107complexINS3_4HalfEEES6_bNS0_12_GLOBAL__N_116CompareEqFunctorIS6_EEEESt5arrayIPcLm2EEEEviT0_T1_,@function
_ZN2at6native29vectorized_elementwise_kernelILi2ENS0_13AUnaryFunctorIN3c107complexINS3_4HalfEEES6_bNS0_12_GLOBAL__N_116CompareEqFunctorIS6_EEEESt5arrayIPcLm2EEEEviT0_T1_: ; @_ZN2at6native29vectorized_elementwise_kernelILi2ENS0_13AUnaryFunctorIN3c107complexINS3_4HalfEEES6_bNS0_12_GLOBAL__N_116CompareEqFunctorIS6_EEEESt5arrayIPcLm2EEEEviT0_T1_
; %bb.0:
	s_clause 0x1
	s_load_b96 s[8:10], s[0:1], 0x0
	s_load_b128 s[4:7], s[0:1], 0x10
	s_wait_xcnt 0x0
	s_bfe_u32 s0, ttmp6, 0x4000c
	s_and_b32 s1, ttmp6, 15
	s_add_co_i32 s0, s0, 1
	s_getreg_b32 s2, hwreg(HW_REG_IB_STS2, 6, 4)
	s_mul_i32 s0, ttmp9, s0
	s_delay_alu instid0(SALU_CYCLE_1) | instskip(SKIP_2) | instid1(SALU_CYCLE_1)
	s_add_co_i32 s1, s1, s0
	s_cmp_eq_u32 s2, 0
	s_cselect_b32 s0, ttmp9, s1
	s_lshl_b32 s2, s0, 12
	s_mov_b32 s0, -1
	s_wait_kmcnt 0x0
	s_sub_co_i32 s8, s8, s2
	s_delay_alu instid0(SALU_CYCLE_1)
	s_cmp_gt_i32 s8, 0xfff
	s_cbranch_scc0 .LBB155_50
; %bb.1:
	s_ashr_i32 s3, s2, 31
	s_lshr_b32 s11, s10, 16
	s_lshl_b64 s[0:1], s[2:3], 2
	s_cmp_lg_u32 s9, 0
	s_add_nc_u64 s[0:1], s[6:7], s[0:1]
	s_cselect_b32 s12, -1, 0
	s_clause 0x7
	global_load_b64 v[16:17], v0, s[0:1] scale_offset
	global_load_b64 v[14:15], v0, s[0:1] offset:2048 scale_offset
	global_load_b64 v[12:13], v0, s[0:1] offset:4096 scale_offset
	;; [unrolled: 1-line block ×7, first 2 shown]
	s_and_b32 vcc_lo, exec_lo, s12
	s_wait_loadcnt 0x7
	v_lshrrev_b32_e32 v1, 16, v16
	s_cbranch_vccz .LBB155_196
; %bb.2:
	v_cmp_neq_f16_e32 vcc_lo, s10, v16
	s_wait_xcnt 0x0
	s_delay_alu instid0(VALU_DEP_2)
	v_cmp_neq_f16_e64 s0, s11, v1
	s_or_b32 s1, vcc_lo, s0
	s_cbranch_execnz .LBB155_4
.LBB155_3:
	v_cmp_eq_f16_e32 vcc_lo, s10, v16
	v_cmp_eq_f16_e64 s0, s11, v1
	s_and_not1_b32 s1, s1, exec_lo
	s_and_b32 s0, vcc_lo, s0
	s_delay_alu instid0(SALU_CYCLE_1) | instskip(NEXT) | instid1(SALU_CYCLE_1)
	s_and_b32 s0, s0, exec_lo
	s_or_b32 s1, s1, s0
.LBB155_4:
	v_cndmask_b32_e64 v1, 0, 1, s12
	v_lshrrev_b32_e32 v16, 16, v17
	s_and_not1_b32 vcc_lo, exec_lo, s12
	s_cbranch_vccnz .LBB155_197
; %bb.5:
	v_cmp_neq_f16_e32 vcc_lo, s10, v17
	s_delay_alu instid0(VALU_DEP_2)
	v_cmp_neq_f16_e64 s0, s11, v16
	s_or_b32 s12, vcc_lo, s0
	s_cbranch_execnz .LBB155_7
.LBB155_6:
	v_cmp_eq_f16_e32 vcc_lo, s10, v17
	v_cmp_eq_f16_e64 s0, s11, v16
	s_and_not1_b32 s12, s12, exec_lo
	s_and_b32 s0, vcc_lo, s0
	s_delay_alu instid0(SALU_CYCLE_1) | instskip(NEXT) | instid1(SALU_CYCLE_1)
	s_and_b32 s0, s0, exec_lo
	s_or_b32 s12, s12, s0
.LBB155_7:
	v_cmp_ne_u32_e32 vcc_lo, 1, v1
	s_wait_loadcnt 0x6
	v_lshrrev_b32_e32 v16, 16, v14
	s_cbranch_vccnz .LBB155_198
; %bb.8:
	v_cmp_neq_f16_e32 vcc_lo, s10, v14
	s_delay_alu instid0(VALU_DEP_2)
	v_cmp_neq_f16_e64 s0, s11, v16
	s_or_b32 s13, vcc_lo, s0
	s_cbranch_execnz .LBB155_10
.LBB155_9:
	v_cmp_eq_f16_e32 vcc_lo, s10, v14
	s_delay_alu instid0(VALU_DEP_2) | instskip(SKIP_2) | instid1(SALU_CYCLE_1)
	v_cmp_eq_f16_e64 s0, s11, v16
	s_and_not1_b32 s13, s13, exec_lo
	s_and_b32 s0, vcc_lo, s0
	s_and_b32 s0, s0, exec_lo
	s_delay_alu instid0(SALU_CYCLE_1)
	s_or_b32 s13, s13, s0
.LBB155_10:
	v_cmp_ne_u32_e32 vcc_lo, 1, v1
	v_lshrrev_b32_e32 v14, 16, v15
	s_cbranch_vccnz .LBB155_199
; %bb.11:
	v_cmp_neq_f16_e32 vcc_lo, s10, v15
	s_delay_alu instid0(VALU_DEP_2)
	v_cmp_neq_f16_e64 s0, s11, v14
	s_or_b32 s14, vcc_lo, s0
	s_cbranch_execnz .LBB155_13
.LBB155_12:
	v_cmp_eq_f16_e32 vcc_lo, s10, v15
	s_delay_alu instid0(VALU_DEP_2) | instskip(SKIP_2) | instid1(SALU_CYCLE_1)
	v_cmp_eq_f16_e64 s0, s11, v14
	s_and_not1_b32 s14, s14, exec_lo
	s_and_b32 s0, vcc_lo, s0
	s_and_b32 s0, s0, exec_lo
	s_delay_alu instid0(SALU_CYCLE_1)
	s_or_b32 s14, s14, s0
.LBB155_13:
	v_cmp_ne_u32_e32 vcc_lo, 1, v1
	s_wait_loadcnt 0x5
	v_lshrrev_b32_e32 v14, 16, v12
	s_cbranch_vccnz .LBB155_200
; %bb.14:
	v_cmp_neq_f16_e32 vcc_lo, s10, v12
	s_delay_alu instid0(VALU_DEP_2)
	v_cmp_neq_f16_e64 s0, s11, v14
	s_or_b32 s15, vcc_lo, s0
	s_cbranch_execnz .LBB155_16
.LBB155_15:
	v_cmp_eq_f16_e32 vcc_lo, s10, v12
	s_delay_alu instid0(VALU_DEP_2) | instskip(SKIP_2) | instid1(SALU_CYCLE_1)
	v_cmp_eq_f16_e64 s0, s11, v14
	s_and_not1_b32 s15, s15, exec_lo
	s_and_b32 s0, vcc_lo, s0
	s_and_b32 s0, s0, exec_lo
	s_delay_alu instid0(SALU_CYCLE_1)
	s_or_b32 s15, s15, s0
.LBB155_16:
	v_cmp_ne_u32_e32 vcc_lo, 1, v1
	v_lshrrev_b32_e32 v12, 16, v13
	s_cbranch_vccnz .LBB155_201
; %bb.17:
	v_cmp_neq_f16_e32 vcc_lo, s10, v13
	s_delay_alu instid0(VALU_DEP_2)
	v_cmp_neq_f16_e64 s0, s11, v12
	s_or_b32 s16, vcc_lo, s0
	s_cbranch_execnz .LBB155_19
.LBB155_18:
	v_cmp_eq_f16_e32 vcc_lo, s10, v13
	s_delay_alu instid0(VALU_DEP_2) | instskip(SKIP_2) | instid1(SALU_CYCLE_1)
	v_cmp_eq_f16_e64 s0, s11, v12
	s_and_not1_b32 s16, s16, exec_lo
	s_and_b32 s0, vcc_lo, s0
	s_and_b32 s0, s0, exec_lo
	s_delay_alu instid0(SALU_CYCLE_1)
	s_or_b32 s16, s16, s0
.LBB155_19:
	v_cmp_ne_u32_e32 vcc_lo, 1, v1
	s_wait_loadcnt 0x4
	v_lshrrev_b32_e32 v12, 16, v10
	s_cbranch_vccnz .LBB155_202
; %bb.20:
	v_cmp_neq_f16_e32 vcc_lo, s10, v10
	s_delay_alu instid0(VALU_DEP_2)
	v_cmp_neq_f16_e64 s0, s11, v12
	s_or_b32 s17, vcc_lo, s0
	s_cbranch_execnz .LBB155_22
.LBB155_21:
	v_cmp_eq_f16_e32 vcc_lo, s10, v10
	s_delay_alu instid0(VALU_DEP_2) | instskip(SKIP_2) | instid1(SALU_CYCLE_1)
	v_cmp_eq_f16_e64 s0, s11, v12
	s_and_not1_b32 s17, s17, exec_lo
	s_and_b32 s0, vcc_lo, s0
	s_and_b32 s0, s0, exec_lo
	s_delay_alu instid0(SALU_CYCLE_1)
	s_or_b32 s17, s17, s0
.LBB155_22:
	v_cmp_ne_u32_e32 vcc_lo, 1, v1
	v_lshrrev_b32_e32 v10, 16, v11
	s_cbranch_vccnz .LBB155_203
; %bb.23:
	v_cmp_neq_f16_e32 vcc_lo, s10, v11
	s_delay_alu instid0(VALU_DEP_2)
	v_cmp_neq_f16_e64 s0, s11, v10
	s_or_b32 s18, vcc_lo, s0
	s_cbranch_execnz .LBB155_25
.LBB155_24:
	v_cmp_eq_f16_e32 vcc_lo, s10, v11
	s_delay_alu instid0(VALU_DEP_2) | instskip(SKIP_2) | instid1(SALU_CYCLE_1)
	v_cmp_eq_f16_e64 s0, s11, v10
	s_and_not1_b32 s18, s18, exec_lo
	s_and_b32 s0, vcc_lo, s0
	s_and_b32 s0, s0, exec_lo
	s_delay_alu instid0(SALU_CYCLE_1)
	s_or_b32 s18, s18, s0
.LBB155_25:
	v_cmp_ne_u32_e32 vcc_lo, 1, v1
	s_wait_loadcnt 0x3
	v_lshrrev_b32_e32 v10, 16, v8
	s_cbranch_vccnz .LBB155_204
; %bb.26:
	v_cmp_neq_f16_e32 vcc_lo, s10, v8
	s_delay_alu instid0(VALU_DEP_2)
	v_cmp_neq_f16_e64 s0, s11, v10
	s_or_b32 s19, vcc_lo, s0
	s_cbranch_execnz .LBB155_28
.LBB155_27:
	v_cmp_eq_f16_e32 vcc_lo, s10, v8
	s_delay_alu instid0(VALU_DEP_2) | instskip(SKIP_2) | instid1(SALU_CYCLE_1)
	v_cmp_eq_f16_e64 s0, s11, v10
	s_and_not1_b32 s19, s19, exec_lo
	s_and_b32 s0, vcc_lo, s0
	s_and_b32 s0, s0, exec_lo
	s_delay_alu instid0(SALU_CYCLE_1)
	s_or_b32 s19, s19, s0
.LBB155_28:
	v_cmp_ne_u32_e32 vcc_lo, 1, v1
	v_lshrrev_b32_e32 v8, 16, v9
	s_cbranch_vccnz .LBB155_205
; %bb.29:
	v_cmp_neq_f16_e32 vcc_lo, s10, v9
	s_delay_alu instid0(VALU_DEP_2)
	v_cmp_neq_f16_e64 s0, s11, v8
	s_or_b32 s20, vcc_lo, s0
	s_cbranch_execnz .LBB155_31
.LBB155_30:
	v_cmp_eq_f16_e32 vcc_lo, s10, v9
	s_delay_alu instid0(VALU_DEP_2) | instskip(SKIP_2) | instid1(SALU_CYCLE_1)
	v_cmp_eq_f16_e64 s0, s11, v8
	s_and_not1_b32 s20, s20, exec_lo
	s_and_b32 s0, vcc_lo, s0
	s_and_b32 s0, s0, exec_lo
	s_delay_alu instid0(SALU_CYCLE_1)
	s_or_b32 s20, s20, s0
.LBB155_31:
	v_cmp_ne_u32_e32 vcc_lo, 1, v1
	s_wait_loadcnt 0x2
	v_lshrrev_b32_e32 v8, 16, v6
	s_cbranch_vccnz .LBB155_206
; %bb.32:
	v_cmp_neq_f16_e32 vcc_lo, s10, v6
	s_delay_alu instid0(VALU_DEP_2)
	v_cmp_neq_f16_e64 s0, s11, v8
	s_or_b32 s21, vcc_lo, s0
	s_cbranch_execnz .LBB155_34
.LBB155_33:
	v_cmp_eq_f16_e32 vcc_lo, s10, v6
	s_delay_alu instid0(VALU_DEP_2) | instskip(SKIP_2) | instid1(SALU_CYCLE_1)
	v_cmp_eq_f16_e64 s0, s11, v8
	s_and_not1_b32 s21, s21, exec_lo
	s_and_b32 s0, vcc_lo, s0
	s_and_b32 s0, s0, exec_lo
	s_delay_alu instid0(SALU_CYCLE_1)
	s_or_b32 s21, s21, s0
.LBB155_34:
	v_cmp_ne_u32_e32 vcc_lo, 1, v1
	v_lshrrev_b32_e32 v6, 16, v7
	s_cbranch_vccnz .LBB155_207
; %bb.35:
	v_cmp_neq_f16_e32 vcc_lo, s10, v7
	s_delay_alu instid0(VALU_DEP_2)
	v_cmp_neq_f16_e64 s0, s11, v6
	s_or_b32 s22, vcc_lo, s0
	s_cbranch_execnz .LBB155_37
.LBB155_36:
	v_cmp_eq_f16_e32 vcc_lo, s10, v7
	s_delay_alu instid0(VALU_DEP_2) | instskip(SKIP_2) | instid1(SALU_CYCLE_1)
	v_cmp_eq_f16_e64 s0, s11, v6
	s_and_not1_b32 s22, s22, exec_lo
	s_and_b32 s0, vcc_lo, s0
	s_and_b32 s0, s0, exec_lo
	s_delay_alu instid0(SALU_CYCLE_1)
	s_or_b32 s22, s22, s0
.LBB155_37:
	v_cmp_ne_u32_e32 vcc_lo, 1, v1
	s_wait_loadcnt 0x1
	v_lshrrev_b32_e32 v6, 16, v4
	s_cbranch_vccnz .LBB155_208
; %bb.38:
	v_cmp_neq_f16_e32 vcc_lo, s10, v4
	s_delay_alu instid0(VALU_DEP_2)
	v_cmp_neq_f16_e64 s0, s11, v6
	s_or_b32 s23, vcc_lo, s0
	s_cbranch_execnz .LBB155_40
.LBB155_39:
	v_cmp_eq_f16_e32 vcc_lo, s10, v4
	s_delay_alu instid0(VALU_DEP_2) | instskip(SKIP_2) | instid1(SALU_CYCLE_1)
	v_cmp_eq_f16_e64 s0, s11, v6
	s_and_not1_b32 s23, s23, exec_lo
	s_and_b32 s0, vcc_lo, s0
	s_and_b32 s0, s0, exec_lo
	s_delay_alu instid0(SALU_CYCLE_1)
	s_or_b32 s23, s23, s0
.LBB155_40:
	v_cmp_ne_u32_e32 vcc_lo, 1, v1
	v_lshrrev_b32_e32 v4, 16, v5
	s_cbranch_vccnz .LBB155_209
; %bb.41:
	v_cmp_neq_f16_e32 vcc_lo, s10, v5
	s_delay_alu instid0(VALU_DEP_2)
	v_cmp_neq_f16_e64 s0, s11, v4
	s_or_b32 s24, vcc_lo, s0
	s_cbranch_execnz .LBB155_43
.LBB155_42:
	v_cmp_eq_f16_e32 vcc_lo, s10, v5
	s_delay_alu instid0(VALU_DEP_2) | instskip(SKIP_2) | instid1(SALU_CYCLE_1)
	v_cmp_eq_f16_e64 s0, s11, v4
	s_and_not1_b32 s24, s24, exec_lo
	s_and_b32 s0, vcc_lo, s0
	s_and_b32 s0, s0, exec_lo
	s_delay_alu instid0(SALU_CYCLE_1)
	s_or_b32 s24, s24, s0
.LBB155_43:
	v_cmp_ne_u32_e32 vcc_lo, 1, v1
	s_wait_loadcnt 0x0
	v_lshrrev_b32_e32 v4, 16, v2
	s_cbranch_vccnz .LBB155_210
; %bb.44:
	v_cmp_neq_f16_e32 vcc_lo, s10, v2
	s_delay_alu instid0(VALU_DEP_2)
	v_cmp_neq_f16_e64 s0, s11, v4
	s_or_b32 s25, vcc_lo, s0
	s_cbranch_execnz .LBB155_46
.LBB155_45:
	v_cmp_eq_f16_e32 vcc_lo, s10, v2
	s_delay_alu instid0(VALU_DEP_2) | instskip(SKIP_2) | instid1(SALU_CYCLE_1)
	v_cmp_eq_f16_e64 s0, s11, v4
	s_and_not1_b32 s25, s25, exec_lo
	s_and_b32 s0, vcc_lo, s0
	s_and_b32 s0, s0, exec_lo
	s_delay_alu instid0(SALU_CYCLE_1)
	s_or_b32 s25, s25, s0
.LBB155_46:
	v_cmp_ne_u32_e32 vcc_lo, 1, v1
	v_lshrrev_b32_e32 v1, 16, v3
	s_cbranch_vccnz .LBB155_211
; %bb.47:
	v_cmp_neq_f16_e32 vcc_lo, s10, v3
	s_delay_alu instid0(VALU_DEP_2)
	v_cmp_neq_f16_e64 s0, s11, v1
	s_or_b32 s26, vcc_lo, s0
	s_cbranch_execnz .LBB155_49
.LBB155_48:
	v_cmp_eq_f16_e32 vcc_lo, s10, v3
	s_delay_alu instid0(VALU_DEP_2) | instskip(SKIP_2) | instid1(SALU_CYCLE_1)
	v_cmp_eq_f16_e64 s0, s11, v1
	s_and_not1_b32 s11, s26, exec_lo
	s_and_b32 s0, vcc_lo, s0
	s_and_b32 s0, s0, exec_lo
	s_delay_alu instid0(SALU_CYCLE_1)
	s_or_b32 s26, s11, s0
.LBB155_49:
	v_cndmask_b32_e64 v1, 0, 1, s23
	v_cndmask_b32_e64 v2, 0, 0x100, s24
	;; [unrolled: 1-line block ×6, first 2 shown]
	v_or_b32_e32 v1, v2, v1
	v_cndmask_b32_e64 v9, 0, 1, s1
	v_or_b32_e32 v2, v4, v3
	v_cndmask_b32_e64 v4, 0, 1, s17
	;; [unrolled: 2-line block ×3, first 2 shown]
	v_cndmask_b32_e64 v10, 0, 0x100, s12
	v_cndmask_b32_e64 v8, 0, 1, s13
	;; [unrolled: 1-line block ×6, first 2 shown]
	v_or_b32_e32 v4, v5, v4
	v_cndmask_b32_e64 v5, 0, 0x100, s26
	v_or_b32_e32 v9, v10, v9
	v_or_b32_e32 v8, v11, v8
	;; [unrolled: 1-line block ×3, first 2 shown]
	s_mov_b32 s0, 0
	s_add_nc_u64 s[12:13], s[4:5], s[2:3]
	v_or_b32_e32 v5, v5, v7
	s_clause 0x7
	global_store_b16 v0, v9, s[12:13] scale_offset
	global_store_b16 v0, v8, s[12:13] offset:512 scale_offset
	global_store_b16 v0, v6, s[12:13] offset:1024 scale_offset
	;; [unrolled: 1-line block ×7, first 2 shown]
.LBB155_50:
	s_and_b32 vcc_lo, exec_lo, s0
	s_cbranch_vccz .LBB155_195
; %bb.51:
	v_cmp_gt_i32_e64 s0, s8, v0
	s_wait_xcnt 0x1
	v_dual_mov_b32 v7, 0 :: v_dual_bitop2_b32 v1, s2, v0 bitop3:0x54
	v_or_b32_e32 v6, 0x100, v0
	v_dual_mov_b32 v8, 0 :: v_dual_mov_b32 v9, 0
	v_dual_mov_b32 v10, 0 :: v_dual_mov_b32 v11, 0
	v_dual_mov_b32 v12, 0 :: v_dual_mov_b32 v13, 0
	v_dual_mov_b32 v14, 0 :: v_dual_mov_b32 v15, 0
	v_dual_mov_b32 v16, 0 :: v_dual_mov_b32 v17, 0
	v_dual_mov_b32 v18, 0 :: v_dual_mov_b32 v21, 0
	v_dual_mov_b32 v3, 0 :: v_dual_mov_b32 v19, 0
	v_mov_b32_e32 v20, 0
	s_wait_xcnt 0x0
	s_and_saveexec_b32 s1, s0
	s_cbranch_execz .LBB155_83
; %bb.52:
	global_load_b32 v20, v1, s[6:7] scale_offset
	v_or_b32_e32 v2, 0x100, v0
	v_dual_mov_b32 v19, 0 :: v_dual_mov_b32 v3, 0
	v_dual_mov_b32 v21, 0 :: v_dual_mov_b32 v18, 0
	;; [unrolled: 1-line block ×7, first 2 shown]
	v_mov_b32_e32 v7, 0
	s_mov_b32 s3, exec_lo
	s_wait_xcnt 0x0
	v_cmpx_gt_u32_e64 s8, v2
	s_cbranch_execz .LBB155_82
; %bb.53:
	v_dual_mov_b32 v3, 0 :: v_dual_add_nc_u32 v2, s2, v0
	v_or_b32_e32 v4, 0x200, v0
	v_dual_mov_b32 v21, 0 :: v_dual_mov_b32 v18, 0
	global_load_b32 v19, v2, s[6:7] offset:1024 scale_offset
	v_dual_mov_b32 v17, 0 :: v_dual_mov_b32 v16, 0
	v_dual_mov_b32 v15, 0 :: v_dual_mov_b32 v14, 0
	;; [unrolled: 1-line block ×5, first 2 shown]
	v_mov_b32_e32 v7, 0
	s_mov_b32 s11, exec_lo
	s_wait_xcnt 0x0
	v_cmpx_gt_u32_e64 s8, v4
	s_cbranch_execz .LBB155_81
; %bb.54:
	v_lshl_add_u64 v[4:5], v[2:3], 2, s[6:7]
	v_or_b32_e32 v7, 0x300, v0
	v_dual_mov_b32 v18, 0 :: v_dual_mov_b32 v17, 0
	v_dual_mov_b32 v16, 0 :: v_dual_mov_b32 v15, 0
	global_load_b32 v2, v[4:5], off offset:2048
	v_cmp_gt_u32_e32 vcc_lo, s8, v7
	v_dual_mov_b32 v14, 0 :: v_dual_mov_b32 v13, 0
	v_dual_mov_b32 v12, 0 :: v_dual_mov_b32 v11, 0
	;; [unrolled: 1-line block ×4, first 2 shown]
	s_wait_xcnt 0x0
	s_and_saveexec_b32 s6, vcc_lo
	s_cbranch_execz .LBB155_80
; %bb.55:
	global_load_b32 v3, v[4:5], off offset:3072
	v_or_b32_e32 v7, 0x400, v0
	v_dual_mov_b32 v18, 0 :: v_dual_mov_b32 v17, 0
	v_dual_mov_b32 v16, 0 :: v_dual_mov_b32 v15, 0
	s_delay_alu instid0(VALU_DEP_3)
	v_cmp_gt_u32_e32 vcc_lo, s8, v7
	v_dual_mov_b32 v14, 0 :: v_dual_mov_b32 v13, 0
	v_dual_mov_b32 v12, 0 :: v_dual_mov_b32 v11, 0
	;; [unrolled: 1-line block ×4, first 2 shown]
	s_wait_xcnt 0x0
	s_and_saveexec_b32 s7, vcc_lo
	s_cbranch_execz .LBB155_79
; %bb.56:
	global_load_b32 v18, v[4:5], off offset:4096
	v_or_b32_e32 v7, 0x500, v0
	v_dual_mov_b32 v17, 0 :: v_dual_mov_b32 v16, 0
	v_dual_mov_b32 v15, 0 :: v_dual_mov_b32 v14, 0
	s_delay_alu instid0(VALU_DEP_3)
	v_cmp_gt_u32_e32 vcc_lo, s8, v7
	v_dual_mov_b32 v13, 0 :: v_dual_mov_b32 v12, 0
	v_dual_mov_b32 v11, 0 :: v_dual_mov_b32 v10, 0
	;; [unrolled: 1-line block ×3, first 2 shown]
	v_mov_b32_e32 v7, 0
	s_wait_xcnt 0x0
	s_and_saveexec_b32 s12, vcc_lo
	s_cbranch_execz .LBB155_78
; %bb.57:
	global_load_b32 v17, v[4:5], off offset:5120
	v_or_b32_e32 v7, 0x600, v0
	v_dual_mov_b32 v16, 0 :: v_dual_mov_b32 v15, 0
	v_dual_mov_b32 v14, 0 :: v_dual_mov_b32 v13, 0
	s_delay_alu instid0(VALU_DEP_3)
	v_cmp_gt_u32_e32 vcc_lo, s8, v7
	v_dual_mov_b32 v12, 0 :: v_dual_mov_b32 v11, 0
	v_dual_mov_b32 v10, 0 :: v_dual_mov_b32 v9, 0
	;; [unrolled: 1-line block ×3, first 2 shown]
	s_wait_xcnt 0x0
	s_and_saveexec_b32 s13, vcc_lo
	s_cbranch_execz .LBB155_77
; %bb.58:
	global_load_b32 v16, v[4:5], off offset:6144
	v_or_b32_e32 v7, 0x700, v0
	v_dual_mov_b32 v15, 0 :: v_dual_mov_b32 v14, 0
	v_dual_mov_b32 v13, 0 :: v_dual_mov_b32 v12, 0
	s_delay_alu instid0(VALU_DEP_3)
	v_cmp_gt_u32_e32 vcc_lo, s8, v7
	v_dual_mov_b32 v11, 0 :: v_dual_mov_b32 v10, 0
	v_dual_mov_b32 v9, 0 :: v_dual_mov_b32 v8, 0
	v_mov_b32_e32 v7, 0
	s_wait_xcnt 0x0
	s_and_saveexec_b32 s14, vcc_lo
	s_cbranch_execz .LBB155_76
; %bb.59:
	global_load_b32 v15, v[4:5], off offset:7168
	v_or_b32_e32 v7, 0x800, v0
	v_dual_mov_b32 v14, 0 :: v_dual_mov_b32 v13, 0
	v_dual_mov_b32 v12, 0 :: v_dual_mov_b32 v11, 0
	s_delay_alu instid0(VALU_DEP_3)
	v_cmp_gt_u32_e32 vcc_lo, s8, v7
	v_dual_mov_b32 v10, 0 :: v_dual_mov_b32 v9, 0
	v_dual_mov_b32 v8, 0 :: v_dual_mov_b32 v7, 0
	s_wait_xcnt 0x0
	s_and_saveexec_b32 s15, vcc_lo
	s_cbranch_execz .LBB155_75
; %bb.60:
	global_load_b32 v14, v[4:5], off offset:8192
	v_or_b32_e32 v7, 0x900, v0
	v_dual_mov_b32 v13, 0 :: v_dual_mov_b32 v12, 0
	v_dual_mov_b32 v11, 0 :: v_dual_mov_b32 v10, 0
	s_delay_alu instid0(VALU_DEP_3)
	v_cmp_gt_u32_e32 vcc_lo, s8, v7
	v_dual_mov_b32 v9, 0 :: v_dual_mov_b32 v8, 0
	v_mov_b32_e32 v7, 0
	s_wait_xcnt 0x0
	s_and_saveexec_b32 s16, vcc_lo
	s_cbranch_execz .LBB155_74
; %bb.61:
	global_load_b32 v13, v[4:5], off offset:9216
	v_or_b32_e32 v7, 0xa00, v0
	v_dual_mov_b32 v12, 0 :: v_dual_mov_b32 v11, 0
	v_dual_mov_b32 v10, 0 :: v_dual_mov_b32 v9, 0
	s_delay_alu instid0(VALU_DEP_3)
	v_cmp_gt_u32_e32 vcc_lo, s8, v7
	v_dual_mov_b32 v8, 0 :: v_dual_mov_b32 v7, 0
	s_wait_xcnt 0x0
	s_and_saveexec_b32 s17, vcc_lo
	s_cbranch_execz .LBB155_73
; %bb.62:
	global_load_b32 v12, v[4:5], off offset:10240
	v_or_b32_e32 v7, 0xb00, v0
	v_dual_mov_b32 v11, 0 :: v_dual_mov_b32 v10, 0
	v_dual_mov_b32 v9, 0 :: v_dual_mov_b32 v8, 0
	s_delay_alu instid0(VALU_DEP_3)
	v_cmp_gt_u32_e32 vcc_lo, s8, v7
	v_mov_b32_e32 v7, 0
	s_wait_xcnt 0x0
	s_and_saveexec_b32 s18, vcc_lo
	s_cbranch_execz .LBB155_72
; %bb.63:
	global_load_b32 v11, v[4:5], off offset:11264
	v_or_b32_e32 v7, 0xc00, v0
	v_dual_mov_b32 v10, 0 :: v_dual_mov_b32 v9, 0
	v_mov_b32_e32 v8, 0
	s_delay_alu instid0(VALU_DEP_3)
	v_cmp_gt_u32_e32 vcc_lo, s8, v7
	v_mov_b32_e32 v7, 0
	s_wait_xcnt 0x0
	s_and_saveexec_b32 s19, vcc_lo
	s_cbranch_execz .LBB155_71
; %bb.64:
	global_load_b32 v10, v[4:5], off offset:12288
	v_or_b32_e32 v7, 0xd00, v0
	v_dual_mov_b32 v9, 0 :: v_dual_mov_b32 v8, 0
	s_delay_alu instid0(VALU_DEP_2)
	v_cmp_gt_u32_e32 vcc_lo, s8, v7
	v_mov_b32_e32 v7, 0
	s_wait_xcnt 0x0
	s_and_saveexec_b32 s20, vcc_lo
	s_cbranch_execz .LBB155_70
; %bb.65:
	global_load_b32 v9, v[4:5], off offset:13312
	v_or_b32_e32 v7, 0xe00, v0
	v_mov_b32_e32 v8, 0
	s_delay_alu instid0(VALU_DEP_2)
	v_cmp_gt_u32_e32 vcc_lo, s8, v7
	v_mov_b32_e32 v7, 0
	s_wait_xcnt 0x0
	s_and_saveexec_b32 s21, vcc_lo
	s_cbranch_execz .LBB155_69
; %bb.66:
	global_load_b32 v8, v[4:5], off offset:14336
	v_or_b32_e32 v7, 0xf00, v0
	s_delay_alu instid0(VALU_DEP_1)
	v_cmp_gt_u32_e32 vcc_lo, s8, v7
	v_mov_b32_e32 v7, 0
	s_wait_xcnt 0x0
	s_and_saveexec_b32 s22, vcc_lo
	s_cbranch_execz .LBB155_68
; %bb.67:
	global_load_b32 v7, v[4:5], off offset:15360
.LBB155_68:
	s_wait_xcnt 0x0
	s_or_b32 exec_lo, exec_lo, s22
.LBB155_69:
	s_delay_alu instid0(SALU_CYCLE_1)
	s_or_b32 exec_lo, exec_lo, s21
.LBB155_70:
	s_delay_alu instid0(SALU_CYCLE_1)
	s_or_b32 exec_lo, exec_lo, s20
.LBB155_71:
	s_delay_alu instid0(SALU_CYCLE_1)
	s_or_b32 exec_lo, exec_lo, s19
.LBB155_72:
	s_delay_alu instid0(SALU_CYCLE_1)
	s_or_b32 exec_lo, exec_lo, s18
.LBB155_73:
	s_delay_alu instid0(SALU_CYCLE_1)
	s_or_b32 exec_lo, exec_lo, s17
.LBB155_74:
	s_delay_alu instid0(SALU_CYCLE_1)
	s_or_b32 exec_lo, exec_lo, s16
.LBB155_75:
	s_delay_alu instid0(SALU_CYCLE_1)
	s_or_b32 exec_lo, exec_lo, s15
.LBB155_76:
	s_delay_alu instid0(SALU_CYCLE_1)
	s_or_b32 exec_lo, exec_lo, s14
.LBB155_77:
	s_delay_alu instid0(SALU_CYCLE_1)
	s_or_b32 exec_lo, exec_lo, s13
.LBB155_78:
	s_delay_alu instid0(SALU_CYCLE_1)
	s_or_b32 exec_lo, exec_lo, s12
.LBB155_79:
	s_delay_alu instid0(SALU_CYCLE_1)
	s_or_b32 exec_lo, exec_lo, s7
.LBB155_80:
	s_delay_alu instid0(SALU_CYCLE_1)
	s_or_b32 exec_lo, exec_lo, s6
	s_wait_loadcnt 0x0
	v_dual_mov_b32 v21, v3 :: v_dual_mov_b32 v3, v2
.LBB155_81:
	s_or_b32 exec_lo, exec_lo, s11
.LBB155_82:
	s_delay_alu instid0(SALU_CYCLE_1)
	s_or_b32 exec_lo, exec_lo, s3
.LBB155_83:
	s_delay_alu instid0(SALU_CYCLE_1)
	s_or_b32 exec_lo, exec_lo, s1
	s_lshr_b32 s3, s10, 16
	s_cmp_lg_u32 s9, 0
                                        ; implicit-def: $vgpr2
	s_cselect_b32 s6, -1, 0
	s_and_saveexec_b32 s7, s0
	s_cbranch_execz .LBB155_88
; %bb.84:
	s_wait_loadcnt 0x0
	v_lshrrev_b32_e32 v2, 16, v20
	s_and_b32 vcc_lo, exec_lo, s6
	s_cbranch_vccz .LBB155_212
; %bb.85:
	v_cmp_neq_f16_e32 vcc_lo, s10, v20
	s_delay_alu instid0(VALU_DEP_2)
	v_cmp_neq_f16_e64 s1, s3, v2
	s_or_b32 s9, vcc_lo, s1
	s_cbranch_execnz .LBB155_87
.LBB155_86:
	v_cmp_eq_f16_e32 vcc_lo, s10, v20
	v_cmp_eq_f16_e64 s1, s3, v2
	s_and_not1_b32 s9, s9, exec_lo
	s_and_b32 s1, vcc_lo, s1
	s_delay_alu instid0(SALU_CYCLE_1) | instskip(NEXT) | instid1(SALU_CYCLE_1)
	s_and_b32 s1, s1, exec_lo
	s_or_b32 s9, s9, s1
.LBB155_87:
	s_delay_alu instid0(SALU_CYCLE_1)
	v_cndmask_b32_e64 v2, 0, 1, s9
.LBB155_88:
	s_or_b32 exec_lo, exec_lo, s7
	v_cndmask_b32_e64 v5, 0, 1, s6
	s_mov_b32 s7, exec_lo
                                        ; implicit-def: $vgpr4
	v_cmpx_gt_i32_e64 s8, v6
	s_cbranch_execz .LBB155_93
; %bb.89:
	s_wait_loadcnt 0x0
	v_lshrrev_b32_e32 v4, 16, v19
	s_and_not1_b32 vcc_lo, exec_lo, s6
	s_cbranch_vccnz .LBB155_213
; %bb.90:
	v_cmp_neq_f16_e32 vcc_lo, s10, v19
	s_delay_alu instid0(VALU_DEP_2)
	v_cmp_neq_f16_e64 s1, s3, v4
	s_or_b32 s6, vcc_lo, s1
	s_cbranch_execnz .LBB155_92
.LBB155_91:
	v_cmp_eq_f16_e32 vcc_lo, s10, v19
	v_cmp_eq_f16_e64 s1, s3, v4
	s_and_not1_b32 s6, s6, exec_lo
	s_and_b32 s1, vcc_lo, s1
	s_delay_alu instid0(SALU_CYCLE_1) | instskip(NEXT) | instid1(SALU_CYCLE_1)
	s_and_b32 s1, s1, exec_lo
	s_or_b32 s6, s6, s1
.LBB155_92:
	s_delay_alu instid0(SALU_CYCLE_1)
	v_cndmask_b32_e64 v4, 0, 1, s6
.LBB155_93:
	s_or_b32 exec_lo, exec_lo, s7
	s_wait_loadcnt 0x0
	v_or_b32_e32 v19, 0x200, v0
	s_delay_alu instid0(VALU_DEP_1)
	v_cmp_gt_i32_e32 vcc_lo, s8, v19
                                        ; implicit-def: $vgpr19
	s_and_saveexec_b32 s6, vcc_lo
	s_cbranch_execz .LBB155_98
; %bb.94:
	v_cmp_ne_u32_e32 vcc_lo, 1, v5
	v_lshrrev_b32_e32 v19, 16, v3
	s_cbranch_vccnz .LBB155_214
; %bb.95:
	v_cmp_neq_f16_e32 vcc_lo, s10, v3
	s_delay_alu instid0(VALU_DEP_2)
	v_cmp_neq_f16_e64 s1, s3, v19
	s_or_b32 s7, vcc_lo, s1
	s_cbranch_execnz .LBB155_97
.LBB155_96:
	v_cmp_eq_f16_e32 vcc_lo, s10, v3
	s_delay_alu instid0(VALU_DEP_2) | instskip(SKIP_2) | instid1(SALU_CYCLE_1)
	v_cmp_eq_f16_e64 s1, s3, v19
	s_and_not1_b32 s7, s7, exec_lo
	s_and_b32 s1, vcc_lo, s1
	s_and_b32 s1, s1, exec_lo
	s_delay_alu instid0(SALU_CYCLE_1)
	s_or_b32 s7, s7, s1
.LBB155_97:
	s_delay_alu instid0(SALU_CYCLE_1)
	v_cndmask_b32_e64 v19, 0, 1, s7
.LBB155_98:
	s_or_b32 exec_lo, exec_lo, s6
	v_or_b32_e32 v3, 0x300, v0
	s_delay_alu instid0(VALU_DEP_1)
	v_cmp_gt_i32_e32 vcc_lo, s8, v3
                                        ; implicit-def: $vgpr3
	s_and_saveexec_b32 s6, vcc_lo
	s_cbranch_execz .LBB155_103
; %bb.99:
	v_cmp_ne_u32_e32 vcc_lo, 1, v5
	v_lshrrev_b32_e32 v3, 16, v21
	s_cbranch_vccnz .LBB155_215
; %bb.100:
	v_cmp_neq_f16_e32 vcc_lo, s10, v21
	s_delay_alu instid0(VALU_DEP_2)
	v_cmp_neq_f16_e64 s1, s3, v3
	s_or_b32 s7, vcc_lo, s1
	s_cbranch_execnz .LBB155_102
.LBB155_101:
	v_cmp_eq_f16_e32 vcc_lo, s10, v21
	s_delay_alu instid0(VALU_DEP_2) | instskip(SKIP_2) | instid1(SALU_CYCLE_1)
	v_cmp_eq_f16_e64 s1, s3, v3
	s_and_not1_b32 s7, s7, exec_lo
	s_and_b32 s1, vcc_lo, s1
	s_and_b32 s1, s1, exec_lo
	s_delay_alu instid0(SALU_CYCLE_1)
	s_or_b32 s7, s7, s1
.LBB155_102:
	s_delay_alu instid0(SALU_CYCLE_1)
	v_cndmask_b32_e64 v3, 0, 1, s7
.LBB155_103:
	s_or_b32 exec_lo, exec_lo, s6
	v_or_b32_e32 v20, 0x400, v0
	s_delay_alu instid0(VALU_DEP_1)
	v_cmp_gt_i32_e32 vcc_lo, s8, v20
                                        ; implicit-def: $vgpr20
	s_and_saveexec_b32 s6, vcc_lo
	s_cbranch_execz .LBB155_108
; %bb.104:
	v_cmp_ne_u32_e32 vcc_lo, 1, v5
	v_lshrrev_b32_e32 v20, 16, v18
	s_cbranch_vccnz .LBB155_216
; %bb.105:
	v_cmp_neq_f16_e32 vcc_lo, s10, v18
	s_delay_alu instid0(VALU_DEP_2)
	v_cmp_neq_f16_e64 s1, s3, v20
	s_or_b32 s7, vcc_lo, s1
	s_cbranch_execnz .LBB155_107
.LBB155_106:
	v_cmp_eq_f16_e32 vcc_lo, s10, v18
	s_delay_alu instid0(VALU_DEP_2) | instskip(SKIP_2) | instid1(SALU_CYCLE_1)
	v_cmp_eq_f16_e64 s1, s3, v20
	s_and_not1_b32 s7, s7, exec_lo
	s_and_b32 s1, vcc_lo, s1
	s_and_b32 s1, s1, exec_lo
	s_delay_alu instid0(SALU_CYCLE_1)
	s_or_b32 s7, s7, s1
.LBB155_107:
	s_delay_alu instid0(SALU_CYCLE_1)
	v_cndmask_b32_e64 v20, 0, 1, s7
.LBB155_108:
	s_or_b32 exec_lo, exec_lo, s6
	v_or_b32_e32 v18, 0x500, v0
	s_delay_alu instid0(VALU_DEP_1)
	v_cmp_gt_i32_e32 vcc_lo, s8, v18
                                        ; implicit-def: $vgpr18
	s_and_saveexec_b32 s6, vcc_lo
	s_cbranch_execz .LBB155_113
; %bb.109:
	v_cmp_ne_u32_e32 vcc_lo, 1, v5
	v_lshrrev_b32_e32 v18, 16, v17
	s_cbranch_vccnz .LBB155_217
; %bb.110:
	v_cmp_neq_f16_e32 vcc_lo, s10, v17
	s_delay_alu instid0(VALU_DEP_2)
	v_cmp_neq_f16_e64 s1, s3, v18
	s_or_b32 s7, vcc_lo, s1
	s_cbranch_execnz .LBB155_112
.LBB155_111:
	v_cmp_eq_f16_e32 vcc_lo, s10, v17
	s_delay_alu instid0(VALU_DEP_2) | instskip(SKIP_2) | instid1(SALU_CYCLE_1)
	v_cmp_eq_f16_e64 s1, s3, v18
	s_and_not1_b32 s7, s7, exec_lo
	s_and_b32 s1, vcc_lo, s1
	s_and_b32 s1, s1, exec_lo
	s_delay_alu instid0(SALU_CYCLE_1)
	s_or_b32 s7, s7, s1
.LBB155_112:
	s_delay_alu instid0(SALU_CYCLE_1)
	v_cndmask_b32_e64 v18, 0, 1, s7
.LBB155_113:
	s_or_b32 exec_lo, exec_lo, s6
	v_or_b32_e32 v17, 0x600, v0
	s_delay_alu instid0(VALU_DEP_1)
	v_cmp_gt_i32_e32 vcc_lo, s8, v17
                                        ; implicit-def: $vgpr17
	s_and_saveexec_b32 s6, vcc_lo
	s_cbranch_execz .LBB155_118
; %bb.114:
	v_cmp_ne_u32_e32 vcc_lo, 1, v5
	v_lshrrev_b32_e32 v17, 16, v16
	s_cbranch_vccnz .LBB155_218
; %bb.115:
	v_cmp_neq_f16_e32 vcc_lo, s10, v16
	s_delay_alu instid0(VALU_DEP_2)
	v_cmp_neq_f16_e64 s1, s3, v17
	s_or_b32 s7, vcc_lo, s1
	s_cbranch_execnz .LBB155_117
.LBB155_116:
	v_cmp_eq_f16_e32 vcc_lo, s10, v16
	s_delay_alu instid0(VALU_DEP_2) | instskip(SKIP_2) | instid1(SALU_CYCLE_1)
	v_cmp_eq_f16_e64 s1, s3, v17
	s_and_not1_b32 s7, s7, exec_lo
	s_and_b32 s1, vcc_lo, s1
	s_and_b32 s1, s1, exec_lo
	s_delay_alu instid0(SALU_CYCLE_1)
	s_or_b32 s7, s7, s1
.LBB155_117:
	s_delay_alu instid0(SALU_CYCLE_1)
	v_cndmask_b32_e64 v17, 0, 1, s7
.LBB155_118:
	s_or_b32 exec_lo, exec_lo, s6
	v_or_b32_e32 v16, 0x700, v0
	s_delay_alu instid0(VALU_DEP_1)
	v_cmp_gt_i32_e32 vcc_lo, s8, v16
                                        ; implicit-def: $vgpr16
	s_and_saveexec_b32 s6, vcc_lo
	s_cbranch_execz .LBB155_123
; %bb.119:
	v_cmp_ne_u32_e32 vcc_lo, 1, v5
	v_lshrrev_b32_e32 v16, 16, v15
	s_cbranch_vccnz .LBB155_219
; %bb.120:
	v_cmp_neq_f16_e32 vcc_lo, s10, v15
	s_delay_alu instid0(VALU_DEP_2)
	v_cmp_neq_f16_e64 s1, s3, v16
	s_or_b32 s7, vcc_lo, s1
	s_cbranch_execnz .LBB155_122
.LBB155_121:
	v_cmp_eq_f16_e32 vcc_lo, s10, v15
	s_delay_alu instid0(VALU_DEP_2) | instskip(SKIP_2) | instid1(SALU_CYCLE_1)
	v_cmp_eq_f16_e64 s1, s3, v16
	s_and_not1_b32 s7, s7, exec_lo
	s_and_b32 s1, vcc_lo, s1
	s_and_b32 s1, s1, exec_lo
	s_delay_alu instid0(SALU_CYCLE_1)
	s_or_b32 s7, s7, s1
.LBB155_122:
	s_delay_alu instid0(SALU_CYCLE_1)
	v_cndmask_b32_e64 v16, 0, 1, s7
.LBB155_123:
	s_or_b32 exec_lo, exec_lo, s6
	v_or_b32_e32 v15, 0x800, v0
	s_delay_alu instid0(VALU_DEP_1)
	v_cmp_gt_i32_e32 vcc_lo, s8, v15
                                        ; implicit-def: $vgpr15
	s_and_saveexec_b32 s6, vcc_lo
	s_cbranch_execz .LBB155_128
; %bb.124:
	v_cmp_ne_u32_e32 vcc_lo, 1, v5
	v_lshrrev_b32_e32 v15, 16, v14
	s_cbranch_vccnz .LBB155_220
; %bb.125:
	v_cmp_neq_f16_e32 vcc_lo, s10, v14
	s_delay_alu instid0(VALU_DEP_2)
	v_cmp_neq_f16_e64 s1, s3, v15
	s_or_b32 s7, vcc_lo, s1
	s_cbranch_execnz .LBB155_127
.LBB155_126:
	v_cmp_eq_f16_e32 vcc_lo, s10, v14
	s_delay_alu instid0(VALU_DEP_2) | instskip(SKIP_2) | instid1(SALU_CYCLE_1)
	v_cmp_eq_f16_e64 s1, s3, v15
	s_and_not1_b32 s7, s7, exec_lo
	s_and_b32 s1, vcc_lo, s1
	s_and_b32 s1, s1, exec_lo
	s_delay_alu instid0(SALU_CYCLE_1)
	s_or_b32 s7, s7, s1
.LBB155_127:
	s_delay_alu instid0(SALU_CYCLE_1)
	v_cndmask_b32_e64 v15, 0, 1, s7
.LBB155_128:
	s_or_b32 exec_lo, exec_lo, s6
	v_or_b32_e32 v14, 0x900, v0
	s_delay_alu instid0(VALU_DEP_1)
	v_cmp_gt_i32_e32 vcc_lo, s8, v14
                                        ; implicit-def: $vgpr14
	s_and_saveexec_b32 s6, vcc_lo
	s_cbranch_execz .LBB155_133
; %bb.129:
	v_cmp_ne_u32_e32 vcc_lo, 1, v5
	v_lshrrev_b32_e32 v14, 16, v13
	s_cbranch_vccnz .LBB155_221
; %bb.130:
	v_cmp_neq_f16_e32 vcc_lo, s10, v13
	s_delay_alu instid0(VALU_DEP_2)
	v_cmp_neq_f16_e64 s1, s3, v14
	s_or_b32 s7, vcc_lo, s1
	s_cbranch_execnz .LBB155_132
.LBB155_131:
	v_cmp_eq_f16_e32 vcc_lo, s10, v13
	s_delay_alu instid0(VALU_DEP_2) | instskip(SKIP_2) | instid1(SALU_CYCLE_1)
	v_cmp_eq_f16_e64 s1, s3, v14
	s_and_not1_b32 s7, s7, exec_lo
	s_and_b32 s1, vcc_lo, s1
	s_and_b32 s1, s1, exec_lo
	s_delay_alu instid0(SALU_CYCLE_1)
	s_or_b32 s7, s7, s1
.LBB155_132:
	s_delay_alu instid0(SALU_CYCLE_1)
	v_cndmask_b32_e64 v14, 0, 1, s7
.LBB155_133:
	s_or_b32 exec_lo, exec_lo, s6
	v_or_b32_e32 v13, 0xa00, v0
	s_delay_alu instid0(VALU_DEP_1)
	v_cmp_gt_i32_e32 vcc_lo, s8, v13
                                        ; implicit-def: $vgpr13
	s_and_saveexec_b32 s6, vcc_lo
	s_cbranch_execz .LBB155_138
; %bb.134:
	v_cmp_ne_u32_e32 vcc_lo, 1, v5
	v_lshrrev_b32_e32 v13, 16, v12
	s_cbranch_vccnz .LBB155_222
; %bb.135:
	v_cmp_neq_f16_e32 vcc_lo, s10, v12
	s_delay_alu instid0(VALU_DEP_2)
	v_cmp_neq_f16_e64 s1, s3, v13
	s_or_b32 s7, vcc_lo, s1
	s_cbranch_execnz .LBB155_137
.LBB155_136:
	v_cmp_eq_f16_e32 vcc_lo, s10, v12
	s_delay_alu instid0(VALU_DEP_2) | instskip(SKIP_2) | instid1(SALU_CYCLE_1)
	v_cmp_eq_f16_e64 s1, s3, v13
	s_and_not1_b32 s7, s7, exec_lo
	s_and_b32 s1, vcc_lo, s1
	s_and_b32 s1, s1, exec_lo
	s_delay_alu instid0(SALU_CYCLE_1)
	s_or_b32 s7, s7, s1
.LBB155_137:
	s_delay_alu instid0(SALU_CYCLE_1)
	v_cndmask_b32_e64 v13, 0, 1, s7
.LBB155_138:
	s_or_b32 exec_lo, exec_lo, s6
	v_or_b32_e32 v12, 0xb00, v0
	s_delay_alu instid0(VALU_DEP_1)
	v_cmp_gt_i32_e32 vcc_lo, s8, v12
                                        ; implicit-def: $vgpr12
	s_and_saveexec_b32 s6, vcc_lo
	s_cbranch_execz .LBB155_143
; %bb.139:
	v_cmp_ne_u32_e32 vcc_lo, 1, v5
	v_lshrrev_b32_e32 v12, 16, v11
	s_cbranch_vccnz .LBB155_223
; %bb.140:
	v_cmp_neq_f16_e32 vcc_lo, s10, v11
	s_delay_alu instid0(VALU_DEP_2)
	v_cmp_neq_f16_e64 s1, s3, v12
	s_or_b32 s7, vcc_lo, s1
	s_cbranch_execnz .LBB155_142
.LBB155_141:
	v_cmp_eq_f16_e32 vcc_lo, s10, v11
	s_delay_alu instid0(VALU_DEP_2) | instskip(SKIP_2) | instid1(SALU_CYCLE_1)
	v_cmp_eq_f16_e64 s1, s3, v12
	s_and_not1_b32 s7, s7, exec_lo
	s_and_b32 s1, vcc_lo, s1
	s_and_b32 s1, s1, exec_lo
	s_delay_alu instid0(SALU_CYCLE_1)
	s_or_b32 s7, s7, s1
.LBB155_142:
	s_delay_alu instid0(SALU_CYCLE_1)
	v_cndmask_b32_e64 v12, 0, 1, s7
.LBB155_143:
	s_or_b32 exec_lo, exec_lo, s6
	v_or_b32_e32 v11, 0xc00, v0
	s_delay_alu instid0(VALU_DEP_1)
	v_cmp_gt_i32_e32 vcc_lo, s8, v11
                                        ; implicit-def: $vgpr11
	s_and_saveexec_b32 s6, vcc_lo
	s_cbranch_execz .LBB155_148
; %bb.144:
	v_cmp_ne_u32_e32 vcc_lo, 1, v5
	v_lshrrev_b32_e32 v11, 16, v10
	s_cbranch_vccnz .LBB155_224
; %bb.145:
	v_cmp_neq_f16_e32 vcc_lo, s10, v10
	s_delay_alu instid0(VALU_DEP_2)
	v_cmp_neq_f16_e64 s1, s3, v11
	s_or_b32 s7, vcc_lo, s1
	s_cbranch_execnz .LBB155_147
.LBB155_146:
	v_cmp_eq_f16_e32 vcc_lo, s10, v10
	s_delay_alu instid0(VALU_DEP_2) | instskip(SKIP_2) | instid1(SALU_CYCLE_1)
	v_cmp_eq_f16_e64 s1, s3, v11
	s_and_not1_b32 s7, s7, exec_lo
	s_and_b32 s1, vcc_lo, s1
	s_and_b32 s1, s1, exec_lo
	s_delay_alu instid0(SALU_CYCLE_1)
	s_or_b32 s7, s7, s1
.LBB155_147:
	s_delay_alu instid0(SALU_CYCLE_1)
	v_cndmask_b32_e64 v11, 0, 1, s7
.LBB155_148:
	s_or_b32 exec_lo, exec_lo, s6
	v_or_b32_e32 v10, 0xd00, v0
	s_delay_alu instid0(VALU_DEP_1)
	v_cmp_gt_i32_e32 vcc_lo, s8, v10
                                        ; implicit-def: $vgpr10
	s_and_saveexec_b32 s6, vcc_lo
	s_cbranch_execz .LBB155_153
; %bb.149:
	v_cmp_ne_u32_e32 vcc_lo, 1, v5
	v_lshrrev_b32_e32 v10, 16, v9
	s_cbranch_vccnz .LBB155_225
; %bb.150:
	v_cmp_neq_f16_e32 vcc_lo, s10, v9
	s_delay_alu instid0(VALU_DEP_2)
	v_cmp_neq_f16_e64 s1, s3, v10
	s_or_b32 s7, vcc_lo, s1
	s_cbranch_execnz .LBB155_152
.LBB155_151:
	v_cmp_eq_f16_e32 vcc_lo, s10, v9
	s_delay_alu instid0(VALU_DEP_2) | instskip(SKIP_2) | instid1(SALU_CYCLE_1)
	v_cmp_eq_f16_e64 s1, s3, v10
	s_and_not1_b32 s7, s7, exec_lo
	s_and_b32 s1, vcc_lo, s1
	s_and_b32 s1, s1, exec_lo
	s_delay_alu instid0(SALU_CYCLE_1)
	s_or_b32 s7, s7, s1
.LBB155_152:
	s_delay_alu instid0(SALU_CYCLE_1)
	v_cndmask_b32_e64 v10, 0, 1, s7
.LBB155_153:
	s_or_b32 exec_lo, exec_lo, s6
	v_or_b32_e32 v9, 0xe00, v0
	s_delay_alu instid0(VALU_DEP_1)
	v_cmp_gt_i32_e32 vcc_lo, s8, v9
                                        ; implicit-def: $vgpr9
	s_and_saveexec_b32 s6, vcc_lo
	s_cbranch_execz .LBB155_158
; %bb.154:
	v_cmp_ne_u32_e32 vcc_lo, 1, v5
	v_lshrrev_b32_e32 v9, 16, v8
	s_cbranch_vccnz .LBB155_226
; %bb.155:
	v_cmp_neq_f16_e32 vcc_lo, s10, v8
	s_delay_alu instid0(VALU_DEP_2)
	v_cmp_neq_f16_e64 s1, s3, v9
	s_or_b32 s7, vcc_lo, s1
	s_cbranch_execnz .LBB155_157
.LBB155_156:
	v_cmp_eq_f16_e32 vcc_lo, s10, v8
	s_delay_alu instid0(VALU_DEP_2) | instskip(SKIP_2) | instid1(SALU_CYCLE_1)
	v_cmp_eq_f16_e64 s1, s3, v9
	s_and_not1_b32 s7, s7, exec_lo
	s_and_b32 s1, vcc_lo, s1
	s_and_b32 s1, s1, exec_lo
	s_delay_alu instid0(SALU_CYCLE_1)
	s_or_b32 s7, s7, s1
.LBB155_157:
	s_delay_alu instid0(SALU_CYCLE_1)
	v_cndmask_b32_e64 v9, 0, 1, s7
.LBB155_158:
	s_or_b32 exec_lo, exec_lo, s6
	v_or_b32_e32 v8, 0xf00, v0
	s_delay_alu instid0(VALU_DEP_1)
	v_cmp_gt_i32_e32 vcc_lo, s8, v8
                                        ; implicit-def: $vgpr8
	s_and_saveexec_b32 s6, vcc_lo
	s_cbranch_execz .LBB155_163
; %bb.159:
	v_cmp_ne_u32_e32 vcc_lo, 1, v5
	v_lshrrev_b32_e32 v5, 16, v7
	s_cbranch_vccnz .LBB155_227
; %bb.160:
	v_cmp_neq_f16_e32 vcc_lo, s10, v7
	s_delay_alu instid0(VALU_DEP_2)
	v_cmp_neq_f16_e64 s1, s3, v5
	s_or_b32 s7, vcc_lo, s1
	s_cbranch_execnz .LBB155_162
.LBB155_161:
	v_cmp_eq_f16_e32 vcc_lo, s10, v7
	s_delay_alu instid0(VALU_DEP_2) | instskip(SKIP_2) | instid1(SALU_CYCLE_1)
	v_cmp_eq_f16_e64 s1, s3, v5
	s_and_not1_b32 s3, s7, exec_lo
	s_and_b32 s1, vcc_lo, s1
	s_and_b32 s1, s1, exec_lo
	s_delay_alu instid0(SALU_CYCLE_1)
	s_or_b32 s7, s3, s1
.LBB155_162:
	s_delay_alu instid0(SALU_CYCLE_1)
	v_cndmask_b32_e64 v8, 0, 1, s7
.LBB155_163:
	s_or_b32 exec_lo, exec_lo, s6
	s_and_saveexec_b32 s1, s0
	s_delay_alu instid0(SALU_CYCLE_1)
	s_xor_b32 s0, exec_lo, s1
	s_cbranch_execz .LBB155_165
; %bb.164:
	v_mov_b32_e32 v0, v6
	global_store_b8 v1, v2, s[4:5]
.LBB155_165:
	s_wait_xcnt 0x0
	s_or_b32 exec_lo, exec_lo, s0
	s_delay_alu instid0(SALU_CYCLE_1)
	s_mov_b32 s0, exec_lo
	v_cmpx_gt_i32_e64 s8, v0
	s_cbranch_execnz .LBB155_181
; %bb.166:
	s_or_b32 exec_lo, exec_lo, s0
	s_delay_alu instid0(SALU_CYCLE_1)
	s_mov_b32 s0, exec_lo
	v_cmpx_gt_i32_e64 s8, v0
	s_cbranch_execnz .LBB155_182
.LBB155_167:
	s_or_b32 exec_lo, exec_lo, s0
	s_delay_alu instid0(SALU_CYCLE_1)
	s_mov_b32 s0, exec_lo
	v_cmpx_gt_i32_e64 s8, v0
	s_cbranch_execnz .LBB155_183
.LBB155_168:
	s_or_b32 exec_lo, exec_lo, s0
	s_delay_alu instid0(SALU_CYCLE_1)
	s_mov_b32 s0, exec_lo
	v_cmpx_gt_i32_e64 s8, v0
	s_cbranch_execnz .LBB155_184
.LBB155_169:
	s_or_b32 exec_lo, exec_lo, s0
	s_delay_alu instid0(SALU_CYCLE_1)
	s_mov_b32 s0, exec_lo
	v_cmpx_gt_i32_e64 s8, v0
	s_cbranch_execnz .LBB155_185
.LBB155_170:
	s_or_b32 exec_lo, exec_lo, s0
	s_delay_alu instid0(SALU_CYCLE_1)
	s_mov_b32 s0, exec_lo
	v_cmpx_gt_i32_e64 s8, v0
	s_cbranch_execnz .LBB155_186
.LBB155_171:
	s_or_b32 exec_lo, exec_lo, s0
	s_delay_alu instid0(SALU_CYCLE_1)
	s_mov_b32 s0, exec_lo
	v_cmpx_gt_i32_e64 s8, v0
	s_cbranch_execnz .LBB155_187
.LBB155_172:
	s_or_b32 exec_lo, exec_lo, s0
	s_delay_alu instid0(SALU_CYCLE_1)
	s_mov_b32 s0, exec_lo
	v_cmpx_gt_i32_e64 s8, v0
	s_cbranch_execnz .LBB155_188
.LBB155_173:
	s_or_b32 exec_lo, exec_lo, s0
	s_delay_alu instid0(SALU_CYCLE_1)
	s_mov_b32 s0, exec_lo
	v_cmpx_gt_i32_e64 s8, v0
	s_cbranch_execnz .LBB155_189
.LBB155_174:
	s_or_b32 exec_lo, exec_lo, s0
	s_delay_alu instid0(SALU_CYCLE_1)
	s_mov_b32 s0, exec_lo
	v_cmpx_gt_i32_e64 s8, v0
	s_cbranch_execnz .LBB155_190
.LBB155_175:
	s_or_b32 exec_lo, exec_lo, s0
	s_delay_alu instid0(SALU_CYCLE_1)
	s_mov_b32 s0, exec_lo
	v_cmpx_gt_i32_e64 s8, v0
	s_cbranch_execnz .LBB155_191
.LBB155_176:
	s_or_b32 exec_lo, exec_lo, s0
	s_delay_alu instid0(SALU_CYCLE_1)
	s_mov_b32 s0, exec_lo
	v_cmpx_gt_i32_e64 s8, v0
	s_cbranch_execnz .LBB155_192
.LBB155_177:
	s_or_b32 exec_lo, exec_lo, s0
	s_delay_alu instid0(SALU_CYCLE_1)
	s_mov_b32 s0, exec_lo
	v_cmpx_gt_i32_e64 s8, v0
	s_cbranch_execnz .LBB155_193
.LBB155_178:
	s_or_b32 exec_lo, exec_lo, s0
	s_delay_alu instid0(SALU_CYCLE_1)
	s_mov_b32 s0, exec_lo
	v_cmpx_gt_i32_e64 s8, v0
	s_cbranch_execnz .LBB155_194
.LBB155_179:
	s_or_b32 exec_lo, exec_lo, s0
	s_delay_alu instid0(SALU_CYCLE_1)
	s_mov_b32 s0, exec_lo
	v_cmpx_gt_i32_e64 s8, v0
	s_cbranch_execz .LBB155_195
.LBB155_180:
	v_add_nc_u32_e32 v0, s2, v0
	global_store_b8 v0, v8, s[4:5]
	s_endpgm
.LBB155_181:
	v_add_nc_u32_e32 v1, s2, v0
	v_add_nc_u32_e32 v0, 0x100, v0
	global_store_b8 v1, v4, s[4:5]
	s_wait_xcnt 0x0
	s_or_b32 exec_lo, exec_lo, s0
	s_delay_alu instid0(SALU_CYCLE_1)
	s_mov_b32 s0, exec_lo
	v_cmpx_gt_i32_e64 s8, v0
	s_cbranch_execz .LBB155_167
.LBB155_182:
	v_add_nc_u32_e32 v1, s2, v0
	v_add_nc_u32_e32 v0, 0x100, v0
	global_store_b8 v1, v19, s[4:5]
	s_wait_xcnt 0x0
	s_or_b32 exec_lo, exec_lo, s0
	s_delay_alu instid0(SALU_CYCLE_1)
	s_mov_b32 s0, exec_lo
	v_cmpx_gt_i32_e64 s8, v0
	s_cbranch_execz .LBB155_168
.LBB155_183:
	v_add_nc_u32_e32 v1, s2, v0
	v_add_nc_u32_e32 v0, 0x100, v0
	global_store_b8 v1, v3, s[4:5]
	s_wait_xcnt 0x0
	s_or_b32 exec_lo, exec_lo, s0
	s_delay_alu instid0(SALU_CYCLE_1)
	s_mov_b32 s0, exec_lo
	v_cmpx_gt_i32_e64 s8, v0
	s_cbranch_execz .LBB155_169
.LBB155_184:
	v_add_nc_u32_e32 v1, s2, v0
	v_add_nc_u32_e32 v0, 0x100, v0
	global_store_b8 v1, v20, s[4:5]
	s_wait_xcnt 0x0
	s_or_b32 exec_lo, exec_lo, s0
	s_delay_alu instid0(SALU_CYCLE_1)
	s_mov_b32 s0, exec_lo
	v_cmpx_gt_i32_e64 s8, v0
	s_cbranch_execz .LBB155_170
.LBB155_185:
	v_add_nc_u32_e32 v1, s2, v0
	v_add_nc_u32_e32 v0, 0x100, v0
	global_store_b8 v1, v18, s[4:5]
	s_wait_xcnt 0x0
	s_or_b32 exec_lo, exec_lo, s0
	s_delay_alu instid0(SALU_CYCLE_1)
	s_mov_b32 s0, exec_lo
	v_cmpx_gt_i32_e64 s8, v0
	s_cbranch_execz .LBB155_171
.LBB155_186:
	v_add_nc_u32_e32 v1, s2, v0
	v_add_nc_u32_e32 v0, 0x100, v0
	global_store_b8 v1, v17, s[4:5]
	s_wait_xcnt 0x0
	s_or_b32 exec_lo, exec_lo, s0
	s_delay_alu instid0(SALU_CYCLE_1)
	s_mov_b32 s0, exec_lo
	v_cmpx_gt_i32_e64 s8, v0
	s_cbranch_execz .LBB155_172
.LBB155_187:
	v_add_nc_u32_e32 v1, s2, v0
	v_add_nc_u32_e32 v0, 0x100, v0
	global_store_b8 v1, v16, s[4:5]
	s_wait_xcnt 0x0
	s_or_b32 exec_lo, exec_lo, s0
	s_delay_alu instid0(SALU_CYCLE_1)
	s_mov_b32 s0, exec_lo
	v_cmpx_gt_i32_e64 s8, v0
	s_cbranch_execz .LBB155_173
.LBB155_188:
	v_add_nc_u32_e32 v1, s2, v0
	v_add_nc_u32_e32 v0, 0x100, v0
	global_store_b8 v1, v15, s[4:5]
	s_wait_xcnt 0x0
	s_or_b32 exec_lo, exec_lo, s0
	s_delay_alu instid0(SALU_CYCLE_1)
	s_mov_b32 s0, exec_lo
	v_cmpx_gt_i32_e64 s8, v0
	s_cbranch_execz .LBB155_174
.LBB155_189:
	v_add_nc_u32_e32 v1, s2, v0
	v_add_nc_u32_e32 v0, 0x100, v0
	global_store_b8 v1, v14, s[4:5]
	s_wait_xcnt 0x0
	s_or_b32 exec_lo, exec_lo, s0
	s_delay_alu instid0(SALU_CYCLE_1)
	s_mov_b32 s0, exec_lo
	v_cmpx_gt_i32_e64 s8, v0
	s_cbranch_execz .LBB155_175
.LBB155_190:
	v_add_nc_u32_e32 v1, s2, v0
	v_add_nc_u32_e32 v0, 0x100, v0
	global_store_b8 v1, v13, s[4:5]
	s_wait_xcnt 0x0
	s_or_b32 exec_lo, exec_lo, s0
	s_delay_alu instid0(SALU_CYCLE_1)
	s_mov_b32 s0, exec_lo
	v_cmpx_gt_i32_e64 s8, v0
	s_cbranch_execz .LBB155_176
.LBB155_191:
	v_add_nc_u32_e32 v1, s2, v0
	v_add_nc_u32_e32 v0, 0x100, v0
	global_store_b8 v1, v12, s[4:5]
	s_wait_xcnt 0x0
	s_or_b32 exec_lo, exec_lo, s0
	s_delay_alu instid0(SALU_CYCLE_1)
	s_mov_b32 s0, exec_lo
	v_cmpx_gt_i32_e64 s8, v0
	s_cbranch_execz .LBB155_177
.LBB155_192:
	v_add_nc_u32_e32 v1, s2, v0
	v_add_nc_u32_e32 v0, 0x100, v0
	global_store_b8 v1, v11, s[4:5]
	s_wait_xcnt 0x0
	s_or_b32 exec_lo, exec_lo, s0
	s_delay_alu instid0(SALU_CYCLE_1)
	s_mov_b32 s0, exec_lo
	v_cmpx_gt_i32_e64 s8, v0
	s_cbranch_execz .LBB155_178
.LBB155_193:
	v_add_nc_u32_e32 v1, s2, v0
	v_add_nc_u32_e32 v0, 0x100, v0
	global_store_b8 v1, v10, s[4:5]
	s_wait_xcnt 0x0
	s_or_b32 exec_lo, exec_lo, s0
	s_delay_alu instid0(SALU_CYCLE_1)
	s_mov_b32 s0, exec_lo
	v_cmpx_gt_i32_e64 s8, v0
	s_cbranch_execz .LBB155_179
.LBB155_194:
	v_add_nc_u32_e32 v1, s2, v0
	v_add_nc_u32_e32 v0, 0x100, v0
	global_store_b8 v1, v9, s[4:5]
	s_wait_xcnt 0x0
	s_or_b32 exec_lo, exec_lo, s0
	s_delay_alu instid0(SALU_CYCLE_1)
	s_mov_b32 s0, exec_lo
	v_cmpx_gt_i32_e64 s8, v0
	s_cbranch_execnz .LBB155_180
.LBB155_195:
	s_endpgm
.LBB155_196:
	s_wait_xcnt 0x0
                                        ; implicit-def: $sgpr1
	s_branch .LBB155_3
.LBB155_197:
                                        ; implicit-def: $sgpr12
	s_branch .LBB155_6
.LBB155_198:
                                        ; implicit-def: $sgpr13
	s_branch .LBB155_9
.LBB155_199:
                                        ; implicit-def: $sgpr14
	s_branch .LBB155_12
.LBB155_200:
                                        ; implicit-def: $sgpr15
	s_branch .LBB155_15
.LBB155_201:
                                        ; implicit-def: $sgpr16
	s_branch .LBB155_18
.LBB155_202:
                                        ; implicit-def: $sgpr17
	s_branch .LBB155_21
.LBB155_203:
                                        ; implicit-def: $sgpr18
	s_branch .LBB155_24
.LBB155_204:
                                        ; implicit-def: $sgpr19
	s_branch .LBB155_27
.LBB155_205:
                                        ; implicit-def: $sgpr20
	s_branch .LBB155_30
.LBB155_206:
                                        ; implicit-def: $sgpr21
	s_branch .LBB155_33
.LBB155_207:
                                        ; implicit-def: $sgpr22
	s_branch .LBB155_36
.LBB155_208:
                                        ; implicit-def: $sgpr23
	s_branch .LBB155_39
.LBB155_209:
                                        ; implicit-def: $sgpr24
	s_branch .LBB155_42
.LBB155_210:
                                        ; implicit-def: $sgpr25
	s_branch .LBB155_45
.LBB155_211:
                                        ; implicit-def: $sgpr26
	s_branch .LBB155_48
.LBB155_212:
                                        ; implicit-def: $sgpr9
	s_branch .LBB155_86
.LBB155_213:
                                        ; implicit-def: $sgpr6
	s_branch .LBB155_91
.LBB155_214:
                                        ; implicit-def: $sgpr7
	s_branch .LBB155_96
.LBB155_215:
                                        ; implicit-def: $sgpr7
	s_branch .LBB155_101
.LBB155_216:
                                        ; implicit-def: $sgpr7
	s_branch .LBB155_106
.LBB155_217:
                                        ; implicit-def: $sgpr7
	s_branch .LBB155_111
.LBB155_218:
                                        ; implicit-def: $sgpr7
	s_branch .LBB155_116
.LBB155_219:
                                        ; implicit-def: $sgpr7
	s_branch .LBB155_121
.LBB155_220:
                                        ; implicit-def: $sgpr7
	s_branch .LBB155_126
.LBB155_221:
                                        ; implicit-def: $sgpr7
	s_branch .LBB155_131
.LBB155_222:
                                        ; implicit-def: $sgpr7
	s_branch .LBB155_136
.LBB155_223:
                                        ; implicit-def: $sgpr7
	s_branch .LBB155_141
.LBB155_224:
                                        ; implicit-def: $sgpr7
	s_branch .LBB155_146
.LBB155_225:
                                        ; implicit-def: $sgpr7
	s_branch .LBB155_151
.LBB155_226:
                                        ; implicit-def: $sgpr7
	s_branch .LBB155_156
.LBB155_227:
                                        ; implicit-def: $sgpr7
	s_branch .LBB155_161
	.section	.rodata,"a",@progbits
	.p2align	6, 0x0
	.amdhsa_kernel _ZN2at6native29vectorized_elementwise_kernelILi2ENS0_13AUnaryFunctorIN3c107complexINS3_4HalfEEES6_bNS0_12_GLOBAL__N_116CompareEqFunctorIS6_EEEESt5arrayIPcLm2EEEEviT0_T1_
		.amdhsa_group_segment_fixed_size 0
		.amdhsa_private_segment_fixed_size 0
		.amdhsa_kernarg_size 32
		.amdhsa_user_sgpr_count 2
		.amdhsa_user_sgpr_dispatch_ptr 0
		.amdhsa_user_sgpr_queue_ptr 0
		.amdhsa_user_sgpr_kernarg_segment_ptr 1
		.amdhsa_user_sgpr_dispatch_id 0
		.amdhsa_user_sgpr_kernarg_preload_length 0
		.amdhsa_user_sgpr_kernarg_preload_offset 0
		.amdhsa_user_sgpr_private_segment_size 0
		.amdhsa_wavefront_size32 1
		.amdhsa_uses_dynamic_stack 0
		.amdhsa_enable_private_segment 0
		.amdhsa_system_sgpr_workgroup_id_x 1
		.amdhsa_system_sgpr_workgroup_id_y 0
		.amdhsa_system_sgpr_workgroup_id_z 0
		.amdhsa_system_sgpr_workgroup_info 0
		.amdhsa_system_vgpr_workitem_id 0
		.amdhsa_next_free_vgpr 22
		.amdhsa_next_free_sgpr 27
		.amdhsa_named_barrier_count 0
		.amdhsa_reserve_vcc 1
		.amdhsa_float_round_mode_32 0
		.amdhsa_float_round_mode_16_64 0
		.amdhsa_float_denorm_mode_32 3
		.amdhsa_float_denorm_mode_16_64 3
		.amdhsa_fp16_overflow 0
		.amdhsa_memory_ordered 1
		.amdhsa_forward_progress 1
		.amdhsa_inst_pref_size 48
		.amdhsa_round_robin_scheduling 0
		.amdhsa_exception_fp_ieee_invalid_op 0
		.amdhsa_exception_fp_denorm_src 0
		.amdhsa_exception_fp_ieee_div_zero 0
		.amdhsa_exception_fp_ieee_overflow 0
		.amdhsa_exception_fp_ieee_underflow 0
		.amdhsa_exception_fp_ieee_inexact 0
		.amdhsa_exception_int_div_zero 0
	.end_amdhsa_kernel
	.section	.text._ZN2at6native29vectorized_elementwise_kernelILi2ENS0_13AUnaryFunctorIN3c107complexINS3_4HalfEEES6_bNS0_12_GLOBAL__N_116CompareEqFunctorIS6_EEEESt5arrayIPcLm2EEEEviT0_T1_,"axG",@progbits,_ZN2at6native29vectorized_elementwise_kernelILi2ENS0_13AUnaryFunctorIN3c107complexINS3_4HalfEEES6_bNS0_12_GLOBAL__N_116CompareEqFunctorIS6_EEEESt5arrayIPcLm2EEEEviT0_T1_,comdat
.Lfunc_end155:
	.size	_ZN2at6native29vectorized_elementwise_kernelILi2ENS0_13AUnaryFunctorIN3c107complexINS3_4HalfEEES6_bNS0_12_GLOBAL__N_116CompareEqFunctorIS6_EEEESt5arrayIPcLm2EEEEviT0_T1_, .Lfunc_end155-_ZN2at6native29vectorized_elementwise_kernelILi2ENS0_13AUnaryFunctorIN3c107complexINS3_4HalfEEES6_bNS0_12_GLOBAL__N_116CompareEqFunctorIS6_EEEESt5arrayIPcLm2EEEEviT0_T1_
                                        ; -- End function
	.set _ZN2at6native29vectorized_elementwise_kernelILi2ENS0_13AUnaryFunctorIN3c107complexINS3_4HalfEEES6_bNS0_12_GLOBAL__N_116CompareEqFunctorIS6_EEEESt5arrayIPcLm2EEEEviT0_T1_.num_vgpr, 22
	.set _ZN2at6native29vectorized_elementwise_kernelILi2ENS0_13AUnaryFunctorIN3c107complexINS3_4HalfEEES6_bNS0_12_GLOBAL__N_116CompareEqFunctorIS6_EEEESt5arrayIPcLm2EEEEviT0_T1_.num_agpr, 0
	.set _ZN2at6native29vectorized_elementwise_kernelILi2ENS0_13AUnaryFunctorIN3c107complexINS3_4HalfEEES6_bNS0_12_GLOBAL__N_116CompareEqFunctorIS6_EEEESt5arrayIPcLm2EEEEviT0_T1_.numbered_sgpr, 27
	.set _ZN2at6native29vectorized_elementwise_kernelILi2ENS0_13AUnaryFunctorIN3c107complexINS3_4HalfEEES6_bNS0_12_GLOBAL__N_116CompareEqFunctorIS6_EEEESt5arrayIPcLm2EEEEviT0_T1_.num_named_barrier, 0
	.set _ZN2at6native29vectorized_elementwise_kernelILi2ENS0_13AUnaryFunctorIN3c107complexINS3_4HalfEEES6_bNS0_12_GLOBAL__N_116CompareEqFunctorIS6_EEEESt5arrayIPcLm2EEEEviT0_T1_.private_seg_size, 0
	.set _ZN2at6native29vectorized_elementwise_kernelILi2ENS0_13AUnaryFunctorIN3c107complexINS3_4HalfEEES6_bNS0_12_GLOBAL__N_116CompareEqFunctorIS6_EEEESt5arrayIPcLm2EEEEviT0_T1_.uses_vcc, 1
	.set _ZN2at6native29vectorized_elementwise_kernelILi2ENS0_13AUnaryFunctorIN3c107complexINS3_4HalfEEES6_bNS0_12_GLOBAL__N_116CompareEqFunctorIS6_EEEESt5arrayIPcLm2EEEEviT0_T1_.uses_flat_scratch, 0
	.set _ZN2at6native29vectorized_elementwise_kernelILi2ENS0_13AUnaryFunctorIN3c107complexINS3_4HalfEEES6_bNS0_12_GLOBAL__N_116CompareEqFunctorIS6_EEEESt5arrayIPcLm2EEEEviT0_T1_.has_dyn_sized_stack, 0
	.set _ZN2at6native29vectorized_elementwise_kernelILi2ENS0_13AUnaryFunctorIN3c107complexINS3_4HalfEEES6_bNS0_12_GLOBAL__N_116CompareEqFunctorIS6_EEEESt5arrayIPcLm2EEEEviT0_T1_.has_recursion, 0
	.set _ZN2at6native29vectorized_elementwise_kernelILi2ENS0_13AUnaryFunctorIN3c107complexINS3_4HalfEEES6_bNS0_12_GLOBAL__N_116CompareEqFunctorIS6_EEEESt5arrayIPcLm2EEEEviT0_T1_.has_indirect_call, 0
	.section	.AMDGPU.csdata,"",@progbits
; Kernel info:
; codeLenInByte = 6136
; TotalNumSgprs: 29
; NumVgprs: 22
; ScratchSize: 0
; MemoryBound: 0
; FloatMode: 240
; IeeeMode: 1
; LDSByteSize: 0 bytes/workgroup (compile time only)
; SGPRBlocks: 0
; VGPRBlocks: 1
; NumSGPRsForWavesPerEU: 29
; NumVGPRsForWavesPerEU: 22
; NamedBarCnt: 0
; Occupancy: 16
; WaveLimiterHint : 1
; COMPUTE_PGM_RSRC2:SCRATCH_EN: 0
; COMPUTE_PGM_RSRC2:USER_SGPR: 2
; COMPUTE_PGM_RSRC2:TRAP_HANDLER: 0
; COMPUTE_PGM_RSRC2:TGID_X_EN: 1
; COMPUTE_PGM_RSRC2:TGID_Y_EN: 0
; COMPUTE_PGM_RSRC2:TGID_Z_EN: 0
; COMPUTE_PGM_RSRC2:TIDIG_COMP_CNT: 0
	.section	.text._ZN2at6native27unrolled_elementwise_kernelINS0_13AUnaryFunctorIN3c107complexINS3_4HalfEEES6_bNS0_12_GLOBAL__N_116CompareEqFunctorIS6_EEEESt5arrayIPcLm2EELi4E23TrivialOffsetCalculatorILi1EjESF_NS0_6memory15LoadWithoutCastENSG_16StoreWithoutCastEEEviT_T0_T2_T3_T4_T5_,"axG",@progbits,_ZN2at6native27unrolled_elementwise_kernelINS0_13AUnaryFunctorIN3c107complexINS3_4HalfEEES6_bNS0_12_GLOBAL__N_116CompareEqFunctorIS6_EEEESt5arrayIPcLm2EELi4E23TrivialOffsetCalculatorILi1EjESF_NS0_6memory15LoadWithoutCastENSG_16StoreWithoutCastEEEviT_T0_T2_T3_T4_T5_,comdat
	.globl	_ZN2at6native27unrolled_elementwise_kernelINS0_13AUnaryFunctorIN3c107complexINS3_4HalfEEES6_bNS0_12_GLOBAL__N_116CompareEqFunctorIS6_EEEESt5arrayIPcLm2EELi4E23TrivialOffsetCalculatorILi1EjESF_NS0_6memory15LoadWithoutCastENSG_16StoreWithoutCastEEEviT_T0_T2_T3_T4_T5_ ; -- Begin function _ZN2at6native27unrolled_elementwise_kernelINS0_13AUnaryFunctorIN3c107complexINS3_4HalfEEES6_bNS0_12_GLOBAL__N_116CompareEqFunctorIS6_EEEESt5arrayIPcLm2EELi4E23TrivialOffsetCalculatorILi1EjESF_NS0_6memory15LoadWithoutCastENSG_16StoreWithoutCastEEEviT_T0_T2_T3_T4_T5_
	.p2align	8
	.type	_ZN2at6native27unrolled_elementwise_kernelINS0_13AUnaryFunctorIN3c107complexINS3_4HalfEEES6_bNS0_12_GLOBAL__N_116CompareEqFunctorIS6_EEEESt5arrayIPcLm2EELi4E23TrivialOffsetCalculatorILi1EjESF_NS0_6memory15LoadWithoutCastENSG_16StoreWithoutCastEEEviT_T0_T2_T3_T4_T5_,@function
_ZN2at6native27unrolled_elementwise_kernelINS0_13AUnaryFunctorIN3c107complexINS3_4HalfEEES6_bNS0_12_GLOBAL__N_116CompareEqFunctorIS6_EEEESt5arrayIPcLm2EELi4E23TrivialOffsetCalculatorILi1EjESF_NS0_6memory15LoadWithoutCastENSG_16StoreWithoutCastEEEviT_T0_T2_T3_T4_T5_: ; @_ZN2at6native27unrolled_elementwise_kernelINS0_13AUnaryFunctorIN3c107complexINS3_4HalfEEES6_bNS0_12_GLOBAL__N_116CompareEqFunctorIS6_EEEESt5arrayIPcLm2EELi4E23TrivialOffsetCalculatorILi1EjESF_NS0_6memory15LoadWithoutCastENSG_16StoreWithoutCastEEEviT_T0_T2_T3_T4_T5_
; %bb.0:
	s_clause 0x1
	s_load_b96 s[8:10], s[0:1], 0x0
	s_load_b128 s[4:7], s[0:1], 0x10
	s_bfe_u32 s3, ttmp6, 0x4000c
	s_and_b32 s2, ttmp6, 15
	s_add_co_i32 s3, s3, 1
	s_getreg_b32 s11, hwreg(HW_REG_IB_STS2, 6, 4)
	s_wait_xcnt 0x0
	s_mul_i32 s0, ttmp9, s3
	v_dual_mov_b32 v1, 0 :: v_dual_mov_b32 v4, 0
	s_add_co_i32 s2, s2, s0
	s_cmp_eq_u32 s11, 0
	v_dual_mov_b32 v5, 0 :: v_dual_mov_b32 v6, 0
	s_cselect_b32 s0, ttmp9, s2
	v_or_b32_e32 v2, 0x100, v0
	s_lshl_b32 s2, s0, 10
	s_delay_alu instid0(SALU_CYCLE_1) | instskip(SKIP_2) | instid1(SALU_CYCLE_1)
	v_dual_mov_b32 v7, 0 :: v_dual_bitop2_b32 v3, s2, v0 bitop3:0x54
	s_wait_kmcnt 0x0
	s_sub_co_i32 s3, s8, s2
	v_cmp_gt_i32_e64 s0, s3, v0
	s_and_saveexec_b32 s1, s0
	s_cbranch_execz .LBB156_8
; %bb.1:
	global_load_b32 v7, v3, s[6:7] scale_offset
	v_or_b32_e32 v8, 0x100, v0
	v_dual_mov_b32 v6, 0 :: v_dual_mov_b32 v5, 0
	v_mov_b32_e32 v4, 0
	s_mov_b32 s8, exec_lo
	s_wait_xcnt 0x0
	v_cmpx_gt_u32_e64 s3, v8
	s_cbranch_execz .LBB156_7
; %bb.2:
	v_dual_mov_b32 v5, 0 :: v_dual_add_nc_u32 v4, s2, v8
	v_or_b32_e32 v8, 0x200, v0
	s_mov_b32 s11, exec_lo
	global_load_b32 v6, v4, s[6:7] scale_offset
	s_wait_xcnt 0x0
	v_mov_b32_e32 v4, 0
	v_cmpx_gt_u32_e64 s3, v8
	s_cbranch_execz .LBB156_6
; %bb.3:
	v_add_nc_u32_e32 v4, s2, v8
	v_or_b32_e32 v8, 0x300, v0
	s_mov_b32 s12, exec_lo
	global_load_b32 v5, v4, s[6:7] scale_offset
	s_wait_xcnt 0x0
	v_mov_b32_e32 v4, 0
	v_cmpx_gt_u32_e64 s3, v8
	s_cbranch_execz .LBB156_5
; %bb.4:
	v_add_nc_u32_e32 v4, s2, v8
	global_load_b32 v4, v4, s[6:7] scale_offset
.LBB156_5:
	s_wait_xcnt 0x0
	s_or_b32 exec_lo, exec_lo, s12
.LBB156_6:
	s_delay_alu instid0(SALU_CYCLE_1)
	s_or_b32 exec_lo, exec_lo, s11
.LBB156_7:
	s_delay_alu instid0(SALU_CYCLE_1)
	s_or_b32 exec_lo, exec_lo, s8
.LBB156_8:
	s_delay_alu instid0(SALU_CYCLE_1)
	s_or_b32 exec_lo, exec_lo, s1
	s_lshr_b32 s6, s10, 16
	s_cmp_lg_u32 s9, 0
	s_cselect_b32 s7, -1, 0
	s_and_saveexec_b32 s8, s0
	s_cbranch_execz .LBB156_13
; %bb.9:
	s_wait_loadcnt 0x0
	v_lshrrev_b32_e32 v1, 16, v7
	s_and_b32 vcc_lo, exec_lo, s7
	s_cbranch_vccz .LBB156_37
; %bb.10:
	v_cmp_neq_f16_e32 vcc_lo, s10, v7
	s_delay_alu instid0(VALU_DEP_2)
	v_cmp_neq_f16_e64 s1, s6, v1
	s_or_b32 s9, vcc_lo, s1
	s_cbranch_execnz .LBB156_12
.LBB156_11:
	v_cmp_eq_f16_e32 vcc_lo, s10, v7
	v_cmp_eq_f16_e64 s1, s6, v1
	s_and_not1_b32 s9, s9, exec_lo
	s_and_b32 s1, vcc_lo, s1
	s_delay_alu instid0(SALU_CYCLE_1) | instskip(NEXT) | instid1(SALU_CYCLE_1)
	s_and_b32 s1, s1, exec_lo
	s_or_b32 s9, s9, s1
.LBB156_12:
	s_delay_alu instid0(SALU_CYCLE_1)
	v_cndmask_b32_e64 v1, 0, 1, s9
.LBB156_13:
	s_or_b32 exec_lo, exec_lo, s8
	s_wait_loadcnt 0x0
	v_cndmask_b32_e64 v7, 0, 1, s7
	s_mov_b32 s8, exec_lo
	v_cmpx_gt_i32_e64 s3, v2
	s_cbranch_execz .LBB156_18
; %bb.14:
	v_lshrrev_b32_e32 v8, 16, v6
	s_and_not1_b32 vcc_lo, exec_lo, s7
	s_cbranch_vccnz .LBB156_38
; %bb.15:
	v_cmp_neq_f16_e32 vcc_lo, s10, v6
	s_delay_alu instid0(VALU_DEP_2)
	v_cmp_neq_f16_e64 s1, s6, v8
	s_or_b32 s7, vcc_lo, s1
	s_cbranch_execnz .LBB156_17
.LBB156_16:
	v_cmp_eq_f16_e32 vcc_lo, s10, v6
	v_cmp_eq_f16_e64 s1, s6, v8
	s_and_not1_b32 s7, s7, exec_lo
	s_and_b32 s1, vcc_lo, s1
	s_delay_alu instid0(SALU_CYCLE_1) | instskip(NEXT) | instid1(SALU_CYCLE_1)
	s_and_b32 s1, s1, exec_lo
	s_or_b32 s7, s7, s1
.LBB156_17:
	s_delay_alu instid0(SALU_CYCLE_1) | instskip(NEXT) | instid1(VALU_DEP_1)
	v_cndmask_b32_e64 v6, 0, 1, s7
	v_lshlrev_b16 v6, 8, v6
	s_delay_alu instid0(VALU_DEP_1) | instskip(NEXT) | instid1(VALU_DEP_1)
	v_or_b32_e32 v1, v1, v6
	v_and_b32_e32 v1, 0xffff, v1
.LBB156_18:
	s_or_b32 exec_lo, exec_lo, s8
	v_or_b32_e32 v6, 0x200, v0
	s_mov_b32 s7, exec_lo
	s_delay_alu instid0(VALU_DEP_1)
	v_cmpx_gt_i32_e64 s3, v6
	s_cbranch_execz .LBB156_23
; %bb.19:
	v_cmp_ne_u32_e32 vcc_lo, 1, v7
	v_lshrrev_b32_e32 v6, 16, v5
	s_cbranch_vccnz .LBB156_39
; %bb.20:
	v_cmp_neq_f16_e32 vcc_lo, s10, v5
	s_delay_alu instid0(VALU_DEP_2)
	v_cmp_neq_f16_e64 s1, s6, v6
	s_or_b32 s8, vcc_lo, s1
	s_cbranch_execnz .LBB156_22
.LBB156_21:
	v_cmp_eq_f16_e32 vcc_lo, s10, v5
	s_delay_alu instid0(VALU_DEP_2) | instskip(SKIP_2) | instid1(SALU_CYCLE_1)
	v_cmp_eq_f16_e64 s1, s6, v6
	s_and_not1_b32 s8, s8, exec_lo
	s_and_b32 s1, vcc_lo, s1
	s_and_b32 s1, s1, exec_lo
	s_delay_alu instid0(SALU_CYCLE_1)
	s_or_b32 s8, s8, s1
.LBB156_22:
	s_delay_alu instid0(SALU_CYCLE_1) | instskip(NEXT) | instid1(VALU_DEP_1)
	v_cndmask_b32_e64 v5, 0, 1, s8
	v_lshl_or_b32 v1, v5, 16, v1
.LBB156_23:
	s_or_b32 exec_lo, exec_lo, s7
	v_or_b32_e32 v5, 0x300, v0
	s_mov_b32 s7, exec_lo
	s_delay_alu instid0(VALU_DEP_1)
	v_cmpx_gt_i32_e64 s3, v5
	s_cbranch_execz .LBB156_28
; %bb.24:
	v_cmp_ne_u32_e32 vcc_lo, 1, v7
	v_lshrrev_b32_e32 v5, 16, v4
	s_cbranch_vccnz .LBB156_40
; %bb.25:
	v_cmp_neq_f16_e32 vcc_lo, s10, v4
	s_delay_alu instid0(VALU_DEP_2)
	v_cmp_neq_f16_e64 s1, s6, v5
	s_or_b32 s8, vcc_lo, s1
	s_cbranch_execnz .LBB156_27
.LBB156_26:
	v_cmp_eq_f16_e32 vcc_lo, s10, v4
	s_delay_alu instid0(VALU_DEP_2) | instskip(SKIP_2) | instid1(SALU_CYCLE_1)
	v_cmp_eq_f16_e64 s1, s6, v5
	s_and_not1_b32 s6, s8, exec_lo
	s_and_b32 s1, vcc_lo, s1
	s_and_b32 s1, s1, exec_lo
	s_delay_alu instid0(SALU_CYCLE_1)
	s_or_b32 s8, s6, s1
.LBB156_27:
	s_delay_alu instid0(SALU_CYCLE_1) | instskip(SKIP_1) | instid1(VALU_DEP_2)
	v_cndmask_b32_e64 v4, 0, 1, s8
	v_lshrrev_b32_e32 v5, 16, v1
	v_lshlrev_b16 v4, 8, v4
	s_delay_alu instid0(VALU_DEP_1) | instskip(NEXT) | instid1(VALU_DEP_1)
	v_or_b32_e32 v4, v5, v4
	v_lshlrev_b32_e32 v4, 16, v4
	s_delay_alu instid0(VALU_DEP_1)
	v_and_or_b32 v1, 0xffff, v1, v4
.LBB156_28:
	s_or_b32 exec_lo, exec_lo, s7
	s_and_saveexec_b32 s1, s0
	s_delay_alu instid0(SALU_CYCLE_1)
	s_xor_b32 s0, exec_lo, s1
	s_cbranch_execz .LBB156_30
; %bb.29:
	v_mov_b32_e32 v0, v2
	global_store_b8 v3, v1, s[4:5]
.LBB156_30:
	s_wait_xcnt 0x0
	s_or_b32 exec_lo, exec_lo, s0
	s_delay_alu instid0(SALU_CYCLE_1)
	s_mov_b32 s0, exec_lo
	v_cmpx_gt_i32_e64 s3, v0
	s_cbranch_execnz .LBB156_34
; %bb.31:
	s_or_b32 exec_lo, exec_lo, s0
	s_delay_alu instid0(SALU_CYCLE_1)
	s_mov_b32 s0, exec_lo
	v_cmpx_gt_i32_e64 s3, v0
	s_cbranch_execnz .LBB156_35
.LBB156_32:
	s_or_b32 exec_lo, exec_lo, s0
	s_delay_alu instid0(SALU_CYCLE_1)
	s_mov_b32 s0, exec_lo
	v_cmpx_gt_i32_e64 s3, v0
	s_cbranch_execnz .LBB156_36
.LBB156_33:
	s_endpgm
.LBB156_34:
	v_add_nc_u32_e32 v2, 0x100, v0
	v_dual_add_nc_u32 v3, s2, v0 :: v_dual_lshrrev_b32 v4, 8, v1
	s_delay_alu instid0(VALU_DEP_2) | instskip(SKIP_3) | instid1(SALU_CYCLE_1)
	v_mov_b32_e32 v0, v2
	global_store_b8 v3, v4, s[4:5]
	s_wait_xcnt 0x0
	s_or_b32 exec_lo, exec_lo, s0
	s_mov_b32 s0, exec_lo
	v_cmpx_gt_i32_e64 s3, v0
	s_cbranch_execz .LBB156_32
.LBB156_35:
	v_add_nc_u32_e32 v2, 0x100, v0
	s_delay_alu instid0(VALU_DEP_1) | instskip(SKIP_3) | instid1(SALU_CYCLE_1)
	v_dual_mov_b32 v0, v2 :: v_dual_add_nc_u32 v3, s2, v0
	global_store_d16_hi_b8 v3, v1, s[4:5]
	s_wait_xcnt 0x0
	s_or_b32 exec_lo, exec_lo, s0
	s_mov_b32 s0, exec_lo
	v_cmpx_gt_i32_e64 s3, v0
	s_cbranch_execz .LBB156_33
.LBB156_36:
	v_dual_add_nc_u32 v0, s2, v0 :: v_dual_lshrrev_b32 v1, 24, v1
	global_store_b8 v0, v1, s[4:5]
	s_endpgm
.LBB156_37:
                                        ; implicit-def: $sgpr9
	s_branch .LBB156_11
.LBB156_38:
                                        ; implicit-def: $sgpr7
	s_branch .LBB156_16
.LBB156_39:
                                        ; implicit-def: $sgpr8
	s_branch .LBB156_21
.LBB156_40:
                                        ; implicit-def: $sgpr8
	s_branch .LBB156_26
	.section	.rodata,"a",@progbits
	.p2align	6, 0x0
	.amdhsa_kernel _ZN2at6native27unrolled_elementwise_kernelINS0_13AUnaryFunctorIN3c107complexINS3_4HalfEEES6_bNS0_12_GLOBAL__N_116CompareEqFunctorIS6_EEEESt5arrayIPcLm2EELi4E23TrivialOffsetCalculatorILi1EjESF_NS0_6memory15LoadWithoutCastENSG_16StoreWithoutCastEEEviT_T0_T2_T3_T4_T5_
		.amdhsa_group_segment_fixed_size 0
		.amdhsa_private_segment_fixed_size 0
		.amdhsa_kernarg_size 36
		.amdhsa_user_sgpr_count 2
		.amdhsa_user_sgpr_dispatch_ptr 0
		.amdhsa_user_sgpr_queue_ptr 0
		.amdhsa_user_sgpr_kernarg_segment_ptr 1
		.amdhsa_user_sgpr_dispatch_id 0
		.amdhsa_user_sgpr_kernarg_preload_length 0
		.amdhsa_user_sgpr_kernarg_preload_offset 0
		.amdhsa_user_sgpr_private_segment_size 0
		.amdhsa_wavefront_size32 1
		.amdhsa_uses_dynamic_stack 0
		.amdhsa_enable_private_segment 0
		.amdhsa_system_sgpr_workgroup_id_x 1
		.amdhsa_system_sgpr_workgroup_id_y 0
		.amdhsa_system_sgpr_workgroup_id_z 0
		.amdhsa_system_sgpr_workgroup_info 0
		.amdhsa_system_vgpr_workitem_id 0
		.amdhsa_next_free_vgpr 9
		.amdhsa_next_free_sgpr 13
		.amdhsa_named_barrier_count 0
		.amdhsa_reserve_vcc 1
		.amdhsa_float_round_mode_32 0
		.amdhsa_float_round_mode_16_64 0
		.amdhsa_float_denorm_mode_32 3
		.amdhsa_float_denorm_mode_16_64 3
		.amdhsa_fp16_overflow 0
		.amdhsa_memory_ordered 1
		.amdhsa_forward_progress 1
		.amdhsa_inst_pref_size 9
		.amdhsa_round_robin_scheduling 0
		.amdhsa_exception_fp_ieee_invalid_op 0
		.amdhsa_exception_fp_denorm_src 0
		.amdhsa_exception_fp_ieee_div_zero 0
		.amdhsa_exception_fp_ieee_overflow 0
		.amdhsa_exception_fp_ieee_underflow 0
		.amdhsa_exception_fp_ieee_inexact 0
		.amdhsa_exception_int_div_zero 0
	.end_amdhsa_kernel
	.section	.text._ZN2at6native27unrolled_elementwise_kernelINS0_13AUnaryFunctorIN3c107complexINS3_4HalfEEES6_bNS0_12_GLOBAL__N_116CompareEqFunctorIS6_EEEESt5arrayIPcLm2EELi4E23TrivialOffsetCalculatorILi1EjESF_NS0_6memory15LoadWithoutCastENSG_16StoreWithoutCastEEEviT_T0_T2_T3_T4_T5_,"axG",@progbits,_ZN2at6native27unrolled_elementwise_kernelINS0_13AUnaryFunctorIN3c107complexINS3_4HalfEEES6_bNS0_12_GLOBAL__N_116CompareEqFunctorIS6_EEEESt5arrayIPcLm2EELi4E23TrivialOffsetCalculatorILi1EjESF_NS0_6memory15LoadWithoutCastENSG_16StoreWithoutCastEEEviT_T0_T2_T3_T4_T5_,comdat
.Lfunc_end156:
	.size	_ZN2at6native27unrolled_elementwise_kernelINS0_13AUnaryFunctorIN3c107complexINS3_4HalfEEES6_bNS0_12_GLOBAL__N_116CompareEqFunctorIS6_EEEESt5arrayIPcLm2EELi4E23TrivialOffsetCalculatorILi1EjESF_NS0_6memory15LoadWithoutCastENSG_16StoreWithoutCastEEEviT_T0_T2_T3_T4_T5_, .Lfunc_end156-_ZN2at6native27unrolled_elementwise_kernelINS0_13AUnaryFunctorIN3c107complexINS3_4HalfEEES6_bNS0_12_GLOBAL__N_116CompareEqFunctorIS6_EEEESt5arrayIPcLm2EELi4E23TrivialOffsetCalculatorILi1EjESF_NS0_6memory15LoadWithoutCastENSG_16StoreWithoutCastEEEviT_T0_T2_T3_T4_T5_
                                        ; -- End function
	.set _ZN2at6native27unrolled_elementwise_kernelINS0_13AUnaryFunctorIN3c107complexINS3_4HalfEEES6_bNS0_12_GLOBAL__N_116CompareEqFunctorIS6_EEEESt5arrayIPcLm2EELi4E23TrivialOffsetCalculatorILi1EjESF_NS0_6memory15LoadWithoutCastENSG_16StoreWithoutCastEEEviT_T0_T2_T3_T4_T5_.num_vgpr, 9
	.set _ZN2at6native27unrolled_elementwise_kernelINS0_13AUnaryFunctorIN3c107complexINS3_4HalfEEES6_bNS0_12_GLOBAL__N_116CompareEqFunctorIS6_EEEESt5arrayIPcLm2EELi4E23TrivialOffsetCalculatorILi1EjESF_NS0_6memory15LoadWithoutCastENSG_16StoreWithoutCastEEEviT_T0_T2_T3_T4_T5_.num_agpr, 0
	.set _ZN2at6native27unrolled_elementwise_kernelINS0_13AUnaryFunctorIN3c107complexINS3_4HalfEEES6_bNS0_12_GLOBAL__N_116CompareEqFunctorIS6_EEEESt5arrayIPcLm2EELi4E23TrivialOffsetCalculatorILi1EjESF_NS0_6memory15LoadWithoutCastENSG_16StoreWithoutCastEEEviT_T0_T2_T3_T4_T5_.numbered_sgpr, 13
	.set _ZN2at6native27unrolled_elementwise_kernelINS0_13AUnaryFunctorIN3c107complexINS3_4HalfEEES6_bNS0_12_GLOBAL__N_116CompareEqFunctorIS6_EEEESt5arrayIPcLm2EELi4E23TrivialOffsetCalculatorILi1EjESF_NS0_6memory15LoadWithoutCastENSG_16StoreWithoutCastEEEviT_T0_T2_T3_T4_T5_.num_named_barrier, 0
	.set _ZN2at6native27unrolled_elementwise_kernelINS0_13AUnaryFunctorIN3c107complexINS3_4HalfEEES6_bNS0_12_GLOBAL__N_116CompareEqFunctorIS6_EEEESt5arrayIPcLm2EELi4E23TrivialOffsetCalculatorILi1EjESF_NS0_6memory15LoadWithoutCastENSG_16StoreWithoutCastEEEviT_T0_T2_T3_T4_T5_.private_seg_size, 0
	.set _ZN2at6native27unrolled_elementwise_kernelINS0_13AUnaryFunctorIN3c107complexINS3_4HalfEEES6_bNS0_12_GLOBAL__N_116CompareEqFunctorIS6_EEEESt5arrayIPcLm2EELi4E23TrivialOffsetCalculatorILi1EjESF_NS0_6memory15LoadWithoutCastENSG_16StoreWithoutCastEEEviT_T0_T2_T3_T4_T5_.uses_vcc, 1
	.set _ZN2at6native27unrolled_elementwise_kernelINS0_13AUnaryFunctorIN3c107complexINS3_4HalfEEES6_bNS0_12_GLOBAL__N_116CompareEqFunctorIS6_EEEESt5arrayIPcLm2EELi4E23TrivialOffsetCalculatorILi1EjESF_NS0_6memory15LoadWithoutCastENSG_16StoreWithoutCastEEEviT_T0_T2_T3_T4_T5_.uses_flat_scratch, 0
	.set _ZN2at6native27unrolled_elementwise_kernelINS0_13AUnaryFunctorIN3c107complexINS3_4HalfEEES6_bNS0_12_GLOBAL__N_116CompareEqFunctorIS6_EEEESt5arrayIPcLm2EELi4E23TrivialOffsetCalculatorILi1EjESF_NS0_6memory15LoadWithoutCastENSG_16StoreWithoutCastEEEviT_T0_T2_T3_T4_T5_.has_dyn_sized_stack, 0
	.set _ZN2at6native27unrolled_elementwise_kernelINS0_13AUnaryFunctorIN3c107complexINS3_4HalfEEES6_bNS0_12_GLOBAL__N_116CompareEqFunctorIS6_EEEESt5arrayIPcLm2EELi4E23TrivialOffsetCalculatorILi1EjESF_NS0_6memory15LoadWithoutCastENSG_16StoreWithoutCastEEEviT_T0_T2_T3_T4_T5_.has_recursion, 0
	.set _ZN2at6native27unrolled_elementwise_kernelINS0_13AUnaryFunctorIN3c107complexINS3_4HalfEEES6_bNS0_12_GLOBAL__N_116CompareEqFunctorIS6_EEEESt5arrayIPcLm2EELi4E23TrivialOffsetCalculatorILi1EjESF_NS0_6memory15LoadWithoutCastENSG_16StoreWithoutCastEEEviT_T0_T2_T3_T4_T5_.has_indirect_call, 0
	.section	.AMDGPU.csdata,"",@progbits
; Kernel info:
; codeLenInByte = 1128
; TotalNumSgprs: 15
; NumVgprs: 9
; ScratchSize: 0
; MemoryBound: 0
; FloatMode: 240
; IeeeMode: 1
; LDSByteSize: 0 bytes/workgroup (compile time only)
; SGPRBlocks: 0
; VGPRBlocks: 0
; NumSGPRsForWavesPerEU: 15
; NumVGPRsForWavesPerEU: 9
; NamedBarCnt: 0
; Occupancy: 16
; WaveLimiterHint : 0
; COMPUTE_PGM_RSRC2:SCRATCH_EN: 0
; COMPUTE_PGM_RSRC2:USER_SGPR: 2
; COMPUTE_PGM_RSRC2:TRAP_HANDLER: 0
; COMPUTE_PGM_RSRC2:TGID_X_EN: 1
; COMPUTE_PGM_RSRC2:TGID_Y_EN: 0
; COMPUTE_PGM_RSRC2:TGID_Z_EN: 0
; COMPUTE_PGM_RSRC2:TIDIG_COMP_CNT: 0
	.section	.text._ZN2at6native32elementwise_kernel_manual_unrollILi128ELi8EZNS0_22gpu_kernel_impl_nocastINS0_13AUnaryFunctorIN3c107complexINS4_4HalfEEES7_bNS0_12_GLOBAL__N_116CompareEqFunctorIS7_EEEEEEvRNS_18TensorIteratorBaseERKT_EUlibE_EEviT1_,"axG",@progbits,_ZN2at6native32elementwise_kernel_manual_unrollILi128ELi8EZNS0_22gpu_kernel_impl_nocastINS0_13AUnaryFunctorIN3c107complexINS4_4HalfEEES7_bNS0_12_GLOBAL__N_116CompareEqFunctorIS7_EEEEEEvRNS_18TensorIteratorBaseERKT_EUlibE_EEviT1_,comdat
	.globl	_ZN2at6native32elementwise_kernel_manual_unrollILi128ELi8EZNS0_22gpu_kernel_impl_nocastINS0_13AUnaryFunctorIN3c107complexINS4_4HalfEEES7_bNS0_12_GLOBAL__N_116CompareEqFunctorIS7_EEEEEEvRNS_18TensorIteratorBaseERKT_EUlibE_EEviT1_ ; -- Begin function _ZN2at6native32elementwise_kernel_manual_unrollILi128ELi8EZNS0_22gpu_kernel_impl_nocastINS0_13AUnaryFunctorIN3c107complexINS4_4HalfEEES7_bNS0_12_GLOBAL__N_116CompareEqFunctorIS7_EEEEEEvRNS_18TensorIteratorBaseERKT_EUlibE_EEviT1_
	.p2align	8
	.type	_ZN2at6native32elementwise_kernel_manual_unrollILi128ELi8EZNS0_22gpu_kernel_impl_nocastINS0_13AUnaryFunctorIN3c107complexINS4_4HalfEEES7_bNS0_12_GLOBAL__N_116CompareEqFunctorIS7_EEEEEEvRNS_18TensorIteratorBaseERKT_EUlibE_EEviT1_,@function
_ZN2at6native32elementwise_kernel_manual_unrollILi128ELi8EZNS0_22gpu_kernel_impl_nocastINS0_13AUnaryFunctorIN3c107complexINS4_4HalfEEES7_bNS0_12_GLOBAL__N_116CompareEqFunctorIS7_EEEEEEvRNS_18TensorIteratorBaseERKT_EUlibE_EEviT1_: ; @_ZN2at6native32elementwise_kernel_manual_unrollILi128ELi8EZNS0_22gpu_kernel_impl_nocastINS0_13AUnaryFunctorIN3c107complexINS4_4HalfEEES7_bNS0_12_GLOBAL__N_116CompareEqFunctorIS7_EEEEEEvRNS_18TensorIteratorBaseERKT_EUlibE_EEviT1_
; %bb.0:
	s_clause 0x1
	s_load_b32 s30, s[0:1], 0x8
	s_load_b32 s36, s[0:1], 0x0
	s_bfe_u32 s2, ttmp6, 0x4000c
	s_and_b32 s3, ttmp6, 15
	s_add_co_i32 s2, s2, 1
	s_getreg_b32 s4, hwreg(HW_REG_IB_STS2, 6, 4)
	s_mul_i32 s2, ttmp9, s2
	s_mov_b32 s19, 0
	s_add_co_i32 s3, s3, s2
	s_cmp_eq_u32 s4, 0
	s_cselect_b32 s2, ttmp9, s3
	s_delay_alu instid0(SALU_CYCLE_1) | instskip(SKIP_3) | instid1(VALU_DEP_1)
	v_lshl_or_b32 v0, s2, 10, v0
	s_add_nc_u64 s[2:3], s[0:1], 8
	s_wait_xcnt 0x0
	s_mov_b32 s0, exec_lo
	v_or_b32_e32 v16, 0x380, v0
	s_wait_kmcnt 0x0
	s_add_co_i32 s31, s30, -1
	s_delay_alu instid0(SALU_CYCLE_1)
	s_cmp_gt_u32 s31, 1
	s_cselect_b32 s33, -1, 0
	v_cmpx_le_i32_e64 s36, v16
	s_xor_b32 s34, exec_lo, s0
	s_cbranch_execz .LBB157_161
; %bb.1:
	s_clause 0x4
	s_load_b128 s[8:11], s[2:3], 0x4
	s_load_b64 s[16:17], s[2:3], 0x14
	s_load_b64 s[0:1], s[2:3], 0x158
	s_load_b128 s[12:15], s[2:3], 0xc4
	s_load_b128 s[4:7], s[2:3], 0x148
	s_cmp_lg_u32 s30, 0
	s_add_nc_u64 s[22:23], s[2:3], 0xc4
	s_cselect_b32 s38, -1, 0
	s_min_u32 s37, s31, 15
	s_cmp_gt_u32 s30, 1
	s_mov_b32 s21, s19
	s_cselect_b32 s35, -1, 0
	s_mov_b32 s39, exec_lo
	s_wait_kmcnt 0x0
	s_mov_b32 s18, s9
	s_mov_b32 s20, s16
	s_lshr_b32 s9, s1, 16
	s_cmp_lg_u32 s0, 0
	s_cselect_b32 s16, -1, 0
	v_cmpx_gt_i32_e64 s36, v0
	s_cbranch_execnz .LBB157_9
; %bb.2:
	s_or_b32 exec_lo, exec_lo, s39
	s_delay_alu instid0(SALU_CYCLE_1)
	s_mov_b32 s39, exec_lo
	v_cmpx_gt_i32_e64 s36, v0
	s_cbranch_execnz .LBB157_27
.LBB157_3:
	s_or_b32 exec_lo, exec_lo, s39
	s_delay_alu instid0(SALU_CYCLE_1)
	s_mov_b32 s39, exec_lo
	v_cmpx_gt_i32_e64 s36, v0
	s_cbranch_execnz .LBB157_46
.LBB157_4:
	s_or_b32 exec_lo, exec_lo, s39
	s_delay_alu instid0(SALU_CYCLE_1)
	s_mov_b32 s39, exec_lo
	v_cmpx_gt_i32_e64 s36, v0
	s_cbranch_execnz .LBB157_65
.LBB157_5:
	s_or_b32 exec_lo, exec_lo, s39
	s_delay_alu instid0(SALU_CYCLE_1)
	s_mov_b32 s39, exec_lo
	v_cmpx_gt_i32_e64 s36, v0
	s_cbranch_execnz .LBB157_84
.LBB157_6:
	s_or_b32 exec_lo, exec_lo, s39
	s_delay_alu instid0(SALU_CYCLE_1)
	s_mov_b32 s39, exec_lo
	v_cmpx_gt_i32_e64 s36, v0
	s_cbranch_execnz .LBB157_103
.LBB157_7:
	s_or_b32 exec_lo, exec_lo, s39
	s_delay_alu instid0(SALU_CYCLE_1)
	s_mov_b32 s39, exec_lo
	v_cmpx_gt_i32_e64 s36, v0
	s_cbranch_execnz .LBB157_122
.LBB157_8:
	s_or_b32 exec_lo, exec_lo, s39
	s_delay_alu instid0(SALU_CYCLE_1)
	s_mov_b32 s28, exec_lo
	v_cmpx_gt_i32_e64 s36, v0
	s_cbranch_execnz .LBB157_141
	s_branch .LBB157_160
.LBB157_9:
	s_and_not1_b32 vcc_lo, exec_lo, s33
	s_cbranch_vccnz .LBB157_14
; %bb.10:
	s_and_not1_b32 vcc_lo, exec_lo, s38
	s_cbranch_vccnz .LBB157_15
; %bb.11:
	s_add_co_i32 s0, s37, 1
	s_cmp_eq_u32 s31, 2
	s_cbranch_scc1 .LBB157_16
; %bb.12:
	v_dual_mov_b32 v2, 0 :: v_dual_mov_b32 v3, 0
	v_mov_b32_e32 v1, v0
	s_and_b32 s24, s0, 28
	s_mov_b32 s25, 0
	s_mov_b64 s[26:27], s[2:3]
	s_mov_b64 s[28:29], s[22:23]
.LBB157_13:                             ; =>This Inner Loop Header: Depth=1
	s_clause 0x1
	s_load_b256 s[40:47], s[26:27], 0x4
	s_load_b128 s[56:59], s[26:27], 0x24
	s_load_b256 s[48:55], s[28:29], 0x0
	s_add_co_i32 s25, s25, 4
	s_wait_xcnt 0x0
	s_add_nc_u64 s[26:27], s[26:27], 48
	s_cmp_lg_u32 s24, s25
	s_add_nc_u64 s[28:29], s[28:29], 32
	s_wait_kmcnt 0x0
	v_mul_hi_u32 v4, s41, v1
	s_delay_alu instid0(VALU_DEP_1) | instskip(NEXT) | instid1(VALU_DEP_1)
	v_add_nc_u32_e32 v4, v1, v4
	v_lshrrev_b32_e32 v4, s42, v4
	s_delay_alu instid0(VALU_DEP_1) | instskip(NEXT) | instid1(VALU_DEP_1)
	v_mul_hi_u32 v5, s44, v4
	v_add_nc_u32_e32 v5, v4, v5
	s_delay_alu instid0(VALU_DEP_1) | instskip(NEXT) | instid1(VALU_DEP_1)
	v_lshrrev_b32_e32 v5, s45, v5
	v_mul_hi_u32 v6, s47, v5
	s_delay_alu instid0(VALU_DEP_1) | instskip(SKIP_1) | instid1(VALU_DEP_1)
	v_add_nc_u32_e32 v6, v5, v6
	v_mul_lo_u32 v7, v4, s40
	v_sub_nc_u32_e32 v1, v1, v7
	v_mul_lo_u32 v7, v5, s43
	s_delay_alu instid0(VALU_DEP_4) | instskip(NEXT) | instid1(VALU_DEP_3)
	v_lshrrev_b32_e32 v6, s56, v6
	v_mad_u32 v3, v1, s49, v3
	v_mad_u32 v1, v1, s48, v2
	s_delay_alu instid0(VALU_DEP_4) | instskip(NEXT) | instid1(VALU_DEP_4)
	v_sub_nc_u32_e32 v2, v4, v7
	v_mul_hi_u32 v8, s58, v6
	v_mul_lo_u32 v4, v6, s46
	s_delay_alu instid0(VALU_DEP_3) | instskip(SKIP_1) | instid1(VALU_DEP_4)
	v_mad_u32 v3, v2, s51, v3
	v_mad_u32 v2, v2, s50, v1
	v_add_nc_u32_e32 v7, v6, v8
	s_delay_alu instid0(VALU_DEP_1) | instskip(NEXT) | instid1(VALU_DEP_1)
	v_dual_sub_nc_u32 v4, v5, v4 :: v_dual_lshrrev_b32 v1, s59, v7
	v_mad_u32 v3, v4, s53, v3
	s_delay_alu instid0(VALU_DEP_4) | instskip(NEXT) | instid1(VALU_DEP_3)
	v_mad_u32 v2, v4, s52, v2
	v_mul_lo_u32 v5, v1, s57
	s_delay_alu instid0(VALU_DEP_1) | instskip(NEXT) | instid1(VALU_DEP_1)
	v_sub_nc_u32_e32 v4, v6, v5
	v_mad_u32 v3, v4, s55, v3
	s_delay_alu instid0(VALU_DEP_4)
	v_mad_u32 v2, v4, s54, v2
	s_cbranch_scc1 .LBB157_13
	s_branch .LBB157_17
.LBB157_14:
                                        ; implicit-def: $vgpr3
	s_branch .LBB157_21
.LBB157_15:
	v_dual_mov_b32 v3, 0 :: v_dual_mov_b32 v2, 0
	s_branch .LBB157_20
.LBB157_16:
	v_mov_b64_e32 v[2:3], 0
	v_mov_b32_e32 v1, v0
	s_mov_b32 s24, 0
.LBB157_17:
	s_and_b32 s0, s0, 3
	s_mov_b32 s25, 0
	s_cmp_eq_u32 s0, 0
	s_cbranch_scc1 .LBB157_20
; %bb.18:
	s_lshl_b32 s26, s24, 3
	s_mov_b32 s27, s25
	s_mul_u64 s[28:29], s[24:25], 12
	s_add_nc_u64 s[26:27], s[2:3], s[26:27]
	s_delay_alu instid0(SALU_CYCLE_1)
	s_add_nc_u64 s[24:25], s[26:27], 0xc4
	s_add_nc_u64 s[26:27], s[2:3], s[28:29]
.LBB157_19:                             ; =>This Inner Loop Header: Depth=1
	s_load_b96 s[40:42], s[26:27], 0x4
	s_load_b64 s[28:29], s[24:25], 0x0
	s_add_co_i32 s0, s0, -1
	s_wait_xcnt 0x0
	s_add_nc_u64 s[26:27], s[26:27], 12
	s_cmp_lg_u32 s0, 0
	s_add_nc_u64 s[24:25], s[24:25], 8
	s_wait_kmcnt 0x0
	v_mul_hi_u32 v4, s41, v1
	s_delay_alu instid0(VALU_DEP_1) | instskip(NEXT) | instid1(VALU_DEP_1)
	v_add_nc_u32_e32 v4, v1, v4
	v_lshrrev_b32_e32 v4, s42, v4
	s_delay_alu instid0(VALU_DEP_1) | instskip(NEXT) | instid1(VALU_DEP_1)
	v_mul_lo_u32 v5, v4, s40
	v_sub_nc_u32_e32 v1, v1, v5
	s_delay_alu instid0(VALU_DEP_1)
	v_mad_u32 v3, v1, s29, v3
	v_mad_u32 v2, v1, s28, v2
	v_mov_b32_e32 v1, v4
	s_cbranch_scc1 .LBB157_19
.LBB157_20:
	s_cbranch_execnz .LBB157_23
.LBB157_21:
	v_mov_b32_e32 v1, 0
	s_and_not1_b32 vcc_lo, exec_lo, s35
	s_delay_alu instid0(VALU_DEP_1) | instskip(NEXT) | instid1(VALU_DEP_1)
	v_mul_u64_e32 v[2:3], s[18:19], v[0:1]
	v_add_nc_u32_e32 v2, v0, v3
	s_delay_alu instid0(VALU_DEP_1) | instskip(NEXT) | instid1(VALU_DEP_1)
	v_lshrrev_b32_e32 v4, s10, v2
	v_mul_lo_u32 v2, v4, s8
	s_delay_alu instid0(VALU_DEP_1) | instskip(NEXT) | instid1(VALU_DEP_1)
	v_sub_nc_u32_e32 v2, v0, v2
	v_mul_lo_u32 v3, v2, s13
	v_mul_lo_u32 v2, v2, s12
	s_cbranch_vccnz .LBB157_23
; %bb.22:
	v_mov_b32_e32 v5, v1
	s_delay_alu instid0(VALU_DEP_1) | instskip(NEXT) | instid1(VALU_DEP_1)
	v_mul_u64_e32 v[6:7], s[20:21], v[4:5]
	v_add_nc_u32_e32 v1, v4, v7
	s_delay_alu instid0(VALU_DEP_1) | instskip(NEXT) | instid1(VALU_DEP_1)
	v_lshrrev_b32_e32 v1, s17, v1
	v_mul_lo_u32 v1, v1, s11
	s_delay_alu instid0(VALU_DEP_1) | instskip(NEXT) | instid1(VALU_DEP_1)
	v_sub_nc_u32_e32 v1, v4, v1
	v_mad_u32 v2, v1, s14, v2
	v_mad_u32 v3, v1, s15, v3
.LBB157_23:
	global_load_b32 v1, v3, s[6:7]
	s_and_b32 vcc_lo, exec_lo, s16
	s_wait_loadcnt 0x0
	v_lshrrev_b32_e32 v3, 16, v1
	s_cbranch_vccz .LBB157_33
; %bb.24:
	v_cmp_neq_f16_e32 vcc_lo, s1, v1
	s_delay_alu instid0(VALU_DEP_2)
	v_cmp_neq_f16_e64 s0, s9, v3
	s_or_b32 s24, vcc_lo, s0
	s_cbranch_execnz .LBB157_26
.LBB157_25:
	v_cmp_eq_f16_e32 vcc_lo, s1, v1
	s_delay_alu instid0(VALU_DEP_2) | instskip(SKIP_2) | instid1(SALU_CYCLE_1)
	v_cmp_eq_f16_e64 s0, s9, v3
	s_and_not1_b32 s24, s24, exec_lo
	s_and_b32 s0, vcc_lo, s0
	s_and_b32 s0, s0, exec_lo
	s_delay_alu instid0(SALU_CYCLE_1)
	s_or_b32 s24, s24, s0
.LBB157_26:
	s_delay_alu instid0(SALU_CYCLE_1) | instskip(SKIP_4) | instid1(SALU_CYCLE_1)
	v_cndmask_b32_e64 v1, 0, 1, s24
	v_add_nc_u32_e32 v0, 0x80, v0
	global_store_b8 v2, v1, s[4:5]
	s_wait_xcnt 0x0
	s_or_b32 exec_lo, exec_lo, s39
	s_mov_b32 s39, exec_lo
	v_cmpx_gt_i32_e64 s36, v0
	s_cbranch_execz .LBB157_3
.LBB157_27:
	s_and_not1_b32 vcc_lo, exec_lo, s33
	s_cbranch_vccnz .LBB157_32
; %bb.28:
	s_and_not1_b32 vcc_lo, exec_lo, s38
	s_cbranch_vccnz .LBB157_34
; %bb.29:
	s_add_co_i32 s0, s37, 1
	s_cmp_eq_u32 s31, 2
	s_cbranch_scc1 .LBB157_35
; %bb.30:
	v_dual_mov_b32 v2, 0 :: v_dual_mov_b32 v3, 0
	v_mov_b32_e32 v1, v0
	s_and_b32 s24, s0, 28
	s_mov_b32 s25, 0
	s_mov_b64 s[26:27], s[2:3]
	s_mov_b64 s[28:29], s[22:23]
.LBB157_31:                             ; =>This Inner Loop Header: Depth=1
	s_clause 0x1
	s_load_b256 s[40:47], s[26:27], 0x4
	s_load_b128 s[56:59], s[26:27], 0x24
	s_load_b256 s[48:55], s[28:29], 0x0
	s_add_co_i32 s25, s25, 4
	s_wait_xcnt 0x0
	s_add_nc_u64 s[26:27], s[26:27], 48
	s_cmp_eq_u32 s24, s25
	s_add_nc_u64 s[28:29], s[28:29], 32
	s_wait_kmcnt 0x0
	v_mul_hi_u32 v4, s41, v1
	s_delay_alu instid0(VALU_DEP_1) | instskip(NEXT) | instid1(VALU_DEP_1)
	v_add_nc_u32_e32 v4, v1, v4
	v_lshrrev_b32_e32 v4, s42, v4
	s_delay_alu instid0(VALU_DEP_1) | instskip(NEXT) | instid1(VALU_DEP_1)
	v_mul_hi_u32 v5, s44, v4
	v_add_nc_u32_e32 v5, v4, v5
	s_delay_alu instid0(VALU_DEP_1) | instskip(NEXT) | instid1(VALU_DEP_1)
	v_lshrrev_b32_e32 v5, s45, v5
	v_mul_hi_u32 v6, s47, v5
	s_delay_alu instid0(VALU_DEP_1) | instskip(SKIP_1) | instid1(VALU_DEP_1)
	v_add_nc_u32_e32 v6, v5, v6
	v_mul_lo_u32 v7, v4, s40
	v_sub_nc_u32_e32 v1, v1, v7
	v_mul_lo_u32 v7, v5, s43
	s_delay_alu instid0(VALU_DEP_4) | instskip(NEXT) | instid1(VALU_DEP_3)
	v_lshrrev_b32_e32 v6, s56, v6
	v_mad_u32 v3, v1, s49, v3
	v_mad_u32 v1, v1, s48, v2
	s_delay_alu instid0(VALU_DEP_4) | instskip(NEXT) | instid1(VALU_DEP_4)
	v_sub_nc_u32_e32 v2, v4, v7
	v_mul_hi_u32 v8, s58, v6
	v_mul_lo_u32 v4, v6, s46
	s_delay_alu instid0(VALU_DEP_3) | instskip(SKIP_1) | instid1(VALU_DEP_4)
	v_mad_u32 v3, v2, s51, v3
	v_mad_u32 v2, v2, s50, v1
	v_add_nc_u32_e32 v7, v6, v8
	s_delay_alu instid0(VALU_DEP_1) | instskip(NEXT) | instid1(VALU_DEP_1)
	v_dual_sub_nc_u32 v4, v5, v4 :: v_dual_lshrrev_b32 v1, s59, v7
	v_mad_u32 v3, v4, s53, v3
	s_delay_alu instid0(VALU_DEP_4) | instskip(NEXT) | instid1(VALU_DEP_3)
	v_mad_u32 v2, v4, s52, v2
	v_mul_lo_u32 v5, v1, s57
	s_delay_alu instid0(VALU_DEP_1) | instskip(NEXT) | instid1(VALU_DEP_1)
	v_sub_nc_u32_e32 v4, v6, v5
	v_mad_u32 v3, v4, s55, v3
	s_delay_alu instid0(VALU_DEP_4)
	v_mad_u32 v2, v4, s54, v2
	s_cbranch_scc0 .LBB157_31
	s_branch .LBB157_36
.LBB157_32:
                                        ; implicit-def: $vgpr3
	s_branch .LBB157_40
.LBB157_33:
                                        ; implicit-def: $sgpr24
	s_branch .LBB157_25
.LBB157_34:
	v_dual_mov_b32 v3, 0 :: v_dual_mov_b32 v2, 0
	s_branch .LBB157_39
.LBB157_35:
	v_mov_b64_e32 v[2:3], 0
	v_mov_b32_e32 v1, v0
	s_mov_b32 s24, 0
.LBB157_36:
	s_and_b32 s0, s0, 3
	s_mov_b32 s25, 0
	s_cmp_eq_u32 s0, 0
	s_cbranch_scc1 .LBB157_39
; %bb.37:
	s_lshl_b32 s26, s24, 3
	s_mov_b32 s27, s25
	s_mul_u64 s[28:29], s[24:25], 12
	s_add_nc_u64 s[26:27], s[2:3], s[26:27]
	s_delay_alu instid0(SALU_CYCLE_1)
	s_add_nc_u64 s[24:25], s[26:27], 0xc4
	s_add_nc_u64 s[26:27], s[2:3], s[28:29]
.LBB157_38:                             ; =>This Inner Loop Header: Depth=1
	s_load_b96 s[40:42], s[26:27], 0x4
	s_load_b64 s[28:29], s[24:25], 0x0
	s_add_co_i32 s0, s0, -1
	s_wait_xcnt 0x0
	s_add_nc_u64 s[26:27], s[26:27], 12
	s_cmp_lg_u32 s0, 0
	s_add_nc_u64 s[24:25], s[24:25], 8
	s_wait_kmcnt 0x0
	v_mul_hi_u32 v4, s41, v1
	s_delay_alu instid0(VALU_DEP_1) | instskip(NEXT) | instid1(VALU_DEP_1)
	v_add_nc_u32_e32 v4, v1, v4
	v_lshrrev_b32_e32 v4, s42, v4
	s_delay_alu instid0(VALU_DEP_1) | instskip(NEXT) | instid1(VALU_DEP_1)
	v_mul_lo_u32 v5, v4, s40
	v_sub_nc_u32_e32 v1, v1, v5
	s_delay_alu instid0(VALU_DEP_1)
	v_mad_u32 v3, v1, s29, v3
	v_mad_u32 v2, v1, s28, v2
	v_mov_b32_e32 v1, v4
	s_cbranch_scc1 .LBB157_38
.LBB157_39:
	s_cbranch_execnz .LBB157_42
.LBB157_40:
	v_mov_b32_e32 v1, 0
	s_and_not1_b32 vcc_lo, exec_lo, s35
	s_delay_alu instid0(VALU_DEP_1) | instskip(NEXT) | instid1(VALU_DEP_1)
	v_mul_u64_e32 v[2:3], s[18:19], v[0:1]
	v_add_nc_u32_e32 v2, v0, v3
	s_delay_alu instid0(VALU_DEP_1) | instskip(NEXT) | instid1(VALU_DEP_1)
	v_lshrrev_b32_e32 v4, s10, v2
	v_mul_lo_u32 v2, v4, s8
	s_delay_alu instid0(VALU_DEP_1) | instskip(NEXT) | instid1(VALU_DEP_1)
	v_sub_nc_u32_e32 v2, v0, v2
	v_mul_lo_u32 v3, v2, s13
	v_mul_lo_u32 v2, v2, s12
	s_cbranch_vccnz .LBB157_42
; %bb.41:
	v_mov_b32_e32 v5, v1
	s_delay_alu instid0(VALU_DEP_1) | instskip(NEXT) | instid1(VALU_DEP_1)
	v_mul_u64_e32 v[6:7], s[20:21], v[4:5]
	v_add_nc_u32_e32 v1, v4, v7
	s_delay_alu instid0(VALU_DEP_1) | instskip(NEXT) | instid1(VALU_DEP_1)
	v_lshrrev_b32_e32 v1, s17, v1
	v_mul_lo_u32 v1, v1, s11
	s_delay_alu instid0(VALU_DEP_1) | instskip(NEXT) | instid1(VALU_DEP_1)
	v_sub_nc_u32_e32 v1, v4, v1
	v_mad_u32 v2, v1, s14, v2
	v_mad_u32 v3, v1, s15, v3
.LBB157_42:
	global_load_b32 v1, v3, s[6:7]
	s_and_not1_b32 vcc_lo, exec_lo, s16
	s_wait_loadcnt 0x0
	v_lshrrev_b32_e32 v3, 16, v1
	s_cbranch_vccnz .LBB157_52
; %bb.43:
	v_cmp_neq_f16_e32 vcc_lo, s1, v1
	s_delay_alu instid0(VALU_DEP_2)
	v_cmp_neq_f16_e64 s0, s9, v3
	s_or_b32 s24, vcc_lo, s0
	s_cbranch_execnz .LBB157_45
.LBB157_44:
	v_cmp_eq_f16_e32 vcc_lo, s1, v1
	s_delay_alu instid0(VALU_DEP_2) | instskip(SKIP_2) | instid1(SALU_CYCLE_1)
	v_cmp_eq_f16_e64 s0, s9, v3
	s_and_not1_b32 s24, s24, exec_lo
	s_and_b32 s0, vcc_lo, s0
	s_and_b32 s0, s0, exec_lo
	s_delay_alu instid0(SALU_CYCLE_1)
	s_or_b32 s24, s24, s0
.LBB157_45:
	s_delay_alu instid0(SALU_CYCLE_1) | instskip(SKIP_4) | instid1(SALU_CYCLE_1)
	v_cndmask_b32_e64 v1, 0, 1, s24
	v_add_nc_u32_e32 v0, 0x80, v0
	global_store_b8 v2, v1, s[4:5]
	s_wait_xcnt 0x0
	s_or_b32 exec_lo, exec_lo, s39
	s_mov_b32 s39, exec_lo
	v_cmpx_gt_i32_e64 s36, v0
	s_cbranch_execz .LBB157_4
.LBB157_46:
	s_and_not1_b32 vcc_lo, exec_lo, s33
	s_cbranch_vccnz .LBB157_51
; %bb.47:
	s_and_not1_b32 vcc_lo, exec_lo, s38
	s_cbranch_vccnz .LBB157_53
; %bb.48:
	s_add_co_i32 s0, s37, 1
	s_cmp_eq_u32 s31, 2
	s_cbranch_scc1 .LBB157_54
; %bb.49:
	v_dual_mov_b32 v2, 0 :: v_dual_mov_b32 v3, 0
	v_mov_b32_e32 v1, v0
	s_and_b32 s24, s0, 28
	s_mov_b32 s25, 0
	s_mov_b64 s[26:27], s[2:3]
	s_mov_b64 s[28:29], s[22:23]
.LBB157_50:                             ; =>This Inner Loop Header: Depth=1
	s_clause 0x1
	s_load_b256 s[40:47], s[26:27], 0x4
	s_load_b128 s[56:59], s[26:27], 0x24
	s_load_b256 s[48:55], s[28:29], 0x0
	s_add_co_i32 s25, s25, 4
	s_wait_xcnt 0x0
	s_add_nc_u64 s[26:27], s[26:27], 48
	s_cmp_eq_u32 s24, s25
	s_add_nc_u64 s[28:29], s[28:29], 32
	s_wait_kmcnt 0x0
	v_mul_hi_u32 v4, s41, v1
	s_delay_alu instid0(VALU_DEP_1) | instskip(NEXT) | instid1(VALU_DEP_1)
	v_add_nc_u32_e32 v4, v1, v4
	v_lshrrev_b32_e32 v4, s42, v4
	s_delay_alu instid0(VALU_DEP_1) | instskip(NEXT) | instid1(VALU_DEP_1)
	v_mul_hi_u32 v5, s44, v4
	v_add_nc_u32_e32 v5, v4, v5
	s_delay_alu instid0(VALU_DEP_1) | instskip(NEXT) | instid1(VALU_DEP_1)
	v_lshrrev_b32_e32 v5, s45, v5
	v_mul_hi_u32 v6, s47, v5
	s_delay_alu instid0(VALU_DEP_1) | instskip(SKIP_1) | instid1(VALU_DEP_1)
	v_add_nc_u32_e32 v6, v5, v6
	v_mul_lo_u32 v7, v4, s40
	v_sub_nc_u32_e32 v1, v1, v7
	v_mul_lo_u32 v7, v5, s43
	s_delay_alu instid0(VALU_DEP_4) | instskip(NEXT) | instid1(VALU_DEP_3)
	v_lshrrev_b32_e32 v6, s56, v6
	v_mad_u32 v3, v1, s49, v3
	v_mad_u32 v1, v1, s48, v2
	s_delay_alu instid0(VALU_DEP_4) | instskip(NEXT) | instid1(VALU_DEP_4)
	v_sub_nc_u32_e32 v2, v4, v7
	v_mul_hi_u32 v8, s58, v6
	v_mul_lo_u32 v4, v6, s46
	s_delay_alu instid0(VALU_DEP_3) | instskip(SKIP_1) | instid1(VALU_DEP_4)
	v_mad_u32 v3, v2, s51, v3
	v_mad_u32 v2, v2, s50, v1
	v_add_nc_u32_e32 v7, v6, v8
	s_delay_alu instid0(VALU_DEP_1) | instskip(NEXT) | instid1(VALU_DEP_1)
	v_dual_sub_nc_u32 v4, v5, v4 :: v_dual_lshrrev_b32 v1, s59, v7
	v_mad_u32 v3, v4, s53, v3
	s_delay_alu instid0(VALU_DEP_4) | instskip(NEXT) | instid1(VALU_DEP_3)
	v_mad_u32 v2, v4, s52, v2
	v_mul_lo_u32 v5, v1, s57
	s_delay_alu instid0(VALU_DEP_1) | instskip(NEXT) | instid1(VALU_DEP_1)
	v_sub_nc_u32_e32 v4, v6, v5
	v_mad_u32 v3, v4, s55, v3
	s_delay_alu instid0(VALU_DEP_4)
	v_mad_u32 v2, v4, s54, v2
	s_cbranch_scc0 .LBB157_50
	s_branch .LBB157_55
.LBB157_51:
                                        ; implicit-def: $vgpr3
	s_branch .LBB157_59
.LBB157_52:
                                        ; implicit-def: $sgpr24
	s_branch .LBB157_44
.LBB157_53:
	v_dual_mov_b32 v3, 0 :: v_dual_mov_b32 v2, 0
	s_branch .LBB157_58
.LBB157_54:
	v_mov_b64_e32 v[2:3], 0
	v_mov_b32_e32 v1, v0
	s_mov_b32 s24, 0
.LBB157_55:
	s_and_b32 s0, s0, 3
	s_mov_b32 s25, 0
	s_cmp_eq_u32 s0, 0
	s_cbranch_scc1 .LBB157_58
; %bb.56:
	s_lshl_b32 s26, s24, 3
	s_mov_b32 s27, s25
	s_mul_u64 s[28:29], s[24:25], 12
	s_add_nc_u64 s[26:27], s[2:3], s[26:27]
	s_delay_alu instid0(SALU_CYCLE_1)
	s_add_nc_u64 s[24:25], s[26:27], 0xc4
	s_add_nc_u64 s[26:27], s[2:3], s[28:29]
.LBB157_57:                             ; =>This Inner Loop Header: Depth=1
	s_load_b96 s[40:42], s[26:27], 0x4
	s_load_b64 s[28:29], s[24:25], 0x0
	s_add_co_i32 s0, s0, -1
	s_wait_xcnt 0x0
	s_add_nc_u64 s[26:27], s[26:27], 12
	s_cmp_lg_u32 s0, 0
	s_add_nc_u64 s[24:25], s[24:25], 8
	s_wait_kmcnt 0x0
	v_mul_hi_u32 v4, s41, v1
	s_delay_alu instid0(VALU_DEP_1) | instskip(NEXT) | instid1(VALU_DEP_1)
	v_add_nc_u32_e32 v4, v1, v4
	v_lshrrev_b32_e32 v4, s42, v4
	s_delay_alu instid0(VALU_DEP_1) | instskip(NEXT) | instid1(VALU_DEP_1)
	v_mul_lo_u32 v5, v4, s40
	v_sub_nc_u32_e32 v1, v1, v5
	s_delay_alu instid0(VALU_DEP_1)
	v_mad_u32 v3, v1, s29, v3
	v_mad_u32 v2, v1, s28, v2
	v_mov_b32_e32 v1, v4
	s_cbranch_scc1 .LBB157_57
.LBB157_58:
	s_cbranch_execnz .LBB157_61
.LBB157_59:
	v_mov_b32_e32 v1, 0
	s_and_not1_b32 vcc_lo, exec_lo, s35
	s_delay_alu instid0(VALU_DEP_1) | instskip(NEXT) | instid1(VALU_DEP_1)
	v_mul_u64_e32 v[2:3], s[18:19], v[0:1]
	v_add_nc_u32_e32 v2, v0, v3
	s_delay_alu instid0(VALU_DEP_1) | instskip(NEXT) | instid1(VALU_DEP_1)
	v_lshrrev_b32_e32 v4, s10, v2
	v_mul_lo_u32 v2, v4, s8
	s_delay_alu instid0(VALU_DEP_1) | instskip(NEXT) | instid1(VALU_DEP_1)
	v_sub_nc_u32_e32 v2, v0, v2
	v_mul_lo_u32 v3, v2, s13
	v_mul_lo_u32 v2, v2, s12
	s_cbranch_vccnz .LBB157_61
; %bb.60:
	v_mov_b32_e32 v5, v1
	s_delay_alu instid0(VALU_DEP_1) | instskip(NEXT) | instid1(VALU_DEP_1)
	v_mul_u64_e32 v[6:7], s[20:21], v[4:5]
	v_add_nc_u32_e32 v1, v4, v7
	s_delay_alu instid0(VALU_DEP_1) | instskip(NEXT) | instid1(VALU_DEP_1)
	v_lshrrev_b32_e32 v1, s17, v1
	v_mul_lo_u32 v1, v1, s11
	s_delay_alu instid0(VALU_DEP_1) | instskip(NEXT) | instid1(VALU_DEP_1)
	v_sub_nc_u32_e32 v1, v4, v1
	v_mad_u32 v2, v1, s14, v2
	v_mad_u32 v3, v1, s15, v3
.LBB157_61:
	global_load_b32 v1, v3, s[6:7]
	s_and_not1_b32 vcc_lo, exec_lo, s16
	s_wait_loadcnt 0x0
	v_lshrrev_b32_e32 v3, 16, v1
	s_cbranch_vccnz .LBB157_71
; %bb.62:
	v_cmp_neq_f16_e32 vcc_lo, s1, v1
	s_delay_alu instid0(VALU_DEP_2)
	v_cmp_neq_f16_e64 s0, s9, v3
	s_or_b32 s24, vcc_lo, s0
	s_cbranch_execnz .LBB157_64
.LBB157_63:
	v_cmp_eq_f16_e32 vcc_lo, s1, v1
	s_delay_alu instid0(VALU_DEP_2) | instskip(SKIP_2) | instid1(SALU_CYCLE_1)
	v_cmp_eq_f16_e64 s0, s9, v3
	s_and_not1_b32 s24, s24, exec_lo
	s_and_b32 s0, vcc_lo, s0
	s_and_b32 s0, s0, exec_lo
	s_delay_alu instid0(SALU_CYCLE_1)
	s_or_b32 s24, s24, s0
.LBB157_64:
	s_delay_alu instid0(SALU_CYCLE_1) | instskip(SKIP_4) | instid1(SALU_CYCLE_1)
	v_cndmask_b32_e64 v1, 0, 1, s24
	v_add_nc_u32_e32 v0, 0x80, v0
	global_store_b8 v2, v1, s[4:5]
	s_wait_xcnt 0x0
	s_or_b32 exec_lo, exec_lo, s39
	s_mov_b32 s39, exec_lo
	v_cmpx_gt_i32_e64 s36, v0
	s_cbranch_execz .LBB157_5
.LBB157_65:
	s_and_not1_b32 vcc_lo, exec_lo, s33
	s_cbranch_vccnz .LBB157_70
; %bb.66:
	s_and_not1_b32 vcc_lo, exec_lo, s38
	s_cbranch_vccnz .LBB157_72
; %bb.67:
	s_add_co_i32 s0, s37, 1
	s_cmp_eq_u32 s31, 2
	s_cbranch_scc1 .LBB157_73
; %bb.68:
	v_dual_mov_b32 v2, 0 :: v_dual_mov_b32 v3, 0
	v_mov_b32_e32 v1, v0
	s_and_b32 s24, s0, 28
	s_mov_b32 s25, 0
	s_mov_b64 s[26:27], s[2:3]
	s_mov_b64 s[28:29], s[22:23]
.LBB157_69:                             ; =>This Inner Loop Header: Depth=1
	s_clause 0x1
	s_load_b256 s[40:47], s[26:27], 0x4
	s_load_b128 s[56:59], s[26:27], 0x24
	s_load_b256 s[48:55], s[28:29], 0x0
	s_add_co_i32 s25, s25, 4
	s_wait_xcnt 0x0
	s_add_nc_u64 s[26:27], s[26:27], 48
	s_cmp_eq_u32 s24, s25
	s_add_nc_u64 s[28:29], s[28:29], 32
	s_wait_kmcnt 0x0
	v_mul_hi_u32 v4, s41, v1
	s_delay_alu instid0(VALU_DEP_1) | instskip(NEXT) | instid1(VALU_DEP_1)
	v_add_nc_u32_e32 v4, v1, v4
	v_lshrrev_b32_e32 v4, s42, v4
	s_delay_alu instid0(VALU_DEP_1) | instskip(NEXT) | instid1(VALU_DEP_1)
	v_mul_hi_u32 v5, s44, v4
	v_add_nc_u32_e32 v5, v4, v5
	s_delay_alu instid0(VALU_DEP_1) | instskip(NEXT) | instid1(VALU_DEP_1)
	v_lshrrev_b32_e32 v5, s45, v5
	v_mul_hi_u32 v6, s47, v5
	s_delay_alu instid0(VALU_DEP_1) | instskip(SKIP_1) | instid1(VALU_DEP_1)
	v_add_nc_u32_e32 v6, v5, v6
	v_mul_lo_u32 v7, v4, s40
	v_sub_nc_u32_e32 v1, v1, v7
	v_mul_lo_u32 v7, v5, s43
	s_delay_alu instid0(VALU_DEP_4) | instskip(NEXT) | instid1(VALU_DEP_3)
	v_lshrrev_b32_e32 v6, s56, v6
	v_mad_u32 v3, v1, s49, v3
	v_mad_u32 v1, v1, s48, v2
	s_delay_alu instid0(VALU_DEP_4) | instskip(NEXT) | instid1(VALU_DEP_4)
	v_sub_nc_u32_e32 v2, v4, v7
	v_mul_hi_u32 v8, s58, v6
	v_mul_lo_u32 v4, v6, s46
	s_delay_alu instid0(VALU_DEP_3) | instskip(SKIP_1) | instid1(VALU_DEP_4)
	v_mad_u32 v3, v2, s51, v3
	v_mad_u32 v2, v2, s50, v1
	v_add_nc_u32_e32 v7, v6, v8
	s_delay_alu instid0(VALU_DEP_1) | instskip(NEXT) | instid1(VALU_DEP_1)
	v_dual_sub_nc_u32 v4, v5, v4 :: v_dual_lshrrev_b32 v1, s59, v7
	v_mad_u32 v3, v4, s53, v3
	s_delay_alu instid0(VALU_DEP_4) | instskip(NEXT) | instid1(VALU_DEP_3)
	v_mad_u32 v2, v4, s52, v2
	v_mul_lo_u32 v5, v1, s57
	s_delay_alu instid0(VALU_DEP_1) | instskip(NEXT) | instid1(VALU_DEP_1)
	v_sub_nc_u32_e32 v4, v6, v5
	v_mad_u32 v3, v4, s55, v3
	s_delay_alu instid0(VALU_DEP_4)
	v_mad_u32 v2, v4, s54, v2
	s_cbranch_scc0 .LBB157_69
	s_branch .LBB157_74
.LBB157_70:
                                        ; implicit-def: $vgpr3
	s_branch .LBB157_78
.LBB157_71:
                                        ; implicit-def: $sgpr24
	s_branch .LBB157_63
.LBB157_72:
	v_dual_mov_b32 v3, 0 :: v_dual_mov_b32 v2, 0
	s_branch .LBB157_77
.LBB157_73:
	v_mov_b64_e32 v[2:3], 0
	v_mov_b32_e32 v1, v0
	s_mov_b32 s24, 0
.LBB157_74:
	s_and_b32 s0, s0, 3
	s_mov_b32 s25, 0
	s_cmp_eq_u32 s0, 0
	s_cbranch_scc1 .LBB157_77
; %bb.75:
	s_lshl_b32 s26, s24, 3
	s_mov_b32 s27, s25
	s_mul_u64 s[28:29], s[24:25], 12
	s_add_nc_u64 s[26:27], s[2:3], s[26:27]
	s_delay_alu instid0(SALU_CYCLE_1)
	s_add_nc_u64 s[24:25], s[26:27], 0xc4
	s_add_nc_u64 s[26:27], s[2:3], s[28:29]
.LBB157_76:                             ; =>This Inner Loop Header: Depth=1
	s_load_b96 s[40:42], s[26:27], 0x4
	s_load_b64 s[28:29], s[24:25], 0x0
	s_add_co_i32 s0, s0, -1
	s_wait_xcnt 0x0
	s_add_nc_u64 s[26:27], s[26:27], 12
	s_cmp_lg_u32 s0, 0
	s_add_nc_u64 s[24:25], s[24:25], 8
	s_wait_kmcnt 0x0
	v_mul_hi_u32 v4, s41, v1
	s_delay_alu instid0(VALU_DEP_1) | instskip(NEXT) | instid1(VALU_DEP_1)
	v_add_nc_u32_e32 v4, v1, v4
	v_lshrrev_b32_e32 v4, s42, v4
	s_delay_alu instid0(VALU_DEP_1) | instskip(NEXT) | instid1(VALU_DEP_1)
	v_mul_lo_u32 v5, v4, s40
	v_sub_nc_u32_e32 v1, v1, v5
	s_delay_alu instid0(VALU_DEP_1)
	v_mad_u32 v3, v1, s29, v3
	v_mad_u32 v2, v1, s28, v2
	v_mov_b32_e32 v1, v4
	s_cbranch_scc1 .LBB157_76
.LBB157_77:
	s_cbranch_execnz .LBB157_80
.LBB157_78:
	v_mov_b32_e32 v1, 0
	s_and_not1_b32 vcc_lo, exec_lo, s35
	s_delay_alu instid0(VALU_DEP_1) | instskip(NEXT) | instid1(VALU_DEP_1)
	v_mul_u64_e32 v[2:3], s[18:19], v[0:1]
	v_add_nc_u32_e32 v2, v0, v3
	s_delay_alu instid0(VALU_DEP_1) | instskip(NEXT) | instid1(VALU_DEP_1)
	v_lshrrev_b32_e32 v4, s10, v2
	v_mul_lo_u32 v2, v4, s8
	s_delay_alu instid0(VALU_DEP_1) | instskip(NEXT) | instid1(VALU_DEP_1)
	v_sub_nc_u32_e32 v2, v0, v2
	v_mul_lo_u32 v3, v2, s13
	v_mul_lo_u32 v2, v2, s12
	s_cbranch_vccnz .LBB157_80
; %bb.79:
	v_mov_b32_e32 v5, v1
	s_delay_alu instid0(VALU_DEP_1) | instskip(NEXT) | instid1(VALU_DEP_1)
	v_mul_u64_e32 v[6:7], s[20:21], v[4:5]
	v_add_nc_u32_e32 v1, v4, v7
	s_delay_alu instid0(VALU_DEP_1) | instskip(NEXT) | instid1(VALU_DEP_1)
	v_lshrrev_b32_e32 v1, s17, v1
	v_mul_lo_u32 v1, v1, s11
	s_delay_alu instid0(VALU_DEP_1) | instskip(NEXT) | instid1(VALU_DEP_1)
	v_sub_nc_u32_e32 v1, v4, v1
	v_mad_u32 v2, v1, s14, v2
	v_mad_u32 v3, v1, s15, v3
.LBB157_80:
	global_load_b32 v1, v3, s[6:7]
	s_and_not1_b32 vcc_lo, exec_lo, s16
	s_wait_loadcnt 0x0
	v_lshrrev_b32_e32 v3, 16, v1
	s_cbranch_vccnz .LBB157_90
; %bb.81:
	v_cmp_neq_f16_e32 vcc_lo, s1, v1
	s_delay_alu instid0(VALU_DEP_2)
	v_cmp_neq_f16_e64 s0, s9, v3
	s_or_b32 s24, vcc_lo, s0
	s_cbranch_execnz .LBB157_83
.LBB157_82:
	v_cmp_eq_f16_e32 vcc_lo, s1, v1
	s_delay_alu instid0(VALU_DEP_2) | instskip(SKIP_2) | instid1(SALU_CYCLE_1)
	v_cmp_eq_f16_e64 s0, s9, v3
	s_and_not1_b32 s24, s24, exec_lo
	s_and_b32 s0, vcc_lo, s0
	s_and_b32 s0, s0, exec_lo
	s_delay_alu instid0(SALU_CYCLE_1)
	s_or_b32 s24, s24, s0
.LBB157_83:
	s_delay_alu instid0(SALU_CYCLE_1) | instskip(SKIP_4) | instid1(SALU_CYCLE_1)
	v_cndmask_b32_e64 v1, 0, 1, s24
	v_add_nc_u32_e32 v0, 0x80, v0
	global_store_b8 v2, v1, s[4:5]
	s_wait_xcnt 0x0
	s_or_b32 exec_lo, exec_lo, s39
	s_mov_b32 s39, exec_lo
	v_cmpx_gt_i32_e64 s36, v0
	s_cbranch_execz .LBB157_6
.LBB157_84:
	s_and_not1_b32 vcc_lo, exec_lo, s33
	s_cbranch_vccnz .LBB157_89
; %bb.85:
	s_and_not1_b32 vcc_lo, exec_lo, s38
	s_cbranch_vccnz .LBB157_91
; %bb.86:
	s_add_co_i32 s0, s37, 1
	s_cmp_eq_u32 s31, 2
	s_cbranch_scc1 .LBB157_92
; %bb.87:
	v_dual_mov_b32 v2, 0 :: v_dual_mov_b32 v3, 0
	v_mov_b32_e32 v1, v0
	s_and_b32 s24, s0, 28
	s_mov_b32 s25, 0
	s_mov_b64 s[26:27], s[2:3]
	s_mov_b64 s[28:29], s[22:23]
.LBB157_88:                             ; =>This Inner Loop Header: Depth=1
	s_clause 0x1
	s_load_b256 s[40:47], s[26:27], 0x4
	s_load_b128 s[56:59], s[26:27], 0x24
	s_load_b256 s[48:55], s[28:29], 0x0
	s_add_co_i32 s25, s25, 4
	s_wait_xcnt 0x0
	s_add_nc_u64 s[26:27], s[26:27], 48
	s_cmp_eq_u32 s24, s25
	s_add_nc_u64 s[28:29], s[28:29], 32
	s_wait_kmcnt 0x0
	v_mul_hi_u32 v4, s41, v1
	s_delay_alu instid0(VALU_DEP_1) | instskip(NEXT) | instid1(VALU_DEP_1)
	v_add_nc_u32_e32 v4, v1, v4
	v_lshrrev_b32_e32 v4, s42, v4
	s_delay_alu instid0(VALU_DEP_1) | instskip(NEXT) | instid1(VALU_DEP_1)
	v_mul_hi_u32 v5, s44, v4
	v_add_nc_u32_e32 v5, v4, v5
	s_delay_alu instid0(VALU_DEP_1) | instskip(NEXT) | instid1(VALU_DEP_1)
	v_lshrrev_b32_e32 v5, s45, v5
	v_mul_hi_u32 v6, s47, v5
	s_delay_alu instid0(VALU_DEP_1) | instskip(SKIP_1) | instid1(VALU_DEP_1)
	v_add_nc_u32_e32 v6, v5, v6
	v_mul_lo_u32 v7, v4, s40
	v_sub_nc_u32_e32 v1, v1, v7
	v_mul_lo_u32 v7, v5, s43
	s_delay_alu instid0(VALU_DEP_4) | instskip(NEXT) | instid1(VALU_DEP_3)
	v_lshrrev_b32_e32 v6, s56, v6
	v_mad_u32 v3, v1, s49, v3
	v_mad_u32 v1, v1, s48, v2
	s_delay_alu instid0(VALU_DEP_4) | instskip(NEXT) | instid1(VALU_DEP_4)
	v_sub_nc_u32_e32 v2, v4, v7
	v_mul_hi_u32 v8, s58, v6
	v_mul_lo_u32 v4, v6, s46
	s_delay_alu instid0(VALU_DEP_3) | instskip(SKIP_1) | instid1(VALU_DEP_4)
	v_mad_u32 v3, v2, s51, v3
	v_mad_u32 v2, v2, s50, v1
	v_add_nc_u32_e32 v7, v6, v8
	s_delay_alu instid0(VALU_DEP_1) | instskip(NEXT) | instid1(VALU_DEP_1)
	v_dual_sub_nc_u32 v4, v5, v4 :: v_dual_lshrrev_b32 v1, s59, v7
	v_mad_u32 v3, v4, s53, v3
	s_delay_alu instid0(VALU_DEP_4) | instskip(NEXT) | instid1(VALU_DEP_3)
	v_mad_u32 v2, v4, s52, v2
	v_mul_lo_u32 v5, v1, s57
	s_delay_alu instid0(VALU_DEP_1) | instskip(NEXT) | instid1(VALU_DEP_1)
	v_sub_nc_u32_e32 v4, v6, v5
	v_mad_u32 v3, v4, s55, v3
	s_delay_alu instid0(VALU_DEP_4)
	v_mad_u32 v2, v4, s54, v2
	s_cbranch_scc0 .LBB157_88
	s_branch .LBB157_93
.LBB157_89:
                                        ; implicit-def: $vgpr3
	s_branch .LBB157_97
.LBB157_90:
                                        ; implicit-def: $sgpr24
	s_branch .LBB157_82
.LBB157_91:
	v_dual_mov_b32 v3, 0 :: v_dual_mov_b32 v2, 0
	s_branch .LBB157_96
.LBB157_92:
	v_mov_b64_e32 v[2:3], 0
	v_mov_b32_e32 v1, v0
	s_mov_b32 s24, 0
.LBB157_93:
	s_and_b32 s0, s0, 3
	s_mov_b32 s25, 0
	s_cmp_eq_u32 s0, 0
	s_cbranch_scc1 .LBB157_96
; %bb.94:
	s_lshl_b32 s26, s24, 3
	s_mov_b32 s27, s25
	s_mul_u64 s[28:29], s[24:25], 12
	s_add_nc_u64 s[26:27], s[2:3], s[26:27]
	s_delay_alu instid0(SALU_CYCLE_1)
	s_add_nc_u64 s[24:25], s[26:27], 0xc4
	s_add_nc_u64 s[26:27], s[2:3], s[28:29]
.LBB157_95:                             ; =>This Inner Loop Header: Depth=1
	s_load_b96 s[40:42], s[26:27], 0x4
	s_load_b64 s[28:29], s[24:25], 0x0
	s_add_co_i32 s0, s0, -1
	s_wait_xcnt 0x0
	s_add_nc_u64 s[26:27], s[26:27], 12
	s_cmp_lg_u32 s0, 0
	s_add_nc_u64 s[24:25], s[24:25], 8
	s_wait_kmcnt 0x0
	v_mul_hi_u32 v4, s41, v1
	s_delay_alu instid0(VALU_DEP_1) | instskip(NEXT) | instid1(VALU_DEP_1)
	v_add_nc_u32_e32 v4, v1, v4
	v_lshrrev_b32_e32 v4, s42, v4
	s_delay_alu instid0(VALU_DEP_1) | instskip(NEXT) | instid1(VALU_DEP_1)
	v_mul_lo_u32 v5, v4, s40
	v_sub_nc_u32_e32 v1, v1, v5
	s_delay_alu instid0(VALU_DEP_1)
	v_mad_u32 v3, v1, s29, v3
	v_mad_u32 v2, v1, s28, v2
	v_mov_b32_e32 v1, v4
	s_cbranch_scc1 .LBB157_95
.LBB157_96:
	s_cbranch_execnz .LBB157_99
.LBB157_97:
	v_mov_b32_e32 v1, 0
	s_and_not1_b32 vcc_lo, exec_lo, s35
	s_delay_alu instid0(VALU_DEP_1) | instskip(NEXT) | instid1(VALU_DEP_1)
	v_mul_u64_e32 v[2:3], s[18:19], v[0:1]
	v_add_nc_u32_e32 v2, v0, v3
	s_delay_alu instid0(VALU_DEP_1) | instskip(NEXT) | instid1(VALU_DEP_1)
	v_lshrrev_b32_e32 v4, s10, v2
	v_mul_lo_u32 v2, v4, s8
	s_delay_alu instid0(VALU_DEP_1) | instskip(NEXT) | instid1(VALU_DEP_1)
	v_sub_nc_u32_e32 v2, v0, v2
	v_mul_lo_u32 v3, v2, s13
	v_mul_lo_u32 v2, v2, s12
	s_cbranch_vccnz .LBB157_99
; %bb.98:
	v_mov_b32_e32 v5, v1
	s_delay_alu instid0(VALU_DEP_1) | instskip(NEXT) | instid1(VALU_DEP_1)
	v_mul_u64_e32 v[6:7], s[20:21], v[4:5]
	v_add_nc_u32_e32 v1, v4, v7
	s_delay_alu instid0(VALU_DEP_1) | instskip(NEXT) | instid1(VALU_DEP_1)
	v_lshrrev_b32_e32 v1, s17, v1
	v_mul_lo_u32 v1, v1, s11
	s_delay_alu instid0(VALU_DEP_1) | instskip(NEXT) | instid1(VALU_DEP_1)
	v_sub_nc_u32_e32 v1, v4, v1
	v_mad_u32 v2, v1, s14, v2
	v_mad_u32 v3, v1, s15, v3
.LBB157_99:
	global_load_b32 v1, v3, s[6:7]
	s_and_not1_b32 vcc_lo, exec_lo, s16
	s_wait_loadcnt 0x0
	v_lshrrev_b32_e32 v3, 16, v1
	s_cbranch_vccnz .LBB157_109
; %bb.100:
	v_cmp_neq_f16_e32 vcc_lo, s1, v1
	s_delay_alu instid0(VALU_DEP_2)
	v_cmp_neq_f16_e64 s0, s9, v3
	s_or_b32 s24, vcc_lo, s0
	s_cbranch_execnz .LBB157_102
.LBB157_101:
	v_cmp_eq_f16_e32 vcc_lo, s1, v1
	s_delay_alu instid0(VALU_DEP_2) | instskip(SKIP_2) | instid1(SALU_CYCLE_1)
	v_cmp_eq_f16_e64 s0, s9, v3
	s_and_not1_b32 s24, s24, exec_lo
	s_and_b32 s0, vcc_lo, s0
	s_and_b32 s0, s0, exec_lo
	s_delay_alu instid0(SALU_CYCLE_1)
	s_or_b32 s24, s24, s0
.LBB157_102:
	s_delay_alu instid0(SALU_CYCLE_1) | instskip(SKIP_4) | instid1(SALU_CYCLE_1)
	v_cndmask_b32_e64 v1, 0, 1, s24
	v_add_nc_u32_e32 v0, 0x80, v0
	global_store_b8 v2, v1, s[4:5]
	s_wait_xcnt 0x0
	s_or_b32 exec_lo, exec_lo, s39
	s_mov_b32 s39, exec_lo
	v_cmpx_gt_i32_e64 s36, v0
	s_cbranch_execz .LBB157_7
.LBB157_103:
	s_and_not1_b32 vcc_lo, exec_lo, s33
	s_cbranch_vccnz .LBB157_108
; %bb.104:
	s_and_not1_b32 vcc_lo, exec_lo, s38
	s_cbranch_vccnz .LBB157_110
; %bb.105:
	s_add_co_i32 s0, s37, 1
	s_cmp_eq_u32 s31, 2
	s_cbranch_scc1 .LBB157_111
; %bb.106:
	v_dual_mov_b32 v2, 0 :: v_dual_mov_b32 v3, 0
	v_mov_b32_e32 v1, v0
	s_and_b32 s24, s0, 28
	s_mov_b32 s25, 0
	s_mov_b64 s[26:27], s[2:3]
	s_mov_b64 s[28:29], s[22:23]
.LBB157_107:                            ; =>This Inner Loop Header: Depth=1
	s_clause 0x1
	s_load_b256 s[40:47], s[26:27], 0x4
	s_load_b128 s[56:59], s[26:27], 0x24
	s_load_b256 s[48:55], s[28:29], 0x0
	s_add_co_i32 s25, s25, 4
	s_wait_xcnt 0x0
	s_add_nc_u64 s[26:27], s[26:27], 48
	s_cmp_eq_u32 s24, s25
	s_add_nc_u64 s[28:29], s[28:29], 32
	s_wait_kmcnt 0x0
	v_mul_hi_u32 v4, s41, v1
	s_delay_alu instid0(VALU_DEP_1) | instskip(NEXT) | instid1(VALU_DEP_1)
	v_add_nc_u32_e32 v4, v1, v4
	v_lshrrev_b32_e32 v4, s42, v4
	s_delay_alu instid0(VALU_DEP_1) | instskip(NEXT) | instid1(VALU_DEP_1)
	v_mul_hi_u32 v5, s44, v4
	v_add_nc_u32_e32 v5, v4, v5
	s_delay_alu instid0(VALU_DEP_1) | instskip(NEXT) | instid1(VALU_DEP_1)
	v_lshrrev_b32_e32 v5, s45, v5
	v_mul_hi_u32 v6, s47, v5
	s_delay_alu instid0(VALU_DEP_1) | instskip(SKIP_1) | instid1(VALU_DEP_1)
	v_add_nc_u32_e32 v6, v5, v6
	v_mul_lo_u32 v7, v4, s40
	v_sub_nc_u32_e32 v1, v1, v7
	v_mul_lo_u32 v7, v5, s43
	s_delay_alu instid0(VALU_DEP_4) | instskip(NEXT) | instid1(VALU_DEP_3)
	v_lshrrev_b32_e32 v6, s56, v6
	v_mad_u32 v3, v1, s49, v3
	v_mad_u32 v1, v1, s48, v2
	s_delay_alu instid0(VALU_DEP_4) | instskip(NEXT) | instid1(VALU_DEP_4)
	v_sub_nc_u32_e32 v2, v4, v7
	v_mul_hi_u32 v8, s58, v6
	v_mul_lo_u32 v4, v6, s46
	s_delay_alu instid0(VALU_DEP_3) | instskip(SKIP_1) | instid1(VALU_DEP_4)
	v_mad_u32 v3, v2, s51, v3
	v_mad_u32 v2, v2, s50, v1
	v_add_nc_u32_e32 v7, v6, v8
	s_delay_alu instid0(VALU_DEP_1) | instskip(NEXT) | instid1(VALU_DEP_1)
	v_dual_sub_nc_u32 v4, v5, v4 :: v_dual_lshrrev_b32 v1, s59, v7
	v_mad_u32 v3, v4, s53, v3
	s_delay_alu instid0(VALU_DEP_4) | instskip(NEXT) | instid1(VALU_DEP_3)
	v_mad_u32 v2, v4, s52, v2
	v_mul_lo_u32 v5, v1, s57
	s_delay_alu instid0(VALU_DEP_1) | instskip(NEXT) | instid1(VALU_DEP_1)
	v_sub_nc_u32_e32 v4, v6, v5
	v_mad_u32 v3, v4, s55, v3
	s_delay_alu instid0(VALU_DEP_4)
	v_mad_u32 v2, v4, s54, v2
	s_cbranch_scc0 .LBB157_107
	s_branch .LBB157_112
.LBB157_108:
                                        ; implicit-def: $vgpr3
	s_branch .LBB157_116
.LBB157_109:
                                        ; implicit-def: $sgpr24
	s_branch .LBB157_101
.LBB157_110:
	v_dual_mov_b32 v3, 0 :: v_dual_mov_b32 v2, 0
	s_branch .LBB157_115
.LBB157_111:
	v_mov_b64_e32 v[2:3], 0
	v_mov_b32_e32 v1, v0
	s_mov_b32 s24, 0
.LBB157_112:
	s_and_b32 s0, s0, 3
	s_mov_b32 s25, 0
	s_cmp_eq_u32 s0, 0
	s_cbranch_scc1 .LBB157_115
; %bb.113:
	s_lshl_b32 s26, s24, 3
	s_mov_b32 s27, s25
	s_mul_u64 s[28:29], s[24:25], 12
	s_add_nc_u64 s[26:27], s[2:3], s[26:27]
	s_delay_alu instid0(SALU_CYCLE_1)
	s_add_nc_u64 s[24:25], s[26:27], 0xc4
	s_add_nc_u64 s[26:27], s[2:3], s[28:29]
.LBB157_114:                            ; =>This Inner Loop Header: Depth=1
	s_load_b96 s[40:42], s[26:27], 0x4
	s_load_b64 s[28:29], s[24:25], 0x0
	s_add_co_i32 s0, s0, -1
	s_wait_xcnt 0x0
	s_add_nc_u64 s[26:27], s[26:27], 12
	s_cmp_lg_u32 s0, 0
	s_add_nc_u64 s[24:25], s[24:25], 8
	s_wait_kmcnt 0x0
	v_mul_hi_u32 v4, s41, v1
	s_delay_alu instid0(VALU_DEP_1) | instskip(NEXT) | instid1(VALU_DEP_1)
	v_add_nc_u32_e32 v4, v1, v4
	v_lshrrev_b32_e32 v4, s42, v4
	s_delay_alu instid0(VALU_DEP_1) | instskip(NEXT) | instid1(VALU_DEP_1)
	v_mul_lo_u32 v5, v4, s40
	v_sub_nc_u32_e32 v1, v1, v5
	s_delay_alu instid0(VALU_DEP_1)
	v_mad_u32 v3, v1, s29, v3
	v_mad_u32 v2, v1, s28, v2
	v_mov_b32_e32 v1, v4
	s_cbranch_scc1 .LBB157_114
.LBB157_115:
	s_cbranch_execnz .LBB157_118
.LBB157_116:
	v_mov_b32_e32 v1, 0
	s_and_not1_b32 vcc_lo, exec_lo, s35
	s_delay_alu instid0(VALU_DEP_1) | instskip(NEXT) | instid1(VALU_DEP_1)
	v_mul_u64_e32 v[2:3], s[18:19], v[0:1]
	v_add_nc_u32_e32 v2, v0, v3
	s_delay_alu instid0(VALU_DEP_1) | instskip(NEXT) | instid1(VALU_DEP_1)
	v_lshrrev_b32_e32 v4, s10, v2
	v_mul_lo_u32 v2, v4, s8
	s_delay_alu instid0(VALU_DEP_1) | instskip(NEXT) | instid1(VALU_DEP_1)
	v_sub_nc_u32_e32 v2, v0, v2
	v_mul_lo_u32 v3, v2, s13
	v_mul_lo_u32 v2, v2, s12
	s_cbranch_vccnz .LBB157_118
; %bb.117:
	v_mov_b32_e32 v5, v1
	s_delay_alu instid0(VALU_DEP_1) | instskip(NEXT) | instid1(VALU_DEP_1)
	v_mul_u64_e32 v[6:7], s[20:21], v[4:5]
	v_add_nc_u32_e32 v1, v4, v7
	s_delay_alu instid0(VALU_DEP_1) | instskip(NEXT) | instid1(VALU_DEP_1)
	v_lshrrev_b32_e32 v1, s17, v1
	v_mul_lo_u32 v1, v1, s11
	s_delay_alu instid0(VALU_DEP_1) | instskip(NEXT) | instid1(VALU_DEP_1)
	v_sub_nc_u32_e32 v1, v4, v1
	v_mad_u32 v2, v1, s14, v2
	v_mad_u32 v3, v1, s15, v3
.LBB157_118:
	global_load_b32 v1, v3, s[6:7]
	s_and_not1_b32 vcc_lo, exec_lo, s16
	s_wait_loadcnt 0x0
	v_lshrrev_b32_e32 v3, 16, v1
	s_cbranch_vccnz .LBB157_128
; %bb.119:
	v_cmp_neq_f16_e32 vcc_lo, s1, v1
	s_delay_alu instid0(VALU_DEP_2)
	v_cmp_neq_f16_e64 s0, s9, v3
	s_or_b32 s24, vcc_lo, s0
	s_cbranch_execnz .LBB157_121
.LBB157_120:
	v_cmp_eq_f16_e32 vcc_lo, s1, v1
	s_delay_alu instid0(VALU_DEP_2) | instskip(SKIP_2) | instid1(SALU_CYCLE_1)
	v_cmp_eq_f16_e64 s0, s9, v3
	s_and_not1_b32 s24, s24, exec_lo
	s_and_b32 s0, vcc_lo, s0
	s_and_b32 s0, s0, exec_lo
	s_delay_alu instid0(SALU_CYCLE_1)
	s_or_b32 s24, s24, s0
.LBB157_121:
	s_delay_alu instid0(SALU_CYCLE_1) | instskip(SKIP_4) | instid1(SALU_CYCLE_1)
	v_cndmask_b32_e64 v1, 0, 1, s24
	v_add_nc_u32_e32 v0, 0x80, v0
	global_store_b8 v2, v1, s[4:5]
	s_wait_xcnt 0x0
	s_or_b32 exec_lo, exec_lo, s39
	s_mov_b32 s39, exec_lo
	v_cmpx_gt_i32_e64 s36, v0
	s_cbranch_execz .LBB157_8
.LBB157_122:
	s_and_not1_b32 vcc_lo, exec_lo, s33
	s_cbranch_vccnz .LBB157_127
; %bb.123:
	s_and_not1_b32 vcc_lo, exec_lo, s38
	s_cbranch_vccnz .LBB157_129
; %bb.124:
	s_add_co_i32 s0, s37, 1
	s_cmp_eq_u32 s31, 2
	s_cbranch_scc1 .LBB157_130
; %bb.125:
	v_dual_mov_b32 v2, 0 :: v_dual_mov_b32 v3, 0
	v_mov_b32_e32 v1, v0
	s_and_b32 s24, s0, 28
	s_mov_b32 s25, 0
	s_mov_b64 s[26:27], s[2:3]
	s_mov_b64 s[28:29], s[22:23]
.LBB157_126:                            ; =>This Inner Loop Header: Depth=1
	s_clause 0x1
	s_load_b256 s[40:47], s[26:27], 0x4
	s_load_b128 s[56:59], s[26:27], 0x24
	s_load_b256 s[48:55], s[28:29], 0x0
	s_add_co_i32 s25, s25, 4
	s_wait_xcnt 0x0
	s_add_nc_u64 s[26:27], s[26:27], 48
	s_cmp_eq_u32 s24, s25
	s_add_nc_u64 s[28:29], s[28:29], 32
	s_wait_kmcnt 0x0
	v_mul_hi_u32 v4, s41, v1
	s_delay_alu instid0(VALU_DEP_1) | instskip(NEXT) | instid1(VALU_DEP_1)
	v_add_nc_u32_e32 v4, v1, v4
	v_lshrrev_b32_e32 v4, s42, v4
	s_delay_alu instid0(VALU_DEP_1) | instskip(NEXT) | instid1(VALU_DEP_1)
	v_mul_hi_u32 v5, s44, v4
	v_add_nc_u32_e32 v5, v4, v5
	s_delay_alu instid0(VALU_DEP_1) | instskip(NEXT) | instid1(VALU_DEP_1)
	v_lshrrev_b32_e32 v5, s45, v5
	v_mul_hi_u32 v6, s47, v5
	s_delay_alu instid0(VALU_DEP_1) | instskip(SKIP_1) | instid1(VALU_DEP_1)
	v_add_nc_u32_e32 v6, v5, v6
	v_mul_lo_u32 v7, v4, s40
	v_sub_nc_u32_e32 v1, v1, v7
	v_mul_lo_u32 v7, v5, s43
	s_delay_alu instid0(VALU_DEP_4) | instskip(NEXT) | instid1(VALU_DEP_3)
	v_lshrrev_b32_e32 v6, s56, v6
	v_mad_u32 v3, v1, s49, v3
	v_mad_u32 v1, v1, s48, v2
	s_delay_alu instid0(VALU_DEP_4) | instskip(NEXT) | instid1(VALU_DEP_4)
	v_sub_nc_u32_e32 v2, v4, v7
	v_mul_hi_u32 v8, s58, v6
	v_mul_lo_u32 v4, v6, s46
	s_delay_alu instid0(VALU_DEP_3) | instskip(SKIP_1) | instid1(VALU_DEP_4)
	v_mad_u32 v3, v2, s51, v3
	v_mad_u32 v2, v2, s50, v1
	v_add_nc_u32_e32 v7, v6, v8
	s_delay_alu instid0(VALU_DEP_1) | instskip(NEXT) | instid1(VALU_DEP_1)
	v_dual_sub_nc_u32 v4, v5, v4 :: v_dual_lshrrev_b32 v1, s59, v7
	v_mad_u32 v3, v4, s53, v3
	s_delay_alu instid0(VALU_DEP_4) | instskip(NEXT) | instid1(VALU_DEP_3)
	v_mad_u32 v2, v4, s52, v2
	v_mul_lo_u32 v5, v1, s57
	s_delay_alu instid0(VALU_DEP_1) | instskip(NEXT) | instid1(VALU_DEP_1)
	v_sub_nc_u32_e32 v4, v6, v5
	v_mad_u32 v3, v4, s55, v3
	s_delay_alu instid0(VALU_DEP_4)
	v_mad_u32 v2, v4, s54, v2
	s_cbranch_scc0 .LBB157_126
	s_branch .LBB157_131
.LBB157_127:
                                        ; implicit-def: $vgpr3
	s_branch .LBB157_135
.LBB157_128:
                                        ; implicit-def: $sgpr24
	s_branch .LBB157_120
.LBB157_129:
	v_dual_mov_b32 v3, 0 :: v_dual_mov_b32 v2, 0
	s_branch .LBB157_134
.LBB157_130:
	v_mov_b64_e32 v[2:3], 0
	v_mov_b32_e32 v1, v0
	s_mov_b32 s24, 0
.LBB157_131:
	s_and_b32 s0, s0, 3
	s_mov_b32 s25, 0
	s_cmp_eq_u32 s0, 0
	s_cbranch_scc1 .LBB157_134
; %bb.132:
	s_lshl_b32 s26, s24, 3
	s_mov_b32 s27, s25
	s_mul_u64 s[28:29], s[24:25], 12
	s_add_nc_u64 s[26:27], s[2:3], s[26:27]
	s_delay_alu instid0(SALU_CYCLE_1)
	s_add_nc_u64 s[24:25], s[26:27], 0xc4
	s_add_nc_u64 s[26:27], s[2:3], s[28:29]
.LBB157_133:                            ; =>This Inner Loop Header: Depth=1
	s_load_b96 s[40:42], s[26:27], 0x4
	s_load_b64 s[28:29], s[24:25], 0x0
	s_add_co_i32 s0, s0, -1
	s_wait_xcnt 0x0
	s_add_nc_u64 s[26:27], s[26:27], 12
	s_cmp_lg_u32 s0, 0
	s_add_nc_u64 s[24:25], s[24:25], 8
	s_wait_kmcnt 0x0
	v_mul_hi_u32 v4, s41, v1
	s_delay_alu instid0(VALU_DEP_1) | instskip(NEXT) | instid1(VALU_DEP_1)
	v_add_nc_u32_e32 v4, v1, v4
	v_lshrrev_b32_e32 v4, s42, v4
	s_delay_alu instid0(VALU_DEP_1) | instskip(NEXT) | instid1(VALU_DEP_1)
	v_mul_lo_u32 v5, v4, s40
	v_sub_nc_u32_e32 v1, v1, v5
	s_delay_alu instid0(VALU_DEP_1)
	v_mad_u32 v3, v1, s29, v3
	v_mad_u32 v2, v1, s28, v2
	v_mov_b32_e32 v1, v4
	s_cbranch_scc1 .LBB157_133
.LBB157_134:
	s_cbranch_execnz .LBB157_137
.LBB157_135:
	v_mov_b32_e32 v1, 0
	s_and_not1_b32 vcc_lo, exec_lo, s35
	s_delay_alu instid0(VALU_DEP_1) | instskip(NEXT) | instid1(VALU_DEP_1)
	v_mul_u64_e32 v[2:3], s[18:19], v[0:1]
	v_add_nc_u32_e32 v2, v0, v3
	s_delay_alu instid0(VALU_DEP_1) | instskip(NEXT) | instid1(VALU_DEP_1)
	v_lshrrev_b32_e32 v4, s10, v2
	v_mul_lo_u32 v2, v4, s8
	s_delay_alu instid0(VALU_DEP_1) | instskip(NEXT) | instid1(VALU_DEP_1)
	v_sub_nc_u32_e32 v2, v0, v2
	v_mul_lo_u32 v3, v2, s13
	v_mul_lo_u32 v2, v2, s12
	s_cbranch_vccnz .LBB157_137
; %bb.136:
	v_mov_b32_e32 v5, v1
	s_delay_alu instid0(VALU_DEP_1) | instskip(NEXT) | instid1(VALU_DEP_1)
	v_mul_u64_e32 v[6:7], s[20:21], v[4:5]
	v_add_nc_u32_e32 v1, v4, v7
	s_delay_alu instid0(VALU_DEP_1) | instskip(NEXT) | instid1(VALU_DEP_1)
	v_lshrrev_b32_e32 v1, s17, v1
	v_mul_lo_u32 v1, v1, s11
	s_delay_alu instid0(VALU_DEP_1) | instskip(NEXT) | instid1(VALU_DEP_1)
	v_sub_nc_u32_e32 v1, v4, v1
	v_mad_u32 v2, v1, s14, v2
	v_mad_u32 v3, v1, s15, v3
.LBB157_137:
	global_load_b32 v1, v3, s[6:7]
	s_and_not1_b32 vcc_lo, exec_lo, s16
	s_wait_loadcnt 0x0
	v_lshrrev_b32_e32 v3, 16, v1
	s_cbranch_vccnz .LBB157_147
; %bb.138:
	v_cmp_neq_f16_e32 vcc_lo, s1, v1
	s_delay_alu instid0(VALU_DEP_2)
	v_cmp_neq_f16_e64 s0, s9, v3
	s_or_b32 s24, vcc_lo, s0
	s_cbranch_execnz .LBB157_140
.LBB157_139:
	v_cmp_eq_f16_e32 vcc_lo, s1, v1
	s_delay_alu instid0(VALU_DEP_2) | instskip(SKIP_2) | instid1(SALU_CYCLE_1)
	v_cmp_eq_f16_e64 s0, s9, v3
	s_and_not1_b32 s24, s24, exec_lo
	s_and_b32 s0, vcc_lo, s0
	s_and_b32 s0, s0, exec_lo
	s_delay_alu instid0(SALU_CYCLE_1)
	s_or_b32 s24, s24, s0
.LBB157_140:
	s_delay_alu instid0(SALU_CYCLE_1) | instskip(SKIP_4) | instid1(SALU_CYCLE_1)
	v_cndmask_b32_e64 v1, 0, 1, s24
	v_add_nc_u32_e32 v0, 0x80, v0
	global_store_b8 v2, v1, s[4:5]
	s_wait_xcnt 0x0
	s_or_b32 exec_lo, exec_lo, s39
	s_mov_b32 s28, exec_lo
	v_cmpx_gt_i32_e64 s36, v0
	s_cbranch_execz .LBB157_160
.LBB157_141:
	s_and_not1_b32 vcc_lo, exec_lo, s33
	s_cbranch_vccnz .LBB157_146
; %bb.142:
	s_and_not1_b32 vcc_lo, exec_lo, s38
	s_cbranch_vccnz .LBB157_148
; %bb.143:
	s_add_co_i32 s37, s37, 1
	s_cmp_eq_u32 s31, 2
	s_cbranch_scc1 .LBB157_149
; %bb.144:
	v_dual_mov_b32 v2, 0 :: v_dual_mov_b32 v3, 0
	v_mov_b32_e32 v1, v0
	s_and_b32 s24, s37, 28
	s_mov_b32 s0, 0
	s_mov_b64 s[26:27], s[2:3]
.LBB157_145:                            ; =>This Inner Loop Header: Depth=1
	s_clause 0x1
	s_load_b256 s[40:47], s[26:27], 0x4
	s_load_b128 s[56:59], s[26:27], 0x24
	s_load_b256 s[48:55], s[22:23], 0x0
	s_add_co_i32 s0, s0, 4
	s_wait_xcnt 0x0
	s_add_nc_u64 s[26:27], s[26:27], 48
	s_cmp_eq_u32 s24, s0
	s_add_nc_u64 s[22:23], s[22:23], 32
	s_wait_kmcnt 0x0
	v_mul_hi_u32 v4, s41, v1
	s_delay_alu instid0(VALU_DEP_1) | instskip(NEXT) | instid1(VALU_DEP_1)
	v_add_nc_u32_e32 v4, v1, v4
	v_lshrrev_b32_e32 v4, s42, v4
	s_delay_alu instid0(VALU_DEP_1) | instskip(NEXT) | instid1(VALU_DEP_1)
	v_mul_hi_u32 v5, s44, v4
	v_add_nc_u32_e32 v5, v4, v5
	s_delay_alu instid0(VALU_DEP_1) | instskip(NEXT) | instid1(VALU_DEP_1)
	v_lshrrev_b32_e32 v5, s45, v5
	v_mul_hi_u32 v6, s47, v5
	s_delay_alu instid0(VALU_DEP_1) | instskip(SKIP_1) | instid1(VALU_DEP_1)
	v_add_nc_u32_e32 v6, v5, v6
	v_mul_lo_u32 v7, v4, s40
	v_sub_nc_u32_e32 v1, v1, v7
	v_mul_lo_u32 v7, v5, s43
	s_delay_alu instid0(VALU_DEP_4) | instskip(NEXT) | instid1(VALU_DEP_3)
	v_lshrrev_b32_e32 v6, s56, v6
	v_mad_u32 v3, v1, s49, v3
	v_mad_u32 v1, v1, s48, v2
	s_delay_alu instid0(VALU_DEP_4) | instskip(NEXT) | instid1(VALU_DEP_4)
	v_sub_nc_u32_e32 v2, v4, v7
	v_mul_hi_u32 v8, s58, v6
	v_mul_lo_u32 v4, v6, s46
	s_delay_alu instid0(VALU_DEP_3) | instskip(SKIP_1) | instid1(VALU_DEP_4)
	v_mad_u32 v3, v2, s51, v3
	v_mad_u32 v2, v2, s50, v1
	v_add_nc_u32_e32 v7, v6, v8
	s_delay_alu instid0(VALU_DEP_1) | instskip(NEXT) | instid1(VALU_DEP_1)
	v_dual_sub_nc_u32 v4, v5, v4 :: v_dual_lshrrev_b32 v1, s59, v7
	v_mad_u32 v3, v4, s53, v3
	s_delay_alu instid0(VALU_DEP_4) | instskip(NEXT) | instid1(VALU_DEP_3)
	v_mad_u32 v2, v4, s52, v2
	v_mul_lo_u32 v5, v1, s57
	s_delay_alu instid0(VALU_DEP_1) | instskip(NEXT) | instid1(VALU_DEP_1)
	v_sub_nc_u32_e32 v4, v6, v5
	v_mad_u32 v3, v4, s55, v3
	s_delay_alu instid0(VALU_DEP_4)
	v_mad_u32 v2, v4, s54, v2
	s_cbranch_scc0 .LBB157_145
	s_branch .LBB157_150
.LBB157_146:
                                        ; implicit-def: $vgpr3
	s_branch .LBB157_154
.LBB157_147:
                                        ; implicit-def: $sgpr24
	s_branch .LBB157_139
.LBB157_148:
	v_dual_mov_b32 v3, 0 :: v_dual_mov_b32 v2, 0
	s_branch .LBB157_153
.LBB157_149:
	v_mov_b64_e32 v[2:3], 0
	v_mov_b32_e32 v1, v0
	s_mov_b32 s24, 0
.LBB157_150:
	s_and_b32 s0, s37, 3
	s_mov_b32 s25, 0
	s_cmp_eq_u32 s0, 0
	s_cbranch_scc1 .LBB157_153
; %bb.151:
	s_lshl_b32 s22, s24, 3
	s_mov_b32 s23, s25
	s_mul_u64 s[24:25], s[24:25], 12
	s_add_nc_u64 s[22:23], s[2:3], s[22:23]
	s_add_nc_u64 s[24:25], s[2:3], s[24:25]
	;; [unrolled: 1-line block ×3, first 2 shown]
.LBB157_152:                            ; =>This Inner Loop Header: Depth=1
	s_load_b96 s[36:38], s[24:25], 0x4
	s_load_b64 s[26:27], s[22:23], 0x0
	s_add_co_i32 s0, s0, -1
	s_wait_xcnt 0x0
	s_add_nc_u64 s[24:25], s[24:25], 12
	s_cmp_lg_u32 s0, 0
	s_add_nc_u64 s[22:23], s[22:23], 8
	s_wait_kmcnt 0x0
	v_mul_hi_u32 v4, s37, v1
	s_delay_alu instid0(VALU_DEP_1) | instskip(NEXT) | instid1(VALU_DEP_1)
	v_add_nc_u32_e32 v4, v1, v4
	v_lshrrev_b32_e32 v4, s38, v4
	s_delay_alu instid0(VALU_DEP_1) | instskip(NEXT) | instid1(VALU_DEP_1)
	v_mul_lo_u32 v5, v4, s36
	v_sub_nc_u32_e32 v1, v1, v5
	s_delay_alu instid0(VALU_DEP_1)
	v_mad_u32 v3, v1, s27, v3
	v_mad_u32 v2, v1, s26, v2
	v_mov_b32_e32 v1, v4
	s_cbranch_scc1 .LBB157_152
.LBB157_153:
	s_cbranch_execnz .LBB157_156
.LBB157_154:
	v_mov_b32_e32 v1, 0
	s_and_not1_b32 vcc_lo, exec_lo, s35
	s_delay_alu instid0(VALU_DEP_1) | instskip(NEXT) | instid1(VALU_DEP_1)
	v_mul_u64_e32 v[2:3], s[18:19], v[0:1]
	v_add_nc_u32_e32 v2, v0, v3
	s_delay_alu instid0(VALU_DEP_1) | instskip(NEXT) | instid1(VALU_DEP_1)
	v_lshrrev_b32_e32 v4, s10, v2
	v_mul_lo_u32 v2, v4, s8
	s_delay_alu instid0(VALU_DEP_1) | instskip(NEXT) | instid1(VALU_DEP_1)
	v_sub_nc_u32_e32 v0, v0, v2
	v_mul_lo_u32 v3, v0, s13
	v_mul_lo_u32 v2, v0, s12
	s_cbranch_vccnz .LBB157_156
; %bb.155:
	v_mov_b32_e32 v5, v1
	s_delay_alu instid0(VALU_DEP_1) | instskip(NEXT) | instid1(VALU_DEP_1)
	v_mul_u64_e32 v[0:1], s[20:21], v[4:5]
	v_add_nc_u32_e32 v0, v4, v1
	s_delay_alu instid0(VALU_DEP_1) | instskip(NEXT) | instid1(VALU_DEP_1)
	v_lshrrev_b32_e32 v0, s17, v0
	v_mul_lo_u32 v0, v0, s11
	s_delay_alu instid0(VALU_DEP_1) | instskip(NEXT) | instid1(VALU_DEP_1)
	v_sub_nc_u32_e32 v0, v4, v0
	v_mad_u32 v2, v0, s14, v2
	v_mad_u32 v3, v0, s15, v3
.LBB157_156:
	global_load_b32 v0, v3, s[6:7]
	s_and_not1_b32 vcc_lo, exec_lo, s16
	s_wait_loadcnt 0x0
	v_lshrrev_b32_e32 v1, 16, v0
	s_cbranch_vccnz .LBB157_170
; %bb.157:
	v_cmp_neq_f16_e32 vcc_lo, s1, v0
	s_delay_alu instid0(VALU_DEP_2)
	v_cmp_neq_f16_e64 s0, s9, v1
	s_wait_xcnt 0x0
	s_or_b32 s6, vcc_lo, s0
	s_cbranch_execnz .LBB157_159
.LBB157_158:
	v_cmp_eq_f16_e32 vcc_lo, s1, v0
	s_delay_alu instid0(VALU_DEP_2) | instskip(SKIP_2) | instid1(SALU_CYCLE_1)
	v_cmp_eq_f16_e64 s0, s9, v1
	s_and_not1_b32 s1, s6, exec_lo
	s_and_b32 s0, vcc_lo, s0
	s_and_b32 s0, s0, exec_lo
	s_wait_xcnt 0x0
	s_or_b32 s6, s1, s0
.LBB157_159:
	s_delay_alu instid0(SALU_CYCLE_1)
	v_cndmask_b32_e64 v0, 0, 1, s6
	global_store_b8 v2, v0, s[4:5]
.LBB157_160:
	s_wait_xcnt 0x0
	s_or_b32 exec_lo, exec_lo, s28
                                        ; implicit-def: $vgpr16
                                        ; implicit-def: $vgpr0
.LBB157_161:
	s_and_not1_saveexec_b32 s0, s34
	s_cbranch_execz .LBB157_168
; %bb.162:
	v_cndmask_b32_e64 v14, 0, 1, s33
	s_and_not1_b32 vcc_lo, exec_lo, s33
	s_cbranch_vccnz .LBB157_169
; %bb.163:
	s_cmp_lg_u32 s30, 0
	s_mov_b32 s8, 0
	s_cbranch_scc0 .LBB157_171
; %bb.164:
	s_min_u32 s1, s31, 15
	s_delay_alu instid0(SALU_CYCLE_1)
	s_add_co_i32 s1, s1, 1
	s_cmp_eq_u32 s31, 2
	s_cbranch_scc1 .LBB157_172
; %bb.165:
	v_dual_mov_b32 v2, 0 :: v_dual_mov_b32 v3, 0
	v_mov_b32_e32 v1, v0
	s_and_b32 s0, s1, 28
	s_add_nc_u64 s[4:5], s[2:3], 0xc4
	s_mov_b32 s9, 0
	s_mov_b64 s[6:7], s[2:3]
.LBB157_166:                            ; =>This Inner Loop Header: Depth=1
	s_clause 0x1
	s_load_b256 s[12:19], s[6:7], 0x4
	s_load_b128 s[36:39], s[6:7], 0x24
	s_load_b256 s[20:27], s[4:5], 0x0
	s_add_co_i32 s9, s9, 4
	s_wait_xcnt 0x0
	s_add_nc_u64 s[6:7], s[6:7], 48
	s_cmp_lg_u32 s0, s9
	s_add_nc_u64 s[4:5], s[4:5], 32
	s_wait_kmcnt 0x0
	v_mul_hi_u32 v4, s13, v1
	s_delay_alu instid0(VALU_DEP_1) | instskip(NEXT) | instid1(VALU_DEP_1)
	v_add_nc_u32_e32 v4, v1, v4
	v_lshrrev_b32_e32 v4, s14, v4
	s_delay_alu instid0(VALU_DEP_1) | instskip(NEXT) | instid1(VALU_DEP_1)
	v_mul_hi_u32 v5, s16, v4
	v_add_nc_u32_e32 v5, v4, v5
	s_delay_alu instid0(VALU_DEP_1) | instskip(NEXT) | instid1(VALU_DEP_1)
	v_lshrrev_b32_e32 v5, s17, v5
	v_mul_hi_u32 v6, s19, v5
	s_delay_alu instid0(VALU_DEP_1) | instskip(SKIP_1) | instid1(VALU_DEP_1)
	v_add_nc_u32_e32 v6, v5, v6
	v_mul_lo_u32 v7, v4, s12
	v_sub_nc_u32_e32 v1, v1, v7
	v_mul_lo_u32 v7, v5, s15
	s_delay_alu instid0(VALU_DEP_4) | instskip(NEXT) | instid1(VALU_DEP_3)
	v_lshrrev_b32_e32 v6, s36, v6
	v_mad_u32 v3, v1, s21, v3
	v_mad_u32 v1, v1, s20, v2
	s_delay_alu instid0(VALU_DEP_4) | instskip(NEXT) | instid1(VALU_DEP_4)
	v_sub_nc_u32_e32 v2, v4, v7
	v_mul_hi_u32 v8, s38, v6
	v_mul_lo_u32 v4, v6, s18
	s_delay_alu instid0(VALU_DEP_3) | instskip(SKIP_1) | instid1(VALU_DEP_4)
	v_mad_u32 v3, v2, s23, v3
	v_mad_u32 v2, v2, s22, v1
	v_add_nc_u32_e32 v7, v6, v8
	s_delay_alu instid0(VALU_DEP_1) | instskip(NEXT) | instid1(VALU_DEP_1)
	v_dual_sub_nc_u32 v4, v5, v4 :: v_dual_lshrrev_b32 v1, s39, v7
	v_mad_u32 v3, v4, s25, v3
	s_delay_alu instid0(VALU_DEP_4) | instskip(NEXT) | instid1(VALU_DEP_3)
	v_mad_u32 v2, v4, s24, v2
	v_mul_lo_u32 v5, v1, s37
	s_delay_alu instid0(VALU_DEP_1) | instskip(NEXT) | instid1(VALU_DEP_1)
	v_sub_nc_u32_e32 v4, v6, v5
	v_mad_u32 v3, v4, s27, v3
	s_delay_alu instid0(VALU_DEP_4)
	v_mad_u32 v2, v4, s26, v2
	s_cbranch_scc1 .LBB157_166
; %bb.167:
	s_and_b32 s6, s1, 3
	s_mov_b32 s1, 0
	s_cmp_eq_u32 s6, 0
	s_cbranch_scc0 .LBB157_173
	s_branch .LBB157_175
.LBB157_168:
	s_endpgm
.LBB157_169:
	s_mov_b32 s8, -1
                                        ; implicit-def: $vgpr3
	s_branch .LBB157_175
.LBB157_170:
                                        ; implicit-def: $sgpr6
	s_branch .LBB157_158
.LBB157_171:
	v_dual_mov_b32 v3, 0 :: v_dual_mov_b32 v2, 0
	s_branch .LBB157_175
.LBB157_172:
	v_mov_b64_e32 v[2:3], 0
	v_mov_b32_e32 v1, v0
	s_mov_b32 s0, 0
	s_and_b32 s6, s1, 3
	s_mov_b32 s1, 0
	s_cmp_eq_u32 s6, 0
	s_cbranch_scc1 .LBB157_175
.LBB157_173:
	s_lshl_b32 s4, s0, 3
	s_mov_b32 s5, s1
	s_mul_u64 s[10:11], s[0:1], 12
	s_add_nc_u64 s[4:5], s[2:3], s[4:5]
	s_delay_alu instid0(SALU_CYCLE_1)
	s_add_nc_u64 s[0:1], s[4:5], 0xc4
	s_add_nc_u64 s[4:5], s[2:3], s[10:11]
.LBB157_174:                            ; =>This Inner Loop Header: Depth=1
	s_load_b96 s[12:14], s[4:5], 0x4
	s_load_b64 s[10:11], s[0:1], 0x0
	s_add_co_i32 s6, s6, -1
	s_wait_xcnt 0x0
	s_add_nc_u64 s[4:5], s[4:5], 12
	s_cmp_lg_u32 s6, 0
	s_add_nc_u64 s[0:1], s[0:1], 8
	s_wait_kmcnt 0x0
	v_mul_hi_u32 v4, s13, v1
	s_delay_alu instid0(VALU_DEP_1) | instskip(NEXT) | instid1(VALU_DEP_1)
	v_add_nc_u32_e32 v4, v1, v4
	v_lshrrev_b32_e32 v4, s14, v4
	s_delay_alu instid0(VALU_DEP_1) | instskip(NEXT) | instid1(VALU_DEP_1)
	v_mul_lo_u32 v5, v4, s12
	v_sub_nc_u32_e32 v1, v1, v5
	s_delay_alu instid0(VALU_DEP_1)
	v_mad_u32 v3, v1, s11, v3
	v_mad_u32 v2, v1, s10, v2
	v_mov_b32_e32 v1, v4
	s_cbranch_scc1 .LBB157_174
.LBB157_175:
	s_and_not1_b32 vcc_lo, exec_lo, s8
	s_cbranch_vccnz .LBB157_178
; %bb.176:
	s_clause 0x1
	s_load_b96 s[4:6], s[2:3], 0x4
	s_load_b64 s[0:1], s[2:3], 0xc4
	s_cmp_lt_u32 s30, 2
	s_wait_kmcnt 0x0
	v_mul_hi_u32 v1, s5, v0
	s_delay_alu instid0(VALU_DEP_1) | instskip(NEXT) | instid1(VALU_DEP_1)
	v_add_nc_u32_e32 v1, v0, v1
	v_lshrrev_b32_e32 v1, s6, v1
	s_delay_alu instid0(VALU_DEP_1) | instskip(NEXT) | instid1(VALU_DEP_1)
	v_mul_lo_u32 v2, v1, s4
	v_sub_nc_u32_e32 v2, v0, v2
	s_delay_alu instid0(VALU_DEP_1)
	v_mul_lo_u32 v3, v2, s1
	v_mul_lo_u32 v2, v2, s0
	s_cbranch_scc1 .LBB157_178
; %bb.177:
	s_clause 0x1
	s_load_b96 s[4:6], s[2:3], 0x10
	s_load_b64 s[0:1], s[2:3], 0xcc
	s_wait_kmcnt 0x0
	v_mul_hi_u32 v4, s5, v1
	s_delay_alu instid0(VALU_DEP_1) | instskip(NEXT) | instid1(VALU_DEP_1)
	v_add_nc_u32_e32 v4, v1, v4
	v_lshrrev_b32_e32 v4, s6, v4
	s_delay_alu instid0(VALU_DEP_1) | instskip(NEXT) | instid1(VALU_DEP_1)
	v_mul_lo_u32 v4, v4, s4
	v_sub_nc_u32_e32 v1, v1, v4
	s_delay_alu instid0(VALU_DEP_1)
	v_mad_u32 v2, v1, s0, v2
	v_mad_u32 v3, v1, s1, v3
.LBB157_178:
	v_cmp_ne_u32_e32 vcc_lo, 1, v14
	v_add_nc_u32_e32 v1, 0x80, v0
	s_cbranch_vccnz .LBB157_184
; %bb.179:
	s_cmp_lg_u32 s30, 0
	s_mov_b32 s8, 0
	s_cbranch_scc0 .LBB157_185
; %bb.180:
	s_min_u32 s1, s31, 15
	s_delay_alu instid0(SALU_CYCLE_1)
	s_add_co_i32 s1, s1, 1
	s_cmp_eq_u32 s31, 2
	s_cbranch_scc1 .LBB157_186
; %bb.181:
	v_dual_mov_b32 v4, 0 :: v_dual_mov_b32 v5, 0
	v_mov_b32_e32 v6, v1
	s_and_b32 s0, s1, 28
	s_add_nc_u64 s[4:5], s[2:3], 0xc4
	s_mov_b32 s9, 0
	s_mov_b64 s[6:7], s[2:3]
.LBB157_182:                            ; =>This Inner Loop Header: Depth=1
	s_clause 0x1
	s_load_b256 s[12:19], s[6:7], 0x4
	s_load_b128 s[36:39], s[6:7], 0x24
	s_load_b256 s[20:27], s[4:5], 0x0
	s_add_co_i32 s9, s9, 4
	s_wait_xcnt 0x0
	s_add_nc_u64 s[6:7], s[6:7], 48
	s_cmp_lg_u32 s0, s9
	s_add_nc_u64 s[4:5], s[4:5], 32
	s_wait_kmcnt 0x0
	v_mul_hi_u32 v7, s13, v6
	s_delay_alu instid0(VALU_DEP_1) | instskip(NEXT) | instid1(VALU_DEP_1)
	v_add_nc_u32_e32 v7, v6, v7
	v_lshrrev_b32_e32 v7, s14, v7
	s_delay_alu instid0(VALU_DEP_1) | instskip(NEXT) | instid1(VALU_DEP_1)
	v_mul_hi_u32 v8, s16, v7
	v_add_nc_u32_e32 v8, v7, v8
	s_delay_alu instid0(VALU_DEP_1) | instskip(NEXT) | instid1(VALU_DEP_1)
	v_lshrrev_b32_e32 v8, s17, v8
	v_mul_hi_u32 v9, s19, v8
	s_delay_alu instid0(VALU_DEP_1) | instskip(SKIP_1) | instid1(VALU_DEP_1)
	v_add_nc_u32_e32 v9, v8, v9
	v_mul_lo_u32 v10, v7, s12
	v_sub_nc_u32_e32 v6, v6, v10
	v_mul_lo_u32 v10, v8, s15
	s_delay_alu instid0(VALU_DEP_4) | instskip(NEXT) | instid1(VALU_DEP_3)
	v_lshrrev_b32_e32 v9, s36, v9
	v_mad_u32 v5, v6, s21, v5
	v_mad_u32 v4, v6, s20, v4
	s_delay_alu instid0(VALU_DEP_4) | instskip(NEXT) | instid1(VALU_DEP_4)
	v_sub_nc_u32_e32 v6, v7, v10
	v_mul_hi_u32 v11, s38, v9
	v_mul_lo_u32 v7, v9, s18
	s_delay_alu instid0(VALU_DEP_3) | instskip(SKIP_1) | instid1(VALU_DEP_4)
	v_mad_u32 v5, v6, s23, v5
	v_mad_u32 v4, v6, s22, v4
	v_add_nc_u32_e32 v10, v9, v11
	s_delay_alu instid0(VALU_DEP_1) | instskip(NEXT) | instid1(VALU_DEP_1)
	v_dual_sub_nc_u32 v7, v8, v7 :: v_dual_lshrrev_b32 v6, s39, v10
	v_mad_u32 v5, v7, s25, v5
	s_delay_alu instid0(VALU_DEP_4) | instskip(NEXT) | instid1(VALU_DEP_3)
	v_mad_u32 v4, v7, s24, v4
	v_mul_lo_u32 v8, v6, s37
	s_delay_alu instid0(VALU_DEP_1) | instskip(NEXT) | instid1(VALU_DEP_1)
	v_sub_nc_u32_e32 v7, v9, v8
	v_mad_u32 v5, v7, s27, v5
	s_delay_alu instid0(VALU_DEP_4)
	v_mad_u32 v4, v7, s26, v4
	s_cbranch_scc1 .LBB157_182
; %bb.183:
	s_and_b32 s6, s1, 3
	s_mov_b32 s1, 0
	s_cmp_eq_u32 s6, 0
	s_cbranch_scc0 .LBB157_187
	s_branch .LBB157_189
.LBB157_184:
	s_mov_b32 s8, -1
                                        ; implicit-def: $vgpr5
	s_branch .LBB157_189
.LBB157_185:
	v_dual_mov_b32 v5, 0 :: v_dual_mov_b32 v4, 0
	s_branch .LBB157_189
.LBB157_186:
	v_mov_b64_e32 v[4:5], 0
	v_mov_b32_e32 v6, v1
	s_mov_b32 s0, 0
	s_and_b32 s6, s1, 3
	s_mov_b32 s1, 0
	s_cmp_eq_u32 s6, 0
	s_cbranch_scc1 .LBB157_189
.LBB157_187:
	s_lshl_b32 s4, s0, 3
	s_mov_b32 s5, s1
	s_mul_u64 s[10:11], s[0:1], 12
	s_add_nc_u64 s[4:5], s[2:3], s[4:5]
	s_delay_alu instid0(SALU_CYCLE_1)
	s_add_nc_u64 s[0:1], s[4:5], 0xc4
	s_add_nc_u64 s[4:5], s[2:3], s[10:11]
.LBB157_188:                            ; =>This Inner Loop Header: Depth=1
	s_load_b96 s[12:14], s[4:5], 0x4
	s_load_b64 s[10:11], s[0:1], 0x0
	s_add_co_i32 s6, s6, -1
	s_wait_xcnt 0x0
	s_add_nc_u64 s[4:5], s[4:5], 12
	s_cmp_lg_u32 s6, 0
	s_add_nc_u64 s[0:1], s[0:1], 8
	s_wait_kmcnt 0x0
	v_mul_hi_u32 v7, s13, v6
	s_delay_alu instid0(VALU_DEP_1) | instskip(NEXT) | instid1(VALU_DEP_1)
	v_add_nc_u32_e32 v7, v6, v7
	v_lshrrev_b32_e32 v7, s14, v7
	s_delay_alu instid0(VALU_DEP_1) | instskip(NEXT) | instid1(VALU_DEP_1)
	v_mul_lo_u32 v8, v7, s12
	v_sub_nc_u32_e32 v6, v6, v8
	s_delay_alu instid0(VALU_DEP_1)
	v_mad_u32 v5, v6, s11, v5
	v_mad_u32 v4, v6, s10, v4
	v_mov_b32_e32 v6, v7
	s_cbranch_scc1 .LBB157_188
.LBB157_189:
	s_and_not1_b32 vcc_lo, exec_lo, s8
	s_cbranch_vccnz .LBB157_192
; %bb.190:
	s_clause 0x1
	s_load_b96 s[4:6], s[2:3], 0x4
	s_load_b64 s[0:1], s[2:3], 0xc4
	s_cmp_lt_u32 s30, 2
	s_wait_kmcnt 0x0
	v_mul_hi_u32 v4, s5, v1
	s_delay_alu instid0(VALU_DEP_1) | instskip(NEXT) | instid1(VALU_DEP_1)
	v_add_nc_u32_e32 v4, v1, v4
	v_lshrrev_b32_e32 v6, s6, v4
	s_delay_alu instid0(VALU_DEP_1) | instskip(NEXT) | instid1(VALU_DEP_1)
	v_mul_lo_u32 v4, v6, s4
	v_sub_nc_u32_e32 v1, v1, v4
	s_delay_alu instid0(VALU_DEP_1)
	v_mul_lo_u32 v5, v1, s1
	v_mul_lo_u32 v4, v1, s0
	s_cbranch_scc1 .LBB157_192
; %bb.191:
	s_clause 0x1
	s_load_b96 s[4:6], s[2:3], 0x10
	s_load_b64 s[0:1], s[2:3], 0xcc
	s_wait_kmcnt 0x0
	v_mul_hi_u32 v1, s5, v6
	s_delay_alu instid0(VALU_DEP_1) | instskip(NEXT) | instid1(VALU_DEP_1)
	v_add_nc_u32_e32 v1, v6, v1
	v_lshrrev_b32_e32 v1, s6, v1
	s_delay_alu instid0(VALU_DEP_1) | instskip(NEXT) | instid1(VALU_DEP_1)
	v_mul_lo_u32 v1, v1, s4
	v_sub_nc_u32_e32 v1, v6, v1
	s_delay_alu instid0(VALU_DEP_1)
	v_mad_u32 v4, v1, s0, v4
	v_mad_u32 v5, v1, s1, v5
.LBB157_192:
	v_cmp_ne_u32_e32 vcc_lo, 1, v14
	v_add_nc_u32_e32 v1, 0x100, v0
	s_cbranch_vccnz .LBB157_198
; %bb.193:
	s_cmp_lg_u32 s30, 0
	s_mov_b32 s8, 0
	s_cbranch_scc0 .LBB157_199
; %bb.194:
	s_min_u32 s1, s31, 15
	s_delay_alu instid0(SALU_CYCLE_1)
	s_add_co_i32 s1, s1, 1
	s_cmp_eq_u32 s31, 2
	s_cbranch_scc1 .LBB157_200
; %bb.195:
	v_dual_mov_b32 v6, 0 :: v_dual_mov_b32 v7, 0
	v_mov_b32_e32 v8, v1
	s_and_b32 s0, s1, 28
	s_add_nc_u64 s[4:5], s[2:3], 0xc4
	s_mov_b32 s9, 0
	s_mov_b64 s[6:7], s[2:3]
.LBB157_196:                            ; =>This Inner Loop Header: Depth=1
	s_clause 0x1
	s_load_b256 s[12:19], s[6:7], 0x4
	s_load_b128 s[36:39], s[6:7], 0x24
	s_load_b256 s[20:27], s[4:5], 0x0
	s_add_co_i32 s9, s9, 4
	s_wait_xcnt 0x0
	s_add_nc_u64 s[6:7], s[6:7], 48
	s_cmp_lg_u32 s0, s9
	s_add_nc_u64 s[4:5], s[4:5], 32
	s_wait_kmcnt 0x0
	v_mul_hi_u32 v9, s13, v8
	s_delay_alu instid0(VALU_DEP_1) | instskip(NEXT) | instid1(VALU_DEP_1)
	v_add_nc_u32_e32 v9, v8, v9
	v_lshrrev_b32_e32 v9, s14, v9
	s_delay_alu instid0(VALU_DEP_1) | instskip(NEXT) | instid1(VALU_DEP_1)
	v_mul_hi_u32 v10, s16, v9
	v_add_nc_u32_e32 v10, v9, v10
	s_delay_alu instid0(VALU_DEP_1) | instskip(NEXT) | instid1(VALU_DEP_1)
	v_lshrrev_b32_e32 v10, s17, v10
	v_mul_hi_u32 v11, s19, v10
	s_delay_alu instid0(VALU_DEP_1) | instskip(SKIP_1) | instid1(VALU_DEP_1)
	v_add_nc_u32_e32 v11, v10, v11
	v_mul_lo_u32 v12, v9, s12
	v_sub_nc_u32_e32 v8, v8, v12
	v_mul_lo_u32 v12, v10, s15
	s_delay_alu instid0(VALU_DEP_4) | instskip(NEXT) | instid1(VALU_DEP_3)
	v_lshrrev_b32_e32 v11, s36, v11
	v_mad_u32 v7, v8, s21, v7
	v_mad_u32 v6, v8, s20, v6
	s_delay_alu instid0(VALU_DEP_4) | instskip(NEXT) | instid1(VALU_DEP_4)
	v_sub_nc_u32_e32 v8, v9, v12
	v_mul_hi_u32 v13, s38, v11
	v_mul_lo_u32 v9, v11, s18
	s_delay_alu instid0(VALU_DEP_3) | instskip(SKIP_1) | instid1(VALU_DEP_4)
	v_mad_u32 v7, v8, s23, v7
	v_mad_u32 v6, v8, s22, v6
	v_add_nc_u32_e32 v12, v11, v13
	s_delay_alu instid0(VALU_DEP_1) | instskip(NEXT) | instid1(VALU_DEP_1)
	v_dual_sub_nc_u32 v9, v10, v9 :: v_dual_lshrrev_b32 v8, s39, v12
	v_mad_u32 v7, v9, s25, v7
	s_delay_alu instid0(VALU_DEP_4) | instskip(NEXT) | instid1(VALU_DEP_3)
	v_mad_u32 v6, v9, s24, v6
	v_mul_lo_u32 v10, v8, s37
	s_delay_alu instid0(VALU_DEP_1) | instskip(NEXT) | instid1(VALU_DEP_1)
	v_sub_nc_u32_e32 v9, v11, v10
	v_mad_u32 v7, v9, s27, v7
	s_delay_alu instid0(VALU_DEP_4)
	v_mad_u32 v6, v9, s26, v6
	s_cbranch_scc1 .LBB157_196
; %bb.197:
	s_and_b32 s6, s1, 3
	s_mov_b32 s1, 0
	s_cmp_eq_u32 s6, 0
	s_cbranch_scc0 .LBB157_201
	s_branch .LBB157_203
.LBB157_198:
	s_mov_b32 s8, -1
                                        ; implicit-def: $vgpr7
	s_branch .LBB157_203
.LBB157_199:
	v_dual_mov_b32 v7, 0 :: v_dual_mov_b32 v6, 0
	s_branch .LBB157_203
.LBB157_200:
	v_mov_b64_e32 v[6:7], 0
	v_mov_b32_e32 v8, v1
	s_mov_b32 s0, 0
	s_and_b32 s6, s1, 3
	s_mov_b32 s1, 0
	s_cmp_eq_u32 s6, 0
	s_cbranch_scc1 .LBB157_203
.LBB157_201:
	s_lshl_b32 s4, s0, 3
	s_mov_b32 s5, s1
	s_mul_u64 s[10:11], s[0:1], 12
	s_add_nc_u64 s[4:5], s[2:3], s[4:5]
	s_delay_alu instid0(SALU_CYCLE_1)
	s_add_nc_u64 s[0:1], s[4:5], 0xc4
	s_add_nc_u64 s[4:5], s[2:3], s[10:11]
.LBB157_202:                            ; =>This Inner Loop Header: Depth=1
	s_load_b96 s[12:14], s[4:5], 0x4
	s_load_b64 s[10:11], s[0:1], 0x0
	s_add_co_i32 s6, s6, -1
	s_wait_xcnt 0x0
	s_add_nc_u64 s[4:5], s[4:5], 12
	s_cmp_lg_u32 s6, 0
	s_add_nc_u64 s[0:1], s[0:1], 8
	s_wait_kmcnt 0x0
	v_mul_hi_u32 v9, s13, v8
	s_delay_alu instid0(VALU_DEP_1) | instskip(NEXT) | instid1(VALU_DEP_1)
	v_add_nc_u32_e32 v9, v8, v9
	v_lshrrev_b32_e32 v9, s14, v9
	s_delay_alu instid0(VALU_DEP_1) | instskip(NEXT) | instid1(VALU_DEP_1)
	v_mul_lo_u32 v10, v9, s12
	v_sub_nc_u32_e32 v8, v8, v10
	s_delay_alu instid0(VALU_DEP_1)
	v_mad_u32 v7, v8, s11, v7
	v_mad_u32 v6, v8, s10, v6
	v_mov_b32_e32 v8, v9
	s_cbranch_scc1 .LBB157_202
.LBB157_203:
	s_and_not1_b32 vcc_lo, exec_lo, s8
	s_cbranch_vccnz .LBB157_206
; %bb.204:
	s_clause 0x1
	s_load_b96 s[4:6], s[2:3], 0x4
	s_load_b64 s[0:1], s[2:3], 0xc4
	s_cmp_lt_u32 s30, 2
	s_wait_kmcnt 0x0
	v_mul_hi_u32 v6, s5, v1
	s_delay_alu instid0(VALU_DEP_1) | instskip(NEXT) | instid1(VALU_DEP_1)
	v_add_nc_u32_e32 v6, v1, v6
	v_lshrrev_b32_e32 v8, s6, v6
	s_delay_alu instid0(VALU_DEP_1) | instskip(NEXT) | instid1(VALU_DEP_1)
	v_mul_lo_u32 v6, v8, s4
	v_sub_nc_u32_e32 v1, v1, v6
	s_delay_alu instid0(VALU_DEP_1)
	v_mul_lo_u32 v7, v1, s1
	v_mul_lo_u32 v6, v1, s0
	s_cbranch_scc1 .LBB157_206
; %bb.205:
	s_clause 0x1
	s_load_b96 s[4:6], s[2:3], 0x10
	s_load_b64 s[0:1], s[2:3], 0xcc
	s_wait_kmcnt 0x0
	v_mul_hi_u32 v1, s5, v8
	s_delay_alu instid0(VALU_DEP_1) | instskip(NEXT) | instid1(VALU_DEP_1)
	v_add_nc_u32_e32 v1, v8, v1
	v_lshrrev_b32_e32 v1, s6, v1
	s_delay_alu instid0(VALU_DEP_1) | instskip(NEXT) | instid1(VALU_DEP_1)
	v_mul_lo_u32 v1, v1, s4
	v_sub_nc_u32_e32 v1, v8, v1
	s_delay_alu instid0(VALU_DEP_1)
	v_mad_u32 v6, v1, s0, v6
	v_mad_u32 v7, v1, s1, v7
.LBB157_206:
	v_cmp_ne_u32_e32 vcc_lo, 1, v14
	v_add_nc_u32_e32 v1, 0x180, v0
	s_cbranch_vccnz .LBB157_212
; %bb.207:
	s_cmp_lg_u32 s30, 0
	s_mov_b32 s8, 0
	s_cbranch_scc0 .LBB157_213
; %bb.208:
	s_min_u32 s1, s31, 15
	s_delay_alu instid0(SALU_CYCLE_1)
	s_add_co_i32 s1, s1, 1
	s_cmp_eq_u32 s31, 2
	s_cbranch_scc1 .LBB157_214
; %bb.209:
	v_dual_mov_b32 v8, 0 :: v_dual_mov_b32 v9, 0
	v_mov_b32_e32 v10, v1
	s_and_b32 s0, s1, 28
	s_add_nc_u64 s[4:5], s[2:3], 0xc4
	s_mov_b32 s9, 0
	s_mov_b64 s[6:7], s[2:3]
.LBB157_210:                            ; =>This Inner Loop Header: Depth=1
	s_clause 0x1
	s_load_b256 s[12:19], s[6:7], 0x4
	s_load_b128 s[36:39], s[6:7], 0x24
	s_load_b256 s[20:27], s[4:5], 0x0
	s_add_co_i32 s9, s9, 4
	s_wait_xcnt 0x0
	s_add_nc_u64 s[6:7], s[6:7], 48
	s_cmp_lg_u32 s0, s9
	s_add_nc_u64 s[4:5], s[4:5], 32
	s_wait_kmcnt 0x0
	v_mul_hi_u32 v11, s13, v10
	s_delay_alu instid0(VALU_DEP_1) | instskip(NEXT) | instid1(VALU_DEP_1)
	v_add_nc_u32_e32 v11, v10, v11
	v_lshrrev_b32_e32 v11, s14, v11
	s_delay_alu instid0(VALU_DEP_1) | instskip(NEXT) | instid1(VALU_DEP_1)
	v_mul_hi_u32 v12, s16, v11
	v_add_nc_u32_e32 v12, v11, v12
	s_delay_alu instid0(VALU_DEP_1) | instskip(NEXT) | instid1(VALU_DEP_1)
	v_lshrrev_b32_e32 v12, s17, v12
	v_mul_hi_u32 v13, s19, v12
	s_delay_alu instid0(VALU_DEP_1) | instskip(SKIP_1) | instid1(VALU_DEP_1)
	v_add_nc_u32_e32 v13, v12, v13
	v_mul_lo_u32 v15, v11, s12
	v_sub_nc_u32_e32 v10, v10, v15
	v_mul_lo_u32 v15, v12, s15
	s_delay_alu instid0(VALU_DEP_4) | instskip(NEXT) | instid1(VALU_DEP_3)
	v_lshrrev_b32_e32 v13, s36, v13
	v_mad_u32 v9, v10, s21, v9
	v_mad_u32 v8, v10, s20, v8
	s_delay_alu instid0(VALU_DEP_4) | instskip(NEXT) | instid1(VALU_DEP_4)
	v_sub_nc_u32_e32 v10, v11, v15
	v_mul_hi_u32 v17, s38, v13
	v_mul_lo_u32 v11, v13, s18
	s_delay_alu instid0(VALU_DEP_3) | instskip(SKIP_1) | instid1(VALU_DEP_3)
	v_mad_u32 v9, v10, s23, v9
	v_mad_u32 v8, v10, s22, v8
	v_dual_add_nc_u32 v15, v13, v17 :: v_dual_sub_nc_u32 v11, v12, v11
	s_delay_alu instid0(VALU_DEP_1) | instskip(NEXT) | instid1(VALU_DEP_2)
	v_lshrrev_b32_e32 v10, s39, v15
	v_mad_u32 v9, v11, s25, v9
	s_delay_alu instid0(VALU_DEP_4) | instskip(NEXT) | instid1(VALU_DEP_3)
	v_mad_u32 v8, v11, s24, v8
	v_mul_lo_u32 v12, v10, s37
	s_delay_alu instid0(VALU_DEP_1) | instskip(NEXT) | instid1(VALU_DEP_1)
	v_sub_nc_u32_e32 v11, v13, v12
	v_mad_u32 v9, v11, s27, v9
	s_delay_alu instid0(VALU_DEP_4)
	v_mad_u32 v8, v11, s26, v8
	s_cbranch_scc1 .LBB157_210
; %bb.211:
	s_and_b32 s6, s1, 3
	s_mov_b32 s1, 0
	s_cmp_eq_u32 s6, 0
	s_cbranch_scc0 .LBB157_215
	s_branch .LBB157_217
.LBB157_212:
	s_mov_b32 s8, -1
                                        ; implicit-def: $vgpr9
	s_branch .LBB157_217
.LBB157_213:
	v_dual_mov_b32 v9, 0 :: v_dual_mov_b32 v8, 0
	s_branch .LBB157_217
.LBB157_214:
	v_mov_b64_e32 v[8:9], 0
	v_mov_b32_e32 v10, v1
	s_mov_b32 s0, 0
	s_and_b32 s6, s1, 3
	s_mov_b32 s1, 0
	s_cmp_eq_u32 s6, 0
	s_cbranch_scc1 .LBB157_217
.LBB157_215:
	s_lshl_b32 s4, s0, 3
	s_mov_b32 s5, s1
	s_mul_u64 s[10:11], s[0:1], 12
	s_add_nc_u64 s[4:5], s[2:3], s[4:5]
	s_delay_alu instid0(SALU_CYCLE_1)
	s_add_nc_u64 s[0:1], s[4:5], 0xc4
	s_add_nc_u64 s[4:5], s[2:3], s[10:11]
.LBB157_216:                            ; =>This Inner Loop Header: Depth=1
	s_load_b96 s[12:14], s[4:5], 0x4
	s_load_b64 s[10:11], s[0:1], 0x0
	s_add_co_i32 s6, s6, -1
	s_wait_xcnt 0x0
	s_add_nc_u64 s[4:5], s[4:5], 12
	s_cmp_lg_u32 s6, 0
	s_add_nc_u64 s[0:1], s[0:1], 8
	s_wait_kmcnt 0x0
	v_mul_hi_u32 v11, s13, v10
	s_delay_alu instid0(VALU_DEP_1) | instskip(NEXT) | instid1(VALU_DEP_1)
	v_add_nc_u32_e32 v11, v10, v11
	v_lshrrev_b32_e32 v11, s14, v11
	s_delay_alu instid0(VALU_DEP_1) | instskip(NEXT) | instid1(VALU_DEP_1)
	v_mul_lo_u32 v12, v11, s12
	v_sub_nc_u32_e32 v10, v10, v12
	s_delay_alu instid0(VALU_DEP_1)
	v_mad_u32 v9, v10, s11, v9
	v_mad_u32 v8, v10, s10, v8
	v_mov_b32_e32 v10, v11
	s_cbranch_scc1 .LBB157_216
.LBB157_217:
	s_and_not1_b32 vcc_lo, exec_lo, s8
	s_cbranch_vccnz .LBB157_220
; %bb.218:
	s_clause 0x1
	s_load_b96 s[4:6], s[2:3], 0x4
	s_load_b64 s[0:1], s[2:3], 0xc4
	s_cmp_lt_u32 s30, 2
	s_wait_kmcnt 0x0
	v_mul_hi_u32 v8, s5, v1
	s_delay_alu instid0(VALU_DEP_1) | instskip(NEXT) | instid1(VALU_DEP_1)
	v_add_nc_u32_e32 v8, v1, v8
	v_lshrrev_b32_e32 v10, s6, v8
	s_delay_alu instid0(VALU_DEP_1) | instskip(NEXT) | instid1(VALU_DEP_1)
	v_mul_lo_u32 v8, v10, s4
	v_sub_nc_u32_e32 v1, v1, v8
	s_delay_alu instid0(VALU_DEP_1)
	v_mul_lo_u32 v9, v1, s1
	v_mul_lo_u32 v8, v1, s0
	s_cbranch_scc1 .LBB157_220
; %bb.219:
	s_clause 0x1
	s_load_b96 s[4:6], s[2:3], 0x10
	s_load_b64 s[0:1], s[2:3], 0xcc
	s_wait_kmcnt 0x0
	v_mul_hi_u32 v1, s5, v10
	s_delay_alu instid0(VALU_DEP_1) | instskip(NEXT) | instid1(VALU_DEP_1)
	v_add_nc_u32_e32 v1, v10, v1
	v_lshrrev_b32_e32 v1, s6, v1
	s_delay_alu instid0(VALU_DEP_1) | instskip(NEXT) | instid1(VALU_DEP_1)
	v_mul_lo_u32 v1, v1, s4
	v_sub_nc_u32_e32 v1, v10, v1
	s_delay_alu instid0(VALU_DEP_1)
	v_mad_u32 v8, v1, s0, v8
	v_mad_u32 v9, v1, s1, v9
.LBB157_220:
	v_cmp_ne_u32_e32 vcc_lo, 1, v14
	v_add_nc_u32_e32 v1, 0x200, v0
	s_cbranch_vccnz .LBB157_226
; %bb.221:
	s_cmp_lg_u32 s30, 0
	s_mov_b32 s8, 0
	s_cbranch_scc0 .LBB157_227
; %bb.222:
	s_min_u32 s1, s31, 15
	s_delay_alu instid0(SALU_CYCLE_1)
	s_add_co_i32 s1, s1, 1
	s_cmp_eq_u32 s31, 2
	s_cbranch_scc1 .LBB157_228
; %bb.223:
	v_dual_mov_b32 v10, 0 :: v_dual_mov_b32 v11, 0
	v_mov_b32_e32 v12, v1
	s_and_b32 s0, s1, 28
	s_add_nc_u64 s[4:5], s[2:3], 0xc4
	s_mov_b32 s9, 0
	s_mov_b64 s[6:7], s[2:3]
.LBB157_224:                            ; =>This Inner Loop Header: Depth=1
	s_clause 0x1
	s_load_b256 s[12:19], s[6:7], 0x4
	s_load_b128 s[36:39], s[6:7], 0x24
	s_load_b256 s[20:27], s[4:5], 0x0
	s_add_co_i32 s9, s9, 4
	s_wait_xcnt 0x0
	s_add_nc_u64 s[6:7], s[6:7], 48
	s_cmp_lg_u32 s0, s9
	s_add_nc_u64 s[4:5], s[4:5], 32
	s_wait_kmcnt 0x0
	v_mul_hi_u32 v13, s13, v12
	s_delay_alu instid0(VALU_DEP_1) | instskip(NEXT) | instid1(VALU_DEP_1)
	v_add_nc_u32_e32 v13, v12, v13
	v_lshrrev_b32_e32 v13, s14, v13
	s_delay_alu instid0(VALU_DEP_1) | instskip(NEXT) | instid1(VALU_DEP_1)
	v_mul_lo_u32 v18, v13, s12
	v_sub_nc_u32_e32 v12, v12, v18
	v_mul_hi_u32 v15, s16, v13
	s_delay_alu instid0(VALU_DEP_2) | instskip(SKIP_1) | instid1(VALU_DEP_3)
	v_mad_u32 v11, v12, s21, v11
	v_mad_u32 v10, v12, s20, v10
	v_add_nc_u32_e32 v15, v13, v15
	s_delay_alu instid0(VALU_DEP_1) | instskip(NEXT) | instid1(VALU_DEP_1)
	v_lshrrev_b32_e32 v15, s17, v15
	v_mul_hi_u32 v17, s19, v15
	v_mul_lo_u32 v18, v15, s15
	s_delay_alu instid0(VALU_DEP_1) | instskip(NEXT) | instid1(VALU_DEP_1)
	v_dual_add_nc_u32 v17, v15, v17 :: v_dual_sub_nc_u32 v12, v13, v18
	v_lshrrev_b32_e32 v17, s36, v17
	s_delay_alu instid0(VALU_DEP_2) | instskip(SKIP_1) | instid1(VALU_DEP_3)
	v_mad_u32 v11, v12, s23, v11
	v_mad_u32 v10, v12, s22, v10
	v_mul_hi_u32 v19, s38, v17
	v_mul_lo_u32 v13, v17, s18
	s_delay_alu instid0(VALU_DEP_1) | instskip(NEXT) | instid1(VALU_DEP_1)
	v_dual_add_nc_u32 v18, v17, v19 :: v_dual_sub_nc_u32 v13, v15, v13
	v_lshrrev_b32_e32 v12, s39, v18
	s_delay_alu instid0(VALU_DEP_2) | instskip(SKIP_1) | instid1(VALU_DEP_3)
	v_mad_u32 v11, v13, s25, v11
	v_mad_u32 v10, v13, s24, v10
	v_mul_lo_u32 v15, v12, s37
	s_delay_alu instid0(VALU_DEP_1) | instskip(NEXT) | instid1(VALU_DEP_1)
	v_sub_nc_u32_e32 v13, v17, v15
	v_mad_u32 v11, v13, s27, v11
	s_delay_alu instid0(VALU_DEP_4)
	v_mad_u32 v10, v13, s26, v10
	s_cbranch_scc1 .LBB157_224
; %bb.225:
	s_and_b32 s6, s1, 3
	s_mov_b32 s1, 0
	s_cmp_eq_u32 s6, 0
	s_cbranch_scc0 .LBB157_229
	s_branch .LBB157_231
.LBB157_226:
	s_mov_b32 s8, -1
                                        ; implicit-def: $vgpr11
	s_branch .LBB157_231
.LBB157_227:
	v_dual_mov_b32 v11, 0 :: v_dual_mov_b32 v10, 0
	s_branch .LBB157_231
.LBB157_228:
	v_mov_b64_e32 v[10:11], 0
	v_mov_b32_e32 v12, v1
	s_mov_b32 s0, 0
	s_and_b32 s6, s1, 3
	s_mov_b32 s1, 0
	s_cmp_eq_u32 s6, 0
	s_cbranch_scc1 .LBB157_231
.LBB157_229:
	s_lshl_b32 s4, s0, 3
	s_mov_b32 s5, s1
	s_mul_u64 s[10:11], s[0:1], 12
	s_add_nc_u64 s[4:5], s[2:3], s[4:5]
	s_delay_alu instid0(SALU_CYCLE_1)
	s_add_nc_u64 s[0:1], s[4:5], 0xc4
	s_add_nc_u64 s[4:5], s[2:3], s[10:11]
.LBB157_230:                            ; =>This Inner Loop Header: Depth=1
	s_load_b96 s[12:14], s[4:5], 0x4
	s_load_b64 s[10:11], s[0:1], 0x0
	s_add_co_i32 s6, s6, -1
	s_wait_xcnt 0x0
	s_add_nc_u64 s[4:5], s[4:5], 12
	s_cmp_lg_u32 s6, 0
	s_add_nc_u64 s[0:1], s[0:1], 8
	s_wait_kmcnt 0x0
	v_mul_hi_u32 v13, s13, v12
	s_delay_alu instid0(VALU_DEP_1) | instskip(NEXT) | instid1(VALU_DEP_1)
	v_add_nc_u32_e32 v13, v12, v13
	v_lshrrev_b32_e32 v13, s14, v13
	s_delay_alu instid0(VALU_DEP_1) | instskip(NEXT) | instid1(VALU_DEP_1)
	v_mul_lo_u32 v15, v13, s12
	v_sub_nc_u32_e32 v12, v12, v15
	s_delay_alu instid0(VALU_DEP_1)
	v_mad_u32 v11, v12, s11, v11
	v_mad_u32 v10, v12, s10, v10
	v_mov_b32_e32 v12, v13
	s_cbranch_scc1 .LBB157_230
.LBB157_231:
	s_and_not1_b32 vcc_lo, exec_lo, s8
	s_cbranch_vccnz .LBB157_234
; %bb.232:
	s_clause 0x1
	s_load_b96 s[4:6], s[2:3], 0x4
	s_load_b64 s[0:1], s[2:3], 0xc4
	s_cmp_lt_u32 s30, 2
	s_wait_kmcnt 0x0
	v_mul_hi_u32 v10, s5, v1
	s_delay_alu instid0(VALU_DEP_1) | instskip(NEXT) | instid1(VALU_DEP_1)
	v_add_nc_u32_e32 v10, v1, v10
	v_lshrrev_b32_e32 v12, s6, v10
	s_delay_alu instid0(VALU_DEP_1) | instskip(NEXT) | instid1(VALU_DEP_1)
	v_mul_lo_u32 v10, v12, s4
	v_sub_nc_u32_e32 v1, v1, v10
	s_delay_alu instid0(VALU_DEP_1)
	v_mul_lo_u32 v11, v1, s1
	v_mul_lo_u32 v10, v1, s0
	s_cbranch_scc1 .LBB157_234
; %bb.233:
	s_clause 0x1
	s_load_b96 s[4:6], s[2:3], 0x10
	s_load_b64 s[0:1], s[2:3], 0xcc
	s_wait_kmcnt 0x0
	v_mul_hi_u32 v1, s5, v12
	s_delay_alu instid0(VALU_DEP_1) | instskip(NEXT) | instid1(VALU_DEP_1)
	v_add_nc_u32_e32 v1, v12, v1
	v_lshrrev_b32_e32 v1, s6, v1
	s_delay_alu instid0(VALU_DEP_1) | instskip(NEXT) | instid1(VALU_DEP_1)
	v_mul_lo_u32 v1, v1, s4
	v_sub_nc_u32_e32 v1, v12, v1
	s_delay_alu instid0(VALU_DEP_1)
	v_mad_u32 v10, v1, s0, v10
	v_mad_u32 v11, v1, s1, v11
.LBB157_234:
	v_cmp_ne_u32_e32 vcc_lo, 1, v14
	v_add_nc_u32_e32 v1, 0x280, v0
	s_cbranch_vccnz .LBB157_240
; %bb.235:
	s_cmp_lg_u32 s30, 0
	s_mov_b32 s8, 0
	s_cbranch_scc0 .LBB157_241
; %bb.236:
	s_min_u32 s1, s31, 15
	s_delay_alu instid0(SALU_CYCLE_1)
	s_add_co_i32 s1, s1, 1
	s_cmp_eq_u32 s31, 2
	s_cbranch_scc1 .LBB157_242
; %bb.237:
	v_dual_mov_b32 v12, 0 :: v_dual_mov_b32 v13, 0
	v_mov_b32_e32 v15, v1
	s_and_b32 s0, s1, 28
	s_add_nc_u64 s[4:5], s[2:3], 0xc4
	s_mov_b32 s9, 0
	s_mov_b64 s[6:7], s[2:3]
.LBB157_238:                            ; =>This Inner Loop Header: Depth=1
	s_clause 0x1
	s_load_b256 s[12:19], s[6:7], 0x4
	s_load_b128 s[36:39], s[6:7], 0x24
	s_load_b256 s[20:27], s[4:5], 0x0
	s_add_co_i32 s9, s9, 4
	s_wait_xcnt 0x0
	s_add_nc_u64 s[6:7], s[6:7], 48
	s_cmp_lg_u32 s0, s9
	s_add_nc_u64 s[4:5], s[4:5], 32
	s_wait_kmcnt 0x0
	v_mul_hi_u32 v17, s13, v15
	s_delay_alu instid0(VALU_DEP_1) | instskip(NEXT) | instid1(VALU_DEP_1)
	v_add_nc_u32_e32 v17, v15, v17
	v_lshrrev_b32_e32 v17, s14, v17
	s_delay_alu instid0(VALU_DEP_1) | instskip(NEXT) | instid1(VALU_DEP_1)
	v_mul_hi_u32 v18, s16, v17
	v_add_nc_u32_e32 v18, v17, v18
	s_delay_alu instid0(VALU_DEP_1) | instskip(NEXT) | instid1(VALU_DEP_1)
	v_lshrrev_b32_e32 v18, s17, v18
	v_mul_hi_u32 v19, s19, v18
	s_delay_alu instid0(VALU_DEP_1) | instskip(SKIP_1) | instid1(VALU_DEP_1)
	v_add_nc_u32_e32 v19, v18, v19
	v_mul_lo_u32 v20, v17, s12
	v_sub_nc_u32_e32 v15, v15, v20
	v_mul_lo_u32 v20, v18, s15
	s_delay_alu instid0(VALU_DEP_4) | instskip(NEXT) | instid1(VALU_DEP_3)
	v_lshrrev_b32_e32 v19, s36, v19
	v_mad_u32 v13, v15, s21, v13
	v_mad_u32 v12, v15, s20, v12
	s_delay_alu instid0(VALU_DEP_4) | instskip(NEXT) | instid1(VALU_DEP_4)
	v_sub_nc_u32_e32 v15, v17, v20
	v_mul_hi_u32 v21, s38, v19
	v_mul_lo_u32 v17, v19, s18
	s_delay_alu instid0(VALU_DEP_3) | instskip(SKIP_1) | instid1(VALU_DEP_4)
	v_mad_u32 v13, v15, s23, v13
	v_mad_u32 v12, v15, s22, v12
	v_add_nc_u32_e32 v20, v19, v21
	s_delay_alu instid0(VALU_DEP_1) | instskip(NEXT) | instid1(VALU_DEP_1)
	v_dual_sub_nc_u32 v17, v18, v17 :: v_dual_lshrrev_b32 v15, s39, v20
	v_mad_u32 v13, v17, s25, v13
	s_delay_alu instid0(VALU_DEP_4) | instskip(NEXT) | instid1(VALU_DEP_3)
	v_mad_u32 v12, v17, s24, v12
	v_mul_lo_u32 v18, v15, s37
	s_delay_alu instid0(VALU_DEP_1) | instskip(NEXT) | instid1(VALU_DEP_1)
	v_sub_nc_u32_e32 v17, v19, v18
	v_mad_u32 v13, v17, s27, v13
	s_delay_alu instid0(VALU_DEP_4)
	v_mad_u32 v12, v17, s26, v12
	s_cbranch_scc1 .LBB157_238
; %bb.239:
	s_and_b32 s6, s1, 3
	s_mov_b32 s1, 0
	s_cmp_eq_u32 s6, 0
	s_cbranch_scc0 .LBB157_243
	s_branch .LBB157_245
.LBB157_240:
	s_mov_b32 s8, -1
                                        ; implicit-def: $vgpr13
	s_branch .LBB157_245
.LBB157_241:
	v_dual_mov_b32 v13, 0 :: v_dual_mov_b32 v12, 0
	s_branch .LBB157_245
.LBB157_242:
	v_mov_b64_e32 v[12:13], 0
	v_mov_b32_e32 v15, v1
	s_mov_b32 s0, 0
	s_and_b32 s6, s1, 3
	s_mov_b32 s1, 0
	s_cmp_eq_u32 s6, 0
	s_cbranch_scc1 .LBB157_245
.LBB157_243:
	s_lshl_b32 s4, s0, 3
	s_mov_b32 s5, s1
	s_mul_u64 s[10:11], s[0:1], 12
	s_add_nc_u64 s[4:5], s[2:3], s[4:5]
	s_delay_alu instid0(SALU_CYCLE_1)
	s_add_nc_u64 s[0:1], s[4:5], 0xc4
	s_add_nc_u64 s[4:5], s[2:3], s[10:11]
.LBB157_244:                            ; =>This Inner Loop Header: Depth=1
	s_load_b96 s[12:14], s[4:5], 0x4
	s_load_b64 s[10:11], s[0:1], 0x0
	s_add_co_i32 s6, s6, -1
	s_wait_xcnt 0x0
	s_add_nc_u64 s[4:5], s[4:5], 12
	s_cmp_lg_u32 s6, 0
	s_add_nc_u64 s[0:1], s[0:1], 8
	s_wait_kmcnt 0x0
	v_mul_hi_u32 v17, s13, v15
	s_delay_alu instid0(VALU_DEP_1) | instskip(NEXT) | instid1(VALU_DEP_1)
	v_add_nc_u32_e32 v17, v15, v17
	v_lshrrev_b32_e32 v17, s14, v17
	s_delay_alu instid0(VALU_DEP_1) | instskip(NEXT) | instid1(VALU_DEP_1)
	v_mul_lo_u32 v18, v17, s12
	v_sub_nc_u32_e32 v15, v15, v18
	s_delay_alu instid0(VALU_DEP_1)
	v_mad_u32 v13, v15, s11, v13
	v_mad_u32 v12, v15, s10, v12
	v_mov_b32_e32 v15, v17
	s_cbranch_scc1 .LBB157_244
.LBB157_245:
	s_and_not1_b32 vcc_lo, exec_lo, s8
	s_cbranch_vccnz .LBB157_248
; %bb.246:
	s_clause 0x1
	s_load_b96 s[4:6], s[2:3], 0x4
	s_load_b64 s[0:1], s[2:3], 0xc4
	s_cmp_lt_u32 s30, 2
	s_wait_kmcnt 0x0
	v_mul_hi_u32 v12, s5, v1
	s_delay_alu instid0(VALU_DEP_1) | instskip(NEXT) | instid1(VALU_DEP_1)
	v_add_nc_u32_e32 v12, v1, v12
	v_lshrrev_b32_e32 v15, s6, v12
	s_delay_alu instid0(VALU_DEP_1) | instskip(NEXT) | instid1(VALU_DEP_1)
	v_mul_lo_u32 v12, v15, s4
	v_sub_nc_u32_e32 v1, v1, v12
	s_delay_alu instid0(VALU_DEP_1)
	v_mul_lo_u32 v13, v1, s1
	v_mul_lo_u32 v12, v1, s0
	s_cbranch_scc1 .LBB157_248
; %bb.247:
	s_clause 0x1
	s_load_b96 s[4:6], s[2:3], 0x10
	s_load_b64 s[0:1], s[2:3], 0xcc
	s_wait_kmcnt 0x0
	v_mul_hi_u32 v1, s5, v15
	s_delay_alu instid0(VALU_DEP_1) | instskip(NEXT) | instid1(VALU_DEP_1)
	v_add_nc_u32_e32 v1, v15, v1
	v_lshrrev_b32_e32 v1, s6, v1
	s_delay_alu instid0(VALU_DEP_1) | instskip(NEXT) | instid1(VALU_DEP_1)
	v_mul_lo_u32 v1, v1, s4
	v_sub_nc_u32_e32 v1, v15, v1
	s_delay_alu instid0(VALU_DEP_1)
	v_mad_u32 v12, v1, s0, v12
	v_mad_u32 v13, v1, s1, v13
.LBB157_248:
	v_cmp_ne_u32_e32 vcc_lo, 1, v14
	v_add_nc_u32_e32 v15, 0x300, v0
	s_cbranch_vccnz .LBB157_254
; %bb.249:
	s_cmp_lg_u32 s30, 0
	s_mov_b32 s8, 0
	s_cbranch_scc0 .LBB157_255
; %bb.250:
	s_min_u32 s1, s31, 15
	s_delay_alu instid0(SALU_CYCLE_1)
	s_add_co_i32 s1, s1, 1
	s_cmp_eq_u32 s31, 2
	s_cbranch_scc1 .LBB157_256
; %bb.251:
	v_dual_mov_b32 v0, 0 :: v_dual_mov_b32 v1, 0
	v_mov_b32_e32 v17, v15
	s_and_b32 s0, s1, 28
	s_add_nc_u64 s[4:5], s[2:3], 0xc4
	s_mov_b32 s9, 0
	s_mov_b64 s[6:7], s[2:3]
.LBB157_252:                            ; =>This Inner Loop Header: Depth=1
	s_clause 0x1
	s_load_b256 s[12:19], s[6:7], 0x4
	s_load_b128 s[36:39], s[6:7], 0x24
	s_load_b256 s[20:27], s[4:5], 0x0
	s_add_co_i32 s9, s9, 4
	s_wait_xcnt 0x0
	s_add_nc_u64 s[6:7], s[6:7], 48
	s_cmp_lg_u32 s0, s9
	s_add_nc_u64 s[4:5], s[4:5], 32
	s_wait_kmcnt 0x0
	v_mul_hi_u32 v18, s13, v17
	s_delay_alu instid0(VALU_DEP_1) | instskip(NEXT) | instid1(VALU_DEP_1)
	v_add_nc_u32_e32 v18, v17, v18
	v_lshrrev_b32_e32 v18, s14, v18
	s_delay_alu instid0(VALU_DEP_1) | instskip(NEXT) | instid1(VALU_DEP_1)
	v_mul_hi_u32 v19, s16, v18
	v_add_nc_u32_e32 v19, v18, v19
	s_delay_alu instid0(VALU_DEP_1) | instskip(NEXT) | instid1(VALU_DEP_1)
	v_lshrrev_b32_e32 v19, s17, v19
	v_mul_hi_u32 v20, s19, v19
	s_delay_alu instid0(VALU_DEP_1) | instskip(SKIP_1) | instid1(VALU_DEP_1)
	v_add_nc_u32_e32 v20, v19, v20
	v_mul_lo_u32 v21, v18, s12
	v_sub_nc_u32_e32 v17, v17, v21
	v_mul_lo_u32 v21, v19, s15
	s_delay_alu instid0(VALU_DEP_4) | instskip(NEXT) | instid1(VALU_DEP_3)
	v_lshrrev_b32_e32 v20, s36, v20
	v_mad_u32 v1, v17, s21, v1
	v_mad_u32 v0, v17, s20, v0
	s_delay_alu instid0(VALU_DEP_4) | instskip(NEXT) | instid1(VALU_DEP_4)
	v_sub_nc_u32_e32 v17, v18, v21
	v_mul_hi_u32 v22, s38, v20
	v_mul_lo_u32 v18, v20, s18
	s_delay_alu instid0(VALU_DEP_3) | instskip(SKIP_1) | instid1(VALU_DEP_4)
	v_mad_u32 v1, v17, s23, v1
	v_mad_u32 v0, v17, s22, v0
	v_add_nc_u32_e32 v21, v20, v22
	s_delay_alu instid0(VALU_DEP_1) | instskip(NEXT) | instid1(VALU_DEP_1)
	v_dual_sub_nc_u32 v18, v19, v18 :: v_dual_lshrrev_b32 v17, s39, v21
	v_mad_u32 v1, v18, s25, v1
	s_delay_alu instid0(VALU_DEP_4) | instskip(NEXT) | instid1(VALU_DEP_3)
	v_mad_u32 v0, v18, s24, v0
	v_mul_lo_u32 v19, v17, s37
	s_delay_alu instid0(VALU_DEP_1) | instskip(NEXT) | instid1(VALU_DEP_1)
	v_sub_nc_u32_e32 v18, v20, v19
	v_mad_u32 v1, v18, s27, v1
	s_delay_alu instid0(VALU_DEP_4)
	v_mad_u32 v0, v18, s26, v0
	s_cbranch_scc1 .LBB157_252
; %bb.253:
	s_and_b32 s6, s1, 3
	s_mov_b32 s1, 0
	s_cmp_eq_u32 s6, 0
	s_cbranch_scc0 .LBB157_257
	s_branch .LBB157_259
.LBB157_254:
	s_mov_b32 s8, -1
                                        ; implicit-def: $vgpr1
	s_branch .LBB157_259
.LBB157_255:
	v_dual_mov_b32 v1, 0 :: v_dual_mov_b32 v0, 0
	s_branch .LBB157_259
.LBB157_256:
	v_mov_b64_e32 v[0:1], 0
	v_mov_b32_e32 v17, v15
	s_mov_b32 s0, 0
	s_and_b32 s6, s1, 3
	s_mov_b32 s1, 0
	s_cmp_eq_u32 s6, 0
	s_cbranch_scc1 .LBB157_259
.LBB157_257:
	s_lshl_b32 s4, s0, 3
	s_mov_b32 s5, s1
	s_mul_u64 s[10:11], s[0:1], 12
	s_add_nc_u64 s[4:5], s[2:3], s[4:5]
	s_delay_alu instid0(SALU_CYCLE_1)
	s_add_nc_u64 s[0:1], s[4:5], 0xc4
	s_add_nc_u64 s[4:5], s[2:3], s[10:11]
.LBB157_258:                            ; =>This Inner Loop Header: Depth=1
	s_load_b96 s[12:14], s[4:5], 0x4
	s_load_b64 s[10:11], s[0:1], 0x0
	s_add_co_i32 s6, s6, -1
	s_wait_xcnt 0x0
	s_add_nc_u64 s[4:5], s[4:5], 12
	s_cmp_lg_u32 s6, 0
	s_add_nc_u64 s[0:1], s[0:1], 8
	s_wait_kmcnt 0x0
	v_mul_hi_u32 v18, s13, v17
	s_delay_alu instid0(VALU_DEP_1) | instskip(NEXT) | instid1(VALU_DEP_1)
	v_add_nc_u32_e32 v18, v17, v18
	v_lshrrev_b32_e32 v18, s14, v18
	s_delay_alu instid0(VALU_DEP_1) | instskip(NEXT) | instid1(VALU_DEP_1)
	v_mul_lo_u32 v19, v18, s12
	v_sub_nc_u32_e32 v17, v17, v19
	s_delay_alu instid0(VALU_DEP_1)
	v_mad_u32 v1, v17, s11, v1
	v_mad_u32 v0, v17, s10, v0
	v_mov_b32_e32 v17, v18
	s_cbranch_scc1 .LBB157_258
.LBB157_259:
	s_and_not1_b32 vcc_lo, exec_lo, s8
	s_cbranch_vccnz .LBB157_262
; %bb.260:
	s_clause 0x1
	s_load_b96 s[4:6], s[2:3], 0x4
	s_load_b64 s[0:1], s[2:3], 0xc4
	s_cmp_lt_u32 s30, 2
	s_wait_kmcnt 0x0
	v_mul_hi_u32 v0, s5, v15
	s_delay_alu instid0(VALU_DEP_1) | instskip(NEXT) | instid1(VALU_DEP_1)
	v_add_nc_u32_e32 v0, v15, v0
	v_lshrrev_b32_e32 v17, s6, v0
	s_delay_alu instid0(VALU_DEP_1) | instskip(NEXT) | instid1(VALU_DEP_1)
	v_mul_lo_u32 v0, v17, s4
	v_sub_nc_u32_e32 v0, v15, v0
	s_delay_alu instid0(VALU_DEP_1)
	v_mul_lo_u32 v1, v0, s1
	v_mul_lo_u32 v0, v0, s0
	s_cbranch_scc1 .LBB157_262
; %bb.261:
	s_clause 0x1
	s_load_b96 s[4:6], s[2:3], 0x10
	s_load_b64 s[0:1], s[2:3], 0xcc
	s_wait_kmcnt 0x0
	v_mul_hi_u32 v15, s5, v17
	s_delay_alu instid0(VALU_DEP_1) | instskip(NEXT) | instid1(VALU_DEP_1)
	v_add_nc_u32_e32 v15, v17, v15
	v_lshrrev_b32_e32 v15, s6, v15
	s_delay_alu instid0(VALU_DEP_1) | instskip(NEXT) | instid1(VALU_DEP_1)
	v_mul_lo_u32 v15, v15, s4
	v_sub_nc_u32_e32 v15, v17, v15
	s_delay_alu instid0(VALU_DEP_1)
	v_mad_u32 v0, v15, s0, v0
	v_mad_u32 v1, v15, s1, v1
.LBB157_262:
	v_cmp_ne_u32_e32 vcc_lo, 1, v14
	s_cbranch_vccnz .LBB157_268
; %bb.263:
	s_cmp_lg_u32 s30, 0
	s_mov_b32 s8, 0
	s_cbranch_scc0 .LBB157_269
; %bb.264:
	s_min_u32 s1, s31, 15
	s_delay_alu instid0(SALU_CYCLE_1)
	s_add_co_i32 s1, s1, 1
	s_cmp_eq_u32 s31, 2
	s_cbranch_scc1 .LBB157_270
; %bb.265:
	v_dual_mov_b32 v14, 0 :: v_dual_mov_b32 v15, 0
	v_mov_b32_e32 v17, v16
	s_and_b32 s0, s1, 28
	s_add_nc_u64 s[4:5], s[2:3], 0xc4
	s_mov_b32 s9, 0
	s_mov_b64 s[6:7], s[2:3]
.LBB157_266:                            ; =>This Inner Loop Header: Depth=1
	s_clause 0x1
	s_load_b256 s[12:19], s[6:7], 0x4
	s_load_b128 s[36:39], s[6:7], 0x24
	s_load_b256 s[20:27], s[4:5], 0x0
	s_add_co_i32 s9, s9, 4
	s_wait_xcnt 0x0
	s_add_nc_u64 s[6:7], s[6:7], 48
	s_cmp_lg_u32 s0, s9
	s_add_nc_u64 s[4:5], s[4:5], 32
	s_wait_kmcnt 0x0
	v_mul_hi_u32 v18, s13, v17
	s_delay_alu instid0(VALU_DEP_1) | instskip(NEXT) | instid1(VALU_DEP_1)
	v_add_nc_u32_e32 v18, v17, v18
	v_lshrrev_b32_e32 v18, s14, v18
	s_delay_alu instid0(VALU_DEP_1) | instskip(NEXT) | instid1(VALU_DEP_1)
	v_mul_hi_u32 v19, s16, v18
	v_add_nc_u32_e32 v19, v18, v19
	s_delay_alu instid0(VALU_DEP_1) | instskip(NEXT) | instid1(VALU_DEP_1)
	v_lshrrev_b32_e32 v19, s17, v19
	v_mul_hi_u32 v20, s19, v19
	s_delay_alu instid0(VALU_DEP_1) | instskip(SKIP_1) | instid1(VALU_DEP_1)
	v_add_nc_u32_e32 v20, v19, v20
	v_mul_lo_u32 v21, v18, s12
	v_sub_nc_u32_e32 v17, v17, v21
	v_mul_lo_u32 v21, v19, s15
	s_delay_alu instid0(VALU_DEP_4) | instskip(NEXT) | instid1(VALU_DEP_3)
	v_lshrrev_b32_e32 v20, s36, v20
	v_mad_u32 v15, v17, s21, v15
	v_mad_u32 v14, v17, s20, v14
	s_delay_alu instid0(VALU_DEP_4) | instskip(NEXT) | instid1(VALU_DEP_4)
	v_sub_nc_u32_e32 v17, v18, v21
	v_mul_hi_u32 v22, s38, v20
	v_mul_lo_u32 v18, v20, s18
	s_delay_alu instid0(VALU_DEP_3) | instskip(SKIP_1) | instid1(VALU_DEP_4)
	v_mad_u32 v15, v17, s23, v15
	v_mad_u32 v14, v17, s22, v14
	v_add_nc_u32_e32 v21, v20, v22
	s_delay_alu instid0(VALU_DEP_1) | instskip(NEXT) | instid1(VALU_DEP_1)
	v_dual_sub_nc_u32 v18, v19, v18 :: v_dual_lshrrev_b32 v17, s39, v21
	v_mad_u32 v15, v18, s25, v15
	s_delay_alu instid0(VALU_DEP_4) | instskip(NEXT) | instid1(VALU_DEP_3)
	v_mad_u32 v14, v18, s24, v14
	v_mul_lo_u32 v19, v17, s37
	s_delay_alu instid0(VALU_DEP_1) | instskip(NEXT) | instid1(VALU_DEP_1)
	v_sub_nc_u32_e32 v18, v20, v19
	v_mad_u32 v15, v18, s27, v15
	s_delay_alu instid0(VALU_DEP_4)
	v_mad_u32 v14, v18, s26, v14
	s_cbranch_scc1 .LBB157_266
; %bb.267:
	s_and_b32 s6, s1, 3
	s_mov_b32 s1, 0
	s_cmp_eq_u32 s6, 0
	s_cbranch_scc0 .LBB157_271
	s_branch .LBB157_273
.LBB157_268:
	s_mov_b32 s8, -1
                                        ; implicit-def: $vgpr15
	s_branch .LBB157_273
.LBB157_269:
	v_dual_mov_b32 v15, 0 :: v_dual_mov_b32 v14, 0
	s_branch .LBB157_273
.LBB157_270:
	v_mov_b64_e32 v[14:15], 0
	v_mov_b32_e32 v17, v16
	s_mov_b32 s0, 0
	s_and_b32 s6, s1, 3
	s_mov_b32 s1, 0
	s_cmp_eq_u32 s6, 0
	s_cbranch_scc1 .LBB157_273
.LBB157_271:
	s_lshl_b32 s4, s0, 3
	s_mov_b32 s5, s1
	s_mul_u64 s[10:11], s[0:1], 12
	s_add_nc_u64 s[4:5], s[2:3], s[4:5]
	s_delay_alu instid0(SALU_CYCLE_1)
	s_add_nc_u64 s[0:1], s[4:5], 0xc4
	s_add_nc_u64 s[4:5], s[2:3], s[10:11]
.LBB157_272:                            ; =>This Inner Loop Header: Depth=1
	s_load_b96 s[12:14], s[4:5], 0x4
	s_load_b64 s[10:11], s[0:1], 0x0
	s_add_co_i32 s6, s6, -1
	s_wait_xcnt 0x0
	s_add_nc_u64 s[4:5], s[4:5], 12
	s_cmp_lg_u32 s6, 0
	s_add_nc_u64 s[0:1], s[0:1], 8
	s_wait_kmcnt 0x0
	v_mul_hi_u32 v18, s13, v17
	s_delay_alu instid0(VALU_DEP_1) | instskip(NEXT) | instid1(VALU_DEP_1)
	v_add_nc_u32_e32 v18, v17, v18
	v_lshrrev_b32_e32 v18, s14, v18
	s_delay_alu instid0(VALU_DEP_1) | instskip(NEXT) | instid1(VALU_DEP_1)
	v_mul_lo_u32 v19, v18, s12
	v_sub_nc_u32_e32 v17, v17, v19
	s_delay_alu instid0(VALU_DEP_1)
	v_mad_u32 v15, v17, s11, v15
	v_mad_u32 v14, v17, s10, v14
	v_mov_b32_e32 v17, v18
	s_cbranch_scc1 .LBB157_272
.LBB157_273:
	s_and_not1_b32 vcc_lo, exec_lo, s8
	s_cbranch_vccnz .LBB157_276
; %bb.274:
	s_clause 0x1
	s_load_b96 s[4:6], s[2:3], 0x4
	s_load_b64 s[0:1], s[2:3], 0xc4
	s_cmp_lt_u32 s30, 2
	s_wait_kmcnt 0x0
	v_mul_hi_u32 v14, s5, v16
	s_delay_alu instid0(VALU_DEP_1) | instskip(NEXT) | instid1(VALU_DEP_1)
	v_add_nc_u32_e32 v14, v16, v14
	v_lshrrev_b32_e32 v17, s6, v14
	s_delay_alu instid0(VALU_DEP_1) | instskip(NEXT) | instid1(VALU_DEP_1)
	v_mul_lo_u32 v14, v17, s4
	v_sub_nc_u32_e32 v14, v16, v14
	s_delay_alu instid0(VALU_DEP_1)
	v_mul_lo_u32 v15, v14, s1
	v_mul_lo_u32 v14, v14, s0
	s_cbranch_scc1 .LBB157_276
; %bb.275:
	s_clause 0x1
	s_load_b96 s[4:6], s[2:3], 0x10
	s_load_b64 s[0:1], s[2:3], 0xcc
	s_wait_kmcnt 0x0
	v_mul_hi_u32 v16, s5, v17
	s_delay_alu instid0(VALU_DEP_1) | instskip(NEXT) | instid1(VALU_DEP_1)
	v_add_nc_u32_e32 v16, v17, v16
	v_lshrrev_b32_e32 v16, s6, v16
	s_delay_alu instid0(VALU_DEP_1) | instskip(NEXT) | instid1(VALU_DEP_1)
	v_mul_lo_u32 v16, v16, s4
	v_sub_nc_u32_e32 v16, v17, v16
	s_delay_alu instid0(VALU_DEP_1)
	v_mad_u32 v14, v16, s0, v14
	v_mad_u32 v15, v16, s1, v15
.LBB157_276:
	s_clause 0x1
	s_load_b128 s[4:7], s[2:3], 0x148
	s_load_b64 s[0:1], s[2:3], 0x158
	s_mov_b32 s9, 0
	s_wait_kmcnt 0x0
	global_load_b32 v3, v3, s[6:7]
	s_lshr_b32 s2, s1, 16
	s_cmp_lg_u32 s0, 0
	s_cselect_b32 s8, -1, 0
	s_delay_alu instid0(SALU_CYCLE_1)
	s_and_b32 vcc_lo, exec_lo, s8
	s_wait_loadcnt 0x0
	v_lshrrev_b32_e32 v16, 16, v3
	s_cbranch_vccz .LBB157_301
; %bb.277:
	v_cmp_neq_f16_e32 vcc_lo, s1, v3
	s_delay_alu instid0(VALU_DEP_2)
	v_cmp_neq_f16_e64 s0, s2, v16
	s_or_b32 s3, vcc_lo, s0
	s_and_not1_b32 vcc_lo, exec_lo, s9
	s_cbranch_vccnz .LBB157_279
.LBB157_278:
	v_cmp_eq_f16_e32 vcc_lo, s1, v3
	s_delay_alu instid0(VALU_DEP_2) | instskip(SKIP_2) | instid1(SALU_CYCLE_1)
	v_cmp_eq_f16_e64 s0, s2, v16
	s_and_not1_b32 s3, s3, exec_lo
	s_and_b32 s0, vcc_lo, s0
	s_and_b32 s0, s0, exec_lo
	s_delay_alu instid0(SALU_CYCLE_1)
	s_or_b32 s3, s3, s0
.LBB157_279:
	global_load_b32 v3, v5, s[6:7]
	s_and_b32 vcc_lo, exec_lo, s8
	s_wait_loadcnt 0x0
	v_lshrrev_b32_e32 v5, 16, v3
	s_cbranch_vccz .LBB157_302
; %bb.280:
	v_cmp_neq_f16_e32 vcc_lo, s1, v3
	s_delay_alu instid0(VALU_DEP_2)
	v_cmp_neq_f16_e64 s0, s2, v5
	s_or_b32 s9, vcc_lo, s0
	s_cbranch_execnz .LBB157_282
.LBB157_281:
	v_cmp_eq_f16_e32 vcc_lo, s1, v3
	s_delay_alu instid0(VALU_DEP_2) | instskip(SKIP_2) | instid1(SALU_CYCLE_1)
	v_cmp_eq_f16_e64 s0, s2, v5
	s_and_not1_b32 s9, s9, exec_lo
	s_and_b32 s0, vcc_lo, s0
	s_and_b32 s0, s0, exec_lo
	s_delay_alu instid0(SALU_CYCLE_1)
	s_or_b32 s9, s9, s0
.LBB157_282:
	global_load_b32 v3, v7, s[6:7]
	s_and_b32 vcc_lo, exec_lo, s8
	s_wait_loadcnt 0x0
	v_lshrrev_b32_e32 v5, 16, v3
	s_cbranch_vccz .LBB157_303
; %bb.283:
	v_cmp_neq_f16_e32 vcc_lo, s1, v3
	s_delay_alu instid0(VALU_DEP_2)
	v_cmp_neq_f16_e64 s0, s2, v5
	s_or_b32 s10, vcc_lo, s0
	s_cbranch_execnz .LBB157_285
.LBB157_284:
	v_cmp_eq_f16_e32 vcc_lo, s1, v3
	s_delay_alu instid0(VALU_DEP_2) | instskip(SKIP_2) | instid1(SALU_CYCLE_1)
	v_cmp_eq_f16_e64 s0, s2, v5
	s_and_not1_b32 s10, s10, exec_lo
	s_and_b32 s0, vcc_lo, s0
	s_and_b32 s0, s0, exec_lo
	s_delay_alu instid0(SALU_CYCLE_1)
	s_or_b32 s10, s10, s0
.LBB157_285:
	global_load_b32 v3, v9, s[6:7]
	s_and_b32 vcc_lo, exec_lo, s8
	s_wait_loadcnt 0x0
	v_lshrrev_b32_e32 v5, 16, v3
	s_cbranch_vccz .LBB157_304
; %bb.286:
	v_cmp_neq_f16_e32 vcc_lo, s1, v3
	s_delay_alu instid0(VALU_DEP_2)
	v_cmp_neq_f16_e64 s0, s2, v5
	s_or_b32 s11, vcc_lo, s0
	s_cbranch_execnz .LBB157_288
.LBB157_287:
	v_cmp_eq_f16_e32 vcc_lo, s1, v3
	s_delay_alu instid0(VALU_DEP_2) | instskip(SKIP_2) | instid1(SALU_CYCLE_1)
	v_cmp_eq_f16_e64 s0, s2, v5
	s_and_not1_b32 s11, s11, exec_lo
	s_and_b32 s0, vcc_lo, s0
	s_and_b32 s0, s0, exec_lo
	s_delay_alu instid0(SALU_CYCLE_1)
	s_or_b32 s11, s11, s0
.LBB157_288:
	global_load_b32 v3, v11, s[6:7]
	s_and_b32 vcc_lo, exec_lo, s8
	s_wait_loadcnt 0x0
	v_lshrrev_b32_e32 v5, 16, v3
	s_cbranch_vccz .LBB157_305
; %bb.289:
	v_cmp_neq_f16_e32 vcc_lo, s1, v3
	s_delay_alu instid0(VALU_DEP_2)
	v_cmp_neq_f16_e64 s0, s2, v5
	s_or_b32 s12, vcc_lo, s0
	s_cbranch_execnz .LBB157_291
.LBB157_290:
	v_cmp_eq_f16_e32 vcc_lo, s1, v3
	s_delay_alu instid0(VALU_DEP_2) | instskip(SKIP_2) | instid1(SALU_CYCLE_1)
	v_cmp_eq_f16_e64 s0, s2, v5
	s_and_not1_b32 s12, s12, exec_lo
	s_and_b32 s0, vcc_lo, s0
	s_and_b32 s0, s0, exec_lo
	s_delay_alu instid0(SALU_CYCLE_1)
	s_or_b32 s12, s12, s0
.LBB157_291:
	global_load_b32 v3, v13, s[6:7]
	s_and_b32 vcc_lo, exec_lo, s8
	s_wait_loadcnt 0x0
	v_lshrrev_b32_e32 v5, 16, v3
	s_cbranch_vccz .LBB157_306
; %bb.292:
	v_cmp_neq_f16_e32 vcc_lo, s1, v3
	s_delay_alu instid0(VALU_DEP_2)
	v_cmp_neq_f16_e64 s0, s2, v5
	s_or_b32 s13, vcc_lo, s0
	s_cbranch_execnz .LBB157_294
.LBB157_293:
	v_cmp_eq_f16_e32 vcc_lo, s1, v3
	s_delay_alu instid0(VALU_DEP_2) | instskip(SKIP_2) | instid1(SALU_CYCLE_1)
	v_cmp_eq_f16_e64 s0, s2, v5
	s_and_not1_b32 s13, s13, exec_lo
	s_and_b32 s0, vcc_lo, s0
	s_and_b32 s0, s0, exec_lo
	s_delay_alu instid0(SALU_CYCLE_1)
	s_or_b32 s13, s13, s0
.LBB157_294:
	global_load_b32 v1, v1, s[6:7]
	s_and_b32 vcc_lo, exec_lo, s8
	s_wait_loadcnt 0x0
	v_lshrrev_b32_e32 v3, 16, v1
	s_cbranch_vccz .LBB157_307
; %bb.295:
	v_cmp_neq_f16_e32 vcc_lo, s1, v1
	s_delay_alu instid0(VALU_DEP_2)
	v_cmp_neq_f16_e64 s0, s2, v3
	s_or_b32 s14, vcc_lo, s0
	s_cbranch_execnz .LBB157_297
.LBB157_296:
	v_cmp_eq_f16_e32 vcc_lo, s1, v1
	s_delay_alu instid0(VALU_DEP_2) | instskip(SKIP_2) | instid1(SALU_CYCLE_1)
	v_cmp_eq_f16_e64 s0, s2, v3
	s_and_not1_b32 s14, s14, exec_lo
	s_and_b32 s0, vcc_lo, s0
	s_and_b32 s0, s0, exec_lo
	s_delay_alu instid0(SALU_CYCLE_1)
	s_or_b32 s14, s14, s0
.LBB157_297:
	global_load_b32 v1, v15, s[6:7]
	s_and_b32 vcc_lo, exec_lo, s8
	s_wait_loadcnt 0x0
	v_lshrrev_b32_e32 v3, 16, v1
	s_cbranch_vccz .LBB157_308
; %bb.298:
	v_cmp_neq_f16_e32 vcc_lo, s1, v1
	s_delay_alu instid0(VALU_DEP_2)
	v_cmp_neq_f16_e64 s0, s2, v3
	s_wait_xcnt 0x0
	s_or_b32 s6, vcc_lo, s0
	s_cbranch_execnz .LBB157_300
.LBB157_299:
	v_cmp_eq_f16_e32 vcc_lo, s1, v1
	s_delay_alu instid0(VALU_DEP_2) | instskip(SKIP_2) | instid1(SALU_CYCLE_1)
	v_cmp_eq_f16_e64 s0, s2, v3
	s_and_not1_b32 s1, s6, exec_lo
	s_and_b32 s0, vcc_lo, s0
	s_and_b32 s0, s0, exec_lo
	s_wait_xcnt 0x0
	s_or_b32 s6, s1, s0
.LBB157_300:
	v_cndmask_b32_e64 v7, 0, 1, s3
	v_cndmask_b32_e64 v9, 0, 1, s9
	v_cndmask_b32_e64 v11, 0, 1, s10
	v_cndmask_b32_e64 v13, 0, 1, s11
	v_cndmask_b32_e64 v5, 0, 1, s12
	v_cndmask_b32_e64 v1, 0, 1, s14
	v_cndmask_b32_e64 v3, 0, 1, s13
	s_wait_xcnt 0x0
	v_cndmask_b32_e64 v15, 0, 1, s6
	s_clause 0x7
	global_store_b8 v2, v7, s[4:5]
	global_store_b8 v4, v9, s[4:5]
	;; [unrolled: 1-line block ×8, first 2 shown]
	s_endpgm
.LBB157_301:
                                        ; implicit-def: $sgpr3
	s_branch .LBB157_278
.LBB157_302:
                                        ; implicit-def: $sgpr9
	s_branch .LBB157_281
.LBB157_303:
                                        ; implicit-def: $sgpr10
	s_branch .LBB157_284
.LBB157_304:
                                        ; implicit-def: $sgpr11
	s_branch .LBB157_287
.LBB157_305:
                                        ; implicit-def: $sgpr12
	s_branch .LBB157_290
.LBB157_306:
                                        ; implicit-def: $sgpr13
	s_branch .LBB157_293
.LBB157_307:
                                        ; implicit-def: $sgpr14
	s_branch .LBB157_296
.LBB157_308:
                                        ; implicit-def: $sgpr6
	s_branch .LBB157_299
	.section	.rodata,"a",@progbits
	.p2align	6, 0x0
	.amdhsa_kernel _ZN2at6native32elementwise_kernel_manual_unrollILi128ELi8EZNS0_22gpu_kernel_impl_nocastINS0_13AUnaryFunctorIN3c107complexINS4_4HalfEEES7_bNS0_12_GLOBAL__N_116CompareEqFunctorIS7_EEEEEEvRNS_18TensorIteratorBaseERKT_EUlibE_EEviT1_
		.amdhsa_group_segment_fixed_size 0
		.amdhsa_private_segment_fixed_size 0
		.amdhsa_kernarg_size 360
		.amdhsa_user_sgpr_count 2
		.amdhsa_user_sgpr_dispatch_ptr 0
		.amdhsa_user_sgpr_queue_ptr 0
		.amdhsa_user_sgpr_kernarg_segment_ptr 1
		.amdhsa_user_sgpr_dispatch_id 0
		.amdhsa_user_sgpr_kernarg_preload_length 0
		.amdhsa_user_sgpr_kernarg_preload_offset 0
		.amdhsa_user_sgpr_private_segment_size 0
		.amdhsa_wavefront_size32 1
		.amdhsa_uses_dynamic_stack 0
		.amdhsa_enable_private_segment 0
		.amdhsa_system_sgpr_workgroup_id_x 1
		.amdhsa_system_sgpr_workgroup_id_y 0
		.amdhsa_system_sgpr_workgroup_id_z 0
		.amdhsa_system_sgpr_workgroup_info 0
		.amdhsa_system_vgpr_workitem_id 0
		.amdhsa_next_free_vgpr 23
		.amdhsa_next_free_sgpr 60
		.amdhsa_named_barrier_count 0
		.amdhsa_reserve_vcc 1
		.amdhsa_float_round_mode_32 0
		.amdhsa_float_round_mode_16_64 0
		.amdhsa_float_denorm_mode_32 3
		.amdhsa_float_denorm_mode_16_64 3
		.amdhsa_fp16_overflow 0
		.amdhsa_memory_ordered 1
		.amdhsa_forward_progress 1
		.amdhsa_inst_pref_size 107
		.amdhsa_round_robin_scheduling 0
		.amdhsa_exception_fp_ieee_invalid_op 0
		.amdhsa_exception_fp_denorm_src 0
		.amdhsa_exception_fp_ieee_div_zero 0
		.amdhsa_exception_fp_ieee_overflow 0
		.amdhsa_exception_fp_ieee_underflow 0
		.amdhsa_exception_fp_ieee_inexact 0
		.amdhsa_exception_int_div_zero 0
	.end_amdhsa_kernel
	.section	.text._ZN2at6native32elementwise_kernel_manual_unrollILi128ELi8EZNS0_22gpu_kernel_impl_nocastINS0_13AUnaryFunctorIN3c107complexINS4_4HalfEEES7_bNS0_12_GLOBAL__N_116CompareEqFunctorIS7_EEEEEEvRNS_18TensorIteratorBaseERKT_EUlibE_EEviT1_,"axG",@progbits,_ZN2at6native32elementwise_kernel_manual_unrollILi128ELi8EZNS0_22gpu_kernel_impl_nocastINS0_13AUnaryFunctorIN3c107complexINS4_4HalfEEES7_bNS0_12_GLOBAL__N_116CompareEqFunctorIS7_EEEEEEvRNS_18TensorIteratorBaseERKT_EUlibE_EEviT1_,comdat
.Lfunc_end157:
	.size	_ZN2at6native32elementwise_kernel_manual_unrollILi128ELi8EZNS0_22gpu_kernel_impl_nocastINS0_13AUnaryFunctorIN3c107complexINS4_4HalfEEES7_bNS0_12_GLOBAL__N_116CompareEqFunctorIS7_EEEEEEvRNS_18TensorIteratorBaseERKT_EUlibE_EEviT1_, .Lfunc_end157-_ZN2at6native32elementwise_kernel_manual_unrollILi128ELi8EZNS0_22gpu_kernel_impl_nocastINS0_13AUnaryFunctorIN3c107complexINS4_4HalfEEES7_bNS0_12_GLOBAL__N_116CompareEqFunctorIS7_EEEEEEvRNS_18TensorIteratorBaseERKT_EUlibE_EEviT1_
                                        ; -- End function
	.set _ZN2at6native32elementwise_kernel_manual_unrollILi128ELi8EZNS0_22gpu_kernel_impl_nocastINS0_13AUnaryFunctorIN3c107complexINS4_4HalfEEES7_bNS0_12_GLOBAL__N_116CompareEqFunctorIS7_EEEEEEvRNS_18TensorIteratorBaseERKT_EUlibE_EEviT1_.num_vgpr, 23
	.set _ZN2at6native32elementwise_kernel_manual_unrollILi128ELi8EZNS0_22gpu_kernel_impl_nocastINS0_13AUnaryFunctorIN3c107complexINS4_4HalfEEES7_bNS0_12_GLOBAL__N_116CompareEqFunctorIS7_EEEEEEvRNS_18TensorIteratorBaseERKT_EUlibE_EEviT1_.num_agpr, 0
	.set _ZN2at6native32elementwise_kernel_manual_unrollILi128ELi8EZNS0_22gpu_kernel_impl_nocastINS0_13AUnaryFunctorIN3c107complexINS4_4HalfEEES7_bNS0_12_GLOBAL__N_116CompareEqFunctorIS7_EEEEEEvRNS_18TensorIteratorBaseERKT_EUlibE_EEviT1_.numbered_sgpr, 60
	.set _ZN2at6native32elementwise_kernel_manual_unrollILi128ELi8EZNS0_22gpu_kernel_impl_nocastINS0_13AUnaryFunctorIN3c107complexINS4_4HalfEEES7_bNS0_12_GLOBAL__N_116CompareEqFunctorIS7_EEEEEEvRNS_18TensorIteratorBaseERKT_EUlibE_EEviT1_.num_named_barrier, 0
	.set _ZN2at6native32elementwise_kernel_manual_unrollILi128ELi8EZNS0_22gpu_kernel_impl_nocastINS0_13AUnaryFunctorIN3c107complexINS4_4HalfEEES7_bNS0_12_GLOBAL__N_116CompareEqFunctorIS7_EEEEEEvRNS_18TensorIteratorBaseERKT_EUlibE_EEviT1_.private_seg_size, 0
	.set _ZN2at6native32elementwise_kernel_manual_unrollILi128ELi8EZNS0_22gpu_kernel_impl_nocastINS0_13AUnaryFunctorIN3c107complexINS4_4HalfEEES7_bNS0_12_GLOBAL__N_116CompareEqFunctorIS7_EEEEEEvRNS_18TensorIteratorBaseERKT_EUlibE_EEviT1_.uses_vcc, 1
	.set _ZN2at6native32elementwise_kernel_manual_unrollILi128ELi8EZNS0_22gpu_kernel_impl_nocastINS0_13AUnaryFunctorIN3c107complexINS4_4HalfEEES7_bNS0_12_GLOBAL__N_116CompareEqFunctorIS7_EEEEEEvRNS_18TensorIteratorBaseERKT_EUlibE_EEviT1_.uses_flat_scratch, 0
	.set _ZN2at6native32elementwise_kernel_manual_unrollILi128ELi8EZNS0_22gpu_kernel_impl_nocastINS0_13AUnaryFunctorIN3c107complexINS4_4HalfEEES7_bNS0_12_GLOBAL__N_116CompareEqFunctorIS7_EEEEEEvRNS_18TensorIteratorBaseERKT_EUlibE_EEviT1_.has_dyn_sized_stack, 0
	.set _ZN2at6native32elementwise_kernel_manual_unrollILi128ELi8EZNS0_22gpu_kernel_impl_nocastINS0_13AUnaryFunctorIN3c107complexINS4_4HalfEEES7_bNS0_12_GLOBAL__N_116CompareEqFunctorIS7_EEEEEEvRNS_18TensorIteratorBaseERKT_EUlibE_EEviT1_.has_recursion, 0
	.set _ZN2at6native32elementwise_kernel_manual_unrollILi128ELi8EZNS0_22gpu_kernel_impl_nocastINS0_13AUnaryFunctorIN3c107complexINS4_4HalfEEES7_bNS0_12_GLOBAL__N_116CompareEqFunctorIS7_EEEEEEvRNS_18TensorIteratorBaseERKT_EUlibE_EEviT1_.has_indirect_call, 0
	.section	.AMDGPU.csdata,"",@progbits
; Kernel info:
; codeLenInByte = 13608
; TotalNumSgprs: 62
; NumVgprs: 23
; ScratchSize: 0
; MemoryBound: 0
; FloatMode: 240
; IeeeMode: 1
; LDSByteSize: 0 bytes/workgroup (compile time only)
; SGPRBlocks: 0
; VGPRBlocks: 1
; NumSGPRsForWavesPerEU: 62
; NumVGPRsForWavesPerEU: 23
; NamedBarCnt: 0
; Occupancy: 16
; WaveLimiterHint : 1
; COMPUTE_PGM_RSRC2:SCRATCH_EN: 0
; COMPUTE_PGM_RSRC2:USER_SGPR: 2
; COMPUTE_PGM_RSRC2:TRAP_HANDLER: 0
; COMPUTE_PGM_RSRC2:TGID_X_EN: 1
; COMPUTE_PGM_RSRC2:TGID_Y_EN: 0
; COMPUTE_PGM_RSRC2:TGID_Z_EN: 0
; COMPUTE_PGM_RSRC2:TIDIG_COMP_CNT: 0
	.section	.text._ZN2at6native32elementwise_kernel_manual_unrollILi128ELi4EZNS0_15gpu_kernel_implINS0_13AUnaryFunctorIN3c107complexINS4_4HalfEEES7_bNS0_12_GLOBAL__N_116CompareEqFunctorIS7_EEEEEEvRNS_18TensorIteratorBaseERKT_EUlibE_EEviT1_,"axG",@progbits,_ZN2at6native32elementwise_kernel_manual_unrollILi128ELi4EZNS0_15gpu_kernel_implINS0_13AUnaryFunctorIN3c107complexINS4_4HalfEEES7_bNS0_12_GLOBAL__N_116CompareEqFunctorIS7_EEEEEEvRNS_18TensorIteratorBaseERKT_EUlibE_EEviT1_,comdat
	.globl	_ZN2at6native32elementwise_kernel_manual_unrollILi128ELi4EZNS0_15gpu_kernel_implINS0_13AUnaryFunctorIN3c107complexINS4_4HalfEEES7_bNS0_12_GLOBAL__N_116CompareEqFunctorIS7_EEEEEEvRNS_18TensorIteratorBaseERKT_EUlibE_EEviT1_ ; -- Begin function _ZN2at6native32elementwise_kernel_manual_unrollILi128ELi4EZNS0_15gpu_kernel_implINS0_13AUnaryFunctorIN3c107complexINS4_4HalfEEES7_bNS0_12_GLOBAL__N_116CompareEqFunctorIS7_EEEEEEvRNS_18TensorIteratorBaseERKT_EUlibE_EEviT1_
	.p2align	8
	.type	_ZN2at6native32elementwise_kernel_manual_unrollILi128ELi4EZNS0_15gpu_kernel_implINS0_13AUnaryFunctorIN3c107complexINS4_4HalfEEES7_bNS0_12_GLOBAL__N_116CompareEqFunctorIS7_EEEEEEvRNS_18TensorIteratorBaseERKT_EUlibE_EEviT1_,@function
_ZN2at6native32elementwise_kernel_manual_unrollILi128ELi4EZNS0_15gpu_kernel_implINS0_13AUnaryFunctorIN3c107complexINS4_4HalfEEES7_bNS0_12_GLOBAL__N_116CompareEqFunctorIS7_EEEEEEvRNS_18TensorIteratorBaseERKT_EUlibE_EEviT1_: ; @_ZN2at6native32elementwise_kernel_manual_unrollILi128ELi4EZNS0_15gpu_kernel_implINS0_13AUnaryFunctorIN3c107complexINS4_4HalfEEES7_bNS0_12_GLOBAL__N_116CompareEqFunctorIS7_EEEEEEvRNS_18TensorIteratorBaseERKT_EUlibE_EEviT1_
; %bb.0:
	s_load_b32 s2, s[0:1], 0x28
	s_bfe_u32 s3, ttmp6, 0x4000c
	s_clause 0x1
	s_load_b32 s15, s[0:1], 0x0
	s_load_b256 s[4:11], s[0:1], 0x8
	s_add_co_i32 s3, s3, 1
	s_and_b32 s12, ttmp6, 15
	s_wait_xcnt 0x0
	s_mul_i32 s0, ttmp9, s3
	s_getreg_b32 s13, hwreg(HW_REG_IB_STS2, 6, 4)
	s_add_co_i32 s12, s12, s0
	s_mov_b32 s1, 0
	s_wait_kmcnt 0x0
	s_bfe_u32 s3, s2, 0x80008
	s_cmp_eq_u32 s13, 0
	s_mov_b32 s13, 0
	s_cselect_b32 s0, ttmp9, s12
	s_delay_alu instid0(SALU_CYCLE_1) | instskip(SKIP_1) | instid1(VALU_DEP_1)
	v_lshl_or_b32 v4, s0, 9, v0
	s_mov_b32 s0, exec_lo
	v_or_b32_e32 v0, 0x180, v4
	s_delay_alu instid0(VALU_DEP_1)
	v_cmpx_le_i32_e64 s15, v0
	s_xor_b32 s12, exec_lo, s0
	s_cbranch_execz .LBB158_1067
; %bb.1:
	s_lshr_b32 s13, s11, 16
	s_cmp_lg_u32 s10, 0
	s_mov_b32 s19, 0
	s_cselect_b32 s14, -1, 0
	s_mov_b32 s21, -1
	s_mov_b32 s17, 0
	s_mov_b32 s16, 0
	s_mov_b32 s18, exec_lo
	v_cmpx_gt_i32_e64 s15, v4
	s_cbranch_execz .LBB158_260
; %bb.2:
	v_mul_lo_u32 v0, v4, s9
	s_and_b32 s0, 0xffff, s3
	s_delay_alu instid0(SALU_CYCLE_1) | instskip(NEXT) | instid1(VALU_DEP_1)
	s_cmp_lt_i32 s0, 11
	v_ashrrev_i32_e32 v1, 31, v0
	s_delay_alu instid0(VALU_DEP_1)
	v_add_nc_u64_e32 v[0:1], s[6:7], v[0:1]
	s_cbranch_scc1 .LBB158_9
; %bb.3:
	s_cmp_gt_i32 s0, 25
	s_cbranch_scc0 .LBB158_21
; %bb.4:
	s_cmp_gt_i32 s0, 28
	s_cbranch_scc0 .LBB158_25
	;; [unrolled: 3-line block ×4, first 2 shown]
; %bb.7:
	s_cmp_eq_u32 s0, 46
	s_mov_b32 s20, 0
	s_cbranch_scc0 .LBB158_31
; %bb.8:
	global_load_b32 v2, v[0:1], off
	s_mov_b32 s16, -1
	s_wait_loadcnt 0x0
	v_lshlrev_b32_e32 v3, 16, v2
	v_and_b32_e32 v5, 0xffff0000, v2
	s_delay_alu instid0(VALU_DEP_2) | instskip(NEXT) | instid1(VALU_DEP_2)
	v_cvt_f16_f32_e32 v2, v3
	v_cvt_f16_f32_e32 v3, v5
	s_branch .LBB158_33
.LBB158_9:
                                        ; implicit-def: $vgpr3
                                        ; implicit-def: $vgpr2
	s_cbranch_execnz .LBB158_208
.LBB158_10:
	s_and_not1_b32 vcc_lo, exec_lo, s16
	s_cbranch_vccnz .LBB158_257
.LBB158_11:
	s_and_b32 vcc_lo, exec_lo, s14
	s_cbranch_vccz .LBB158_24
; %bb.12:
	s_wait_loadcnt 0x0
	v_cmp_neq_f16_e32 vcc_lo, s11, v2
	v_cmp_neq_f16_e64 s0, s13, v3
	s_or_b32 s16, vcc_lo, s0
	s_cbranch_execnz .LBB158_14
.LBB158_13:
	s_wait_loadcnt 0x0
	v_cmp_eq_f16_e32 vcc_lo, s11, v2
	v_cmp_eq_f16_e64 s0, s13, v3
	s_and_not1_b32 s16, s16, exec_lo
	s_and_b32 s0, vcc_lo, s0
	s_delay_alu instid0(SALU_CYCLE_1) | instskip(NEXT) | instid1(SALU_CYCLE_1)
	s_and_b32 s0, s0, exec_lo
	s_or_b32 s16, s16, s0
.LBB158_14:
	s_wait_xcnt 0x0
	v_mul_lo_u32 v0, v4, s8
	s_and_b32 s20, s2, 0xff
	s_delay_alu instid0(SALU_CYCLE_1) | instskip(NEXT) | instid1(VALU_DEP_1)
	s_cmp_lt_i32 s20, 11
	v_ashrrev_i32_e32 v1, 31, v0
	s_delay_alu instid0(VALU_DEP_1)
	v_add_nc_u64_e32 v[0:1], s[4:5], v[0:1]
	s_cbranch_scc1 .LBB158_22
; %bb.15:
	s_and_b32 s21, 0xffff, s20
	s_delay_alu instid0(SALU_CYCLE_1)
	s_cmp_gt_i32 s21, 25
	s_cbranch_scc0 .LBB158_26
; %bb.16:
	s_cmp_gt_i32 s21, 28
	s_cbranch_scc0 .LBB158_28
; %bb.17:
	;; [unrolled: 3-line block ×4, first 2 shown]
	s_mov_b32 s23, 0
	s_mov_b32 s0, -1
	s_cmp_eq_u32 s21, 46
	s_mov_b32 s22, 0
	s_cbranch_scc0 .LBB158_37
; %bb.20:
	s_wait_loadcnt 0x0
	v_cndmask_b32_e64 v2, 0, 1.0, s16
	s_mov_b32 s22, -1
	s_mov_b32 s0, 0
	s_delay_alu instid0(VALU_DEP_1) | instskip(NEXT) | instid1(VALU_DEP_1)
	v_bfe_u32 v3, v2, 16, 1
	v_add3_u32 v2, v2, v3, 0x7fff
	s_delay_alu instid0(VALU_DEP_1)
	v_lshrrev_b32_e32 v2, 16, v2
	global_store_b32 v[0:1], v2, off
	s_branch .LBB158_37
.LBB158_21:
                                        ; implicit-def: $vgpr3
                                        ; implicit-def: $vgpr2
	s_cbranch_execnz .LBB158_173
	s_branch .LBB158_207
.LBB158_22:
	s_mov_b32 s0, 0
	s_mov_b32 s22, 0
	s_cbranch_execnz .LBB158_106
.LBB158_23:
	s_and_not1_b32 vcc_lo, exec_lo, s22
	s_cbranch_vccnz .LBB158_258
	s_branch .LBB158_144
.LBB158_24:
                                        ; implicit-def: $sgpr16
	s_branch .LBB158_13
.LBB158_25:
	s_mov_b32 s20, -1
                                        ; implicit-def: $vgpr3
                                        ; implicit-def: $vgpr2
	s_branch .LBB158_154
.LBB158_26:
	s_mov_b32 s23, -1
	s_mov_b32 s0, 0
	s_mov_b32 s22, 0
	s_branch .LBB158_64
.LBB158_27:
	s_mov_b32 s20, -1
                                        ; implicit-def: $vgpr3
                                        ; implicit-def: $vgpr2
	s_branch .LBB158_148
.LBB158_28:
	s_mov_b32 s23, -1
	s_mov_b32 s0, 0
	s_mov_b32 s22, 0
	s_branch .LBB158_47
.LBB158_29:
	s_mov_b32 s20, -1
	s_branch .LBB158_32
.LBB158_30:
	s_mov_b32 s23, -1
	s_mov_b32 s0, 0
	s_mov_b32 s22, 0
	s_branch .LBB158_43
.LBB158_31:
	s_mov_b32 s17, -1
.LBB158_32:
                                        ; implicit-def: $vgpr3
                                        ; implicit-def: $vgpr2
.LBB158_33:
	s_and_b32 vcc_lo, exec_lo, s20
	s_cbranch_vccz .LBB158_147
; %bb.34:
	s_cmp_eq_u32 s0, 44
	s_cbranch_scc0 .LBB158_145
; %bb.35:
	global_load_u8 v2, v[0:1], off
	s_mov_b32 s17, 0
	s_mov_b32 s16, -1
	s_wait_loadcnt 0x0
	v_lshlrev_b32_e32 v3, 23, v2
	v_cmp_ne_u32_e32 vcc_lo, 0xff, v2
	s_delay_alu instid0(VALU_DEP_2) | instskip(NEXT) | instid1(VALU_DEP_1)
	v_cvt_f16_f32_e32 v3, v3
	v_cndmask_b32_e32 v3, 0x7e00, v3, vcc_lo
	v_cmp_ne_u32_e32 vcc_lo, 0, v2
	s_delay_alu instid0(VALU_DEP_2)
	v_cndmask_b32_e32 v2, 0, v3, vcc_lo
	s_branch .LBB158_146
.LBB158_36:
	s_mov_b32 s23, -1
	s_mov_b32 s0, 0
	s_mov_b32 s22, 0
.LBB158_37:
	s_and_b32 vcc_lo, exec_lo, s23
	s_cbranch_vccz .LBB158_42
; %bb.38:
	s_cmp_eq_u32 s21, 44
	s_mov_b32 s0, -1
	s_cbranch_scc0 .LBB158_42
; %bb.39:
	v_cndmask_b32_e64 v5, 0, 1.0, s16
	s_mov_b32 s22, exec_lo
	s_wait_loadcnt 0x0
	s_delay_alu instid0(VALU_DEP_1) | instskip(NEXT) | instid1(VALU_DEP_1)
	v_dual_mov_b32 v3, 0xff :: v_dual_lshrrev_b32 v2, 23, v5
	v_cmpx_ne_u32_e32 0xff, v2
; %bb.40:
	v_and_b32_e32 v3, 0x400000, v5
	v_and_or_b32 v5, 0x3fffff, v5, v2
	s_delay_alu instid0(VALU_DEP_2) | instskip(NEXT) | instid1(VALU_DEP_2)
	v_cmp_ne_u32_e32 vcc_lo, 0, v3
	v_cmp_ne_u32_e64 s0, 0, v5
	s_and_b32 s0, vcc_lo, s0
	s_delay_alu instid0(SALU_CYCLE_1) | instskip(NEXT) | instid1(VALU_DEP_1)
	v_cndmask_b32_e64 v3, 0, 1, s0
	v_add_nc_u32_e32 v3, v2, v3
; %bb.41:
	s_or_b32 exec_lo, exec_lo, s22
	s_mov_b32 s22, -1
	s_mov_b32 s0, 0
	global_store_b8 v[0:1], v3, off
.LBB158_42:
	s_mov_b32 s23, 0
.LBB158_43:
	s_delay_alu instid0(SALU_CYCLE_1)
	s_and_b32 vcc_lo, exec_lo, s23
	s_cbranch_vccz .LBB158_46
; %bb.44:
	s_cmp_eq_u32 s21, 29
	s_mov_b32 s0, -1
	s_cbranch_scc0 .LBB158_46
; %bb.45:
	s_mov_b32 s0, 0
	s_wait_loadcnt 0x0
	v_cndmask_b32_e64 v2, 0, 1, s16
	v_mov_b32_e32 v3, s0
	s_mov_b32 s22, -1
	s_mov_b32 s23, 0
	global_store_b64 v[0:1], v[2:3], off
	s_branch .LBB158_47
.LBB158_46:
	s_mov_b32 s23, 0
.LBB158_47:
	s_delay_alu instid0(SALU_CYCLE_1)
	s_and_b32 vcc_lo, exec_lo, s23
	s_cbranch_vccz .LBB158_63
; %bb.48:
	s_cmp_lt_i32 s21, 27
	s_mov_b32 s22, -1
	s_cbranch_scc1 .LBB158_54
; %bb.49:
	s_cmp_gt_i32 s21, 27
	s_cbranch_scc0 .LBB158_51
; %bb.50:
	s_wait_loadcnt 0x0
	v_cndmask_b32_e64 v2, 0, 1, s16
	s_mov_b32 s22, 0
	global_store_b32 v[0:1], v2, off
.LBB158_51:
	s_and_not1_b32 vcc_lo, exec_lo, s22
	s_cbranch_vccnz .LBB158_53
; %bb.52:
	s_wait_loadcnt 0x0
	v_cndmask_b32_e64 v2, 0, 1, s16
	global_store_b16 v[0:1], v2, off
.LBB158_53:
	s_mov_b32 s22, 0
.LBB158_54:
	s_delay_alu instid0(SALU_CYCLE_1)
	s_and_not1_b32 vcc_lo, exec_lo, s22
	s_cbranch_vccnz .LBB158_62
; %bb.55:
	s_wait_xcnt 0x0
	v_cndmask_b32_e64 v3, 0, 1.0, s16
	v_mov_b32_e32 v5, 0x80
	s_mov_b32 s22, exec_lo
	s_delay_alu instid0(VALU_DEP_2)
	v_cmpx_gt_u32_e32 0x43800000, v3
	s_cbranch_execz .LBB158_61
; %bb.56:
	s_mov_b32 s23, 0
	s_mov_b32 s24, exec_lo
                                        ; implicit-def: $vgpr2
	v_cmpx_lt_u32_e32 0x3bffffff, v3
	s_xor_b32 s24, exec_lo, s24
	s_cbranch_execz .LBB158_291
; %bb.57:
	s_wait_loadcnt 0x0
	v_bfe_u32 v2, v3, 20, 1
	s_mov_b32 s23, exec_lo
	s_delay_alu instid0(VALU_DEP_1) | instskip(NEXT) | instid1(VALU_DEP_1)
	v_add3_u32 v2, v3, v2, 0x487ffff
                                        ; implicit-def: $vgpr3
	v_lshrrev_b32_e32 v2, 20, v2
	s_and_not1_saveexec_b32 s24, s24
	s_cbranch_execnz .LBB158_292
.LBB158_58:
	s_or_b32 exec_lo, exec_lo, s24
	v_mov_b32_e32 v5, 0
	s_and_saveexec_b32 s24, s23
	s_cbranch_execz .LBB158_60
.LBB158_59:
	s_wait_loadcnt 0x0
	v_mov_b32_e32 v5, v2
.LBB158_60:
	s_or_b32 exec_lo, exec_lo, s24
.LBB158_61:
	s_delay_alu instid0(SALU_CYCLE_1)
	s_or_b32 exec_lo, exec_lo, s22
	global_store_b8 v[0:1], v5, off
.LBB158_62:
	s_mov_b32 s22, -1
.LBB158_63:
	s_mov_b32 s23, 0
.LBB158_64:
	s_delay_alu instid0(SALU_CYCLE_1)
	s_and_b32 vcc_lo, exec_lo, s23
	s_cbranch_vccz .LBB158_105
; %bb.65:
	s_cmp_gt_i32 s21, 22
	s_mov_b32 s23, -1
	s_cbranch_scc0 .LBB158_97
; %bb.66:
	s_cmp_lt_i32 s21, 24
	s_mov_b32 s22, -1
	s_cbranch_scc1 .LBB158_86
; %bb.67:
	s_cmp_gt_i32 s21, 24
	s_cbranch_scc0 .LBB158_75
; %bb.68:
	s_wait_xcnt 0x0
	v_cndmask_b32_e64 v3, 0, 1.0, s16
	v_mov_b32_e32 v5, 0x80
	s_mov_b32 s22, exec_lo
	s_delay_alu instid0(VALU_DEP_2)
	v_cmpx_gt_u32_e32 0x47800000, v3
	s_cbranch_execz .LBB158_74
; %bb.69:
	s_mov_b32 s23, 0
	s_mov_b32 s24, exec_lo
                                        ; implicit-def: $vgpr2
	v_cmpx_lt_u32_e32 0x37ffffff, v3
	s_xor_b32 s24, exec_lo, s24
	s_cbranch_execz .LBB158_295
; %bb.70:
	s_wait_loadcnt 0x0
	v_bfe_u32 v2, v3, 21, 1
	s_mov_b32 s23, exec_lo
	s_delay_alu instid0(VALU_DEP_1) | instskip(NEXT) | instid1(VALU_DEP_1)
	v_add3_u32 v2, v3, v2, 0x88fffff
                                        ; implicit-def: $vgpr3
	v_lshrrev_b32_e32 v2, 21, v2
	s_and_not1_saveexec_b32 s24, s24
	s_cbranch_execnz .LBB158_296
.LBB158_71:
	s_or_b32 exec_lo, exec_lo, s24
	v_mov_b32_e32 v5, 0
	s_and_saveexec_b32 s24, s23
	s_cbranch_execz .LBB158_73
.LBB158_72:
	s_wait_loadcnt 0x0
	v_mov_b32_e32 v5, v2
.LBB158_73:
	s_or_b32 exec_lo, exec_lo, s24
.LBB158_74:
	s_delay_alu instid0(SALU_CYCLE_1)
	s_or_b32 exec_lo, exec_lo, s22
	s_mov_b32 s22, 0
	global_store_b8 v[0:1], v5, off
.LBB158_75:
	s_and_b32 vcc_lo, exec_lo, s22
	s_cbranch_vccz .LBB158_85
; %bb.76:
	s_wait_xcnt 0x0
	v_cndmask_b32_e64 v3, 0, 1.0, s16
	s_mov_b32 s22, exec_lo
                                        ; implicit-def: $vgpr2
	s_delay_alu instid0(VALU_DEP_1)
	v_cmpx_gt_u32_e32 0x43f00000, v3
	s_xor_b32 s22, exec_lo, s22
	s_cbranch_execz .LBB158_82
; %bb.77:
	s_mov_b32 s23, exec_lo
                                        ; implicit-def: $vgpr2
	v_cmpx_lt_u32_e32 0x3c7fffff, v3
	s_xor_b32 s23, exec_lo, s23
	s_cbranch_execz .LBB158_79
; %bb.78:
	s_wait_loadcnt 0x0
	v_bfe_u32 v2, v3, 20, 1
	s_delay_alu instid0(VALU_DEP_1) | instskip(NEXT) | instid1(VALU_DEP_1)
	v_add3_u32 v2, v3, v2, 0x407ffff
	v_and_b32_e32 v3, 0xff00000, v2
	v_lshrrev_b32_e32 v2, 20, v2
	s_delay_alu instid0(VALU_DEP_2) | instskip(NEXT) | instid1(VALU_DEP_2)
	v_cmp_ne_u32_e32 vcc_lo, 0x7f00000, v3
                                        ; implicit-def: $vgpr3
	v_cndmask_b32_e32 v2, 0x7e, v2, vcc_lo
.LBB158_79:
	s_and_not1_saveexec_b32 s23, s23
	s_cbranch_execz .LBB158_81
; %bb.80:
	s_wait_loadcnt 0x0
	v_add_f32_e32 v2, 0x46800000, v3
.LBB158_81:
	s_or_b32 exec_lo, exec_lo, s23
                                        ; implicit-def: $vgpr3
.LBB158_82:
	s_and_not1_saveexec_b32 s22, s22
	s_cbranch_execz .LBB158_84
; %bb.83:
	s_wait_loadcnt 0x0
	v_mov_b32_e32 v2, 0x7f
	v_cmp_lt_u32_e32 vcc_lo, 0x7f800000, v3
	s_delay_alu instid0(VALU_DEP_2)
	v_cndmask_b32_e32 v2, 0x7e, v2, vcc_lo
.LBB158_84:
	s_or_b32 exec_lo, exec_lo, s22
	s_wait_loadcnt 0x0
	global_store_b8 v[0:1], v2, off
.LBB158_85:
	s_mov_b32 s22, 0
.LBB158_86:
	s_delay_alu instid0(SALU_CYCLE_1)
	s_and_not1_b32 vcc_lo, exec_lo, s22
	s_cbranch_vccnz .LBB158_96
; %bb.87:
	s_wait_xcnt 0x0
	v_cndmask_b32_e64 v3, 0, 1.0, s16
	s_mov_b32 s22, exec_lo
                                        ; implicit-def: $vgpr2
	s_delay_alu instid0(VALU_DEP_1)
	v_cmpx_gt_u32_e32 0x47800000, v3
	s_xor_b32 s22, exec_lo, s22
	s_cbranch_execz .LBB158_93
; %bb.88:
	s_mov_b32 s23, exec_lo
                                        ; implicit-def: $vgpr2
	v_cmpx_lt_u32_e32 0x387fffff, v3
	s_xor_b32 s23, exec_lo, s23
	s_cbranch_execz .LBB158_90
; %bb.89:
	s_wait_loadcnt 0x0
	v_bfe_u32 v2, v3, 21, 1
	s_delay_alu instid0(VALU_DEP_1) | instskip(NEXT) | instid1(VALU_DEP_1)
	v_add3_u32 v2, v3, v2, 0x80fffff
                                        ; implicit-def: $vgpr3
	v_lshrrev_b32_e32 v2, 21, v2
.LBB158_90:
	s_and_not1_saveexec_b32 s23, s23
	s_cbranch_execz .LBB158_92
; %bb.91:
	s_wait_loadcnt 0x0
	v_add_f32_e32 v2, 0x43000000, v3
.LBB158_92:
	s_or_b32 exec_lo, exec_lo, s23
                                        ; implicit-def: $vgpr3
.LBB158_93:
	s_and_not1_saveexec_b32 s22, s22
	s_cbranch_execz .LBB158_95
; %bb.94:
	s_wait_loadcnt 0x0
	v_mov_b32_e32 v2, 0x7f
	v_cmp_lt_u32_e32 vcc_lo, 0x7f800000, v3
	s_delay_alu instid0(VALU_DEP_2)
	v_cndmask_b32_e32 v2, 0x7c, v2, vcc_lo
.LBB158_95:
	s_or_b32 exec_lo, exec_lo, s22
	s_wait_loadcnt 0x0
	global_store_b8 v[0:1], v2, off
.LBB158_96:
	s_mov_b32 s23, 0
	s_mov_b32 s22, -1
.LBB158_97:
	s_and_not1_b32 vcc_lo, exec_lo, s23
	s_cbranch_vccnz .LBB158_105
; %bb.98:
	s_cmp_gt_i32 s21, 14
	s_mov_b32 s23, -1
	s_cbranch_scc0 .LBB158_102
; %bb.99:
	s_cmp_eq_u32 s21, 15
	s_mov_b32 s0, -1
	s_cbranch_scc0 .LBB158_101
; %bb.100:
	s_wait_loadcnt 0x0
	v_cndmask_b32_e64 v2, 0, 1.0, s16
	s_mov_b32 s22, -1
	s_mov_b32 s0, 0
	s_delay_alu instid0(VALU_DEP_1) | instskip(NEXT) | instid1(VALU_DEP_1)
	v_bfe_u32 v3, v2, 16, 1
	v_add3_u32 v2, v2, v3, 0x7fff
	global_store_d16_hi_b16 v[0:1], v2, off
.LBB158_101:
	s_mov_b32 s23, 0
.LBB158_102:
	s_delay_alu instid0(SALU_CYCLE_1)
	s_and_b32 vcc_lo, exec_lo, s23
	s_cbranch_vccz .LBB158_105
; %bb.103:
	s_cmp_eq_u32 s21, 11
	s_mov_b32 s0, -1
	s_cbranch_scc0 .LBB158_105
; %bb.104:
	s_wait_loadcnt 0x0
	v_cndmask_b32_e64 v2, 0, 1, s16
	s_mov_b32 s22, -1
	s_mov_b32 s0, 0
	global_store_b8 v[0:1], v2, off
.LBB158_105:
	s_branch .LBB158_23
.LBB158_106:
	s_and_b32 s20, 0xffff, s20
	s_mov_b32 s21, -1
	s_cmp_lt_i32 s20, 5
	s_cbranch_scc1 .LBB158_127
; %bb.107:
	s_cmp_lt_i32 s20, 8
	s_cbranch_scc1 .LBB158_117
; %bb.108:
	;; [unrolled: 3-line block ×3, first 2 shown]
	s_cmp_gt_i32 s20, 9
	s_cbranch_scc0 .LBB158_111
; %bb.110:
	s_wait_loadcnt 0x0
	v_cndmask_b32_e64 v2, 0, 1, s16
	v_mov_b32_e32 v8, 0
	s_mov_b32 s21, 0
	s_delay_alu instid0(VALU_DEP_2) | instskip(NEXT) | instid1(VALU_DEP_2)
	v_cvt_f64_u32_e32 v[6:7], v2
	v_mov_b32_e32 v9, v8
	global_store_b128 v[0:1], v[6:9], off
.LBB158_111:
	s_and_not1_b32 vcc_lo, exec_lo, s21
	s_cbranch_vccnz .LBB158_113
; %bb.112:
	s_wait_loadcnt 0x0
	v_cndmask_b32_e64 v2, 0, 1.0, s16
	v_mov_b32_e32 v3, 0
	global_store_b64 v[0:1], v[2:3], off
.LBB158_113:
	s_mov_b32 s21, 0
.LBB158_114:
	s_delay_alu instid0(SALU_CYCLE_1)
	s_and_not1_b32 vcc_lo, exec_lo, s21
	s_cbranch_vccnz .LBB158_116
; %bb.115:
	s_wait_loadcnt 0x0
	v_cndmask_b32_e64 v2, 0, 1.0, s16
	s_delay_alu instid0(VALU_DEP_1) | instskip(NEXT) | instid1(VALU_DEP_1)
	v_cvt_f16_f32_e32 v2, v2
	v_and_b32_e32 v2, 0xffff, v2
	global_store_b32 v[0:1], v2, off
.LBB158_116:
	s_mov_b32 s21, 0
.LBB158_117:
	s_delay_alu instid0(SALU_CYCLE_1)
	s_and_not1_b32 vcc_lo, exec_lo, s21
	s_cbranch_vccnz .LBB158_126
; %bb.118:
	s_cmp_lt_i32 s20, 6
	s_mov_b32 s21, -1
	s_cbranch_scc1 .LBB158_124
; %bb.119:
	s_cmp_gt_i32 s20, 6
	s_cbranch_scc0 .LBB158_121
; %bb.120:
	s_wait_loadcnt 0x0
	v_cndmask_b32_e64 v2, 0, 1, s16
	s_mov_b32 s21, 0
	s_delay_alu instid0(VALU_DEP_1)
	v_cvt_f64_u32_e32 v[2:3], v2
	global_store_b64 v[0:1], v[2:3], off
.LBB158_121:
	s_and_not1_b32 vcc_lo, exec_lo, s21
	s_cbranch_vccnz .LBB158_123
; %bb.122:
	s_wait_loadcnt 0x0
	v_cndmask_b32_e64 v2, 0, 1.0, s16
	global_store_b32 v[0:1], v2, off
.LBB158_123:
	s_mov_b32 s21, 0
.LBB158_124:
	s_delay_alu instid0(SALU_CYCLE_1)
	s_and_not1_b32 vcc_lo, exec_lo, s21
	s_cbranch_vccnz .LBB158_126
; %bb.125:
	s_wait_loadcnt 0x0
	v_cndmask_b32_e64 v2, 0, 1.0, s16
	s_delay_alu instid0(VALU_DEP_1)
	v_cvt_f16_f32_e32 v2, v2
	global_store_b16 v[0:1], v2, off
.LBB158_126:
	s_mov_b32 s21, 0
.LBB158_127:
	s_delay_alu instid0(SALU_CYCLE_1)
	s_and_not1_b32 vcc_lo, exec_lo, s21
	s_cbranch_vccnz .LBB158_143
; %bb.128:
	s_cmp_lt_i32 s20, 2
	s_mov_b32 s21, -1
	s_cbranch_scc1 .LBB158_138
; %bb.129:
	s_cmp_lt_i32 s20, 3
	s_cbranch_scc1 .LBB158_135
; %bb.130:
	s_cmp_gt_i32 s20, 3
	s_cbranch_scc0 .LBB158_132
; %bb.131:
	s_mov_b32 s21, 0
	s_wait_loadcnt 0x0
	v_cndmask_b32_e64 v2, 0, 1, s16
	v_mov_b32_e32 v3, s21
	global_store_b64 v[0:1], v[2:3], off
.LBB158_132:
	s_and_not1_b32 vcc_lo, exec_lo, s21
	s_cbranch_vccnz .LBB158_134
; %bb.133:
	s_wait_loadcnt 0x0
	v_cndmask_b32_e64 v2, 0, 1, s16
	global_store_b32 v[0:1], v2, off
.LBB158_134:
	s_mov_b32 s21, 0
.LBB158_135:
	s_delay_alu instid0(SALU_CYCLE_1)
	s_and_not1_b32 vcc_lo, exec_lo, s21
	s_cbranch_vccnz .LBB158_137
; %bb.136:
	s_wait_loadcnt 0x0
	v_cndmask_b32_e64 v2, 0, 1, s16
	global_store_b16 v[0:1], v2, off
.LBB158_137:
	s_mov_b32 s21, 0
.LBB158_138:
	s_delay_alu instid0(SALU_CYCLE_1)
	s_and_not1_b32 vcc_lo, exec_lo, s21
	s_cbranch_vccnz .LBB158_143
; %bb.139:
	s_wait_loadcnt 0x0
	v_cndmask_b32_e64 v2, 0, 1, s16
	s_cmp_gt_i32 s20, 0
	s_mov_b32 s16, -1
	s_cbranch_scc0 .LBB158_141
; %bb.140:
	s_mov_b32 s16, 0
	global_store_b8 v[0:1], v2, off
.LBB158_141:
	s_and_not1_b32 vcc_lo, exec_lo, s16
	s_cbranch_vccnz .LBB158_143
; %bb.142:
	global_store_b8 v[0:1], v2, off
.LBB158_143:
.LBB158_144:
	v_add_nc_u32_e32 v4, 0x80, v4
	s_mov_b32 s20, -1
	s_branch .LBB158_259
.LBB158_145:
	s_mov_b32 s17, -1
                                        ; implicit-def: $vgpr2
.LBB158_146:
	v_mov_b32_e32 v3, 0
.LBB158_147:
	s_mov_b32 s20, 0
.LBB158_148:
	s_delay_alu instid0(SALU_CYCLE_1)
	s_and_b32 vcc_lo, exec_lo, s20
	s_cbranch_vccz .LBB158_153
; %bb.149:
	s_cmp_eq_u32 s0, 29
	s_cbranch_scc0 .LBB158_151
; %bb.150:
	global_load_b64 v[2:3], v[0:1], off
	s_mov_b32 s16, -1
	s_mov_b32 s17, 0
	s_wait_loadcnt 0x0
	v_clz_i32_u32_e32 v5, v3
	s_delay_alu instid0(VALU_DEP_1) | instskip(NEXT) | instid1(VALU_DEP_1)
	v_min_u32_e32 v5, 32, v5
	v_lshlrev_b64_e32 v[2:3], v5, v[2:3]
	s_delay_alu instid0(VALU_DEP_1) | instskip(NEXT) | instid1(VALU_DEP_1)
	v_min_u32_e32 v2, 1, v2
	v_dual_sub_nc_u32 v3, 32, v5 :: v_dual_bitop2_b32 v2, v3, v2 bitop3:0x54
	s_delay_alu instid0(VALU_DEP_1) | instskip(NEXT) | instid1(VALU_DEP_1)
	v_cvt_f32_u32_e32 v2, v2
	v_ldexp_f32 v2, v2, v3
	s_delay_alu instid0(VALU_DEP_1)
	v_cvt_f16_f32_e32 v2, v2
	s_branch .LBB158_152
.LBB158_151:
	s_mov_b32 s17, -1
                                        ; implicit-def: $vgpr2
.LBB158_152:
	v_mov_b32_e32 v3, 0
.LBB158_153:
	s_mov_b32 s20, 0
.LBB158_154:
	s_delay_alu instid0(SALU_CYCLE_1)
	s_and_b32 vcc_lo, exec_lo, s20
	s_cbranch_vccz .LBB158_172
; %bb.155:
	s_cmp_lt_i32 s0, 27
	s_cbranch_scc1 .LBB158_158
; %bb.156:
	s_cmp_gt_i32 s0, 27
	s_cbranch_scc0 .LBB158_159
; %bb.157:
	global_load_b32 v2, v[0:1], off
	s_mov_b32 s16, 0
	s_wait_loadcnt 0x0
	v_cvt_f32_u32_e32 v2, v2
	s_delay_alu instid0(VALU_DEP_1)
	v_cvt_f16_f32_e32 v2, v2
	s_branch .LBB158_160
.LBB158_158:
	s_mov_b32 s16, -1
                                        ; implicit-def: $vgpr2
	s_branch .LBB158_163
.LBB158_159:
	s_mov_b32 s16, -1
                                        ; implicit-def: $vgpr2
.LBB158_160:
	s_delay_alu instid0(SALU_CYCLE_1)
	s_and_not1_b32 vcc_lo, exec_lo, s16
	s_cbranch_vccnz .LBB158_162
; %bb.161:
	global_load_u16 v2, v[0:1], off
	s_wait_loadcnt 0x0
	v_cvt_f16_u16_e32 v2, v2
.LBB158_162:
	s_mov_b32 s16, 0
.LBB158_163:
	s_delay_alu instid0(SALU_CYCLE_1)
	s_and_not1_b32 vcc_lo, exec_lo, s16
	s_cbranch_vccnz .LBB158_171
; %bb.164:
	global_load_u8 v3, v[0:1], off
	s_mov_b32 s16, 0
	s_mov_b32 s20, exec_lo
	s_wait_loadcnt 0x0
	v_cmpx_lt_i16_e32 0x7f, v3
	s_xor_b32 s20, exec_lo, s20
	s_cbranch_execz .LBB158_184
; %bb.165:
	s_mov_b32 s16, -1
	s_mov_b32 s21, exec_lo
	v_cmpx_eq_u16_e32 0x80, v3
; %bb.166:
	s_xor_b32 s16, exec_lo, -1
; %bb.167:
	s_or_b32 exec_lo, exec_lo, s21
	s_delay_alu instid0(SALU_CYCLE_1)
	s_and_b32 s16, s16, exec_lo
	s_or_saveexec_b32 s20, s20
	v_mov_b32_e32 v2, 0x7e00
	s_xor_b32 exec_lo, exec_lo, s20
	s_cbranch_execnz .LBB158_185
.LBB158_168:
	s_or_b32 exec_lo, exec_lo, s20
	s_and_saveexec_b32 s20, s16
	s_cbranch_execz .LBB158_170
.LBB158_169:
	v_and_b32_e32 v2, 0xffff, v3
	s_delay_alu instid0(VALU_DEP_1) | instskip(SKIP_1) | instid1(VALU_DEP_2)
	v_dual_lshlrev_b32 v3, 24, v3 :: v_dual_bitop2_b32 v5, 7, v2 bitop3:0x40
	v_bfe_u32 v8, v2, 3, 4
	v_and_b32_e32 v3, 0x80000000, v3
	s_delay_alu instid0(VALU_DEP_3) | instskip(NEXT) | instid1(VALU_DEP_3)
	v_clz_i32_u32_e32 v6, v5
	v_cmp_eq_u32_e32 vcc_lo, 0, v8
	s_delay_alu instid0(VALU_DEP_2) | instskip(NEXT) | instid1(VALU_DEP_1)
	v_min_u32_e32 v6, 32, v6
	v_subrev_nc_u32_e32 v7, 28, v6
	v_sub_nc_u32_e32 v6, 29, v6
	s_delay_alu instid0(VALU_DEP_2) | instskip(NEXT) | instid1(VALU_DEP_2)
	v_lshlrev_b32_e32 v2, v7, v2
	v_cndmask_b32_e32 v6, v8, v6, vcc_lo
	s_delay_alu instid0(VALU_DEP_2) | instskip(NEXT) | instid1(VALU_DEP_1)
	v_and_b32_e32 v2, 7, v2
	v_cndmask_b32_e32 v2, v5, v2, vcc_lo
	s_delay_alu instid0(VALU_DEP_3) | instskip(NEXT) | instid1(VALU_DEP_2)
	v_lshl_add_u32 v5, v6, 23, 0x3b800000
	v_lshlrev_b32_e32 v2, 20, v2
	s_delay_alu instid0(VALU_DEP_1) | instskip(NEXT) | instid1(VALU_DEP_1)
	v_or3_b32 v2, v3, v5, v2
	v_cvt_f16_f32_e32 v2, v2
.LBB158_170:
	s_or_b32 exec_lo, exec_lo, s20
.LBB158_171:
	v_mov_b32_e32 v3, 0
	s_mov_b32 s16, -1
.LBB158_172:
	s_branch .LBB158_207
.LBB158_173:
	s_cmp_gt_i32 s0, 22
	s_cbranch_scc0 .LBB158_183
; %bb.174:
	s_cmp_lt_i32 s0, 24
	s_cbranch_scc1 .LBB158_186
; %bb.175:
	s_cmp_gt_i32 s0, 24
	s_cbranch_scc0 .LBB158_187
; %bb.176:
	global_load_u8 v3, v[0:1], off
	s_mov_b32 s16, 0
	s_mov_b32 s20, exec_lo
	s_wait_loadcnt 0x0
	v_cmpx_lt_i16_e32 0x7f, v3
	s_xor_b32 s20, exec_lo, s20
	s_cbranch_execz .LBB158_198
; %bb.177:
	s_mov_b32 s16, -1
	s_mov_b32 s21, exec_lo
	v_cmpx_eq_u16_e32 0x80, v3
; %bb.178:
	s_xor_b32 s16, exec_lo, -1
; %bb.179:
	s_or_b32 exec_lo, exec_lo, s21
	s_delay_alu instid0(SALU_CYCLE_1)
	s_and_b32 s16, s16, exec_lo
	s_or_saveexec_b32 s20, s20
	v_mov_b32_e32 v2, 0x7e00
	s_xor_b32 exec_lo, exec_lo, s20
	s_cbranch_execnz .LBB158_199
.LBB158_180:
	s_or_b32 exec_lo, exec_lo, s20
	s_and_saveexec_b32 s20, s16
	s_cbranch_execz .LBB158_182
.LBB158_181:
	v_and_b32_e32 v2, 0xffff, v3
	s_delay_alu instid0(VALU_DEP_1) | instskip(SKIP_1) | instid1(VALU_DEP_2)
	v_dual_lshlrev_b32 v3, 24, v3 :: v_dual_bitop2_b32 v5, 3, v2 bitop3:0x40
	v_bfe_u32 v8, v2, 2, 5
	v_and_b32_e32 v3, 0x80000000, v3
	s_delay_alu instid0(VALU_DEP_3) | instskip(NEXT) | instid1(VALU_DEP_3)
	v_clz_i32_u32_e32 v6, v5
	v_cmp_eq_u32_e32 vcc_lo, 0, v8
	s_delay_alu instid0(VALU_DEP_2) | instskip(NEXT) | instid1(VALU_DEP_1)
	v_min_u32_e32 v6, 32, v6
	v_subrev_nc_u32_e32 v7, 29, v6
	v_sub_nc_u32_e32 v6, 30, v6
	s_delay_alu instid0(VALU_DEP_2) | instskip(NEXT) | instid1(VALU_DEP_2)
	v_lshlrev_b32_e32 v2, v7, v2
	v_cndmask_b32_e32 v6, v8, v6, vcc_lo
	s_delay_alu instid0(VALU_DEP_2) | instskip(NEXT) | instid1(VALU_DEP_1)
	v_and_b32_e32 v2, 3, v2
	v_cndmask_b32_e32 v2, v5, v2, vcc_lo
	s_delay_alu instid0(VALU_DEP_3) | instskip(NEXT) | instid1(VALU_DEP_2)
	v_lshl_add_u32 v5, v6, 23, 0x37800000
	v_lshlrev_b32_e32 v2, 21, v2
	s_delay_alu instid0(VALU_DEP_1) | instskip(NEXT) | instid1(VALU_DEP_1)
	v_or3_b32 v2, v3, v5, v2
	v_cvt_f16_f32_e32 v2, v2
.LBB158_182:
	s_or_b32 exec_lo, exec_lo, s20
	s_mov_b32 s16, 0
	s_branch .LBB158_188
.LBB158_183:
                                        ; implicit-def: $vgpr2
	s_branch .LBB158_194
.LBB158_184:
	s_or_saveexec_b32 s20, s20
	v_mov_b32_e32 v2, 0x7e00
	s_xor_b32 exec_lo, exec_lo, s20
	s_cbranch_execz .LBB158_168
.LBB158_185:
	v_cmp_ne_u16_e32 vcc_lo, 0, v3
	v_mov_b32_e32 v2, v3
	s_and_not1_b32 s16, s16, exec_lo
	s_and_b32 s21, vcc_lo, exec_lo
	s_delay_alu instid0(SALU_CYCLE_1)
	s_or_b32 s16, s16, s21
	s_or_b32 exec_lo, exec_lo, s20
	s_and_saveexec_b32 s20, s16
	s_cbranch_execnz .LBB158_169
	s_branch .LBB158_170
.LBB158_186:
	s_mov_b32 s16, -1
                                        ; implicit-def: $vgpr2
	s_branch .LBB158_191
.LBB158_187:
	s_mov_b32 s16, -1
                                        ; implicit-def: $vgpr2
.LBB158_188:
	s_delay_alu instid0(SALU_CYCLE_1)
	s_and_b32 vcc_lo, exec_lo, s16
	s_cbranch_vccz .LBB158_190
; %bb.189:
	global_load_u8 v2, v[0:1], off
	s_wait_loadcnt 0x0
	v_lshlrev_b32_e32 v2, 24, v2
	s_delay_alu instid0(VALU_DEP_1) | instskip(NEXT) | instid1(VALU_DEP_1)
	v_and_b32_e32 v3, 0x7f000000, v2
	v_clz_i32_u32_e32 v5, v3
	v_add_nc_u32_e32 v7, 0x1000000, v3
	v_cmp_ne_u32_e32 vcc_lo, 0, v3
	s_delay_alu instid0(VALU_DEP_3) | instskip(NEXT) | instid1(VALU_DEP_1)
	v_min_u32_e32 v5, 32, v5
	v_sub_nc_u32_e64 v5, v5, 4 clamp
	s_delay_alu instid0(VALU_DEP_1) | instskip(NEXT) | instid1(VALU_DEP_1)
	v_dual_lshlrev_b32 v6, v5, v3 :: v_dual_lshlrev_b32 v5, 23, v5
	v_lshrrev_b32_e32 v6, 4, v6
	s_delay_alu instid0(VALU_DEP_1) | instskip(NEXT) | instid1(VALU_DEP_1)
	v_dual_sub_nc_u32 v5, v6, v5 :: v_dual_ashrrev_i32 v6, 8, v7
	v_add_nc_u32_e32 v5, 0x3c000000, v5
	s_delay_alu instid0(VALU_DEP_1) | instskip(NEXT) | instid1(VALU_DEP_1)
	v_and_or_b32 v5, 0x7f800000, v6, v5
	v_cndmask_b32_e32 v3, 0, v5, vcc_lo
	s_delay_alu instid0(VALU_DEP_1) | instskip(NEXT) | instid1(VALU_DEP_1)
	v_and_or_b32 v2, 0x80000000, v2, v3
	v_cvt_f16_f32_e32 v2, v2
.LBB158_190:
	s_mov_b32 s16, 0
.LBB158_191:
	s_delay_alu instid0(SALU_CYCLE_1)
	s_and_not1_b32 vcc_lo, exec_lo, s16
	s_cbranch_vccnz .LBB158_193
; %bb.192:
	global_load_u8 v2, v[0:1], off
	s_wait_loadcnt 0x0
	v_lshlrev_b32_e32 v3, 25, v2
	v_lshlrev_b16 v2, 8, v2
	s_delay_alu instid0(VALU_DEP_2) | instskip(NEXT) | instid1(VALU_DEP_2)
	v_cmp_gt_u32_e32 vcc_lo, 0x8000000, v3
	v_and_or_b32 v6, 0x7f00, v2, 0.5
	v_lshrrev_b32_e32 v5, 4, v3
	v_bfe_i32 v2, v2, 0, 16
	s_delay_alu instid0(VALU_DEP_3) | instskip(NEXT) | instid1(VALU_DEP_3)
	v_add_f32_e32 v6, -0.5, v6
	v_or_b32_e32 v5, 0x70000000, v5
	s_delay_alu instid0(VALU_DEP_1) | instskip(NEXT) | instid1(VALU_DEP_1)
	v_mul_f32_e32 v5, 0x7800000, v5
	v_cndmask_b32_e32 v3, v5, v6, vcc_lo
	s_delay_alu instid0(VALU_DEP_1) | instskip(NEXT) | instid1(VALU_DEP_1)
	v_and_or_b32 v2, 0x80000000, v2, v3
	v_cvt_f16_f32_e32 v2, v2
.LBB158_193:
	s_mov_b32 s16, -1
	s_cbranch_execnz .LBB158_206
.LBB158_194:
	s_cmp_gt_i32 s0, 14
	s_cbranch_scc0 .LBB158_197
; %bb.195:
	s_cmp_eq_u32 s0, 15
	s_cbranch_scc0 .LBB158_200
; %bb.196:
	global_load_u16 v2, v[0:1], off
	s_mov_b32 s16, -1
	s_mov_b32 s17, 0
	s_wait_loadcnt 0x0
	v_lshlrev_b32_e32 v2, 16, v2
	s_delay_alu instid0(VALU_DEP_1)
	v_cvt_f16_f32_e32 v2, v2
	s_branch .LBB158_201
.LBB158_197:
	s_mov_b32 s20, -1
                                        ; implicit-def: $vgpr2
	s_branch .LBB158_202
.LBB158_198:
	s_or_saveexec_b32 s20, s20
	v_mov_b32_e32 v2, 0x7e00
	s_xor_b32 exec_lo, exec_lo, s20
	s_cbranch_execz .LBB158_180
.LBB158_199:
	v_cmp_ne_u16_e32 vcc_lo, 0, v3
	v_mov_b32_e32 v2, v3
	s_and_not1_b32 s16, s16, exec_lo
	s_and_b32 s21, vcc_lo, exec_lo
	s_delay_alu instid0(SALU_CYCLE_1)
	s_or_b32 s16, s16, s21
	s_or_b32 exec_lo, exec_lo, s20
	s_and_saveexec_b32 s20, s16
	s_cbranch_execnz .LBB158_181
	s_branch .LBB158_182
.LBB158_200:
	s_mov_b32 s17, -1
                                        ; implicit-def: $vgpr2
.LBB158_201:
	s_mov_b32 s20, 0
.LBB158_202:
	s_delay_alu instid0(SALU_CYCLE_1)
	s_and_b32 vcc_lo, exec_lo, s20
	s_cbranch_vccz .LBB158_206
; %bb.203:
	s_cmp_eq_u32 s0, 11
	s_cbranch_scc0 .LBB158_205
; %bb.204:
	global_load_u8 v2, v[0:1], off
	s_mov_b32 s17, 0
	s_mov_b32 s16, -1
	v_mov_b32_e32 v3, 0
	s_wait_loadcnt 0x0
	v_cmp_ne_u16_e32 vcc_lo, 0, v2
	v_cndmask_b32_e64 v2, 0, 0x3c00, vcc_lo
	s_branch .LBB158_207
.LBB158_205:
	s_mov_b32 s17, -1
                                        ; implicit-def: $vgpr2
.LBB158_206:
	v_mov_b32_e32 v3, 0
.LBB158_207:
	s_branch .LBB158_10
.LBB158_208:
	s_cmp_lt_i32 s0, 5
	s_cbranch_scc1 .LBB158_213
; %bb.209:
	s_cmp_lt_i32 s0, 8
	s_cbranch_scc1 .LBB158_214
; %bb.210:
	;; [unrolled: 3-line block ×3, first 2 shown]
	s_cmp_gt_i32 s0, 9
	s_cbranch_scc0 .LBB158_216
; %bb.212:
	global_load_b128 v[6:9], v[0:1], off
	s_mov_b32 s16, 0
	s_wait_loadcnt 0x0
	v_and_or_b32 v2, 0x1ff, v7, v6
	v_and_or_b32 v6, 0x1ff, v9, v8
	v_dual_lshrrev_b32 v3, 8, v7 :: v_dual_lshrrev_b32 v8, 8, v9
	v_bfe_u32 v5, v7, 20, 11
	s_delay_alu instid0(VALU_DEP_4) | instskip(SKIP_2) | instid1(VALU_DEP_4)
	v_cmp_ne_u32_e32 vcc_lo, 0, v2
	v_bfe_u32 v10, v9, 20, 11
	v_dual_lshrrev_b32 v7, 16, v7 :: v_dual_lshrrev_b32 v9, 16, v9
	v_sub_nc_u32_e32 v11, 0x3f1, v5
	v_cndmask_b32_e64 v2, 0, 1, vcc_lo
	v_cmp_ne_u32_e32 vcc_lo, 0, v6
	v_add_nc_u32_e32 v5, 0xfffffc10, v5
	s_delay_alu instid0(VALU_DEP_3) | instskip(SKIP_1) | instid1(VALU_DEP_1)
	v_and_or_b32 v2, 0xffe, v3, v2
	v_cndmask_b32_e64 v6, 0, 1, vcc_lo
	v_and_or_b32 v6, 0xffe, v8, v6
	v_med3_i32 v8, v11, 0, 13
	s_delay_alu instid0(VALU_DEP_4) | instskip(NEXT) | instid1(VALU_DEP_3)
	v_or_b32_e32 v11, 0x1000, v2
	v_or_b32_e32 v12, 0x1000, v6
	s_delay_alu instid0(VALU_DEP_2) | instskip(NEXT) | instid1(VALU_DEP_1)
	v_lshrrev_b32_e32 v13, v8, v11
	v_lshlrev_b32_e32 v8, v8, v13
	s_delay_alu instid0(VALU_DEP_1) | instskip(SKIP_2) | instid1(VALU_DEP_1)
	v_cmp_ne_u32_e32 vcc_lo, v8, v11
	v_lshl_or_b32 v11, v5, 12, v2
	v_cndmask_b32_e64 v8, 0, 1, vcc_lo
	v_or_b32_e32 v8, v13, v8
	v_sub_nc_u32_e32 v3, 0x3f1, v10
	s_delay_alu instid0(VALU_DEP_1) | instskip(NEXT) | instid1(VALU_DEP_1)
	v_med3_i32 v3, v3, 0, 13
	v_lshrrev_b32_e32 v14, v3, v12
	s_delay_alu instid0(VALU_DEP_1) | instskip(NEXT) | instid1(VALU_DEP_1)
	v_lshlrev_b32_e32 v3, v3, v14
	v_cmp_ne_u32_e32 vcc_lo, v3, v12
	v_cndmask_b32_e64 v3, 0, 1, vcc_lo
	v_cmp_gt_i32_e32 vcc_lo, 1, v5
	s_delay_alu instid0(VALU_DEP_2) | instskip(NEXT) | instid1(VALU_DEP_1)
	v_dual_cndmask_b32 v8, v11, v8, vcc_lo :: v_dual_bitop2_b32 v3, v14, v3 bitop3:0x54
	v_dual_lshrrev_b32 v8, 2, v8 :: v_dual_bitop2_b32 v11, 7, v8 bitop3:0x40
	v_add_nc_u32_e32 v10, 0xfffffc10, v10
	s_delay_alu instid0(VALU_DEP_1) | instskip(SKIP_1) | instid1(VALU_DEP_2)
	v_lshl_or_b32 v12, v10, 12, v6
	v_cmp_gt_i32_e32 vcc_lo, 1, v10
	v_cndmask_b32_e32 v3, v12, v3, vcc_lo
	v_cmp_lt_i32_e32 vcc_lo, 5, v11
	s_delay_alu instid0(VALU_DEP_2)
	v_and_b32_e32 v12, 7, v3
	v_cndmask_b32_e64 v13, 0, 1, vcc_lo
	v_cmp_eq_u32_e32 vcc_lo, 3, v11
	v_lshrrev_b32_e32 v3, 2, v3
	v_cndmask_b32_e64 v11, 0, 1, vcc_lo
	v_cmp_lt_i32_e32 vcc_lo, 5, v12
	s_delay_alu instid0(VALU_DEP_2) | instskip(SKIP_2) | instid1(VALU_DEP_3)
	v_or_b32_e32 v11, v11, v13
	v_cndmask_b32_e64 v14, 0, 1, vcc_lo
	v_cmp_eq_u32_e32 vcc_lo, 3, v12
	v_dual_mov_b32 v15, 0x7e00 :: v_dual_add_nc_u32 v8, v8, v11
	v_cndmask_b32_e64 v12, 0, 1, vcc_lo
	v_cmp_ne_u32_e32 vcc_lo, 0, v2
	s_delay_alu instid0(VALU_DEP_2) | instskip(NEXT) | instid1(VALU_DEP_4)
	v_or_b32_e32 v12, v12, v14
	v_cndmask_b32_e32 v2, 0x7c00, v15, vcc_lo
	v_cmp_ne_u32_e32 vcc_lo, 0, v6
	s_delay_alu instid0(VALU_DEP_3) | instskip(SKIP_3) | instid1(VALU_DEP_4)
	v_dual_cndmask_b32 v6, 0x7c00, v15 :: v_dual_add_nc_u32 v3, v3, v12
	v_cmp_gt_i32_e32 vcc_lo, 31, v5
	v_cndmask_b32_e32 v8, 0x7c00, v8, vcc_lo
	v_cmp_gt_i32_e32 vcc_lo, 31, v10
	v_cndmask_b32_e32 v3, 0x7c00, v3, vcc_lo
	v_cmp_eq_u32_e32 vcc_lo, 0x40f, v5
	s_delay_alu instid0(VALU_DEP_4) | instskip(SKIP_1) | instid1(VALU_DEP_2)
	v_cndmask_b32_e32 v2, v8, v2, vcc_lo
	v_cmp_eq_u32_e32 vcc_lo, 0x40f, v10
	v_and_or_b32 v2, 0x8000, v7, v2
	v_cndmask_b32_e32 v3, v3, v6, vcc_lo
	s_delay_alu instid0(VALU_DEP_1)
	v_and_or_b32 v3, 0x8000, v9, v3
	s_branch .LBB158_217
.LBB158_213:
                                        ; implicit-def: $vgpr3
                                        ; implicit-def: $vgpr2
	s_branch .LBB158_236
.LBB158_214:
	s_mov_b32 s16, -1
                                        ; implicit-def: $vgpr3
                                        ; implicit-def: $vgpr2
	s_branch .LBB158_223
.LBB158_215:
	s_mov_b32 s16, -1
                                        ; implicit-def: $vgpr3
                                        ; implicit-def: $vgpr2
	s_branch .LBB158_220
.LBB158_216:
	s_mov_b32 s16, -1
                                        ; implicit-def: $vgpr3
                                        ; implicit-def: $vgpr2
.LBB158_217:
	s_delay_alu instid0(SALU_CYCLE_1)
	s_and_not1_b32 vcc_lo, exec_lo, s16
	s_cbranch_vccnz .LBB158_219
; %bb.218:
	global_load_b64 v[2:3], v[0:1], off
	s_wait_loadcnt 0x0
	v_cvt_f16_f32_e32 v2, v2
	v_cvt_f16_f32_e32 v3, v3
.LBB158_219:
	s_mov_b32 s16, 0
.LBB158_220:
	s_delay_alu instid0(SALU_CYCLE_1)
	s_and_not1_b32 vcc_lo, exec_lo, s16
	s_cbranch_vccnz .LBB158_222
; %bb.221:
	global_load_b32 v2, v[0:1], off
	s_wait_loadcnt 0x0
	v_lshrrev_b32_e32 v3, 16, v2
.LBB158_222:
	s_mov_b32 s16, 0
.LBB158_223:
	s_delay_alu instid0(SALU_CYCLE_1)
	s_and_not1_b32 vcc_lo, exec_lo, s16
	s_cbranch_vccnz .LBB158_235
; %bb.224:
	s_cmp_lt_i32 s0, 6
	s_cbranch_scc1 .LBB158_227
; %bb.225:
	s_cmp_gt_i32 s0, 6
	s_cbranch_scc0 .LBB158_228
; %bb.226:
	global_load_b64 v[2:3], v[0:1], off
	s_mov_b32 s16, 0
	s_wait_loadcnt 0x0
	v_and_or_b32 v2, 0x1ff, v3, v2
	v_lshrrev_b32_e32 v5, 8, v3
	v_bfe_u32 v6, v3, 20, 11
	v_lshrrev_b32_e32 v3, 16, v3
	s_delay_alu instid0(VALU_DEP_4) | instskip(NEXT) | instid1(VALU_DEP_3)
	v_cmp_ne_u32_e32 vcc_lo, 0, v2
	v_sub_nc_u32_e32 v7, 0x3f1, v6
	v_add_nc_u32_e32 v6, 0xfffffc10, v6
	v_cndmask_b32_e64 v2, 0, 1, vcc_lo
	s_delay_alu instid0(VALU_DEP_1) | instskip(NEXT) | instid1(VALU_DEP_4)
	v_and_or_b32 v2, 0xffe, v5, v2
	v_med3_i32 v5, v7, 0, 13
	s_delay_alu instid0(VALU_DEP_2) | instskip(NEXT) | instid1(VALU_DEP_1)
	v_or_b32_e32 v7, 0x1000, v2
	v_lshrrev_b32_e32 v8, v5, v7
	s_delay_alu instid0(VALU_DEP_1) | instskip(NEXT) | instid1(VALU_DEP_1)
	v_lshlrev_b32_e32 v5, v5, v8
	v_cmp_ne_u32_e32 vcc_lo, v5, v7
	v_lshl_or_b32 v7, v6, 12, v2
	v_cndmask_b32_e64 v5, 0, 1, vcc_lo
	v_cmp_gt_i32_e32 vcc_lo, 1, v6
	s_delay_alu instid0(VALU_DEP_2) | instskip(NEXT) | instid1(VALU_DEP_1)
	v_or_b32_e32 v5, v8, v5
	v_cndmask_b32_e32 v5, v7, v5, vcc_lo
	s_delay_alu instid0(VALU_DEP_1) | instskip(NEXT) | instid1(VALU_DEP_1)
	v_dual_lshrrev_b32 v5, 2, v5 :: v_dual_bitop2_b32 v7, 7, v5 bitop3:0x40
	v_cmp_lt_i32_e32 vcc_lo, 5, v7
	v_cndmask_b32_e64 v8, 0, 1, vcc_lo
	v_cmp_eq_u32_e32 vcc_lo, 3, v7
	v_cndmask_b32_e64 v7, 0, 1, vcc_lo
	v_cmp_ne_u32_e32 vcc_lo, 0, v2
	s_delay_alu instid0(VALU_DEP_2) | instskip(NEXT) | instid1(VALU_DEP_1)
	v_or_b32_e32 v7, v7, v8
	v_dual_mov_b32 v8, 0x7e00 :: v_dual_add_nc_u32 v5, v5, v7
	s_delay_alu instid0(VALU_DEP_1) | instskip(SKIP_1) | instid1(VALU_DEP_3)
	v_cndmask_b32_e32 v2, 0x7c00, v8, vcc_lo
	v_cmp_gt_i32_e32 vcc_lo, 31, v6
	v_cndmask_b32_e32 v5, 0x7c00, v5, vcc_lo
	v_cmp_eq_u32_e32 vcc_lo, 0x40f, v6
	s_delay_alu instid0(VALU_DEP_2) | instskip(NEXT) | instid1(VALU_DEP_1)
	v_cndmask_b32_e32 v2, v5, v2, vcc_lo
	v_and_or_b32 v2, 0x8000, v3, v2
	s_branch .LBB158_229
.LBB158_227:
	s_mov_b32 s16, -1
                                        ; implicit-def: $vgpr2
	s_branch .LBB158_232
.LBB158_228:
	s_mov_b32 s16, -1
                                        ; implicit-def: $vgpr2
.LBB158_229:
	s_delay_alu instid0(SALU_CYCLE_1)
	s_and_not1_b32 vcc_lo, exec_lo, s16
	s_cbranch_vccnz .LBB158_231
; %bb.230:
	global_load_b32 v2, v[0:1], off
	s_wait_loadcnt 0x0
	v_cvt_f16_f32_e32 v2, v2
.LBB158_231:
	s_mov_b32 s16, 0
.LBB158_232:
	s_delay_alu instid0(SALU_CYCLE_1)
	s_and_not1_b32 vcc_lo, exec_lo, s16
	s_cbranch_vccnz .LBB158_234
; %bb.233:
	global_load_u16 v2, v[0:1], off
.LBB158_234:
	v_mov_b32_e32 v3, 0
.LBB158_235:
	s_cbranch_execnz .LBB158_256
.LBB158_236:
	s_cmp_lt_i32 s0, 2
	s_cbranch_scc1 .LBB158_240
; %bb.237:
	s_cmp_lt_i32 s0, 3
	s_cbranch_scc1 .LBB158_241
; %bb.238:
	s_cmp_gt_i32 s0, 3
	s_cbranch_scc0 .LBB158_242
; %bb.239:
	s_wait_loadcnt 0x0
	global_load_b64 v[2:3], v[0:1], off
	s_mov_b32 s16, 0
	s_wait_loadcnt 0x0
	v_xor_b32_e32 v5, v2, v3
	v_cls_i32_e32 v6, v3
	s_delay_alu instid0(VALU_DEP_2) | instskip(NEXT) | instid1(VALU_DEP_1)
	v_ashrrev_i32_e32 v5, 31, v5
	v_add_nc_u32_e32 v5, 32, v5
	s_delay_alu instid0(VALU_DEP_1) | instskip(NEXT) | instid1(VALU_DEP_1)
	v_add_min_u32_e64 v5, v6, -1, v5
	v_lshlrev_b64_e32 v[2:3], v5, v[2:3]
	s_delay_alu instid0(VALU_DEP_1) | instskip(NEXT) | instid1(VALU_DEP_1)
	v_min_u32_e32 v2, 1, v2
	v_dual_sub_nc_u32 v3, 32, v5 :: v_dual_bitop2_b32 v2, v3, v2 bitop3:0x54
	s_delay_alu instid0(VALU_DEP_1) | instskip(NEXT) | instid1(VALU_DEP_1)
	v_cvt_f32_i32_e32 v2, v2
	v_ldexp_f32 v2, v2, v3
	s_delay_alu instid0(VALU_DEP_1)
	v_cvt_f16_f32_e32 v2, v2
	s_branch .LBB158_243
.LBB158_240:
	s_mov_b32 s16, -1
                                        ; implicit-def: $vgpr2
	s_branch .LBB158_249
.LBB158_241:
	s_mov_b32 s16, -1
                                        ; implicit-def: $vgpr2
	s_branch .LBB158_246
.LBB158_242:
	s_mov_b32 s16, -1
                                        ; implicit-def: $vgpr2
.LBB158_243:
	s_delay_alu instid0(SALU_CYCLE_1)
	s_and_not1_b32 vcc_lo, exec_lo, s16
	s_cbranch_vccnz .LBB158_245
; %bb.244:
	s_wait_loadcnt 0x0
	global_load_b32 v2, v[0:1], off
	s_wait_loadcnt 0x0
	v_cvt_f32_i32_e32 v2, v2
	s_delay_alu instid0(VALU_DEP_1)
	v_cvt_f16_f32_e32 v2, v2
.LBB158_245:
	s_mov_b32 s16, 0
.LBB158_246:
	s_delay_alu instid0(SALU_CYCLE_1)
	s_and_not1_b32 vcc_lo, exec_lo, s16
	s_cbranch_vccnz .LBB158_248
; %bb.247:
	s_wait_loadcnt 0x0
	global_load_u16 v2, v[0:1], off
	s_wait_loadcnt 0x0
	v_cvt_f16_i16_e32 v2, v2
.LBB158_248:
	s_mov_b32 s16, 0
.LBB158_249:
	s_delay_alu instid0(SALU_CYCLE_1)
	s_and_not1_b32 vcc_lo, exec_lo, s16
	s_cbranch_vccnz .LBB158_255
; %bb.250:
	s_cmp_gt_i32 s0, 0
	s_mov_b32 s0, 0
	s_cbranch_scc0 .LBB158_252
; %bb.251:
	s_wait_loadcnt 0x0
	global_load_i8 v2, v[0:1], off
	s_wait_loadcnt 0x0
	v_cvt_f16_i16_e32 v2, v2
	s_branch .LBB158_253
.LBB158_252:
	s_mov_b32 s0, -1
                                        ; implicit-def: $vgpr2
.LBB158_253:
	s_delay_alu instid0(SALU_CYCLE_1)
	s_and_not1_b32 vcc_lo, exec_lo, s0
	s_cbranch_vccnz .LBB158_255
; %bb.254:
	global_load_u8 v0, v[0:1], off
	s_wait_loadcnt 0x0
	v_cvt_f16_u16_e32 v2, v0
.LBB158_255:
	v_mov_b32_e32 v3, 0
.LBB158_256:
	s_branch .LBB158_11
.LBB158_257:
	s_mov_b32 s0, 0
.LBB158_258:
	s_mov_b32 s20, 0
                                        ; implicit-def: $vgpr4
.LBB158_259:
	s_and_b32 s16, s0, exec_lo
	s_and_b32 s17, s17, exec_lo
	s_or_not1_b32 s21, s20, exec_lo
.LBB158_260:
	s_wait_xcnt 0x0
	s_or_b32 exec_lo, exec_lo, s18
	s_mov_b32 s20, 0
	s_mov_b32 s0, 0
                                        ; implicit-def: $vgpr0_vgpr1
                                        ; implicit-def: $vgpr3
                                        ; implicit-def: $vgpr2
	s_and_saveexec_b32 s18, s21
	s_cbranch_execz .LBB158_269
; %bb.261:
	s_mov_b32 s0, -1
	s_mov_b32 s19, s17
	s_mov_b32 s20, s16
	s_mov_b32 s21, exec_lo
	v_cmpx_gt_i32_e64 s15, v4
	s_cbranch_execz .LBB158_532
; %bb.262:
	v_mul_lo_u32 v0, v4, s9
	s_and_b32 s0, 0xffff, s3
	s_delay_alu instid0(SALU_CYCLE_1) | instskip(NEXT) | instid1(VALU_DEP_1)
	s_cmp_lt_i32 s0, 11
	v_ashrrev_i32_e32 v1, 31, v0
	s_delay_alu instid0(VALU_DEP_1)
	v_add_nc_u64_e32 v[0:1], s[6:7], v[0:1]
	s_cbranch_scc1 .LBB158_272
; %bb.263:
	s_cmp_gt_i32 s0, 25
	s_cbranch_scc0 .LBB158_284
; %bb.264:
	s_cmp_gt_i32 s0, 28
	s_cbranch_scc0 .LBB158_287
	;; [unrolled: 3-line block ×4, first 2 shown]
; %bb.267:
	s_cmp_eq_u32 s0, 46
	s_mov_b32 s22, 0
	s_cbranch_scc0 .LBB158_297
; %bb.268:
	s_wait_loadcnt 0x0
	global_load_b32 v2, v[0:1], off
	s_mov_b32 s20, -1
	s_mov_b32 s19, 0
	s_wait_loadcnt 0x0
	v_lshlrev_b32_e32 v3, 16, v2
	v_and_b32_e32 v5, 0xffff0000, v2
	s_delay_alu instid0(VALU_DEP_2) | instskip(NEXT) | instid1(VALU_DEP_2)
	v_cvt_f16_f32_e32 v2, v3
	v_cvt_f16_f32_e32 v3, v5
	s_branch .LBB158_299
.LBB158_269:
	s_or_b32 exec_lo, exec_lo, s18
	s_mov_b32 s15, 0
	s_and_saveexec_b32 s18, s17
	s_cbranch_execnz .LBB158_893
.LBB158_270:
	s_or_b32 exec_lo, exec_lo, s18
	s_and_saveexec_b32 s17, s19
	s_delay_alu instid0(SALU_CYCLE_1)
	s_xor_b32 s17, exec_lo, s17
	s_cbranch_execz .LBB158_894
.LBB158_271:
	s_wait_loadcnt 0x0
	global_load_u8 v2, v[0:1], off
	v_mov_b32_e32 v3, 0
	s_or_b32 s0, s0, exec_lo
	s_wait_loadcnt 0x0
	v_cmp_ne_u16_e32 vcc_lo, 0, v2
	v_cndmask_b32_e64 v2, 0, 0x3c00, vcc_lo
	s_wait_xcnt 0x0
	s_or_b32 exec_lo, exec_lo, s17
	s_and_saveexec_b32 s17, s20
	s_cbranch_execz .LBB158_942
	s_branch .LBB158_895
.LBB158_272:
	s_mov_b32 s20, 0
	s_mov_b32 s19, s17
                                        ; implicit-def: $vgpr3
                                        ; implicit-def: $vgpr2
	s_cbranch_execnz .LBB158_479
.LBB158_273:
	s_and_not1_b32 vcc_lo, exec_lo, s20
	s_cbranch_vccnz .LBB158_529
.LBB158_274:
	s_and_not1_b32 vcc_lo, exec_lo, s14
	s_cbranch_vccnz .LBB158_286
; %bb.275:
	s_wait_loadcnt 0x0
	v_cmp_neq_f16_e32 vcc_lo, s11, v2
	v_cmp_neq_f16_e64 s0, s13, v3
	s_or_b32 s20, vcc_lo, s0
	s_cbranch_execnz .LBB158_277
.LBB158_276:
	s_wait_loadcnt 0x0
	v_cmp_eq_f16_e32 vcc_lo, s11, v2
	v_cmp_eq_f16_e64 s0, s13, v3
	s_and_not1_b32 s20, s20, exec_lo
	s_and_b32 s0, vcc_lo, s0
	s_delay_alu instid0(SALU_CYCLE_1) | instskip(NEXT) | instid1(SALU_CYCLE_1)
	s_and_b32 s0, s0, exec_lo
	s_or_b32 s20, s20, s0
.LBB158_277:
	s_wait_xcnt 0x0
	v_mul_lo_u32 v0, v4, s8
	s_and_b32 s22, s2, 0xff
	s_delay_alu instid0(SALU_CYCLE_1) | instskip(NEXT) | instid1(VALU_DEP_1)
	s_cmp_lt_i32 s22, 11
	v_ashrrev_i32_e32 v1, 31, v0
	s_delay_alu instid0(VALU_DEP_1)
	v_add_nc_u64_e32 v[0:1], s[4:5], v[0:1]
	s_cbranch_scc1 .LBB158_285
; %bb.278:
	s_and_b32 s23, 0xffff, s22
	s_delay_alu instid0(SALU_CYCLE_1)
	s_cmp_gt_i32 s23, 25
	s_cbranch_scc0 .LBB158_288
; %bb.279:
	s_cmp_gt_i32 s23, 28
	s_cbranch_scc0 .LBB158_290
; %bb.280:
	;; [unrolled: 3-line block ×4, first 2 shown]
	s_mov_b32 s25, 0
	s_mov_b32 s0, -1
	s_cmp_eq_u32 s23, 46
	s_mov_b32 s24, 0
	s_cbranch_scc0 .LBB158_303
; %bb.283:
	s_wait_loadcnt 0x0
	v_cndmask_b32_e64 v2, 0, 1.0, s20
	s_mov_b32 s24, -1
	s_mov_b32 s0, 0
	s_delay_alu instid0(VALU_DEP_1) | instskip(NEXT) | instid1(VALU_DEP_1)
	v_bfe_u32 v3, v2, 16, 1
	v_add3_u32 v2, v2, v3, 0x7fff
	s_delay_alu instid0(VALU_DEP_1)
	v_lshrrev_b32_e32 v2, 16, v2
	global_store_b32 v[0:1], v2, off
	s_branch .LBB158_303
.LBB158_284:
	s_mov_b32 s22, -1
	s_mov_b32 s20, 0
	s_mov_b32 s19, s17
                                        ; implicit-def: $vgpr3
                                        ; implicit-def: $vgpr2
	s_branch .LBB158_442
.LBB158_285:
	s_mov_b32 s23, -1
	s_mov_b32 s24, 0
	s_mov_b32 s0, s16
	s_branch .LBB158_372
.LBB158_286:
                                        ; implicit-def: $sgpr20
	s_branch .LBB158_276
.LBB158_287:
	s_mov_b32 s22, -1
	s_mov_b32 s20, 0
	s_mov_b32 s19, s17
                                        ; implicit-def: $vgpr3
                                        ; implicit-def: $vgpr2
	s_branch .LBB158_423
.LBB158_288:
	s_mov_b32 s25, -1
	s_mov_b32 s24, 0
	s_mov_b32 s0, s16
	s_branch .LBB158_330
.LBB158_289:
	s_mov_b32 s22, -1
	s_mov_b32 s20, 0
	s_mov_b32 s19, s17
                                        ; implicit-def: $vgpr3
                                        ; implicit-def: $vgpr2
	s_branch .LBB158_417
.LBB158_290:
	s_mov_b32 s25, -1
	s_mov_b32 s24, 0
	s_mov_b32 s0, s16
	s_branch .LBB158_313
.LBB158_291:
	s_and_not1_saveexec_b32 s24, s24
	s_cbranch_execz .LBB158_58
.LBB158_292:
	s_wait_loadcnt 0x0
	v_add_f32_e32 v2, 0x46000000, v3
	s_and_not1_b32 s23, s23, exec_lo
	s_delay_alu instid0(VALU_DEP_1) | instskip(NEXT) | instid1(VALU_DEP_1)
	v_and_b32_e32 v2, 0xff, v2
	v_cmp_ne_u32_e32 vcc_lo, 0, v2
	s_and_b32 s25, vcc_lo, exec_lo
	s_delay_alu instid0(SALU_CYCLE_1)
	s_or_b32 s23, s23, s25
	s_or_b32 exec_lo, exec_lo, s24
	v_mov_b32_e32 v5, 0
	s_and_saveexec_b32 s24, s23
	s_cbranch_execnz .LBB158_59
	s_branch .LBB158_60
.LBB158_293:
	s_mov_b32 s22, -1
	s_mov_b32 s20, 0
	s_mov_b32 s19, s17
	s_branch .LBB158_298
.LBB158_294:
	s_mov_b32 s25, -1
	s_mov_b32 s24, 0
	s_mov_b32 s0, s16
	s_branch .LBB158_309
.LBB158_295:
	s_and_not1_saveexec_b32 s24, s24
	s_cbranch_execz .LBB158_71
.LBB158_296:
	s_wait_loadcnt 0x0
	v_add_f32_e32 v2, 0x42800000, v3
	s_and_not1_b32 s23, s23, exec_lo
	s_delay_alu instid0(VALU_DEP_1) | instskip(NEXT) | instid1(VALU_DEP_1)
	v_and_b32_e32 v2, 0xff, v2
	v_cmp_ne_u32_e32 vcc_lo, 0, v2
	s_and_b32 s25, vcc_lo, exec_lo
	s_delay_alu instid0(SALU_CYCLE_1)
	s_or_b32 s23, s23, s25
	s_or_b32 exec_lo, exec_lo, s24
	v_mov_b32_e32 v5, 0
	s_and_saveexec_b32 s24, s23
	s_cbranch_execnz .LBB158_72
	s_branch .LBB158_73
.LBB158_297:
	s_mov_b32 s19, -1
	s_mov_b32 s20, 0
.LBB158_298:
                                        ; implicit-def: $vgpr3
                                        ; implicit-def: $vgpr2
.LBB158_299:
	s_and_b32 vcc_lo, exec_lo, s22
	s_cbranch_vccz .LBB158_416
; %bb.300:
	s_cmp_eq_u32 s0, 44
	s_cbranch_scc0 .LBB158_414
; %bb.301:
	s_wait_loadcnt 0x0
	global_load_u8 v2, v[0:1], off
	s_mov_b32 s19, 0
	s_mov_b32 s20, -1
	s_wait_loadcnt 0x0
	v_lshlrev_b32_e32 v3, 23, v2
	v_cmp_ne_u32_e32 vcc_lo, 0xff, v2
	s_delay_alu instid0(VALU_DEP_2) | instskip(NEXT) | instid1(VALU_DEP_1)
	v_cvt_f16_f32_e32 v3, v3
	v_cndmask_b32_e32 v3, 0x7e00, v3, vcc_lo
	v_cmp_ne_u32_e32 vcc_lo, 0, v2
	s_delay_alu instid0(VALU_DEP_2)
	v_cndmask_b32_e32 v2, 0, v3, vcc_lo
	s_branch .LBB158_415
.LBB158_302:
	s_mov_b32 s25, -1
	s_mov_b32 s24, 0
	s_mov_b32 s0, s16
.LBB158_303:
	s_and_b32 vcc_lo, exec_lo, s25
	s_cbranch_vccz .LBB158_308
; %bb.304:
	s_cmp_eq_u32 s23, 44
	s_mov_b32 s0, -1
	s_cbranch_scc0 .LBB158_308
; %bb.305:
	v_cndmask_b32_e64 v5, 0, 1.0, s20
	s_mov_b32 s24, exec_lo
	s_wait_loadcnt 0x0
	s_delay_alu instid0(VALU_DEP_1) | instskip(NEXT) | instid1(VALU_DEP_1)
	v_dual_mov_b32 v3, 0xff :: v_dual_lshrrev_b32 v2, 23, v5
	v_cmpx_ne_u32_e32 0xff, v2
; %bb.306:
	v_and_b32_e32 v3, 0x400000, v5
	v_and_or_b32 v5, 0x3fffff, v5, v2
	s_delay_alu instid0(VALU_DEP_2) | instskip(NEXT) | instid1(VALU_DEP_2)
	v_cmp_ne_u32_e32 vcc_lo, 0, v3
	v_cmp_ne_u32_e64 s0, 0, v5
	s_and_b32 s0, vcc_lo, s0
	s_delay_alu instid0(SALU_CYCLE_1) | instskip(NEXT) | instid1(VALU_DEP_1)
	v_cndmask_b32_e64 v3, 0, 1, s0
	v_add_nc_u32_e32 v3, v2, v3
; %bb.307:
	s_or_b32 exec_lo, exec_lo, s24
	s_mov_b32 s24, -1
	s_mov_b32 s0, 0
	global_store_b8 v[0:1], v3, off
.LBB158_308:
	s_mov_b32 s25, 0
.LBB158_309:
	s_delay_alu instid0(SALU_CYCLE_1)
	s_and_b32 vcc_lo, exec_lo, s25
	s_cbranch_vccz .LBB158_312
; %bb.310:
	s_cmp_eq_u32 s23, 29
	s_mov_b32 s0, -1
	s_cbranch_scc0 .LBB158_312
; %bb.311:
	s_mov_b32 s0, 0
	s_wait_loadcnt 0x0
	v_cndmask_b32_e64 v2, 0, 1, s20
	v_mov_b32_e32 v3, s0
	s_mov_b32 s24, -1
	s_mov_b32 s25, 0
	global_store_b64 v[0:1], v[2:3], off
	s_branch .LBB158_313
.LBB158_312:
	s_mov_b32 s25, 0
.LBB158_313:
	s_delay_alu instid0(SALU_CYCLE_1)
	s_and_b32 vcc_lo, exec_lo, s25
	s_cbranch_vccz .LBB158_329
; %bb.314:
	s_cmp_lt_i32 s23, 27
	s_mov_b32 s24, -1
	s_cbranch_scc1 .LBB158_320
; %bb.315:
	s_cmp_gt_i32 s23, 27
	s_cbranch_scc0 .LBB158_317
; %bb.316:
	s_wait_loadcnt 0x0
	v_cndmask_b32_e64 v2, 0, 1, s20
	s_mov_b32 s24, 0
	global_store_b32 v[0:1], v2, off
.LBB158_317:
	s_and_not1_b32 vcc_lo, exec_lo, s24
	s_cbranch_vccnz .LBB158_319
; %bb.318:
	s_wait_loadcnt 0x0
	v_cndmask_b32_e64 v2, 0, 1, s20
	global_store_b16 v[0:1], v2, off
.LBB158_319:
	s_mov_b32 s24, 0
.LBB158_320:
	s_delay_alu instid0(SALU_CYCLE_1)
	s_and_not1_b32 vcc_lo, exec_lo, s24
	s_cbranch_vccnz .LBB158_328
; %bb.321:
	s_wait_xcnt 0x0
	v_cndmask_b32_e64 v3, 0, 1.0, s20
	v_mov_b32_e32 v5, 0x80
	s_mov_b32 s24, exec_lo
	s_delay_alu instid0(VALU_DEP_2)
	v_cmpx_gt_u32_e32 0x43800000, v3
	s_cbranch_execz .LBB158_327
; %bb.322:
	s_mov_b32 s25, 0
	s_mov_b32 s26, exec_lo
                                        ; implicit-def: $vgpr2
	v_cmpx_lt_u32_e32 0x3bffffff, v3
	s_xor_b32 s26, exec_lo, s26
	s_cbranch_execz .LBB158_545
; %bb.323:
	s_wait_loadcnt 0x0
	v_bfe_u32 v2, v3, 20, 1
	s_mov_b32 s25, exec_lo
	s_delay_alu instid0(VALU_DEP_1) | instskip(NEXT) | instid1(VALU_DEP_1)
	v_add3_u32 v2, v3, v2, 0x487ffff
                                        ; implicit-def: $vgpr3
	v_lshrrev_b32_e32 v2, 20, v2
	s_and_not1_saveexec_b32 s26, s26
	s_cbranch_execnz .LBB158_546
.LBB158_324:
	s_or_b32 exec_lo, exec_lo, s26
	v_mov_b32_e32 v5, 0
	s_and_saveexec_b32 s26, s25
	s_cbranch_execz .LBB158_326
.LBB158_325:
	s_wait_loadcnt 0x0
	v_mov_b32_e32 v5, v2
.LBB158_326:
	s_or_b32 exec_lo, exec_lo, s26
.LBB158_327:
	s_delay_alu instid0(SALU_CYCLE_1)
	s_or_b32 exec_lo, exec_lo, s24
	global_store_b8 v[0:1], v5, off
.LBB158_328:
	s_mov_b32 s24, -1
.LBB158_329:
	s_mov_b32 s25, 0
.LBB158_330:
	s_delay_alu instid0(SALU_CYCLE_1)
	s_and_b32 vcc_lo, exec_lo, s25
	s_cbranch_vccz .LBB158_371
; %bb.331:
	s_cmp_gt_i32 s23, 22
	s_mov_b32 s25, -1
	s_cbranch_scc0 .LBB158_363
; %bb.332:
	s_cmp_lt_i32 s23, 24
	s_mov_b32 s24, -1
	s_cbranch_scc1 .LBB158_352
; %bb.333:
	s_cmp_gt_i32 s23, 24
	s_cbranch_scc0 .LBB158_341
; %bb.334:
	s_wait_xcnt 0x0
	v_cndmask_b32_e64 v3, 0, 1.0, s20
	v_mov_b32_e32 v5, 0x80
	s_mov_b32 s24, exec_lo
	s_delay_alu instid0(VALU_DEP_2)
	v_cmpx_gt_u32_e32 0x47800000, v3
	s_cbranch_execz .LBB158_340
; %bb.335:
	s_mov_b32 s25, 0
	s_mov_b32 s26, exec_lo
                                        ; implicit-def: $vgpr2
	v_cmpx_lt_u32_e32 0x37ffffff, v3
	s_xor_b32 s26, exec_lo, s26
	s_cbranch_execz .LBB158_548
; %bb.336:
	s_wait_loadcnt 0x0
	v_bfe_u32 v2, v3, 21, 1
	s_mov_b32 s25, exec_lo
	s_delay_alu instid0(VALU_DEP_1) | instskip(NEXT) | instid1(VALU_DEP_1)
	v_add3_u32 v2, v3, v2, 0x88fffff
                                        ; implicit-def: $vgpr3
	v_lshrrev_b32_e32 v2, 21, v2
	s_and_not1_saveexec_b32 s26, s26
	s_cbranch_execnz .LBB158_549
.LBB158_337:
	s_or_b32 exec_lo, exec_lo, s26
	v_mov_b32_e32 v5, 0
	s_and_saveexec_b32 s26, s25
	s_cbranch_execz .LBB158_339
.LBB158_338:
	s_wait_loadcnt 0x0
	v_mov_b32_e32 v5, v2
.LBB158_339:
	s_or_b32 exec_lo, exec_lo, s26
.LBB158_340:
	s_delay_alu instid0(SALU_CYCLE_1)
	s_or_b32 exec_lo, exec_lo, s24
	s_mov_b32 s24, 0
	global_store_b8 v[0:1], v5, off
.LBB158_341:
	s_and_b32 vcc_lo, exec_lo, s24
	s_cbranch_vccz .LBB158_351
; %bb.342:
	s_wait_xcnt 0x0
	v_cndmask_b32_e64 v3, 0, 1.0, s20
	s_mov_b32 s24, exec_lo
                                        ; implicit-def: $vgpr2
	s_delay_alu instid0(VALU_DEP_1)
	v_cmpx_gt_u32_e32 0x43f00000, v3
	s_xor_b32 s24, exec_lo, s24
	s_cbranch_execz .LBB158_348
; %bb.343:
	s_mov_b32 s25, exec_lo
                                        ; implicit-def: $vgpr2
	v_cmpx_lt_u32_e32 0x3c7fffff, v3
	s_xor_b32 s25, exec_lo, s25
	s_cbranch_execz .LBB158_345
; %bb.344:
	s_wait_loadcnt 0x0
	v_bfe_u32 v2, v3, 20, 1
	s_delay_alu instid0(VALU_DEP_1) | instskip(NEXT) | instid1(VALU_DEP_1)
	v_add3_u32 v2, v3, v2, 0x407ffff
	v_and_b32_e32 v3, 0xff00000, v2
	v_lshrrev_b32_e32 v2, 20, v2
	s_delay_alu instid0(VALU_DEP_2) | instskip(NEXT) | instid1(VALU_DEP_2)
	v_cmp_ne_u32_e32 vcc_lo, 0x7f00000, v3
                                        ; implicit-def: $vgpr3
	v_cndmask_b32_e32 v2, 0x7e, v2, vcc_lo
.LBB158_345:
	s_and_not1_saveexec_b32 s25, s25
	s_cbranch_execz .LBB158_347
; %bb.346:
	s_wait_loadcnt 0x0
	v_add_f32_e32 v2, 0x46800000, v3
.LBB158_347:
	s_or_b32 exec_lo, exec_lo, s25
                                        ; implicit-def: $vgpr3
.LBB158_348:
	s_and_not1_saveexec_b32 s24, s24
	s_cbranch_execz .LBB158_350
; %bb.349:
	s_wait_loadcnt 0x0
	v_mov_b32_e32 v2, 0x7f
	v_cmp_lt_u32_e32 vcc_lo, 0x7f800000, v3
	s_delay_alu instid0(VALU_DEP_2)
	v_cndmask_b32_e32 v2, 0x7e, v2, vcc_lo
.LBB158_350:
	s_or_b32 exec_lo, exec_lo, s24
	s_wait_loadcnt 0x0
	global_store_b8 v[0:1], v2, off
.LBB158_351:
	s_mov_b32 s24, 0
.LBB158_352:
	s_delay_alu instid0(SALU_CYCLE_1)
	s_and_not1_b32 vcc_lo, exec_lo, s24
	s_cbranch_vccnz .LBB158_362
; %bb.353:
	s_wait_xcnt 0x0
	v_cndmask_b32_e64 v3, 0, 1.0, s20
	s_mov_b32 s24, exec_lo
                                        ; implicit-def: $vgpr2
	s_delay_alu instid0(VALU_DEP_1)
	v_cmpx_gt_u32_e32 0x47800000, v3
	s_xor_b32 s24, exec_lo, s24
	s_cbranch_execz .LBB158_359
; %bb.354:
	s_mov_b32 s25, exec_lo
                                        ; implicit-def: $vgpr2
	v_cmpx_lt_u32_e32 0x387fffff, v3
	s_xor_b32 s25, exec_lo, s25
	s_cbranch_execz .LBB158_356
; %bb.355:
	s_wait_loadcnt 0x0
	v_bfe_u32 v2, v3, 21, 1
	s_delay_alu instid0(VALU_DEP_1) | instskip(NEXT) | instid1(VALU_DEP_1)
	v_add3_u32 v2, v3, v2, 0x80fffff
                                        ; implicit-def: $vgpr3
	v_lshrrev_b32_e32 v2, 21, v2
.LBB158_356:
	s_and_not1_saveexec_b32 s25, s25
	s_cbranch_execz .LBB158_358
; %bb.357:
	s_wait_loadcnt 0x0
	v_add_f32_e32 v2, 0x43000000, v3
.LBB158_358:
	s_or_b32 exec_lo, exec_lo, s25
                                        ; implicit-def: $vgpr3
.LBB158_359:
	s_and_not1_saveexec_b32 s24, s24
	s_cbranch_execz .LBB158_361
; %bb.360:
	s_wait_loadcnt 0x0
	v_mov_b32_e32 v2, 0x7f
	v_cmp_lt_u32_e32 vcc_lo, 0x7f800000, v3
	s_delay_alu instid0(VALU_DEP_2)
	v_cndmask_b32_e32 v2, 0x7c, v2, vcc_lo
.LBB158_361:
	s_or_b32 exec_lo, exec_lo, s24
	s_wait_loadcnt 0x0
	global_store_b8 v[0:1], v2, off
.LBB158_362:
	s_mov_b32 s25, 0
	s_mov_b32 s24, -1
.LBB158_363:
	s_and_not1_b32 vcc_lo, exec_lo, s25
	s_cbranch_vccnz .LBB158_371
; %bb.364:
	s_cmp_gt_i32 s23, 14
	s_mov_b32 s25, -1
	s_cbranch_scc0 .LBB158_368
; %bb.365:
	s_cmp_eq_u32 s23, 15
	s_mov_b32 s0, -1
	s_cbranch_scc0 .LBB158_367
; %bb.366:
	s_wait_loadcnt 0x0
	v_cndmask_b32_e64 v2, 0, 1.0, s20
	s_mov_b32 s24, -1
	s_mov_b32 s0, 0
	s_delay_alu instid0(VALU_DEP_1) | instskip(NEXT) | instid1(VALU_DEP_1)
	v_bfe_u32 v3, v2, 16, 1
	v_add3_u32 v2, v2, v3, 0x7fff
	global_store_d16_hi_b16 v[0:1], v2, off
.LBB158_367:
	s_mov_b32 s25, 0
.LBB158_368:
	s_delay_alu instid0(SALU_CYCLE_1)
	s_and_b32 vcc_lo, exec_lo, s25
	s_cbranch_vccz .LBB158_371
; %bb.369:
	s_cmp_eq_u32 s23, 11
	s_mov_b32 s0, -1
	s_cbranch_scc0 .LBB158_371
; %bb.370:
	s_wait_loadcnt 0x0
	v_cndmask_b32_e64 v2, 0, 1, s20
	s_mov_b32 s24, -1
	s_mov_b32 s0, 0
	global_store_b8 v[0:1], v2, off
.LBB158_371:
	s_mov_b32 s23, 0
.LBB158_372:
	s_delay_alu instid0(SALU_CYCLE_1)
	s_and_b32 vcc_lo, exec_lo, s23
	s_cbranch_vccz .LBB158_411
; %bb.373:
	s_and_b32 s22, 0xffff, s22
	s_mov_b32 s23, -1
	s_cmp_lt_i32 s22, 5
	s_cbranch_scc1 .LBB158_394
; %bb.374:
	s_cmp_lt_i32 s22, 8
	s_cbranch_scc1 .LBB158_384
; %bb.375:
	;; [unrolled: 3-line block ×3, first 2 shown]
	s_cmp_gt_i32 s22, 9
	s_cbranch_scc0 .LBB158_378
; %bb.377:
	s_wait_loadcnt 0x0
	v_cndmask_b32_e64 v2, 0, 1, s20
	v_mov_b32_e32 v8, 0
	s_mov_b32 s23, 0
	s_delay_alu instid0(VALU_DEP_2) | instskip(NEXT) | instid1(VALU_DEP_2)
	v_cvt_f64_u32_e32 v[6:7], v2
	v_mov_b32_e32 v9, v8
	global_store_b128 v[0:1], v[6:9], off
.LBB158_378:
	s_and_not1_b32 vcc_lo, exec_lo, s23
	s_cbranch_vccnz .LBB158_380
; %bb.379:
	s_wait_loadcnt 0x0
	v_cndmask_b32_e64 v2, 0, 1.0, s20
	v_mov_b32_e32 v3, 0
	global_store_b64 v[0:1], v[2:3], off
.LBB158_380:
	s_mov_b32 s23, 0
.LBB158_381:
	s_delay_alu instid0(SALU_CYCLE_1)
	s_and_not1_b32 vcc_lo, exec_lo, s23
	s_cbranch_vccnz .LBB158_383
; %bb.382:
	s_wait_loadcnt 0x0
	v_cndmask_b32_e64 v2, 0, 1.0, s20
	s_delay_alu instid0(VALU_DEP_1) | instskip(NEXT) | instid1(VALU_DEP_1)
	v_cvt_f16_f32_e32 v2, v2
	v_and_b32_e32 v2, 0xffff, v2
	global_store_b32 v[0:1], v2, off
.LBB158_383:
	s_mov_b32 s23, 0
.LBB158_384:
	s_delay_alu instid0(SALU_CYCLE_1)
	s_and_not1_b32 vcc_lo, exec_lo, s23
	s_cbranch_vccnz .LBB158_393
; %bb.385:
	s_cmp_lt_i32 s22, 6
	s_mov_b32 s23, -1
	s_cbranch_scc1 .LBB158_391
; %bb.386:
	s_cmp_gt_i32 s22, 6
	s_cbranch_scc0 .LBB158_388
; %bb.387:
	s_wait_loadcnt 0x0
	v_cndmask_b32_e64 v2, 0, 1, s20
	s_mov_b32 s23, 0
	s_delay_alu instid0(VALU_DEP_1)
	v_cvt_f64_u32_e32 v[2:3], v2
	global_store_b64 v[0:1], v[2:3], off
.LBB158_388:
	s_and_not1_b32 vcc_lo, exec_lo, s23
	s_cbranch_vccnz .LBB158_390
; %bb.389:
	s_wait_loadcnt 0x0
	v_cndmask_b32_e64 v2, 0, 1.0, s20
	global_store_b32 v[0:1], v2, off
.LBB158_390:
	s_mov_b32 s23, 0
.LBB158_391:
	s_delay_alu instid0(SALU_CYCLE_1)
	s_and_not1_b32 vcc_lo, exec_lo, s23
	s_cbranch_vccnz .LBB158_393
; %bb.392:
	s_wait_loadcnt 0x0
	v_cndmask_b32_e64 v2, 0, 1.0, s20
	s_delay_alu instid0(VALU_DEP_1)
	v_cvt_f16_f32_e32 v2, v2
	global_store_b16 v[0:1], v2, off
.LBB158_393:
	s_mov_b32 s23, 0
.LBB158_394:
	s_delay_alu instid0(SALU_CYCLE_1)
	s_and_not1_b32 vcc_lo, exec_lo, s23
	s_cbranch_vccnz .LBB158_410
; %bb.395:
	s_cmp_lt_i32 s22, 2
	s_mov_b32 s23, -1
	s_cbranch_scc1 .LBB158_405
; %bb.396:
	s_cmp_lt_i32 s22, 3
	s_cbranch_scc1 .LBB158_402
; %bb.397:
	s_cmp_gt_i32 s22, 3
	s_cbranch_scc0 .LBB158_399
; %bb.398:
	s_mov_b32 s23, 0
	s_wait_loadcnt 0x0
	v_cndmask_b32_e64 v2, 0, 1, s20
	v_mov_b32_e32 v3, s23
	global_store_b64 v[0:1], v[2:3], off
.LBB158_399:
	s_and_not1_b32 vcc_lo, exec_lo, s23
	s_cbranch_vccnz .LBB158_401
; %bb.400:
	s_wait_loadcnt 0x0
	v_cndmask_b32_e64 v2, 0, 1, s20
	global_store_b32 v[0:1], v2, off
.LBB158_401:
	s_mov_b32 s23, 0
.LBB158_402:
	s_delay_alu instid0(SALU_CYCLE_1)
	s_and_not1_b32 vcc_lo, exec_lo, s23
	s_cbranch_vccnz .LBB158_404
; %bb.403:
	s_wait_loadcnt 0x0
	v_cndmask_b32_e64 v2, 0, 1, s20
	global_store_b16 v[0:1], v2, off
.LBB158_404:
	s_mov_b32 s23, 0
.LBB158_405:
	s_delay_alu instid0(SALU_CYCLE_1)
	s_and_not1_b32 vcc_lo, exec_lo, s23
	s_cbranch_vccnz .LBB158_410
; %bb.406:
	s_wait_loadcnt 0x0
	v_cndmask_b32_e64 v2, 0, 1, s20
	s_cmp_gt_i32 s22, 0
	s_mov_b32 s20, -1
	s_cbranch_scc0 .LBB158_408
; %bb.407:
	s_mov_b32 s20, 0
	global_store_b8 v[0:1], v2, off
.LBB158_408:
	s_and_not1_b32 vcc_lo, exec_lo, s20
	s_cbranch_vccnz .LBB158_410
; %bb.409:
	global_store_b8 v[0:1], v2, off
.LBB158_410:
	s_mov_b32 s24, -1
.LBB158_411:
	s_delay_alu instid0(SALU_CYCLE_1)
	s_and_not1_b32 vcc_lo, exec_lo, s24
	s_cbranch_vccnz .LBB158_413
; %bb.412:
	v_add_nc_u32_e32 v4, 0x80, v4
	s_mov_b32 s22, -1
	s_branch .LBB158_531
.LBB158_413:
	s_mov_b32 s22, 0
	s_branch .LBB158_530
.LBB158_414:
	s_mov_b32 s19, -1
                                        ; implicit-def: $vgpr2
.LBB158_415:
	v_mov_b32_e32 v3, 0
.LBB158_416:
	s_mov_b32 s22, 0
.LBB158_417:
	s_delay_alu instid0(SALU_CYCLE_1)
	s_and_b32 vcc_lo, exec_lo, s22
	s_cbranch_vccz .LBB158_422
; %bb.418:
	s_cmp_eq_u32 s0, 29
	s_cbranch_scc0 .LBB158_420
; %bb.419:
	s_wait_loadcnt 0x0
	global_load_b64 v[2:3], v[0:1], off
	s_mov_b32 s20, -1
	s_mov_b32 s19, 0
	s_wait_loadcnt 0x0
	v_clz_i32_u32_e32 v5, v3
	s_delay_alu instid0(VALU_DEP_1) | instskip(NEXT) | instid1(VALU_DEP_1)
	v_min_u32_e32 v5, 32, v5
	v_lshlrev_b64_e32 v[2:3], v5, v[2:3]
	s_delay_alu instid0(VALU_DEP_1) | instskip(NEXT) | instid1(VALU_DEP_1)
	v_min_u32_e32 v2, 1, v2
	v_dual_sub_nc_u32 v3, 32, v5 :: v_dual_bitop2_b32 v2, v3, v2 bitop3:0x54
	s_delay_alu instid0(VALU_DEP_1) | instskip(NEXT) | instid1(VALU_DEP_1)
	v_cvt_f32_u32_e32 v2, v2
	v_ldexp_f32 v2, v2, v3
	s_delay_alu instid0(VALU_DEP_1)
	v_cvt_f16_f32_e32 v2, v2
	s_branch .LBB158_421
.LBB158_420:
	s_mov_b32 s19, -1
                                        ; implicit-def: $vgpr2
.LBB158_421:
	v_mov_b32_e32 v3, 0
.LBB158_422:
	s_mov_b32 s22, 0
.LBB158_423:
	s_delay_alu instid0(SALU_CYCLE_1)
	s_and_b32 vcc_lo, exec_lo, s22
	s_cbranch_vccz .LBB158_441
; %bb.424:
	s_cmp_lt_i32 s0, 27
	s_cbranch_scc1 .LBB158_427
; %bb.425:
	s_cmp_gt_i32 s0, 27
	s_cbranch_scc0 .LBB158_428
; %bb.426:
	s_wait_loadcnt 0x0
	global_load_b32 v2, v[0:1], off
	s_mov_b32 s20, 0
	s_wait_loadcnt 0x0
	v_cvt_f32_u32_e32 v2, v2
	s_delay_alu instid0(VALU_DEP_1)
	v_cvt_f16_f32_e32 v2, v2
	s_branch .LBB158_429
.LBB158_427:
	s_mov_b32 s20, -1
                                        ; implicit-def: $vgpr2
	s_branch .LBB158_432
.LBB158_428:
	s_mov_b32 s20, -1
                                        ; implicit-def: $vgpr2
.LBB158_429:
	s_delay_alu instid0(SALU_CYCLE_1)
	s_and_not1_b32 vcc_lo, exec_lo, s20
	s_cbranch_vccnz .LBB158_431
; %bb.430:
	s_wait_loadcnt 0x0
	global_load_u16 v2, v[0:1], off
	s_wait_loadcnt 0x0
	v_cvt_f16_u16_e32 v2, v2
.LBB158_431:
	s_mov_b32 s20, 0
.LBB158_432:
	s_delay_alu instid0(SALU_CYCLE_1)
	s_and_not1_b32 vcc_lo, exec_lo, s20
	s_cbranch_vccnz .LBB158_440
; %bb.433:
	global_load_u8 v3, v[0:1], off
	s_mov_b32 s20, 0
	s_mov_b32 s22, exec_lo
	s_wait_loadcnt 0x0
	v_cmpx_lt_i16_e32 0x7f, v3
	s_xor_b32 s22, exec_lo, s22
	s_cbranch_execz .LBB158_454
; %bb.434:
	s_mov_b32 s20, -1
	s_mov_b32 s23, exec_lo
	v_cmpx_eq_u16_e32 0x80, v3
; %bb.435:
	s_xor_b32 s20, exec_lo, -1
; %bb.436:
	s_or_b32 exec_lo, exec_lo, s23
	s_delay_alu instid0(SALU_CYCLE_1)
	s_and_b32 s20, s20, exec_lo
	s_or_saveexec_b32 s22, s22
	v_mov_b32_e32 v2, 0x7e00
	s_xor_b32 exec_lo, exec_lo, s22
	s_cbranch_execnz .LBB158_455
.LBB158_437:
	s_or_b32 exec_lo, exec_lo, s22
	s_and_saveexec_b32 s22, s20
	s_cbranch_execz .LBB158_439
.LBB158_438:
	v_and_b32_e32 v2, 0xffff, v3
	s_delay_alu instid0(VALU_DEP_1) | instskip(SKIP_1) | instid1(VALU_DEP_2)
	v_dual_lshlrev_b32 v3, 24, v3 :: v_dual_bitop2_b32 v5, 7, v2 bitop3:0x40
	v_bfe_u32 v8, v2, 3, 4
	v_and_b32_e32 v3, 0x80000000, v3
	s_delay_alu instid0(VALU_DEP_3) | instskip(NEXT) | instid1(VALU_DEP_3)
	v_clz_i32_u32_e32 v6, v5
	v_cmp_eq_u32_e32 vcc_lo, 0, v8
	s_delay_alu instid0(VALU_DEP_2) | instskip(NEXT) | instid1(VALU_DEP_1)
	v_min_u32_e32 v6, 32, v6
	v_subrev_nc_u32_e32 v7, 28, v6
	v_sub_nc_u32_e32 v6, 29, v6
	s_delay_alu instid0(VALU_DEP_2) | instskip(NEXT) | instid1(VALU_DEP_2)
	v_lshlrev_b32_e32 v2, v7, v2
	v_cndmask_b32_e32 v6, v8, v6, vcc_lo
	s_delay_alu instid0(VALU_DEP_2) | instskip(NEXT) | instid1(VALU_DEP_1)
	v_and_b32_e32 v2, 7, v2
	v_cndmask_b32_e32 v2, v5, v2, vcc_lo
	s_delay_alu instid0(VALU_DEP_3) | instskip(NEXT) | instid1(VALU_DEP_2)
	v_lshl_add_u32 v5, v6, 23, 0x3b800000
	v_lshlrev_b32_e32 v2, 20, v2
	s_delay_alu instid0(VALU_DEP_1) | instskip(NEXT) | instid1(VALU_DEP_1)
	v_or3_b32 v2, v3, v5, v2
	v_cvt_f16_f32_e32 v2, v2
.LBB158_439:
	s_or_b32 exec_lo, exec_lo, s22
.LBB158_440:
	v_mov_b32_e32 v3, 0
	s_mov_b32 s20, -1
.LBB158_441:
	s_mov_b32 s22, 0
.LBB158_442:
	s_delay_alu instid0(SALU_CYCLE_1)
	s_and_b32 vcc_lo, exec_lo, s22
	s_cbranch_vccz .LBB158_478
; %bb.443:
	s_cmp_gt_i32 s0, 22
	s_cbranch_scc0 .LBB158_453
; %bb.444:
	s_cmp_lt_i32 s0, 24
	s_cbranch_scc1 .LBB158_456
; %bb.445:
	s_cmp_gt_i32 s0, 24
	s_cbranch_scc0 .LBB158_457
; %bb.446:
	global_load_u8 v3, v[0:1], off
	s_mov_b32 s20, 0
	s_mov_b32 s22, exec_lo
	s_wait_loadcnt 0x0
	v_cmpx_lt_i16_e32 0x7f, v3
	s_xor_b32 s22, exec_lo, s22
	s_cbranch_execz .LBB158_469
; %bb.447:
	s_mov_b32 s20, -1
	s_mov_b32 s23, exec_lo
	v_cmpx_eq_u16_e32 0x80, v3
; %bb.448:
	s_xor_b32 s20, exec_lo, -1
; %bb.449:
	s_or_b32 exec_lo, exec_lo, s23
	s_delay_alu instid0(SALU_CYCLE_1)
	s_and_b32 s20, s20, exec_lo
	s_or_saveexec_b32 s22, s22
	v_mov_b32_e32 v2, 0x7e00
	s_xor_b32 exec_lo, exec_lo, s22
	s_cbranch_execnz .LBB158_470
.LBB158_450:
	s_or_b32 exec_lo, exec_lo, s22
	s_and_saveexec_b32 s22, s20
	s_cbranch_execz .LBB158_452
.LBB158_451:
	v_and_b32_e32 v2, 0xffff, v3
	s_delay_alu instid0(VALU_DEP_1) | instskip(SKIP_1) | instid1(VALU_DEP_2)
	v_dual_lshlrev_b32 v3, 24, v3 :: v_dual_bitop2_b32 v5, 3, v2 bitop3:0x40
	v_bfe_u32 v8, v2, 2, 5
	v_and_b32_e32 v3, 0x80000000, v3
	s_delay_alu instid0(VALU_DEP_3) | instskip(NEXT) | instid1(VALU_DEP_3)
	v_clz_i32_u32_e32 v6, v5
	v_cmp_eq_u32_e32 vcc_lo, 0, v8
	s_delay_alu instid0(VALU_DEP_2) | instskip(NEXT) | instid1(VALU_DEP_1)
	v_min_u32_e32 v6, 32, v6
	v_subrev_nc_u32_e32 v7, 29, v6
	v_sub_nc_u32_e32 v6, 30, v6
	s_delay_alu instid0(VALU_DEP_2) | instskip(NEXT) | instid1(VALU_DEP_2)
	v_lshlrev_b32_e32 v2, v7, v2
	v_cndmask_b32_e32 v6, v8, v6, vcc_lo
	s_delay_alu instid0(VALU_DEP_2) | instskip(NEXT) | instid1(VALU_DEP_1)
	v_and_b32_e32 v2, 3, v2
	v_cndmask_b32_e32 v2, v5, v2, vcc_lo
	s_delay_alu instid0(VALU_DEP_3) | instskip(NEXT) | instid1(VALU_DEP_2)
	v_lshl_add_u32 v5, v6, 23, 0x37800000
	v_lshlrev_b32_e32 v2, 21, v2
	s_delay_alu instid0(VALU_DEP_1) | instskip(NEXT) | instid1(VALU_DEP_1)
	v_or3_b32 v2, v3, v5, v2
	v_cvt_f16_f32_e32 v2, v2
.LBB158_452:
	s_or_b32 exec_lo, exec_lo, s22
	s_mov_b32 s20, 0
	s_branch .LBB158_458
.LBB158_453:
	s_mov_b32 s22, -1
                                        ; implicit-def: $vgpr2
	s_branch .LBB158_464
.LBB158_454:
	s_or_saveexec_b32 s22, s22
	v_mov_b32_e32 v2, 0x7e00
	s_xor_b32 exec_lo, exec_lo, s22
	s_cbranch_execz .LBB158_437
.LBB158_455:
	v_cmp_ne_u16_e32 vcc_lo, 0, v3
	v_mov_b32_e32 v2, v3
	s_and_not1_b32 s20, s20, exec_lo
	s_and_b32 s23, vcc_lo, exec_lo
	s_delay_alu instid0(SALU_CYCLE_1)
	s_or_b32 s20, s20, s23
	s_or_b32 exec_lo, exec_lo, s22
	s_and_saveexec_b32 s22, s20
	s_cbranch_execnz .LBB158_438
	s_branch .LBB158_439
.LBB158_456:
	s_mov_b32 s20, -1
                                        ; implicit-def: $vgpr2
	s_branch .LBB158_461
.LBB158_457:
	s_mov_b32 s20, -1
                                        ; implicit-def: $vgpr2
.LBB158_458:
	s_delay_alu instid0(SALU_CYCLE_1)
	s_and_b32 vcc_lo, exec_lo, s20
	s_cbranch_vccz .LBB158_460
; %bb.459:
	s_wait_loadcnt 0x0
	global_load_u8 v2, v[0:1], off
	s_wait_loadcnt 0x0
	v_lshlrev_b32_e32 v2, 24, v2
	s_delay_alu instid0(VALU_DEP_1) | instskip(NEXT) | instid1(VALU_DEP_1)
	v_and_b32_e32 v3, 0x7f000000, v2
	v_clz_i32_u32_e32 v5, v3
	v_add_nc_u32_e32 v7, 0x1000000, v3
	v_cmp_ne_u32_e32 vcc_lo, 0, v3
	s_delay_alu instid0(VALU_DEP_3) | instskip(NEXT) | instid1(VALU_DEP_1)
	v_min_u32_e32 v5, 32, v5
	v_sub_nc_u32_e64 v5, v5, 4 clamp
	s_delay_alu instid0(VALU_DEP_1) | instskip(NEXT) | instid1(VALU_DEP_1)
	v_dual_lshlrev_b32 v6, v5, v3 :: v_dual_lshlrev_b32 v5, 23, v5
	v_lshrrev_b32_e32 v6, 4, v6
	s_delay_alu instid0(VALU_DEP_1) | instskip(NEXT) | instid1(VALU_DEP_1)
	v_dual_sub_nc_u32 v5, v6, v5 :: v_dual_ashrrev_i32 v6, 8, v7
	v_add_nc_u32_e32 v5, 0x3c000000, v5
	s_delay_alu instid0(VALU_DEP_1) | instskip(NEXT) | instid1(VALU_DEP_1)
	v_and_or_b32 v5, 0x7f800000, v6, v5
	v_cndmask_b32_e32 v3, 0, v5, vcc_lo
	s_delay_alu instid0(VALU_DEP_1) | instskip(NEXT) | instid1(VALU_DEP_1)
	v_and_or_b32 v2, 0x80000000, v2, v3
	v_cvt_f16_f32_e32 v2, v2
.LBB158_460:
	s_mov_b32 s20, 0
.LBB158_461:
	s_delay_alu instid0(SALU_CYCLE_1)
	s_and_not1_b32 vcc_lo, exec_lo, s20
	s_cbranch_vccnz .LBB158_463
; %bb.462:
	s_wait_loadcnt 0x0
	global_load_u8 v2, v[0:1], off
	s_wait_loadcnt 0x0
	v_lshlrev_b32_e32 v3, 25, v2
	v_lshlrev_b16 v2, 8, v2
	s_delay_alu instid0(VALU_DEP_2) | instskip(NEXT) | instid1(VALU_DEP_2)
	v_cmp_gt_u32_e32 vcc_lo, 0x8000000, v3
	v_and_or_b32 v6, 0x7f00, v2, 0.5
	v_lshrrev_b32_e32 v5, 4, v3
	v_bfe_i32 v2, v2, 0, 16
	s_delay_alu instid0(VALU_DEP_3) | instskip(NEXT) | instid1(VALU_DEP_3)
	v_add_f32_e32 v6, -0.5, v6
	v_or_b32_e32 v5, 0x70000000, v5
	s_delay_alu instid0(VALU_DEP_1) | instskip(NEXT) | instid1(VALU_DEP_1)
	v_mul_f32_e32 v5, 0x7800000, v5
	v_cndmask_b32_e32 v3, v5, v6, vcc_lo
	s_delay_alu instid0(VALU_DEP_1) | instskip(NEXT) | instid1(VALU_DEP_1)
	v_and_or_b32 v2, 0x80000000, v2, v3
	v_cvt_f16_f32_e32 v2, v2
.LBB158_463:
	s_mov_b32 s22, 0
	s_mov_b32 s20, -1
.LBB158_464:
	s_and_not1_b32 vcc_lo, exec_lo, s22
	s_cbranch_vccnz .LBB158_477
; %bb.465:
	s_cmp_gt_i32 s0, 14
	s_cbranch_scc0 .LBB158_468
; %bb.466:
	s_cmp_eq_u32 s0, 15
	s_cbranch_scc0 .LBB158_471
; %bb.467:
	s_wait_loadcnt 0x0
	global_load_u16 v2, v[0:1], off
	s_mov_b32 s20, -1
	s_mov_b32 s19, 0
	s_wait_loadcnt 0x0
	v_lshlrev_b32_e32 v2, 16, v2
	s_delay_alu instid0(VALU_DEP_1)
	v_cvt_f16_f32_e32 v2, v2
	s_branch .LBB158_472
.LBB158_468:
	s_mov_b32 s22, -1
                                        ; implicit-def: $vgpr2
	s_branch .LBB158_473
.LBB158_469:
	s_or_saveexec_b32 s22, s22
	v_mov_b32_e32 v2, 0x7e00
	s_xor_b32 exec_lo, exec_lo, s22
	s_cbranch_execz .LBB158_450
.LBB158_470:
	v_cmp_ne_u16_e32 vcc_lo, 0, v3
	v_mov_b32_e32 v2, v3
	s_and_not1_b32 s20, s20, exec_lo
	s_and_b32 s23, vcc_lo, exec_lo
	s_delay_alu instid0(SALU_CYCLE_1)
	s_or_b32 s20, s20, s23
	s_or_b32 exec_lo, exec_lo, s22
	s_and_saveexec_b32 s22, s20
	s_cbranch_execnz .LBB158_451
	s_branch .LBB158_452
.LBB158_471:
	s_mov_b32 s19, -1
                                        ; implicit-def: $vgpr2
.LBB158_472:
	s_mov_b32 s22, 0
.LBB158_473:
	s_delay_alu instid0(SALU_CYCLE_1)
	s_and_b32 vcc_lo, exec_lo, s22
	s_cbranch_vccz .LBB158_477
; %bb.474:
	s_cmp_eq_u32 s0, 11
	s_cbranch_scc0 .LBB158_476
; %bb.475:
	s_wait_loadcnt 0x0
	global_load_u8 v2, v[0:1], off
	s_mov_b32 s19, 0
	s_mov_b32 s20, -1
	v_mov_b32_e32 v3, 0
	s_wait_loadcnt 0x0
	v_cmp_ne_u16_e32 vcc_lo, 0, v2
	v_cndmask_b32_e64 v2, 0, 0x3c00, vcc_lo
	s_branch .LBB158_478
.LBB158_476:
	s_mov_b32 s19, -1
                                        ; implicit-def: $vgpr2
.LBB158_477:
	v_mov_b32_e32 v3, 0
.LBB158_478:
	s_branch .LBB158_273
.LBB158_479:
	s_cmp_lt_i32 s0, 5
	s_cbranch_scc1 .LBB158_484
; %bb.480:
	s_cmp_lt_i32 s0, 8
	s_cbranch_scc1 .LBB158_485
; %bb.481:
	;; [unrolled: 3-line block ×3, first 2 shown]
	s_cmp_gt_i32 s0, 9
	s_cbranch_scc0 .LBB158_487
; %bb.483:
	global_load_b128 v[6:9], v[0:1], off
	s_mov_b32 s20, 0
	s_wait_loadcnt 0x0
	v_and_or_b32 v2, 0x1ff, v7, v6
	v_and_or_b32 v6, 0x1ff, v9, v8
	v_dual_lshrrev_b32 v3, 8, v7 :: v_dual_lshrrev_b32 v8, 8, v9
	v_bfe_u32 v5, v7, 20, 11
	s_delay_alu instid0(VALU_DEP_4) | instskip(SKIP_2) | instid1(VALU_DEP_4)
	v_cmp_ne_u32_e32 vcc_lo, 0, v2
	v_bfe_u32 v10, v9, 20, 11
	v_dual_lshrrev_b32 v7, 16, v7 :: v_dual_lshrrev_b32 v9, 16, v9
	v_sub_nc_u32_e32 v11, 0x3f1, v5
	v_cndmask_b32_e64 v2, 0, 1, vcc_lo
	v_cmp_ne_u32_e32 vcc_lo, 0, v6
	v_add_nc_u32_e32 v5, 0xfffffc10, v5
	s_delay_alu instid0(VALU_DEP_3) | instskip(SKIP_1) | instid1(VALU_DEP_1)
	v_and_or_b32 v2, 0xffe, v3, v2
	v_cndmask_b32_e64 v6, 0, 1, vcc_lo
	v_and_or_b32 v6, 0xffe, v8, v6
	v_med3_i32 v8, v11, 0, 13
	s_delay_alu instid0(VALU_DEP_4) | instskip(NEXT) | instid1(VALU_DEP_3)
	v_or_b32_e32 v11, 0x1000, v2
	v_or_b32_e32 v12, 0x1000, v6
	s_delay_alu instid0(VALU_DEP_2) | instskip(NEXT) | instid1(VALU_DEP_1)
	v_lshrrev_b32_e32 v13, v8, v11
	v_lshlrev_b32_e32 v8, v8, v13
	s_delay_alu instid0(VALU_DEP_1) | instskip(SKIP_2) | instid1(VALU_DEP_1)
	v_cmp_ne_u32_e32 vcc_lo, v8, v11
	v_lshl_or_b32 v11, v5, 12, v2
	v_cndmask_b32_e64 v8, 0, 1, vcc_lo
	v_or_b32_e32 v8, v13, v8
	v_sub_nc_u32_e32 v3, 0x3f1, v10
	s_delay_alu instid0(VALU_DEP_1) | instskip(NEXT) | instid1(VALU_DEP_1)
	v_med3_i32 v3, v3, 0, 13
	v_lshrrev_b32_e32 v14, v3, v12
	s_delay_alu instid0(VALU_DEP_1) | instskip(NEXT) | instid1(VALU_DEP_1)
	v_lshlrev_b32_e32 v3, v3, v14
	v_cmp_ne_u32_e32 vcc_lo, v3, v12
	v_cndmask_b32_e64 v3, 0, 1, vcc_lo
	v_cmp_gt_i32_e32 vcc_lo, 1, v5
	s_delay_alu instid0(VALU_DEP_2) | instskip(NEXT) | instid1(VALU_DEP_1)
	v_dual_cndmask_b32 v8, v11, v8, vcc_lo :: v_dual_bitop2_b32 v3, v14, v3 bitop3:0x54
	v_dual_lshrrev_b32 v8, 2, v8 :: v_dual_bitop2_b32 v11, 7, v8 bitop3:0x40
	v_add_nc_u32_e32 v10, 0xfffffc10, v10
	s_delay_alu instid0(VALU_DEP_1) | instskip(SKIP_1) | instid1(VALU_DEP_2)
	v_lshl_or_b32 v12, v10, 12, v6
	v_cmp_gt_i32_e32 vcc_lo, 1, v10
	v_cndmask_b32_e32 v3, v12, v3, vcc_lo
	v_cmp_lt_i32_e32 vcc_lo, 5, v11
	s_delay_alu instid0(VALU_DEP_2)
	v_and_b32_e32 v12, 7, v3
	v_cndmask_b32_e64 v13, 0, 1, vcc_lo
	v_cmp_eq_u32_e32 vcc_lo, 3, v11
	v_lshrrev_b32_e32 v3, 2, v3
	v_cndmask_b32_e64 v11, 0, 1, vcc_lo
	v_cmp_lt_i32_e32 vcc_lo, 5, v12
	s_delay_alu instid0(VALU_DEP_2) | instskip(SKIP_2) | instid1(VALU_DEP_3)
	v_or_b32_e32 v11, v11, v13
	v_cndmask_b32_e64 v14, 0, 1, vcc_lo
	v_cmp_eq_u32_e32 vcc_lo, 3, v12
	v_dual_mov_b32 v15, 0x7e00 :: v_dual_add_nc_u32 v8, v8, v11
	v_cndmask_b32_e64 v12, 0, 1, vcc_lo
	v_cmp_ne_u32_e32 vcc_lo, 0, v2
	s_delay_alu instid0(VALU_DEP_2) | instskip(NEXT) | instid1(VALU_DEP_4)
	v_or_b32_e32 v12, v12, v14
	v_cndmask_b32_e32 v2, 0x7c00, v15, vcc_lo
	v_cmp_ne_u32_e32 vcc_lo, 0, v6
	s_delay_alu instid0(VALU_DEP_3) | instskip(SKIP_3) | instid1(VALU_DEP_4)
	v_dual_cndmask_b32 v6, 0x7c00, v15 :: v_dual_add_nc_u32 v3, v3, v12
	v_cmp_gt_i32_e32 vcc_lo, 31, v5
	v_cndmask_b32_e32 v8, 0x7c00, v8, vcc_lo
	v_cmp_gt_i32_e32 vcc_lo, 31, v10
	v_cndmask_b32_e32 v3, 0x7c00, v3, vcc_lo
	v_cmp_eq_u32_e32 vcc_lo, 0x40f, v5
	s_delay_alu instid0(VALU_DEP_4) | instskip(SKIP_1) | instid1(VALU_DEP_2)
	v_cndmask_b32_e32 v2, v8, v2, vcc_lo
	v_cmp_eq_u32_e32 vcc_lo, 0x40f, v10
	v_and_or_b32 v2, 0x8000, v7, v2
	v_cndmask_b32_e32 v3, v3, v6, vcc_lo
	s_delay_alu instid0(VALU_DEP_1)
	v_and_or_b32 v3, 0x8000, v9, v3
	s_branch .LBB158_488
.LBB158_484:
	s_mov_b32 s20, -1
                                        ; implicit-def: $vgpr3
                                        ; implicit-def: $vgpr2
	s_branch .LBB158_507
.LBB158_485:
	s_mov_b32 s20, -1
                                        ; implicit-def: $vgpr3
                                        ; implicit-def: $vgpr2
	s_branch .LBB158_494
.LBB158_486:
	s_mov_b32 s20, -1
                                        ; implicit-def: $vgpr3
                                        ; implicit-def: $vgpr2
	s_branch .LBB158_491
.LBB158_487:
	s_mov_b32 s20, -1
                                        ; implicit-def: $vgpr3
                                        ; implicit-def: $vgpr2
.LBB158_488:
	s_delay_alu instid0(SALU_CYCLE_1)
	s_and_not1_b32 vcc_lo, exec_lo, s20
	s_cbranch_vccnz .LBB158_490
; %bb.489:
	s_wait_loadcnt 0x0
	global_load_b64 v[2:3], v[0:1], off
	s_wait_loadcnt 0x0
	v_cvt_f16_f32_e32 v2, v2
	v_cvt_f16_f32_e32 v3, v3
.LBB158_490:
	s_mov_b32 s20, 0
.LBB158_491:
	s_delay_alu instid0(SALU_CYCLE_1)
	s_and_not1_b32 vcc_lo, exec_lo, s20
	s_cbranch_vccnz .LBB158_493
; %bb.492:
	s_wait_loadcnt 0x0
	global_load_b32 v2, v[0:1], off
	s_wait_loadcnt 0x0
	v_lshrrev_b32_e32 v3, 16, v2
.LBB158_493:
	s_mov_b32 s20, 0
.LBB158_494:
	s_delay_alu instid0(SALU_CYCLE_1)
	s_and_not1_b32 vcc_lo, exec_lo, s20
	s_cbranch_vccnz .LBB158_506
; %bb.495:
	s_cmp_lt_i32 s0, 6
	s_cbranch_scc1 .LBB158_498
; %bb.496:
	s_cmp_gt_i32 s0, 6
	s_cbranch_scc0 .LBB158_499
; %bb.497:
	s_wait_loadcnt 0x0
	global_load_b64 v[2:3], v[0:1], off
	s_mov_b32 s20, 0
	s_wait_loadcnt 0x0
	v_and_or_b32 v2, 0x1ff, v3, v2
	v_lshrrev_b32_e32 v5, 8, v3
	v_bfe_u32 v6, v3, 20, 11
	v_lshrrev_b32_e32 v3, 16, v3
	s_delay_alu instid0(VALU_DEP_4) | instskip(NEXT) | instid1(VALU_DEP_3)
	v_cmp_ne_u32_e32 vcc_lo, 0, v2
	v_sub_nc_u32_e32 v7, 0x3f1, v6
	v_add_nc_u32_e32 v6, 0xfffffc10, v6
	v_cndmask_b32_e64 v2, 0, 1, vcc_lo
	s_delay_alu instid0(VALU_DEP_1) | instskip(NEXT) | instid1(VALU_DEP_4)
	v_and_or_b32 v2, 0xffe, v5, v2
	v_med3_i32 v5, v7, 0, 13
	s_delay_alu instid0(VALU_DEP_2) | instskip(NEXT) | instid1(VALU_DEP_1)
	v_or_b32_e32 v7, 0x1000, v2
	v_lshrrev_b32_e32 v8, v5, v7
	s_delay_alu instid0(VALU_DEP_1) | instskip(NEXT) | instid1(VALU_DEP_1)
	v_lshlrev_b32_e32 v5, v5, v8
	v_cmp_ne_u32_e32 vcc_lo, v5, v7
	v_lshl_or_b32 v7, v6, 12, v2
	v_cndmask_b32_e64 v5, 0, 1, vcc_lo
	v_cmp_gt_i32_e32 vcc_lo, 1, v6
	s_delay_alu instid0(VALU_DEP_2) | instskip(NEXT) | instid1(VALU_DEP_1)
	v_or_b32_e32 v5, v8, v5
	v_cndmask_b32_e32 v5, v7, v5, vcc_lo
	s_delay_alu instid0(VALU_DEP_1) | instskip(NEXT) | instid1(VALU_DEP_1)
	v_dual_lshrrev_b32 v5, 2, v5 :: v_dual_bitop2_b32 v7, 7, v5 bitop3:0x40
	v_cmp_lt_i32_e32 vcc_lo, 5, v7
	v_cndmask_b32_e64 v8, 0, 1, vcc_lo
	v_cmp_eq_u32_e32 vcc_lo, 3, v7
	v_cndmask_b32_e64 v7, 0, 1, vcc_lo
	v_cmp_ne_u32_e32 vcc_lo, 0, v2
	s_delay_alu instid0(VALU_DEP_2) | instskip(NEXT) | instid1(VALU_DEP_1)
	v_or_b32_e32 v7, v7, v8
	v_dual_mov_b32 v8, 0x7e00 :: v_dual_add_nc_u32 v5, v5, v7
	s_delay_alu instid0(VALU_DEP_1) | instskip(SKIP_1) | instid1(VALU_DEP_3)
	v_cndmask_b32_e32 v2, 0x7c00, v8, vcc_lo
	v_cmp_gt_i32_e32 vcc_lo, 31, v6
	v_cndmask_b32_e32 v5, 0x7c00, v5, vcc_lo
	v_cmp_eq_u32_e32 vcc_lo, 0x40f, v6
	s_delay_alu instid0(VALU_DEP_2) | instskip(NEXT) | instid1(VALU_DEP_1)
	v_cndmask_b32_e32 v2, v5, v2, vcc_lo
	v_and_or_b32 v2, 0x8000, v3, v2
	s_branch .LBB158_500
.LBB158_498:
	s_mov_b32 s20, -1
                                        ; implicit-def: $vgpr2
	s_branch .LBB158_503
.LBB158_499:
	s_mov_b32 s20, -1
                                        ; implicit-def: $vgpr2
.LBB158_500:
	s_delay_alu instid0(SALU_CYCLE_1)
	s_and_not1_b32 vcc_lo, exec_lo, s20
	s_cbranch_vccnz .LBB158_502
; %bb.501:
	s_wait_loadcnt 0x0
	global_load_b32 v2, v[0:1], off
	s_wait_loadcnt 0x0
	v_cvt_f16_f32_e32 v2, v2
.LBB158_502:
	s_mov_b32 s20, 0
.LBB158_503:
	s_delay_alu instid0(SALU_CYCLE_1)
	s_and_not1_b32 vcc_lo, exec_lo, s20
	s_cbranch_vccnz .LBB158_505
; %bb.504:
	s_wait_loadcnt 0x0
	global_load_u16 v2, v[0:1], off
.LBB158_505:
	v_mov_b32_e32 v3, 0
.LBB158_506:
	s_mov_b32 s20, 0
.LBB158_507:
	s_delay_alu instid0(SALU_CYCLE_1)
	s_and_not1_b32 vcc_lo, exec_lo, s20
	s_cbranch_vccnz .LBB158_528
; %bb.508:
	s_cmp_lt_i32 s0, 2
	s_cbranch_scc1 .LBB158_512
; %bb.509:
	s_cmp_lt_i32 s0, 3
	s_cbranch_scc1 .LBB158_513
; %bb.510:
	s_cmp_gt_i32 s0, 3
	s_cbranch_scc0 .LBB158_514
; %bb.511:
	s_wait_loadcnt 0x0
	global_load_b64 v[2:3], v[0:1], off
	s_mov_b32 s20, 0
	s_wait_loadcnt 0x0
	v_xor_b32_e32 v5, v2, v3
	v_cls_i32_e32 v6, v3
	s_delay_alu instid0(VALU_DEP_2) | instskip(NEXT) | instid1(VALU_DEP_1)
	v_ashrrev_i32_e32 v5, 31, v5
	v_add_nc_u32_e32 v5, 32, v5
	s_delay_alu instid0(VALU_DEP_1) | instskip(NEXT) | instid1(VALU_DEP_1)
	v_add_min_u32_e64 v5, v6, -1, v5
	v_lshlrev_b64_e32 v[2:3], v5, v[2:3]
	s_delay_alu instid0(VALU_DEP_1) | instskip(NEXT) | instid1(VALU_DEP_1)
	v_min_u32_e32 v2, 1, v2
	v_dual_sub_nc_u32 v3, 32, v5 :: v_dual_bitop2_b32 v2, v3, v2 bitop3:0x54
	s_delay_alu instid0(VALU_DEP_1) | instskip(NEXT) | instid1(VALU_DEP_1)
	v_cvt_f32_i32_e32 v2, v2
	v_ldexp_f32 v2, v2, v3
	s_delay_alu instid0(VALU_DEP_1)
	v_cvt_f16_f32_e32 v2, v2
	s_branch .LBB158_515
.LBB158_512:
	s_mov_b32 s20, -1
                                        ; implicit-def: $vgpr2
	s_branch .LBB158_521
.LBB158_513:
	s_mov_b32 s20, -1
                                        ; implicit-def: $vgpr2
	s_branch .LBB158_518
.LBB158_514:
	s_mov_b32 s20, -1
                                        ; implicit-def: $vgpr2
.LBB158_515:
	s_delay_alu instid0(SALU_CYCLE_1)
	s_and_not1_b32 vcc_lo, exec_lo, s20
	s_cbranch_vccnz .LBB158_517
; %bb.516:
	s_wait_loadcnt 0x0
	global_load_b32 v2, v[0:1], off
	s_wait_loadcnt 0x0
	v_cvt_f32_i32_e32 v2, v2
	s_delay_alu instid0(VALU_DEP_1)
	v_cvt_f16_f32_e32 v2, v2
.LBB158_517:
	s_mov_b32 s20, 0
.LBB158_518:
	s_delay_alu instid0(SALU_CYCLE_1)
	s_and_not1_b32 vcc_lo, exec_lo, s20
	s_cbranch_vccnz .LBB158_520
; %bb.519:
	s_wait_loadcnt 0x0
	global_load_u16 v2, v[0:1], off
	s_wait_loadcnt 0x0
	v_cvt_f16_i16_e32 v2, v2
.LBB158_520:
	s_mov_b32 s20, 0
.LBB158_521:
	s_delay_alu instid0(SALU_CYCLE_1)
	s_and_not1_b32 vcc_lo, exec_lo, s20
	s_cbranch_vccnz .LBB158_527
; %bb.522:
	s_cmp_gt_i32 s0, 0
	s_mov_b32 s0, 0
	s_cbranch_scc0 .LBB158_524
; %bb.523:
	s_wait_loadcnt 0x0
	global_load_i8 v2, v[0:1], off
	s_wait_loadcnt 0x0
	v_cvt_f16_i16_e32 v2, v2
	s_branch .LBB158_525
.LBB158_524:
	s_mov_b32 s0, -1
                                        ; implicit-def: $vgpr2
.LBB158_525:
	s_delay_alu instid0(SALU_CYCLE_1)
	s_and_not1_b32 vcc_lo, exec_lo, s0
	s_cbranch_vccnz .LBB158_527
; %bb.526:
	global_load_u8 v0, v[0:1], off
	s_wait_loadcnt 0x0
	v_cvt_f16_u16_e32 v2, v0
.LBB158_527:
	v_mov_b32_e32 v3, 0
.LBB158_528:
	s_branch .LBB158_274
.LBB158_529:
	s_mov_b32 s22, 0
	s_mov_b32 s0, s16
.LBB158_530:
                                        ; implicit-def: $vgpr4
.LBB158_531:
	s_and_not1_b32 s20, s16, exec_lo
	s_and_b32 s0, s0, exec_lo
	s_and_not1_b32 s23, s17, exec_lo
	s_and_b32 s19, s19, exec_lo
	s_or_b32 s20, s20, s0
	s_or_b32 s19, s23, s19
	s_or_not1_b32 s0, s22, exec_lo
.LBB158_532:
	s_wait_xcnt 0x0
	s_or_b32 exec_lo, exec_lo, s21
	s_mov_b32 s22, 0
	s_mov_b32 s23, 0
	;; [unrolled: 1-line block ×3, first 2 shown]
                                        ; implicit-def: $vgpr0_vgpr1
                                        ; implicit-def: $vgpr3
                                        ; implicit-def: $vgpr2
	s_and_saveexec_b32 s21, s0
	s_cbranch_execz .LBB158_892
; %bb.533:
	s_mov_b32 s24, -1
	s_mov_b32 s0, s19
	s_mov_b32 s23, s20
	s_mov_b32 s22, exec_lo
	v_cmpx_gt_i32_e64 s15, v4
	s_cbranch_execz .LBB158_803
; %bb.534:
	v_mul_lo_u32 v0, v4, s9
	s_and_b32 s0, 0xffff, s3
	s_delay_alu instid0(SALU_CYCLE_1) | instskip(NEXT) | instid1(VALU_DEP_1)
	s_cmp_lt_i32 s0, 11
	v_ashrrev_i32_e32 v1, 31, v0
	s_delay_alu instid0(VALU_DEP_1)
	v_add_nc_u64_e32 v[0:1], s[6:7], v[0:1]
	s_cbranch_scc1 .LBB158_541
; %bb.535:
	s_cmp_gt_i32 s0, 25
	s_cbranch_scc0 .LBB158_542
; %bb.536:
	s_cmp_gt_i32 s0, 28
	s_cbranch_scc0 .LBB158_543
; %bb.537:
	s_cmp_gt_i32 s0, 43
	s_cbranch_scc0 .LBB158_544
; %bb.538:
	s_cmp_gt_i32 s0, 45
	s_cbranch_scc0 .LBB158_547
; %bb.539:
	s_cmp_eq_u32 s0, 46
	s_mov_b32 s25, 0
	s_cbranch_scc0 .LBB158_550
; %bb.540:
	s_wait_loadcnt 0x0
	global_load_b32 v2, v[0:1], off
	s_mov_b32 s23, 0
	s_wait_loadcnt 0x0
	v_lshlrev_b32_e32 v3, 16, v2
	v_and_b32_e32 v5, 0xffff0000, v2
	s_delay_alu instid0(VALU_DEP_2) | instskip(NEXT) | instid1(VALU_DEP_2)
	v_cvt_f16_f32_e32 v2, v3
	v_cvt_f16_f32_e32 v3, v5
	s_branch .LBB158_552
.LBB158_541:
	s_mov_b32 s25, -1
	s_mov_b32 s24, 0
	s_mov_b32 s23, s19
                                        ; implicit-def: $vgpr3
                                        ; implicit-def: $vgpr2
	s_branch .LBB158_620
.LBB158_542:
	s_mov_b32 s25, -1
	s_mov_b32 s24, 0
	s_mov_b32 s23, s19
                                        ; implicit-def: $vgpr3
                                        ; implicit-def: $vgpr2
	s_branch .LBB158_583
.LBB158_543:
	s_mov_b32 s25, -1
	s_mov_b32 s24, 0
	s_mov_b32 s23, s19
                                        ; implicit-def: $vgpr3
                                        ; implicit-def: $vgpr2
	s_branch .LBB158_564
.LBB158_544:
	s_mov_b32 s25, -1
	s_mov_b32 s24, 0
	s_mov_b32 s23, s19
                                        ; implicit-def: $vgpr3
                                        ; implicit-def: $vgpr2
	s_branch .LBB158_558
.LBB158_545:
	s_and_not1_saveexec_b32 s26, s26
	s_cbranch_execz .LBB158_324
.LBB158_546:
	s_wait_loadcnt 0x0
	v_add_f32_e32 v2, 0x46000000, v3
	s_and_not1_b32 s25, s25, exec_lo
	s_delay_alu instid0(VALU_DEP_1) | instskip(NEXT) | instid1(VALU_DEP_1)
	v_and_b32_e32 v2, 0xff, v2
	v_cmp_ne_u32_e32 vcc_lo, 0, v2
	s_and_b32 s27, vcc_lo, exec_lo
	s_delay_alu instid0(SALU_CYCLE_1)
	s_or_b32 s25, s25, s27
	s_or_b32 exec_lo, exec_lo, s26
	v_mov_b32_e32 v5, 0
	s_and_saveexec_b32 s26, s25
	s_cbranch_execnz .LBB158_325
	s_branch .LBB158_326
.LBB158_547:
	s_mov_b32 s25, -1
	s_mov_b32 s24, 0
	s_mov_b32 s23, s19
	s_branch .LBB158_551
.LBB158_548:
	s_and_not1_saveexec_b32 s26, s26
	s_cbranch_execz .LBB158_337
.LBB158_549:
	s_wait_loadcnt 0x0
	v_add_f32_e32 v2, 0x42800000, v3
	s_and_not1_b32 s25, s25, exec_lo
	s_delay_alu instid0(VALU_DEP_1) | instskip(NEXT) | instid1(VALU_DEP_1)
	v_and_b32_e32 v2, 0xff, v2
	v_cmp_ne_u32_e32 vcc_lo, 0, v2
	s_and_b32 s27, vcc_lo, exec_lo
	s_delay_alu instid0(SALU_CYCLE_1)
	s_or_b32 s25, s25, s27
	s_or_b32 exec_lo, exec_lo, s26
	v_mov_b32_e32 v5, 0
	s_and_saveexec_b32 s26, s25
	s_cbranch_execnz .LBB158_338
	s_branch .LBB158_339
.LBB158_550:
	s_mov_b32 s23, -1
	s_mov_b32 s24, 0
.LBB158_551:
                                        ; implicit-def: $vgpr3
                                        ; implicit-def: $vgpr2
.LBB158_552:
	s_and_b32 vcc_lo, exec_lo, s25
	s_cbranch_vccz .LBB158_557
; %bb.553:
	s_cmp_eq_u32 s0, 44
	s_cbranch_scc0 .LBB158_555
; %bb.554:
	s_wait_loadcnt 0x0
	global_load_u8 v2, v[0:1], off
	s_mov_b32 s23, 0
	s_mov_b32 s24, -1
	s_wait_loadcnt 0x0
	v_lshlrev_b32_e32 v3, 23, v2
	v_cmp_ne_u32_e32 vcc_lo, 0xff, v2
	s_delay_alu instid0(VALU_DEP_2) | instskip(NEXT) | instid1(VALU_DEP_1)
	v_cvt_f16_f32_e32 v3, v3
	v_cndmask_b32_e32 v3, 0x7e00, v3, vcc_lo
	v_cmp_ne_u32_e32 vcc_lo, 0, v2
	s_delay_alu instid0(VALU_DEP_2)
	v_cndmask_b32_e32 v2, 0, v3, vcc_lo
	s_branch .LBB158_556
.LBB158_555:
	s_mov_b32 s23, -1
                                        ; implicit-def: $vgpr2
.LBB158_556:
	v_mov_b32_e32 v3, 0
.LBB158_557:
	s_mov_b32 s25, 0
.LBB158_558:
	s_delay_alu instid0(SALU_CYCLE_1)
	s_and_b32 vcc_lo, exec_lo, s25
	s_cbranch_vccz .LBB158_563
; %bb.559:
	s_cmp_eq_u32 s0, 29
	s_cbranch_scc0 .LBB158_561
; %bb.560:
	s_wait_loadcnt 0x0
	global_load_b64 v[2:3], v[0:1], off
	s_mov_b32 s24, -1
	s_mov_b32 s23, 0
	s_wait_loadcnt 0x0
	v_clz_i32_u32_e32 v5, v3
	s_delay_alu instid0(VALU_DEP_1) | instskip(NEXT) | instid1(VALU_DEP_1)
	v_min_u32_e32 v5, 32, v5
	v_lshlrev_b64_e32 v[2:3], v5, v[2:3]
	s_delay_alu instid0(VALU_DEP_1) | instskip(NEXT) | instid1(VALU_DEP_1)
	v_min_u32_e32 v2, 1, v2
	v_dual_sub_nc_u32 v3, 32, v5 :: v_dual_bitop2_b32 v2, v3, v2 bitop3:0x54
	s_delay_alu instid0(VALU_DEP_1) | instskip(NEXT) | instid1(VALU_DEP_1)
	v_cvt_f32_u32_e32 v2, v2
	v_ldexp_f32 v2, v2, v3
	s_delay_alu instid0(VALU_DEP_1)
	v_cvt_f16_f32_e32 v2, v2
	s_branch .LBB158_562
.LBB158_561:
	s_mov_b32 s23, -1
                                        ; implicit-def: $vgpr2
.LBB158_562:
	v_mov_b32_e32 v3, 0
.LBB158_563:
	s_mov_b32 s25, 0
.LBB158_564:
	s_delay_alu instid0(SALU_CYCLE_1)
	s_and_b32 vcc_lo, exec_lo, s25
	s_cbranch_vccz .LBB158_582
; %bb.565:
	s_cmp_lt_i32 s0, 27
	s_cbranch_scc1 .LBB158_568
; %bb.566:
	s_cmp_gt_i32 s0, 27
	s_cbranch_scc0 .LBB158_569
; %bb.567:
	s_wait_loadcnt 0x0
	global_load_b32 v2, v[0:1], off
	s_mov_b32 s24, 0
	s_wait_loadcnt 0x0
	v_cvt_f32_u32_e32 v2, v2
	s_delay_alu instid0(VALU_DEP_1)
	v_cvt_f16_f32_e32 v2, v2
	s_branch .LBB158_570
.LBB158_568:
	s_mov_b32 s24, -1
                                        ; implicit-def: $vgpr2
	s_branch .LBB158_573
.LBB158_569:
	s_mov_b32 s24, -1
                                        ; implicit-def: $vgpr2
.LBB158_570:
	s_delay_alu instid0(SALU_CYCLE_1)
	s_and_not1_b32 vcc_lo, exec_lo, s24
	s_cbranch_vccnz .LBB158_572
; %bb.571:
	s_wait_loadcnt 0x0
	global_load_u16 v2, v[0:1], off
	s_wait_loadcnt 0x0
	v_cvt_f16_u16_e32 v2, v2
.LBB158_572:
	s_mov_b32 s24, 0
.LBB158_573:
	s_delay_alu instid0(SALU_CYCLE_1)
	s_and_not1_b32 vcc_lo, exec_lo, s24
	s_cbranch_vccnz .LBB158_581
; %bb.574:
	global_load_u8 v3, v[0:1], off
	s_mov_b32 s24, 0
	s_mov_b32 s25, exec_lo
	s_wait_loadcnt 0x0
	v_cmpx_lt_i16_e32 0x7f, v3
	s_xor_b32 s25, exec_lo, s25
	s_cbranch_execz .LBB158_595
; %bb.575:
	s_mov_b32 s24, -1
	s_mov_b32 s26, exec_lo
	v_cmpx_eq_u16_e32 0x80, v3
; %bb.576:
	s_xor_b32 s24, exec_lo, -1
; %bb.577:
	s_or_b32 exec_lo, exec_lo, s26
	s_delay_alu instid0(SALU_CYCLE_1)
	s_and_b32 s24, s24, exec_lo
	s_or_saveexec_b32 s25, s25
	v_mov_b32_e32 v2, 0x7e00
	s_xor_b32 exec_lo, exec_lo, s25
	s_cbranch_execnz .LBB158_596
.LBB158_578:
	s_or_b32 exec_lo, exec_lo, s25
	s_and_saveexec_b32 s25, s24
	s_cbranch_execz .LBB158_580
.LBB158_579:
	v_and_b32_e32 v2, 0xffff, v3
	s_delay_alu instid0(VALU_DEP_1) | instskip(SKIP_1) | instid1(VALU_DEP_2)
	v_dual_lshlrev_b32 v3, 24, v3 :: v_dual_bitop2_b32 v5, 7, v2 bitop3:0x40
	v_bfe_u32 v8, v2, 3, 4
	v_and_b32_e32 v3, 0x80000000, v3
	s_delay_alu instid0(VALU_DEP_3) | instskip(NEXT) | instid1(VALU_DEP_3)
	v_clz_i32_u32_e32 v6, v5
	v_cmp_eq_u32_e32 vcc_lo, 0, v8
	s_delay_alu instid0(VALU_DEP_2) | instskip(NEXT) | instid1(VALU_DEP_1)
	v_min_u32_e32 v6, 32, v6
	v_subrev_nc_u32_e32 v7, 28, v6
	v_sub_nc_u32_e32 v6, 29, v6
	s_delay_alu instid0(VALU_DEP_2) | instskip(NEXT) | instid1(VALU_DEP_2)
	v_lshlrev_b32_e32 v2, v7, v2
	v_cndmask_b32_e32 v6, v8, v6, vcc_lo
	s_delay_alu instid0(VALU_DEP_2) | instskip(NEXT) | instid1(VALU_DEP_1)
	v_and_b32_e32 v2, 7, v2
	v_cndmask_b32_e32 v2, v5, v2, vcc_lo
	s_delay_alu instid0(VALU_DEP_3) | instskip(NEXT) | instid1(VALU_DEP_2)
	v_lshl_add_u32 v5, v6, 23, 0x3b800000
	v_lshlrev_b32_e32 v2, 20, v2
	s_delay_alu instid0(VALU_DEP_1) | instskip(NEXT) | instid1(VALU_DEP_1)
	v_or3_b32 v2, v3, v5, v2
	v_cvt_f16_f32_e32 v2, v2
.LBB158_580:
	s_or_b32 exec_lo, exec_lo, s25
.LBB158_581:
	v_mov_b32_e32 v3, 0
	s_mov_b32 s24, -1
.LBB158_582:
	s_mov_b32 s25, 0
.LBB158_583:
	s_delay_alu instid0(SALU_CYCLE_1)
	s_and_b32 vcc_lo, exec_lo, s25
	s_cbranch_vccz .LBB158_619
; %bb.584:
	s_cmp_gt_i32 s0, 22
	s_cbranch_scc0 .LBB158_594
; %bb.585:
	s_cmp_lt_i32 s0, 24
	s_cbranch_scc1 .LBB158_597
; %bb.586:
	s_cmp_gt_i32 s0, 24
	s_cbranch_scc0 .LBB158_598
; %bb.587:
	global_load_u8 v3, v[0:1], off
	s_mov_b32 s24, 0
	s_mov_b32 s25, exec_lo
	s_wait_loadcnt 0x0
	v_cmpx_lt_i16_e32 0x7f, v3
	s_xor_b32 s25, exec_lo, s25
	s_cbranch_execz .LBB158_610
; %bb.588:
	s_mov_b32 s24, -1
	s_mov_b32 s26, exec_lo
	v_cmpx_eq_u16_e32 0x80, v3
; %bb.589:
	s_xor_b32 s24, exec_lo, -1
; %bb.590:
	s_or_b32 exec_lo, exec_lo, s26
	s_delay_alu instid0(SALU_CYCLE_1)
	s_and_b32 s24, s24, exec_lo
	s_or_saveexec_b32 s25, s25
	v_mov_b32_e32 v2, 0x7e00
	s_xor_b32 exec_lo, exec_lo, s25
	s_cbranch_execnz .LBB158_611
.LBB158_591:
	s_or_b32 exec_lo, exec_lo, s25
	s_and_saveexec_b32 s25, s24
	s_cbranch_execz .LBB158_593
.LBB158_592:
	v_and_b32_e32 v2, 0xffff, v3
	s_delay_alu instid0(VALU_DEP_1) | instskip(SKIP_1) | instid1(VALU_DEP_2)
	v_dual_lshlrev_b32 v3, 24, v3 :: v_dual_bitop2_b32 v5, 3, v2 bitop3:0x40
	v_bfe_u32 v8, v2, 2, 5
	v_and_b32_e32 v3, 0x80000000, v3
	s_delay_alu instid0(VALU_DEP_3) | instskip(NEXT) | instid1(VALU_DEP_3)
	v_clz_i32_u32_e32 v6, v5
	v_cmp_eq_u32_e32 vcc_lo, 0, v8
	s_delay_alu instid0(VALU_DEP_2) | instskip(NEXT) | instid1(VALU_DEP_1)
	v_min_u32_e32 v6, 32, v6
	v_subrev_nc_u32_e32 v7, 29, v6
	v_sub_nc_u32_e32 v6, 30, v6
	s_delay_alu instid0(VALU_DEP_2) | instskip(NEXT) | instid1(VALU_DEP_2)
	v_lshlrev_b32_e32 v2, v7, v2
	v_cndmask_b32_e32 v6, v8, v6, vcc_lo
	s_delay_alu instid0(VALU_DEP_2) | instskip(NEXT) | instid1(VALU_DEP_1)
	v_and_b32_e32 v2, 3, v2
	v_cndmask_b32_e32 v2, v5, v2, vcc_lo
	s_delay_alu instid0(VALU_DEP_3) | instskip(NEXT) | instid1(VALU_DEP_2)
	v_lshl_add_u32 v5, v6, 23, 0x37800000
	v_lshlrev_b32_e32 v2, 21, v2
	s_delay_alu instid0(VALU_DEP_1) | instskip(NEXT) | instid1(VALU_DEP_1)
	v_or3_b32 v2, v3, v5, v2
	v_cvt_f16_f32_e32 v2, v2
.LBB158_593:
	s_or_b32 exec_lo, exec_lo, s25
	s_mov_b32 s24, 0
	s_branch .LBB158_599
.LBB158_594:
	s_mov_b32 s25, -1
                                        ; implicit-def: $vgpr2
	s_branch .LBB158_605
.LBB158_595:
	s_or_saveexec_b32 s25, s25
	v_mov_b32_e32 v2, 0x7e00
	s_xor_b32 exec_lo, exec_lo, s25
	s_cbranch_execz .LBB158_578
.LBB158_596:
	v_cmp_ne_u16_e32 vcc_lo, 0, v3
	v_mov_b32_e32 v2, v3
	s_and_not1_b32 s24, s24, exec_lo
	s_and_b32 s26, vcc_lo, exec_lo
	s_delay_alu instid0(SALU_CYCLE_1)
	s_or_b32 s24, s24, s26
	s_or_b32 exec_lo, exec_lo, s25
	s_and_saveexec_b32 s25, s24
	s_cbranch_execnz .LBB158_579
	s_branch .LBB158_580
.LBB158_597:
	s_mov_b32 s24, -1
                                        ; implicit-def: $vgpr2
	s_branch .LBB158_602
.LBB158_598:
	s_mov_b32 s24, -1
                                        ; implicit-def: $vgpr2
.LBB158_599:
	s_delay_alu instid0(SALU_CYCLE_1)
	s_and_b32 vcc_lo, exec_lo, s24
	s_cbranch_vccz .LBB158_601
; %bb.600:
	s_wait_loadcnt 0x0
	global_load_u8 v2, v[0:1], off
	s_wait_loadcnt 0x0
	v_lshlrev_b32_e32 v2, 24, v2
	s_delay_alu instid0(VALU_DEP_1) | instskip(NEXT) | instid1(VALU_DEP_1)
	v_and_b32_e32 v3, 0x7f000000, v2
	v_clz_i32_u32_e32 v5, v3
	v_add_nc_u32_e32 v7, 0x1000000, v3
	v_cmp_ne_u32_e32 vcc_lo, 0, v3
	s_delay_alu instid0(VALU_DEP_3) | instskip(NEXT) | instid1(VALU_DEP_1)
	v_min_u32_e32 v5, 32, v5
	v_sub_nc_u32_e64 v5, v5, 4 clamp
	s_delay_alu instid0(VALU_DEP_1) | instskip(NEXT) | instid1(VALU_DEP_1)
	v_dual_lshlrev_b32 v6, v5, v3 :: v_dual_lshlrev_b32 v5, 23, v5
	v_lshrrev_b32_e32 v6, 4, v6
	s_delay_alu instid0(VALU_DEP_1) | instskip(NEXT) | instid1(VALU_DEP_1)
	v_dual_sub_nc_u32 v5, v6, v5 :: v_dual_ashrrev_i32 v6, 8, v7
	v_add_nc_u32_e32 v5, 0x3c000000, v5
	s_delay_alu instid0(VALU_DEP_1) | instskip(NEXT) | instid1(VALU_DEP_1)
	v_and_or_b32 v5, 0x7f800000, v6, v5
	v_cndmask_b32_e32 v3, 0, v5, vcc_lo
	s_delay_alu instid0(VALU_DEP_1) | instskip(NEXT) | instid1(VALU_DEP_1)
	v_and_or_b32 v2, 0x80000000, v2, v3
	v_cvt_f16_f32_e32 v2, v2
.LBB158_601:
	s_mov_b32 s24, 0
.LBB158_602:
	s_delay_alu instid0(SALU_CYCLE_1)
	s_and_not1_b32 vcc_lo, exec_lo, s24
	s_cbranch_vccnz .LBB158_604
; %bb.603:
	s_wait_loadcnt 0x0
	global_load_u8 v2, v[0:1], off
	s_wait_loadcnt 0x0
	v_lshlrev_b32_e32 v3, 25, v2
	v_lshlrev_b16 v2, 8, v2
	s_delay_alu instid0(VALU_DEP_2) | instskip(NEXT) | instid1(VALU_DEP_2)
	v_cmp_gt_u32_e32 vcc_lo, 0x8000000, v3
	v_and_or_b32 v6, 0x7f00, v2, 0.5
	v_lshrrev_b32_e32 v5, 4, v3
	v_bfe_i32 v2, v2, 0, 16
	s_delay_alu instid0(VALU_DEP_3) | instskip(NEXT) | instid1(VALU_DEP_3)
	v_add_f32_e32 v6, -0.5, v6
	v_or_b32_e32 v5, 0x70000000, v5
	s_delay_alu instid0(VALU_DEP_1) | instskip(NEXT) | instid1(VALU_DEP_1)
	v_mul_f32_e32 v5, 0x7800000, v5
	v_cndmask_b32_e32 v3, v5, v6, vcc_lo
	s_delay_alu instid0(VALU_DEP_1) | instskip(NEXT) | instid1(VALU_DEP_1)
	v_and_or_b32 v2, 0x80000000, v2, v3
	v_cvt_f16_f32_e32 v2, v2
.LBB158_604:
	s_mov_b32 s25, 0
	s_mov_b32 s24, -1
.LBB158_605:
	s_and_not1_b32 vcc_lo, exec_lo, s25
	s_cbranch_vccnz .LBB158_618
; %bb.606:
	s_cmp_gt_i32 s0, 14
	s_cbranch_scc0 .LBB158_609
; %bb.607:
	s_cmp_eq_u32 s0, 15
	s_cbranch_scc0 .LBB158_612
; %bb.608:
	s_wait_loadcnt 0x0
	global_load_u16 v2, v[0:1], off
	s_mov_b32 s24, -1
	s_mov_b32 s23, 0
	s_wait_loadcnt 0x0
	v_lshlrev_b32_e32 v2, 16, v2
	s_delay_alu instid0(VALU_DEP_1)
	v_cvt_f16_f32_e32 v2, v2
	s_branch .LBB158_613
.LBB158_609:
	s_mov_b32 s25, -1
                                        ; implicit-def: $vgpr2
	s_branch .LBB158_614
.LBB158_610:
	s_or_saveexec_b32 s25, s25
	v_mov_b32_e32 v2, 0x7e00
	s_xor_b32 exec_lo, exec_lo, s25
	s_cbranch_execz .LBB158_591
.LBB158_611:
	v_cmp_ne_u16_e32 vcc_lo, 0, v3
	v_mov_b32_e32 v2, v3
	s_and_not1_b32 s24, s24, exec_lo
	s_and_b32 s26, vcc_lo, exec_lo
	s_delay_alu instid0(SALU_CYCLE_1)
	s_or_b32 s24, s24, s26
	s_or_b32 exec_lo, exec_lo, s25
	s_and_saveexec_b32 s25, s24
	s_cbranch_execnz .LBB158_592
	s_branch .LBB158_593
.LBB158_612:
	s_mov_b32 s23, -1
                                        ; implicit-def: $vgpr2
.LBB158_613:
	s_mov_b32 s25, 0
.LBB158_614:
	s_delay_alu instid0(SALU_CYCLE_1)
	s_and_b32 vcc_lo, exec_lo, s25
	s_cbranch_vccz .LBB158_618
; %bb.615:
	s_cmp_eq_u32 s0, 11
	s_cbranch_scc0 .LBB158_617
; %bb.616:
	s_wait_loadcnt 0x0
	global_load_u8 v2, v[0:1], off
	s_mov_b32 s23, 0
	s_mov_b32 s24, -1
	v_mov_b32_e32 v3, 0
	s_wait_loadcnt 0x0
	v_cmp_ne_u16_e32 vcc_lo, 0, v2
	v_cndmask_b32_e64 v2, 0, 0x3c00, vcc_lo
	s_branch .LBB158_619
.LBB158_617:
	s_mov_b32 s23, -1
                                        ; implicit-def: $vgpr2
.LBB158_618:
	v_mov_b32_e32 v3, 0
.LBB158_619:
	s_mov_b32 s25, 0
.LBB158_620:
	s_delay_alu instid0(SALU_CYCLE_1)
	s_and_b32 vcc_lo, exec_lo, s25
	s_cbranch_vccz .LBB158_671
; %bb.621:
	s_cmp_lt_i32 s0, 5
	s_cbranch_scc1 .LBB158_626
; %bb.622:
	s_cmp_lt_i32 s0, 8
	s_cbranch_scc1 .LBB158_627
	;; [unrolled: 3-line block ×3, first 2 shown]
; %bb.624:
	s_cmp_gt_i32 s0, 9
	s_cbranch_scc0 .LBB158_629
; %bb.625:
	global_load_b128 v[6:9], v[0:1], off
	s_mov_b32 s24, 0
	s_wait_loadcnt 0x0
	v_and_or_b32 v2, 0x1ff, v7, v6
	v_and_or_b32 v6, 0x1ff, v9, v8
	v_dual_lshrrev_b32 v3, 8, v7 :: v_dual_lshrrev_b32 v8, 8, v9
	v_bfe_u32 v5, v7, 20, 11
	s_delay_alu instid0(VALU_DEP_4) | instskip(SKIP_2) | instid1(VALU_DEP_4)
	v_cmp_ne_u32_e32 vcc_lo, 0, v2
	v_bfe_u32 v10, v9, 20, 11
	v_dual_lshrrev_b32 v7, 16, v7 :: v_dual_lshrrev_b32 v9, 16, v9
	v_sub_nc_u32_e32 v11, 0x3f1, v5
	v_cndmask_b32_e64 v2, 0, 1, vcc_lo
	v_cmp_ne_u32_e32 vcc_lo, 0, v6
	v_add_nc_u32_e32 v5, 0xfffffc10, v5
	s_delay_alu instid0(VALU_DEP_3) | instskip(SKIP_1) | instid1(VALU_DEP_1)
	v_and_or_b32 v2, 0xffe, v3, v2
	v_cndmask_b32_e64 v6, 0, 1, vcc_lo
	v_and_or_b32 v6, 0xffe, v8, v6
	v_med3_i32 v8, v11, 0, 13
	s_delay_alu instid0(VALU_DEP_4) | instskip(NEXT) | instid1(VALU_DEP_3)
	v_or_b32_e32 v11, 0x1000, v2
	v_or_b32_e32 v12, 0x1000, v6
	s_delay_alu instid0(VALU_DEP_2) | instskip(NEXT) | instid1(VALU_DEP_1)
	v_lshrrev_b32_e32 v13, v8, v11
	v_lshlrev_b32_e32 v8, v8, v13
	s_delay_alu instid0(VALU_DEP_1) | instskip(SKIP_2) | instid1(VALU_DEP_1)
	v_cmp_ne_u32_e32 vcc_lo, v8, v11
	v_lshl_or_b32 v11, v5, 12, v2
	v_cndmask_b32_e64 v8, 0, 1, vcc_lo
	v_or_b32_e32 v8, v13, v8
	v_sub_nc_u32_e32 v3, 0x3f1, v10
	s_delay_alu instid0(VALU_DEP_1) | instskip(NEXT) | instid1(VALU_DEP_1)
	v_med3_i32 v3, v3, 0, 13
	v_lshrrev_b32_e32 v14, v3, v12
	s_delay_alu instid0(VALU_DEP_1) | instskip(NEXT) | instid1(VALU_DEP_1)
	v_lshlrev_b32_e32 v3, v3, v14
	v_cmp_ne_u32_e32 vcc_lo, v3, v12
	v_cndmask_b32_e64 v3, 0, 1, vcc_lo
	v_cmp_gt_i32_e32 vcc_lo, 1, v5
	s_delay_alu instid0(VALU_DEP_2) | instskip(NEXT) | instid1(VALU_DEP_1)
	v_dual_cndmask_b32 v8, v11, v8, vcc_lo :: v_dual_bitop2_b32 v3, v14, v3 bitop3:0x54
	v_dual_lshrrev_b32 v8, 2, v8 :: v_dual_bitop2_b32 v11, 7, v8 bitop3:0x40
	v_add_nc_u32_e32 v10, 0xfffffc10, v10
	s_delay_alu instid0(VALU_DEP_1) | instskip(SKIP_1) | instid1(VALU_DEP_2)
	v_lshl_or_b32 v12, v10, 12, v6
	v_cmp_gt_i32_e32 vcc_lo, 1, v10
	v_cndmask_b32_e32 v3, v12, v3, vcc_lo
	v_cmp_lt_i32_e32 vcc_lo, 5, v11
	s_delay_alu instid0(VALU_DEP_2)
	v_and_b32_e32 v12, 7, v3
	v_cndmask_b32_e64 v13, 0, 1, vcc_lo
	v_cmp_eq_u32_e32 vcc_lo, 3, v11
	v_lshrrev_b32_e32 v3, 2, v3
	v_cndmask_b32_e64 v11, 0, 1, vcc_lo
	v_cmp_lt_i32_e32 vcc_lo, 5, v12
	s_delay_alu instid0(VALU_DEP_2) | instskip(SKIP_2) | instid1(VALU_DEP_3)
	v_or_b32_e32 v11, v11, v13
	v_cndmask_b32_e64 v14, 0, 1, vcc_lo
	v_cmp_eq_u32_e32 vcc_lo, 3, v12
	v_dual_mov_b32 v15, 0x7e00 :: v_dual_add_nc_u32 v8, v8, v11
	v_cndmask_b32_e64 v12, 0, 1, vcc_lo
	v_cmp_ne_u32_e32 vcc_lo, 0, v2
	s_delay_alu instid0(VALU_DEP_2) | instskip(NEXT) | instid1(VALU_DEP_4)
	v_or_b32_e32 v12, v12, v14
	v_cndmask_b32_e32 v2, 0x7c00, v15, vcc_lo
	v_cmp_ne_u32_e32 vcc_lo, 0, v6
	s_delay_alu instid0(VALU_DEP_3) | instskip(SKIP_3) | instid1(VALU_DEP_4)
	v_dual_cndmask_b32 v6, 0x7c00, v15 :: v_dual_add_nc_u32 v3, v3, v12
	v_cmp_gt_i32_e32 vcc_lo, 31, v5
	v_cndmask_b32_e32 v8, 0x7c00, v8, vcc_lo
	v_cmp_gt_i32_e32 vcc_lo, 31, v10
	v_cndmask_b32_e32 v3, 0x7c00, v3, vcc_lo
	v_cmp_eq_u32_e32 vcc_lo, 0x40f, v5
	s_delay_alu instid0(VALU_DEP_4) | instskip(SKIP_1) | instid1(VALU_DEP_2)
	v_cndmask_b32_e32 v2, v8, v2, vcc_lo
	v_cmp_eq_u32_e32 vcc_lo, 0x40f, v10
	v_and_or_b32 v2, 0x8000, v7, v2
	v_cndmask_b32_e32 v3, v3, v6, vcc_lo
	s_delay_alu instid0(VALU_DEP_1)
	v_and_or_b32 v3, 0x8000, v9, v3
	s_branch .LBB158_630
.LBB158_626:
	s_mov_b32 s24, -1
                                        ; implicit-def: $vgpr3
                                        ; implicit-def: $vgpr2
	s_branch .LBB158_649
.LBB158_627:
	s_mov_b32 s24, -1
                                        ; implicit-def: $vgpr3
                                        ; implicit-def: $vgpr2
	s_branch .LBB158_636
.LBB158_628:
	s_mov_b32 s24, -1
                                        ; implicit-def: $vgpr3
                                        ; implicit-def: $vgpr2
	s_branch .LBB158_633
.LBB158_629:
	s_mov_b32 s24, -1
                                        ; implicit-def: $vgpr3
                                        ; implicit-def: $vgpr2
.LBB158_630:
	s_delay_alu instid0(SALU_CYCLE_1)
	s_and_not1_b32 vcc_lo, exec_lo, s24
	s_cbranch_vccnz .LBB158_632
; %bb.631:
	s_wait_loadcnt 0x0
	global_load_b64 v[2:3], v[0:1], off
	s_wait_loadcnt 0x0
	v_cvt_f16_f32_e32 v2, v2
	v_cvt_f16_f32_e32 v3, v3
.LBB158_632:
	s_mov_b32 s24, 0
.LBB158_633:
	s_delay_alu instid0(SALU_CYCLE_1)
	s_and_not1_b32 vcc_lo, exec_lo, s24
	s_cbranch_vccnz .LBB158_635
; %bb.634:
	s_wait_loadcnt 0x0
	global_load_b32 v2, v[0:1], off
	s_wait_loadcnt 0x0
	v_lshrrev_b32_e32 v3, 16, v2
.LBB158_635:
	s_mov_b32 s24, 0
.LBB158_636:
	s_delay_alu instid0(SALU_CYCLE_1)
	s_and_not1_b32 vcc_lo, exec_lo, s24
	s_cbranch_vccnz .LBB158_648
; %bb.637:
	s_cmp_lt_i32 s0, 6
	s_cbranch_scc1 .LBB158_640
; %bb.638:
	s_cmp_gt_i32 s0, 6
	s_cbranch_scc0 .LBB158_641
; %bb.639:
	s_wait_loadcnt 0x0
	global_load_b64 v[2:3], v[0:1], off
	s_mov_b32 s24, 0
	s_wait_loadcnt 0x0
	v_and_or_b32 v2, 0x1ff, v3, v2
	v_lshrrev_b32_e32 v5, 8, v3
	v_bfe_u32 v6, v3, 20, 11
	v_lshrrev_b32_e32 v3, 16, v3
	s_delay_alu instid0(VALU_DEP_4) | instskip(NEXT) | instid1(VALU_DEP_3)
	v_cmp_ne_u32_e32 vcc_lo, 0, v2
	v_sub_nc_u32_e32 v7, 0x3f1, v6
	v_add_nc_u32_e32 v6, 0xfffffc10, v6
	v_cndmask_b32_e64 v2, 0, 1, vcc_lo
	s_delay_alu instid0(VALU_DEP_1) | instskip(NEXT) | instid1(VALU_DEP_4)
	v_and_or_b32 v2, 0xffe, v5, v2
	v_med3_i32 v5, v7, 0, 13
	s_delay_alu instid0(VALU_DEP_2) | instskip(NEXT) | instid1(VALU_DEP_1)
	v_or_b32_e32 v7, 0x1000, v2
	v_lshrrev_b32_e32 v8, v5, v7
	s_delay_alu instid0(VALU_DEP_1) | instskip(NEXT) | instid1(VALU_DEP_1)
	v_lshlrev_b32_e32 v5, v5, v8
	v_cmp_ne_u32_e32 vcc_lo, v5, v7
	v_lshl_or_b32 v7, v6, 12, v2
	v_cndmask_b32_e64 v5, 0, 1, vcc_lo
	v_cmp_gt_i32_e32 vcc_lo, 1, v6
	s_delay_alu instid0(VALU_DEP_2) | instskip(NEXT) | instid1(VALU_DEP_1)
	v_or_b32_e32 v5, v8, v5
	v_cndmask_b32_e32 v5, v7, v5, vcc_lo
	s_delay_alu instid0(VALU_DEP_1) | instskip(NEXT) | instid1(VALU_DEP_1)
	v_dual_lshrrev_b32 v5, 2, v5 :: v_dual_bitop2_b32 v7, 7, v5 bitop3:0x40
	v_cmp_lt_i32_e32 vcc_lo, 5, v7
	v_cndmask_b32_e64 v8, 0, 1, vcc_lo
	v_cmp_eq_u32_e32 vcc_lo, 3, v7
	v_cndmask_b32_e64 v7, 0, 1, vcc_lo
	v_cmp_ne_u32_e32 vcc_lo, 0, v2
	s_delay_alu instid0(VALU_DEP_2) | instskip(NEXT) | instid1(VALU_DEP_1)
	v_or_b32_e32 v7, v7, v8
	v_dual_mov_b32 v8, 0x7e00 :: v_dual_add_nc_u32 v5, v5, v7
	s_delay_alu instid0(VALU_DEP_1) | instskip(SKIP_1) | instid1(VALU_DEP_3)
	v_cndmask_b32_e32 v2, 0x7c00, v8, vcc_lo
	v_cmp_gt_i32_e32 vcc_lo, 31, v6
	v_cndmask_b32_e32 v5, 0x7c00, v5, vcc_lo
	v_cmp_eq_u32_e32 vcc_lo, 0x40f, v6
	s_delay_alu instid0(VALU_DEP_2) | instskip(NEXT) | instid1(VALU_DEP_1)
	v_cndmask_b32_e32 v2, v5, v2, vcc_lo
	v_and_or_b32 v2, 0x8000, v3, v2
	s_branch .LBB158_642
.LBB158_640:
	s_mov_b32 s24, -1
                                        ; implicit-def: $vgpr2
	s_branch .LBB158_645
.LBB158_641:
	s_mov_b32 s24, -1
                                        ; implicit-def: $vgpr2
.LBB158_642:
	s_delay_alu instid0(SALU_CYCLE_1)
	s_and_not1_b32 vcc_lo, exec_lo, s24
	s_cbranch_vccnz .LBB158_644
; %bb.643:
	s_wait_loadcnt 0x0
	global_load_b32 v2, v[0:1], off
	s_wait_loadcnt 0x0
	v_cvt_f16_f32_e32 v2, v2
.LBB158_644:
	s_mov_b32 s24, 0
.LBB158_645:
	s_delay_alu instid0(SALU_CYCLE_1)
	s_and_not1_b32 vcc_lo, exec_lo, s24
	s_cbranch_vccnz .LBB158_647
; %bb.646:
	s_wait_loadcnt 0x0
	global_load_u16 v2, v[0:1], off
.LBB158_647:
	v_mov_b32_e32 v3, 0
.LBB158_648:
	s_mov_b32 s24, 0
.LBB158_649:
	s_delay_alu instid0(SALU_CYCLE_1)
	s_and_not1_b32 vcc_lo, exec_lo, s24
	s_cbranch_vccnz .LBB158_670
; %bb.650:
	s_cmp_lt_i32 s0, 2
	s_cbranch_scc1 .LBB158_654
; %bb.651:
	s_cmp_lt_i32 s0, 3
	s_cbranch_scc1 .LBB158_655
; %bb.652:
	s_cmp_gt_i32 s0, 3
	s_cbranch_scc0 .LBB158_656
; %bb.653:
	s_wait_loadcnt 0x0
	global_load_b64 v[2:3], v[0:1], off
	s_mov_b32 s24, 0
	s_wait_loadcnt 0x0
	v_xor_b32_e32 v5, v2, v3
	v_cls_i32_e32 v6, v3
	s_delay_alu instid0(VALU_DEP_2) | instskip(NEXT) | instid1(VALU_DEP_1)
	v_ashrrev_i32_e32 v5, 31, v5
	v_add_nc_u32_e32 v5, 32, v5
	s_delay_alu instid0(VALU_DEP_1) | instskip(NEXT) | instid1(VALU_DEP_1)
	v_add_min_u32_e64 v5, v6, -1, v5
	v_lshlrev_b64_e32 v[2:3], v5, v[2:3]
	s_delay_alu instid0(VALU_DEP_1) | instskip(NEXT) | instid1(VALU_DEP_1)
	v_min_u32_e32 v2, 1, v2
	v_dual_sub_nc_u32 v3, 32, v5 :: v_dual_bitop2_b32 v2, v3, v2 bitop3:0x54
	s_delay_alu instid0(VALU_DEP_1) | instskip(NEXT) | instid1(VALU_DEP_1)
	v_cvt_f32_i32_e32 v2, v2
	v_ldexp_f32 v2, v2, v3
	s_delay_alu instid0(VALU_DEP_1)
	v_cvt_f16_f32_e32 v2, v2
	s_branch .LBB158_657
.LBB158_654:
	s_mov_b32 s24, -1
                                        ; implicit-def: $vgpr2
	s_branch .LBB158_663
.LBB158_655:
	s_mov_b32 s24, -1
                                        ; implicit-def: $vgpr2
	s_branch .LBB158_660
.LBB158_656:
	s_mov_b32 s24, -1
                                        ; implicit-def: $vgpr2
.LBB158_657:
	s_delay_alu instid0(SALU_CYCLE_1)
	s_and_not1_b32 vcc_lo, exec_lo, s24
	s_cbranch_vccnz .LBB158_659
; %bb.658:
	s_wait_loadcnt 0x0
	global_load_b32 v2, v[0:1], off
	s_wait_loadcnt 0x0
	v_cvt_f32_i32_e32 v2, v2
	s_delay_alu instid0(VALU_DEP_1)
	v_cvt_f16_f32_e32 v2, v2
.LBB158_659:
	s_mov_b32 s24, 0
.LBB158_660:
	s_delay_alu instid0(SALU_CYCLE_1)
	s_and_not1_b32 vcc_lo, exec_lo, s24
	s_cbranch_vccnz .LBB158_662
; %bb.661:
	s_wait_loadcnt 0x0
	global_load_u16 v2, v[0:1], off
	s_wait_loadcnt 0x0
	v_cvt_f16_i16_e32 v2, v2
.LBB158_662:
	s_mov_b32 s24, 0
.LBB158_663:
	s_delay_alu instid0(SALU_CYCLE_1)
	s_and_not1_b32 vcc_lo, exec_lo, s24
	s_cbranch_vccnz .LBB158_669
; %bb.664:
	s_cmp_gt_i32 s0, 0
	s_mov_b32 s0, 0
	s_cbranch_scc0 .LBB158_666
; %bb.665:
	s_wait_loadcnt 0x0
	global_load_i8 v2, v[0:1], off
	s_wait_loadcnt 0x0
	v_cvt_f16_i16_e32 v2, v2
	s_branch .LBB158_667
.LBB158_666:
	s_mov_b32 s0, -1
                                        ; implicit-def: $vgpr2
.LBB158_667:
	s_delay_alu instid0(SALU_CYCLE_1)
	s_and_not1_b32 vcc_lo, exec_lo, s0
	s_cbranch_vccnz .LBB158_669
; %bb.668:
	global_load_u8 v0, v[0:1], off
	s_wait_loadcnt 0x0
	v_cvt_f16_u16_e32 v2, v0
.LBB158_669:
	v_mov_b32_e32 v3, 0
.LBB158_670:
	s_mov_b32 s24, -1
.LBB158_671:
	s_delay_alu instid0(SALU_CYCLE_1)
	s_and_not1_b32 vcc_lo, exec_lo, s24
	s_cbranch_vccnz .LBB158_674
; %bb.672:
	s_and_not1_b32 vcc_lo, exec_lo, s14
	s_cbranch_vccnz .LBB158_675
; %bb.673:
	s_wait_loadcnt 0x0
	v_cmp_neq_f16_e32 vcc_lo, s11, v2
	v_cmp_neq_f16_e64 s0, s13, v3
	s_or_b32 s24, vcc_lo, s0
	s_mov_b32 s0, 0
	s_branch .LBB158_676
.LBB158_674:
	s_mov_b32 s24, 0
	s_mov_b32 s0, s20
	s_branch .LBB158_801
.LBB158_675:
	s_mov_b32 s0, -1
                                        ; implicit-def: $sgpr24
.LBB158_676:
	s_delay_alu instid0(SALU_CYCLE_1)
	s_and_not1_b32 vcc_lo, exec_lo, s0
	s_cbranch_vccnz .LBB158_678
; %bb.677:
	s_wait_loadcnt 0x0
	v_cmp_eq_f16_e32 vcc_lo, s11, v2
	v_cmp_eq_f16_e64 s0, s13, v3
	s_and_not1_b32 s24, s24, exec_lo
	s_and_b32 s0, vcc_lo, s0
	s_delay_alu instid0(SALU_CYCLE_1) | instskip(NEXT) | instid1(SALU_CYCLE_1)
	s_and_b32 s0, s0, exec_lo
	s_or_b32 s24, s24, s0
.LBB158_678:
	s_wait_xcnt 0x0
	v_mul_lo_u32 v0, v4, s8
	s_and_b32 s25, s2, 0xff
	s_delay_alu instid0(SALU_CYCLE_1) | instskip(NEXT) | instid1(VALU_DEP_1)
	s_cmp_lt_i32 s25, 11
	v_ashrrev_i32_e32 v1, 31, v0
	s_delay_alu instid0(VALU_DEP_1)
	v_add_nc_u64_e32 v[0:1], s[4:5], v[0:1]
	s_cbranch_scc1 .LBB158_685
; %bb.679:
	s_and_b32 s26, 0xffff, s25
	s_delay_alu instid0(SALU_CYCLE_1)
	s_cmp_gt_i32 s26, 25
	s_cbranch_scc0 .LBB158_686
; %bb.680:
	s_cmp_gt_i32 s26, 28
	s_cbranch_scc0 .LBB158_687
; %bb.681:
	;; [unrolled: 3-line block ×4, first 2 shown]
	s_mov_b32 s28, 0
	s_mov_b32 s0, -1
	s_cmp_eq_u32 s26, 46
	s_mov_b32 s27, 0
	s_cbranch_scc0 .LBB158_690
; %bb.684:
	s_wait_loadcnt 0x0
	v_cndmask_b32_e64 v2, 0, 1.0, s24
	s_mov_b32 s27, -1
	s_mov_b32 s0, 0
	s_delay_alu instid0(VALU_DEP_1) | instskip(NEXT) | instid1(VALU_DEP_1)
	v_bfe_u32 v3, v2, 16, 1
	v_add3_u32 v2, v2, v3, 0x7fff
	s_delay_alu instid0(VALU_DEP_1)
	v_lshrrev_b32_e32 v2, 16, v2
	global_store_b32 v[0:1], v2, off
	s_branch .LBB158_690
.LBB158_685:
	s_mov_b32 s26, -1
	s_mov_b32 s27, 0
	s_mov_b32 s0, s20
	s_branch .LBB158_759
.LBB158_686:
	s_mov_b32 s28, -1
	s_mov_b32 s27, 0
	s_mov_b32 s0, s20
	s_branch .LBB158_717
.LBB158_687:
	s_mov_b32 s28, -1
	s_mov_b32 s27, 0
	s_mov_b32 s0, s20
	s_branch .LBB158_700
.LBB158_688:
	s_mov_b32 s28, -1
	s_mov_b32 s27, 0
	s_mov_b32 s0, s20
	s_branch .LBB158_696
.LBB158_689:
	s_mov_b32 s28, -1
	s_mov_b32 s27, 0
	s_mov_b32 s0, s20
.LBB158_690:
	s_and_b32 vcc_lo, exec_lo, s28
	s_cbranch_vccz .LBB158_695
; %bb.691:
	s_cmp_eq_u32 s26, 44
	s_mov_b32 s0, -1
	s_cbranch_scc0 .LBB158_695
; %bb.692:
	v_cndmask_b32_e64 v5, 0, 1.0, s24
	s_mov_b32 s27, exec_lo
	s_wait_loadcnt 0x0
	s_delay_alu instid0(VALU_DEP_1) | instskip(NEXT) | instid1(VALU_DEP_1)
	v_dual_mov_b32 v3, 0xff :: v_dual_lshrrev_b32 v2, 23, v5
	v_cmpx_ne_u32_e32 0xff, v2
; %bb.693:
	v_and_b32_e32 v3, 0x400000, v5
	v_and_or_b32 v5, 0x3fffff, v5, v2
	s_delay_alu instid0(VALU_DEP_2) | instskip(NEXT) | instid1(VALU_DEP_2)
	v_cmp_ne_u32_e32 vcc_lo, 0, v3
	v_cmp_ne_u32_e64 s0, 0, v5
	s_and_b32 s0, vcc_lo, s0
	s_delay_alu instid0(SALU_CYCLE_1) | instskip(NEXT) | instid1(VALU_DEP_1)
	v_cndmask_b32_e64 v3, 0, 1, s0
	v_add_nc_u32_e32 v3, v2, v3
; %bb.694:
	s_or_b32 exec_lo, exec_lo, s27
	s_mov_b32 s27, -1
	s_mov_b32 s0, 0
	global_store_b8 v[0:1], v3, off
.LBB158_695:
	s_mov_b32 s28, 0
.LBB158_696:
	s_delay_alu instid0(SALU_CYCLE_1)
	s_and_b32 vcc_lo, exec_lo, s28
	s_cbranch_vccz .LBB158_699
; %bb.697:
	s_cmp_eq_u32 s26, 29
	s_mov_b32 s0, -1
	s_cbranch_scc0 .LBB158_699
; %bb.698:
	s_mov_b32 s0, 0
	s_wait_loadcnt 0x0
	v_cndmask_b32_e64 v2, 0, 1, s24
	v_mov_b32_e32 v3, s0
	s_mov_b32 s27, -1
	s_mov_b32 s28, 0
	global_store_b64 v[0:1], v[2:3], off
	s_branch .LBB158_700
.LBB158_699:
	s_mov_b32 s28, 0
.LBB158_700:
	s_delay_alu instid0(SALU_CYCLE_1)
	s_and_b32 vcc_lo, exec_lo, s28
	s_cbranch_vccz .LBB158_716
; %bb.701:
	s_cmp_lt_i32 s26, 27
	s_mov_b32 s27, -1
	s_cbranch_scc1 .LBB158_707
; %bb.702:
	s_cmp_gt_i32 s26, 27
	s_cbranch_scc0 .LBB158_704
; %bb.703:
	s_wait_loadcnt 0x0
	v_cndmask_b32_e64 v2, 0, 1, s24
	s_mov_b32 s27, 0
	global_store_b32 v[0:1], v2, off
.LBB158_704:
	s_and_not1_b32 vcc_lo, exec_lo, s27
	s_cbranch_vccnz .LBB158_706
; %bb.705:
	s_wait_loadcnt 0x0
	v_cndmask_b32_e64 v2, 0, 1, s24
	global_store_b16 v[0:1], v2, off
.LBB158_706:
	s_mov_b32 s27, 0
.LBB158_707:
	s_delay_alu instid0(SALU_CYCLE_1)
	s_and_not1_b32 vcc_lo, exec_lo, s27
	s_cbranch_vccnz .LBB158_715
; %bb.708:
	s_wait_xcnt 0x0
	v_cndmask_b32_e64 v3, 0, 1.0, s24
	v_mov_b32_e32 v5, 0x80
	s_mov_b32 s27, exec_lo
	s_delay_alu instid0(VALU_DEP_2)
	v_cmpx_gt_u32_e32 0x43800000, v3
	s_cbranch_execz .LBB158_714
; %bb.709:
	s_mov_b32 s28, 0
	s_mov_b32 s29, exec_lo
                                        ; implicit-def: $vgpr2
	v_cmpx_lt_u32_e32 0x3bffffff, v3
	s_xor_b32 s29, exec_lo, s29
	s_cbranch_execz .LBB158_816
; %bb.710:
	s_wait_loadcnt 0x0
	v_bfe_u32 v2, v3, 20, 1
	s_mov_b32 s28, exec_lo
	s_delay_alu instid0(VALU_DEP_1) | instskip(NEXT) | instid1(VALU_DEP_1)
	v_add3_u32 v2, v3, v2, 0x487ffff
                                        ; implicit-def: $vgpr3
	v_lshrrev_b32_e32 v2, 20, v2
	s_and_not1_saveexec_b32 s29, s29
	s_cbranch_execnz .LBB158_817
.LBB158_711:
	s_or_b32 exec_lo, exec_lo, s29
	v_mov_b32_e32 v5, 0
	s_and_saveexec_b32 s29, s28
	s_cbranch_execz .LBB158_713
.LBB158_712:
	s_wait_loadcnt 0x0
	v_mov_b32_e32 v5, v2
.LBB158_713:
	s_or_b32 exec_lo, exec_lo, s29
.LBB158_714:
	s_delay_alu instid0(SALU_CYCLE_1)
	s_or_b32 exec_lo, exec_lo, s27
	global_store_b8 v[0:1], v5, off
.LBB158_715:
	s_mov_b32 s27, -1
.LBB158_716:
	s_mov_b32 s28, 0
.LBB158_717:
	s_delay_alu instid0(SALU_CYCLE_1)
	s_and_b32 vcc_lo, exec_lo, s28
	s_cbranch_vccz .LBB158_758
; %bb.718:
	s_cmp_gt_i32 s26, 22
	s_mov_b32 s28, -1
	s_cbranch_scc0 .LBB158_750
; %bb.719:
	s_cmp_lt_i32 s26, 24
	s_mov_b32 s27, -1
	s_cbranch_scc1 .LBB158_739
; %bb.720:
	s_cmp_gt_i32 s26, 24
	s_cbranch_scc0 .LBB158_728
; %bb.721:
	s_wait_xcnt 0x0
	v_cndmask_b32_e64 v3, 0, 1.0, s24
	v_mov_b32_e32 v5, 0x80
	s_mov_b32 s27, exec_lo
	s_delay_alu instid0(VALU_DEP_2)
	v_cmpx_gt_u32_e32 0x47800000, v3
	s_cbranch_execz .LBB158_727
; %bb.722:
	s_mov_b32 s28, 0
	s_mov_b32 s29, exec_lo
                                        ; implicit-def: $vgpr2
	v_cmpx_lt_u32_e32 0x37ffffff, v3
	s_xor_b32 s29, exec_lo, s29
	s_cbranch_execz .LBB158_819
; %bb.723:
	s_wait_loadcnt 0x0
	v_bfe_u32 v2, v3, 21, 1
	s_mov_b32 s28, exec_lo
	s_delay_alu instid0(VALU_DEP_1) | instskip(NEXT) | instid1(VALU_DEP_1)
	v_add3_u32 v2, v3, v2, 0x88fffff
                                        ; implicit-def: $vgpr3
	v_lshrrev_b32_e32 v2, 21, v2
	s_and_not1_saveexec_b32 s29, s29
	s_cbranch_execnz .LBB158_820
.LBB158_724:
	s_or_b32 exec_lo, exec_lo, s29
	v_mov_b32_e32 v5, 0
	s_and_saveexec_b32 s29, s28
	s_cbranch_execz .LBB158_726
.LBB158_725:
	s_wait_loadcnt 0x0
	v_mov_b32_e32 v5, v2
.LBB158_726:
	s_or_b32 exec_lo, exec_lo, s29
.LBB158_727:
	s_delay_alu instid0(SALU_CYCLE_1)
	s_or_b32 exec_lo, exec_lo, s27
	s_mov_b32 s27, 0
	global_store_b8 v[0:1], v5, off
.LBB158_728:
	s_and_b32 vcc_lo, exec_lo, s27
	s_cbranch_vccz .LBB158_738
; %bb.729:
	s_wait_xcnt 0x0
	v_cndmask_b32_e64 v3, 0, 1.0, s24
	s_mov_b32 s27, exec_lo
                                        ; implicit-def: $vgpr2
	s_delay_alu instid0(VALU_DEP_1)
	v_cmpx_gt_u32_e32 0x43f00000, v3
	s_xor_b32 s27, exec_lo, s27
	s_cbranch_execz .LBB158_735
; %bb.730:
	s_mov_b32 s28, exec_lo
                                        ; implicit-def: $vgpr2
	v_cmpx_lt_u32_e32 0x3c7fffff, v3
	s_xor_b32 s28, exec_lo, s28
	s_cbranch_execz .LBB158_732
; %bb.731:
	s_wait_loadcnt 0x0
	v_bfe_u32 v2, v3, 20, 1
	s_delay_alu instid0(VALU_DEP_1) | instskip(NEXT) | instid1(VALU_DEP_1)
	v_add3_u32 v2, v3, v2, 0x407ffff
	v_and_b32_e32 v3, 0xff00000, v2
	v_lshrrev_b32_e32 v2, 20, v2
	s_delay_alu instid0(VALU_DEP_2) | instskip(NEXT) | instid1(VALU_DEP_2)
	v_cmp_ne_u32_e32 vcc_lo, 0x7f00000, v3
                                        ; implicit-def: $vgpr3
	v_cndmask_b32_e32 v2, 0x7e, v2, vcc_lo
.LBB158_732:
	s_and_not1_saveexec_b32 s28, s28
	s_cbranch_execz .LBB158_734
; %bb.733:
	s_wait_loadcnt 0x0
	v_add_f32_e32 v2, 0x46800000, v3
.LBB158_734:
	s_or_b32 exec_lo, exec_lo, s28
                                        ; implicit-def: $vgpr3
.LBB158_735:
	s_and_not1_saveexec_b32 s27, s27
	s_cbranch_execz .LBB158_737
; %bb.736:
	s_wait_loadcnt 0x0
	v_mov_b32_e32 v2, 0x7f
	v_cmp_lt_u32_e32 vcc_lo, 0x7f800000, v3
	s_delay_alu instid0(VALU_DEP_2)
	v_cndmask_b32_e32 v2, 0x7e, v2, vcc_lo
.LBB158_737:
	s_or_b32 exec_lo, exec_lo, s27
	s_wait_loadcnt 0x0
	global_store_b8 v[0:1], v2, off
.LBB158_738:
	s_mov_b32 s27, 0
.LBB158_739:
	s_delay_alu instid0(SALU_CYCLE_1)
	s_and_not1_b32 vcc_lo, exec_lo, s27
	s_cbranch_vccnz .LBB158_749
; %bb.740:
	s_wait_xcnt 0x0
	v_cndmask_b32_e64 v3, 0, 1.0, s24
	s_mov_b32 s27, exec_lo
                                        ; implicit-def: $vgpr2
	s_delay_alu instid0(VALU_DEP_1)
	v_cmpx_gt_u32_e32 0x47800000, v3
	s_xor_b32 s27, exec_lo, s27
	s_cbranch_execz .LBB158_746
; %bb.741:
	s_mov_b32 s28, exec_lo
                                        ; implicit-def: $vgpr2
	v_cmpx_lt_u32_e32 0x387fffff, v3
	s_xor_b32 s28, exec_lo, s28
	s_cbranch_execz .LBB158_743
; %bb.742:
	s_wait_loadcnt 0x0
	v_bfe_u32 v2, v3, 21, 1
	s_delay_alu instid0(VALU_DEP_1) | instskip(NEXT) | instid1(VALU_DEP_1)
	v_add3_u32 v2, v3, v2, 0x80fffff
                                        ; implicit-def: $vgpr3
	v_lshrrev_b32_e32 v2, 21, v2
.LBB158_743:
	s_and_not1_saveexec_b32 s28, s28
	s_cbranch_execz .LBB158_745
; %bb.744:
	s_wait_loadcnt 0x0
	v_add_f32_e32 v2, 0x43000000, v3
.LBB158_745:
	s_or_b32 exec_lo, exec_lo, s28
                                        ; implicit-def: $vgpr3
.LBB158_746:
	s_and_not1_saveexec_b32 s27, s27
	s_cbranch_execz .LBB158_748
; %bb.747:
	s_wait_loadcnt 0x0
	v_mov_b32_e32 v2, 0x7f
	v_cmp_lt_u32_e32 vcc_lo, 0x7f800000, v3
	s_delay_alu instid0(VALU_DEP_2)
	v_cndmask_b32_e32 v2, 0x7c, v2, vcc_lo
.LBB158_748:
	s_or_b32 exec_lo, exec_lo, s27
	s_wait_loadcnt 0x0
	global_store_b8 v[0:1], v2, off
.LBB158_749:
	s_mov_b32 s28, 0
	s_mov_b32 s27, -1
.LBB158_750:
	s_and_not1_b32 vcc_lo, exec_lo, s28
	s_cbranch_vccnz .LBB158_758
; %bb.751:
	s_cmp_gt_i32 s26, 14
	s_mov_b32 s28, -1
	s_cbranch_scc0 .LBB158_755
; %bb.752:
	s_cmp_eq_u32 s26, 15
	s_mov_b32 s0, -1
	s_cbranch_scc0 .LBB158_754
; %bb.753:
	s_wait_loadcnt 0x0
	v_cndmask_b32_e64 v2, 0, 1.0, s24
	s_mov_b32 s27, -1
	s_mov_b32 s0, 0
	s_delay_alu instid0(VALU_DEP_1) | instskip(NEXT) | instid1(VALU_DEP_1)
	v_bfe_u32 v3, v2, 16, 1
	v_add3_u32 v2, v2, v3, 0x7fff
	global_store_d16_hi_b16 v[0:1], v2, off
.LBB158_754:
	s_mov_b32 s28, 0
.LBB158_755:
	s_delay_alu instid0(SALU_CYCLE_1)
	s_and_b32 vcc_lo, exec_lo, s28
	s_cbranch_vccz .LBB158_758
; %bb.756:
	s_cmp_eq_u32 s26, 11
	s_mov_b32 s0, -1
	s_cbranch_scc0 .LBB158_758
; %bb.757:
	s_wait_loadcnt 0x0
	v_cndmask_b32_e64 v2, 0, 1, s24
	s_mov_b32 s27, -1
	s_mov_b32 s0, 0
	global_store_b8 v[0:1], v2, off
.LBB158_758:
	s_mov_b32 s26, 0
.LBB158_759:
	s_delay_alu instid0(SALU_CYCLE_1)
	s_and_b32 vcc_lo, exec_lo, s26
	s_cbranch_vccz .LBB158_798
; %bb.760:
	s_and_b32 s25, 0xffff, s25
	s_mov_b32 s26, -1
	s_cmp_lt_i32 s25, 5
	s_cbranch_scc1 .LBB158_781
; %bb.761:
	s_cmp_lt_i32 s25, 8
	s_cbranch_scc1 .LBB158_771
; %bb.762:
	;; [unrolled: 3-line block ×3, first 2 shown]
	s_cmp_gt_i32 s25, 9
	s_cbranch_scc0 .LBB158_765
; %bb.764:
	s_wait_loadcnt 0x0
	v_cndmask_b32_e64 v2, 0, 1, s24
	v_mov_b32_e32 v8, 0
	s_mov_b32 s26, 0
	s_delay_alu instid0(VALU_DEP_2) | instskip(NEXT) | instid1(VALU_DEP_2)
	v_cvt_f64_u32_e32 v[6:7], v2
	v_mov_b32_e32 v9, v8
	global_store_b128 v[0:1], v[6:9], off
.LBB158_765:
	s_and_not1_b32 vcc_lo, exec_lo, s26
	s_cbranch_vccnz .LBB158_767
; %bb.766:
	s_wait_loadcnt 0x0
	v_cndmask_b32_e64 v2, 0, 1.0, s24
	v_mov_b32_e32 v3, 0
	global_store_b64 v[0:1], v[2:3], off
.LBB158_767:
	s_mov_b32 s26, 0
.LBB158_768:
	s_delay_alu instid0(SALU_CYCLE_1)
	s_and_not1_b32 vcc_lo, exec_lo, s26
	s_cbranch_vccnz .LBB158_770
; %bb.769:
	s_wait_loadcnt 0x0
	v_cndmask_b32_e64 v2, 0, 1.0, s24
	s_delay_alu instid0(VALU_DEP_1) | instskip(NEXT) | instid1(VALU_DEP_1)
	v_cvt_f16_f32_e32 v2, v2
	v_and_b32_e32 v2, 0xffff, v2
	global_store_b32 v[0:1], v2, off
.LBB158_770:
	s_mov_b32 s26, 0
.LBB158_771:
	s_delay_alu instid0(SALU_CYCLE_1)
	s_and_not1_b32 vcc_lo, exec_lo, s26
	s_cbranch_vccnz .LBB158_780
; %bb.772:
	s_cmp_lt_i32 s25, 6
	s_mov_b32 s26, -1
	s_cbranch_scc1 .LBB158_778
; %bb.773:
	s_cmp_gt_i32 s25, 6
	s_cbranch_scc0 .LBB158_775
; %bb.774:
	s_wait_loadcnt 0x0
	v_cndmask_b32_e64 v2, 0, 1, s24
	s_mov_b32 s26, 0
	s_delay_alu instid0(VALU_DEP_1)
	v_cvt_f64_u32_e32 v[2:3], v2
	global_store_b64 v[0:1], v[2:3], off
.LBB158_775:
	s_and_not1_b32 vcc_lo, exec_lo, s26
	s_cbranch_vccnz .LBB158_777
; %bb.776:
	s_wait_loadcnt 0x0
	v_cndmask_b32_e64 v2, 0, 1.0, s24
	global_store_b32 v[0:1], v2, off
.LBB158_777:
	s_mov_b32 s26, 0
.LBB158_778:
	s_delay_alu instid0(SALU_CYCLE_1)
	s_and_not1_b32 vcc_lo, exec_lo, s26
	s_cbranch_vccnz .LBB158_780
; %bb.779:
	s_wait_loadcnt 0x0
	v_cndmask_b32_e64 v2, 0, 1.0, s24
	s_delay_alu instid0(VALU_DEP_1)
	v_cvt_f16_f32_e32 v2, v2
	global_store_b16 v[0:1], v2, off
.LBB158_780:
	s_mov_b32 s26, 0
.LBB158_781:
	s_delay_alu instid0(SALU_CYCLE_1)
	s_and_not1_b32 vcc_lo, exec_lo, s26
	s_cbranch_vccnz .LBB158_797
; %bb.782:
	s_cmp_lt_i32 s25, 2
	s_mov_b32 s26, -1
	s_cbranch_scc1 .LBB158_792
; %bb.783:
	s_cmp_lt_i32 s25, 3
	s_cbranch_scc1 .LBB158_789
; %bb.784:
	s_cmp_gt_i32 s25, 3
	s_cbranch_scc0 .LBB158_786
; %bb.785:
	s_mov_b32 s26, 0
	s_wait_loadcnt 0x0
	v_cndmask_b32_e64 v2, 0, 1, s24
	v_mov_b32_e32 v3, s26
	global_store_b64 v[0:1], v[2:3], off
.LBB158_786:
	s_and_not1_b32 vcc_lo, exec_lo, s26
	s_cbranch_vccnz .LBB158_788
; %bb.787:
	s_wait_loadcnt 0x0
	v_cndmask_b32_e64 v2, 0, 1, s24
	global_store_b32 v[0:1], v2, off
.LBB158_788:
	s_mov_b32 s26, 0
.LBB158_789:
	s_delay_alu instid0(SALU_CYCLE_1)
	s_and_not1_b32 vcc_lo, exec_lo, s26
	s_cbranch_vccnz .LBB158_791
; %bb.790:
	s_wait_loadcnt 0x0
	v_cndmask_b32_e64 v2, 0, 1, s24
	global_store_b16 v[0:1], v2, off
.LBB158_791:
	s_mov_b32 s26, 0
.LBB158_792:
	s_delay_alu instid0(SALU_CYCLE_1)
	s_and_not1_b32 vcc_lo, exec_lo, s26
	s_cbranch_vccnz .LBB158_797
; %bb.793:
	s_wait_loadcnt 0x0
	v_cndmask_b32_e64 v2, 0, 1, s24
	s_cmp_gt_i32 s25, 0
	s_mov_b32 s24, -1
	s_cbranch_scc0 .LBB158_795
; %bb.794:
	s_mov_b32 s24, 0
	global_store_b8 v[0:1], v2, off
.LBB158_795:
	s_and_not1_b32 vcc_lo, exec_lo, s24
	s_cbranch_vccnz .LBB158_797
; %bb.796:
	global_store_b8 v[0:1], v2, off
.LBB158_797:
	s_mov_b32 s27, -1
.LBB158_798:
	s_delay_alu instid0(SALU_CYCLE_1)
	s_and_not1_b32 vcc_lo, exec_lo, s27
	s_cbranch_vccnz .LBB158_800
; %bb.799:
	v_add_nc_u32_e32 v4, 0x80, v4
	s_mov_b32 s24, -1
	s_branch .LBB158_802
.LBB158_800:
	s_mov_b32 s24, 0
.LBB158_801:
                                        ; implicit-def: $vgpr4
.LBB158_802:
	s_and_not1_b32 s25, s20, exec_lo
	s_and_b32 s0, s0, exec_lo
	s_and_not1_b32 s26, s19, exec_lo
	s_and_b32 s27, s23, exec_lo
	s_or_b32 s23, s25, s0
	s_or_b32 s0, s26, s27
	s_or_not1_b32 s24, s24, exec_lo
.LBB158_803:
	s_wait_xcnt 0x0
	s_or_b32 exec_lo, exec_lo, s22
	s_mov_b32 s25, 0
	s_mov_b32 s26, 0
	;; [unrolled: 1-line block ×3, first 2 shown]
                                        ; implicit-def: $vgpr0_vgpr1
                                        ; implicit-def: $vgpr3
                                        ; implicit-def: $vgpr2
	s_and_saveexec_b32 s22, s24
	s_cbranch_execz .LBB158_891
; %bb.804:
	v_cmp_gt_i32_e32 vcc_lo, s15, v4
	s_mov_b32 s24, 0
	s_mov_b32 s25, s0
	;; [unrolled: 1-line block ×3, first 2 shown]
                                        ; implicit-def: $vgpr0_vgpr1
                                        ; implicit-def: $vgpr3
                                        ; implicit-def: $vgpr2
	s_and_saveexec_b32 s15, vcc_lo
	s_cbranch_execz .LBB158_890
; %bb.805:
	v_mul_lo_u32 v0, v4, s9
	s_and_b32 s24, 0xffff, s3
	s_delay_alu instid0(SALU_CYCLE_1) | instskip(NEXT) | instid1(VALU_DEP_1)
	s_cmp_lt_i32 s24, 11
	v_ashrrev_i32_e32 v1, 31, v0
	s_delay_alu instid0(VALU_DEP_1)
	v_add_nc_u64_e32 v[0:1], s[6:7], v[0:1]
	s_cbranch_scc1 .LBB158_812
; %bb.806:
	s_cmp_gt_i32 s24, 25
	s_cbranch_scc0 .LBB158_813
; %bb.807:
	s_cmp_gt_i32 s24, 28
	s_cbranch_scc0 .LBB158_814
	;; [unrolled: 3-line block ×4, first 2 shown]
; %bb.810:
	s_cmp_eq_u32 s24, 46
	s_cbranch_scc0 .LBB158_821
; %bb.811:
	s_wait_loadcnt 0x0
	global_load_b32 v2, v[0:1], off
	s_mov_b32 s25, 0
	s_mov_b32 s27, -1
	s_wait_loadcnt 0x0
	v_lshlrev_b32_e32 v3, 16, v2
	v_and_b32_e32 v5, 0xffff0000, v2
	s_delay_alu instid0(VALU_DEP_2) | instskip(NEXT) | instid1(VALU_DEP_2)
	v_cvt_f16_f32_e32 v2, v3
	v_cvt_f16_f32_e32 v3, v5
	s_branch .LBB158_823
.LBB158_812:
	s_mov_b32 s24, -1
	s_mov_b32 s25, s0
                                        ; implicit-def: $vgpr3
                                        ; implicit-def: $vgpr2
	s_branch .LBB158_889
.LBB158_813:
	s_mov_b32 s28, -1
	s_mov_b32 s25, s0
                                        ; implicit-def: $vgpr3
                                        ; implicit-def: $vgpr2
	s_branch .LBB158_854
.LBB158_814:
	s_mov_b32 s28, -1
	s_mov_b32 s25, s0
                                        ; implicit-def: $vgpr3
                                        ; implicit-def: $vgpr2
	s_branch .LBB158_835
.LBB158_815:
	s_mov_b32 s28, -1
	s_mov_b32 s25, s0
                                        ; implicit-def: $vgpr3
                                        ; implicit-def: $vgpr2
	s_branch .LBB158_829
.LBB158_816:
	s_and_not1_saveexec_b32 s29, s29
	s_cbranch_execz .LBB158_711
.LBB158_817:
	s_wait_loadcnt 0x0
	v_add_f32_e32 v2, 0x46000000, v3
	s_and_not1_b32 s28, s28, exec_lo
	s_delay_alu instid0(VALU_DEP_1) | instskip(NEXT) | instid1(VALU_DEP_1)
	v_and_b32_e32 v2, 0xff, v2
	v_cmp_ne_u32_e32 vcc_lo, 0, v2
	s_and_b32 s30, vcc_lo, exec_lo
	s_delay_alu instid0(SALU_CYCLE_1)
	s_or_b32 s28, s28, s30
	s_or_b32 exec_lo, exec_lo, s29
	v_mov_b32_e32 v5, 0
	s_and_saveexec_b32 s29, s28
	s_cbranch_execnz .LBB158_712
	s_branch .LBB158_713
.LBB158_818:
	s_mov_b32 s28, -1
	s_mov_b32 s25, s0
	s_branch .LBB158_822
.LBB158_819:
	s_and_not1_saveexec_b32 s29, s29
	s_cbranch_execz .LBB158_724
.LBB158_820:
	s_wait_loadcnt 0x0
	v_add_f32_e32 v2, 0x42800000, v3
	s_and_not1_b32 s28, s28, exec_lo
	s_delay_alu instid0(VALU_DEP_1) | instskip(NEXT) | instid1(VALU_DEP_1)
	v_and_b32_e32 v2, 0xff, v2
	v_cmp_ne_u32_e32 vcc_lo, 0, v2
	s_and_b32 s30, vcc_lo, exec_lo
	s_delay_alu instid0(SALU_CYCLE_1)
	s_or_b32 s28, s28, s30
	s_or_b32 exec_lo, exec_lo, s29
	v_mov_b32_e32 v5, 0
	s_and_saveexec_b32 s29, s28
	s_cbranch_execnz .LBB158_725
	s_branch .LBB158_726
.LBB158_821:
	s_mov_b32 s25, -1
.LBB158_822:
                                        ; implicit-def: $vgpr3
                                        ; implicit-def: $vgpr2
.LBB158_823:
	s_and_b32 vcc_lo, exec_lo, s28
	s_cbranch_vccz .LBB158_828
; %bb.824:
	s_cmp_eq_u32 s24, 44
	s_cbranch_scc0 .LBB158_826
; %bb.825:
	s_wait_loadcnt 0x0
	global_load_u8 v2, v[0:1], off
	s_mov_b32 s25, 0
	s_mov_b32 s27, -1
	s_wait_loadcnt 0x0
	v_lshlrev_b32_e32 v3, 23, v2
	v_cmp_ne_u32_e32 vcc_lo, 0xff, v2
	s_delay_alu instid0(VALU_DEP_2) | instskip(NEXT) | instid1(VALU_DEP_1)
	v_cvt_f16_f32_e32 v3, v3
	v_cndmask_b32_e32 v3, 0x7e00, v3, vcc_lo
	v_cmp_ne_u32_e32 vcc_lo, 0, v2
	s_delay_alu instid0(VALU_DEP_2)
	v_cndmask_b32_e32 v2, 0, v3, vcc_lo
	s_branch .LBB158_827
.LBB158_826:
	s_mov_b32 s25, -1
                                        ; implicit-def: $vgpr2
.LBB158_827:
	v_mov_b32_e32 v3, 0
.LBB158_828:
	s_mov_b32 s28, 0
.LBB158_829:
	s_delay_alu instid0(SALU_CYCLE_1)
	s_and_b32 vcc_lo, exec_lo, s28
	s_cbranch_vccz .LBB158_834
; %bb.830:
	s_cmp_eq_u32 s24, 29
	s_cbranch_scc0 .LBB158_832
; %bb.831:
	s_wait_loadcnt 0x0
	global_load_b64 v[2:3], v[0:1], off
	s_mov_b32 s25, 0
	s_mov_b32 s27, -1
	s_wait_loadcnt 0x0
	v_clz_i32_u32_e32 v5, v3
	s_delay_alu instid0(VALU_DEP_1) | instskip(NEXT) | instid1(VALU_DEP_1)
	v_min_u32_e32 v5, 32, v5
	v_lshlrev_b64_e32 v[2:3], v5, v[2:3]
	s_delay_alu instid0(VALU_DEP_1) | instskip(NEXT) | instid1(VALU_DEP_1)
	v_min_u32_e32 v2, 1, v2
	v_dual_sub_nc_u32 v3, 32, v5 :: v_dual_bitop2_b32 v2, v3, v2 bitop3:0x54
	s_delay_alu instid0(VALU_DEP_1) | instskip(NEXT) | instid1(VALU_DEP_1)
	v_cvt_f32_u32_e32 v2, v2
	v_ldexp_f32 v2, v2, v3
	s_delay_alu instid0(VALU_DEP_1)
	v_cvt_f16_f32_e32 v2, v2
	s_branch .LBB158_833
.LBB158_832:
	s_mov_b32 s25, -1
                                        ; implicit-def: $vgpr2
.LBB158_833:
	v_mov_b32_e32 v3, 0
.LBB158_834:
	s_mov_b32 s28, 0
.LBB158_835:
	s_delay_alu instid0(SALU_CYCLE_1)
	s_and_b32 vcc_lo, exec_lo, s28
	s_cbranch_vccz .LBB158_853
; %bb.836:
	s_cmp_lt_i32 s24, 27
	s_cbranch_scc1 .LBB158_839
; %bb.837:
	s_cmp_gt_i32 s24, 27
	s_cbranch_scc0 .LBB158_840
; %bb.838:
	s_wait_loadcnt 0x0
	global_load_b32 v2, v[0:1], off
	s_mov_b32 s27, 0
	s_wait_loadcnt 0x0
	v_cvt_f32_u32_e32 v2, v2
	s_delay_alu instid0(VALU_DEP_1)
	v_cvt_f16_f32_e32 v2, v2
	s_branch .LBB158_841
.LBB158_839:
	s_mov_b32 s27, -1
                                        ; implicit-def: $vgpr2
	s_branch .LBB158_844
.LBB158_840:
	s_mov_b32 s27, -1
                                        ; implicit-def: $vgpr2
.LBB158_841:
	s_delay_alu instid0(SALU_CYCLE_1)
	s_and_not1_b32 vcc_lo, exec_lo, s27
	s_cbranch_vccnz .LBB158_843
; %bb.842:
	s_wait_loadcnt 0x0
	global_load_u16 v2, v[0:1], off
	s_wait_loadcnt 0x0
	v_cvt_f16_u16_e32 v2, v2
.LBB158_843:
	s_mov_b32 s27, 0
.LBB158_844:
	s_delay_alu instid0(SALU_CYCLE_1)
	s_and_not1_b32 vcc_lo, exec_lo, s27
	s_cbranch_vccnz .LBB158_852
; %bb.845:
	global_load_u8 v3, v[0:1], off
	s_mov_b32 s27, 0
	s_mov_b32 s28, exec_lo
	s_wait_loadcnt 0x0
	v_cmpx_lt_i16_e32 0x7f, v3
	s_xor_b32 s28, exec_lo, s28
	s_cbranch_execz .LBB158_866
; %bb.846:
	s_mov_b32 s27, -1
	s_mov_b32 s29, exec_lo
	v_cmpx_eq_u16_e32 0x80, v3
; %bb.847:
	s_xor_b32 s27, exec_lo, -1
; %bb.848:
	s_or_b32 exec_lo, exec_lo, s29
	s_delay_alu instid0(SALU_CYCLE_1)
	s_and_b32 s27, s27, exec_lo
	s_or_saveexec_b32 s28, s28
	v_mov_b32_e32 v2, 0x7e00
	s_xor_b32 exec_lo, exec_lo, s28
	s_cbranch_execnz .LBB158_867
.LBB158_849:
	s_or_b32 exec_lo, exec_lo, s28
	s_and_saveexec_b32 s28, s27
	s_cbranch_execz .LBB158_851
.LBB158_850:
	v_and_b32_e32 v2, 0xffff, v3
	s_delay_alu instid0(VALU_DEP_1) | instskip(SKIP_1) | instid1(VALU_DEP_2)
	v_dual_lshlrev_b32 v3, 24, v3 :: v_dual_bitop2_b32 v5, 7, v2 bitop3:0x40
	v_bfe_u32 v8, v2, 3, 4
	v_and_b32_e32 v3, 0x80000000, v3
	s_delay_alu instid0(VALU_DEP_3) | instskip(NEXT) | instid1(VALU_DEP_3)
	v_clz_i32_u32_e32 v6, v5
	v_cmp_eq_u32_e32 vcc_lo, 0, v8
	s_delay_alu instid0(VALU_DEP_2) | instskip(NEXT) | instid1(VALU_DEP_1)
	v_min_u32_e32 v6, 32, v6
	v_subrev_nc_u32_e32 v7, 28, v6
	v_sub_nc_u32_e32 v6, 29, v6
	s_delay_alu instid0(VALU_DEP_2) | instskip(NEXT) | instid1(VALU_DEP_2)
	v_lshlrev_b32_e32 v2, v7, v2
	v_cndmask_b32_e32 v6, v8, v6, vcc_lo
	s_delay_alu instid0(VALU_DEP_2) | instskip(NEXT) | instid1(VALU_DEP_1)
	v_and_b32_e32 v2, 7, v2
	v_cndmask_b32_e32 v2, v5, v2, vcc_lo
	s_delay_alu instid0(VALU_DEP_3) | instskip(NEXT) | instid1(VALU_DEP_2)
	v_lshl_add_u32 v5, v6, 23, 0x3b800000
	v_lshlrev_b32_e32 v2, 20, v2
	s_delay_alu instid0(VALU_DEP_1) | instskip(NEXT) | instid1(VALU_DEP_1)
	v_or3_b32 v2, v3, v5, v2
	v_cvt_f16_f32_e32 v2, v2
.LBB158_851:
	s_or_b32 exec_lo, exec_lo, s28
.LBB158_852:
	v_mov_b32_e32 v3, 0
	s_mov_b32 s27, -1
.LBB158_853:
	s_mov_b32 s28, 0
.LBB158_854:
	s_delay_alu instid0(SALU_CYCLE_1)
	s_and_b32 vcc_lo, exec_lo, s28
	s_cbranch_vccz .LBB158_888
; %bb.855:
	s_cmp_gt_i32 s24, 22
	s_cbranch_scc0 .LBB158_865
; %bb.856:
	s_cmp_lt_i32 s24, 24
	s_cbranch_scc1 .LBB158_868
; %bb.857:
	s_cmp_gt_i32 s24, 24
	s_cbranch_scc0 .LBB158_869
; %bb.858:
	global_load_u8 v3, v[0:1], off
	s_mov_b32 s27, exec_lo
	s_wait_loadcnt 0x0
	v_cmpx_lt_i16_e32 0x7f, v3
	s_xor_b32 s27, exec_lo, s27
	s_cbranch_execz .LBB158_881
; %bb.859:
	s_mov_b32 s26, -1
	s_mov_b32 s28, exec_lo
	v_cmpx_eq_u16_e32 0x80, v3
; %bb.860:
	s_xor_b32 s26, exec_lo, -1
; %bb.861:
	s_or_b32 exec_lo, exec_lo, s28
	s_delay_alu instid0(SALU_CYCLE_1)
	s_and_b32 s26, s26, exec_lo
	s_or_saveexec_b32 s27, s27
	v_mov_b32_e32 v2, 0x7e00
	s_xor_b32 exec_lo, exec_lo, s27
	s_cbranch_execnz .LBB158_882
.LBB158_862:
	s_or_b32 exec_lo, exec_lo, s27
	s_and_saveexec_b32 s27, s26
	s_cbranch_execz .LBB158_864
.LBB158_863:
	v_and_b32_e32 v2, 0xffff, v3
	s_delay_alu instid0(VALU_DEP_1) | instskip(SKIP_1) | instid1(VALU_DEP_2)
	v_dual_lshlrev_b32 v3, 24, v3 :: v_dual_bitop2_b32 v5, 3, v2 bitop3:0x40
	v_bfe_u32 v8, v2, 2, 5
	v_and_b32_e32 v3, 0x80000000, v3
	s_delay_alu instid0(VALU_DEP_3) | instskip(NEXT) | instid1(VALU_DEP_3)
	v_clz_i32_u32_e32 v6, v5
	v_cmp_eq_u32_e32 vcc_lo, 0, v8
	s_delay_alu instid0(VALU_DEP_2) | instskip(NEXT) | instid1(VALU_DEP_1)
	v_min_u32_e32 v6, 32, v6
	v_subrev_nc_u32_e32 v7, 29, v6
	v_sub_nc_u32_e32 v6, 30, v6
	s_delay_alu instid0(VALU_DEP_2) | instskip(NEXT) | instid1(VALU_DEP_2)
	v_lshlrev_b32_e32 v2, v7, v2
	v_cndmask_b32_e32 v6, v8, v6, vcc_lo
	s_delay_alu instid0(VALU_DEP_2) | instskip(NEXT) | instid1(VALU_DEP_1)
	v_and_b32_e32 v2, 3, v2
	v_cndmask_b32_e32 v2, v5, v2, vcc_lo
	s_delay_alu instid0(VALU_DEP_3) | instskip(NEXT) | instid1(VALU_DEP_2)
	v_lshl_add_u32 v5, v6, 23, 0x37800000
	v_lshlrev_b32_e32 v2, 21, v2
	s_delay_alu instid0(VALU_DEP_1) | instskip(NEXT) | instid1(VALU_DEP_1)
	v_or3_b32 v2, v3, v5, v2
	v_cvt_f16_f32_e32 v2, v2
.LBB158_864:
	s_or_b32 exec_lo, exec_lo, s27
	s_mov_b32 s26, 0
	s_branch .LBB158_870
.LBB158_865:
	s_mov_b32 s26, -1
                                        ; implicit-def: $vgpr2
	s_branch .LBB158_876
.LBB158_866:
	s_or_saveexec_b32 s28, s28
	v_mov_b32_e32 v2, 0x7e00
	s_xor_b32 exec_lo, exec_lo, s28
	s_cbranch_execz .LBB158_849
.LBB158_867:
	v_cmp_ne_u16_e32 vcc_lo, 0, v3
	v_mov_b32_e32 v2, v3
	s_and_not1_b32 s27, s27, exec_lo
	s_and_b32 s29, vcc_lo, exec_lo
	s_delay_alu instid0(SALU_CYCLE_1)
	s_or_b32 s27, s27, s29
	s_or_b32 exec_lo, exec_lo, s28
	s_and_saveexec_b32 s28, s27
	s_cbranch_execnz .LBB158_850
	s_branch .LBB158_851
.LBB158_868:
	s_mov_b32 s26, -1
                                        ; implicit-def: $vgpr2
	s_branch .LBB158_873
.LBB158_869:
	s_mov_b32 s26, -1
                                        ; implicit-def: $vgpr2
.LBB158_870:
	s_delay_alu instid0(SALU_CYCLE_1)
	s_and_b32 vcc_lo, exec_lo, s26
	s_cbranch_vccz .LBB158_872
; %bb.871:
	s_wait_loadcnt 0x0
	global_load_u8 v2, v[0:1], off
	s_wait_loadcnt 0x0
	v_lshlrev_b32_e32 v2, 24, v2
	s_delay_alu instid0(VALU_DEP_1) | instskip(NEXT) | instid1(VALU_DEP_1)
	v_and_b32_e32 v3, 0x7f000000, v2
	v_clz_i32_u32_e32 v5, v3
	v_add_nc_u32_e32 v7, 0x1000000, v3
	v_cmp_ne_u32_e32 vcc_lo, 0, v3
	s_delay_alu instid0(VALU_DEP_3) | instskip(NEXT) | instid1(VALU_DEP_1)
	v_min_u32_e32 v5, 32, v5
	v_sub_nc_u32_e64 v5, v5, 4 clamp
	s_delay_alu instid0(VALU_DEP_1) | instskip(NEXT) | instid1(VALU_DEP_1)
	v_dual_lshlrev_b32 v6, v5, v3 :: v_dual_lshlrev_b32 v5, 23, v5
	v_lshrrev_b32_e32 v6, 4, v6
	s_delay_alu instid0(VALU_DEP_1) | instskip(NEXT) | instid1(VALU_DEP_1)
	v_dual_sub_nc_u32 v5, v6, v5 :: v_dual_ashrrev_i32 v6, 8, v7
	v_add_nc_u32_e32 v5, 0x3c000000, v5
	s_delay_alu instid0(VALU_DEP_1) | instskip(NEXT) | instid1(VALU_DEP_1)
	v_and_or_b32 v5, 0x7f800000, v6, v5
	v_cndmask_b32_e32 v3, 0, v5, vcc_lo
	s_delay_alu instid0(VALU_DEP_1) | instskip(NEXT) | instid1(VALU_DEP_1)
	v_and_or_b32 v2, 0x80000000, v2, v3
	v_cvt_f16_f32_e32 v2, v2
.LBB158_872:
	s_mov_b32 s26, 0
.LBB158_873:
	s_delay_alu instid0(SALU_CYCLE_1)
	s_and_not1_b32 vcc_lo, exec_lo, s26
	s_cbranch_vccnz .LBB158_875
; %bb.874:
	s_wait_loadcnt 0x0
	global_load_u8 v2, v[0:1], off
	s_wait_loadcnt 0x0
	v_lshlrev_b32_e32 v3, 25, v2
	v_lshlrev_b16 v2, 8, v2
	s_delay_alu instid0(VALU_DEP_2) | instskip(NEXT) | instid1(VALU_DEP_2)
	v_cmp_gt_u32_e32 vcc_lo, 0x8000000, v3
	v_and_or_b32 v6, 0x7f00, v2, 0.5
	v_lshrrev_b32_e32 v5, 4, v3
	v_bfe_i32 v2, v2, 0, 16
	s_delay_alu instid0(VALU_DEP_3) | instskip(NEXT) | instid1(VALU_DEP_3)
	v_add_f32_e32 v6, -0.5, v6
	v_or_b32_e32 v5, 0x70000000, v5
	s_delay_alu instid0(VALU_DEP_1) | instskip(NEXT) | instid1(VALU_DEP_1)
	v_mul_f32_e32 v5, 0x7800000, v5
	v_cndmask_b32_e32 v3, v5, v6, vcc_lo
	s_delay_alu instid0(VALU_DEP_1) | instskip(NEXT) | instid1(VALU_DEP_1)
	v_and_or_b32 v2, 0x80000000, v2, v3
	v_cvt_f16_f32_e32 v2, v2
.LBB158_875:
	s_mov_b32 s26, 0
	s_mov_b32 s27, -1
.LBB158_876:
	s_and_not1_b32 vcc_lo, exec_lo, s26
	s_mov_b32 s26, 0
	s_cbranch_vccnz .LBB158_887
; %bb.877:
	s_cmp_gt_i32 s24, 14
	s_cbranch_scc0 .LBB158_880
; %bb.878:
	s_cmp_eq_u32 s24, 15
	s_cbranch_scc0 .LBB158_883
; %bb.879:
	s_wait_loadcnt 0x0
	global_load_u16 v2, v[0:1], off
	s_mov_b32 s25, 0
	s_mov_b32 s27, -1
	s_wait_loadcnt 0x0
	v_lshlrev_b32_e32 v2, 16, v2
	s_delay_alu instid0(VALU_DEP_1)
	v_cvt_f16_f32_e32 v2, v2
	s_branch .LBB158_885
.LBB158_880:
	s_mov_b32 s26, -1
	s_branch .LBB158_884
.LBB158_881:
	s_or_saveexec_b32 s27, s27
	v_mov_b32_e32 v2, 0x7e00
	s_xor_b32 exec_lo, exec_lo, s27
	s_cbranch_execz .LBB158_862
.LBB158_882:
	v_cmp_ne_u16_e32 vcc_lo, 0, v3
	v_mov_b32_e32 v2, v3
	s_and_not1_b32 s26, s26, exec_lo
	s_and_b32 s28, vcc_lo, exec_lo
	s_delay_alu instid0(SALU_CYCLE_1)
	s_or_b32 s26, s26, s28
	s_or_b32 exec_lo, exec_lo, s27
	s_and_saveexec_b32 s27, s26
	s_cbranch_execnz .LBB158_863
	s_branch .LBB158_864
.LBB158_883:
	s_mov_b32 s25, -1
.LBB158_884:
                                        ; implicit-def: $vgpr2
.LBB158_885:
	s_and_b32 vcc_lo, exec_lo, s26
	s_mov_b32 s26, 0
	s_cbranch_vccz .LBB158_887
; %bb.886:
	s_cmp_lg_u32 s24, 11
	s_mov_b32 s26, -1
	s_cselect_b32 s24, -1, 0
	s_and_not1_b32 s25, s25, exec_lo
	s_and_b32 s24, s24, exec_lo
	s_delay_alu instid0(SALU_CYCLE_1)
	s_or_b32 s25, s25, s24
.LBB158_887:
	v_mov_b32_e32 v3, 0
.LBB158_888:
	s_mov_b32 s24, 0
.LBB158_889:
	s_and_not1_b32 s29, s0, exec_lo
	s_and_b32 s25, s25, exec_lo
	s_and_b32 s27, s27, exec_lo
	;; [unrolled: 1-line block ×4, first 2 shown]
	s_or_b32 s25, s29, s25
.LBB158_890:
	s_wait_xcnt 0x0
	s_or_b32 exec_lo, exec_lo, s15
	s_delay_alu instid0(SALU_CYCLE_1)
	s_and_not1_b32 s0, s0, exec_lo
	s_and_b32 s15, s25, exec_lo
	s_and_b32 s27, s27, exec_lo
	;; [unrolled: 1-line block ×4, first 2 shown]
	s_or_b32 s0, s0, s15
.LBB158_891:
	s_or_b32 exec_lo, exec_lo, s22
	s_delay_alu instid0(SALU_CYCLE_1)
	s_and_not1_b32 s15, s20, exec_lo
	s_and_b32 s20, s23, exec_lo
	s_and_b32 s0, s0, exec_lo
	s_or_b32 s20, s15, s20
	s_and_not1_b32 s15, s19, exec_lo
	s_and_b32 s24, s27, exec_lo
	s_and_b32 s23, s26, exec_lo
	;; [unrolled: 1-line block ×3, first 2 shown]
	s_or_b32 s19, s15, s0
.LBB158_892:
	s_or_b32 exec_lo, exec_lo, s21
	s_delay_alu instid0(SALU_CYCLE_1)
	s_and_not1_b32 s0, s16, exec_lo
	s_and_b32 s15, s20, exec_lo
	s_and_b32 s20, s23, exec_lo
	s_or_b32 s16, s0, s15
	s_and_not1_b32 s15, s17, exec_lo
	s_and_b32 s17, s19, exec_lo
	s_and_b32 s0, s24, exec_lo
	;; [unrolled: 1-line block ×3, first 2 shown]
	s_or_b32 s17, s15, s17
	s_or_b32 exec_lo, exec_lo, s18
	s_mov_b32 s15, 0
	s_and_saveexec_b32 s18, s17
	s_cbranch_execz .LBB158_270
.LBB158_893:
	s_mov_b32 s15, exec_lo
	s_and_not1_b32 s19, s19, exec_lo
	s_trap 2
	s_or_b32 exec_lo, exec_lo, s18
	s_and_saveexec_b32 s17, s19
	s_delay_alu instid0(SALU_CYCLE_1)
	s_xor_b32 s17, exec_lo, s17
	s_cbranch_execnz .LBB158_271
.LBB158_894:
	s_or_b32 exec_lo, exec_lo, s17
	s_and_saveexec_b32 s17, s20
	s_cbranch_execz .LBB158_942
.LBB158_895:
	s_sext_i32_i16 s18, s3
	s_delay_alu instid0(SALU_CYCLE_1)
	s_cmp_lt_i32 s18, 5
	s_cbranch_scc1 .LBB158_900
; %bb.896:
	s_cmp_lt_i32 s18, 8
	s_cbranch_scc1 .LBB158_901
; %bb.897:
	;; [unrolled: 3-line block ×3, first 2 shown]
	s_cmp_gt_i32 s18, 9
	s_cbranch_scc0 .LBB158_903
; %bb.899:
	global_load_b128 v[6:9], v[0:1], off
	s_mov_b32 s18, 0
	s_wait_loadcnt 0x0
	v_and_or_b32 v2, 0x1ff, v7, v6
	v_and_or_b32 v6, 0x1ff, v9, v8
	v_dual_lshrrev_b32 v3, 8, v7 :: v_dual_lshrrev_b32 v8, 8, v9
	v_bfe_u32 v5, v7, 20, 11
	s_delay_alu instid0(VALU_DEP_4) | instskip(SKIP_2) | instid1(VALU_DEP_4)
	v_cmp_ne_u32_e32 vcc_lo, 0, v2
	v_bfe_u32 v10, v9, 20, 11
	v_dual_lshrrev_b32 v7, 16, v7 :: v_dual_lshrrev_b32 v9, 16, v9
	v_sub_nc_u32_e32 v11, 0x3f1, v5
	v_cndmask_b32_e64 v2, 0, 1, vcc_lo
	v_cmp_ne_u32_e32 vcc_lo, 0, v6
	v_add_nc_u32_e32 v5, 0xfffffc10, v5
	s_delay_alu instid0(VALU_DEP_3) | instskip(SKIP_1) | instid1(VALU_DEP_1)
	v_and_or_b32 v2, 0xffe, v3, v2
	v_cndmask_b32_e64 v6, 0, 1, vcc_lo
	v_and_or_b32 v6, 0xffe, v8, v6
	v_med3_i32 v8, v11, 0, 13
	s_delay_alu instid0(VALU_DEP_4) | instskip(NEXT) | instid1(VALU_DEP_3)
	v_or_b32_e32 v11, 0x1000, v2
	v_or_b32_e32 v12, 0x1000, v6
	s_delay_alu instid0(VALU_DEP_2) | instskip(NEXT) | instid1(VALU_DEP_1)
	v_lshrrev_b32_e32 v13, v8, v11
	v_lshlrev_b32_e32 v8, v8, v13
	s_delay_alu instid0(VALU_DEP_1) | instskip(SKIP_2) | instid1(VALU_DEP_1)
	v_cmp_ne_u32_e32 vcc_lo, v8, v11
	v_lshl_or_b32 v11, v5, 12, v2
	v_cndmask_b32_e64 v8, 0, 1, vcc_lo
	v_or_b32_e32 v8, v13, v8
	v_sub_nc_u32_e32 v3, 0x3f1, v10
	s_delay_alu instid0(VALU_DEP_1) | instskip(NEXT) | instid1(VALU_DEP_1)
	v_med3_i32 v3, v3, 0, 13
	v_lshrrev_b32_e32 v14, v3, v12
	s_delay_alu instid0(VALU_DEP_1) | instskip(NEXT) | instid1(VALU_DEP_1)
	v_lshlrev_b32_e32 v3, v3, v14
	v_cmp_ne_u32_e32 vcc_lo, v3, v12
	v_cndmask_b32_e64 v3, 0, 1, vcc_lo
	v_cmp_gt_i32_e32 vcc_lo, 1, v5
	s_delay_alu instid0(VALU_DEP_2) | instskip(NEXT) | instid1(VALU_DEP_1)
	v_dual_cndmask_b32 v8, v11, v8, vcc_lo :: v_dual_bitop2_b32 v3, v14, v3 bitop3:0x54
	v_dual_lshrrev_b32 v8, 2, v8 :: v_dual_bitop2_b32 v11, 7, v8 bitop3:0x40
	v_add_nc_u32_e32 v10, 0xfffffc10, v10
	s_delay_alu instid0(VALU_DEP_1) | instskip(SKIP_1) | instid1(VALU_DEP_2)
	v_lshl_or_b32 v12, v10, 12, v6
	v_cmp_gt_i32_e32 vcc_lo, 1, v10
	v_cndmask_b32_e32 v3, v12, v3, vcc_lo
	v_cmp_lt_i32_e32 vcc_lo, 5, v11
	s_delay_alu instid0(VALU_DEP_2)
	v_and_b32_e32 v12, 7, v3
	v_cndmask_b32_e64 v13, 0, 1, vcc_lo
	v_cmp_eq_u32_e32 vcc_lo, 3, v11
	v_lshrrev_b32_e32 v3, 2, v3
	v_cndmask_b32_e64 v11, 0, 1, vcc_lo
	v_cmp_lt_i32_e32 vcc_lo, 5, v12
	s_delay_alu instid0(VALU_DEP_2) | instskip(SKIP_2) | instid1(VALU_DEP_3)
	v_or_b32_e32 v11, v11, v13
	v_cndmask_b32_e64 v14, 0, 1, vcc_lo
	v_cmp_eq_u32_e32 vcc_lo, 3, v12
	v_dual_mov_b32 v15, 0x7e00 :: v_dual_add_nc_u32 v8, v8, v11
	v_cndmask_b32_e64 v12, 0, 1, vcc_lo
	v_cmp_ne_u32_e32 vcc_lo, 0, v2
	s_delay_alu instid0(VALU_DEP_2) | instskip(NEXT) | instid1(VALU_DEP_4)
	v_or_b32_e32 v12, v12, v14
	v_cndmask_b32_e32 v2, 0x7c00, v15, vcc_lo
	v_cmp_ne_u32_e32 vcc_lo, 0, v6
	s_delay_alu instid0(VALU_DEP_3) | instskip(SKIP_3) | instid1(VALU_DEP_4)
	v_dual_cndmask_b32 v6, 0x7c00, v15 :: v_dual_add_nc_u32 v3, v3, v12
	v_cmp_gt_i32_e32 vcc_lo, 31, v5
	v_cndmask_b32_e32 v8, 0x7c00, v8, vcc_lo
	v_cmp_gt_i32_e32 vcc_lo, 31, v10
	v_cndmask_b32_e32 v3, 0x7c00, v3, vcc_lo
	v_cmp_eq_u32_e32 vcc_lo, 0x40f, v5
	s_delay_alu instid0(VALU_DEP_4) | instskip(SKIP_1) | instid1(VALU_DEP_2)
	v_cndmask_b32_e32 v2, v8, v2, vcc_lo
	v_cmp_eq_u32_e32 vcc_lo, 0x40f, v10
	v_and_or_b32 v2, 0x8000, v7, v2
	v_cndmask_b32_e32 v3, v3, v6, vcc_lo
	s_delay_alu instid0(VALU_DEP_1)
	v_and_or_b32 v3, 0x8000, v9, v3
	s_branch .LBB158_904
.LBB158_900:
                                        ; implicit-def: $vgpr3
                                        ; implicit-def: $vgpr2
	s_branch .LBB158_922
.LBB158_901:
                                        ; implicit-def: $vgpr3
                                        ; implicit-def: $vgpr2
	s_branch .LBB158_910
.LBB158_902:
	s_mov_b32 s18, -1
                                        ; implicit-def: $vgpr3
                                        ; implicit-def: $vgpr2
	s_branch .LBB158_907
.LBB158_903:
	s_mov_b32 s18, -1
                                        ; implicit-def: $vgpr3
                                        ; implicit-def: $vgpr2
.LBB158_904:
	s_delay_alu instid0(SALU_CYCLE_1)
	s_and_not1_b32 vcc_lo, exec_lo, s18
	s_cbranch_vccnz .LBB158_906
; %bb.905:
	s_wait_loadcnt 0x0
	global_load_b64 v[2:3], v[0:1], off
	s_wait_loadcnt 0x0
	v_cvt_f16_f32_e32 v2, v2
	v_cvt_f16_f32_e32 v3, v3
.LBB158_906:
	s_mov_b32 s18, 0
.LBB158_907:
	s_delay_alu instid0(SALU_CYCLE_1)
	s_and_not1_b32 vcc_lo, exec_lo, s18
	s_cbranch_vccnz .LBB158_909
; %bb.908:
	s_wait_loadcnt 0x0
	global_load_b32 v2, v[0:1], off
	s_wait_loadcnt 0x0
	v_lshrrev_b32_e32 v3, 16, v2
.LBB158_909:
	s_cbranch_execnz .LBB158_921
.LBB158_910:
	s_sext_i32_i16 s18, s3
	s_delay_alu instid0(SALU_CYCLE_1)
	s_cmp_lt_i32 s18, 6
	s_cbranch_scc1 .LBB158_913
; %bb.911:
	s_cmp_gt_i32 s18, 6
	s_cbranch_scc0 .LBB158_914
; %bb.912:
	s_wait_loadcnt 0x0
	global_load_b64 v[2:3], v[0:1], off
	s_mov_b32 s18, 0
	s_wait_loadcnt 0x0
	v_and_or_b32 v2, 0x1ff, v3, v2
	v_lshrrev_b32_e32 v5, 8, v3
	v_bfe_u32 v6, v3, 20, 11
	v_lshrrev_b32_e32 v3, 16, v3
	s_delay_alu instid0(VALU_DEP_4) | instskip(NEXT) | instid1(VALU_DEP_3)
	v_cmp_ne_u32_e32 vcc_lo, 0, v2
	v_sub_nc_u32_e32 v7, 0x3f1, v6
	v_add_nc_u32_e32 v6, 0xfffffc10, v6
	v_cndmask_b32_e64 v2, 0, 1, vcc_lo
	s_delay_alu instid0(VALU_DEP_1) | instskip(NEXT) | instid1(VALU_DEP_4)
	v_and_or_b32 v2, 0xffe, v5, v2
	v_med3_i32 v5, v7, 0, 13
	s_delay_alu instid0(VALU_DEP_2) | instskip(NEXT) | instid1(VALU_DEP_1)
	v_or_b32_e32 v7, 0x1000, v2
	v_lshrrev_b32_e32 v8, v5, v7
	s_delay_alu instid0(VALU_DEP_1) | instskip(NEXT) | instid1(VALU_DEP_1)
	v_lshlrev_b32_e32 v5, v5, v8
	v_cmp_ne_u32_e32 vcc_lo, v5, v7
	v_lshl_or_b32 v7, v6, 12, v2
	v_cndmask_b32_e64 v5, 0, 1, vcc_lo
	v_cmp_gt_i32_e32 vcc_lo, 1, v6
	s_delay_alu instid0(VALU_DEP_2) | instskip(NEXT) | instid1(VALU_DEP_1)
	v_or_b32_e32 v5, v8, v5
	v_cndmask_b32_e32 v5, v7, v5, vcc_lo
	s_delay_alu instid0(VALU_DEP_1) | instskip(NEXT) | instid1(VALU_DEP_1)
	v_dual_lshrrev_b32 v5, 2, v5 :: v_dual_bitop2_b32 v7, 7, v5 bitop3:0x40
	v_cmp_lt_i32_e32 vcc_lo, 5, v7
	v_cndmask_b32_e64 v8, 0, 1, vcc_lo
	v_cmp_eq_u32_e32 vcc_lo, 3, v7
	v_cndmask_b32_e64 v7, 0, 1, vcc_lo
	v_cmp_ne_u32_e32 vcc_lo, 0, v2
	s_delay_alu instid0(VALU_DEP_2) | instskip(NEXT) | instid1(VALU_DEP_1)
	v_or_b32_e32 v7, v7, v8
	v_dual_mov_b32 v8, 0x7e00 :: v_dual_add_nc_u32 v5, v5, v7
	s_delay_alu instid0(VALU_DEP_1) | instskip(SKIP_1) | instid1(VALU_DEP_3)
	v_cndmask_b32_e32 v2, 0x7c00, v8, vcc_lo
	v_cmp_gt_i32_e32 vcc_lo, 31, v6
	v_cndmask_b32_e32 v5, 0x7c00, v5, vcc_lo
	v_cmp_eq_u32_e32 vcc_lo, 0x40f, v6
	s_delay_alu instid0(VALU_DEP_2) | instskip(NEXT) | instid1(VALU_DEP_1)
	v_cndmask_b32_e32 v2, v5, v2, vcc_lo
	v_and_or_b32 v2, 0x8000, v3, v2
	s_branch .LBB158_915
.LBB158_913:
	s_mov_b32 s18, -1
                                        ; implicit-def: $vgpr2
	s_branch .LBB158_918
.LBB158_914:
	s_mov_b32 s18, -1
                                        ; implicit-def: $vgpr2
.LBB158_915:
	s_delay_alu instid0(SALU_CYCLE_1)
	s_and_not1_b32 vcc_lo, exec_lo, s18
	s_cbranch_vccnz .LBB158_917
; %bb.916:
	s_wait_loadcnt 0x0
	global_load_b32 v2, v[0:1], off
	s_wait_loadcnt 0x0
	v_cvt_f16_f32_e32 v2, v2
.LBB158_917:
	s_mov_b32 s18, 0
.LBB158_918:
	s_delay_alu instid0(SALU_CYCLE_1)
	s_and_not1_b32 vcc_lo, exec_lo, s18
	s_cbranch_vccnz .LBB158_920
; %bb.919:
	s_wait_loadcnt 0x0
	global_load_u16 v2, v[0:1], off
.LBB158_920:
	v_mov_b32_e32 v3, 0
.LBB158_921:
	s_cbranch_execnz .LBB158_941
.LBB158_922:
	s_sext_i32_i16 s18, s3
	s_delay_alu instid0(SALU_CYCLE_1)
	s_cmp_lt_i32 s18, 2
	s_cbranch_scc1 .LBB158_926
; %bb.923:
	s_cmp_lt_i32 s18, 3
	s_cbranch_scc1 .LBB158_927
; %bb.924:
	s_cmp_gt_i32 s18, 3
	s_cbranch_scc0 .LBB158_928
; %bb.925:
	s_wait_loadcnt 0x0
	global_load_b64 v[2:3], v[0:1], off
	s_mov_b32 s18, 0
	s_wait_loadcnt 0x0
	v_xor_b32_e32 v5, v2, v3
	v_cls_i32_e32 v6, v3
	s_delay_alu instid0(VALU_DEP_2) | instskip(NEXT) | instid1(VALU_DEP_1)
	v_ashrrev_i32_e32 v5, 31, v5
	v_add_nc_u32_e32 v5, 32, v5
	s_delay_alu instid0(VALU_DEP_1) | instskip(NEXT) | instid1(VALU_DEP_1)
	v_add_min_u32_e64 v5, v6, -1, v5
	v_lshlrev_b64_e32 v[2:3], v5, v[2:3]
	s_delay_alu instid0(VALU_DEP_1) | instskip(NEXT) | instid1(VALU_DEP_1)
	v_min_u32_e32 v2, 1, v2
	v_dual_sub_nc_u32 v3, 32, v5 :: v_dual_bitop2_b32 v2, v3, v2 bitop3:0x54
	s_delay_alu instid0(VALU_DEP_1) | instskip(NEXT) | instid1(VALU_DEP_1)
	v_cvt_f32_i32_e32 v2, v2
	v_ldexp_f32 v2, v2, v3
	s_delay_alu instid0(VALU_DEP_1)
	v_cvt_f16_f32_e32 v2, v2
	s_branch .LBB158_929
.LBB158_926:
                                        ; implicit-def: $vgpr2
	s_branch .LBB158_935
.LBB158_927:
	s_mov_b32 s18, -1
                                        ; implicit-def: $vgpr2
	s_branch .LBB158_932
.LBB158_928:
	s_mov_b32 s18, -1
                                        ; implicit-def: $vgpr2
.LBB158_929:
	s_delay_alu instid0(SALU_CYCLE_1)
	s_and_not1_b32 vcc_lo, exec_lo, s18
	s_cbranch_vccnz .LBB158_931
; %bb.930:
	s_wait_loadcnt 0x0
	global_load_b32 v2, v[0:1], off
	s_wait_loadcnt 0x0
	v_cvt_f32_i32_e32 v2, v2
	s_delay_alu instid0(VALU_DEP_1)
	v_cvt_f16_f32_e32 v2, v2
.LBB158_931:
	s_mov_b32 s18, 0
.LBB158_932:
	s_delay_alu instid0(SALU_CYCLE_1)
	s_and_not1_b32 vcc_lo, exec_lo, s18
	s_cbranch_vccnz .LBB158_934
; %bb.933:
	s_wait_loadcnt 0x0
	global_load_u16 v2, v[0:1], off
	s_wait_loadcnt 0x0
	v_cvt_f16_i16_e32 v2, v2
.LBB158_934:
	s_cbranch_execnz .LBB158_940
.LBB158_935:
	s_sext_i32_i16 s18, s3
	s_delay_alu instid0(SALU_CYCLE_1)
	s_cmp_gt_i32 s18, 0
	s_mov_b32 s18, 0
	s_cbranch_scc0 .LBB158_937
; %bb.936:
	s_wait_loadcnt 0x0
	global_load_i8 v2, v[0:1], off
	s_wait_loadcnt 0x0
	v_cvt_f16_i16_e32 v2, v2
	s_branch .LBB158_938
.LBB158_937:
	s_mov_b32 s18, -1
                                        ; implicit-def: $vgpr2
.LBB158_938:
	s_delay_alu instid0(SALU_CYCLE_1)
	s_and_not1_b32 vcc_lo, exec_lo, s18
	s_cbranch_vccnz .LBB158_940
; %bb.939:
	global_load_u8 v0, v[0:1], off
	s_wait_loadcnt 0x0
	v_cvt_f16_u16_e32 v2, v0
.LBB158_940:
	v_mov_b32_e32 v3, 0
.LBB158_941:
	s_or_b32 s0, s0, exec_lo
.LBB158_942:
	s_wait_xcnt 0x0
	s_or_b32 exec_lo, exec_lo, s17
	s_mov_b32 s21, 0
	s_mov_b32 s20, 0
                                        ; implicit-def: $sgpr17
                                        ; implicit-def: $sgpr18
                                        ; implicit-def: $vgpr0_vgpr1
	s_and_saveexec_b32 s19, s0
	s_cbranch_execz .LBB158_953
; %bb.943:
	s_and_not1_b32 vcc_lo, exec_lo, s14
	s_cbranch_vccnz .LBB158_957
; %bb.944:
	s_wait_loadcnt 0x0
	v_cmp_neq_f16_e32 vcc_lo, s11, v2
	v_cmp_neq_f16_e64 s0, s13, v3
	s_or_b32 s17, vcc_lo, s0
	s_cbranch_execnz .LBB158_946
.LBB158_945:
	s_wait_loadcnt 0x0
	v_cmp_eq_f16_e32 vcc_lo, s11, v2
	v_cmp_eq_f16_e64 s0, s13, v3
	s_and_not1_b32 s13, s17, exec_lo
	s_and_b32 s0, vcc_lo, s0
	s_delay_alu instid0(SALU_CYCLE_1) | instskip(NEXT) | instid1(SALU_CYCLE_1)
	s_and_b32 s0, s0, exec_lo
	s_or_b32 s17, s13, s0
.LBB158_946:
	v_mul_lo_u32 v0, v4, s8
	s_and_b32 s18, s2, 0xff
	s_delay_alu instid0(SALU_CYCLE_1) | instskip(NEXT) | instid1(VALU_DEP_1)
	s_cmp_lt_i32 s18, 11
	v_ashrrev_i32_e32 v1, 31, v0
	s_delay_alu instid0(VALU_DEP_1)
	v_add_nc_u64_e32 v[0:1], s[4:5], v[0:1]
	s_cbranch_scc1 .LBB158_956
; %bb.947:
	s_and_b32 s13, 0xffff, s18
	s_mov_b32 s14, -1
	s_cmp_gt_i32 s13, 25
	s_mov_b32 s0, s16
	s_cbranch_scc0 .LBB158_985
; %bb.948:
	s_cmp_gt_i32 s13, 28
	s_mov_b32 s0, s16
	s_cbranch_scc0 .LBB158_969
; %bb.949:
	;; [unrolled: 4-line block ×4, first 2 shown]
	s_cmp_eq_u32 s13, 46
	s_mov_b32 s0, -1
	s_cbranch_scc0 .LBB158_958
; %bb.952:
	s_wait_loadcnt 0x0
	v_cndmask_b32_e64 v2, 0, 1.0, s17
	s_mov_b32 s0, 0
	s_mov_b32 s14, 0
	s_delay_alu instid0(VALU_DEP_1) | instskip(NEXT) | instid1(VALU_DEP_1)
	v_bfe_u32 v3, v2, 16, 1
	v_add3_u32 v2, v2, v3, 0x7fff
	s_delay_alu instid0(VALU_DEP_1)
	v_lshrrev_b32_e32 v2, 16, v2
	global_store_b32 v[0:1], v2, off
	s_branch .LBB158_959
.LBB158_953:
	s_or_b32 exec_lo, exec_lo, s19
	s_and_saveexec_b32 s0, s16
	s_cbranch_execnz .LBB158_1027
.LBB158_954:
	s_or_b32 exec_lo, exec_lo, s0
	s_and_saveexec_b32 s0, s21
	s_delay_alu instid0(SALU_CYCLE_1)
	s_xor_b32 s0, exec_lo, s0
	s_cbranch_execz .LBB158_1028
.LBB158_955:
	s_wait_loadcnt 0x0
	v_cndmask_b32_e64 v2, 0, 1, s17
	global_store_b8 v[0:1], v2, off
	s_wait_xcnt 0x0
	s_or_b32 exec_lo, exec_lo, s0
	s_and_saveexec_b32 s0, s20
	s_delay_alu instid0(SALU_CYCLE_1)
	s_xor_b32 s0, exec_lo, s0
	s_cbranch_execz .LBB158_1066
	s_branch .LBB158_1029
.LBB158_956:
	s_mov_b32 s14, -1
	s_mov_b32 s0, s16
	s_branch .LBB158_1026
.LBB158_957:
                                        ; implicit-def: $sgpr17
	s_branch .LBB158_945
.LBB158_958:
	s_mov_b32 s14, 0
.LBB158_959:
	s_delay_alu instid0(SALU_CYCLE_1)
	s_and_b32 vcc_lo, exec_lo, s14
	s_cbranch_vccz .LBB158_964
; %bb.960:
	s_cmp_eq_u32 s13, 44
	s_mov_b32 s0, -1
	s_cbranch_scc0 .LBB158_964
; %bb.961:
	v_cndmask_b32_e64 v4, 0, 1.0, s17
	s_mov_b32 s14, exec_lo
	s_wait_loadcnt 0x0
	s_delay_alu instid0(VALU_DEP_1) | instskip(NEXT) | instid1(VALU_DEP_1)
	v_dual_mov_b32 v3, 0xff :: v_dual_lshrrev_b32 v2, 23, v4
	v_cmpx_ne_u32_e32 0xff, v2
; %bb.962:
	v_and_b32_e32 v3, 0x400000, v4
	v_and_or_b32 v4, 0x3fffff, v4, v2
	s_delay_alu instid0(VALU_DEP_2) | instskip(NEXT) | instid1(VALU_DEP_2)
	v_cmp_ne_u32_e32 vcc_lo, 0, v3
	v_cmp_ne_u32_e64 s0, 0, v4
	s_and_b32 s0, vcc_lo, s0
	s_delay_alu instid0(SALU_CYCLE_1) | instskip(NEXT) | instid1(VALU_DEP_1)
	v_cndmask_b32_e64 v3, 0, 1, s0
	v_add_nc_u32_e32 v3, v2, v3
; %bb.963:
	s_or_b32 exec_lo, exec_lo, s14
	s_mov_b32 s0, 0
	global_store_b8 v[0:1], v3, off
.LBB158_964:
	s_mov_b32 s14, 0
.LBB158_965:
	s_delay_alu instid0(SALU_CYCLE_1)
	s_and_b32 vcc_lo, exec_lo, s14
	s_cbranch_vccz .LBB158_968
; %bb.966:
	s_cmp_eq_u32 s13, 29
	s_mov_b32 s0, -1
	s_cbranch_scc0 .LBB158_968
; %bb.967:
	s_mov_b32 s0, 0
	s_wait_loadcnt 0x0
	v_cndmask_b32_e64 v2, 0, 1, s17
	v_mov_b32_e32 v3, s0
	s_mov_b32 s14, 0
	global_store_b64 v[0:1], v[2:3], off
	s_branch .LBB158_969
.LBB158_968:
	s_mov_b32 s14, 0
.LBB158_969:
	s_delay_alu instid0(SALU_CYCLE_1)
	s_and_b32 vcc_lo, exec_lo, s14
	s_cbranch_vccz .LBB158_984
; %bb.970:
	s_cmp_lt_i32 s13, 27
	s_mov_b32 s14, -1
	s_cbranch_scc1 .LBB158_976
; %bb.971:
	s_wait_loadcnt 0x0
	v_cndmask_b32_e64 v2, 0, 1, s17
	s_cmp_gt_i32 s13, 27
	s_cbranch_scc0 .LBB158_973
; %bb.972:
	s_mov_b32 s14, 0
	global_store_b32 v[0:1], v2, off
.LBB158_973:
	s_and_not1_b32 vcc_lo, exec_lo, s14
	s_cbranch_vccnz .LBB158_975
; %bb.974:
	global_store_b16 v[0:1], v2, off
.LBB158_975:
	s_mov_b32 s14, 0
.LBB158_976:
	s_delay_alu instid0(SALU_CYCLE_1)
	s_and_not1_b32 vcc_lo, exec_lo, s14
	s_cbranch_vccnz .LBB158_984
; %bb.977:
	s_wait_xcnt 0x0
	v_cndmask_b32_e64 v3, 0, 1.0, s17
	v_mov_b32_e32 v4, 0x80
	s_mov_b32 s14, exec_lo
	s_delay_alu instid0(VALU_DEP_2)
	v_cmpx_gt_u32_e32 0x43800000, v3
	s_cbranch_execz .LBB158_983
; %bb.978:
	s_mov_b32 s21, exec_lo
                                        ; implicit-def: $vgpr2
	v_cmpx_lt_u32_e32 0x3bffffff, v3
	s_xor_b32 s21, exec_lo, s21
	s_cbranch_execz .LBB158_1081
; %bb.979:
	s_wait_loadcnt 0x0
	v_bfe_u32 v2, v3, 20, 1
	s_mov_b32 s20, exec_lo
	s_delay_alu instid0(VALU_DEP_1) | instskip(NEXT) | instid1(VALU_DEP_1)
	v_add3_u32 v2, v3, v2, 0x487ffff
                                        ; implicit-def: $vgpr3
	v_lshrrev_b32_e32 v2, 20, v2
	s_and_not1_saveexec_b32 s21, s21
	s_cbranch_execnz .LBB158_1082
.LBB158_980:
	s_or_b32 exec_lo, exec_lo, s21
	v_mov_b32_e32 v4, 0
	s_and_saveexec_b32 s21, s20
	s_cbranch_execz .LBB158_982
.LBB158_981:
	s_wait_loadcnt 0x0
	v_mov_b32_e32 v4, v2
.LBB158_982:
	s_or_b32 exec_lo, exec_lo, s21
.LBB158_983:
	s_delay_alu instid0(SALU_CYCLE_1)
	s_or_b32 exec_lo, exec_lo, s14
	global_store_b8 v[0:1], v4, off
.LBB158_984:
	s_mov_b32 s14, 0
.LBB158_985:
	s_delay_alu instid0(SALU_CYCLE_1)
	s_and_b32 vcc_lo, exec_lo, s14
	s_mov_b32 s14, 0
	s_cbranch_vccz .LBB158_1025
; %bb.986:
	s_cmp_gt_i32 s13, 22
	s_mov_b32 s20, -1
	s_cbranch_scc0 .LBB158_1018
; %bb.987:
	s_cmp_lt_i32 s13, 24
	s_cbranch_scc1 .LBB158_1007
; %bb.988:
	s_cmp_gt_i32 s13, 24
	s_cbranch_scc0 .LBB158_996
; %bb.989:
	s_wait_xcnt 0x0
	v_cndmask_b32_e64 v3, 0, 1.0, s17
	v_mov_b32_e32 v4, 0x80
	s_mov_b32 s20, exec_lo
	s_delay_alu instid0(VALU_DEP_2)
	v_cmpx_gt_u32_e32 0x47800000, v3
	s_cbranch_execz .LBB158_995
; %bb.990:
	s_mov_b32 s21, 0
	s_mov_b32 s22, exec_lo
                                        ; implicit-def: $vgpr2
	v_cmpx_lt_u32_e32 0x37ffffff, v3
	s_xor_b32 s22, exec_lo, s22
	s_cbranch_execz .LBB158_1216
; %bb.991:
	s_wait_loadcnt 0x0
	v_bfe_u32 v2, v3, 21, 1
	s_mov_b32 s21, exec_lo
	s_delay_alu instid0(VALU_DEP_1) | instskip(NEXT) | instid1(VALU_DEP_1)
	v_add3_u32 v2, v3, v2, 0x88fffff
                                        ; implicit-def: $vgpr3
	v_lshrrev_b32_e32 v2, 21, v2
	s_and_not1_saveexec_b32 s22, s22
	s_cbranch_execnz .LBB158_1217
.LBB158_992:
	s_or_b32 exec_lo, exec_lo, s22
	v_mov_b32_e32 v4, 0
	s_and_saveexec_b32 s22, s21
	s_cbranch_execz .LBB158_994
.LBB158_993:
	s_wait_loadcnt 0x0
	v_mov_b32_e32 v4, v2
.LBB158_994:
	s_or_b32 exec_lo, exec_lo, s22
.LBB158_995:
	s_delay_alu instid0(SALU_CYCLE_1)
	s_or_b32 exec_lo, exec_lo, s20
	s_mov_b32 s20, 0
	global_store_b8 v[0:1], v4, off
.LBB158_996:
	s_and_b32 vcc_lo, exec_lo, s20
	s_cbranch_vccz .LBB158_1006
; %bb.997:
	s_wait_xcnt 0x0
	v_cndmask_b32_e64 v3, 0, 1.0, s17
	s_mov_b32 s20, exec_lo
                                        ; implicit-def: $vgpr2
	s_delay_alu instid0(VALU_DEP_1)
	v_cmpx_gt_u32_e32 0x43f00000, v3
	s_xor_b32 s20, exec_lo, s20
	s_cbranch_execz .LBB158_1003
; %bb.998:
	s_mov_b32 s21, exec_lo
                                        ; implicit-def: $vgpr2
	v_cmpx_lt_u32_e32 0x3c7fffff, v3
	s_xor_b32 s21, exec_lo, s21
	s_cbranch_execz .LBB158_1000
; %bb.999:
	s_wait_loadcnt 0x0
	v_bfe_u32 v2, v3, 20, 1
	s_delay_alu instid0(VALU_DEP_1) | instskip(NEXT) | instid1(VALU_DEP_1)
	v_add3_u32 v2, v3, v2, 0x407ffff
	v_and_b32_e32 v3, 0xff00000, v2
	v_lshrrev_b32_e32 v2, 20, v2
	s_delay_alu instid0(VALU_DEP_2) | instskip(NEXT) | instid1(VALU_DEP_2)
	v_cmp_ne_u32_e32 vcc_lo, 0x7f00000, v3
                                        ; implicit-def: $vgpr3
	v_cndmask_b32_e32 v2, 0x7e, v2, vcc_lo
.LBB158_1000:
	s_and_not1_saveexec_b32 s21, s21
	s_cbranch_execz .LBB158_1002
; %bb.1001:
	s_wait_loadcnt 0x0
	v_add_f32_e32 v2, 0x46800000, v3
.LBB158_1002:
	s_or_b32 exec_lo, exec_lo, s21
                                        ; implicit-def: $vgpr3
.LBB158_1003:
	s_and_not1_saveexec_b32 s20, s20
	s_cbranch_execz .LBB158_1005
; %bb.1004:
	s_wait_loadcnt 0x0
	v_mov_b32_e32 v2, 0x7f
	v_cmp_lt_u32_e32 vcc_lo, 0x7f800000, v3
	s_delay_alu instid0(VALU_DEP_2)
	v_cndmask_b32_e32 v2, 0x7e, v2, vcc_lo
.LBB158_1005:
	s_or_b32 exec_lo, exec_lo, s20
	s_wait_loadcnt 0x0
	global_store_b8 v[0:1], v2, off
.LBB158_1006:
	s_mov_b32 s20, 0
.LBB158_1007:
	s_delay_alu instid0(SALU_CYCLE_1)
	s_and_not1_b32 vcc_lo, exec_lo, s20
	s_cbranch_vccnz .LBB158_1017
; %bb.1008:
	s_wait_xcnt 0x0
	v_cndmask_b32_e64 v3, 0, 1.0, s17
	s_mov_b32 s20, exec_lo
                                        ; implicit-def: $vgpr2
	s_delay_alu instid0(VALU_DEP_1)
	v_cmpx_gt_u32_e32 0x47800000, v3
	s_xor_b32 s20, exec_lo, s20
	s_cbranch_execz .LBB158_1014
; %bb.1009:
	s_mov_b32 s21, exec_lo
                                        ; implicit-def: $vgpr2
	v_cmpx_lt_u32_e32 0x387fffff, v3
	s_xor_b32 s21, exec_lo, s21
	s_cbranch_execz .LBB158_1011
; %bb.1010:
	s_wait_loadcnt 0x0
	v_bfe_u32 v2, v3, 21, 1
	s_delay_alu instid0(VALU_DEP_1) | instskip(NEXT) | instid1(VALU_DEP_1)
	v_add3_u32 v2, v3, v2, 0x80fffff
                                        ; implicit-def: $vgpr3
	v_lshrrev_b32_e32 v2, 21, v2
.LBB158_1011:
	s_and_not1_saveexec_b32 s21, s21
	s_cbranch_execz .LBB158_1013
; %bb.1012:
	s_wait_loadcnt 0x0
	v_add_f32_e32 v2, 0x43000000, v3
.LBB158_1013:
	s_or_b32 exec_lo, exec_lo, s21
                                        ; implicit-def: $vgpr3
.LBB158_1014:
	s_and_not1_saveexec_b32 s20, s20
	s_cbranch_execz .LBB158_1016
; %bb.1015:
	s_wait_loadcnt 0x0
	v_mov_b32_e32 v2, 0x7f
	v_cmp_lt_u32_e32 vcc_lo, 0x7f800000, v3
	s_delay_alu instid0(VALU_DEP_2)
	v_cndmask_b32_e32 v2, 0x7c, v2, vcc_lo
.LBB158_1016:
	s_or_b32 exec_lo, exec_lo, s20
	s_wait_loadcnt 0x0
	global_store_b8 v[0:1], v2, off
.LBB158_1017:
	s_mov_b32 s20, 0
.LBB158_1018:
	s_delay_alu instid0(SALU_CYCLE_1)
	s_and_not1_b32 vcc_lo, exec_lo, s20
	s_mov_b32 s21, 0
	s_cbranch_vccnz .LBB158_1026
; %bb.1019:
	s_cmp_gt_i32 s13, 14
	s_mov_b32 s20, -1
	s_cbranch_scc0 .LBB158_1023
; %bb.1020:
	s_cmp_eq_u32 s13, 15
	s_mov_b32 s0, -1
	s_cbranch_scc0 .LBB158_1022
; %bb.1021:
	s_wait_loadcnt 0x0
	v_cndmask_b32_e64 v2, 0, 1.0, s17
	s_mov_b32 s0, 0
	s_delay_alu instid0(VALU_DEP_1) | instskip(NEXT) | instid1(VALU_DEP_1)
	v_bfe_u32 v3, v2, 16, 1
	v_add3_u32 v2, v2, v3, 0x7fff
	global_store_d16_hi_b16 v[0:1], v2, off
.LBB158_1022:
	s_mov_b32 s20, 0
.LBB158_1023:
	s_delay_alu instid0(SALU_CYCLE_1)
	s_and_b32 vcc_lo, exec_lo, s20
	s_cbranch_vccz .LBB158_1026
; %bb.1024:
	s_cmp_lg_u32 s13, 11
	s_mov_b32 s21, -1
	s_cselect_b32 s13, -1, 0
	s_and_not1_b32 s0, s0, exec_lo
	s_and_b32 s13, s13, exec_lo
	s_delay_alu instid0(SALU_CYCLE_1)
	s_or_b32 s0, s0, s13
	s_branch .LBB158_1026
.LBB158_1025:
	s_mov_b32 s21, 0
.LBB158_1026:
	s_and_not1_b32 s13, s16, exec_lo
	s_and_b32 s0, s0, exec_lo
	s_and_b32 s20, s14, exec_lo
	;; [unrolled: 1-line block ×3, first 2 shown]
	s_or_b32 s16, s13, s0
	s_wait_xcnt 0x0
	s_or_b32 exec_lo, exec_lo, s19
	s_and_saveexec_b32 s0, s16
	s_cbranch_execz .LBB158_954
.LBB158_1027:
	s_or_b32 s15, s15, exec_lo
	s_and_not1_b32 s21, s21, exec_lo
	s_trap 2
	s_or_b32 exec_lo, exec_lo, s0
	s_and_saveexec_b32 s0, s21
	s_delay_alu instid0(SALU_CYCLE_1)
	s_xor_b32 s0, exec_lo, s0
	s_cbranch_execnz .LBB158_955
.LBB158_1028:
	s_or_b32 exec_lo, exec_lo, s0
	s_and_saveexec_b32 s0, s20
	s_delay_alu instid0(SALU_CYCLE_1)
	s_xor_b32 s0, exec_lo, s0
	s_cbranch_execz .LBB158_1066
.LBB158_1029:
	s_sext_i32_i16 s14, s18
	s_mov_b32 s13, -1
	s_cmp_lt_i32 s14, 5
	s_cbranch_scc1 .LBB158_1050
; %bb.1030:
	s_cmp_lt_i32 s14, 8
	s_cbranch_scc1 .LBB158_1040
; %bb.1031:
	;; [unrolled: 3-line block ×3, first 2 shown]
	s_cmp_gt_i32 s14, 9
	s_cbranch_scc0 .LBB158_1034
; %bb.1033:
	s_wait_loadcnt 0x0
	v_cndmask_b32_e64 v2, 0, 1, s17
	v_mov_b32_e32 v4, 0
	s_mov_b32 s13, 0
	s_delay_alu instid0(VALU_DEP_2) | instskip(NEXT) | instid1(VALU_DEP_2)
	v_cvt_f64_u32_e32 v[2:3], v2
	v_mov_b32_e32 v5, v4
	global_store_b128 v[0:1], v[2:5], off
.LBB158_1034:
	s_and_not1_b32 vcc_lo, exec_lo, s13
	s_cbranch_vccnz .LBB158_1036
; %bb.1035:
	s_wait_loadcnt 0x0
	v_cndmask_b32_e64 v2, 0, 1.0, s17
	v_mov_b32_e32 v3, 0
	global_store_b64 v[0:1], v[2:3], off
.LBB158_1036:
	s_mov_b32 s13, 0
.LBB158_1037:
	s_delay_alu instid0(SALU_CYCLE_1)
	s_and_not1_b32 vcc_lo, exec_lo, s13
	s_cbranch_vccnz .LBB158_1039
; %bb.1038:
	s_wait_loadcnt 0x0
	v_cndmask_b32_e64 v2, 0, 1.0, s17
	s_delay_alu instid0(VALU_DEP_1) | instskip(NEXT) | instid1(VALU_DEP_1)
	v_cvt_f16_f32_e32 v2, v2
	v_and_b32_e32 v2, 0xffff, v2
	global_store_b32 v[0:1], v2, off
.LBB158_1039:
	s_mov_b32 s13, 0
.LBB158_1040:
	s_delay_alu instid0(SALU_CYCLE_1)
	s_and_not1_b32 vcc_lo, exec_lo, s13
	s_cbranch_vccnz .LBB158_1049
; %bb.1041:
	s_sext_i32_i16 s14, s18
	s_mov_b32 s13, -1
	s_cmp_lt_i32 s14, 6
	s_cbranch_scc1 .LBB158_1047
; %bb.1042:
	s_cmp_gt_i32 s14, 6
	s_cbranch_scc0 .LBB158_1044
; %bb.1043:
	s_wait_loadcnt 0x0
	v_cndmask_b32_e64 v2, 0, 1, s17
	s_mov_b32 s13, 0
	s_delay_alu instid0(VALU_DEP_1)
	v_cvt_f64_u32_e32 v[2:3], v2
	global_store_b64 v[0:1], v[2:3], off
.LBB158_1044:
	s_and_not1_b32 vcc_lo, exec_lo, s13
	s_cbranch_vccnz .LBB158_1046
; %bb.1045:
	s_wait_loadcnt 0x0
	v_cndmask_b32_e64 v2, 0, 1.0, s17
	global_store_b32 v[0:1], v2, off
.LBB158_1046:
	s_mov_b32 s13, 0
.LBB158_1047:
	s_delay_alu instid0(SALU_CYCLE_1)
	s_and_not1_b32 vcc_lo, exec_lo, s13
	s_cbranch_vccnz .LBB158_1049
; %bb.1048:
	s_wait_loadcnt 0x0
	v_cndmask_b32_e64 v2, 0, 1.0, s17
	s_delay_alu instid0(VALU_DEP_1)
	v_cvt_f16_f32_e32 v2, v2
	global_store_b16 v[0:1], v2, off
.LBB158_1049:
	s_mov_b32 s13, 0
.LBB158_1050:
	s_delay_alu instid0(SALU_CYCLE_1)
	s_and_not1_b32 vcc_lo, exec_lo, s13
	s_cbranch_vccnz .LBB158_1066
; %bb.1051:
	s_sext_i32_i16 s14, s18
	s_mov_b32 s13, -1
	s_cmp_lt_i32 s14, 2
	s_cbranch_scc1 .LBB158_1061
; %bb.1052:
	s_cmp_lt_i32 s14, 3
	s_cbranch_scc1 .LBB158_1058
; %bb.1053:
	s_cmp_gt_i32 s14, 3
	s_cbranch_scc0 .LBB158_1055
; %bb.1054:
	s_mov_b32 s13, 0
	s_wait_loadcnt 0x0
	v_cndmask_b32_e64 v2, 0, 1, s17
	v_mov_b32_e32 v3, s13
	global_store_b64 v[0:1], v[2:3], off
.LBB158_1055:
	s_and_not1_b32 vcc_lo, exec_lo, s13
	s_cbranch_vccnz .LBB158_1057
; %bb.1056:
	s_wait_loadcnt 0x0
	v_cndmask_b32_e64 v2, 0, 1, s17
	global_store_b32 v[0:1], v2, off
.LBB158_1057:
	s_mov_b32 s13, 0
.LBB158_1058:
	s_delay_alu instid0(SALU_CYCLE_1)
	s_and_not1_b32 vcc_lo, exec_lo, s13
	s_cbranch_vccnz .LBB158_1060
; %bb.1059:
	s_wait_loadcnt 0x0
	v_cndmask_b32_e64 v2, 0, 1, s17
	global_store_b16 v[0:1], v2, off
.LBB158_1060:
	s_mov_b32 s13, 0
.LBB158_1061:
	s_delay_alu instid0(SALU_CYCLE_1)
	s_and_not1_b32 vcc_lo, exec_lo, s13
	s_cbranch_vccnz .LBB158_1066
; %bb.1062:
	s_wait_loadcnt 0x0
	v_cndmask_b32_e64 v2, 0, 1, s17
	s_sext_i32_i16 s13, s18
	s_delay_alu instid0(SALU_CYCLE_1)
	s_cmp_gt_i32 s13, 0
	s_mov_b32 s13, -1
	s_cbranch_scc0 .LBB158_1064
; %bb.1063:
	s_mov_b32 s13, 0
	global_store_b8 v[0:1], v2, off
.LBB158_1064:
	s_and_not1_b32 vcc_lo, exec_lo, s13
	s_cbranch_vccnz .LBB158_1066
; %bb.1065:
	global_store_b8 v[0:1], v2, off
.LBB158_1066:
	s_wait_xcnt 0x0
	s_or_b32 exec_lo, exec_lo, s0
	s_delay_alu instid0(SALU_CYCLE_1)
	s_and_b32 s13, s15, exec_lo
                                        ; implicit-def: $vgpr4
.LBB158_1067:
	s_or_saveexec_b32 s12, s12
	s_mov_b32 s0, 0
                                        ; implicit-def: $sgpr15
                                        ; implicit-def: $sgpr16
                                        ; implicit-def: $vgpr0_vgpr1
	s_xor_b32 exec_lo, exec_lo, s12
	s_cbranch_execz .LBB158_1621
; %bb.1068:
	v_mul_lo_u32 v0, s9, v4
	s_and_b32 s3, 0xffff, s3
	s_delay_alu instid0(SALU_CYCLE_1) | instskip(NEXT) | instid1(VALU_DEP_1)
	s_cmp_lt_i32 s3, 11
	v_ashrrev_i32_e32 v1, 31, v0
	s_wait_loadcnt 0x0
	s_delay_alu instid0(VALU_DEP_1)
	v_add_nc_u64_e32 v[2:3], s[6:7], v[0:1]
	s_cbranch_scc1 .LBB158_1075
; %bb.1069:
	s_cmp_gt_i32 s3, 25
	s_mov_b32 s14, 0
	s_cbranch_scc0 .LBB158_1077
; %bb.1070:
	s_cmp_gt_i32 s3, 28
	s_cbranch_scc0 .LBB158_1078
; %bb.1071:
	s_cmp_gt_i32 s3, 43
	;; [unrolled: 3-line block ×3, first 2 shown]
	s_cbranch_scc0 .LBB158_1080
; %bb.1073:
	s_cmp_eq_u32 s3, 46
	s_cbranch_scc0 .LBB158_1083
; %bb.1074:
	global_load_b32 v1, v[2:3], off
	s_mov_b32 s15, -1
	s_wait_loadcnt 0x0
	v_lshlrev_b32_e32 v5, 16, v1
	v_and_b32_e32 v6, 0xffff0000, v1
	s_delay_alu instid0(VALU_DEP_2) | instskip(NEXT) | instid1(VALU_DEP_2)
	v_cvt_f16_f32_e32 v1, v5
	v_cvt_f16_f32_e32 v5, v6
	s_branch .LBB158_1085
.LBB158_1075:
	s_mov_b32 s15, 0
	s_mov_b32 s1, s13
                                        ; implicit-def: $vgpr5
                                        ; implicit-def: $vgpr1
	s_cbranch_execnz .LBB158_1151
.LBB158_1076:
	s_and_not1_b32 vcc_lo, exec_lo, s15
	s_cbranch_vccz .LBB158_1198
	s_branch .LBB158_1618
.LBB158_1077:
	s_mov_b32 s15, 0
                                        ; implicit-def: $vgpr5
                                        ; implicit-def: $vgpr1
	s_cbranch_execnz .LBB158_1115
	s_branch .LBB158_1147
.LBB158_1078:
	s_mov_b32 s15, 0
                                        ; implicit-def: $vgpr5
                                        ; implicit-def: $vgpr1
	s_cbranch_execnz .LBB158_1097
	s_branch .LBB158_1114
.LBB158_1079:
	s_mov_b32 s1, -1
	s_mov_b32 s15, 0
                                        ; implicit-def: $vgpr5
                                        ; implicit-def: $vgpr1
	s_branch .LBB158_1091
.LBB158_1080:
	s_mov_b32 s1, -1
	s_branch .LBB158_1084
.LBB158_1081:
	s_and_not1_saveexec_b32 s21, s21
	s_cbranch_execz .LBB158_980
.LBB158_1082:
	s_wait_loadcnt 0x0
	v_add_f32_e32 v2, 0x46000000, v3
	s_and_not1_b32 s20, s20, exec_lo
	s_delay_alu instid0(VALU_DEP_1) | instskip(NEXT) | instid1(VALU_DEP_1)
	v_and_b32_e32 v2, 0xff, v2
	v_cmp_ne_u32_e32 vcc_lo, 0, v2
	s_and_b32 s22, vcc_lo, exec_lo
	s_delay_alu instid0(SALU_CYCLE_1)
	s_or_b32 s20, s20, s22
	s_or_b32 exec_lo, exec_lo, s21
	v_mov_b32_e32 v4, 0
	s_and_saveexec_b32 s21, s20
	s_cbranch_execnz .LBB158_981
	s_branch .LBB158_982
.LBB158_1083:
	s_mov_b32 s0, -1
.LBB158_1084:
	s_mov_b32 s15, 0
                                        ; implicit-def: $vgpr5
                                        ; implicit-def: $vgpr1
.LBB158_1085:
	s_and_b32 vcc_lo, exec_lo, s1
	s_cbranch_vccz .LBB158_1090
; %bb.1086:
	s_cmp_eq_u32 s3, 44
	s_cbranch_scc0 .LBB158_1088
; %bb.1087:
	global_load_u8 v1, v[2:3], off
	s_mov_b32 s0, 0
	s_mov_b32 s15, -1
	s_wait_loadcnt 0x0
	v_lshlrev_b32_e32 v5, 23, v1
	v_cmp_ne_u32_e32 vcc_lo, 0xff, v1
	s_delay_alu instid0(VALU_DEP_2) | instskip(NEXT) | instid1(VALU_DEP_1)
	v_cvt_f16_f32_e32 v5, v5
	v_cndmask_b32_e32 v5, 0x7e00, v5, vcc_lo
	v_cmp_ne_u32_e32 vcc_lo, 0, v1
	s_delay_alu instid0(VALU_DEP_2)
	v_cndmask_b32_e32 v1, 0, v5, vcc_lo
	s_branch .LBB158_1089
.LBB158_1088:
	s_mov_b32 s0, -1
                                        ; implicit-def: $vgpr1
.LBB158_1089:
	v_mov_b32_e32 v5, 0
.LBB158_1090:
	s_mov_b32 s1, 0
.LBB158_1091:
	s_delay_alu instid0(SALU_CYCLE_1)
	s_and_b32 vcc_lo, exec_lo, s1
	s_cbranch_vccz .LBB158_1096
; %bb.1092:
	s_cmp_eq_u32 s3, 29
	s_cbranch_scc0 .LBB158_1094
; %bb.1093:
	global_load_b64 v[6:7], v[2:3], off
	s_mov_b32 s0, 0
	s_mov_b32 s15, -1
	s_wait_loadcnt 0x0
	v_clz_i32_u32_e32 v1, v7
	s_delay_alu instid0(VALU_DEP_1) | instskip(NEXT) | instid1(VALU_DEP_1)
	v_min_u32_e32 v1, 32, v1
	v_lshlrev_b64_e32 v[6:7], v1, v[6:7]
	v_sub_nc_u32_e32 v1, 32, v1
	s_delay_alu instid0(VALU_DEP_2) | instskip(NEXT) | instid1(VALU_DEP_1)
	v_min_u32_e32 v5, 1, v6
	v_or_b32_e32 v5, v7, v5
	s_delay_alu instid0(VALU_DEP_1) | instskip(NEXT) | instid1(VALU_DEP_1)
	v_cvt_f32_u32_e32 v5, v5
	v_ldexp_f32 v1, v5, v1
	s_delay_alu instid0(VALU_DEP_1)
	v_cvt_f16_f32_e32 v1, v1
	s_branch .LBB158_1095
.LBB158_1094:
	s_mov_b32 s0, -1
                                        ; implicit-def: $vgpr1
.LBB158_1095:
	v_mov_b32_e32 v5, 0
.LBB158_1096:
	s_branch .LBB158_1114
.LBB158_1097:
	s_cmp_lt_i32 s3, 27
	s_cbranch_scc1 .LBB158_1100
; %bb.1098:
	s_cmp_gt_i32 s3, 27
	s_cbranch_scc0 .LBB158_1101
; %bb.1099:
	global_load_b32 v1, v[2:3], off
	s_mov_b32 s1, 0
	s_wait_loadcnt 0x0
	v_cvt_f32_u32_e32 v1, v1
	s_delay_alu instid0(VALU_DEP_1)
	v_cvt_f16_f32_e32 v1, v1
	s_branch .LBB158_1102
.LBB158_1100:
	s_mov_b32 s1, -1
                                        ; implicit-def: $vgpr1
	s_branch .LBB158_1105
.LBB158_1101:
	s_mov_b32 s1, -1
                                        ; implicit-def: $vgpr1
.LBB158_1102:
	s_delay_alu instid0(SALU_CYCLE_1)
	s_and_not1_b32 vcc_lo, exec_lo, s1
	s_cbranch_vccnz .LBB158_1104
; %bb.1103:
	global_load_u16 v1, v[2:3], off
	s_wait_loadcnt 0x0
	v_cvt_f16_u16_e32 v1, v1
.LBB158_1104:
	s_mov_b32 s1, 0
.LBB158_1105:
	s_delay_alu instid0(SALU_CYCLE_1)
	s_and_not1_b32 vcc_lo, exec_lo, s1
	s_cbranch_vccnz .LBB158_1113
; %bb.1106:
	global_load_u8 v5, v[2:3], off
	s_mov_b32 s1, 0
	s_mov_b32 s15, exec_lo
	s_wait_loadcnt 0x0
	v_cmpx_lt_i16_e32 0x7f, v5
	s_xor_b32 s15, exec_lo, s15
	s_cbranch_execz .LBB158_1126
; %bb.1107:
	s_mov_b32 s1, -1
	s_mov_b32 s16, exec_lo
	v_cmpx_eq_u16_e32 0x80, v5
; %bb.1108:
	s_xor_b32 s1, exec_lo, -1
; %bb.1109:
	s_or_b32 exec_lo, exec_lo, s16
	s_delay_alu instid0(SALU_CYCLE_1)
	s_and_b32 s1, s1, exec_lo
	s_or_saveexec_b32 s15, s15
	v_mov_b32_e32 v1, 0x7e00
	s_xor_b32 exec_lo, exec_lo, s15
	s_cbranch_execnz .LBB158_1127
.LBB158_1110:
	s_or_b32 exec_lo, exec_lo, s15
	s_and_saveexec_b32 s15, s1
	s_cbranch_execz .LBB158_1112
.LBB158_1111:
	v_and_b32_e32 v1, 0xffff, v5
	s_delay_alu instid0(VALU_DEP_1) | instskip(SKIP_1) | instid1(VALU_DEP_2)
	v_and_b32_e32 v6, 7, v1
	v_bfe_u32 v9, v1, 3, 4
	v_clz_i32_u32_e32 v7, v6
	s_delay_alu instid0(VALU_DEP_2) | instskip(NEXT) | instid1(VALU_DEP_2)
	v_cmp_eq_u32_e32 vcc_lo, 0, v9
	v_min_u32_e32 v7, 32, v7
	s_delay_alu instid0(VALU_DEP_1) | instskip(NEXT) | instid1(VALU_DEP_1)
	v_subrev_nc_u32_e32 v8, 28, v7
	v_dual_lshlrev_b32 v1, v8, v1 :: v_dual_sub_nc_u32 v7, 29, v7
	s_delay_alu instid0(VALU_DEP_1) | instskip(NEXT) | instid1(VALU_DEP_2)
	v_and_b32_e32 v1, 7, v1
	v_dual_lshlrev_b32 v5, 24, v5 :: v_dual_cndmask_b32 v7, v9, v7, vcc_lo
	s_delay_alu instid0(VALU_DEP_2) | instskip(NEXT) | instid1(VALU_DEP_2)
	v_cndmask_b32_e32 v1, v6, v1, vcc_lo
	v_and_b32_e32 v5, 0x80000000, v5
	s_delay_alu instid0(VALU_DEP_3) | instskip(NEXT) | instid1(VALU_DEP_3)
	v_lshl_add_u32 v6, v7, 23, 0x3b800000
	v_lshlrev_b32_e32 v1, 20, v1
	s_delay_alu instid0(VALU_DEP_1) | instskip(NEXT) | instid1(VALU_DEP_1)
	v_or3_b32 v1, v5, v6, v1
	v_cvt_f16_f32_e32 v1, v1
.LBB158_1112:
	s_or_b32 exec_lo, exec_lo, s15
.LBB158_1113:
	v_mov_b32_e32 v5, 0
	s_mov_b32 s15, -1
.LBB158_1114:
	s_branch .LBB158_1147
.LBB158_1115:
	s_cmp_gt_i32 s3, 22
	s_cbranch_scc0 .LBB158_1125
; %bb.1116:
	s_cmp_lt_i32 s3, 24
	s_cbranch_scc1 .LBB158_1128
; %bb.1117:
	s_cmp_gt_i32 s3, 24
	s_cbranch_scc0 .LBB158_1129
; %bb.1118:
	global_load_u8 v5, v[2:3], off
	s_mov_b32 s1, 0
	s_mov_b32 s14, exec_lo
	s_wait_loadcnt 0x0
	v_cmpx_lt_i16_e32 0x7f, v5
	s_xor_b32 s14, exec_lo, s14
	s_cbranch_execz .LBB158_1140
; %bb.1119:
	s_mov_b32 s1, -1
	s_mov_b32 s15, exec_lo
	v_cmpx_eq_u16_e32 0x80, v5
; %bb.1120:
	s_xor_b32 s1, exec_lo, -1
; %bb.1121:
	s_or_b32 exec_lo, exec_lo, s15
	s_delay_alu instid0(SALU_CYCLE_1)
	s_and_b32 s1, s1, exec_lo
	s_or_saveexec_b32 s14, s14
	v_mov_b32_e32 v1, 0x7e00
	s_xor_b32 exec_lo, exec_lo, s14
	s_cbranch_execnz .LBB158_1141
.LBB158_1122:
	s_or_b32 exec_lo, exec_lo, s14
	s_and_saveexec_b32 s14, s1
	s_cbranch_execz .LBB158_1124
.LBB158_1123:
	v_and_b32_e32 v1, 0xffff, v5
	s_delay_alu instid0(VALU_DEP_1) | instskip(SKIP_1) | instid1(VALU_DEP_2)
	v_and_b32_e32 v6, 3, v1
	v_bfe_u32 v9, v1, 2, 5
	v_clz_i32_u32_e32 v7, v6
	s_delay_alu instid0(VALU_DEP_2) | instskip(NEXT) | instid1(VALU_DEP_2)
	v_cmp_eq_u32_e32 vcc_lo, 0, v9
	v_min_u32_e32 v7, 32, v7
	s_delay_alu instid0(VALU_DEP_1) | instskip(NEXT) | instid1(VALU_DEP_1)
	v_subrev_nc_u32_e32 v8, 29, v7
	v_dual_lshlrev_b32 v1, v8, v1 :: v_dual_sub_nc_u32 v7, 30, v7
	s_delay_alu instid0(VALU_DEP_1) | instskip(NEXT) | instid1(VALU_DEP_2)
	v_and_b32_e32 v1, 3, v1
	v_dual_lshlrev_b32 v5, 24, v5 :: v_dual_cndmask_b32 v7, v9, v7, vcc_lo
	s_delay_alu instid0(VALU_DEP_2) | instskip(NEXT) | instid1(VALU_DEP_2)
	v_cndmask_b32_e32 v1, v6, v1, vcc_lo
	v_and_b32_e32 v5, 0x80000000, v5
	s_delay_alu instid0(VALU_DEP_3) | instskip(NEXT) | instid1(VALU_DEP_3)
	v_lshl_add_u32 v6, v7, 23, 0x37800000
	v_lshlrev_b32_e32 v1, 21, v1
	s_delay_alu instid0(VALU_DEP_1) | instskip(NEXT) | instid1(VALU_DEP_1)
	v_or3_b32 v1, v5, v6, v1
	v_cvt_f16_f32_e32 v1, v1
.LBB158_1124:
	s_or_b32 exec_lo, exec_lo, s14
	s_mov_b32 s1, 0
	s_branch .LBB158_1130
.LBB158_1125:
                                        ; implicit-def: $vgpr1
	s_mov_b32 s14, 0
	s_branch .LBB158_1136
.LBB158_1126:
	s_or_saveexec_b32 s15, s15
	v_mov_b32_e32 v1, 0x7e00
	s_xor_b32 exec_lo, exec_lo, s15
	s_cbranch_execz .LBB158_1110
.LBB158_1127:
	v_cmp_ne_u16_e32 vcc_lo, 0, v5
	v_mov_b32_e32 v1, v5
	s_and_not1_b32 s1, s1, exec_lo
	s_and_b32 s16, vcc_lo, exec_lo
	s_delay_alu instid0(SALU_CYCLE_1)
	s_or_b32 s1, s1, s16
	s_or_b32 exec_lo, exec_lo, s15
	s_and_saveexec_b32 s15, s1
	s_cbranch_execnz .LBB158_1111
	s_branch .LBB158_1112
.LBB158_1128:
	s_mov_b32 s1, -1
                                        ; implicit-def: $vgpr1
	s_branch .LBB158_1133
.LBB158_1129:
	s_mov_b32 s1, -1
                                        ; implicit-def: $vgpr1
.LBB158_1130:
	s_delay_alu instid0(SALU_CYCLE_1)
	s_and_b32 vcc_lo, exec_lo, s1
	s_cbranch_vccz .LBB158_1132
; %bb.1131:
	global_load_u8 v1, v[2:3], off
	s_wait_loadcnt 0x0
	v_lshlrev_b32_e32 v1, 24, v1
	s_delay_alu instid0(VALU_DEP_1) | instskip(NEXT) | instid1(VALU_DEP_1)
	v_and_b32_e32 v5, 0x7f000000, v1
	v_clz_i32_u32_e32 v6, v5
	v_cmp_ne_u32_e32 vcc_lo, 0, v5
	v_add_nc_u32_e32 v8, 0x1000000, v5
	s_delay_alu instid0(VALU_DEP_3) | instskip(NEXT) | instid1(VALU_DEP_1)
	v_min_u32_e32 v6, 32, v6
	v_sub_nc_u32_e64 v6, v6, 4 clamp
	s_delay_alu instid0(VALU_DEP_1) | instskip(NEXT) | instid1(VALU_DEP_1)
	v_dual_lshlrev_b32 v7, v6, v5 :: v_dual_lshlrev_b32 v6, 23, v6
	v_lshrrev_b32_e32 v7, 4, v7
	s_delay_alu instid0(VALU_DEP_1) | instskip(NEXT) | instid1(VALU_DEP_1)
	v_dual_sub_nc_u32 v6, v7, v6 :: v_dual_ashrrev_i32 v7, 8, v8
	v_add_nc_u32_e32 v6, 0x3c000000, v6
	s_delay_alu instid0(VALU_DEP_1) | instskip(NEXT) | instid1(VALU_DEP_1)
	v_and_or_b32 v6, 0x7f800000, v7, v6
	v_cndmask_b32_e32 v5, 0, v6, vcc_lo
	s_delay_alu instid0(VALU_DEP_1) | instskip(NEXT) | instid1(VALU_DEP_1)
	v_and_or_b32 v1, 0x80000000, v1, v5
	v_cvt_f16_f32_e32 v1, v1
.LBB158_1132:
	s_mov_b32 s1, 0
.LBB158_1133:
	s_delay_alu instid0(SALU_CYCLE_1)
	s_and_not1_b32 vcc_lo, exec_lo, s1
	s_cbranch_vccnz .LBB158_1135
; %bb.1134:
	global_load_u8 v1, v[2:3], off
	s_wait_loadcnt 0x0
	v_lshlrev_b32_e32 v5, 25, v1
	v_lshlrev_b16 v1, 8, v1
	s_delay_alu instid0(VALU_DEP_1) | instskip(SKIP_1) | instid1(VALU_DEP_2)
	v_and_or_b32 v7, 0x7f00, v1, 0.5
	v_bfe_i32 v1, v1, 0, 16
	v_dual_add_f32 v7, -0.5, v7 :: v_dual_lshrrev_b32 v6, 4, v5
	v_cmp_gt_u32_e32 vcc_lo, 0x8000000, v5
	s_delay_alu instid0(VALU_DEP_2) | instskip(NEXT) | instid1(VALU_DEP_1)
	v_or_b32_e32 v6, 0x70000000, v6
	v_mul_f32_e32 v6, 0x7800000, v6
	s_delay_alu instid0(VALU_DEP_1) | instskip(NEXT) | instid1(VALU_DEP_1)
	v_cndmask_b32_e32 v5, v6, v7, vcc_lo
	v_and_or_b32 v1, 0x80000000, v1, v5
	s_delay_alu instid0(VALU_DEP_1)
	v_cvt_f16_f32_e32 v1, v1
.LBB158_1135:
	s_mov_b32 s15, -1
	s_mov_b32 s14, 0
	s_cbranch_execnz .LBB158_1146
.LBB158_1136:
	s_cmp_gt_i32 s3, 14
	s_cbranch_scc0 .LBB158_1139
; %bb.1137:
	s_cmp_eq_u32 s3, 15
	s_cbranch_scc0 .LBB158_1142
; %bb.1138:
	global_load_u16 v1, v[2:3], off
	s_mov_b32 s0, 0
	s_mov_b32 s15, -1
	s_wait_loadcnt 0x0
	v_lshlrev_b32_e32 v1, 16, v1
	s_delay_alu instid0(VALU_DEP_1)
	v_cvt_f16_f32_e32 v1, v1
	s_branch .LBB158_1143
.LBB158_1139:
	s_mov_b32 s1, -1
                                        ; implicit-def: $vgpr1
	s_branch .LBB158_1144
.LBB158_1140:
	s_or_saveexec_b32 s14, s14
	v_mov_b32_e32 v1, 0x7e00
	s_xor_b32 exec_lo, exec_lo, s14
	s_cbranch_execz .LBB158_1122
.LBB158_1141:
	v_cmp_ne_u16_e32 vcc_lo, 0, v5
	v_mov_b32_e32 v1, v5
	s_and_not1_b32 s1, s1, exec_lo
	s_and_b32 s15, vcc_lo, exec_lo
	s_delay_alu instid0(SALU_CYCLE_1)
	s_or_b32 s1, s1, s15
	s_or_b32 exec_lo, exec_lo, s14
	s_and_saveexec_b32 s14, s1
	s_cbranch_execnz .LBB158_1123
	s_branch .LBB158_1124
.LBB158_1142:
	s_mov_b32 s0, -1
                                        ; implicit-def: $vgpr1
.LBB158_1143:
	s_mov_b32 s1, 0
.LBB158_1144:
	s_delay_alu instid0(SALU_CYCLE_1)
	s_and_b32 vcc_lo, exec_lo, s1
	s_cbranch_vccz .LBB158_1146
; %bb.1145:
	s_cmp_lg_u32 s3, 11
	s_mov_b32 s14, -1
	s_cselect_b32 s0, -1, 0
.LBB158_1146:
	v_mov_b32_e32 v5, 0
.LBB158_1147:
	s_and_b32 vcc_lo, exec_lo, s0
	s_mov_b32 s1, s13
	s_cbranch_vccnz .LBB158_1214
; %bb.1148:
	s_and_not1_b32 vcc_lo, exec_lo, s14
	s_cbranch_vccnz .LBB158_1150
.LBB158_1149:
	global_load_u8 v1, v[2:3], off
	v_mov_b32_e32 v5, 0
	s_mov_b32 s15, -1
	s_wait_loadcnt 0x0
	v_cmp_ne_u16_e32 vcc_lo, 0, v1
	v_cndmask_b32_e64 v1, 0, 0x3c00, vcc_lo
.LBB158_1150:
	s_branch .LBB158_1076
.LBB158_1151:
	s_cmp_lt_i32 s3, 5
	s_cbranch_scc1 .LBB158_1156
; %bb.1152:
	s_cmp_lt_i32 s3, 8
	s_cbranch_scc1 .LBB158_1158
; %bb.1153:
	;; [unrolled: 3-line block ×3, first 2 shown]
	s_cmp_gt_i32 s3, 9
	s_cbranch_scc0 .LBB158_1160
; %bb.1155:
	global_load_b128 v[6:9], v[2:3], off
	s_mov_b32 s0, 0
	s_wait_loadcnt 0x0
	v_and_or_b32 v1, 0x1ff, v7, v6
	v_and_or_b32 v8, 0x1ff, v9, v8
	v_dual_lshrrev_b32 v5, 8, v7 :: v_dual_lshrrev_b32 v10, 8, v9
	v_bfe_u32 v6, v7, 20, 11
	s_delay_alu instid0(VALU_DEP_4) | instskip(SKIP_2) | instid1(VALU_DEP_4)
	v_cmp_ne_u32_e32 vcc_lo, 0, v1
	v_bfe_u32 v11, v9, 20, 11
	v_dual_lshrrev_b32 v7, 16, v7 :: v_dual_lshrrev_b32 v9, 16, v9
	v_sub_nc_u32_e32 v12, 0x3f1, v6
	v_cndmask_b32_e64 v1, 0, 1, vcc_lo
	v_cmp_ne_u32_e32 vcc_lo, 0, v8
	v_add_nc_u32_e32 v6, 0xfffffc10, v6
	s_delay_alu instid0(VALU_DEP_3) | instskip(SKIP_1) | instid1(VALU_DEP_1)
	v_and_or_b32 v1, 0xffe, v5, v1
	v_cndmask_b32_e64 v8, 0, 1, vcc_lo
	v_and_or_b32 v8, 0xffe, v10, v8
	v_med3_i32 v10, v12, 0, 13
	s_delay_alu instid0(VALU_DEP_4) | instskip(NEXT) | instid1(VALU_DEP_3)
	v_or_b32_e32 v12, 0x1000, v1
	v_or_b32_e32 v13, 0x1000, v8
	s_delay_alu instid0(VALU_DEP_2) | instskip(NEXT) | instid1(VALU_DEP_1)
	v_lshrrev_b32_e32 v14, v10, v12
	v_lshlrev_b32_e32 v10, v10, v14
	s_delay_alu instid0(VALU_DEP_1) | instskip(SKIP_2) | instid1(VALU_DEP_1)
	v_cmp_ne_u32_e32 vcc_lo, v10, v12
	v_lshl_or_b32 v12, v6, 12, v1
	v_cndmask_b32_e64 v10, 0, 1, vcc_lo
	v_or_b32_e32 v10, v14, v10
	v_sub_nc_u32_e32 v5, 0x3f1, v11
	v_add_nc_u32_e32 v11, 0xfffffc10, v11
	s_delay_alu instid0(VALU_DEP_2) | instskip(NEXT) | instid1(VALU_DEP_1)
	v_med3_i32 v5, v5, 0, 13
	v_lshrrev_b32_e32 v15, v5, v13
	s_delay_alu instid0(VALU_DEP_1) | instskip(NEXT) | instid1(VALU_DEP_1)
	v_lshlrev_b32_e32 v5, v5, v15
	v_cmp_ne_u32_e32 vcc_lo, v5, v13
	v_lshl_or_b32 v13, v11, 12, v8
	v_cndmask_b32_e64 v5, 0, 1, vcc_lo
	v_cmp_gt_i32_e32 vcc_lo, 1, v6
	s_delay_alu instid0(VALU_DEP_2) | instskip(SKIP_1) | instid1(VALU_DEP_2)
	v_dual_cndmask_b32 v10, v12, v10, vcc_lo :: v_dual_bitop2_b32 v5, v15, v5 bitop3:0x54
	v_cmp_gt_i32_e32 vcc_lo, 1, v11
	v_dual_lshrrev_b32 v10, 2, v10 :: v_dual_bitop2_b32 v12, 7, v10 bitop3:0x40
	s_delay_alu instid0(VALU_DEP_3) | instskip(NEXT) | instid1(VALU_DEP_2)
	v_cndmask_b32_e32 v5, v13, v5, vcc_lo
	v_cmp_lt_i32_e32 vcc_lo, 5, v12
	v_cndmask_b32_e64 v14, 0, 1, vcc_lo
	v_cmp_eq_u32_e32 vcc_lo, 3, v12
	v_cndmask_b32_e64 v12, 0, 1, vcc_lo
	s_delay_alu instid0(VALU_DEP_1) | instskip(SKIP_1) | instid1(VALU_DEP_2)
	v_or_b32_e32 v12, v12, v14
	v_dual_lshrrev_b32 v5, 2, v5 :: v_dual_bitop2_b32 v13, 7, v5 bitop3:0x40
	v_add_nc_u32_e32 v10, v10, v12
	s_delay_alu instid0(VALU_DEP_2) | instskip(SKIP_4) | instid1(VALU_DEP_2)
	v_cmp_lt_i32_e32 vcc_lo, 5, v13
	v_cndmask_b32_e64 v15, 0, 1, vcc_lo
	v_cmp_eq_u32_e32 vcc_lo, 3, v13
	v_cndmask_b32_e64 v13, 0, 1, vcc_lo
	v_cmp_ne_u32_e32 vcc_lo, 0, v1
	v_or_b32_e32 v13, v13, v15
	s_delay_alu instid0(VALU_DEP_1) | instskip(NEXT) | instid1(VALU_DEP_1)
	v_dual_mov_b32 v16, 0x7e00 :: v_dual_add_nc_u32 v5, v5, v13
	v_cndmask_b32_e32 v1, 0x7c00, v16, vcc_lo
	v_cmp_ne_u32_e32 vcc_lo, 0, v8
	v_cndmask_b32_e32 v8, 0x7c00, v16, vcc_lo
	v_cmp_gt_i32_e32 vcc_lo, 31, v6
	v_cndmask_b32_e32 v10, 0x7c00, v10, vcc_lo
	v_cmp_gt_i32_e32 vcc_lo, 31, v11
	v_cndmask_b32_e32 v5, 0x7c00, v5, vcc_lo
	v_cmp_eq_u32_e32 vcc_lo, 0x40f, v6
	s_delay_alu instid0(VALU_DEP_4) | instskip(SKIP_1) | instid1(VALU_DEP_2)
	v_cndmask_b32_e32 v1, v10, v1, vcc_lo
	v_cmp_eq_u32_e32 vcc_lo, 0x40f, v11
	v_and_or_b32 v1, 0x8000, v7, v1
	v_cndmask_b32_e32 v5, v5, v8, vcc_lo
	s_delay_alu instid0(VALU_DEP_1)
	v_and_or_b32 v5, 0x8000, v9, v5
	s_branch .LBB158_1161
.LBB158_1156:
                                        ; implicit-def: $vgpr5
                                        ; implicit-def: $vgpr1
	s_branch .LBB158_1179
.LBB158_1157:
	s_branch .LBB158_1198
.LBB158_1158:
                                        ; implicit-def: $vgpr5
                                        ; implicit-def: $vgpr1
	s_branch .LBB158_1167
.LBB158_1159:
	s_mov_b32 s0, -1
                                        ; implicit-def: $vgpr5
                                        ; implicit-def: $vgpr1
	s_branch .LBB158_1164
.LBB158_1160:
	s_mov_b32 s0, -1
                                        ; implicit-def: $vgpr5
                                        ; implicit-def: $vgpr1
.LBB158_1161:
	s_delay_alu instid0(SALU_CYCLE_1)
	s_and_not1_b32 vcc_lo, exec_lo, s0
	s_cbranch_vccnz .LBB158_1163
; %bb.1162:
	global_load_b64 v[6:7], v[2:3], off
	s_wait_loadcnt 0x0
	v_cvt_f16_f32_e32 v1, v6
	v_cvt_f16_f32_e32 v5, v7
.LBB158_1163:
	s_mov_b32 s0, 0
.LBB158_1164:
	s_delay_alu instid0(SALU_CYCLE_1)
	s_and_not1_b32 vcc_lo, exec_lo, s0
	s_cbranch_vccnz .LBB158_1166
; %bb.1165:
	global_load_b32 v1, v[2:3], off
	s_wait_loadcnt 0x0
	v_lshrrev_b32_e32 v5, 16, v1
.LBB158_1166:
	s_cbranch_execnz .LBB158_1178
.LBB158_1167:
	s_cmp_lt_i32 s3, 6
	s_cbranch_scc1 .LBB158_1170
; %bb.1168:
	s_cmp_gt_i32 s3, 6
	s_cbranch_scc0 .LBB158_1171
; %bb.1169:
	global_load_b64 v[6:7], v[2:3], off
	s_mov_b32 s0, 0
	s_wait_loadcnt 0x0
	v_and_or_b32 v1, 0x1ff, v7, v6
	v_lshrrev_b32_e32 v5, 8, v7
	v_bfe_u32 v6, v7, 20, 11
	s_delay_alu instid0(VALU_DEP_3) | instskip(NEXT) | instid1(VALU_DEP_2)
	v_cmp_ne_u32_e32 vcc_lo, 0, v1
	v_sub_nc_u32_e32 v8, 0x3f1, v6
	v_add_nc_u32_e32 v6, 0xfffffc10, v6
	v_cndmask_b32_e64 v1, 0, 1, vcc_lo
	s_delay_alu instid0(VALU_DEP_1) | instskip(NEXT) | instid1(VALU_DEP_4)
	v_and_or_b32 v1, 0xffe, v5, v1
	v_med3_i32 v5, v8, 0, 13
	s_delay_alu instid0(VALU_DEP_2) | instskip(NEXT) | instid1(VALU_DEP_1)
	v_or_b32_e32 v8, 0x1000, v1
	v_lshrrev_b32_e32 v9, v5, v8
	s_delay_alu instid0(VALU_DEP_1) | instskip(NEXT) | instid1(VALU_DEP_1)
	v_lshlrev_b32_e32 v5, v5, v9
	v_cmp_ne_u32_e32 vcc_lo, v5, v8
	v_lshl_or_b32 v8, v6, 12, v1
	v_cndmask_b32_e64 v5, 0, 1, vcc_lo
	v_cmp_gt_i32_e32 vcc_lo, 1, v6
	s_delay_alu instid0(VALU_DEP_2) | instskip(NEXT) | instid1(VALU_DEP_1)
	v_or_b32_e32 v5, v9, v5
	v_cndmask_b32_e32 v5, v8, v5, vcc_lo
	s_delay_alu instid0(VALU_DEP_1) | instskip(NEXT) | instid1(VALU_DEP_1)
	v_dual_lshrrev_b32 v5, 2, v5 :: v_dual_bitop2_b32 v8, 7, v5 bitop3:0x40
	v_cmp_lt_i32_e32 vcc_lo, 5, v8
	v_cndmask_b32_e64 v9, 0, 1, vcc_lo
	v_cmp_eq_u32_e32 vcc_lo, 3, v8
	v_cndmask_b32_e64 v8, 0, 1, vcc_lo
	v_cmp_ne_u32_e32 vcc_lo, 0, v1
	s_delay_alu instid0(VALU_DEP_2) | instskip(SKIP_1) | instid1(VALU_DEP_2)
	v_or_b32_e32 v8, v8, v9
	v_mov_b32_e32 v9, 0x7e00
	v_add_nc_u32_e32 v5, v5, v8
	s_delay_alu instid0(VALU_DEP_2) | instskip(SKIP_1) | instid1(VALU_DEP_3)
	v_cndmask_b32_e32 v1, 0x7c00, v9, vcc_lo
	v_cmp_gt_i32_e32 vcc_lo, 31, v6
	v_cndmask_b32_e32 v5, 0x7c00, v5, vcc_lo
	v_cmp_eq_u32_e32 vcc_lo, 0x40f, v6
	s_delay_alu instid0(VALU_DEP_2) | instskip(NEXT) | instid1(VALU_DEP_1)
	v_dual_cndmask_b32 v1, v5, v1, vcc_lo :: v_dual_lshrrev_b32 v5, 16, v7
	v_and_or_b32 v1, 0x8000, v5, v1
	s_branch .LBB158_1172
.LBB158_1170:
	s_mov_b32 s0, -1
                                        ; implicit-def: $vgpr1
	s_branch .LBB158_1175
.LBB158_1171:
	s_mov_b32 s0, -1
                                        ; implicit-def: $vgpr1
.LBB158_1172:
	s_delay_alu instid0(SALU_CYCLE_1)
	s_and_not1_b32 vcc_lo, exec_lo, s0
	s_cbranch_vccnz .LBB158_1174
; %bb.1173:
	global_load_b32 v1, v[2:3], off
	s_wait_loadcnt 0x0
	v_cvt_f16_f32_e32 v1, v1
.LBB158_1174:
	s_mov_b32 s0, 0
.LBB158_1175:
	s_delay_alu instid0(SALU_CYCLE_1)
	s_and_not1_b32 vcc_lo, exec_lo, s0
	s_cbranch_vccnz .LBB158_1177
; %bb.1176:
	global_load_u16 v1, v[2:3], off
.LBB158_1177:
	v_mov_b32_e32 v5, 0
.LBB158_1178:
	s_cbranch_execnz .LBB158_1157
.LBB158_1179:
	s_cmp_lt_i32 s3, 2
	s_cbranch_scc1 .LBB158_1183
; %bb.1180:
	s_cmp_lt_i32 s3, 3
	s_cbranch_scc1 .LBB158_1184
; %bb.1181:
	s_cmp_gt_i32 s3, 3
	s_cbranch_scc0 .LBB158_1185
; %bb.1182:
	global_load_b64 v[6:7], v[2:3], off
	s_mov_b32 s0, 0
	s_wait_loadcnt 0x0
	v_xor_b32_e32 v1, v6, v7
	v_cls_i32_e32 v5, v7
	s_delay_alu instid0(VALU_DEP_2) | instskip(NEXT) | instid1(VALU_DEP_1)
	v_ashrrev_i32_e32 v1, 31, v1
	v_add_nc_u32_e32 v1, 32, v1
	s_delay_alu instid0(VALU_DEP_1) | instskip(NEXT) | instid1(VALU_DEP_1)
	v_add_min_u32_e64 v1, v5, -1, v1
	v_lshlrev_b64_e32 v[6:7], v1, v[6:7]
	v_sub_nc_u32_e32 v1, 32, v1
	s_delay_alu instid0(VALU_DEP_2) | instskip(NEXT) | instid1(VALU_DEP_1)
	v_min_u32_e32 v5, 1, v6
	v_or_b32_e32 v5, v7, v5
	s_delay_alu instid0(VALU_DEP_1) | instskip(NEXT) | instid1(VALU_DEP_1)
	v_cvt_f32_i32_e32 v5, v5
	v_ldexp_f32 v1, v5, v1
	s_delay_alu instid0(VALU_DEP_1)
	v_cvt_f16_f32_e32 v1, v1
	s_branch .LBB158_1186
.LBB158_1183:
                                        ; implicit-def: $vgpr1
	s_branch .LBB158_1192
.LBB158_1184:
	s_mov_b32 s0, -1
                                        ; implicit-def: $vgpr1
	s_branch .LBB158_1189
.LBB158_1185:
	s_mov_b32 s0, -1
                                        ; implicit-def: $vgpr1
.LBB158_1186:
	s_delay_alu instid0(SALU_CYCLE_1)
	s_and_not1_b32 vcc_lo, exec_lo, s0
	s_cbranch_vccnz .LBB158_1188
; %bb.1187:
	s_wait_loadcnt 0x0
	global_load_b32 v1, v[2:3], off
	s_wait_loadcnt 0x0
	v_cvt_f32_i32_e32 v1, v1
	s_delay_alu instid0(VALU_DEP_1)
	v_cvt_f16_f32_e32 v1, v1
.LBB158_1188:
	s_mov_b32 s0, 0
.LBB158_1189:
	s_delay_alu instid0(SALU_CYCLE_1)
	s_and_not1_b32 vcc_lo, exec_lo, s0
	s_cbranch_vccnz .LBB158_1191
; %bb.1190:
	s_wait_loadcnt 0x0
	global_load_u16 v1, v[2:3], off
	s_wait_loadcnt 0x0
	v_cvt_f16_i16_e32 v1, v1
.LBB158_1191:
	s_cbranch_execnz .LBB158_1197
.LBB158_1192:
	s_cmp_gt_i32 s3, 0
	s_mov_b32 s0, 0
	s_cbranch_scc0 .LBB158_1194
; %bb.1193:
	s_wait_loadcnt 0x0
	global_load_i8 v1, v[2:3], off
	s_wait_loadcnt 0x0
	v_cvt_f16_i16_e32 v1, v1
	s_branch .LBB158_1195
.LBB158_1194:
	s_mov_b32 s0, -1
                                        ; implicit-def: $vgpr1
.LBB158_1195:
	s_delay_alu instid0(SALU_CYCLE_1)
	s_and_not1_b32 vcc_lo, exec_lo, s0
	s_cbranch_vccnz .LBB158_1197
; %bb.1196:
	s_wait_loadcnt 0x0
	global_load_u8 v1, v[2:3], off
	s_wait_loadcnt 0x0
	v_cvt_f16_u16_e32 v1, v1
.LBB158_1197:
	v_mov_b32_e32 v5, 0
.LBB158_1198:
	s_lshr_b32 s16, s11, 16
	s_cmp_lg_u32 s10, 0
	s_mov_b32 s14, 0
	s_cselect_b32 s15, -1, 0
	s_delay_alu instid0(SALU_CYCLE_1)
	s_and_b32 vcc_lo, exec_lo, s15
	s_cbranch_vccz .LBB158_1210
; %bb.1199:
	s_wait_loadcnt 0x0
	v_cmp_neq_f16_e32 vcc_lo, s11, v1
	v_cmp_neq_f16_e64 s0, s16, v5
	s_or_b32 s10, vcc_lo, s0
	s_and_not1_b32 vcc_lo, exec_lo, s14
	s_cbranch_vccnz .LBB158_1201
.LBB158_1200:
	s_wait_loadcnt 0x0
	v_cmp_eq_f16_e32 vcc_lo, s11, v1
	v_cmp_eq_f16_e64 s0, s16, v5
	s_and_not1_b32 s10, s10, exec_lo
	s_and_b32 s0, vcc_lo, s0
	s_delay_alu instid0(SALU_CYCLE_1) | instskip(NEXT) | instid1(SALU_CYCLE_1)
	s_and_b32 s0, s0, exec_lo
	s_or_b32 s10, s10, s0
.LBB158_1201:
	s_lshl_b32 s17, s9, 7
	s_cmp_lt_i32 s3, 11
	v_add_nc_u32_e32 v0, s17, v0
	s_wait_loadcnt 0x0
	s_delay_alu instid0(VALU_DEP_1) | instskip(SKIP_1) | instid1(VALU_DEP_1)
	v_ashrrev_i32_e32 v1, 31, v0
	s_wait_xcnt 0x0
	v_add_nc_u64_e32 v[2:3], s[6:7], v[0:1]
	s_cbranch_scc1 .LBB158_1208
; %bb.1202:
	s_cmp_gt_i32 s3, 25
	s_mov_b32 s9, 0
	s_cbranch_scc0 .LBB158_1211
; %bb.1203:
	s_cmp_gt_i32 s3, 28
	s_cbranch_scc0 .LBB158_1212
; %bb.1204:
	s_cmp_gt_i32 s3, 43
	;; [unrolled: 3-line block ×3, first 2 shown]
	s_cbranch_scc0 .LBB158_1215
; %bb.1206:
	s_cmp_eq_u32 s3, 46
	s_mov_b32 s18, 0
	s_cbranch_scc0 .LBB158_1218
; %bb.1207:
	global_load_b32 v1, v[2:3], off
	s_mov_b32 s0, 0
	s_mov_b32 s14, -1
	s_wait_loadcnt 0x0
	v_lshlrev_b32_e32 v5, 16, v1
	v_and_b32_e32 v6, 0xffff0000, v1
	s_delay_alu instid0(VALU_DEP_2) | instskip(NEXT) | instid1(VALU_DEP_2)
	v_cvt_f16_f32_e32 v1, v5
	v_cvt_f16_f32_e32 v5, v6
	s_branch .LBB158_1220
.LBB158_1208:
	s_mov_b32 s14, 0
                                        ; implicit-def: $vgpr5
                                        ; implicit-def: $vgpr1
	s_cbranch_execnz .LBB158_1288
.LBB158_1209:
	s_and_not1_b32 vcc_lo, exec_lo, s14
	s_cbranch_vccnz .LBB158_1618
	s_branch .LBB158_1337
.LBB158_1210:
                                        ; implicit-def: $sgpr10
	s_branch .LBB158_1200
.LBB158_1211:
	s_mov_b32 s14, 0
	s_mov_b32 s0, 0
                                        ; implicit-def: $vgpr5
                                        ; implicit-def: $vgpr1
	s_cbranch_execnz .LBB158_1251
	s_branch .LBB158_1284
.LBB158_1212:
	s_mov_b32 s18, -1
	s_mov_b32 s14, 0
	s_mov_b32 s0, 0
                                        ; implicit-def: $vgpr5
                                        ; implicit-def: $vgpr1
	s_branch .LBB158_1232
.LBB158_1213:
	s_mov_b32 s18, -1
	s_mov_b32 s14, 0
	s_mov_b32 s0, 0
                                        ; implicit-def: $vgpr5
                                        ; implicit-def: $vgpr1
	s_branch .LBB158_1226
.LBB158_1214:
	s_or_b32 s1, s13, exec_lo
	s_trap 2
	s_cbranch_execz .LBB158_1149
	s_branch .LBB158_1150
.LBB158_1215:
	s_mov_b32 s18, -1
	s_mov_b32 s14, 0
	s_mov_b32 s0, 0
	s_branch .LBB158_1219
.LBB158_1216:
	s_and_not1_saveexec_b32 s22, s22
	s_cbranch_execz .LBB158_992
.LBB158_1217:
	s_wait_loadcnt 0x0
	v_add_f32_e32 v2, 0x42800000, v3
	s_and_not1_b32 s21, s21, exec_lo
	s_delay_alu instid0(VALU_DEP_1) | instskip(NEXT) | instid1(VALU_DEP_1)
	v_and_b32_e32 v2, 0xff, v2
	v_cmp_ne_u32_e32 vcc_lo, 0, v2
	s_and_b32 s23, vcc_lo, exec_lo
	s_delay_alu instid0(SALU_CYCLE_1)
	s_or_b32 s21, s21, s23
	s_or_b32 exec_lo, exec_lo, s22
	v_mov_b32_e32 v4, 0
	s_and_saveexec_b32 s22, s21
	s_cbranch_execnz .LBB158_993
	s_branch .LBB158_994
.LBB158_1218:
	s_mov_b32 s0, -1
	s_mov_b32 s14, 0
.LBB158_1219:
                                        ; implicit-def: $vgpr5
                                        ; implicit-def: $vgpr1
.LBB158_1220:
	s_and_b32 vcc_lo, exec_lo, s18
	s_cbranch_vccz .LBB158_1225
; %bb.1221:
	s_cmp_eq_u32 s3, 44
	s_cbranch_scc0 .LBB158_1223
; %bb.1222:
	global_load_u8 v1, v[2:3], off
	s_mov_b32 s0, 0
	s_mov_b32 s14, -1
	s_wait_loadcnt 0x0
	v_lshlrev_b32_e32 v5, 23, v1
	v_cmp_ne_u32_e32 vcc_lo, 0xff, v1
	s_delay_alu instid0(VALU_DEP_2) | instskip(NEXT) | instid1(VALU_DEP_1)
	v_cvt_f16_f32_e32 v5, v5
	v_cndmask_b32_e32 v5, 0x7e00, v5, vcc_lo
	v_cmp_ne_u32_e32 vcc_lo, 0, v1
	s_delay_alu instid0(VALU_DEP_2)
	v_cndmask_b32_e32 v1, 0, v5, vcc_lo
	s_branch .LBB158_1224
.LBB158_1223:
	s_mov_b32 s0, -1
                                        ; implicit-def: $vgpr1
.LBB158_1224:
	v_mov_b32_e32 v5, 0
.LBB158_1225:
	s_mov_b32 s18, 0
.LBB158_1226:
	s_delay_alu instid0(SALU_CYCLE_1)
	s_and_b32 vcc_lo, exec_lo, s18
	s_cbranch_vccz .LBB158_1231
; %bb.1227:
	s_cmp_eq_u32 s3, 29
	s_cbranch_scc0 .LBB158_1229
; %bb.1228:
	global_load_b64 v[6:7], v[2:3], off
	s_mov_b32 s0, 0
	s_mov_b32 s14, -1
	s_wait_loadcnt 0x0
	v_clz_i32_u32_e32 v1, v7
	s_delay_alu instid0(VALU_DEP_1) | instskip(NEXT) | instid1(VALU_DEP_1)
	v_min_u32_e32 v1, 32, v1
	v_lshlrev_b64_e32 v[6:7], v1, v[6:7]
	v_sub_nc_u32_e32 v1, 32, v1
	s_delay_alu instid0(VALU_DEP_2) | instskip(NEXT) | instid1(VALU_DEP_1)
	v_min_u32_e32 v5, 1, v6
	v_or_b32_e32 v5, v7, v5
	s_delay_alu instid0(VALU_DEP_1) | instskip(NEXT) | instid1(VALU_DEP_1)
	v_cvt_f32_u32_e32 v5, v5
	v_ldexp_f32 v1, v5, v1
	s_delay_alu instid0(VALU_DEP_1)
	v_cvt_f16_f32_e32 v1, v1
	s_branch .LBB158_1230
.LBB158_1229:
	s_mov_b32 s0, -1
                                        ; implicit-def: $vgpr1
.LBB158_1230:
	v_mov_b32_e32 v5, 0
.LBB158_1231:
	s_mov_b32 s18, 0
.LBB158_1232:
	s_delay_alu instid0(SALU_CYCLE_1)
	s_and_b32 vcc_lo, exec_lo, s18
	s_cbranch_vccz .LBB158_1250
; %bb.1233:
	s_cmp_lt_i32 s3, 27
	s_cbranch_scc1 .LBB158_1236
; %bb.1234:
	s_cmp_gt_i32 s3, 27
	s_cbranch_scc0 .LBB158_1237
; %bb.1235:
	global_load_b32 v1, v[2:3], off
	s_mov_b32 s14, 0
	s_wait_loadcnt 0x0
	v_cvt_f32_u32_e32 v1, v1
	s_delay_alu instid0(VALU_DEP_1)
	v_cvt_f16_f32_e32 v1, v1
	s_branch .LBB158_1238
.LBB158_1236:
	s_mov_b32 s14, -1
                                        ; implicit-def: $vgpr1
	s_branch .LBB158_1241
.LBB158_1237:
	s_mov_b32 s14, -1
                                        ; implicit-def: $vgpr1
.LBB158_1238:
	s_delay_alu instid0(SALU_CYCLE_1)
	s_and_not1_b32 vcc_lo, exec_lo, s14
	s_cbranch_vccnz .LBB158_1240
; %bb.1239:
	global_load_u16 v1, v[2:3], off
	s_wait_loadcnt 0x0
	v_cvt_f16_u16_e32 v1, v1
.LBB158_1240:
	s_mov_b32 s14, 0
.LBB158_1241:
	s_delay_alu instid0(SALU_CYCLE_1)
	s_and_not1_b32 vcc_lo, exec_lo, s14
	s_cbranch_vccnz .LBB158_1249
; %bb.1242:
	global_load_u8 v5, v[2:3], off
	s_mov_b32 s14, 0
	s_mov_b32 s18, exec_lo
	s_wait_loadcnt 0x0
	v_cmpx_lt_i16_e32 0x7f, v5
	s_xor_b32 s18, exec_lo, s18
	s_cbranch_execz .LBB158_1262
; %bb.1243:
	s_mov_b32 s14, -1
	s_mov_b32 s19, exec_lo
	v_cmpx_eq_u16_e32 0x80, v5
; %bb.1244:
	s_xor_b32 s14, exec_lo, -1
; %bb.1245:
	s_or_b32 exec_lo, exec_lo, s19
	s_delay_alu instid0(SALU_CYCLE_1)
	s_and_b32 s14, s14, exec_lo
	s_or_saveexec_b32 s18, s18
	v_mov_b32_e32 v1, 0x7e00
	s_xor_b32 exec_lo, exec_lo, s18
	s_cbranch_execnz .LBB158_1263
.LBB158_1246:
	s_or_b32 exec_lo, exec_lo, s18
	s_and_saveexec_b32 s18, s14
	s_cbranch_execz .LBB158_1248
.LBB158_1247:
	v_and_b32_e32 v1, 0xffff, v5
	s_delay_alu instid0(VALU_DEP_1) | instskip(SKIP_1) | instid1(VALU_DEP_2)
	v_and_b32_e32 v6, 7, v1
	v_bfe_u32 v9, v1, 3, 4
	v_clz_i32_u32_e32 v7, v6
	s_delay_alu instid0(VALU_DEP_2) | instskip(NEXT) | instid1(VALU_DEP_2)
	v_cmp_eq_u32_e32 vcc_lo, 0, v9
	v_min_u32_e32 v7, 32, v7
	s_delay_alu instid0(VALU_DEP_1) | instskip(NEXT) | instid1(VALU_DEP_1)
	v_subrev_nc_u32_e32 v8, 28, v7
	v_dual_lshlrev_b32 v1, v8, v1 :: v_dual_sub_nc_u32 v7, 29, v7
	s_delay_alu instid0(VALU_DEP_1) | instskip(NEXT) | instid1(VALU_DEP_2)
	v_and_b32_e32 v1, 7, v1
	v_dual_lshlrev_b32 v5, 24, v5 :: v_dual_cndmask_b32 v7, v9, v7, vcc_lo
	s_delay_alu instid0(VALU_DEP_2) | instskip(NEXT) | instid1(VALU_DEP_2)
	v_cndmask_b32_e32 v1, v6, v1, vcc_lo
	v_and_b32_e32 v5, 0x80000000, v5
	s_delay_alu instid0(VALU_DEP_3) | instskip(NEXT) | instid1(VALU_DEP_3)
	v_lshl_add_u32 v6, v7, 23, 0x3b800000
	v_lshlrev_b32_e32 v1, 20, v1
	s_delay_alu instid0(VALU_DEP_1) | instskip(NEXT) | instid1(VALU_DEP_1)
	v_or3_b32 v1, v5, v6, v1
	v_cvt_f16_f32_e32 v1, v1
.LBB158_1248:
	s_or_b32 exec_lo, exec_lo, s18
.LBB158_1249:
	v_mov_b32_e32 v5, 0
	s_mov_b32 s14, -1
.LBB158_1250:
	s_branch .LBB158_1284
.LBB158_1251:
	s_cmp_gt_i32 s3, 22
	s_cbranch_scc0 .LBB158_1261
; %bb.1252:
	s_cmp_lt_i32 s3, 24
	s_cbranch_scc1 .LBB158_1264
; %bb.1253:
	s_cmp_gt_i32 s3, 24
	s_cbranch_scc0 .LBB158_1265
; %bb.1254:
	global_load_u8 v5, v[2:3], off
	s_mov_b32 s14, exec_lo
	s_wait_loadcnt 0x0
	v_cmpx_lt_i16_e32 0x7f, v5
	s_xor_b32 s14, exec_lo, s14
	s_cbranch_execz .LBB158_1277
; %bb.1255:
	s_mov_b32 s9, -1
	s_mov_b32 s18, exec_lo
	v_cmpx_eq_u16_e32 0x80, v5
; %bb.1256:
	s_xor_b32 s9, exec_lo, -1
; %bb.1257:
	s_or_b32 exec_lo, exec_lo, s18
	s_delay_alu instid0(SALU_CYCLE_1)
	s_and_b32 s9, s9, exec_lo
	s_or_saveexec_b32 s14, s14
	v_mov_b32_e32 v1, 0x7e00
	s_xor_b32 exec_lo, exec_lo, s14
	s_cbranch_execnz .LBB158_1278
.LBB158_1258:
	s_or_b32 exec_lo, exec_lo, s14
	s_and_saveexec_b32 s14, s9
	s_cbranch_execz .LBB158_1260
.LBB158_1259:
	v_and_b32_e32 v1, 0xffff, v5
	s_delay_alu instid0(VALU_DEP_1) | instskip(SKIP_1) | instid1(VALU_DEP_2)
	v_and_b32_e32 v6, 3, v1
	v_bfe_u32 v9, v1, 2, 5
	v_clz_i32_u32_e32 v7, v6
	s_delay_alu instid0(VALU_DEP_2) | instskip(NEXT) | instid1(VALU_DEP_2)
	v_cmp_eq_u32_e32 vcc_lo, 0, v9
	v_min_u32_e32 v7, 32, v7
	s_delay_alu instid0(VALU_DEP_1) | instskip(NEXT) | instid1(VALU_DEP_1)
	v_subrev_nc_u32_e32 v8, 29, v7
	v_dual_lshlrev_b32 v1, v8, v1 :: v_dual_sub_nc_u32 v7, 30, v7
	s_delay_alu instid0(VALU_DEP_1) | instskip(NEXT) | instid1(VALU_DEP_2)
	v_and_b32_e32 v1, 3, v1
	v_dual_lshlrev_b32 v5, 24, v5 :: v_dual_cndmask_b32 v7, v9, v7, vcc_lo
	s_delay_alu instid0(VALU_DEP_2) | instskip(NEXT) | instid1(VALU_DEP_2)
	v_cndmask_b32_e32 v1, v6, v1, vcc_lo
	v_and_b32_e32 v5, 0x80000000, v5
	s_delay_alu instid0(VALU_DEP_3) | instskip(NEXT) | instid1(VALU_DEP_3)
	v_lshl_add_u32 v6, v7, 23, 0x37800000
	v_lshlrev_b32_e32 v1, 21, v1
	s_delay_alu instid0(VALU_DEP_1) | instskip(NEXT) | instid1(VALU_DEP_1)
	v_or3_b32 v1, v5, v6, v1
	v_cvt_f16_f32_e32 v1, v1
.LBB158_1260:
	s_or_b32 exec_lo, exec_lo, s14
	s_mov_b32 s9, 0
	s_branch .LBB158_1266
.LBB158_1261:
	s_mov_b32 s9, -1
                                        ; implicit-def: $vgpr1
	s_branch .LBB158_1272
.LBB158_1262:
	s_or_saveexec_b32 s18, s18
	v_mov_b32_e32 v1, 0x7e00
	s_xor_b32 exec_lo, exec_lo, s18
	s_cbranch_execz .LBB158_1246
.LBB158_1263:
	v_cmp_ne_u16_e32 vcc_lo, 0, v5
	v_mov_b32_e32 v1, v5
	s_and_not1_b32 s14, s14, exec_lo
	s_and_b32 s19, vcc_lo, exec_lo
	s_delay_alu instid0(SALU_CYCLE_1)
	s_or_b32 s14, s14, s19
	s_or_b32 exec_lo, exec_lo, s18
	s_and_saveexec_b32 s18, s14
	s_cbranch_execnz .LBB158_1247
	s_branch .LBB158_1248
.LBB158_1264:
	s_mov_b32 s9, -1
                                        ; implicit-def: $vgpr1
	s_branch .LBB158_1269
.LBB158_1265:
	s_mov_b32 s9, -1
                                        ; implicit-def: $vgpr1
.LBB158_1266:
	s_delay_alu instid0(SALU_CYCLE_1)
	s_and_b32 vcc_lo, exec_lo, s9
	s_cbranch_vccz .LBB158_1268
; %bb.1267:
	global_load_u8 v1, v[2:3], off
	s_wait_loadcnt 0x0
	v_lshlrev_b32_e32 v1, 24, v1
	s_delay_alu instid0(VALU_DEP_1) | instskip(NEXT) | instid1(VALU_DEP_1)
	v_and_b32_e32 v5, 0x7f000000, v1
	v_clz_i32_u32_e32 v6, v5
	v_cmp_ne_u32_e32 vcc_lo, 0, v5
	v_add_nc_u32_e32 v8, 0x1000000, v5
	s_delay_alu instid0(VALU_DEP_3) | instskip(NEXT) | instid1(VALU_DEP_1)
	v_min_u32_e32 v6, 32, v6
	v_sub_nc_u32_e64 v6, v6, 4 clamp
	s_delay_alu instid0(VALU_DEP_1) | instskip(NEXT) | instid1(VALU_DEP_1)
	v_dual_lshlrev_b32 v7, v6, v5 :: v_dual_lshlrev_b32 v6, 23, v6
	v_lshrrev_b32_e32 v7, 4, v7
	s_delay_alu instid0(VALU_DEP_1) | instskip(NEXT) | instid1(VALU_DEP_1)
	v_dual_sub_nc_u32 v6, v7, v6 :: v_dual_ashrrev_i32 v7, 8, v8
	v_add_nc_u32_e32 v6, 0x3c000000, v6
	s_delay_alu instid0(VALU_DEP_1) | instskip(NEXT) | instid1(VALU_DEP_1)
	v_and_or_b32 v6, 0x7f800000, v7, v6
	v_cndmask_b32_e32 v5, 0, v6, vcc_lo
	s_delay_alu instid0(VALU_DEP_1) | instskip(NEXT) | instid1(VALU_DEP_1)
	v_and_or_b32 v1, 0x80000000, v1, v5
	v_cvt_f16_f32_e32 v1, v1
.LBB158_1268:
	s_mov_b32 s9, 0
.LBB158_1269:
	s_delay_alu instid0(SALU_CYCLE_1)
	s_and_not1_b32 vcc_lo, exec_lo, s9
	s_cbranch_vccnz .LBB158_1271
; %bb.1270:
	global_load_u8 v1, v[2:3], off
	s_wait_loadcnt 0x0
	v_lshlrev_b32_e32 v5, 25, v1
	v_lshlrev_b16 v1, 8, v1
	s_delay_alu instid0(VALU_DEP_1) | instskip(SKIP_1) | instid1(VALU_DEP_2)
	v_and_or_b32 v7, 0x7f00, v1, 0.5
	v_bfe_i32 v1, v1, 0, 16
	v_dual_add_f32 v7, -0.5, v7 :: v_dual_lshrrev_b32 v6, 4, v5
	v_cmp_gt_u32_e32 vcc_lo, 0x8000000, v5
	s_delay_alu instid0(VALU_DEP_2) | instskip(NEXT) | instid1(VALU_DEP_1)
	v_or_b32_e32 v6, 0x70000000, v6
	v_mul_f32_e32 v6, 0x7800000, v6
	s_delay_alu instid0(VALU_DEP_1) | instskip(NEXT) | instid1(VALU_DEP_1)
	v_cndmask_b32_e32 v5, v6, v7, vcc_lo
	v_and_or_b32 v1, 0x80000000, v1, v5
	s_delay_alu instid0(VALU_DEP_1)
	v_cvt_f16_f32_e32 v1, v1
.LBB158_1271:
	s_mov_b32 s9, 0
	s_mov_b32 s14, -1
.LBB158_1272:
	s_and_not1_b32 vcc_lo, exec_lo, s9
	s_mov_b32 s9, 0
	s_cbranch_vccnz .LBB158_1283
; %bb.1273:
	s_cmp_gt_i32 s3, 14
	s_cbranch_scc0 .LBB158_1276
; %bb.1274:
	s_cmp_eq_u32 s3, 15
	s_cbranch_scc0 .LBB158_1279
; %bb.1275:
	global_load_u16 v1, v[2:3], off
	s_mov_b32 s0, 0
	s_mov_b32 s14, -1
	s_wait_loadcnt 0x0
	v_lshlrev_b32_e32 v1, 16, v1
	s_delay_alu instid0(VALU_DEP_1)
	v_cvt_f16_f32_e32 v1, v1
	s_branch .LBB158_1281
.LBB158_1276:
	s_mov_b32 s9, -1
	s_branch .LBB158_1280
.LBB158_1277:
	s_or_saveexec_b32 s14, s14
	v_mov_b32_e32 v1, 0x7e00
	s_xor_b32 exec_lo, exec_lo, s14
	s_cbranch_execz .LBB158_1258
.LBB158_1278:
	v_cmp_ne_u16_e32 vcc_lo, 0, v5
	v_mov_b32_e32 v1, v5
	s_and_not1_b32 s9, s9, exec_lo
	s_and_b32 s18, vcc_lo, exec_lo
	s_delay_alu instid0(SALU_CYCLE_1)
	s_or_b32 s9, s9, s18
	s_or_b32 exec_lo, exec_lo, s14
	s_and_saveexec_b32 s14, s9
	s_cbranch_execnz .LBB158_1259
	s_branch .LBB158_1260
.LBB158_1279:
	s_mov_b32 s0, -1
.LBB158_1280:
                                        ; implicit-def: $vgpr1
.LBB158_1281:
	s_and_b32 vcc_lo, exec_lo, s9
	s_mov_b32 s9, 0
	s_cbranch_vccz .LBB158_1283
; %bb.1282:
	s_cmp_lg_u32 s3, 11
	s_mov_b32 s9, -1
	s_cselect_b32 s0, -1, 0
.LBB158_1283:
	v_mov_b32_e32 v5, 0
.LBB158_1284:
	s_and_b32 vcc_lo, exec_lo, s0
	s_cbranch_vccnz .LBB158_1365
; %bb.1285:
	s_and_not1_b32 vcc_lo, exec_lo, s9
	s_cbranch_vccnz .LBB158_1287
.LBB158_1286:
	global_load_u8 v1, v[2:3], off
	v_mov_b32_e32 v5, 0
	s_mov_b32 s14, -1
	s_wait_loadcnt 0x0
	v_cmp_ne_u16_e32 vcc_lo, 0, v1
	v_cndmask_b32_e64 v1, 0, 0x3c00, vcc_lo
.LBB158_1287:
	s_branch .LBB158_1209
.LBB158_1288:
	s_cmp_lt_i32 s3, 5
	s_cbranch_scc1 .LBB158_1293
; %bb.1289:
	s_cmp_lt_i32 s3, 8
	s_cbranch_scc1 .LBB158_1295
; %bb.1290:
	;; [unrolled: 3-line block ×3, first 2 shown]
	s_cmp_gt_i32 s3, 9
	s_cbranch_scc0 .LBB158_1297
; %bb.1292:
	global_load_b128 v[6:9], v[2:3], off
	s_mov_b32 s0, 0
	s_wait_loadcnt 0x0
	v_and_or_b32 v1, 0x1ff, v7, v6
	v_and_or_b32 v8, 0x1ff, v9, v8
	v_dual_lshrrev_b32 v5, 8, v7 :: v_dual_lshrrev_b32 v10, 8, v9
	v_bfe_u32 v6, v7, 20, 11
	s_delay_alu instid0(VALU_DEP_4) | instskip(SKIP_2) | instid1(VALU_DEP_4)
	v_cmp_ne_u32_e32 vcc_lo, 0, v1
	v_bfe_u32 v11, v9, 20, 11
	v_dual_lshrrev_b32 v7, 16, v7 :: v_dual_lshrrev_b32 v9, 16, v9
	v_sub_nc_u32_e32 v12, 0x3f1, v6
	v_cndmask_b32_e64 v1, 0, 1, vcc_lo
	v_cmp_ne_u32_e32 vcc_lo, 0, v8
	v_add_nc_u32_e32 v6, 0xfffffc10, v6
	s_delay_alu instid0(VALU_DEP_3) | instskip(SKIP_1) | instid1(VALU_DEP_1)
	v_and_or_b32 v1, 0xffe, v5, v1
	v_cndmask_b32_e64 v8, 0, 1, vcc_lo
	v_and_or_b32 v8, 0xffe, v10, v8
	v_med3_i32 v10, v12, 0, 13
	s_delay_alu instid0(VALU_DEP_4) | instskip(NEXT) | instid1(VALU_DEP_3)
	v_or_b32_e32 v12, 0x1000, v1
	v_or_b32_e32 v13, 0x1000, v8
	s_delay_alu instid0(VALU_DEP_2) | instskip(NEXT) | instid1(VALU_DEP_1)
	v_lshrrev_b32_e32 v14, v10, v12
	v_lshlrev_b32_e32 v10, v10, v14
	s_delay_alu instid0(VALU_DEP_1) | instskip(SKIP_2) | instid1(VALU_DEP_1)
	v_cmp_ne_u32_e32 vcc_lo, v10, v12
	v_lshl_or_b32 v12, v6, 12, v1
	v_cndmask_b32_e64 v10, 0, 1, vcc_lo
	v_or_b32_e32 v10, v14, v10
	v_sub_nc_u32_e32 v5, 0x3f1, v11
	v_add_nc_u32_e32 v11, 0xfffffc10, v11
	s_delay_alu instid0(VALU_DEP_2) | instskip(NEXT) | instid1(VALU_DEP_1)
	v_med3_i32 v5, v5, 0, 13
	v_lshrrev_b32_e32 v15, v5, v13
	s_delay_alu instid0(VALU_DEP_1) | instskip(NEXT) | instid1(VALU_DEP_1)
	v_lshlrev_b32_e32 v5, v5, v15
	v_cmp_ne_u32_e32 vcc_lo, v5, v13
	v_lshl_or_b32 v13, v11, 12, v8
	v_cndmask_b32_e64 v5, 0, 1, vcc_lo
	v_cmp_gt_i32_e32 vcc_lo, 1, v6
	s_delay_alu instid0(VALU_DEP_2) | instskip(SKIP_1) | instid1(VALU_DEP_2)
	v_dual_cndmask_b32 v10, v12, v10, vcc_lo :: v_dual_bitop2_b32 v5, v15, v5 bitop3:0x54
	v_cmp_gt_i32_e32 vcc_lo, 1, v11
	v_dual_lshrrev_b32 v10, 2, v10 :: v_dual_bitop2_b32 v12, 7, v10 bitop3:0x40
	s_delay_alu instid0(VALU_DEP_3) | instskip(NEXT) | instid1(VALU_DEP_2)
	v_cndmask_b32_e32 v5, v13, v5, vcc_lo
	v_cmp_lt_i32_e32 vcc_lo, 5, v12
	v_cndmask_b32_e64 v14, 0, 1, vcc_lo
	v_cmp_eq_u32_e32 vcc_lo, 3, v12
	v_cndmask_b32_e64 v12, 0, 1, vcc_lo
	s_delay_alu instid0(VALU_DEP_1) | instskip(SKIP_1) | instid1(VALU_DEP_2)
	v_or_b32_e32 v12, v12, v14
	v_dual_lshrrev_b32 v5, 2, v5 :: v_dual_bitop2_b32 v13, 7, v5 bitop3:0x40
	v_add_nc_u32_e32 v10, v10, v12
	s_delay_alu instid0(VALU_DEP_2) | instskip(SKIP_4) | instid1(VALU_DEP_2)
	v_cmp_lt_i32_e32 vcc_lo, 5, v13
	v_cndmask_b32_e64 v15, 0, 1, vcc_lo
	v_cmp_eq_u32_e32 vcc_lo, 3, v13
	v_cndmask_b32_e64 v13, 0, 1, vcc_lo
	v_cmp_ne_u32_e32 vcc_lo, 0, v1
	v_or_b32_e32 v13, v13, v15
	s_delay_alu instid0(VALU_DEP_1) | instskip(NEXT) | instid1(VALU_DEP_1)
	v_dual_mov_b32 v16, 0x7e00 :: v_dual_add_nc_u32 v5, v5, v13
	v_cndmask_b32_e32 v1, 0x7c00, v16, vcc_lo
	v_cmp_ne_u32_e32 vcc_lo, 0, v8
	v_cndmask_b32_e32 v8, 0x7c00, v16, vcc_lo
	v_cmp_gt_i32_e32 vcc_lo, 31, v6
	v_cndmask_b32_e32 v10, 0x7c00, v10, vcc_lo
	v_cmp_gt_i32_e32 vcc_lo, 31, v11
	v_cndmask_b32_e32 v5, 0x7c00, v5, vcc_lo
	v_cmp_eq_u32_e32 vcc_lo, 0x40f, v6
	s_delay_alu instid0(VALU_DEP_4) | instskip(SKIP_1) | instid1(VALU_DEP_2)
	v_cndmask_b32_e32 v1, v10, v1, vcc_lo
	v_cmp_eq_u32_e32 vcc_lo, 0x40f, v11
	v_and_or_b32 v1, 0x8000, v7, v1
	v_cndmask_b32_e32 v5, v5, v8, vcc_lo
	s_delay_alu instid0(VALU_DEP_1)
	v_and_or_b32 v5, 0x8000, v9, v5
	s_branch .LBB158_1298
.LBB158_1293:
                                        ; implicit-def: $vgpr5
                                        ; implicit-def: $vgpr1
	s_branch .LBB158_1317
.LBB158_1294:
	s_branch .LBB158_1337
.LBB158_1295:
	s_mov_b32 s0, -1
                                        ; implicit-def: $vgpr5
                                        ; implicit-def: $vgpr1
	s_branch .LBB158_1304
.LBB158_1296:
	s_mov_b32 s0, -1
                                        ; implicit-def: $vgpr5
                                        ; implicit-def: $vgpr1
	s_branch .LBB158_1301
.LBB158_1297:
	s_mov_b32 s0, -1
                                        ; implicit-def: $vgpr5
                                        ; implicit-def: $vgpr1
.LBB158_1298:
	s_delay_alu instid0(SALU_CYCLE_1)
	s_and_not1_b32 vcc_lo, exec_lo, s0
	s_cbranch_vccnz .LBB158_1300
; %bb.1299:
	global_load_b64 v[6:7], v[2:3], off
	s_wait_loadcnt 0x0
	v_cvt_f16_f32_e32 v1, v6
	v_cvt_f16_f32_e32 v5, v7
.LBB158_1300:
	s_mov_b32 s0, 0
.LBB158_1301:
	s_delay_alu instid0(SALU_CYCLE_1)
	s_and_not1_b32 vcc_lo, exec_lo, s0
	s_cbranch_vccnz .LBB158_1303
; %bb.1302:
	global_load_b32 v1, v[2:3], off
	s_wait_loadcnt 0x0
	v_lshrrev_b32_e32 v5, 16, v1
.LBB158_1303:
	s_mov_b32 s0, 0
.LBB158_1304:
	s_delay_alu instid0(SALU_CYCLE_1)
	s_and_not1_b32 vcc_lo, exec_lo, s0
	s_cbranch_vccnz .LBB158_1316
; %bb.1305:
	s_cmp_lt_i32 s3, 6
	s_cbranch_scc1 .LBB158_1308
; %bb.1306:
	s_cmp_gt_i32 s3, 6
	s_cbranch_scc0 .LBB158_1309
; %bb.1307:
	global_load_b64 v[6:7], v[2:3], off
	s_mov_b32 s0, 0
	s_wait_loadcnt 0x0
	v_and_or_b32 v1, 0x1ff, v7, v6
	v_lshrrev_b32_e32 v5, 8, v7
	v_bfe_u32 v6, v7, 20, 11
	s_delay_alu instid0(VALU_DEP_3) | instskip(NEXT) | instid1(VALU_DEP_2)
	v_cmp_ne_u32_e32 vcc_lo, 0, v1
	v_sub_nc_u32_e32 v8, 0x3f1, v6
	v_add_nc_u32_e32 v6, 0xfffffc10, v6
	v_cndmask_b32_e64 v1, 0, 1, vcc_lo
	s_delay_alu instid0(VALU_DEP_1) | instskip(NEXT) | instid1(VALU_DEP_4)
	v_and_or_b32 v1, 0xffe, v5, v1
	v_med3_i32 v5, v8, 0, 13
	s_delay_alu instid0(VALU_DEP_2) | instskip(NEXT) | instid1(VALU_DEP_1)
	v_or_b32_e32 v8, 0x1000, v1
	v_lshrrev_b32_e32 v9, v5, v8
	s_delay_alu instid0(VALU_DEP_1) | instskip(NEXT) | instid1(VALU_DEP_1)
	v_lshlrev_b32_e32 v5, v5, v9
	v_cmp_ne_u32_e32 vcc_lo, v5, v8
	v_lshl_or_b32 v8, v6, 12, v1
	v_cndmask_b32_e64 v5, 0, 1, vcc_lo
	v_cmp_gt_i32_e32 vcc_lo, 1, v6
	s_delay_alu instid0(VALU_DEP_2) | instskip(NEXT) | instid1(VALU_DEP_1)
	v_or_b32_e32 v5, v9, v5
	v_cndmask_b32_e32 v5, v8, v5, vcc_lo
	s_delay_alu instid0(VALU_DEP_1) | instskip(NEXT) | instid1(VALU_DEP_1)
	v_dual_lshrrev_b32 v5, 2, v5 :: v_dual_bitop2_b32 v8, 7, v5 bitop3:0x40
	v_cmp_lt_i32_e32 vcc_lo, 5, v8
	v_cndmask_b32_e64 v9, 0, 1, vcc_lo
	v_cmp_eq_u32_e32 vcc_lo, 3, v8
	v_cndmask_b32_e64 v8, 0, 1, vcc_lo
	v_cmp_ne_u32_e32 vcc_lo, 0, v1
	s_delay_alu instid0(VALU_DEP_2) | instskip(SKIP_1) | instid1(VALU_DEP_2)
	v_or_b32_e32 v8, v8, v9
	v_mov_b32_e32 v9, 0x7e00
	v_add_nc_u32_e32 v5, v5, v8
	s_delay_alu instid0(VALU_DEP_2) | instskip(SKIP_1) | instid1(VALU_DEP_3)
	v_cndmask_b32_e32 v1, 0x7c00, v9, vcc_lo
	v_cmp_gt_i32_e32 vcc_lo, 31, v6
	v_cndmask_b32_e32 v5, 0x7c00, v5, vcc_lo
	v_cmp_eq_u32_e32 vcc_lo, 0x40f, v6
	s_delay_alu instid0(VALU_DEP_2) | instskip(NEXT) | instid1(VALU_DEP_1)
	v_dual_cndmask_b32 v1, v5, v1, vcc_lo :: v_dual_lshrrev_b32 v5, 16, v7
	v_and_or_b32 v1, 0x8000, v5, v1
	s_branch .LBB158_1310
.LBB158_1308:
	s_mov_b32 s0, -1
                                        ; implicit-def: $vgpr1
	s_branch .LBB158_1313
.LBB158_1309:
	s_mov_b32 s0, -1
                                        ; implicit-def: $vgpr1
.LBB158_1310:
	s_delay_alu instid0(SALU_CYCLE_1)
	s_and_not1_b32 vcc_lo, exec_lo, s0
	s_cbranch_vccnz .LBB158_1312
; %bb.1311:
	global_load_b32 v1, v[2:3], off
	s_wait_loadcnt 0x0
	v_cvt_f16_f32_e32 v1, v1
.LBB158_1312:
	s_mov_b32 s0, 0
.LBB158_1313:
	s_delay_alu instid0(SALU_CYCLE_1)
	s_and_not1_b32 vcc_lo, exec_lo, s0
	s_cbranch_vccnz .LBB158_1315
; %bb.1314:
	global_load_u16 v1, v[2:3], off
.LBB158_1315:
	v_mov_b32_e32 v5, 0
.LBB158_1316:
	s_cbranch_execnz .LBB158_1294
.LBB158_1317:
	s_cmp_lt_i32 s3, 2
	s_cbranch_scc1 .LBB158_1321
; %bb.1318:
	s_cmp_lt_i32 s3, 3
	s_cbranch_scc1 .LBB158_1322
; %bb.1319:
	s_cmp_gt_i32 s3, 3
	s_cbranch_scc0 .LBB158_1323
; %bb.1320:
	global_load_b64 v[6:7], v[2:3], off
	s_mov_b32 s0, 0
	s_wait_loadcnt 0x0
	v_xor_b32_e32 v1, v6, v7
	v_cls_i32_e32 v5, v7
	s_delay_alu instid0(VALU_DEP_2) | instskip(NEXT) | instid1(VALU_DEP_1)
	v_ashrrev_i32_e32 v1, 31, v1
	v_add_nc_u32_e32 v1, 32, v1
	s_delay_alu instid0(VALU_DEP_1) | instskip(NEXT) | instid1(VALU_DEP_1)
	v_add_min_u32_e64 v1, v5, -1, v1
	v_lshlrev_b64_e32 v[6:7], v1, v[6:7]
	v_sub_nc_u32_e32 v1, 32, v1
	s_delay_alu instid0(VALU_DEP_2) | instskip(NEXT) | instid1(VALU_DEP_1)
	v_min_u32_e32 v5, 1, v6
	v_or_b32_e32 v5, v7, v5
	s_delay_alu instid0(VALU_DEP_1) | instskip(NEXT) | instid1(VALU_DEP_1)
	v_cvt_f32_i32_e32 v5, v5
	v_ldexp_f32 v1, v5, v1
	s_delay_alu instid0(VALU_DEP_1)
	v_cvt_f16_f32_e32 v1, v1
	s_branch .LBB158_1324
.LBB158_1321:
	s_mov_b32 s0, -1
                                        ; implicit-def: $vgpr1
	s_branch .LBB158_1330
.LBB158_1322:
	s_mov_b32 s0, -1
                                        ; implicit-def: $vgpr1
	s_branch .LBB158_1327
.LBB158_1323:
	s_mov_b32 s0, -1
                                        ; implicit-def: $vgpr1
.LBB158_1324:
	s_delay_alu instid0(SALU_CYCLE_1)
	s_and_not1_b32 vcc_lo, exec_lo, s0
	s_cbranch_vccnz .LBB158_1326
; %bb.1325:
	s_wait_loadcnt 0x0
	global_load_b32 v1, v[2:3], off
	s_wait_loadcnt 0x0
	v_cvt_f32_i32_e32 v1, v1
	s_delay_alu instid0(VALU_DEP_1)
	v_cvt_f16_f32_e32 v1, v1
.LBB158_1326:
	s_mov_b32 s0, 0
.LBB158_1327:
	s_delay_alu instid0(SALU_CYCLE_1)
	s_and_not1_b32 vcc_lo, exec_lo, s0
	s_cbranch_vccnz .LBB158_1329
; %bb.1328:
	s_wait_loadcnt 0x0
	global_load_u16 v1, v[2:3], off
	s_wait_loadcnt 0x0
	v_cvt_f16_i16_e32 v1, v1
.LBB158_1329:
	s_mov_b32 s0, 0
.LBB158_1330:
	s_delay_alu instid0(SALU_CYCLE_1)
	s_and_not1_b32 vcc_lo, exec_lo, s0
	s_cbranch_vccnz .LBB158_1336
; %bb.1331:
	s_cmp_gt_i32 s3, 0
	s_mov_b32 s0, 0
	s_cbranch_scc0 .LBB158_1333
; %bb.1332:
	s_wait_loadcnt 0x0
	global_load_i8 v1, v[2:3], off
	s_wait_loadcnt 0x0
	v_cvt_f16_i16_e32 v1, v1
	s_branch .LBB158_1334
.LBB158_1333:
	s_mov_b32 s0, -1
                                        ; implicit-def: $vgpr1
.LBB158_1334:
	s_delay_alu instid0(SALU_CYCLE_1)
	s_and_not1_b32 vcc_lo, exec_lo, s0
	s_cbranch_vccnz .LBB158_1336
; %bb.1335:
	s_wait_loadcnt 0x0
	global_load_u8 v1, v[2:3], off
	s_wait_loadcnt 0x0
	v_cvt_f16_u16_e32 v1, v1
.LBB158_1336:
	v_mov_b32_e32 v5, 0
.LBB158_1337:
	s_and_b32 vcc_lo, exec_lo, s15
	s_cbranch_vccz .LBB158_1349
; %bb.1338:
	s_wait_loadcnt 0x0
	v_cmp_neq_f16_e32 vcc_lo, s11, v1
	v_cmp_neq_f16_e64 s0, s16, v5
	s_or_b32 s9, vcc_lo, s0
	s_cbranch_execnz .LBB158_1340
.LBB158_1339:
	s_wait_loadcnt 0x0
	v_cmp_eq_f16_e32 vcc_lo, s11, v1
	v_cmp_eq_f16_e64 s0, s16, v5
	s_and_not1_b32 s9, s9, exec_lo
	s_and_b32 s0, vcc_lo, s0
	s_delay_alu instid0(SALU_CYCLE_1) | instskip(NEXT) | instid1(SALU_CYCLE_1)
	s_and_b32 s0, s0, exec_lo
	s_or_b32 s9, s9, s0
.LBB158_1340:
	v_add_nc_u32_e32 v0, s17, v0
	s_cmp_lt_i32 s3, 11
	s_wait_loadcnt 0x0
	s_delay_alu instid0(VALU_DEP_1) | instskip(SKIP_1) | instid1(VALU_DEP_1)
	v_ashrrev_i32_e32 v1, 31, v0
	s_wait_xcnt 0x0
	v_add_nc_u64_e32 v[2:3], s[6:7], v[0:1]
	s_cbranch_scc1 .LBB158_1347
; %bb.1341:
	s_cmp_gt_i32 s3, 25
	s_mov_b32 s14, 0
	s_cbranch_scc0 .LBB158_1350
; %bb.1342:
	s_cmp_gt_i32 s3, 28
	s_cbranch_scc0 .LBB158_1361
; %bb.1343:
	s_cmp_gt_i32 s3, 43
	;; [unrolled: 3-line block ×3, first 2 shown]
	s_cbranch_scc0 .LBB158_1366
; %bb.1345:
	s_cmp_eq_u32 s3, 46
	s_mov_b32 s19, 0
	s_cbranch_scc0 .LBB158_1424
; %bb.1346:
	global_load_b32 v1, v[2:3], off
	s_mov_b32 s0, 0
	s_mov_b32 s18, -1
	s_wait_loadcnt 0x0
	v_lshlrev_b32_e32 v5, 16, v1
	v_and_b32_e32 v6, 0xffff0000, v1
	s_delay_alu instid0(VALU_DEP_2) | instskip(NEXT) | instid1(VALU_DEP_2)
	v_cvt_f16_f32_e32 v1, v5
	v_cvt_f16_f32_e32 v5, v6
	s_branch .LBB158_1426
.LBB158_1347:
	s_mov_b32 s18, 0
                                        ; implicit-def: $vgpr5
                                        ; implicit-def: $vgpr1
	s_cbranch_execnz .LBB158_1355
.LBB158_1348:
	s_and_not1_b32 vcc_lo, exec_lo, s18
	s_cbranch_vccnz .LBB158_1618
	s_branch .LBB158_1409
.LBB158_1349:
                                        ; implicit-def: $sgpr9
	s_branch .LBB158_1339
.LBB158_1350:
	s_mov_b32 s18, 0
	s_mov_b32 s0, 0
                                        ; implicit-def: $vgpr5
                                        ; implicit-def: $vgpr1
	s_cbranch_execnz .LBB158_1458
.LBB158_1351:
	s_and_b32 vcc_lo, exec_lo, s0
	s_cbranch_vccnz .LBB158_1491
.LBB158_1352:
	s_and_not1_b32 vcc_lo, exec_lo, s14
	s_cbranch_vccnz .LBB158_1354
.LBB158_1353:
	global_load_u8 v1, v[2:3], off
	v_mov_b32_e32 v5, 0
	s_mov_b32 s18, -1
	s_wait_loadcnt 0x0
	v_cmp_ne_u16_e32 vcc_lo, 0, v1
	v_cndmask_b32_e64 v1, 0, 0x3c00, vcc_lo
.LBB158_1354:
	s_branch .LBB158_1348
.LBB158_1355:
	s_cmp_lt_i32 s3, 5
	s_cbranch_scc1 .LBB158_1360
; %bb.1356:
	s_cmp_lt_i32 s3, 8
	s_cbranch_scc1 .LBB158_1362
; %bb.1357:
	;; [unrolled: 3-line block ×3, first 2 shown]
	s_cmp_gt_i32 s3, 9
	s_cbranch_scc0 .LBB158_1367
; %bb.1359:
	global_load_b128 v[6:9], v[2:3], off
	s_mov_b32 s0, 0
	s_wait_loadcnt 0x0
	v_and_or_b32 v1, 0x1ff, v7, v6
	v_and_or_b32 v8, 0x1ff, v9, v8
	v_dual_lshrrev_b32 v5, 8, v7 :: v_dual_lshrrev_b32 v10, 8, v9
	v_bfe_u32 v6, v7, 20, 11
	s_delay_alu instid0(VALU_DEP_4) | instskip(SKIP_2) | instid1(VALU_DEP_4)
	v_cmp_ne_u32_e32 vcc_lo, 0, v1
	v_bfe_u32 v11, v9, 20, 11
	v_dual_lshrrev_b32 v7, 16, v7 :: v_dual_lshrrev_b32 v9, 16, v9
	v_sub_nc_u32_e32 v12, 0x3f1, v6
	v_cndmask_b32_e64 v1, 0, 1, vcc_lo
	v_cmp_ne_u32_e32 vcc_lo, 0, v8
	v_add_nc_u32_e32 v6, 0xfffffc10, v6
	s_delay_alu instid0(VALU_DEP_3) | instskip(SKIP_1) | instid1(VALU_DEP_1)
	v_and_or_b32 v1, 0xffe, v5, v1
	v_cndmask_b32_e64 v8, 0, 1, vcc_lo
	v_and_or_b32 v8, 0xffe, v10, v8
	v_med3_i32 v10, v12, 0, 13
	s_delay_alu instid0(VALU_DEP_4) | instskip(NEXT) | instid1(VALU_DEP_3)
	v_or_b32_e32 v12, 0x1000, v1
	v_or_b32_e32 v13, 0x1000, v8
	s_delay_alu instid0(VALU_DEP_2) | instskip(NEXT) | instid1(VALU_DEP_1)
	v_lshrrev_b32_e32 v14, v10, v12
	v_lshlrev_b32_e32 v10, v10, v14
	s_delay_alu instid0(VALU_DEP_1) | instskip(SKIP_2) | instid1(VALU_DEP_1)
	v_cmp_ne_u32_e32 vcc_lo, v10, v12
	v_lshl_or_b32 v12, v6, 12, v1
	v_cndmask_b32_e64 v10, 0, 1, vcc_lo
	v_or_b32_e32 v10, v14, v10
	v_sub_nc_u32_e32 v5, 0x3f1, v11
	v_add_nc_u32_e32 v11, 0xfffffc10, v11
	s_delay_alu instid0(VALU_DEP_2) | instskip(NEXT) | instid1(VALU_DEP_1)
	v_med3_i32 v5, v5, 0, 13
	v_lshrrev_b32_e32 v15, v5, v13
	s_delay_alu instid0(VALU_DEP_1) | instskip(NEXT) | instid1(VALU_DEP_1)
	v_lshlrev_b32_e32 v5, v5, v15
	v_cmp_ne_u32_e32 vcc_lo, v5, v13
	v_lshl_or_b32 v13, v11, 12, v8
	v_cndmask_b32_e64 v5, 0, 1, vcc_lo
	v_cmp_gt_i32_e32 vcc_lo, 1, v6
	s_delay_alu instid0(VALU_DEP_2) | instskip(SKIP_1) | instid1(VALU_DEP_2)
	v_dual_cndmask_b32 v10, v12, v10, vcc_lo :: v_dual_bitop2_b32 v5, v15, v5 bitop3:0x54
	v_cmp_gt_i32_e32 vcc_lo, 1, v11
	v_dual_lshrrev_b32 v10, 2, v10 :: v_dual_bitop2_b32 v12, 7, v10 bitop3:0x40
	s_delay_alu instid0(VALU_DEP_3) | instskip(NEXT) | instid1(VALU_DEP_2)
	v_cndmask_b32_e32 v5, v13, v5, vcc_lo
	v_cmp_lt_i32_e32 vcc_lo, 5, v12
	v_cndmask_b32_e64 v14, 0, 1, vcc_lo
	v_cmp_eq_u32_e32 vcc_lo, 3, v12
	v_cndmask_b32_e64 v12, 0, 1, vcc_lo
	s_delay_alu instid0(VALU_DEP_1) | instskip(SKIP_1) | instid1(VALU_DEP_2)
	v_or_b32_e32 v12, v12, v14
	v_dual_lshrrev_b32 v5, 2, v5 :: v_dual_bitop2_b32 v13, 7, v5 bitop3:0x40
	v_add_nc_u32_e32 v10, v10, v12
	s_delay_alu instid0(VALU_DEP_2) | instskip(SKIP_4) | instid1(VALU_DEP_2)
	v_cmp_lt_i32_e32 vcc_lo, 5, v13
	v_cndmask_b32_e64 v15, 0, 1, vcc_lo
	v_cmp_eq_u32_e32 vcc_lo, 3, v13
	v_cndmask_b32_e64 v13, 0, 1, vcc_lo
	v_cmp_ne_u32_e32 vcc_lo, 0, v1
	v_or_b32_e32 v13, v13, v15
	s_delay_alu instid0(VALU_DEP_1) | instskip(NEXT) | instid1(VALU_DEP_1)
	v_dual_mov_b32 v16, 0x7e00 :: v_dual_add_nc_u32 v5, v5, v13
	v_cndmask_b32_e32 v1, 0x7c00, v16, vcc_lo
	v_cmp_ne_u32_e32 vcc_lo, 0, v8
	v_cndmask_b32_e32 v8, 0x7c00, v16, vcc_lo
	v_cmp_gt_i32_e32 vcc_lo, 31, v6
	v_cndmask_b32_e32 v10, 0x7c00, v10, vcc_lo
	v_cmp_gt_i32_e32 vcc_lo, 31, v11
	v_cndmask_b32_e32 v5, 0x7c00, v5, vcc_lo
	v_cmp_eq_u32_e32 vcc_lo, 0x40f, v6
	s_delay_alu instid0(VALU_DEP_4) | instskip(SKIP_1) | instid1(VALU_DEP_2)
	v_cndmask_b32_e32 v1, v10, v1, vcc_lo
	v_cmp_eq_u32_e32 vcc_lo, 0x40f, v11
	v_and_or_b32 v1, 0x8000, v7, v1
	v_cndmask_b32_e32 v5, v5, v8, vcc_lo
	s_delay_alu instid0(VALU_DEP_1)
	v_and_or_b32 v5, 0x8000, v9, v5
	s_branch .LBB158_1368
.LBB158_1360:
	s_mov_b32 s0, -1
                                        ; implicit-def: $vgpr5
                                        ; implicit-def: $vgpr1
	s_branch .LBB158_1387
.LBB158_1361:
	s_mov_b32 s19, -1
	s_mov_b32 s18, 0
	s_mov_b32 s0, 0
                                        ; implicit-def: $vgpr5
                                        ; implicit-def: $vgpr1
	s_branch .LBB158_1439
.LBB158_1362:
	s_mov_b32 s0, -1
                                        ; implicit-def: $vgpr5
                                        ; implicit-def: $vgpr1
	s_branch .LBB158_1374
.LBB158_1363:
	s_mov_b32 s19, -1
	s_mov_b32 s18, 0
	s_mov_b32 s0, 0
                                        ; implicit-def: $vgpr5
                                        ; implicit-def: $vgpr1
	s_branch .LBB158_1433
.LBB158_1364:
	s_mov_b32 s0, -1
                                        ; implicit-def: $vgpr5
                                        ; implicit-def: $vgpr1
	s_branch .LBB158_1371
.LBB158_1365:
	s_or_b32 s1, s1, exec_lo
	s_trap 2
	s_cbranch_execz .LBB158_1286
	s_branch .LBB158_1287
.LBB158_1366:
	s_mov_b32 s19, -1
	s_mov_b32 s18, 0
	s_mov_b32 s0, 0
	s_branch .LBB158_1425
.LBB158_1367:
	s_mov_b32 s0, -1
                                        ; implicit-def: $vgpr5
                                        ; implicit-def: $vgpr1
.LBB158_1368:
	s_delay_alu instid0(SALU_CYCLE_1)
	s_and_not1_b32 vcc_lo, exec_lo, s0
	s_cbranch_vccnz .LBB158_1370
; %bb.1369:
	global_load_b64 v[6:7], v[2:3], off
	s_wait_loadcnt 0x0
	v_cvt_f16_f32_e32 v1, v6
	v_cvt_f16_f32_e32 v5, v7
.LBB158_1370:
	s_mov_b32 s0, 0
.LBB158_1371:
	s_delay_alu instid0(SALU_CYCLE_1)
	s_and_not1_b32 vcc_lo, exec_lo, s0
	s_cbranch_vccnz .LBB158_1373
; %bb.1372:
	global_load_b32 v1, v[2:3], off
	s_wait_loadcnt 0x0
	v_lshrrev_b32_e32 v5, 16, v1
.LBB158_1373:
	s_mov_b32 s0, 0
.LBB158_1374:
	s_delay_alu instid0(SALU_CYCLE_1)
	s_and_not1_b32 vcc_lo, exec_lo, s0
	s_cbranch_vccnz .LBB158_1386
; %bb.1375:
	s_cmp_lt_i32 s3, 6
	s_cbranch_scc1 .LBB158_1378
; %bb.1376:
	s_cmp_gt_i32 s3, 6
	s_cbranch_scc0 .LBB158_1379
; %bb.1377:
	global_load_b64 v[6:7], v[2:3], off
	s_mov_b32 s0, 0
	s_wait_loadcnt 0x0
	v_and_or_b32 v1, 0x1ff, v7, v6
	v_lshrrev_b32_e32 v5, 8, v7
	v_bfe_u32 v6, v7, 20, 11
	s_delay_alu instid0(VALU_DEP_3) | instskip(NEXT) | instid1(VALU_DEP_2)
	v_cmp_ne_u32_e32 vcc_lo, 0, v1
	v_sub_nc_u32_e32 v8, 0x3f1, v6
	v_add_nc_u32_e32 v6, 0xfffffc10, v6
	v_cndmask_b32_e64 v1, 0, 1, vcc_lo
	s_delay_alu instid0(VALU_DEP_1) | instskip(NEXT) | instid1(VALU_DEP_4)
	v_and_or_b32 v1, 0xffe, v5, v1
	v_med3_i32 v5, v8, 0, 13
	s_delay_alu instid0(VALU_DEP_2) | instskip(NEXT) | instid1(VALU_DEP_1)
	v_or_b32_e32 v8, 0x1000, v1
	v_lshrrev_b32_e32 v9, v5, v8
	s_delay_alu instid0(VALU_DEP_1) | instskip(NEXT) | instid1(VALU_DEP_1)
	v_lshlrev_b32_e32 v5, v5, v9
	v_cmp_ne_u32_e32 vcc_lo, v5, v8
	v_lshl_or_b32 v8, v6, 12, v1
	v_cndmask_b32_e64 v5, 0, 1, vcc_lo
	v_cmp_gt_i32_e32 vcc_lo, 1, v6
	s_delay_alu instid0(VALU_DEP_2) | instskip(NEXT) | instid1(VALU_DEP_1)
	v_or_b32_e32 v5, v9, v5
	v_cndmask_b32_e32 v5, v8, v5, vcc_lo
	s_delay_alu instid0(VALU_DEP_1) | instskip(NEXT) | instid1(VALU_DEP_1)
	v_dual_lshrrev_b32 v5, 2, v5 :: v_dual_bitop2_b32 v8, 7, v5 bitop3:0x40
	v_cmp_lt_i32_e32 vcc_lo, 5, v8
	v_cndmask_b32_e64 v9, 0, 1, vcc_lo
	v_cmp_eq_u32_e32 vcc_lo, 3, v8
	v_cndmask_b32_e64 v8, 0, 1, vcc_lo
	v_cmp_ne_u32_e32 vcc_lo, 0, v1
	s_delay_alu instid0(VALU_DEP_2) | instskip(SKIP_1) | instid1(VALU_DEP_2)
	v_or_b32_e32 v8, v8, v9
	v_mov_b32_e32 v9, 0x7e00
	v_add_nc_u32_e32 v5, v5, v8
	s_delay_alu instid0(VALU_DEP_2) | instskip(SKIP_1) | instid1(VALU_DEP_3)
	v_cndmask_b32_e32 v1, 0x7c00, v9, vcc_lo
	v_cmp_gt_i32_e32 vcc_lo, 31, v6
	v_cndmask_b32_e32 v5, 0x7c00, v5, vcc_lo
	v_cmp_eq_u32_e32 vcc_lo, 0x40f, v6
	s_delay_alu instid0(VALU_DEP_2) | instskip(NEXT) | instid1(VALU_DEP_1)
	v_dual_cndmask_b32 v1, v5, v1, vcc_lo :: v_dual_lshrrev_b32 v5, 16, v7
	v_and_or_b32 v1, 0x8000, v5, v1
	s_branch .LBB158_1380
.LBB158_1378:
	s_mov_b32 s0, -1
                                        ; implicit-def: $vgpr1
	s_branch .LBB158_1383
.LBB158_1379:
	s_mov_b32 s0, -1
                                        ; implicit-def: $vgpr1
.LBB158_1380:
	s_delay_alu instid0(SALU_CYCLE_1)
	s_and_not1_b32 vcc_lo, exec_lo, s0
	s_cbranch_vccnz .LBB158_1382
; %bb.1381:
	global_load_b32 v1, v[2:3], off
	s_wait_loadcnt 0x0
	v_cvt_f16_f32_e32 v1, v1
.LBB158_1382:
	s_mov_b32 s0, 0
.LBB158_1383:
	s_delay_alu instid0(SALU_CYCLE_1)
	s_and_not1_b32 vcc_lo, exec_lo, s0
	s_cbranch_vccnz .LBB158_1385
; %bb.1384:
	global_load_u16 v1, v[2:3], off
.LBB158_1385:
	v_mov_b32_e32 v5, 0
.LBB158_1386:
	s_mov_b32 s0, 0
.LBB158_1387:
	s_delay_alu instid0(SALU_CYCLE_1)
	s_and_not1_b32 vcc_lo, exec_lo, s0
	s_cbranch_vccnz .LBB158_1408
; %bb.1388:
	s_cmp_lt_i32 s3, 2
	s_cbranch_scc1 .LBB158_1392
; %bb.1389:
	s_cmp_lt_i32 s3, 3
	s_cbranch_scc1 .LBB158_1393
; %bb.1390:
	s_cmp_gt_i32 s3, 3
	s_cbranch_scc0 .LBB158_1394
; %bb.1391:
	global_load_b64 v[6:7], v[2:3], off
	s_mov_b32 s0, 0
	s_wait_loadcnt 0x0
	v_xor_b32_e32 v1, v6, v7
	v_cls_i32_e32 v5, v7
	s_delay_alu instid0(VALU_DEP_2) | instskip(NEXT) | instid1(VALU_DEP_1)
	v_ashrrev_i32_e32 v1, 31, v1
	v_add_nc_u32_e32 v1, 32, v1
	s_delay_alu instid0(VALU_DEP_1) | instskip(NEXT) | instid1(VALU_DEP_1)
	v_add_min_u32_e64 v1, v5, -1, v1
	v_lshlrev_b64_e32 v[6:7], v1, v[6:7]
	v_sub_nc_u32_e32 v1, 32, v1
	s_delay_alu instid0(VALU_DEP_2) | instskip(NEXT) | instid1(VALU_DEP_1)
	v_min_u32_e32 v5, 1, v6
	v_or_b32_e32 v5, v7, v5
	s_delay_alu instid0(VALU_DEP_1) | instskip(NEXT) | instid1(VALU_DEP_1)
	v_cvt_f32_i32_e32 v5, v5
	v_ldexp_f32 v1, v5, v1
	s_delay_alu instid0(VALU_DEP_1)
	v_cvt_f16_f32_e32 v1, v1
	s_branch .LBB158_1395
.LBB158_1392:
	s_mov_b32 s0, -1
                                        ; implicit-def: $vgpr1
	s_branch .LBB158_1401
.LBB158_1393:
	s_mov_b32 s0, -1
                                        ; implicit-def: $vgpr1
	s_branch .LBB158_1398
.LBB158_1394:
	s_mov_b32 s0, -1
                                        ; implicit-def: $vgpr1
.LBB158_1395:
	s_delay_alu instid0(SALU_CYCLE_1)
	s_and_not1_b32 vcc_lo, exec_lo, s0
	s_cbranch_vccnz .LBB158_1397
; %bb.1396:
	s_wait_loadcnt 0x0
	global_load_b32 v1, v[2:3], off
	s_wait_loadcnt 0x0
	v_cvt_f32_i32_e32 v1, v1
	s_delay_alu instid0(VALU_DEP_1)
	v_cvt_f16_f32_e32 v1, v1
.LBB158_1397:
	s_mov_b32 s0, 0
.LBB158_1398:
	s_delay_alu instid0(SALU_CYCLE_1)
	s_and_not1_b32 vcc_lo, exec_lo, s0
	s_cbranch_vccnz .LBB158_1400
; %bb.1399:
	s_wait_loadcnt 0x0
	global_load_u16 v1, v[2:3], off
	s_wait_loadcnt 0x0
	v_cvt_f16_i16_e32 v1, v1
.LBB158_1400:
	s_mov_b32 s0, 0
.LBB158_1401:
	s_delay_alu instid0(SALU_CYCLE_1)
	s_and_not1_b32 vcc_lo, exec_lo, s0
	s_cbranch_vccnz .LBB158_1407
; %bb.1402:
	s_cmp_gt_i32 s3, 0
	s_mov_b32 s0, 0
	s_cbranch_scc0 .LBB158_1404
; %bb.1403:
	s_wait_loadcnt 0x0
	global_load_i8 v1, v[2:3], off
	s_wait_loadcnt 0x0
	v_cvt_f16_i16_e32 v1, v1
	s_branch .LBB158_1405
.LBB158_1404:
	s_mov_b32 s0, -1
                                        ; implicit-def: $vgpr1
.LBB158_1405:
	s_delay_alu instid0(SALU_CYCLE_1)
	s_and_not1_b32 vcc_lo, exec_lo, s0
	s_cbranch_vccnz .LBB158_1407
; %bb.1406:
	s_wait_loadcnt 0x0
	global_load_u8 v1, v[2:3], off
	s_wait_loadcnt 0x0
	v_cvt_f16_u16_e32 v1, v1
.LBB158_1407:
	v_mov_b32_e32 v5, 0
.LBB158_1408:
.LBB158_1409:
	s_and_b32 vcc_lo, exec_lo, s15
	s_cbranch_vccz .LBB158_1420
; %bb.1410:
	s_wait_loadcnt 0x0
	v_cmp_neq_f16_e32 vcc_lo, s11, v1
	v_cmp_neq_f16_e64 s0, s16, v5
	s_or_b32 s14, vcc_lo, s0
	s_cbranch_execnz .LBB158_1412
.LBB158_1411:
	s_wait_loadcnt 0x0
	v_cmp_eq_f16_e32 vcc_lo, s11, v1
	v_cmp_eq_f16_e64 s0, s16, v5
	s_and_not1_b32 s14, s14, exec_lo
	s_and_b32 s0, vcc_lo, s0
	s_delay_alu instid0(SALU_CYCLE_1) | instskip(NEXT) | instid1(SALU_CYCLE_1)
	s_and_b32 s0, s0, exec_lo
	s_or_b32 s14, s14, s0
.LBB158_1412:
	v_add_nc_u32_e32 v0, s17, v0
	s_cmp_lt_i32 s3, 11
	s_wait_loadcnt 0x0
	s_delay_alu instid0(VALU_DEP_1) | instskip(NEXT) | instid1(VALU_DEP_1)
	v_ashrrev_i32_e32 v1, 31, v0
	v_add_nc_u64_e32 v[0:1], s[6:7], v[0:1]
	s_cbranch_scc1 .LBB158_1419
; %bb.1413:
	s_cmp_gt_i32 s3, 25
	s_mov_b32 s6, 0
	s_cbranch_scc0 .LBB158_1421
; %bb.1414:
	s_cmp_gt_i32 s3, 28
	s_cbranch_scc0 .LBB158_1422
; %bb.1415:
	s_cmp_gt_i32 s3, 43
	s_cbranch_scc0 .LBB158_1423
; %bb.1416:
	s_cmp_gt_i32 s3, 45
	s_cbranch_scc0 .LBB158_1429
; %bb.1417:
	s_cmp_eq_u32 s3, 46
	s_mov_b32 s17, 0
	s_cbranch_scc0 .LBB158_1492
; %bb.1418:
	global_load_b32 v2, v[0:1], off
	s_mov_b32 s0, 0
	s_mov_b32 s7, -1
	s_wait_loadcnt 0x0
	v_lshlrev_b32_e32 v3, 16, v2
	v_and_b32_e32 v5, 0xffff0000, v2
	s_delay_alu instid0(VALU_DEP_2) | instskip(NEXT) | instid1(VALU_DEP_2)
	v_cvt_f16_f32_e32 v2, v3
	v_cvt_f16_f32_e32 v3, v5
	s_branch .LBB158_1494
.LBB158_1419:
	s_mov_b32 s0, -1
	s_mov_b32 s7, 0
                                        ; implicit-def: $vgpr3
                                        ; implicit-def: $vgpr2
	s_branch .LBB158_1540
.LBB158_1420:
                                        ; implicit-def: $sgpr14
	s_branch .LBB158_1411
.LBB158_1421:
	s_mov_b32 s17, -1
	s_mov_b32 s7, 0
	s_mov_b32 s0, 0
                                        ; implicit-def: $vgpr3
                                        ; implicit-def: $vgpr2
	s_branch .LBB158_1525
.LBB158_1422:
	s_mov_b32 s17, -1
	s_mov_b32 s7, 0
	s_mov_b32 s0, 0
                                        ; implicit-def: $vgpr3
                                        ; implicit-def: $vgpr2
	s_branch .LBB158_1506
.LBB158_1423:
	s_mov_b32 s17, -1
	s_mov_b32 s7, 0
	s_mov_b32 s0, 0
                                        ; implicit-def: $vgpr3
                                        ; implicit-def: $vgpr2
	s_branch .LBB158_1500
.LBB158_1424:
	s_mov_b32 s0, -1
	s_mov_b32 s18, 0
.LBB158_1425:
                                        ; implicit-def: $vgpr5
                                        ; implicit-def: $vgpr1
.LBB158_1426:
	s_and_b32 vcc_lo, exec_lo, s19
	s_cbranch_vccz .LBB158_1432
; %bb.1427:
	s_cmp_eq_u32 s3, 44
	s_cbranch_scc0 .LBB158_1430
; %bb.1428:
	global_load_u8 v1, v[2:3], off
	s_mov_b32 s0, 0
	s_mov_b32 s18, -1
	s_wait_loadcnt 0x0
	v_lshlrev_b32_e32 v5, 23, v1
	v_cmp_ne_u32_e32 vcc_lo, 0xff, v1
	s_delay_alu instid0(VALU_DEP_2) | instskip(NEXT) | instid1(VALU_DEP_1)
	v_cvt_f16_f32_e32 v5, v5
	v_cndmask_b32_e32 v5, 0x7e00, v5, vcc_lo
	v_cmp_ne_u32_e32 vcc_lo, 0, v1
	s_delay_alu instid0(VALU_DEP_2)
	v_cndmask_b32_e32 v1, 0, v5, vcc_lo
	s_branch .LBB158_1431
.LBB158_1429:
	s_mov_b32 s17, -1
	s_mov_b32 s7, 0
	s_mov_b32 s0, 0
	s_branch .LBB158_1493
.LBB158_1430:
	s_mov_b32 s0, -1
                                        ; implicit-def: $vgpr1
.LBB158_1431:
	v_mov_b32_e32 v5, 0
.LBB158_1432:
	s_mov_b32 s19, 0
.LBB158_1433:
	s_delay_alu instid0(SALU_CYCLE_1)
	s_and_b32 vcc_lo, exec_lo, s19
	s_cbranch_vccz .LBB158_1438
; %bb.1434:
	s_cmp_eq_u32 s3, 29
	s_cbranch_scc0 .LBB158_1436
; %bb.1435:
	global_load_b64 v[6:7], v[2:3], off
	s_mov_b32 s0, 0
	s_mov_b32 s18, -1
	s_wait_loadcnt 0x0
	v_clz_i32_u32_e32 v1, v7
	s_delay_alu instid0(VALU_DEP_1) | instskip(NEXT) | instid1(VALU_DEP_1)
	v_min_u32_e32 v1, 32, v1
	v_lshlrev_b64_e32 v[6:7], v1, v[6:7]
	v_sub_nc_u32_e32 v1, 32, v1
	s_delay_alu instid0(VALU_DEP_2) | instskip(NEXT) | instid1(VALU_DEP_1)
	v_min_u32_e32 v5, 1, v6
	v_or_b32_e32 v5, v7, v5
	s_delay_alu instid0(VALU_DEP_1) | instskip(NEXT) | instid1(VALU_DEP_1)
	v_cvt_f32_u32_e32 v5, v5
	v_ldexp_f32 v1, v5, v1
	s_delay_alu instid0(VALU_DEP_1)
	v_cvt_f16_f32_e32 v1, v1
	s_branch .LBB158_1437
.LBB158_1436:
	s_mov_b32 s0, -1
                                        ; implicit-def: $vgpr1
.LBB158_1437:
	v_mov_b32_e32 v5, 0
.LBB158_1438:
	s_mov_b32 s19, 0
.LBB158_1439:
	s_delay_alu instid0(SALU_CYCLE_1)
	s_and_b32 vcc_lo, exec_lo, s19
	s_cbranch_vccz .LBB158_1457
; %bb.1440:
	s_cmp_lt_i32 s3, 27
	s_cbranch_scc1 .LBB158_1443
; %bb.1441:
	s_cmp_gt_i32 s3, 27
	s_cbranch_scc0 .LBB158_1444
; %bb.1442:
	global_load_b32 v1, v[2:3], off
	s_mov_b32 s18, 0
	s_wait_loadcnt 0x0
	v_cvt_f32_u32_e32 v1, v1
	s_delay_alu instid0(VALU_DEP_1)
	v_cvt_f16_f32_e32 v1, v1
	s_branch .LBB158_1445
.LBB158_1443:
	s_mov_b32 s18, -1
                                        ; implicit-def: $vgpr1
	s_branch .LBB158_1448
.LBB158_1444:
	s_mov_b32 s18, -1
                                        ; implicit-def: $vgpr1
.LBB158_1445:
	s_delay_alu instid0(SALU_CYCLE_1)
	s_and_not1_b32 vcc_lo, exec_lo, s18
	s_cbranch_vccnz .LBB158_1447
; %bb.1446:
	global_load_u16 v1, v[2:3], off
	s_wait_loadcnt 0x0
	v_cvt_f16_u16_e32 v1, v1
.LBB158_1447:
	s_mov_b32 s18, 0
.LBB158_1448:
	s_delay_alu instid0(SALU_CYCLE_1)
	s_and_not1_b32 vcc_lo, exec_lo, s18
	s_cbranch_vccnz .LBB158_1456
; %bb.1449:
	global_load_u8 v5, v[2:3], off
	s_mov_b32 s18, 0
	s_mov_b32 s19, exec_lo
	s_wait_loadcnt 0x0
	v_cmpx_lt_i16_e32 0x7f, v5
	s_xor_b32 s19, exec_lo, s19
	s_cbranch_execz .LBB158_1469
; %bb.1450:
	s_mov_b32 s18, -1
	s_mov_b32 s20, exec_lo
	v_cmpx_eq_u16_e32 0x80, v5
; %bb.1451:
	s_xor_b32 s18, exec_lo, -1
; %bb.1452:
	s_or_b32 exec_lo, exec_lo, s20
	s_delay_alu instid0(SALU_CYCLE_1)
	s_and_b32 s18, s18, exec_lo
	s_or_saveexec_b32 s19, s19
	v_mov_b32_e32 v1, 0x7e00
	s_xor_b32 exec_lo, exec_lo, s19
	s_cbranch_execnz .LBB158_1470
.LBB158_1453:
	s_or_b32 exec_lo, exec_lo, s19
	s_and_saveexec_b32 s19, s18
	s_cbranch_execz .LBB158_1455
.LBB158_1454:
	v_and_b32_e32 v1, 0xffff, v5
	s_delay_alu instid0(VALU_DEP_1) | instskip(SKIP_1) | instid1(VALU_DEP_2)
	v_and_b32_e32 v6, 7, v1
	v_bfe_u32 v9, v1, 3, 4
	v_clz_i32_u32_e32 v7, v6
	s_delay_alu instid0(VALU_DEP_2) | instskip(NEXT) | instid1(VALU_DEP_2)
	v_cmp_eq_u32_e32 vcc_lo, 0, v9
	v_min_u32_e32 v7, 32, v7
	s_delay_alu instid0(VALU_DEP_1) | instskip(NEXT) | instid1(VALU_DEP_1)
	v_subrev_nc_u32_e32 v8, 28, v7
	v_dual_lshlrev_b32 v1, v8, v1 :: v_dual_sub_nc_u32 v7, 29, v7
	s_delay_alu instid0(VALU_DEP_1) | instskip(NEXT) | instid1(VALU_DEP_2)
	v_and_b32_e32 v1, 7, v1
	v_dual_lshlrev_b32 v5, 24, v5 :: v_dual_cndmask_b32 v7, v9, v7, vcc_lo
	s_delay_alu instid0(VALU_DEP_2) | instskip(NEXT) | instid1(VALU_DEP_2)
	v_cndmask_b32_e32 v1, v6, v1, vcc_lo
	v_and_b32_e32 v5, 0x80000000, v5
	s_delay_alu instid0(VALU_DEP_3) | instskip(NEXT) | instid1(VALU_DEP_3)
	v_lshl_add_u32 v6, v7, 23, 0x3b800000
	v_lshlrev_b32_e32 v1, 20, v1
	s_delay_alu instid0(VALU_DEP_1) | instskip(NEXT) | instid1(VALU_DEP_1)
	v_or3_b32 v1, v5, v6, v1
	v_cvt_f16_f32_e32 v1, v1
.LBB158_1455:
	s_or_b32 exec_lo, exec_lo, s19
.LBB158_1456:
	v_mov_b32_e32 v5, 0
	s_mov_b32 s18, -1
.LBB158_1457:
	s_branch .LBB158_1351
.LBB158_1458:
	s_cmp_gt_i32 s3, 22
	s_cbranch_scc0 .LBB158_1468
; %bb.1459:
	s_cmp_lt_i32 s3, 24
	s_cbranch_scc1 .LBB158_1471
; %bb.1460:
	s_cmp_gt_i32 s3, 24
	s_cbranch_scc0 .LBB158_1472
; %bb.1461:
	global_load_u8 v5, v[2:3], off
	s_mov_b32 s18, exec_lo
	s_wait_loadcnt 0x0
	v_cmpx_lt_i16_e32 0x7f, v5
	s_xor_b32 s18, exec_lo, s18
	s_cbranch_execz .LBB158_1484
; %bb.1462:
	s_mov_b32 s14, -1
	s_mov_b32 s19, exec_lo
	v_cmpx_eq_u16_e32 0x80, v5
; %bb.1463:
	s_xor_b32 s14, exec_lo, -1
; %bb.1464:
	s_or_b32 exec_lo, exec_lo, s19
	s_delay_alu instid0(SALU_CYCLE_1)
	s_and_b32 s14, s14, exec_lo
	s_or_saveexec_b32 s18, s18
	v_mov_b32_e32 v1, 0x7e00
	s_xor_b32 exec_lo, exec_lo, s18
	s_cbranch_execnz .LBB158_1485
.LBB158_1465:
	s_or_b32 exec_lo, exec_lo, s18
	s_and_saveexec_b32 s18, s14
	s_cbranch_execz .LBB158_1467
.LBB158_1466:
	v_and_b32_e32 v1, 0xffff, v5
	s_delay_alu instid0(VALU_DEP_1) | instskip(SKIP_1) | instid1(VALU_DEP_2)
	v_and_b32_e32 v6, 3, v1
	v_bfe_u32 v9, v1, 2, 5
	v_clz_i32_u32_e32 v7, v6
	s_delay_alu instid0(VALU_DEP_2) | instskip(NEXT) | instid1(VALU_DEP_2)
	v_cmp_eq_u32_e32 vcc_lo, 0, v9
	v_min_u32_e32 v7, 32, v7
	s_delay_alu instid0(VALU_DEP_1) | instskip(NEXT) | instid1(VALU_DEP_1)
	v_subrev_nc_u32_e32 v8, 29, v7
	v_dual_lshlrev_b32 v1, v8, v1 :: v_dual_sub_nc_u32 v7, 30, v7
	s_delay_alu instid0(VALU_DEP_1) | instskip(NEXT) | instid1(VALU_DEP_2)
	v_and_b32_e32 v1, 3, v1
	v_dual_lshlrev_b32 v5, 24, v5 :: v_dual_cndmask_b32 v7, v9, v7, vcc_lo
	s_delay_alu instid0(VALU_DEP_2) | instskip(NEXT) | instid1(VALU_DEP_2)
	v_cndmask_b32_e32 v1, v6, v1, vcc_lo
	v_and_b32_e32 v5, 0x80000000, v5
	s_delay_alu instid0(VALU_DEP_3) | instskip(NEXT) | instid1(VALU_DEP_3)
	v_lshl_add_u32 v6, v7, 23, 0x37800000
	v_lshlrev_b32_e32 v1, 21, v1
	s_delay_alu instid0(VALU_DEP_1) | instskip(NEXT) | instid1(VALU_DEP_1)
	v_or3_b32 v1, v5, v6, v1
	v_cvt_f16_f32_e32 v1, v1
.LBB158_1467:
	s_or_b32 exec_lo, exec_lo, s18
	s_mov_b32 s14, 0
	s_branch .LBB158_1473
.LBB158_1468:
	s_mov_b32 s14, -1
                                        ; implicit-def: $vgpr1
	s_branch .LBB158_1479
.LBB158_1469:
	s_or_saveexec_b32 s19, s19
	v_mov_b32_e32 v1, 0x7e00
	s_xor_b32 exec_lo, exec_lo, s19
	s_cbranch_execz .LBB158_1453
.LBB158_1470:
	v_cmp_ne_u16_e32 vcc_lo, 0, v5
	v_mov_b32_e32 v1, v5
	s_and_not1_b32 s18, s18, exec_lo
	s_and_b32 s20, vcc_lo, exec_lo
	s_delay_alu instid0(SALU_CYCLE_1)
	s_or_b32 s18, s18, s20
	s_or_b32 exec_lo, exec_lo, s19
	s_and_saveexec_b32 s19, s18
	s_cbranch_execnz .LBB158_1454
	s_branch .LBB158_1455
.LBB158_1471:
	s_mov_b32 s14, -1
                                        ; implicit-def: $vgpr1
	s_branch .LBB158_1476
.LBB158_1472:
	s_mov_b32 s14, -1
                                        ; implicit-def: $vgpr1
.LBB158_1473:
	s_delay_alu instid0(SALU_CYCLE_1)
	s_and_b32 vcc_lo, exec_lo, s14
	s_cbranch_vccz .LBB158_1475
; %bb.1474:
	global_load_u8 v1, v[2:3], off
	s_wait_loadcnt 0x0
	v_lshlrev_b32_e32 v1, 24, v1
	s_delay_alu instid0(VALU_DEP_1) | instskip(NEXT) | instid1(VALU_DEP_1)
	v_and_b32_e32 v5, 0x7f000000, v1
	v_clz_i32_u32_e32 v6, v5
	v_cmp_ne_u32_e32 vcc_lo, 0, v5
	v_add_nc_u32_e32 v8, 0x1000000, v5
	s_delay_alu instid0(VALU_DEP_3) | instskip(NEXT) | instid1(VALU_DEP_1)
	v_min_u32_e32 v6, 32, v6
	v_sub_nc_u32_e64 v6, v6, 4 clamp
	s_delay_alu instid0(VALU_DEP_1) | instskip(NEXT) | instid1(VALU_DEP_1)
	v_dual_lshlrev_b32 v7, v6, v5 :: v_dual_lshlrev_b32 v6, 23, v6
	v_lshrrev_b32_e32 v7, 4, v7
	s_delay_alu instid0(VALU_DEP_1) | instskip(NEXT) | instid1(VALU_DEP_1)
	v_dual_sub_nc_u32 v6, v7, v6 :: v_dual_ashrrev_i32 v7, 8, v8
	v_add_nc_u32_e32 v6, 0x3c000000, v6
	s_delay_alu instid0(VALU_DEP_1) | instskip(NEXT) | instid1(VALU_DEP_1)
	v_and_or_b32 v6, 0x7f800000, v7, v6
	v_cndmask_b32_e32 v5, 0, v6, vcc_lo
	s_delay_alu instid0(VALU_DEP_1) | instskip(NEXT) | instid1(VALU_DEP_1)
	v_and_or_b32 v1, 0x80000000, v1, v5
	v_cvt_f16_f32_e32 v1, v1
.LBB158_1475:
	s_mov_b32 s14, 0
.LBB158_1476:
	s_delay_alu instid0(SALU_CYCLE_1)
	s_and_not1_b32 vcc_lo, exec_lo, s14
	s_cbranch_vccnz .LBB158_1478
; %bb.1477:
	global_load_u8 v1, v[2:3], off
	s_wait_loadcnt 0x0
	v_lshlrev_b32_e32 v5, 25, v1
	v_lshlrev_b16 v1, 8, v1
	s_delay_alu instid0(VALU_DEP_1) | instskip(SKIP_1) | instid1(VALU_DEP_2)
	v_and_or_b32 v7, 0x7f00, v1, 0.5
	v_bfe_i32 v1, v1, 0, 16
	v_dual_add_f32 v7, -0.5, v7 :: v_dual_lshrrev_b32 v6, 4, v5
	v_cmp_gt_u32_e32 vcc_lo, 0x8000000, v5
	s_delay_alu instid0(VALU_DEP_2) | instskip(NEXT) | instid1(VALU_DEP_1)
	v_or_b32_e32 v6, 0x70000000, v6
	v_mul_f32_e32 v6, 0x7800000, v6
	s_delay_alu instid0(VALU_DEP_1) | instskip(NEXT) | instid1(VALU_DEP_1)
	v_cndmask_b32_e32 v5, v6, v7, vcc_lo
	v_and_or_b32 v1, 0x80000000, v1, v5
	s_delay_alu instid0(VALU_DEP_1)
	v_cvt_f16_f32_e32 v1, v1
.LBB158_1478:
	s_mov_b32 s14, 0
	s_mov_b32 s18, -1
.LBB158_1479:
	s_and_not1_b32 vcc_lo, exec_lo, s14
	s_mov_b32 s14, 0
	s_cbranch_vccnz .LBB158_1490
; %bb.1480:
	s_cmp_gt_i32 s3, 14
	s_cbranch_scc0 .LBB158_1483
; %bb.1481:
	s_cmp_eq_u32 s3, 15
	s_cbranch_scc0 .LBB158_1486
; %bb.1482:
	global_load_u16 v1, v[2:3], off
	s_mov_b32 s0, 0
	s_mov_b32 s18, -1
	s_wait_loadcnt 0x0
	v_lshlrev_b32_e32 v1, 16, v1
	s_delay_alu instid0(VALU_DEP_1)
	v_cvt_f16_f32_e32 v1, v1
	s_branch .LBB158_1488
.LBB158_1483:
	s_mov_b32 s14, -1
	s_branch .LBB158_1487
.LBB158_1484:
	s_or_saveexec_b32 s18, s18
	v_mov_b32_e32 v1, 0x7e00
	s_xor_b32 exec_lo, exec_lo, s18
	s_cbranch_execz .LBB158_1465
.LBB158_1485:
	v_cmp_ne_u16_e32 vcc_lo, 0, v5
	v_mov_b32_e32 v1, v5
	s_and_not1_b32 s14, s14, exec_lo
	s_and_b32 s19, vcc_lo, exec_lo
	s_delay_alu instid0(SALU_CYCLE_1)
	s_or_b32 s14, s14, s19
	s_or_b32 exec_lo, exec_lo, s18
	s_and_saveexec_b32 s18, s14
	s_cbranch_execnz .LBB158_1466
	s_branch .LBB158_1467
.LBB158_1486:
	s_mov_b32 s0, -1
.LBB158_1487:
                                        ; implicit-def: $vgpr1
.LBB158_1488:
	s_and_b32 vcc_lo, exec_lo, s14
	s_mov_b32 s14, 0
	s_cbranch_vccz .LBB158_1490
; %bb.1489:
	s_cmp_lg_u32 s3, 11
	s_mov_b32 s14, -1
	s_cselect_b32 s0, -1, 0
.LBB158_1490:
	v_mov_b32_e32 v5, 0
	s_and_b32 vcc_lo, exec_lo, s0
	s_cbranch_vccz .LBB158_1352
.LBB158_1491:
	s_or_b32 s1, s1, exec_lo
	s_trap 2
	s_cbranch_execz .LBB158_1353
	s_branch .LBB158_1354
.LBB158_1492:
	s_mov_b32 s0, -1
	s_mov_b32 s7, 0
.LBB158_1493:
                                        ; implicit-def: $vgpr3
                                        ; implicit-def: $vgpr2
.LBB158_1494:
	s_and_b32 vcc_lo, exec_lo, s17
	s_cbranch_vccz .LBB158_1499
; %bb.1495:
	s_cmp_eq_u32 s3, 44
	s_cbranch_scc0 .LBB158_1497
; %bb.1496:
	global_load_u8 v2, v[0:1], off
	s_mov_b32 s0, 0
	s_mov_b32 s7, -1
	s_wait_loadcnt 0x0
	v_lshlrev_b32_e32 v3, 23, v2
	v_cmp_ne_u32_e32 vcc_lo, 0xff, v2
	s_delay_alu instid0(VALU_DEP_2) | instskip(NEXT) | instid1(VALU_DEP_1)
	v_cvt_f16_f32_e32 v3, v3
	v_cndmask_b32_e32 v3, 0x7e00, v3, vcc_lo
	v_cmp_ne_u32_e32 vcc_lo, 0, v2
	s_delay_alu instid0(VALU_DEP_2)
	v_cndmask_b32_e32 v2, 0, v3, vcc_lo
	s_branch .LBB158_1498
.LBB158_1497:
	s_mov_b32 s0, -1
                                        ; implicit-def: $vgpr2
.LBB158_1498:
	s_wait_xcnt 0x0
	v_mov_b32_e32 v3, 0
.LBB158_1499:
	s_mov_b32 s17, 0
.LBB158_1500:
	s_delay_alu instid0(SALU_CYCLE_1)
	s_and_b32 vcc_lo, exec_lo, s17
	s_cbranch_vccz .LBB158_1505
; %bb.1501:
	s_cmp_eq_u32 s3, 29
	s_cbranch_scc0 .LBB158_1503
; %bb.1502:
	global_load_b64 v[2:3], v[0:1], off
	s_mov_b32 s0, 0
	s_mov_b32 s7, -1
	s_wait_loadcnt 0x0
	v_clz_i32_u32_e32 v5, v3
	s_delay_alu instid0(VALU_DEP_1) | instskip(NEXT) | instid1(VALU_DEP_1)
	v_min_u32_e32 v5, 32, v5
	v_lshlrev_b64_e32 v[2:3], v5, v[2:3]
	s_delay_alu instid0(VALU_DEP_1) | instskip(NEXT) | instid1(VALU_DEP_1)
	v_min_u32_e32 v2, 1, v2
	v_dual_sub_nc_u32 v3, 32, v5 :: v_dual_bitop2_b32 v2, v3, v2 bitop3:0x54
	s_delay_alu instid0(VALU_DEP_1) | instskip(NEXT) | instid1(VALU_DEP_1)
	v_cvt_f32_u32_e32 v2, v2
	v_ldexp_f32 v2, v2, v3
	s_delay_alu instid0(VALU_DEP_1)
	v_cvt_f16_f32_e32 v2, v2
	s_branch .LBB158_1504
.LBB158_1503:
	s_mov_b32 s0, -1
                                        ; implicit-def: $vgpr2
.LBB158_1504:
	s_wait_xcnt 0x0
	v_mov_b32_e32 v3, 0
.LBB158_1505:
	s_mov_b32 s17, 0
.LBB158_1506:
	s_delay_alu instid0(SALU_CYCLE_1)
	s_and_b32 vcc_lo, exec_lo, s17
	s_cbranch_vccz .LBB158_1524
; %bb.1507:
	s_cmp_lt_i32 s3, 27
	s_cbranch_scc1 .LBB158_1510
; %bb.1508:
	s_cmp_gt_i32 s3, 27
	s_cbranch_scc0 .LBB158_1511
; %bb.1509:
	global_load_b32 v2, v[0:1], off
	s_mov_b32 s7, 0
	s_wait_loadcnt 0x0
	v_cvt_f32_u32_e32 v2, v2
	s_delay_alu instid0(VALU_DEP_1)
	v_cvt_f16_f32_e32 v2, v2
	s_branch .LBB158_1512
.LBB158_1510:
	s_mov_b32 s7, -1
                                        ; implicit-def: $vgpr2
	s_branch .LBB158_1515
.LBB158_1511:
	s_mov_b32 s7, -1
                                        ; implicit-def: $vgpr2
.LBB158_1512:
	s_delay_alu instid0(SALU_CYCLE_1)
	s_and_not1_b32 vcc_lo, exec_lo, s7
	s_cbranch_vccnz .LBB158_1514
; %bb.1513:
	global_load_u16 v2, v[0:1], off
	s_wait_loadcnt 0x0
	v_cvt_f16_u16_e32 v2, v2
.LBB158_1514:
	s_mov_b32 s7, 0
.LBB158_1515:
	s_delay_alu instid0(SALU_CYCLE_1)
	s_and_not1_b32 vcc_lo, exec_lo, s7
	s_cbranch_vccnz .LBB158_1523
; %bb.1516:
	global_load_u8 v3, v[0:1], off
	s_mov_b32 s7, 0
	s_mov_b32 s17, exec_lo
	s_wait_loadcnt 0x0
	v_cmpx_lt_i16_e32 0x7f, v3
	s_xor_b32 s17, exec_lo, s17
	s_cbranch_execz .LBB158_1549
; %bb.1517:
	s_mov_b32 s7, -1
	s_mov_b32 s18, exec_lo
	v_cmpx_eq_u16_e32 0x80, v3
; %bb.1518:
	s_xor_b32 s7, exec_lo, -1
; %bb.1519:
	s_or_b32 exec_lo, exec_lo, s18
	s_delay_alu instid0(SALU_CYCLE_1)
	s_and_b32 s7, s7, exec_lo
	s_or_saveexec_b32 s17, s17
	v_mov_b32_e32 v2, 0x7e00
	s_xor_b32 exec_lo, exec_lo, s17
	s_cbranch_execnz .LBB158_1550
.LBB158_1520:
	s_or_b32 exec_lo, exec_lo, s17
	s_and_saveexec_b32 s17, s7
	s_cbranch_execz .LBB158_1522
.LBB158_1521:
	v_and_b32_e32 v2, 0xffff, v3
	s_delay_alu instid0(VALU_DEP_1) | instskip(SKIP_1) | instid1(VALU_DEP_2)
	v_dual_lshlrev_b32 v3, 24, v3 :: v_dual_bitop2_b32 v5, 7, v2 bitop3:0x40
	v_bfe_u32 v8, v2, 3, 4
	v_and_b32_e32 v3, 0x80000000, v3
	s_delay_alu instid0(VALU_DEP_3) | instskip(NEXT) | instid1(VALU_DEP_3)
	v_clz_i32_u32_e32 v6, v5
	v_cmp_eq_u32_e32 vcc_lo, 0, v8
	s_delay_alu instid0(VALU_DEP_2) | instskip(NEXT) | instid1(VALU_DEP_1)
	v_min_u32_e32 v6, 32, v6
	v_subrev_nc_u32_e32 v7, 28, v6
	v_sub_nc_u32_e32 v6, 29, v6
	s_delay_alu instid0(VALU_DEP_2) | instskip(NEXT) | instid1(VALU_DEP_2)
	v_lshlrev_b32_e32 v2, v7, v2
	v_cndmask_b32_e32 v6, v8, v6, vcc_lo
	s_delay_alu instid0(VALU_DEP_2) | instskip(NEXT) | instid1(VALU_DEP_1)
	v_and_b32_e32 v2, 7, v2
	v_cndmask_b32_e32 v2, v5, v2, vcc_lo
	s_delay_alu instid0(VALU_DEP_3) | instskip(NEXT) | instid1(VALU_DEP_2)
	v_lshl_add_u32 v5, v6, 23, 0x3b800000
	v_lshlrev_b32_e32 v2, 20, v2
	s_delay_alu instid0(VALU_DEP_1) | instskip(NEXT) | instid1(VALU_DEP_1)
	v_or3_b32 v2, v3, v5, v2
	v_cvt_f16_f32_e32 v2, v2
.LBB158_1522:
	s_or_b32 exec_lo, exec_lo, s17
.LBB158_1523:
	s_wait_xcnt 0x0
	v_mov_b32_e32 v3, 0
	s_mov_b32 s7, -1
.LBB158_1524:
	s_mov_b32 s17, 0
.LBB158_1525:
	s_delay_alu instid0(SALU_CYCLE_1)
	s_and_b32 vcc_lo, exec_lo, s17
	s_cbranch_vccz .LBB158_1536
; %bb.1526:
	s_cmp_gt_i32 s3, 22
	s_cbranch_scc0 .LBB158_1547
; %bb.1527:
	s_cmp_lt_i32 s3, 24
	s_cbranch_scc1 .LBB158_1551
; %bb.1528:
	s_cmp_gt_i32 s3, 24
	s_cbranch_scc0 .LBB158_1553
; %bb.1529:
	global_load_u8 v3, v[0:1], off
	s_mov_b32 s7, exec_lo
	s_wait_loadcnt 0x0
	v_cmpx_lt_i16_e32 0x7f, v3
	s_xor_b32 s7, exec_lo, s7
	s_cbranch_execz .LBB158_1565
; %bb.1530:
	s_mov_b32 s6, -1
	s_mov_b32 s17, exec_lo
	v_cmpx_eq_u16_e32 0x80, v3
; %bb.1531:
	s_xor_b32 s6, exec_lo, -1
; %bb.1532:
	s_or_b32 exec_lo, exec_lo, s17
	s_delay_alu instid0(SALU_CYCLE_1)
	s_and_b32 s6, s6, exec_lo
	s_or_saveexec_b32 s7, s7
	v_mov_b32_e32 v2, 0x7e00
	s_xor_b32 exec_lo, exec_lo, s7
	s_cbranch_execnz .LBB158_1566
.LBB158_1533:
	s_or_b32 exec_lo, exec_lo, s7
	s_and_saveexec_b32 s7, s6
	s_cbranch_execz .LBB158_1535
.LBB158_1534:
	v_and_b32_e32 v2, 0xffff, v3
	s_delay_alu instid0(VALU_DEP_1) | instskip(SKIP_1) | instid1(VALU_DEP_2)
	v_dual_lshlrev_b32 v3, 24, v3 :: v_dual_bitop2_b32 v5, 3, v2 bitop3:0x40
	v_bfe_u32 v8, v2, 2, 5
	v_and_b32_e32 v3, 0x80000000, v3
	s_delay_alu instid0(VALU_DEP_3) | instskip(NEXT) | instid1(VALU_DEP_3)
	v_clz_i32_u32_e32 v6, v5
	v_cmp_eq_u32_e32 vcc_lo, 0, v8
	s_delay_alu instid0(VALU_DEP_2) | instskip(NEXT) | instid1(VALU_DEP_1)
	v_min_u32_e32 v6, 32, v6
	v_subrev_nc_u32_e32 v7, 29, v6
	v_sub_nc_u32_e32 v6, 30, v6
	s_delay_alu instid0(VALU_DEP_2) | instskip(NEXT) | instid1(VALU_DEP_2)
	v_lshlrev_b32_e32 v2, v7, v2
	v_cndmask_b32_e32 v6, v8, v6, vcc_lo
	s_delay_alu instid0(VALU_DEP_2) | instskip(NEXT) | instid1(VALU_DEP_1)
	v_and_b32_e32 v2, 3, v2
	v_cndmask_b32_e32 v2, v5, v2, vcc_lo
	s_delay_alu instid0(VALU_DEP_3) | instskip(NEXT) | instid1(VALU_DEP_2)
	v_lshl_add_u32 v5, v6, 23, 0x37800000
	v_lshlrev_b32_e32 v2, 21, v2
	s_delay_alu instid0(VALU_DEP_1) | instskip(NEXT) | instid1(VALU_DEP_1)
	v_or3_b32 v2, v3, v5, v2
	v_cvt_f16_f32_e32 v2, v2
.LBB158_1535:
	s_or_b32 exec_lo, exec_lo, s7
	s_mov_b32 s6, 0
	s_branch .LBB158_1554
.LBB158_1536:
	s_and_b32 vcc_lo, exec_lo, s0
	s_cbranch_vccnz .LBB158_1584
.LBB158_1537:
	s_and_not1_b32 vcc_lo, exec_lo, s6
	s_cbranch_vccnz .LBB158_1539
.LBB158_1538:
	global_load_u8 v2, v[0:1], off
	v_mov_b32_e32 v3, 0
	s_mov_b32 s7, -1
	s_wait_loadcnt 0x0
	v_cmp_ne_u16_e32 vcc_lo, 0, v2
	v_cndmask_b32_e64 v2, 0, 0x3c00, vcc_lo
.LBB158_1539:
	s_mov_b32 s0, 0
.LBB158_1540:
	s_delay_alu instid0(SALU_CYCLE_1)
	s_and_b32 vcc_lo, exec_lo, s0
	s_cbranch_vccz .LBB158_1615
; %bb.1541:
	s_cmp_lt_i32 s3, 5
	s_cbranch_scc1 .LBB158_1546
; %bb.1542:
	s_cmp_lt_i32 s3, 8
	s_cbranch_scc1 .LBB158_1548
	;; [unrolled: 3-line block ×3, first 2 shown]
; %bb.1544:
	s_cmp_gt_i32 s3, 9
	s_cbranch_scc0 .LBB158_1567
; %bb.1545:
	global_load_b128 v[6:9], v[0:1], off
	s_mov_b32 s0, 0
	s_wait_loadcnt 0x0
	s_wait_xcnt 0x1
	v_and_or_b32 v2, 0x1ff, v7, v6
	v_and_or_b32 v6, 0x1ff, v9, v8
	v_dual_lshrrev_b32 v3, 8, v7 :: v_dual_lshrrev_b32 v8, 8, v9
	v_bfe_u32 v5, v7, 20, 11
	s_delay_alu instid0(VALU_DEP_4) | instskip(SKIP_2) | instid1(VALU_DEP_4)
	v_cmp_ne_u32_e32 vcc_lo, 0, v2
	v_bfe_u32 v10, v9, 20, 11
	v_dual_lshrrev_b32 v7, 16, v7 :: v_dual_lshrrev_b32 v9, 16, v9
	v_sub_nc_u32_e32 v11, 0x3f1, v5
	v_cndmask_b32_e64 v2, 0, 1, vcc_lo
	v_cmp_ne_u32_e32 vcc_lo, 0, v6
	v_add_nc_u32_e32 v5, 0xfffffc10, v5
	s_delay_alu instid0(VALU_DEP_3) | instskip(SKIP_1) | instid1(VALU_DEP_1)
	v_and_or_b32 v2, 0xffe, v3, v2
	v_cndmask_b32_e64 v6, 0, 1, vcc_lo
	v_and_or_b32 v6, 0xffe, v8, v6
	v_med3_i32 v8, v11, 0, 13
	s_delay_alu instid0(VALU_DEP_4) | instskip(NEXT) | instid1(VALU_DEP_3)
	v_or_b32_e32 v11, 0x1000, v2
	v_or_b32_e32 v12, 0x1000, v6
	s_delay_alu instid0(VALU_DEP_2) | instskip(NEXT) | instid1(VALU_DEP_1)
	v_lshrrev_b32_e32 v13, v8, v11
	v_lshlrev_b32_e32 v8, v8, v13
	s_delay_alu instid0(VALU_DEP_1) | instskip(SKIP_2) | instid1(VALU_DEP_1)
	v_cmp_ne_u32_e32 vcc_lo, v8, v11
	v_lshl_or_b32 v11, v5, 12, v2
	v_cndmask_b32_e64 v8, 0, 1, vcc_lo
	v_or_b32_e32 v8, v13, v8
	v_sub_nc_u32_e32 v3, 0x3f1, v10
	s_delay_alu instid0(VALU_DEP_1) | instskip(NEXT) | instid1(VALU_DEP_1)
	v_med3_i32 v3, v3, 0, 13
	v_lshrrev_b32_e32 v14, v3, v12
	s_delay_alu instid0(VALU_DEP_1) | instskip(NEXT) | instid1(VALU_DEP_1)
	v_lshlrev_b32_e32 v3, v3, v14
	v_cmp_ne_u32_e32 vcc_lo, v3, v12
	v_cndmask_b32_e64 v3, 0, 1, vcc_lo
	v_cmp_gt_i32_e32 vcc_lo, 1, v5
	s_delay_alu instid0(VALU_DEP_2) | instskip(NEXT) | instid1(VALU_DEP_1)
	v_dual_cndmask_b32 v8, v11, v8, vcc_lo :: v_dual_bitop2_b32 v3, v14, v3 bitop3:0x54
	v_dual_lshrrev_b32 v8, 2, v8 :: v_dual_bitop2_b32 v11, 7, v8 bitop3:0x40
	v_add_nc_u32_e32 v10, 0xfffffc10, v10
	s_delay_alu instid0(VALU_DEP_1) | instskip(SKIP_1) | instid1(VALU_DEP_2)
	v_lshl_or_b32 v12, v10, 12, v6
	v_cmp_gt_i32_e32 vcc_lo, 1, v10
	v_cndmask_b32_e32 v3, v12, v3, vcc_lo
	v_cmp_lt_i32_e32 vcc_lo, 5, v11
	s_delay_alu instid0(VALU_DEP_2)
	v_and_b32_e32 v12, 7, v3
	v_cndmask_b32_e64 v13, 0, 1, vcc_lo
	v_cmp_eq_u32_e32 vcc_lo, 3, v11
	v_lshrrev_b32_e32 v3, 2, v3
	v_cndmask_b32_e64 v11, 0, 1, vcc_lo
	v_cmp_lt_i32_e32 vcc_lo, 5, v12
	s_delay_alu instid0(VALU_DEP_2) | instskip(SKIP_2) | instid1(VALU_DEP_3)
	v_or_b32_e32 v11, v11, v13
	v_cndmask_b32_e64 v14, 0, 1, vcc_lo
	v_cmp_eq_u32_e32 vcc_lo, 3, v12
	v_dual_mov_b32 v15, 0x7e00 :: v_dual_add_nc_u32 v8, v8, v11
	v_cndmask_b32_e64 v12, 0, 1, vcc_lo
	v_cmp_ne_u32_e32 vcc_lo, 0, v2
	s_delay_alu instid0(VALU_DEP_2) | instskip(NEXT) | instid1(VALU_DEP_4)
	v_or_b32_e32 v12, v12, v14
	v_cndmask_b32_e32 v2, 0x7c00, v15, vcc_lo
	v_cmp_ne_u32_e32 vcc_lo, 0, v6
	s_delay_alu instid0(VALU_DEP_3) | instskip(SKIP_3) | instid1(VALU_DEP_4)
	v_dual_cndmask_b32 v6, 0x7c00, v15 :: v_dual_add_nc_u32 v3, v3, v12
	v_cmp_gt_i32_e32 vcc_lo, 31, v5
	v_cndmask_b32_e32 v8, 0x7c00, v8, vcc_lo
	v_cmp_gt_i32_e32 vcc_lo, 31, v10
	v_cndmask_b32_e32 v3, 0x7c00, v3, vcc_lo
	v_cmp_eq_u32_e32 vcc_lo, 0x40f, v5
	s_delay_alu instid0(VALU_DEP_4) | instskip(SKIP_1) | instid1(VALU_DEP_2)
	v_cndmask_b32_e32 v2, v8, v2, vcc_lo
	v_cmp_eq_u32_e32 vcc_lo, 0x40f, v10
	v_and_or_b32 v2, 0x8000, v7, v2
	v_cndmask_b32_e32 v3, v3, v6, vcc_lo
	s_delay_alu instid0(VALU_DEP_1)
	v_and_or_b32 v3, 0x8000, v9, v3
	s_branch .LBB158_1568
.LBB158_1546:
	s_mov_b32 s0, -1
                                        ; implicit-def: $vgpr3
                                        ; implicit-def: $vgpr2
	s_branch .LBB158_1593
.LBB158_1547:
	s_mov_b32 s6, -1
                                        ; implicit-def: $vgpr2
	s_branch .LBB158_1560
.LBB158_1548:
	s_mov_b32 s0, -1
                                        ; implicit-def: $vgpr3
                                        ; implicit-def: $vgpr2
	s_branch .LBB158_1574
.LBB158_1549:
	s_or_saveexec_b32 s17, s17
	v_mov_b32_e32 v2, 0x7e00
	s_xor_b32 exec_lo, exec_lo, s17
	s_cbranch_execz .LBB158_1520
.LBB158_1550:
	v_cmp_ne_u16_e32 vcc_lo, 0, v3
	v_mov_b32_e32 v2, v3
	s_and_not1_b32 s7, s7, exec_lo
	s_and_b32 s18, vcc_lo, exec_lo
	s_delay_alu instid0(SALU_CYCLE_1)
	s_or_b32 s7, s7, s18
	s_or_b32 exec_lo, exec_lo, s17
	s_and_saveexec_b32 s17, s7
	s_cbranch_execnz .LBB158_1521
	s_branch .LBB158_1522
.LBB158_1551:
	s_mov_b32 s6, -1
                                        ; implicit-def: $vgpr2
	s_branch .LBB158_1557
.LBB158_1552:
	s_mov_b32 s0, -1
                                        ; implicit-def: $vgpr3
                                        ; implicit-def: $vgpr2
	s_branch .LBB158_1571
.LBB158_1553:
	s_mov_b32 s6, -1
                                        ; implicit-def: $vgpr2
.LBB158_1554:
	s_delay_alu instid0(SALU_CYCLE_1)
	s_and_b32 vcc_lo, exec_lo, s6
	s_cbranch_vccz .LBB158_1556
; %bb.1555:
	global_load_u8 v2, v[0:1], off
	s_wait_loadcnt 0x0
	v_lshlrev_b32_e32 v2, 24, v2
	s_delay_alu instid0(VALU_DEP_1) | instskip(NEXT) | instid1(VALU_DEP_1)
	v_and_b32_e32 v3, 0x7f000000, v2
	v_clz_i32_u32_e32 v5, v3
	v_add_nc_u32_e32 v7, 0x1000000, v3
	v_cmp_ne_u32_e32 vcc_lo, 0, v3
	s_delay_alu instid0(VALU_DEP_3) | instskip(NEXT) | instid1(VALU_DEP_1)
	v_min_u32_e32 v5, 32, v5
	v_sub_nc_u32_e64 v5, v5, 4 clamp
	s_delay_alu instid0(VALU_DEP_1) | instskip(NEXT) | instid1(VALU_DEP_1)
	v_dual_lshlrev_b32 v6, v5, v3 :: v_dual_lshlrev_b32 v5, 23, v5
	v_lshrrev_b32_e32 v6, 4, v6
	s_delay_alu instid0(VALU_DEP_1) | instskip(NEXT) | instid1(VALU_DEP_1)
	v_dual_sub_nc_u32 v5, v6, v5 :: v_dual_ashrrev_i32 v6, 8, v7
	v_add_nc_u32_e32 v5, 0x3c000000, v5
	s_delay_alu instid0(VALU_DEP_1) | instskip(NEXT) | instid1(VALU_DEP_1)
	v_and_or_b32 v5, 0x7f800000, v6, v5
	v_cndmask_b32_e32 v3, 0, v5, vcc_lo
	s_delay_alu instid0(VALU_DEP_1) | instskip(NEXT) | instid1(VALU_DEP_1)
	v_and_or_b32 v2, 0x80000000, v2, v3
	v_cvt_f16_f32_e32 v2, v2
.LBB158_1556:
	s_mov_b32 s6, 0
.LBB158_1557:
	s_delay_alu instid0(SALU_CYCLE_1)
	s_and_not1_b32 vcc_lo, exec_lo, s6
	s_cbranch_vccnz .LBB158_1559
; %bb.1558:
	global_load_u8 v2, v[0:1], off
	s_wait_loadcnt 0x0
	v_lshlrev_b32_e32 v3, 25, v2
	v_lshlrev_b16 v2, 8, v2
	s_delay_alu instid0(VALU_DEP_2) | instskip(NEXT) | instid1(VALU_DEP_2)
	v_cmp_gt_u32_e32 vcc_lo, 0x8000000, v3
	v_and_or_b32 v6, 0x7f00, v2, 0.5
	v_lshrrev_b32_e32 v5, 4, v3
	v_bfe_i32 v2, v2, 0, 16
	s_delay_alu instid0(VALU_DEP_3) | instskip(NEXT) | instid1(VALU_DEP_3)
	v_add_f32_e32 v6, -0.5, v6
	v_or_b32_e32 v5, 0x70000000, v5
	s_delay_alu instid0(VALU_DEP_1) | instskip(NEXT) | instid1(VALU_DEP_1)
	v_mul_f32_e32 v5, 0x7800000, v5
	v_cndmask_b32_e32 v3, v5, v6, vcc_lo
	s_delay_alu instid0(VALU_DEP_1) | instskip(NEXT) | instid1(VALU_DEP_1)
	v_and_or_b32 v2, 0x80000000, v2, v3
	v_cvt_f16_f32_e32 v2, v2
.LBB158_1559:
	s_mov_b32 s6, 0
	s_mov_b32 s7, -1
.LBB158_1560:
	s_and_not1_b32 vcc_lo, exec_lo, s6
	s_mov_b32 s6, 0
	s_cbranch_vccnz .LBB158_1583
; %bb.1561:
	s_cmp_gt_i32 s3, 14
	s_cbranch_scc0 .LBB158_1564
; %bb.1562:
	s_cmp_eq_u32 s3, 15
	s_cbranch_scc0 .LBB158_1579
; %bb.1563:
	global_load_u16 v2, v[0:1], off
	s_mov_b32 s0, 0
	s_mov_b32 s7, -1
	s_wait_loadcnt 0x0
	v_lshlrev_b32_e32 v2, 16, v2
	s_delay_alu instid0(VALU_DEP_1)
	v_cvt_f16_f32_e32 v2, v2
	s_branch .LBB158_1581
.LBB158_1564:
	s_mov_b32 s6, -1
	s_branch .LBB158_1580
.LBB158_1565:
	s_or_saveexec_b32 s7, s7
	v_mov_b32_e32 v2, 0x7e00
	s_xor_b32 exec_lo, exec_lo, s7
	s_cbranch_execz .LBB158_1533
.LBB158_1566:
	v_cmp_ne_u16_e32 vcc_lo, 0, v3
	v_mov_b32_e32 v2, v3
	s_and_not1_b32 s6, s6, exec_lo
	s_and_b32 s17, vcc_lo, exec_lo
	s_delay_alu instid0(SALU_CYCLE_1)
	s_or_b32 s6, s6, s17
	s_or_b32 exec_lo, exec_lo, s7
	s_and_saveexec_b32 s7, s6
	s_cbranch_execnz .LBB158_1534
	s_branch .LBB158_1535
.LBB158_1567:
	s_mov_b32 s0, -1
                                        ; implicit-def: $vgpr3
                                        ; implicit-def: $vgpr2
.LBB158_1568:
	s_delay_alu instid0(SALU_CYCLE_1)
	s_and_not1_b32 vcc_lo, exec_lo, s0
	s_cbranch_vccnz .LBB158_1570
; %bb.1569:
	global_load_b64 v[2:3], v[0:1], off
	s_wait_loadcnt 0x0
	v_cvt_f16_f32_e32 v2, v2
	v_cvt_f16_f32_e32 v3, v3
.LBB158_1570:
	s_mov_b32 s0, 0
.LBB158_1571:
	s_delay_alu instid0(SALU_CYCLE_1)
	s_and_not1_b32 vcc_lo, exec_lo, s0
	s_cbranch_vccnz .LBB158_1573
; %bb.1572:
	global_load_b32 v2, v[0:1], off
	s_wait_loadcnt 0x0
	v_lshrrev_b32_e32 v3, 16, v2
.LBB158_1573:
	s_mov_b32 s0, 0
.LBB158_1574:
	s_delay_alu instid0(SALU_CYCLE_1)
	s_and_not1_b32 vcc_lo, exec_lo, s0
	s_cbranch_vccnz .LBB158_1592
; %bb.1575:
	s_cmp_lt_i32 s3, 6
	s_cbranch_scc1 .LBB158_1578
; %bb.1576:
	s_cmp_gt_i32 s3, 6
	s_cbranch_scc0 .LBB158_1585
; %bb.1577:
	global_load_b64 v[2:3], v[0:1], off
	s_mov_b32 s0, 0
	s_wait_loadcnt 0x0
	v_and_or_b32 v2, 0x1ff, v3, v2
	v_lshrrev_b32_e32 v5, 8, v3
	v_bfe_u32 v6, v3, 20, 11
	v_lshrrev_b32_e32 v3, 16, v3
	s_delay_alu instid0(VALU_DEP_4) | instskip(NEXT) | instid1(VALU_DEP_3)
	v_cmp_ne_u32_e32 vcc_lo, 0, v2
	v_sub_nc_u32_e32 v7, 0x3f1, v6
	v_add_nc_u32_e32 v6, 0xfffffc10, v6
	v_cndmask_b32_e64 v2, 0, 1, vcc_lo
	s_delay_alu instid0(VALU_DEP_1) | instskip(NEXT) | instid1(VALU_DEP_4)
	v_and_or_b32 v2, 0xffe, v5, v2
	v_med3_i32 v5, v7, 0, 13
	s_delay_alu instid0(VALU_DEP_2) | instskip(NEXT) | instid1(VALU_DEP_1)
	v_or_b32_e32 v7, 0x1000, v2
	v_lshrrev_b32_e32 v8, v5, v7
	s_delay_alu instid0(VALU_DEP_1) | instskip(NEXT) | instid1(VALU_DEP_1)
	v_lshlrev_b32_e32 v5, v5, v8
	v_cmp_ne_u32_e32 vcc_lo, v5, v7
	v_lshl_or_b32 v7, v6, 12, v2
	v_cndmask_b32_e64 v5, 0, 1, vcc_lo
	v_cmp_gt_i32_e32 vcc_lo, 1, v6
	s_delay_alu instid0(VALU_DEP_2) | instskip(NEXT) | instid1(VALU_DEP_1)
	v_or_b32_e32 v5, v8, v5
	v_cndmask_b32_e32 v5, v7, v5, vcc_lo
	s_delay_alu instid0(VALU_DEP_1) | instskip(NEXT) | instid1(VALU_DEP_1)
	v_dual_lshrrev_b32 v5, 2, v5 :: v_dual_bitop2_b32 v7, 7, v5 bitop3:0x40
	v_cmp_lt_i32_e32 vcc_lo, 5, v7
	v_cndmask_b32_e64 v8, 0, 1, vcc_lo
	v_cmp_eq_u32_e32 vcc_lo, 3, v7
	v_cndmask_b32_e64 v7, 0, 1, vcc_lo
	v_cmp_ne_u32_e32 vcc_lo, 0, v2
	s_delay_alu instid0(VALU_DEP_2) | instskip(NEXT) | instid1(VALU_DEP_1)
	v_or_b32_e32 v7, v7, v8
	v_dual_mov_b32 v8, 0x7e00 :: v_dual_add_nc_u32 v5, v5, v7
	s_delay_alu instid0(VALU_DEP_1) | instskip(SKIP_1) | instid1(VALU_DEP_3)
	v_cndmask_b32_e32 v2, 0x7c00, v8, vcc_lo
	v_cmp_gt_i32_e32 vcc_lo, 31, v6
	v_cndmask_b32_e32 v5, 0x7c00, v5, vcc_lo
	v_cmp_eq_u32_e32 vcc_lo, 0x40f, v6
	s_delay_alu instid0(VALU_DEP_2) | instskip(NEXT) | instid1(VALU_DEP_1)
	v_cndmask_b32_e32 v2, v5, v2, vcc_lo
	v_and_or_b32 v2, 0x8000, v3, v2
	s_branch .LBB158_1586
.LBB158_1578:
	s_mov_b32 s0, -1
                                        ; implicit-def: $vgpr2
	s_branch .LBB158_1589
.LBB158_1579:
	s_mov_b32 s0, -1
.LBB158_1580:
                                        ; implicit-def: $vgpr2
.LBB158_1581:
	s_and_b32 vcc_lo, exec_lo, s6
	s_mov_b32 s6, 0
	s_cbranch_vccz .LBB158_1583
; %bb.1582:
	s_cmp_lg_u32 s3, 11
	s_mov_b32 s6, -1
	s_cselect_b32 s0, -1, 0
.LBB158_1583:
	s_wait_xcnt 0x0
	v_mov_b32_e32 v3, 0
	s_and_b32 vcc_lo, exec_lo, s0
	s_cbranch_vccz .LBB158_1537
.LBB158_1584:
	s_or_b32 s1, s1, exec_lo
	s_trap 2
	s_cbranch_execz .LBB158_1538
	s_branch .LBB158_1539
.LBB158_1585:
	s_mov_b32 s0, -1
                                        ; implicit-def: $vgpr2
.LBB158_1586:
	s_delay_alu instid0(SALU_CYCLE_1)
	s_and_not1_b32 vcc_lo, exec_lo, s0
	s_cbranch_vccnz .LBB158_1588
; %bb.1587:
	global_load_b32 v2, v[0:1], off
	s_wait_loadcnt 0x0
	v_cvt_f16_f32_e32 v2, v2
.LBB158_1588:
	s_mov_b32 s0, 0
.LBB158_1589:
	s_delay_alu instid0(SALU_CYCLE_1)
	s_and_not1_b32 vcc_lo, exec_lo, s0
	s_cbranch_vccnz .LBB158_1591
; %bb.1590:
	global_load_u16 v2, v[0:1], off
.LBB158_1591:
	s_wait_xcnt 0x0
	v_mov_b32_e32 v3, 0
.LBB158_1592:
	s_mov_b32 s0, 0
.LBB158_1593:
	s_delay_alu instid0(SALU_CYCLE_1)
	s_and_not1_b32 vcc_lo, exec_lo, s0
	s_cbranch_vccnz .LBB158_1614
; %bb.1594:
	s_cmp_lt_i32 s3, 2
	s_cbranch_scc1 .LBB158_1598
; %bb.1595:
	s_cmp_lt_i32 s3, 3
	s_cbranch_scc1 .LBB158_1599
; %bb.1596:
	s_cmp_gt_i32 s3, 3
	s_cbranch_scc0 .LBB158_1600
; %bb.1597:
	s_wait_loadcnt 0x0
	global_load_b64 v[2:3], v[0:1], off
	s_mov_b32 s0, 0
	s_wait_loadcnt 0x0
	v_xor_b32_e32 v5, v2, v3
	v_cls_i32_e32 v6, v3
	s_delay_alu instid0(VALU_DEP_2) | instskip(NEXT) | instid1(VALU_DEP_1)
	v_ashrrev_i32_e32 v5, 31, v5
	v_add_nc_u32_e32 v5, 32, v5
	s_delay_alu instid0(VALU_DEP_1) | instskip(NEXT) | instid1(VALU_DEP_1)
	v_add_min_u32_e64 v5, v6, -1, v5
	v_lshlrev_b64_e32 v[2:3], v5, v[2:3]
	s_delay_alu instid0(VALU_DEP_1) | instskip(NEXT) | instid1(VALU_DEP_1)
	v_min_u32_e32 v2, 1, v2
	v_dual_sub_nc_u32 v3, 32, v5 :: v_dual_bitop2_b32 v2, v3, v2 bitop3:0x54
	s_delay_alu instid0(VALU_DEP_1) | instskip(NEXT) | instid1(VALU_DEP_1)
	v_cvt_f32_i32_e32 v2, v2
	v_ldexp_f32 v2, v2, v3
	s_delay_alu instid0(VALU_DEP_1)
	v_cvt_f16_f32_e32 v2, v2
	s_branch .LBB158_1601
.LBB158_1598:
	s_mov_b32 s0, -1
                                        ; implicit-def: $vgpr2
	s_branch .LBB158_1607
.LBB158_1599:
	s_mov_b32 s0, -1
                                        ; implicit-def: $vgpr2
	s_branch .LBB158_1604
.LBB158_1600:
	s_mov_b32 s0, -1
                                        ; implicit-def: $vgpr2
.LBB158_1601:
	s_delay_alu instid0(SALU_CYCLE_1)
	s_and_not1_b32 vcc_lo, exec_lo, s0
	s_cbranch_vccnz .LBB158_1603
; %bb.1602:
	s_wait_loadcnt 0x0
	global_load_b32 v2, v[0:1], off
	s_wait_loadcnt 0x0
	v_cvt_f32_i32_e32 v2, v2
	s_delay_alu instid0(VALU_DEP_1)
	v_cvt_f16_f32_e32 v2, v2
.LBB158_1603:
	s_mov_b32 s0, 0
.LBB158_1604:
	s_delay_alu instid0(SALU_CYCLE_1)
	s_and_not1_b32 vcc_lo, exec_lo, s0
	s_cbranch_vccnz .LBB158_1606
; %bb.1605:
	s_wait_loadcnt 0x0
	global_load_u16 v2, v[0:1], off
	s_wait_loadcnt 0x0
	v_cvt_f16_i16_e32 v2, v2
.LBB158_1606:
	s_mov_b32 s0, 0
.LBB158_1607:
	s_delay_alu instid0(SALU_CYCLE_1)
	s_and_not1_b32 vcc_lo, exec_lo, s0
	s_cbranch_vccnz .LBB158_1613
; %bb.1608:
	s_cmp_gt_i32 s3, 0
	s_mov_b32 s0, 0
	s_cbranch_scc0 .LBB158_1610
; %bb.1609:
	s_wait_loadcnt 0x0
	global_load_i8 v2, v[0:1], off
	s_wait_loadcnt 0x0
	v_cvt_f16_i16_e32 v2, v2
	s_branch .LBB158_1611
.LBB158_1610:
	s_mov_b32 s0, -1
                                        ; implicit-def: $vgpr2
.LBB158_1611:
	s_delay_alu instid0(SALU_CYCLE_1)
	s_and_not1_b32 vcc_lo, exec_lo, s0
	s_cbranch_vccnz .LBB158_1613
; %bb.1612:
	global_load_u8 v0, v[0:1], off
	s_wait_loadcnt 0x0
	v_cvt_f16_u16_e32 v2, v0
.LBB158_1613:
	s_wait_xcnt 0x0
	v_mov_b32_e32 v3, 0
.LBB158_1614:
	s_mov_b32 s7, -1
.LBB158_1615:
	s_delay_alu instid0(SALU_CYCLE_1)
	s_and_not1_b32 vcc_lo, exec_lo, s7
	s_cbranch_vccnz .LBB158_1618
; %bb.1616:
	s_and_b32 vcc_lo, exec_lo, s15
	s_cbranch_vccz .LBB158_1664
; %bb.1617:
	s_wait_loadcnt 0x0
	v_cmp_neq_f16_e32 vcc_lo, s11, v2
	v_cmp_neq_f16_e64 s0, s16, v3
	s_or_b32 s15, vcc_lo, s0
	s_mov_b32 s0, 0
	s_branch .LBB158_1665
.LBB158_1618:
	s_mov_b32 s0, 0
	s_mov_b32 s3, 0
                                        ; implicit-def: $sgpr15
.LBB158_1619:
                                        ; implicit-def: $sgpr16
                                        ; implicit-def: $vgpr0_vgpr1
.LBB158_1620:
	s_and_not1_b32 s2, s13, exec_lo
	s_and_b32 s4, s1, exec_lo
	s_and_b32 s0, s0, exec_lo
	s_and_b32 s1, s3, exec_lo
	s_or_b32 s13, s2, s4
.LBB158_1621:
	s_wait_xcnt 0x0
	s_or_b32 exec_lo, exec_lo, s12
	s_and_saveexec_b32 s2, s13
	s_cbranch_execz .LBB158_1624
; %bb.1622:
	; divergent unreachable
	s_or_b32 exec_lo, exec_lo, s2
	s_and_saveexec_b32 s2, s1
	s_delay_alu instid0(SALU_CYCLE_1)
	s_xor_b32 s1, exec_lo, s2
	s_cbranch_execnz .LBB158_1625
.LBB158_1623:
	s_or_b32 exec_lo, exec_lo, s1
	s_and_saveexec_b32 s1, s0
	s_cbranch_execnz .LBB158_1626
	s_branch .LBB158_1663
.LBB158_1624:
	s_or_b32 exec_lo, exec_lo, s2
	s_and_saveexec_b32 s2, s1
	s_delay_alu instid0(SALU_CYCLE_1)
	s_xor_b32 s1, exec_lo, s2
	s_cbranch_execz .LBB158_1623
.LBB158_1625:
	s_wait_loadcnt 0x0
	v_cndmask_b32_e64 v2, 0, 1, s15
	global_store_b8 v[0:1], v2, off
	s_wait_xcnt 0x0
	s_or_b32 exec_lo, exec_lo, s1
	s_and_saveexec_b32 s1, s0
	s_cbranch_execz .LBB158_1663
.LBB158_1626:
	s_sext_i32_i16 s1, s16
	s_mov_b32 s0, -1
	s_cmp_lt_i32 s1, 5
	s_cbranch_scc1 .LBB158_1647
; %bb.1627:
	s_cmp_lt_i32 s1, 8
	s_cbranch_scc1 .LBB158_1637
; %bb.1628:
	;; [unrolled: 3-line block ×3, first 2 shown]
	s_cmp_gt_i32 s1, 9
	s_cbranch_scc0 .LBB158_1631
; %bb.1630:
	s_wait_loadcnt 0x0
	v_cndmask_b32_e64 v2, 0, 1, s15
	v_mov_b32_e32 v4, 0
	s_mov_b32 s0, 0
	s_delay_alu instid0(VALU_DEP_2) | instskip(NEXT) | instid1(VALU_DEP_2)
	v_cvt_f64_u32_e32 v[2:3], v2
	v_mov_b32_e32 v5, v4
	global_store_b128 v[0:1], v[2:5], off
.LBB158_1631:
	s_and_not1_b32 vcc_lo, exec_lo, s0
	s_cbranch_vccnz .LBB158_1633
; %bb.1632:
	s_wait_loadcnt 0x0
	v_cndmask_b32_e64 v2, 0, 1.0, s15
	v_mov_b32_e32 v3, 0
	global_store_b64 v[0:1], v[2:3], off
.LBB158_1633:
	s_mov_b32 s0, 0
.LBB158_1634:
	s_delay_alu instid0(SALU_CYCLE_1)
	s_and_not1_b32 vcc_lo, exec_lo, s0
	s_cbranch_vccnz .LBB158_1636
; %bb.1635:
	s_wait_loadcnt 0x0
	v_cndmask_b32_e64 v2, 0, 1.0, s15
	s_delay_alu instid0(VALU_DEP_1) | instskip(NEXT) | instid1(VALU_DEP_1)
	v_cvt_f16_f32_e32 v2, v2
	v_and_b32_e32 v2, 0xffff, v2
	global_store_b32 v[0:1], v2, off
.LBB158_1636:
	s_mov_b32 s0, 0
.LBB158_1637:
	s_delay_alu instid0(SALU_CYCLE_1)
	s_and_not1_b32 vcc_lo, exec_lo, s0
	s_cbranch_vccnz .LBB158_1646
; %bb.1638:
	s_sext_i32_i16 s1, s16
	s_mov_b32 s0, -1
	s_cmp_lt_i32 s1, 6
	s_cbranch_scc1 .LBB158_1644
; %bb.1639:
	s_cmp_gt_i32 s1, 6
	s_cbranch_scc0 .LBB158_1641
; %bb.1640:
	s_wait_loadcnt 0x0
	v_cndmask_b32_e64 v2, 0, 1, s15
	s_mov_b32 s0, 0
	s_delay_alu instid0(VALU_DEP_1)
	v_cvt_f64_u32_e32 v[2:3], v2
	global_store_b64 v[0:1], v[2:3], off
.LBB158_1641:
	s_and_not1_b32 vcc_lo, exec_lo, s0
	s_cbranch_vccnz .LBB158_1643
; %bb.1642:
	s_wait_loadcnt 0x0
	v_cndmask_b32_e64 v2, 0, 1.0, s15
	global_store_b32 v[0:1], v2, off
.LBB158_1643:
	s_mov_b32 s0, 0
.LBB158_1644:
	s_delay_alu instid0(SALU_CYCLE_1)
	s_and_not1_b32 vcc_lo, exec_lo, s0
	s_cbranch_vccnz .LBB158_1646
; %bb.1645:
	s_wait_loadcnt 0x0
	v_cndmask_b32_e64 v2, 0, 1.0, s15
	s_delay_alu instid0(VALU_DEP_1)
	v_cvt_f16_f32_e32 v2, v2
	global_store_b16 v[0:1], v2, off
.LBB158_1646:
	s_mov_b32 s0, 0
.LBB158_1647:
	s_delay_alu instid0(SALU_CYCLE_1)
	s_and_not1_b32 vcc_lo, exec_lo, s0
	s_cbranch_vccnz .LBB158_1663
; %bb.1648:
	s_sext_i32_i16 s1, s16
	s_mov_b32 s0, -1
	s_cmp_lt_i32 s1, 2
	s_cbranch_scc1 .LBB158_1658
; %bb.1649:
	s_cmp_lt_i32 s1, 3
	s_cbranch_scc1 .LBB158_1655
; %bb.1650:
	s_cmp_gt_i32 s1, 3
	s_cbranch_scc0 .LBB158_1652
; %bb.1651:
	s_mov_b32 s0, 0
	s_wait_loadcnt 0x0
	v_cndmask_b32_e64 v2, 0, 1, s15
	v_mov_b32_e32 v3, s0
	global_store_b64 v[0:1], v[2:3], off
.LBB158_1652:
	s_and_not1_b32 vcc_lo, exec_lo, s0
	s_cbranch_vccnz .LBB158_1654
; %bb.1653:
	s_wait_loadcnt 0x0
	v_cndmask_b32_e64 v2, 0, 1, s15
	global_store_b32 v[0:1], v2, off
.LBB158_1654:
	s_mov_b32 s0, 0
.LBB158_1655:
	s_delay_alu instid0(SALU_CYCLE_1)
	s_and_not1_b32 vcc_lo, exec_lo, s0
	s_cbranch_vccnz .LBB158_1657
; %bb.1656:
	s_wait_loadcnt 0x0
	v_cndmask_b32_e64 v2, 0, 1, s15
	global_store_b16 v[0:1], v2, off
.LBB158_1657:
	s_mov_b32 s0, 0
.LBB158_1658:
	s_delay_alu instid0(SALU_CYCLE_1)
	s_and_not1_b32 vcc_lo, exec_lo, s0
	s_cbranch_vccnz .LBB158_1663
; %bb.1659:
	s_wait_loadcnt 0x0
	v_cndmask_b32_e64 v2, 0, 1, s15
	s_sext_i32_i16 s0, s16
	s_delay_alu instid0(SALU_CYCLE_1)
	s_cmp_gt_i32 s0, 0
	s_mov_b32 s0, -1
	s_cbranch_scc0 .LBB158_1661
; %bb.1660:
	s_mov_b32 s0, 0
	global_store_b8 v[0:1], v2, off
.LBB158_1661:
	s_and_not1_b32 vcc_lo, exec_lo, s0
	s_cbranch_vccnz .LBB158_1663
; %bb.1662:
	global_store_b8 v[0:1], v2, off
	s_endpgm
.LBB158_1663:
	s_endpgm
.LBB158_1664:
	s_mov_b32 s0, -1
                                        ; implicit-def: $sgpr15
.LBB158_1665:
	s_delay_alu instid0(SALU_CYCLE_1)
	s_and_not1_b32 vcc_lo, exec_lo, s0
	s_cbranch_vccnz .LBB158_1667
; %bb.1666:
	s_wait_loadcnt 0x0
	v_cmp_eq_f16_e32 vcc_lo, s11, v2
	v_cmp_eq_f16_e64 s0, s16, v3
	s_and_not1_b32 s3, s15, exec_lo
	s_and_b32 s0, vcc_lo, s0
	s_delay_alu instid0(SALU_CYCLE_1) | instskip(NEXT) | instid1(SALU_CYCLE_1)
	s_and_b32 s0, s0, exec_lo
	s_or_b32 s15, s3, s0
.LBB158_1667:
	s_wait_xcnt 0x0
	v_mul_lo_u32 v0, s8, v4
	s_and_b32 s16, s2, 0xff
	s_delay_alu instid0(SALU_CYCLE_1) | instskip(NEXT) | instid1(VALU_DEP_1)
	s_cmp_lt_i32 s16, 11
	v_ashrrev_i32_e32 v1, 31, v0
	s_wait_loadcnt 0x0
	s_delay_alu instid0(VALU_DEP_1)
	v_add_nc_u64_e32 v[2:3], s[4:5], v[0:1]
	s_cbranch_scc1 .LBB158_1745
; %bb.1668:
	s_and_b32 s2, 0xffff, s16
	s_mov_b32 s7, -1
	s_mov_b32 s3, 0
	s_cmp_gt_i32 s2, 25
	s_mov_b32 s6, 0
	s_mov_b32 s0, 0
	s_cbranch_scc0 .LBB158_1701
; %bb.1669:
	s_cmp_gt_i32 s2, 28
	s_cbranch_scc0 .LBB158_1684
; %bb.1670:
	s_cmp_gt_i32 s2, 43
	;; [unrolled: 3-line block ×3, first 2 shown]
	s_cbranch_scc0 .LBB158_1674
; %bb.1672:
	s_mov_b32 s0, -1
	s_mov_b32 s7, 0
	s_cmp_eq_u32 s2, 46
	s_cbranch_scc0 .LBB158_1674
; %bb.1673:
	v_cndmask_b32_e64 v1, 0, 1.0, s10
	s_mov_b32 s0, 0
	s_mov_b32 s6, -1
	s_delay_alu instid0(VALU_DEP_1) | instskip(NEXT) | instid1(VALU_DEP_1)
	v_bfe_u32 v4, v1, 16, 1
	v_add3_u32 v1, v1, v4, 0x7fff
	s_delay_alu instid0(VALU_DEP_1)
	v_lshrrev_b32_e32 v1, 16, v1
	global_store_b32 v[2:3], v1, off
.LBB158_1674:
	s_and_b32 vcc_lo, exec_lo, s7
	s_cbranch_vccz .LBB158_1679
; %bb.1675:
	s_cmp_eq_u32 s2, 44
	s_mov_b32 s0, -1
	s_cbranch_scc0 .LBB158_1679
; %bb.1676:
	v_cndmask_b32_e64 v5, 0, 1.0, s10
	s_mov_b32 s6, exec_lo
	s_wait_xcnt 0x0
	s_delay_alu instid0(VALU_DEP_1) | instskip(NEXT) | instid1(VALU_DEP_1)
	v_dual_mov_b32 v4, 0xff :: v_dual_lshrrev_b32 v1, 23, v5
	v_cmpx_ne_u32_e32 0xff, v1
; %bb.1677:
	v_and_b32_e32 v4, 0x400000, v5
	v_and_or_b32 v5, 0x3fffff, v5, v1
	s_delay_alu instid0(VALU_DEP_2) | instskip(NEXT) | instid1(VALU_DEP_2)
	v_cmp_ne_u32_e32 vcc_lo, 0, v4
	v_cmp_ne_u32_e64 s0, 0, v5
	s_and_b32 s0, vcc_lo, s0
	s_delay_alu instid0(SALU_CYCLE_1) | instskip(NEXT) | instid1(VALU_DEP_1)
	v_cndmask_b32_e64 v4, 0, 1, s0
	v_add_nc_u32_e32 v4, v1, v4
; %bb.1678:
	s_or_b32 exec_lo, exec_lo, s6
	s_mov_b32 s0, 0
	s_mov_b32 s6, -1
	global_store_b8 v[2:3], v4, off
.LBB158_1679:
	s_mov_b32 s7, 0
.LBB158_1680:
	s_delay_alu instid0(SALU_CYCLE_1)
	s_and_b32 vcc_lo, exec_lo, s7
	s_cbranch_vccz .LBB158_1683
; %bb.1681:
	s_cmp_eq_u32 s2, 29
	s_mov_b32 s0, -1
	s_cbranch_scc0 .LBB158_1683
; %bb.1682:
	s_mov_b32 s0, 0
	s_wait_xcnt 0x0
	v_cndmask_b32_e64 v4, 0, 1, s10
	v_mov_b32_e32 v5, s0
	s_mov_b32 s6, -1
	global_store_b64 v[2:3], v[4:5], off
.LBB158_1683:
	s_mov_b32 s7, 0
.LBB158_1684:
	s_delay_alu instid0(SALU_CYCLE_1)
	s_and_b32 vcc_lo, exec_lo, s7
	s_cbranch_vccz .LBB158_1700
; %bb.1685:
	s_cmp_lt_i32 s2, 27
	s_mov_b32 s6, -1
	s_cbranch_scc1 .LBB158_1691
; %bb.1686:
	s_cmp_gt_i32 s2, 27
	s_cbranch_scc0 .LBB158_1688
; %bb.1687:
	s_wait_xcnt 0x0
	v_cndmask_b32_e64 v1, 0, 1, s10
	s_mov_b32 s6, 0
	global_store_b32 v[2:3], v1, off
.LBB158_1688:
	s_and_not1_b32 vcc_lo, exec_lo, s6
	s_cbranch_vccnz .LBB158_1690
; %bb.1689:
	s_wait_xcnt 0x0
	v_cndmask_b32_e64 v1, 0, 1, s10
	global_store_b16 v[2:3], v1, off
.LBB158_1690:
	s_mov_b32 s6, 0
.LBB158_1691:
	s_delay_alu instid0(SALU_CYCLE_1)
	s_and_not1_b32 vcc_lo, exec_lo, s6
	s_cbranch_vccnz .LBB158_1699
; %bb.1692:
	s_wait_xcnt 0x0
	v_cndmask_b32_e64 v4, 0, 1.0, s10
	v_mov_b32_e32 v5, 0x80
	s_mov_b32 s6, exec_lo
	s_delay_alu instid0(VALU_DEP_2)
	v_cmpx_gt_u32_e32 0x43800000, v4
	s_cbranch_execz .LBB158_1698
; %bb.1693:
	s_mov_b32 s7, 0
	s_mov_b32 s11, exec_lo
                                        ; implicit-def: $vgpr1
	v_cmpx_lt_u32_e32 0x3bffffff, v4
	s_xor_b32 s11, exec_lo, s11
	s_cbranch_execz .LBB158_2102
; %bb.1694:
	v_bfe_u32 v1, v4, 20, 1
	s_mov_b32 s7, exec_lo
	s_delay_alu instid0(VALU_DEP_1) | instskip(NEXT) | instid1(VALU_DEP_1)
	v_add3_u32 v1, v4, v1, 0x487ffff
                                        ; implicit-def: $vgpr4
	v_lshrrev_b32_e32 v1, 20, v1
	s_and_not1_saveexec_b32 s11, s11
	s_cbranch_execnz .LBB158_2103
.LBB158_1695:
	s_or_b32 exec_lo, exec_lo, s11
	v_mov_b32_e32 v5, 0
	s_and_saveexec_b32 s11, s7
.LBB158_1696:
	v_mov_b32_e32 v5, v1
.LBB158_1697:
	s_or_b32 exec_lo, exec_lo, s11
.LBB158_1698:
	s_delay_alu instid0(SALU_CYCLE_1)
	s_or_b32 exec_lo, exec_lo, s6
	global_store_b8 v[2:3], v5, off
.LBB158_1699:
	s_mov_b32 s6, -1
.LBB158_1700:
	s_mov_b32 s7, 0
.LBB158_1701:
	s_delay_alu instid0(SALU_CYCLE_1)
	s_and_b32 vcc_lo, exec_lo, s7
	s_cbranch_vccz .LBB158_1741
; %bb.1702:
	s_cmp_gt_i32 s2, 22
	s_mov_b32 s3, -1
	s_cbranch_scc0 .LBB158_1734
; %bb.1703:
	s_cmp_lt_i32 s2, 24
	s_cbranch_scc1 .LBB158_1723
; %bb.1704:
	s_cmp_gt_i32 s2, 24
	s_cbranch_scc0 .LBB158_1712
; %bb.1705:
	s_wait_xcnt 0x0
	v_cndmask_b32_e64 v4, 0, 1.0, s10
	v_mov_b32_e32 v5, 0x80
	s_mov_b32 s3, exec_lo
	s_delay_alu instid0(VALU_DEP_2)
	v_cmpx_gt_u32_e32 0x47800000, v4
	s_cbranch_execz .LBB158_1711
; %bb.1706:
	s_mov_b32 s6, 0
	s_mov_b32 s7, exec_lo
                                        ; implicit-def: $vgpr1
	v_cmpx_lt_u32_e32 0x37ffffff, v4
	s_xor_b32 s7, exec_lo, s7
	s_cbranch_execz .LBB158_2105
; %bb.1707:
	v_bfe_u32 v1, v4, 21, 1
	s_mov_b32 s6, exec_lo
	s_delay_alu instid0(VALU_DEP_1) | instskip(NEXT) | instid1(VALU_DEP_1)
	v_add3_u32 v1, v4, v1, 0x88fffff
                                        ; implicit-def: $vgpr4
	v_lshrrev_b32_e32 v1, 21, v1
	s_and_not1_saveexec_b32 s7, s7
	s_cbranch_execnz .LBB158_2106
.LBB158_1708:
	s_or_b32 exec_lo, exec_lo, s7
	v_mov_b32_e32 v5, 0
	s_and_saveexec_b32 s7, s6
.LBB158_1709:
	v_mov_b32_e32 v5, v1
.LBB158_1710:
	s_or_b32 exec_lo, exec_lo, s7
.LBB158_1711:
	s_delay_alu instid0(SALU_CYCLE_1)
	s_or_b32 exec_lo, exec_lo, s3
	s_mov_b32 s3, 0
	global_store_b8 v[2:3], v5, off
.LBB158_1712:
	s_and_b32 vcc_lo, exec_lo, s3
	s_cbranch_vccz .LBB158_1722
; %bb.1713:
	s_wait_xcnt 0x0
	v_cndmask_b32_e64 v4, 0, 1.0, s10
	s_mov_b32 s3, exec_lo
                                        ; implicit-def: $vgpr1
	s_delay_alu instid0(VALU_DEP_1)
	v_cmpx_gt_u32_e32 0x43f00000, v4
	s_xor_b32 s3, exec_lo, s3
	s_cbranch_execz .LBB158_1719
; %bb.1714:
	s_mov_b32 s6, exec_lo
                                        ; implicit-def: $vgpr1
	v_cmpx_lt_u32_e32 0x3c7fffff, v4
	s_xor_b32 s6, exec_lo, s6
; %bb.1715:
	v_bfe_u32 v1, v4, 20, 1
	s_delay_alu instid0(VALU_DEP_1) | instskip(NEXT) | instid1(VALU_DEP_1)
	v_add3_u32 v1, v4, v1, 0x407ffff
	v_and_b32_e32 v4, 0xff00000, v1
	v_lshrrev_b32_e32 v1, 20, v1
	s_delay_alu instid0(VALU_DEP_2) | instskip(NEXT) | instid1(VALU_DEP_2)
	v_cmp_ne_u32_e32 vcc_lo, 0x7f00000, v4
                                        ; implicit-def: $vgpr4
	v_cndmask_b32_e32 v1, 0x7e, v1, vcc_lo
; %bb.1716:
	s_and_not1_saveexec_b32 s6, s6
; %bb.1717:
	v_add_f32_e32 v1, 0x46800000, v4
; %bb.1718:
	s_or_b32 exec_lo, exec_lo, s6
                                        ; implicit-def: $vgpr4
.LBB158_1719:
	s_and_not1_saveexec_b32 s3, s3
; %bb.1720:
	v_mov_b32_e32 v1, 0x7f
	v_cmp_lt_u32_e32 vcc_lo, 0x7f800000, v4
	s_delay_alu instid0(VALU_DEP_2)
	v_cndmask_b32_e32 v1, 0x7e, v1, vcc_lo
; %bb.1721:
	s_or_b32 exec_lo, exec_lo, s3
	global_store_b8 v[2:3], v1, off
.LBB158_1722:
	s_mov_b32 s3, 0
.LBB158_1723:
	s_delay_alu instid0(SALU_CYCLE_1)
	s_and_not1_b32 vcc_lo, exec_lo, s3
	s_cbranch_vccnz .LBB158_1733
; %bb.1724:
	s_wait_xcnt 0x0
	v_cndmask_b32_e64 v4, 0, 1.0, s10
	s_mov_b32 s3, exec_lo
                                        ; implicit-def: $vgpr1
	s_delay_alu instid0(VALU_DEP_1)
	v_cmpx_gt_u32_e32 0x47800000, v4
	s_xor_b32 s3, exec_lo, s3
	s_cbranch_execz .LBB158_1730
; %bb.1725:
	s_mov_b32 s6, exec_lo
                                        ; implicit-def: $vgpr1
	v_cmpx_lt_u32_e32 0x387fffff, v4
	s_xor_b32 s6, exec_lo, s6
; %bb.1726:
	v_bfe_u32 v1, v4, 21, 1
	s_delay_alu instid0(VALU_DEP_1) | instskip(NEXT) | instid1(VALU_DEP_1)
	v_add3_u32 v1, v4, v1, 0x80fffff
                                        ; implicit-def: $vgpr4
	v_lshrrev_b32_e32 v1, 21, v1
; %bb.1727:
	s_and_not1_saveexec_b32 s6, s6
; %bb.1728:
	v_add_f32_e32 v1, 0x43000000, v4
; %bb.1729:
	s_or_b32 exec_lo, exec_lo, s6
                                        ; implicit-def: $vgpr4
.LBB158_1730:
	s_and_not1_saveexec_b32 s3, s3
; %bb.1731:
	v_mov_b32_e32 v1, 0x7f
	v_cmp_lt_u32_e32 vcc_lo, 0x7f800000, v4
	s_delay_alu instid0(VALU_DEP_2)
	v_cndmask_b32_e32 v1, 0x7c, v1, vcc_lo
; %bb.1732:
	s_or_b32 exec_lo, exec_lo, s3
	global_store_b8 v[2:3], v1, off
.LBB158_1733:
	s_mov_b32 s3, 0
	s_mov_b32 s6, -1
.LBB158_1734:
	s_and_not1_b32 vcc_lo, exec_lo, s3
	s_mov_b32 s3, 0
	s_cbranch_vccnz .LBB158_1741
; %bb.1735:
	s_cmp_gt_i32 s2, 14
	s_mov_b32 s3, -1
	s_cbranch_scc0 .LBB158_1739
; %bb.1736:
	s_cmp_eq_u32 s2, 15
	s_mov_b32 s0, -1
	s_cbranch_scc0 .LBB158_1738
; %bb.1737:
	s_wait_xcnt 0x0
	v_cndmask_b32_e64 v1, 0, 1.0, s10
	s_mov_b32 s0, 0
	s_mov_b32 s6, -1
	s_delay_alu instid0(VALU_DEP_1) | instskip(NEXT) | instid1(VALU_DEP_1)
	v_bfe_u32 v4, v1, 16, 1
	v_add3_u32 v1, v1, v4, 0x7fff
	global_store_d16_hi_b16 v[2:3], v1, off
.LBB158_1738:
	s_mov_b32 s3, 0
.LBB158_1739:
	s_delay_alu instid0(SALU_CYCLE_1)
	s_and_b32 vcc_lo, exec_lo, s3
	s_mov_b32 s3, 0
	s_cbranch_vccz .LBB158_1741
; %bb.1740:
	s_cmp_lg_u32 s2, 11
	s_mov_b32 s3, -1
	s_cselect_b32 s0, -1, 0
.LBB158_1741:
	s_delay_alu instid0(SALU_CYCLE_1)
	s_and_b32 vcc_lo, exec_lo, s0
	s_cbranch_vccnz .LBB158_2104
; %bb.1742:
	s_and_not1_b32 vcc_lo, exec_lo, s3
	s_cbranch_vccnz .LBB158_1744
.LBB158_1743:
	s_wait_xcnt 0x0
	v_cndmask_b32_e64 v1, 0, 1, s10
	s_mov_b32 s6, -1
	global_store_b8 v[2:3], v1, off
.LBB158_1744:
	s_mov_b32 s0, 0
	s_branch .LBB158_1746
.LBB158_1745:
	s_mov_b32 s0, -1
	s_mov_b32 s6, 0
.LBB158_1746:
	s_and_b32 vcc_lo, exec_lo, s0
	s_cbranch_vccz .LBB158_1785
; %bb.1747:
	s_and_b32 s0, 0xffff, s16
	s_mov_b32 s2, -1
	s_cmp_lt_i32 s0, 5
	s_cbranch_scc1 .LBB158_1768
; %bb.1748:
	s_cmp_lt_i32 s0, 8
	s_cbranch_scc1 .LBB158_1758
; %bb.1749:
	;; [unrolled: 3-line block ×3, first 2 shown]
	s_cmp_gt_i32 s0, 9
	s_cbranch_scc0 .LBB158_1752
; %bb.1751:
	s_wait_xcnt 0x0
	v_cndmask_b32_e64 v1, 0, 1, s10
	v_mov_b32_e32 v6, 0
	s_mov_b32 s2, 0
	s_delay_alu instid0(VALU_DEP_2) | instskip(NEXT) | instid1(VALU_DEP_2)
	v_cvt_f64_u32_e32 v[4:5], v1
	v_mov_b32_e32 v7, v6
	global_store_b128 v[2:3], v[4:7], off
.LBB158_1752:
	s_and_not1_b32 vcc_lo, exec_lo, s2
	s_cbranch_vccnz .LBB158_1754
; %bb.1753:
	s_wait_xcnt 0x0
	v_cndmask_b32_e64 v4, 0, 1.0, s10
	v_mov_b32_e32 v5, 0
	global_store_b64 v[2:3], v[4:5], off
.LBB158_1754:
	s_mov_b32 s2, 0
.LBB158_1755:
	s_delay_alu instid0(SALU_CYCLE_1)
	s_and_not1_b32 vcc_lo, exec_lo, s2
	s_cbranch_vccnz .LBB158_1757
; %bb.1756:
	s_wait_xcnt 0x0
	v_cndmask_b32_e64 v1, 0, 1.0, s10
	s_delay_alu instid0(VALU_DEP_1) | instskip(NEXT) | instid1(VALU_DEP_1)
	v_cvt_f16_f32_e32 v1, v1
	v_and_b32_e32 v1, 0xffff, v1
	global_store_b32 v[2:3], v1, off
.LBB158_1757:
	s_mov_b32 s2, 0
.LBB158_1758:
	s_delay_alu instid0(SALU_CYCLE_1)
	s_and_not1_b32 vcc_lo, exec_lo, s2
	s_cbranch_vccnz .LBB158_1767
; %bb.1759:
	s_cmp_lt_i32 s0, 6
	s_mov_b32 s2, -1
	s_cbranch_scc1 .LBB158_1765
; %bb.1760:
	s_cmp_gt_i32 s0, 6
	s_cbranch_scc0 .LBB158_1762
; %bb.1761:
	s_wait_xcnt 0x0
	v_cndmask_b32_e64 v1, 0, 1, s10
	s_mov_b32 s2, 0
	s_delay_alu instid0(VALU_DEP_1)
	v_cvt_f64_u32_e32 v[4:5], v1
	global_store_b64 v[2:3], v[4:5], off
.LBB158_1762:
	s_and_not1_b32 vcc_lo, exec_lo, s2
	s_cbranch_vccnz .LBB158_1764
; %bb.1763:
	s_wait_xcnt 0x0
	v_cndmask_b32_e64 v1, 0, 1.0, s10
	global_store_b32 v[2:3], v1, off
.LBB158_1764:
	s_mov_b32 s2, 0
.LBB158_1765:
	s_delay_alu instid0(SALU_CYCLE_1)
	s_and_not1_b32 vcc_lo, exec_lo, s2
	s_cbranch_vccnz .LBB158_1767
; %bb.1766:
	s_wait_xcnt 0x0
	v_cndmask_b32_e64 v1, 0, 1.0, s10
	s_delay_alu instid0(VALU_DEP_1)
	v_cvt_f16_f32_e32 v1, v1
	global_store_b16 v[2:3], v1, off
.LBB158_1767:
	s_mov_b32 s2, 0
.LBB158_1768:
	s_delay_alu instid0(SALU_CYCLE_1)
	s_and_not1_b32 vcc_lo, exec_lo, s2
	s_cbranch_vccnz .LBB158_1784
; %bb.1769:
	s_cmp_lt_i32 s0, 2
	s_mov_b32 s2, -1
	s_cbranch_scc1 .LBB158_1779
; %bb.1770:
	s_cmp_lt_i32 s0, 3
	s_cbranch_scc1 .LBB158_1776
; %bb.1771:
	s_cmp_gt_i32 s0, 3
	s_cbranch_scc0 .LBB158_1773
; %bb.1772:
	s_mov_b32 s2, 0
	s_wait_xcnt 0x0
	v_cndmask_b32_e64 v4, 0, 1, s10
	v_mov_b32_e32 v5, s2
	global_store_b64 v[2:3], v[4:5], off
.LBB158_1773:
	s_and_not1_b32 vcc_lo, exec_lo, s2
	s_cbranch_vccnz .LBB158_1775
; %bb.1774:
	s_wait_xcnt 0x0
	v_cndmask_b32_e64 v1, 0, 1, s10
	global_store_b32 v[2:3], v1, off
.LBB158_1775:
	s_mov_b32 s2, 0
.LBB158_1776:
	s_delay_alu instid0(SALU_CYCLE_1)
	s_and_not1_b32 vcc_lo, exec_lo, s2
	s_cbranch_vccnz .LBB158_1778
; %bb.1777:
	s_wait_xcnt 0x0
	v_cndmask_b32_e64 v1, 0, 1, s10
	global_store_b16 v[2:3], v1, off
.LBB158_1778:
	s_mov_b32 s2, 0
.LBB158_1779:
	s_delay_alu instid0(SALU_CYCLE_1)
	s_and_not1_b32 vcc_lo, exec_lo, s2
	s_cbranch_vccnz .LBB158_1784
; %bb.1780:
	s_wait_xcnt 0x0
	v_cndmask_b32_e64 v1, 0, 1, s10
	s_cmp_gt_i32 s0, 0
	s_mov_b32 s0, -1
	s_cbranch_scc0 .LBB158_1782
; %bb.1781:
	s_mov_b32 s0, 0
	global_store_b8 v[2:3], v1, off
.LBB158_1782:
	s_and_not1_b32 vcc_lo, exec_lo, s0
	s_cbranch_vccnz .LBB158_1784
; %bb.1783:
	global_store_b8 v[2:3], v1, off
.LBB158_1784:
	s_mov_b32 s6, -1
.LBB158_1785:
	s_delay_alu instid0(SALU_CYCLE_1)
	s_and_not1_b32 vcc_lo, exec_lo, s6
	s_cbranch_vccnz .LBB158_2100
; %bb.1786:
	s_lshl_b32 s2, s8, 7
	s_cmp_lt_i32 s16, 11
	v_add_nc_u32_e32 v0, s2, v0
	s_wait_xcnt 0x0
	s_delay_alu instid0(VALU_DEP_1) | instskip(NEXT) | instid1(VALU_DEP_1)
	v_ashrrev_i32_e32 v1, 31, v0
	v_add_nc_u64_e32 v[2:3], s[4:5], v[0:1]
	s_cbranch_scc1 .LBB158_1864
; %bb.1787:
	s_and_b32 s3, 0xffff, s16
	s_mov_b32 s8, -1
	s_mov_b32 s6, 0
	s_cmp_gt_i32 s3, 25
	s_mov_b32 s7, 0
	s_mov_b32 s0, 0
	s_cbranch_scc0 .LBB158_1820
; %bb.1788:
	s_cmp_gt_i32 s3, 28
	s_cbranch_scc0 .LBB158_1803
; %bb.1789:
	s_cmp_gt_i32 s3, 43
	;; [unrolled: 3-line block ×3, first 2 shown]
	s_cbranch_scc0 .LBB158_1793
; %bb.1791:
	s_mov_b32 s0, -1
	s_mov_b32 s8, 0
	s_cmp_eq_u32 s3, 46
	s_cbranch_scc0 .LBB158_1793
; %bb.1792:
	v_cndmask_b32_e64 v1, 0, 1.0, s9
	s_mov_b32 s0, 0
	s_mov_b32 s7, -1
	s_delay_alu instid0(VALU_DEP_1) | instskip(NEXT) | instid1(VALU_DEP_1)
	v_bfe_u32 v4, v1, 16, 1
	v_add3_u32 v1, v1, v4, 0x7fff
	s_delay_alu instid0(VALU_DEP_1)
	v_lshrrev_b32_e32 v1, 16, v1
	global_store_b32 v[2:3], v1, off
.LBB158_1793:
	s_and_b32 vcc_lo, exec_lo, s8
	s_cbranch_vccz .LBB158_1798
; %bb.1794:
	s_cmp_eq_u32 s3, 44
	s_mov_b32 s0, -1
	s_cbranch_scc0 .LBB158_1798
; %bb.1795:
	v_cndmask_b32_e64 v5, 0, 1.0, s9
	s_mov_b32 s7, exec_lo
	s_wait_xcnt 0x0
	s_delay_alu instid0(VALU_DEP_1) | instskip(NEXT) | instid1(VALU_DEP_1)
	v_dual_mov_b32 v4, 0xff :: v_dual_lshrrev_b32 v1, 23, v5
	v_cmpx_ne_u32_e32 0xff, v1
; %bb.1796:
	v_and_b32_e32 v4, 0x400000, v5
	v_and_or_b32 v5, 0x3fffff, v5, v1
	s_delay_alu instid0(VALU_DEP_2) | instskip(NEXT) | instid1(VALU_DEP_2)
	v_cmp_ne_u32_e32 vcc_lo, 0, v4
	v_cmp_ne_u32_e64 s0, 0, v5
	s_and_b32 s0, vcc_lo, s0
	s_delay_alu instid0(SALU_CYCLE_1) | instskip(NEXT) | instid1(VALU_DEP_1)
	v_cndmask_b32_e64 v4, 0, 1, s0
	v_add_nc_u32_e32 v4, v1, v4
; %bb.1797:
	s_or_b32 exec_lo, exec_lo, s7
	s_mov_b32 s0, 0
	s_mov_b32 s7, -1
	global_store_b8 v[2:3], v4, off
.LBB158_1798:
	s_mov_b32 s8, 0
.LBB158_1799:
	s_delay_alu instid0(SALU_CYCLE_1)
	s_and_b32 vcc_lo, exec_lo, s8
	s_cbranch_vccz .LBB158_1802
; %bb.1800:
	s_cmp_eq_u32 s3, 29
	s_mov_b32 s0, -1
	s_cbranch_scc0 .LBB158_1802
; %bb.1801:
	s_mov_b32 s0, 0
	s_wait_xcnt 0x0
	v_cndmask_b32_e64 v4, 0, 1, s9
	v_mov_b32_e32 v5, s0
	s_mov_b32 s7, -1
	global_store_b64 v[2:3], v[4:5], off
.LBB158_1802:
	s_mov_b32 s8, 0
.LBB158_1803:
	s_delay_alu instid0(SALU_CYCLE_1)
	s_and_b32 vcc_lo, exec_lo, s8
	s_cbranch_vccz .LBB158_1819
; %bb.1804:
	s_cmp_lt_i32 s3, 27
	s_mov_b32 s7, -1
	s_cbranch_scc1 .LBB158_1810
; %bb.1805:
	s_cmp_gt_i32 s3, 27
	s_cbranch_scc0 .LBB158_1807
; %bb.1806:
	s_wait_xcnt 0x0
	v_cndmask_b32_e64 v1, 0, 1, s9
	s_mov_b32 s7, 0
	global_store_b32 v[2:3], v1, off
.LBB158_1807:
	s_and_not1_b32 vcc_lo, exec_lo, s7
	s_cbranch_vccnz .LBB158_1809
; %bb.1808:
	s_wait_xcnt 0x0
	v_cndmask_b32_e64 v1, 0, 1, s9
	global_store_b16 v[2:3], v1, off
.LBB158_1809:
	s_mov_b32 s7, 0
.LBB158_1810:
	s_delay_alu instid0(SALU_CYCLE_1)
	s_and_not1_b32 vcc_lo, exec_lo, s7
	s_cbranch_vccnz .LBB158_1818
; %bb.1811:
	s_wait_xcnt 0x0
	v_cndmask_b32_e64 v4, 0, 1.0, s9
	v_mov_b32_e32 v5, 0x80
	s_mov_b32 s7, exec_lo
	s_delay_alu instid0(VALU_DEP_2)
	v_cmpx_gt_u32_e32 0x43800000, v4
	s_cbranch_execz .LBB158_1817
; %bb.1812:
	s_mov_b32 s8, 0
	s_mov_b32 s10, exec_lo
                                        ; implicit-def: $vgpr1
	v_cmpx_lt_u32_e32 0x3bffffff, v4
	s_xor_b32 s10, exec_lo, s10
	s_cbranch_execz .LBB158_2107
; %bb.1813:
	v_bfe_u32 v1, v4, 20, 1
	s_mov_b32 s8, exec_lo
	s_delay_alu instid0(VALU_DEP_1) | instskip(NEXT) | instid1(VALU_DEP_1)
	v_add3_u32 v1, v4, v1, 0x487ffff
                                        ; implicit-def: $vgpr4
	v_lshrrev_b32_e32 v1, 20, v1
	s_and_not1_saveexec_b32 s10, s10
	s_cbranch_execnz .LBB158_2108
.LBB158_1814:
	s_or_b32 exec_lo, exec_lo, s10
	v_mov_b32_e32 v5, 0
	s_and_saveexec_b32 s10, s8
.LBB158_1815:
	v_mov_b32_e32 v5, v1
.LBB158_1816:
	s_or_b32 exec_lo, exec_lo, s10
.LBB158_1817:
	s_delay_alu instid0(SALU_CYCLE_1)
	s_or_b32 exec_lo, exec_lo, s7
	global_store_b8 v[2:3], v5, off
.LBB158_1818:
	s_mov_b32 s7, -1
.LBB158_1819:
	s_mov_b32 s8, 0
.LBB158_1820:
	s_delay_alu instid0(SALU_CYCLE_1)
	s_and_b32 vcc_lo, exec_lo, s8
	s_cbranch_vccz .LBB158_1860
; %bb.1821:
	s_cmp_gt_i32 s3, 22
	s_mov_b32 s6, -1
	s_cbranch_scc0 .LBB158_1853
; %bb.1822:
	s_cmp_lt_i32 s3, 24
	s_cbranch_scc1 .LBB158_1842
; %bb.1823:
	s_cmp_gt_i32 s3, 24
	s_cbranch_scc0 .LBB158_1831
; %bb.1824:
	s_wait_xcnt 0x0
	v_cndmask_b32_e64 v4, 0, 1.0, s9
	v_mov_b32_e32 v5, 0x80
	s_mov_b32 s6, exec_lo
	s_delay_alu instid0(VALU_DEP_2)
	v_cmpx_gt_u32_e32 0x47800000, v4
	s_cbranch_execz .LBB158_1830
; %bb.1825:
	s_mov_b32 s7, 0
	s_mov_b32 s8, exec_lo
                                        ; implicit-def: $vgpr1
	v_cmpx_lt_u32_e32 0x37ffffff, v4
	s_xor_b32 s8, exec_lo, s8
	s_cbranch_execz .LBB158_2110
; %bb.1826:
	v_bfe_u32 v1, v4, 21, 1
	s_mov_b32 s7, exec_lo
	s_delay_alu instid0(VALU_DEP_1) | instskip(NEXT) | instid1(VALU_DEP_1)
	v_add3_u32 v1, v4, v1, 0x88fffff
                                        ; implicit-def: $vgpr4
	v_lshrrev_b32_e32 v1, 21, v1
	s_and_not1_saveexec_b32 s8, s8
	s_cbranch_execnz .LBB158_2111
.LBB158_1827:
	s_or_b32 exec_lo, exec_lo, s8
	v_mov_b32_e32 v5, 0
	s_and_saveexec_b32 s8, s7
.LBB158_1828:
	v_mov_b32_e32 v5, v1
.LBB158_1829:
	s_or_b32 exec_lo, exec_lo, s8
.LBB158_1830:
	s_delay_alu instid0(SALU_CYCLE_1)
	s_or_b32 exec_lo, exec_lo, s6
	s_mov_b32 s6, 0
	global_store_b8 v[2:3], v5, off
.LBB158_1831:
	s_and_b32 vcc_lo, exec_lo, s6
	s_cbranch_vccz .LBB158_1841
; %bb.1832:
	s_wait_xcnt 0x0
	v_cndmask_b32_e64 v4, 0, 1.0, s9
	s_mov_b32 s6, exec_lo
                                        ; implicit-def: $vgpr1
	s_delay_alu instid0(VALU_DEP_1)
	v_cmpx_gt_u32_e32 0x43f00000, v4
	s_xor_b32 s6, exec_lo, s6
	s_cbranch_execz .LBB158_1838
; %bb.1833:
	s_mov_b32 s7, exec_lo
                                        ; implicit-def: $vgpr1
	v_cmpx_lt_u32_e32 0x3c7fffff, v4
	s_xor_b32 s7, exec_lo, s7
; %bb.1834:
	v_bfe_u32 v1, v4, 20, 1
	s_delay_alu instid0(VALU_DEP_1) | instskip(NEXT) | instid1(VALU_DEP_1)
	v_add3_u32 v1, v4, v1, 0x407ffff
	v_and_b32_e32 v4, 0xff00000, v1
	v_lshrrev_b32_e32 v1, 20, v1
	s_delay_alu instid0(VALU_DEP_2) | instskip(NEXT) | instid1(VALU_DEP_2)
	v_cmp_ne_u32_e32 vcc_lo, 0x7f00000, v4
                                        ; implicit-def: $vgpr4
	v_cndmask_b32_e32 v1, 0x7e, v1, vcc_lo
; %bb.1835:
	s_and_not1_saveexec_b32 s7, s7
; %bb.1836:
	v_add_f32_e32 v1, 0x46800000, v4
; %bb.1837:
	s_or_b32 exec_lo, exec_lo, s7
                                        ; implicit-def: $vgpr4
.LBB158_1838:
	s_and_not1_saveexec_b32 s6, s6
; %bb.1839:
	v_mov_b32_e32 v1, 0x7f
	v_cmp_lt_u32_e32 vcc_lo, 0x7f800000, v4
	s_delay_alu instid0(VALU_DEP_2)
	v_cndmask_b32_e32 v1, 0x7e, v1, vcc_lo
; %bb.1840:
	s_or_b32 exec_lo, exec_lo, s6
	global_store_b8 v[2:3], v1, off
.LBB158_1841:
	s_mov_b32 s6, 0
.LBB158_1842:
	s_delay_alu instid0(SALU_CYCLE_1)
	s_and_not1_b32 vcc_lo, exec_lo, s6
	s_cbranch_vccnz .LBB158_1852
; %bb.1843:
	s_wait_xcnt 0x0
	v_cndmask_b32_e64 v4, 0, 1.0, s9
	s_mov_b32 s6, exec_lo
                                        ; implicit-def: $vgpr1
	s_delay_alu instid0(VALU_DEP_1)
	v_cmpx_gt_u32_e32 0x47800000, v4
	s_xor_b32 s6, exec_lo, s6
	s_cbranch_execz .LBB158_1849
; %bb.1844:
	s_mov_b32 s7, exec_lo
                                        ; implicit-def: $vgpr1
	v_cmpx_lt_u32_e32 0x387fffff, v4
	s_xor_b32 s7, exec_lo, s7
; %bb.1845:
	v_bfe_u32 v1, v4, 21, 1
	s_delay_alu instid0(VALU_DEP_1) | instskip(NEXT) | instid1(VALU_DEP_1)
	v_add3_u32 v1, v4, v1, 0x80fffff
                                        ; implicit-def: $vgpr4
	v_lshrrev_b32_e32 v1, 21, v1
; %bb.1846:
	s_and_not1_saveexec_b32 s7, s7
; %bb.1847:
	v_add_f32_e32 v1, 0x43000000, v4
; %bb.1848:
	s_or_b32 exec_lo, exec_lo, s7
                                        ; implicit-def: $vgpr4
.LBB158_1849:
	s_and_not1_saveexec_b32 s6, s6
; %bb.1850:
	v_mov_b32_e32 v1, 0x7f
	v_cmp_lt_u32_e32 vcc_lo, 0x7f800000, v4
	s_delay_alu instid0(VALU_DEP_2)
	v_cndmask_b32_e32 v1, 0x7c, v1, vcc_lo
; %bb.1851:
	s_or_b32 exec_lo, exec_lo, s6
	global_store_b8 v[2:3], v1, off
.LBB158_1852:
	s_mov_b32 s6, 0
	s_mov_b32 s7, -1
.LBB158_1853:
	s_and_not1_b32 vcc_lo, exec_lo, s6
	s_mov_b32 s6, 0
	s_cbranch_vccnz .LBB158_1860
; %bb.1854:
	s_cmp_gt_i32 s3, 14
	s_mov_b32 s6, -1
	s_cbranch_scc0 .LBB158_1858
; %bb.1855:
	s_cmp_eq_u32 s3, 15
	s_mov_b32 s0, -1
	s_cbranch_scc0 .LBB158_1857
; %bb.1856:
	s_wait_xcnt 0x0
	v_cndmask_b32_e64 v1, 0, 1.0, s9
	s_mov_b32 s0, 0
	s_mov_b32 s7, -1
	s_delay_alu instid0(VALU_DEP_1) | instskip(NEXT) | instid1(VALU_DEP_1)
	v_bfe_u32 v4, v1, 16, 1
	v_add3_u32 v1, v1, v4, 0x7fff
	global_store_d16_hi_b16 v[2:3], v1, off
.LBB158_1857:
	s_mov_b32 s6, 0
.LBB158_1858:
	s_delay_alu instid0(SALU_CYCLE_1)
	s_and_b32 vcc_lo, exec_lo, s6
	s_mov_b32 s6, 0
	s_cbranch_vccz .LBB158_1860
; %bb.1859:
	s_cmp_lg_u32 s3, 11
	s_mov_b32 s6, -1
	s_cselect_b32 s0, -1, 0
.LBB158_1860:
	s_delay_alu instid0(SALU_CYCLE_1)
	s_and_b32 vcc_lo, exec_lo, s0
	s_cbranch_vccnz .LBB158_2109
; %bb.1861:
	s_and_not1_b32 vcc_lo, exec_lo, s6
	s_cbranch_vccnz .LBB158_1863
.LBB158_1862:
	s_wait_xcnt 0x0
	v_cndmask_b32_e64 v1, 0, 1, s9
	s_mov_b32 s7, -1
	global_store_b8 v[2:3], v1, off
.LBB158_1863:
	s_mov_b32 s0, 0
	s_branch .LBB158_1865
.LBB158_1864:
	s_mov_b32 s0, -1
	s_mov_b32 s7, 0
.LBB158_1865:
	s_and_b32 vcc_lo, exec_lo, s0
	s_cbranch_vccz .LBB158_1904
; %bb.1866:
	s_and_b32 s0, 0xffff, s16
	s_mov_b32 s3, -1
	s_cmp_lt_i32 s0, 5
	s_cbranch_scc1 .LBB158_1887
; %bb.1867:
	s_cmp_lt_i32 s0, 8
	s_cbranch_scc1 .LBB158_1877
; %bb.1868:
	;; [unrolled: 3-line block ×3, first 2 shown]
	s_cmp_gt_i32 s0, 9
	s_cbranch_scc0 .LBB158_1871
; %bb.1870:
	s_wait_xcnt 0x0
	v_cndmask_b32_e64 v1, 0, 1, s9
	v_mov_b32_e32 v6, 0
	s_mov_b32 s3, 0
	s_delay_alu instid0(VALU_DEP_2) | instskip(NEXT) | instid1(VALU_DEP_2)
	v_cvt_f64_u32_e32 v[4:5], v1
	v_mov_b32_e32 v7, v6
	global_store_b128 v[2:3], v[4:7], off
.LBB158_1871:
	s_and_not1_b32 vcc_lo, exec_lo, s3
	s_cbranch_vccnz .LBB158_1873
; %bb.1872:
	s_wait_xcnt 0x0
	v_cndmask_b32_e64 v4, 0, 1.0, s9
	v_mov_b32_e32 v5, 0
	global_store_b64 v[2:3], v[4:5], off
.LBB158_1873:
	s_mov_b32 s3, 0
.LBB158_1874:
	s_delay_alu instid0(SALU_CYCLE_1)
	s_and_not1_b32 vcc_lo, exec_lo, s3
	s_cbranch_vccnz .LBB158_1876
; %bb.1875:
	s_wait_xcnt 0x0
	v_cndmask_b32_e64 v1, 0, 1.0, s9
	s_delay_alu instid0(VALU_DEP_1) | instskip(NEXT) | instid1(VALU_DEP_1)
	v_cvt_f16_f32_e32 v1, v1
	v_and_b32_e32 v1, 0xffff, v1
	global_store_b32 v[2:3], v1, off
.LBB158_1876:
	s_mov_b32 s3, 0
.LBB158_1877:
	s_delay_alu instid0(SALU_CYCLE_1)
	s_and_not1_b32 vcc_lo, exec_lo, s3
	s_cbranch_vccnz .LBB158_1886
; %bb.1878:
	s_cmp_lt_i32 s0, 6
	s_mov_b32 s3, -1
	s_cbranch_scc1 .LBB158_1884
; %bb.1879:
	s_cmp_gt_i32 s0, 6
	s_cbranch_scc0 .LBB158_1881
; %bb.1880:
	s_wait_xcnt 0x0
	v_cndmask_b32_e64 v1, 0, 1, s9
	s_mov_b32 s3, 0
	s_delay_alu instid0(VALU_DEP_1)
	v_cvt_f64_u32_e32 v[4:5], v1
	global_store_b64 v[2:3], v[4:5], off
.LBB158_1881:
	s_and_not1_b32 vcc_lo, exec_lo, s3
	s_cbranch_vccnz .LBB158_1883
; %bb.1882:
	s_wait_xcnt 0x0
	v_cndmask_b32_e64 v1, 0, 1.0, s9
	global_store_b32 v[2:3], v1, off
.LBB158_1883:
	s_mov_b32 s3, 0
.LBB158_1884:
	s_delay_alu instid0(SALU_CYCLE_1)
	s_and_not1_b32 vcc_lo, exec_lo, s3
	s_cbranch_vccnz .LBB158_1886
; %bb.1885:
	s_wait_xcnt 0x0
	v_cndmask_b32_e64 v1, 0, 1.0, s9
	s_delay_alu instid0(VALU_DEP_1)
	v_cvt_f16_f32_e32 v1, v1
	global_store_b16 v[2:3], v1, off
.LBB158_1886:
	s_mov_b32 s3, 0
.LBB158_1887:
	s_delay_alu instid0(SALU_CYCLE_1)
	s_and_not1_b32 vcc_lo, exec_lo, s3
	s_cbranch_vccnz .LBB158_1903
; %bb.1888:
	s_cmp_lt_i32 s0, 2
	s_mov_b32 s3, -1
	s_cbranch_scc1 .LBB158_1898
; %bb.1889:
	s_cmp_lt_i32 s0, 3
	s_cbranch_scc1 .LBB158_1895
; %bb.1890:
	s_cmp_gt_i32 s0, 3
	s_cbranch_scc0 .LBB158_1892
; %bb.1891:
	s_mov_b32 s3, 0
	s_wait_xcnt 0x0
	v_cndmask_b32_e64 v4, 0, 1, s9
	v_mov_b32_e32 v5, s3
	global_store_b64 v[2:3], v[4:5], off
.LBB158_1892:
	s_and_not1_b32 vcc_lo, exec_lo, s3
	s_cbranch_vccnz .LBB158_1894
; %bb.1893:
	s_wait_xcnt 0x0
	v_cndmask_b32_e64 v1, 0, 1, s9
	global_store_b32 v[2:3], v1, off
.LBB158_1894:
	s_mov_b32 s3, 0
.LBB158_1895:
	s_delay_alu instid0(SALU_CYCLE_1)
	s_and_not1_b32 vcc_lo, exec_lo, s3
	s_cbranch_vccnz .LBB158_1897
; %bb.1896:
	s_wait_xcnt 0x0
	v_cndmask_b32_e64 v1, 0, 1, s9
	global_store_b16 v[2:3], v1, off
.LBB158_1897:
	s_mov_b32 s3, 0
.LBB158_1898:
	s_delay_alu instid0(SALU_CYCLE_1)
	s_and_not1_b32 vcc_lo, exec_lo, s3
	s_cbranch_vccnz .LBB158_1903
; %bb.1899:
	s_wait_xcnt 0x0
	v_cndmask_b32_e64 v1, 0, 1, s9
	s_cmp_gt_i32 s0, 0
	s_mov_b32 s0, -1
	s_cbranch_scc0 .LBB158_1901
; %bb.1900:
	s_mov_b32 s0, 0
	global_store_b8 v[2:3], v1, off
.LBB158_1901:
	s_and_not1_b32 vcc_lo, exec_lo, s0
	s_cbranch_vccnz .LBB158_1903
; %bb.1902:
	global_store_b8 v[2:3], v1, off
.LBB158_1903:
	s_mov_b32 s7, -1
.LBB158_1904:
	s_delay_alu instid0(SALU_CYCLE_1)
	s_and_not1_b32 vcc_lo, exec_lo, s7
	s_cbranch_vccnz .LBB158_2100
; %bb.1905:
	v_add_nc_u32_e32 v0, s2, v0
	s_cmp_lt_i32 s16, 11
	s_wait_xcnt 0x0
	s_delay_alu instid0(VALU_DEP_1) | instskip(NEXT) | instid1(VALU_DEP_1)
	v_ashrrev_i32_e32 v1, 31, v0
	v_add_nc_u64_e32 v[2:3], s[4:5], v[0:1]
	s_cbranch_scc1 .LBB158_1983
; %bb.1906:
	s_and_b32 s3, 0xffff, s16
	s_mov_b32 s8, -1
	s_mov_b32 s6, 0
	s_cmp_gt_i32 s3, 25
	s_mov_b32 s7, 0
	s_mov_b32 s0, 0
	s_cbranch_scc0 .LBB158_1939
; %bb.1907:
	s_cmp_gt_i32 s3, 28
	s_cbranch_scc0 .LBB158_1922
; %bb.1908:
	s_cmp_gt_i32 s3, 43
	;; [unrolled: 3-line block ×3, first 2 shown]
	s_cbranch_scc0 .LBB158_1912
; %bb.1910:
	s_mov_b32 s0, -1
	s_mov_b32 s8, 0
	s_cmp_eq_u32 s3, 46
	s_cbranch_scc0 .LBB158_1912
; %bb.1911:
	v_cndmask_b32_e64 v1, 0, 1.0, s14
	s_mov_b32 s0, 0
	s_mov_b32 s7, -1
	s_delay_alu instid0(VALU_DEP_1) | instskip(NEXT) | instid1(VALU_DEP_1)
	v_bfe_u32 v4, v1, 16, 1
	v_add3_u32 v1, v1, v4, 0x7fff
	s_delay_alu instid0(VALU_DEP_1)
	v_lshrrev_b32_e32 v1, 16, v1
	global_store_b32 v[2:3], v1, off
.LBB158_1912:
	s_and_b32 vcc_lo, exec_lo, s8
	s_cbranch_vccz .LBB158_1917
; %bb.1913:
	s_cmp_eq_u32 s3, 44
	s_mov_b32 s0, -1
	s_cbranch_scc0 .LBB158_1917
; %bb.1914:
	v_cndmask_b32_e64 v5, 0, 1.0, s14
	s_mov_b32 s7, exec_lo
	s_wait_xcnt 0x0
	s_delay_alu instid0(VALU_DEP_1) | instskip(NEXT) | instid1(VALU_DEP_1)
	v_dual_mov_b32 v4, 0xff :: v_dual_lshrrev_b32 v1, 23, v5
	v_cmpx_ne_u32_e32 0xff, v1
; %bb.1915:
	v_and_b32_e32 v4, 0x400000, v5
	v_and_or_b32 v5, 0x3fffff, v5, v1
	s_delay_alu instid0(VALU_DEP_2) | instskip(NEXT) | instid1(VALU_DEP_2)
	v_cmp_ne_u32_e32 vcc_lo, 0, v4
	v_cmp_ne_u32_e64 s0, 0, v5
	s_and_b32 s0, vcc_lo, s0
	s_delay_alu instid0(SALU_CYCLE_1) | instskip(NEXT) | instid1(VALU_DEP_1)
	v_cndmask_b32_e64 v4, 0, 1, s0
	v_add_nc_u32_e32 v4, v1, v4
; %bb.1916:
	s_or_b32 exec_lo, exec_lo, s7
	s_mov_b32 s0, 0
	s_mov_b32 s7, -1
	global_store_b8 v[2:3], v4, off
.LBB158_1917:
	s_mov_b32 s8, 0
.LBB158_1918:
	s_delay_alu instid0(SALU_CYCLE_1)
	s_and_b32 vcc_lo, exec_lo, s8
	s_cbranch_vccz .LBB158_1921
; %bb.1919:
	s_cmp_eq_u32 s3, 29
	s_mov_b32 s0, -1
	s_cbranch_scc0 .LBB158_1921
; %bb.1920:
	s_mov_b32 s0, 0
	s_wait_xcnt 0x0
	v_cndmask_b32_e64 v4, 0, 1, s14
	v_mov_b32_e32 v5, s0
	s_mov_b32 s7, -1
	global_store_b64 v[2:3], v[4:5], off
.LBB158_1921:
	s_mov_b32 s8, 0
.LBB158_1922:
	s_delay_alu instid0(SALU_CYCLE_1)
	s_and_b32 vcc_lo, exec_lo, s8
	s_cbranch_vccz .LBB158_1938
; %bb.1923:
	s_cmp_lt_i32 s3, 27
	s_mov_b32 s7, -1
	s_cbranch_scc1 .LBB158_1929
; %bb.1924:
	s_cmp_gt_i32 s3, 27
	s_cbranch_scc0 .LBB158_1926
; %bb.1925:
	s_wait_xcnt 0x0
	v_cndmask_b32_e64 v1, 0, 1, s14
	s_mov_b32 s7, 0
	global_store_b32 v[2:3], v1, off
.LBB158_1926:
	s_and_not1_b32 vcc_lo, exec_lo, s7
	s_cbranch_vccnz .LBB158_1928
; %bb.1927:
	s_wait_xcnt 0x0
	v_cndmask_b32_e64 v1, 0, 1, s14
	global_store_b16 v[2:3], v1, off
.LBB158_1928:
	s_mov_b32 s7, 0
.LBB158_1929:
	s_delay_alu instid0(SALU_CYCLE_1)
	s_and_not1_b32 vcc_lo, exec_lo, s7
	s_cbranch_vccnz .LBB158_1937
; %bb.1930:
	s_wait_xcnt 0x0
	v_cndmask_b32_e64 v4, 0, 1.0, s14
	v_mov_b32_e32 v5, 0x80
	s_mov_b32 s7, exec_lo
	s_delay_alu instid0(VALU_DEP_2)
	v_cmpx_gt_u32_e32 0x43800000, v4
	s_cbranch_execz .LBB158_1936
; %bb.1931:
	s_mov_b32 s8, 0
	s_mov_b32 s9, exec_lo
                                        ; implicit-def: $vgpr1
	v_cmpx_lt_u32_e32 0x3bffffff, v4
	s_xor_b32 s9, exec_lo, s9
	s_cbranch_execz .LBB158_2112
; %bb.1932:
	v_bfe_u32 v1, v4, 20, 1
	s_mov_b32 s8, exec_lo
	s_delay_alu instid0(VALU_DEP_1) | instskip(NEXT) | instid1(VALU_DEP_1)
	v_add3_u32 v1, v4, v1, 0x487ffff
                                        ; implicit-def: $vgpr4
	v_lshrrev_b32_e32 v1, 20, v1
	s_and_not1_saveexec_b32 s9, s9
	s_cbranch_execnz .LBB158_2113
.LBB158_1933:
	s_or_b32 exec_lo, exec_lo, s9
	v_mov_b32_e32 v5, 0
	s_and_saveexec_b32 s9, s8
.LBB158_1934:
	v_mov_b32_e32 v5, v1
.LBB158_1935:
	s_or_b32 exec_lo, exec_lo, s9
.LBB158_1936:
	s_delay_alu instid0(SALU_CYCLE_1)
	s_or_b32 exec_lo, exec_lo, s7
	global_store_b8 v[2:3], v5, off
.LBB158_1937:
	s_mov_b32 s7, -1
.LBB158_1938:
	s_mov_b32 s8, 0
.LBB158_1939:
	s_delay_alu instid0(SALU_CYCLE_1)
	s_and_b32 vcc_lo, exec_lo, s8
	s_cbranch_vccz .LBB158_1979
; %bb.1940:
	s_cmp_gt_i32 s3, 22
	s_mov_b32 s6, -1
	s_cbranch_scc0 .LBB158_1972
; %bb.1941:
	s_cmp_lt_i32 s3, 24
	s_cbranch_scc1 .LBB158_1961
; %bb.1942:
	s_cmp_gt_i32 s3, 24
	s_cbranch_scc0 .LBB158_1950
; %bb.1943:
	s_wait_xcnt 0x0
	v_cndmask_b32_e64 v4, 0, 1.0, s14
	v_mov_b32_e32 v5, 0x80
	s_mov_b32 s6, exec_lo
	s_delay_alu instid0(VALU_DEP_2)
	v_cmpx_gt_u32_e32 0x47800000, v4
	s_cbranch_execz .LBB158_1949
; %bb.1944:
	s_mov_b32 s7, 0
	s_mov_b32 s8, exec_lo
                                        ; implicit-def: $vgpr1
	v_cmpx_lt_u32_e32 0x37ffffff, v4
	s_xor_b32 s8, exec_lo, s8
	s_cbranch_execz .LBB158_2115
; %bb.1945:
	v_bfe_u32 v1, v4, 21, 1
	s_mov_b32 s7, exec_lo
	s_delay_alu instid0(VALU_DEP_1) | instskip(NEXT) | instid1(VALU_DEP_1)
	v_add3_u32 v1, v4, v1, 0x88fffff
                                        ; implicit-def: $vgpr4
	v_lshrrev_b32_e32 v1, 21, v1
	s_and_not1_saveexec_b32 s8, s8
	s_cbranch_execnz .LBB158_2116
.LBB158_1946:
	s_or_b32 exec_lo, exec_lo, s8
	v_mov_b32_e32 v5, 0
	s_and_saveexec_b32 s8, s7
.LBB158_1947:
	v_mov_b32_e32 v5, v1
.LBB158_1948:
	s_or_b32 exec_lo, exec_lo, s8
.LBB158_1949:
	s_delay_alu instid0(SALU_CYCLE_1)
	s_or_b32 exec_lo, exec_lo, s6
	s_mov_b32 s6, 0
	global_store_b8 v[2:3], v5, off
.LBB158_1950:
	s_and_b32 vcc_lo, exec_lo, s6
	s_cbranch_vccz .LBB158_1960
; %bb.1951:
	s_wait_xcnt 0x0
	v_cndmask_b32_e64 v4, 0, 1.0, s14
	s_mov_b32 s6, exec_lo
                                        ; implicit-def: $vgpr1
	s_delay_alu instid0(VALU_DEP_1)
	v_cmpx_gt_u32_e32 0x43f00000, v4
	s_xor_b32 s6, exec_lo, s6
	s_cbranch_execz .LBB158_1957
; %bb.1952:
	s_mov_b32 s7, exec_lo
                                        ; implicit-def: $vgpr1
	v_cmpx_lt_u32_e32 0x3c7fffff, v4
	s_xor_b32 s7, exec_lo, s7
; %bb.1953:
	v_bfe_u32 v1, v4, 20, 1
	s_delay_alu instid0(VALU_DEP_1) | instskip(NEXT) | instid1(VALU_DEP_1)
	v_add3_u32 v1, v4, v1, 0x407ffff
	v_and_b32_e32 v4, 0xff00000, v1
	v_lshrrev_b32_e32 v1, 20, v1
	s_delay_alu instid0(VALU_DEP_2) | instskip(NEXT) | instid1(VALU_DEP_2)
	v_cmp_ne_u32_e32 vcc_lo, 0x7f00000, v4
                                        ; implicit-def: $vgpr4
	v_cndmask_b32_e32 v1, 0x7e, v1, vcc_lo
; %bb.1954:
	s_and_not1_saveexec_b32 s7, s7
; %bb.1955:
	v_add_f32_e32 v1, 0x46800000, v4
; %bb.1956:
	s_or_b32 exec_lo, exec_lo, s7
                                        ; implicit-def: $vgpr4
.LBB158_1957:
	s_and_not1_saveexec_b32 s6, s6
; %bb.1958:
	v_mov_b32_e32 v1, 0x7f
	v_cmp_lt_u32_e32 vcc_lo, 0x7f800000, v4
	s_delay_alu instid0(VALU_DEP_2)
	v_cndmask_b32_e32 v1, 0x7e, v1, vcc_lo
; %bb.1959:
	s_or_b32 exec_lo, exec_lo, s6
	global_store_b8 v[2:3], v1, off
.LBB158_1960:
	s_mov_b32 s6, 0
.LBB158_1961:
	s_delay_alu instid0(SALU_CYCLE_1)
	s_and_not1_b32 vcc_lo, exec_lo, s6
	s_cbranch_vccnz .LBB158_1971
; %bb.1962:
	s_wait_xcnt 0x0
	v_cndmask_b32_e64 v4, 0, 1.0, s14
	s_mov_b32 s6, exec_lo
                                        ; implicit-def: $vgpr1
	s_delay_alu instid0(VALU_DEP_1)
	v_cmpx_gt_u32_e32 0x47800000, v4
	s_xor_b32 s6, exec_lo, s6
	s_cbranch_execz .LBB158_1968
; %bb.1963:
	s_mov_b32 s7, exec_lo
                                        ; implicit-def: $vgpr1
	v_cmpx_lt_u32_e32 0x387fffff, v4
	s_xor_b32 s7, exec_lo, s7
; %bb.1964:
	v_bfe_u32 v1, v4, 21, 1
	s_delay_alu instid0(VALU_DEP_1) | instskip(NEXT) | instid1(VALU_DEP_1)
	v_add3_u32 v1, v4, v1, 0x80fffff
                                        ; implicit-def: $vgpr4
	v_lshrrev_b32_e32 v1, 21, v1
; %bb.1965:
	s_and_not1_saveexec_b32 s7, s7
; %bb.1966:
	v_add_f32_e32 v1, 0x43000000, v4
; %bb.1967:
	s_or_b32 exec_lo, exec_lo, s7
                                        ; implicit-def: $vgpr4
.LBB158_1968:
	s_and_not1_saveexec_b32 s6, s6
; %bb.1969:
	v_mov_b32_e32 v1, 0x7f
	v_cmp_lt_u32_e32 vcc_lo, 0x7f800000, v4
	s_delay_alu instid0(VALU_DEP_2)
	v_cndmask_b32_e32 v1, 0x7c, v1, vcc_lo
; %bb.1970:
	s_or_b32 exec_lo, exec_lo, s6
	global_store_b8 v[2:3], v1, off
.LBB158_1971:
	s_mov_b32 s6, 0
	s_mov_b32 s7, -1
.LBB158_1972:
	s_and_not1_b32 vcc_lo, exec_lo, s6
	s_mov_b32 s6, 0
	s_cbranch_vccnz .LBB158_1979
; %bb.1973:
	s_cmp_gt_i32 s3, 14
	s_mov_b32 s6, -1
	s_cbranch_scc0 .LBB158_1977
; %bb.1974:
	s_cmp_eq_u32 s3, 15
	s_mov_b32 s0, -1
	s_cbranch_scc0 .LBB158_1976
; %bb.1975:
	s_wait_xcnt 0x0
	v_cndmask_b32_e64 v1, 0, 1.0, s14
	s_mov_b32 s0, 0
	s_mov_b32 s7, -1
	s_delay_alu instid0(VALU_DEP_1) | instskip(NEXT) | instid1(VALU_DEP_1)
	v_bfe_u32 v4, v1, 16, 1
	v_add3_u32 v1, v1, v4, 0x7fff
	global_store_d16_hi_b16 v[2:3], v1, off
.LBB158_1976:
	s_mov_b32 s6, 0
.LBB158_1977:
	s_delay_alu instid0(SALU_CYCLE_1)
	s_and_b32 vcc_lo, exec_lo, s6
	s_mov_b32 s6, 0
	s_cbranch_vccz .LBB158_1979
; %bb.1978:
	s_cmp_lg_u32 s3, 11
	s_mov_b32 s6, -1
	s_cselect_b32 s0, -1, 0
.LBB158_1979:
	s_delay_alu instid0(SALU_CYCLE_1)
	s_and_b32 vcc_lo, exec_lo, s0
	s_cbranch_vccnz .LBB158_2114
; %bb.1980:
	s_and_not1_b32 vcc_lo, exec_lo, s6
	s_cbranch_vccnz .LBB158_1982
.LBB158_1981:
	s_wait_xcnt 0x0
	v_cndmask_b32_e64 v1, 0, 1, s14
	s_mov_b32 s7, -1
	global_store_b8 v[2:3], v1, off
.LBB158_1982:
	s_mov_b32 s0, 0
	s_branch .LBB158_1984
.LBB158_1983:
	s_mov_b32 s0, -1
	s_mov_b32 s7, 0
.LBB158_1984:
	s_and_b32 vcc_lo, exec_lo, s0
	s_cbranch_vccz .LBB158_2023
; %bb.1985:
	s_and_b32 s0, 0xffff, s16
	s_mov_b32 s3, -1
	s_cmp_lt_i32 s0, 5
	s_cbranch_scc1 .LBB158_2006
; %bb.1986:
	s_cmp_lt_i32 s0, 8
	s_cbranch_scc1 .LBB158_1996
; %bb.1987:
	s_cmp_lt_i32 s0, 9
	s_cbranch_scc1 .LBB158_1993
; %bb.1988:
	s_cmp_gt_i32 s0, 9
	s_cbranch_scc0 .LBB158_1990
; %bb.1989:
	s_wait_xcnt 0x0
	v_cndmask_b32_e64 v1, 0, 1, s14
	v_mov_b32_e32 v6, 0
	s_mov_b32 s3, 0
	s_delay_alu instid0(VALU_DEP_2) | instskip(NEXT) | instid1(VALU_DEP_2)
	v_cvt_f64_u32_e32 v[4:5], v1
	v_mov_b32_e32 v7, v6
	global_store_b128 v[2:3], v[4:7], off
.LBB158_1990:
	s_and_not1_b32 vcc_lo, exec_lo, s3
	s_cbranch_vccnz .LBB158_1992
; %bb.1991:
	s_wait_xcnt 0x0
	v_cndmask_b32_e64 v4, 0, 1.0, s14
	v_mov_b32_e32 v5, 0
	global_store_b64 v[2:3], v[4:5], off
.LBB158_1992:
	s_mov_b32 s3, 0
.LBB158_1993:
	s_delay_alu instid0(SALU_CYCLE_1)
	s_and_not1_b32 vcc_lo, exec_lo, s3
	s_cbranch_vccnz .LBB158_1995
; %bb.1994:
	s_wait_xcnt 0x0
	v_cndmask_b32_e64 v1, 0, 1.0, s14
	s_delay_alu instid0(VALU_DEP_1) | instskip(NEXT) | instid1(VALU_DEP_1)
	v_cvt_f16_f32_e32 v1, v1
	v_and_b32_e32 v1, 0xffff, v1
	global_store_b32 v[2:3], v1, off
.LBB158_1995:
	s_mov_b32 s3, 0
.LBB158_1996:
	s_delay_alu instid0(SALU_CYCLE_1)
	s_and_not1_b32 vcc_lo, exec_lo, s3
	s_cbranch_vccnz .LBB158_2005
; %bb.1997:
	s_cmp_lt_i32 s0, 6
	s_mov_b32 s3, -1
	s_cbranch_scc1 .LBB158_2003
; %bb.1998:
	s_cmp_gt_i32 s0, 6
	s_cbranch_scc0 .LBB158_2000
; %bb.1999:
	s_wait_xcnt 0x0
	v_cndmask_b32_e64 v1, 0, 1, s14
	s_mov_b32 s3, 0
	s_delay_alu instid0(VALU_DEP_1)
	v_cvt_f64_u32_e32 v[4:5], v1
	global_store_b64 v[2:3], v[4:5], off
.LBB158_2000:
	s_and_not1_b32 vcc_lo, exec_lo, s3
	s_cbranch_vccnz .LBB158_2002
; %bb.2001:
	s_wait_xcnt 0x0
	v_cndmask_b32_e64 v1, 0, 1.0, s14
	global_store_b32 v[2:3], v1, off
.LBB158_2002:
	s_mov_b32 s3, 0
.LBB158_2003:
	s_delay_alu instid0(SALU_CYCLE_1)
	s_and_not1_b32 vcc_lo, exec_lo, s3
	s_cbranch_vccnz .LBB158_2005
; %bb.2004:
	s_wait_xcnt 0x0
	v_cndmask_b32_e64 v1, 0, 1.0, s14
	s_delay_alu instid0(VALU_DEP_1)
	v_cvt_f16_f32_e32 v1, v1
	global_store_b16 v[2:3], v1, off
.LBB158_2005:
	s_mov_b32 s3, 0
.LBB158_2006:
	s_delay_alu instid0(SALU_CYCLE_1)
	s_and_not1_b32 vcc_lo, exec_lo, s3
	s_cbranch_vccnz .LBB158_2022
; %bb.2007:
	s_cmp_lt_i32 s0, 2
	s_mov_b32 s3, -1
	s_cbranch_scc1 .LBB158_2017
; %bb.2008:
	s_cmp_lt_i32 s0, 3
	s_cbranch_scc1 .LBB158_2014
; %bb.2009:
	s_cmp_gt_i32 s0, 3
	s_cbranch_scc0 .LBB158_2011
; %bb.2010:
	s_mov_b32 s3, 0
	s_wait_xcnt 0x0
	v_cndmask_b32_e64 v4, 0, 1, s14
	v_mov_b32_e32 v5, s3
	global_store_b64 v[2:3], v[4:5], off
.LBB158_2011:
	s_and_not1_b32 vcc_lo, exec_lo, s3
	s_cbranch_vccnz .LBB158_2013
; %bb.2012:
	s_wait_xcnt 0x0
	v_cndmask_b32_e64 v1, 0, 1, s14
	global_store_b32 v[2:3], v1, off
.LBB158_2013:
	s_mov_b32 s3, 0
.LBB158_2014:
	s_delay_alu instid0(SALU_CYCLE_1)
	s_and_not1_b32 vcc_lo, exec_lo, s3
	s_cbranch_vccnz .LBB158_2016
; %bb.2015:
	s_wait_xcnt 0x0
	v_cndmask_b32_e64 v1, 0, 1, s14
	global_store_b16 v[2:3], v1, off
.LBB158_2016:
	s_mov_b32 s3, 0
.LBB158_2017:
	s_delay_alu instid0(SALU_CYCLE_1)
	s_and_not1_b32 vcc_lo, exec_lo, s3
	s_cbranch_vccnz .LBB158_2022
; %bb.2018:
	s_wait_xcnt 0x0
	v_cndmask_b32_e64 v1, 0, 1, s14
	s_cmp_gt_i32 s0, 0
	s_mov_b32 s0, -1
	s_cbranch_scc0 .LBB158_2020
; %bb.2019:
	s_mov_b32 s0, 0
	global_store_b8 v[2:3], v1, off
.LBB158_2020:
	s_and_not1_b32 vcc_lo, exec_lo, s0
	s_cbranch_vccnz .LBB158_2022
; %bb.2021:
	global_store_b8 v[2:3], v1, off
.LBB158_2022:
	s_mov_b32 s7, -1
.LBB158_2023:
	s_delay_alu instid0(SALU_CYCLE_1)
	s_and_not1_b32 vcc_lo, exec_lo, s7
	s_cbranch_vccnz .LBB158_2100
; %bb.2024:
	v_add_nc_u32_e32 v0, s2, v0
	s_cmp_lt_i32 s16, 11
	s_wait_xcnt 0x0
	s_delay_alu instid0(VALU_DEP_1) | instskip(NEXT) | instid1(VALU_DEP_1)
	v_ashrrev_i32_e32 v1, 31, v0
	v_add_nc_u64_e32 v[0:1], s[4:5], v[0:1]
	s_cbranch_scc1 .LBB158_2101
; %bb.2025:
	s_and_b32 s2, 0xffff, s16
	s_mov_b32 s4, -1
	s_mov_b32 s3, 0
	s_cmp_gt_i32 s2, 25
	s_mov_b32 s0, 0
	s_cbranch_scc0 .LBB158_2058
; %bb.2026:
	s_cmp_gt_i32 s2, 28
	s_cbranch_scc0 .LBB158_2042
; %bb.2027:
	s_cmp_gt_i32 s2, 43
	;; [unrolled: 3-line block ×3, first 2 shown]
	s_cbranch_scc0 .LBB158_2032
; %bb.2029:
	s_cmp_eq_u32 s2, 46
	s_mov_b32 s0, -1
	s_cbranch_scc0 .LBB158_2031
; %bb.2030:
	v_cndmask_b32_e64 v2, 0, 1.0, s15
	s_mov_b32 s0, 0
	s_delay_alu instid0(VALU_DEP_1) | instskip(NEXT) | instid1(VALU_DEP_1)
	v_bfe_u32 v3, v2, 16, 1
	v_add3_u32 v2, v2, v3, 0x7fff
	s_delay_alu instid0(VALU_DEP_1)
	v_lshrrev_b32_e32 v2, 16, v2
	global_store_b32 v[0:1], v2, off
.LBB158_2031:
	s_mov_b32 s4, 0
.LBB158_2032:
	s_delay_alu instid0(SALU_CYCLE_1)
	s_and_b32 vcc_lo, exec_lo, s4
	s_cbranch_vccz .LBB158_2037
; %bb.2033:
	s_cmp_eq_u32 s2, 44
	s_mov_b32 s0, -1
	s_cbranch_scc0 .LBB158_2037
; %bb.2034:
	v_cndmask_b32_e64 v4, 0, 1.0, s15
	s_mov_b32 s4, exec_lo
	s_wait_xcnt 0x0
	s_delay_alu instid0(VALU_DEP_1) | instskip(NEXT) | instid1(VALU_DEP_1)
	v_dual_mov_b32 v3, 0xff :: v_dual_lshrrev_b32 v2, 23, v4
	v_cmpx_ne_u32_e32 0xff, v2
; %bb.2035:
	v_and_b32_e32 v3, 0x400000, v4
	v_and_or_b32 v4, 0x3fffff, v4, v2
	s_delay_alu instid0(VALU_DEP_2) | instskip(NEXT) | instid1(VALU_DEP_2)
	v_cmp_ne_u32_e32 vcc_lo, 0, v3
	v_cmp_ne_u32_e64 s0, 0, v4
	s_and_b32 s0, vcc_lo, s0
	s_delay_alu instid0(SALU_CYCLE_1) | instskip(NEXT) | instid1(VALU_DEP_1)
	v_cndmask_b32_e64 v3, 0, 1, s0
	v_add_nc_u32_e32 v3, v2, v3
; %bb.2036:
	s_or_b32 exec_lo, exec_lo, s4
	s_mov_b32 s0, 0
	global_store_b8 v[0:1], v3, off
.LBB158_2037:
	s_mov_b32 s4, 0
.LBB158_2038:
	s_delay_alu instid0(SALU_CYCLE_1)
	s_and_b32 vcc_lo, exec_lo, s4
	s_cbranch_vccz .LBB158_2041
; %bb.2039:
	s_cmp_eq_u32 s2, 29
	s_mov_b32 s0, -1
	s_cbranch_scc0 .LBB158_2041
; %bb.2040:
	s_mov_b32 s0, 0
	s_wait_xcnt 0x0
	v_cndmask_b32_e64 v2, 0, 1, s15
	v_mov_b32_e32 v3, s0
	global_store_b64 v[0:1], v[2:3], off
.LBB158_2041:
	s_mov_b32 s4, 0
.LBB158_2042:
	s_delay_alu instid0(SALU_CYCLE_1)
	s_and_b32 vcc_lo, exec_lo, s4
	s_cbranch_vccz .LBB158_2057
; %bb.2043:
	s_cmp_lt_i32 s2, 27
	s_mov_b32 s4, -1
	s_cbranch_scc1 .LBB158_2049
; %bb.2044:
	s_wait_xcnt 0x0
	v_cndmask_b32_e64 v2, 0, 1, s15
	s_cmp_gt_i32 s2, 27
	s_cbranch_scc0 .LBB158_2046
; %bb.2045:
	s_mov_b32 s4, 0
	global_store_b32 v[0:1], v2, off
.LBB158_2046:
	s_and_not1_b32 vcc_lo, exec_lo, s4
	s_cbranch_vccnz .LBB158_2048
; %bb.2047:
	global_store_b16 v[0:1], v2, off
.LBB158_2048:
	s_mov_b32 s4, 0
.LBB158_2049:
	s_delay_alu instid0(SALU_CYCLE_1)
	s_and_not1_b32 vcc_lo, exec_lo, s4
	s_cbranch_vccnz .LBB158_2057
; %bb.2050:
	s_wait_xcnt 0x0
	v_cndmask_b32_e64 v3, 0, 1.0, s15
	v_mov_b32_e32 v4, 0x80
	s_mov_b32 s4, exec_lo
	s_delay_alu instid0(VALU_DEP_2)
	v_cmpx_gt_u32_e32 0x43800000, v3
	s_cbranch_execz .LBB158_2056
; %bb.2051:
	s_mov_b32 s5, 0
	s_mov_b32 s6, exec_lo
                                        ; implicit-def: $vgpr2
	v_cmpx_lt_u32_e32 0x3bffffff, v3
	s_xor_b32 s6, exec_lo, s6
	s_cbranch_execz .LBB158_2117
; %bb.2052:
	v_bfe_u32 v2, v3, 20, 1
	s_mov_b32 s5, exec_lo
	s_delay_alu instid0(VALU_DEP_1) | instskip(NEXT) | instid1(VALU_DEP_1)
	v_add3_u32 v2, v3, v2, 0x487ffff
                                        ; implicit-def: $vgpr3
	v_lshrrev_b32_e32 v2, 20, v2
	s_and_not1_saveexec_b32 s6, s6
	s_cbranch_execnz .LBB158_2118
.LBB158_2053:
	s_or_b32 exec_lo, exec_lo, s6
	v_mov_b32_e32 v4, 0
	s_and_saveexec_b32 s6, s5
.LBB158_2054:
	v_mov_b32_e32 v4, v2
.LBB158_2055:
	s_or_b32 exec_lo, exec_lo, s6
.LBB158_2056:
	s_delay_alu instid0(SALU_CYCLE_1)
	s_or_b32 exec_lo, exec_lo, s4
	global_store_b8 v[0:1], v4, off
.LBB158_2057:
	s_mov_b32 s4, 0
.LBB158_2058:
	s_delay_alu instid0(SALU_CYCLE_1)
	s_and_b32 vcc_lo, exec_lo, s4
	s_cbranch_vccz .LBB158_2098
; %bb.2059:
	s_cmp_gt_i32 s2, 22
	s_mov_b32 s3, -1
	s_cbranch_scc0 .LBB158_2091
; %bb.2060:
	s_cmp_lt_i32 s2, 24
	s_cbranch_scc1 .LBB158_2080
; %bb.2061:
	s_cmp_gt_i32 s2, 24
	s_cbranch_scc0 .LBB158_2069
; %bb.2062:
	s_wait_xcnt 0x0
	v_cndmask_b32_e64 v3, 0, 1.0, s15
	v_mov_b32_e32 v4, 0x80
	s_mov_b32 s3, exec_lo
	s_delay_alu instid0(VALU_DEP_2)
	v_cmpx_gt_u32_e32 0x47800000, v3
	s_cbranch_execz .LBB158_2068
; %bb.2063:
	s_mov_b32 s4, 0
	s_mov_b32 s5, exec_lo
                                        ; implicit-def: $vgpr2
	v_cmpx_lt_u32_e32 0x37ffffff, v3
	s_xor_b32 s5, exec_lo, s5
	s_cbranch_execz .LBB158_2120
; %bb.2064:
	v_bfe_u32 v2, v3, 21, 1
	s_mov_b32 s4, exec_lo
	s_delay_alu instid0(VALU_DEP_1) | instskip(NEXT) | instid1(VALU_DEP_1)
	v_add3_u32 v2, v3, v2, 0x88fffff
                                        ; implicit-def: $vgpr3
	v_lshrrev_b32_e32 v2, 21, v2
	s_and_not1_saveexec_b32 s5, s5
	s_cbranch_execnz .LBB158_2121
.LBB158_2065:
	s_or_b32 exec_lo, exec_lo, s5
	v_mov_b32_e32 v4, 0
	s_and_saveexec_b32 s5, s4
.LBB158_2066:
	v_mov_b32_e32 v4, v2
.LBB158_2067:
	s_or_b32 exec_lo, exec_lo, s5
.LBB158_2068:
	s_delay_alu instid0(SALU_CYCLE_1)
	s_or_b32 exec_lo, exec_lo, s3
	s_mov_b32 s3, 0
	global_store_b8 v[0:1], v4, off
.LBB158_2069:
	s_and_b32 vcc_lo, exec_lo, s3
	s_cbranch_vccz .LBB158_2079
; %bb.2070:
	s_wait_xcnt 0x0
	v_cndmask_b32_e64 v3, 0, 1.0, s15
	s_mov_b32 s3, exec_lo
                                        ; implicit-def: $vgpr2
	s_delay_alu instid0(VALU_DEP_1)
	v_cmpx_gt_u32_e32 0x43f00000, v3
	s_xor_b32 s3, exec_lo, s3
	s_cbranch_execz .LBB158_2076
; %bb.2071:
	s_mov_b32 s4, exec_lo
                                        ; implicit-def: $vgpr2
	v_cmpx_lt_u32_e32 0x3c7fffff, v3
	s_xor_b32 s4, exec_lo, s4
; %bb.2072:
	v_bfe_u32 v2, v3, 20, 1
	s_delay_alu instid0(VALU_DEP_1) | instskip(NEXT) | instid1(VALU_DEP_1)
	v_add3_u32 v2, v3, v2, 0x407ffff
	v_and_b32_e32 v3, 0xff00000, v2
	v_lshrrev_b32_e32 v2, 20, v2
	s_delay_alu instid0(VALU_DEP_2) | instskip(NEXT) | instid1(VALU_DEP_2)
	v_cmp_ne_u32_e32 vcc_lo, 0x7f00000, v3
                                        ; implicit-def: $vgpr3
	v_cndmask_b32_e32 v2, 0x7e, v2, vcc_lo
; %bb.2073:
	s_and_not1_saveexec_b32 s4, s4
; %bb.2074:
	v_add_f32_e32 v2, 0x46800000, v3
; %bb.2075:
	s_or_b32 exec_lo, exec_lo, s4
                                        ; implicit-def: $vgpr3
.LBB158_2076:
	s_and_not1_saveexec_b32 s3, s3
; %bb.2077:
	v_mov_b32_e32 v2, 0x7f
	v_cmp_lt_u32_e32 vcc_lo, 0x7f800000, v3
	s_delay_alu instid0(VALU_DEP_2)
	v_cndmask_b32_e32 v2, 0x7e, v2, vcc_lo
; %bb.2078:
	s_or_b32 exec_lo, exec_lo, s3
	global_store_b8 v[0:1], v2, off
.LBB158_2079:
	s_mov_b32 s3, 0
.LBB158_2080:
	s_delay_alu instid0(SALU_CYCLE_1)
	s_and_not1_b32 vcc_lo, exec_lo, s3
	s_cbranch_vccnz .LBB158_2090
; %bb.2081:
	s_wait_xcnt 0x0
	v_cndmask_b32_e64 v3, 0, 1.0, s15
	s_mov_b32 s3, exec_lo
                                        ; implicit-def: $vgpr2
	s_delay_alu instid0(VALU_DEP_1)
	v_cmpx_gt_u32_e32 0x47800000, v3
	s_xor_b32 s3, exec_lo, s3
	s_cbranch_execz .LBB158_2087
; %bb.2082:
	s_mov_b32 s4, exec_lo
                                        ; implicit-def: $vgpr2
	v_cmpx_lt_u32_e32 0x387fffff, v3
	s_xor_b32 s4, exec_lo, s4
; %bb.2083:
	v_bfe_u32 v2, v3, 21, 1
	s_delay_alu instid0(VALU_DEP_1) | instskip(NEXT) | instid1(VALU_DEP_1)
	v_add3_u32 v2, v3, v2, 0x80fffff
                                        ; implicit-def: $vgpr3
	v_lshrrev_b32_e32 v2, 21, v2
; %bb.2084:
	s_and_not1_saveexec_b32 s4, s4
; %bb.2085:
	v_add_f32_e32 v2, 0x43000000, v3
; %bb.2086:
	s_or_b32 exec_lo, exec_lo, s4
                                        ; implicit-def: $vgpr3
.LBB158_2087:
	s_and_not1_saveexec_b32 s3, s3
; %bb.2088:
	v_mov_b32_e32 v2, 0x7f
	v_cmp_lt_u32_e32 vcc_lo, 0x7f800000, v3
	s_delay_alu instid0(VALU_DEP_2)
	v_cndmask_b32_e32 v2, 0x7c, v2, vcc_lo
; %bb.2089:
	s_or_b32 exec_lo, exec_lo, s3
	global_store_b8 v[0:1], v2, off
.LBB158_2090:
	s_mov_b32 s3, 0
.LBB158_2091:
	s_delay_alu instid0(SALU_CYCLE_1)
	s_and_not1_b32 vcc_lo, exec_lo, s3
	s_mov_b32 s3, 0
	s_cbranch_vccnz .LBB158_2098
; %bb.2092:
	s_cmp_gt_i32 s2, 14
	s_mov_b32 s3, -1
	s_cbranch_scc0 .LBB158_2096
; %bb.2093:
	s_cmp_eq_u32 s2, 15
	s_mov_b32 s0, -1
	s_cbranch_scc0 .LBB158_2095
; %bb.2094:
	s_wait_xcnt 0x0
	v_cndmask_b32_e64 v2, 0, 1.0, s15
	s_mov_b32 s0, 0
	s_delay_alu instid0(VALU_DEP_1) | instskip(NEXT) | instid1(VALU_DEP_1)
	v_bfe_u32 v3, v2, 16, 1
	v_add3_u32 v2, v2, v3, 0x7fff
	global_store_d16_hi_b16 v[0:1], v2, off
.LBB158_2095:
	s_mov_b32 s3, 0
.LBB158_2096:
	s_delay_alu instid0(SALU_CYCLE_1)
	s_and_b32 vcc_lo, exec_lo, s3
	s_mov_b32 s3, 0
	s_cbranch_vccz .LBB158_2098
; %bb.2097:
	s_cmp_lg_u32 s2, 11
	s_mov_b32 s3, -1
	s_cselect_b32 s0, -1, 0
.LBB158_2098:
	s_delay_alu instid0(SALU_CYCLE_1)
	s_and_b32 vcc_lo, exec_lo, s0
	s_cbranch_vccnz .LBB158_2119
.LBB158_2099:
	s_mov_b32 s0, 0
	s_branch .LBB158_1620
.LBB158_2100:
	s_mov_b32 s0, 0
	s_mov_b32 s3, 0
	s_branch .LBB158_1619
.LBB158_2101:
	s_mov_b32 s3, 0
	s_mov_b32 s0, -1
	s_branch .LBB158_1620
.LBB158_2102:
	s_and_not1_saveexec_b32 s11, s11
	s_cbranch_execz .LBB158_1695
.LBB158_2103:
	v_add_f32_e32 v1, 0x46000000, v4
	s_and_not1_b32 s7, s7, exec_lo
	s_delay_alu instid0(VALU_DEP_1) | instskip(NEXT) | instid1(VALU_DEP_1)
	v_and_b32_e32 v1, 0xff, v1
	v_cmp_ne_u32_e32 vcc_lo, 0, v1
	s_and_b32 s17, vcc_lo, exec_lo
	s_delay_alu instid0(SALU_CYCLE_1)
	s_or_b32 s7, s7, s17
	s_or_b32 exec_lo, exec_lo, s11
	v_mov_b32_e32 v5, 0
	s_and_saveexec_b32 s11, s7
	s_cbranch_execnz .LBB158_1696
	s_branch .LBB158_1697
.LBB158_2104:
	s_or_b32 s1, s1, exec_lo
	s_trap 2
	s_cbranch_execz .LBB158_1743
	s_branch .LBB158_1744
.LBB158_2105:
	s_and_not1_saveexec_b32 s7, s7
	s_cbranch_execz .LBB158_1708
.LBB158_2106:
	v_add_f32_e32 v1, 0x42800000, v4
	s_and_not1_b32 s6, s6, exec_lo
	s_delay_alu instid0(VALU_DEP_1) | instskip(NEXT) | instid1(VALU_DEP_1)
	v_and_b32_e32 v1, 0xff, v1
	v_cmp_ne_u32_e32 vcc_lo, 0, v1
	s_and_b32 s11, vcc_lo, exec_lo
	s_delay_alu instid0(SALU_CYCLE_1)
	s_or_b32 s6, s6, s11
	s_or_b32 exec_lo, exec_lo, s7
	v_mov_b32_e32 v5, 0
	s_and_saveexec_b32 s7, s6
	s_cbranch_execnz .LBB158_1709
	s_branch .LBB158_1710
.LBB158_2107:
	s_and_not1_saveexec_b32 s10, s10
	s_cbranch_execz .LBB158_1814
.LBB158_2108:
	v_add_f32_e32 v1, 0x46000000, v4
	s_and_not1_b32 s8, s8, exec_lo
	s_delay_alu instid0(VALU_DEP_1) | instskip(NEXT) | instid1(VALU_DEP_1)
	v_and_b32_e32 v1, 0xff, v1
	v_cmp_ne_u32_e32 vcc_lo, 0, v1
	s_and_b32 s11, vcc_lo, exec_lo
	s_delay_alu instid0(SALU_CYCLE_1)
	s_or_b32 s8, s8, s11
	s_or_b32 exec_lo, exec_lo, s10
	v_mov_b32_e32 v5, 0
	s_and_saveexec_b32 s10, s8
	s_cbranch_execnz .LBB158_1815
	s_branch .LBB158_1816
.LBB158_2109:
	s_or_b32 s1, s1, exec_lo
	s_trap 2
	s_cbranch_execz .LBB158_1862
	s_branch .LBB158_1863
.LBB158_2110:
	s_and_not1_saveexec_b32 s8, s8
	s_cbranch_execz .LBB158_1827
.LBB158_2111:
	v_add_f32_e32 v1, 0x42800000, v4
	s_and_not1_b32 s7, s7, exec_lo
	s_delay_alu instid0(VALU_DEP_1) | instskip(NEXT) | instid1(VALU_DEP_1)
	v_and_b32_e32 v1, 0xff, v1
	v_cmp_ne_u32_e32 vcc_lo, 0, v1
	s_and_b32 s10, vcc_lo, exec_lo
	s_delay_alu instid0(SALU_CYCLE_1)
	s_or_b32 s7, s7, s10
	s_or_b32 exec_lo, exec_lo, s8
	v_mov_b32_e32 v5, 0
	s_and_saveexec_b32 s8, s7
	s_cbranch_execnz .LBB158_1828
	s_branch .LBB158_1829
.LBB158_2112:
	s_and_not1_saveexec_b32 s9, s9
	s_cbranch_execz .LBB158_1933
.LBB158_2113:
	v_add_f32_e32 v1, 0x46000000, v4
	s_and_not1_b32 s8, s8, exec_lo
	s_delay_alu instid0(VALU_DEP_1) | instskip(NEXT) | instid1(VALU_DEP_1)
	v_and_b32_e32 v1, 0xff, v1
	v_cmp_ne_u32_e32 vcc_lo, 0, v1
	s_and_b32 s10, vcc_lo, exec_lo
	s_delay_alu instid0(SALU_CYCLE_1)
	s_or_b32 s8, s8, s10
	s_or_b32 exec_lo, exec_lo, s9
	v_mov_b32_e32 v5, 0
	s_and_saveexec_b32 s9, s8
	s_cbranch_execnz .LBB158_1934
	s_branch .LBB158_1935
.LBB158_2114:
	s_or_b32 s1, s1, exec_lo
	s_trap 2
	s_cbranch_execz .LBB158_1981
	s_branch .LBB158_1982
.LBB158_2115:
	s_and_not1_saveexec_b32 s8, s8
	s_cbranch_execz .LBB158_1946
.LBB158_2116:
	v_add_f32_e32 v1, 0x42800000, v4
	s_and_not1_b32 s7, s7, exec_lo
	s_delay_alu instid0(VALU_DEP_1) | instskip(NEXT) | instid1(VALU_DEP_1)
	v_and_b32_e32 v1, 0xff, v1
	v_cmp_ne_u32_e32 vcc_lo, 0, v1
	s_and_b32 s9, vcc_lo, exec_lo
	s_delay_alu instid0(SALU_CYCLE_1)
	s_or_b32 s7, s7, s9
	s_or_b32 exec_lo, exec_lo, s8
	v_mov_b32_e32 v5, 0
	s_and_saveexec_b32 s8, s7
	s_cbranch_execnz .LBB158_1947
	s_branch .LBB158_1948
.LBB158_2117:
	s_and_not1_saveexec_b32 s6, s6
	s_cbranch_execz .LBB158_2053
.LBB158_2118:
	v_add_f32_e32 v2, 0x46000000, v3
	s_and_not1_b32 s5, s5, exec_lo
	s_delay_alu instid0(VALU_DEP_1) | instskip(NEXT) | instid1(VALU_DEP_1)
	v_and_b32_e32 v2, 0xff, v2
	v_cmp_ne_u32_e32 vcc_lo, 0, v2
	s_and_b32 s7, vcc_lo, exec_lo
	s_delay_alu instid0(SALU_CYCLE_1)
	s_or_b32 s5, s5, s7
	s_or_b32 exec_lo, exec_lo, s6
	v_mov_b32_e32 v4, 0
	s_and_saveexec_b32 s6, s5
	s_cbranch_execnz .LBB158_2054
	s_branch .LBB158_2055
.LBB158_2119:
	s_mov_b32 s3, 0
	s_or_b32 s1, s1, exec_lo
	s_trap 2
	s_branch .LBB158_2099
.LBB158_2120:
	s_and_not1_saveexec_b32 s5, s5
	s_cbranch_execz .LBB158_2065
.LBB158_2121:
	v_add_f32_e32 v2, 0x42800000, v3
	s_and_not1_b32 s4, s4, exec_lo
	s_delay_alu instid0(VALU_DEP_1) | instskip(NEXT) | instid1(VALU_DEP_1)
	v_and_b32_e32 v2, 0xff, v2
	v_cmp_ne_u32_e32 vcc_lo, 0, v2
	s_and_b32 s6, vcc_lo, exec_lo
	s_delay_alu instid0(SALU_CYCLE_1)
	s_or_b32 s4, s4, s6
	s_or_b32 exec_lo, exec_lo, s5
	v_mov_b32_e32 v4, 0
	s_and_saveexec_b32 s5, s4
	s_cbranch_execnz .LBB158_2066
	s_branch .LBB158_2067
	.section	.rodata,"a",@progbits
	.p2align	6, 0x0
	.amdhsa_kernel _ZN2at6native32elementwise_kernel_manual_unrollILi128ELi4EZNS0_15gpu_kernel_implINS0_13AUnaryFunctorIN3c107complexINS4_4HalfEEES7_bNS0_12_GLOBAL__N_116CompareEqFunctorIS7_EEEEEEvRNS_18TensorIteratorBaseERKT_EUlibE_EEviT1_
		.amdhsa_group_segment_fixed_size 0
		.amdhsa_private_segment_fixed_size 0
		.amdhsa_kernarg_size 48
		.amdhsa_user_sgpr_count 2
		.amdhsa_user_sgpr_dispatch_ptr 0
		.amdhsa_user_sgpr_queue_ptr 0
		.amdhsa_user_sgpr_kernarg_segment_ptr 1
		.amdhsa_user_sgpr_dispatch_id 0
		.amdhsa_user_sgpr_kernarg_preload_length 0
		.amdhsa_user_sgpr_kernarg_preload_offset 0
		.amdhsa_user_sgpr_private_segment_size 0
		.amdhsa_wavefront_size32 1
		.amdhsa_uses_dynamic_stack 0
		.amdhsa_enable_private_segment 0
		.amdhsa_system_sgpr_workgroup_id_x 1
		.amdhsa_system_sgpr_workgroup_id_y 0
		.amdhsa_system_sgpr_workgroup_id_z 0
		.amdhsa_system_sgpr_workgroup_info 0
		.amdhsa_system_vgpr_workitem_id 0
		.amdhsa_next_free_vgpr 17
		.amdhsa_next_free_sgpr 31
		.amdhsa_named_barrier_count 0
		.amdhsa_reserve_vcc 1
		.amdhsa_float_round_mode_32 0
		.amdhsa_float_round_mode_16_64 0
		.amdhsa_float_denorm_mode_32 3
		.amdhsa_float_denorm_mode_16_64 3
		.amdhsa_fp16_overflow 0
		.amdhsa_memory_ordered 1
		.amdhsa_forward_progress 1
		.amdhsa_inst_pref_size 255
		.amdhsa_round_robin_scheduling 0
		.amdhsa_exception_fp_ieee_invalid_op 0
		.amdhsa_exception_fp_denorm_src 0
		.amdhsa_exception_fp_ieee_div_zero 0
		.amdhsa_exception_fp_ieee_overflow 0
		.amdhsa_exception_fp_ieee_underflow 0
		.amdhsa_exception_fp_ieee_inexact 0
		.amdhsa_exception_int_div_zero 0
	.end_amdhsa_kernel
	.section	.text._ZN2at6native32elementwise_kernel_manual_unrollILi128ELi4EZNS0_15gpu_kernel_implINS0_13AUnaryFunctorIN3c107complexINS4_4HalfEEES7_bNS0_12_GLOBAL__N_116CompareEqFunctorIS7_EEEEEEvRNS_18TensorIteratorBaseERKT_EUlibE_EEviT1_,"axG",@progbits,_ZN2at6native32elementwise_kernel_manual_unrollILi128ELi4EZNS0_15gpu_kernel_implINS0_13AUnaryFunctorIN3c107complexINS4_4HalfEEES7_bNS0_12_GLOBAL__N_116CompareEqFunctorIS7_EEEEEEvRNS_18TensorIteratorBaseERKT_EUlibE_EEviT1_,comdat
.Lfunc_end158:
	.size	_ZN2at6native32elementwise_kernel_manual_unrollILi128ELi4EZNS0_15gpu_kernel_implINS0_13AUnaryFunctorIN3c107complexINS4_4HalfEEES7_bNS0_12_GLOBAL__N_116CompareEqFunctorIS7_EEEEEEvRNS_18TensorIteratorBaseERKT_EUlibE_EEviT1_, .Lfunc_end158-_ZN2at6native32elementwise_kernel_manual_unrollILi128ELi4EZNS0_15gpu_kernel_implINS0_13AUnaryFunctorIN3c107complexINS4_4HalfEEES7_bNS0_12_GLOBAL__N_116CompareEqFunctorIS7_EEEEEEvRNS_18TensorIteratorBaseERKT_EUlibE_EEviT1_
                                        ; -- End function
	.set _ZN2at6native32elementwise_kernel_manual_unrollILi128ELi4EZNS0_15gpu_kernel_implINS0_13AUnaryFunctorIN3c107complexINS4_4HalfEEES7_bNS0_12_GLOBAL__N_116CompareEqFunctorIS7_EEEEEEvRNS_18TensorIteratorBaseERKT_EUlibE_EEviT1_.num_vgpr, 17
	.set _ZN2at6native32elementwise_kernel_manual_unrollILi128ELi4EZNS0_15gpu_kernel_implINS0_13AUnaryFunctorIN3c107complexINS4_4HalfEEES7_bNS0_12_GLOBAL__N_116CompareEqFunctorIS7_EEEEEEvRNS_18TensorIteratorBaseERKT_EUlibE_EEviT1_.num_agpr, 0
	.set _ZN2at6native32elementwise_kernel_manual_unrollILi128ELi4EZNS0_15gpu_kernel_implINS0_13AUnaryFunctorIN3c107complexINS4_4HalfEEES7_bNS0_12_GLOBAL__N_116CompareEqFunctorIS7_EEEEEEvRNS_18TensorIteratorBaseERKT_EUlibE_EEviT1_.numbered_sgpr, 31
	.set _ZN2at6native32elementwise_kernel_manual_unrollILi128ELi4EZNS0_15gpu_kernel_implINS0_13AUnaryFunctorIN3c107complexINS4_4HalfEEES7_bNS0_12_GLOBAL__N_116CompareEqFunctorIS7_EEEEEEvRNS_18TensorIteratorBaseERKT_EUlibE_EEviT1_.num_named_barrier, 0
	.set _ZN2at6native32elementwise_kernel_manual_unrollILi128ELi4EZNS0_15gpu_kernel_implINS0_13AUnaryFunctorIN3c107complexINS4_4HalfEEES7_bNS0_12_GLOBAL__N_116CompareEqFunctorIS7_EEEEEEvRNS_18TensorIteratorBaseERKT_EUlibE_EEviT1_.private_seg_size, 0
	.set _ZN2at6native32elementwise_kernel_manual_unrollILi128ELi4EZNS0_15gpu_kernel_implINS0_13AUnaryFunctorIN3c107complexINS4_4HalfEEES7_bNS0_12_GLOBAL__N_116CompareEqFunctorIS7_EEEEEEvRNS_18TensorIteratorBaseERKT_EUlibE_EEviT1_.uses_vcc, 1
	.set _ZN2at6native32elementwise_kernel_manual_unrollILi128ELi4EZNS0_15gpu_kernel_implINS0_13AUnaryFunctorIN3c107complexINS4_4HalfEEES7_bNS0_12_GLOBAL__N_116CompareEqFunctorIS7_EEEEEEvRNS_18TensorIteratorBaseERKT_EUlibE_EEviT1_.uses_flat_scratch, 0
	.set _ZN2at6native32elementwise_kernel_manual_unrollILi128ELi4EZNS0_15gpu_kernel_implINS0_13AUnaryFunctorIN3c107complexINS4_4HalfEEES7_bNS0_12_GLOBAL__N_116CompareEqFunctorIS7_EEEEEEvRNS_18TensorIteratorBaseERKT_EUlibE_EEviT1_.has_dyn_sized_stack, 0
	.set _ZN2at6native32elementwise_kernel_manual_unrollILi128ELi4EZNS0_15gpu_kernel_implINS0_13AUnaryFunctorIN3c107complexINS4_4HalfEEES7_bNS0_12_GLOBAL__N_116CompareEqFunctorIS7_EEEEEEvRNS_18TensorIteratorBaseERKT_EUlibE_EEviT1_.has_recursion, 0
	.set _ZN2at6native32elementwise_kernel_manual_unrollILi128ELi4EZNS0_15gpu_kernel_implINS0_13AUnaryFunctorIN3c107complexINS4_4HalfEEES7_bNS0_12_GLOBAL__N_116CompareEqFunctorIS7_EEEEEEvRNS_18TensorIteratorBaseERKT_EUlibE_EEviT1_.has_indirect_call, 0
	.section	.AMDGPU.csdata,"",@progbits
; Kernel info:
; codeLenInByte = 43736
; TotalNumSgprs: 33
; NumVgprs: 17
; ScratchSize: 0
; MemoryBound: 0
; FloatMode: 240
; IeeeMode: 1
; LDSByteSize: 0 bytes/workgroup (compile time only)
; SGPRBlocks: 0
; VGPRBlocks: 1
; NumSGPRsForWavesPerEU: 33
; NumVGPRsForWavesPerEU: 17
; NamedBarCnt: 0
; Occupancy: 16
; WaveLimiterHint : 0
; COMPUTE_PGM_RSRC2:SCRATCH_EN: 0
; COMPUTE_PGM_RSRC2:USER_SGPR: 2
; COMPUTE_PGM_RSRC2:TRAP_HANDLER: 0
; COMPUTE_PGM_RSRC2:TGID_X_EN: 1
; COMPUTE_PGM_RSRC2:TGID_Y_EN: 0
; COMPUTE_PGM_RSRC2:TGID_Z_EN: 0
; COMPUTE_PGM_RSRC2:TIDIG_COMP_CNT: 0
	.section	.text._ZN2at6native32elementwise_kernel_manual_unrollILi128ELi4EZNS0_15gpu_kernel_implINS0_13AUnaryFunctorIN3c107complexINS4_4HalfEEES7_bNS0_12_GLOBAL__N_116CompareEqFunctorIS7_EEEEEEvRNS_18TensorIteratorBaseERKT_EUlibE0_EEviT1_,"axG",@progbits,_ZN2at6native32elementwise_kernel_manual_unrollILi128ELi4EZNS0_15gpu_kernel_implINS0_13AUnaryFunctorIN3c107complexINS4_4HalfEEES7_bNS0_12_GLOBAL__N_116CompareEqFunctorIS7_EEEEEEvRNS_18TensorIteratorBaseERKT_EUlibE0_EEviT1_,comdat
	.globl	_ZN2at6native32elementwise_kernel_manual_unrollILi128ELi4EZNS0_15gpu_kernel_implINS0_13AUnaryFunctorIN3c107complexINS4_4HalfEEES7_bNS0_12_GLOBAL__N_116CompareEqFunctorIS7_EEEEEEvRNS_18TensorIteratorBaseERKT_EUlibE0_EEviT1_ ; -- Begin function _ZN2at6native32elementwise_kernel_manual_unrollILi128ELi4EZNS0_15gpu_kernel_implINS0_13AUnaryFunctorIN3c107complexINS4_4HalfEEES7_bNS0_12_GLOBAL__N_116CompareEqFunctorIS7_EEEEEEvRNS_18TensorIteratorBaseERKT_EUlibE0_EEviT1_
	.p2align	8
	.type	_ZN2at6native32elementwise_kernel_manual_unrollILi128ELi4EZNS0_15gpu_kernel_implINS0_13AUnaryFunctorIN3c107complexINS4_4HalfEEES7_bNS0_12_GLOBAL__N_116CompareEqFunctorIS7_EEEEEEvRNS_18TensorIteratorBaseERKT_EUlibE0_EEviT1_,@function
_ZN2at6native32elementwise_kernel_manual_unrollILi128ELi4EZNS0_15gpu_kernel_implINS0_13AUnaryFunctorIN3c107complexINS4_4HalfEEES7_bNS0_12_GLOBAL__N_116CompareEqFunctorIS7_EEEEEEvRNS_18TensorIteratorBaseERKT_EUlibE0_EEviT1_: ; @_ZN2at6native32elementwise_kernel_manual_unrollILi128ELi4EZNS0_15gpu_kernel_implINS0_13AUnaryFunctorIN3c107complexINS4_4HalfEEES7_bNS0_12_GLOBAL__N_116CompareEqFunctorIS7_EEEEEEvRNS_18TensorIteratorBaseERKT_EUlibE0_EEviT1_
; %bb.0:
	s_clause 0x1
	s_load_b32 s33, s[0:1], 0x8
	s_load_b32 s39, s[0:1], 0x0
	s_bfe_u32 s2, ttmp6, 0x4000c
	s_and_b32 s3, ttmp6, 15
	s_add_co_i32 s2, s2, 1
	s_getreg_b32 s4, hwreg(HW_REG_IB_STS2, 6, 4)
	s_mul_i32 s2, ttmp9, s2
	s_mov_b32 s27, -1
	s_add_co_i32 s3, s3, s2
	s_cmp_eq_u32 s4, 0
	s_add_nc_u64 s[16:17], s[0:1], 8
	s_cselect_b32 s2, ttmp9, s3
	s_mov_b32 s3, 0
	v_lshl_or_b32 v0, s2, 9, v0
	s_mov_b32 s8, 0
	s_wait_xcnt 0x0
	s_mov_b32 s0, exec_lo
	s_delay_alu instid0(VALU_DEP_1) | instskip(SKIP_2) | instid1(SALU_CYCLE_1)
	v_or_b32_e32 v9, 0x180, v0
	s_wait_kmcnt 0x0
	s_add_co_i32 s34, s33, -1
	s_cmp_gt_u32 s34, 1
	s_cselect_b32 s35, -1, 0
	v_cmpx_le_i32_e64 s39, v9
	s_xor_b32 s36, exec_lo, s0
	s_cbranch_execz .LBB159_1132
; %bb.1:
	s_clause 0x4
	s_load_b128 s[8:11], s[16:17], 0x4
	s_load_b96 s[0:2], s[16:17], 0x158
	s_load_b64 s[20:21], s[16:17], 0x14
	s_load_b128 s[12:15], s[16:17], 0xc4
	s_load_b128 s[4:7], s[16:17], 0x148
	s_cmp_lg_u32 s33, 0
	s_mov_b32 s19, 0
	s_cselect_b32 s41, -1, 0
	s_min_u32 s40, s34, 15
	s_cmp_gt_u32 s33, 1
	s_add_nc_u64 s[24:25], s[16:17], 0xc4
	s_cselect_b32 s38, -1, 0
	s_mov_b32 s23, s19
	s_mov_b32 s43, s19
	;; [unrolled: 1-line block ×3, first 2 shown]
	s_mov_b32 s44, exec_lo
	s_wait_kmcnt 0x0
	s_mov_b32 s18, s9
	s_bfe_u32 s37, s2, 0x80008
	s_lshr_b32 s9, s1, 16
	s_cmp_lg_u32 s0, 0
	s_mov_b32 s22, s20
	s_cselect_b32 s20, -1, 0
	v_cmpx_gt_i32_e64 s39, v0
	s_cbranch_execz .LBB159_275
; %bb.2:
	s_and_not1_b32 vcc_lo, exec_lo, s35
	s_cbranch_vccnz .LBB159_8
; %bb.3:
	s_and_not1_b32 vcc_lo, exec_lo, s41
	s_cbranch_vccnz .LBB159_9
; %bb.4:
	s_add_co_i32 s0, s40, 1
	s_cmp_eq_u32 s34, 2
	s_cbranch_scc1 .LBB159_10
; %bb.5:
	v_dual_mov_b32 v2, 0 :: v_dual_mov_b32 v4, 0
	v_mov_b32_e32 v1, v0
	s_and_b32 s26, s0, 28
	s_mov_b32 s27, 0
	s_mov_b64 s[28:29], s[16:17]
	s_mov_b64 s[30:31], s[24:25]
.LBB159_6:                              ; =>This Inner Loop Header: Depth=1
	s_clause 0x1
	s_load_b256 s[48:55], s[28:29], 0x4
	s_load_b128 s[64:67], s[28:29], 0x24
	s_load_b256 s[56:63], s[30:31], 0x0
	s_add_co_i32 s27, s27, 4
	s_wait_xcnt 0x0
	s_add_nc_u64 s[28:29], s[28:29], 48
	s_cmp_lg_u32 s26, s27
	s_add_nc_u64 s[30:31], s[30:31], 32
	s_wait_kmcnt 0x0
	v_mul_hi_u32 v3, s49, v1
	s_delay_alu instid0(VALU_DEP_1) | instskip(NEXT) | instid1(VALU_DEP_1)
	v_add_nc_u32_e32 v3, v1, v3
	v_lshrrev_b32_e32 v3, s50, v3
	s_delay_alu instid0(VALU_DEP_1) | instskip(NEXT) | instid1(VALU_DEP_1)
	v_mul_hi_u32 v5, s52, v3
	v_add_nc_u32_e32 v5, v3, v5
	s_delay_alu instid0(VALU_DEP_1) | instskip(NEXT) | instid1(VALU_DEP_1)
	v_lshrrev_b32_e32 v5, s53, v5
	v_mul_hi_u32 v6, s55, v5
	s_delay_alu instid0(VALU_DEP_1) | instskip(SKIP_1) | instid1(VALU_DEP_1)
	v_add_nc_u32_e32 v6, v5, v6
	v_mul_lo_u32 v7, v3, s48
	v_sub_nc_u32_e32 v1, v1, v7
	v_mul_lo_u32 v7, v5, s51
	s_delay_alu instid0(VALU_DEP_4) | instskip(NEXT) | instid1(VALU_DEP_3)
	v_lshrrev_b32_e32 v6, s64, v6
	v_mad_u32 v4, v1, s57, v4
	v_mad_u32 v1, v1, s56, v2
	s_delay_alu instid0(VALU_DEP_4) | instskip(NEXT) | instid1(VALU_DEP_4)
	v_sub_nc_u32_e32 v2, v3, v7
	v_mul_hi_u32 v8, s66, v6
	v_mul_lo_u32 v3, v6, s54
	s_delay_alu instid0(VALU_DEP_3) | instskip(SKIP_1) | instid1(VALU_DEP_3)
	v_mad_u32 v4, v2, s59, v4
	v_mad_u32 v2, v2, s58, v1
	v_dual_add_nc_u32 v7, v6, v8 :: v_dual_sub_nc_u32 v3, v5, v3
	s_delay_alu instid0(VALU_DEP_1) | instskip(NEXT) | instid1(VALU_DEP_2)
	v_lshrrev_b32_e32 v1, s67, v7
	v_mad_u32 v4, v3, s61, v4
	s_delay_alu instid0(VALU_DEP_4) | instskip(NEXT) | instid1(VALU_DEP_3)
	v_mad_u32 v2, v3, s60, v2
	v_mul_lo_u32 v5, v1, s65
	s_delay_alu instid0(VALU_DEP_1) | instskip(NEXT) | instid1(VALU_DEP_1)
	v_sub_nc_u32_e32 v3, v6, v5
	v_mad_u32 v4, v3, s63, v4
	s_delay_alu instid0(VALU_DEP_4)
	v_mad_u32 v2, v3, s62, v2
	s_cbranch_scc1 .LBB159_6
; %bb.7:
	s_delay_alu instid0(VALU_DEP_2)
	v_mov_b32_e32 v3, v4
	s_and_b32 s0, s0, 3
	s_mov_b32 s27, 0
	s_cmp_eq_u32 s0, 0
	s_cbranch_scc0 .LBB159_11
	s_branch .LBB159_14
.LBB159_8:
                                        ; implicit-def: $vgpr4
                                        ; implicit-def: $vgpr2
	s_branch .LBB159_15
.LBB159_9:
	v_dual_mov_b32 v4, 0 :: v_dual_mov_b32 v2, 0
	s_branch .LBB159_14
.LBB159_10:
	v_mov_b64_e32 v[2:3], 0
	v_mov_b32_e32 v1, v0
	s_mov_b32 s26, 0
                                        ; implicit-def: $vgpr4
	s_and_b32 s0, s0, 3
	s_mov_b32 s27, 0
	s_cmp_eq_u32 s0, 0
	s_cbranch_scc1 .LBB159_14
.LBB159_11:
	s_lshl_b32 s28, s26, 3
	s_mov_b32 s29, s27
	s_mul_u64 s[30:31], s[26:27], 12
	s_add_nc_u64 s[28:29], s[16:17], s[28:29]
	s_delay_alu instid0(SALU_CYCLE_1)
	s_add_nc_u64 s[26:27], s[28:29], 0xc4
	s_add_nc_u64 s[28:29], s[16:17], s[30:31]
.LBB159_12:                             ; =>This Inner Loop Header: Depth=1
	s_load_b96 s[48:50], s[28:29], 0x4
	s_load_b64 s[30:31], s[26:27], 0x0
	s_add_co_i32 s0, s0, -1
	s_wait_xcnt 0x0
	s_add_nc_u64 s[28:29], s[28:29], 12
	s_cmp_lg_u32 s0, 0
	s_add_nc_u64 s[26:27], s[26:27], 8
	s_wait_kmcnt 0x0
	v_mul_hi_u32 v4, s49, v1
	s_delay_alu instid0(VALU_DEP_1) | instskip(NEXT) | instid1(VALU_DEP_1)
	v_add_nc_u32_e32 v4, v1, v4
	v_lshrrev_b32_e32 v4, s50, v4
	s_delay_alu instid0(VALU_DEP_1) | instskip(NEXT) | instid1(VALU_DEP_1)
	v_mul_lo_u32 v5, v4, s48
	v_sub_nc_u32_e32 v1, v1, v5
	s_delay_alu instid0(VALU_DEP_1)
	v_mad_u32 v3, v1, s31, v3
	v_mad_u32 v2, v1, s30, v2
	v_mov_b32_e32 v1, v4
	s_cbranch_scc1 .LBB159_12
; %bb.13:
	s_delay_alu instid0(VALU_DEP_3)
	v_mov_b32_e32 v4, v3
.LBB159_14:
	s_cbranch_execnz .LBB159_17
.LBB159_15:
	v_mov_b32_e32 v1, 0
	s_and_not1_b32 vcc_lo, exec_lo, s38
	s_delay_alu instid0(VALU_DEP_1) | instskip(NEXT) | instid1(VALU_DEP_1)
	v_mul_u64_e32 v[2:3], s[18:19], v[0:1]
	v_add_nc_u32_e32 v2, v0, v3
	s_delay_alu instid0(VALU_DEP_1) | instskip(NEXT) | instid1(VALU_DEP_1)
	v_lshrrev_b32_e32 v6, s10, v2
	v_mul_lo_u32 v2, v6, s8
	s_delay_alu instid0(VALU_DEP_1) | instskip(NEXT) | instid1(VALU_DEP_1)
	v_sub_nc_u32_e32 v2, v0, v2
	v_mul_lo_u32 v4, v2, s13
	v_mul_lo_u32 v2, v2, s12
	s_cbranch_vccnz .LBB159_17
; %bb.16:
	v_mov_b32_e32 v7, v1
	s_delay_alu instid0(VALU_DEP_1) | instskip(NEXT) | instid1(VALU_DEP_1)
	v_mul_u64_e32 v[8:9], s[22:23], v[6:7]
	v_add_nc_u32_e32 v1, v6, v9
	s_delay_alu instid0(VALU_DEP_1) | instskip(NEXT) | instid1(VALU_DEP_1)
	v_lshrrev_b32_e32 v1, s21, v1
	v_mul_lo_u32 v1, v1, s11
	s_delay_alu instid0(VALU_DEP_1) | instskip(NEXT) | instid1(VALU_DEP_1)
	v_sub_nc_u32_e32 v1, v6, v1
	v_mad_u32 v2, v1, s14, v2
	v_mad_u32 v4, v1, s15, v4
.LBB159_17:
	v_mov_b32_e32 v5, 0
	s_and_b32 s0, 0xffff, s37
	s_delay_alu instid0(SALU_CYCLE_1) | instskip(NEXT) | instid1(VALU_DEP_1)
	s_cmp_lt_i32 s0, 11
	v_add_nc_u64_e32 v[4:5], s[6:7], v[4:5]
	s_cbranch_scc1 .LBB159_24
; %bb.18:
	s_cmp_gt_i32 s0, 25
	s_cbranch_scc0 .LBB159_36
; %bb.19:
	s_cmp_gt_i32 s0, 28
	s_cbranch_scc0 .LBB159_40
	;; [unrolled: 3-line block ×4, first 2 shown]
; %bb.22:
	s_cmp_eq_u32 s0, 46
	s_mov_b32 s28, 0
	s_cbranch_scc0 .LBB159_46
; %bb.23:
	global_load_b32 v1, v[4:5], off
	s_mov_b32 s27, -1
	s_mov_b32 s26, 0
	s_wait_loadcnt 0x0
	v_lshlrev_b32_e32 v3, 16, v1
	v_and_b32_e32 v6, 0xffff0000, v1
	s_delay_alu instid0(VALU_DEP_2) | instskip(NEXT) | instid1(VALU_DEP_2)
	v_cvt_f16_f32_e32 v1, v3
	v_cvt_f16_f32_e32 v3, v6
	s_branch .LBB159_48
.LBB159_24:
	s_mov_b32 s26, 0
	s_mov_b32 s27, 0
                                        ; implicit-def: $vgpr3
                                        ; implicit-def: $vgpr1
	s_cbranch_execnz .LBB159_223
.LBB159_25:
	s_and_not1_b32 vcc_lo, exec_lo, s27
	s_cbranch_vccnz .LBB159_272
.LBB159_26:
	s_and_b32 vcc_lo, exec_lo, s20
	s_cbranch_vccz .LBB159_39
; %bb.27:
	s_wait_loadcnt 0x0
	v_cmp_neq_f16_e32 vcc_lo, s1, v1
	v_cmp_neq_f16_e64 s0, s9, v3
	s_or_b32 s27, vcc_lo, s0
	s_cbranch_execnz .LBB159_29
.LBB159_28:
	s_wait_loadcnt 0x0
	v_cmp_eq_f16_e32 vcc_lo, s1, v1
	v_cmp_eq_f16_e64 s0, s9, v3
	s_and_not1_b32 s27, s27, exec_lo
	s_and_b32 s0, vcc_lo, s0
	s_delay_alu instid0(SALU_CYCLE_1) | instskip(NEXT) | instid1(SALU_CYCLE_1)
	s_and_b32 s0, s0, exec_lo
	s_or_b32 s27, s27, s0
.LBB159_29:
	v_mov_b32_e32 v3, 0
	s_and_b32 s28, s2, 0xff
	s_delay_alu instid0(SALU_CYCLE_1) | instskip(NEXT) | instid1(VALU_DEP_1)
	s_cmp_lt_i32 s28, 11
	v_add_nc_u64_e32 v[2:3], s[4:5], v[2:3]
	s_cbranch_scc1 .LBB159_37
; %bb.30:
	s_and_b32 s29, 0xffff, s28
	s_delay_alu instid0(SALU_CYCLE_1)
	s_cmp_gt_i32 s29, 25
	s_cbranch_scc0 .LBB159_41
; %bb.31:
	s_cmp_gt_i32 s29, 28
	s_cbranch_scc0 .LBB159_43
; %bb.32:
	;; [unrolled: 3-line block ×4, first 2 shown]
	s_mov_b32 s31, 0
	s_mov_b32 s0, -1
	s_cmp_eq_u32 s29, 46
	s_mov_b32 s30, 0
	s_cbranch_scc0 .LBB159_52
; %bb.35:
	s_wait_loadcnt 0x0
	v_cndmask_b32_e64 v1, 0, 1.0, s27
	s_mov_b32 s30, -1
	s_mov_b32 s0, 0
	s_delay_alu instid0(VALU_DEP_1) | instskip(NEXT) | instid1(VALU_DEP_1)
	v_bfe_u32 v4, v1, 16, 1
	v_add3_u32 v1, v1, v4, 0x7fff
	s_delay_alu instid0(VALU_DEP_1)
	v_lshrrev_b32_e32 v1, 16, v1
	global_store_b32 v[2:3], v1, off
	s_branch .LBB159_52
.LBB159_36:
	s_mov_b32 s26, 0
	s_mov_b32 s27, 0
                                        ; implicit-def: $vgpr3
                                        ; implicit-def: $vgpr1
	s_cbranch_execnz .LBB159_188
	s_branch .LBB159_222
.LBB159_37:
	s_mov_b32 s0, 0
	s_mov_b32 s30, 0
	s_cbranch_execnz .LBB159_121
.LBB159_38:
	s_and_not1_b32 vcc_lo, exec_lo, s30
	s_cbranch_vccz .LBB159_159
	s_branch .LBB159_273
.LBB159_39:
                                        ; implicit-def: $sgpr27
	s_branch .LBB159_28
.LBB159_40:
	s_mov_b32 s28, -1
	s_mov_b32 s26, 0
	s_mov_b32 s27, 0
                                        ; implicit-def: $vgpr3
                                        ; implicit-def: $vgpr1
	s_branch .LBB159_169
.LBB159_41:
	s_mov_b32 s31, -1
	s_mov_b32 s0, 0
	s_mov_b32 s30, 0
	s_branch .LBB159_79
.LBB159_42:
	s_mov_b32 s28, -1
	s_mov_b32 s26, 0
	s_mov_b32 s27, 0
                                        ; implicit-def: $vgpr3
                                        ; implicit-def: $vgpr1
	s_branch .LBB159_163
.LBB159_43:
	s_mov_b32 s31, -1
	s_mov_b32 s0, 0
	s_mov_b32 s30, 0
	s_branch .LBB159_62
.LBB159_44:
	s_mov_b32 s28, -1
	s_mov_b32 s26, 0
	s_branch .LBB159_47
.LBB159_45:
	s_mov_b32 s31, -1
	s_mov_b32 s0, 0
	s_mov_b32 s30, 0
	s_branch .LBB159_58
.LBB159_46:
	s_mov_b32 s26, -1
.LBB159_47:
	s_mov_b32 s27, 0
                                        ; implicit-def: $vgpr3
                                        ; implicit-def: $vgpr1
.LBB159_48:
	s_and_b32 vcc_lo, exec_lo, s28
	s_cbranch_vccz .LBB159_162
; %bb.49:
	s_cmp_eq_u32 s0, 44
	s_cbranch_scc0 .LBB159_160
; %bb.50:
	global_load_u8 v1, v[4:5], off
	s_mov_b32 s26, 0
	s_mov_b32 s27, -1
	s_wait_loadcnt 0x0
	v_lshlrev_b32_e32 v3, 23, v1
	v_cmp_ne_u32_e32 vcc_lo, 0xff, v1
	s_delay_alu instid0(VALU_DEP_2) | instskip(NEXT) | instid1(VALU_DEP_1)
	v_cvt_f16_f32_e32 v3, v3
	v_cndmask_b32_e32 v3, 0x7e00, v3, vcc_lo
	v_cmp_ne_u32_e32 vcc_lo, 0, v1
	s_delay_alu instid0(VALU_DEP_2)
	v_cndmask_b32_e32 v1, 0, v3, vcc_lo
	s_branch .LBB159_161
.LBB159_51:
	s_mov_b32 s31, -1
	s_mov_b32 s0, 0
	s_mov_b32 s30, 0
.LBB159_52:
	s_and_b32 vcc_lo, exec_lo, s31
	s_cbranch_vccz .LBB159_57
; %bb.53:
	s_cmp_eq_u32 s29, 44
	s_mov_b32 s0, -1
	s_cbranch_scc0 .LBB159_57
; %bb.54:
	s_wait_xcnt 0x0
	v_cndmask_b32_e64 v5, 0, 1.0, s27
	s_mov_b32 s30, exec_lo
	s_wait_loadcnt 0x0
	s_delay_alu instid0(VALU_DEP_1) | instskip(NEXT) | instid1(VALU_DEP_1)
	v_dual_mov_b32 v4, 0xff :: v_dual_lshrrev_b32 v1, 23, v5
	v_cmpx_ne_u32_e32 0xff, v1
; %bb.55:
	v_and_b32_e32 v4, 0x400000, v5
	v_and_or_b32 v5, 0x3fffff, v5, v1
	s_delay_alu instid0(VALU_DEP_2) | instskip(NEXT) | instid1(VALU_DEP_2)
	v_cmp_ne_u32_e32 vcc_lo, 0, v4
	v_cmp_ne_u32_e64 s0, 0, v5
	s_and_b32 s0, vcc_lo, s0
	s_delay_alu instid0(SALU_CYCLE_1) | instskip(NEXT) | instid1(VALU_DEP_1)
	v_cndmask_b32_e64 v4, 0, 1, s0
	v_add_nc_u32_e32 v4, v1, v4
; %bb.56:
	s_or_b32 exec_lo, exec_lo, s30
	s_mov_b32 s30, -1
	s_mov_b32 s0, 0
	global_store_b8 v[2:3], v4, off
.LBB159_57:
	s_mov_b32 s31, 0
.LBB159_58:
	s_delay_alu instid0(SALU_CYCLE_1)
	s_and_b32 vcc_lo, exec_lo, s31
	s_cbranch_vccz .LBB159_61
; %bb.59:
	s_cmp_eq_u32 s29, 29
	s_mov_b32 s0, -1
	s_cbranch_scc0 .LBB159_61
; %bb.60:
	s_mov_b32 s0, 0
	s_wait_xcnt 0x0
	v_cndmask_b32_e64 v4, 0, 1, s27
	v_mov_b32_e32 v5, s0
	s_mov_b32 s30, -1
	s_mov_b32 s31, 0
	global_store_b64 v[2:3], v[4:5], off
	s_branch .LBB159_62
.LBB159_61:
	s_mov_b32 s31, 0
.LBB159_62:
	s_delay_alu instid0(SALU_CYCLE_1)
	s_and_b32 vcc_lo, exec_lo, s31
	s_cbranch_vccz .LBB159_78
; %bb.63:
	s_cmp_lt_i32 s29, 27
	s_mov_b32 s30, -1
	s_cbranch_scc1 .LBB159_69
; %bb.64:
	s_cmp_gt_i32 s29, 27
	s_cbranch_scc0 .LBB159_66
; %bb.65:
	s_wait_loadcnt 0x0
	v_cndmask_b32_e64 v1, 0, 1, s27
	s_mov_b32 s30, 0
	global_store_b32 v[2:3], v1, off
.LBB159_66:
	s_and_not1_b32 vcc_lo, exec_lo, s30
	s_cbranch_vccnz .LBB159_68
; %bb.67:
	s_wait_loadcnt 0x0
	v_cndmask_b32_e64 v1, 0, 1, s27
	global_store_b16 v[2:3], v1, off
.LBB159_68:
	s_mov_b32 s30, 0
.LBB159_69:
	s_delay_alu instid0(SALU_CYCLE_1)
	s_and_not1_b32 vcc_lo, exec_lo, s30
	s_cbranch_vccnz .LBB159_77
; %bb.70:
	s_wait_xcnt 0x0
	v_cndmask_b32_e64 v4, 0, 1.0, s27
	v_mov_b32_e32 v5, 0x80
	s_mov_b32 s30, exec_lo
	s_delay_alu instid0(VALU_DEP_2)
	v_cmpx_gt_u32_e32 0x43800000, v4
	s_cbranch_execz .LBB159_76
; %bb.71:
	s_mov_b32 s31, 0
	s_mov_b32 s42, exec_lo
                                        ; implicit-def: $vgpr1
	v_cmpx_lt_u32_e32 0x3bffffff, v4
	s_xor_b32 s42, exec_lo, s42
	s_cbranch_execz .LBB159_322
; %bb.72:
	s_wait_loadcnt 0x0
	v_bfe_u32 v1, v4, 20, 1
	s_mov_b32 s31, exec_lo
	s_delay_alu instid0(VALU_DEP_1) | instskip(NEXT) | instid1(VALU_DEP_1)
	v_add3_u32 v1, v4, v1, 0x487ffff
                                        ; implicit-def: $vgpr4
	v_lshrrev_b32_e32 v1, 20, v1
	s_and_not1_saveexec_b32 s42, s42
	s_cbranch_execnz .LBB159_323
.LBB159_73:
	s_or_b32 exec_lo, exec_lo, s42
	v_mov_b32_e32 v5, 0
	s_and_saveexec_b32 s42, s31
	s_cbranch_execz .LBB159_75
.LBB159_74:
	s_wait_loadcnt 0x0
	v_mov_b32_e32 v5, v1
.LBB159_75:
	s_or_b32 exec_lo, exec_lo, s42
.LBB159_76:
	s_delay_alu instid0(SALU_CYCLE_1)
	s_or_b32 exec_lo, exec_lo, s30
	global_store_b8 v[2:3], v5, off
.LBB159_77:
	s_mov_b32 s30, -1
.LBB159_78:
	s_mov_b32 s31, 0
.LBB159_79:
	s_delay_alu instid0(SALU_CYCLE_1)
	s_and_b32 vcc_lo, exec_lo, s31
	s_cbranch_vccz .LBB159_120
; %bb.80:
	s_cmp_gt_i32 s29, 22
	s_mov_b32 s31, -1
	s_cbranch_scc0 .LBB159_112
; %bb.81:
	s_cmp_lt_i32 s29, 24
	s_mov_b32 s30, -1
	s_cbranch_scc1 .LBB159_101
; %bb.82:
	s_cmp_gt_i32 s29, 24
	s_cbranch_scc0 .LBB159_90
; %bb.83:
	s_wait_xcnt 0x0
	v_cndmask_b32_e64 v4, 0, 1.0, s27
	v_mov_b32_e32 v5, 0x80
	s_mov_b32 s30, exec_lo
	s_delay_alu instid0(VALU_DEP_2)
	v_cmpx_gt_u32_e32 0x47800000, v4
	s_cbranch_execz .LBB159_89
; %bb.84:
	s_mov_b32 s31, 0
	s_mov_b32 s42, exec_lo
                                        ; implicit-def: $vgpr1
	v_cmpx_lt_u32_e32 0x37ffffff, v4
	s_xor_b32 s42, exec_lo, s42
	s_cbranch_execz .LBB159_326
; %bb.85:
	s_wait_loadcnt 0x0
	v_bfe_u32 v1, v4, 21, 1
	s_mov_b32 s31, exec_lo
	s_delay_alu instid0(VALU_DEP_1) | instskip(NEXT) | instid1(VALU_DEP_1)
	v_add3_u32 v1, v4, v1, 0x88fffff
                                        ; implicit-def: $vgpr4
	v_lshrrev_b32_e32 v1, 21, v1
	s_and_not1_saveexec_b32 s42, s42
	s_cbranch_execnz .LBB159_327
.LBB159_86:
	s_or_b32 exec_lo, exec_lo, s42
	v_mov_b32_e32 v5, 0
	s_and_saveexec_b32 s42, s31
	s_cbranch_execz .LBB159_88
.LBB159_87:
	s_wait_loadcnt 0x0
	v_mov_b32_e32 v5, v1
.LBB159_88:
	s_or_b32 exec_lo, exec_lo, s42
.LBB159_89:
	s_delay_alu instid0(SALU_CYCLE_1)
	s_or_b32 exec_lo, exec_lo, s30
	s_mov_b32 s30, 0
	global_store_b8 v[2:3], v5, off
.LBB159_90:
	s_and_b32 vcc_lo, exec_lo, s30
	s_cbranch_vccz .LBB159_100
; %bb.91:
	s_wait_xcnt 0x0
	v_cndmask_b32_e64 v4, 0, 1.0, s27
	s_mov_b32 s30, exec_lo
                                        ; implicit-def: $vgpr1
	s_delay_alu instid0(VALU_DEP_1)
	v_cmpx_gt_u32_e32 0x43f00000, v4
	s_xor_b32 s30, exec_lo, s30
	s_cbranch_execz .LBB159_97
; %bb.92:
	s_mov_b32 s31, exec_lo
                                        ; implicit-def: $vgpr1
	v_cmpx_lt_u32_e32 0x3c7fffff, v4
	s_xor_b32 s31, exec_lo, s31
	s_cbranch_execz .LBB159_94
; %bb.93:
	s_wait_loadcnt 0x0
	v_bfe_u32 v1, v4, 20, 1
	s_delay_alu instid0(VALU_DEP_1) | instskip(NEXT) | instid1(VALU_DEP_1)
	v_add3_u32 v1, v4, v1, 0x407ffff
	v_and_b32_e32 v4, 0xff00000, v1
	v_lshrrev_b32_e32 v1, 20, v1
	s_delay_alu instid0(VALU_DEP_2) | instskip(NEXT) | instid1(VALU_DEP_2)
	v_cmp_ne_u32_e32 vcc_lo, 0x7f00000, v4
                                        ; implicit-def: $vgpr4
	v_cndmask_b32_e32 v1, 0x7e, v1, vcc_lo
.LBB159_94:
	s_and_not1_saveexec_b32 s31, s31
	s_cbranch_execz .LBB159_96
; %bb.95:
	s_wait_loadcnt 0x0
	v_add_f32_e32 v1, 0x46800000, v4
.LBB159_96:
	s_or_b32 exec_lo, exec_lo, s31
                                        ; implicit-def: $vgpr4
.LBB159_97:
	s_and_not1_saveexec_b32 s30, s30
	s_cbranch_execz .LBB159_99
; %bb.98:
	s_wait_loadcnt 0x0
	v_mov_b32_e32 v1, 0x7f
	v_cmp_lt_u32_e32 vcc_lo, 0x7f800000, v4
	s_delay_alu instid0(VALU_DEP_2)
	v_cndmask_b32_e32 v1, 0x7e, v1, vcc_lo
.LBB159_99:
	s_or_b32 exec_lo, exec_lo, s30
	s_wait_loadcnt 0x0
	global_store_b8 v[2:3], v1, off
.LBB159_100:
	s_mov_b32 s30, 0
.LBB159_101:
	s_delay_alu instid0(SALU_CYCLE_1)
	s_and_not1_b32 vcc_lo, exec_lo, s30
	s_cbranch_vccnz .LBB159_111
; %bb.102:
	s_wait_xcnt 0x0
	v_cndmask_b32_e64 v4, 0, 1.0, s27
	s_mov_b32 s30, exec_lo
                                        ; implicit-def: $vgpr1
	s_delay_alu instid0(VALU_DEP_1)
	v_cmpx_gt_u32_e32 0x47800000, v4
	s_xor_b32 s30, exec_lo, s30
	s_cbranch_execz .LBB159_108
; %bb.103:
	s_mov_b32 s31, exec_lo
                                        ; implicit-def: $vgpr1
	v_cmpx_lt_u32_e32 0x387fffff, v4
	s_xor_b32 s31, exec_lo, s31
	s_cbranch_execz .LBB159_105
; %bb.104:
	s_wait_loadcnt 0x0
	v_bfe_u32 v1, v4, 21, 1
	s_delay_alu instid0(VALU_DEP_1) | instskip(NEXT) | instid1(VALU_DEP_1)
	v_add3_u32 v1, v4, v1, 0x80fffff
                                        ; implicit-def: $vgpr4
	v_lshrrev_b32_e32 v1, 21, v1
.LBB159_105:
	s_and_not1_saveexec_b32 s31, s31
	s_cbranch_execz .LBB159_107
; %bb.106:
	s_wait_loadcnt 0x0
	v_add_f32_e32 v1, 0x43000000, v4
.LBB159_107:
	s_or_b32 exec_lo, exec_lo, s31
                                        ; implicit-def: $vgpr4
.LBB159_108:
	s_and_not1_saveexec_b32 s30, s30
	s_cbranch_execz .LBB159_110
; %bb.109:
	s_wait_loadcnt 0x0
	v_mov_b32_e32 v1, 0x7f
	v_cmp_lt_u32_e32 vcc_lo, 0x7f800000, v4
	s_delay_alu instid0(VALU_DEP_2)
	v_cndmask_b32_e32 v1, 0x7c, v1, vcc_lo
.LBB159_110:
	s_or_b32 exec_lo, exec_lo, s30
	s_wait_loadcnt 0x0
	global_store_b8 v[2:3], v1, off
.LBB159_111:
	s_mov_b32 s31, 0
	s_mov_b32 s30, -1
.LBB159_112:
	s_and_not1_b32 vcc_lo, exec_lo, s31
	s_cbranch_vccnz .LBB159_120
; %bb.113:
	s_cmp_gt_i32 s29, 14
	s_mov_b32 s31, -1
	s_cbranch_scc0 .LBB159_117
; %bb.114:
	s_cmp_eq_u32 s29, 15
	s_mov_b32 s0, -1
	s_cbranch_scc0 .LBB159_116
; %bb.115:
	s_wait_loadcnt 0x0
	v_cndmask_b32_e64 v1, 0, 1.0, s27
	s_mov_b32 s30, -1
	s_mov_b32 s0, 0
	s_delay_alu instid0(VALU_DEP_1) | instskip(NEXT) | instid1(VALU_DEP_1)
	v_bfe_u32 v4, v1, 16, 1
	v_add3_u32 v1, v1, v4, 0x7fff
	global_store_d16_hi_b16 v[2:3], v1, off
.LBB159_116:
	s_mov_b32 s31, 0
.LBB159_117:
	s_delay_alu instid0(SALU_CYCLE_1)
	s_and_b32 vcc_lo, exec_lo, s31
	s_cbranch_vccz .LBB159_120
; %bb.118:
	s_cmp_eq_u32 s29, 11
	s_mov_b32 s0, -1
	s_cbranch_scc0 .LBB159_120
; %bb.119:
	s_wait_loadcnt 0x0
	v_cndmask_b32_e64 v1, 0, 1, s27
	s_mov_b32 s30, -1
	s_mov_b32 s0, 0
	global_store_b8 v[2:3], v1, off
.LBB159_120:
	s_branch .LBB159_38
.LBB159_121:
	s_and_b32 s28, 0xffff, s28
	s_mov_b32 s29, -1
	s_cmp_lt_i32 s28, 5
	s_cbranch_scc1 .LBB159_142
; %bb.122:
	s_cmp_lt_i32 s28, 8
	s_cbranch_scc1 .LBB159_132
; %bb.123:
	;; [unrolled: 3-line block ×3, first 2 shown]
	s_cmp_gt_i32 s28, 9
	s_cbranch_scc0 .LBB159_126
; %bb.125:
	s_wait_loadcnt 0x0
	v_cndmask_b32_e64 v1, 0, 1, s27
	v_mov_b32_e32 v6, 0
	s_mov_b32 s29, 0
	s_delay_alu instid0(VALU_DEP_2) | instskip(NEXT) | instid1(VALU_DEP_2)
	v_cvt_f64_u32_e32 v[4:5], v1
	v_mov_b32_e32 v7, v6
	global_store_b128 v[2:3], v[4:7], off
.LBB159_126:
	s_and_not1_b32 vcc_lo, exec_lo, s29
	s_cbranch_vccnz .LBB159_128
; %bb.127:
	s_wait_xcnt 0x0
	v_cndmask_b32_e64 v4, 0, 1.0, s27
	v_mov_b32_e32 v5, 0
	global_store_b64 v[2:3], v[4:5], off
.LBB159_128:
	s_mov_b32 s29, 0
.LBB159_129:
	s_delay_alu instid0(SALU_CYCLE_1)
	s_and_not1_b32 vcc_lo, exec_lo, s29
	s_cbranch_vccnz .LBB159_131
; %bb.130:
	s_wait_loadcnt 0x0
	v_cndmask_b32_e64 v1, 0, 1.0, s27
	s_delay_alu instid0(VALU_DEP_1) | instskip(NEXT) | instid1(VALU_DEP_1)
	v_cvt_f16_f32_e32 v1, v1
	v_and_b32_e32 v1, 0xffff, v1
	global_store_b32 v[2:3], v1, off
.LBB159_131:
	s_mov_b32 s29, 0
.LBB159_132:
	s_delay_alu instid0(SALU_CYCLE_1)
	s_and_not1_b32 vcc_lo, exec_lo, s29
	s_cbranch_vccnz .LBB159_141
; %bb.133:
	s_cmp_lt_i32 s28, 6
	s_mov_b32 s29, -1
	s_cbranch_scc1 .LBB159_139
; %bb.134:
	s_cmp_gt_i32 s28, 6
	s_cbranch_scc0 .LBB159_136
; %bb.135:
	s_wait_loadcnt 0x0
	v_cndmask_b32_e64 v1, 0, 1, s27
	s_mov_b32 s29, 0
	s_delay_alu instid0(VALU_DEP_1)
	v_cvt_f64_u32_e32 v[4:5], v1
	global_store_b64 v[2:3], v[4:5], off
.LBB159_136:
	s_and_not1_b32 vcc_lo, exec_lo, s29
	s_cbranch_vccnz .LBB159_138
; %bb.137:
	s_wait_loadcnt 0x0
	v_cndmask_b32_e64 v1, 0, 1.0, s27
	global_store_b32 v[2:3], v1, off
.LBB159_138:
	s_mov_b32 s29, 0
.LBB159_139:
	s_delay_alu instid0(SALU_CYCLE_1)
	s_and_not1_b32 vcc_lo, exec_lo, s29
	s_cbranch_vccnz .LBB159_141
; %bb.140:
	s_wait_loadcnt 0x0
	v_cndmask_b32_e64 v1, 0, 1.0, s27
	s_delay_alu instid0(VALU_DEP_1)
	v_cvt_f16_f32_e32 v1, v1
	global_store_b16 v[2:3], v1, off
.LBB159_141:
	s_mov_b32 s29, 0
.LBB159_142:
	s_delay_alu instid0(SALU_CYCLE_1)
	s_and_not1_b32 vcc_lo, exec_lo, s29
	s_cbranch_vccnz .LBB159_158
; %bb.143:
	s_cmp_lt_i32 s28, 2
	s_mov_b32 s29, -1
	s_cbranch_scc1 .LBB159_153
; %bb.144:
	s_cmp_lt_i32 s28, 3
	s_cbranch_scc1 .LBB159_150
; %bb.145:
	s_cmp_gt_i32 s28, 3
	s_cbranch_scc0 .LBB159_147
; %bb.146:
	s_mov_b32 s29, 0
	s_wait_xcnt 0x0
	v_cndmask_b32_e64 v4, 0, 1, s27
	v_mov_b32_e32 v5, s29
	global_store_b64 v[2:3], v[4:5], off
.LBB159_147:
	s_and_not1_b32 vcc_lo, exec_lo, s29
	s_cbranch_vccnz .LBB159_149
; %bb.148:
	s_wait_loadcnt 0x0
	v_cndmask_b32_e64 v1, 0, 1, s27
	global_store_b32 v[2:3], v1, off
.LBB159_149:
	s_mov_b32 s29, 0
.LBB159_150:
	s_delay_alu instid0(SALU_CYCLE_1)
	s_and_not1_b32 vcc_lo, exec_lo, s29
	s_cbranch_vccnz .LBB159_152
; %bb.151:
	s_wait_loadcnt 0x0
	v_cndmask_b32_e64 v1, 0, 1, s27
	global_store_b16 v[2:3], v1, off
.LBB159_152:
	s_mov_b32 s29, 0
.LBB159_153:
	s_delay_alu instid0(SALU_CYCLE_1)
	s_and_not1_b32 vcc_lo, exec_lo, s29
	s_cbranch_vccnz .LBB159_158
; %bb.154:
	s_cmp_gt_i32 s28, 0
	s_mov_b32 s28, -1
	s_cbranch_scc0 .LBB159_156
; %bb.155:
	s_wait_loadcnt 0x0
	v_cndmask_b32_e64 v1, 0, 1, s27
	s_mov_b32 s28, 0
	global_store_b8 v[2:3], v1, off
.LBB159_156:
	s_and_not1_b32 vcc_lo, exec_lo, s28
	s_cbranch_vccnz .LBB159_158
; %bb.157:
	s_wait_loadcnt 0x0
	v_cndmask_b32_e64 v1, 0, 1, s27
	global_store_b8 v[2:3], v1, off
.LBB159_158:
.LBB159_159:
	v_add_nc_u32_e32 v0, 0x80, v0
	s_mov_b32 s27, -1
	s_branch .LBB159_274
.LBB159_160:
	s_mov_b32 s26, -1
                                        ; implicit-def: $vgpr1
.LBB159_161:
	v_mov_b32_e32 v3, 0
.LBB159_162:
	s_mov_b32 s28, 0
.LBB159_163:
	s_delay_alu instid0(SALU_CYCLE_1)
	s_and_b32 vcc_lo, exec_lo, s28
	s_cbranch_vccz .LBB159_168
; %bb.164:
	s_cmp_eq_u32 s0, 29
	s_cbranch_scc0 .LBB159_166
; %bb.165:
	global_load_b64 v[6:7], v[4:5], off
	s_mov_b32 s27, -1
	s_mov_b32 s26, 0
	s_wait_loadcnt 0x0
	v_clz_i32_u32_e32 v1, v7
	s_delay_alu instid0(VALU_DEP_1) | instskip(NEXT) | instid1(VALU_DEP_1)
	v_min_u32_e32 v1, 32, v1
	v_lshlrev_b64_e32 v[6:7], v1, v[6:7]
	v_sub_nc_u32_e32 v1, 32, v1
	s_delay_alu instid0(VALU_DEP_2) | instskip(NEXT) | instid1(VALU_DEP_1)
	v_min_u32_e32 v3, 1, v6
	v_or_b32_e32 v3, v7, v3
	s_delay_alu instid0(VALU_DEP_1) | instskip(NEXT) | instid1(VALU_DEP_1)
	v_cvt_f32_u32_e32 v3, v3
	v_ldexp_f32 v1, v3, v1
	s_delay_alu instid0(VALU_DEP_1)
	v_cvt_f16_f32_e32 v1, v1
	s_branch .LBB159_167
.LBB159_166:
	s_mov_b32 s26, -1
                                        ; implicit-def: $vgpr1
.LBB159_167:
	v_mov_b32_e32 v3, 0
.LBB159_168:
	s_mov_b32 s28, 0
.LBB159_169:
	s_delay_alu instid0(SALU_CYCLE_1)
	s_and_b32 vcc_lo, exec_lo, s28
	s_cbranch_vccz .LBB159_187
; %bb.170:
	s_cmp_lt_i32 s0, 27
	s_cbranch_scc1 .LBB159_173
; %bb.171:
	s_cmp_gt_i32 s0, 27
	s_cbranch_scc0 .LBB159_174
; %bb.172:
	global_load_b32 v1, v[4:5], off
	s_mov_b32 s27, 0
	s_wait_loadcnt 0x0
	v_cvt_f32_u32_e32 v1, v1
	s_delay_alu instid0(VALU_DEP_1)
	v_cvt_f16_f32_e32 v1, v1
	s_branch .LBB159_175
.LBB159_173:
	s_mov_b32 s27, -1
                                        ; implicit-def: $vgpr1
	s_branch .LBB159_178
.LBB159_174:
	s_mov_b32 s27, -1
                                        ; implicit-def: $vgpr1
.LBB159_175:
	s_delay_alu instid0(SALU_CYCLE_1)
	s_and_not1_b32 vcc_lo, exec_lo, s27
	s_cbranch_vccnz .LBB159_177
; %bb.176:
	global_load_u16 v1, v[4:5], off
	s_wait_loadcnt 0x0
	v_cvt_f16_u16_e32 v1, v1
.LBB159_177:
	s_mov_b32 s27, 0
.LBB159_178:
	s_delay_alu instid0(SALU_CYCLE_1)
	s_and_not1_b32 vcc_lo, exec_lo, s27
	s_cbranch_vccnz .LBB159_186
; %bb.179:
	global_load_u8 v3, v[4:5], off
	s_mov_b32 s27, 0
	s_mov_b32 s28, exec_lo
	s_wait_loadcnt 0x0
	v_cmpx_lt_i16_e32 0x7f, v3
	s_xor_b32 s28, exec_lo, s28
	s_cbranch_execz .LBB159_199
; %bb.180:
	s_mov_b32 s27, -1
	s_mov_b32 s29, exec_lo
	v_cmpx_eq_u16_e32 0x80, v3
; %bb.181:
	s_xor_b32 s27, exec_lo, -1
; %bb.182:
	s_or_b32 exec_lo, exec_lo, s29
	s_delay_alu instid0(SALU_CYCLE_1)
	s_and_b32 s27, s27, exec_lo
	s_or_saveexec_b32 s28, s28
	v_mov_b32_e32 v1, 0x7e00
	s_xor_b32 exec_lo, exec_lo, s28
	s_cbranch_execnz .LBB159_200
.LBB159_183:
	s_or_b32 exec_lo, exec_lo, s28
	s_and_saveexec_b32 s28, s27
	s_cbranch_execz .LBB159_185
.LBB159_184:
	v_and_b32_e32 v1, 0xffff, v3
	s_delay_alu instid0(VALU_DEP_1) | instskip(SKIP_1) | instid1(VALU_DEP_2)
	v_and_b32_e32 v6, 7, v1
	v_bfe_u32 v9, v1, 3, 4
	v_clz_i32_u32_e32 v7, v6
	s_delay_alu instid0(VALU_DEP_2) | instskip(NEXT) | instid1(VALU_DEP_2)
	v_cmp_eq_u32_e32 vcc_lo, 0, v9
	v_min_u32_e32 v7, 32, v7
	s_delay_alu instid0(VALU_DEP_1) | instskip(NEXT) | instid1(VALU_DEP_1)
	v_subrev_nc_u32_e32 v8, 28, v7
	v_dual_lshlrev_b32 v1, v8, v1 :: v_dual_sub_nc_u32 v7, 29, v7
	s_delay_alu instid0(VALU_DEP_1) | instskip(NEXT) | instid1(VALU_DEP_1)
	v_dual_lshlrev_b32 v3, 24, v3 :: v_dual_bitop2_b32 v1, 7, v1 bitop3:0x40
	v_dual_cndmask_b32 v1, v6, v1, vcc_lo :: v_dual_cndmask_b32 v7, v9, v7, vcc_lo
	s_delay_alu instid0(VALU_DEP_2) | instskip(NEXT) | instid1(VALU_DEP_2)
	v_and_b32_e32 v3, 0x80000000, v3
	v_lshlrev_b32_e32 v1, 20, v1
	s_delay_alu instid0(VALU_DEP_3) | instskip(NEXT) | instid1(VALU_DEP_1)
	v_lshl_add_u32 v6, v7, 23, 0x3b800000
	v_or3_b32 v1, v3, v6, v1
	s_delay_alu instid0(VALU_DEP_1)
	v_cvt_f16_f32_e32 v1, v1
.LBB159_185:
	s_or_b32 exec_lo, exec_lo, s28
.LBB159_186:
	v_mov_b32_e32 v3, 0
	s_mov_b32 s27, -1
.LBB159_187:
	s_branch .LBB159_222
.LBB159_188:
	s_cmp_gt_i32 s0, 22
	s_cbranch_scc0 .LBB159_198
; %bb.189:
	s_cmp_lt_i32 s0, 24
	s_cbranch_scc1 .LBB159_201
; %bb.190:
	s_cmp_gt_i32 s0, 24
	s_cbranch_scc0 .LBB159_202
; %bb.191:
	global_load_u8 v3, v[4:5], off
	s_mov_b32 s27, 0
	s_mov_b32 s28, exec_lo
	s_wait_loadcnt 0x0
	v_cmpx_lt_i16_e32 0x7f, v3
	s_xor_b32 s28, exec_lo, s28
	s_cbranch_execz .LBB159_213
; %bb.192:
	s_mov_b32 s27, -1
	s_mov_b32 s29, exec_lo
	v_cmpx_eq_u16_e32 0x80, v3
; %bb.193:
	s_xor_b32 s27, exec_lo, -1
; %bb.194:
	s_or_b32 exec_lo, exec_lo, s29
	s_delay_alu instid0(SALU_CYCLE_1)
	s_and_b32 s27, s27, exec_lo
	s_or_saveexec_b32 s28, s28
	v_mov_b32_e32 v1, 0x7e00
	s_xor_b32 exec_lo, exec_lo, s28
	s_cbranch_execnz .LBB159_214
.LBB159_195:
	s_or_b32 exec_lo, exec_lo, s28
	s_and_saveexec_b32 s28, s27
	s_cbranch_execz .LBB159_197
.LBB159_196:
	v_and_b32_e32 v1, 0xffff, v3
	s_delay_alu instid0(VALU_DEP_1) | instskip(SKIP_1) | instid1(VALU_DEP_2)
	v_and_b32_e32 v6, 3, v1
	v_bfe_u32 v9, v1, 2, 5
	v_clz_i32_u32_e32 v7, v6
	s_delay_alu instid0(VALU_DEP_2) | instskip(NEXT) | instid1(VALU_DEP_2)
	v_cmp_eq_u32_e32 vcc_lo, 0, v9
	v_min_u32_e32 v7, 32, v7
	s_delay_alu instid0(VALU_DEP_1) | instskip(NEXT) | instid1(VALU_DEP_1)
	v_subrev_nc_u32_e32 v8, 29, v7
	v_dual_lshlrev_b32 v1, v8, v1 :: v_dual_sub_nc_u32 v7, 30, v7
	s_delay_alu instid0(VALU_DEP_1) | instskip(NEXT) | instid1(VALU_DEP_1)
	v_dual_lshlrev_b32 v3, 24, v3 :: v_dual_bitop2_b32 v1, 3, v1 bitop3:0x40
	v_dual_cndmask_b32 v1, v6, v1, vcc_lo :: v_dual_cndmask_b32 v7, v9, v7, vcc_lo
	s_delay_alu instid0(VALU_DEP_2) | instskip(NEXT) | instid1(VALU_DEP_2)
	v_and_b32_e32 v3, 0x80000000, v3
	v_lshlrev_b32_e32 v1, 21, v1
	s_delay_alu instid0(VALU_DEP_3) | instskip(NEXT) | instid1(VALU_DEP_1)
	v_lshl_add_u32 v6, v7, 23, 0x37800000
	v_or3_b32 v1, v3, v6, v1
	s_delay_alu instid0(VALU_DEP_1)
	v_cvt_f16_f32_e32 v1, v1
.LBB159_197:
	s_or_b32 exec_lo, exec_lo, s28
	s_mov_b32 s27, 0
	s_branch .LBB159_203
.LBB159_198:
                                        ; implicit-def: $vgpr1
	s_branch .LBB159_209
.LBB159_199:
	s_or_saveexec_b32 s28, s28
	v_mov_b32_e32 v1, 0x7e00
	s_xor_b32 exec_lo, exec_lo, s28
	s_cbranch_execz .LBB159_183
.LBB159_200:
	v_cmp_ne_u16_e32 vcc_lo, 0, v3
	v_mov_b32_e32 v1, v3
	s_and_not1_b32 s27, s27, exec_lo
	s_and_b32 s29, vcc_lo, exec_lo
	s_delay_alu instid0(SALU_CYCLE_1)
	s_or_b32 s27, s27, s29
	s_or_b32 exec_lo, exec_lo, s28
	s_and_saveexec_b32 s28, s27
	s_cbranch_execnz .LBB159_184
	s_branch .LBB159_185
.LBB159_201:
	s_mov_b32 s27, -1
                                        ; implicit-def: $vgpr1
	s_branch .LBB159_206
.LBB159_202:
	s_mov_b32 s27, -1
                                        ; implicit-def: $vgpr1
.LBB159_203:
	s_delay_alu instid0(SALU_CYCLE_1)
	s_and_b32 vcc_lo, exec_lo, s27
	s_cbranch_vccz .LBB159_205
; %bb.204:
	global_load_u8 v1, v[4:5], off
	s_wait_loadcnt 0x0
	v_lshlrev_b32_e32 v1, 24, v1
	s_delay_alu instid0(VALU_DEP_1) | instskip(NEXT) | instid1(VALU_DEP_1)
	v_and_b32_e32 v3, 0x7f000000, v1
	v_clz_i32_u32_e32 v6, v3
	v_cmp_ne_u32_e32 vcc_lo, 0, v3
	v_add_nc_u32_e32 v8, 0x1000000, v3
	s_delay_alu instid0(VALU_DEP_3) | instskip(NEXT) | instid1(VALU_DEP_1)
	v_min_u32_e32 v6, 32, v6
	v_sub_nc_u32_e64 v6, v6, 4 clamp
	s_delay_alu instid0(VALU_DEP_1) | instskip(NEXT) | instid1(VALU_DEP_1)
	v_dual_lshlrev_b32 v7, v6, v3 :: v_dual_lshlrev_b32 v6, 23, v6
	v_lshrrev_b32_e32 v7, 4, v7
	s_delay_alu instid0(VALU_DEP_1) | instskip(NEXT) | instid1(VALU_DEP_1)
	v_dual_sub_nc_u32 v6, v7, v6 :: v_dual_ashrrev_i32 v7, 8, v8
	v_add_nc_u32_e32 v6, 0x3c000000, v6
	s_delay_alu instid0(VALU_DEP_1) | instskip(NEXT) | instid1(VALU_DEP_1)
	v_and_or_b32 v6, 0x7f800000, v7, v6
	v_cndmask_b32_e32 v3, 0, v6, vcc_lo
	s_delay_alu instid0(VALU_DEP_1) | instskip(NEXT) | instid1(VALU_DEP_1)
	v_and_or_b32 v1, 0x80000000, v1, v3
	v_cvt_f16_f32_e32 v1, v1
.LBB159_205:
	s_mov_b32 s27, 0
.LBB159_206:
	s_delay_alu instid0(SALU_CYCLE_1)
	s_and_not1_b32 vcc_lo, exec_lo, s27
	s_cbranch_vccnz .LBB159_208
; %bb.207:
	global_load_u8 v1, v[4:5], off
	s_wait_loadcnt 0x0
	v_lshlrev_b32_e32 v3, 25, v1
	v_lshlrev_b16 v1, 8, v1
	s_delay_alu instid0(VALU_DEP_1) | instskip(SKIP_1) | instid1(VALU_DEP_2)
	v_and_or_b32 v7, 0x7f00, v1, 0.5
	v_bfe_i32 v1, v1, 0, 16
	v_add_f32_e32 v7, -0.5, v7
	v_lshrrev_b32_e32 v6, 4, v3
	v_cmp_gt_u32_e32 vcc_lo, 0x8000000, v3
	s_delay_alu instid0(VALU_DEP_2) | instskip(NEXT) | instid1(VALU_DEP_1)
	v_or_b32_e32 v6, 0x70000000, v6
	v_mul_f32_e32 v6, 0x7800000, v6
	s_delay_alu instid0(VALU_DEP_1) | instskip(NEXT) | instid1(VALU_DEP_1)
	v_cndmask_b32_e32 v3, v6, v7, vcc_lo
	v_and_or_b32 v1, 0x80000000, v1, v3
	s_delay_alu instid0(VALU_DEP_1)
	v_cvt_f16_f32_e32 v1, v1
.LBB159_208:
	s_mov_b32 s27, -1
	s_cbranch_execnz .LBB159_221
.LBB159_209:
	s_cmp_gt_i32 s0, 14
	s_cbranch_scc0 .LBB159_212
; %bb.210:
	s_cmp_eq_u32 s0, 15
	s_cbranch_scc0 .LBB159_215
; %bb.211:
	global_load_u16 v1, v[4:5], off
	s_mov_b32 s27, -1
	s_mov_b32 s26, 0
	s_wait_loadcnt 0x0
	v_lshlrev_b32_e32 v1, 16, v1
	s_delay_alu instid0(VALU_DEP_1)
	v_cvt_f16_f32_e32 v1, v1
	s_branch .LBB159_216
.LBB159_212:
	s_mov_b32 s28, -1
                                        ; implicit-def: $vgpr1
	s_branch .LBB159_217
.LBB159_213:
	s_or_saveexec_b32 s28, s28
	v_mov_b32_e32 v1, 0x7e00
	s_xor_b32 exec_lo, exec_lo, s28
	s_cbranch_execz .LBB159_195
.LBB159_214:
	v_cmp_ne_u16_e32 vcc_lo, 0, v3
	v_mov_b32_e32 v1, v3
	s_and_not1_b32 s27, s27, exec_lo
	s_and_b32 s29, vcc_lo, exec_lo
	s_delay_alu instid0(SALU_CYCLE_1)
	s_or_b32 s27, s27, s29
	s_or_b32 exec_lo, exec_lo, s28
	s_and_saveexec_b32 s28, s27
	s_cbranch_execnz .LBB159_196
	s_branch .LBB159_197
.LBB159_215:
	s_mov_b32 s26, -1
                                        ; implicit-def: $vgpr1
.LBB159_216:
	s_mov_b32 s28, 0
.LBB159_217:
	s_delay_alu instid0(SALU_CYCLE_1)
	s_and_b32 vcc_lo, exec_lo, s28
	s_cbranch_vccz .LBB159_221
; %bb.218:
	s_cmp_eq_u32 s0, 11
	s_cbranch_scc0 .LBB159_220
; %bb.219:
	global_load_u8 v1, v[4:5], off
	s_mov_b32 s26, 0
	s_mov_b32 s27, -1
	v_mov_b32_e32 v3, 0
	s_wait_loadcnt 0x0
	v_cmp_ne_u16_e32 vcc_lo, 0, v1
	v_cndmask_b32_e64 v1, 0, 0x3c00, vcc_lo
	s_branch .LBB159_222
.LBB159_220:
	s_mov_b32 s26, -1
                                        ; implicit-def: $vgpr1
.LBB159_221:
	v_mov_b32_e32 v3, 0
.LBB159_222:
	s_branch .LBB159_25
.LBB159_223:
	s_cmp_lt_i32 s0, 5
	s_cbranch_scc1 .LBB159_228
; %bb.224:
	s_cmp_lt_i32 s0, 8
	s_cbranch_scc1 .LBB159_229
; %bb.225:
	;; [unrolled: 3-line block ×3, first 2 shown]
	s_cmp_gt_i32 s0, 9
	s_cbranch_scc0 .LBB159_231
; %bb.227:
	global_load_b128 v[6:9], v[4:5], off
	s_mov_b32 s27, 0
	s_wait_loadcnt 0x0
	v_and_or_b32 v1, 0x1ff, v7, v6
	v_and_or_b32 v8, 0x1ff, v9, v8
	v_dual_lshrrev_b32 v3, 8, v7 :: v_dual_lshrrev_b32 v10, 8, v9
	v_bfe_u32 v6, v7, 20, 11
	s_delay_alu instid0(VALU_DEP_4) | instskip(SKIP_2) | instid1(VALU_DEP_4)
	v_cmp_ne_u32_e32 vcc_lo, 0, v1
	v_bfe_u32 v11, v9, 20, 11
	v_dual_lshrrev_b32 v7, 16, v7 :: v_dual_lshrrev_b32 v9, 16, v9
	v_sub_nc_u32_e32 v12, 0x3f1, v6
	v_cndmask_b32_e64 v1, 0, 1, vcc_lo
	v_cmp_ne_u32_e32 vcc_lo, 0, v8
	v_add_nc_u32_e32 v6, 0xfffffc10, v6
	s_delay_alu instid0(VALU_DEP_3) | instskip(SKIP_1) | instid1(VALU_DEP_1)
	v_and_or_b32 v1, 0xffe, v3, v1
	v_cndmask_b32_e64 v8, 0, 1, vcc_lo
	v_and_or_b32 v8, 0xffe, v10, v8
	v_med3_i32 v10, v12, 0, 13
	s_delay_alu instid0(VALU_DEP_4) | instskip(NEXT) | instid1(VALU_DEP_3)
	v_or_b32_e32 v12, 0x1000, v1
	v_or_b32_e32 v13, 0x1000, v8
	s_delay_alu instid0(VALU_DEP_2) | instskip(NEXT) | instid1(VALU_DEP_1)
	v_lshrrev_b32_e32 v14, v10, v12
	v_lshlrev_b32_e32 v10, v10, v14
	s_delay_alu instid0(VALU_DEP_1) | instskip(SKIP_2) | instid1(VALU_DEP_1)
	v_cmp_ne_u32_e32 vcc_lo, v10, v12
	v_lshl_or_b32 v12, v6, 12, v1
	v_cndmask_b32_e64 v10, 0, 1, vcc_lo
	v_or_b32_e32 v10, v14, v10
	v_sub_nc_u32_e32 v3, 0x3f1, v11
	v_add_nc_u32_e32 v11, 0xfffffc10, v11
	s_delay_alu instid0(VALU_DEP_2) | instskip(NEXT) | instid1(VALU_DEP_1)
	v_med3_i32 v3, v3, 0, 13
	v_lshrrev_b32_e32 v15, v3, v13
	s_delay_alu instid0(VALU_DEP_1) | instskip(NEXT) | instid1(VALU_DEP_1)
	v_lshlrev_b32_e32 v3, v3, v15
	v_cmp_ne_u32_e32 vcc_lo, v3, v13
	v_lshl_or_b32 v13, v11, 12, v8
	v_cndmask_b32_e64 v3, 0, 1, vcc_lo
	v_cmp_gt_i32_e32 vcc_lo, 1, v6
	s_delay_alu instid0(VALU_DEP_2) | instskip(SKIP_1) | instid1(VALU_DEP_2)
	v_dual_cndmask_b32 v10, v12, v10, vcc_lo :: v_dual_bitop2_b32 v3, v15, v3 bitop3:0x54
	v_cmp_gt_i32_e32 vcc_lo, 1, v11
	v_dual_lshrrev_b32 v10, 2, v10 :: v_dual_bitop2_b32 v12, 7, v10 bitop3:0x40
	s_delay_alu instid0(VALU_DEP_3) | instskip(NEXT) | instid1(VALU_DEP_2)
	v_cndmask_b32_e32 v3, v13, v3, vcc_lo
	v_cmp_lt_i32_e32 vcc_lo, 5, v12
	v_cndmask_b32_e64 v14, 0, 1, vcc_lo
	v_cmp_eq_u32_e32 vcc_lo, 3, v12
	v_cndmask_b32_e64 v12, 0, 1, vcc_lo
	s_delay_alu instid0(VALU_DEP_1) | instskip(SKIP_1) | instid1(VALU_DEP_2)
	v_or_b32_e32 v12, v12, v14
	v_dual_lshrrev_b32 v3, 2, v3 :: v_dual_bitop2_b32 v13, 7, v3 bitop3:0x40
	v_add_nc_u32_e32 v10, v10, v12
	s_delay_alu instid0(VALU_DEP_2) | instskip(SKIP_4) | instid1(VALU_DEP_2)
	v_cmp_lt_i32_e32 vcc_lo, 5, v13
	v_cndmask_b32_e64 v15, 0, 1, vcc_lo
	v_cmp_eq_u32_e32 vcc_lo, 3, v13
	v_cndmask_b32_e64 v13, 0, 1, vcc_lo
	v_cmp_ne_u32_e32 vcc_lo, 0, v1
	v_or_b32_e32 v13, v13, v15
	s_delay_alu instid0(VALU_DEP_1) | instskip(NEXT) | instid1(VALU_DEP_1)
	v_dual_mov_b32 v16, 0x7e00 :: v_dual_add_nc_u32 v3, v3, v13
	v_cndmask_b32_e32 v1, 0x7c00, v16, vcc_lo
	v_cmp_ne_u32_e32 vcc_lo, 0, v8
	v_cndmask_b32_e32 v8, 0x7c00, v16, vcc_lo
	v_cmp_gt_i32_e32 vcc_lo, 31, v6
	v_cndmask_b32_e32 v10, 0x7c00, v10, vcc_lo
	v_cmp_gt_i32_e32 vcc_lo, 31, v11
	v_cndmask_b32_e32 v3, 0x7c00, v3, vcc_lo
	v_cmp_eq_u32_e32 vcc_lo, 0x40f, v6
	s_delay_alu instid0(VALU_DEP_4) | instskip(SKIP_1) | instid1(VALU_DEP_2)
	v_cndmask_b32_e32 v1, v10, v1, vcc_lo
	v_cmp_eq_u32_e32 vcc_lo, 0x40f, v11
	v_and_or_b32 v1, 0x8000, v7, v1
	v_cndmask_b32_e32 v3, v3, v8, vcc_lo
	s_delay_alu instid0(VALU_DEP_1)
	v_and_or_b32 v3, 0x8000, v9, v3
	s_branch .LBB159_232
.LBB159_228:
                                        ; implicit-def: $vgpr3
                                        ; implicit-def: $vgpr1
	s_branch .LBB159_251
.LBB159_229:
	s_mov_b32 s27, -1
                                        ; implicit-def: $vgpr3
                                        ; implicit-def: $vgpr1
	s_branch .LBB159_238
.LBB159_230:
	s_mov_b32 s27, -1
                                        ; implicit-def: $vgpr3
                                        ; implicit-def: $vgpr1
	s_branch .LBB159_235
.LBB159_231:
	s_mov_b32 s27, -1
                                        ; implicit-def: $vgpr3
                                        ; implicit-def: $vgpr1
.LBB159_232:
	s_delay_alu instid0(SALU_CYCLE_1)
	s_and_not1_b32 vcc_lo, exec_lo, s27
	s_cbranch_vccnz .LBB159_234
; %bb.233:
	global_load_b64 v[6:7], v[4:5], off
	s_wait_loadcnt 0x0
	v_cvt_f16_f32_e32 v1, v6
	v_cvt_f16_f32_e32 v3, v7
.LBB159_234:
	s_mov_b32 s27, 0
.LBB159_235:
	s_delay_alu instid0(SALU_CYCLE_1)
	s_and_not1_b32 vcc_lo, exec_lo, s27
	s_cbranch_vccnz .LBB159_237
; %bb.236:
	global_load_b32 v1, v[4:5], off
	s_wait_loadcnt 0x0
	v_lshrrev_b32_e32 v3, 16, v1
.LBB159_237:
	s_mov_b32 s27, 0
.LBB159_238:
	s_delay_alu instid0(SALU_CYCLE_1)
	s_and_not1_b32 vcc_lo, exec_lo, s27
	s_cbranch_vccnz .LBB159_250
; %bb.239:
	s_cmp_lt_i32 s0, 6
	s_cbranch_scc1 .LBB159_242
; %bb.240:
	s_cmp_gt_i32 s0, 6
	s_cbranch_scc0 .LBB159_243
; %bb.241:
	global_load_b64 v[6:7], v[4:5], off
	s_mov_b32 s27, 0
	s_wait_loadcnt 0x0
	v_and_or_b32 v1, 0x1ff, v7, v6
	v_lshrrev_b32_e32 v3, 8, v7
	v_bfe_u32 v6, v7, 20, 11
	s_delay_alu instid0(VALU_DEP_3) | instskip(NEXT) | instid1(VALU_DEP_2)
	v_cmp_ne_u32_e32 vcc_lo, 0, v1
	v_sub_nc_u32_e32 v8, 0x3f1, v6
	v_add_nc_u32_e32 v6, 0xfffffc10, v6
	v_cndmask_b32_e64 v1, 0, 1, vcc_lo
	s_delay_alu instid0(VALU_DEP_1) | instskip(NEXT) | instid1(VALU_DEP_4)
	v_and_or_b32 v1, 0xffe, v3, v1
	v_med3_i32 v3, v8, 0, 13
	s_delay_alu instid0(VALU_DEP_2) | instskip(NEXT) | instid1(VALU_DEP_1)
	v_or_b32_e32 v8, 0x1000, v1
	v_lshrrev_b32_e32 v9, v3, v8
	s_delay_alu instid0(VALU_DEP_1) | instskip(NEXT) | instid1(VALU_DEP_1)
	v_lshlrev_b32_e32 v3, v3, v9
	v_cmp_ne_u32_e32 vcc_lo, v3, v8
	v_lshl_or_b32 v8, v6, 12, v1
	v_cndmask_b32_e64 v3, 0, 1, vcc_lo
	v_cmp_gt_i32_e32 vcc_lo, 1, v6
	s_delay_alu instid0(VALU_DEP_2) | instskip(NEXT) | instid1(VALU_DEP_1)
	v_or_b32_e32 v3, v9, v3
	v_cndmask_b32_e32 v3, v8, v3, vcc_lo
	s_delay_alu instid0(VALU_DEP_1) | instskip(NEXT) | instid1(VALU_DEP_1)
	v_dual_lshrrev_b32 v3, 2, v3 :: v_dual_bitop2_b32 v8, 7, v3 bitop3:0x40
	v_cmp_lt_i32_e32 vcc_lo, 5, v8
	v_cndmask_b32_e64 v9, 0, 1, vcc_lo
	v_cmp_eq_u32_e32 vcc_lo, 3, v8
	v_cndmask_b32_e64 v8, 0, 1, vcc_lo
	v_cmp_ne_u32_e32 vcc_lo, 0, v1
	s_delay_alu instid0(VALU_DEP_2) | instskip(SKIP_1) | instid1(VALU_DEP_2)
	v_or_b32_e32 v8, v8, v9
	v_mov_b32_e32 v9, 0x7e00
	v_add_nc_u32_e32 v3, v3, v8
	s_delay_alu instid0(VALU_DEP_2) | instskip(SKIP_1) | instid1(VALU_DEP_3)
	v_cndmask_b32_e32 v1, 0x7c00, v9, vcc_lo
	v_cmp_gt_i32_e32 vcc_lo, 31, v6
	v_cndmask_b32_e32 v3, 0x7c00, v3, vcc_lo
	v_cmp_eq_u32_e32 vcc_lo, 0x40f, v6
	s_delay_alu instid0(VALU_DEP_2) | instskip(NEXT) | instid1(VALU_DEP_1)
	v_dual_cndmask_b32 v1, v3, v1, vcc_lo :: v_dual_lshrrev_b32 v3, 16, v7
	v_and_or_b32 v1, 0x8000, v3, v1
	s_branch .LBB159_244
.LBB159_242:
	s_mov_b32 s27, -1
                                        ; implicit-def: $vgpr1
	s_branch .LBB159_247
.LBB159_243:
	s_mov_b32 s27, -1
                                        ; implicit-def: $vgpr1
.LBB159_244:
	s_delay_alu instid0(SALU_CYCLE_1)
	s_and_not1_b32 vcc_lo, exec_lo, s27
	s_cbranch_vccnz .LBB159_246
; %bb.245:
	global_load_b32 v1, v[4:5], off
	s_wait_loadcnt 0x0
	v_cvt_f16_f32_e32 v1, v1
.LBB159_246:
	s_mov_b32 s27, 0
.LBB159_247:
	s_delay_alu instid0(SALU_CYCLE_1)
	s_and_not1_b32 vcc_lo, exec_lo, s27
	s_cbranch_vccnz .LBB159_249
; %bb.248:
	global_load_u16 v1, v[4:5], off
.LBB159_249:
	v_mov_b32_e32 v3, 0
.LBB159_250:
	s_cbranch_execnz .LBB159_271
.LBB159_251:
	s_cmp_lt_i32 s0, 2
	s_cbranch_scc1 .LBB159_255
; %bb.252:
	s_cmp_lt_i32 s0, 3
	s_cbranch_scc1 .LBB159_256
; %bb.253:
	s_cmp_gt_i32 s0, 3
	s_cbranch_scc0 .LBB159_257
; %bb.254:
	global_load_b64 v[6:7], v[4:5], off
	s_mov_b32 s27, 0
	s_wait_loadcnt 0x0
	v_xor_b32_e32 v1, v6, v7
	v_cls_i32_e32 v3, v7
	s_delay_alu instid0(VALU_DEP_2) | instskip(NEXT) | instid1(VALU_DEP_1)
	v_ashrrev_i32_e32 v1, 31, v1
	v_add_nc_u32_e32 v1, 32, v1
	s_delay_alu instid0(VALU_DEP_1) | instskip(NEXT) | instid1(VALU_DEP_1)
	v_add_min_u32_e64 v1, v3, -1, v1
	v_lshlrev_b64_e32 v[6:7], v1, v[6:7]
	v_sub_nc_u32_e32 v1, 32, v1
	s_delay_alu instid0(VALU_DEP_2) | instskip(NEXT) | instid1(VALU_DEP_1)
	v_min_u32_e32 v3, 1, v6
	v_or_b32_e32 v3, v7, v3
	s_delay_alu instid0(VALU_DEP_1) | instskip(NEXT) | instid1(VALU_DEP_1)
	v_cvt_f32_i32_e32 v3, v3
	v_ldexp_f32 v1, v3, v1
	s_delay_alu instid0(VALU_DEP_1)
	v_cvt_f16_f32_e32 v1, v1
	s_branch .LBB159_258
.LBB159_255:
	s_mov_b32 s27, -1
                                        ; implicit-def: $vgpr1
	s_branch .LBB159_264
.LBB159_256:
	s_mov_b32 s27, -1
                                        ; implicit-def: $vgpr1
	s_branch .LBB159_261
.LBB159_257:
	s_mov_b32 s27, -1
                                        ; implicit-def: $vgpr1
.LBB159_258:
	s_delay_alu instid0(SALU_CYCLE_1)
	s_and_not1_b32 vcc_lo, exec_lo, s27
	s_cbranch_vccnz .LBB159_260
; %bb.259:
	s_wait_loadcnt 0x0
	global_load_b32 v1, v[4:5], off
	s_wait_loadcnt 0x0
	v_cvt_f32_i32_e32 v1, v1
	s_delay_alu instid0(VALU_DEP_1)
	v_cvt_f16_f32_e32 v1, v1
.LBB159_260:
	s_mov_b32 s27, 0
.LBB159_261:
	s_delay_alu instid0(SALU_CYCLE_1)
	s_and_not1_b32 vcc_lo, exec_lo, s27
	s_cbranch_vccnz .LBB159_263
; %bb.262:
	s_wait_loadcnt 0x0
	global_load_u16 v1, v[4:5], off
	s_wait_loadcnt 0x0
	v_cvt_f16_i16_e32 v1, v1
.LBB159_263:
	s_mov_b32 s27, 0
.LBB159_264:
	s_delay_alu instid0(SALU_CYCLE_1)
	s_and_not1_b32 vcc_lo, exec_lo, s27
	s_cbranch_vccnz .LBB159_270
; %bb.265:
	s_cmp_gt_i32 s0, 0
	s_mov_b32 s0, 0
	s_cbranch_scc0 .LBB159_267
; %bb.266:
	s_wait_loadcnt 0x0
	global_load_i8 v1, v[4:5], off
	s_wait_loadcnt 0x0
	v_cvt_f16_i16_e32 v1, v1
	s_branch .LBB159_268
.LBB159_267:
	s_mov_b32 s0, -1
                                        ; implicit-def: $vgpr1
.LBB159_268:
	s_delay_alu instid0(SALU_CYCLE_1)
	s_and_not1_b32 vcc_lo, exec_lo, s0
	s_cbranch_vccnz .LBB159_270
; %bb.269:
	s_wait_loadcnt 0x0
	global_load_u8 v1, v[4:5], off
	s_wait_loadcnt 0x0
	v_cvt_f16_u16_e32 v1, v1
.LBB159_270:
	v_mov_b32_e32 v3, 0
.LBB159_271:
	s_branch .LBB159_26
.LBB159_272:
	s_mov_b32 s0, 0
.LBB159_273:
	s_mov_b32 s27, 0
                                        ; implicit-def: $vgpr0
.LBB159_274:
	s_and_b32 s42, s0, exec_lo
	s_and_b32 s43, s26, exec_lo
	s_or_not1_b32 s27, s27, exec_lo
.LBB159_275:
	s_wait_xcnt 0x0
	s_or_b32 exec_lo, exec_lo, s44
	s_mov_b32 s26, 0
	s_mov_b32 s0, 0
                                        ; implicit-def: $vgpr4_vgpr5
                                        ; implicit-def: $vgpr2
                                        ; implicit-def: $vgpr6
                                        ; implicit-def: $vgpr3
	s_and_saveexec_b32 s44, s27
	s_cbranch_execz .LBB159_283
; %bb.276:
	s_mov_b32 s0, -1
	s_mov_b32 s45, s43
	s_mov_b32 s46, s42
	s_mov_b32 s47, exec_lo
	v_cmpx_gt_i32_e64 s39, v0
	s_cbranch_execz .LBB159_563
; %bb.277:
	s_and_not1_b32 vcc_lo, exec_lo, s35
	s_cbranch_vccnz .LBB159_286
; %bb.278:
	s_and_not1_b32 vcc_lo, exec_lo, s41
	s_cbranch_vccnz .LBB159_287
; %bb.279:
	s_add_co_i32 s0, s40, 1
	s_cmp_eq_u32 s34, 2
	s_cbranch_scc1 .LBB159_288
; %bb.280:
	v_dual_mov_b32 v2, 0 :: v_dual_mov_b32 v4, 0
	s_wait_loadcnt 0x0
	v_mov_b32_e32 v1, v0
	s_and_b32 s26, s0, 28
	s_mov_b32 s27, 0
	s_mov_b64 s[28:29], s[16:17]
	s_mov_b64 s[30:31], s[24:25]
.LBB159_281:                            ; =>This Inner Loop Header: Depth=1
	s_clause 0x1
	s_load_b256 s[48:55], s[28:29], 0x4
	s_load_b128 s[64:67], s[28:29], 0x24
	s_load_b256 s[56:63], s[30:31], 0x0
	s_add_co_i32 s27, s27, 4
	s_wait_xcnt 0x0
	s_add_nc_u64 s[28:29], s[28:29], 48
	s_cmp_eq_u32 s26, s27
	s_add_nc_u64 s[30:31], s[30:31], 32
	s_wait_kmcnt 0x0
	v_mul_hi_u32 v3, s49, v1
	s_delay_alu instid0(VALU_DEP_1) | instskip(NEXT) | instid1(VALU_DEP_1)
	v_add_nc_u32_e32 v3, v1, v3
	v_lshrrev_b32_e32 v3, s50, v3
	s_delay_alu instid0(VALU_DEP_1) | instskip(NEXT) | instid1(VALU_DEP_1)
	v_mul_hi_u32 v5, s52, v3
	v_add_nc_u32_e32 v5, v3, v5
	s_delay_alu instid0(VALU_DEP_1) | instskip(NEXT) | instid1(VALU_DEP_1)
	v_lshrrev_b32_e32 v5, s53, v5
	v_mul_hi_u32 v6, s55, v5
	s_delay_alu instid0(VALU_DEP_1) | instskip(SKIP_1) | instid1(VALU_DEP_1)
	v_add_nc_u32_e32 v6, v5, v6
	v_mul_lo_u32 v7, v3, s48
	v_sub_nc_u32_e32 v1, v1, v7
	v_mul_lo_u32 v7, v5, s51
	s_delay_alu instid0(VALU_DEP_4) | instskip(NEXT) | instid1(VALU_DEP_3)
	v_lshrrev_b32_e32 v6, s64, v6
	v_mad_u32 v4, v1, s57, v4
	v_mad_u32 v1, v1, s56, v2
	s_delay_alu instid0(VALU_DEP_4) | instskip(NEXT) | instid1(VALU_DEP_4)
	v_sub_nc_u32_e32 v2, v3, v7
	v_mul_hi_u32 v8, s66, v6
	v_mul_lo_u32 v3, v6, s54
	s_delay_alu instid0(VALU_DEP_3) | instskip(SKIP_1) | instid1(VALU_DEP_3)
	v_mad_u32 v4, v2, s59, v4
	v_mad_u32 v2, v2, s58, v1
	v_dual_add_nc_u32 v7, v6, v8 :: v_dual_sub_nc_u32 v3, v5, v3
	s_delay_alu instid0(VALU_DEP_1) | instskip(NEXT) | instid1(VALU_DEP_2)
	v_lshrrev_b32_e32 v1, s67, v7
	v_mad_u32 v4, v3, s61, v4
	s_delay_alu instid0(VALU_DEP_4) | instskip(NEXT) | instid1(VALU_DEP_3)
	v_mad_u32 v2, v3, s60, v2
	v_mul_lo_u32 v5, v1, s65
	s_delay_alu instid0(VALU_DEP_1) | instskip(NEXT) | instid1(VALU_DEP_1)
	v_sub_nc_u32_e32 v3, v6, v5
	v_mad_u32 v4, v3, s63, v4
	s_delay_alu instid0(VALU_DEP_4)
	v_mad_u32 v2, v3, s62, v2
	s_cbranch_scc0 .LBB159_281
; %bb.282:
	s_delay_alu instid0(VALU_DEP_2)
	v_mov_b32_e32 v3, v4
	s_branch .LBB159_289
.LBB159_283:
	s_or_b32 exec_lo, exec_lo, s44
	s_mov_b32 s6, 0
	s_and_saveexec_b32 s7, s43
	s_cbranch_execnz .LBB159_958
.LBB159_284:
	s_or_b32 exec_lo, exec_lo, s7
	s_and_saveexec_b32 s7, s19
	s_delay_alu instid0(SALU_CYCLE_1)
	s_xor_b32 s7, exec_lo, s7
	s_cbranch_execz .LBB159_959
.LBB159_285:
	global_load_u8 v0, v[4:5], off
	v_mov_b32_e32 v6, 0
	s_or_b32 s0, s0, exec_lo
	s_wait_loadcnt 0x0
	v_cmp_ne_u16_e32 vcc_lo, 0, v0
	v_cndmask_b32_e64 v3, 0, 0x3c00, vcc_lo
	s_wait_xcnt 0x0
	s_or_b32 exec_lo, exec_lo, s7
	s_and_saveexec_b32 s7, s26
	s_cbranch_execz .LBB159_1007
	s_branch .LBB159_960
.LBB159_286:
                                        ; implicit-def: $vgpr4
                                        ; implicit-def: $vgpr2
	s_and_not1_b32 vcc_lo, exec_lo, s0
	s_cbranch_vccnz .LBB159_296
	s_branch .LBB159_294
.LBB159_287:
	v_dual_mov_b32 v4, 0 :: v_dual_mov_b32 v2, 0
	s_branch .LBB159_293
.LBB159_288:
	v_mov_b64_e32 v[2:3], 0
	s_wait_loadcnt 0x0
	v_mov_b32_e32 v1, v0
                                        ; implicit-def: $vgpr4
.LBB159_289:
	s_and_b32 s0, s0, 3
	s_mov_b32 s27, 0
	s_cmp_eq_u32 s0, 0
	s_cbranch_scc1 .LBB159_293
; %bb.290:
	s_lshl_b32 s28, s26, 3
	s_mov_b32 s29, s27
	s_mul_u64 s[30:31], s[26:27], 12
	s_add_nc_u64 s[28:29], s[16:17], s[28:29]
	s_delay_alu instid0(SALU_CYCLE_1)
	s_add_nc_u64 s[26:27], s[28:29], 0xc4
	s_add_nc_u64 s[28:29], s[16:17], s[30:31]
.LBB159_291:                            ; =>This Inner Loop Header: Depth=1
	s_load_b96 s[48:50], s[28:29], 0x4
	s_load_b64 s[30:31], s[26:27], 0x0
	s_add_co_i32 s0, s0, -1
	s_wait_xcnt 0x0
	s_add_nc_u64 s[28:29], s[28:29], 12
	s_cmp_lg_u32 s0, 0
	s_add_nc_u64 s[26:27], s[26:27], 8
	s_wait_kmcnt 0x0
	v_mul_hi_u32 v4, s49, v1
	s_delay_alu instid0(VALU_DEP_1) | instskip(NEXT) | instid1(VALU_DEP_1)
	v_add_nc_u32_e32 v4, v1, v4
	v_lshrrev_b32_e32 v4, s50, v4
	s_delay_alu instid0(VALU_DEP_1) | instskip(NEXT) | instid1(VALU_DEP_1)
	v_mul_lo_u32 v5, v4, s48
	v_sub_nc_u32_e32 v1, v1, v5
	s_delay_alu instid0(VALU_DEP_1)
	v_mad_u32 v3, v1, s31, v3
	v_mad_u32 v2, v1, s30, v2
	v_mov_b32_e32 v1, v4
	s_cbranch_scc1 .LBB159_291
; %bb.292:
	s_delay_alu instid0(VALU_DEP_3)
	v_mov_b32_e32 v4, v3
.LBB159_293:
	s_cbranch_execnz .LBB159_296
.LBB159_294:
	s_wait_loadcnt 0x0
	v_mov_b32_e32 v1, 0
	s_and_not1_b32 vcc_lo, exec_lo, s38
	s_delay_alu instid0(VALU_DEP_1) | instskip(NEXT) | instid1(VALU_DEP_1)
	v_mul_u64_e32 v[2:3], s[18:19], v[0:1]
	v_add_nc_u32_e32 v2, v0, v3
	s_delay_alu instid0(VALU_DEP_1) | instskip(NEXT) | instid1(VALU_DEP_1)
	v_lshrrev_b32_e32 v6, s10, v2
	v_mul_lo_u32 v2, v6, s8
	s_delay_alu instid0(VALU_DEP_1) | instskip(NEXT) | instid1(VALU_DEP_1)
	v_sub_nc_u32_e32 v2, v0, v2
	v_mul_lo_u32 v4, v2, s13
	v_mul_lo_u32 v2, v2, s12
	s_cbranch_vccnz .LBB159_296
; %bb.295:
	v_mov_b32_e32 v7, v1
	s_delay_alu instid0(VALU_DEP_1) | instskip(NEXT) | instid1(VALU_DEP_1)
	v_mul_u64_e32 v[8:9], s[22:23], v[6:7]
	v_add_nc_u32_e32 v1, v6, v9
	s_delay_alu instid0(VALU_DEP_1) | instskip(NEXT) | instid1(VALU_DEP_1)
	v_lshrrev_b32_e32 v1, s21, v1
	v_mul_lo_u32 v1, v1, s11
	s_delay_alu instid0(VALU_DEP_1) | instskip(NEXT) | instid1(VALU_DEP_1)
	v_sub_nc_u32_e32 v1, v6, v1
	v_mad_u32 v2, v1, s14, v2
	v_mad_u32 v4, v1, s15, v4
.LBB159_296:
	v_mov_b32_e32 v5, 0
	s_and_b32 s0, 0xffff, s37
	s_delay_alu instid0(SALU_CYCLE_1) | instskip(NEXT) | instid1(VALU_DEP_1)
	s_cmp_lt_i32 s0, 11
	v_add_nc_u64_e32 v[4:5], s[6:7], v[4:5]
	s_cbranch_scc1 .LBB159_303
; %bb.297:
	s_cmp_gt_i32 s0, 25
	s_cbranch_scc0 .LBB159_315
; %bb.298:
	s_cmp_gt_i32 s0, 28
	s_cbranch_scc0 .LBB159_318
	;; [unrolled: 3-line block ×4, first 2 shown]
; %bb.301:
	s_cmp_eq_u32 s0, 46
	s_mov_b32 s28, 0
	s_cbranch_scc0 .LBB159_328
; %bb.302:
	s_wait_loadcnt 0x0
	global_load_b32 v1, v[4:5], off
	s_mov_b32 s27, -1
	s_mov_b32 s26, 0
	s_wait_loadcnt 0x0
	v_lshlrev_b32_e32 v3, 16, v1
	v_and_b32_e32 v6, 0xffff0000, v1
	s_delay_alu instid0(VALU_DEP_2) | instskip(NEXT) | instid1(VALU_DEP_2)
	v_cvt_f16_f32_e32 v1, v3
	v_cvt_f16_f32_e32 v3, v6
	s_branch .LBB159_330
.LBB159_303:
	s_mov_b32 s27, 0
	s_mov_b32 s26, s43
                                        ; implicit-def: $vgpr3
                                        ; implicit-def: $vgpr1
	s_cbranch_execnz .LBB159_510
.LBB159_304:
	s_and_not1_b32 vcc_lo, exec_lo, s27
	s_cbranch_vccnz .LBB159_560
.LBB159_305:
	s_and_not1_b32 vcc_lo, exec_lo, s20
	s_cbranch_vccnz .LBB159_317
; %bb.306:
	s_wait_loadcnt 0x0
	v_cmp_neq_f16_e32 vcc_lo, s1, v1
	v_cmp_neq_f16_e64 s0, s9, v3
	s_or_b32 s27, vcc_lo, s0
	s_cbranch_execnz .LBB159_308
.LBB159_307:
	s_wait_loadcnt 0x0
	v_cmp_eq_f16_e32 vcc_lo, s1, v1
	v_cmp_eq_f16_e64 s0, s9, v3
	s_and_not1_b32 s27, s27, exec_lo
	s_and_b32 s0, vcc_lo, s0
	s_delay_alu instid0(SALU_CYCLE_1) | instskip(NEXT) | instid1(SALU_CYCLE_1)
	s_and_b32 s0, s0, exec_lo
	s_or_b32 s27, s27, s0
.LBB159_308:
	v_mov_b32_e32 v3, 0
	s_and_b32 s28, s2, 0xff
	s_delay_alu instid0(SALU_CYCLE_1) | instskip(NEXT) | instid1(VALU_DEP_1)
	s_cmp_lt_i32 s28, 11
	v_add_nc_u64_e32 v[2:3], s[4:5], v[2:3]
	s_cbranch_scc1 .LBB159_316
; %bb.309:
	s_and_b32 s29, 0xffff, s28
	s_delay_alu instid0(SALU_CYCLE_1)
	s_cmp_gt_i32 s29, 25
	s_cbranch_scc0 .LBB159_319
; %bb.310:
	s_cmp_gt_i32 s29, 28
	s_cbranch_scc0 .LBB159_321
; %bb.311:
	;; [unrolled: 3-line block ×4, first 2 shown]
	s_mov_b32 s31, 0
	s_mov_b32 s0, -1
	s_cmp_eq_u32 s29, 46
	s_mov_b32 s30, 0
	s_cbranch_scc0 .LBB159_334
; %bb.314:
	s_wait_loadcnt 0x0
	v_cndmask_b32_e64 v1, 0, 1.0, s27
	s_mov_b32 s30, -1
	s_mov_b32 s0, 0
	s_wait_xcnt 0x0
	s_delay_alu instid0(VALU_DEP_1) | instskip(NEXT) | instid1(VALU_DEP_1)
	v_bfe_u32 v4, v1, 16, 1
	v_add3_u32 v1, v1, v4, 0x7fff
	s_delay_alu instid0(VALU_DEP_1)
	v_lshrrev_b32_e32 v1, 16, v1
	global_store_b32 v[2:3], v1, off
	s_branch .LBB159_334
.LBB159_315:
	s_mov_b32 s28, -1
	s_mov_b32 s27, 0
	s_mov_b32 s26, s43
                                        ; implicit-def: $vgpr3
                                        ; implicit-def: $vgpr1
	s_branch .LBB159_473
.LBB159_316:
	s_mov_b32 s29, -1
	s_mov_b32 s30, 0
	s_mov_b32 s0, s42
	s_branch .LBB159_403
.LBB159_317:
                                        ; implicit-def: $sgpr27
	s_branch .LBB159_307
.LBB159_318:
	s_mov_b32 s28, -1
	s_mov_b32 s27, 0
	s_mov_b32 s26, s43
                                        ; implicit-def: $vgpr3
                                        ; implicit-def: $vgpr1
	s_branch .LBB159_454
.LBB159_319:
	s_mov_b32 s31, -1
	s_mov_b32 s30, 0
	s_mov_b32 s0, s42
	s_branch .LBB159_361
.LBB159_320:
	s_mov_b32 s28, -1
	s_mov_b32 s27, 0
	s_mov_b32 s26, s43
                                        ; implicit-def: $vgpr3
                                        ; implicit-def: $vgpr1
	s_branch .LBB159_448
.LBB159_321:
	s_mov_b32 s31, -1
	s_mov_b32 s30, 0
	s_mov_b32 s0, s42
	s_branch .LBB159_344
.LBB159_322:
	s_and_not1_saveexec_b32 s42, s42
	s_cbranch_execz .LBB159_73
.LBB159_323:
	s_wait_loadcnt 0x0
	v_add_f32_e32 v1, 0x46000000, v4
	s_and_not1_b32 s31, s31, exec_lo
	s_delay_alu instid0(VALU_DEP_1) | instskip(NEXT) | instid1(VALU_DEP_1)
	v_and_b32_e32 v1, 0xff, v1
	v_cmp_ne_u32_e32 vcc_lo, 0, v1
	s_and_b32 s43, vcc_lo, exec_lo
	s_delay_alu instid0(SALU_CYCLE_1)
	s_or_b32 s31, s31, s43
	s_or_b32 exec_lo, exec_lo, s42
	v_mov_b32_e32 v5, 0
	s_and_saveexec_b32 s42, s31
	s_cbranch_execnz .LBB159_74
	s_branch .LBB159_75
.LBB159_324:
	s_mov_b32 s28, -1
	s_mov_b32 s27, 0
	s_mov_b32 s26, s43
	s_branch .LBB159_329
.LBB159_325:
	s_mov_b32 s31, -1
	s_mov_b32 s30, 0
	s_mov_b32 s0, s42
	s_branch .LBB159_340
.LBB159_326:
	s_and_not1_saveexec_b32 s42, s42
	s_cbranch_execz .LBB159_86
.LBB159_327:
	s_wait_loadcnt 0x0
	v_add_f32_e32 v1, 0x42800000, v4
	s_and_not1_b32 s31, s31, exec_lo
	s_delay_alu instid0(VALU_DEP_1) | instskip(NEXT) | instid1(VALU_DEP_1)
	v_and_b32_e32 v1, 0xff, v1
	v_cmp_ne_u32_e32 vcc_lo, 0, v1
	s_and_b32 s43, vcc_lo, exec_lo
	s_delay_alu instid0(SALU_CYCLE_1)
	s_or_b32 s31, s31, s43
	s_or_b32 exec_lo, exec_lo, s42
	v_mov_b32_e32 v5, 0
	s_and_saveexec_b32 s42, s31
	s_cbranch_execnz .LBB159_87
	s_branch .LBB159_88
.LBB159_328:
	s_mov_b32 s26, -1
	s_mov_b32 s27, 0
.LBB159_329:
                                        ; implicit-def: $vgpr3
                                        ; implicit-def: $vgpr1
.LBB159_330:
	s_and_b32 vcc_lo, exec_lo, s28
	s_cbranch_vccz .LBB159_447
; %bb.331:
	s_cmp_eq_u32 s0, 44
	s_cbranch_scc0 .LBB159_445
; %bb.332:
	s_wait_loadcnt 0x0
	global_load_u8 v1, v[4:5], off
	s_mov_b32 s26, 0
	s_mov_b32 s27, -1
	s_wait_loadcnt 0x0
	v_lshlrev_b32_e32 v3, 23, v1
	v_cmp_ne_u32_e32 vcc_lo, 0xff, v1
	s_delay_alu instid0(VALU_DEP_2) | instskip(NEXT) | instid1(VALU_DEP_1)
	v_cvt_f16_f32_e32 v3, v3
	v_cndmask_b32_e32 v3, 0x7e00, v3, vcc_lo
	v_cmp_ne_u32_e32 vcc_lo, 0, v1
	s_delay_alu instid0(VALU_DEP_2)
	v_cndmask_b32_e32 v1, 0, v3, vcc_lo
	s_branch .LBB159_446
.LBB159_333:
	s_mov_b32 s31, -1
	s_mov_b32 s30, 0
	s_mov_b32 s0, s42
.LBB159_334:
	s_and_b32 vcc_lo, exec_lo, s31
	s_cbranch_vccz .LBB159_339
; %bb.335:
	s_cmp_eq_u32 s29, 44
	s_mov_b32 s0, -1
	s_cbranch_scc0 .LBB159_339
; %bb.336:
	s_wait_xcnt 0x0
	v_cndmask_b32_e64 v5, 0, 1.0, s27
	s_mov_b32 s30, exec_lo
	s_wait_loadcnt 0x0
	s_delay_alu instid0(VALU_DEP_1) | instskip(NEXT) | instid1(VALU_DEP_1)
	v_dual_mov_b32 v4, 0xff :: v_dual_lshrrev_b32 v1, 23, v5
	v_cmpx_ne_u32_e32 0xff, v1
; %bb.337:
	v_and_b32_e32 v4, 0x400000, v5
	v_and_or_b32 v5, 0x3fffff, v5, v1
	s_delay_alu instid0(VALU_DEP_2) | instskip(NEXT) | instid1(VALU_DEP_2)
	v_cmp_ne_u32_e32 vcc_lo, 0, v4
	v_cmp_ne_u32_e64 s0, 0, v5
	s_and_b32 s0, vcc_lo, s0
	s_delay_alu instid0(SALU_CYCLE_1) | instskip(NEXT) | instid1(VALU_DEP_1)
	v_cndmask_b32_e64 v4, 0, 1, s0
	v_add_nc_u32_e32 v4, v1, v4
; %bb.338:
	s_or_b32 exec_lo, exec_lo, s30
	s_mov_b32 s30, -1
	s_mov_b32 s0, 0
	global_store_b8 v[2:3], v4, off
.LBB159_339:
	s_mov_b32 s31, 0
.LBB159_340:
	s_delay_alu instid0(SALU_CYCLE_1)
	s_and_b32 vcc_lo, exec_lo, s31
	s_cbranch_vccz .LBB159_343
; %bb.341:
	s_cmp_eq_u32 s29, 29
	s_mov_b32 s0, -1
	s_cbranch_scc0 .LBB159_343
; %bb.342:
	s_mov_b32 s0, 0
	s_wait_xcnt 0x0
	v_cndmask_b32_e64 v4, 0, 1, s27
	v_mov_b32_e32 v5, s0
	s_mov_b32 s30, -1
	s_mov_b32 s31, 0
	global_store_b64 v[2:3], v[4:5], off
	s_branch .LBB159_344
.LBB159_343:
	s_mov_b32 s31, 0
.LBB159_344:
	s_delay_alu instid0(SALU_CYCLE_1)
	s_and_b32 vcc_lo, exec_lo, s31
	s_cbranch_vccz .LBB159_360
; %bb.345:
	s_cmp_lt_i32 s29, 27
	s_mov_b32 s30, -1
	s_cbranch_scc1 .LBB159_351
; %bb.346:
	s_cmp_gt_i32 s29, 27
	s_cbranch_scc0 .LBB159_348
; %bb.347:
	s_wait_loadcnt 0x0
	v_cndmask_b32_e64 v1, 0, 1, s27
	s_mov_b32 s30, 0
	global_store_b32 v[2:3], v1, off
.LBB159_348:
	s_and_not1_b32 vcc_lo, exec_lo, s30
	s_cbranch_vccnz .LBB159_350
; %bb.349:
	s_wait_loadcnt 0x0
	v_cndmask_b32_e64 v1, 0, 1, s27
	global_store_b16 v[2:3], v1, off
.LBB159_350:
	s_mov_b32 s30, 0
.LBB159_351:
	s_delay_alu instid0(SALU_CYCLE_1)
	s_and_not1_b32 vcc_lo, exec_lo, s30
	s_cbranch_vccnz .LBB159_359
; %bb.352:
	s_wait_xcnt 0x0
	v_cndmask_b32_e64 v4, 0, 1.0, s27
	v_mov_b32_e32 v5, 0x80
	s_mov_b32 s30, exec_lo
	s_delay_alu instid0(VALU_DEP_2)
	v_cmpx_gt_u32_e32 0x43800000, v4
	s_cbranch_execz .LBB159_358
; %bb.353:
	s_mov_b32 s31, 0
	s_mov_b32 s45, exec_lo
                                        ; implicit-def: $vgpr1
	v_cmpx_lt_u32_e32 0x3bffffff, v4
	s_xor_b32 s45, exec_lo, s45
	s_cbranch_execz .LBB159_593
; %bb.354:
	s_wait_loadcnt 0x0
	v_bfe_u32 v1, v4, 20, 1
	s_mov_b32 s31, exec_lo
	s_delay_alu instid0(VALU_DEP_1) | instskip(NEXT) | instid1(VALU_DEP_1)
	v_add3_u32 v1, v4, v1, 0x487ffff
                                        ; implicit-def: $vgpr4
	v_lshrrev_b32_e32 v1, 20, v1
	s_and_not1_saveexec_b32 s45, s45
	s_cbranch_execnz .LBB159_594
.LBB159_355:
	s_or_b32 exec_lo, exec_lo, s45
	v_mov_b32_e32 v5, 0
	s_and_saveexec_b32 s45, s31
	s_cbranch_execz .LBB159_357
.LBB159_356:
	s_wait_loadcnt 0x0
	v_mov_b32_e32 v5, v1
.LBB159_357:
	s_or_b32 exec_lo, exec_lo, s45
.LBB159_358:
	s_delay_alu instid0(SALU_CYCLE_1)
	s_or_b32 exec_lo, exec_lo, s30
	global_store_b8 v[2:3], v5, off
.LBB159_359:
	s_mov_b32 s30, -1
.LBB159_360:
	s_mov_b32 s31, 0
.LBB159_361:
	s_delay_alu instid0(SALU_CYCLE_1)
	s_and_b32 vcc_lo, exec_lo, s31
	s_cbranch_vccz .LBB159_402
; %bb.362:
	s_cmp_gt_i32 s29, 22
	s_mov_b32 s31, -1
	s_cbranch_scc0 .LBB159_394
; %bb.363:
	s_cmp_lt_i32 s29, 24
	s_mov_b32 s30, -1
	s_cbranch_scc1 .LBB159_383
; %bb.364:
	s_cmp_gt_i32 s29, 24
	s_cbranch_scc0 .LBB159_372
; %bb.365:
	s_wait_xcnt 0x0
	v_cndmask_b32_e64 v4, 0, 1.0, s27
	v_mov_b32_e32 v5, 0x80
	s_mov_b32 s30, exec_lo
	s_delay_alu instid0(VALU_DEP_2)
	v_cmpx_gt_u32_e32 0x47800000, v4
	s_cbranch_execz .LBB159_371
; %bb.366:
	s_mov_b32 s31, 0
	s_mov_b32 s45, exec_lo
                                        ; implicit-def: $vgpr1
	v_cmpx_lt_u32_e32 0x37ffffff, v4
	s_xor_b32 s45, exec_lo, s45
	s_cbranch_execz .LBB159_596
; %bb.367:
	s_wait_loadcnt 0x0
	v_bfe_u32 v1, v4, 21, 1
	s_mov_b32 s31, exec_lo
	s_delay_alu instid0(VALU_DEP_1) | instskip(NEXT) | instid1(VALU_DEP_1)
	v_add3_u32 v1, v4, v1, 0x88fffff
                                        ; implicit-def: $vgpr4
	v_lshrrev_b32_e32 v1, 21, v1
	s_and_not1_saveexec_b32 s45, s45
	s_cbranch_execnz .LBB159_597
.LBB159_368:
	s_or_b32 exec_lo, exec_lo, s45
	v_mov_b32_e32 v5, 0
	s_and_saveexec_b32 s45, s31
	s_cbranch_execz .LBB159_370
.LBB159_369:
	s_wait_loadcnt 0x0
	v_mov_b32_e32 v5, v1
.LBB159_370:
	s_or_b32 exec_lo, exec_lo, s45
.LBB159_371:
	s_delay_alu instid0(SALU_CYCLE_1)
	s_or_b32 exec_lo, exec_lo, s30
	s_mov_b32 s30, 0
	global_store_b8 v[2:3], v5, off
.LBB159_372:
	s_and_b32 vcc_lo, exec_lo, s30
	s_cbranch_vccz .LBB159_382
; %bb.373:
	s_wait_xcnt 0x0
	v_cndmask_b32_e64 v4, 0, 1.0, s27
	s_mov_b32 s30, exec_lo
                                        ; implicit-def: $vgpr1
	s_delay_alu instid0(VALU_DEP_1)
	v_cmpx_gt_u32_e32 0x43f00000, v4
	s_xor_b32 s30, exec_lo, s30
	s_cbranch_execz .LBB159_379
; %bb.374:
	s_mov_b32 s31, exec_lo
                                        ; implicit-def: $vgpr1
	v_cmpx_lt_u32_e32 0x3c7fffff, v4
	s_xor_b32 s31, exec_lo, s31
	s_cbranch_execz .LBB159_376
; %bb.375:
	s_wait_loadcnt 0x0
	v_bfe_u32 v1, v4, 20, 1
	s_delay_alu instid0(VALU_DEP_1) | instskip(NEXT) | instid1(VALU_DEP_1)
	v_add3_u32 v1, v4, v1, 0x407ffff
	v_and_b32_e32 v4, 0xff00000, v1
	v_lshrrev_b32_e32 v1, 20, v1
	s_delay_alu instid0(VALU_DEP_2) | instskip(NEXT) | instid1(VALU_DEP_2)
	v_cmp_ne_u32_e32 vcc_lo, 0x7f00000, v4
                                        ; implicit-def: $vgpr4
	v_cndmask_b32_e32 v1, 0x7e, v1, vcc_lo
.LBB159_376:
	s_and_not1_saveexec_b32 s31, s31
	s_cbranch_execz .LBB159_378
; %bb.377:
	s_wait_loadcnt 0x0
	v_add_f32_e32 v1, 0x46800000, v4
.LBB159_378:
	s_or_b32 exec_lo, exec_lo, s31
                                        ; implicit-def: $vgpr4
.LBB159_379:
	s_and_not1_saveexec_b32 s30, s30
	s_cbranch_execz .LBB159_381
; %bb.380:
	s_wait_loadcnt 0x0
	v_mov_b32_e32 v1, 0x7f
	v_cmp_lt_u32_e32 vcc_lo, 0x7f800000, v4
	s_delay_alu instid0(VALU_DEP_2)
	v_cndmask_b32_e32 v1, 0x7e, v1, vcc_lo
.LBB159_381:
	s_or_b32 exec_lo, exec_lo, s30
	s_wait_loadcnt 0x0
	global_store_b8 v[2:3], v1, off
.LBB159_382:
	s_mov_b32 s30, 0
.LBB159_383:
	s_delay_alu instid0(SALU_CYCLE_1)
	s_and_not1_b32 vcc_lo, exec_lo, s30
	s_cbranch_vccnz .LBB159_393
; %bb.384:
	s_wait_xcnt 0x0
	v_cndmask_b32_e64 v4, 0, 1.0, s27
	s_mov_b32 s30, exec_lo
                                        ; implicit-def: $vgpr1
	s_delay_alu instid0(VALU_DEP_1)
	v_cmpx_gt_u32_e32 0x47800000, v4
	s_xor_b32 s30, exec_lo, s30
	s_cbranch_execz .LBB159_390
; %bb.385:
	s_mov_b32 s31, exec_lo
                                        ; implicit-def: $vgpr1
	v_cmpx_lt_u32_e32 0x387fffff, v4
	s_xor_b32 s31, exec_lo, s31
	s_cbranch_execz .LBB159_387
; %bb.386:
	s_wait_loadcnt 0x0
	v_bfe_u32 v1, v4, 21, 1
	s_delay_alu instid0(VALU_DEP_1) | instskip(NEXT) | instid1(VALU_DEP_1)
	v_add3_u32 v1, v4, v1, 0x80fffff
                                        ; implicit-def: $vgpr4
	v_lshrrev_b32_e32 v1, 21, v1
.LBB159_387:
	s_and_not1_saveexec_b32 s31, s31
	s_cbranch_execz .LBB159_389
; %bb.388:
	s_wait_loadcnt 0x0
	v_add_f32_e32 v1, 0x43000000, v4
.LBB159_389:
	s_or_b32 exec_lo, exec_lo, s31
                                        ; implicit-def: $vgpr4
.LBB159_390:
	s_and_not1_saveexec_b32 s30, s30
	s_cbranch_execz .LBB159_392
; %bb.391:
	s_wait_loadcnt 0x0
	v_mov_b32_e32 v1, 0x7f
	v_cmp_lt_u32_e32 vcc_lo, 0x7f800000, v4
	s_delay_alu instid0(VALU_DEP_2)
	v_cndmask_b32_e32 v1, 0x7c, v1, vcc_lo
.LBB159_392:
	s_or_b32 exec_lo, exec_lo, s30
	s_wait_loadcnt 0x0
	global_store_b8 v[2:3], v1, off
.LBB159_393:
	s_mov_b32 s31, 0
	s_mov_b32 s30, -1
.LBB159_394:
	s_and_not1_b32 vcc_lo, exec_lo, s31
	s_cbranch_vccnz .LBB159_402
; %bb.395:
	s_cmp_gt_i32 s29, 14
	s_mov_b32 s31, -1
	s_cbranch_scc0 .LBB159_399
; %bb.396:
	s_cmp_eq_u32 s29, 15
	s_mov_b32 s0, -1
	s_cbranch_scc0 .LBB159_398
; %bb.397:
	s_wait_loadcnt 0x0
	v_cndmask_b32_e64 v1, 0, 1.0, s27
	s_mov_b32 s30, -1
	s_mov_b32 s0, 0
	s_delay_alu instid0(VALU_DEP_1) | instskip(NEXT) | instid1(VALU_DEP_1)
	v_bfe_u32 v4, v1, 16, 1
	v_add3_u32 v1, v1, v4, 0x7fff
	global_store_d16_hi_b16 v[2:3], v1, off
.LBB159_398:
	s_mov_b32 s31, 0
.LBB159_399:
	s_delay_alu instid0(SALU_CYCLE_1)
	s_and_b32 vcc_lo, exec_lo, s31
	s_cbranch_vccz .LBB159_402
; %bb.400:
	s_cmp_eq_u32 s29, 11
	s_mov_b32 s0, -1
	s_cbranch_scc0 .LBB159_402
; %bb.401:
	s_wait_loadcnt 0x0
	v_cndmask_b32_e64 v1, 0, 1, s27
	s_mov_b32 s30, -1
	s_mov_b32 s0, 0
	global_store_b8 v[2:3], v1, off
.LBB159_402:
	s_mov_b32 s29, 0
.LBB159_403:
	s_delay_alu instid0(SALU_CYCLE_1)
	s_and_b32 vcc_lo, exec_lo, s29
	s_cbranch_vccz .LBB159_442
; %bb.404:
	s_and_b32 s28, 0xffff, s28
	s_mov_b32 s29, -1
	s_cmp_lt_i32 s28, 5
	s_cbranch_scc1 .LBB159_425
; %bb.405:
	s_cmp_lt_i32 s28, 8
	s_cbranch_scc1 .LBB159_415
; %bb.406:
	;; [unrolled: 3-line block ×3, first 2 shown]
	s_cmp_gt_i32 s28, 9
	s_cbranch_scc0 .LBB159_409
; %bb.408:
	s_wait_loadcnt 0x0
	v_cndmask_b32_e64 v1, 0, 1, s27
	v_mov_b32_e32 v6, 0
	s_mov_b32 s29, 0
	s_delay_alu instid0(VALU_DEP_2) | instskip(NEXT) | instid1(VALU_DEP_2)
	v_cvt_f64_u32_e32 v[4:5], v1
	v_mov_b32_e32 v7, v6
	global_store_b128 v[2:3], v[4:7], off
.LBB159_409:
	s_and_not1_b32 vcc_lo, exec_lo, s29
	s_cbranch_vccnz .LBB159_411
; %bb.410:
	s_wait_xcnt 0x0
	v_cndmask_b32_e64 v4, 0, 1.0, s27
	v_mov_b32_e32 v5, 0
	global_store_b64 v[2:3], v[4:5], off
.LBB159_411:
	s_mov_b32 s29, 0
.LBB159_412:
	s_delay_alu instid0(SALU_CYCLE_1)
	s_and_not1_b32 vcc_lo, exec_lo, s29
	s_cbranch_vccnz .LBB159_414
; %bb.413:
	s_wait_loadcnt 0x0
	v_cndmask_b32_e64 v1, 0, 1.0, s27
	s_delay_alu instid0(VALU_DEP_1) | instskip(NEXT) | instid1(VALU_DEP_1)
	v_cvt_f16_f32_e32 v1, v1
	v_and_b32_e32 v1, 0xffff, v1
	global_store_b32 v[2:3], v1, off
.LBB159_414:
	s_mov_b32 s29, 0
.LBB159_415:
	s_delay_alu instid0(SALU_CYCLE_1)
	s_and_not1_b32 vcc_lo, exec_lo, s29
	s_cbranch_vccnz .LBB159_424
; %bb.416:
	s_cmp_lt_i32 s28, 6
	s_mov_b32 s29, -1
	s_cbranch_scc1 .LBB159_422
; %bb.417:
	s_cmp_gt_i32 s28, 6
	s_cbranch_scc0 .LBB159_419
; %bb.418:
	s_wait_loadcnt 0x0
	v_cndmask_b32_e64 v1, 0, 1, s27
	s_mov_b32 s29, 0
	s_delay_alu instid0(VALU_DEP_1)
	v_cvt_f64_u32_e32 v[4:5], v1
	global_store_b64 v[2:3], v[4:5], off
.LBB159_419:
	s_and_not1_b32 vcc_lo, exec_lo, s29
	s_cbranch_vccnz .LBB159_421
; %bb.420:
	s_wait_loadcnt 0x0
	v_cndmask_b32_e64 v1, 0, 1.0, s27
	global_store_b32 v[2:3], v1, off
.LBB159_421:
	s_mov_b32 s29, 0
.LBB159_422:
	s_delay_alu instid0(SALU_CYCLE_1)
	s_and_not1_b32 vcc_lo, exec_lo, s29
	s_cbranch_vccnz .LBB159_424
; %bb.423:
	s_wait_loadcnt 0x0
	v_cndmask_b32_e64 v1, 0, 1.0, s27
	s_delay_alu instid0(VALU_DEP_1)
	v_cvt_f16_f32_e32 v1, v1
	global_store_b16 v[2:3], v1, off
.LBB159_424:
	s_mov_b32 s29, 0
.LBB159_425:
	s_delay_alu instid0(SALU_CYCLE_1)
	s_and_not1_b32 vcc_lo, exec_lo, s29
	s_cbranch_vccnz .LBB159_441
; %bb.426:
	s_cmp_lt_i32 s28, 2
	s_mov_b32 s29, -1
	s_cbranch_scc1 .LBB159_436
; %bb.427:
	s_cmp_lt_i32 s28, 3
	s_cbranch_scc1 .LBB159_433
; %bb.428:
	s_cmp_gt_i32 s28, 3
	s_cbranch_scc0 .LBB159_430
; %bb.429:
	s_mov_b32 s29, 0
	s_wait_xcnt 0x0
	v_cndmask_b32_e64 v4, 0, 1, s27
	v_mov_b32_e32 v5, s29
	global_store_b64 v[2:3], v[4:5], off
.LBB159_430:
	s_and_not1_b32 vcc_lo, exec_lo, s29
	s_cbranch_vccnz .LBB159_432
; %bb.431:
	s_wait_loadcnt 0x0
	v_cndmask_b32_e64 v1, 0, 1, s27
	global_store_b32 v[2:3], v1, off
.LBB159_432:
	s_mov_b32 s29, 0
.LBB159_433:
	s_delay_alu instid0(SALU_CYCLE_1)
	s_and_not1_b32 vcc_lo, exec_lo, s29
	s_cbranch_vccnz .LBB159_435
; %bb.434:
	s_wait_loadcnt 0x0
	v_cndmask_b32_e64 v1, 0, 1, s27
	global_store_b16 v[2:3], v1, off
.LBB159_435:
	s_mov_b32 s29, 0
.LBB159_436:
	s_delay_alu instid0(SALU_CYCLE_1)
	s_and_not1_b32 vcc_lo, exec_lo, s29
	s_cbranch_vccnz .LBB159_441
; %bb.437:
	s_wait_loadcnt 0x0
	v_cndmask_b32_e64 v1, 0, 1, s27
	s_cmp_gt_i32 s28, 0
	s_mov_b32 s27, -1
	s_cbranch_scc0 .LBB159_439
; %bb.438:
	s_mov_b32 s27, 0
	global_store_b8 v[2:3], v1, off
.LBB159_439:
	s_and_not1_b32 vcc_lo, exec_lo, s27
	s_cbranch_vccnz .LBB159_441
; %bb.440:
	global_store_b8 v[2:3], v1, off
.LBB159_441:
	s_mov_b32 s30, -1
.LBB159_442:
	s_delay_alu instid0(SALU_CYCLE_1)
	s_and_not1_b32 vcc_lo, exec_lo, s30
	s_cbranch_vccnz .LBB159_444
; %bb.443:
	v_add_nc_u32_e32 v0, 0x80, v0
	s_mov_b32 s27, -1
	s_branch .LBB159_562
.LBB159_444:
	s_mov_b32 s27, 0
	s_branch .LBB159_561
.LBB159_445:
	s_mov_b32 s26, -1
                                        ; implicit-def: $vgpr1
.LBB159_446:
	v_mov_b32_e32 v3, 0
.LBB159_447:
	s_mov_b32 s28, 0
.LBB159_448:
	s_delay_alu instid0(SALU_CYCLE_1)
	s_and_b32 vcc_lo, exec_lo, s28
	s_cbranch_vccz .LBB159_453
; %bb.449:
	s_cmp_eq_u32 s0, 29
	s_cbranch_scc0 .LBB159_451
; %bb.450:
	global_load_b64 v[6:7], v[4:5], off
	s_mov_b32 s27, -1
	s_mov_b32 s26, 0
	s_wait_loadcnt 0x0
	v_clz_i32_u32_e32 v1, v7
	s_delay_alu instid0(VALU_DEP_1) | instskip(NEXT) | instid1(VALU_DEP_1)
	v_min_u32_e32 v1, 32, v1
	v_lshlrev_b64_e32 v[6:7], v1, v[6:7]
	v_sub_nc_u32_e32 v1, 32, v1
	s_delay_alu instid0(VALU_DEP_2) | instskip(NEXT) | instid1(VALU_DEP_1)
	v_min_u32_e32 v3, 1, v6
	v_or_b32_e32 v3, v7, v3
	s_delay_alu instid0(VALU_DEP_1) | instskip(NEXT) | instid1(VALU_DEP_1)
	v_cvt_f32_u32_e32 v3, v3
	v_ldexp_f32 v1, v3, v1
	s_delay_alu instid0(VALU_DEP_1)
	v_cvt_f16_f32_e32 v1, v1
	s_branch .LBB159_452
.LBB159_451:
	s_mov_b32 s26, -1
                                        ; implicit-def: $vgpr1
.LBB159_452:
	v_mov_b32_e32 v3, 0
.LBB159_453:
	s_mov_b32 s28, 0
.LBB159_454:
	s_delay_alu instid0(SALU_CYCLE_1)
	s_and_b32 vcc_lo, exec_lo, s28
	s_cbranch_vccz .LBB159_472
; %bb.455:
	s_cmp_lt_i32 s0, 27
	s_cbranch_scc1 .LBB159_458
; %bb.456:
	s_cmp_gt_i32 s0, 27
	s_cbranch_scc0 .LBB159_459
; %bb.457:
	s_wait_loadcnt 0x0
	global_load_b32 v1, v[4:5], off
	s_mov_b32 s27, 0
	s_wait_loadcnt 0x0
	v_cvt_f32_u32_e32 v1, v1
	s_delay_alu instid0(VALU_DEP_1)
	v_cvt_f16_f32_e32 v1, v1
	s_branch .LBB159_460
.LBB159_458:
	s_mov_b32 s27, -1
                                        ; implicit-def: $vgpr1
	s_branch .LBB159_463
.LBB159_459:
	s_mov_b32 s27, -1
                                        ; implicit-def: $vgpr1
.LBB159_460:
	s_delay_alu instid0(SALU_CYCLE_1)
	s_and_not1_b32 vcc_lo, exec_lo, s27
	s_cbranch_vccnz .LBB159_462
; %bb.461:
	s_wait_loadcnt 0x0
	global_load_u16 v1, v[4:5], off
	s_wait_loadcnt 0x0
	v_cvt_f16_u16_e32 v1, v1
.LBB159_462:
	s_mov_b32 s27, 0
.LBB159_463:
	s_delay_alu instid0(SALU_CYCLE_1)
	s_and_not1_b32 vcc_lo, exec_lo, s27
	s_cbranch_vccnz .LBB159_471
; %bb.464:
	global_load_u8 v3, v[4:5], off
	s_mov_b32 s27, 0
	s_mov_b32 s28, exec_lo
	s_wait_loadcnt 0x0
	v_cmpx_lt_i16_e32 0x7f, v3
	s_xor_b32 s28, exec_lo, s28
	s_cbranch_execz .LBB159_485
; %bb.465:
	s_mov_b32 s27, -1
	s_mov_b32 s29, exec_lo
	v_cmpx_eq_u16_e32 0x80, v3
; %bb.466:
	s_xor_b32 s27, exec_lo, -1
; %bb.467:
	s_or_b32 exec_lo, exec_lo, s29
	s_delay_alu instid0(SALU_CYCLE_1)
	s_and_b32 s27, s27, exec_lo
	s_or_saveexec_b32 s28, s28
	v_mov_b32_e32 v1, 0x7e00
	s_xor_b32 exec_lo, exec_lo, s28
	s_cbranch_execnz .LBB159_486
.LBB159_468:
	s_or_b32 exec_lo, exec_lo, s28
	s_and_saveexec_b32 s28, s27
	s_cbranch_execz .LBB159_470
.LBB159_469:
	v_and_b32_e32 v1, 0xffff, v3
	s_delay_alu instid0(VALU_DEP_1) | instskip(SKIP_1) | instid1(VALU_DEP_2)
	v_and_b32_e32 v6, 7, v1
	v_bfe_u32 v9, v1, 3, 4
	v_clz_i32_u32_e32 v7, v6
	s_delay_alu instid0(VALU_DEP_2) | instskip(NEXT) | instid1(VALU_DEP_2)
	v_cmp_eq_u32_e32 vcc_lo, 0, v9
	v_min_u32_e32 v7, 32, v7
	s_delay_alu instid0(VALU_DEP_1) | instskip(NEXT) | instid1(VALU_DEP_1)
	v_subrev_nc_u32_e32 v8, 28, v7
	v_dual_lshlrev_b32 v1, v8, v1 :: v_dual_sub_nc_u32 v7, 29, v7
	s_delay_alu instid0(VALU_DEP_1) | instskip(NEXT) | instid1(VALU_DEP_1)
	v_dual_lshlrev_b32 v3, 24, v3 :: v_dual_bitop2_b32 v1, 7, v1 bitop3:0x40
	v_dual_cndmask_b32 v1, v6, v1, vcc_lo :: v_dual_cndmask_b32 v7, v9, v7, vcc_lo
	s_delay_alu instid0(VALU_DEP_2) | instskip(NEXT) | instid1(VALU_DEP_2)
	v_and_b32_e32 v3, 0x80000000, v3
	v_lshlrev_b32_e32 v1, 20, v1
	s_delay_alu instid0(VALU_DEP_3) | instskip(NEXT) | instid1(VALU_DEP_1)
	v_lshl_add_u32 v6, v7, 23, 0x3b800000
	v_or3_b32 v1, v3, v6, v1
	s_delay_alu instid0(VALU_DEP_1)
	v_cvt_f16_f32_e32 v1, v1
.LBB159_470:
	s_or_b32 exec_lo, exec_lo, s28
.LBB159_471:
	v_mov_b32_e32 v3, 0
	s_mov_b32 s27, -1
.LBB159_472:
	s_mov_b32 s28, 0
.LBB159_473:
	s_delay_alu instid0(SALU_CYCLE_1)
	s_and_b32 vcc_lo, exec_lo, s28
	s_cbranch_vccz .LBB159_509
; %bb.474:
	s_cmp_gt_i32 s0, 22
	s_cbranch_scc0 .LBB159_484
; %bb.475:
	s_cmp_lt_i32 s0, 24
	s_cbranch_scc1 .LBB159_487
; %bb.476:
	s_cmp_gt_i32 s0, 24
	s_cbranch_scc0 .LBB159_488
; %bb.477:
	global_load_u8 v3, v[4:5], off
	s_mov_b32 s27, 0
	s_mov_b32 s28, exec_lo
	s_wait_loadcnt 0x0
	v_cmpx_lt_i16_e32 0x7f, v3
	s_xor_b32 s28, exec_lo, s28
	s_cbranch_execz .LBB159_500
; %bb.478:
	s_mov_b32 s27, -1
	s_mov_b32 s29, exec_lo
	v_cmpx_eq_u16_e32 0x80, v3
; %bb.479:
	s_xor_b32 s27, exec_lo, -1
; %bb.480:
	s_or_b32 exec_lo, exec_lo, s29
	s_delay_alu instid0(SALU_CYCLE_1)
	s_and_b32 s27, s27, exec_lo
	s_or_saveexec_b32 s28, s28
	v_mov_b32_e32 v1, 0x7e00
	s_xor_b32 exec_lo, exec_lo, s28
	s_cbranch_execnz .LBB159_501
.LBB159_481:
	s_or_b32 exec_lo, exec_lo, s28
	s_and_saveexec_b32 s28, s27
	s_cbranch_execz .LBB159_483
.LBB159_482:
	v_and_b32_e32 v1, 0xffff, v3
	s_delay_alu instid0(VALU_DEP_1) | instskip(SKIP_1) | instid1(VALU_DEP_2)
	v_and_b32_e32 v6, 3, v1
	v_bfe_u32 v9, v1, 2, 5
	v_clz_i32_u32_e32 v7, v6
	s_delay_alu instid0(VALU_DEP_2) | instskip(NEXT) | instid1(VALU_DEP_2)
	v_cmp_eq_u32_e32 vcc_lo, 0, v9
	v_min_u32_e32 v7, 32, v7
	s_delay_alu instid0(VALU_DEP_1) | instskip(NEXT) | instid1(VALU_DEP_1)
	v_subrev_nc_u32_e32 v8, 29, v7
	v_dual_lshlrev_b32 v1, v8, v1 :: v_dual_sub_nc_u32 v7, 30, v7
	s_delay_alu instid0(VALU_DEP_1) | instskip(NEXT) | instid1(VALU_DEP_1)
	v_dual_lshlrev_b32 v3, 24, v3 :: v_dual_bitop2_b32 v1, 3, v1 bitop3:0x40
	v_dual_cndmask_b32 v1, v6, v1, vcc_lo :: v_dual_cndmask_b32 v7, v9, v7, vcc_lo
	s_delay_alu instid0(VALU_DEP_2) | instskip(NEXT) | instid1(VALU_DEP_2)
	v_and_b32_e32 v3, 0x80000000, v3
	v_lshlrev_b32_e32 v1, 21, v1
	s_delay_alu instid0(VALU_DEP_3) | instskip(NEXT) | instid1(VALU_DEP_1)
	v_lshl_add_u32 v6, v7, 23, 0x37800000
	v_or3_b32 v1, v3, v6, v1
	s_delay_alu instid0(VALU_DEP_1)
	v_cvt_f16_f32_e32 v1, v1
.LBB159_483:
	s_or_b32 exec_lo, exec_lo, s28
	s_mov_b32 s27, 0
	s_branch .LBB159_489
.LBB159_484:
	s_mov_b32 s28, -1
                                        ; implicit-def: $vgpr1
	s_branch .LBB159_495
.LBB159_485:
	s_or_saveexec_b32 s28, s28
	v_mov_b32_e32 v1, 0x7e00
	s_xor_b32 exec_lo, exec_lo, s28
	s_cbranch_execz .LBB159_468
.LBB159_486:
	v_cmp_ne_u16_e32 vcc_lo, 0, v3
	v_mov_b32_e32 v1, v3
	s_and_not1_b32 s27, s27, exec_lo
	s_and_b32 s29, vcc_lo, exec_lo
	s_delay_alu instid0(SALU_CYCLE_1)
	s_or_b32 s27, s27, s29
	s_or_b32 exec_lo, exec_lo, s28
	s_and_saveexec_b32 s28, s27
	s_cbranch_execnz .LBB159_469
	s_branch .LBB159_470
.LBB159_487:
	s_mov_b32 s27, -1
                                        ; implicit-def: $vgpr1
	s_branch .LBB159_492
.LBB159_488:
	s_mov_b32 s27, -1
                                        ; implicit-def: $vgpr1
.LBB159_489:
	s_delay_alu instid0(SALU_CYCLE_1)
	s_and_b32 vcc_lo, exec_lo, s27
	s_cbranch_vccz .LBB159_491
; %bb.490:
	s_wait_loadcnt 0x0
	global_load_u8 v1, v[4:5], off
	s_wait_loadcnt 0x0
	v_lshlrev_b32_e32 v1, 24, v1
	s_delay_alu instid0(VALU_DEP_1) | instskip(NEXT) | instid1(VALU_DEP_1)
	v_and_b32_e32 v3, 0x7f000000, v1
	v_clz_i32_u32_e32 v6, v3
	v_cmp_ne_u32_e32 vcc_lo, 0, v3
	v_add_nc_u32_e32 v8, 0x1000000, v3
	s_delay_alu instid0(VALU_DEP_3) | instskip(NEXT) | instid1(VALU_DEP_1)
	v_min_u32_e32 v6, 32, v6
	v_sub_nc_u32_e64 v6, v6, 4 clamp
	s_delay_alu instid0(VALU_DEP_1) | instskip(NEXT) | instid1(VALU_DEP_1)
	v_dual_lshlrev_b32 v7, v6, v3 :: v_dual_lshlrev_b32 v6, 23, v6
	v_lshrrev_b32_e32 v7, 4, v7
	s_delay_alu instid0(VALU_DEP_1) | instskip(NEXT) | instid1(VALU_DEP_1)
	v_dual_sub_nc_u32 v6, v7, v6 :: v_dual_ashrrev_i32 v7, 8, v8
	v_add_nc_u32_e32 v6, 0x3c000000, v6
	s_delay_alu instid0(VALU_DEP_1) | instskip(NEXT) | instid1(VALU_DEP_1)
	v_and_or_b32 v6, 0x7f800000, v7, v6
	v_cndmask_b32_e32 v3, 0, v6, vcc_lo
	s_delay_alu instid0(VALU_DEP_1) | instskip(NEXT) | instid1(VALU_DEP_1)
	v_and_or_b32 v1, 0x80000000, v1, v3
	v_cvt_f16_f32_e32 v1, v1
.LBB159_491:
	s_mov_b32 s27, 0
.LBB159_492:
	s_delay_alu instid0(SALU_CYCLE_1)
	s_and_not1_b32 vcc_lo, exec_lo, s27
	s_cbranch_vccnz .LBB159_494
; %bb.493:
	s_wait_loadcnt 0x0
	global_load_u8 v1, v[4:5], off
	s_wait_loadcnt 0x0
	v_lshlrev_b32_e32 v3, 25, v1
	v_lshlrev_b16 v1, 8, v1
	s_delay_alu instid0(VALU_DEP_1) | instskip(SKIP_1) | instid1(VALU_DEP_2)
	v_and_or_b32 v7, 0x7f00, v1, 0.5
	v_bfe_i32 v1, v1, 0, 16
	v_add_f32_e32 v7, -0.5, v7
	v_lshrrev_b32_e32 v6, 4, v3
	v_cmp_gt_u32_e32 vcc_lo, 0x8000000, v3
	s_delay_alu instid0(VALU_DEP_2) | instskip(NEXT) | instid1(VALU_DEP_1)
	v_or_b32_e32 v6, 0x70000000, v6
	v_mul_f32_e32 v6, 0x7800000, v6
	s_delay_alu instid0(VALU_DEP_1) | instskip(NEXT) | instid1(VALU_DEP_1)
	v_cndmask_b32_e32 v3, v6, v7, vcc_lo
	v_and_or_b32 v1, 0x80000000, v1, v3
	s_delay_alu instid0(VALU_DEP_1)
	v_cvt_f16_f32_e32 v1, v1
.LBB159_494:
	s_mov_b32 s28, 0
	s_mov_b32 s27, -1
.LBB159_495:
	s_and_not1_b32 vcc_lo, exec_lo, s28
	s_cbranch_vccnz .LBB159_508
; %bb.496:
	s_cmp_gt_i32 s0, 14
	s_cbranch_scc0 .LBB159_499
; %bb.497:
	s_cmp_eq_u32 s0, 15
	s_cbranch_scc0 .LBB159_502
; %bb.498:
	s_wait_loadcnt 0x0
	global_load_u16 v1, v[4:5], off
	s_mov_b32 s27, -1
	s_mov_b32 s26, 0
	s_wait_loadcnt 0x0
	v_lshlrev_b32_e32 v1, 16, v1
	s_delay_alu instid0(VALU_DEP_1)
	v_cvt_f16_f32_e32 v1, v1
	s_branch .LBB159_503
.LBB159_499:
	s_mov_b32 s28, -1
                                        ; implicit-def: $vgpr1
	s_branch .LBB159_504
.LBB159_500:
	s_or_saveexec_b32 s28, s28
	v_mov_b32_e32 v1, 0x7e00
	s_xor_b32 exec_lo, exec_lo, s28
	s_cbranch_execz .LBB159_481
.LBB159_501:
	v_cmp_ne_u16_e32 vcc_lo, 0, v3
	v_mov_b32_e32 v1, v3
	s_and_not1_b32 s27, s27, exec_lo
	s_and_b32 s29, vcc_lo, exec_lo
	s_delay_alu instid0(SALU_CYCLE_1)
	s_or_b32 s27, s27, s29
	s_or_b32 exec_lo, exec_lo, s28
	s_and_saveexec_b32 s28, s27
	s_cbranch_execnz .LBB159_482
	s_branch .LBB159_483
.LBB159_502:
	s_mov_b32 s26, -1
                                        ; implicit-def: $vgpr1
.LBB159_503:
	s_mov_b32 s28, 0
.LBB159_504:
	s_delay_alu instid0(SALU_CYCLE_1)
	s_and_b32 vcc_lo, exec_lo, s28
	s_cbranch_vccz .LBB159_508
; %bb.505:
	s_cmp_eq_u32 s0, 11
	s_cbranch_scc0 .LBB159_507
; %bb.506:
	s_wait_loadcnt 0x0
	global_load_u8 v1, v[4:5], off
	s_mov_b32 s26, 0
	s_mov_b32 s27, -1
	v_mov_b32_e32 v3, 0
	s_wait_loadcnt 0x0
	v_cmp_ne_u16_e32 vcc_lo, 0, v1
	v_cndmask_b32_e64 v1, 0, 0x3c00, vcc_lo
	s_branch .LBB159_509
.LBB159_507:
	s_mov_b32 s26, -1
                                        ; implicit-def: $vgpr1
.LBB159_508:
	v_mov_b32_e32 v3, 0
.LBB159_509:
	s_branch .LBB159_304
.LBB159_510:
	s_cmp_lt_i32 s0, 5
	s_cbranch_scc1 .LBB159_515
; %bb.511:
	s_cmp_lt_i32 s0, 8
	s_cbranch_scc1 .LBB159_516
; %bb.512:
	;; [unrolled: 3-line block ×3, first 2 shown]
	s_cmp_gt_i32 s0, 9
	s_cbranch_scc0 .LBB159_518
; %bb.514:
	global_load_b128 v[6:9], v[4:5], off
	s_mov_b32 s27, 0
	s_wait_loadcnt 0x0
	v_and_or_b32 v1, 0x1ff, v7, v6
	v_and_or_b32 v8, 0x1ff, v9, v8
	v_dual_lshrrev_b32 v3, 8, v7 :: v_dual_lshrrev_b32 v10, 8, v9
	v_bfe_u32 v6, v7, 20, 11
	s_delay_alu instid0(VALU_DEP_4) | instskip(SKIP_2) | instid1(VALU_DEP_4)
	v_cmp_ne_u32_e32 vcc_lo, 0, v1
	v_bfe_u32 v11, v9, 20, 11
	v_dual_lshrrev_b32 v7, 16, v7 :: v_dual_lshrrev_b32 v9, 16, v9
	v_sub_nc_u32_e32 v12, 0x3f1, v6
	v_cndmask_b32_e64 v1, 0, 1, vcc_lo
	v_cmp_ne_u32_e32 vcc_lo, 0, v8
	v_add_nc_u32_e32 v6, 0xfffffc10, v6
	s_delay_alu instid0(VALU_DEP_3) | instskip(SKIP_1) | instid1(VALU_DEP_1)
	v_and_or_b32 v1, 0xffe, v3, v1
	v_cndmask_b32_e64 v8, 0, 1, vcc_lo
	v_and_or_b32 v8, 0xffe, v10, v8
	v_med3_i32 v10, v12, 0, 13
	s_delay_alu instid0(VALU_DEP_4) | instskip(NEXT) | instid1(VALU_DEP_3)
	v_or_b32_e32 v12, 0x1000, v1
	v_or_b32_e32 v13, 0x1000, v8
	s_delay_alu instid0(VALU_DEP_2) | instskip(NEXT) | instid1(VALU_DEP_1)
	v_lshrrev_b32_e32 v14, v10, v12
	v_lshlrev_b32_e32 v10, v10, v14
	s_delay_alu instid0(VALU_DEP_1) | instskip(SKIP_2) | instid1(VALU_DEP_1)
	v_cmp_ne_u32_e32 vcc_lo, v10, v12
	v_lshl_or_b32 v12, v6, 12, v1
	v_cndmask_b32_e64 v10, 0, 1, vcc_lo
	v_or_b32_e32 v10, v14, v10
	v_sub_nc_u32_e32 v3, 0x3f1, v11
	v_add_nc_u32_e32 v11, 0xfffffc10, v11
	s_delay_alu instid0(VALU_DEP_2) | instskip(NEXT) | instid1(VALU_DEP_1)
	v_med3_i32 v3, v3, 0, 13
	v_lshrrev_b32_e32 v15, v3, v13
	s_delay_alu instid0(VALU_DEP_1) | instskip(NEXT) | instid1(VALU_DEP_1)
	v_lshlrev_b32_e32 v3, v3, v15
	v_cmp_ne_u32_e32 vcc_lo, v3, v13
	v_lshl_or_b32 v13, v11, 12, v8
	v_cndmask_b32_e64 v3, 0, 1, vcc_lo
	v_cmp_gt_i32_e32 vcc_lo, 1, v6
	s_delay_alu instid0(VALU_DEP_2) | instskip(SKIP_1) | instid1(VALU_DEP_2)
	v_dual_cndmask_b32 v10, v12, v10, vcc_lo :: v_dual_bitop2_b32 v3, v15, v3 bitop3:0x54
	v_cmp_gt_i32_e32 vcc_lo, 1, v11
	v_dual_lshrrev_b32 v10, 2, v10 :: v_dual_bitop2_b32 v12, 7, v10 bitop3:0x40
	s_delay_alu instid0(VALU_DEP_3) | instskip(NEXT) | instid1(VALU_DEP_2)
	v_cndmask_b32_e32 v3, v13, v3, vcc_lo
	v_cmp_lt_i32_e32 vcc_lo, 5, v12
	v_cndmask_b32_e64 v14, 0, 1, vcc_lo
	v_cmp_eq_u32_e32 vcc_lo, 3, v12
	v_cndmask_b32_e64 v12, 0, 1, vcc_lo
	s_delay_alu instid0(VALU_DEP_1) | instskip(SKIP_1) | instid1(VALU_DEP_2)
	v_or_b32_e32 v12, v12, v14
	v_dual_lshrrev_b32 v3, 2, v3 :: v_dual_bitop2_b32 v13, 7, v3 bitop3:0x40
	v_add_nc_u32_e32 v10, v10, v12
	s_delay_alu instid0(VALU_DEP_2) | instskip(SKIP_4) | instid1(VALU_DEP_2)
	v_cmp_lt_i32_e32 vcc_lo, 5, v13
	v_cndmask_b32_e64 v15, 0, 1, vcc_lo
	v_cmp_eq_u32_e32 vcc_lo, 3, v13
	v_cndmask_b32_e64 v13, 0, 1, vcc_lo
	v_cmp_ne_u32_e32 vcc_lo, 0, v1
	v_or_b32_e32 v13, v13, v15
	s_delay_alu instid0(VALU_DEP_1) | instskip(NEXT) | instid1(VALU_DEP_1)
	v_dual_mov_b32 v16, 0x7e00 :: v_dual_add_nc_u32 v3, v3, v13
	v_cndmask_b32_e32 v1, 0x7c00, v16, vcc_lo
	v_cmp_ne_u32_e32 vcc_lo, 0, v8
	v_cndmask_b32_e32 v8, 0x7c00, v16, vcc_lo
	v_cmp_gt_i32_e32 vcc_lo, 31, v6
	v_cndmask_b32_e32 v10, 0x7c00, v10, vcc_lo
	v_cmp_gt_i32_e32 vcc_lo, 31, v11
	v_cndmask_b32_e32 v3, 0x7c00, v3, vcc_lo
	v_cmp_eq_u32_e32 vcc_lo, 0x40f, v6
	s_delay_alu instid0(VALU_DEP_4) | instskip(SKIP_1) | instid1(VALU_DEP_2)
	v_cndmask_b32_e32 v1, v10, v1, vcc_lo
	v_cmp_eq_u32_e32 vcc_lo, 0x40f, v11
	v_and_or_b32 v1, 0x8000, v7, v1
	v_cndmask_b32_e32 v3, v3, v8, vcc_lo
	s_delay_alu instid0(VALU_DEP_1)
	v_and_or_b32 v3, 0x8000, v9, v3
	s_branch .LBB159_519
.LBB159_515:
	s_mov_b32 s27, -1
                                        ; implicit-def: $vgpr3
                                        ; implicit-def: $vgpr1
	s_branch .LBB159_538
.LBB159_516:
	s_mov_b32 s27, -1
                                        ; implicit-def: $vgpr3
                                        ; implicit-def: $vgpr1
	s_branch .LBB159_525
.LBB159_517:
	s_mov_b32 s27, -1
                                        ; implicit-def: $vgpr3
                                        ; implicit-def: $vgpr1
	s_branch .LBB159_522
.LBB159_518:
	s_mov_b32 s27, -1
                                        ; implicit-def: $vgpr3
                                        ; implicit-def: $vgpr1
.LBB159_519:
	s_delay_alu instid0(SALU_CYCLE_1)
	s_and_not1_b32 vcc_lo, exec_lo, s27
	s_cbranch_vccnz .LBB159_521
; %bb.520:
	global_load_b64 v[6:7], v[4:5], off
	s_wait_loadcnt 0x0
	v_cvt_f16_f32_e32 v1, v6
	v_cvt_f16_f32_e32 v3, v7
.LBB159_521:
	s_mov_b32 s27, 0
.LBB159_522:
	s_delay_alu instid0(SALU_CYCLE_1)
	s_and_not1_b32 vcc_lo, exec_lo, s27
	s_cbranch_vccnz .LBB159_524
; %bb.523:
	s_wait_loadcnt 0x0
	global_load_b32 v1, v[4:5], off
	s_wait_loadcnt 0x0
	v_lshrrev_b32_e32 v3, 16, v1
.LBB159_524:
	s_mov_b32 s27, 0
.LBB159_525:
	s_delay_alu instid0(SALU_CYCLE_1)
	s_and_not1_b32 vcc_lo, exec_lo, s27
	s_cbranch_vccnz .LBB159_537
; %bb.526:
	s_cmp_lt_i32 s0, 6
	s_cbranch_scc1 .LBB159_529
; %bb.527:
	s_cmp_gt_i32 s0, 6
	s_cbranch_scc0 .LBB159_530
; %bb.528:
	global_load_b64 v[6:7], v[4:5], off
	s_mov_b32 s27, 0
	s_wait_loadcnt 0x0
	v_and_or_b32 v1, 0x1ff, v7, v6
	v_lshrrev_b32_e32 v3, 8, v7
	v_bfe_u32 v6, v7, 20, 11
	s_delay_alu instid0(VALU_DEP_3) | instskip(NEXT) | instid1(VALU_DEP_2)
	v_cmp_ne_u32_e32 vcc_lo, 0, v1
	v_sub_nc_u32_e32 v8, 0x3f1, v6
	v_add_nc_u32_e32 v6, 0xfffffc10, v6
	v_cndmask_b32_e64 v1, 0, 1, vcc_lo
	s_delay_alu instid0(VALU_DEP_1) | instskip(NEXT) | instid1(VALU_DEP_4)
	v_and_or_b32 v1, 0xffe, v3, v1
	v_med3_i32 v3, v8, 0, 13
	s_delay_alu instid0(VALU_DEP_2) | instskip(NEXT) | instid1(VALU_DEP_1)
	v_or_b32_e32 v8, 0x1000, v1
	v_lshrrev_b32_e32 v9, v3, v8
	s_delay_alu instid0(VALU_DEP_1) | instskip(NEXT) | instid1(VALU_DEP_1)
	v_lshlrev_b32_e32 v3, v3, v9
	v_cmp_ne_u32_e32 vcc_lo, v3, v8
	v_lshl_or_b32 v8, v6, 12, v1
	v_cndmask_b32_e64 v3, 0, 1, vcc_lo
	v_cmp_gt_i32_e32 vcc_lo, 1, v6
	s_delay_alu instid0(VALU_DEP_2) | instskip(NEXT) | instid1(VALU_DEP_1)
	v_or_b32_e32 v3, v9, v3
	v_cndmask_b32_e32 v3, v8, v3, vcc_lo
	s_delay_alu instid0(VALU_DEP_1) | instskip(NEXT) | instid1(VALU_DEP_1)
	v_dual_lshrrev_b32 v3, 2, v3 :: v_dual_bitop2_b32 v8, 7, v3 bitop3:0x40
	v_cmp_lt_i32_e32 vcc_lo, 5, v8
	v_cndmask_b32_e64 v9, 0, 1, vcc_lo
	v_cmp_eq_u32_e32 vcc_lo, 3, v8
	v_cndmask_b32_e64 v8, 0, 1, vcc_lo
	v_cmp_ne_u32_e32 vcc_lo, 0, v1
	s_delay_alu instid0(VALU_DEP_2) | instskip(SKIP_1) | instid1(VALU_DEP_2)
	v_or_b32_e32 v8, v8, v9
	v_mov_b32_e32 v9, 0x7e00
	v_add_nc_u32_e32 v3, v3, v8
	s_delay_alu instid0(VALU_DEP_2) | instskip(SKIP_1) | instid1(VALU_DEP_3)
	v_cndmask_b32_e32 v1, 0x7c00, v9, vcc_lo
	v_cmp_gt_i32_e32 vcc_lo, 31, v6
	v_cndmask_b32_e32 v3, 0x7c00, v3, vcc_lo
	v_cmp_eq_u32_e32 vcc_lo, 0x40f, v6
	s_delay_alu instid0(VALU_DEP_2) | instskip(NEXT) | instid1(VALU_DEP_1)
	v_dual_cndmask_b32 v1, v3, v1, vcc_lo :: v_dual_lshrrev_b32 v3, 16, v7
	v_and_or_b32 v1, 0x8000, v3, v1
	s_branch .LBB159_531
.LBB159_529:
	s_mov_b32 s27, -1
                                        ; implicit-def: $vgpr1
	s_branch .LBB159_534
.LBB159_530:
	s_mov_b32 s27, -1
                                        ; implicit-def: $vgpr1
.LBB159_531:
	s_delay_alu instid0(SALU_CYCLE_1)
	s_and_not1_b32 vcc_lo, exec_lo, s27
	s_cbranch_vccnz .LBB159_533
; %bb.532:
	s_wait_loadcnt 0x0
	global_load_b32 v1, v[4:5], off
	s_wait_loadcnt 0x0
	v_cvt_f16_f32_e32 v1, v1
.LBB159_533:
	s_mov_b32 s27, 0
.LBB159_534:
	s_delay_alu instid0(SALU_CYCLE_1)
	s_and_not1_b32 vcc_lo, exec_lo, s27
	s_cbranch_vccnz .LBB159_536
; %bb.535:
	s_wait_loadcnt 0x0
	global_load_u16 v1, v[4:5], off
.LBB159_536:
	v_mov_b32_e32 v3, 0
.LBB159_537:
	s_mov_b32 s27, 0
.LBB159_538:
	s_delay_alu instid0(SALU_CYCLE_1)
	s_and_not1_b32 vcc_lo, exec_lo, s27
	s_cbranch_vccnz .LBB159_559
; %bb.539:
	s_cmp_lt_i32 s0, 2
	s_cbranch_scc1 .LBB159_543
; %bb.540:
	s_cmp_lt_i32 s0, 3
	s_cbranch_scc1 .LBB159_544
; %bb.541:
	s_cmp_gt_i32 s0, 3
	s_cbranch_scc0 .LBB159_545
; %bb.542:
	global_load_b64 v[6:7], v[4:5], off
	s_mov_b32 s27, 0
	s_wait_loadcnt 0x0
	v_xor_b32_e32 v1, v6, v7
	v_cls_i32_e32 v3, v7
	s_delay_alu instid0(VALU_DEP_2) | instskip(NEXT) | instid1(VALU_DEP_1)
	v_ashrrev_i32_e32 v1, 31, v1
	v_add_nc_u32_e32 v1, 32, v1
	s_delay_alu instid0(VALU_DEP_1) | instskip(NEXT) | instid1(VALU_DEP_1)
	v_add_min_u32_e64 v1, v3, -1, v1
	v_lshlrev_b64_e32 v[6:7], v1, v[6:7]
	v_sub_nc_u32_e32 v1, 32, v1
	s_delay_alu instid0(VALU_DEP_2) | instskip(NEXT) | instid1(VALU_DEP_1)
	v_min_u32_e32 v3, 1, v6
	v_or_b32_e32 v3, v7, v3
	s_delay_alu instid0(VALU_DEP_1) | instskip(NEXT) | instid1(VALU_DEP_1)
	v_cvt_f32_i32_e32 v3, v3
	v_ldexp_f32 v1, v3, v1
	s_delay_alu instid0(VALU_DEP_1)
	v_cvt_f16_f32_e32 v1, v1
	s_branch .LBB159_546
.LBB159_543:
	s_mov_b32 s27, -1
                                        ; implicit-def: $vgpr1
	s_branch .LBB159_552
.LBB159_544:
	s_mov_b32 s27, -1
                                        ; implicit-def: $vgpr1
	s_branch .LBB159_549
.LBB159_545:
	s_mov_b32 s27, -1
                                        ; implicit-def: $vgpr1
.LBB159_546:
	s_delay_alu instid0(SALU_CYCLE_1)
	s_and_not1_b32 vcc_lo, exec_lo, s27
	s_cbranch_vccnz .LBB159_548
; %bb.547:
	s_wait_loadcnt 0x0
	global_load_b32 v1, v[4:5], off
	s_wait_loadcnt 0x0
	v_cvt_f32_i32_e32 v1, v1
	s_delay_alu instid0(VALU_DEP_1)
	v_cvt_f16_f32_e32 v1, v1
.LBB159_548:
	s_mov_b32 s27, 0
.LBB159_549:
	s_delay_alu instid0(SALU_CYCLE_1)
	s_and_not1_b32 vcc_lo, exec_lo, s27
	s_cbranch_vccnz .LBB159_551
; %bb.550:
	s_wait_loadcnt 0x0
	global_load_u16 v1, v[4:5], off
	s_wait_loadcnt 0x0
	v_cvt_f16_i16_e32 v1, v1
.LBB159_551:
	s_mov_b32 s27, 0
.LBB159_552:
	s_delay_alu instid0(SALU_CYCLE_1)
	s_and_not1_b32 vcc_lo, exec_lo, s27
	s_cbranch_vccnz .LBB159_558
; %bb.553:
	s_cmp_gt_i32 s0, 0
	s_mov_b32 s0, 0
	s_cbranch_scc0 .LBB159_555
; %bb.554:
	s_wait_loadcnt 0x0
	global_load_i8 v1, v[4:5], off
	s_wait_loadcnt 0x0
	v_cvt_f16_i16_e32 v1, v1
	s_branch .LBB159_556
.LBB159_555:
	s_mov_b32 s0, -1
                                        ; implicit-def: $vgpr1
.LBB159_556:
	s_delay_alu instid0(SALU_CYCLE_1)
	s_and_not1_b32 vcc_lo, exec_lo, s0
	s_cbranch_vccnz .LBB159_558
; %bb.557:
	s_wait_loadcnt 0x0
	global_load_u8 v1, v[4:5], off
	s_wait_loadcnt 0x0
	v_cvt_f16_u16_e32 v1, v1
.LBB159_558:
	v_mov_b32_e32 v3, 0
.LBB159_559:
	s_branch .LBB159_305
.LBB159_560:
	s_mov_b32 s27, 0
	s_mov_b32 s0, s42
.LBB159_561:
                                        ; implicit-def: $vgpr0
.LBB159_562:
	s_and_not1_b32 s28, s42, exec_lo
	s_and_b32 s0, s0, exec_lo
	s_and_not1_b32 s29, s43, exec_lo
	s_and_b32 s26, s26, exec_lo
	s_or_b32 s46, s28, s0
	s_or_b32 s45, s29, s26
	s_or_not1_b32 s0, s27, exec_lo
.LBB159_563:
	s_wait_xcnt 0x0
	s_or_b32 exec_lo, exec_lo, s47
	s_mov_b32 s27, 0
	s_mov_b32 s26, 0
	;; [unrolled: 1-line block ×3, first 2 shown]
                                        ; implicit-def: $vgpr4_vgpr5
                                        ; implicit-def: $vgpr2
                                        ; implicit-def: $vgpr6
                                        ; implicit-def: $vgpr3
	s_and_saveexec_b32 s47, s0
	s_cbranch_execz .LBB159_957
; %bb.564:
	s_mov_b32 s29, -1
	s_mov_b32 s0, s45
	s_mov_b32 s30, s46
	s_mov_b32 s48, exec_lo
	v_cmpx_gt_i32_e64 s39, v0
	s_cbranch_execz .LBB159_851
; %bb.565:
	s_and_not1_b32 vcc_lo, exec_lo, s35
	s_cbranch_vccnz .LBB159_571
; %bb.566:
	s_and_not1_b32 vcc_lo, exec_lo, s41
	s_cbranch_vccnz .LBB159_572
; %bb.567:
	s_add_co_i32 s0, s40, 1
	s_cmp_eq_u32 s34, 2
	s_cbranch_scc1 .LBB159_573
; %bb.568:
	v_dual_mov_b32 v2, 0 :: v_dual_mov_b32 v4, 0
	s_wait_loadcnt 0x0
	v_mov_b32_e32 v1, v0
	s_and_b32 s26, s0, 28
	s_mov_b64 s[28:29], s[16:17]
	s_mov_b64 s[30:31], s[24:25]
.LBB159_569:                            ; =>This Inner Loop Header: Depth=1
	s_clause 0x1
	s_load_b256 s[52:59], s[28:29], 0x4
	s_load_b128 s[68:71], s[28:29], 0x24
	s_load_b256 s[60:67], s[30:31], 0x0
	s_add_co_i32 s27, s27, 4
	s_wait_xcnt 0x0
	s_add_nc_u64 s[28:29], s[28:29], 48
	s_cmp_eq_u32 s26, s27
	s_add_nc_u64 s[30:31], s[30:31], 32
	s_wait_kmcnt 0x0
	v_mul_hi_u32 v3, s53, v1
	s_delay_alu instid0(VALU_DEP_1) | instskip(NEXT) | instid1(VALU_DEP_1)
	v_add_nc_u32_e32 v3, v1, v3
	v_lshrrev_b32_e32 v3, s54, v3
	s_delay_alu instid0(VALU_DEP_1) | instskip(NEXT) | instid1(VALU_DEP_1)
	v_mul_hi_u32 v5, s56, v3
	v_add_nc_u32_e32 v5, v3, v5
	s_delay_alu instid0(VALU_DEP_1) | instskip(NEXT) | instid1(VALU_DEP_1)
	v_lshrrev_b32_e32 v5, s57, v5
	v_mul_hi_u32 v6, s59, v5
	s_delay_alu instid0(VALU_DEP_1) | instskip(SKIP_1) | instid1(VALU_DEP_1)
	v_add_nc_u32_e32 v6, v5, v6
	v_mul_lo_u32 v7, v3, s52
	v_sub_nc_u32_e32 v1, v1, v7
	v_mul_lo_u32 v7, v5, s55
	s_delay_alu instid0(VALU_DEP_4) | instskip(NEXT) | instid1(VALU_DEP_3)
	v_lshrrev_b32_e32 v6, s68, v6
	v_mad_u32 v4, v1, s61, v4
	v_mad_u32 v1, v1, s60, v2
	s_delay_alu instid0(VALU_DEP_4) | instskip(NEXT) | instid1(VALU_DEP_4)
	v_sub_nc_u32_e32 v2, v3, v7
	v_mul_hi_u32 v8, s70, v6
	v_mul_lo_u32 v3, v6, s58
	s_delay_alu instid0(VALU_DEP_3) | instskip(SKIP_1) | instid1(VALU_DEP_3)
	v_mad_u32 v4, v2, s63, v4
	v_mad_u32 v2, v2, s62, v1
	v_dual_add_nc_u32 v7, v6, v8 :: v_dual_sub_nc_u32 v3, v5, v3
	s_delay_alu instid0(VALU_DEP_1) | instskip(NEXT) | instid1(VALU_DEP_2)
	v_lshrrev_b32_e32 v1, s71, v7
	v_mad_u32 v4, v3, s65, v4
	s_delay_alu instid0(VALU_DEP_4) | instskip(NEXT) | instid1(VALU_DEP_3)
	v_mad_u32 v2, v3, s64, v2
	v_mul_lo_u32 v5, v1, s69
	s_delay_alu instid0(VALU_DEP_1) | instskip(NEXT) | instid1(VALU_DEP_1)
	v_sub_nc_u32_e32 v3, v6, v5
	v_mad_u32 v4, v3, s67, v4
	s_delay_alu instid0(VALU_DEP_4)
	v_mad_u32 v2, v3, s66, v2
	s_cbranch_scc0 .LBB159_569
; %bb.570:
	s_delay_alu instid0(VALU_DEP_2)
	v_mov_b32_e32 v3, v4
	s_branch .LBB159_574
.LBB159_571:
	s_mov_b32 s0, -1
                                        ; implicit-def: $vgpr4
                                        ; implicit-def: $vgpr2
	s_branch .LBB159_579
.LBB159_572:
	v_dual_mov_b32 v4, 0 :: v_dual_mov_b32 v2, 0
	s_branch .LBB159_578
.LBB159_573:
	v_mov_b64_e32 v[2:3], 0
	s_wait_loadcnt 0x0
	v_mov_b32_e32 v1, v0
                                        ; implicit-def: $vgpr4
.LBB159_574:
	s_and_b32 s0, s0, 3
	s_mov_b32 s27, 0
	s_cmp_eq_u32 s0, 0
	s_cbranch_scc1 .LBB159_578
; %bb.575:
	s_lshl_b32 s28, s26, 3
	s_mov_b32 s29, s27
	s_mul_u64 s[30:31], s[26:27], 12
	s_add_nc_u64 s[28:29], s[16:17], s[28:29]
	s_delay_alu instid0(SALU_CYCLE_1)
	s_add_nc_u64 s[26:27], s[28:29], 0xc4
	s_add_nc_u64 s[28:29], s[16:17], s[30:31]
.LBB159_576:                            ; =>This Inner Loop Header: Depth=1
	s_load_b96 s[52:54], s[28:29], 0x4
	s_load_b64 s[30:31], s[26:27], 0x0
	s_add_co_i32 s0, s0, -1
	s_wait_xcnt 0x0
	s_add_nc_u64 s[28:29], s[28:29], 12
	s_cmp_lg_u32 s0, 0
	s_add_nc_u64 s[26:27], s[26:27], 8
	s_wait_kmcnt 0x0
	v_mul_hi_u32 v4, s53, v1
	s_delay_alu instid0(VALU_DEP_1) | instskip(NEXT) | instid1(VALU_DEP_1)
	v_add_nc_u32_e32 v4, v1, v4
	v_lshrrev_b32_e32 v4, s54, v4
	s_delay_alu instid0(VALU_DEP_1) | instskip(NEXT) | instid1(VALU_DEP_1)
	v_mul_lo_u32 v5, v4, s52
	v_sub_nc_u32_e32 v1, v1, v5
	s_delay_alu instid0(VALU_DEP_1)
	v_mad_u32 v3, v1, s31, v3
	v_mad_u32 v2, v1, s30, v2
	v_mov_b32_e32 v1, v4
	s_cbranch_scc1 .LBB159_576
; %bb.577:
	s_delay_alu instid0(VALU_DEP_3)
	v_mov_b32_e32 v4, v3
.LBB159_578:
	s_mov_b32 s0, 0
.LBB159_579:
	s_delay_alu instid0(SALU_CYCLE_1)
	s_and_not1_b32 vcc_lo, exec_lo, s0
	s_cbranch_vccnz .LBB159_582
; %bb.580:
	s_wait_loadcnt 0x0
	v_mov_b32_e32 v1, 0
	s_and_not1_b32 vcc_lo, exec_lo, s38
	s_delay_alu instid0(VALU_DEP_1) | instskip(NEXT) | instid1(VALU_DEP_1)
	v_mul_u64_e32 v[2:3], s[18:19], v[0:1]
	v_add_nc_u32_e32 v2, v0, v3
	s_delay_alu instid0(VALU_DEP_1) | instskip(NEXT) | instid1(VALU_DEP_1)
	v_lshrrev_b32_e32 v6, s10, v2
	v_mul_lo_u32 v2, v6, s8
	s_delay_alu instid0(VALU_DEP_1) | instskip(NEXT) | instid1(VALU_DEP_1)
	v_sub_nc_u32_e32 v2, v0, v2
	v_mul_lo_u32 v4, v2, s13
	v_mul_lo_u32 v2, v2, s12
	s_cbranch_vccnz .LBB159_582
; %bb.581:
	v_mov_b32_e32 v7, v1
	s_delay_alu instid0(VALU_DEP_1) | instskip(NEXT) | instid1(VALU_DEP_1)
	v_mul_u64_e32 v[8:9], s[22:23], v[6:7]
	v_add_nc_u32_e32 v1, v6, v9
	s_delay_alu instid0(VALU_DEP_1) | instskip(NEXT) | instid1(VALU_DEP_1)
	v_lshrrev_b32_e32 v1, s21, v1
	v_mul_lo_u32 v1, v1, s11
	s_delay_alu instid0(VALU_DEP_1) | instskip(NEXT) | instid1(VALU_DEP_1)
	v_sub_nc_u32_e32 v1, v6, v1
	v_mad_u32 v2, v1, s14, v2
	v_mad_u32 v4, v1, s15, v4
.LBB159_582:
	v_mov_b32_e32 v5, 0
	s_and_b32 s0, 0xffff, s37
	s_delay_alu instid0(SALU_CYCLE_1) | instskip(NEXT) | instid1(VALU_DEP_1)
	s_cmp_lt_i32 s0, 11
	v_add_nc_u64_e32 v[4:5], s[6:7], v[4:5]
	s_cbranch_scc1 .LBB159_589
; %bb.583:
	s_cmp_gt_i32 s0, 25
	s_cbranch_scc0 .LBB159_590
; %bb.584:
	s_cmp_gt_i32 s0, 28
	s_cbranch_scc0 .LBB159_591
	;; [unrolled: 3-line block ×4, first 2 shown]
; %bb.587:
	s_cmp_eq_u32 s0, 46
	s_mov_b32 s28, 0
	s_cbranch_scc0 .LBB159_598
; %bb.588:
	s_wait_loadcnt 0x0
	global_load_b32 v1, v[4:5], off
	s_mov_b32 s27, -1
	s_mov_b32 s26, 0
	s_wait_loadcnt 0x0
	v_lshlrev_b32_e32 v3, 16, v1
	v_and_b32_e32 v6, 0xffff0000, v1
	s_delay_alu instid0(VALU_DEP_2) | instskip(NEXT) | instid1(VALU_DEP_2)
	v_cvt_f16_f32_e32 v1, v3
	v_cvt_f16_f32_e32 v3, v6
	s_branch .LBB159_600
.LBB159_589:
	s_mov_b32 s28, -1
	s_mov_b32 s27, 0
	s_mov_b32 s26, s45
                                        ; implicit-def: $vgpr3
                                        ; implicit-def: $vgpr1
	s_branch .LBB159_668
.LBB159_590:
	s_mov_b32 s28, -1
	s_mov_b32 s27, 0
	s_mov_b32 s26, s45
                                        ; implicit-def: $vgpr3
                                        ; implicit-def: $vgpr1
	s_branch .LBB159_631
.LBB159_591:
	s_mov_b32 s28, -1
	s_mov_b32 s27, 0
	s_mov_b32 s26, s45
                                        ; implicit-def: $vgpr3
                                        ; implicit-def: $vgpr1
	s_branch .LBB159_612
.LBB159_592:
	s_mov_b32 s28, -1
	s_mov_b32 s27, 0
	s_mov_b32 s26, s45
                                        ; implicit-def: $vgpr3
                                        ; implicit-def: $vgpr1
	s_branch .LBB159_606
.LBB159_593:
	s_and_not1_saveexec_b32 s45, s45
	s_cbranch_execz .LBB159_355
.LBB159_594:
	s_wait_loadcnt 0x0
	v_add_f32_e32 v1, 0x46000000, v4
	s_and_not1_b32 s31, s31, exec_lo
	s_delay_alu instid0(VALU_DEP_1) | instskip(NEXT) | instid1(VALU_DEP_1)
	v_and_b32_e32 v1, 0xff, v1
	v_cmp_ne_u32_e32 vcc_lo, 0, v1
	s_and_b32 s46, vcc_lo, exec_lo
	s_delay_alu instid0(SALU_CYCLE_1)
	s_or_b32 s31, s31, s46
	s_or_b32 exec_lo, exec_lo, s45
	v_mov_b32_e32 v5, 0
	s_and_saveexec_b32 s45, s31
	s_cbranch_execnz .LBB159_356
	s_branch .LBB159_357
.LBB159_595:
	s_mov_b32 s28, -1
	s_mov_b32 s27, 0
	s_mov_b32 s26, s45
	s_branch .LBB159_599
.LBB159_596:
	s_and_not1_saveexec_b32 s45, s45
	s_cbranch_execz .LBB159_368
.LBB159_597:
	s_wait_loadcnt 0x0
	v_add_f32_e32 v1, 0x42800000, v4
	s_and_not1_b32 s31, s31, exec_lo
	s_delay_alu instid0(VALU_DEP_1) | instskip(NEXT) | instid1(VALU_DEP_1)
	v_and_b32_e32 v1, 0xff, v1
	v_cmp_ne_u32_e32 vcc_lo, 0, v1
	s_and_b32 s46, vcc_lo, exec_lo
	s_delay_alu instid0(SALU_CYCLE_1)
	s_or_b32 s31, s31, s46
	s_or_b32 exec_lo, exec_lo, s45
	v_mov_b32_e32 v5, 0
	s_and_saveexec_b32 s45, s31
	s_cbranch_execnz .LBB159_369
	s_branch .LBB159_370
.LBB159_598:
	s_mov_b32 s26, -1
	s_mov_b32 s27, 0
.LBB159_599:
                                        ; implicit-def: $vgpr3
                                        ; implicit-def: $vgpr1
.LBB159_600:
	s_and_b32 vcc_lo, exec_lo, s28
	s_cbranch_vccz .LBB159_605
; %bb.601:
	s_cmp_eq_u32 s0, 44
	s_cbranch_scc0 .LBB159_603
; %bb.602:
	s_wait_loadcnt 0x0
	global_load_u8 v1, v[4:5], off
	s_mov_b32 s26, 0
	s_mov_b32 s27, -1
	s_wait_loadcnt 0x0
	v_lshlrev_b32_e32 v3, 23, v1
	v_cmp_ne_u32_e32 vcc_lo, 0xff, v1
	s_delay_alu instid0(VALU_DEP_2) | instskip(NEXT) | instid1(VALU_DEP_1)
	v_cvt_f16_f32_e32 v3, v3
	v_cndmask_b32_e32 v3, 0x7e00, v3, vcc_lo
	v_cmp_ne_u32_e32 vcc_lo, 0, v1
	s_delay_alu instid0(VALU_DEP_2)
	v_cndmask_b32_e32 v1, 0, v3, vcc_lo
	s_branch .LBB159_604
.LBB159_603:
	s_mov_b32 s26, -1
                                        ; implicit-def: $vgpr1
.LBB159_604:
	v_mov_b32_e32 v3, 0
.LBB159_605:
	s_mov_b32 s28, 0
.LBB159_606:
	s_delay_alu instid0(SALU_CYCLE_1)
	s_and_b32 vcc_lo, exec_lo, s28
	s_cbranch_vccz .LBB159_611
; %bb.607:
	s_cmp_eq_u32 s0, 29
	s_cbranch_scc0 .LBB159_609
; %bb.608:
	global_load_b64 v[6:7], v[4:5], off
	s_mov_b32 s27, -1
	s_mov_b32 s26, 0
	s_wait_loadcnt 0x0
	v_clz_i32_u32_e32 v1, v7
	s_delay_alu instid0(VALU_DEP_1) | instskip(NEXT) | instid1(VALU_DEP_1)
	v_min_u32_e32 v1, 32, v1
	v_lshlrev_b64_e32 v[6:7], v1, v[6:7]
	v_sub_nc_u32_e32 v1, 32, v1
	s_delay_alu instid0(VALU_DEP_2) | instskip(NEXT) | instid1(VALU_DEP_1)
	v_min_u32_e32 v3, 1, v6
	v_or_b32_e32 v3, v7, v3
	s_delay_alu instid0(VALU_DEP_1) | instskip(NEXT) | instid1(VALU_DEP_1)
	v_cvt_f32_u32_e32 v3, v3
	v_ldexp_f32 v1, v3, v1
	s_delay_alu instid0(VALU_DEP_1)
	v_cvt_f16_f32_e32 v1, v1
	s_branch .LBB159_610
.LBB159_609:
	s_mov_b32 s26, -1
                                        ; implicit-def: $vgpr1
.LBB159_610:
	v_mov_b32_e32 v3, 0
.LBB159_611:
	s_mov_b32 s28, 0
.LBB159_612:
	s_delay_alu instid0(SALU_CYCLE_1)
	s_and_b32 vcc_lo, exec_lo, s28
	s_cbranch_vccz .LBB159_630
; %bb.613:
	s_cmp_lt_i32 s0, 27
	s_cbranch_scc1 .LBB159_616
; %bb.614:
	s_cmp_gt_i32 s0, 27
	s_cbranch_scc0 .LBB159_617
; %bb.615:
	s_wait_loadcnt 0x0
	global_load_b32 v1, v[4:5], off
	s_mov_b32 s27, 0
	s_wait_loadcnt 0x0
	v_cvt_f32_u32_e32 v1, v1
	s_delay_alu instid0(VALU_DEP_1)
	v_cvt_f16_f32_e32 v1, v1
	s_branch .LBB159_618
.LBB159_616:
	s_mov_b32 s27, -1
                                        ; implicit-def: $vgpr1
	s_branch .LBB159_621
.LBB159_617:
	s_mov_b32 s27, -1
                                        ; implicit-def: $vgpr1
.LBB159_618:
	s_delay_alu instid0(SALU_CYCLE_1)
	s_and_not1_b32 vcc_lo, exec_lo, s27
	s_cbranch_vccnz .LBB159_620
; %bb.619:
	s_wait_loadcnt 0x0
	global_load_u16 v1, v[4:5], off
	s_wait_loadcnt 0x0
	v_cvt_f16_u16_e32 v1, v1
.LBB159_620:
	s_mov_b32 s27, 0
.LBB159_621:
	s_delay_alu instid0(SALU_CYCLE_1)
	s_and_not1_b32 vcc_lo, exec_lo, s27
	s_cbranch_vccnz .LBB159_629
; %bb.622:
	global_load_u8 v3, v[4:5], off
	s_mov_b32 s27, 0
	s_mov_b32 s28, exec_lo
	s_wait_loadcnt 0x0
	v_cmpx_lt_i16_e32 0x7f, v3
	s_xor_b32 s28, exec_lo, s28
	s_cbranch_execz .LBB159_643
; %bb.623:
	s_mov_b32 s27, -1
	s_mov_b32 s29, exec_lo
	v_cmpx_eq_u16_e32 0x80, v3
; %bb.624:
	s_xor_b32 s27, exec_lo, -1
; %bb.625:
	s_or_b32 exec_lo, exec_lo, s29
	s_delay_alu instid0(SALU_CYCLE_1)
	s_and_b32 s27, s27, exec_lo
	s_or_saveexec_b32 s28, s28
	v_mov_b32_e32 v1, 0x7e00
	s_xor_b32 exec_lo, exec_lo, s28
	s_cbranch_execnz .LBB159_644
.LBB159_626:
	s_or_b32 exec_lo, exec_lo, s28
	s_and_saveexec_b32 s28, s27
	s_cbranch_execz .LBB159_628
.LBB159_627:
	v_and_b32_e32 v1, 0xffff, v3
	s_delay_alu instid0(VALU_DEP_1) | instskip(SKIP_1) | instid1(VALU_DEP_2)
	v_and_b32_e32 v6, 7, v1
	v_bfe_u32 v9, v1, 3, 4
	v_clz_i32_u32_e32 v7, v6
	s_delay_alu instid0(VALU_DEP_2) | instskip(NEXT) | instid1(VALU_DEP_2)
	v_cmp_eq_u32_e32 vcc_lo, 0, v9
	v_min_u32_e32 v7, 32, v7
	s_delay_alu instid0(VALU_DEP_1) | instskip(NEXT) | instid1(VALU_DEP_1)
	v_subrev_nc_u32_e32 v8, 28, v7
	v_dual_lshlrev_b32 v1, v8, v1 :: v_dual_sub_nc_u32 v7, 29, v7
	s_delay_alu instid0(VALU_DEP_1) | instskip(NEXT) | instid1(VALU_DEP_1)
	v_dual_lshlrev_b32 v3, 24, v3 :: v_dual_bitop2_b32 v1, 7, v1 bitop3:0x40
	v_dual_cndmask_b32 v1, v6, v1, vcc_lo :: v_dual_cndmask_b32 v7, v9, v7, vcc_lo
	s_delay_alu instid0(VALU_DEP_2) | instskip(NEXT) | instid1(VALU_DEP_2)
	v_and_b32_e32 v3, 0x80000000, v3
	v_lshlrev_b32_e32 v1, 20, v1
	s_delay_alu instid0(VALU_DEP_3) | instskip(NEXT) | instid1(VALU_DEP_1)
	v_lshl_add_u32 v6, v7, 23, 0x3b800000
	v_or3_b32 v1, v3, v6, v1
	s_delay_alu instid0(VALU_DEP_1)
	v_cvt_f16_f32_e32 v1, v1
.LBB159_628:
	s_or_b32 exec_lo, exec_lo, s28
.LBB159_629:
	v_mov_b32_e32 v3, 0
	s_mov_b32 s27, -1
.LBB159_630:
	s_mov_b32 s28, 0
.LBB159_631:
	s_delay_alu instid0(SALU_CYCLE_1)
	s_and_b32 vcc_lo, exec_lo, s28
	s_cbranch_vccz .LBB159_667
; %bb.632:
	s_cmp_gt_i32 s0, 22
	s_cbranch_scc0 .LBB159_642
; %bb.633:
	s_cmp_lt_i32 s0, 24
	s_cbranch_scc1 .LBB159_645
; %bb.634:
	s_cmp_gt_i32 s0, 24
	s_cbranch_scc0 .LBB159_646
; %bb.635:
	global_load_u8 v3, v[4:5], off
	s_mov_b32 s27, 0
	s_mov_b32 s28, exec_lo
	s_wait_loadcnt 0x0
	v_cmpx_lt_i16_e32 0x7f, v3
	s_xor_b32 s28, exec_lo, s28
	s_cbranch_execz .LBB159_658
; %bb.636:
	s_mov_b32 s27, -1
	s_mov_b32 s29, exec_lo
	v_cmpx_eq_u16_e32 0x80, v3
; %bb.637:
	s_xor_b32 s27, exec_lo, -1
; %bb.638:
	s_or_b32 exec_lo, exec_lo, s29
	s_delay_alu instid0(SALU_CYCLE_1)
	s_and_b32 s27, s27, exec_lo
	s_or_saveexec_b32 s28, s28
	v_mov_b32_e32 v1, 0x7e00
	s_xor_b32 exec_lo, exec_lo, s28
	s_cbranch_execnz .LBB159_659
.LBB159_639:
	s_or_b32 exec_lo, exec_lo, s28
	s_and_saveexec_b32 s28, s27
	s_cbranch_execz .LBB159_641
.LBB159_640:
	v_and_b32_e32 v1, 0xffff, v3
	s_delay_alu instid0(VALU_DEP_1) | instskip(SKIP_1) | instid1(VALU_DEP_2)
	v_and_b32_e32 v6, 3, v1
	v_bfe_u32 v9, v1, 2, 5
	v_clz_i32_u32_e32 v7, v6
	s_delay_alu instid0(VALU_DEP_2) | instskip(NEXT) | instid1(VALU_DEP_2)
	v_cmp_eq_u32_e32 vcc_lo, 0, v9
	v_min_u32_e32 v7, 32, v7
	s_delay_alu instid0(VALU_DEP_1) | instskip(NEXT) | instid1(VALU_DEP_1)
	v_subrev_nc_u32_e32 v8, 29, v7
	v_dual_lshlrev_b32 v1, v8, v1 :: v_dual_sub_nc_u32 v7, 30, v7
	s_delay_alu instid0(VALU_DEP_1) | instskip(NEXT) | instid1(VALU_DEP_1)
	v_dual_lshlrev_b32 v3, 24, v3 :: v_dual_bitop2_b32 v1, 3, v1 bitop3:0x40
	v_dual_cndmask_b32 v1, v6, v1, vcc_lo :: v_dual_cndmask_b32 v7, v9, v7, vcc_lo
	s_delay_alu instid0(VALU_DEP_2) | instskip(NEXT) | instid1(VALU_DEP_2)
	v_and_b32_e32 v3, 0x80000000, v3
	v_lshlrev_b32_e32 v1, 21, v1
	s_delay_alu instid0(VALU_DEP_3) | instskip(NEXT) | instid1(VALU_DEP_1)
	v_lshl_add_u32 v6, v7, 23, 0x37800000
	v_or3_b32 v1, v3, v6, v1
	s_delay_alu instid0(VALU_DEP_1)
	v_cvt_f16_f32_e32 v1, v1
.LBB159_641:
	s_or_b32 exec_lo, exec_lo, s28
	s_mov_b32 s27, 0
	s_branch .LBB159_647
.LBB159_642:
	s_mov_b32 s28, -1
                                        ; implicit-def: $vgpr1
	s_branch .LBB159_653
.LBB159_643:
	s_or_saveexec_b32 s28, s28
	v_mov_b32_e32 v1, 0x7e00
	s_xor_b32 exec_lo, exec_lo, s28
	s_cbranch_execz .LBB159_626
.LBB159_644:
	v_cmp_ne_u16_e32 vcc_lo, 0, v3
	v_mov_b32_e32 v1, v3
	s_and_not1_b32 s27, s27, exec_lo
	s_and_b32 s29, vcc_lo, exec_lo
	s_delay_alu instid0(SALU_CYCLE_1)
	s_or_b32 s27, s27, s29
	s_or_b32 exec_lo, exec_lo, s28
	s_and_saveexec_b32 s28, s27
	s_cbranch_execnz .LBB159_627
	s_branch .LBB159_628
.LBB159_645:
	s_mov_b32 s27, -1
                                        ; implicit-def: $vgpr1
	s_branch .LBB159_650
.LBB159_646:
	s_mov_b32 s27, -1
                                        ; implicit-def: $vgpr1
.LBB159_647:
	s_delay_alu instid0(SALU_CYCLE_1)
	s_and_b32 vcc_lo, exec_lo, s27
	s_cbranch_vccz .LBB159_649
; %bb.648:
	s_wait_loadcnt 0x0
	global_load_u8 v1, v[4:5], off
	s_wait_loadcnt 0x0
	v_lshlrev_b32_e32 v1, 24, v1
	s_delay_alu instid0(VALU_DEP_1) | instskip(NEXT) | instid1(VALU_DEP_1)
	v_and_b32_e32 v3, 0x7f000000, v1
	v_clz_i32_u32_e32 v6, v3
	v_cmp_ne_u32_e32 vcc_lo, 0, v3
	v_add_nc_u32_e32 v8, 0x1000000, v3
	s_delay_alu instid0(VALU_DEP_3) | instskip(NEXT) | instid1(VALU_DEP_1)
	v_min_u32_e32 v6, 32, v6
	v_sub_nc_u32_e64 v6, v6, 4 clamp
	s_delay_alu instid0(VALU_DEP_1) | instskip(NEXT) | instid1(VALU_DEP_1)
	v_dual_lshlrev_b32 v7, v6, v3 :: v_dual_lshlrev_b32 v6, 23, v6
	v_lshrrev_b32_e32 v7, 4, v7
	s_delay_alu instid0(VALU_DEP_1) | instskip(NEXT) | instid1(VALU_DEP_1)
	v_dual_sub_nc_u32 v6, v7, v6 :: v_dual_ashrrev_i32 v7, 8, v8
	v_add_nc_u32_e32 v6, 0x3c000000, v6
	s_delay_alu instid0(VALU_DEP_1) | instskip(NEXT) | instid1(VALU_DEP_1)
	v_and_or_b32 v6, 0x7f800000, v7, v6
	v_cndmask_b32_e32 v3, 0, v6, vcc_lo
	s_delay_alu instid0(VALU_DEP_1) | instskip(NEXT) | instid1(VALU_DEP_1)
	v_and_or_b32 v1, 0x80000000, v1, v3
	v_cvt_f16_f32_e32 v1, v1
.LBB159_649:
	s_mov_b32 s27, 0
.LBB159_650:
	s_delay_alu instid0(SALU_CYCLE_1)
	s_and_not1_b32 vcc_lo, exec_lo, s27
	s_cbranch_vccnz .LBB159_652
; %bb.651:
	s_wait_loadcnt 0x0
	global_load_u8 v1, v[4:5], off
	s_wait_loadcnt 0x0
	v_lshlrev_b32_e32 v3, 25, v1
	v_lshlrev_b16 v1, 8, v1
	s_delay_alu instid0(VALU_DEP_1) | instskip(SKIP_1) | instid1(VALU_DEP_2)
	v_and_or_b32 v7, 0x7f00, v1, 0.5
	v_bfe_i32 v1, v1, 0, 16
	v_add_f32_e32 v7, -0.5, v7
	v_lshrrev_b32_e32 v6, 4, v3
	v_cmp_gt_u32_e32 vcc_lo, 0x8000000, v3
	s_delay_alu instid0(VALU_DEP_2) | instskip(NEXT) | instid1(VALU_DEP_1)
	v_or_b32_e32 v6, 0x70000000, v6
	v_mul_f32_e32 v6, 0x7800000, v6
	s_delay_alu instid0(VALU_DEP_1) | instskip(NEXT) | instid1(VALU_DEP_1)
	v_cndmask_b32_e32 v3, v6, v7, vcc_lo
	v_and_or_b32 v1, 0x80000000, v1, v3
	s_delay_alu instid0(VALU_DEP_1)
	v_cvt_f16_f32_e32 v1, v1
.LBB159_652:
	s_mov_b32 s28, 0
	s_mov_b32 s27, -1
.LBB159_653:
	s_and_not1_b32 vcc_lo, exec_lo, s28
	s_cbranch_vccnz .LBB159_666
; %bb.654:
	s_cmp_gt_i32 s0, 14
	s_cbranch_scc0 .LBB159_657
; %bb.655:
	s_cmp_eq_u32 s0, 15
	s_cbranch_scc0 .LBB159_660
; %bb.656:
	s_wait_loadcnt 0x0
	global_load_u16 v1, v[4:5], off
	s_mov_b32 s27, -1
	s_mov_b32 s26, 0
	s_wait_loadcnt 0x0
	v_lshlrev_b32_e32 v1, 16, v1
	s_delay_alu instid0(VALU_DEP_1)
	v_cvt_f16_f32_e32 v1, v1
	s_branch .LBB159_661
.LBB159_657:
	s_mov_b32 s28, -1
                                        ; implicit-def: $vgpr1
	s_branch .LBB159_662
.LBB159_658:
	s_or_saveexec_b32 s28, s28
	v_mov_b32_e32 v1, 0x7e00
	s_xor_b32 exec_lo, exec_lo, s28
	s_cbranch_execz .LBB159_639
.LBB159_659:
	v_cmp_ne_u16_e32 vcc_lo, 0, v3
	v_mov_b32_e32 v1, v3
	s_and_not1_b32 s27, s27, exec_lo
	s_and_b32 s29, vcc_lo, exec_lo
	s_delay_alu instid0(SALU_CYCLE_1)
	s_or_b32 s27, s27, s29
	s_or_b32 exec_lo, exec_lo, s28
	s_and_saveexec_b32 s28, s27
	s_cbranch_execnz .LBB159_640
	s_branch .LBB159_641
.LBB159_660:
	s_mov_b32 s26, -1
                                        ; implicit-def: $vgpr1
.LBB159_661:
	s_mov_b32 s28, 0
.LBB159_662:
	s_delay_alu instid0(SALU_CYCLE_1)
	s_and_b32 vcc_lo, exec_lo, s28
	s_cbranch_vccz .LBB159_666
; %bb.663:
	s_cmp_eq_u32 s0, 11
	s_cbranch_scc0 .LBB159_665
; %bb.664:
	s_wait_loadcnt 0x0
	global_load_u8 v1, v[4:5], off
	s_mov_b32 s26, 0
	s_mov_b32 s27, -1
	v_mov_b32_e32 v3, 0
	s_wait_loadcnt 0x0
	v_cmp_ne_u16_e32 vcc_lo, 0, v1
	v_cndmask_b32_e64 v1, 0, 0x3c00, vcc_lo
	s_branch .LBB159_667
.LBB159_665:
	s_mov_b32 s26, -1
                                        ; implicit-def: $vgpr1
.LBB159_666:
	v_mov_b32_e32 v3, 0
.LBB159_667:
	s_mov_b32 s28, 0
.LBB159_668:
	s_delay_alu instid0(SALU_CYCLE_1)
	s_and_b32 vcc_lo, exec_lo, s28
	s_cbranch_vccz .LBB159_719
; %bb.669:
	s_cmp_lt_i32 s0, 5
	s_cbranch_scc1 .LBB159_674
; %bb.670:
	s_cmp_lt_i32 s0, 8
	s_cbranch_scc1 .LBB159_675
	;; [unrolled: 3-line block ×3, first 2 shown]
; %bb.672:
	s_cmp_gt_i32 s0, 9
	s_cbranch_scc0 .LBB159_677
; %bb.673:
	global_load_b128 v[6:9], v[4:5], off
	s_mov_b32 s27, 0
	s_wait_loadcnt 0x0
	v_and_or_b32 v1, 0x1ff, v7, v6
	v_and_or_b32 v8, 0x1ff, v9, v8
	v_dual_lshrrev_b32 v3, 8, v7 :: v_dual_lshrrev_b32 v10, 8, v9
	v_bfe_u32 v6, v7, 20, 11
	s_delay_alu instid0(VALU_DEP_4) | instskip(SKIP_2) | instid1(VALU_DEP_4)
	v_cmp_ne_u32_e32 vcc_lo, 0, v1
	v_bfe_u32 v11, v9, 20, 11
	v_dual_lshrrev_b32 v7, 16, v7 :: v_dual_lshrrev_b32 v9, 16, v9
	v_sub_nc_u32_e32 v12, 0x3f1, v6
	v_cndmask_b32_e64 v1, 0, 1, vcc_lo
	v_cmp_ne_u32_e32 vcc_lo, 0, v8
	v_add_nc_u32_e32 v6, 0xfffffc10, v6
	s_delay_alu instid0(VALU_DEP_3) | instskip(SKIP_1) | instid1(VALU_DEP_1)
	v_and_or_b32 v1, 0xffe, v3, v1
	v_cndmask_b32_e64 v8, 0, 1, vcc_lo
	v_and_or_b32 v8, 0xffe, v10, v8
	v_med3_i32 v10, v12, 0, 13
	s_delay_alu instid0(VALU_DEP_4) | instskip(NEXT) | instid1(VALU_DEP_3)
	v_or_b32_e32 v12, 0x1000, v1
	v_or_b32_e32 v13, 0x1000, v8
	s_delay_alu instid0(VALU_DEP_2) | instskip(NEXT) | instid1(VALU_DEP_1)
	v_lshrrev_b32_e32 v14, v10, v12
	v_lshlrev_b32_e32 v10, v10, v14
	s_delay_alu instid0(VALU_DEP_1) | instskip(SKIP_2) | instid1(VALU_DEP_1)
	v_cmp_ne_u32_e32 vcc_lo, v10, v12
	v_lshl_or_b32 v12, v6, 12, v1
	v_cndmask_b32_e64 v10, 0, 1, vcc_lo
	v_or_b32_e32 v10, v14, v10
	v_sub_nc_u32_e32 v3, 0x3f1, v11
	v_add_nc_u32_e32 v11, 0xfffffc10, v11
	s_delay_alu instid0(VALU_DEP_2) | instskip(NEXT) | instid1(VALU_DEP_1)
	v_med3_i32 v3, v3, 0, 13
	v_lshrrev_b32_e32 v15, v3, v13
	s_delay_alu instid0(VALU_DEP_1) | instskip(NEXT) | instid1(VALU_DEP_1)
	v_lshlrev_b32_e32 v3, v3, v15
	v_cmp_ne_u32_e32 vcc_lo, v3, v13
	v_lshl_or_b32 v13, v11, 12, v8
	v_cndmask_b32_e64 v3, 0, 1, vcc_lo
	v_cmp_gt_i32_e32 vcc_lo, 1, v6
	s_delay_alu instid0(VALU_DEP_2) | instskip(SKIP_1) | instid1(VALU_DEP_2)
	v_dual_cndmask_b32 v10, v12, v10, vcc_lo :: v_dual_bitop2_b32 v3, v15, v3 bitop3:0x54
	v_cmp_gt_i32_e32 vcc_lo, 1, v11
	v_dual_lshrrev_b32 v10, 2, v10 :: v_dual_bitop2_b32 v12, 7, v10 bitop3:0x40
	s_delay_alu instid0(VALU_DEP_3) | instskip(NEXT) | instid1(VALU_DEP_2)
	v_cndmask_b32_e32 v3, v13, v3, vcc_lo
	v_cmp_lt_i32_e32 vcc_lo, 5, v12
	v_cndmask_b32_e64 v14, 0, 1, vcc_lo
	v_cmp_eq_u32_e32 vcc_lo, 3, v12
	v_cndmask_b32_e64 v12, 0, 1, vcc_lo
	s_delay_alu instid0(VALU_DEP_1) | instskip(SKIP_1) | instid1(VALU_DEP_2)
	v_or_b32_e32 v12, v12, v14
	v_dual_lshrrev_b32 v3, 2, v3 :: v_dual_bitop2_b32 v13, 7, v3 bitop3:0x40
	v_add_nc_u32_e32 v10, v10, v12
	s_delay_alu instid0(VALU_DEP_2) | instskip(SKIP_4) | instid1(VALU_DEP_2)
	v_cmp_lt_i32_e32 vcc_lo, 5, v13
	v_cndmask_b32_e64 v15, 0, 1, vcc_lo
	v_cmp_eq_u32_e32 vcc_lo, 3, v13
	v_cndmask_b32_e64 v13, 0, 1, vcc_lo
	v_cmp_ne_u32_e32 vcc_lo, 0, v1
	v_or_b32_e32 v13, v13, v15
	s_delay_alu instid0(VALU_DEP_1) | instskip(NEXT) | instid1(VALU_DEP_1)
	v_dual_mov_b32 v16, 0x7e00 :: v_dual_add_nc_u32 v3, v3, v13
	v_cndmask_b32_e32 v1, 0x7c00, v16, vcc_lo
	v_cmp_ne_u32_e32 vcc_lo, 0, v8
	v_cndmask_b32_e32 v8, 0x7c00, v16, vcc_lo
	v_cmp_gt_i32_e32 vcc_lo, 31, v6
	v_cndmask_b32_e32 v10, 0x7c00, v10, vcc_lo
	v_cmp_gt_i32_e32 vcc_lo, 31, v11
	v_cndmask_b32_e32 v3, 0x7c00, v3, vcc_lo
	v_cmp_eq_u32_e32 vcc_lo, 0x40f, v6
	s_delay_alu instid0(VALU_DEP_4) | instskip(SKIP_1) | instid1(VALU_DEP_2)
	v_cndmask_b32_e32 v1, v10, v1, vcc_lo
	v_cmp_eq_u32_e32 vcc_lo, 0x40f, v11
	v_and_or_b32 v1, 0x8000, v7, v1
	v_cndmask_b32_e32 v3, v3, v8, vcc_lo
	s_delay_alu instid0(VALU_DEP_1)
	v_and_or_b32 v3, 0x8000, v9, v3
	s_branch .LBB159_678
.LBB159_674:
	s_mov_b32 s27, -1
                                        ; implicit-def: $vgpr3
                                        ; implicit-def: $vgpr1
	s_branch .LBB159_697
.LBB159_675:
	s_mov_b32 s27, -1
                                        ; implicit-def: $vgpr3
                                        ; implicit-def: $vgpr1
	s_branch .LBB159_684
.LBB159_676:
	s_mov_b32 s27, -1
                                        ; implicit-def: $vgpr3
                                        ; implicit-def: $vgpr1
	s_branch .LBB159_681
.LBB159_677:
	s_mov_b32 s27, -1
                                        ; implicit-def: $vgpr3
                                        ; implicit-def: $vgpr1
.LBB159_678:
	s_delay_alu instid0(SALU_CYCLE_1)
	s_and_not1_b32 vcc_lo, exec_lo, s27
	s_cbranch_vccnz .LBB159_680
; %bb.679:
	global_load_b64 v[6:7], v[4:5], off
	s_wait_loadcnt 0x0
	v_cvt_f16_f32_e32 v1, v6
	v_cvt_f16_f32_e32 v3, v7
.LBB159_680:
	s_mov_b32 s27, 0
.LBB159_681:
	s_delay_alu instid0(SALU_CYCLE_1)
	s_and_not1_b32 vcc_lo, exec_lo, s27
	s_cbranch_vccnz .LBB159_683
; %bb.682:
	s_wait_loadcnt 0x0
	global_load_b32 v1, v[4:5], off
	s_wait_loadcnt 0x0
	v_lshrrev_b32_e32 v3, 16, v1
.LBB159_683:
	s_mov_b32 s27, 0
.LBB159_684:
	s_delay_alu instid0(SALU_CYCLE_1)
	s_and_not1_b32 vcc_lo, exec_lo, s27
	s_cbranch_vccnz .LBB159_696
; %bb.685:
	s_cmp_lt_i32 s0, 6
	s_cbranch_scc1 .LBB159_688
; %bb.686:
	s_cmp_gt_i32 s0, 6
	s_cbranch_scc0 .LBB159_689
; %bb.687:
	global_load_b64 v[6:7], v[4:5], off
	s_mov_b32 s27, 0
	s_wait_loadcnt 0x0
	v_and_or_b32 v1, 0x1ff, v7, v6
	v_lshrrev_b32_e32 v3, 8, v7
	v_bfe_u32 v6, v7, 20, 11
	s_delay_alu instid0(VALU_DEP_3) | instskip(NEXT) | instid1(VALU_DEP_2)
	v_cmp_ne_u32_e32 vcc_lo, 0, v1
	v_sub_nc_u32_e32 v8, 0x3f1, v6
	v_add_nc_u32_e32 v6, 0xfffffc10, v6
	v_cndmask_b32_e64 v1, 0, 1, vcc_lo
	s_delay_alu instid0(VALU_DEP_1) | instskip(NEXT) | instid1(VALU_DEP_4)
	v_and_or_b32 v1, 0xffe, v3, v1
	v_med3_i32 v3, v8, 0, 13
	s_delay_alu instid0(VALU_DEP_2) | instskip(NEXT) | instid1(VALU_DEP_1)
	v_or_b32_e32 v8, 0x1000, v1
	v_lshrrev_b32_e32 v9, v3, v8
	s_delay_alu instid0(VALU_DEP_1) | instskip(NEXT) | instid1(VALU_DEP_1)
	v_lshlrev_b32_e32 v3, v3, v9
	v_cmp_ne_u32_e32 vcc_lo, v3, v8
	v_lshl_or_b32 v8, v6, 12, v1
	v_cndmask_b32_e64 v3, 0, 1, vcc_lo
	v_cmp_gt_i32_e32 vcc_lo, 1, v6
	s_delay_alu instid0(VALU_DEP_2) | instskip(NEXT) | instid1(VALU_DEP_1)
	v_or_b32_e32 v3, v9, v3
	v_cndmask_b32_e32 v3, v8, v3, vcc_lo
	s_delay_alu instid0(VALU_DEP_1) | instskip(NEXT) | instid1(VALU_DEP_1)
	v_dual_lshrrev_b32 v3, 2, v3 :: v_dual_bitop2_b32 v8, 7, v3 bitop3:0x40
	v_cmp_lt_i32_e32 vcc_lo, 5, v8
	v_cndmask_b32_e64 v9, 0, 1, vcc_lo
	v_cmp_eq_u32_e32 vcc_lo, 3, v8
	v_cndmask_b32_e64 v8, 0, 1, vcc_lo
	v_cmp_ne_u32_e32 vcc_lo, 0, v1
	s_delay_alu instid0(VALU_DEP_2) | instskip(SKIP_1) | instid1(VALU_DEP_2)
	v_or_b32_e32 v8, v8, v9
	v_mov_b32_e32 v9, 0x7e00
	v_add_nc_u32_e32 v3, v3, v8
	s_delay_alu instid0(VALU_DEP_2) | instskip(SKIP_1) | instid1(VALU_DEP_3)
	v_cndmask_b32_e32 v1, 0x7c00, v9, vcc_lo
	v_cmp_gt_i32_e32 vcc_lo, 31, v6
	v_cndmask_b32_e32 v3, 0x7c00, v3, vcc_lo
	v_cmp_eq_u32_e32 vcc_lo, 0x40f, v6
	s_delay_alu instid0(VALU_DEP_2) | instskip(NEXT) | instid1(VALU_DEP_1)
	v_dual_cndmask_b32 v1, v3, v1, vcc_lo :: v_dual_lshrrev_b32 v3, 16, v7
	v_and_or_b32 v1, 0x8000, v3, v1
	s_branch .LBB159_690
.LBB159_688:
	s_mov_b32 s27, -1
                                        ; implicit-def: $vgpr1
	s_branch .LBB159_693
.LBB159_689:
	s_mov_b32 s27, -1
                                        ; implicit-def: $vgpr1
.LBB159_690:
	s_delay_alu instid0(SALU_CYCLE_1)
	s_and_not1_b32 vcc_lo, exec_lo, s27
	s_cbranch_vccnz .LBB159_692
; %bb.691:
	s_wait_loadcnt 0x0
	global_load_b32 v1, v[4:5], off
	s_wait_loadcnt 0x0
	v_cvt_f16_f32_e32 v1, v1
.LBB159_692:
	s_mov_b32 s27, 0
.LBB159_693:
	s_delay_alu instid0(SALU_CYCLE_1)
	s_and_not1_b32 vcc_lo, exec_lo, s27
	s_cbranch_vccnz .LBB159_695
; %bb.694:
	s_wait_loadcnt 0x0
	global_load_u16 v1, v[4:5], off
.LBB159_695:
	v_mov_b32_e32 v3, 0
.LBB159_696:
	s_mov_b32 s27, 0
.LBB159_697:
	s_delay_alu instid0(SALU_CYCLE_1)
	s_and_not1_b32 vcc_lo, exec_lo, s27
	s_cbranch_vccnz .LBB159_718
; %bb.698:
	s_cmp_lt_i32 s0, 2
	s_cbranch_scc1 .LBB159_702
; %bb.699:
	s_cmp_lt_i32 s0, 3
	s_cbranch_scc1 .LBB159_703
; %bb.700:
	s_cmp_gt_i32 s0, 3
	s_cbranch_scc0 .LBB159_704
; %bb.701:
	global_load_b64 v[6:7], v[4:5], off
	s_mov_b32 s27, 0
	s_wait_loadcnt 0x0
	v_xor_b32_e32 v1, v6, v7
	v_cls_i32_e32 v3, v7
	s_delay_alu instid0(VALU_DEP_2) | instskip(NEXT) | instid1(VALU_DEP_1)
	v_ashrrev_i32_e32 v1, 31, v1
	v_add_nc_u32_e32 v1, 32, v1
	s_delay_alu instid0(VALU_DEP_1) | instskip(NEXT) | instid1(VALU_DEP_1)
	v_add_min_u32_e64 v1, v3, -1, v1
	v_lshlrev_b64_e32 v[6:7], v1, v[6:7]
	v_sub_nc_u32_e32 v1, 32, v1
	s_delay_alu instid0(VALU_DEP_2) | instskip(NEXT) | instid1(VALU_DEP_1)
	v_min_u32_e32 v3, 1, v6
	v_or_b32_e32 v3, v7, v3
	s_delay_alu instid0(VALU_DEP_1) | instskip(NEXT) | instid1(VALU_DEP_1)
	v_cvt_f32_i32_e32 v3, v3
	v_ldexp_f32 v1, v3, v1
	s_delay_alu instid0(VALU_DEP_1)
	v_cvt_f16_f32_e32 v1, v1
	s_branch .LBB159_705
.LBB159_702:
	s_mov_b32 s27, -1
                                        ; implicit-def: $vgpr1
	s_branch .LBB159_711
.LBB159_703:
	s_mov_b32 s27, -1
                                        ; implicit-def: $vgpr1
	s_branch .LBB159_708
.LBB159_704:
	s_mov_b32 s27, -1
                                        ; implicit-def: $vgpr1
.LBB159_705:
	s_delay_alu instid0(SALU_CYCLE_1)
	s_and_not1_b32 vcc_lo, exec_lo, s27
	s_cbranch_vccnz .LBB159_707
; %bb.706:
	s_wait_loadcnt 0x0
	global_load_b32 v1, v[4:5], off
	s_wait_loadcnt 0x0
	v_cvt_f32_i32_e32 v1, v1
	s_delay_alu instid0(VALU_DEP_1)
	v_cvt_f16_f32_e32 v1, v1
.LBB159_707:
	s_mov_b32 s27, 0
.LBB159_708:
	s_delay_alu instid0(SALU_CYCLE_1)
	s_and_not1_b32 vcc_lo, exec_lo, s27
	s_cbranch_vccnz .LBB159_710
; %bb.709:
	s_wait_loadcnt 0x0
	global_load_u16 v1, v[4:5], off
	s_wait_loadcnt 0x0
	v_cvt_f16_i16_e32 v1, v1
.LBB159_710:
	s_mov_b32 s27, 0
.LBB159_711:
	s_delay_alu instid0(SALU_CYCLE_1)
	s_and_not1_b32 vcc_lo, exec_lo, s27
	s_cbranch_vccnz .LBB159_717
; %bb.712:
	s_cmp_gt_i32 s0, 0
	s_mov_b32 s0, 0
	s_cbranch_scc0 .LBB159_714
; %bb.713:
	s_wait_loadcnt 0x0
	global_load_i8 v1, v[4:5], off
	s_wait_loadcnt 0x0
	v_cvt_f16_i16_e32 v1, v1
	s_branch .LBB159_715
.LBB159_714:
	s_mov_b32 s0, -1
                                        ; implicit-def: $vgpr1
.LBB159_715:
	s_delay_alu instid0(SALU_CYCLE_1)
	s_and_not1_b32 vcc_lo, exec_lo, s0
	s_cbranch_vccnz .LBB159_717
; %bb.716:
	s_wait_loadcnt 0x0
	global_load_u8 v1, v[4:5], off
	s_wait_loadcnt 0x0
	v_cvt_f16_u16_e32 v1, v1
.LBB159_717:
	v_mov_b32_e32 v3, 0
.LBB159_718:
	s_mov_b32 s27, -1
.LBB159_719:
	s_delay_alu instid0(SALU_CYCLE_1)
	s_and_not1_b32 vcc_lo, exec_lo, s27
	s_cbranch_vccnz .LBB159_722
; %bb.720:
	s_and_not1_b32 vcc_lo, exec_lo, s20
	s_cbranch_vccnz .LBB159_723
; %bb.721:
	s_wait_loadcnt 0x0
	v_cmp_neq_f16_e32 vcc_lo, s1, v1
	v_cmp_neq_f16_e64 s0, s9, v3
	s_or_b32 s27, vcc_lo, s0
	s_mov_b32 s0, 0
	s_branch .LBB159_724
.LBB159_722:
	s_mov_b32 s27, 0
	s_mov_b32 s0, s46
	s_branch .LBB159_849
.LBB159_723:
	s_mov_b32 s0, -1
                                        ; implicit-def: $sgpr27
.LBB159_724:
	s_delay_alu instid0(SALU_CYCLE_1)
	s_and_not1_b32 vcc_lo, exec_lo, s0
	s_cbranch_vccnz .LBB159_726
; %bb.725:
	s_wait_loadcnt 0x0
	v_cmp_eq_f16_e32 vcc_lo, s1, v1
	v_cmp_eq_f16_e64 s0, s9, v3
	s_and_not1_b32 s27, s27, exec_lo
	s_and_b32 s0, vcc_lo, s0
	s_delay_alu instid0(SALU_CYCLE_1) | instskip(NEXT) | instid1(SALU_CYCLE_1)
	s_and_b32 s0, s0, exec_lo
	s_or_b32 s27, s27, s0
.LBB159_726:
	v_mov_b32_e32 v3, 0
	s_and_b32 s28, s2, 0xff
	s_delay_alu instid0(SALU_CYCLE_1) | instskip(NEXT) | instid1(VALU_DEP_1)
	s_cmp_lt_i32 s28, 11
	v_add_nc_u64_e32 v[2:3], s[4:5], v[2:3]
	s_cbranch_scc1 .LBB159_733
; %bb.727:
	s_and_b32 s29, 0xffff, s28
	s_delay_alu instid0(SALU_CYCLE_1)
	s_cmp_gt_i32 s29, 25
	s_cbranch_scc0 .LBB159_734
; %bb.728:
	s_cmp_gt_i32 s29, 28
	s_cbranch_scc0 .LBB159_735
; %bb.729:
	;; [unrolled: 3-line block ×4, first 2 shown]
	s_mov_b32 s31, 0
	s_mov_b32 s0, -1
	s_cmp_eq_u32 s29, 46
	s_mov_b32 s30, 0
	s_cbranch_scc0 .LBB159_738
; %bb.732:
	s_wait_loadcnt 0x0
	v_cndmask_b32_e64 v1, 0, 1.0, s27
	s_mov_b32 s30, -1
	s_mov_b32 s0, 0
	s_wait_xcnt 0x0
	s_delay_alu instid0(VALU_DEP_1) | instskip(NEXT) | instid1(VALU_DEP_1)
	v_bfe_u32 v4, v1, 16, 1
	v_add3_u32 v1, v1, v4, 0x7fff
	s_delay_alu instid0(VALU_DEP_1)
	v_lshrrev_b32_e32 v1, 16, v1
	global_store_b32 v[2:3], v1, off
	s_branch .LBB159_738
.LBB159_733:
	s_mov_b32 s29, -1
	s_mov_b32 s30, 0
	s_mov_b32 s0, s46
	s_branch .LBB159_807
.LBB159_734:
	s_mov_b32 s31, -1
	s_mov_b32 s30, 0
	s_mov_b32 s0, s46
	s_branch .LBB159_765
.LBB159_735:
	s_mov_b32 s31, -1
	s_mov_b32 s30, 0
	s_mov_b32 s0, s46
	s_branch .LBB159_748
.LBB159_736:
	s_mov_b32 s31, -1
	s_mov_b32 s30, 0
	s_mov_b32 s0, s46
	s_branch .LBB159_744
.LBB159_737:
	s_mov_b32 s31, -1
	s_mov_b32 s30, 0
	s_mov_b32 s0, s46
.LBB159_738:
	s_and_b32 vcc_lo, exec_lo, s31
	s_cbranch_vccz .LBB159_743
; %bb.739:
	s_cmp_eq_u32 s29, 44
	s_mov_b32 s0, -1
	s_cbranch_scc0 .LBB159_743
; %bb.740:
	s_wait_xcnt 0x0
	v_cndmask_b32_e64 v5, 0, 1.0, s27
	s_mov_b32 s30, exec_lo
	s_wait_loadcnt 0x0
	s_delay_alu instid0(VALU_DEP_1) | instskip(NEXT) | instid1(VALU_DEP_1)
	v_dual_mov_b32 v4, 0xff :: v_dual_lshrrev_b32 v1, 23, v5
	v_cmpx_ne_u32_e32 0xff, v1
; %bb.741:
	v_and_b32_e32 v4, 0x400000, v5
	v_and_or_b32 v5, 0x3fffff, v5, v1
	s_delay_alu instid0(VALU_DEP_2) | instskip(NEXT) | instid1(VALU_DEP_2)
	v_cmp_ne_u32_e32 vcc_lo, 0, v4
	v_cmp_ne_u32_e64 s0, 0, v5
	s_and_b32 s0, vcc_lo, s0
	s_delay_alu instid0(SALU_CYCLE_1) | instskip(NEXT) | instid1(VALU_DEP_1)
	v_cndmask_b32_e64 v4, 0, 1, s0
	v_add_nc_u32_e32 v4, v1, v4
; %bb.742:
	s_or_b32 exec_lo, exec_lo, s30
	s_mov_b32 s30, -1
	s_mov_b32 s0, 0
	global_store_b8 v[2:3], v4, off
.LBB159_743:
	s_mov_b32 s31, 0
.LBB159_744:
	s_delay_alu instid0(SALU_CYCLE_1)
	s_and_b32 vcc_lo, exec_lo, s31
	s_cbranch_vccz .LBB159_747
; %bb.745:
	s_cmp_eq_u32 s29, 29
	s_mov_b32 s0, -1
	s_cbranch_scc0 .LBB159_747
; %bb.746:
	s_mov_b32 s0, 0
	s_wait_xcnt 0x0
	v_cndmask_b32_e64 v4, 0, 1, s27
	v_mov_b32_e32 v5, s0
	s_mov_b32 s30, -1
	s_mov_b32 s31, 0
	global_store_b64 v[2:3], v[4:5], off
	s_branch .LBB159_748
.LBB159_747:
	s_mov_b32 s31, 0
.LBB159_748:
	s_delay_alu instid0(SALU_CYCLE_1)
	s_and_b32 vcc_lo, exec_lo, s31
	s_cbranch_vccz .LBB159_764
; %bb.749:
	s_cmp_lt_i32 s29, 27
	s_mov_b32 s30, -1
	s_cbranch_scc1 .LBB159_755
; %bb.750:
	s_cmp_gt_i32 s29, 27
	s_cbranch_scc0 .LBB159_752
; %bb.751:
	s_wait_loadcnt 0x0
	v_cndmask_b32_e64 v1, 0, 1, s27
	s_mov_b32 s30, 0
	global_store_b32 v[2:3], v1, off
.LBB159_752:
	s_and_not1_b32 vcc_lo, exec_lo, s30
	s_cbranch_vccnz .LBB159_754
; %bb.753:
	s_wait_loadcnt 0x0
	v_cndmask_b32_e64 v1, 0, 1, s27
	global_store_b16 v[2:3], v1, off
.LBB159_754:
	s_mov_b32 s30, 0
.LBB159_755:
	s_delay_alu instid0(SALU_CYCLE_1)
	s_and_not1_b32 vcc_lo, exec_lo, s30
	s_cbranch_vccnz .LBB159_763
; %bb.756:
	s_wait_xcnt 0x0
	v_cndmask_b32_e64 v4, 0, 1.0, s27
	v_mov_b32_e32 v5, 0x80
	s_mov_b32 s30, exec_lo
	s_delay_alu instid0(VALU_DEP_2)
	v_cmpx_gt_u32_e32 0x43800000, v4
	s_cbranch_execz .LBB159_762
; %bb.757:
	s_mov_b32 s31, 0
	s_mov_b32 s49, exec_lo
                                        ; implicit-def: $vgpr1
	v_cmpx_lt_u32_e32 0x3bffffff, v4
	s_xor_b32 s49, exec_lo, s49
	s_cbranch_execz .LBB159_881
; %bb.758:
	s_wait_loadcnt 0x0
	v_bfe_u32 v1, v4, 20, 1
	s_mov_b32 s31, exec_lo
	s_delay_alu instid0(VALU_DEP_1) | instskip(NEXT) | instid1(VALU_DEP_1)
	v_add3_u32 v1, v4, v1, 0x487ffff
                                        ; implicit-def: $vgpr4
	v_lshrrev_b32_e32 v1, 20, v1
	s_and_not1_saveexec_b32 s49, s49
	s_cbranch_execnz .LBB159_882
.LBB159_759:
	s_or_b32 exec_lo, exec_lo, s49
	v_mov_b32_e32 v5, 0
	s_and_saveexec_b32 s49, s31
	s_cbranch_execz .LBB159_761
.LBB159_760:
	s_wait_loadcnt 0x0
	v_mov_b32_e32 v5, v1
.LBB159_761:
	s_or_b32 exec_lo, exec_lo, s49
.LBB159_762:
	s_delay_alu instid0(SALU_CYCLE_1)
	s_or_b32 exec_lo, exec_lo, s30
	global_store_b8 v[2:3], v5, off
.LBB159_763:
	s_mov_b32 s30, -1
.LBB159_764:
	s_mov_b32 s31, 0
.LBB159_765:
	s_delay_alu instid0(SALU_CYCLE_1)
	s_and_b32 vcc_lo, exec_lo, s31
	s_cbranch_vccz .LBB159_806
; %bb.766:
	s_cmp_gt_i32 s29, 22
	s_mov_b32 s31, -1
	s_cbranch_scc0 .LBB159_798
; %bb.767:
	s_cmp_lt_i32 s29, 24
	s_mov_b32 s30, -1
	s_cbranch_scc1 .LBB159_787
; %bb.768:
	s_cmp_gt_i32 s29, 24
	s_cbranch_scc0 .LBB159_776
; %bb.769:
	s_wait_xcnt 0x0
	v_cndmask_b32_e64 v4, 0, 1.0, s27
	v_mov_b32_e32 v5, 0x80
	s_mov_b32 s30, exec_lo
	s_delay_alu instid0(VALU_DEP_2)
	v_cmpx_gt_u32_e32 0x47800000, v4
	s_cbranch_execz .LBB159_775
; %bb.770:
	s_mov_b32 s31, 0
	s_mov_b32 s49, exec_lo
                                        ; implicit-def: $vgpr1
	v_cmpx_lt_u32_e32 0x37ffffff, v4
	s_xor_b32 s49, exec_lo, s49
	s_cbranch_execz .LBB159_884
; %bb.771:
	s_wait_loadcnt 0x0
	v_bfe_u32 v1, v4, 21, 1
	s_mov_b32 s31, exec_lo
	s_delay_alu instid0(VALU_DEP_1) | instskip(NEXT) | instid1(VALU_DEP_1)
	v_add3_u32 v1, v4, v1, 0x88fffff
                                        ; implicit-def: $vgpr4
	v_lshrrev_b32_e32 v1, 21, v1
	s_and_not1_saveexec_b32 s49, s49
	s_cbranch_execnz .LBB159_885
.LBB159_772:
	s_or_b32 exec_lo, exec_lo, s49
	v_mov_b32_e32 v5, 0
	s_and_saveexec_b32 s49, s31
	s_cbranch_execz .LBB159_774
.LBB159_773:
	s_wait_loadcnt 0x0
	v_mov_b32_e32 v5, v1
.LBB159_774:
	s_or_b32 exec_lo, exec_lo, s49
.LBB159_775:
	s_delay_alu instid0(SALU_CYCLE_1)
	s_or_b32 exec_lo, exec_lo, s30
	s_mov_b32 s30, 0
	global_store_b8 v[2:3], v5, off
.LBB159_776:
	s_and_b32 vcc_lo, exec_lo, s30
	s_cbranch_vccz .LBB159_786
; %bb.777:
	s_wait_xcnt 0x0
	v_cndmask_b32_e64 v4, 0, 1.0, s27
	s_mov_b32 s30, exec_lo
                                        ; implicit-def: $vgpr1
	s_delay_alu instid0(VALU_DEP_1)
	v_cmpx_gt_u32_e32 0x43f00000, v4
	s_xor_b32 s30, exec_lo, s30
	s_cbranch_execz .LBB159_783
; %bb.778:
	s_mov_b32 s31, exec_lo
                                        ; implicit-def: $vgpr1
	v_cmpx_lt_u32_e32 0x3c7fffff, v4
	s_xor_b32 s31, exec_lo, s31
	s_cbranch_execz .LBB159_780
; %bb.779:
	s_wait_loadcnt 0x0
	v_bfe_u32 v1, v4, 20, 1
	s_delay_alu instid0(VALU_DEP_1) | instskip(NEXT) | instid1(VALU_DEP_1)
	v_add3_u32 v1, v4, v1, 0x407ffff
	v_and_b32_e32 v4, 0xff00000, v1
	v_lshrrev_b32_e32 v1, 20, v1
	s_delay_alu instid0(VALU_DEP_2) | instskip(NEXT) | instid1(VALU_DEP_2)
	v_cmp_ne_u32_e32 vcc_lo, 0x7f00000, v4
                                        ; implicit-def: $vgpr4
	v_cndmask_b32_e32 v1, 0x7e, v1, vcc_lo
.LBB159_780:
	s_and_not1_saveexec_b32 s31, s31
	s_cbranch_execz .LBB159_782
; %bb.781:
	s_wait_loadcnt 0x0
	v_add_f32_e32 v1, 0x46800000, v4
.LBB159_782:
	s_or_b32 exec_lo, exec_lo, s31
                                        ; implicit-def: $vgpr4
.LBB159_783:
	s_and_not1_saveexec_b32 s30, s30
	s_cbranch_execz .LBB159_785
; %bb.784:
	s_wait_loadcnt 0x0
	v_mov_b32_e32 v1, 0x7f
	v_cmp_lt_u32_e32 vcc_lo, 0x7f800000, v4
	s_delay_alu instid0(VALU_DEP_2)
	v_cndmask_b32_e32 v1, 0x7e, v1, vcc_lo
.LBB159_785:
	s_or_b32 exec_lo, exec_lo, s30
	s_wait_loadcnt 0x0
	global_store_b8 v[2:3], v1, off
.LBB159_786:
	s_mov_b32 s30, 0
.LBB159_787:
	s_delay_alu instid0(SALU_CYCLE_1)
	s_and_not1_b32 vcc_lo, exec_lo, s30
	s_cbranch_vccnz .LBB159_797
; %bb.788:
	s_wait_xcnt 0x0
	v_cndmask_b32_e64 v4, 0, 1.0, s27
	s_mov_b32 s30, exec_lo
                                        ; implicit-def: $vgpr1
	s_delay_alu instid0(VALU_DEP_1)
	v_cmpx_gt_u32_e32 0x47800000, v4
	s_xor_b32 s30, exec_lo, s30
	s_cbranch_execz .LBB159_794
; %bb.789:
	s_mov_b32 s31, exec_lo
                                        ; implicit-def: $vgpr1
	v_cmpx_lt_u32_e32 0x387fffff, v4
	s_xor_b32 s31, exec_lo, s31
	s_cbranch_execz .LBB159_791
; %bb.790:
	s_wait_loadcnt 0x0
	v_bfe_u32 v1, v4, 21, 1
	s_delay_alu instid0(VALU_DEP_1) | instskip(NEXT) | instid1(VALU_DEP_1)
	v_add3_u32 v1, v4, v1, 0x80fffff
                                        ; implicit-def: $vgpr4
	v_lshrrev_b32_e32 v1, 21, v1
.LBB159_791:
	s_and_not1_saveexec_b32 s31, s31
	s_cbranch_execz .LBB159_793
; %bb.792:
	s_wait_loadcnt 0x0
	v_add_f32_e32 v1, 0x43000000, v4
.LBB159_793:
	s_or_b32 exec_lo, exec_lo, s31
                                        ; implicit-def: $vgpr4
.LBB159_794:
	s_and_not1_saveexec_b32 s30, s30
	s_cbranch_execz .LBB159_796
; %bb.795:
	s_wait_loadcnt 0x0
	v_mov_b32_e32 v1, 0x7f
	v_cmp_lt_u32_e32 vcc_lo, 0x7f800000, v4
	s_delay_alu instid0(VALU_DEP_2)
	v_cndmask_b32_e32 v1, 0x7c, v1, vcc_lo
.LBB159_796:
	s_or_b32 exec_lo, exec_lo, s30
	s_wait_loadcnt 0x0
	global_store_b8 v[2:3], v1, off
.LBB159_797:
	s_mov_b32 s31, 0
	s_mov_b32 s30, -1
.LBB159_798:
	s_and_not1_b32 vcc_lo, exec_lo, s31
	s_cbranch_vccnz .LBB159_806
; %bb.799:
	s_cmp_gt_i32 s29, 14
	s_mov_b32 s31, -1
	s_cbranch_scc0 .LBB159_803
; %bb.800:
	s_cmp_eq_u32 s29, 15
	s_mov_b32 s0, -1
	s_cbranch_scc0 .LBB159_802
; %bb.801:
	s_wait_loadcnt 0x0
	v_cndmask_b32_e64 v1, 0, 1.0, s27
	s_mov_b32 s30, -1
	s_mov_b32 s0, 0
	s_delay_alu instid0(VALU_DEP_1) | instskip(NEXT) | instid1(VALU_DEP_1)
	v_bfe_u32 v4, v1, 16, 1
	v_add3_u32 v1, v1, v4, 0x7fff
	global_store_d16_hi_b16 v[2:3], v1, off
.LBB159_802:
	s_mov_b32 s31, 0
.LBB159_803:
	s_delay_alu instid0(SALU_CYCLE_1)
	s_and_b32 vcc_lo, exec_lo, s31
	s_cbranch_vccz .LBB159_806
; %bb.804:
	s_cmp_eq_u32 s29, 11
	s_mov_b32 s0, -1
	s_cbranch_scc0 .LBB159_806
; %bb.805:
	s_wait_loadcnt 0x0
	v_cndmask_b32_e64 v1, 0, 1, s27
	s_mov_b32 s30, -1
	s_mov_b32 s0, 0
	global_store_b8 v[2:3], v1, off
.LBB159_806:
	s_mov_b32 s29, 0
.LBB159_807:
	s_delay_alu instid0(SALU_CYCLE_1)
	s_and_b32 vcc_lo, exec_lo, s29
	s_cbranch_vccz .LBB159_846
; %bb.808:
	s_and_b32 s28, 0xffff, s28
	s_mov_b32 s29, -1
	s_cmp_lt_i32 s28, 5
	s_cbranch_scc1 .LBB159_829
; %bb.809:
	s_cmp_lt_i32 s28, 8
	s_cbranch_scc1 .LBB159_819
; %bb.810:
	;; [unrolled: 3-line block ×3, first 2 shown]
	s_cmp_gt_i32 s28, 9
	s_cbranch_scc0 .LBB159_813
; %bb.812:
	s_wait_loadcnt 0x0
	v_cndmask_b32_e64 v1, 0, 1, s27
	v_mov_b32_e32 v6, 0
	s_mov_b32 s29, 0
	s_delay_alu instid0(VALU_DEP_2) | instskip(NEXT) | instid1(VALU_DEP_2)
	v_cvt_f64_u32_e32 v[4:5], v1
	v_mov_b32_e32 v7, v6
	global_store_b128 v[2:3], v[4:7], off
.LBB159_813:
	s_and_not1_b32 vcc_lo, exec_lo, s29
	s_cbranch_vccnz .LBB159_815
; %bb.814:
	s_wait_xcnt 0x0
	v_cndmask_b32_e64 v4, 0, 1.0, s27
	v_mov_b32_e32 v5, 0
	global_store_b64 v[2:3], v[4:5], off
.LBB159_815:
	s_mov_b32 s29, 0
.LBB159_816:
	s_delay_alu instid0(SALU_CYCLE_1)
	s_and_not1_b32 vcc_lo, exec_lo, s29
	s_cbranch_vccnz .LBB159_818
; %bb.817:
	s_wait_loadcnt 0x0
	v_cndmask_b32_e64 v1, 0, 1.0, s27
	s_delay_alu instid0(VALU_DEP_1) | instskip(NEXT) | instid1(VALU_DEP_1)
	v_cvt_f16_f32_e32 v1, v1
	v_and_b32_e32 v1, 0xffff, v1
	global_store_b32 v[2:3], v1, off
.LBB159_818:
	s_mov_b32 s29, 0
.LBB159_819:
	s_delay_alu instid0(SALU_CYCLE_1)
	s_and_not1_b32 vcc_lo, exec_lo, s29
	s_cbranch_vccnz .LBB159_828
; %bb.820:
	s_cmp_lt_i32 s28, 6
	s_mov_b32 s29, -1
	s_cbranch_scc1 .LBB159_826
; %bb.821:
	s_cmp_gt_i32 s28, 6
	s_cbranch_scc0 .LBB159_823
; %bb.822:
	s_wait_loadcnt 0x0
	v_cndmask_b32_e64 v1, 0, 1, s27
	s_mov_b32 s29, 0
	s_delay_alu instid0(VALU_DEP_1)
	v_cvt_f64_u32_e32 v[4:5], v1
	global_store_b64 v[2:3], v[4:5], off
.LBB159_823:
	s_and_not1_b32 vcc_lo, exec_lo, s29
	s_cbranch_vccnz .LBB159_825
; %bb.824:
	s_wait_loadcnt 0x0
	v_cndmask_b32_e64 v1, 0, 1.0, s27
	global_store_b32 v[2:3], v1, off
.LBB159_825:
	s_mov_b32 s29, 0
.LBB159_826:
	s_delay_alu instid0(SALU_CYCLE_1)
	s_and_not1_b32 vcc_lo, exec_lo, s29
	s_cbranch_vccnz .LBB159_828
; %bb.827:
	s_wait_loadcnt 0x0
	v_cndmask_b32_e64 v1, 0, 1.0, s27
	s_delay_alu instid0(VALU_DEP_1)
	v_cvt_f16_f32_e32 v1, v1
	global_store_b16 v[2:3], v1, off
.LBB159_828:
	s_mov_b32 s29, 0
.LBB159_829:
	s_delay_alu instid0(SALU_CYCLE_1)
	s_and_not1_b32 vcc_lo, exec_lo, s29
	s_cbranch_vccnz .LBB159_845
; %bb.830:
	s_cmp_lt_i32 s28, 2
	s_mov_b32 s29, -1
	s_cbranch_scc1 .LBB159_840
; %bb.831:
	s_cmp_lt_i32 s28, 3
	s_cbranch_scc1 .LBB159_837
; %bb.832:
	s_cmp_gt_i32 s28, 3
	s_cbranch_scc0 .LBB159_834
; %bb.833:
	s_mov_b32 s29, 0
	s_wait_xcnt 0x0
	v_cndmask_b32_e64 v4, 0, 1, s27
	v_mov_b32_e32 v5, s29
	global_store_b64 v[2:3], v[4:5], off
.LBB159_834:
	s_and_not1_b32 vcc_lo, exec_lo, s29
	s_cbranch_vccnz .LBB159_836
; %bb.835:
	s_wait_loadcnt 0x0
	v_cndmask_b32_e64 v1, 0, 1, s27
	global_store_b32 v[2:3], v1, off
.LBB159_836:
	s_mov_b32 s29, 0
.LBB159_837:
	s_delay_alu instid0(SALU_CYCLE_1)
	s_and_not1_b32 vcc_lo, exec_lo, s29
	s_cbranch_vccnz .LBB159_839
; %bb.838:
	s_wait_loadcnt 0x0
	v_cndmask_b32_e64 v1, 0, 1, s27
	global_store_b16 v[2:3], v1, off
.LBB159_839:
	s_mov_b32 s29, 0
.LBB159_840:
	s_delay_alu instid0(SALU_CYCLE_1)
	s_and_not1_b32 vcc_lo, exec_lo, s29
	s_cbranch_vccnz .LBB159_845
; %bb.841:
	s_wait_loadcnt 0x0
	v_cndmask_b32_e64 v1, 0, 1, s27
	s_cmp_gt_i32 s28, 0
	s_mov_b32 s27, -1
	s_cbranch_scc0 .LBB159_843
; %bb.842:
	s_mov_b32 s27, 0
	global_store_b8 v[2:3], v1, off
.LBB159_843:
	s_and_not1_b32 vcc_lo, exec_lo, s27
	s_cbranch_vccnz .LBB159_845
; %bb.844:
	global_store_b8 v[2:3], v1, off
.LBB159_845:
	s_mov_b32 s30, -1
.LBB159_846:
	s_delay_alu instid0(SALU_CYCLE_1)
	s_and_not1_b32 vcc_lo, exec_lo, s30
	s_cbranch_vccnz .LBB159_848
; %bb.847:
	v_add_nc_u32_e32 v0, 0x80, v0
	s_mov_b32 s27, -1
	s_branch .LBB159_850
.LBB159_848:
	s_mov_b32 s27, 0
.LBB159_849:
                                        ; implicit-def: $vgpr0
.LBB159_850:
	s_and_not1_b32 s28, s46, exec_lo
	s_and_b32 s0, s0, exec_lo
	s_and_not1_b32 s29, s45, exec_lo
	s_and_b32 s26, s26, exec_lo
	s_or_b32 s30, s28, s0
	s_or_b32 s0, s29, s26
	s_or_not1_b32 s29, s27, exec_lo
.LBB159_851:
	s_wait_xcnt 0x0
	s_or_b32 exec_lo, exec_lo, s48
	s_mov_b32 s27, 0
	s_mov_b32 s26, 0
	;; [unrolled: 1-line block ×3, first 2 shown]
                                        ; implicit-def: $vgpr4_vgpr5
                                        ; implicit-def: $vgpr2
                                        ; implicit-def: $vgpr6
                                        ; implicit-def: $vgpr3
	s_and_saveexec_b32 s31, s29
	s_cbranch_execz .LBB159_956
; %bb.852:
	v_cmp_gt_i32_e32 vcc_lo, s39, v0
	s_mov_b32 s29, s0
                                        ; implicit-def: $vgpr4_vgpr5
                                        ; implicit-def: $vgpr2
                                        ; implicit-def: $vgpr6
                                        ; implicit-def: $vgpr3
	s_and_saveexec_b32 s39, vcc_lo
	s_cbranch_execz .LBB159_955
; %bb.853:
	s_and_not1_b32 vcc_lo, exec_lo, s35
	s_cbranch_vccnz .LBB159_859
; %bb.854:
	s_and_not1_b32 vcc_lo, exec_lo, s41
	s_cbranch_vccnz .LBB159_860
; %bb.855:
	s_add_co_i32 s40, s40, 1
	s_cmp_eq_u32 s34, 2
	s_cbranch_scc1 .LBB159_861
; %bb.856:
	v_dual_mov_b32 v2, 0 :: v_dual_mov_b32 v4, 0
	s_wait_loadcnt 0x0
	v_mov_b32_e32 v1, v0
	s_and_b32 s26, s40, 28
	s_mov_b64 s[28:29], s[16:17]
.LBB159_857:                            ; =>This Inner Loop Header: Depth=1
	s_clause 0x1
	s_load_b256 s[48:55], s[28:29], 0x4
	s_load_b128 s[64:67], s[28:29], 0x24
	s_load_b256 s[56:63], s[24:25], 0x0
	s_add_co_i32 s27, s27, 4
	s_wait_xcnt 0x0
	s_add_nc_u64 s[28:29], s[28:29], 48
	s_cmp_eq_u32 s26, s27
	s_add_nc_u64 s[24:25], s[24:25], 32
	s_wait_kmcnt 0x0
	v_mul_hi_u32 v3, s49, v1
	s_delay_alu instid0(VALU_DEP_1) | instskip(NEXT) | instid1(VALU_DEP_1)
	v_add_nc_u32_e32 v3, v1, v3
	v_lshrrev_b32_e32 v3, s50, v3
	s_delay_alu instid0(VALU_DEP_1) | instskip(NEXT) | instid1(VALU_DEP_1)
	v_mul_hi_u32 v5, s52, v3
	v_add_nc_u32_e32 v5, v3, v5
	s_delay_alu instid0(VALU_DEP_1) | instskip(NEXT) | instid1(VALU_DEP_1)
	v_lshrrev_b32_e32 v5, s53, v5
	v_mul_hi_u32 v6, s55, v5
	s_delay_alu instid0(VALU_DEP_1) | instskip(SKIP_1) | instid1(VALU_DEP_1)
	v_add_nc_u32_e32 v6, v5, v6
	v_mul_lo_u32 v7, v3, s48
	v_sub_nc_u32_e32 v1, v1, v7
	v_mul_lo_u32 v7, v5, s51
	s_delay_alu instid0(VALU_DEP_4) | instskip(NEXT) | instid1(VALU_DEP_3)
	v_lshrrev_b32_e32 v6, s64, v6
	v_mad_u32 v4, v1, s57, v4
	v_mad_u32 v1, v1, s56, v2
	s_delay_alu instid0(VALU_DEP_4) | instskip(NEXT) | instid1(VALU_DEP_4)
	v_sub_nc_u32_e32 v2, v3, v7
	v_mul_hi_u32 v8, s66, v6
	v_mul_lo_u32 v3, v6, s54
	s_delay_alu instid0(VALU_DEP_3) | instskip(SKIP_1) | instid1(VALU_DEP_3)
	v_mad_u32 v4, v2, s59, v4
	v_mad_u32 v2, v2, s58, v1
	v_dual_add_nc_u32 v7, v6, v8 :: v_dual_sub_nc_u32 v3, v5, v3
	s_delay_alu instid0(VALU_DEP_1) | instskip(NEXT) | instid1(VALU_DEP_2)
	v_lshrrev_b32_e32 v1, s67, v7
	v_mad_u32 v4, v3, s61, v4
	s_delay_alu instid0(VALU_DEP_4) | instskip(NEXT) | instid1(VALU_DEP_3)
	v_mad_u32 v2, v3, s60, v2
	v_mul_lo_u32 v5, v1, s65
	s_delay_alu instid0(VALU_DEP_1) | instskip(NEXT) | instid1(VALU_DEP_1)
	v_sub_nc_u32_e32 v3, v6, v5
	v_mad_u32 v4, v3, s63, v4
	s_delay_alu instid0(VALU_DEP_4)
	v_mad_u32 v2, v3, s62, v2
	s_cbranch_scc0 .LBB159_857
; %bb.858:
	s_delay_alu instid0(VALU_DEP_2)
	v_mov_b32_e32 v3, v4
	s_branch .LBB159_862
.LBB159_859:
	s_mov_b32 s24, -1
                                        ; implicit-def: $vgpr4
                                        ; implicit-def: $vgpr2
	s_branch .LBB159_867
.LBB159_860:
	v_dual_mov_b32 v4, 0 :: v_dual_mov_b32 v2, 0
	s_branch .LBB159_866
.LBB159_861:
	v_mov_b64_e32 v[2:3], 0
	s_wait_loadcnt 0x0
	v_mov_b32_e32 v1, v0
                                        ; implicit-def: $vgpr4
.LBB159_862:
	s_and_b32 s28, s40, 3
	s_mov_b32 s27, 0
	s_cmp_eq_u32 s28, 0
	s_cbranch_scc1 .LBB159_866
; %bb.863:
	s_lshl_b32 s24, s26, 3
	s_mov_b32 s25, s27
	s_mul_u64 s[26:27], s[26:27], 12
	s_add_nc_u64 s[24:25], s[16:17], s[24:25]
	s_add_nc_u64 s[26:27], s[16:17], s[26:27]
	;; [unrolled: 1-line block ×3, first 2 shown]
.LBB159_864:                            ; =>This Inner Loop Header: Depth=1
	s_load_b96 s[48:50], s[26:27], 0x4
	s_load_b64 s[40:41], s[24:25], 0x0
	s_add_co_i32 s28, s28, -1
	s_wait_xcnt 0x0
	s_add_nc_u64 s[26:27], s[26:27], 12
	s_cmp_lg_u32 s28, 0
	s_add_nc_u64 s[24:25], s[24:25], 8
	s_wait_kmcnt 0x0
	v_mul_hi_u32 v4, s49, v1
	s_delay_alu instid0(VALU_DEP_1) | instskip(NEXT) | instid1(VALU_DEP_1)
	v_add_nc_u32_e32 v4, v1, v4
	v_lshrrev_b32_e32 v4, s50, v4
	s_delay_alu instid0(VALU_DEP_1) | instskip(NEXT) | instid1(VALU_DEP_1)
	v_mul_lo_u32 v5, v4, s48
	v_sub_nc_u32_e32 v1, v1, v5
	s_delay_alu instid0(VALU_DEP_1)
	v_mad_u32 v3, v1, s41, v3
	v_mad_u32 v2, v1, s40, v2
	v_mov_b32_e32 v1, v4
	s_cbranch_scc1 .LBB159_864
; %bb.865:
	s_delay_alu instid0(VALU_DEP_3)
	v_mov_b32_e32 v4, v3
.LBB159_866:
	s_mov_b32 s24, 0
.LBB159_867:
	s_delay_alu instid0(SALU_CYCLE_1)
	s_and_not1_b32 vcc_lo, exec_lo, s24
	s_cbranch_vccnz .LBB159_870
; %bb.868:
	s_wait_loadcnt 0x0
	v_mov_b32_e32 v1, 0
	s_and_not1_b32 vcc_lo, exec_lo, s38
	s_delay_alu instid0(VALU_DEP_1) | instskip(NEXT) | instid1(VALU_DEP_1)
	v_mul_u64_e32 v[2:3], s[18:19], v[0:1]
	v_add_nc_u32_e32 v2, v0, v3
	s_delay_alu instid0(VALU_DEP_1) | instskip(NEXT) | instid1(VALU_DEP_1)
	v_lshrrev_b32_e32 v6, s10, v2
	v_mul_lo_u32 v2, v6, s8
	s_delay_alu instid0(VALU_DEP_1) | instskip(NEXT) | instid1(VALU_DEP_1)
	v_sub_nc_u32_e32 v0, v0, v2
	v_mul_lo_u32 v4, v0, s13
	v_mul_lo_u32 v2, v0, s12
	s_cbranch_vccnz .LBB159_870
; %bb.869:
	v_mov_b32_e32 v7, v1
	s_delay_alu instid0(VALU_DEP_1) | instskip(NEXT) | instid1(VALU_DEP_1)
	v_mul_u64_e32 v[0:1], s[22:23], v[6:7]
	v_add_nc_u32_e32 v0, v6, v1
	s_delay_alu instid0(VALU_DEP_1) | instskip(NEXT) | instid1(VALU_DEP_1)
	v_lshrrev_b32_e32 v0, s21, v0
	v_mul_lo_u32 v0, v0, s11
	s_delay_alu instid0(VALU_DEP_1) | instskip(NEXT) | instid1(VALU_DEP_1)
	v_sub_nc_u32_e32 v0, v6, v0
	v_mad_u32 v2, v0, s14, v2
	v_mad_u32 v4, v0, s15, v4
.LBB159_870:
	v_mov_b32_e32 v5, 0
	s_delay_alu instid0(VALU_DEP_1) | instskip(SKIP_1) | instid1(SALU_CYCLE_1)
	v_add_nc_u64_e32 v[4:5], s[6:7], v[4:5]
	s_and_b32 s6, 0xffff, s37
	s_cmp_lt_i32 s6, 11
	s_cbranch_scc1 .LBB159_877
; %bb.871:
	s_cmp_gt_i32 s6, 25
	s_mov_b32 s8, 0
	s_cbranch_scc0 .LBB159_878
; %bb.872:
	s_cmp_gt_i32 s6, 28
	s_cbranch_scc0 .LBB159_879
; %bb.873:
	s_cmp_gt_i32 s6, 43
	;; [unrolled: 3-line block ×3, first 2 shown]
	s_cbranch_scc0 .LBB159_883
; %bb.875:
	s_cmp_eq_u32 s6, 46
	s_mov_b32 s11, 0
	s_cbranch_scc0 .LBB159_886
; %bb.876:
	global_load_b32 v0, v[4:5], off
	s_mov_b32 s7, 0
	s_mov_b32 s10, -1
	s_wait_loadcnt 0x0
	v_lshlrev_b32_e32 v1, 16, v0
	v_and_b32_e32 v0, 0xffff0000, v0
	s_delay_alu instid0(VALU_DEP_2) | instskip(NEXT) | instid1(VALU_DEP_2)
	v_cvt_f16_f32_e32 v3, v1
	v_cvt_f16_f32_e32 v6, v0
	s_branch .LBB159_888
.LBB159_877:
	s_mov_b32 s6, -1
	s_mov_b32 s10, 0
	s_mov_b32 s8, 0
	;; [unrolled: 1-line block ×3, first 2 shown]
                                        ; implicit-def: $vgpr6
                                        ; implicit-def: $vgpr3
	s_branch .LBB159_954
.LBB159_878:
	s_mov_b32 s11, -1
	s_mov_b32 s10, 0
	s_mov_b32 s7, s0
                                        ; implicit-def: $vgpr6
                                        ; implicit-def: $vgpr3
	s_branch .LBB159_919
.LBB159_879:
	s_mov_b32 s11, -1
	s_mov_b32 s10, 0
	s_mov_b32 s7, s0
                                        ; implicit-def: $vgpr6
                                        ; implicit-def: $vgpr3
	s_branch .LBB159_900
.LBB159_880:
	s_mov_b32 s11, -1
	s_mov_b32 s10, 0
	s_mov_b32 s7, s0
                                        ; implicit-def: $vgpr6
                                        ; implicit-def: $vgpr3
	s_branch .LBB159_894
.LBB159_881:
	s_and_not1_saveexec_b32 s49, s49
	s_cbranch_execz .LBB159_759
.LBB159_882:
	s_wait_loadcnt 0x0
	v_add_f32_e32 v1, 0x46000000, v4
	s_and_not1_b32 s31, s31, exec_lo
	s_delay_alu instid0(VALU_DEP_1) | instskip(NEXT) | instid1(VALU_DEP_1)
	v_and_b32_e32 v1, 0xff, v1
	v_cmp_ne_u32_e32 vcc_lo, 0, v1
	s_and_b32 s50, vcc_lo, exec_lo
	s_delay_alu instid0(SALU_CYCLE_1)
	s_or_b32 s31, s31, s50
	s_or_b32 exec_lo, exec_lo, s49
	v_mov_b32_e32 v5, 0
	s_and_saveexec_b32 s49, s31
	s_cbranch_execnz .LBB159_760
	s_branch .LBB159_761
.LBB159_883:
	s_mov_b32 s11, -1
	s_mov_b32 s10, 0
	s_mov_b32 s7, s0
	s_branch .LBB159_887
.LBB159_884:
	s_and_not1_saveexec_b32 s49, s49
	s_cbranch_execz .LBB159_772
.LBB159_885:
	s_wait_loadcnt 0x0
	v_add_f32_e32 v1, 0x42800000, v4
	s_and_not1_b32 s31, s31, exec_lo
	s_delay_alu instid0(VALU_DEP_1) | instskip(NEXT) | instid1(VALU_DEP_1)
	v_and_b32_e32 v1, 0xff, v1
	v_cmp_ne_u32_e32 vcc_lo, 0, v1
	s_and_b32 s50, vcc_lo, exec_lo
	s_delay_alu instid0(SALU_CYCLE_1)
	s_or_b32 s31, s31, s50
	s_or_b32 exec_lo, exec_lo, s49
	v_mov_b32_e32 v5, 0
	s_and_saveexec_b32 s49, s31
	s_cbranch_execnz .LBB159_773
	s_branch .LBB159_774
.LBB159_886:
	s_mov_b32 s7, -1
	s_mov_b32 s10, 0
.LBB159_887:
                                        ; implicit-def: $vgpr6
                                        ; implicit-def: $vgpr3
.LBB159_888:
	s_and_b32 vcc_lo, exec_lo, s11
	s_cbranch_vccz .LBB159_893
; %bb.889:
	s_cmp_eq_u32 s6, 44
	s_cbranch_scc0 .LBB159_891
; %bb.890:
	global_load_u8 v0, v[4:5], off
	s_mov_b32 s7, 0
	s_mov_b32 s10, -1
	s_wait_loadcnt 0x0
	v_lshlrev_b32_e32 v1, 23, v0
	v_cmp_ne_u32_e32 vcc_lo, 0xff, v0
	s_delay_alu instid0(VALU_DEP_2) | instskip(NEXT) | instid1(VALU_DEP_1)
	v_cvt_f16_f32_e32 v1, v1
	v_cndmask_b32_e32 v1, 0x7e00, v1, vcc_lo
	v_cmp_ne_u32_e32 vcc_lo, 0, v0
	s_delay_alu instid0(VALU_DEP_2)
	v_cndmask_b32_e32 v3, 0, v1, vcc_lo
	s_branch .LBB159_892
.LBB159_891:
	s_mov_b32 s7, -1
                                        ; implicit-def: $vgpr3
.LBB159_892:
	v_mov_b32_e32 v6, 0
.LBB159_893:
	s_mov_b32 s11, 0
.LBB159_894:
	s_delay_alu instid0(SALU_CYCLE_1)
	s_and_b32 vcc_lo, exec_lo, s11
	s_cbranch_vccz .LBB159_899
; %bb.895:
	s_cmp_eq_u32 s6, 29
	s_cbranch_scc0 .LBB159_897
; %bb.896:
	s_wait_loadcnt 0x0
	global_load_b64 v[0:1], v[4:5], off
	s_mov_b32 s7, 0
	s_mov_b32 s10, -1
	s_wait_loadcnt 0x0
	v_clz_i32_u32_e32 v3, v1
	s_delay_alu instid0(VALU_DEP_1) | instskip(NEXT) | instid1(VALU_DEP_1)
	v_min_u32_e32 v3, 32, v3
	v_lshlrev_b64_e32 v[0:1], v3, v[0:1]
	s_delay_alu instid0(VALU_DEP_1) | instskip(NEXT) | instid1(VALU_DEP_1)
	v_min_u32_e32 v0, 1, v0
	v_dual_sub_nc_u32 v1, 32, v3 :: v_dual_bitop2_b32 v0, v1, v0 bitop3:0x54
	s_delay_alu instid0(VALU_DEP_1) | instskip(NEXT) | instid1(VALU_DEP_1)
	v_cvt_f32_u32_e32 v0, v0
	v_ldexp_f32 v0, v0, v1
	s_delay_alu instid0(VALU_DEP_1)
	v_cvt_f16_f32_e32 v3, v0
	s_branch .LBB159_898
.LBB159_897:
	s_mov_b32 s7, -1
                                        ; implicit-def: $vgpr3
.LBB159_898:
	v_mov_b32_e32 v6, 0
.LBB159_899:
	s_mov_b32 s11, 0
.LBB159_900:
	s_delay_alu instid0(SALU_CYCLE_1)
	s_and_b32 vcc_lo, exec_lo, s11
	s_cbranch_vccz .LBB159_918
; %bb.901:
	s_cmp_lt_i32 s6, 27
	s_cbranch_scc1 .LBB159_904
; %bb.902:
	s_cmp_gt_i32 s6, 27
	s_cbranch_scc0 .LBB159_905
; %bb.903:
	global_load_b32 v0, v[4:5], off
	s_mov_b32 s10, 0
	s_wait_loadcnt 0x0
	v_cvt_f32_u32_e32 v0, v0
	s_delay_alu instid0(VALU_DEP_1)
	v_cvt_f16_f32_e32 v3, v0
	s_branch .LBB159_906
.LBB159_904:
	s_mov_b32 s10, -1
                                        ; implicit-def: $vgpr3
	s_branch .LBB159_909
.LBB159_905:
	s_mov_b32 s10, -1
                                        ; implicit-def: $vgpr3
.LBB159_906:
	s_delay_alu instid0(SALU_CYCLE_1)
	s_and_not1_b32 vcc_lo, exec_lo, s10
	s_cbranch_vccnz .LBB159_908
; %bb.907:
	global_load_u16 v0, v[4:5], off
	s_wait_loadcnt 0x0
	v_cvt_f16_u16_e32 v3, v0
.LBB159_908:
	s_mov_b32 s10, 0
.LBB159_909:
	s_delay_alu instid0(SALU_CYCLE_1)
	s_and_not1_b32 vcc_lo, exec_lo, s10
	s_cbranch_vccnz .LBB159_917
; %bb.910:
	global_load_u8 v0, v[4:5], off
	s_mov_b32 s10, 0
	s_mov_b32 s11, exec_lo
	s_wait_loadcnt 0x0
	v_cmpx_lt_i16_e32 0x7f, v0
	s_xor_b32 s11, exec_lo, s11
	s_cbranch_execz .LBB159_931
; %bb.911:
	s_mov_b32 s10, -1
	s_mov_b32 s12, exec_lo
	v_cmpx_eq_u16_e32 0x80, v0
; %bb.912:
	s_xor_b32 s10, exec_lo, -1
; %bb.913:
	s_or_b32 exec_lo, exec_lo, s12
	s_delay_alu instid0(SALU_CYCLE_1)
	s_and_b32 s10, s10, exec_lo
	s_or_saveexec_b32 s11, s11
	v_mov_b32_e32 v3, 0x7e00
	s_xor_b32 exec_lo, exec_lo, s11
	s_cbranch_execnz .LBB159_932
.LBB159_914:
	s_or_b32 exec_lo, exec_lo, s11
	s_and_saveexec_b32 s11, s10
	s_cbranch_execz .LBB159_916
.LBB159_915:
	v_and_b32_e32 v1, 0xffff, v0
	s_delay_alu instid0(VALU_DEP_1) | instskip(SKIP_1) | instid1(VALU_DEP_2)
	v_and_b32_e32 v3, 7, v1
	v_bfe_u32 v8, v1, 3, 4
	v_clz_i32_u32_e32 v6, v3
	s_delay_alu instid0(VALU_DEP_2) | instskip(NEXT) | instid1(VALU_DEP_2)
	v_cmp_eq_u32_e32 vcc_lo, 0, v8
	v_min_u32_e32 v6, 32, v6
	s_delay_alu instid0(VALU_DEP_1) | instskip(NEXT) | instid1(VALU_DEP_1)
	v_subrev_nc_u32_e32 v7, 28, v6
	v_dual_lshlrev_b32 v1, v7, v1 :: v_dual_sub_nc_u32 v6, 29, v6
	s_delay_alu instid0(VALU_DEP_1) | instskip(NEXT) | instid1(VALU_DEP_1)
	v_dual_lshlrev_b32 v0, 24, v0 :: v_dual_bitop2_b32 v1, 7, v1 bitop3:0x40
	v_dual_cndmask_b32 v6, v8, v6 :: v_dual_cndmask_b32 v1, v3, v1
	s_delay_alu instid0(VALU_DEP_2) | instskip(NEXT) | instid1(VALU_DEP_2)
	v_and_b32_e32 v0, 0x80000000, v0
	v_lshl_add_u32 v3, v6, 23, 0x3b800000
	s_delay_alu instid0(VALU_DEP_3) | instskip(NEXT) | instid1(VALU_DEP_1)
	v_lshlrev_b32_e32 v1, 20, v1
	v_or3_b32 v0, v0, v3, v1
	s_delay_alu instid0(VALU_DEP_1)
	v_cvt_f16_f32_e32 v3, v0
.LBB159_916:
	s_or_b32 exec_lo, exec_lo, s11
.LBB159_917:
	v_mov_b32_e32 v6, 0
	s_mov_b32 s10, -1
.LBB159_918:
	s_mov_b32 s11, 0
.LBB159_919:
	s_delay_alu instid0(SALU_CYCLE_1)
	s_and_b32 vcc_lo, exec_lo, s11
	s_cbranch_vccz .LBB159_953
; %bb.920:
	s_cmp_gt_i32 s6, 22
	s_cbranch_scc0 .LBB159_930
; %bb.921:
	s_cmp_lt_i32 s6, 24
	s_cbranch_scc1 .LBB159_933
; %bb.922:
	s_cmp_gt_i32 s6, 24
	s_cbranch_scc0 .LBB159_934
; %bb.923:
	global_load_u8 v0, v[4:5], off
	s_mov_b32 s10, exec_lo
	s_wait_loadcnt 0x0
	v_cmpx_lt_i16_e32 0x7f, v0
	s_xor_b32 s10, exec_lo, s10
	s_cbranch_execz .LBB159_946
; %bb.924:
	s_mov_b32 s8, -1
	s_mov_b32 s11, exec_lo
	v_cmpx_eq_u16_e32 0x80, v0
; %bb.925:
	s_xor_b32 s8, exec_lo, -1
; %bb.926:
	s_or_b32 exec_lo, exec_lo, s11
	s_delay_alu instid0(SALU_CYCLE_1)
	s_and_b32 s8, s8, exec_lo
	s_or_saveexec_b32 s10, s10
	v_mov_b32_e32 v3, 0x7e00
	s_xor_b32 exec_lo, exec_lo, s10
	s_cbranch_execnz .LBB159_947
.LBB159_927:
	s_or_b32 exec_lo, exec_lo, s10
	s_and_saveexec_b32 s10, s8
	s_cbranch_execz .LBB159_929
.LBB159_928:
	v_and_b32_e32 v1, 0xffff, v0
	s_delay_alu instid0(VALU_DEP_1) | instskip(SKIP_1) | instid1(VALU_DEP_2)
	v_and_b32_e32 v3, 3, v1
	v_bfe_u32 v8, v1, 2, 5
	v_clz_i32_u32_e32 v6, v3
	s_delay_alu instid0(VALU_DEP_2) | instskip(NEXT) | instid1(VALU_DEP_2)
	v_cmp_eq_u32_e32 vcc_lo, 0, v8
	v_min_u32_e32 v6, 32, v6
	s_delay_alu instid0(VALU_DEP_1) | instskip(NEXT) | instid1(VALU_DEP_1)
	v_subrev_nc_u32_e32 v7, 29, v6
	v_dual_lshlrev_b32 v1, v7, v1 :: v_dual_sub_nc_u32 v6, 30, v6
	s_delay_alu instid0(VALU_DEP_1) | instskip(NEXT) | instid1(VALU_DEP_1)
	v_dual_lshlrev_b32 v0, 24, v0 :: v_dual_bitop2_b32 v1, 3, v1 bitop3:0x40
	v_dual_cndmask_b32 v6, v8, v6 :: v_dual_cndmask_b32 v1, v3, v1
	s_delay_alu instid0(VALU_DEP_2) | instskip(NEXT) | instid1(VALU_DEP_2)
	v_and_b32_e32 v0, 0x80000000, v0
	v_lshl_add_u32 v3, v6, 23, 0x37800000
	s_delay_alu instid0(VALU_DEP_3) | instskip(NEXT) | instid1(VALU_DEP_1)
	v_lshlrev_b32_e32 v1, 21, v1
	v_or3_b32 v0, v0, v3, v1
	s_delay_alu instid0(VALU_DEP_1)
	v_cvt_f16_f32_e32 v3, v0
.LBB159_929:
	s_or_b32 exec_lo, exec_lo, s10
	s_mov_b32 s8, 0
	s_branch .LBB159_935
.LBB159_930:
	s_mov_b32 s8, -1
                                        ; implicit-def: $vgpr3
	s_branch .LBB159_941
.LBB159_931:
	s_or_saveexec_b32 s11, s11
	v_mov_b32_e32 v3, 0x7e00
	s_xor_b32 exec_lo, exec_lo, s11
	s_cbranch_execz .LBB159_914
.LBB159_932:
	v_cmp_ne_u16_e32 vcc_lo, 0, v0
	v_mov_b32_e32 v3, v0
	s_and_not1_b32 s10, s10, exec_lo
	s_and_b32 s12, vcc_lo, exec_lo
	s_delay_alu instid0(SALU_CYCLE_1)
	s_or_b32 s10, s10, s12
	s_or_b32 exec_lo, exec_lo, s11
	s_and_saveexec_b32 s11, s10
	s_cbranch_execnz .LBB159_915
	s_branch .LBB159_916
.LBB159_933:
	s_mov_b32 s8, -1
                                        ; implicit-def: $vgpr3
	s_branch .LBB159_938
.LBB159_934:
	s_mov_b32 s8, -1
                                        ; implicit-def: $vgpr3
.LBB159_935:
	s_delay_alu instid0(SALU_CYCLE_1)
	s_and_b32 vcc_lo, exec_lo, s8
	s_cbranch_vccz .LBB159_937
; %bb.936:
	global_load_u8 v0, v[4:5], off
	s_wait_loadcnt 0x0
	v_lshlrev_b32_e32 v0, 24, v0
	s_delay_alu instid0(VALU_DEP_1) | instskip(NEXT) | instid1(VALU_DEP_1)
	v_and_b32_e32 v1, 0x7f000000, v0
	v_clz_i32_u32_e32 v3, v1
	v_add_nc_u32_e32 v7, 0x1000000, v1
	v_cmp_ne_u32_e32 vcc_lo, 0, v1
	s_delay_alu instid0(VALU_DEP_3) | instskip(NEXT) | instid1(VALU_DEP_1)
	v_min_u32_e32 v3, 32, v3
	v_sub_nc_u32_e64 v3, v3, 4 clamp
	s_delay_alu instid0(VALU_DEP_1) | instskip(NEXT) | instid1(VALU_DEP_1)
	v_dual_lshlrev_b32 v6, v3, v1 :: v_dual_lshlrev_b32 v3, 23, v3
	v_lshrrev_b32_e32 v6, 4, v6
	s_delay_alu instid0(VALU_DEP_1) | instskip(SKIP_1) | instid1(VALU_DEP_2)
	v_sub_nc_u32_e32 v3, v6, v3
	v_ashrrev_i32_e32 v6, 8, v7
	v_add_nc_u32_e32 v3, 0x3c000000, v3
	s_delay_alu instid0(VALU_DEP_1) | instskip(NEXT) | instid1(VALU_DEP_1)
	v_and_or_b32 v3, 0x7f800000, v6, v3
	v_cndmask_b32_e32 v1, 0, v3, vcc_lo
	s_delay_alu instid0(VALU_DEP_1) | instskip(NEXT) | instid1(VALU_DEP_1)
	v_and_or_b32 v0, 0x80000000, v0, v1
	v_cvt_f16_f32_e32 v3, v0
.LBB159_937:
	s_mov_b32 s8, 0
.LBB159_938:
	s_delay_alu instid0(SALU_CYCLE_1)
	s_and_not1_b32 vcc_lo, exec_lo, s8
	s_cbranch_vccnz .LBB159_940
; %bb.939:
	global_load_u8 v0, v[4:5], off
	s_wait_loadcnt 0x0
	v_lshlrev_b32_e32 v1, 25, v0
	v_lshlrev_b16 v0, 8, v0
	s_delay_alu instid0(VALU_DEP_1) | instskip(SKIP_1) | instid1(VALU_DEP_2)
	v_and_or_b32 v6, 0x7f00, v0, 0.5
	v_bfe_i32 v0, v0, 0, 16
	v_dual_add_f32 v6, -0.5, v6 :: v_dual_lshrrev_b32 v3, 4, v1
	v_cmp_gt_u32_e32 vcc_lo, 0x8000000, v1
	s_delay_alu instid0(VALU_DEP_2) | instskip(NEXT) | instid1(VALU_DEP_1)
	v_or_b32_e32 v3, 0x70000000, v3
	v_mul_f32_e32 v3, 0x7800000, v3
	s_delay_alu instid0(VALU_DEP_1) | instskip(NEXT) | instid1(VALU_DEP_1)
	v_cndmask_b32_e32 v1, v3, v6, vcc_lo
	v_and_or_b32 v0, 0x80000000, v0, v1
	s_delay_alu instid0(VALU_DEP_1)
	v_cvt_f16_f32_e32 v3, v0
.LBB159_940:
	s_mov_b32 s8, 0
	s_mov_b32 s10, -1
.LBB159_941:
	s_and_not1_b32 vcc_lo, exec_lo, s8
	s_mov_b32 s8, 0
	s_cbranch_vccnz .LBB159_952
; %bb.942:
	s_cmp_gt_i32 s6, 14
	s_cbranch_scc0 .LBB159_945
; %bb.943:
	s_cmp_eq_u32 s6, 15
	s_cbranch_scc0 .LBB159_948
; %bb.944:
	global_load_u16 v0, v[4:5], off
	s_mov_b32 s7, 0
	s_mov_b32 s10, -1
	s_wait_loadcnt 0x0
	v_lshlrev_b32_e32 v0, 16, v0
	s_delay_alu instid0(VALU_DEP_1)
	v_cvt_f16_f32_e32 v3, v0
	s_branch .LBB159_950
.LBB159_945:
	s_mov_b32 s8, -1
	s_branch .LBB159_949
.LBB159_946:
	s_or_saveexec_b32 s10, s10
	v_mov_b32_e32 v3, 0x7e00
	s_xor_b32 exec_lo, exec_lo, s10
	s_cbranch_execz .LBB159_927
.LBB159_947:
	v_cmp_ne_u16_e32 vcc_lo, 0, v0
	v_mov_b32_e32 v3, v0
	s_and_not1_b32 s8, s8, exec_lo
	s_and_b32 s11, vcc_lo, exec_lo
	s_delay_alu instid0(SALU_CYCLE_1)
	s_or_b32 s8, s8, s11
	s_or_b32 exec_lo, exec_lo, s10
	s_and_saveexec_b32 s10, s8
	s_cbranch_execnz .LBB159_928
	s_branch .LBB159_929
.LBB159_948:
	s_mov_b32 s7, -1
.LBB159_949:
                                        ; implicit-def: $vgpr3
.LBB159_950:
	s_and_b32 vcc_lo, exec_lo, s8
	s_mov_b32 s8, 0
	s_cbranch_vccz .LBB159_952
; %bb.951:
	s_cmp_lg_u32 s6, 11
	s_mov_b32 s8, -1
	s_cselect_b32 s6, -1, 0
	s_and_not1_b32 s7, s7, exec_lo
	s_and_b32 s6, s6, exec_lo
	s_delay_alu instid0(SALU_CYCLE_1)
	s_or_b32 s7, s7, s6
.LBB159_952:
	v_mov_b32_e32 v6, 0
.LBB159_953:
	s_mov_b32 s6, 0
.LBB159_954:
	s_delay_alu instid0(SALU_CYCLE_1)
	s_and_b32 s26, s6, exec_lo
	s_and_not1_b32 s6, s0, exec_lo
	s_and_b32 s7, s7, exec_lo
	s_and_b32 s28, s10, exec_lo
	;; [unrolled: 1-line block ×3, first 2 shown]
	s_or_b32 s29, s6, s7
.LBB159_955:
	s_wait_xcnt 0x0
	s_or_b32 exec_lo, exec_lo, s39
	s_delay_alu instid0(SALU_CYCLE_1)
	s_and_not1_b32 s0, s0, exec_lo
	s_and_b32 s6, s29, exec_lo
	s_and_b32 s28, s28, exec_lo
	;; [unrolled: 1-line block ×4, first 2 shown]
	s_or_b32 s0, s0, s6
.LBB159_956:
	s_or_b32 exec_lo, exec_lo, s31
	s_delay_alu instid0(SALU_CYCLE_1)
	s_and_not1_b32 s6, s46, exec_lo
	s_and_b32 s7, s30, exec_lo
	s_and_b32 s0, s0, exec_lo
	s_or_b32 s46, s6, s7
	s_and_not1_b32 s6, s45, exec_lo
	s_and_b32 s28, s28, exec_lo
	s_and_b32 s26, s26, exec_lo
	;; [unrolled: 1-line block ×3, first 2 shown]
	s_or_b32 s45, s6, s0
.LBB159_957:
	s_or_b32 exec_lo, exec_lo, s47
	s_delay_alu instid0(SALU_CYCLE_1)
	s_and_not1_b32 s0, s42, exec_lo
	s_and_b32 s6, s46, exec_lo
	s_and_b32 s7, s45, exec_lo
	s_or_b32 s42, s0, s6
	s_and_not1_b32 s6, s43, exec_lo
	s_and_b32 s0, s28, exec_lo
	s_and_b32 s26, s26, exec_lo
	;; [unrolled: 1-line block ×3, first 2 shown]
	s_or_b32 s43, s6, s7
	s_or_b32 exec_lo, exec_lo, s44
	s_mov_b32 s6, 0
	s_and_saveexec_b32 s7, s43
	s_cbranch_execz .LBB159_284
.LBB159_958:
	s_mov_b32 s6, exec_lo
	s_and_not1_b32 s19, s19, exec_lo
	s_trap 2
	s_or_b32 exec_lo, exec_lo, s7
	s_and_saveexec_b32 s7, s19
	s_delay_alu instid0(SALU_CYCLE_1)
	s_xor_b32 s7, exec_lo, s7
	s_cbranch_execnz .LBB159_285
.LBB159_959:
	s_or_b32 exec_lo, exec_lo, s7
	s_and_saveexec_b32 s7, s26
	s_cbranch_execz .LBB159_1007
.LBB159_960:
	s_sext_i32_i16 s8, s37
	s_delay_alu instid0(SALU_CYCLE_1)
	s_cmp_lt_i32 s8, 5
	s_cbranch_scc1 .LBB159_965
; %bb.961:
	s_cmp_lt_i32 s8, 8
	s_cbranch_scc1 .LBB159_966
; %bb.962:
	;; [unrolled: 3-line block ×3, first 2 shown]
	s_cmp_gt_i32 s8, 9
	s_cbranch_scc0 .LBB159_968
; %bb.964:
	global_load_b128 v[6:9], v[4:5], off
	v_mov_b32_e32 v15, 0x7e00
	s_mov_b32 s8, 0
	s_wait_loadcnt 0x0
	v_and_or_b32 v0, 0x1ff, v7, v6
	v_and_or_b32 v6, 0x1ff, v9, v8
	v_dual_lshrrev_b32 v1, 8, v7 :: v_dual_lshrrev_b32 v8, 8, v9
	v_bfe_u32 v3, v7, 20, 11
	s_delay_alu instid0(VALU_DEP_4) | instskip(SKIP_2) | instid1(VALU_DEP_4)
	v_cmp_ne_u32_e32 vcc_lo, 0, v0
	v_bfe_u32 v10, v9, 20, 11
	v_dual_lshrrev_b32 v7, 16, v7 :: v_dual_lshrrev_b32 v9, 16, v9
	v_sub_nc_u32_e32 v11, 0x3f1, v3
	v_cndmask_b32_e64 v0, 0, 1, vcc_lo
	v_cmp_ne_u32_e32 vcc_lo, 0, v6
	v_add_nc_u32_e32 v3, 0xfffffc10, v3
	s_delay_alu instid0(VALU_DEP_3) | instskip(SKIP_1) | instid1(VALU_DEP_1)
	v_and_or_b32 v0, 0xffe, v1, v0
	v_cndmask_b32_e64 v6, 0, 1, vcc_lo
	v_and_or_b32 v6, 0xffe, v8, v6
	v_med3_i32 v8, v11, 0, 13
	s_delay_alu instid0(VALU_DEP_4) | instskip(NEXT) | instid1(VALU_DEP_3)
	v_or_b32_e32 v11, 0x1000, v0
	v_or_b32_e32 v12, 0x1000, v6
	s_delay_alu instid0(VALU_DEP_2) | instskip(NEXT) | instid1(VALU_DEP_1)
	v_lshrrev_b32_e32 v13, v8, v11
	v_lshlrev_b32_e32 v8, v8, v13
	s_delay_alu instid0(VALU_DEP_1) | instskip(SKIP_2) | instid1(VALU_DEP_1)
	v_cmp_ne_u32_e32 vcc_lo, v8, v11
	v_lshl_or_b32 v11, v3, 12, v0
	v_cndmask_b32_e64 v8, 0, 1, vcc_lo
	v_or_b32_e32 v8, v13, v8
	v_sub_nc_u32_e32 v1, 0x3f1, v10
	s_delay_alu instid0(VALU_DEP_1) | instskip(NEXT) | instid1(VALU_DEP_1)
	v_med3_i32 v1, v1, 0, 13
	v_lshrrev_b32_e32 v14, v1, v12
	s_delay_alu instid0(VALU_DEP_1) | instskip(NEXT) | instid1(VALU_DEP_1)
	v_lshlrev_b32_e32 v1, v1, v14
	v_cmp_ne_u32_e32 vcc_lo, v1, v12
	v_cndmask_b32_e64 v1, 0, 1, vcc_lo
	v_cmp_gt_i32_e32 vcc_lo, 1, v3
	s_delay_alu instid0(VALU_DEP_2) | instskip(NEXT) | instid1(VALU_DEP_1)
	v_dual_cndmask_b32 v8, v11, v8, vcc_lo :: v_dual_bitop2_b32 v1, v14, v1 bitop3:0x54
	v_dual_lshrrev_b32 v8, 2, v8 :: v_dual_bitop2_b32 v11, 7, v8 bitop3:0x40
	v_add_nc_u32_e32 v10, 0xfffffc10, v10
	s_delay_alu instid0(VALU_DEP_1) | instskip(SKIP_1) | instid1(VALU_DEP_2)
	v_lshl_or_b32 v12, v10, 12, v6
	v_cmp_gt_i32_e32 vcc_lo, 1, v10
	v_cndmask_b32_e32 v1, v12, v1, vcc_lo
	v_cmp_lt_i32_e32 vcc_lo, 5, v11
	v_cndmask_b32_e64 v13, 0, 1, vcc_lo
	v_cmp_eq_u32_e32 vcc_lo, 3, v11
	v_cndmask_b32_e64 v11, 0, 1, vcc_lo
	s_delay_alu instid0(VALU_DEP_1) | instskip(SKIP_1) | instid1(VALU_DEP_2)
	v_or_b32_e32 v11, v11, v13
	v_dual_lshrrev_b32 v1, 2, v1 :: v_dual_bitop2_b32 v12, 7, v1 bitop3:0x40
	v_add_nc_u32_e32 v8, v8, v11
	s_delay_alu instid0(VALU_DEP_2) | instskip(SKIP_4) | instid1(VALU_DEP_2)
	v_cmp_lt_i32_e32 vcc_lo, 5, v12
	v_cndmask_b32_e64 v14, 0, 1, vcc_lo
	v_cmp_eq_u32_e32 vcc_lo, 3, v12
	v_cndmask_b32_e64 v12, 0, 1, vcc_lo
	v_cmp_ne_u32_e32 vcc_lo, 0, v0
	v_or_b32_e32 v12, v12, v14
	v_cndmask_b32_e32 v0, 0x7c00, v15, vcc_lo
	v_cmp_ne_u32_e32 vcc_lo, 0, v6
	s_delay_alu instid0(VALU_DEP_3) | instskip(SKIP_3) | instid1(VALU_DEP_4)
	v_dual_cndmask_b32 v6, 0x7c00, v15 :: v_dual_add_nc_u32 v1, v1, v12
	v_cmp_gt_i32_e32 vcc_lo, 31, v3
	v_cndmask_b32_e32 v8, 0x7c00, v8, vcc_lo
	v_cmp_gt_i32_e32 vcc_lo, 31, v10
	v_cndmask_b32_e32 v1, 0x7c00, v1, vcc_lo
	v_cmp_eq_u32_e32 vcc_lo, 0x40f, v3
	s_delay_alu instid0(VALU_DEP_4) | instskip(SKIP_1) | instid1(VALU_DEP_2)
	v_cndmask_b32_e32 v0, v8, v0, vcc_lo
	v_cmp_eq_u32_e32 vcc_lo, 0x40f, v10
	v_and_or_b32 v3, 0x8000, v7, v0
	v_cndmask_b32_e32 v1, v1, v6, vcc_lo
	s_delay_alu instid0(VALU_DEP_1)
	v_and_or_b32 v6, 0x8000, v9, v1
	s_branch .LBB159_969
.LBB159_965:
                                        ; implicit-def: $vgpr6
                                        ; implicit-def: $vgpr3
	s_branch .LBB159_987
.LBB159_966:
                                        ; implicit-def: $vgpr6
                                        ; implicit-def: $vgpr3
	s_branch .LBB159_975
.LBB159_967:
	s_mov_b32 s8, -1
                                        ; implicit-def: $vgpr6
                                        ; implicit-def: $vgpr3
	s_branch .LBB159_972
.LBB159_968:
	s_mov_b32 s8, -1
                                        ; implicit-def: $vgpr6
                                        ; implicit-def: $vgpr3
.LBB159_969:
	s_delay_alu instid0(SALU_CYCLE_1)
	s_and_not1_b32 vcc_lo, exec_lo, s8
	s_cbranch_vccnz .LBB159_971
; %bb.970:
	s_wait_loadcnt 0x0
	global_load_b64 v[0:1], v[4:5], off
	s_wait_loadcnt 0x0
	v_cvt_f16_f32_e32 v3, v0
	v_cvt_f16_f32_e32 v6, v1
.LBB159_971:
	s_mov_b32 s8, 0
.LBB159_972:
	s_delay_alu instid0(SALU_CYCLE_1)
	s_and_not1_b32 vcc_lo, exec_lo, s8
	s_cbranch_vccnz .LBB159_974
; %bb.973:
	global_load_b32 v3, v[4:5], off
	s_wait_loadcnt 0x0
	v_lshrrev_b32_e32 v6, 16, v3
.LBB159_974:
	s_cbranch_execnz .LBB159_986
.LBB159_975:
	s_sext_i32_i16 s8, s37
	s_delay_alu instid0(SALU_CYCLE_1)
	s_cmp_lt_i32 s8, 6
	s_cbranch_scc1 .LBB159_978
; %bb.976:
	s_cmp_gt_i32 s8, 6
	s_cbranch_scc0 .LBB159_979
; %bb.977:
	s_wait_loadcnt 0x0
	global_load_b64 v[0:1], v[4:5], off
	s_mov_b32 s8, 0
	s_wait_loadcnt 0x0
	v_and_or_b32 v0, 0x1ff, v1, v0
	v_lshrrev_b32_e32 v3, 8, v1
	v_bfe_u32 v6, v1, 20, 11
	v_lshrrev_b32_e32 v1, 16, v1
	s_delay_alu instid0(VALU_DEP_4) | instskip(NEXT) | instid1(VALU_DEP_3)
	v_cmp_ne_u32_e32 vcc_lo, 0, v0
	v_sub_nc_u32_e32 v7, 0x3f1, v6
	v_cndmask_b32_e64 v0, 0, 1, vcc_lo
	s_delay_alu instid0(VALU_DEP_1) | instskip(NEXT) | instid1(VALU_DEP_3)
	v_and_or_b32 v0, 0xffe, v3, v0
	v_med3_i32 v3, v7, 0, 13
	s_delay_alu instid0(VALU_DEP_2) | instskip(NEXT) | instid1(VALU_DEP_1)
	v_or_b32_e32 v7, 0x1000, v0
	v_lshrrev_b32_e32 v8, v3, v7
	s_delay_alu instid0(VALU_DEP_1) | instskip(NEXT) | instid1(VALU_DEP_1)
	v_lshlrev_b32_e32 v3, v3, v8
	v_cmp_ne_u32_e32 vcc_lo, v3, v7
	v_cndmask_b32_e64 v3, 0, 1, vcc_lo
	s_delay_alu instid0(VALU_DEP_1) | instskip(SKIP_1) | instid1(VALU_DEP_1)
	v_or_b32_e32 v3, v8, v3
	v_add_nc_u32_e32 v6, 0xfffffc10, v6
	v_lshl_or_b32 v7, v6, 12, v0
	v_cmp_gt_i32_e32 vcc_lo, 1, v6
	s_delay_alu instid0(VALU_DEP_2) | instskip(NEXT) | instid1(VALU_DEP_1)
	v_cndmask_b32_e32 v3, v7, v3, vcc_lo
	v_dual_lshrrev_b32 v3, 2, v3 :: v_dual_bitop2_b32 v7, 7, v3 bitop3:0x40
	s_delay_alu instid0(VALU_DEP_1) | instskip(SKIP_4) | instid1(VALU_DEP_2)
	v_cmp_lt_i32_e32 vcc_lo, 5, v7
	v_cndmask_b32_e64 v8, 0, 1, vcc_lo
	v_cmp_eq_u32_e32 vcc_lo, 3, v7
	v_cndmask_b32_e64 v7, 0, 1, vcc_lo
	v_cmp_ne_u32_e32 vcc_lo, 0, v0
	v_or_b32_e32 v7, v7, v8
	s_delay_alu instid0(VALU_DEP_1) | instskip(NEXT) | instid1(VALU_DEP_1)
	v_dual_mov_b32 v8, 0x7e00 :: v_dual_add_nc_u32 v3, v3, v7
	v_cndmask_b32_e32 v0, 0x7c00, v8, vcc_lo
	v_cmp_gt_i32_e32 vcc_lo, 31, v6
	s_delay_alu instid0(VALU_DEP_3) | instskip(SKIP_1) | instid1(VALU_DEP_2)
	v_cndmask_b32_e32 v3, 0x7c00, v3, vcc_lo
	v_cmp_eq_u32_e32 vcc_lo, 0x40f, v6
	v_cndmask_b32_e32 v0, v3, v0, vcc_lo
	s_delay_alu instid0(VALU_DEP_1)
	v_and_or_b32 v3, 0x8000, v1, v0
	s_branch .LBB159_980
.LBB159_978:
	s_mov_b32 s8, -1
                                        ; implicit-def: $vgpr3
	s_branch .LBB159_983
.LBB159_979:
	s_mov_b32 s8, -1
                                        ; implicit-def: $vgpr3
.LBB159_980:
	s_delay_alu instid0(SALU_CYCLE_1)
	s_and_not1_b32 vcc_lo, exec_lo, s8
	s_cbranch_vccnz .LBB159_982
; %bb.981:
	global_load_b32 v0, v[4:5], off
	s_wait_loadcnt 0x0
	v_cvt_f16_f32_e32 v3, v0
.LBB159_982:
	s_mov_b32 s8, 0
.LBB159_983:
	s_delay_alu instid0(SALU_CYCLE_1)
	s_and_not1_b32 vcc_lo, exec_lo, s8
	s_cbranch_vccnz .LBB159_985
; %bb.984:
	global_load_u16 v3, v[4:5], off
.LBB159_985:
	v_mov_b32_e32 v6, 0
.LBB159_986:
	s_cbranch_execnz .LBB159_1006
.LBB159_987:
	s_sext_i32_i16 s8, s37
	s_delay_alu instid0(SALU_CYCLE_1)
	s_cmp_lt_i32 s8, 2
	s_cbranch_scc1 .LBB159_991
; %bb.988:
	s_cmp_lt_i32 s8, 3
	s_cbranch_scc1 .LBB159_992
; %bb.989:
	s_cmp_gt_i32 s8, 3
	s_cbranch_scc0 .LBB159_993
; %bb.990:
	s_wait_loadcnt 0x0
	global_load_b64 v[0:1], v[4:5], off
	s_mov_b32 s8, 0
	s_wait_loadcnt 0x0
	v_xor_b32_e32 v3, v0, v1
	v_cls_i32_e32 v6, v1
	s_delay_alu instid0(VALU_DEP_2) | instskip(NEXT) | instid1(VALU_DEP_1)
	v_ashrrev_i32_e32 v3, 31, v3
	v_add_nc_u32_e32 v3, 32, v3
	s_delay_alu instid0(VALU_DEP_1) | instskip(NEXT) | instid1(VALU_DEP_1)
	v_add_min_u32_e64 v3, v6, -1, v3
	v_lshlrev_b64_e32 v[0:1], v3, v[0:1]
	s_delay_alu instid0(VALU_DEP_1) | instskip(NEXT) | instid1(VALU_DEP_1)
	v_min_u32_e32 v0, 1, v0
	v_dual_sub_nc_u32 v1, 32, v3 :: v_dual_bitop2_b32 v0, v1, v0 bitop3:0x54
	s_delay_alu instid0(VALU_DEP_1) | instskip(NEXT) | instid1(VALU_DEP_1)
	v_cvt_f32_i32_e32 v0, v0
	v_ldexp_f32 v0, v0, v1
	s_delay_alu instid0(VALU_DEP_1)
	v_cvt_f16_f32_e32 v3, v0
	s_branch .LBB159_994
.LBB159_991:
                                        ; implicit-def: $vgpr3
	s_branch .LBB159_1000
.LBB159_992:
	s_mov_b32 s8, -1
                                        ; implicit-def: $vgpr3
	s_branch .LBB159_997
.LBB159_993:
	s_mov_b32 s8, -1
                                        ; implicit-def: $vgpr3
.LBB159_994:
	s_delay_alu instid0(SALU_CYCLE_1)
	s_and_not1_b32 vcc_lo, exec_lo, s8
	s_cbranch_vccnz .LBB159_996
; %bb.995:
	global_load_b32 v0, v[4:5], off
	s_wait_loadcnt 0x0
	v_cvt_f32_i32_e32 v0, v0
	s_delay_alu instid0(VALU_DEP_1)
	v_cvt_f16_f32_e32 v3, v0
.LBB159_996:
	s_mov_b32 s8, 0
.LBB159_997:
	s_delay_alu instid0(SALU_CYCLE_1)
	s_and_not1_b32 vcc_lo, exec_lo, s8
	s_cbranch_vccnz .LBB159_999
; %bb.998:
	global_load_u16 v0, v[4:5], off
	s_wait_loadcnt 0x0
	v_cvt_f16_i16_e32 v3, v0
.LBB159_999:
	s_cbranch_execnz .LBB159_1005
.LBB159_1000:
	s_sext_i32_i16 s8, s37
	s_delay_alu instid0(SALU_CYCLE_1)
	s_cmp_gt_i32 s8, 0
	s_mov_b32 s8, 0
	s_cbranch_scc0 .LBB159_1002
; %bb.1001:
	global_load_i8 v0, v[4:5], off
	s_wait_loadcnt 0x0
	v_cvt_f16_i16_e32 v3, v0
	s_branch .LBB159_1003
.LBB159_1002:
	s_mov_b32 s8, -1
                                        ; implicit-def: $vgpr3
.LBB159_1003:
	s_delay_alu instid0(SALU_CYCLE_1)
	s_and_not1_b32 vcc_lo, exec_lo, s8
	s_cbranch_vccnz .LBB159_1005
; %bb.1004:
	global_load_u8 v0, v[4:5], off
	s_wait_loadcnt 0x0
	v_cvt_f16_u16_e32 v3, v0
.LBB159_1005:
	v_mov_b32_e32 v6, 0
.LBB159_1006:
	s_or_b32 s0, s0, exec_lo
.LBB159_1007:
	s_wait_xcnt 0x0
	s_or_b32 exec_lo, exec_lo, s7
	s_mov_b32 s12, 0
	s_mov_b32 s11, 0
                                        ; implicit-def: $sgpr7
                                        ; implicit-def: $sgpr8
                                        ; implicit-def: $vgpr0_vgpr1
	s_and_saveexec_b32 s10, s0
	s_cbranch_execz .LBB159_1018
; %bb.1008:
	s_and_not1_b32 vcc_lo, exec_lo, s20
	s_cbranch_vccnz .LBB159_1022
; %bb.1009:
	s_wait_loadcnt 0x0
	v_cmp_neq_f16_e32 vcc_lo, s1, v3
	v_cmp_neq_f16_e64 s0, s9, v6
	s_or_b32 s7, vcc_lo, s0
	s_cbranch_execnz .LBB159_1011
.LBB159_1010:
	s_wait_loadcnt 0x0
	v_cmp_eq_f16_e32 vcc_lo, s1, v3
	v_cmp_eq_f16_e64 s0, s9, v6
	s_and_not1_b32 s1, s7, exec_lo
	s_and_b32 s0, vcc_lo, s0
	s_delay_alu instid0(SALU_CYCLE_1) | instskip(NEXT) | instid1(SALU_CYCLE_1)
	s_and_b32 s0, s0, exec_lo
	s_or_b32 s7, s1, s0
.LBB159_1011:
	s_wait_loadcnt 0x0
	v_mov_b32_e32 v3, 0
	s_and_b32 s8, s2, 0xff
	s_delay_alu instid0(SALU_CYCLE_1) | instskip(NEXT) | instid1(VALU_DEP_1)
	s_cmp_lt_i32 s8, 11
	v_add_nc_u64_e32 v[0:1], s[4:5], v[2:3]
	s_cbranch_scc1 .LBB159_1021
; %bb.1012:
	s_and_b32 s1, 0xffff, s8
	s_mov_b32 s2, -1
	s_cmp_gt_i32 s1, 25
	s_mov_b32 s0, s42
	s_cbranch_scc0 .LBB159_1050
; %bb.1013:
	s_cmp_gt_i32 s1, 28
	s_mov_b32 s0, s42
	s_cbranch_scc0 .LBB159_1034
; %bb.1014:
	;; [unrolled: 4-line block ×4, first 2 shown]
	s_cmp_eq_u32 s1, 46
	s_mov_b32 s0, -1
	s_cbranch_scc0 .LBB159_1023
; %bb.1017:
	v_cndmask_b32_e64 v2, 0, 1.0, s7
	s_mov_b32 s0, 0
	s_mov_b32 s2, 0
	s_delay_alu instid0(VALU_DEP_1) | instskip(NEXT) | instid1(VALU_DEP_1)
	v_bfe_u32 v3, v2, 16, 1
	v_add3_u32 v2, v2, v3, 0x7fff
	s_delay_alu instid0(VALU_DEP_1)
	v_lshrrev_b32_e32 v2, 16, v2
	global_store_b32 v[0:1], v2, off
	s_branch .LBB159_1024
.LBB159_1018:
	s_or_b32 exec_lo, exec_lo, s10
	s_and_saveexec_b32 s0, s42
	s_cbranch_execnz .LBB159_1092
.LBB159_1019:
	s_or_b32 exec_lo, exec_lo, s0
	s_and_saveexec_b32 s0, s12
	s_delay_alu instid0(SALU_CYCLE_1)
	s_xor_b32 s0, exec_lo, s0
	s_cbranch_execz .LBB159_1093
.LBB159_1020:
	v_cndmask_b32_e64 v2, 0, 1, s7
	s_wait_loadcnt 0x0
	global_store_b8 v[0:1], v2, off
	s_wait_xcnt 0x0
	s_or_b32 exec_lo, exec_lo, s0
	s_and_saveexec_b32 s0, s11
	s_delay_alu instid0(SALU_CYCLE_1)
	s_xor_b32 s0, exec_lo, s0
	s_cbranch_execz .LBB159_1131
	s_branch .LBB159_1094
.LBB159_1021:
	s_mov_b32 s4, 0
	s_mov_b32 s2, -1
	s_mov_b32 s0, s42
	s_branch .LBB159_1091
.LBB159_1022:
                                        ; implicit-def: $sgpr7
	s_branch .LBB159_1010
.LBB159_1023:
	s_mov_b32 s2, 0
.LBB159_1024:
	s_delay_alu instid0(SALU_CYCLE_1)
	s_and_b32 vcc_lo, exec_lo, s2
	s_cbranch_vccz .LBB159_1029
; %bb.1025:
	s_cmp_eq_u32 s1, 44
	s_mov_b32 s0, -1
	s_cbranch_scc0 .LBB159_1029
; %bb.1026:
	v_cndmask_b32_e64 v4, 0, 1.0, s7
	s_mov_b32 s2, exec_lo
	s_wait_xcnt 0x0
	s_delay_alu instid0(VALU_DEP_1) | instskip(NEXT) | instid1(VALU_DEP_1)
	v_dual_mov_b32 v3, 0xff :: v_dual_lshrrev_b32 v2, 23, v4
	v_cmpx_ne_u32_e32 0xff, v2
; %bb.1027:
	v_and_b32_e32 v3, 0x400000, v4
	v_and_or_b32 v4, 0x3fffff, v4, v2
	s_delay_alu instid0(VALU_DEP_2) | instskip(NEXT) | instid1(VALU_DEP_2)
	v_cmp_ne_u32_e32 vcc_lo, 0, v3
	v_cmp_ne_u32_e64 s0, 0, v4
	s_and_b32 s0, vcc_lo, s0
	s_delay_alu instid0(SALU_CYCLE_1) | instskip(NEXT) | instid1(VALU_DEP_1)
	v_cndmask_b32_e64 v3, 0, 1, s0
	v_add_nc_u32_e32 v3, v2, v3
; %bb.1028:
	s_or_b32 exec_lo, exec_lo, s2
	s_mov_b32 s0, 0
	global_store_b8 v[0:1], v3, off
.LBB159_1029:
	s_mov_b32 s2, 0
.LBB159_1030:
	s_delay_alu instid0(SALU_CYCLE_1)
	s_and_b32 vcc_lo, exec_lo, s2
	s_cbranch_vccz .LBB159_1033
; %bb.1031:
	s_cmp_eq_u32 s1, 29
	s_mov_b32 s0, -1
	s_cbranch_scc0 .LBB159_1033
; %bb.1032:
	s_mov_b32 s0, 0
	s_wait_xcnt 0x0
	v_cndmask_b32_e64 v2, 0, 1, s7
	v_mov_b32_e32 v3, s0
	s_mov_b32 s2, 0
	global_store_b64 v[0:1], v[2:3], off
	s_branch .LBB159_1034
.LBB159_1033:
	s_mov_b32 s2, 0
.LBB159_1034:
	s_delay_alu instid0(SALU_CYCLE_1)
	s_and_b32 vcc_lo, exec_lo, s2
	s_cbranch_vccz .LBB159_1049
; %bb.1035:
	s_cmp_lt_i32 s1, 27
	s_mov_b32 s2, -1
	s_cbranch_scc1 .LBB159_1041
; %bb.1036:
	s_cmp_gt_i32 s1, 27
	s_cbranch_scc0 .LBB159_1038
; %bb.1037:
	s_wait_xcnt 0x0
	v_cndmask_b32_e64 v2, 0, 1, s7
	s_mov_b32 s2, 0
	global_store_b32 v[0:1], v2, off
.LBB159_1038:
	s_and_not1_b32 vcc_lo, exec_lo, s2
	s_cbranch_vccnz .LBB159_1040
; %bb.1039:
	s_wait_xcnt 0x0
	v_cndmask_b32_e64 v2, 0, 1, s7
	global_store_b16 v[0:1], v2, off
.LBB159_1040:
	s_mov_b32 s2, 0
.LBB159_1041:
	s_delay_alu instid0(SALU_CYCLE_1)
	s_and_not1_b32 vcc_lo, exec_lo, s2
	s_cbranch_vccnz .LBB159_1049
; %bb.1042:
	s_wait_xcnt 0x0
	v_cndmask_b32_e64 v3, 0, 1.0, s7
	v_mov_b32_e32 v4, 0x80
	s_mov_b32 s2, exec_lo
	s_delay_alu instid0(VALU_DEP_2)
	v_cmpx_gt_u32_e32 0x43800000, v3
	s_cbranch_execz .LBB159_1048
; %bb.1043:
	s_mov_b32 s4, 0
	s_mov_b32 s5, exec_lo
                                        ; implicit-def: $vgpr2
	v_cmpx_lt_u32_e32 0x3bffffff, v3
	s_xor_b32 s5, exec_lo, s5
	s_cbranch_execz .LBB159_1206
; %bb.1044:
	v_bfe_u32 v2, v3, 20, 1
	s_mov_b32 s4, exec_lo
	s_delay_alu instid0(VALU_DEP_1) | instskip(NEXT) | instid1(VALU_DEP_1)
	v_add3_u32 v2, v3, v2, 0x487ffff
                                        ; implicit-def: $vgpr3
	v_lshrrev_b32_e32 v2, 20, v2
	s_and_not1_saveexec_b32 s5, s5
	s_cbranch_execnz .LBB159_1207
.LBB159_1045:
	s_or_b32 exec_lo, exec_lo, s5
	v_mov_b32_e32 v4, 0
	s_and_saveexec_b32 s5, s4
.LBB159_1046:
	v_mov_b32_e32 v4, v2
.LBB159_1047:
	s_or_b32 exec_lo, exec_lo, s5
.LBB159_1048:
	s_delay_alu instid0(SALU_CYCLE_1)
	s_or_b32 exec_lo, exec_lo, s2
	global_store_b8 v[0:1], v4, off
.LBB159_1049:
	s_mov_b32 s2, 0
.LBB159_1050:
	s_delay_alu instid0(SALU_CYCLE_1)
	s_and_b32 vcc_lo, exec_lo, s2
	s_mov_b32 s2, 0
	s_cbranch_vccz .LBB159_1090
; %bb.1051:
	s_cmp_gt_i32 s1, 22
	s_mov_b32 s4, -1
	s_cbranch_scc0 .LBB159_1083
; %bb.1052:
	s_cmp_lt_i32 s1, 24
	s_cbranch_scc1 .LBB159_1072
; %bb.1053:
	s_cmp_gt_i32 s1, 24
	s_cbranch_scc0 .LBB159_1061
; %bb.1054:
	s_wait_xcnt 0x0
	v_cndmask_b32_e64 v3, 0, 1.0, s7
	v_mov_b32_e32 v4, 0x80
	s_mov_b32 s4, exec_lo
	s_delay_alu instid0(VALU_DEP_2)
	v_cmpx_gt_u32_e32 0x47800000, v3
	s_cbranch_execz .LBB159_1060
; %bb.1055:
	s_mov_b32 s5, 0
	s_mov_b32 s9, exec_lo
                                        ; implicit-def: $vgpr2
	v_cmpx_lt_u32_e32 0x37ffffff, v3
	s_xor_b32 s9, exec_lo, s9
	s_cbranch_execz .LBB159_1341
; %bb.1056:
	v_bfe_u32 v2, v3, 21, 1
	s_mov_b32 s5, exec_lo
	s_delay_alu instid0(VALU_DEP_1) | instskip(NEXT) | instid1(VALU_DEP_1)
	v_add3_u32 v2, v3, v2, 0x88fffff
                                        ; implicit-def: $vgpr3
	v_lshrrev_b32_e32 v2, 21, v2
	s_and_not1_saveexec_b32 s9, s9
	s_cbranch_execnz .LBB159_1342
.LBB159_1057:
	s_or_b32 exec_lo, exec_lo, s9
	v_mov_b32_e32 v4, 0
	s_and_saveexec_b32 s9, s5
.LBB159_1058:
	v_mov_b32_e32 v4, v2
.LBB159_1059:
	s_or_b32 exec_lo, exec_lo, s9
.LBB159_1060:
	s_delay_alu instid0(SALU_CYCLE_1)
	s_or_b32 exec_lo, exec_lo, s4
	s_mov_b32 s4, 0
	global_store_b8 v[0:1], v4, off
.LBB159_1061:
	s_and_b32 vcc_lo, exec_lo, s4
	s_cbranch_vccz .LBB159_1071
; %bb.1062:
	s_wait_xcnt 0x0
	v_cndmask_b32_e64 v3, 0, 1.0, s7
	s_mov_b32 s4, exec_lo
                                        ; implicit-def: $vgpr2
	s_delay_alu instid0(VALU_DEP_1)
	v_cmpx_gt_u32_e32 0x43f00000, v3
	s_xor_b32 s4, exec_lo, s4
	s_cbranch_execz .LBB159_1068
; %bb.1063:
	s_mov_b32 s5, exec_lo
                                        ; implicit-def: $vgpr2
	v_cmpx_lt_u32_e32 0x3c7fffff, v3
	s_xor_b32 s5, exec_lo, s5
; %bb.1064:
	v_bfe_u32 v2, v3, 20, 1
	s_delay_alu instid0(VALU_DEP_1) | instskip(NEXT) | instid1(VALU_DEP_1)
	v_add3_u32 v2, v3, v2, 0x407ffff
	v_and_b32_e32 v3, 0xff00000, v2
	v_lshrrev_b32_e32 v2, 20, v2
	s_delay_alu instid0(VALU_DEP_2) | instskip(NEXT) | instid1(VALU_DEP_2)
	v_cmp_ne_u32_e32 vcc_lo, 0x7f00000, v3
                                        ; implicit-def: $vgpr3
	v_cndmask_b32_e32 v2, 0x7e, v2, vcc_lo
; %bb.1065:
	s_and_not1_saveexec_b32 s5, s5
; %bb.1066:
	v_add_f32_e32 v2, 0x46800000, v3
; %bb.1067:
	s_or_b32 exec_lo, exec_lo, s5
                                        ; implicit-def: $vgpr3
.LBB159_1068:
	s_and_not1_saveexec_b32 s4, s4
; %bb.1069:
	v_mov_b32_e32 v2, 0x7f
	v_cmp_lt_u32_e32 vcc_lo, 0x7f800000, v3
	s_delay_alu instid0(VALU_DEP_2)
	v_cndmask_b32_e32 v2, 0x7e, v2, vcc_lo
; %bb.1070:
	s_or_b32 exec_lo, exec_lo, s4
	global_store_b8 v[0:1], v2, off
.LBB159_1071:
	s_mov_b32 s4, 0
.LBB159_1072:
	s_delay_alu instid0(SALU_CYCLE_1)
	s_and_not1_b32 vcc_lo, exec_lo, s4
	s_cbranch_vccnz .LBB159_1082
; %bb.1073:
	s_wait_xcnt 0x0
	v_cndmask_b32_e64 v3, 0, 1.0, s7
	s_mov_b32 s4, exec_lo
                                        ; implicit-def: $vgpr2
	s_delay_alu instid0(VALU_DEP_1)
	v_cmpx_gt_u32_e32 0x47800000, v3
	s_xor_b32 s4, exec_lo, s4
	s_cbranch_execz .LBB159_1079
; %bb.1074:
	s_mov_b32 s5, exec_lo
                                        ; implicit-def: $vgpr2
	v_cmpx_lt_u32_e32 0x387fffff, v3
	s_xor_b32 s5, exec_lo, s5
; %bb.1075:
	v_bfe_u32 v2, v3, 21, 1
	s_delay_alu instid0(VALU_DEP_1) | instskip(NEXT) | instid1(VALU_DEP_1)
	v_add3_u32 v2, v3, v2, 0x80fffff
                                        ; implicit-def: $vgpr3
	v_lshrrev_b32_e32 v2, 21, v2
; %bb.1076:
	s_and_not1_saveexec_b32 s5, s5
; %bb.1077:
	v_add_f32_e32 v2, 0x43000000, v3
; %bb.1078:
	s_or_b32 exec_lo, exec_lo, s5
                                        ; implicit-def: $vgpr3
.LBB159_1079:
	s_and_not1_saveexec_b32 s4, s4
; %bb.1080:
	v_mov_b32_e32 v2, 0x7f
	v_cmp_lt_u32_e32 vcc_lo, 0x7f800000, v3
	s_delay_alu instid0(VALU_DEP_2)
	v_cndmask_b32_e32 v2, 0x7c, v2, vcc_lo
; %bb.1081:
	s_or_b32 exec_lo, exec_lo, s4
	global_store_b8 v[0:1], v2, off
.LBB159_1082:
	s_mov_b32 s4, 0
.LBB159_1083:
	s_delay_alu instid0(SALU_CYCLE_1)
	s_and_not1_b32 vcc_lo, exec_lo, s4
	s_mov_b32 s4, 0
	s_cbranch_vccnz .LBB159_1091
; %bb.1084:
	s_cmp_gt_i32 s1, 14
	s_mov_b32 s4, -1
	s_cbranch_scc0 .LBB159_1088
; %bb.1085:
	s_cmp_eq_u32 s1, 15
	s_mov_b32 s0, -1
	s_cbranch_scc0 .LBB159_1087
; %bb.1086:
	s_wait_xcnt 0x0
	v_cndmask_b32_e64 v2, 0, 1.0, s7
	s_mov_b32 s0, 0
	s_delay_alu instid0(VALU_DEP_1) | instskip(NEXT) | instid1(VALU_DEP_1)
	v_bfe_u32 v3, v2, 16, 1
	v_add3_u32 v2, v2, v3, 0x7fff
	global_store_d16_hi_b16 v[0:1], v2, off
.LBB159_1087:
	s_mov_b32 s4, 0
.LBB159_1088:
	s_delay_alu instid0(SALU_CYCLE_1)
	s_and_b32 vcc_lo, exec_lo, s4
	s_mov_b32 s4, 0
	s_cbranch_vccz .LBB159_1091
; %bb.1089:
	s_cmp_lg_u32 s1, 11
	s_mov_b32 s4, -1
	s_cselect_b32 s1, -1, 0
	s_and_not1_b32 s0, s0, exec_lo
	s_and_b32 s1, s1, exec_lo
	s_delay_alu instid0(SALU_CYCLE_1)
	s_or_b32 s0, s0, s1
	s_branch .LBB159_1091
.LBB159_1090:
	s_mov_b32 s4, 0
.LBB159_1091:
	s_and_not1_b32 s1, s42, exec_lo
	s_and_b32 s0, s0, exec_lo
	s_and_b32 s11, s2, exec_lo
	;; [unrolled: 1-line block ×3, first 2 shown]
	s_or_b32 s42, s1, s0
	s_wait_xcnt 0x0
	s_or_b32 exec_lo, exec_lo, s10
	s_and_saveexec_b32 s0, s42
	s_cbranch_execz .LBB159_1019
.LBB159_1092:
	s_or_b32 s6, s6, exec_lo
	s_and_not1_b32 s12, s12, exec_lo
	s_trap 2
	s_or_b32 exec_lo, exec_lo, s0
	s_and_saveexec_b32 s0, s12
	s_delay_alu instid0(SALU_CYCLE_1)
	s_xor_b32 s0, exec_lo, s0
	s_cbranch_execnz .LBB159_1020
.LBB159_1093:
	s_or_b32 exec_lo, exec_lo, s0
	s_and_saveexec_b32 s0, s11
	s_delay_alu instid0(SALU_CYCLE_1)
	s_xor_b32 s0, exec_lo, s0
	s_cbranch_execz .LBB159_1131
.LBB159_1094:
	s_sext_i32_i16 s2, s8
	s_mov_b32 s1, -1
	s_cmp_lt_i32 s2, 5
	s_cbranch_scc1 .LBB159_1115
; %bb.1095:
	s_cmp_lt_i32 s2, 8
	s_cbranch_scc1 .LBB159_1105
; %bb.1096:
	;; [unrolled: 3-line block ×3, first 2 shown]
	s_cmp_gt_i32 s2, 9
	s_cbranch_scc0 .LBB159_1099
; %bb.1098:
	v_cndmask_b32_e64 v2, 0, 1, s7
	v_mov_b32_e32 v4, 0
	s_mov_b32 s1, 0
	s_wait_loadcnt 0x0
	s_delay_alu instid0(VALU_DEP_2) | instskip(NEXT) | instid1(VALU_DEP_2)
	v_cvt_f64_u32_e32 v[2:3], v2
	v_mov_b32_e32 v5, v4
	global_store_b128 v[0:1], v[2:5], off
.LBB159_1099:
	s_and_not1_b32 vcc_lo, exec_lo, s1
	s_cbranch_vccnz .LBB159_1101
; %bb.1100:
	s_wait_xcnt 0x0
	v_cndmask_b32_e64 v2, 0, 1.0, s7
	s_wait_loadcnt 0x0
	v_mov_b32_e32 v3, 0
	global_store_b64 v[0:1], v[2:3], off
.LBB159_1101:
	s_mov_b32 s1, 0
.LBB159_1102:
	s_delay_alu instid0(SALU_CYCLE_1)
	s_and_not1_b32 vcc_lo, exec_lo, s1
	s_cbranch_vccnz .LBB159_1104
; %bb.1103:
	s_wait_xcnt 0x0
	v_cndmask_b32_e64 v2, 0, 1.0, s7
	s_delay_alu instid0(VALU_DEP_1) | instskip(NEXT) | instid1(VALU_DEP_1)
	v_cvt_f16_f32_e32 v2, v2
	v_and_b32_e32 v2, 0xffff, v2
	s_wait_loadcnt 0x0
	global_store_b32 v[0:1], v2, off
.LBB159_1104:
	s_mov_b32 s1, 0
.LBB159_1105:
	s_delay_alu instid0(SALU_CYCLE_1)
	s_and_not1_b32 vcc_lo, exec_lo, s1
	s_cbranch_vccnz .LBB159_1114
; %bb.1106:
	s_sext_i32_i16 s2, s8
	s_mov_b32 s1, -1
	s_cmp_lt_i32 s2, 6
	s_cbranch_scc1 .LBB159_1112
; %bb.1107:
	s_cmp_gt_i32 s2, 6
	s_cbranch_scc0 .LBB159_1109
; %bb.1108:
	s_wait_xcnt 0x0
	v_cndmask_b32_e64 v2, 0, 1, s7
	s_mov_b32 s1, 0
	s_wait_loadcnt 0x0
	s_delay_alu instid0(VALU_DEP_1)
	v_cvt_f64_u32_e32 v[2:3], v2
	global_store_b64 v[0:1], v[2:3], off
.LBB159_1109:
	s_and_not1_b32 vcc_lo, exec_lo, s1
	s_cbranch_vccnz .LBB159_1111
; %bb.1110:
	s_wait_xcnt 0x0
	v_cndmask_b32_e64 v2, 0, 1.0, s7
	s_wait_loadcnt 0x0
	global_store_b32 v[0:1], v2, off
.LBB159_1111:
	s_mov_b32 s1, 0
.LBB159_1112:
	s_delay_alu instid0(SALU_CYCLE_1)
	s_and_not1_b32 vcc_lo, exec_lo, s1
	s_cbranch_vccnz .LBB159_1114
; %bb.1113:
	s_wait_xcnt 0x0
	v_cndmask_b32_e64 v2, 0, 1.0, s7
	s_delay_alu instid0(VALU_DEP_1)
	v_cvt_f16_f32_e32 v2, v2
	s_wait_loadcnt 0x0
	global_store_b16 v[0:1], v2, off
.LBB159_1114:
	s_mov_b32 s1, 0
.LBB159_1115:
	s_delay_alu instid0(SALU_CYCLE_1)
	s_and_not1_b32 vcc_lo, exec_lo, s1
	s_cbranch_vccnz .LBB159_1131
; %bb.1116:
	s_sext_i32_i16 s2, s8
	s_mov_b32 s1, -1
	s_cmp_lt_i32 s2, 2
	s_cbranch_scc1 .LBB159_1126
; %bb.1117:
	s_cmp_lt_i32 s2, 3
	s_cbranch_scc1 .LBB159_1123
; %bb.1118:
	s_cmp_gt_i32 s2, 3
	s_cbranch_scc0 .LBB159_1120
; %bb.1119:
	s_mov_b32 s1, 0
	s_wait_xcnt 0x0
	v_cndmask_b32_e64 v2, 0, 1, s7
	s_wait_loadcnt 0x0
	v_mov_b32_e32 v3, s1
	global_store_b64 v[0:1], v[2:3], off
.LBB159_1120:
	s_and_not1_b32 vcc_lo, exec_lo, s1
	s_cbranch_vccnz .LBB159_1122
; %bb.1121:
	s_wait_xcnt 0x0
	v_cndmask_b32_e64 v2, 0, 1, s7
	s_wait_loadcnt 0x0
	global_store_b32 v[0:1], v2, off
.LBB159_1122:
	s_mov_b32 s1, 0
.LBB159_1123:
	s_delay_alu instid0(SALU_CYCLE_1)
	s_and_not1_b32 vcc_lo, exec_lo, s1
	s_cbranch_vccnz .LBB159_1125
; %bb.1124:
	s_wait_xcnt 0x0
	v_cndmask_b32_e64 v2, 0, 1, s7
	s_wait_loadcnt 0x0
	global_store_b16 v[0:1], v2, off
.LBB159_1125:
	s_mov_b32 s1, 0
.LBB159_1126:
	s_delay_alu instid0(SALU_CYCLE_1)
	s_and_not1_b32 vcc_lo, exec_lo, s1
	s_cbranch_vccnz .LBB159_1131
; %bb.1127:
	s_sext_i32_i16 s1, s8
	s_delay_alu instid0(SALU_CYCLE_1)
	s_cmp_gt_i32 s1, 0
	s_mov_b32 s1, -1
	s_cbranch_scc0 .LBB159_1129
; %bb.1128:
	s_wait_xcnt 0x0
	v_cndmask_b32_e64 v2, 0, 1, s7
	s_mov_b32 s1, 0
	s_wait_loadcnt 0x0
	global_store_b8 v[0:1], v2, off
.LBB159_1129:
	s_and_not1_b32 vcc_lo, exec_lo, s1
	s_cbranch_vccnz .LBB159_1131
; %bb.1130:
	s_wait_xcnt 0x0
	v_cndmask_b32_e64 v2, 0, 1, s7
	s_wait_loadcnt 0x0
	global_store_b8 v[0:1], v2, off
.LBB159_1131:
	s_wait_xcnt 0x0
	s_or_b32 exec_lo, exec_lo, s0
	s_delay_alu instid0(SALU_CYCLE_1)
	s_and_b32 s8, s6, exec_lo
                                        ; implicit-def: $vgpr9
                                        ; implicit-def: $vgpr0
.LBB159_1132:
	s_or_saveexec_b32 s9, s36
	s_mov_b32 s0, 0
                                        ; implicit-def: $sgpr6
                                        ; implicit-def: $vgpr2_vgpr3
                                        ; implicit-def: $sgpr1
	s_xor_b32 exec_lo, exec_lo, s9
	s_cbranch_execz .LBB159_1746
; %bb.1133:
	s_wait_loadcnt 0x0
	v_cndmask_b32_e64 v1, 0, 1, s35
	s_and_not1_b32 vcc_lo, exec_lo, s35
	s_cbranch_vccnz .LBB159_1139
; %bb.1134:
	s_cmp_lg_u32 s33, 0
	s_mov_b32 s6, 0
	s_cbranch_scc0 .LBB159_1140
; %bb.1135:
	s_min_u32 s1, s34, 15
	s_delay_alu instid0(SALU_CYCLE_1)
	s_add_co_i32 s1, s1, 1
	s_cmp_eq_u32 s34, 2
	s_cbranch_scc1 .LBB159_1141
; %bb.1136:
	v_dual_mov_b32 v6, 0 :: v_dual_mov_b32 v14, 0
	v_mov_b32_e32 v2, v0
	s_and_b32 s0, s1, 28
	s_add_nc_u64 s[2:3], s[16:17], 0xc4
	s_mov_b32 s7, 0
	s_mov_b64 s[4:5], s[16:17]
.LBB159_1137:                           ; =>This Inner Loop Header: Depth=1
	s_clause 0x1
	s_load_b256 s[20:27], s[4:5], 0x4
	s_load_b128 s[12:15], s[4:5], 0x24
	s_load_b256 s[36:43], s[2:3], 0x0
	s_add_co_i32 s7, s7, 4
	s_wait_xcnt 0x0
	s_add_nc_u64 s[4:5], s[4:5], 48
	s_cmp_lg_u32 s0, s7
	s_add_nc_u64 s[2:3], s[2:3], 32
	s_wait_kmcnt 0x0
	v_mul_hi_u32 v3, s21, v2
	s_delay_alu instid0(VALU_DEP_1) | instskip(NEXT) | instid1(VALU_DEP_1)
	v_add_nc_u32_e32 v3, v2, v3
	v_lshrrev_b32_e32 v3, s22, v3
	s_delay_alu instid0(VALU_DEP_1) | instskip(NEXT) | instid1(VALU_DEP_1)
	v_mul_hi_u32 v4, s24, v3
	v_add_nc_u32_e32 v4, v3, v4
	s_delay_alu instid0(VALU_DEP_1) | instskip(NEXT) | instid1(VALU_DEP_1)
	v_lshrrev_b32_e32 v4, s25, v4
	v_mul_hi_u32 v5, s27, v4
	s_delay_alu instid0(VALU_DEP_1) | instskip(SKIP_1) | instid1(VALU_DEP_1)
	v_add_nc_u32_e32 v5, v4, v5
	v_mul_lo_u32 v7, v3, s20
	v_sub_nc_u32_e32 v2, v2, v7
	v_mul_lo_u32 v7, v4, s23
	s_delay_alu instid0(VALU_DEP_4) | instskip(NEXT) | instid1(VALU_DEP_3)
	v_lshrrev_b32_e32 v5, s12, v5
	v_mad_u32 v10, v2, s37, v14
	v_mad_u32 v2, v2, s36, v6
	s_delay_alu instid0(VALU_DEP_4) | instskip(NEXT) | instid1(VALU_DEP_4)
	v_sub_nc_u32_e32 v3, v3, v7
	v_mul_hi_u32 v8, s14, v5
	v_mul_lo_u32 v6, v5, s26
	s_delay_alu instid0(VALU_DEP_1) | instskip(NEXT) | instid1(VALU_DEP_4)
	v_dual_add_nc_u32 v7, v5, v8 :: v_dual_sub_nc_u32 v4, v4, v6
	v_mad_u32 v8, v3, s39, v10
	v_mad_u32 v3, v3, s38, v2
	s_delay_alu instid0(VALU_DEP_3) | instskip(NEXT) | instid1(VALU_DEP_1)
	v_lshrrev_b32_e32 v2, s15, v7
	v_mul_lo_u32 v6, v2, s13
	s_delay_alu instid0(VALU_DEP_4) | instskip(NEXT) | instid1(VALU_DEP_4)
	v_mad_u32 v7, v4, s41, v8
	v_mad_u32 v3, v4, s40, v3
	s_delay_alu instid0(VALU_DEP_3) | instskip(NEXT) | instid1(VALU_DEP_1)
	v_sub_nc_u32_e32 v4, v5, v6
	v_mad_u32 v14, v4, s43, v7
	s_delay_alu instid0(VALU_DEP_3)
	v_mad_u32 v6, v4, s42, v3
	s_cbranch_scc1 .LBB159_1137
; %bb.1138:
	s_delay_alu instid0(VALU_DEP_2)
	v_mov_b32_e32 v7, v14
	s_and_b32 s4, s1, 3
	s_mov_b32 s1, 0
	s_cmp_eq_u32 s4, 0
	s_cbranch_scc0 .LBB159_1142
	s_branch .LBB159_1145
.LBB159_1139:
	s_mov_b32 s6, -1
                                        ; implicit-def: $vgpr14
                                        ; implicit-def: $vgpr6
	s_branch .LBB159_1145
.LBB159_1140:
	v_dual_mov_b32 v14, 0 :: v_dual_mov_b32 v6, 0
	s_branch .LBB159_1145
.LBB159_1141:
	v_mov_b64_e32 v[6:7], 0
	v_mov_b32_e32 v2, v0
                                        ; implicit-def: $vgpr14
	s_and_b32 s4, s1, 3
	s_mov_b32 s1, 0
	s_cmp_eq_u32 s4, 0
	s_cbranch_scc1 .LBB159_1145
.LBB159_1142:
	s_lshl_b32 s2, s0, 3
	s_mov_b32 s3, s1
	s_mul_u64 s[10:11], s[0:1], 12
	s_add_nc_u64 s[2:3], s[16:17], s[2:3]
	s_delay_alu instid0(SALU_CYCLE_1)
	s_add_nc_u64 s[0:1], s[2:3], 0xc4
	s_add_nc_u64 s[2:3], s[16:17], s[10:11]
.LBB159_1143:                           ; =>This Inner Loop Header: Depth=1
	s_load_b96 s[12:14], s[2:3], 0x4
	s_load_b64 s[10:11], s[0:1], 0x0
	s_add_co_i32 s4, s4, -1
	s_wait_xcnt 0x0
	s_add_nc_u64 s[2:3], s[2:3], 12
	s_cmp_lg_u32 s4, 0
	s_add_nc_u64 s[0:1], s[0:1], 8
	s_wait_kmcnt 0x0
	v_mul_hi_u32 v3, s13, v2
	s_delay_alu instid0(VALU_DEP_1) | instskip(NEXT) | instid1(VALU_DEP_1)
	v_add_nc_u32_e32 v3, v2, v3
	v_lshrrev_b32_e32 v3, s14, v3
	s_delay_alu instid0(VALU_DEP_1) | instskip(NEXT) | instid1(VALU_DEP_1)
	v_mul_lo_u32 v4, v3, s12
	v_sub_nc_u32_e32 v2, v2, v4
	s_delay_alu instid0(VALU_DEP_1)
	v_mad_u32 v7, v2, s11, v7
	v_mad_u32 v6, v2, s10, v6
	v_mov_b32_e32 v2, v3
	s_cbranch_scc1 .LBB159_1143
; %bb.1144:
	s_delay_alu instid0(VALU_DEP_3)
	v_mov_b32_e32 v14, v7
.LBB159_1145:
	s_and_not1_b32 vcc_lo, exec_lo, s6
	s_cbranch_vccnz .LBB159_1148
; %bb.1146:
	s_clause 0x1
	s_load_b96 s[0:2], s[16:17], 0x4
	s_load_b64 s[4:5], s[16:17], 0xc4
	s_cmp_lt_u32 s33, 2
	s_wait_kmcnt 0x0
	v_mul_hi_u32 v2, s1, v0
	s_delay_alu instid0(VALU_DEP_1) | instskip(NEXT) | instid1(VALU_DEP_1)
	v_add_nc_u32_e32 v2, v0, v2
	v_lshrrev_b32_e32 v2, s2, v2
	s_delay_alu instid0(VALU_DEP_1) | instskip(NEXT) | instid1(VALU_DEP_1)
	v_mul_lo_u32 v3, v2, s0
	v_sub_nc_u32_e32 v3, v0, v3
	s_delay_alu instid0(VALU_DEP_1)
	v_mul_lo_u32 v14, v3, s5
	v_mul_lo_u32 v6, v3, s4
	s_cbranch_scc1 .LBB159_1148
; %bb.1147:
	s_clause 0x1
	s_load_b96 s[0:2], s[16:17], 0x10
	s_load_b64 s[4:5], s[16:17], 0xcc
	s_wait_kmcnt 0x0
	v_mul_hi_u32 v3, s1, v2
	s_delay_alu instid0(VALU_DEP_1) | instskip(NEXT) | instid1(VALU_DEP_1)
	v_add_nc_u32_e32 v3, v2, v3
	v_lshrrev_b32_e32 v3, s2, v3
	s_delay_alu instid0(VALU_DEP_1) | instskip(NEXT) | instid1(VALU_DEP_1)
	v_mul_lo_u32 v3, v3, s0
	v_sub_nc_u32_e32 v2, v2, v3
	s_delay_alu instid0(VALU_DEP_1)
	v_mad_u32 v6, v2, s4, v6
	v_mad_u32 v14, v2, s5, v14
.LBB159_1148:
	v_cmp_ne_u32_e32 vcc_lo, 1, v1
	v_add_nc_u32_e32 v2, 0x80, v0
	s_cbranch_vccnz .LBB159_1154
; %bb.1149:
	s_cmp_lg_u32 s33, 0
	s_mov_b32 s6, 0
	s_cbranch_scc0 .LBB159_1155
; %bb.1150:
	s_min_u32 s1, s34, 15
	s_delay_alu instid0(SALU_CYCLE_1)
	s_add_co_i32 s1, s1, 1
	s_cmp_eq_u32 s34, 2
	s_cbranch_scc1 .LBB159_1156
; %bb.1151:
	v_dual_mov_b32 v4, 0 :: v_dual_mov_b32 v12, 0
	v_mov_b32_e32 v3, v2
	s_and_b32 s0, s1, 28
	s_add_nc_u64 s[2:3], s[16:17], 0xc4
	s_mov_b32 s7, 0
	s_mov_b64 s[4:5], s[16:17]
.LBB159_1152:                           ; =>This Inner Loop Header: Depth=1
	s_clause 0x1
	s_load_b256 s[20:27], s[4:5], 0x4
	s_load_b128 s[12:15], s[4:5], 0x24
	s_load_b256 s[36:43], s[2:3], 0x0
	s_add_co_i32 s7, s7, 4
	s_wait_xcnt 0x0
	s_add_nc_u64 s[4:5], s[4:5], 48
	s_cmp_lg_u32 s0, s7
	s_add_nc_u64 s[2:3], s[2:3], 32
	s_wait_kmcnt 0x0
	v_mul_hi_u32 v5, s21, v3
	s_delay_alu instid0(VALU_DEP_1) | instskip(NEXT) | instid1(VALU_DEP_1)
	v_add_nc_u32_e32 v5, v3, v5
	v_lshrrev_b32_e32 v5, s22, v5
	s_delay_alu instid0(VALU_DEP_1) | instskip(NEXT) | instid1(VALU_DEP_1)
	v_mul_hi_u32 v7, s24, v5
	v_add_nc_u32_e32 v7, v5, v7
	s_delay_alu instid0(VALU_DEP_1) | instskip(NEXT) | instid1(VALU_DEP_1)
	v_lshrrev_b32_e32 v7, s25, v7
	v_mul_hi_u32 v8, s27, v7
	s_delay_alu instid0(VALU_DEP_1) | instskip(SKIP_1) | instid1(VALU_DEP_1)
	v_add_nc_u32_e32 v8, v7, v8
	v_mul_lo_u32 v10, v5, s20
	v_sub_nc_u32_e32 v3, v3, v10
	v_mul_lo_u32 v10, v7, s23
	s_delay_alu instid0(VALU_DEP_4) | instskip(NEXT) | instid1(VALU_DEP_3)
	v_lshrrev_b32_e32 v8, s12, v8
	v_mad_u32 v12, v3, s37, v12
	v_mad_u32 v3, v3, s36, v4
	s_delay_alu instid0(VALU_DEP_4) | instskip(NEXT) | instid1(VALU_DEP_4)
	v_sub_nc_u32_e32 v4, v5, v10
	v_mul_hi_u32 v11, s14, v8
	v_mul_lo_u32 v5, v8, s26
	s_delay_alu instid0(VALU_DEP_1) | instskip(NEXT) | instid1(VALU_DEP_4)
	v_dual_add_nc_u32 v10, v8, v11 :: v_dual_sub_nc_u32 v5, v7, v5
	v_mad_u32 v11, v4, s39, v12
	v_mad_u32 v4, v4, s38, v3
	s_delay_alu instid0(VALU_DEP_3) | instskip(NEXT) | instid1(VALU_DEP_1)
	v_lshrrev_b32_e32 v3, s15, v10
	v_mul_lo_u32 v7, v3, s13
	s_delay_alu instid0(VALU_DEP_4) | instskip(NEXT) | instid1(VALU_DEP_4)
	v_mad_u32 v10, v5, s41, v11
	v_mad_u32 v4, v5, s40, v4
	s_delay_alu instid0(VALU_DEP_3) | instskip(NEXT) | instid1(VALU_DEP_1)
	v_sub_nc_u32_e32 v5, v8, v7
	v_mad_u32 v12, v5, s43, v10
	s_delay_alu instid0(VALU_DEP_3)
	v_mad_u32 v4, v5, s42, v4
	s_cbranch_scc1 .LBB159_1152
; %bb.1153:
	s_delay_alu instid0(VALU_DEP_2)
	v_mov_b32_e32 v5, v12
	s_and_b32 s4, s1, 3
	s_mov_b32 s1, 0
	s_cmp_eq_u32 s4, 0
	s_cbranch_scc0 .LBB159_1157
	s_branch .LBB159_1160
.LBB159_1154:
	s_mov_b32 s6, -1
                                        ; implicit-def: $vgpr12
                                        ; implicit-def: $vgpr4
	s_branch .LBB159_1160
.LBB159_1155:
	v_dual_mov_b32 v12, 0 :: v_dual_mov_b32 v4, 0
	s_branch .LBB159_1160
.LBB159_1156:
	v_mov_b64_e32 v[4:5], 0
	v_mov_b32_e32 v3, v2
	s_mov_b32 s0, 0
                                        ; implicit-def: $vgpr12
	s_and_b32 s4, s1, 3
	s_mov_b32 s1, 0
	s_cmp_eq_u32 s4, 0
	s_cbranch_scc1 .LBB159_1160
.LBB159_1157:
	s_lshl_b32 s2, s0, 3
	s_mov_b32 s3, s1
	s_mul_u64 s[10:11], s[0:1], 12
	s_add_nc_u64 s[2:3], s[16:17], s[2:3]
	s_delay_alu instid0(SALU_CYCLE_1)
	s_add_nc_u64 s[0:1], s[2:3], 0xc4
	s_add_nc_u64 s[2:3], s[16:17], s[10:11]
.LBB159_1158:                           ; =>This Inner Loop Header: Depth=1
	s_load_b96 s[12:14], s[2:3], 0x4
	s_load_b64 s[10:11], s[0:1], 0x0
	s_add_co_i32 s4, s4, -1
	s_wait_xcnt 0x0
	s_add_nc_u64 s[2:3], s[2:3], 12
	s_cmp_lg_u32 s4, 0
	s_add_nc_u64 s[0:1], s[0:1], 8
	s_wait_kmcnt 0x0
	v_mul_hi_u32 v7, s13, v3
	s_delay_alu instid0(VALU_DEP_1) | instskip(NEXT) | instid1(VALU_DEP_1)
	v_add_nc_u32_e32 v7, v3, v7
	v_lshrrev_b32_e32 v7, s14, v7
	s_delay_alu instid0(VALU_DEP_1) | instskip(NEXT) | instid1(VALU_DEP_1)
	v_mul_lo_u32 v8, v7, s12
	v_sub_nc_u32_e32 v3, v3, v8
	s_delay_alu instid0(VALU_DEP_1)
	v_mad_u32 v5, v3, s11, v5
	v_mad_u32 v4, v3, s10, v4
	v_mov_b32_e32 v3, v7
	s_cbranch_scc1 .LBB159_1158
; %bb.1159:
	s_delay_alu instid0(VALU_DEP_3)
	v_mov_b32_e32 v12, v5
.LBB159_1160:
	s_and_not1_b32 vcc_lo, exec_lo, s6
	s_cbranch_vccnz .LBB159_1163
; %bb.1161:
	s_clause 0x1
	s_load_b96 s[0:2], s[16:17], 0x4
	s_load_b64 s[4:5], s[16:17], 0xc4
	s_cmp_lt_u32 s33, 2
	s_wait_kmcnt 0x0
	v_mul_hi_u32 v3, s1, v2
	s_delay_alu instid0(VALU_DEP_1) | instskip(NEXT) | instid1(VALU_DEP_1)
	v_add_nc_u32_e32 v3, v2, v3
	v_lshrrev_b32_e32 v3, s2, v3
	s_delay_alu instid0(VALU_DEP_1) | instskip(NEXT) | instid1(VALU_DEP_1)
	v_mul_lo_u32 v4, v3, s0
	v_sub_nc_u32_e32 v2, v2, v4
	s_delay_alu instid0(VALU_DEP_1)
	v_mul_lo_u32 v12, v2, s5
	v_mul_lo_u32 v4, v2, s4
	s_cbranch_scc1 .LBB159_1163
; %bb.1162:
	s_clause 0x1
	s_load_b96 s[0:2], s[16:17], 0x10
	s_load_b64 s[4:5], s[16:17], 0xcc
	s_wait_kmcnt 0x0
	v_mul_hi_u32 v2, s1, v3
	s_delay_alu instid0(VALU_DEP_1) | instskip(NEXT) | instid1(VALU_DEP_1)
	v_add_nc_u32_e32 v2, v3, v2
	v_lshrrev_b32_e32 v2, s2, v2
	s_delay_alu instid0(VALU_DEP_1) | instskip(NEXT) | instid1(VALU_DEP_1)
	v_mul_lo_u32 v2, v2, s0
	v_sub_nc_u32_e32 v2, v3, v2
	s_delay_alu instid0(VALU_DEP_1)
	v_mad_u32 v4, v2, s4, v4
	v_mad_u32 v12, v2, s5, v12
.LBB159_1163:
	v_cmp_ne_u32_e32 vcc_lo, 1, v1
	v_add_nc_u32_e32 v0, 0x100, v0
	s_cbranch_vccnz .LBB159_1169
; %bb.1164:
	s_cmp_lg_u32 s33, 0
	s_mov_b32 s6, 0
	s_cbranch_scc0 .LBB159_1170
; %bb.1165:
	s_min_u32 s1, s34, 15
	s_delay_alu instid0(SALU_CYCLE_1)
	s_add_co_i32 s1, s1, 1
	s_cmp_eq_u32 s34, 2
	s_cbranch_scc1 .LBB159_1171
; %bb.1166:
	v_dual_mov_b32 v2, 0 :: v_dual_mov_b32 v10, 0
	v_mov_b32_e32 v5, v0
	s_and_b32 s0, s1, 28
	s_add_nc_u64 s[2:3], s[16:17], 0xc4
	s_mov_b32 s7, 0
	s_mov_b64 s[4:5], s[16:17]
.LBB159_1167:                           ; =>This Inner Loop Header: Depth=1
	s_clause 0x1
	s_load_b256 s[20:27], s[4:5], 0x4
	s_load_b128 s[12:15], s[4:5], 0x24
	s_load_b256 s[36:43], s[2:3], 0x0
	s_add_co_i32 s7, s7, 4
	s_wait_xcnt 0x0
	s_add_nc_u64 s[4:5], s[4:5], 48
	s_cmp_lg_u32 s0, s7
	s_add_nc_u64 s[2:3], s[2:3], 32
	s_wait_kmcnt 0x0
	v_mul_hi_u32 v3, s21, v5
	s_delay_alu instid0(VALU_DEP_1) | instskip(NEXT) | instid1(VALU_DEP_1)
	v_add_nc_u32_e32 v3, v5, v3
	v_lshrrev_b32_e32 v3, s22, v3
	s_delay_alu instid0(VALU_DEP_1) | instskip(NEXT) | instid1(VALU_DEP_1)
	v_mul_hi_u32 v7, s24, v3
	v_add_nc_u32_e32 v7, v3, v7
	s_delay_alu instid0(VALU_DEP_1) | instskip(NEXT) | instid1(VALU_DEP_1)
	v_lshrrev_b32_e32 v7, s25, v7
	v_mul_hi_u32 v8, s27, v7
	s_delay_alu instid0(VALU_DEP_1) | instskip(NEXT) | instid1(VALU_DEP_1)
	v_add_nc_u32_e32 v8, v7, v8
	v_lshrrev_b32_e32 v8, s12, v8
	v_mul_lo_u32 v11, v3, s20
	s_delay_alu instid0(VALU_DEP_2) | instskip(NEXT) | instid1(VALU_DEP_2)
	v_mul_hi_u32 v13, s14, v8
	v_sub_nc_u32_e32 v5, v5, v11
	s_delay_alu instid0(VALU_DEP_1) | instskip(SKIP_1) | instid1(VALU_DEP_4)
	v_mad_u32 v10, v5, s37, v10
	v_mad_u32 v2, v5, s36, v2
	v_add_nc_u32_e32 v5, v8, v13
	s_delay_alu instid0(VALU_DEP_1) | instskip(SKIP_1) | instid1(VALU_DEP_1)
	v_lshrrev_b32_e32 v5, s15, v5
	v_mul_lo_u32 v11, v7, s23
	v_sub_nc_u32_e32 v3, v3, v11
	v_mul_lo_u32 v11, v8, s26
	s_delay_alu instid0(VALU_DEP_2) | instskip(SKIP_1) | instid1(VALU_DEP_3)
	v_mad_u32 v10, v3, s39, v10
	v_mad_u32 v2, v3, s38, v2
	v_sub_nc_u32_e32 v3, v7, v11
	v_mul_lo_u32 v7, v5, s13
	s_delay_alu instid0(VALU_DEP_2) | instskip(NEXT) | instid1(VALU_DEP_4)
	v_mad_u32 v10, v3, s41, v10
	v_mad_u32 v2, v3, s40, v2
	s_delay_alu instid0(VALU_DEP_3) | instskip(NEXT) | instid1(VALU_DEP_1)
	v_sub_nc_u32_e32 v3, v8, v7
	v_mad_u32 v10, v3, s43, v10
	s_delay_alu instid0(VALU_DEP_3)
	v_mad_u32 v2, v3, s42, v2
	s_cbranch_scc1 .LBB159_1167
; %bb.1168:
	s_delay_alu instid0(VALU_DEP_2)
	v_mov_b32_e32 v3, v10
	s_and_b32 s4, s1, 3
	s_mov_b32 s1, 0
	s_cmp_eq_u32 s4, 0
	s_cbranch_scc0 .LBB159_1172
	s_branch .LBB159_1175
.LBB159_1169:
	s_mov_b32 s6, -1
                                        ; implicit-def: $vgpr10
                                        ; implicit-def: $vgpr2
	s_branch .LBB159_1175
.LBB159_1170:
	v_dual_mov_b32 v10, 0 :: v_dual_mov_b32 v2, 0
	s_branch .LBB159_1175
.LBB159_1171:
	v_mov_b64_e32 v[2:3], 0
	v_mov_b32_e32 v5, v0
	s_mov_b32 s0, 0
                                        ; implicit-def: $vgpr10
	s_and_b32 s4, s1, 3
	s_mov_b32 s1, 0
	s_cmp_eq_u32 s4, 0
	s_cbranch_scc1 .LBB159_1175
.LBB159_1172:
	s_lshl_b32 s2, s0, 3
	s_mov_b32 s3, s1
	s_mul_u64 s[10:11], s[0:1], 12
	s_add_nc_u64 s[2:3], s[16:17], s[2:3]
	s_delay_alu instid0(SALU_CYCLE_1)
	s_add_nc_u64 s[0:1], s[2:3], 0xc4
	s_add_nc_u64 s[2:3], s[16:17], s[10:11]
.LBB159_1173:                           ; =>This Inner Loop Header: Depth=1
	s_load_b96 s[12:14], s[2:3], 0x4
	s_load_b64 s[10:11], s[0:1], 0x0
	s_add_co_i32 s4, s4, -1
	s_wait_xcnt 0x0
	s_add_nc_u64 s[2:3], s[2:3], 12
	s_cmp_lg_u32 s4, 0
	s_add_nc_u64 s[0:1], s[0:1], 8
	s_wait_kmcnt 0x0
	v_mul_hi_u32 v7, s13, v5
	s_delay_alu instid0(VALU_DEP_1) | instskip(NEXT) | instid1(VALU_DEP_1)
	v_add_nc_u32_e32 v7, v5, v7
	v_lshrrev_b32_e32 v7, s14, v7
	s_delay_alu instid0(VALU_DEP_1) | instskip(NEXT) | instid1(VALU_DEP_1)
	v_mul_lo_u32 v8, v7, s12
	v_sub_nc_u32_e32 v5, v5, v8
	s_delay_alu instid0(VALU_DEP_1)
	v_mad_u32 v3, v5, s11, v3
	v_mad_u32 v2, v5, s10, v2
	v_mov_b32_e32 v5, v7
	s_cbranch_scc1 .LBB159_1173
; %bb.1174:
	s_delay_alu instid0(VALU_DEP_3)
	v_mov_b32_e32 v10, v3
.LBB159_1175:
	s_and_not1_b32 vcc_lo, exec_lo, s6
	s_cbranch_vccnz .LBB159_1178
; %bb.1176:
	s_clause 0x1
	s_load_b96 s[0:2], s[16:17], 0x4
	s_load_b64 s[4:5], s[16:17], 0xc4
	s_cmp_lt_u32 s33, 2
	s_wait_kmcnt 0x0
	v_mul_hi_u32 v2, s1, v0
	s_delay_alu instid0(VALU_DEP_1) | instskip(NEXT) | instid1(VALU_DEP_1)
	v_add_nc_u32_e32 v2, v0, v2
	v_lshrrev_b32_e32 v3, s2, v2
	s_delay_alu instid0(VALU_DEP_1) | instskip(NEXT) | instid1(VALU_DEP_1)
	v_mul_lo_u32 v2, v3, s0
	v_sub_nc_u32_e32 v0, v0, v2
	s_delay_alu instid0(VALU_DEP_1)
	v_mul_lo_u32 v10, v0, s5
	v_mul_lo_u32 v2, v0, s4
	s_cbranch_scc1 .LBB159_1178
; %bb.1177:
	s_clause 0x1
	s_load_b96 s[0:2], s[16:17], 0x10
	s_load_b64 s[4:5], s[16:17], 0xcc
	s_wait_kmcnt 0x0
	v_mul_hi_u32 v0, s1, v3
	s_delay_alu instid0(VALU_DEP_1) | instskip(NEXT) | instid1(VALU_DEP_1)
	v_add_nc_u32_e32 v0, v3, v0
	v_lshrrev_b32_e32 v0, s2, v0
	s_delay_alu instid0(VALU_DEP_1) | instskip(NEXT) | instid1(VALU_DEP_1)
	v_mul_lo_u32 v0, v0, s0
	v_sub_nc_u32_e32 v0, v3, v0
	s_delay_alu instid0(VALU_DEP_1)
	v_mad_u32 v2, v0, s4, v2
	v_mad_u32 v10, v0, s5, v10
.LBB159_1178:
	v_cmp_ne_u32_e32 vcc_lo, 1, v1
	s_cbranch_vccnz .LBB159_1184
; %bb.1179:
	s_cmp_lg_u32 s33, 0
	s_mov_b32 s6, 0
	s_cbranch_scc0 .LBB159_1185
; %bb.1180:
	s_min_u32 s1, s34, 15
	s_delay_alu instid0(SALU_CYCLE_1)
	s_add_co_i32 s1, s1, 1
	s_cmp_eq_u32 s34, 2
	s_cbranch_scc1 .LBB159_1186
; %bb.1181:
	v_dual_mov_b32 v0, 0 :: v_dual_mov_b32 v8, 0
	v_mov_b32_e32 v3, v9
	s_and_b32 s0, s1, 28
	s_add_nc_u64 s[2:3], s[16:17], 0xc4
	s_mov_b32 s7, 0
	s_mov_b64 s[4:5], s[16:17]
.LBB159_1182:                           ; =>This Inner Loop Header: Depth=1
	s_clause 0x1
	s_load_b256 s[20:27], s[4:5], 0x4
	s_load_b128 s[12:15], s[4:5], 0x24
	s_load_b256 s[36:43], s[2:3], 0x0
	s_add_co_i32 s7, s7, 4
	s_wait_xcnt 0x0
	s_add_nc_u64 s[4:5], s[4:5], 48
	s_cmp_lg_u32 s0, s7
	s_add_nc_u64 s[2:3], s[2:3], 32
	s_wait_kmcnt 0x0
	v_mul_hi_u32 v1, s21, v3
	s_delay_alu instid0(VALU_DEP_1) | instskip(NEXT) | instid1(VALU_DEP_1)
	v_add_nc_u32_e32 v1, v3, v1
	v_lshrrev_b32_e32 v1, s22, v1
	s_delay_alu instid0(VALU_DEP_1) | instskip(NEXT) | instid1(VALU_DEP_1)
	v_mul_lo_u32 v11, v1, s20
	v_sub_nc_u32_e32 v3, v3, v11
	v_mul_hi_u32 v5, s24, v1
	s_delay_alu instid0(VALU_DEP_2) | instskip(SKIP_1) | instid1(VALU_DEP_3)
	v_mad_u32 v8, v3, s37, v8
	v_mad_u32 v0, v3, s36, v0
	v_add_nc_u32_e32 v5, v1, v5
	s_delay_alu instid0(VALU_DEP_1) | instskip(NEXT) | instid1(VALU_DEP_1)
	v_lshrrev_b32_e32 v5, s25, v5
	v_mul_lo_u32 v11, v5, s23
	s_delay_alu instid0(VALU_DEP_1) | instskip(SKIP_1) | instid1(VALU_DEP_2)
	v_sub_nc_u32_e32 v1, v1, v11
	v_mul_hi_u32 v7, s27, v5
	v_mad_u32 v8, v1, s39, v8
	v_mad_u32 v0, v1, s38, v0
	s_delay_alu instid0(VALU_DEP_3) | instskip(NEXT) | instid1(VALU_DEP_1)
	v_add_nc_u32_e32 v7, v5, v7
	v_lshrrev_b32_e32 v7, s12, v7
	s_delay_alu instid0(VALU_DEP_1) | instskip(SKIP_1) | instid1(VALU_DEP_1)
	v_mul_hi_u32 v13, s14, v7
	v_mul_lo_u32 v11, v7, s26
	v_dual_add_nc_u32 v3, v7, v13 :: v_dual_sub_nc_u32 v1, v5, v11
	s_delay_alu instid0(VALU_DEP_1) | instskip(NEXT) | instid1(VALU_DEP_2)
	v_lshrrev_b32_e32 v3, s15, v3
	v_mad_u32 v8, v1, s41, v8
	v_mad_u32 v0, v1, s40, v0
	s_delay_alu instid0(VALU_DEP_3) | instskip(NEXT) | instid1(VALU_DEP_1)
	v_mul_lo_u32 v5, v3, s13
	v_sub_nc_u32_e32 v1, v7, v5
	s_delay_alu instid0(VALU_DEP_1) | instskip(NEXT) | instid1(VALU_DEP_4)
	v_mad_u32 v8, v1, s43, v8
	v_mad_u32 v0, v1, s42, v0
	s_cbranch_scc1 .LBB159_1182
; %bb.1183:
	s_delay_alu instid0(VALU_DEP_2)
	v_mov_b32_e32 v1, v8
	s_and_b32 s4, s1, 3
	s_mov_b32 s1, 0
	s_cmp_eq_u32 s4, 0
	s_cbranch_scc0 .LBB159_1187
	s_branch .LBB159_1190
.LBB159_1184:
	s_mov_b32 s6, -1
                                        ; implicit-def: $vgpr8
                                        ; implicit-def: $vgpr0
	s_branch .LBB159_1190
.LBB159_1185:
	v_dual_mov_b32 v8, 0 :: v_dual_mov_b32 v0, 0
	s_branch .LBB159_1190
.LBB159_1186:
	v_mov_b64_e32 v[0:1], 0
	v_mov_b32_e32 v3, v9
	s_mov_b32 s0, 0
                                        ; implicit-def: $vgpr8
	s_and_b32 s4, s1, 3
	s_mov_b32 s1, 0
	s_cmp_eq_u32 s4, 0
	s_cbranch_scc1 .LBB159_1190
.LBB159_1187:
	s_lshl_b32 s2, s0, 3
	s_mov_b32 s3, s1
	s_mul_u64 s[10:11], s[0:1], 12
	s_add_nc_u64 s[2:3], s[16:17], s[2:3]
	s_delay_alu instid0(SALU_CYCLE_1)
	s_add_nc_u64 s[0:1], s[2:3], 0xc4
	s_add_nc_u64 s[2:3], s[16:17], s[10:11]
.LBB159_1188:                           ; =>This Inner Loop Header: Depth=1
	s_load_b96 s[12:14], s[2:3], 0x4
	s_load_b64 s[10:11], s[0:1], 0x0
	s_add_co_i32 s4, s4, -1
	s_wait_xcnt 0x0
	s_add_nc_u64 s[2:3], s[2:3], 12
	s_cmp_lg_u32 s4, 0
	s_add_nc_u64 s[0:1], s[0:1], 8
	s_wait_kmcnt 0x0
	v_mul_hi_u32 v5, s13, v3
	s_delay_alu instid0(VALU_DEP_1) | instskip(NEXT) | instid1(VALU_DEP_1)
	v_add_nc_u32_e32 v5, v3, v5
	v_lshrrev_b32_e32 v5, s14, v5
	s_delay_alu instid0(VALU_DEP_1) | instskip(NEXT) | instid1(VALU_DEP_1)
	v_mul_lo_u32 v7, v5, s12
	v_sub_nc_u32_e32 v3, v3, v7
	s_delay_alu instid0(VALU_DEP_1)
	v_mad_u32 v1, v3, s11, v1
	v_mad_u32 v0, v3, s10, v0
	v_mov_b32_e32 v3, v5
	s_cbranch_scc1 .LBB159_1188
; %bb.1189:
	s_delay_alu instid0(VALU_DEP_3)
	v_mov_b32_e32 v8, v1
.LBB159_1190:
	s_and_not1_b32 vcc_lo, exec_lo, s6
	s_cbranch_vccnz .LBB159_1193
; %bb.1191:
	s_clause 0x1
	s_load_b96 s[0:2], s[16:17], 0x4
	s_load_b64 s[4:5], s[16:17], 0xc4
	s_cmp_lt_u32 s33, 2
	s_wait_kmcnt 0x0
	v_mul_hi_u32 v0, s1, v9
	s_delay_alu instid0(VALU_DEP_1) | instskip(NEXT) | instid1(VALU_DEP_1)
	v_add_nc_u32_e32 v0, v9, v0
	v_lshrrev_b32_e32 v1, s2, v0
	s_delay_alu instid0(VALU_DEP_1) | instskip(NEXT) | instid1(VALU_DEP_1)
	v_mul_lo_u32 v0, v1, s0
	v_sub_nc_u32_e32 v0, v9, v0
	s_delay_alu instid0(VALU_DEP_1)
	v_mul_lo_u32 v8, v0, s5
	v_mul_lo_u32 v0, v0, s4
	s_cbranch_scc1 .LBB159_1193
; %bb.1192:
	s_clause 0x1
	s_load_b96 s[0:2], s[16:17], 0x10
	s_load_b64 s[4:5], s[16:17], 0xcc
	s_wait_kmcnt 0x0
	v_mul_hi_u32 v3, s1, v1
	s_delay_alu instid0(VALU_DEP_1) | instskip(NEXT) | instid1(VALU_DEP_1)
	v_add_nc_u32_e32 v3, v1, v3
	v_lshrrev_b32_e32 v3, s2, v3
	s_delay_alu instid0(VALU_DEP_1) | instskip(NEXT) | instid1(VALU_DEP_1)
	v_mul_lo_u32 v3, v3, s0
	v_sub_nc_u32_e32 v1, v1, v3
	s_delay_alu instid0(VALU_DEP_1)
	v_mad_u32 v0, v1, s4, v0
	v_mad_u32 v8, v1, s5, v8
.LBB159_1193:
	v_mov_b32_e32 v15, 0
	s_load_b128 s[4:7], s[16:17], 0x148
	global_load_u8 v1, v15, s[16:17] offset:353
	s_wait_kmcnt 0x0
	v_add_nc_u64_e32 v[14:15], s[6:7], v[14:15]
	s_wait_loadcnt 0x0
	v_and_b32_e32 v3, 0xffff, v1
	v_readfirstlane_b32 s10, v1
	s_delay_alu instid0(VALU_DEP_2)
	v_cmp_gt_i32_e32 vcc_lo, 11, v3
	s_cbranch_vccnz .LBB159_1200
; %bb.1194:
	s_and_b32 s0, 0xffff, s10
	s_mov_b32 s3, 0
	s_cmp_gt_i32 s0, 25
	s_cbranch_scc0 .LBB159_1202
; %bb.1195:
	s_cmp_gt_i32 s0, 28
	s_cbranch_scc0 .LBB159_1203
; %bb.1196:
	;; [unrolled: 3-line block ×4, first 2 shown]
	s_cmp_eq_u32 s0, 46
	s_mov_b32 s2, 0
	s_cbranch_scc0 .LBB159_1208
; %bb.1199:
	global_load_b32 v1, v[14:15], off
	s_mov_b32 s1, 0
	s_mov_b32 s11, -1
	s_wait_loadcnt 0x0
	v_lshlrev_b32_e32 v3, 16, v1
	v_and_b32_e32 v5, 0xffff0000, v1
	s_delay_alu instid0(VALU_DEP_2) | instskip(NEXT) | instid1(VALU_DEP_2)
	v_cvt_f16_f32_e32 v1, v3
	v_cvt_f16_f32_e32 v3, v5
	s_branch .LBB159_1210
.LBB159_1200:
	s_mov_b32 s11, 0
	s_mov_b32 s2, s8
                                        ; implicit-def: $vgpr3
                                        ; implicit-def: $vgpr1
	s_cbranch_execnz .LBB159_1276
.LBB159_1201:
	s_and_not1_b32 vcc_lo, exec_lo, s11
	s_cbranch_vccz .LBB159_1323
	s_branch .LBB159_1743
.LBB159_1202:
	s_mov_b32 s11, 0
	s_mov_b32 s1, 0
                                        ; implicit-def: $vgpr3
                                        ; implicit-def: $vgpr1
	s_cbranch_execnz .LBB159_1240
	s_branch .LBB159_1272
.LBB159_1203:
	s_mov_b32 s11, 0
	s_mov_b32 s1, 0
                                        ; implicit-def: $vgpr3
                                        ; implicit-def: $vgpr1
	s_cbranch_execnz .LBB159_1222
	s_branch .LBB159_1239
.LBB159_1204:
	s_mov_b32 s2, -1
	s_mov_b32 s11, 0
	s_mov_b32 s1, 0
                                        ; implicit-def: $vgpr3
                                        ; implicit-def: $vgpr1
	s_branch .LBB159_1216
.LBB159_1205:
	s_mov_b32 s2, -1
	s_mov_b32 s11, 0
	s_mov_b32 s1, 0
	s_branch .LBB159_1209
.LBB159_1206:
	s_and_not1_saveexec_b32 s5, s5
	s_cbranch_execz .LBB159_1045
.LBB159_1207:
	v_add_f32_e32 v2, 0x46000000, v3
	s_and_not1_b32 s4, s4, exec_lo
	s_delay_alu instid0(VALU_DEP_1) | instskip(NEXT) | instid1(VALU_DEP_1)
	v_and_b32_e32 v2, 0xff, v2
	v_cmp_ne_u32_e32 vcc_lo, 0, v2
	s_and_b32 s9, vcc_lo, exec_lo
	s_delay_alu instid0(SALU_CYCLE_1)
	s_or_b32 s4, s4, s9
	s_or_b32 exec_lo, exec_lo, s5
	v_mov_b32_e32 v4, 0
	s_and_saveexec_b32 s5, s4
	s_cbranch_execnz .LBB159_1046
	s_branch .LBB159_1047
.LBB159_1208:
	s_mov_b32 s1, -1
	s_mov_b32 s11, 0
.LBB159_1209:
                                        ; implicit-def: $vgpr3
                                        ; implicit-def: $vgpr1
.LBB159_1210:
	s_and_b32 vcc_lo, exec_lo, s2
	s_cbranch_vccz .LBB159_1215
; %bb.1211:
	s_cmp_eq_u32 s0, 44
	s_cbranch_scc0 .LBB159_1213
; %bb.1212:
	global_load_u8 v1, v[14:15], off
	s_mov_b32 s1, 0
	s_mov_b32 s11, -1
	s_wait_loadcnt 0x0
	v_lshlrev_b32_e32 v3, 23, v1
	v_cmp_ne_u32_e32 vcc_lo, 0xff, v1
	s_delay_alu instid0(VALU_DEP_2) | instskip(NEXT) | instid1(VALU_DEP_1)
	v_cvt_f16_f32_e32 v3, v3
	v_cndmask_b32_e32 v3, 0x7e00, v3, vcc_lo
	v_cmp_ne_u32_e32 vcc_lo, 0, v1
	s_delay_alu instid0(VALU_DEP_2)
	v_cndmask_b32_e32 v1, 0, v3, vcc_lo
	s_branch .LBB159_1214
.LBB159_1213:
	s_mov_b32 s1, -1
                                        ; implicit-def: $vgpr1
.LBB159_1214:
	v_mov_b32_e32 v3, 0
.LBB159_1215:
	s_mov_b32 s2, 0
.LBB159_1216:
	s_delay_alu instid0(SALU_CYCLE_1)
	s_and_b32 vcc_lo, exec_lo, s2
	s_cbranch_vccz .LBB159_1221
; %bb.1217:
	s_cmp_eq_u32 s0, 29
	s_cbranch_scc0 .LBB159_1219
; %bb.1218:
	global_load_b64 v[16:17], v[14:15], off
	s_mov_b32 s1, 0
	s_mov_b32 s11, -1
	s_wait_loadcnt 0x0
	v_clz_i32_u32_e32 v1, v17
	s_delay_alu instid0(VALU_DEP_1) | instskip(NEXT) | instid1(VALU_DEP_1)
	v_min_u32_e32 v1, 32, v1
	v_lshlrev_b64_e32 v[16:17], v1, v[16:17]
	v_sub_nc_u32_e32 v1, 32, v1
	s_delay_alu instid0(VALU_DEP_2) | instskip(NEXT) | instid1(VALU_DEP_1)
	v_min_u32_e32 v3, 1, v16
	v_or_b32_e32 v3, v17, v3
	s_delay_alu instid0(VALU_DEP_1) | instskip(NEXT) | instid1(VALU_DEP_1)
	v_cvt_f32_u32_e32 v3, v3
	v_ldexp_f32 v1, v3, v1
	s_delay_alu instid0(VALU_DEP_1)
	v_cvt_f16_f32_e32 v1, v1
	s_branch .LBB159_1220
.LBB159_1219:
	s_mov_b32 s1, -1
                                        ; implicit-def: $vgpr1
.LBB159_1220:
	v_mov_b32_e32 v3, 0
.LBB159_1221:
	s_branch .LBB159_1239
.LBB159_1222:
	s_cmp_lt_i32 s0, 27
	s_cbranch_scc1 .LBB159_1225
; %bb.1223:
	s_cmp_gt_i32 s0, 27
	s_cbranch_scc0 .LBB159_1226
; %bb.1224:
	global_load_b32 v1, v[14:15], off
	s_mov_b32 s2, 0
	s_wait_loadcnt 0x0
	v_cvt_f32_u32_e32 v1, v1
	s_delay_alu instid0(VALU_DEP_1)
	v_cvt_f16_f32_e32 v1, v1
	s_branch .LBB159_1227
.LBB159_1225:
	s_mov_b32 s2, -1
                                        ; implicit-def: $vgpr1
	s_branch .LBB159_1230
.LBB159_1226:
	s_mov_b32 s2, -1
                                        ; implicit-def: $vgpr1
.LBB159_1227:
	s_delay_alu instid0(SALU_CYCLE_1)
	s_and_not1_b32 vcc_lo, exec_lo, s2
	s_cbranch_vccnz .LBB159_1229
; %bb.1228:
	global_load_u16 v1, v[14:15], off
	s_wait_loadcnt 0x0
	v_cvt_f16_u16_e32 v1, v1
.LBB159_1229:
	s_mov_b32 s2, 0
.LBB159_1230:
	s_delay_alu instid0(SALU_CYCLE_1)
	s_and_not1_b32 vcc_lo, exec_lo, s2
	s_cbranch_vccnz .LBB159_1238
; %bb.1231:
	global_load_u8 v3, v[14:15], off
	s_mov_b32 s2, 0
	s_mov_b32 s11, exec_lo
	s_wait_loadcnt 0x0
	v_cmpx_lt_i16_e32 0x7f, v3
	s_xor_b32 s11, exec_lo, s11
	s_cbranch_execz .LBB159_1251
; %bb.1232:
	s_mov_b32 s2, -1
	s_mov_b32 s12, exec_lo
	v_cmpx_eq_u16_e32 0x80, v3
; %bb.1233:
	s_xor_b32 s2, exec_lo, -1
; %bb.1234:
	s_or_b32 exec_lo, exec_lo, s12
	s_delay_alu instid0(SALU_CYCLE_1)
	s_and_b32 s2, s2, exec_lo
	s_or_saveexec_b32 s11, s11
	v_mov_b32_e32 v1, 0x7e00
	s_xor_b32 exec_lo, exec_lo, s11
	s_cbranch_execnz .LBB159_1252
.LBB159_1235:
	s_or_b32 exec_lo, exec_lo, s11
	s_and_saveexec_b32 s11, s2
	s_cbranch_execz .LBB159_1237
.LBB159_1236:
	v_and_b32_e32 v1, 0xffff, v3
	s_delay_alu instid0(VALU_DEP_1) | instskip(SKIP_1) | instid1(VALU_DEP_2)
	v_and_b32_e32 v5, 7, v1
	v_bfe_u32 v11, v1, 3, 4
	v_clz_i32_u32_e32 v7, v5
	s_delay_alu instid0(VALU_DEP_2) | instskip(NEXT) | instid1(VALU_DEP_2)
	v_cmp_eq_u32_e32 vcc_lo, 0, v11
	v_min_u32_e32 v7, 32, v7
	s_delay_alu instid0(VALU_DEP_1) | instskip(NEXT) | instid1(VALU_DEP_1)
	v_subrev_nc_u32_e32 v9, 28, v7
	v_dual_lshlrev_b32 v1, v9, v1 :: v_dual_sub_nc_u32 v7, 29, v7
	s_delay_alu instid0(VALU_DEP_1) | instskip(NEXT) | instid1(VALU_DEP_1)
	v_dual_lshlrev_b32 v3, 24, v3 :: v_dual_bitop2_b32 v1, 7, v1 bitop3:0x40
	v_dual_cndmask_b32 v1, v5, v1, vcc_lo :: v_dual_cndmask_b32 v7, v11, v7, vcc_lo
	s_delay_alu instid0(VALU_DEP_2) | instskip(NEXT) | instid1(VALU_DEP_2)
	v_and_b32_e32 v3, 0x80000000, v3
	v_lshlrev_b32_e32 v1, 20, v1
	s_delay_alu instid0(VALU_DEP_3) | instskip(NEXT) | instid1(VALU_DEP_1)
	v_lshl_add_u32 v5, v7, 23, 0x3b800000
	v_or3_b32 v1, v3, v5, v1
	s_delay_alu instid0(VALU_DEP_1)
	v_cvt_f16_f32_e32 v1, v1
.LBB159_1237:
	s_or_b32 exec_lo, exec_lo, s11
.LBB159_1238:
	v_mov_b32_e32 v3, 0
	s_mov_b32 s11, -1
.LBB159_1239:
	s_branch .LBB159_1272
.LBB159_1240:
	s_cmp_gt_i32 s0, 22
	s_cbranch_scc0 .LBB159_1250
; %bb.1241:
	s_cmp_lt_i32 s0, 24
	s_cbranch_scc1 .LBB159_1253
; %bb.1242:
	s_cmp_gt_i32 s0, 24
	s_cbranch_scc0 .LBB159_1254
; %bb.1243:
	global_load_u8 v3, v[14:15], off
	s_mov_b32 s2, 0
	s_mov_b32 s3, exec_lo
	s_wait_loadcnt 0x0
	v_cmpx_lt_i16_e32 0x7f, v3
	s_xor_b32 s3, exec_lo, s3
	s_cbranch_execz .LBB159_1265
; %bb.1244:
	s_mov_b32 s2, -1
	s_mov_b32 s11, exec_lo
	v_cmpx_eq_u16_e32 0x80, v3
; %bb.1245:
	s_xor_b32 s2, exec_lo, -1
; %bb.1246:
	s_or_b32 exec_lo, exec_lo, s11
	s_delay_alu instid0(SALU_CYCLE_1)
	s_and_b32 s2, s2, exec_lo
	s_or_saveexec_b32 s3, s3
	v_mov_b32_e32 v1, 0x7e00
	s_xor_b32 exec_lo, exec_lo, s3
	s_cbranch_execnz .LBB159_1266
.LBB159_1247:
	s_or_b32 exec_lo, exec_lo, s3
	s_and_saveexec_b32 s3, s2
	s_cbranch_execz .LBB159_1249
.LBB159_1248:
	v_and_b32_e32 v1, 0xffff, v3
	s_delay_alu instid0(VALU_DEP_1) | instskip(SKIP_1) | instid1(VALU_DEP_2)
	v_and_b32_e32 v5, 3, v1
	v_bfe_u32 v11, v1, 2, 5
	v_clz_i32_u32_e32 v7, v5
	s_delay_alu instid0(VALU_DEP_2) | instskip(NEXT) | instid1(VALU_DEP_2)
	v_cmp_eq_u32_e32 vcc_lo, 0, v11
	v_min_u32_e32 v7, 32, v7
	s_delay_alu instid0(VALU_DEP_1) | instskip(NEXT) | instid1(VALU_DEP_1)
	v_subrev_nc_u32_e32 v9, 29, v7
	v_dual_lshlrev_b32 v1, v9, v1 :: v_dual_sub_nc_u32 v7, 30, v7
	s_delay_alu instid0(VALU_DEP_1) | instskip(NEXT) | instid1(VALU_DEP_1)
	v_dual_lshlrev_b32 v3, 24, v3 :: v_dual_bitop2_b32 v1, 3, v1 bitop3:0x40
	v_dual_cndmask_b32 v1, v5, v1, vcc_lo :: v_dual_cndmask_b32 v7, v11, v7, vcc_lo
	s_delay_alu instid0(VALU_DEP_2) | instskip(NEXT) | instid1(VALU_DEP_2)
	v_and_b32_e32 v3, 0x80000000, v3
	v_lshlrev_b32_e32 v1, 21, v1
	s_delay_alu instid0(VALU_DEP_3) | instskip(NEXT) | instid1(VALU_DEP_1)
	v_lshl_add_u32 v5, v7, 23, 0x37800000
	v_or3_b32 v1, v3, v5, v1
	s_delay_alu instid0(VALU_DEP_1)
	v_cvt_f16_f32_e32 v1, v1
.LBB159_1249:
	s_or_b32 exec_lo, exec_lo, s3
	s_mov_b32 s2, 0
	s_branch .LBB159_1255
.LBB159_1250:
                                        ; implicit-def: $vgpr1
	s_mov_b32 s3, 0
	s_branch .LBB159_1261
.LBB159_1251:
	s_or_saveexec_b32 s11, s11
	v_mov_b32_e32 v1, 0x7e00
	s_xor_b32 exec_lo, exec_lo, s11
	s_cbranch_execz .LBB159_1235
.LBB159_1252:
	v_cmp_ne_u16_e32 vcc_lo, 0, v3
	v_mov_b32_e32 v1, v3
	s_and_not1_b32 s2, s2, exec_lo
	s_and_b32 s12, vcc_lo, exec_lo
	s_delay_alu instid0(SALU_CYCLE_1)
	s_or_b32 s2, s2, s12
	s_or_b32 exec_lo, exec_lo, s11
	s_and_saveexec_b32 s11, s2
	s_cbranch_execnz .LBB159_1236
	s_branch .LBB159_1237
.LBB159_1253:
	s_mov_b32 s2, -1
                                        ; implicit-def: $vgpr1
	s_branch .LBB159_1258
.LBB159_1254:
	s_mov_b32 s2, -1
                                        ; implicit-def: $vgpr1
.LBB159_1255:
	s_delay_alu instid0(SALU_CYCLE_1)
	s_and_b32 vcc_lo, exec_lo, s2
	s_cbranch_vccz .LBB159_1257
; %bb.1256:
	global_load_u8 v1, v[14:15], off
	s_wait_loadcnt 0x0
	v_lshlrev_b32_e32 v1, 24, v1
	s_delay_alu instid0(VALU_DEP_1) | instskip(NEXT) | instid1(VALU_DEP_1)
	v_and_b32_e32 v3, 0x7f000000, v1
	v_clz_i32_u32_e32 v5, v3
	v_add_nc_u32_e32 v9, 0x1000000, v3
	v_cmp_ne_u32_e32 vcc_lo, 0, v3
	s_delay_alu instid0(VALU_DEP_3) | instskip(NEXT) | instid1(VALU_DEP_1)
	v_min_u32_e32 v5, 32, v5
	v_sub_nc_u32_e64 v5, v5, 4 clamp
	s_delay_alu instid0(VALU_DEP_1) | instskip(NEXT) | instid1(VALU_DEP_1)
	v_dual_lshlrev_b32 v7, v5, v3 :: v_dual_lshlrev_b32 v5, 23, v5
	v_lshrrev_b32_e32 v7, 4, v7
	s_delay_alu instid0(VALU_DEP_1) | instskip(SKIP_1) | instid1(VALU_DEP_2)
	v_sub_nc_u32_e32 v5, v7, v5
	v_ashrrev_i32_e32 v7, 8, v9
	v_add_nc_u32_e32 v5, 0x3c000000, v5
	s_delay_alu instid0(VALU_DEP_1) | instskip(NEXT) | instid1(VALU_DEP_1)
	v_and_or_b32 v5, 0x7f800000, v7, v5
	v_cndmask_b32_e32 v3, 0, v5, vcc_lo
	s_delay_alu instid0(VALU_DEP_1) | instskip(NEXT) | instid1(VALU_DEP_1)
	v_and_or_b32 v1, 0x80000000, v1, v3
	v_cvt_f16_f32_e32 v1, v1
.LBB159_1257:
	s_mov_b32 s2, 0
.LBB159_1258:
	s_delay_alu instid0(SALU_CYCLE_1)
	s_and_not1_b32 vcc_lo, exec_lo, s2
	s_cbranch_vccnz .LBB159_1260
; %bb.1259:
	global_load_u8 v1, v[14:15], off
	s_wait_loadcnt 0x0
	v_lshlrev_b32_e32 v3, 25, v1
	v_lshlrev_b16 v1, 8, v1
	s_delay_alu instid0(VALU_DEP_1) | instskip(SKIP_1) | instid1(VALU_DEP_2)
	v_and_or_b32 v7, 0x7f00, v1, 0.5
	v_bfe_i32 v1, v1, 0, 16
	v_add_f32_e32 v7, -0.5, v7
	v_lshrrev_b32_e32 v5, 4, v3
	v_cmp_gt_u32_e32 vcc_lo, 0x8000000, v3
	s_delay_alu instid0(VALU_DEP_2) | instskip(NEXT) | instid1(VALU_DEP_1)
	v_or_b32_e32 v5, 0x70000000, v5
	v_mul_f32_e32 v5, 0x7800000, v5
	s_delay_alu instid0(VALU_DEP_1) | instskip(NEXT) | instid1(VALU_DEP_1)
	v_cndmask_b32_e32 v3, v5, v7, vcc_lo
	v_and_or_b32 v1, 0x80000000, v1, v3
	s_delay_alu instid0(VALU_DEP_1)
	v_cvt_f16_f32_e32 v1, v1
.LBB159_1260:
	s_mov_b32 s11, -1
	s_mov_b32 s3, 0
	s_cbranch_execnz .LBB159_1271
.LBB159_1261:
	s_cmp_gt_i32 s0, 14
	s_cbranch_scc0 .LBB159_1264
; %bb.1262:
	s_cmp_eq_u32 s0, 15
	s_cbranch_scc0 .LBB159_1267
; %bb.1263:
	global_load_u16 v1, v[14:15], off
	s_mov_b32 s1, 0
	s_mov_b32 s11, -1
	s_wait_loadcnt 0x0
	v_lshlrev_b32_e32 v1, 16, v1
	s_delay_alu instid0(VALU_DEP_1)
	v_cvt_f16_f32_e32 v1, v1
	s_branch .LBB159_1268
.LBB159_1264:
	s_mov_b32 s2, -1
                                        ; implicit-def: $vgpr1
	s_branch .LBB159_1269
.LBB159_1265:
	s_or_saveexec_b32 s3, s3
	v_mov_b32_e32 v1, 0x7e00
	s_xor_b32 exec_lo, exec_lo, s3
	s_cbranch_execz .LBB159_1247
.LBB159_1266:
	v_cmp_ne_u16_e32 vcc_lo, 0, v3
	v_mov_b32_e32 v1, v3
	s_and_not1_b32 s2, s2, exec_lo
	s_and_b32 s11, vcc_lo, exec_lo
	s_delay_alu instid0(SALU_CYCLE_1)
	s_or_b32 s2, s2, s11
	s_or_b32 exec_lo, exec_lo, s3
	s_and_saveexec_b32 s3, s2
	s_cbranch_execnz .LBB159_1248
	s_branch .LBB159_1249
.LBB159_1267:
	s_mov_b32 s1, -1
                                        ; implicit-def: $vgpr1
.LBB159_1268:
	s_mov_b32 s2, 0
.LBB159_1269:
	s_delay_alu instid0(SALU_CYCLE_1)
	s_and_b32 vcc_lo, exec_lo, s2
	s_cbranch_vccz .LBB159_1271
; %bb.1270:
	s_cmp_lg_u32 s0, 11
	s_mov_b32 s3, -1
	s_cselect_b32 s1, -1, 0
.LBB159_1271:
	v_mov_b32_e32 v3, 0
.LBB159_1272:
	s_and_b32 vcc_lo, exec_lo, s1
	s_mov_b32 s2, s8
	s_cbranch_vccnz .LBB159_1339
; %bb.1273:
	s_and_not1_b32 vcc_lo, exec_lo, s3
	s_cbranch_vccnz .LBB159_1275
.LBB159_1274:
	global_load_u8 v1, v[14:15], off
	v_mov_b32_e32 v3, 0
	s_mov_b32 s11, -1
	s_wait_loadcnt 0x0
	v_cmp_ne_u16_e32 vcc_lo, 0, v1
	v_cndmask_b32_e64 v1, 0, 0x3c00, vcc_lo
.LBB159_1275:
	s_branch .LBB159_1201
.LBB159_1276:
	s_and_b32 s0, 0xffff, s10
	s_delay_alu instid0(SALU_CYCLE_1)
	s_cmp_lt_i32 s0, 5
	s_cbranch_scc1 .LBB159_1281
; %bb.1277:
	s_cmp_lt_i32 s0, 8
	s_cbranch_scc1 .LBB159_1283
; %bb.1278:
	;; [unrolled: 3-line block ×3, first 2 shown]
	s_cmp_gt_i32 s0, 9
	s_cbranch_scc0 .LBB159_1285
; %bb.1280:
	global_load_b128 v[16:19], v[14:15], off
	v_mov_b32_e32 v21, 0x7e00
	s_mov_b32 s1, 0
	s_wait_loadcnt 0x0
	v_and_or_b32 v1, 0x1ff, v17, v16
	v_and_or_b32 v7, 0x1ff, v19, v18
	v_dual_lshrrev_b32 v3, 8, v17 :: v_dual_lshrrev_b32 v9, 8, v19
	v_bfe_u32 v5, v17, 20, 11
	s_delay_alu instid0(VALU_DEP_4) | instskip(SKIP_2) | instid1(VALU_DEP_4)
	v_cmp_ne_u32_e32 vcc_lo, 0, v1
	v_bfe_u32 v11, v19, 20, 11
	v_lshrrev_b32_e32 v17, 16, v17
	v_sub_nc_u32_e32 v13, 0x3f1, v5
	v_cndmask_b32_e64 v1, 0, 1, vcc_lo
	v_cmp_ne_u32_e32 vcc_lo, 0, v7
	v_add_nc_u32_e32 v5, 0xfffffc10, v5
	s_delay_alu instid0(VALU_DEP_3) | instskip(SKIP_3) | instid1(VALU_DEP_3)
	v_and_or_b32 v1, 0xffe, v3, v1
	v_cndmask_b32_e64 v7, 0, 1, vcc_lo
	v_sub_nc_u32_e32 v3, 0x3f1, v11
	v_add_nc_u32_e32 v11, 0xfffffc10, v11
	v_and_or_b32 v7, 0xffe, v9, v7
	v_med3_i32 v9, v13, 0, 13
	v_or_b32_e32 v13, 0x1000, v1
	v_med3_i32 v3, v3, 0, 13
	s_delay_alu instid0(VALU_DEP_4) | instskip(NEXT) | instid1(VALU_DEP_1)
	v_or_b32_e32 v16, 0x1000, v7
	v_dual_lshrrev_b32 v18, v9, v13 :: v_dual_lshrrev_b32 v20, v3, v16
	s_delay_alu instid0(VALU_DEP_1) | instskip(NEXT) | instid1(VALU_DEP_1)
	v_dual_lshlrev_b32 v9, v9, v18 :: v_dual_lshlrev_b32 v3, v3, v20
	v_cmp_ne_u32_e32 vcc_lo, v9, v13
	v_lshl_or_b32 v13, v5, 12, v1
	v_cndmask_b32_e64 v9, 0, 1, vcc_lo
	s_delay_alu instid0(VALU_DEP_4) | instskip(SKIP_3) | instid1(VALU_DEP_2)
	v_cmp_ne_u32_e32 vcc_lo, v3, v16
	v_lshl_or_b32 v16, v11, 12, v7
	v_cndmask_b32_e64 v3, 0, 1, vcc_lo
	v_cmp_gt_i32_e32 vcc_lo, 1, v5
	v_or_b32_e32 v3, v20, v3
	v_or_b32_e32 v9, v18, v9
	s_delay_alu instid0(VALU_DEP_1) | instskip(SKIP_1) | instid1(VALU_DEP_2)
	v_cndmask_b32_e32 v9, v13, v9, vcc_lo
	v_cmp_gt_i32_e32 vcc_lo, 1, v11
	v_dual_lshrrev_b32 v9, 2, v9 :: v_dual_bitop2_b32 v13, 7, v9 bitop3:0x40
	v_cndmask_b32_e32 v3, v16, v3, vcc_lo
	s_delay_alu instid0(VALU_DEP_2) | instskip(NEXT) | instid1(VALU_DEP_2)
	v_cmp_lt_i32_e32 vcc_lo, 5, v13
	v_dual_lshrrev_b32 v3, 2, v3 :: v_dual_bitop2_b32 v16, 7, v3 bitop3:0x40
	v_cndmask_b32_e64 v18, 0, 1, vcc_lo
	v_cmp_eq_u32_e32 vcc_lo, 3, v13
	v_cndmask_b32_e64 v13, 0, 1, vcc_lo
	s_delay_alu instid0(VALU_DEP_4) | instskip(NEXT) | instid1(VALU_DEP_2)
	v_cmp_lt_i32_e32 vcc_lo, 5, v16
	v_or_b32_e32 v13, v13, v18
	v_cndmask_b32_e64 v20, 0, 1, vcc_lo
	v_cmp_eq_u32_e32 vcc_lo, 3, v16
	s_delay_alu instid0(VALU_DEP_3) | instskip(SKIP_2) | instid1(VALU_DEP_2)
	v_dual_add_nc_u32 v9, v9, v13 :: v_dual_lshrrev_b32 v13, 16, v19
	v_cndmask_b32_e64 v16, 0, 1, vcc_lo
	v_cmp_ne_u32_e32 vcc_lo, 0, v1
	v_or_b32_e32 v16, v16, v20
	v_cndmask_b32_e32 v1, 0x7c00, v21, vcc_lo
	v_cmp_ne_u32_e32 vcc_lo, 0, v7
	s_delay_alu instid0(VALU_DEP_3)
	v_add_nc_u32_e32 v3, v3, v16
	v_cndmask_b32_e32 v7, 0x7c00, v21, vcc_lo
	v_cmp_gt_i32_e32 vcc_lo, 31, v5
	v_cndmask_b32_e32 v9, 0x7c00, v9, vcc_lo
	v_cmp_gt_i32_e32 vcc_lo, 31, v11
	v_cndmask_b32_e32 v3, 0x7c00, v3, vcc_lo
	v_cmp_eq_u32_e32 vcc_lo, 0x40f, v5
	s_delay_alu instid0(VALU_DEP_4) | instskip(SKIP_1) | instid1(VALU_DEP_4)
	v_cndmask_b32_e32 v1, v9, v1, vcc_lo
	v_cmp_eq_u32_e32 vcc_lo, 0x40f, v11
	v_cndmask_b32_e32 v3, v3, v7, vcc_lo
	s_delay_alu instid0(VALU_DEP_3) | instskip(NEXT) | instid1(VALU_DEP_2)
	v_and_or_b32 v1, 0x8000, v17, v1
	v_and_or_b32 v3, 0x8000, v13, v3
	s_branch .LBB159_1286
.LBB159_1281:
                                        ; implicit-def: $vgpr3
                                        ; implicit-def: $vgpr1
	s_branch .LBB159_1304
.LBB159_1282:
	s_branch .LBB159_1323
.LBB159_1283:
                                        ; implicit-def: $vgpr3
                                        ; implicit-def: $vgpr1
	s_branch .LBB159_1292
.LBB159_1284:
	s_mov_b32 s1, -1
                                        ; implicit-def: $vgpr3
                                        ; implicit-def: $vgpr1
	s_branch .LBB159_1289
.LBB159_1285:
	s_mov_b32 s1, -1
                                        ; implicit-def: $vgpr3
                                        ; implicit-def: $vgpr1
.LBB159_1286:
	s_delay_alu instid0(SALU_CYCLE_1)
	s_and_not1_b32 vcc_lo, exec_lo, s1
	s_cbranch_vccnz .LBB159_1288
; %bb.1287:
	global_load_b64 v[16:17], v[14:15], off
	s_wait_loadcnt 0x0
	v_cvt_f16_f32_e32 v1, v16
	v_cvt_f16_f32_e32 v3, v17
.LBB159_1288:
	s_mov_b32 s1, 0
.LBB159_1289:
	s_delay_alu instid0(SALU_CYCLE_1)
	s_and_not1_b32 vcc_lo, exec_lo, s1
	s_cbranch_vccnz .LBB159_1291
; %bb.1290:
	global_load_b32 v1, v[14:15], off
	s_wait_loadcnt 0x0
	v_lshrrev_b32_e32 v3, 16, v1
.LBB159_1291:
	s_cbranch_execnz .LBB159_1303
.LBB159_1292:
	s_cmp_lt_i32 s0, 6
	s_cbranch_scc1 .LBB159_1295
; %bb.1293:
	s_cmp_gt_i32 s0, 6
	s_cbranch_scc0 .LBB159_1296
; %bb.1294:
	global_load_b64 v[16:17], v[14:15], off
	s_mov_b32 s1, 0
	s_wait_loadcnt 0x0
	v_and_or_b32 v1, 0x1ff, v17, v16
	v_lshrrev_b32_e32 v3, 8, v17
	v_bfe_u32 v5, v17, 20, 11
	s_delay_alu instid0(VALU_DEP_3) | instskip(NEXT) | instid1(VALU_DEP_2)
	v_cmp_ne_u32_e32 vcc_lo, 0, v1
	v_sub_nc_u32_e32 v7, 0x3f1, v5
	v_add_nc_u32_e32 v5, 0xfffffc10, v5
	v_cndmask_b32_e64 v1, 0, 1, vcc_lo
	s_delay_alu instid0(VALU_DEP_1) | instskip(NEXT) | instid1(VALU_DEP_4)
	v_and_or_b32 v1, 0xffe, v3, v1
	v_med3_i32 v3, v7, 0, 13
	s_delay_alu instid0(VALU_DEP_2) | instskip(NEXT) | instid1(VALU_DEP_1)
	v_or_b32_e32 v7, 0x1000, v1
	v_lshrrev_b32_e32 v9, v3, v7
	s_delay_alu instid0(VALU_DEP_1) | instskip(NEXT) | instid1(VALU_DEP_1)
	v_lshlrev_b32_e32 v3, v3, v9
	v_cmp_ne_u32_e32 vcc_lo, v3, v7
	v_lshl_or_b32 v7, v5, 12, v1
	v_cndmask_b32_e64 v3, 0, 1, vcc_lo
	v_cmp_gt_i32_e32 vcc_lo, 1, v5
	s_delay_alu instid0(VALU_DEP_2) | instskip(NEXT) | instid1(VALU_DEP_1)
	v_or_b32_e32 v3, v9, v3
	v_cndmask_b32_e32 v3, v7, v3, vcc_lo
	s_delay_alu instid0(VALU_DEP_1) | instskip(NEXT) | instid1(VALU_DEP_1)
	v_and_b32_e32 v7, 7, v3
	v_cmp_lt_i32_e32 vcc_lo, 5, v7
	v_cndmask_b32_e64 v9, 0, 1, vcc_lo
	v_cmp_eq_u32_e32 vcc_lo, 3, v7
	v_cndmask_b32_e64 v7, 0, 1, vcc_lo
	v_cmp_ne_u32_e32 vcc_lo, 0, v1
	s_delay_alu instid0(VALU_DEP_2) | instskip(SKIP_1) | instid1(VALU_DEP_2)
	v_dual_lshrrev_b32 v3, 2, v3 :: v_dual_bitop2_b32 v7, v7, v9 bitop3:0x54
	v_mov_b32_e32 v9, 0x7e00
	v_add_nc_u32_e32 v3, v3, v7
	s_delay_alu instid0(VALU_DEP_2) | instskip(SKIP_1) | instid1(VALU_DEP_3)
	v_cndmask_b32_e32 v1, 0x7c00, v9, vcc_lo
	v_cmp_gt_i32_e32 vcc_lo, 31, v5
	v_cndmask_b32_e32 v3, 0x7c00, v3, vcc_lo
	v_cmp_eq_u32_e32 vcc_lo, 0x40f, v5
	s_delay_alu instid0(VALU_DEP_2) | instskip(SKIP_1) | instid1(VALU_DEP_1)
	v_cndmask_b32_e32 v1, v3, v1, vcc_lo
	v_lshrrev_b32_e32 v3, 16, v17
	v_and_or_b32 v1, 0x8000, v3, v1
	s_branch .LBB159_1297
.LBB159_1295:
	s_mov_b32 s1, -1
                                        ; implicit-def: $vgpr1
	s_branch .LBB159_1300
.LBB159_1296:
	s_mov_b32 s1, -1
                                        ; implicit-def: $vgpr1
.LBB159_1297:
	s_delay_alu instid0(SALU_CYCLE_1)
	s_and_not1_b32 vcc_lo, exec_lo, s1
	s_cbranch_vccnz .LBB159_1299
; %bb.1298:
	global_load_b32 v1, v[14:15], off
	s_wait_loadcnt 0x0
	v_cvt_f16_f32_e32 v1, v1
.LBB159_1299:
	s_mov_b32 s1, 0
.LBB159_1300:
	s_delay_alu instid0(SALU_CYCLE_1)
	s_and_not1_b32 vcc_lo, exec_lo, s1
	s_cbranch_vccnz .LBB159_1302
; %bb.1301:
	global_load_u16 v1, v[14:15], off
.LBB159_1302:
	v_mov_b32_e32 v3, 0
.LBB159_1303:
	s_cbranch_execnz .LBB159_1282
.LBB159_1304:
	s_cmp_lt_i32 s0, 2
	s_cbranch_scc1 .LBB159_1308
; %bb.1305:
	s_cmp_lt_i32 s0, 3
	s_cbranch_scc1 .LBB159_1309
; %bb.1306:
	s_cmp_gt_i32 s0, 3
	s_cbranch_scc0 .LBB159_1310
; %bb.1307:
	global_load_b64 v[16:17], v[14:15], off
	s_mov_b32 s1, 0
	s_wait_loadcnt 0x0
	v_xor_b32_e32 v1, v16, v17
	v_cls_i32_e32 v3, v17
	s_delay_alu instid0(VALU_DEP_2) | instskip(NEXT) | instid1(VALU_DEP_1)
	v_ashrrev_i32_e32 v1, 31, v1
	v_add_nc_u32_e32 v1, 32, v1
	s_delay_alu instid0(VALU_DEP_1) | instskip(NEXT) | instid1(VALU_DEP_1)
	v_add_min_u32_e64 v1, v3, -1, v1
	v_lshlrev_b64_e32 v[16:17], v1, v[16:17]
	v_sub_nc_u32_e32 v1, 32, v1
	s_delay_alu instid0(VALU_DEP_2) | instskip(NEXT) | instid1(VALU_DEP_1)
	v_min_u32_e32 v3, 1, v16
	v_or_b32_e32 v3, v17, v3
	s_delay_alu instid0(VALU_DEP_1) | instskip(NEXT) | instid1(VALU_DEP_1)
	v_cvt_f32_i32_e32 v3, v3
	v_ldexp_f32 v1, v3, v1
	s_delay_alu instid0(VALU_DEP_1)
	v_cvt_f16_f32_e32 v1, v1
	s_branch .LBB159_1311
.LBB159_1308:
                                        ; implicit-def: $vgpr1
	s_branch .LBB159_1317
.LBB159_1309:
	s_mov_b32 s1, -1
                                        ; implicit-def: $vgpr1
	s_branch .LBB159_1314
.LBB159_1310:
	s_mov_b32 s1, -1
                                        ; implicit-def: $vgpr1
.LBB159_1311:
	s_delay_alu instid0(SALU_CYCLE_1)
	s_and_not1_b32 vcc_lo, exec_lo, s1
	s_cbranch_vccnz .LBB159_1313
; %bb.1312:
	s_wait_loadcnt 0x0
	global_load_b32 v1, v[14:15], off
	s_wait_loadcnt 0x0
	v_cvt_f32_i32_e32 v1, v1
	s_delay_alu instid0(VALU_DEP_1)
	v_cvt_f16_f32_e32 v1, v1
.LBB159_1313:
	s_mov_b32 s1, 0
.LBB159_1314:
	s_delay_alu instid0(SALU_CYCLE_1)
	s_and_not1_b32 vcc_lo, exec_lo, s1
	s_cbranch_vccnz .LBB159_1316
; %bb.1315:
	s_wait_loadcnt 0x0
	global_load_u16 v1, v[14:15], off
	s_wait_loadcnt 0x0
	v_cvt_f16_i16_e32 v1, v1
.LBB159_1316:
	s_cbranch_execnz .LBB159_1322
.LBB159_1317:
	s_cmp_gt_i32 s0, 0
	s_mov_b32 s0, 0
	s_cbranch_scc0 .LBB159_1319
; %bb.1318:
	s_wait_loadcnt 0x0
	global_load_i8 v1, v[14:15], off
	s_wait_loadcnt 0x0
	v_cvt_f16_i16_e32 v1, v1
	s_branch .LBB159_1320
.LBB159_1319:
	s_mov_b32 s0, -1
                                        ; implicit-def: $vgpr1
.LBB159_1320:
	s_delay_alu instid0(SALU_CYCLE_1)
	s_and_not1_b32 vcc_lo, exec_lo, s0
	s_cbranch_vccnz .LBB159_1322
; %bb.1321:
	s_wait_loadcnt 0x0
	global_load_u8 v1, v[14:15], off
	s_wait_loadcnt 0x0
	v_cvt_f16_u16_e32 v1, v1
.LBB159_1322:
	v_mov_b32_e32 v3, 0
.LBB159_1323:
	s_load_b64 s[0:1], s[16:17], 0x158
	s_mov_b32 s11, 0
	s_wait_kmcnt 0x0
	s_lshr_b32 s12, s1, 16
	s_cmp_lg_u32 s0, 0
	s_cselect_b32 s13, -1, 0
	s_delay_alu instid0(SALU_CYCLE_1)
	s_and_b32 vcc_lo, exec_lo, s13
	s_cbranch_vccz .LBB159_1335
; %bb.1324:
	s_wait_loadcnt 0x0
	v_cmp_neq_f16_e32 vcc_lo, s1, v1
	v_cmp_neq_f16_e64 s0, s12, v3
	s_or_b32 s3, vcc_lo, s0
	s_and_not1_b32 vcc_lo, exec_lo, s11
	s_cbranch_vccnz .LBB159_1326
.LBB159_1325:
	s_wait_loadcnt 0x0
	v_cmp_eq_f16_e32 vcc_lo, s1, v1
	v_cmp_eq_f16_e64 s0, s12, v3
	s_and_not1_b32 s3, s3, exec_lo
	s_and_b32 s0, vcc_lo, s0
	s_delay_alu instid0(SALU_CYCLE_1) | instskip(NEXT) | instid1(SALU_CYCLE_1)
	s_and_b32 s0, s0, exec_lo
	s_or_b32 s3, s3, s0
.LBB159_1326:
	v_mov_b32_e32 v13, 0
	s_and_b32 s14, 0xffff, s10
	s_delay_alu instid0(SALU_CYCLE_1) | instskip(NEXT) | instid1(VALU_DEP_1)
	s_cmp_lt_i32 s14, 11
	v_add_nc_u64_e32 v[12:13], s[6:7], v[12:13]
	s_cbranch_scc1 .LBB159_1333
; %bb.1327:
	s_cmp_gt_i32 s14, 25
	s_mov_b32 s10, 0
	s_cbranch_scc0 .LBB159_1336
; %bb.1328:
	s_cmp_gt_i32 s14, 28
	s_cbranch_scc0 .LBB159_1337
; %bb.1329:
	s_cmp_gt_i32 s14, 43
	;; [unrolled: 3-line block ×3, first 2 shown]
	s_cbranch_scc0 .LBB159_1340
; %bb.1331:
	s_cmp_eq_u32 s14, 46
	s_mov_b32 s15, 0
	s_cbranch_scc0 .LBB159_1343
; %bb.1332:
	s_wait_loadcnt 0x0
	global_load_b32 v1, v[12:13], off
	s_mov_b32 s0, 0
	s_mov_b32 s11, -1
	s_wait_loadcnt 0x0
	v_lshlrev_b32_e32 v3, 16, v1
	v_and_b32_e32 v5, 0xffff0000, v1
	s_delay_alu instid0(VALU_DEP_2) | instskip(NEXT) | instid1(VALU_DEP_2)
	v_cvt_f16_f32_e32 v1, v3
	v_cvt_f16_f32_e32 v3, v5
	s_branch .LBB159_1345
.LBB159_1333:
	s_mov_b32 s11, 0
                                        ; implicit-def: $vgpr3
                                        ; implicit-def: $vgpr1
	s_cbranch_execnz .LBB159_1413
.LBB159_1334:
	s_and_not1_b32 vcc_lo, exec_lo, s11
	s_cbranch_vccnz .LBB159_1743
	s_branch .LBB159_1462
.LBB159_1335:
                                        ; implicit-def: $sgpr3
	s_branch .LBB159_1325
.LBB159_1336:
	s_mov_b32 s11, 0
	s_mov_b32 s0, 0
                                        ; implicit-def: $vgpr3
                                        ; implicit-def: $vgpr1
	s_cbranch_execnz .LBB159_1376
	s_branch .LBB159_1409
.LBB159_1337:
	s_mov_b32 s15, -1
	s_mov_b32 s11, 0
	s_mov_b32 s0, 0
                                        ; implicit-def: $vgpr3
                                        ; implicit-def: $vgpr1
	s_branch .LBB159_1357
.LBB159_1338:
	s_mov_b32 s15, -1
	s_mov_b32 s11, 0
	s_mov_b32 s0, 0
                                        ; implicit-def: $vgpr3
                                        ; implicit-def: $vgpr1
	s_branch .LBB159_1351
.LBB159_1339:
	s_or_b32 s2, s8, exec_lo
	s_trap 2
	s_cbranch_execz .LBB159_1274
	s_branch .LBB159_1275
.LBB159_1340:
	s_mov_b32 s15, -1
	s_mov_b32 s11, 0
	s_mov_b32 s0, 0
	s_branch .LBB159_1344
.LBB159_1341:
	s_and_not1_saveexec_b32 s9, s9
	s_cbranch_execz .LBB159_1057
.LBB159_1342:
	v_add_f32_e32 v2, 0x42800000, v3
	s_and_not1_b32 s5, s5, exec_lo
	s_delay_alu instid0(VALU_DEP_1) | instskip(NEXT) | instid1(VALU_DEP_1)
	v_and_b32_e32 v2, 0xff, v2
	v_cmp_ne_u32_e32 vcc_lo, 0, v2
	s_and_b32 s11, vcc_lo, exec_lo
	s_delay_alu instid0(SALU_CYCLE_1)
	s_or_b32 s5, s5, s11
	s_or_b32 exec_lo, exec_lo, s9
	v_mov_b32_e32 v4, 0
	s_and_saveexec_b32 s9, s5
	s_cbranch_execnz .LBB159_1058
	s_branch .LBB159_1059
.LBB159_1343:
	s_mov_b32 s0, -1
	s_mov_b32 s11, 0
.LBB159_1344:
                                        ; implicit-def: $vgpr3
                                        ; implicit-def: $vgpr1
.LBB159_1345:
	s_and_b32 vcc_lo, exec_lo, s15
	s_cbranch_vccz .LBB159_1350
; %bb.1346:
	s_cmp_eq_u32 s14, 44
	s_cbranch_scc0 .LBB159_1348
; %bb.1347:
	s_wait_loadcnt 0x0
	global_load_u8 v1, v[12:13], off
	s_mov_b32 s0, 0
	s_mov_b32 s11, -1
	s_wait_loadcnt 0x0
	v_lshlrev_b32_e32 v3, 23, v1
	v_cmp_ne_u32_e32 vcc_lo, 0xff, v1
	s_delay_alu instid0(VALU_DEP_2) | instskip(NEXT) | instid1(VALU_DEP_1)
	v_cvt_f16_f32_e32 v3, v3
	v_cndmask_b32_e32 v3, 0x7e00, v3, vcc_lo
	v_cmp_ne_u32_e32 vcc_lo, 0, v1
	s_delay_alu instid0(VALU_DEP_2)
	v_cndmask_b32_e32 v1, 0, v3, vcc_lo
	s_branch .LBB159_1349
.LBB159_1348:
	s_mov_b32 s0, -1
                                        ; implicit-def: $vgpr1
.LBB159_1349:
	v_mov_b32_e32 v3, 0
.LBB159_1350:
	s_mov_b32 s15, 0
.LBB159_1351:
	s_delay_alu instid0(SALU_CYCLE_1)
	s_and_b32 vcc_lo, exec_lo, s15
	s_cbranch_vccz .LBB159_1356
; %bb.1352:
	s_cmp_eq_u32 s14, 29
	s_cbranch_scc0 .LBB159_1354
; %bb.1353:
	global_load_b64 v[14:15], v[12:13], off
	s_mov_b32 s0, 0
	s_mov_b32 s11, -1
	s_wait_loadcnt 0x0
	v_clz_i32_u32_e32 v1, v15
	s_delay_alu instid0(VALU_DEP_1) | instskip(NEXT) | instid1(VALU_DEP_1)
	v_min_u32_e32 v1, 32, v1
	v_lshlrev_b64_e32 v[14:15], v1, v[14:15]
	v_sub_nc_u32_e32 v1, 32, v1
	s_delay_alu instid0(VALU_DEP_2) | instskip(NEXT) | instid1(VALU_DEP_1)
	v_min_u32_e32 v3, 1, v14
	v_or_b32_e32 v3, v15, v3
	s_delay_alu instid0(VALU_DEP_1) | instskip(NEXT) | instid1(VALU_DEP_1)
	v_cvt_f32_u32_e32 v3, v3
	v_ldexp_f32 v1, v3, v1
	s_delay_alu instid0(VALU_DEP_1)
	v_cvt_f16_f32_e32 v1, v1
	s_branch .LBB159_1355
.LBB159_1354:
	s_mov_b32 s0, -1
                                        ; implicit-def: $vgpr1
.LBB159_1355:
	v_mov_b32_e32 v3, 0
.LBB159_1356:
	s_mov_b32 s15, 0
.LBB159_1357:
	s_delay_alu instid0(SALU_CYCLE_1)
	s_and_b32 vcc_lo, exec_lo, s15
	s_cbranch_vccz .LBB159_1375
; %bb.1358:
	s_cmp_lt_i32 s14, 27
	s_cbranch_scc1 .LBB159_1361
; %bb.1359:
	s_cmp_gt_i32 s14, 27
	s_cbranch_scc0 .LBB159_1362
; %bb.1360:
	s_wait_loadcnt 0x0
	global_load_b32 v1, v[12:13], off
	s_mov_b32 s11, 0
	s_wait_loadcnt 0x0
	v_cvt_f32_u32_e32 v1, v1
	s_delay_alu instid0(VALU_DEP_1)
	v_cvt_f16_f32_e32 v1, v1
	s_branch .LBB159_1363
.LBB159_1361:
	s_mov_b32 s11, -1
                                        ; implicit-def: $vgpr1
	s_branch .LBB159_1366
.LBB159_1362:
	s_mov_b32 s11, -1
                                        ; implicit-def: $vgpr1
.LBB159_1363:
	s_delay_alu instid0(SALU_CYCLE_1)
	s_and_not1_b32 vcc_lo, exec_lo, s11
	s_cbranch_vccnz .LBB159_1365
; %bb.1364:
	s_wait_loadcnt 0x0
	global_load_u16 v1, v[12:13], off
	s_wait_loadcnt 0x0
	v_cvt_f16_u16_e32 v1, v1
.LBB159_1365:
	s_mov_b32 s11, 0
.LBB159_1366:
	s_delay_alu instid0(SALU_CYCLE_1)
	s_and_not1_b32 vcc_lo, exec_lo, s11
	s_cbranch_vccnz .LBB159_1374
; %bb.1367:
	global_load_u8 v3, v[12:13], off
	s_mov_b32 s11, 0
	s_mov_b32 s15, exec_lo
	s_wait_loadcnt 0x0
	v_cmpx_lt_i16_e32 0x7f, v3
	s_xor_b32 s15, exec_lo, s15
	s_cbranch_execz .LBB159_1387
; %bb.1368:
	s_mov_b32 s11, -1
	s_mov_b32 s18, exec_lo
	v_cmpx_eq_u16_e32 0x80, v3
; %bb.1369:
	s_xor_b32 s11, exec_lo, -1
; %bb.1370:
	s_or_b32 exec_lo, exec_lo, s18
	s_delay_alu instid0(SALU_CYCLE_1)
	s_and_b32 s11, s11, exec_lo
	s_or_saveexec_b32 s15, s15
	v_mov_b32_e32 v1, 0x7e00
	s_xor_b32 exec_lo, exec_lo, s15
	s_cbranch_execnz .LBB159_1388
.LBB159_1371:
	s_or_b32 exec_lo, exec_lo, s15
	s_and_saveexec_b32 s15, s11
	s_cbranch_execz .LBB159_1373
.LBB159_1372:
	v_and_b32_e32 v1, 0xffff, v3
	s_delay_alu instid0(VALU_DEP_1) | instskip(SKIP_1) | instid1(VALU_DEP_2)
	v_and_b32_e32 v5, 7, v1
	v_bfe_u32 v11, v1, 3, 4
	v_clz_i32_u32_e32 v7, v5
	s_delay_alu instid0(VALU_DEP_2) | instskip(NEXT) | instid1(VALU_DEP_2)
	v_cmp_eq_u32_e32 vcc_lo, 0, v11
	v_min_u32_e32 v7, 32, v7
	s_delay_alu instid0(VALU_DEP_1) | instskip(NEXT) | instid1(VALU_DEP_1)
	v_subrev_nc_u32_e32 v9, 28, v7
	v_dual_lshlrev_b32 v1, v9, v1 :: v_dual_sub_nc_u32 v7, 29, v7
	s_delay_alu instid0(VALU_DEP_1) | instskip(NEXT) | instid1(VALU_DEP_1)
	v_dual_lshlrev_b32 v3, 24, v3 :: v_dual_bitop2_b32 v1, 7, v1 bitop3:0x40
	v_dual_cndmask_b32 v1, v5, v1, vcc_lo :: v_dual_cndmask_b32 v7, v11, v7, vcc_lo
	s_delay_alu instid0(VALU_DEP_2) | instskip(NEXT) | instid1(VALU_DEP_2)
	v_and_b32_e32 v3, 0x80000000, v3
	v_lshlrev_b32_e32 v1, 20, v1
	s_delay_alu instid0(VALU_DEP_3) | instskip(NEXT) | instid1(VALU_DEP_1)
	v_lshl_add_u32 v5, v7, 23, 0x3b800000
	v_or3_b32 v1, v3, v5, v1
	s_delay_alu instid0(VALU_DEP_1)
	v_cvt_f16_f32_e32 v1, v1
.LBB159_1373:
	s_or_b32 exec_lo, exec_lo, s15
.LBB159_1374:
	v_mov_b32_e32 v3, 0
	s_mov_b32 s11, -1
.LBB159_1375:
	s_branch .LBB159_1409
.LBB159_1376:
	s_cmp_gt_i32 s14, 22
	s_cbranch_scc0 .LBB159_1386
; %bb.1377:
	s_cmp_lt_i32 s14, 24
	s_cbranch_scc1 .LBB159_1389
; %bb.1378:
	s_cmp_gt_i32 s14, 24
	s_cbranch_scc0 .LBB159_1390
; %bb.1379:
	global_load_u8 v3, v[12:13], off
	s_mov_b32 s11, exec_lo
	s_wait_loadcnt 0x0
	v_cmpx_lt_i16_e32 0x7f, v3
	s_xor_b32 s11, exec_lo, s11
	s_cbranch_execz .LBB159_1402
; %bb.1380:
	s_mov_b32 s10, -1
	s_mov_b32 s15, exec_lo
	v_cmpx_eq_u16_e32 0x80, v3
; %bb.1381:
	s_xor_b32 s10, exec_lo, -1
; %bb.1382:
	s_or_b32 exec_lo, exec_lo, s15
	s_delay_alu instid0(SALU_CYCLE_1)
	s_and_b32 s10, s10, exec_lo
	s_or_saveexec_b32 s11, s11
	v_mov_b32_e32 v1, 0x7e00
	s_xor_b32 exec_lo, exec_lo, s11
	s_cbranch_execnz .LBB159_1403
.LBB159_1383:
	s_or_b32 exec_lo, exec_lo, s11
	s_and_saveexec_b32 s11, s10
	s_cbranch_execz .LBB159_1385
.LBB159_1384:
	v_and_b32_e32 v1, 0xffff, v3
	s_delay_alu instid0(VALU_DEP_1) | instskip(SKIP_1) | instid1(VALU_DEP_2)
	v_and_b32_e32 v5, 3, v1
	v_bfe_u32 v11, v1, 2, 5
	v_clz_i32_u32_e32 v7, v5
	s_delay_alu instid0(VALU_DEP_2) | instskip(NEXT) | instid1(VALU_DEP_2)
	v_cmp_eq_u32_e32 vcc_lo, 0, v11
	v_min_u32_e32 v7, 32, v7
	s_delay_alu instid0(VALU_DEP_1) | instskip(NEXT) | instid1(VALU_DEP_1)
	v_subrev_nc_u32_e32 v9, 29, v7
	v_dual_lshlrev_b32 v1, v9, v1 :: v_dual_sub_nc_u32 v7, 30, v7
	s_delay_alu instid0(VALU_DEP_1) | instskip(NEXT) | instid1(VALU_DEP_1)
	v_dual_lshlrev_b32 v3, 24, v3 :: v_dual_bitop2_b32 v1, 3, v1 bitop3:0x40
	v_dual_cndmask_b32 v1, v5, v1, vcc_lo :: v_dual_cndmask_b32 v7, v11, v7, vcc_lo
	s_delay_alu instid0(VALU_DEP_2) | instskip(NEXT) | instid1(VALU_DEP_2)
	v_and_b32_e32 v3, 0x80000000, v3
	v_lshlrev_b32_e32 v1, 21, v1
	s_delay_alu instid0(VALU_DEP_3) | instskip(NEXT) | instid1(VALU_DEP_1)
	v_lshl_add_u32 v5, v7, 23, 0x37800000
	v_or3_b32 v1, v3, v5, v1
	s_delay_alu instid0(VALU_DEP_1)
	v_cvt_f16_f32_e32 v1, v1
.LBB159_1385:
	s_or_b32 exec_lo, exec_lo, s11
	s_mov_b32 s10, 0
	s_branch .LBB159_1391
.LBB159_1386:
	s_mov_b32 s10, -1
                                        ; implicit-def: $vgpr1
	s_branch .LBB159_1397
.LBB159_1387:
	s_or_saveexec_b32 s15, s15
	v_mov_b32_e32 v1, 0x7e00
	s_xor_b32 exec_lo, exec_lo, s15
	s_cbranch_execz .LBB159_1371
.LBB159_1388:
	v_cmp_ne_u16_e32 vcc_lo, 0, v3
	v_mov_b32_e32 v1, v3
	s_and_not1_b32 s11, s11, exec_lo
	s_and_b32 s18, vcc_lo, exec_lo
	s_delay_alu instid0(SALU_CYCLE_1)
	s_or_b32 s11, s11, s18
	s_or_b32 exec_lo, exec_lo, s15
	s_and_saveexec_b32 s15, s11
	s_cbranch_execnz .LBB159_1372
	s_branch .LBB159_1373
.LBB159_1389:
	s_mov_b32 s10, -1
                                        ; implicit-def: $vgpr1
	s_branch .LBB159_1394
.LBB159_1390:
	s_mov_b32 s10, -1
                                        ; implicit-def: $vgpr1
.LBB159_1391:
	s_delay_alu instid0(SALU_CYCLE_1)
	s_and_b32 vcc_lo, exec_lo, s10
	s_cbranch_vccz .LBB159_1393
; %bb.1392:
	s_wait_loadcnt 0x0
	global_load_u8 v1, v[12:13], off
	s_wait_loadcnt 0x0
	v_lshlrev_b32_e32 v1, 24, v1
	s_delay_alu instid0(VALU_DEP_1) | instskip(NEXT) | instid1(VALU_DEP_1)
	v_and_b32_e32 v3, 0x7f000000, v1
	v_clz_i32_u32_e32 v5, v3
	v_add_nc_u32_e32 v9, 0x1000000, v3
	v_cmp_ne_u32_e32 vcc_lo, 0, v3
	s_delay_alu instid0(VALU_DEP_3) | instskip(NEXT) | instid1(VALU_DEP_1)
	v_min_u32_e32 v5, 32, v5
	v_sub_nc_u32_e64 v5, v5, 4 clamp
	s_delay_alu instid0(VALU_DEP_1) | instskip(NEXT) | instid1(VALU_DEP_1)
	v_dual_lshlrev_b32 v7, v5, v3 :: v_dual_lshlrev_b32 v5, 23, v5
	v_lshrrev_b32_e32 v7, 4, v7
	s_delay_alu instid0(VALU_DEP_1) | instskip(SKIP_1) | instid1(VALU_DEP_2)
	v_sub_nc_u32_e32 v5, v7, v5
	v_ashrrev_i32_e32 v7, 8, v9
	v_add_nc_u32_e32 v5, 0x3c000000, v5
	s_delay_alu instid0(VALU_DEP_1) | instskip(NEXT) | instid1(VALU_DEP_1)
	v_and_or_b32 v5, 0x7f800000, v7, v5
	v_cndmask_b32_e32 v3, 0, v5, vcc_lo
	s_delay_alu instid0(VALU_DEP_1) | instskip(NEXT) | instid1(VALU_DEP_1)
	v_and_or_b32 v1, 0x80000000, v1, v3
	v_cvt_f16_f32_e32 v1, v1
.LBB159_1393:
	s_mov_b32 s10, 0
.LBB159_1394:
	s_delay_alu instid0(SALU_CYCLE_1)
	s_and_not1_b32 vcc_lo, exec_lo, s10
	s_cbranch_vccnz .LBB159_1396
; %bb.1395:
	s_wait_loadcnt 0x0
	global_load_u8 v1, v[12:13], off
	s_wait_loadcnt 0x0
	v_lshlrev_b32_e32 v3, 25, v1
	v_lshlrev_b16 v1, 8, v1
	s_delay_alu instid0(VALU_DEP_1) | instskip(SKIP_1) | instid1(VALU_DEP_2)
	v_and_or_b32 v7, 0x7f00, v1, 0.5
	v_bfe_i32 v1, v1, 0, 16
	v_add_f32_e32 v7, -0.5, v7
	v_lshrrev_b32_e32 v5, 4, v3
	v_cmp_gt_u32_e32 vcc_lo, 0x8000000, v3
	s_delay_alu instid0(VALU_DEP_2) | instskip(NEXT) | instid1(VALU_DEP_1)
	v_or_b32_e32 v5, 0x70000000, v5
	v_mul_f32_e32 v5, 0x7800000, v5
	s_delay_alu instid0(VALU_DEP_1) | instskip(NEXT) | instid1(VALU_DEP_1)
	v_cndmask_b32_e32 v3, v5, v7, vcc_lo
	v_and_or_b32 v1, 0x80000000, v1, v3
	s_delay_alu instid0(VALU_DEP_1)
	v_cvt_f16_f32_e32 v1, v1
.LBB159_1396:
	s_mov_b32 s10, 0
	s_mov_b32 s11, -1
.LBB159_1397:
	s_and_not1_b32 vcc_lo, exec_lo, s10
	s_mov_b32 s10, 0
	s_cbranch_vccnz .LBB159_1408
; %bb.1398:
	s_cmp_gt_i32 s14, 14
	s_cbranch_scc0 .LBB159_1401
; %bb.1399:
	s_cmp_eq_u32 s14, 15
	s_cbranch_scc0 .LBB159_1404
; %bb.1400:
	s_wait_loadcnt 0x0
	global_load_u16 v1, v[12:13], off
	s_mov_b32 s0, 0
	s_mov_b32 s11, -1
	s_wait_loadcnt 0x0
	v_lshlrev_b32_e32 v1, 16, v1
	s_delay_alu instid0(VALU_DEP_1)
	v_cvt_f16_f32_e32 v1, v1
	s_branch .LBB159_1406
.LBB159_1401:
	s_mov_b32 s10, -1
	s_branch .LBB159_1405
.LBB159_1402:
	s_or_saveexec_b32 s11, s11
	v_mov_b32_e32 v1, 0x7e00
	s_xor_b32 exec_lo, exec_lo, s11
	s_cbranch_execz .LBB159_1383
.LBB159_1403:
	v_cmp_ne_u16_e32 vcc_lo, 0, v3
	v_mov_b32_e32 v1, v3
	s_and_not1_b32 s10, s10, exec_lo
	s_and_b32 s15, vcc_lo, exec_lo
	s_delay_alu instid0(SALU_CYCLE_1)
	s_or_b32 s10, s10, s15
	s_or_b32 exec_lo, exec_lo, s11
	s_and_saveexec_b32 s11, s10
	s_cbranch_execnz .LBB159_1384
	s_branch .LBB159_1385
.LBB159_1404:
	s_mov_b32 s0, -1
.LBB159_1405:
                                        ; implicit-def: $vgpr1
.LBB159_1406:
	s_and_b32 vcc_lo, exec_lo, s10
	s_mov_b32 s10, 0
	s_cbranch_vccz .LBB159_1408
; %bb.1407:
	s_cmp_lg_u32 s14, 11
	s_mov_b32 s10, -1
	s_cselect_b32 s0, -1, 0
.LBB159_1408:
	v_mov_b32_e32 v3, 0
.LBB159_1409:
	s_and_b32 vcc_lo, exec_lo, s0
	s_cbranch_vccnz .LBB159_1490
; %bb.1410:
	s_and_not1_b32 vcc_lo, exec_lo, s10
	s_cbranch_vccnz .LBB159_1412
.LBB159_1411:
	s_wait_loadcnt 0x0
	global_load_u8 v1, v[12:13], off
	v_mov_b32_e32 v3, 0
	s_mov_b32 s11, -1
	s_wait_loadcnt 0x0
	v_cmp_ne_u16_e32 vcc_lo, 0, v1
	v_cndmask_b32_e64 v1, 0, 0x3c00, vcc_lo
.LBB159_1412:
	s_branch .LBB159_1334
.LBB159_1413:
	s_cmp_lt_i32 s14, 5
	s_cbranch_scc1 .LBB159_1418
; %bb.1414:
	s_cmp_lt_i32 s14, 8
	s_cbranch_scc1 .LBB159_1420
; %bb.1415:
	;; [unrolled: 3-line block ×3, first 2 shown]
	s_cmp_gt_i32 s14, 9
	s_cbranch_scc0 .LBB159_1422
; %bb.1417:
	global_load_b128 v[14:17], v[12:13], off
	v_mov_b32_e32 v20, 0x7e00
	s_mov_b32 s0, 0
	s_wait_loadcnt 0x0
	v_and_or_b32 v1, 0x1ff, v15, v14
	v_and_or_b32 v7, 0x1ff, v17, v16
	v_dual_lshrrev_b32 v3, 8, v15 :: v_dual_lshrrev_b32 v9, 8, v17
	v_bfe_u32 v5, v15, 20, 11
	s_delay_alu instid0(VALU_DEP_4) | instskip(SKIP_2) | instid1(VALU_DEP_4)
	v_cmp_ne_u32_e32 vcc_lo, 0, v1
	v_bfe_u32 v11, v17, 20, 11
	v_lshrrev_b32_e32 v15, 16, v15
	v_sub_nc_u32_e32 v14, 0x3f1, v5
	v_cndmask_b32_e64 v1, 0, 1, vcc_lo
	v_cmp_ne_u32_e32 vcc_lo, 0, v7
	v_add_nc_u32_e32 v5, 0xfffffc10, v5
	s_delay_alu instid0(VALU_DEP_3) | instskip(SKIP_3) | instid1(VALU_DEP_3)
	v_and_or_b32 v1, 0xffe, v3, v1
	v_cndmask_b32_e64 v7, 0, 1, vcc_lo
	v_sub_nc_u32_e32 v3, 0x3f1, v11
	v_add_nc_u32_e32 v11, 0xfffffc10, v11
	v_and_or_b32 v7, 0xffe, v9, v7
	v_med3_i32 v9, v14, 0, 13
	v_or_b32_e32 v14, 0x1000, v1
	v_med3_i32 v3, v3, 0, 13
	s_delay_alu instid0(VALU_DEP_4) | instskip(NEXT) | instid1(VALU_DEP_1)
	v_or_b32_e32 v16, 0x1000, v7
	v_dual_lshrrev_b32 v18, v9, v14 :: v_dual_lshrrev_b32 v19, v3, v16
	s_delay_alu instid0(VALU_DEP_1) | instskip(NEXT) | instid1(VALU_DEP_1)
	v_dual_lshlrev_b32 v9, v9, v18 :: v_dual_lshlrev_b32 v3, v3, v19
	v_cmp_ne_u32_e32 vcc_lo, v9, v14
	v_lshl_or_b32 v14, v5, 12, v1
	v_cndmask_b32_e64 v9, 0, 1, vcc_lo
	s_delay_alu instid0(VALU_DEP_4) | instskip(SKIP_1) | instid1(VALU_DEP_3)
	v_cmp_ne_u32_e32 vcc_lo, v3, v16
	v_lshl_or_b32 v16, v11, 12, v7
	v_or_b32_e32 v9, v18, v9
	v_cndmask_b32_e64 v3, 0, 1, vcc_lo
	v_cmp_gt_i32_e32 vcc_lo, 1, v5
	s_delay_alu instid0(VALU_DEP_2) | instskip(SKIP_1) | instid1(VALU_DEP_2)
	v_dual_cndmask_b32 v9, v14, v9, vcc_lo :: v_dual_bitop2_b32 v3, v19, v3 bitop3:0x54
	v_cmp_gt_i32_e32 vcc_lo, 1, v11
	v_dual_lshrrev_b32 v9, 2, v9 :: v_dual_bitop2_b32 v14, 7, v9 bitop3:0x40
	s_delay_alu instid0(VALU_DEP_3) | instskip(NEXT) | instid1(VALU_DEP_2)
	v_cndmask_b32_e32 v3, v16, v3, vcc_lo
	v_cmp_lt_i32_e32 vcc_lo, 5, v14
	v_cndmask_b32_e64 v18, 0, 1, vcc_lo
	v_cmp_eq_u32_e32 vcc_lo, 3, v14
	v_cndmask_b32_e64 v14, 0, 1, vcc_lo
	s_delay_alu instid0(VALU_DEP_1) | instskip(SKIP_1) | instid1(VALU_DEP_2)
	v_or_b32_e32 v14, v14, v18
	v_dual_lshrrev_b32 v3, 2, v3 :: v_dual_bitop2_b32 v16, 7, v3 bitop3:0x40
	v_add_nc_u32_e32 v9, v9, v14
	s_delay_alu instid0(VALU_DEP_2)
	v_cmp_lt_i32_e32 vcc_lo, 5, v16
	v_lshrrev_b32_e32 v14, 16, v17
	v_cndmask_b32_e64 v19, 0, 1, vcc_lo
	v_cmp_eq_u32_e32 vcc_lo, 3, v16
	v_cndmask_b32_e64 v16, 0, 1, vcc_lo
	v_cmp_ne_u32_e32 vcc_lo, 0, v1
	s_delay_alu instid0(VALU_DEP_2) | instskip(SKIP_2) | instid1(VALU_DEP_3)
	v_or_b32_e32 v16, v16, v19
	v_cndmask_b32_e32 v1, 0x7c00, v20, vcc_lo
	v_cmp_ne_u32_e32 vcc_lo, 0, v7
	v_add_nc_u32_e32 v3, v3, v16
	v_cndmask_b32_e32 v7, 0x7c00, v20, vcc_lo
	v_cmp_gt_i32_e32 vcc_lo, 31, v5
	v_cndmask_b32_e32 v9, 0x7c00, v9, vcc_lo
	v_cmp_gt_i32_e32 vcc_lo, 31, v11
	v_cndmask_b32_e32 v3, 0x7c00, v3, vcc_lo
	v_cmp_eq_u32_e32 vcc_lo, 0x40f, v5
	s_delay_alu instid0(VALU_DEP_4) | instskip(SKIP_1) | instid1(VALU_DEP_4)
	v_cndmask_b32_e32 v1, v9, v1, vcc_lo
	v_cmp_eq_u32_e32 vcc_lo, 0x40f, v11
	v_cndmask_b32_e32 v3, v3, v7, vcc_lo
	s_delay_alu instid0(VALU_DEP_3) | instskip(NEXT) | instid1(VALU_DEP_2)
	v_and_or_b32 v1, 0x8000, v15, v1
	v_and_or_b32 v3, 0x8000, v14, v3
	s_branch .LBB159_1423
.LBB159_1418:
                                        ; implicit-def: $vgpr3
                                        ; implicit-def: $vgpr1
	s_branch .LBB159_1442
.LBB159_1419:
	s_branch .LBB159_1462
.LBB159_1420:
	s_mov_b32 s0, -1
                                        ; implicit-def: $vgpr3
                                        ; implicit-def: $vgpr1
	s_branch .LBB159_1429
.LBB159_1421:
	s_mov_b32 s0, -1
                                        ; implicit-def: $vgpr3
                                        ; implicit-def: $vgpr1
	s_branch .LBB159_1426
.LBB159_1422:
	s_mov_b32 s0, -1
                                        ; implicit-def: $vgpr3
                                        ; implicit-def: $vgpr1
.LBB159_1423:
	s_delay_alu instid0(SALU_CYCLE_1)
	s_and_not1_b32 vcc_lo, exec_lo, s0
	s_cbranch_vccnz .LBB159_1425
; %bb.1424:
	global_load_b64 v[14:15], v[12:13], off
	s_wait_loadcnt 0x0
	v_cvt_f16_f32_e32 v1, v14
	v_cvt_f16_f32_e32 v3, v15
.LBB159_1425:
	s_mov_b32 s0, 0
.LBB159_1426:
	s_delay_alu instid0(SALU_CYCLE_1)
	s_and_not1_b32 vcc_lo, exec_lo, s0
	s_cbranch_vccnz .LBB159_1428
; %bb.1427:
	s_wait_loadcnt 0x0
	global_load_b32 v1, v[12:13], off
	s_wait_loadcnt 0x0
	v_lshrrev_b32_e32 v3, 16, v1
.LBB159_1428:
	s_mov_b32 s0, 0
.LBB159_1429:
	s_delay_alu instid0(SALU_CYCLE_1)
	s_and_not1_b32 vcc_lo, exec_lo, s0
	s_cbranch_vccnz .LBB159_1441
; %bb.1430:
	s_cmp_lt_i32 s14, 6
	s_cbranch_scc1 .LBB159_1433
; %bb.1431:
	s_cmp_gt_i32 s14, 6
	s_cbranch_scc0 .LBB159_1434
; %bb.1432:
	global_load_b64 v[14:15], v[12:13], off
	s_mov_b32 s0, 0
	s_wait_loadcnt 0x0
	v_and_or_b32 v1, 0x1ff, v15, v14
	v_lshrrev_b32_e32 v3, 8, v15
	v_bfe_u32 v5, v15, 20, 11
	s_delay_alu instid0(VALU_DEP_3) | instskip(NEXT) | instid1(VALU_DEP_2)
	v_cmp_ne_u32_e32 vcc_lo, 0, v1
	v_sub_nc_u32_e32 v7, 0x3f1, v5
	v_add_nc_u32_e32 v5, 0xfffffc10, v5
	v_cndmask_b32_e64 v1, 0, 1, vcc_lo
	s_delay_alu instid0(VALU_DEP_1) | instskip(NEXT) | instid1(VALU_DEP_4)
	v_and_or_b32 v1, 0xffe, v3, v1
	v_med3_i32 v3, v7, 0, 13
	s_delay_alu instid0(VALU_DEP_2) | instskip(NEXT) | instid1(VALU_DEP_1)
	v_or_b32_e32 v7, 0x1000, v1
	v_lshrrev_b32_e32 v9, v3, v7
	s_delay_alu instid0(VALU_DEP_1) | instskip(NEXT) | instid1(VALU_DEP_1)
	v_lshlrev_b32_e32 v3, v3, v9
	v_cmp_ne_u32_e32 vcc_lo, v3, v7
	v_lshl_or_b32 v7, v5, 12, v1
	v_cndmask_b32_e64 v3, 0, 1, vcc_lo
	v_cmp_gt_i32_e32 vcc_lo, 1, v5
	s_delay_alu instid0(VALU_DEP_2) | instskip(NEXT) | instid1(VALU_DEP_1)
	v_or_b32_e32 v3, v9, v3
	v_cndmask_b32_e32 v3, v7, v3, vcc_lo
	s_delay_alu instid0(VALU_DEP_1) | instskip(NEXT) | instid1(VALU_DEP_1)
	v_dual_lshrrev_b32 v3, 2, v3 :: v_dual_bitop2_b32 v7, 7, v3 bitop3:0x40
	v_cmp_lt_i32_e32 vcc_lo, 5, v7
	v_cndmask_b32_e64 v9, 0, 1, vcc_lo
	v_cmp_eq_u32_e32 vcc_lo, 3, v7
	v_cndmask_b32_e64 v7, 0, 1, vcc_lo
	v_cmp_ne_u32_e32 vcc_lo, 0, v1
	s_delay_alu instid0(VALU_DEP_2) | instskip(SKIP_1) | instid1(VALU_DEP_2)
	v_or_b32_e32 v7, v7, v9
	v_mov_b32_e32 v9, 0x7e00
	v_add_nc_u32_e32 v3, v3, v7
	s_delay_alu instid0(VALU_DEP_2) | instskip(SKIP_1) | instid1(VALU_DEP_3)
	v_cndmask_b32_e32 v1, 0x7c00, v9, vcc_lo
	v_cmp_gt_i32_e32 vcc_lo, 31, v5
	v_cndmask_b32_e32 v3, 0x7c00, v3, vcc_lo
	v_cmp_eq_u32_e32 vcc_lo, 0x40f, v5
	s_delay_alu instid0(VALU_DEP_2) | instskip(NEXT) | instid1(VALU_DEP_1)
	v_dual_cndmask_b32 v1, v3, v1, vcc_lo :: v_dual_lshrrev_b32 v3, 16, v15
	v_and_or_b32 v1, 0x8000, v3, v1
	s_branch .LBB159_1435
.LBB159_1433:
	s_mov_b32 s0, -1
                                        ; implicit-def: $vgpr1
	s_branch .LBB159_1438
.LBB159_1434:
	s_mov_b32 s0, -1
                                        ; implicit-def: $vgpr1
.LBB159_1435:
	s_delay_alu instid0(SALU_CYCLE_1)
	s_and_not1_b32 vcc_lo, exec_lo, s0
	s_cbranch_vccnz .LBB159_1437
; %bb.1436:
	s_wait_loadcnt 0x0
	global_load_b32 v1, v[12:13], off
	s_wait_loadcnt 0x0
	v_cvt_f16_f32_e32 v1, v1
.LBB159_1437:
	s_mov_b32 s0, 0
.LBB159_1438:
	s_delay_alu instid0(SALU_CYCLE_1)
	s_and_not1_b32 vcc_lo, exec_lo, s0
	s_cbranch_vccnz .LBB159_1440
; %bb.1439:
	s_wait_loadcnt 0x0
	global_load_u16 v1, v[12:13], off
.LBB159_1440:
	v_mov_b32_e32 v3, 0
.LBB159_1441:
	s_cbranch_execnz .LBB159_1419
.LBB159_1442:
	s_cmp_lt_i32 s14, 2
	s_cbranch_scc1 .LBB159_1446
; %bb.1443:
	s_cmp_lt_i32 s14, 3
	s_cbranch_scc1 .LBB159_1447
; %bb.1444:
	s_cmp_gt_i32 s14, 3
	s_cbranch_scc0 .LBB159_1448
; %bb.1445:
	global_load_b64 v[14:15], v[12:13], off
	s_mov_b32 s0, 0
	s_wait_loadcnt 0x0
	v_xor_b32_e32 v1, v14, v15
	v_cls_i32_e32 v3, v15
	s_delay_alu instid0(VALU_DEP_2) | instskip(NEXT) | instid1(VALU_DEP_1)
	v_ashrrev_i32_e32 v1, 31, v1
	v_add_nc_u32_e32 v1, 32, v1
	s_delay_alu instid0(VALU_DEP_1) | instskip(NEXT) | instid1(VALU_DEP_1)
	v_add_min_u32_e64 v1, v3, -1, v1
	v_lshlrev_b64_e32 v[14:15], v1, v[14:15]
	v_sub_nc_u32_e32 v1, 32, v1
	s_delay_alu instid0(VALU_DEP_2) | instskip(NEXT) | instid1(VALU_DEP_1)
	v_min_u32_e32 v3, 1, v14
	v_or_b32_e32 v3, v15, v3
	s_delay_alu instid0(VALU_DEP_1) | instskip(NEXT) | instid1(VALU_DEP_1)
	v_cvt_f32_i32_e32 v3, v3
	v_ldexp_f32 v1, v3, v1
	s_delay_alu instid0(VALU_DEP_1)
	v_cvt_f16_f32_e32 v1, v1
	s_branch .LBB159_1449
.LBB159_1446:
	s_mov_b32 s0, -1
                                        ; implicit-def: $vgpr1
	s_branch .LBB159_1455
.LBB159_1447:
	s_mov_b32 s0, -1
                                        ; implicit-def: $vgpr1
	s_branch .LBB159_1452
.LBB159_1448:
	s_mov_b32 s0, -1
                                        ; implicit-def: $vgpr1
.LBB159_1449:
	s_delay_alu instid0(SALU_CYCLE_1)
	s_and_not1_b32 vcc_lo, exec_lo, s0
	s_cbranch_vccnz .LBB159_1451
; %bb.1450:
	s_wait_loadcnt 0x0
	global_load_b32 v1, v[12:13], off
	s_wait_loadcnt 0x0
	v_cvt_f32_i32_e32 v1, v1
	s_delay_alu instid0(VALU_DEP_1)
	v_cvt_f16_f32_e32 v1, v1
.LBB159_1451:
	s_mov_b32 s0, 0
.LBB159_1452:
	s_delay_alu instid0(SALU_CYCLE_1)
	s_and_not1_b32 vcc_lo, exec_lo, s0
	s_cbranch_vccnz .LBB159_1454
; %bb.1453:
	s_wait_loadcnt 0x0
	global_load_u16 v1, v[12:13], off
	s_wait_loadcnt 0x0
	v_cvt_f16_i16_e32 v1, v1
.LBB159_1454:
	s_mov_b32 s0, 0
.LBB159_1455:
	s_delay_alu instid0(SALU_CYCLE_1)
	s_and_not1_b32 vcc_lo, exec_lo, s0
	s_cbranch_vccnz .LBB159_1461
; %bb.1456:
	s_cmp_gt_i32 s14, 0
	s_mov_b32 s0, 0
	s_cbranch_scc0 .LBB159_1458
; %bb.1457:
	s_wait_loadcnt 0x0
	global_load_i8 v1, v[12:13], off
	s_wait_loadcnt 0x0
	v_cvt_f16_i16_e32 v1, v1
	s_branch .LBB159_1459
.LBB159_1458:
	s_mov_b32 s0, -1
                                        ; implicit-def: $vgpr1
.LBB159_1459:
	s_delay_alu instid0(SALU_CYCLE_1)
	s_and_not1_b32 vcc_lo, exec_lo, s0
	s_cbranch_vccnz .LBB159_1461
; %bb.1460:
	s_wait_loadcnt 0x0
	global_load_u8 v1, v[12:13], off
	s_wait_loadcnt 0x0
	v_cvt_f16_u16_e32 v1, v1
.LBB159_1461:
	v_mov_b32_e32 v3, 0
.LBB159_1462:
	s_and_b32 vcc_lo, exec_lo, s13
	s_cbranch_vccz .LBB159_1474
; %bb.1463:
	s_wait_loadcnt 0x0
	v_cmp_neq_f16_e32 vcc_lo, s1, v1
	v_cmp_neq_f16_e64 s0, s12, v3
	s_or_b32 s10, vcc_lo, s0
	s_cbranch_execnz .LBB159_1465
.LBB159_1464:
	s_wait_loadcnt 0x0
	v_cmp_eq_f16_e32 vcc_lo, s1, v1
	v_cmp_eq_f16_e64 s0, s12, v3
	s_and_not1_b32 s10, s10, exec_lo
	s_and_b32 s0, vcc_lo, s0
	s_delay_alu instid0(SALU_CYCLE_1) | instskip(NEXT) | instid1(SALU_CYCLE_1)
	s_and_b32 s0, s0, exec_lo
	s_or_b32 s10, s10, s0
.LBB159_1465:
	v_mov_b32_e32 v11, 0
	s_cmp_lt_i32 s14, 11
	s_delay_alu instid0(VALU_DEP_1)
	v_add_nc_u64_e32 v[10:11], s[6:7], v[10:11]
	s_cbranch_scc1 .LBB159_1472
; %bb.1466:
	s_cmp_gt_i32 s14, 25
	s_mov_b32 s11, 0
	s_cbranch_scc0 .LBB159_1475
; %bb.1467:
	s_cmp_gt_i32 s14, 28
	s_cbranch_scc0 .LBB159_1486
; %bb.1468:
	s_cmp_gt_i32 s14, 43
	;; [unrolled: 3-line block ×3, first 2 shown]
	s_cbranch_scc0 .LBB159_1491
; %bb.1470:
	s_cmp_eq_u32 s14, 46
	s_mov_b32 s18, 0
	s_cbranch_scc0 .LBB159_1549
; %bb.1471:
	s_wait_loadcnt 0x0
	global_load_b32 v1, v[10:11], off
	s_mov_b32 s0, 0
	s_mov_b32 s15, -1
	s_wait_loadcnt 0x0
	v_lshlrev_b32_e32 v3, 16, v1
	v_and_b32_e32 v5, 0xffff0000, v1
	s_delay_alu instid0(VALU_DEP_2) | instskip(NEXT) | instid1(VALU_DEP_2)
	v_cvt_f16_f32_e32 v1, v3
	v_cvt_f16_f32_e32 v3, v5
	s_branch .LBB159_1551
.LBB159_1472:
	s_mov_b32 s15, 0
                                        ; implicit-def: $vgpr3
                                        ; implicit-def: $vgpr1
	s_cbranch_execnz .LBB159_1480
.LBB159_1473:
	s_and_not1_b32 vcc_lo, exec_lo, s15
	s_cbranch_vccnz .LBB159_1743
	s_branch .LBB159_1534
.LBB159_1474:
                                        ; implicit-def: $sgpr10
	s_branch .LBB159_1464
.LBB159_1475:
	s_mov_b32 s15, 0
	s_mov_b32 s0, 0
                                        ; implicit-def: $vgpr3
                                        ; implicit-def: $vgpr1
	s_cbranch_execnz .LBB159_1583
.LBB159_1476:
	s_and_b32 vcc_lo, exec_lo, s0
	s_cbranch_vccnz .LBB159_1616
.LBB159_1477:
	s_and_not1_b32 vcc_lo, exec_lo, s11
	s_cbranch_vccnz .LBB159_1479
.LBB159_1478:
	s_wait_loadcnt 0x0
	global_load_u8 v1, v[10:11], off
	v_mov_b32_e32 v3, 0
	s_mov_b32 s15, -1
	s_wait_loadcnt 0x0
	v_cmp_ne_u16_e32 vcc_lo, 0, v1
	v_cndmask_b32_e64 v1, 0, 0x3c00, vcc_lo
.LBB159_1479:
	s_branch .LBB159_1473
.LBB159_1480:
	s_cmp_lt_i32 s14, 5
	s_cbranch_scc1 .LBB159_1485
; %bb.1481:
	s_cmp_lt_i32 s14, 8
	s_cbranch_scc1 .LBB159_1487
; %bb.1482:
	;; [unrolled: 3-line block ×3, first 2 shown]
	s_cmp_gt_i32 s14, 9
	s_cbranch_scc0 .LBB159_1492
; %bb.1484:
	global_load_b128 v[12:15], v[10:11], off
	v_mov_b32_e32 v19, 0x7e00
	s_mov_b32 s0, 0
	s_wait_loadcnt 0x0
	v_and_or_b32 v1, 0x1ff, v13, v12
	v_and_or_b32 v7, 0x1ff, v15, v14
	v_dual_lshrrev_b32 v3, 8, v13 :: v_dual_lshrrev_b32 v9, 8, v15
	v_bfe_u32 v5, v13, 20, 11
	s_delay_alu instid0(VALU_DEP_4) | instskip(SKIP_2) | instid1(VALU_DEP_4)
	v_cmp_ne_u32_e32 vcc_lo, 0, v1
	v_bfe_u32 v12, v15, 20, 11
	v_lshrrev_b32_e32 v13, 16, v13
	v_sub_nc_u32_e32 v14, 0x3f1, v5
	v_cndmask_b32_e64 v1, 0, 1, vcc_lo
	v_cmp_ne_u32_e32 vcc_lo, 0, v7
	v_add_nc_u32_e32 v5, 0xfffffc10, v5
	s_delay_alu instid0(VALU_DEP_3) | instskip(SKIP_2) | instid1(VALU_DEP_2)
	v_and_or_b32 v1, 0xffe, v3, v1
	v_cndmask_b32_e64 v7, 0, 1, vcc_lo
	v_sub_nc_u32_e32 v3, 0x3f1, v12
	v_and_or_b32 v7, 0xffe, v9, v7
	v_med3_i32 v9, v14, 0, 13
	v_or_b32_e32 v14, 0x1000, v1
	s_delay_alu instid0(VALU_DEP_4) | instskip(NEXT) | instid1(VALU_DEP_4)
	v_med3_i32 v3, v3, 0, 13
	v_or_b32_e32 v16, 0x1000, v7
	s_delay_alu instid0(VALU_DEP_1) | instskip(NEXT) | instid1(VALU_DEP_1)
	v_dual_lshrrev_b32 v17, v9, v14 :: v_dual_lshrrev_b32 v18, v3, v16
	v_dual_lshlrev_b32 v9, v9, v17 :: v_dual_lshlrev_b32 v3, v3, v18
	s_delay_alu instid0(VALU_DEP_1) | instskip(SKIP_2) | instid1(VALU_DEP_4)
	v_cmp_ne_u32_e32 vcc_lo, v9, v14
	v_lshl_or_b32 v14, v5, 12, v1
	v_cndmask_b32_e64 v9, 0, 1, vcc_lo
	v_cmp_ne_u32_e32 vcc_lo, v3, v16
	s_delay_alu instid0(VALU_DEP_2) | instskip(SKIP_2) | instid1(VALU_DEP_3)
	v_or_b32_e32 v9, v17, v9
	v_cndmask_b32_e64 v3, 0, 1, vcc_lo
	v_cmp_gt_i32_e32 vcc_lo, 1, v5
	v_dual_cndmask_b32 v9, v14, v9 :: v_dual_add_nc_u32 v12, 0xfffffc10, v12
	s_delay_alu instid0(VALU_DEP_1) | instskip(NEXT) | instid1(VALU_DEP_4)
	v_lshl_or_b32 v16, v12, 12, v7
	v_or_b32_e32 v3, v18, v3
	v_cmp_gt_i32_e32 vcc_lo, 1, v12
	s_delay_alu instid0(VALU_DEP_4) | instskip(NEXT) | instid1(VALU_DEP_3)
	v_dual_lshrrev_b32 v9, 2, v9 :: v_dual_bitop2_b32 v14, 7, v9 bitop3:0x40
	v_cndmask_b32_e32 v3, v16, v3, vcc_lo
	s_delay_alu instid0(VALU_DEP_2) | instskip(NEXT) | instid1(VALU_DEP_2)
	v_cmp_lt_i32_e32 vcc_lo, 5, v14
	v_dual_lshrrev_b32 v3, 2, v3 :: v_dual_bitop2_b32 v16, 7, v3 bitop3:0x40
	v_cndmask_b32_e64 v17, 0, 1, vcc_lo
	v_cmp_eq_u32_e32 vcc_lo, 3, v14
	v_cndmask_b32_e64 v14, 0, 1, vcc_lo
	s_delay_alu instid0(VALU_DEP_4) | instskip(NEXT) | instid1(VALU_DEP_2)
	v_cmp_lt_i32_e32 vcc_lo, 5, v16
	v_or_b32_e32 v14, v14, v17
	v_cndmask_b32_e64 v18, 0, 1, vcc_lo
	v_cmp_eq_u32_e32 vcc_lo, 3, v16
	s_delay_alu instid0(VALU_DEP_3)
	v_dual_add_nc_u32 v9, v9, v14 :: v_dual_lshrrev_b32 v14, 16, v15
	v_cndmask_b32_e64 v16, 0, 1, vcc_lo
	v_cmp_ne_u32_e32 vcc_lo, 0, v1
	v_cndmask_b32_e32 v1, 0x7c00, v19, vcc_lo
	v_cmp_ne_u32_e32 vcc_lo, 0, v7
	v_cndmask_b32_e32 v7, 0x7c00, v19, vcc_lo
	v_cmp_gt_i32_e32 vcc_lo, 31, v5
	v_cndmask_b32_e32 v9, 0x7c00, v9, vcc_lo
	v_or_b32_e32 v16, v16, v18
	v_cmp_gt_i32_e32 vcc_lo, 31, v12
	s_delay_alu instid0(VALU_DEP_2) | instskip(NEXT) | instid1(VALU_DEP_1)
	v_add_nc_u32_e32 v3, v3, v16
	v_cndmask_b32_e32 v3, 0x7c00, v3, vcc_lo
	v_cmp_eq_u32_e32 vcc_lo, 0x40f, v5
	v_cndmask_b32_e32 v1, v9, v1, vcc_lo
	v_cmp_eq_u32_e32 vcc_lo, 0x40f, v12
	s_delay_alu instid0(VALU_DEP_2) | instskip(SKIP_1) | instid1(VALU_DEP_1)
	v_and_or_b32 v1, 0x8000, v13, v1
	v_cndmask_b32_e32 v3, v3, v7, vcc_lo
	v_and_or_b32 v3, 0x8000, v14, v3
	s_branch .LBB159_1493
.LBB159_1485:
	s_mov_b32 s0, -1
                                        ; implicit-def: $vgpr3
                                        ; implicit-def: $vgpr1
	s_branch .LBB159_1512
.LBB159_1486:
	s_mov_b32 s18, -1
	s_mov_b32 s15, 0
	s_mov_b32 s0, 0
                                        ; implicit-def: $vgpr3
                                        ; implicit-def: $vgpr1
	s_branch .LBB159_1564
.LBB159_1487:
	s_mov_b32 s0, -1
                                        ; implicit-def: $vgpr3
                                        ; implicit-def: $vgpr1
	s_branch .LBB159_1499
.LBB159_1488:
	s_mov_b32 s18, -1
	s_mov_b32 s15, 0
	s_mov_b32 s0, 0
                                        ; implicit-def: $vgpr3
                                        ; implicit-def: $vgpr1
	s_branch .LBB159_1558
.LBB159_1489:
	s_mov_b32 s0, -1
                                        ; implicit-def: $vgpr3
                                        ; implicit-def: $vgpr1
	s_branch .LBB159_1496
.LBB159_1490:
	s_or_b32 s2, s2, exec_lo
	s_trap 2
	s_cbranch_execz .LBB159_1411
	s_branch .LBB159_1412
.LBB159_1491:
	s_mov_b32 s18, -1
	s_mov_b32 s15, 0
	s_mov_b32 s0, 0
	s_branch .LBB159_1550
.LBB159_1492:
	s_mov_b32 s0, -1
                                        ; implicit-def: $vgpr3
                                        ; implicit-def: $vgpr1
.LBB159_1493:
	s_delay_alu instid0(SALU_CYCLE_1)
	s_and_not1_b32 vcc_lo, exec_lo, s0
	s_cbranch_vccnz .LBB159_1495
; %bb.1494:
	global_load_b64 v[12:13], v[10:11], off
	s_wait_loadcnt 0x0
	v_cvt_f16_f32_e32 v1, v12
	v_cvt_f16_f32_e32 v3, v13
.LBB159_1495:
	s_mov_b32 s0, 0
.LBB159_1496:
	s_delay_alu instid0(SALU_CYCLE_1)
	s_and_not1_b32 vcc_lo, exec_lo, s0
	s_cbranch_vccnz .LBB159_1498
; %bb.1497:
	s_wait_loadcnt 0x0
	global_load_b32 v1, v[10:11], off
	s_wait_loadcnt 0x0
	v_lshrrev_b32_e32 v3, 16, v1
.LBB159_1498:
	s_mov_b32 s0, 0
.LBB159_1499:
	s_delay_alu instid0(SALU_CYCLE_1)
	s_and_not1_b32 vcc_lo, exec_lo, s0
	s_cbranch_vccnz .LBB159_1511
; %bb.1500:
	s_cmp_lt_i32 s14, 6
	s_cbranch_scc1 .LBB159_1503
; %bb.1501:
	s_cmp_gt_i32 s14, 6
	s_cbranch_scc0 .LBB159_1504
; %bb.1502:
	global_load_b64 v[12:13], v[10:11], off
	s_mov_b32 s0, 0
	s_wait_loadcnt 0x0
	v_and_or_b32 v1, 0x1ff, v13, v12
	v_lshrrev_b32_e32 v3, 8, v13
	v_bfe_u32 v5, v13, 20, 11
	s_delay_alu instid0(VALU_DEP_3) | instskip(NEXT) | instid1(VALU_DEP_2)
	v_cmp_ne_u32_e32 vcc_lo, 0, v1
	v_sub_nc_u32_e32 v7, 0x3f1, v5
	v_add_nc_u32_e32 v5, 0xfffffc10, v5
	v_cndmask_b32_e64 v1, 0, 1, vcc_lo
	s_delay_alu instid0(VALU_DEP_1) | instskip(NEXT) | instid1(VALU_DEP_4)
	v_and_or_b32 v1, 0xffe, v3, v1
	v_med3_i32 v3, v7, 0, 13
	s_delay_alu instid0(VALU_DEP_2) | instskip(NEXT) | instid1(VALU_DEP_1)
	v_or_b32_e32 v7, 0x1000, v1
	v_lshrrev_b32_e32 v9, v3, v7
	s_delay_alu instid0(VALU_DEP_1) | instskip(NEXT) | instid1(VALU_DEP_1)
	v_lshlrev_b32_e32 v3, v3, v9
	v_cmp_ne_u32_e32 vcc_lo, v3, v7
	v_lshl_or_b32 v7, v5, 12, v1
	v_cndmask_b32_e64 v3, 0, 1, vcc_lo
	v_cmp_gt_i32_e32 vcc_lo, 1, v5
	s_delay_alu instid0(VALU_DEP_2) | instskip(NEXT) | instid1(VALU_DEP_1)
	v_or_b32_e32 v3, v9, v3
	v_cndmask_b32_e32 v3, v7, v3, vcc_lo
	s_delay_alu instid0(VALU_DEP_1) | instskip(NEXT) | instid1(VALU_DEP_1)
	v_and_b32_e32 v7, 7, v3
	v_cmp_lt_i32_e32 vcc_lo, 5, v7
	v_cndmask_b32_e64 v9, 0, 1, vcc_lo
	v_cmp_eq_u32_e32 vcc_lo, 3, v7
	v_cndmask_b32_e64 v7, 0, 1, vcc_lo
	v_cmp_ne_u32_e32 vcc_lo, 0, v1
	s_delay_alu instid0(VALU_DEP_2) | instskip(SKIP_1) | instid1(VALU_DEP_2)
	v_dual_lshrrev_b32 v3, 2, v3 :: v_dual_bitop2_b32 v7, v7, v9 bitop3:0x54
	v_mov_b32_e32 v9, 0x7e00
	v_add_nc_u32_e32 v3, v3, v7
	s_delay_alu instid0(VALU_DEP_2) | instskip(SKIP_1) | instid1(VALU_DEP_3)
	v_cndmask_b32_e32 v1, 0x7c00, v9, vcc_lo
	v_cmp_gt_i32_e32 vcc_lo, 31, v5
	v_cndmask_b32_e32 v3, 0x7c00, v3, vcc_lo
	v_cmp_eq_u32_e32 vcc_lo, 0x40f, v5
	s_delay_alu instid0(VALU_DEP_2) | instskip(SKIP_1) | instid1(VALU_DEP_1)
	v_cndmask_b32_e32 v1, v3, v1, vcc_lo
	v_lshrrev_b32_e32 v3, 16, v13
	v_and_or_b32 v1, 0x8000, v3, v1
	s_branch .LBB159_1505
.LBB159_1503:
	s_mov_b32 s0, -1
                                        ; implicit-def: $vgpr1
	s_branch .LBB159_1508
.LBB159_1504:
	s_mov_b32 s0, -1
                                        ; implicit-def: $vgpr1
.LBB159_1505:
	s_delay_alu instid0(SALU_CYCLE_1)
	s_and_not1_b32 vcc_lo, exec_lo, s0
	s_cbranch_vccnz .LBB159_1507
; %bb.1506:
	s_wait_loadcnt 0x0
	global_load_b32 v1, v[10:11], off
	s_wait_loadcnt 0x0
	v_cvt_f16_f32_e32 v1, v1
.LBB159_1507:
	s_mov_b32 s0, 0
.LBB159_1508:
	s_delay_alu instid0(SALU_CYCLE_1)
	s_and_not1_b32 vcc_lo, exec_lo, s0
	s_cbranch_vccnz .LBB159_1510
; %bb.1509:
	s_wait_loadcnt 0x0
	global_load_u16 v1, v[10:11], off
.LBB159_1510:
	v_mov_b32_e32 v3, 0
.LBB159_1511:
	s_mov_b32 s0, 0
.LBB159_1512:
	s_delay_alu instid0(SALU_CYCLE_1)
	s_and_not1_b32 vcc_lo, exec_lo, s0
	s_cbranch_vccnz .LBB159_1533
; %bb.1513:
	s_cmp_lt_i32 s14, 2
	s_cbranch_scc1 .LBB159_1517
; %bb.1514:
	s_cmp_lt_i32 s14, 3
	s_cbranch_scc1 .LBB159_1518
; %bb.1515:
	s_cmp_gt_i32 s14, 3
	s_cbranch_scc0 .LBB159_1519
; %bb.1516:
	global_load_b64 v[12:13], v[10:11], off
	s_mov_b32 s0, 0
	s_wait_loadcnt 0x0
	v_xor_b32_e32 v1, v12, v13
	v_cls_i32_e32 v3, v13
	s_delay_alu instid0(VALU_DEP_2) | instskip(NEXT) | instid1(VALU_DEP_1)
	v_ashrrev_i32_e32 v1, 31, v1
	v_add_nc_u32_e32 v1, 32, v1
	s_delay_alu instid0(VALU_DEP_1) | instskip(NEXT) | instid1(VALU_DEP_1)
	v_add_min_u32_e64 v1, v3, -1, v1
	v_lshlrev_b64_e32 v[12:13], v1, v[12:13]
	v_sub_nc_u32_e32 v1, 32, v1
	s_delay_alu instid0(VALU_DEP_2) | instskip(NEXT) | instid1(VALU_DEP_1)
	v_min_u32_e32 v3, 1, v12
	v_or_b32_e32 v3, v13, v3
	s_delay_alu instid0(VALU_DEP_1) | instskip(NEXT) | instid1(VALU_DEP_1)
	v_cvt_f32_i32_e32 v3, v3
	v_ldexp_f32 v1, v3, v1
	s_delay_alu instid0(VALU_DEP_1)
	v_cvt_f16_f32_e32 v1, v1
	s_branch .LBB159_1520
.LBB159_1517:
	s_mov_b32 s0, -1
                                        ; implicit-def: $vgpr1
	s_branch .LBB159_1526
.LBB159_1518:
	s_mov_b32 s0, -1
                                        ; implicit-def: $vgpr1
	s_branch .LBB159_1523
.LBB159_1519:
	s_mov_b32 s0, -1
                                        ; implicit-def: $vgpr1
.LBB159_1520:
	s_delay_alu instid0(SALU_CYCLE_1)
	s_and_not1_b32 vcc_lo, exec_lo, s0
	s_cbranch_vccnz .LBB159_1522
; %bb.1521:
	s_wait_loadcnt 0x0
	global_load_b32 v1, v[10:11], off
	s_wait_loadcnt 0x0
	v_cvt_f32_i32_e32 v1, v1
	s_delay_alu instid0(VALU_DEP_1)
	v_cvt_f16_f32_e32 v1, v1
.LBB159_1522:
	s_mov_b32 s0, 0
.LBB159_1523:
	s_delay_alu instid0(SALU_CYCLE_1)
	s_and_not1_b32 vcc_lo, exec_lo, s0
	s_cbranch_vccnz .LBB159_1525
; %bb.1524:
	s_wait_loadcnt 0x0
	global_load_u16 v1, v[10:11], off
	s_wait_loadcnt 0x0
	v_cvt_f16_i16_e32 v1, v1
.LBB159_1525:
	s_mov_b32 s0, 0
.LBB159_1526:
	s_delay_alu instid0(SALU_CYCLE_1)
	s_and_not1_b32 vcc_lo, exec_lo, s0
	s_cbranch_vccnz .LBB159_1532
; %bb.1527:
	s_cmp_gt_i32 s14, 0
	s_mov_b32 s0, 0
	s_cbranch_scc0 .LBB159_1529
; %bb.1528:
	s_wait_loadcnt 0x0
	global_load_i8 v1, v[10:11], off
	s_wait_loadcnt 0x0
	v_cvt_f16_i16_e32 v1, v1
	s_branch .LBB159_1530
.LBB159_1529:
	s_mov_b32 s0, -1
                                        ; implicit-def: $vgpr1
.LBB159_1530:
	s_delay_alu instid0(SALU_CYCLE_1)
	s_and_not1_b32 vcc_lo, exec_lo, s0
	s_cbranch_vccnz .LBB159_1532
; %bb.1531:
	s_wait_loadcnt 0x0
	global_load_u8 v1, v[10:11], off
	s_wait_loadcnt 0x0
	v_cvt_f16_u16_e32 v1, v1
.LBB159_1532:
	v_mov_b32_e32 v3, 0
.LBB159_1533:
.LBB159_1534:
	s_and_b32 vcc_lo, exec_lo, s13
	s_cbranch_vccz .LBB159_1545
; %bb.1535:
	s_wait_loadcnt 0x0
	v_cmp_neq_f16_e32 vcc_lo, s1, v1
	v_cmp_neq_f16_e64 s0, s12, v3
	s_or_b32 s11, vcc_lo, s0
	s_cbranch_execnz .LBB159_1537
.LBB159_1536:
	s_wait_loadcnt 0x0
	v_cmp_eq_f16_e32 vcc_lo, s1, v1
	v_cmp_eq_f16_e64 s0, s12, v3
	s_and_not1_b32 s11, s11, exec_lo
	s_and_b32 s0, vcc_lo, s0
	s_delay_alu instid0(SALU_CYCLE_1) | instskip(NEXT) | instid1(SALU_CYCLE_1)
	s_and_b32 s0, s0, exec_lo
	s_or_b32 s11, s11, s0
.LBB159_1537:
	v_mov_b32_e32 v9, 0
	s_cmp_lt_i32 s14, 11
	s_delay_alu instid0(VALU_DEP_1)
	v_add_nc_u64_e32 v[8:9], s[6:7], v[8:9]
	s_cbranch_scc1 .LBB159_1544
; %bb.1538:
	s_cmp_gt_i32 s14, 25
	s_mov_b32 s6, 0
	s_cbranch_scc0 .LBB159_1546
; %bb.1539:
	s_cmp_gt_i32 s14, 28
	s_cbranch_scc0 .LBB159_1547
; %bb.1540:
	s_cmp_gt_i32 s14, 43
	;; [unrolled: 3-line block ×3, first 2 shown]
	s_cbranch_scc0 .LBB159_1554
; %bb.1542:
	s_cmp_eq_u32 s14, 46
	s_mov_b32 s15, 0
	s_cbranch_scc0 .LBB159_1617
; %bb.1543:
	s_wait_loadcnt 0x0
	global_load_b32 v1, v[8:9], off
	s_mov_b32 s0, 0
	s_mov_b32 s7, -1
	s_wait_loadcnt 0x0
	v_lshlrev_b32_e32 v3, 16, v1
	v_and_b32_e32 v5, 0xffff0000, v1
	s_delay_alu instid0(VALU_DEP_2) | instskip(NEXT) | instid1(VALU_DEP_2)
	v_cvt_f16_f32_e32 v1, v3
	v_cvt_f16_f32_e32 v3, v5
	s_branch .LBB159_1619
.LBB159_1544:
	s_mov_b32 s0, -1
	s_mov_b32 s7, 0
                                        ; implicit-def: $vgpr3
                                        ; implicit-def: $vgpr1
	s_branch .LBB159_1665
.LBB159_1545:
                                        ; implicit-def: $sgpr11
	s_branch .LBB159_1536
.LBB159_1546:
	s_mov_b32 s15, -1
	s_mov_b32 s7, 0
	s_mov_b32 s0, 0
                                        ; implicit-def: $vgpr3
                                        ; implicit-def: $vgpr1
	s_branch .LBB159_1650
.LBB159_1547:
	s_mov_b32 s15, -1
	s_mov_b32 s7, 0
	s_mov_b32 s0, 0
                                        ; implicit-def: $vgpr3
                                        ; implicit-def: $vgpr1
	s_branch .LBB159_1631
.LBB159_1548:
	s_mov_b32 s15, -1
	s_mov_b32 s7, 0
	s_mov_b32 s0, 0
                                        ; implicit-def: $vgpr3
                                        ; implicit-def: $vgpr1
	s_branch .LBB159_1625
.LBB159_1549:
	s_mov_b32 s0, -1
	s_mov_b32 s15, 0
.LBB159_1550:
                                        ; implicit-def: $vgpr3
                                        ; implicit-def: $vgpr1
.LBB159_1551:
	s_and_b32 vcc_lo, exec_lo, s18
	s_cbranch_vccz .LBB159_1557
; %bb.1552:
	s_cmp_eq_u32 s14, 44
	s_cbranch_scc0 .LBB159_1555
; %bb.1553:
	s_wait_loadcnt 0x0
	global_load_u8 v1, v[10:11], off
	s_mov_b32 s0, 0
	s_mov_b32 s15, -1
	s_wait_loadcnt 0x0
	v_lshlrev_b32_e32 v3, 23, v1
	v_cmp_ne_u32_e32 vcc_lo, 0xff, v1
	s_delay_alu instid0(VALU_DEP_2) | instskip(NEXT) | instid1(VALU_DEP_1)
	v_cvt_f16_f32_e32 v3, v3
	v_cndmask_b32_e32 v3, 0x7e00, v3, vcc_lo
	v_cmp_ne_u32_e32 vcc_lo, 0, v1
	s_delay_alu instid0(VALU_DEP_2)
	v_cndmask_b32_e32 v1, 0, v3, vcc_lo
	s_branch .LBB159_1556
.LBB159_1554:
	s_mov_b32 s15, -1
	s_mov_b32 s7, 0
	s_mov_b32 s0, 0
	s_branch .LBB159_1618
.LBB159_1555:
	s_mov_b32 s0, -1
                                        ; implicit-def: $vgpr1
.LBB159_1556:
	v_mov_b32_e32 v3, 0
.LBB159_1557:
	s_mov_b32 s18, 0
.LBB159_1558:
	s_delay_alu instid0(SALU_CYCLE_1)
	s_and_b32 vcc_lo, exec_lo, s18
	s_cbranch_vccz .LBB159_1563
; %bb.1559:
	s_cmp_eq_u32 s14, 29
	s_cbranch_scc0 .LBB159_1561
; %bb.1560:
	global_load_b64 v[12:13], v[10:11], off
	s_mov_b32 s0, 0
	s_mov_b32 s15, -1
	s_wait_loadcnt 0x0
	v_clz_i32_u32_e32 v1, v13
	s_delay_alu instid0(VALU_DEP_1) | instskip(NEXT) | instid1(VALU_DEP_1)
	v_min_u32_e32 v1, 32, v1
	v_lshlrev_b64_e32 v[12:13], v1, v[12:13]
	v_sub_nc_u32_e32 v1, 32, v1
	s_delay_alu instid0(VALU_DEP_2) | instskip(NEXT) | instid1(VALU_DEP_1)
	v_min_u32_e32 v3, 1, v12
	v_or_b32_e32 v3, v13, v3
	s_delay_alu instid0(VALU_DEP_1) | instskip(NEXT) | instid1(VALU_DEP_1)
	v_cvt_f32_u32_e32 v3, v3
	v_ldexp_f32 v1, v3, v1
	s_delay_alu instid0(VALU_DEP_1)
	v_cvt_f16_f32_e32 v1, v1
	s_branch .LBB159_1562
.LBB159_1561:
	s_mov_b32 s0, -1
                                        ; implicit-def: $vgpr1
.LBB159_1562:
	v_mov_b32_e32 v3, 0
.LBB159_1563:
	s_mov_b32 s18, 0
.LBB159_1564:
	s_delay_alu instid0(SALU_CYCLE_1)
	s_and_b32 vcc_lo, exec_lo, s18
	s_cbranch_vccz .LBB159_1582
; %bb.1565:
	s_cmp_lt_i32 s14, 27
	s_cbranch_scc1 .LBB159_1568
; %bb.1566:
	s_cmp_gt_i32 s14, 27
	s_cbranch_scc0 .LBB159_1569
; %bb.1567:
	s_wait_loadcnt 0x0
	global_load_b32 v1, v[10:11], off
	s_mov_b32 s15, 0
	s_wait_loadcnt 0x0
	v_cvt_f32_u32_e32 v1, v1
	s_delay_alu instid0(VALU_DEP_1)
	v_cvt_f16_f32_e32 v1, v1
	s_branch .LBB159_1570
.LBB159_1568:
	s_mov_b32 s15, -1
                                        ; implicit-def: $vgpr1
	s_branch .LBB159_1573
.LBB159_1569:
	s_mov_b32 s15, -1
                                        ; implicit-def: $vgpr1
.LBB159_1570:
	s_delay_alu instid0(SALU_CYCLE_1)
	s_and_not1_b32 vcc_lo, exec_lo, s15
	s_cbranch_vccnz .LBB159_1572
; %bb.1571:
	s_wait_loadcnt 0x0
	global_load_u16 v1, v[10:11], off
	s_wait_loadcnt 0x0
	v_cvt_f16_u16_e32 v1, v1
.LBB159_1572:
	s_mov_b32 s15, 0
.LBB159_1573:
	s_delay_alu instid0(SALU_CYCLE_1)
	s_and_not1_b32 vcc_lo, exec_lo, s15
	s_cbranch_vccnz .LBB159_1581
; %bb.1574:
	global_load_u8 v3, v[10:11], off
	s_mov_b32 s15, 0
	s_mov_b32 s18, exec_lo
	s_wait_loadcnt 0x0
	v_cmpx_lt_i16_e32 0x7f, v3
	s_xor_b32 s18, exec_lo, s18
	s_cbranch_execz .LBB159_1594
; %bb.1575:
	s_mov_b32 s15, -1
	s_mov_b32 s19, exec_lo
	v_cmpx_eq_u16_e32 0x80, v3
; %bb.1576:
	s_xor_b32 s15, exec_lo, -1
; %bb.1577:
	s_or_b32 exec_lo, exec_lo, s19
	s_delay_alu instid0(SALU_CYCLE_1)
	s_and_b32 s15, s15, exec_lo
	s_or_saveexec_b32 s18, s18
	v_mov_b32_e32 v1, 0x7e00
	s_xor_b32 exec_lo, exec_lo, s18
	s_cbranch_execnz .LBB159_1595
.LBB159_1578:
	s_or_b32 exec_lo, exec_lo, s18
	s_and_saveexec_b32 s18, s15
	s_cbranch_execz .LBB159_1580
.LBB159_1579:
	v_and_b32_e32 v1, 0xffff, v3
	s_delay_alu instid0(VALU_DEP_1) | instskip(SKIP_1) | instid1(VALU_DEP_2)
	v_and_b32_e32 v5, 7, v1
	v_bfe_u32 v12, v1, 3, 4
	v_clz_i32_u32_e32 v7, v5
	s_delay_alu instid0(VALU_DEP_2) | instskip(NEXT) | instid1(VALU_DEP_2)
	v_cmp_eq_u32_e32 vcc_lo, 0, v12
	v_min_u32_e32 v7, 32, v7
	s_delay_alu instid0(VALU_DEP_1) | instskip(NEXT) | instid1(VALU_DEP_1)
	v_subrev_nc_u32_e32 v9, 28, v7
	v_dual_lshlrev_b32 v1, v9, v1 :: v_dual_sub_nc_u32 v7, 29, v7
	s_delay_alu instid0(VALU_DEP_1) | instskip(NEXT) | instid1(VALU_DEP_1)
	v_dual_lshlrev_b32 v3, 24, v3 :: v_dual_bitop2_b32 v1, 7, v1 bitop3:0x40
	v_dual_cndmask_b32 v1, v5, v1, vcc_lo :: v_dual_cndmask_b32 v7, v12, v7, vcc_lo
	s_delay_alu instid0(VALU_DEP_2) | instskip(NEXT) | instid1(VALU_DEP_2)
	v_and_b32_e32 v3, 0x80000000, v3
	v_lshlrev_b32_e32 v1, 20, v1
	s_delay_alu instid0(VALU_DEP_3) | instskip(NEXT) | instid1(VALU_DEP_1)
	v_lshl_add_u32 v5, v7, 23, 0x3b800000
	v_or3_b32 v1, v3, v5, v1
	s_delay_alu instid0(VALU_DEP_1)
	v_cvt_f16_f32_e32 v1, v1
.LBB159_1580:
	s_or_b32 exec_lo, exec_lo, s18
.LBB159_1581:
	v_mov_b32_e32 v3, 0
	s_mov_b32 s15, -1
.LBB159_1582:
	s_branch .LBB159_1476
.LBB159_1583:
	s_cmp_gt_i32 s14, 22
	s_cbranch_scc0 .LBB159_1593
; %bb.1584:
	s_cmp_lt_i32 s14, 24
	s_cbranch_scc1 .LBB159_1596
; %bb.1585:
	s_cmp_gt_i32 s14, 24
	s_cbranch_scc0 .LBB159_1597
; %bb.1586:
	global_load_u8 v3, v[10:11], off
	s_mov_b32 s15, exec_lo
	s_wait_loadcnt 0x0
	v_cmpx_lt_i16_e32 0x7f, v3
	s_xor_b32 s15, exec_lo, s15
	s_cbranch_execz .LBB159_1609
; %bb.1587:
	s_mov_b32 s11, -1
	s_mov_b32 s18, exec_lo
	v_cmpx_eq_u16_e32 0x80, v3
; %bb.1588:
	s_xor_b32 s11, exec_lo, -1
; %bb.1589:
	s_or_b32 exec_lo, exec_lo, s18
	s_delay_alu instid0(SALU_CYCLE_1)
	s_and_b32 s11, s11, exec_lo
	s_or_saveexec_b32 s15, s15
	v_mov_b32_e32 v1, 0x7e00
	s_xor_b32 exec_lo, exec_lo, s15
	s_cbranch_execnz .LBB159_1610
.LBB159_1590:
	s_or_b32 exec_lo, exec_lo, s15
	s_and_saveexec_b32 s15, s11
	s_cbranch_execz .LBB159_1592
.LBB159_1591:
	v_and_b32_e32 v1, 0xffff, v3
	s_delay_alu instid0(VALU_DEP_1) | instskip(SKIP_1) | instid1(VALU_DEP_2)
	v_and_b32_e32 v5, 3, v1
	v_bfe_u32 v12, v1, 2, 5
	v_clz_i32_u32_e32 v7, v5
	s_delay_alu instid0(VALU_DEP_2) | instskip(NEXT) | instid1(VALU_DEP_2)
	v_cmp_eq_u32_e32 vcc_lo, 0, v12
	v_min_u32_e32 v7, 32, v7
	s_delay_alu instid0(VALU_DEP_1) | instskip(NEXT) | instid1(VALU_DEP_1)
	v_subrev_nc_u32_e32 v9, 29, v7
	v_dual_lshlrev_b32 v1, v9, v1 :: v_dual_sub_nc_u32 v7, 30, v7
	s_delay_alu instid0(VALU_DEP_1) | instskip(NEXT) | instid1(VALU_DEP_1)
	v_dual_lshlrev_b32 v3, 24, v3 :: v_dual_bitop2_b32 v1, 3, v1 bitop3:0x40
	v_dual_cndmask_b32 v1, v5, v1, vcc_lo :: v_dual_cndmask_b32 v7, v12, v7, vcc_lo
	s_delay_alu instid0(VALU_DEP_2) | instskip(NEXT) | instid1(VALU_DEP_2)
	v_and_b32_e32 v3, 0x80000000, v3
	v_lshlrev_b32_e32 v1, 21, v1
	s_delay_alu instid0(VALU_DEP_3) | instskip(NEXT) | instid1(VALU_DEP_1)
	v_lshl_add_u32 v5, v7, 23, 0x37800000
	v_or3_b32 v1, v3, v5, v1
	s_delay_alu instid0(VALU_DEP_1)
	v_cvt_f16_f32_e32 v1, v1
.LBB159_1592:
	s_or_b32 exec_lo, exec_lo, s15
	s_mov_b32 s11, 0
	s_branch .LBB159_1598
.LBB159_1593:
	s_mov_b32 s11, -1
                                        ; implicit-def: $vgpr1
	s_branch .LBB159_1604
.LBB159_1594:
	s_or_saveexec_b32 s18, s18
	v_mov_b32_e32 v1, 0x7e00
	s_xor_b32 exec_lo, exec_lo, s18
	s_cbranch_execz .LBB159_1578
.LBB159_1595:
	v_cmp_ne_u16_e32 vcc_lo, 0, v3
	v_mov_b32_e32 v1, v3
	s_and_not1_b32 s15, s15, exec_lo
	s_and_b32 s19, vcc_lo, exec_lo
	s_delay_alu instid0(SALU_CYCLE_1)
	s_or_b32 s15, s15, s19
	s_or_b32 exec_lo, exec_lo, s18
	s_and_saveexec_b32 s18, s15
	s_cbranch_execnz .LBB159_1579
	s_branch .LBB159_1580
.LBB159_1596:
	s_mov_b32 s11, -1
                                        ; implicit-def: $vgpr1
	s_branch .LBB159_1601
.LBB159_1597:
	s_mov_b32 s11, -1
                                        ; implicit-def: $vgpr1
.LBB159_1598:
	s_delay_alu instid0(SALU_CYCLE_1)
	s_and_b32 vcc_lo, exec_lo, s11
	s_cbranch_vccz .LBB159_1600
; %bb.1599:
	s_wait_loadcnt 0x0
	global_load_u8 v1, v[10:11], off
	s_wait_loadcnt 0x0
	v_lshlrev_b32_e32 v1, 24, v1
	s_delay_alu instid0(VALU_DEP_1) | instskip(NEXT) | instid1(VALU_DEP_1)
	v_and_b32_e32 v3, 0x7f000000, v1
	v_clz_i32_u32_e32 v5, v3
	v_add_nc_u32_e32 v9, 0x1000000, v3
	v_cmp_ne_u32_e32 vcc_lo, 0, v3
	s_delay_alu instid0(VALU_DEP_3) | instskip(NEXT) | instid1(VALU_DEP_1)
	v_min_u32_e32 v5, 32, v5
	v_sub_nc_u32_e64 v5, v5, 4 clamp
	s_delay_alu instid0(VALU_DEP_1) | instskip(NEXT) | instid1(VALU_DEP_1)
	v_dual_lshlrev_b32 v7, v5, v3 :: v_dual_lshlrev_b32 v5, 23, v5
	v_lshrrev_b32_e32 v7, 4, v7
	s_delay_alu instid0(VALU_DEP_1) | instskip(SKIP_1) | instid1(VALU_DEP_2)
	v_sub_nc_u32_e32 v5, v7, v5
	v_ashrrev_i32_e32 v7, 8, v9
	v_add_nc_u32_e32 v5, 0x3c000000, v5
	s_delay_alu instid0(VALU_DEP_1) | instskip(NEXT) | instid1(VALU_DEP_1)
	v_and_or_b32 v5, 0x7f800000, v7, v5
	v_cndmask_b32_e32 v3, 0, v5, vcc_lo
	s_delay_alu instid0(VALU_DEP_1) | instskip(NEXT) | instid1(VALU_DEP_1)
	v_and_or_b32 v1, 0x80000000, v1, v3
	v_cvt_f16_f32_e32 v1, v1
.LBB159_1600:
	s_mov_b32 s11, 0
.LBB159_1601:
	s_delay_alu instid0(SALU_CYCLE_1)
	s_and_not1_b32 vcc_lo, exec_lo, s11
	s_cbranch_vccnz .LBB159_1603
; %bb.1602:
	s_wait_loadcnt 0x0
	global_load_u8 v1, v[10:11], off
	s_wait_loadcnt 0x0
	v_lshlrev_b32_e32 v3, 25, v1
	v_lshlrev_b16 v1, 8, v1
	s_delay_alu instid0(VALU_DEP_1) | instskip(SKIP_1) | instid1(VALU_DEP_2)
	v_and_or_b32 v7, 0x7f00, v1, 0.5
	v_bfe_i32 v1, v1, 0, 16
	v_add_f32_e32 v7, -0.5, v7
	v_lshrrev_b32_e32 v5, 4, v3
	v_cmp_gt_u32_e32 vcc_lo, 0x8000000, v3
	s_delay_alu instid0(VALU_DEP_2) | instskip(NEXT) | instid1(VALU_DEP_1)
	v_or_b32_e32 v5, 0x70000000, v5
	v_mul_f32_e32 v5, 0x7800000, v5
	s_delay_alu instid0(VALU_DEP_1) | instskip(NEXT) | instid1(VALU_DEP_1)
	v_cndmask_b32_e32 v3, v5, v7, vcc_lo
	v_and_or_b32 v1, 0x80000000, v1, v3
	s_delay_alu instid0(VALU_DEP_1)
	v_cvt_f16_f32_e32 v1, v1
.LBB159_1603:
	s_mov_b32 s11, 0
	s_mov_b32 s15, -1
.LBB159_1604:
	s_and_not1_b32 vcc_lo, exec_lo, s11
	s_mov_b32 s11, 0
	s_cbranch_vccnz .LBB159_1615
; %bb.1605:
	s_cmp_gt_i32 s14, 14
	s_cbranch_scc0 .LBB159_1608
; %bb.1606:
	s_cmp_eq_u32 s14, 15
	s_cbranch_scc0 .LBB159_1611
; %bb.1607:
	s_wait_loadcnt 0x0
	global_load_u16 v1, v[10:11], off
	s_mov_b32 s0, 0
	s_mov_b32 s15, -1
	s_wait_loadcnt 0x0
	v_lshlrev_b32_e32 v1, 16, v1
	s_delay_alu instid0(VALU_DEP_1)
	v_cvt_f16_f32_e32 v1, v1
	s_branch .LBB159_1613
.LBB159_1608:
	s_mov_b32 s11, -1
	s_branch .LBB159_1612
.LBB159_1609:
	s_or_saveexec_b32 s15, s15
	v_mov_b32_e32 v1, 0x7e00
	s_xor_b32 exec_lo, exec_lo, s15
	s_cbranch_execz .LBB159_1590
.LBB159_1610:
	v_cmp_ne_u16_e32 vcc_lo, 0, v3
	v_mov_b32_e32 v1, v3
	s_and_not1_b32 s11, s11, exec_lo
	s_and_b32 s18, vcc_lo, exec_lo
	s_delay_alu instid0(SALU_CYCLE_1)
	s_or_b32 s11, s11, s18
	s_or_b32 exec_lo, exec_lo, s15
	s_and_saveexec_b32 s15, s11
	s_cbranch_execnz .LBB159_1591
	s_branch .LBB159_1592
.LBB159_1611:
	s_mov_b32 s0, -1
.LBB159_1612:
                                        ; implicit-def: $vgpr1
.LBB159_1613:
	s_and_b32 vcc_lo, exec_lo, s11
	s_mov_b32 s11, 0
	s_cbranch_vccz .LBB159_1615
; %bb.1614:
	s_cmp_lg_u32 s14, 11
	s_mov_b32 s11, -1
	s_cselect_b32 s0, -1, 0
.LBB159_1615:
	v_mov_b32_e32 v3, 0
	s_and_b32 vcc_lo, exec_lo, s0
	s_cbranch_vccz .LBB159_1477
.LBB159_1616:
	s_or_b32 s2, s2, exec_lo
	s_trap 2
	s_cbranch_execz .LBB159_1478
	s_branch .LBB159_1479
.LBB159_1617:
	s_mov_b32 s0, -1
	s_mov_b32 s7, 0
.LBB159_1618:
                                        ; implicit-def: $vgpr3
                                        ; implicit-def: $vgpr1
.LBB159_1619:
	s_and_b32 vcc_lo, exec_lo, s15
	s_cbranch_vccz .LBB159_1624
; %bb.1620:
	s_cmp_eq_u32 s14, 44
	s_cbranch_scc0 .LBB159_1622
; %bb.1621:
	s_wait_loadcnt 0x0
	global_load_u8 v1, v[8:9], off
	s_mov_b32 s0, 0
	s_mov_b32 s7, -1
	s_wait_loadcnt 0x0
	v_lshlrev_b32_e32 v3, 23, v1
	v_cmp_ne_u32_e32 vcc_lo, 0xff, v1
	s_delay_alu instid0(VALU_DEP_2) | instskip(NEXT) | instid1(VALU_DEP_1)
	v_cvt_f16_f32_e32 v3, v3
	v_cndmask_b32_e32 v3, 0x7e00, v3, vcc_lo
	v_cmp_ne_u32_e32 vcc_lo, 0, v1
	s_delay_alu instid0(VALU_DEP_2)
	v_cndmask_b32_e32 v1, 0, v3, vcc_lo
	s_branch .LBB159_1623
.LBB159_1622:
	s_mov_b32 s0, -1
                                        ; implicit-def: $vgpr1
.LBB159_1623:
	v_mov_b32_e32 v3, 0
.LBB159_1624:
	s_mov_b32 s15, 0
.LBB159_1625:
	s_delay_alu instid0(SALU_CYCLE_1)
	s_and_b32 vcc_lo, exec_lo, s15
	s_cbranch_vccz .LBB159_1630
; %bb.1626:
	s_cmp_eq_u32 s14, 29
	s_cbranch_scc0 .LBB159_1628
; %bb.1627:
	global_load_b64 v[10:11], v[8:9], off
	s_mov_b32 s0, 0
	s_mov_b32 s7, -1
	s_wait_loadcnt 0x0
	v_clz_i32_u32_e32 v1, v11
	s_delay_alu instid0(VALU_DEP_1) | instskip(NEXT) | instid1(VALU_DEP_1)
	v_min_u32_e32 v1, 32, v1
	v_lshlrev_b64_e32 v[10:11], v1, v[10:11]
	v_sub_nc_u32_e32 v1, 32, v1
	s_delay_alu instid0(VALU_DEP_2) | instskip(NEXT) | instid1(VALU_DEP_1)
	v_min_u32_e32 v3, 1, v10
	v_or_b32_e32 v3, v11, v3
	s_delay_alu instid0(VALU_DEP_1) | instskip(NEXT) | instid1(VALU_DEP_1)
	v_cvt_f32_u32_e32 v3, v3
	v_ldexp_f32 v1, v3, v1
	s_delay_alu instid0(VALU_DEP_1)
	v_cvt_f16_f32_e32 v1, v1
	s_branch .LBB159_1629
.LBB159_1628:
	s_mov_b32 s0, -1
                                        ; implicit-def: $vgpr1
.LBB159_1629:
	v_mov_b32_e32 v3, 0
.LBB159_1630:
	s_mov_b32 s15, 0
.LBB159_1631:
	s_delay_alu instid0(SALU_CYCLE_1)
	s_and_b32 vcc_lo, exec_lo, s15
	s_cbranch_vccz .LBB159_1649
; %bb.1632:
	s_cmp_lt_i32 s14, 27
	s_cbranch_scc1 .LBB159_1635
; %bb.1633:
	s_cmp_gt_i32 s14, 27
	s_cbranch_scc0 .LBB159_1636
; %bb.1634:
	s_wait_loadcnt 0x0
	global_load_b32 v1, v[8:9], off
	s_mov_b32 s7, 0
	s_wait_loadcnt 0x0
	v_cvt_f32_u32_e32 v1, v1
	s_delay_alu instid0(VALU_DEP_1)
	v_cvt_f16_f32_e32 v1, v1
	s_branch .LBB159_1637
.LBB159_1635:
	s_mov_b32 s7, -1
                                        ; implicit-def: $vgpr1
	s_branch .LBB159_1640
.LBB159_1636:
	s_mov_b32 s7, -1
                                        ; implicit-def: $vgpr1
.LBB159_1637:
	s_delay_alu instid0(SALU_CYCLE_1)
	s_and_not1_b32 vcc_lo, exec_lo, s7
	s_cbranch_vccnz .LBB159_1639
; %bb.1638:
	s_wait_loadcnt 0x0
	global_load_u16 v1, v[8:9], off
	s_wait_loadcnt 0x0
	v_cvt_f16_u16_e32 v1, v1
.LBB159_1639:
	s_mov_b32 s7, 0
.LBB159_1640:
	s_delay_alu instid0(SALU_CYCLE_1)
	s_and_not1_b32 vcc_lo, exec_lo, s7
	s_cbranch_vccnz .LBB159_1648
; %bb.1641:
	global_load_u8 v3, v[8:9], off
	s_mov_b32 s7, 0
	s_mov_b32 s15, exec_lo
	s_wait_loadcnt 0x0
	v_cmpx_lt_i16_e32 0x7f, v3
	s_xor_b32 s15, exec_lo, s15
	s_cbranch_execz .LBB159_1674
; %bb.1642:
	s_mov_b32 s7, -1
	s_mov_b32 s18, exec_lo
	v_cmpx_eq_u16_e32 0x80, v3
; %bb.1643:
	s_xor_b32 s7, exec_lo, -1
; %bb.1644:
	s_or_b32 exec_lo, exec_lo, s18
	s_delay_alu instid0(SALU_CYCLE_1)
	s_and_b32 s7, s7, exec_lo
	s_or_saveexec_b32 s15, s15
	v_mov_b32_e32 v1, 0x7e00
	s_xor_b32 exec_lo, exec_lo, s15
	s_cbranch_execnz .LBB159_1675
.LBB159_1645:
	s_or_b32 exec_lo, exec_lo, s15
	s_and_saveexec_b32 s15, s7
	s_cbranch_execz .LBB159_1647
.LBB159_1646:
	v_and_b32_e32 v1, 0xffff, v3
	s_delay_alu instid0(VALU_DEP_1) | instskip(SKIP_1) | instid1(VALU_DEP_2)
	v_and_b32_e32 v5, 7, v1
	v_bfe_u32 v11, v1, 3, 4
	v_clz_i32_u32_e32 v7, v5
	s_delay_alu instid0(VALU_DEP_2) | instskip(NEXT) | instid1(VALU_DEP_2)
	v_cmp_eq_u32_e32 vcc_lo, 0, v11
	v_min_u32_e32 v7, 32, v7
	s_delay_alu instid0(VALU_DEP_1) | instskip(NEXT) | instid1(VALU_DEP_1)
	v_subrev_nc_u32_e32 v10, 28, v7
	v_dual_lshlrev_b32 v1, v10, v1 :: v_dual_sub_nc_u32 v7, 29, v7
	s_delay_alu instid0(VALU_DEP_1) | instskip(NEXT) | instid1(VALU_DEP_1)
	v_dual_lshlrev_b32 v3, 24, v3 :: v_dual_bitop2_b32 v1, 7, v1 bitop3:0x40
	v_dual_cndmask_b32 v1, v5, v1, vcc_lo :: v_dual_cndmask_b32 v7, v11, v7, vcc_lo
	s_delay_alu instid0(VALU_DEP_2) | instskip(NEXT) | instid1(VALU_DEP_2)
	v_and_b32_e32 v3, 0x80000000, v3
	v_lshlrev_b32_e32 v1, 20, v1
	s_delay_alu instid0(VALU_DEP_3) | instskip(NEXT) | instid1(VALU_DEP_1)
	v_lshl_add_u32 v5, v7, 23, 0x3b800000
	v_or3_b32 v1, v3, v5, v1
	s_delay_alu instid0(VALU_DEP_1)
	v_cvt_f16_f32_e32 v1, v1
.LBB159_1647:
	s_or_b32 exec_lo, exec_lo, s15
.LBB159_1648:
	v_mov_b32_e32 v3, 0
	s_mov_b32 s7, -1
.LBB159_1649:
	s_mov_b32 s15, 0
.LBB159_1650:
	s_delay_alu instid0(SALU_CYCLE_1)
	s_and_b32 vcc_lo, exec_lo, s15
	s_cbranch_vccz .LBB159_1661
; %bb.1651:
	s_cmp_gt_i32 s14, 22
	s_cbranch_scc0 .LBB159_1672
; %bb.1652:
	s_cmp_lt_i32 s14, 24
	s_cbranch_scc1 .LBB159_1676
; %bb.1653:
	s_cmp_gt_i32 s14, 24
	s_cbranch_scc0 .LBB159_1678
; %bb.1654:
	global_load_u8 v3, v[8:9], off
	s_mov_b32 s7, exec_lo
	s_wait_loadcnt 0x0
	v_cmpx_lt_i16_e32 0x7f, v3
	s_xor_b32 s7, exec_lo, s7
	s_cbranch_execz .LBB159_1690
; %bb.1655:
	s_mov_b32 s6, -1
	s_mov_b32 s15, exec_lo
	v_cmpx_eq_u16_e32 0x80, v3
; %bb.1656:
	s_xor_b32 s6, exec_lo, -1
; %bb.1657:
	s_or_b32 exec_lo, exec_lo, s15
	s_delay_alu instid0(SALU_CYCLE_1)
	s_and_b32 s6, s6, exec_lo
	s_or_saveexec_b32 s7, s7
	v_mov_b32_e32 v1, 0x7e00
	s_xor_b32 exec_lo, exec_lo, s7
	s_cbranch_execnz .LBB159_1691
.LBB159_1658:
	s_or_b32 exec_lo, exec_lo, s7
	s_and_saveexec_b32 s7, s6
	s_cbranch_execz .LBB159_1660
.LBB159_1659:
	v_and_b32_e32 v1, 0xffff, v3
	s_delay_alu instid0(VALU_DEP_1) | instskip(SKIP_1) | instid1(VALU_DEP_2)
	v_and_b32_e32 v5, 3, v1
	v_bfe_u32 v11, v1, 2, 5
	v_clz_i32_u32_e32 v7, v5
	s_delay_alu instid0(VALU_DEP_2) | instskip(NEXT) | instid1(VALU_DEP_2)
	v_cmp_eq_u32_e32 vcc_lo, 0, v11
	v_min_u32_e32 v7, 32, v7
	s_delay_alu instid0(VALU_DEP_1) | instskip(NEXT) | instid1(VALU_DEP_1)
	v_subrev_nc_u32_e32 v10, 29, v7
	v_dual_lshlrev_b32 v1, v10, v1 :: v_dual_sub_nc_u32 v7, 30, v7
	s_delay_alu instid0(VALU_DEP_1) | instskip(NEXT) | instid1(VALU_DEP_1)
	v_dual_lshlrev_b32 v3, 24, v3 :: v_dual_bitop2_b32 v1, 3, v1 bitop3:0x40
	v_dual_cndmask_b32 v1, v5, v1, vcc_lo :: v_dual_cndmask_b32 v7, v11, v7, vcc_lo
	s_delay_alu instid0(VALU_DEP_2) | instskip(NEXT) | instid1(VALU_DEP_2)
	v_and_b32_e32 v3, 0x80000000, v3
	v_lshlrev_b32_e32 v1, 21, v1
	s_delay_alu instid0(VALU_DEP_3) | instskip(NEXT) | instid1(VALU_DEP_1)
	v_lshl_add_u32 v5, v7, 23, 0x37800000
	v_or3_b32 v1, v3, v5, v1
	s_delay_alu instid0(VALU_DEP_1)
	v_cvt_f16_f32_e32 v1, v1
.LBB159_1660:
	s_or_b32 exec_lo, exec_lo, s7
	s_mov_b32 s6, 0
	s_branch .LBB159_1679
.LBB159_1661:
	s_and_b32 vcc_lo, exec_lo, s0
	s_cbranch_vccnz .LBB159_1709
.LBB159_1662:
	s_and_not1_b32 vcc_lo, exec_lo, s6
	s_cbranch_vccnz .LBB159_1664
.LBB159_1663:
	s_wait_loadcnt 0x0
	global_load_u8 v1, v[8:9], off
	v_mov_b32_e32 v3, 0
	s_mov_b32 s7, -1
	s_wait_loadcnt 0x0
	v_cmp_ne_u16_e32 vcc_lo, 0, v1
	v_cndmask_b32_e64 v1, 0, 0x3c00, vcc_lo
.LBB159_1664:
	s_mov_b32 s0, 0
.LBB159_1665:
	s_delay_alu instid0(SALU_CYCLE_1)
	s_and_b32 vcc_lo, exec_lo, s0
	s_cbranch_vccz .LBB159_1740
; %bb.1666:
	s_cmp_lt_i32 s14, 5
	s_cbranch_scc1 .LBB159_1671
; %bb.1667:
	s_cmp_lt_i32 s14, 8
	s_cbranch_scc1 .LBB159_1673
	;; [unrolled: 3-line block ×3, first 2 shown]
; %bb.1669:
	s_cmp_gt_i32 s14, 9
	s_cbranch_scc0 .LBB159_1692
; %bb.1670:
	global_load_b128 v[10:13], v[8:9], off
	s_mov_b32 s0, 0
	s_wait_loadcnt 0x0
	v_and_or_b32 v1, 0x1ff, v11, v10
	v_and_or_b32 v7, 0x1ff, v13, v12
	v_dual_lshrrev_b32 v3, 8, v11 :: v_dual_lshrrev_b32 v10, 8, v13
	v_bfe_u32 v5, v11, 20, 11
	s_delay_alu instid0(VALU_DEP_4) | instskip(SKIP_2) | instid1(VALU_DEP_4)
	v_cmp_ne_u32_e32 vcc_lo, 0, v1
	v_bfe_u32 v12, v13, 20, 11
	v_dual_lshrrev_b32 v11, 16, v11 :: v_dual_lshrrev_b32 v13, 16, v13
	v_sub_nc_u32_e32 v14, 0x3f1, v5
	v_cndmask_b32_e64 v1, 0, 1, vcc_lo
	v_cmp_ne_u32_e32 vcc_lo, 0, v7
	v_add_nc_u32_e32 v5, 0xfffffc10, v5
	s_delay_alu instid0(VALU_DEP_3) | instskip(SKIP_1) | instid1(VALU_DEP_1)
	v_and_or_b32 v1, 0xffe, v3, v1
	v_cndmask_b32_e64 v7, 0, 1, vcc_lo
	v_and_or_b32 v7, 0xffe, v10, v7
	v_med3_i32 v10, v14, 0, 13
	s_delay_alu instid0(VALU_DEP_4) | instskip(NEXT) | instid1(VALU_DEP_3)
	v_or_b32_e32 v14, 0x1000, v1
	v_or_b32_e32 v15, 0x1000, v7
	s_delay_alu instid0(VALU_DEP_2) | instskip(NEXT) | instid1(VALU_DEP_1)
	v_lshrrev_b32_e32 v16, v10, v14
	v_lshlrev_b32_e32 v10, v10, v16
	s_delay_alu instid0(VALU_DEP_1) | instskip(SKIP_2) | instid1(VALU_DEP_1)
	v_cmp_ne_u32_e32 vcc_lo, v10, v14
	v_lshl_or_b32 v14, v5, 12, v1
	v_cndmask_b32_e64 v10, 0, 1, vcc_lo
	v_or_b32_e32 v10, v16, v10
	v_sub_nc_u32_e32 v3, 0x3f1, v12
	v_add_nc_u32_e32 v12, 0xfffffc10, v12
	s_delay_alu instid0(VALU_DEP_2) | instskip(NEXT) | instid1(VALU_DEP_1)
	v_med3_i32 v3, v3, 0, 13
	v_lshrrev_b32_e32 v17, v3, v15
	s_delay_alu instid0(VALU_DEP_1) | instskip(NEXT) | instid1(VALU_DEP_1)
	v_lshlrev_b32_e32 v3, v3, v17
	v_cmp_ne_u32_e32 vcc_lo, v3, v15
	v_lshl_or_b32 v15, v12, 12, v7
	v_cndmask_b32_e64 v3, 0, 1, vcc_lo
	v_cmp_gt_i32_e32 vcc_lo, 1, v5
	s_delay_alu instid0(VALU_DEP_2) | instskip(SKIP_1) | instid1(VALU_DEP_2)
	v_dual_cndmask_b32 v10, v14, v10, vcc_lo :: v_dual_bitop2_b32 v3, v17, v3 bitop3:0x54
	v_cmp_gt_i32_e32 vcc_lo, 1, v12
	v_dual_lshrrev_b32 v10, 2, v10 :: v_dual_bitop2_b32 v14, 7, v10 bitop3:0x40
	s_delay_alu instid0(VALU_DEP_3) | instskip(NEXT) | instid1(VALU_DEP_2)
	v_cndmask_b32_e32 v3, v15, v3, vcc_lo
	v_cmp_lt_i32_e32 vcc_lo, 5, v14
	v_cndmask_b32_e64 v16, 0, 1, vcc_lo
	v_cmp_eq_u32_e32 vcc_lo, 3, v14
	v_cndmask_b32_e64 v14, 0, 1, vcc_lo
	s_delay_alu instid0(VALU_DEP_1) | instskip(SKIP_1) | instid1(VALU_DEP_2)
	v_or_b32_e32 v14, v14, v16
	v_dual_lshrrev_b32 v3, 2, v3 :: v_dual_bitop2_b32 v15, 7, v3 bitop3:0x40
	v_add_nc_u32_e32 v10, v10, v14
	s_delay_alu instid0(VALU_DEP_2) | instskip(SKIP_4) | instid1(VALU_DEP_2)
	v_cmp_lt_i32_e32 vcc_lo, 5, v15
	v_cndmask_b32_e64 v17, 0, 1, vcc_lo
	v_cmp_eq_u32_e32 vcc_lo, 3, v15
	v_cndmask_b32_e64 v15, 0, 1, vcc_lo
	v_cmp_ne_u32_e32 vcc_lo, 0, v1
	v_or_b32_e32 v15, v15, v17
	s_delay_alu instid0(VALU_DEP_1) | instskip(NEXT) | instid1(VALU_DEP_1)
	v_dual_mov_b32 v18, 0x7e00 :: v_dual_add_nc_u32 v3, v3, v15
	v_cndmask_b32_e32 v1, 0x7c00, v18, vcc_lo
	v_cmp_ne_u32_e32 vcc_lo, 0, v7
	v_cndmask_b32_e32 v7, 0x7c00, v18, vcc_lo
	v_cmp_gt_i32_e32 vcc_lo, 31, v5
	v_cndmask_b32_e32 v10, 0x7c00, v10, vcc_lo
	v_cmp_gt_i32_e32 vcc_lo, 31, v12
	v_cndmask_b32_e32 v3, 0x7c00, v3, vcc_lo
	v_cmp_eq_u32_e32 vcc_lo, 0x40f, v5
	s_delay_alu instid0(VALU_DEP_4) | instskip(SKIP_1) | instid1(VALU_DEP_2)
	v_cndmask_b32_e32 v1, v10, v1, vcc_lo
	v_cmp_eq_u32_e32 vcc_lo, 0x40f, v12
	v_and_or_b32 v1, 0x8000, v11, v1
	v_cndmask_b32_e32 v3, v3, v7, vcc_lo
	s_delay_alu instid0(VALU_DEP_1)
	v_and_or_b32 v3, 0x8000, v13, v3
	s_branch .LBB159_1693
.LBB159_1671:
	s_mov_b32 s0, -1
                                        ; implicit-def: $vgpr3
                                        ; implicit-def: $vgpr1
	s_branch .LBB159_1718
.LBB159_1672:
	s_mov_b32 s6, -1
                                        ; implicit-def: $vgpr1
	s_branch .LBB159_1685
.LBB159_1673:
	s_mov_b32 s0, -1
                                        ; implicit-def: $vgpr3
                                        ; implicit-def: $vgpr1
	s_branch .LBB159_1699
.LBB159_1674:
	s_or_saveexec_b32 s15, s15
	v_mov_b32_e32 v1, 0x7e00
	s_xor_b32 exec_lo, exec_lo, s15
	s_cbranch_execz .LBB159_1645
.LBB159_1675:
	v_cmp_ne_u16_e32 vcc_lo, 0, v3
	v_mov_b32_e32 v1, v3
	s_and_not1_b32 s7, s7, exec_lo
	s_and_b32 s18, vcc_lo, exec_lo
	s_delay_alu instid0(SALU_CYCLE_1)
	s_or_b32 s7, s7, s18
	s_or_b32 exec_lo, exec_lo, s15
	s_and_saveexec_b32 s15, s7
	s_cbranch_execnz .LBB159_1646
	s_branch .LBB159_1647
.LBB159_1676:
	s_mov_b32 s6, -1
                                        ; implicit-def: $vgpr1
	s_branch .LBB159_1682
.LBB159_1677:
	s_mov_b32 s0, -1
                                        ; implicit-def: $vgpr3
                                        ; implicit-def: $vgpr1
	s_branch .LBB159_1696
.LBB159_1678:
	s_mov_b32 s6, -1
                                        ; implicit-def: $vgpr1
.LBB159_1679:
	s_delay_alu instid0(SALU_CYCLE_1)
	s_and_b32 vcc_lo, exec_lo, s6
	s_cbranch_vccz .LBB159_1681
; %bb.1680:
	s_wait_loadcnt 0x0
	global_load_u8 v1, v[8:9], off
	s_wait_loadcnt 0x0
	v_lshlrev_b32_e32 v1, 24, v1
	s_delay_alu instid0(VALU_DEP_1) | instskip(NEXT) | instid1(VALU_DEP_1)
	v_and_b32_e32 v3, 0x7f000000, v1
	v_clz_i32_u32_e32 v5, v3
	v_cmp_ne_u32_e32 vcc_lo, 0, v3
	s_wait_xcnt 0x1
	v_add_nc_u32_e32 v10, 0x1000000, v3
	s_delay_alu instid0(VALU_DEP_3) | instskip(NEXT) | instid1(VALU_DEP_1)
	v_min_u32_e32 v5, 32, v5
	v_sub_nc_u32_e64 v5, v5, 4 clamp
	s_delay_alu instid0(VALU_DEP_1) | instskip(NEXT) | instid1(VALU_DEP_1)
	v_dual_lshlrev_b32 v7, v5, v3 :: v_dual_lshlrev_b32 v5, 23, v5
	v_lshrrev_b32_e32 v7, 4, v7
	s_delay_alu instid0(VALU_DEP_1) | instskip(NEXT) | instid1(VALU_DEP_1)
	v_dual_sub_nc_u32 v5, v7, v5 :: v_dual_ashrrev_i32 v7, 8, v10
	v_add_nc_u32_e32 v5, 0x3c000000, v5
	s_delay_alu instid0(VALU_DEP_1) | instskip(NEXT) | instid1(VALU_DEP_1)
	v_and_or_b32 v5, 0x7f800000, v7, v5
	v_cndmask_b32_e32 v3, 0, v5, vcc_lo
	s_delay_alu instid0(VALU_DEP_1) | instskip(NEXT) | instid1(VALU_DEP_1)
	v_and_or_b32 v1, 0x80000000, v1, v3
	v_cvt_f16_f32_e32 v1, v1
.LBB159_1681:
	s_mov_b32 s6, 0
.LBB159_1682:
	s_delay_alu instid0(SALU_CYCLE_1)
	s_and_not1_b32 vcc_lo, exec_lo, s6
	s_cbranch_vccnz .LBB159_1684
; %bb.1683:
	s_wait_loadcnt 0x0
	global_load_u8 v1, v[8:9], off
	s_wait_loadcnt 0x0
	v_lshlrev_b32_e32 v3, 25, v1
	v_lshlrev_b16 v1, 8, v1
	s_delay_alu instid0(VALU_DEP_1) | instskip(SKIP_1) | instid1(VALU_DEP_2)
	v_and_or_b32 v7, 0x7f00, v1, 0.5
	v_bfe_i32 v1, v1, 0, 16
	v_add_f32_e32 v7, -0.5, v7
	v_lshrrev_b32_e32 v5, 4, v3
	v_cmp_gt_u32_e32 vcc_lo, 0x8000000, v3
	s_delay_alu instid0(VALU_DEP_2) | instskip(NEXT) | instid1(VALU_DEP_1)
	v_or_b32_e32 v5, 0x70000000, v5
	v_mul_f32_e32 v5, 0x7800000, v5
	s_delay_alu instid0(VALU_DEP_1) | instskip(NEXT) | instid1(VALU_DEP_1)
	v_cndmask_b32_e32 v3, v5, v7, vcc_lo
	v_and_or_b32 v1, 0x80000000, v1, v3
	s_delay_alu instid0(VALU_DEP_1)
	v_cvt_f16_f32_e32 v1, v1
.LBB159_1684:
	s_mov_b32 s6, 0
	s_mov_b32 s7, -1
.LBB159_1685:
	s_and_not1_b32 vcc_lo, exec_lo, s6
	s_mov_b32 s6, 0
	s_cbranch_vccnz .LBB159_1708
; %bb.1686:
	s_cmp_gt_i32 s14, 14
	s_cbranch_scc0 .LBB159_1689
; %bb.1687:
	s_cmp_eq_u32 s14, 15
	s_cbranch_scc0 .LBB159_1704
; %bb.1688:
	s_wait_loadcnt 0x0
	global_load_u16 v1, v[8:9], off
	s_mov_b32 s0, 0
	s_mov_b32 s7, -1
	s_wait_loadcnt 0x0
	v_lshlrev_b32_e32 v1, 16, v1
	s_delay_alu instid0(VALU_DEP_1)
	v_cvt_f16_f32_e32 v1, v1
	s_branch .LBB159_1706
.LBB159_1689:
	s_mov_b32 s6, -1
	s_branch .LBB159_1705
.LBB159_1690:
	s_or_saveexec_b32 s7, s7
	v_mov_b32_e32 v1, 0x7e00
	s_xor_b32 exec_lo, exec_lo, s7
	s_cbranch_execz .LBB159_1658
.LBB159_1691:
	v_cmp_ne_u16_e32 vcc_lo, 0, v3
	v_mov_b32_e32 v1, v3
	s_and_not1_b32 s6, s6, exec_lo
	s_and_b32 s15, vcc_lo, exec_lo
	s_delay_alu instid0(SALU_CYCLE_1)
	s_or_b32 s6, s6, s15
	s_or_b32 exec_lo, exec_lo, s7
	s_and_saveexec_b32 s7, s6
	s_cbranch_execnz .LBB159_1659
	s_branch .LBB159_1660
.LBB159_1692:
	s_mov_b32 s0, -1
                                        ; implicit-def: $vgpr3
                                        ; implicit-def: $vgpr1
.LBB159_1693:
	s_delay_alu instid0(SALU_CYCLE_1)
	s_and_not1_b32 vcc_lo, exec_lo, s0
	s_cbranch_vccnz .LBB159_1695
; %bb.1694:
	global_load_b64 v[10:11], v[8:9], off
	s_wait_loadcnt 0x0
	v_cvt_f16_f32_e32 v1, v10
	v_cvt_f16_f32_e32 v3, v11
.LBB159_1695:
	s_mov_b32 s0, 0
.LBB159_1696:
	s_delay_alu instid0(SALU_CYCLE_1)
	s_and_not1_b32 vcc_lo, exec_lo, s0
	s_cbranch_vccnz .LBB159_1698
; %bb.1697:
	s_wait_loadcnt 0x0
	global_load_b32 v1, v[8:9], off
	s_wait_loadcnt 0x0
	v_lshrrev_b32_e32 v3, 16, v1
.LBB159_1698:
	s_mov_b32 s0, 0
.LBB159_1699:
	s_delay_alu instid0(SALU_CYCLE_1)
	s_and_not1_b32 vcc_lo, exec_lo, s0
	s_cbranch_vccnz .LBB159_1717
; %bb.1700:
	s_cmp_lt_i32 s14, 6
	s_cbranch_scc1 .LBB159_1703
; %bb.1701:
	s_cmp_gt_i32 s14, 6
	s_cbranch_scc0 .LBB159_1710
; %bb.1702:
	global_load_b64 v[10:11], v[8:9], off
	s_mov_b32 s0, 0
	s_wait_loadcnt 0x0
	v_and_or_b32 v1, 0x1ff, v11, v10
	v_lshrrev_b32_e32 v3, 8, v11
	v_bfe_u32 v5, v11, 20, 11
	s_delay_alu instid0(VALU_DEP_3) | instskip(NEXT) | instid1(VALU_DEP_2)
	v_cmp_ne_u32_e32 vcc_lo, 0, v1
	v_sub_nc_u32_e32 v7, 0x3f1, v5
	v_add_nc_u32_e32 v5, 0xfffffc10, v5
	v_cndmask_b32_e64 v1, 0, 1, vcc_lo
	s_delay_alu instid0(VALU_DEP_1) | instskip(NEXT) | instid1(VALU_DEP_4)
	v_and_or_b32 v1, 0xffe, v3, v1
	v_med3_i32 v3, v7, 0, 13
	s_delay_alu instid0(VALU_DEP_2) | instskip(NEXT) | instid1(VALU_DEP_1)
	v_or_b32_e32 v7, 0x1000, v1
	v_lshrrev_b32_e32 v10, v3, v7
	s_delay_alu instid0(VALU_DEP_1) | instskip(NEXT) | instid1(VALU_DEP_1)
	v_lshlrev_b32_e32 v3, v3, v10
	v_cmp_ne_u32_e32 vcc_lo, v3, v7
	v_lshl_or_b32 v7, v5, 12, v1
	v_cndmask_b32_e64 v3, 0, 1, vcc_lo
	v_cmp_gt_i32_e32 vcc_lo, 1, v5
	s_delay_alu instid0(VALU_DEP_2) | instskip(NEXT) | instid1(VALU_DEP_1)
	v_or_b32_e32 v3, v10, v3
	v_cndmask_b32_e32 v3, v7, v3, vcc_lo
	s_delay_alu instid0(VALU_DEP_1) | instskip(NEXT) | instid1(VALU_DEP_1)
	v_dual_lshrrev_b32 v3, 2, v3 :: v_dual_bitop2_b32 v7, 7, v3 bitop3:0x40
	v_cmp_lt_i32_e32 vcc_lo, 5, v7
	v_cndmask_b32_e64 v10, 0, 1, vcc_lo
	v_cmp_eq_u32_e32 vcc_lo, 3, v7
	v_cndmask_b32_e64 v7, 0, 1, vcc_lo
	v_cmp_ne_u32_e32 vcc_lo, 0, v1
	s_delay_alu instid0(VALU_DEP_2) | instskip(NEXT) | instid1(VALU_DEP_1)
	v_or_b32_e32 v7, v7, v10
	v_dual_mov_b32 v10, 0x7e00 :: v_dual_add_nc_u32 v3, v3, v7
	s_delay_alu instid0(VALU_DEP_1) | instskip(SKIP_1) | instid1(VALU_DEP_3)
	v_cndmask_b32_e32 v1, 0x7c00, v10, vcc_lo
	v_cmp_gt_i32_e32 vcc_lo, 31, v5
	v_cndmask_b32_e32 v3, 0x7c00, v3, vcc_lo
	v_cmp_eq_u32_e32 vcc_lo, 0x40f, v5
	s_delay_alu instid0(VALU_DEP_2) | instskip(NEXT) | instid1(VALU_DEP_1)
	v_dual_cndmask_b32 v1, v3, v1, vcc_lo :: v_dual_lshrrev_b32 v3, 16, v11
	v_and_or_b32 v1, 0x8000, v3, v1
	s_branch .LBB159_1711
.LBB159_1703:
	s_mov_b32 s0, -1
                                        ; implicit-def: $vgpr1
	s_branch .LBB159_1714
.LBB159_1704:
	s_mov_b32 s0, -1
.LBB159_1705:
                                        ; implicit-def: $vgpr1
.LBB159_1706:
	s_and_b32 vcc_lo, exec_lo, s6
	s_mov_b32 s6, 0
	s_cbranch_vccz .LBB159_1708
; %bb.1707:
	s_cmp_lg_u32 s14, 11
	s_mov_b32 s6, -1
	s_cselect_b32 s0, -1, 0
.LBB159_1708:
	v_mov_b32_e32 v3, 0
	s_and_b32 vcc_lo, exec_lo, s0
	s_cbranch_vccz .LBB159_1662
.LBB159_1709:
	s_or_b32 s2, s2, exec_lo
	s_trap 2
	s_cbranch_execz .LBB159_1663
	s_branch .LBB159_1664
.LBB159_1710:
	s_mov_b32 s0, -1
                                        ; implicit-def: $vgpr1
.LBB159_1711:
	s_delay_alu instid0(SALU_CYCLE_1)
	s_and_not1_b32 vcc_lo, exec_lo, s0
	s_cbranch_vccnz .LBB159_1713
; %bb.1712:
	s_wait_loadcnt 0x0
	global_load_b32 v1, v[8:9], off
	s_wait_loadcnt 0x0
	v_cvt_f16_f32_e32 v1, v1
.LBB159_1713:
	s_mov_b32 s0, 0
.LBB159_1714:
	s_delay_alu instid0(SALU_CYCLE_1)
	s_and_not1_b32 vcc_lo, exec_lo, s0
	s_cbranch_vccnz .LBB159_1716
; %bb.1715:
	s_wait_loadcnt 0x0
	global_load_u16 v1, v[8:9], off
.LBB159_1716:
	v_mov_b32_e32 v3, 0
.LBB159_1717:
	s_mov_b32 s0, 0
.LBB159_1718:
	s_delay_alu instid0(SALU_CYCLE_1)
	s_and_not1_b32 vcc_lo, exec_lo, s0
	s_cbranch_vccnz .LBB159_1739
; %bb.1719:
	s_cmp_lt_i32 s14, 2
	s_cbranch_scc1 .LBB159_1723
; %bb.1720:
	s_cmp_lt_i32 s14, 3
	s_cbranch_scc1 .LBB159_1724
; %bb.1721:
	s_cmp_gt_i32 s14, 3
	s_cbranch_scc0 .LBB159_1725
; %bb.1722:
	global_load_b64 v[10:11], v[8:9], off
	s_mov_b32 s0, 0
	s_wait_loadcnt 0x0
	v_xor_b32_e32 v1, v10, v11
	v_cls_i32_e32 v3, v11
	s_delay_alu instid0(VALU_DEP_2) | instskip(NEXT) | instid1(VALU_DEP_1)
	v_ashrrev_i32_e32 v1, 31, v1
	v_add_nc_u32_e32 v1, 32, v1
	s_delay_alu instid0(VALU_DEP_1) | instskip(NEXT) | instid1(VALU_DEP_1)
	v_add_min_u32_e64 v1, v3, -1, v1
	v_lshlrev_b64_e32 v[10:11], v1, v[10:11]
	v_sub_nc_u32_e32 v1, 32, v1
	s_delay_alu instid0(VALU_DEP_2) | instskip(NEXT) | instid1(VALU_DEP_1)
	v_min_u32_e32 v3, 1, v10
	v_or_b32_e32 v3, v11, v3
	s_delay_alu instid0(VALU_DEP_1) | instskip(NEXT) | instid1(VALU_DEP_1)
	v_cvt_f32_i32_e32 v3, v3
	v_ldexp_f32 v1, v3, v1
	s_delay_alu instid0(VALU_DEP_1)
	v_cvt_f16_f32_e32 v1, v1
	s_branch .LBB159_1726
.LBB159_1723:
	s_mov_b32 s0, -1
                                        ; implicit-def: $vgpr1
	s_branch .LBB159_1732
.LBB159_1724:
	s_mov_b32 s0, -1
                                        ; implicit-def: $vgpr1
	s_branch .LBB159_1729
.LBB159_1725:
	s_mov_b32 s0, -1
                                        ; implicit-def: $vgpr1
.LBB159_1726:
	s_delay_alu instid0(SALU_CYCLE_1)
	s_and_not1_b32 vcc_lo, exec_lo, s0
	s_cbranch_vccnz .LBB159_1728
; %bb.1727:
	s_wait_loadcnt 0x0
	global_load_b32 v1, v[8:9], off
	s_wait_loadcnt 0x0
	v_cvt_f32_i32_e32 v1, v1
	s_delay_alu instid0(VALU_DEP_1)
	v_cvt_f16_f32_e32 v1, v1
.LBB159_1728:
	s_mov_b32 s0, 0
.LBB159_1729:
	s_delay_alu instid0(SALU_CYCLE_1)
	s_and_not1_b32 vcc_lo, exec_lo, s0
	s_cbranch_vccnz .LBB159_1731
; %bb.1730:
	s_wait_loadcnt 0x0
	global_load_u16 v1, v[8:9], off
	s_wait_loadcnt 0x0
	v_cvt_f16_i16_e32 v1, v1
.LBB159_1731:
	s_mov_b32 s0, 0
.LBB159_1732:
	s_delay_alu instid0(SALU_CYCLE_1)
	s_and_not1_b32 vcc_lo, exec_lo, s0
	s_cbranch_vccnz .LBB159_1738
; %bb.1733:
	s_cmp_gt_i32 s14, 0
	s_mov_b32 s0, 0
	s_cbranch_scc0 .LBB159_1735
; %bb.1734:
	s_wait_loadcnt 0x0
	global_load_i8 v1, v[8:9], off
	s_wait_loadcnt 0x0
	v_cvt_f16_i16_e32 v1, v1
	s_branch .LBB159_1736
.LBB159_1735:
	s_mov_b32 s0, -1
                                        ; implicit-def: $vgpr1
.LBB159_1736:
	s_delay_alu instid0(SALU_CYCLE_1)
	s_and_not1_b32 vcc_lo, exec_lo, s0
	s_cbranch_vccnz .LBB159_1738
; %bb.1737:
	s_wait_loadcnt 0x0
	global_load_u8 v1, v[8:9], off
	s_wait_loadcnt 0x0
	v_cvt_f16_u16_e32 v1, v1
.LBB159_1738:
	v_mov_b32_e32 v3, 0
.LBB159_1739:
	s_mov_b32 s7, -1
.LBB159_1740:
	s_delay_alu instid0(SALU_CYCLE_1)
	s_and_not1_b32 vcc_lo, exec_lo, s7
	s_cbranch_vccnz .LBB159_1743
; %bb.1741:
	s_and_b32 vcc_lo, exec_lo, s13
	s_cbranch_vccz .LBB159_1789
; %bb.1742:
	s_wait_loadcnt 0x0
	v_cmp_neq_f16_e32 vcc_lo, s1, v1
	v_cmp_neq_f16_e64 s0, s12, v3
	s_or_b32 s6, vcc_lo, s0
	s_mov_b32 s0, 0
	s_branch .LBB159_1790
.LBB159_1743:
	s_mov_b32 s0, 0
	s_mov_b32 s4, 0
                                        ; implicit-def: $sgpr6
.LBB159_1744:
                                        ; implicit-def: $vgpr2_vgpr3
                                        ; implicit-def: $sgpr1
.LBB159_1745:
	s_and_not1_b32 s5, s8, exec_lo
	s_and_b32 s2, s2, exec_lo
	s_and_b32 s0, s0, exec_lo
	;; [unrolled: 1-line block ×3, first 2 shown]
	s_or_b32 s8, s5, s2
.LBB159_1746:
	s_wait_xcnt 0x0
	s_or_b32 exec_lo, exec_lo, s9
	s_and_saveexec_b32 s2, s8
	s_cbranch_execz .LBB159_1749
; %bb.1747:
	; divergent unreachable
	s_or_b32 exec_lo, exec_lo, s2
	s_and_saveexec_b32 s2, s3
	s_delay_alu instid0(SALU_CYCLE_1)
	s_xor_b32 s2, exec_lo, s2
	s_cbranch_execnz .LBB159_1750
.LBB159_1748:
	s_or_b32 exec_lo, exec_lo, s2
	s_and_saveexec_b32 s2, s0
	s_cbranch_execnz .LBB159_1751
	s_branch .LBB159_1788
.LBB159_1749:
	s_or_b32 exec_lo, exec_lo, s2
	s_and_saveexec_b32 s2, s3
	s_delay_alu instid0(SALU_CYCLE_1)
	s_xor_b32 s2, exec_lo, s2
	s_cbranch_execz .LBB159_1748
.LBB159_1750:
	v_cndmask_b32_e64 v0, 0, 1, s6
	s_wait_loadcnt 0x0
	global_store_b8 v[2:3], v0, off
	s_wait_xcnt 0x0
	s_or_b32 exec_lo, exec_lo, s2
	s_and_saveexec_b32 s2, s0
	s_cbranch_execz .LBB159_1788
.LBB159_1751:
	s_sext_i32_i16 s2, s1
	s_mov_b32 s0, -1
	s_cmp_lt_i32 s2, 5
	s_cbranch_scc1 .LBB159_1772
; %bb.1752:
	s_cmp_lt_i32 s2, 8
	s_cbranch_scc1 .LBB159_1762
; %bb.1753:
	;; [unrolled: 3-line block ×3, first 2 shown]
	s_cmp_gt_i32 s2, 9
	s_cbranch_scc0 .LBB159_1756
; %bb.1755:
	v_cndmask_b32_e64 v0, 0, 1, s6
	v_mov_b32_e32 v6, 0
	s_mov_b32 s0, 0
	s_delay_alu instid0(VALU_DEP_2) | instskip(NEXT) | instid1(VALU_DEP_2)
	v_cvt_f64_u32_e32 v[4:5], v0
	v_mov_b32_e32 v7, v6
	s_wait_loadcnt 0x0
	global_store_b128 v[2:3], v[4:7], off
.LBB159_1756:
	s_and_not1_b32 vcc_lo, exec_lo, s0
	s_cbranch_vccnz .LBB159_1758
; %bb.1757:
	v_cndmask_b32_e64 v0, 0, 1.0, s6
	s_wait_loadcnt 0x0
	v_mov_b32_e32 v1, 0
	global_store_b64 v[2:3], v[0:1], off
.LBB159_1758:
	s_mov_b32 s0, 0
.LBB159_1759:
	s_delay_alu instid0(SALU_CYCLE_1)
	s_and_not1_b32 vcc_lo, exec_lo, s0
	s_cbranch_vccnz .LBB159_1761
; %bb.1760:
	s_wait_xcnt 0x0
	v_cndmask_b32_e64 v0, 0, 1.0, s6
	s_delay_alu instid0(VALU_DEP_1) | instskip(NEXT) | instid1(VALU_DEP_1)
	v_cvt_f16_f32_e32 v0, v0
	v_and_b32_e32 v0, 0xffff, v0
	s_wait_loadcnt 0x0
	global_store_b32 v[2:3], v0, off
.LBB159_1761:
	s_mov_b32 s0, 0
.LBB159_1762:
	s_delay_alu instid0(SALU_CYCLE_1)
	s_and_not1_b32 vcc_lo, exec_lo, s0
	s_cbranch_vccnz .LBB159_1771
; %bb.1763:
	s_sext_i32_i16 s2, s1
	s_mov_b32 s0, -1
	s_cmp_lt_i32 s2, 6
	s_cbranch_scc1 .LBB159_1769
; %bb.1764:
	s_cmp_gt_i32 s2, 6
	s_cbranch_scc0 .LBB159_1766
; %bb.1765:
	s_wait_xcnt 0x0
	v_cndmask_b32_e64 v0, 0, 1, s6
	s_mov_b32 s0, 0
	s_wait_loadcnt 0x0
	s_delay_alu instid0(VALU_DEP_1)
	v_cvt_f64_u32_e32 v[0:1], v0
	global_store_b64 v[2:3], v[0:1], off
.LBB159_1766:
	s_and_not1_b32 vcc_lo, exec_lo, s0
	s_cbranch_vccnz .LBB159_1768
; %bb.1767:
	s_wait_xcnt 0x0
	v_cndmask_b32_e64 v0, 0, 1.0, s6
	s_wait_loadcnt 0x0
	global_store_b32 v[2:3], v0, off
.LBB159_1768:
	s_mov_b32 s0, 0
.LBB159_1769:
	s_delay_alu instid0(SALU_CYCLE_1)
	s_and_not1_b32 vcc_lo, exec_lo, s0
	s_cbranch_vccnz .LBB159_1771
; %bb.1770:
	s_wait_xcnt 0x0
	v_cndmask_b32_e64 v0, 0, 1.0, s6
	s_delay_alu instid0(VALU_DEP_1)
	v_cvt_f16_f32_e32 v0, v0
	s_wait_loadcnt 0x0
	global_store_b16 v[2:3], v0, off
.LBB159_1771:
	s_mov_b32 s0, 0
.LBB159_1772:
	s_delay_alu instid0(SALU_CYCLE_1)
	s_and_not1_b32 vcc_lo, exec_lo, s0
	s_cbranch_vccnz .LBB159_1788
; %bb.1773:
	s_sext_i32_i16 s2, s1
	s_mov_b32 s0, -1
	s_cmp_lt_i32 s2, 2
	s_cbranch_scc1 .LBB159_1783
; %bb.1774:
	s_cmp_lt_i32 s2, 3
	s_cbranch_scc1 .LBB159_1780
; %bb.1775:
	s_cmp_gt_i32 s2, 3
	s_cbranch_scc0 .LBB159_1777
; %bb.1776:
	s_mov_b32 s0, 0
	s_wait_xcnt 0x0
	v_cndmask_b32_e64 v0, 0, 1, s6
	s_wait_loadcnt 0x0
	v_mov_b32_e32 v1, s0
	global_store_b64 v[2:3], v[0:1], off
.LBB159_1777:
	s_and_not1_b32 vcc_lo, exec_lo, s0
	s_cbranch_vccnz .LBB159_1779
; %bb.1778:
	s_wait_xcnt 0x0
	v_cndmask_b32_e64 v0, 0, 1, s6
	s_wait_loadcnt 0x0
	global_store_b32 v[2:3], v0, off
.LBB159_1779:
	s_mov_b32 s0, 0
.LBB159_1780:
	s_delay_alu instid0(SALU_CYCLE_1)
	s_and_not1_b32 vcc_lo, exec_lo, s0
	s_cbranch_vccnz .LBB159_1782
; %bb.1781:
	s_wait_xcnt 0x0
	v_cndmask_b32_e64 v0, 0, 1, s6
	s_wait_loadcnt 0x0
	global_store_b16 v[2:3], v0, off
.LBB159_1782:
	s_mov_b32 s0, 0
.LBB159_1783:
	s_delay_alu instid0(SALU_CYCLE_1)
	s_and_not1_b32 vcc_lo, exec_lo, s0
	s_cbranch_vccnz .LBB159_1788
; %bb.1784:
	s_sext_i32_i16 s0, s1
	s_delay_alu instid0(SALU_CYCLE_1)
	s_cmp_gt_i32 s0, 0
	s_mov_b32 s0, -1
	s_cbranch_scc0 .LBB159_1786
; %bb.1785:
	s_wait_xcnt 0x0
	v_cndmask_b32_e64 v0, 0, 1, s6
	s_mov_b32 s0, 0
	s_wait_loadcnt 0x0
	global_store_b8 v[2:3], v0, off
.LBB159_1786:
	s_and_not1_b32 vcc_lo, exec_lo, s0
	s_cbranch_vccnz .LBB159_1788
; %bb.1787:
	s_wait_xcnt 0x0
	v_cndmask_b32_e64 v0, 0, 1, s6
	s_wait_loadcnt 0x0
	global_store_b8 v[2:3], v0, off
	s_endpgm
.LBB159_1788:
	s_endpgm
.LBB159_1789:
	s_mov_b32 s0, -1
                                        ; implicit-def: $sgpr6
.LBB159_1790:
	s_delay_alu instid0(SALU_CYCLE_1)
	s_and_not1_b32 vcc_lo, exec_lo, s0
	s_cbranch_vccnz .LBB159_1792
; %bb.1791:
	s_wait_loadcnt 0x0
	v_cmp_eq_f16_e32 vcc_lo, s1, v1
	v_cmp_eq_f16_e64 s0, s12, v3
	s_and_not1_b32 s1, s6, exec_lo
	s_and_b32 s0, vcc_lo, s0
	s_delay_alu instid0(SALU_CYCLE_1) | instskip(NEXT) | instid1(SALU_CYCLE_1)
	s_and_b32 s0, s0, exec_lo
	s_or_b32 s6, s1, s0
.LBB159_1792:
	s_load_b32 s0, s[16:17], 0x160
	v_mov_b32_e32 v7, 0
	s_delay_alu instid0(VALU_DEP_1) | instskip(SKIP_2) | instid1(SALU_CYCLE_1)
	v_add_nc_u64_e32 v[6:7], s[4:5], v[6:7]
	s_wait_kmcnt 0x0
	s_and_b32 s1, s0, 0xff
	s_cmp_lt_i32 s1, 11
	s_cbranch_scc1 .LBB159_1870
; %bb.1793:
	s_and_b32 s7, 0xffff, s1
	s_mov_b32 s14, -1
	s_mov_b32 s12, 0
	s_cmp_gt_i32 s7, 25
	s_mov_b32 s13, 0
	s_mov_b32 s0, 0
	s_cbranch_scc0 .LBB159_1826
; %bb.1794:
	s_cmp_gt_i32 s7, 28
	s_cbranch_scc0 .LBB159_1809
; %bb.1795:
	s_cmp_gt_i32 s7, 43
	;; [unrolled: 3-line block ×3, first 2 shown]
	s_cbranch_scc0 .LBB159_1799
; %bb.1797:
	s_mov_b32 s0, -1
	s_mov_b32 s14, 0
	s_cmp_eq_u32 s7, 46
	s_cbranch_scc0 .LBB159_1799
; %bb.1798:
	s_wait_loadcnt 0x0
	v_cndmask_b32_e64 v1, 0, 1.0, s3
	s_mov_b32 s0, 0
	s_mov_b32 s13, -1
	s_delay_alu instid0(VALU_DEP_1) | instskip(NEXT) | instid1(VALU_DEP_1)
	v_bfe_u32 v3, v1, 16, 1
	v_add3_u32 v1, v1, v3, 0x7fff
	s_delay_alu instid0(VALU_DEP_1)
	v_lshrrev_b32_e32 v1, 16, v1
	global_store_b32 v[6:7], v1, off
.LBB159_1799:
	s_and_b32 vcc_lo, exec_lo, s14
	s_cbranch_vccz .LBB159_1804
; %bb.1800:
	s_cmp_eq_u32 s7, 44
	s_mov_b32 s0, -1
	s_cbranch_scc0 .LBB159_1804
; %bb.1801:
	v_cndmask_b32_e64 v5, 0, 1.0, s3
	v_mov_b32_e32 v3, 0xff
	s_mov_b32 s13, exec_lo
	s_wait_loadcnt 0x0
	s_delay_alu instid0(VALU_DEP_2) | instskip(NEXT) | instid1(VALU_DEP_1)
	v_lshrrev_b32_e32 v1, 23, v5
	v_cmpx_ne_u32_e32 0xff, v1
; %bb.1802:
	v_and_b32_e32 v3, 0x400000, v5
	v_and_or_b32 v5, 0x3fffff, v5, v1
	s_delay_alu instid0(VALU_DEP_2) | instskip(NEXT) | instid1(VALU_DEP_2)
	v_cmp_ne_u32_e32 vcc_lo, 0, v3
	v_cmp_ne_u32_e64 s0, 0, v5
	s_and_b32 s0, vcc_lo, s0
	s_delay_alu instid0(SALU_CYCLE_1) | instskip(NEXT) | instid1(VALU_DEP_1)
	v_cndmask_b32_e64 v3, 0, 1, s0
	v_add_nc_u32_e32 v3, v1, v3
; %bb.1803:
	s_or_b32 exec_lo, exec_lo, s13
	s_mov_b32 s0, 0
	s_mov_b32 s13, -1
	global_store_b8 v[6:7], v3, off
.LBB159_1804:
	s_mov_b32 s14, 0
.LBB159_1805:
	s_delay_alu instid0(SALU_CYCLE_1)
	s_and_b32 vcc_lo, exec_lo, s14
	s_cbranch_vccz .LBB159_1808
; %bb.1806:
	s_cmp_eq_u32 s7, 29
	s_mov_b32 s0, -1
	s_cbranch_scc0 .LBB159_1808
; %bb.1807:
	s_mov_b32 s0, 0
	v_cndmask_b32_e64 v8, 0, 1, s3
	v_mov_b32_e32 v9, s0
	s_mov_b32 s13, -1
	global_store_b64 v[6:7], v[8:9], off
.LBB159_1808:
	s_mov_b32 s14, 0
.LBB159_1809:
	s_delay_alu instid0(SALU_CYCLE_1)
	s_and_b32 vcc_lo, exec_lo, s14
	s_cbranch_vccz .LBB159_1825
; %bb.1810:
	s_cmp_lt_i32 s7, 27
	s_mov_b32 s13, -1
	s_cbranch_scc1 .LBB159_1816
; %bb.1811:
	s_cmp_gt_i32 s7, 27
	s_cbranch_scc0 .LBB159_1813
; %bb.1812:
	s_wait_loadcnt 0x0
	v_cndmask_b32_e64 v1, 0, 1, s3
	s_mov_b32 s13, 0
	global_store_b32 v[6:7], v1, off
.LBB159_1813:
	s_and_not1_b32 vcc_lo, exec_lo, s13
	s_cbranch_vccnz .LBB159_1815
; %bb.1814:
	s_wait_loadcnt 0x0
	v_cndmask_b32_e64 v1, 0, 1, s3
	global_store_b16 v[6:7], v1, off
.LBB159_1815:
	s_mov_b32 s13, 0
.LBB159_1816:
	s_delay_alu instid0(SALU_CYCLE_1)
	s_and_not1_b32 vcc_lo, exec_lo, s13
	s_cbranch_vccnz .LBB159_1824
; %bb.1817:
	s_wait_xcnt 0x0
	v_cndmask_b32_e64 v3, 0, 1.0, s3
	v_mov_b32_e32 v5, 0x80
	s_mov_b32 s13, exec_lo
	s_delay_alu instid0(VALU_DEP_2)
	v_cmpx_gt_u32_e32 0x43800000, v3
	s_cbranch_execz .LBB159_1823
; %bb.1818:
	s_mov_b32 s14, 0
	s_mov_b32 s15, exec_lo
                                        ; implicit-def: $vgpr1
	v_cmpx_lt_u32_e32 0x3bffffff, v3
	s_xor_b32 s15, exec_lo, s15
	s_cbranch_execz .LBB159_2227
; %bb.1819:
	s_wait_loadcnt 0x0
	v_bfe_u32 v1, v3, 20, 1
	s_mov_b32 s14, exec_lo
	s_delay_alu instid0(VALU_DEP_1) | instskip(NEXT) | instid1(VALU_DEP_1)
	v_add3_u32 v1, v3, v1, 0x487ffff
                                        ; implicit-def: $vgpr3
	v_lshrrev_b32_e32 v1, 20, v1
	s_and_not1_saveexec_b32 s15, s15
	s_cbranch_execnz .LBB159_2228
.LBB159_1820:
	s_or_b32 exec_lo, exec_lo, s15
	v_mov_b32_e32 v5, 0
	s_and_saveexec_b32 s15, s14
	s_cbranch_execz .LBB159_1822
.LBB159_1821:
	s_wait_loadcnt 0x0
	v_mov_b32_e32 v5, v1
.LBB159_1822:
	s_or_b32 exec_lo, exec_lo, s15
.LBB159_1823:
	s_delay_alu instid0(SALU_CYCLE_1)
	s_or_b32 exec_lo, exec_lo, s13
	global_store_b8 v[6:7], v5, off
.LBB159_1824:
	s_mov_b32 s13, -1
.LBB159_1825:
	s_mov_b32 s14, 0
.LBB159_1826:
	s_delay_alu instid0(SALU_CYCLE_1)
	s_and_b32 vcc_lo, exec_lo, s14
	s_cbranch_vccz .LBB159_1866
; %bb.1827:
	s_cmp_gt_i32 s7, 22
	s_mov_b32 s12, -1
	s_cbranch_scc0 .LBB159_1859
; %bb.1828:
	s_cmp_lt_i32 s7, 24
	s_cbranch_scc1 .LBB159_1848
; %bb.1829:
	s_cmp_gt_i32 s7, 24
	s_cbranch_scc0 .LBB159_1837
; %bb.1830:
	s_wait_xcnt 0x0
	v_cndmask_b32_e64 v3, 0, 1.0, s3
	v_mov_b32_e32 v5, 0x80
	s_mov_b32 s12, exec_lo
	s_delay_alu instid0(VALU_DEP_2)
	v_cmpx_gt_u32_e32 0x47800000, v3
	s_cbranch_execz .LBB159_1836
; %bb.1831:
	s_mov_b32 s13, 0
	s_mov_b32 s14, exec_lo
                                        ; implicit-def: $vgpr1
	v_cmpx_lt_u32_e32 0x37ffffff, v3
	s_xor_b32 s14, exec_lo, s14
	s_cbranch_execz .LBB159_2230
; %bb.1832:
	s_wait_loadcnt 0x0
	v_bfe_u32 v1, v3, 21, 1
	s_mov_b32 s13, exec_lo
	s_delay_alu instid0(VALU_DEP_1) | instskip(NEXT) | instid1(VALU_DEP_1)
	v_add3_u32 v1, v3, v1, 0x88fffff
                                        ; implicit-def: $vgpr3
	v_lshrrev_b32_e32 v1, 21, v1
	s_and_not1_saveexec_b32 s14, s14
	s_cbranch_execnz .LBB159_2231
.LBB159_1833:
	s_or_b32 exec_lo, exec_lo, s14
	v_mov_b32_e32 v5, 0
	s_and_saveexec_b32 s14, s13
	s_cbranch_execz .LBB159_1835
.LBB159_1834:
	s_wait_loadcnt 0x0
	v_mov_b32_e32 v5, v1
.LBB159_1835:
	s_or_b32 exec_lo, exec_lo, s14
.LBB159_1836:
	s_delay_alu instid0(SALU_CYCLE_1)
	s_or_b32 exec_lo, exec_lo, s12
	s_mov_b32 s12, 0
	global_store_b8 v[6:7], v5, off
.LBB159_1837:
	s_and_b32 vcc_lo, exec_lo, s12
	s_cbranch_vccz .LBB159_1847
; %bb.1838:
	s_wait_xcnt 0x0
	v_cndmask_b32_e64 v3, 0, 1.0, s3
	s_mov_b32 s12, exec_lo
                                        ; implicit-def: $vgpr1
	s_delay_alu instid0(VALU_DEP_1)
	v_cmpx_gt_u32_e32 0x43f00000, v3
	s_xor_b32 s12, exec_lo, s12
	s_cbranch_execz .LBB159_1844
; %bb.1839:
	s_mov_b32 s13, exec_lo
                                        ; implicit-def: $vgpr1
	v_cmpx_lt_u32_e32 0x3c7fffff, v3
	s_xor_b32 s13, exec_lo, s13
	s_cbranch_execz .LBB159_1841
; %bb.1840:
	s_wait_loadcnt 0x0
	v_bfe_u32 v1, v3, 20, 1
	s_delay_alu instid0(VALU_DEP_1) | instskip(NEXT) | instid1(VALU_DEP_1)
	v_add3_u32 v1, v3, v1, 0x407ffff
	v_and_b32_e32 v3, 0xff00000, v1
	v_lshrrev_b32_e32 v1, 20, v1
	s_delay_alu instid0(VALU_DEP_2) | instskip(NEXT) | instid1(VALU_DEP_2)
	v_cmp_ne_u32_e32 vcc_lo, 0x7f00000, v3
                                        ; implicit-def: $vgpr3
	v_cndmask_b32_e32 v1, 0x7e, v1, vcc_lo
.LBB159_1841:
	s_and_not1_saveexec_b32 s13, s13
	s_cbranch_execz .LBB159_1843
; %bb.1842:
	s_wait_loadcnt 0x0
	v_add_f32_e32 v1, 0x46800000, v3
.LBB159_1843:
	s_or_b32 exec_lo, exec_lo, s13
                                        ; implicit-def: $vgpr3
.LBB159_1844:
	s_and_not1_saveexec_b32 s12, s12
	s_cbranch_execz .LBB159_1846
; %bb.1845:
	s_wait_loadcnt 0x0
	v_mov_b32_e32 v1, 0x7f
	v_cmp_lt_u32_e32 vcc_lo, 0x7f800000, v3
	s_delay_alu instid0(VALU_DEP_2)
	v_cndmask_b32_e32 v1, 0x7e, v1, vcc_lo
.LBB159_1846:
	s_or_b32 exec_lo, exec_lo, s12
	s_wait_loadcnt 0x0
	global_store_b8 v[6:7], v1, off
.LBB159_1847:
	s_mov_b32 s12, 0
.LBB159_1848:
	s_delay_alu instid0(SALU_CYCLE_1)
	s_and_not1_b32 vcc_lo, exec_lo, s12
	s_cbranch_vccnz .LBB159_1858
; %bb.1849:
	s_wait_xcnt 0x0
	v_cndmask_b32_e64 v3, 0, 1.0, s3
	s_mov_b32 s12, exec_lo
                                        ; implicit-def: $vgpr1
	s_delay_alu instid0(VALU_DEP_1)
	v_cmpx_gt_u32_e32 0x47800000, v3
	s_xor_b32 s12, exec_lo, s12
	s_cbranch_execz .LBB159_1855
; %bb.1850:
	s_mov_b32 s13, exec_lo
                                        ; implicit-def: $vgpr1
	v_cmpx_lt_u32_e32 0x387fffff, v3
	s_xor_b32 s13, exec_lo, s13
	s_cbranch_execz .LBB159_1852
; %bb.1851:
	s_wait_loadcnt 0x0
	v_bfe_u32 v1, v3, 21, 1
	s_delay_alu instid0(VALU_DEP_1) | instskip(NEXT) | instid1(VALU_DEP_1)
	v_add3_u32 v1, v3, v1, 0x80fffff
                                        ; implicit-def: $vgpr3
	v_lshrrev_b32_e32 v1, 21, v1
.LBB159_1852:
	s_and_not1_saveexec_b32 s13, s13
	s_cbranch_execz .LBB159_1854
; %bb.1853:
	s_wait_loadcnt 0x0
	v_add_f32_e32 v1, 0x43000000, v3
.LBB159_1854:
	s_or_b32 exec_lo, exec_lo, s13
                                        ; implicit-def: $vgpr3
.LBB159_1855:
	s_and_not1_saveexec_b32 s12, s12
	s_cbranch_execz .LBB159_1857
; %bb.1856:
	s_wait_loadcnt 0x0
	v_mov_b32_e32 v1, 0x7f
	v_cmp_lt_u32_e32 vcc_lo, 0x7f800000, v3
	s_delay_alu instid0(VALU_DEP_2)
	v_cndmask_b32_e32 v1, 0x7c, v1, vcc_lo
.LBB159_1857:
	s_or_b32 exec_lo, exec_lo, s12
	s_wait_loadcnt 0x0
	global_store_b8 v[6:7], v1, off
.LBB159_1858:
	s_mov_b32 s12, 0
	s_mov_b32 s13, -1
.LBB159_1859:
	s_and_not1_b32 vcc_lo, exec_lo, s12
	s_mov_b32 s12, 0
	s_cbranch_vccnz .LBB159_1866
; %bb.1860:
	s_cmp_gt_i32 s7, 14
	s_mov_b32 s12, -1
	s_cbranch_scc0 .LBB159_1864
; %bb.1861:
	s_cmp_eq_u32 s7, 15
	s_mov_b32 s0, -1
	s_cbranch_scc0 .LBB159_1863
; %bb.1862:
	s_wait_loadcnt 0x0
	v_cndmask_b32_e64 v1, 0, 1.0, s3
	s_mov_b32 s0, 0
	s_mov_b32 s13, -1
	s_delay_alu instid0(VALU_DEP_1) | instskip(NEXT) | instid1(VALU_DEP_1)
	v_bfe_u32 v3, v1, 16, 1
	v_add3_u32 v1, v1, v3, 0x7fff
	global_store_d16_hi_b16 v[6:7], v1, off
.LBB159_1863:
	s_mov_b32 s12, 0
.LBB159_1864:
	s_delay_alu instid0(SALU_CYCLE_1)
	s_and_b32 vcc_lo, exec_lo, s12
	s_mov_b32 s12, 0
	s_cbranch_vccz .LBB159_1866
; %bb.1865:
	s_cmp_lg_u32 s7, 11
	s_mov_b32 s12, -1
	s_cselect_b32 s0, -1, 0
.LBB159_1866:
	s_delay_alu instid0(SALU_CYCLE_1)
	s_and_b32 vcc_lo, exec_lo, s0
	s_cbranch_vccnz .LBB159_2229
; %bb.1867:
	s_and_not1_b32 vcc_lo, exec_lo, s12
	s_cbranch_vccnz .LBB159_1869
.LBB159_1868:
	s_wait_loadcnt 0x0
	v_cndmask_b32_e64 v1, 0, 1, s3
	s_mov_b32 s13, -1
	global_store_b8 v[6:7], v1, off
.LBB159_1869:
	s_mov_b32 s0, 0
	s_branch .LBB159_1871
.LBB159_1870:
	s_mov_b32 s0, -1
	s_mov_b32 s13, 0
.LBB159_1871:
	s_and_b32 vcc_lo, exec_lo, s0
	s_cbranch_vccz .LBB159_1910
; %bb.1872:
	s_and_b32 s0, 0xffff, s1
	s_mov_b32 s7, -1
	s_cmp_lt_i32 s0, 5
	s_cbranch_scc1 .LBB159_1893
; %bb.1873:
	s_cmp_lt_i32 s0, 8
	s_cbranch_scc1 .LBB159_1883
; %bb.1874:
	;; [unrolled: 3-line block ×3, first 2 shown]
	s_cmp_gt_i32 s0, 9
	s_cbranch_scc0 .LBB159_1877
; %bb.1876:
	s_wait_loadcnt 0x0
	v_cndmask_b32_e64 v1, 0, 1, s3
	v_mov_b32_e32 v10, 0
	s_mov_b32 s7, 0
	s_delay_alu instid0(VALU_DEP_2) | instskip(NEXT) | instid1(VALU_DEP_2)
	v_cvt_f64_u32_e32 v[8:9], v1
	v_mov_b32_e32 v11, v10
	global_store_b128 v[6:7], v[8:11], off
.LBB159_1877:
	s_and_not1_b32 vcc_lo, exec_lo, s7
	s_cbranch_vccnz .LBB159_1879
; %bb.1878:
	s_wait_xcnt 0x0
	v_cndmask_b32_e64 v8, 0, 1.0, s3
	v_mov_b32_e32 v9, 0
	global_store_b64 v[6:7], v[8:9], off
.LBB159_1879:
	s_mov_b32 s7, 0
.LBB159_1880:
	s_delay_alu instid0(SALU_CYCLE_1)
	s_and_not1_b32 vcc_lo, exec_lo, s7
	s_cbranch_vccnz .LBB159_1882
; %bb.1881:
	s_wait_loadcnt 0x0
	v_cndmask_b32_e64 v1, 0, 1.0, s3
	s_delay_alu instid0(VALU_DEP_1) | instskip(NEXT) | instid1(VALU_DEP_1)
	v_cvt_f16_f32_e32 v1, v1
	v_and_b32_e32 v1, 0xffff, v1
	global_store_b32 v[6:7], v1, off
.LBB159_1882:
	s_mov_b32 s7, 0
.LBB159_1883:
	s_delay_alu instid0(SALU_CYCLE_1)
	s_and_not1_b32 vcc_lo, exec_lo, s7
	s_cbranch_vccnz .LBB159_1892
; %bb.1884:
	s_cmp_lt_i32 s0, 6
	s_mov_b32 s7, -1
	s_cbranch_scc1 .LBB159_1890
; %bb.1885:
	s_cmp_gt_i32 s0, 6
	s_cbranch_scc0 .LBB159_1887
; %bb.1886:
	s_wait_loadcnt 0x0
	v_cndmask_b32_e64 v1, 0, 1, s3
	s_mov_b32 s7, 0
	s_delay_alu instid0(VALU_DEP_1)
	v_cvt_f64_u32_e32 v[8:9], v1
	global_store_b64 v[6:7], v[8:9], off
.LBB159_1887:
	s_and_not1_b32 vcc_lo, exec_lo, s7
	s_cbranch_vccnz .LBB159_1889
; %bb.1888:
	s_wait_loadcnt 0x0
	v_cndmask_b32_e64 v1, 0, 1.0, s3
	global_store_b32 v[6:7], v1, off
.LBB159_1889:
	s_mov_b32 s7, 0
.LBB159_1890:
	s_delay_alu instid0(SALU_CYCLE_1)
	s_and_not1_b32 vcc_lo, exec_lo, s7
	s_cbranch_vccnz .LBB159_1892
; %bb.1891:
	s_wait_loadcnt 0x0
	v_cndmask_b32_e64 v1, 0, 1.0, s3
	s_delay_alu instid0(VALU_DEP_1)
	v_cvt_f16_f32_e32 v1, v1
	global_store_b16 v[6:7], v1, off
.LBB159_1892:
	s_mov_b32 s7, 0
.LBB159_1893:
	s_delay_alu instid0(SALU_CYCLE_1)
	s_and_not1_b32 vcc_lo, exec_lo, s7
	s_cbranch_vccnz .LBB159_1909
; %bb.1894:
	s_cmp_lt_i32 s0, 2
	s_mov_b32 s7, -1
	s_cbranch_scc1 .LBB159_1904
; %bb.1895:
	s_cmp_lt_i32 s0, 3
	s_cbranch_scc1 .LBB159_1901
; %bb.1896:
	s_cmp_gt_i32 s0, 3
	s_cbranch_scc0 .LBB159_1898
; %bb.1897:
	s_mov_b32 s7, 0
	s_wait_xcnt 0x0
	v_cndmask_b32_e64 v8, 0, 1, s3
	v_mov_b32_e32 v9, s7
	global_store_b64 v[6:7], v[8:9], off
.LBB159_1898:
	s_and_not1_b32 vcc_lo, exec_lo, s7
	s_cbranch_vccnz .LBB159_1900
; %bb.1899:
	s_wait_loadcnt 0x0
	v_cndmask_b32_e64 v1, 0, 1, s3
	global_store_b32 v[6:7], v1, off
.LBB159_1900:
	s_mov_b32 s7, 0
.LBB159_1901:
	s_delay_alu instid0(SALU_CYCLE_1)
	s_and_not1_b32 vcc_lo, exec_lo, s7
	s_cbranch_vccnz .LBB159_1903
; %bb.1902:
	s_wait_loadcnt 0x0
	v_cndmask_b32_e64 v1, 0, 1, s3
	global_store_b16 v[6:7], v1, off
.LBB159_1903:
	s_mov_b32 s7, 0
.LBB159_1904:
	s_delay_alu instid0(SALU_CYCLE_1)
	s_and_not1_b32 vcc_lo, exec_lo, s7
	s_cbranch_vccnz .LBB159_1909
; %bb.1905:
	s_wait_loadcnt 0x0
	v_cndmask_b32_e64 v1, 0, 1, s3
	s_cmp_gt_i32 s0, 0
	s_mov_b32 s0, -1
	s_cbranch_scc0 .LBB159_1907
; %bb.1906:
	s_mov_b32 s0, 0
	global_store_b8 v[6:7], v1, off
.LBB159_1907:
	s_and_not1_b32 vcc_lo, exec_lo, s0
	s_cbranch_vccnz .LBB159_1909
; %bb.1908:
	global_store_b8 v[6:7], v1, off
.LBB159_1909:
	s_mov_b32 s13, -1
.LBB159_1910:
	s_delay_alu instid0(SALU_CYCLE_1)
	s_and_not1_b32 vcc_lo, exec_lo, s13
	s_cbranch_vccnz .LBB159_2225
; %bb.1911:
	s_wait_xcnt 0x0
	v_mov_b32_e32 v5, 0
	s_and_b32 s3, 0xffff, s1
	s_delay_alu instid0(SALU_CYCLE_1) | instskip(NEXT) | instid1(VALU_DEP_1)
	s_cmp_lt_i32 s3, 11
	v_add_nc_u64_e32 v[4:5], s[4:5], v[4:5]
	s_cbranch_scc1 .LBB159_1989
; %bb.1912:
	s_mov_b32 s13, -1
	s_mov_b32 s7, 0
	s_cmp_gt_i32 s3, 25
	s_mov_b32 s12, 0
	s_mov_b32 s0, 0
	s_cbranch_scc0 .LBB159_1945
; %bb.1913:
	s_cmp_gt_i32 s3, 28
	s_cbranch_scc0 .LBB159_1928
; %bb.1914:
	s_cmp_gt_i32 s3, 43
	;; [unrolled: 3-line block ×3, first 2 shown]
	s_cbranch_scc0 .LBB159_1918
; %bb.1916:
	s_mov_b32 s0, -1
	s_mov_b32 s13, 0
	s_cmp_eq_u32 s3, 46
	s_cbranch_scc0 .LBB159_1918
; %bb.1917:
	s_wait_loadcnt 0x0
	v_cndmask_b32_e64 v1, 0, 1.0, s10
	s_mov_b32 s0, 0
	s_mov_b32 s12, -1
	s_delay_alu instid0(VALU_DEP_1) | instskip(NEXT) | instid1(VALU_DEP_1)
	v_bfe_u32 v3, v1, 16, 1
	v_add3_u32 v1, v1, v3, 0x7fff
	s_delay_alu instid0(VALU_DEP_1)
	v_lshrrev_b32_e32 v1, 16, v1
	global_store_b32 v[4:5], v1, off
.LBB159_1918:
	s_and_b32 vcc_lo, exec_lo, s13
	s_cbranch_vccz .LBB159_1923
; %bb.1919:
	s_cmp_eq_u32 s3, 44
	s_mov_b32 s0, -1
	s_cbranch_scc0 .LBB159_1923
; %bb.1920:
	v_cndmask_b32_e64 v6, 0, 1.0, s10
	v_mov_b32_e32 v3, 0xff
	s_mov_b32 s12, exec_lo
	s_wait_loadcnt 0x0
	s_delay_alu instid0(VALU_DEP_2) | instskip(NEXT) | instid1(VALU_DEP_1)
	v_lshrrev_b32_e32 v1, 23, v6
	v_cmpx_ne_u32_e32 0xff, v1
; %bb.1921:
	v_and_b32_e32 v3, 0x400000, v6
	v_and_or_b32 v6, 0x3fffff, v6, v1
	s_delay_alu instid0(VALU_DEP_2) | instskip(NEXT) | instid1(VALU_DEP_2)
	v_cmp_ne_u32_e32 vcc_lo, 0, v3
	v_cmp_ne_u32_e64 s0, 0, v6
	s_and_b32 s0, vcc_lo, s0
	s_delay_alu instid0(SALU_CYCLE_1) | instskip(NEXT) | instid1(VALU_DEP_1)
	v_cndmask_b32_e64 v3, 0, 1, s0
	v_add_nc_u32_e32 v3, v1, v3
; %bb.1922:
	s_or_b32 exec_lo, exec_lo, s12
	s_mov_b32 s0, 0
	s_mov_b32 s12, -1
	global_store_b8 v[4:5], v3, off
.LBB159_1923:
	s_mov_b32 s13, 0
.LBB159_1924:
	s_delay_alu instid0(SALU_CYCLE_1)
	s_and_b32 vcc_lo, exec_lo, s13
	s_cbranch_vccz .LBB159_1927
; %bb.1925:
	s_cmp_eq_u32 s3, 29
	s_mov_b32 s0, -1
	s_cbranch_scc0 .LBB159_1927
; %bb.1926:
	s_mov_b32 s0, 0
	v_cndmask_b32_e64 v6, 0, 1, s10
	v_mov_b32_e32 v7, s0
	s_mov_b32 s12, -1
	global_store_b64 v[4:5], v[6:7], off
.LBB159_1927:
	s_mov_b32 s13, 0
.LBB159_1928:
	s_delay_alu instid0(SALU_CYCLE_1)
	s_and_b32 vcc_lo, exec_lo, s13
	s_cbranch_vccz .LBB159_1944
; %bb.1929:
	s_cmp_lt_i32 s3, 27
	s_mov_b32 s12, -1
	s_cbranch_scc1 .LBB159_1935
; %bb.1930:
	s_cmp_gt_i32 s3, 27
	s_cbranch_scc0 .LBB159_1932
; %bb.1931:
	s_wait_loadcnt 0x0
	v_cndmask_b32_e64 v1, 0, 1, s10
	s_mov_b32 s12, 0
	global_store_b32 v[4:5], v1, off
.LBB159_1932:
	s_and_not1_b32 vcc_lo, exec_lo, s12
	s_cbranch_vccnz .LBB159_1934
; %bb.1933:
	s_wait_loadcnt 0x0
	v_cndmask_b32_e64 v1, 0, 1, s10
	global_store_b16 v[4:5], v1, off
.LBB159_1934:
	s_mov_b32 s12, 0
.LBB159_1935:
	s_delay_alu instid0(SALU_CYCLE_1)
	s_and_not1_b32 vcc_lo, exec_lo, s12
	s_cbranch_vccnz .LBB159_1943
; %bb.1936:
	s_wait_xcnt 0x0
	v_cndmask_b32_e64 v3, 0, 1.0, s10
	v_mov_b32_e32 v6, 0x80
	s_mov_b32 s12, exec_lo
	s_delay_alu instid0(VALU_DEP_2)
	v_cmpx_gt_u32_e32 0x43800000, v3
	s_cbranch_execz .LBB159_1942
; %bb.1937:
	s_mov_b32 s13, 0
	s_mov_b32 s14, exec_lo
                                        ; implicit-def: $vgpr1
	v_cmpx_lt_u32_e32 0x3bffffff, v3
	s_xor_b32 s14, exec_lo, s14
	s_cbranch_execz .LBB159_2232
; %bb.1938:
	s_wait_loadcnt 0x0
	v_bfe_u32 v1, v3, 20, 1
	s_mov_b32 s13, exec_lo
	s_delay_alu instid0(VALU_DEP_1) | instskip(NEXT) | instid1(VALU_DEP_1)
	v_add3_u32 v1, v3, v1, 0x487ffff
                                        ; implicit-def: $vgpr3
	v_lshrrev_b32_e32 v1, 20, v1
	s_and_not1_saveexec_b32 s14, s14
	s_cbranch_execnz .LBB159_2233
.LBB159_1939:
	s_or_b32 exec_lo, exec_lo, s14
	v_mov_b32_e32 v6, 0
	s_and_saveexec_b32 s14, s13
	s_cbranch_execz .LBB159_1941
.LBB159_1940:
	s_wait_loadcnt 0x0
	v_mov_b32_e32 v6, v1
.LBB159_1941:
	s_or_b32 exec_lo, exec_lo, s14
.LBB159_1942:
	s_delay_alu instid0(SALU_CYCLE_1)
	s_or_b32 exec_lo, exec_lo, s12
	global_store_b8 v[4:5], v6, off
.LBB159_1943:
	s_mov_b32 s12, -1
.LBB159_1944:
	s_mov_b32 s13, 0
.LBB159_1945:
	s_delay_alu instid0(SALU_CYCLE_1)
	s_and_b32 vcc_lo, exec_lo, s13
	s_cbranch_vccz .LBB159_1985
; %bb.1946:
	s_cmp_gt_i32 s3, 22
	s_mov_b32 s7, -1
	s_cbranch_scc0 .LBB159_1978
; %bb.1947:
	s_cmp_lt_i32 s3, 24
	s_cbranch_scc1 .LBB159_1967
; %bb.1948:
	s_cmp_gt_i32 s3, 24
	s_cbranch_scc0 .LBB159_1956
; %bb.1949:
	s_wait_xcnt 0x0
	v_cndmask_b32_e64 v3, 0, 1.0, s10
	v_mov_b32_e32 v6, 0x80
	s_mov_b32 s7, exec_lo
	s_delay_alu instid0(VALU_DEP_2)
	v_cmpx_gt_u32_e32 0x47800000, v3
	s_cbranch_execz .LBB159_1955
; %bb.1950:
	s_mov_b32 s12, 0
	s_mov_b32 s13, exec_lo
                                        ; implicit-def: $vgpr1
	v_cmpx_lt_u32_e32 0x37ffffff, v3
	s_xor_b32 s13, exec_lo, s13
	s_cbranch_execz .LBB159_2235
; %bb.1951:
	s_wait_loadcnt 0x0
	v_bfe_u32 v1, v3, 21, 1
	s_mov_b32 s12, exec_lo
	s_delay_alu instid0(VALU_DEP_1) | instskip(NEXT) | instid1(VALU_DEP_1)
	v_add3_u32 v1, v3, v1, 0x88fffff
                                        ; implicit-def: $vgpr3
	v_lshrrev_b32_e32 v1, 21, v1
	s_and_not1_saveexec_b32 s13, s13
	s_cbranch_execnz .LBB159_2236
.LBB159_1952:
	s_or_b32 exec_lo, exec_lo, s13
	v_mov_b32_e32 v6, 0
	s_and_saveexec_b32 s13, s12
	s_cbranch_execz .LBB159_1954
.LBB159_1953:
	s_wait_loadcnt 0x0
	v_mov_b32_e32 v6, v1
.LBB159_1954:
	s_or_b32 exec_lo, exec_lo, s13
.LBB159_1955:
	s_delay_alu instid0(SALU_CYCLE_1)
	s_or_b32 exec_lo, exec_lo, s7
	s_mov_b32 s7, 0
	global_store_b8 v[4:5], v6, off
.LBB159_1956:
	s_and_b32 vcc_lo, exec_lo, s7
	s_cbranch_vccz .LBB159_1966
; %bb.1957:
	s_wait_xcnt 0x0
	v_cndmask_b32_e64 v3, 0, 1.0, s10
	s_mov_b32 s7, exec_lo
                                        ; implicit-def: $vgpr1
	s_delay_alu instid0(VALU_DEP_1)
	v_cmpx_gt_u32_e32 0x43f00000, v3
	s_xor_b32 s7, exec_lo, s7
	s_cbranch_execz .LBB159_1963
; %bb.1958:
	s_mov_b32 s12, exec_lo
                                        ; implicit-def: $vgpr1
	v_cmpx_lt_u32_e32 0x3c7fffff, v3
	s_xor_b32 s12, exec_lo, s12
	s_cbranch_execz .LBB159_1960
; %bb.1959:
	s_wait_loadcnt 0x0
	v_bfe_u32 v1, v3, 20, 1
	s_delay_alu instid0(VALU_DEP_1) | instskip(NEXT) | instid1(VALU_DEP_1)
	v_add3_u32 v1, v3, v1, 0x407ffff
	v_and_b32_e32 v3, 0xff00000, v1
	v_lshrrev_b32_e32 v1, 20, v1
	s_delay_alu instid0(VALU_DEP_2) | instskip(NEXT) | instid1(VALU_DEP_2)
	v_cmp_ne_u32_e32 vcc_lo, 0x7f00000, v3
                                        ; implicit-def: $vgpr3
	v_cndmask_b32_e32 v1, 0x7e, v1, vcc_lo
.LBB159_1960:
	s_and_not1_saveexec_b32 s12, s12
	s_cbranch_execz .LBB159_1962
; %bb.1961:
	s_wait_loadcnt 0x0
	v_add_f32_e32 v1, 0x46800000, v3
.LBB159_1962:
	s_or_b32 exec_lo, exec_lo, s12
                                        ; implicit-def: $vgpr3
.LBB159_1963:
	s_and_not1_saveexec_b32 s7, s7
	s_cbranch_execz .LBB159_1965
; %bb.1964:
	s_wait_loadcnt 0x0
	v_mov_b32_e32 v1, 0x7f
	v_cmp_lt_u32_e32 vcc_lo, 0x7f800000, v3
	s_delay_alu instid0(VALU_DEP_2)
	v_cndmask_b32_e32 v1, 0x7e, v1, vcc_lo
.LBB159_1965:
	s_or_b32 exec_lo, exec_lo, s7
	s_wait_loadcnt 0x0
	global_store_b8 v[4:5], v1, off
.LBB159_1966:
	s_mov_b32 s7, 0
.LBB159_1967:
	s_delay_alu instid0(SALU_CYCLE_1)
	s_and_not1_b32 vcc_lo, exec_lo, s7
	s_cbranch_vccnz .LBB159_1977
; %bb.1968:
	s_wait_xcnt 0x0
	v_cndmask_b32_e64 v3, 0, 1.0, s10
	s_mov_b32 s7, exec_lo
                                        ; implicit-def: $vgpr1
	s_delay_alu instid0(VALU_DEP_1)
	v_cmpx_gt_u32_e32 0x47800000, v3
	s_xor_b32 s7, exec_lo, s7
	s_cbranch_execz .LBB159_1974
; %bb.1969:
	s_mov_b32 s12, exec_lo
                                        ; implicit-def: $vgpr1
	v_cmpx_lt_u32_e32 0x387fffff, v3
	s_xor_b32 s12, exec_lo, s12
	s_cbranch_execz .LBB159_1971
; %bb.1970:
	s_wait_loadcnt 0x0
	v_bfe_u32 v1, v3, 21, 1
	s_delay_alu instid0(VALU_DEP_1) | instskip(NEXT) | instid1(VALU_DEP_1)
	v_add3_u32 v1, v3, v1, 0x80fffff
                                        ; implicit-def: $vgpr3
	v_lshrrev_b32_e32 v1, 21, v1
.LBB159_1971:
	s_and_not1_saveexec_b32 s12, s12
	s_cbranch_execz .LBB159_1973
; %bb.1972:
	s_wait_loadcnt 0x0
	v_add_f32_e32 v1, 0x43000000, v3
.LBB159_1973:
	s_or_b32 exec_lo, exec_lo, s12
                                        ; implicit-def: $vgpr3
.LBB159_1974:
	s_and_not1_saveexec_b32 s7, s7
	s_cbranch_execz .LBB159_1976
; %bb.1975:
	s_wait_loadcnt 0x0
	v_mov_b32_e32 v1, 0x7f
	v_cmp_lt_u32_e32 vcc_lo, 0x7f800000, v3
	s_delay_alu instid0(VALU_DEP_2)
	v_cndmask_b32_e32 v1, 0x7c, v1, vcc_lo
.LBB159_1976:
	s_or_b32 exec_lo, exec_lo, s7
	s_wait_loadcnt 0x0
	global_store_b8 v[4:5], v1, off
.LBB159_1977:
	s_mov_b32 s7, 0
	s_mov_b32 s12, -1
.LBB159_1978:
	s_and_not1_b32 vcc_lo, exec_lo, s7
	s_mov_b32 s7, 0
	s_cbranch_vccnz .LBB159_1985
; %bb.1979:
	s_cmp_gt_i32 s3, 14
	s_mov_b32 s7, -1
	s_cbranch_scc0 .LBB159_1983
; %bb.1980:
	s_cmp_eq_u32 s3, 15
	s_mov_b32 s0, -1
	s_cbranch_scc0 .LBB159_1982
; %bb.1981:
	s_wait_loadcnt 0x0
	v_cndmask_b32_e64 v1, 0, 1.0, s10
	s_mov_b32 s0, 0
	s_mov_b32 s12, -1
	s_delay_alu instid0(VALU_DEP_1) | instskip(NEXT) | instid1(VALU_DEP_1)
	v_bfe_u32 v3, v1, 16, 1
	v_add3_u32 v1, v1, v3, 0x7fff
	global_store_d16_hi_b16 v[4:5], v1, off
.LBB159_1982:
	s_mov_b32 s7, 0
.LBB159_1983:
	s_delay_alu instid0(SALU_CYCLE_1)
	s_and_b32 vcc_lo, exec_lo, s7
	s_mov_b32 s7, 0
	s_cbranch_vccz .LBB159_1985
; %bb.1984:
	s_cmp_lg_u32 s3, 11
	s_mov_b32 s7, -1
	s_cselect_b32 s0, -1, 0
.LBB159_1985:
	s_delay_alu instid0(SALU_CYCLE_1)
	s_and_b32 vcc_lo, exec_lo, s0
	s_cbranch_vccnz .LBB159_2234
; %bb.1986:
	s_and_not1_b32 vcc_lo, exec_lo, s7
	s_cbranch_vccnz .LBB159_1988
.LBB159_1987:
	s_wait_loadcnt 0x0
	v_cndmask_b32_e64 v1, 0, 1, s10
	s_mov_b32 s12, -1
	global_store_b8 v[4:5], v1, off
.LBB159_1988:
	s_mov_b32 s0, 0
	s_branch .LBB159_1990
.LBB159_1989:
	s_mov_b32 s0, -1
	s_mov_b32 s12, 0
.LBB159_1990:
	s_and_b32 vcc_lo, exec_lo, s0
	s_cbranch_vccz .LBB159_2029
; %bb.1991:
	s_cmp_lt_i32 s3, 5
	s_mov_b32 s0, -1
	s_cbranch_scc1 .LBB159_2012
; %bb.1992:
	s_cmp_lt_i32 s3, 8
	s_cbranch_scc1 .LBB159_2002
; %bb.1993:
	s_cmp_lt_i32 s3, 9
	s_cbranch_scc1 .LBB159_1999
; %bb.1994:
	s_cmp_gt_i32 s3, 9
	s_cbranch_scc0 .LBB159_1996
; %bb.1995:
	s_wait_loadcnt 0x0
	v_cndmask_b32_e64 v1, 0, 1, s10
	v_mov_b32_e32 v8, 0
	s_mov_b32 s0, 0
	s_delay_alu instid0(VALU_DEP_2) | instskip(NEXT) | instid1(VALU_DEP_2)
	v_cvt_f64_u32_e32 v[6:7], v1
	v_mov_b32_e32 v9, v8
	global_store_b128 v[4:5], v[6:9], off
.LBB159_1996:
	s_and_not1_b32 vcc_lo, exec_lo, s0
	s_cbranch_vccnz .LBB159_1998
; %bb.1997:
	s_wait_xcnt 0x0
	v_cndmask_b32_e64 v6, 0, 1.0, s10
	v_mov_b32_e32 v7, 0
	global_store_b64 v[4:5], v[6:7], off
.LBB159_1998:
	s_mov_b32 s0, 0
.LBB159_1999:
	s_delay_alu instid0(SALU_CYCLE_1)
	s_and_not1_b32 vcc_lo, exec_lo, s0
	s_cbranch_vccnz .LBB159_2001
; %bb.2000:
	s_wait_loadcnt 0x0
	v_cndmask_b32_e64 v1, 0, 1.0, s10
	s_delay_alu instid0(VALU_DEP_1) | instskip(NEXT) | instid1(VALU_DEP_1)
	v_cvt_f16_f32_e32 v1, v1
	v_and_b32_e32 v1, 0xffff, v1
	global_store_b32 v[4:5], v1, off
.LBB159_2001:
	s_mov_b32 s0, 0
.LBB159_2002:
	s_delay_alu instid0(SALU_CYCLE_1)
	s_and_not1_b32 vcc_lo, exec_lo, s0
	s_cbranch_vccnz .LBB159_2011
; %bb.2003:
	s_cmp_lt_i32 s3, 6
	s_mov_b32 s0, -1
	s_cbranch_scc1 .LBB159_2009
; %bb.2004:
	s_cmp_gt_i32 s3, 6
	s_cbranch_scc0 .LBB159_2006
; %bb.2005:
	s_wait_loadcnt 0x0
	v_cndmask_b32_e64 v1, 0, 1, s10
	s_mov_b32 s0, 0
	s_delay_alu instid0(VALU_DEP_1)
	v_cvt_f64_u32_e32 v[6:7], v1
	global_store_b64 v[4:5], v[6:7], off
.LBB159_2006:
	s_and_not1_b32 vcc_lo, exec_lo, s0
	s_cbranch_vccnz .LBB159_2008
; %bb.2007:
	s_wait_loadcnt 0x0
	v_cndmask_b32_e64 v1, 0, 1.0, s10
	global_store_b32 v[4:5], v1, off
.LBB159_2008:
	s_mov_b32 s0, 0
.LBB159_2009:
	s_delay_alu instid0(SALU_CYCLE_1)
	s_and_not1_b32 vcc_lo, exec_lo, s0
	s_cbranch_vccnz .LBB159_2011
; %bb.2010:
	s_wait_loadcnt 0x0
	v_cndmask_b32_e64 v1, 0, 1.0, s10
	s_delay_alu instid0(VALU_DEP_1)
	v_cvt_f16_f32_e32 v1, v1
	global_store_b16 v[4:5], v1, off
.LBB159_2011:
	s_mov_b32 s0, 0
.LBB159_2012:
	s_delay_alu instid0(SALU_CYCLE_1)
	s_and_not1_b32 vcc_lo, exec_lo, s0
	s_cbranch_vccnz .LBB159_2028
; %bb.2013:
	s_cmp_lt_i32 s3, 2
	s_mov_b32 s0, -1
	s_cbranch_scc1 .LBB159_2023
; %bb.2014:
	s_cmp_lt_i32 s3, 3
	s_cbranch_scc1 .LBB159_2020
; %bb.2015:
	s_cmp_gt_i32 s3, 3
	s_cbranch_scc0 .LBB159_2017
; %bb.2016:
	s_mov_b32 s0, 0
	s_wait_xcnt 0x0
	v_cndmask_b32_e64 v6, 0, 1, s10
	v_mov_b32_e32 v7, s0
	global_store_b64 v[4:5], v[6:7], off
.LBB159_2017:
	s_and_not1_b32 vcc_lo, exec_lo, s0
	s_cbranch_vccnz .LBB159_2019
; %bb.2018:
	s_wait_loadcnt 0x0
	v_cndmask_b32_e64 v1, 0, 1, s10
	global_store_b32 v[4:5], v1, off
.LBB159_2019:
	s_mov_b32 s0, 0
.LBB159_2020:
	s_delay_alu instid0(SALU_CYCLE_1)
	s_and_not1_b32 vcc_lo, exec_lo, s0
	s_cbranch_vccnz .LBB159_2022
; %bb.2021:
	s_wait_loadcnt 0x0
	v_cndmask_b32_e64 v1, 0, 1, s10
	global_store_b16 v[4:5], v1, off
.LBB159_2022:
	s_mov_b32 s0, 0
.LBB159_2023:
	s_delay_alu instid0(SALU_CYCLE_1)
	s_and_not1_b32 vcc_lo, exec_lo, s0
	s_cbranch_vccnz .LBB159_2028
; %bb.2024:
	s_wait_loadcnt 0x0
	v_cndmask_b32_e64 v1, 0, 1, s10
	s_cmp_gt_i32 s3, 0
	s_mov_b32 s0, -1
	s_cbranch_scc0 .LBB159_2026
; %bb.2025:
	s_mov_b32 s0, 0
	global_store_b8 v[4:5], v1, off
.LBB159_2026:
	s_and_not1_b32 vcc_lo, exec_lo, s0
	s_cbranch_vccnz .LBB159_2028
; %bb.2027:
	global_store_b8 v[4:5], v1, off
.LBB159_2028:
	s_mov_b32 s12, -1
.LBB159_2029:
	s_delay_alu instid0(SALU_CYCLE_1)
	s_and_not1_b32 vcc_lo, exec_lo, s12
	s_cbranch_vccnz .LBB159_2225
; %bb.2030:
	s_wait_xcnt 0x0
	v_mov_b32_e32 v3, 0
	s_cmp_lt_i32 s3, 11
	s_delay_alu instid0(VALU_DEP_1)
	v_add_nc_u64_e32 v[2:3], s[4:5], v[2:3]
	s_cbranch_scc1 .LBB159_2108
; %bb.2031:
	s_mov_b32 s12, -1
	s_mov_b32 s7, 0
	s_cmp_gt_i32 s3, 25
	s_mov_b32 s10, 0
	s_mov_b32 s0, 0
	s_cbranch_scc0 .LBB159_2064
; %bb.2032:
	s_cmp_gt_i32 s3, 28
	s_cbranch_scc0 .LBB159_2047
; %bb.2033:
	s_cmp_gt_i32 s3, 43
	;; [unrolled: 3-line block ×3, first 2 shown]
	s_cbranch_scc0 .LBB159_2037
; %bb.2035:
	s_mov_b32 s0, -1
	s_mov_b32 s12, 0
	s_cmp_eq_u32 s3, 46
	s_cbranch_scc0 .LBB159_2037
; %bb.2036:
	s_wait_loadcnt 0x0
	v_cndmask_b32_e64 v1, 0, 1.0, s11
	s_mov_b32 s0, 0
	s_mov_b32 s10, -1
	s_delay_alu instid0(VALU_DEP_1) | instskip(NEXT) | instid1(VALU_DEP_1)
	v_bfe_u32 v4, v1, 16, 1
	v_add3_u32 v1, v1, v4, 0x7fff
	s_delay_alu instid0(VALU_DEP_1)
	v_lshrrev_b32_e32 v1, 16, v1
	global_store_b32 v[2:3], v1, off
.LBB159_2037:
	s_and_b32 vcc_lo, exec_lo, s12
	s_cbranch_vccz .LBB159_2042
; %bb.2038:
	s_cmp_eq_u32 s3, 44
	s_mov_b32 s0, -1
	s_cbranch_scc0 .LBB159_2042
; %bb.2039:
	v_cndmask_b32_e64 v5, 0, 1.0, s11
	s_mov_b32 s10, exec_lo
	s_wait_loadcnt 0x0
	s_delay_alu instid0(VALU_DEP_1) | instskip(NEXT) | instid1(VALU_DEP_1)
	v_dual_mov_b32 v4, 0xff :: v_dual_lshrrev_b32 v1, 23, v5
	v_cmpx_ne_u32_e32 0xff, v1
; %bb.2040:
	v_and_b32_e32 v4, 0x400000, v5
	v_and_or_b32 v5, 0x3fffff, v5, v1
	s_delay_alu instid0(VALU_DEP_2) | instskip(NEXT) | instid1(VALU_DEP_2)
	v_cmp_ne_u32_e32 vcc_lo, 0, v4
	v_cmp_ne_u32_e64 s0, 0, v5
	s_and_b32 s0, vcc_lo, s0
	s_delay_alu instid0(SALU_CYCLE_1) | instskip(NEXT) | instid1(VALU_DEP_1)
	v_cndmask_b32_e64 v4, 0, 1, s0
	v_add_nc_u32_e32 v4, v1, v4
; %bb.2041:
	s_or_b32 exec_lo, exec_lo, s10
	s_mov_b32 s0, 0
	s_mov_b32 s10, -1
	global_store_b8 v[2:3], v4, off
.LBB159_2042:
	s_mov_b32 s12, 0
.LBB159_2043:
	s_delay_alu instid0(SALU_CYCLE_1)
	s_and_b32 vcc_lo, exec_lo, s12
	s_cbranch_vccz .LBB159_2046
; %bb.2044:
	s_cmp_eq_u32 s3, 29
	s_mov_b32 s0, -1
	s_cbranch_scc0 .LBB159_2046
; %bb.2045:
	s_mov_b32 s0, 0
	s_wait_xcnt 0x0
	v_cndmask_b32_e64 v4, 0, 1, s11
	v_mov_b32_e32 v5, s0
	s_mov_b32 s10, -1
	global_store_b64 v[2:3], v[4:5], off
.LBB159_2046:
	s_mov_b32 s12, 0
.LBB159_2047:
	s_delay_alu instid0(SALU_CYCLE_1)
	s_and_b32 vcc_lo, exec_lo, s12
	s_cbranch_vccz .LBB159_2063
; %bb.2048:
	s_cmp_lt_i32 s3, 27
	s_mov_b32 s10, -1
	s_cbranch_scc1 .LBB159_2054
; %bb.2049:
	s_cmp_gt_i32 s3, 27
	s_cbranch_scc0 .LBB159_2051
; %bb.2050:
	s_wait_loadcnt 0x0
	v_cndmask_b32_e64 v1, 0, 1, s11
	s_mov_b32 s10, 0
	global_store_b32 v[2:3], v1, off
.LBB159_2051:
	s_and_not1_b32 vcc_lo, exec_lo, s10
	s_cbranch_vccnz .LBB159_2053
; %bb.2052:
	s_wait_loadcnt 0x0
	v_cndmask_b32_e64 v1, 0, 1, s11
	global_store_b16 v[2:3], v1, off
.LBB159_2053:
	s_mov_b32 s10, 0
.LBB159_2054:
	s_delay_alu instid0(SALU_CYCLE_1)
	s_and_not1_b32 vcc_lo, exec_lo, s10
	s_cbranch_vccnz .LBB159_2062
; %bb.2055:
	s_wait_xcnt 0x0
	v_cndmask_b32_e64 v4, 0, 1.0, s11
	v_mov_b32_e32 v5, 0x80
	s_mov_b32 s10, exec_lo
	s_delay_alu instid0(VALU_DEP_2)
	v_cmpx_gt_u32_e32 0x43800000, v4
	s_cbranch_execz .LBB159_2061
; %bb.2056:
	s_mov_b32 s12, 0
	s_mov_b32 s13, exec_lo
                                        ; implicit-def: $vgpr1
	v_cmpx_lt_u32_e32 0x3bffffff, v4
	s_xor_b32 s13, exec_lo, s13
	s_cbranch_execz .LBB159_2237
; %bb.2057:
	s_wait_loadcnt 0x0
	v_bfe_u32 v1, v4, 20, 1
	s_mov_b32 s12, exec_lo
	s_delay_alu instid0(VALU_DEP_1) | instskip(NEXT) | instid1(VALU_DEP_1)
	v_add3_u32 v1, v4, v1, 0x487ffff
                                        ; implicit-def: $vgpr4
	v_lshrrev_b32_e32 v1, 20, v1
	s_and_not1_saveexec_b32 s13, s13
	s_cbranch_execnz .LBB159_2238
.LBB159_2058:
	s_or_b32 exec_lo, exec_lo, s13
	v_mov_b32_e32 v5, 0
	s_and_saveexec_b32 s13, s12
	s_cbranch_execz .LBB159_2060
.LBB159_2059:
	s_wait_loadcnt 0x0
	v_mov_b32_e32 v5, v1
.LBB159_2060:
	s_or_b32 exec_lo, exec_lo, s13
.LBB159_2061:
	s_delay_alu instid0(SALU_CYCLE_1)
	s_or_b32 exec_lo, exec_lo, s10
	global_store_b8 v[2:3], v5, off
.LBB159_2062:
	s_mov_b32 s10, -1
.LBB159_2063:
	s_mov_b32 s12, 0
.LBB159_2064:
	s_delay_alu instid0(SALU_CYCLE_1)
	s_and_b32 vcc_lo, exec_lo, s12
	s_cbranch_vccz .LBB159_2104
; %bb.2065:
	s_cmp_gt_i32 s3, 22
	s_mov_b32 s7, -1
	s_cbranch_scc0 .LBB159_2097
; %bb.2066:
	s_cmp_lt_i32 s3, 24
	s_cbranch_scc1 .LBB159_2086
; %bb.2067:
	s_cmp_gt_i32 s3, 24
	s_cbranch_scc0 .LBB159_2075
; %bb.2068:
	s_wait_xcnt 0x0
	v_cndmask_b32_e64 v4, 0, 1.0, s11
	v_mov_b32_e32 v5, 0x80
	s_mov_b32 s7, exec_lo
	s_delay_alu instid0(VALU_DEP_2)
	v_cmpx_gt_u32_e32 0x47800000, v4
	s_cbranch_execz .LBB159_2074
; %bb.2069:
	s_mov_b32 s10, 0
	s_mov_b32 s12, exec_lo
                                        ; implicit-def: $vgpr1
	v_cmpx_lt_u32_e32 0x37ffffff, v4
	s_xor_b32 s12, exec_lo, s12
	s_cbranch_execz .LBB159_2240
; %bb.2070:
	s_wait_loadcnt 0x0
	v_bfe_u32 v1, v4, 21, 1
	s_mov_b32 s10, exec_lo
	s_delay_alu instid0(VALU_DEP_1) | instskip(NEXT) | instid1(VALU_DEP_1)
	v_add3_u32 v1, v4, v1, 0x88fffff
                                        ; implicit-def: $vgpr4
	v_lshrrev_b32_e32 v1, 21, v1
	s_and_not1_saveexec_b32 s12, s12
	s_cbranch_execnz .LBB159_2241
.LBB159_2071:
	s_or_b32 exec_lo, exec_lo, s12
	v_mov_b32_e32 v5, 0
	s_and_saveexec_b32 s12, s10
	s_cbranch_execz .LBB159_2073
.LBB159_2072:
	s_wait_loadcnt 0x0
	v_mov_b32_e32 v5, v1
.LBB159_2073:
	s_or_b32 exec_lo, exec_lo, s12
.LBB159_2074:
	s_delay_alu instid0(SALU_CYCLE_1)
	s_or_b32 exec_lo, exec_lo, s7
	s_mov_b32 s7, 0
	global_store_b8 v[2:3], v5, off
.LBB159_2075:
	s_and_b32 vcc_lo, exec_lo, s7
	s_cbranch_vccz .LBB159_2085
; %bb.2076:
	s_wait_xcnt 0x0
	v_cndmask_b32_e64 v4, 0, 1.0, s11
	s_mov_b32 s7, exec_lo
                                        ; implicit-def: $vgpr1
	s_delay_alu instid0(VALU_DEP_1)
	v_cmpx_gt_u32_e32 0x43f00000, v4
	s_xor_b32 s7, exec_lo, s7
	s_cbranch_execz .LBB159_2082
; %bb.2077:
	s_mov_b32 s10, exec_lo
                                        ; implicit-def: $vgpr1
	v_cmpx_lt_u32_e32 0x3c7fffff, v4
	s_xor_b32 s10, exec_lo, s10
	s_cbranch_execz .LBB159_2079
; %bb.2078:
	s_wait_loadcnt 0x0
	v_bfe_u32 v1, v4, 20, 1
	s_delay_alu instid0(VALU_DEP_1) | instskip(NEXT) | instid1(VALU_DEP_1)
	v_add3_u32 v1, v4, v1, 0x407ffff
	v_and_b32_e32 v4, 0xff00000, v1
	v_lshrrev_b32_e32 v1, 20, v1
	s_delay_alu instid0(VALU_DEP_2) | instskip(NEXT) | instid1(VALU_DEP_2)
	v_cmp_ne_u32_e32 vcc_lo, 0x7f00000, v4
                                        ; implicit-def: $vgpr4
	v_cndmask_b32_e32 v1, 0x7e, v1, vcc_lo
.LBB159_2079:
	s_and_not1_saveexec_b32 s10, s10
	s_cbranch_execz .LBB159_2081
; %bb.2080:
	s_wait_loadcnt 0x0
	v_add_f32_e32 v1, 0x46800000, v4
.LBB159_2081:
	s_or_b32 exec_lo, exec_lo, s10
                                        ; implicit-def: $vgpr4
.LBB159_2082:
	s_and_not1_saveexec_b32 s7, s7
	s_cbranch_execz .LBB159_2084
; %bb.2083:
	s_wait_loadcnt 0x0
	v_mov_b32_e32 v1, 0x7f
	v_cmp_lt_u32_e32 vcc_lo, 0x7f800000, v4
	s_delay_alu instid0(VALU_DEP_2)
	v_cndmask_b32_e32 v1, 0x7e, v1, vcc_lo
.LBB159_2084:
	s_or_b32 exec_lo, exec_lo, s7
	s_wait_loadcnt 0x0
	global_store_b8 v[2:3], v1, off
.LBB159_2085:
	s_mov_b32 s7, 0
.LBB159_2086:
	s_delay_alu instid0(SALU_CYCLE_1)
	s_and_not1_b32 vcc_lo, exec_lo, s7
	s_cbranch_vccnz .LBB159_2096
; %bb.2087:
	s_wait_xcnt 0x0
	v_cndmask_b32_e64 v4, 0, 1.0, s11
	s_mov_b32 s7, exec_lo
                                        ; implicit-def: $vgpr1
	s_delay_alu instid0(VALU_DEP_1)
	v_cmpx_gt_u32_e32 0x47800000, v4
	s_xor_b32 s7, exec_lo, s7
	s_cbranch_execz .LBB159_2093
; %bb.2088:
	s_mov_b32 s10, exec_lo
                                        ; implicit-def: $vgpr1
	v_cmpx_lt_u32_e32 0x387fffff, v4
	s_xor_b32 s10, exec_lo, s10
	s_cbranch_execz .LBB159_2090
; %bb.2089:
	s_wait_loadcnt 0x0
	v_bfe_u32 v1, v4, 21, 1
	s_delay_alu instid0(VALU_DEP_1) | instskip(NEXT) | instid1(VALU_DEP_1)
	v_add3_u32 v1, v4, v1, 0x80fffff
                                        ; implicit-def: $vgpr4
	v_lshrrev_b32_e32 v1, 21, v1
.LBB159_2090:
	s_and_not1_saveexec_b32 s10, s10
	s_cbranch_execz .LBB159_2092
; %bb.2091:
	s_wait_loadcnt 0x0
	v_add_f32_e32 v1, 0x43000000, v4
.LBB159_2092:
	s_or_b32 exec_lo, exec_lo, s10
                                        ; implicit-def: $vgpr4
.LBB159_2093:
	s_and_not1_saveexec_b32 s7, s7
	s_cbranch_execz .LBB159_2095
; %bb.2094:
	s_wait_loadcnt 0x0
	v_mov_b32_e32 v1, 0x7f
	v_cmp_lt_u32_e32 vcc_lo, 0x7f800000, v4
	s_delay_alu instid0(VALU_DEP_2)
	v_cndmask_b32_e32 v1, 0x7c, v1, vcc_lo
.LBB159_2095:
	s_or_b32 exec_lo, exec_lo, s7
	s_wait_loadcnt 0x0
	global_store_b8 v[2:3], v1, off
.LBB159_2096:
	s_mov_b32 s7, 0
	s_mov_b32 s10, -1
.LBB159_2097:
	s_and_not1_b32 vcc_lo, exec_lo, s7
	s_mov_b32 s7, 0
	s_cbranch_vccnz .LBB159_2104
; %bb.2098:
	s_cmp_gt_i32 s3, 14
	s_mov_b32 s7, -1
	s_cbranch_scc0 .LBB159_2102
; %bb.2099:
	s_cmp_eq_u32 s3, 15
	s_mov_b32 s0, -1
	s_cbranch_scc0 .LBB159_2101
; %bb.2100:
	s_wait_loadcnt 0x0
	v_cndmask_b32_e64 v1, 0, 1.0, s11
	s_mov_b32 s0, 0
	s_mov_b32 s10, -1
	s_delay_alu instid0(VALU_DEP_1) | instskip(NEXT) | instid1(VALU_DEP_1)
	v_bfe_u32 v4, v1, 16, 1
	v_add3_u32 v1, v1, v4, 0x7fff
	global_store_d16_hi_b16 v[2:3], v1, off
.LBB159_2101:
	s_mov_b32 s7, 0
.LBB159_2102:
	s_delay_alu instid0(SALU_CYCLE_1)
	s_and_b32 vcc_lo, exec_lo, s7
	s_mov_b32 s7, 0
	s_cbranch_vccz .LBB159_2104
; %bb.2103:
	s_cmp_lg_u32 s3, 11
	s_mov_b32 s7, -1
	s_cselect_b32 s0, -1, 0
.LBB159_2104:
	s_delay_alu instid0(SALU_CYCLE_1)
	s_and_b32 vcc_lo, exec_lo, s0
	s_cbranch_vccnz .LBB159_2239
; %bb.2105:
	s_and_not1_b32 vcc_lo, exec_lo, s7
	s_cbranch_vccnz .LBB159_2107
.LBB159_2106:
	s_wait_loadcnt 0x0
	v_cndmask_b32_e64 v1, 0, 1, s11
	s_mov_b32 s10, -1
	global_store_b8 v[2:3], v1, off
.LBB159_2107:
	s_mov_b32 s0, 0
	s_branch .LBB159_2109
.LBB159_2108:
	s_mov_b32 s0, -1
	s_mov_b32 s10, 0
.LBB159_2109:
	s_and_b32 vcc_lo, exec_lo, s0
	s_cbranch_vccz .LBB159_2148
; %bb.2110:
	s_cmp_lt_i32 s3, 5
	s_mov_b32 s0, -1
	s_cbranch_scc1 .LBB159_2131
; %bb.2111:
	s_cmp_lt_i32 s3, 8
	s_cbranch_scc1 .LBB159_2121
; %bb.2112:
	s_cmp_lt_i32 s3, 9
	s_cbranch_scc1 .LBB159_2118
; %bb.2113:
	s_cmp_gt_i32 s3, 9
	s_cbranch_scc0 .LBB159_2115
; %bb.2114:
	s_wait_loadcnt 0x0
	v_cndmask_b32_e64 v1, 0, 1, s11
	v_mov_b32_e32 v6, 0
	s_mov_b32 s0, 0
	s_delay_alu instid0(VALU_DEP_2) | instskip(NEXT) | instid1(VALU_DEP_2)
	v_cvt_f64_u32_e32 v[4:5], v1
	v_mov_b32_e32 v7, v6
	global_store_b128 v[2:3], v[4:7], off
.LBB159_2115:
	s_and_not1_b32 vcc_lo, exec_lo, s0
	s_cbranch_vccnz .LBB159_2117
; %bb.2116:
	s_wait_xcnt 0x0
	v_cndmask_b32_e64 v4, 0, 1.0, s11
	v_mov_b32_e32 v5, 0
	global_store_b64 v[2:3], v[4:5], off
.LBB159_2117:
	s_mov_b32 s0, 0
.LBB159_2118:
	s_delay_alu instid0(SALU_CYCLE_1)
	s_and_not1_b32 vcc_lo, exec_lo, s0
	s_cbranch_vccnz .LBB159_2120
; %bb.2119:
	s_wait_loadcnt 0x0
	v_cndmask_b32_e64 v1, 0, 1.0, s11
	s_delay_alu instid0(VALU_DEP_1) | instskip(NEXT) | instid1(VALU_DEP_1)
	v_cvt_f16_f32_e32 v1, v1
	v_and_b32_e32 v1, 0xffff, v1
	global_store_b32 v[2:3], v1, off
.LBB159_2120:
	s_mov_b32 s0, 0
.LBB159_2121:
	s_delay_alu instid0(SALU_CYCLE_1)
	s_and_not1_b32 vcc_lo, exec_lo, s0
	s_cbranch_vccnz .LBB159_2130
; %bb.2122:
	s_cmp_lt_i32 s3, 6
	s_mov_b32 s0, -1
	s_cbranch_scc1 .LBB159_2128
; %bb.2123:
	s_cmp_gt_i32 s3, 6
	s_cbranch_scc0 .LBB159_2125
; %bb.2124:
	s_wait_loadcnt 0x0
	v_cndmask_b32_e64 v1, 0, 1, s11
	s_mov_b32 s0, 0
	s_delay_alu instid0(VALU_DEP_1)
	v_cvt_f64_u32_e32 v[4:5], v1
	global_store_b64 v[2:3], v[4:5], off
.LBB159_2125:
	s_and_not1_b32 vcc_lo, exec_lo, s0
	s_cbranch_vccnz .LBB159_2127
; %bb.2126:
	s_wait_loadcnt 0x0
	v_cndmask_b32_e64 v1, 0, 1.0, s11
	global_store_b32 v[2:3], v1, off
.LBB159_2127:
	s_mov_b32 s0, 0
.LBB159_2128:
	s_delay_alu instid0(SALU_CYCLE_1)
	s_and_not1_b32 vcc_lo, exec_lo, s0
	s_cbranch_vccnz .LBB159_2130
; %bb.2129:
	s_wait_loadcnt 0x0
	v_cndmask_b32_e64 v1, 0, 1.0, s11
	s_delay_alu instid0(VALU_DEP_1)
	v_cvt_f16_f32_e32 v1, v1
	global_store_b16 v[2:3], v1, off
.LBB159_2130:
	s_mov_b32 s0, 0
.LBB159_2131:
	s_delay_alu instid0(SALU_CYCLE_1)
	s_and_not1_b32 vcc_lo, exec_lo, s0
	s_cbranch_vccnz .LBB159_2147
; %bb.2132:
	s_cmp_lt_i32 s3, 2
	s_mov_b32 s0, -1
	s_cbranch_scc1 .LBB159_2142
; %bb.2133:
	s_cmp_lt_i32 s3, 3
	s_cbranch_scc1 .LBB159_2139
; %bb.2134:
	s_cmp_gt_i32 s3, 3
	s_cbranch_scc0 .LBB159_2136
; %bb.2135:
	s_mov_b32 s0, 0
	s_wait_xcnt 0x0
	v_cndmask_b32_e64 v4, 0, 1, s11
	v_mov_b32_e32 v5, s0
	global_store_b64 v[2:3], v[4:5], off
.LBB159_2136:
	s_and_not1_b32 vcc_lo, exec_lo, s0
	s_cbranch_vccnz .LBB159_2138
; %bb.2137:
	s_wait_loadcnt 0x0
	v_cndmask_b32_e64 v1, 0, 1, s11
	global_store_b32 v[2:3], v1, off
.LBB159_2138:
	s_mov_b32 s0, 0
.LBB159_2139:
	s_delay_alu instid0(SALU_CYCLE_1)
	s_and_not1_b32 vcc_lo, exec_lo, s0
	s_cbranch_vccnz .LBB159_2141
; %bb.2140:
	s_wait_loadcnt 0x0
	v_cndmask_b32_e64 v1, 0, 1, s11
	global_store_b16 v[2:3], v1, off
.LBB159_2141:
	s_mov_b32 s0, 0
.LBB159_2142:
	s_delay_alu instid0(SALU_CYCLE_1)
	s_and_not1_b32 vcc_lo, exec_lo, s0
	s_cbranch_vccnz .LBB159_2147
; %bb.2143:
	s_cmp_gt_i32 s3, 0
	s_mov_b32 s0, -1
	s_cbranch_scc0 .LBB159_2145
; %bb.2144:
	s_wait_loadcnt 0x0
	v_cndmask_b32_e64 v1, 0, 1, s11
	s_mov_b32 s0, 0
	global_store_b8 v[2:3], v1, off
.LBB159_2145:
	s_and_not1_b32 vcc_lo, exec_lo, s0
	s_cbranch_vccnz .LBB159_2147
; %bb.2146:
	s_wait_loadcnt 0x0
	v_cndmask_b32_e64 v1, 0, 1, s11
	global_store_b8 v[2:3], v1, off
.LBB159_2147:
	s_mov_b32 s10, -1
.LBB159_2148:
	s_delay_alu instid0(SALU_CYCLE_1)
	s_and_not1_b32 vcc_lo, exec_lo, s10
	s_cbranch_vccnz .LBB159_2225
; %bb.2149:
	s_wait_loadcnt 0x0
	v_mov_b32_e32 v1, 0
	s_cmp_lt_i32 s3, 11
	s_delay_alu instid0(VALU_DEP_1)
	v_add_nc_u64_e32 v[2:3], s[4:5], v[0:1]
	s_cbranch_scc1 .LBB159_2226
; %bb.2150:
	s_mov_b32 s5, -1
	s_mov_b32 s4, 0
	s_cmp_gt_i32 s3, 25
	s_mov_b32 s0, 0
	s_cbranch_scc0 .LBB159_2183
; %bb.2151:
	s_cmp_gt_i32 s3, 28
	s_cbranch_scc0 .LBB159_2167
; %bb.2152:
	s_cmp_gt_i32 s3, 43
	;; [unrolled: 3-line block ×3, first 2 shown]
	s_cbranch_scc0 .LBB159_2157
; %bb.2154:
	s_cmp_eq_u32 s3, 46
	s_mov_b32 s0, -1
	s_cbranch_scc0 .LBB159_2156
; %bb.2155:
	v_cndmask_b32_e64 v0, 0, 1.0, s6
	s_mov_b32 s0, 0
	s_delay_alu instid0(VALU_DEP_1) | instskip(NEXT) | instid1(VALU_DEP_1)
	v_bfe_u32 v1, v0, 16, 1
	v_add3_u32 v0, v0, v1, 0x7fff
	s_delay_alu instid0(VALU_DEP_1)
	v_lshrrev_b32_e32 v0, 16, v0
	global_store_b32 v[2:3], v0, off
.LBB159_2156:
	s_mov_b32 s5, 0
.LBB159_2157:
	s_delay_alu instid0(SALU_CYCLE_1)
	s_and_b32 vcc_lo, exec_lo, s5
	s_cbranch_vccz .LBB159_2162
; %bb.2158:
	s_cmp_eq_u32 s3, 44
	s_mov_b32 s0, -1
	s_cbranch_scc0 .LBB159_2162
; %bb.2159:
	v_cndmask_b32_e64 v4, 0, 1.0, s6
	s_mov_b32 s5, exec_lo
	s_wait_xcnt 0x0
	s_delay_alu instid0(VALU_DEP_1) | instskip(NEXT) | instid1(VALU_DEP_1)
	v_dual_mov_b32 v1, 0xff :: v_dual_lshrrev_b32 v0, 23, v4
	v_cmpx_ne_u32_e32 0xff, v0
; %bb.2160:
	v_and_b32_e32 v1, 0x400000, v4
	v_and_or_b32 v4, 0x3fffff, v4, v0
	s_delay_alu instid0(VALU_DEP_2) | instskip(NEXT) | instid1(VALU_DEP_2)
	v_cmp_ne_u32_e32 vcc_lo, 0, v1
	v_cmp_ne_u32_e64 s0, 0, v4
	s_and_b32 s0, vcc_lo, s0
	s_delay_alu instid0(SALU_CYCLE_1) | instskip(NEXT) | instid1(VALU_DEP_1)
	v_cndmask_b32_e64 v1, 0, 1, s0
	v_add_nc_u32_e32 v1, v0, v1
; %bb.2161:
	s_or_b32 exec_lo, exec_lo, s5
	s_mov_b32 s0, 0
	global_store_b8 v[2:3], v1, off
.LBB159_2162:
	s_mov_b32 s5, 0
.LBB159_2163:
	s_delay_alu instid0(SALU_CYCLE_1)
	s_and_b32 vcc_lo, exec_lo, s5
	s_cbranch_vccz .LBB159_2166
; %bb.2164:
	s_cmp_eq_u32 s3, 29
	s_mov_b32 s0, -1
	s_cbranch_scc0 .LBB159_2166
; %bb.2165:
	s_mov_b32 s0, 0
	s_wait_xcnt 0x0
	v_cndmask_b32_e64 v0, 0, 1, s6
	v_mov_b32_e32 v1, s0
	global_store_b64 v[2:3], v[0:1], off
.LBB159_2166:
	s_mov_b32 s5, 0
.LBB159_2167:
	s_delay_alu instid0(SALU_CYCLE_1)
	s_and_b32 vcc_lo, exec_lo, s5
	s_cbranch_vccz .LBB159_2182
; %bb.2168:
	s_cmp_lt_i32 s3, 27
	s_mov_b32 s5, -1
	s_cbranch_scc1 .LBB159_2174
; %bb.2169:
	s_cmp_gt_i32 s3, 27
	s_cbranch_scc0 .LBB159_2171
; %bb.2170:
	s_wait_xcnt 0x0
	v_cndmask_b32_e64 v0, 0, 1, s6
	s_mov_b32 s5, 0
	global_store_b32 v[2:3], v0, off
.LBB159_2171:
	s_and_not1_b32 vcc_lo, exec_lo, s5
	s_cbranch_vccnz .LBB159_2173
; %bb.2172:
	s_wait_xcnt 0x0
	v_cndmask_b32_e64 v0, 0, 1, s6
	global_store_b16 v[2:3], v0, off
.LBB159_2173:
	s_mov_b32 s5, 0
.LBB159_2174:
	s_delay_alu instid0(SALU_CYCLE_1)
	s_and_not1_b32 vcc_lo, exec_lo, s5
	s_cbranch_vccnz .LBB159_2182
; %bb.2175:
	s_wait_xcnt 0x0
	v_cndmask_b32_e64 v1, 0, 1.0, s6
	v_mov_b32_e32 v4, 0x80
	s_mov_b32 s5, exec_lo
	s_delay_alu instid0(VALU_DEP_2)
	v_cmpx_gt_u32_e32 0x43800000, v1
	s_cbranch_execz .LBB159_2181
; %bb.2176:
	s_mov_b32 s7, 0
	s_mov_b32 s10, exec_lo
                                        ; implicit-def: $vgpr0
	v_cmpx_lt_u32_e32 0x3bffffff, v1
	s_xor_b32 s10, exec_lo, s10
	s_cbranch_execz .LBB159_2242
; %bb.2177:
	v_bfe_u32 v0, v1, 20, 1
	s_mov_b32 s7, exec_lo
	s_delay_alu instid0(VALU_DEP_1) | instskip(NEXT) | instid1(VALU_DEP_1)
	v_add3_u32 v0, v1, v0, 0x487ffff
                                        ; implicit-def: $vgpr1
	v_lshrrev_b32_e32 v0, 20, v0
	s_and_not1_saveexec_b32 s10, s10
	s_cbranch_execnz .LBB159_2243
.LBB159_2178:
	s_or_b32 exec_lo, exec_lo, s10
	v_mov_b32_e32 v4, 0
	s_and_saveexec_b32 s10, s7
.LBB159_2179:
	v_mov_b32_e32 v4, v0
.LBB159_2180:
	s_or_b32 exec_lo, exec_lo, s10
.LBB159_2181:
	s_delay_alu instid0(SALU_CYCLE_1)
	s_or_b32 exec_lo, exec_lo, s5
	global_store_b8 v[2:3], v4, off
.LBB159_2182:
	s_mov_b32 s5, 0
.LBB159_2183:
	s_delay_alu instid0(SALU_CYCLE_1)
	s_and_b32 vcc_lo, exec_lo, s5
	s_cbranch_vccz .LBB159_2223
; %bb.2184:
	s_cmp_gt_i32 s3, 22
	s_mov_b32 s4, -1
	s_cbranch_scc0 .LBB159_2216
; %bb.2185:
	s_cmp_lt_i32 s3, 24
	s_cbranch_scc1 .LBB159_2205
; %bb.2186:
	s_cmp_gt_i32 s3, 24
	s_cbranch_scc0 .LBB159_2194
; %bb.2187:
	s_wait_xcnt 0x0
	v_cndmask_b32_e64 v1, 0, 1.0, s6
	v_mov_b32_e32 v4, 0x80
	s_mov_b32 s4, exec_lo
	s_delay_alu instid0(VALU_DEP_2)
	v_cmpx_gt_u32_e32 0x47800000, v1
	s_cbranch_execz .LBB159_2193
; %bb.2188:
	s_mov_b32 s5, 0
	s_mov_b32 s7, exec_lo
                                        ; implicit-def: $vgpr0
	v_cmpx_lt_u32_e32 0x37ffffff, v1
	s_xor_b32 s7, exec_lo, s7
	s_cbranch_execz .LBB159_2245
; %bb.2189:
	v_bfe_u32 v0, v1, 21, 1
	s_mov_b32 s5, exec_lo
	s_delay_alu instid0(VALU_DEP_1) | instskip(NEXT) | instid1(VALU_DEP_1)
	v_add3_u32 v0, v1, v0, 0x88fffff
                                        ; implicit-def: $vgpr1
	v_lshrrev_b32_e32 v0, 21, v0
	s_and_not1_saveexec_b32 s7, s7
	s_cbranch_execnz .LBB159_2246
.LBB159_2190:
	s_or_b32 exec_lo, exec_lo, s7
	v_mov_b32_e32 v4, 0
	s_and_saveexec_b32 s7, s5
.LBB159_2191:
	v_mov_b32_e32 v4, v0
.LBB159_2192:
	s_or_b32 exec_lo, exec_lo, s7
.LBB159_2193:
	s_delay_alu instid0(SALU_CYCLE_1)
	s_or_b32 exec_lo, exec_lo, s4
	s_mov_b32 s4, 0
	global_store_b8 v[2:3], v4, off
.LBB159_2194:
	s_and_b32 vcc_lo, exec_lo, s4
	s_cbranch_vccz .LBB159_2204
; %bb.2195:
	s_wait_xcnt 0x0
	v_cndmask_b32_e64 v1, 0, 1.0, s6
	s_mov_b32 s4, exec_lo
                                        ; implicit-def: $vgpr0
	s_delay_alu instid0(VALU_DEP_1)
	v_cmpx_gt_u32_e32 0x43f00000, v1
	s_xor_b32 s4, exec_lo, s4
	s_cbranch_execz .LBB159_2201
; %bb.2196:
	s_mov_b32 s5, exec_lo
                                        ; implicit-def: $vgpr0
	v_cmpx_lt_u32_e32 0x3c7fffff, v1
	s_xor_b32 s5, exec_lo, s5
; %bb.2197:
	v_bfe_u32 v0, v1, 20, 1
	s_delay_alu instid0(VALU_DEP_1) | instskip(NEXT) | instid1(VALU_DEP_1)
	v_add3_u32 v0, v1, v0, 0x407ffff
	v_and_b32_e32 v1, 0xff00000, v0
	v_lshrrev_b32_e32 v0, 20, v0
	s_delay_alu instid0(VALU_DEP_2) | instskip(NEXT) | instid1(VALU_DEP_2)
	v_cmp_ne_u32_e32 vcc_lo, 0x7f00000, v1
                                        ; implicit-def: $vgpr1
	v_cndmask_b32_e32 v0, 0x7e, v0, vcc_lo
; %bb.2198:
	s_and_not1_saveexec_b32 s5, s5
; %bb.2199:
	v_add_f32_e32 v0, 0x46800000, v1
; %bb.2200:
	s_or_b32 exec_lo, exec_lo, s5
                                        ; implicit-def: $vgpr1
.LBB159_2201:
	s_and_not1_saveexec_b32 s4, s4
; %bb.2202:
	v_mov_b32_e32 v0, 0x7f
	v_cmp_lt_u32_e32 vcc_lo, 0x7f800000, v1
	s_delay_alu instid0(VALU_DEP_2)
	v_cndmask_b32_e32 v0, 0x7e, v0, vcc_lo
; %bb.2203:
	s_or_b32 exec_lo, exec_lo, s4
	global_store_b8 v[2:3], v0, off
.LBB159_2204:
	s_mov_b32 s4, 0
.LBB159_2205:
	s_delay_alu instid0(SALU_CYCLE_1)
	s_and_not1_b32 vcc_lo, exec_lo, s4
	s_cbranch_vccnz .LBB159_2215
; %bb.2206:
	s_wait_xcnt 0x0
	v_cndmask_b32_e64 v1, 0, 1.0, s6
	s_mov_b32 s4, exec_lo
                                        ; implicit-def: $vgpr0
	s_delay_alu instid0(VALU_DEP_1)
	v_cmpx_gt_u32_e32 0x47800000, v1
	s_xor_b32 s4, exec_lo, s4
	s_cbranch_execz .LBB159_2212
; %bb.2207:
	s_mov_b32 s5, exec_lo
                                        ; implicit-def: $vgpr0
	v_cmpx_lt_u32_e32 0x387fffff, v1
	s_xor_b32 s5, exec_lo, s5
; %bb.2208:
	v_bfe_u32 v0, v1, 21, 1
	s_delay_alu instid0(VALU_DEP_1) | instskip(NEXT) | instid1(VALU_DEP_1)
	v_add3_u32 v0, v1, v0, 0x80fffff
                                        ; implicit-def: $vgpr1
	v_lshrrev_b32_e32 v0, 21, v0
; %bb.2209:
	s_and_not1_saveexec_b32 s5, s5
; %bb.2210:
	v_add_f32_e32 v0, 0x43000000, v1
; %bb.2211:
	s_or_b32 exec_lo, exec_lo, s5
                                        ; implicit-def: $vgpr1
.LBB159_2212:
	s_and_not1_saveexec_b32 s4, s4
; %bb.2213:
	v_mov_b32_e32 v0, 0x7f
	v_cmp_lt_u32_e32 vcc_lo, 0x7f800000, v1
	s_delay_alu instid0(VALU_DEP_2)
	v_cndmask_b32_e32 v0, 0x7c, v0, vcc_lo
; %bb.2214:
	s_or_b32 exec_lo, exec_lo, s4
	global_store_b8 v[2:3], v0, off
.LBB159_2215:
	s_mov_b32 s4, 0
.LBB159_2216:
	s_delay_alu instid0(SALU_CYCLE_1)
	s_and_not1_b32 vcc_lo, exec_lo, s4
	s_mov_b32 s4, 0
	s_cbranch_vccnz .LBB159_2223
; %bb.2217:
	s_cmp_gt_i32 s3, 14
	s_mov_b32 s4, -1
	s_cbranch_scc0 .LBB159_2221
; %bb.2218:
	s_cmp_eq_u32 s3, 15
	s_mov_b32 s0, -1
	s_cbranch_scc0 .LBB159_2220
; %bb.2219:
	s_wait_xcnt 0x0
	v_cndmask_b32_e64 v0, 0, 1.0, s6
	s_mov_b32 s0, 0
	s_delay_alu instid0(VALU_DEP_1) | instskip(NEXT) | instid1(VALU_DEP_1)
	v_bfe_u32 v1, v0, 16, 1
	v_add3_u32 v0, v0, v1, 0x7fff
	global_store_d16_hi_b16 v[2:3], v0, off
.LBB159_2220:
	s_mov_b32 s4, 0
.LBB159_2221:
	s_delay_alu instid0(SALU_CYCLE_1)
	s_and_b32 vcc_lo, exec_lo, s4
	s_mov_b32 s4, 0
	s_cbranch_vccz .LBB159_2223
; %bb.2222:
	s_cmp_lg_u32 s3, 11
	s_mov_b32 s4, -1
	s_cselect_b32 s0, -1, 0
.LBB159_2223:
	s_delay_alu instid0(SALU_CYCLE_1)
	s_and_b32 vcc_lo, exec_lo, s0
	s_cbranch_vccnz .LBB159_2244
.LBB159_2224:
	s_mov_b32 s0, 0
	s_branch .LBB159_1745
.LBB159_2225:
	s_mov_b32 s0, 0
	s_mov_b32 s4, 0
	s_branch .LBB159_1744
.LBB159_2226:
	s_mov_b32 s4, 0
	s_mov_b32 s0, -1
	s_branch .LBB159_1745
.LBB159_2227:
	s_and_not1_saveexec_b32 s15, s15
	s_cbranch_execz .LBB159_1820
.LBB159_2228:
	s_wait_loadcnt 0x0
	v_add_f32_e32 v1, 0x46000000, v3
	s_and_not1_b32 s14, s14, exec_lo
	s_delay_alu instid0(VALU_DEP_1) | instskip(NEXT) | instid1(VALU_DEP_1)
	v_and_b32_e32 v1, 0xff, v1
	v_cmp_ne_u32_e32 vcc_lo, 0, v1
	s_and_b32 s16, vcc_lo, exec_lo
	s_delay_alu instid0(SALU_CYCLE_1)
	s_or_b32 s14, s14, s16
	s_or_b32 exec_lo, exec_lo, s15
	v_mov_b32_e32 v5, 0
	s_and_saveexec_b32 s15, s14
	s_cbranch_execnz .LBB159_1821
	s_branch .LBB159_1822
.LBB159_2229:
	s_or_b32 s2, s2, exec_lo
	s_trap 2
	s_cbranch_execz .LBB159_1868
	s_branch .LBB159_1869
.LBB159_2230:
	s_and_not1_saveexec_b32 s14, s14
	s_cbranch_execz .LBB159_1833
.LBB159_2231:
	s_wait_loadcnt 0x0
	v_add_f32_e32 v1, 0x42800000, v3
	s_and_not1_b32 s13, s13, exec_lo
	s_delay_alu instid0(VALU_DEP_1) | instskip(NEXT) | instid1(VALU_DEP_1)
	v_and_b32_e32 v1, 0xff, v1
	v_cmp_ne_u32_e32 vcc_lo, 0, v1
	s_and_b32 s15, vcc_lo, exec_lo
	s_delay_alu instid0(SALU_CYCLE_1)
	s_or_b32 s13, s13, s15
	s_or_b32 exec_lo, exec_lo, s14
	v_mov_b32_e32 v5, 0
	s_and_saveexec_b32 s14, s13
	s_cbranch_execnz .LBB159_1834
	s_branch .LBB159_1835
.LBB159_2232:
	s_and_not1_saveexec_b32 s14, s14
	s_cbranch_execz .LBB159_1939
.LBB159_2233:
	s_wait_loadcnt 0x0
	v_add_f32_e32 v1, 0x46000000, v3
	s_and_not1_b32 s13, s13, exec_lo
	s_delay_alu instid0(VALU_DEP_1) | instskip(NEXT) | instid1(VALU_DEP_1)
	v_and_b32_e32 v1, 0xff, v1
	v_cmp_ne_u32_e32 vcc_lo, 0, v1
	s_and_b32 s15, vcc_lo, exec_lo
	s_delay_alu instid0(SALU_CYCLE_1)
	s_or_b32 s13, s13, s15
	s_or_b32 exec_lo, exec_lo, s14
	v_mov_b32_e32 v6, 0
	s_and_saveexec_b32 s14, s13
	s_cbranch_execnz .LBB159_1940
	s_branch .LBB159_1941
.LBB159_2234:
	s_or_b32 s2, s2, exec_lo
	s_trap 2
	s_cbranch_execz .LBB159_1987
	s_branch .LBB159_1988
.LBB159_2235:
	s_and_not1_saveexec_b32 s13, s13
	s_cbranch_execz .LBB159_1952
.LBB159_2236:
	s_wait_loadcnt 0x0
	v_add_f32_e32 v1, 0x42800000, v3
	s_and_not1_b32 s12, s12, exec_lo
	s_delay_alu instid0(VALU_DEP_1) | instskip(NEXT) | instid1(VALU_DEP_1)
	v_and_b32_e32 v1, 0xff, v1
	v_cmp_ne_u32_e32 vcc_lo, 0, v1
	s_and_b32 s14, vcc_lo, exec_lo
	s_delay_alu instid0(SALU_CYCLE_1)
	s_or_b32 s12, s12, s14
	s_or_b32 exec_lo, exec_lo, s13
	v_mov_b32_e32 v6, 0
	s_and_saveexec_b32 s13, s12
	s_cbranch_execnz .LBB159_1953
	s_branch .LBB159_1954
.LBB159_2237:
	s_and_not1_saveexec_b32 s13, s13
	s_cbranch_execz .LBB159_2058
.LBB159_2238:
	s_wait_loadcnt 0x0
	v_add_f32_e32 v1, 0x46000000, v4
	s_and_not1_b32 s12, s12, exec_lo
	s_delay_alu instid0(VALU_DEP_1) | instskip(NEXT) | instid1(VALU_DEP_1)
	v_and_b32_e32 v1, 0xff, v1
	v_cmp_ne_u32_e32 vcc_lo, 0, v1
	s_and_b32 s14, vcc_lo, exec_lo
	s_delay_alu instid0(SALU_CYCLE_1)
	s_or_b32 s12, s12, s14
	s_or_b32 exec_lo, exec_lo, s13
	v_mov_b32_e32 v5, 0
	s_and_saveexec_b32 s13, s12
	s_cbranch_execnz .LBB159_2059
	s_branch .LBB159_2060
.LBB159_2239:
	s_or_b32 s2, s2, exec_lo
	s_trap 2
	s_cbranch_execz .LBB159_2106
	s_branch .LBB159_2107
.LBB159_2240:
	s_and_not1_saveexec_b32 s12, s12
	s_cbranch_execz .LBB159_2071
.LBB159_2241:
	s_wait_loadcnt 0x0
	v_add_f32_e32 v1, 0x42800000, v4
	s_and_not1_b32 s10, s10, exec_lo
	s_delay_alu instid0(VALU_DEP_1) | instskip(NEXT) | instid1(VALU_DEP_1)
	v_and_b32_e32 v1, 0xff, v1
	v_cmp_ne_u32_e32 vcc_lo, 0, v1
	s_and_b32 s13, vcc_lo, exec_lo
	s_delay_alu instid0(SALU_CYCLE_1)
	s_or_b32 s10, s10, s13
	s_or_b32 exec_lo, exec_lo, s12
	v_mov_b32_e32 v5, 0
	s_and_saveexec_b32 s12, s10
	s_cbranch_execnz .LBB159_2072
	s_branch .LBB159_2073
.LBB159_2242:
	s_and_not1_saveexec_b32 s10, s10
	s_cbranch_execz .LBB159_2178
.LBB159_2243:
	v_add_f32_e32 v0, 0x46000000, v1
	s_and_not1_b32 s7, s7, exec_lo
	s_delay_alu instid0(VALU_DEP_1) | instskip(NEXT) | instid1(VALU_DEP_1)
	v_and_b32_e32 v0, 0xff, v0
	v_cmp_ne_u32_e32 vcc_lo, 0, v0
	s_and_b32 s11, vcc_lo, exec_lo
	s_delay_alu instid0(SALU_CYCLE_1)
	s_or_b32 s7, s7, s11
	s_or_b32 exec_lo, exec_lo, s10
	v_mov_b32_e32 v4, 0
	s_and_saveexec_b32 s10, s7
	s_cbranch_execnz .LBB159_2179
	s_branch .LBB159_2180
.LBB159_2244:
	s_mov_b32 s4, 0
	s_or_b32 s2, s2, exec_lo
	s_trap 2
	s_branch .LBB159_2224
.LBB159_2245:
	s_and_not1_saveexec_b32 s7, s7
	s_cbranch_execz .LBB159_2190
.LBB159_2246:
	v_add_f32_e32 v0, 0x42800000, v1
	s_and_not1_b32 s5, s5, exec_lo
	s_delay_alu instid0(VALU_DEP_1) | instskip(NEXT) | instid1(VALU_DEP_1)
	v_and_b32_e32 v0, 0xff, v0
	v_cmp_ne_u32_e32 vcc_lo, 0, v0
	s_and_b32 s10, vcc_lo, exec_lo
	s_delay_alu instid0(SALU_CYCLE_1)
	s_or_b32 s5, s5, s10
	s_or_b32 exec_lo, exec_lo, s7
	v_mov_b32_e32 v4, 0
	s_and_saveexec_b32 s7, s5
	s_cbranch_execnz .LBB159_2191
	s_branch .LBB159_2192
	.section	.rodata,"a",@progbits
	.p2align	6, 0x0
	.amdhsa_kernel _ZN2at6native32elementwise_kernel_manual_unrollILi128ELi4EZNS0_15gpu_kernel_implINS0_13AUnaryFunctorIN3c107complexINS4_4HalfEEES7_bNS0_12_GLOBAL__N_116CompareEqFunctorIS7_EEEEEEvRNS_18TensorIteratorBaseERKT_EUlibE0_EEviT1_
		.amdhsa_group_segment_fixed_size 0
		.amdhsa_private_segment_fixed_size 0
		.amdhsa_kernarg_size 368
		.amdhsa_user_sgpr_count 2
		.amdhsa_user_sgpr_dispatch_ptr 0
		.amdhsa_user_sgpr_queue_ptr 0
		.amdhsa_user_sgpr_kernarg_segment_ptr 1
		.amdhsa_user_sgpr_dispatch_id 0
		.amdhsa_user_sgpr_kernarg_preload_length 0
		.amdhsa_user_sgpr_kernarg_preload_offset 0
		.amdhsa_user_sgpr_private_segment_size 0
		.amdhsa_wavefront_size32 1
		.amdhsa_uses_dynamic_stack 0
		.amdhsa_enable_private_segment 0
		.amdhsa_system_sgpr_workgroup_id_x 1
		.amdhsa_system_sgpr_workgroup_id_y 0
		.amdhsa_system_sgpr_workgroup_id_z 0
		.amdhsa_system_sgpr_workgroup_info 0
		.amdhsa_system_vgpr_workitem_id 0
		.amdhsa_next_free_vgpr 22
		.amdhsa_next_free_sgpr 72
		.amdhsa_named_barrier_count 0
		.amdhsa_reserve_vcc 1
		.amdhsa_float_round_mode_32 0
		.amdhsa_float_round_mode_16_64 0
		.amdhsa_float_denorm_mode_32 3
		.amdhsa_float_denorm_mode_16_64 3
		.amdhsa_fp16_overflow 0
		.amdhsa_memory_ordered 1
		.amdhsa_forward_progress 1
		.amdhsa_inst_pref_size 255
		.amdhsa_round_robin_scheduling 0
		.amdhsa_exception_fp_ieee_invalid_op 0
		.amdhsa_exception_fp_denorm_src 0
		.amdhsa_exception_fp_ieee_div_zero 0
		.amdhsa_exception_fp_ieee_overflow 0
		.amdhsa_exception_fp_ieee_underflow 0
		.amdhsa_exception_fp_ieee_inexact 0
		.amdhsa_exception_int_div_zero 0
	.end_amdhsa_kernel
	.section	.text._ZN2at6native32elementwise_kernel_manual_unrollILi128ELi4EZNS0_15gpu_kernel_implINS0_13AUnaryFunctorIN3c107complexINS4_4HalfEEES7_bNS0_12_GLOBAL__N_116CompareEqFunctorIS7_EEEEEEvRNS_18TensorIteratorBaseERKT_EUlibE0_EEviT1_,"axG",@progbits,_ZN2at6native32elementwise_kernel_manual_unrollILi128ELi4EZNS0_15gpu_kernel_implINS0_13AUnaryFunctorIN3c107complexINS4_4HalfEEES7_bNS0_12_GLOBAL__N_116CompareEqFunctorIS7_EEEEEEvRNS_18TensorIteratorBaseERKT_EUlibE0_EEviT1_,comdat
.Lfunc_end159:
	.size	_ZN2at6native32elementwise_kernel_manual_unrollILi128ELi4EZNS0_15gpu_kernel_implINS0_13AUnaryFunctorIN3c107complexINS4_4HalfEEES7_bNS0_12_GLOBAL__N_116CompareEqFunctorIS7_EEEEEEvRNS_18TensorIteratorBaseERKT_EUlibE0_EEviT1_, .Lfunc_end159-_ZN2at6native32elementwise_kernel_manual_unrollILi128ELi4EZNS0_15gpu_kernel_implINS0_13AUnaryFunctorIN3c107complexINS4_4HalfEEES7_bNS0_12_GLOBAL__N_116CompareEqFunctorIS7_EEEEEEvRNS_18TensorIteratorBaseERKT_EUlibE0_EEviT1_
                                        ; -- End function
	.set _ZN2at6native32elementwise_kernel_manual_unrollILi128ELi4EZNS0_15gpu_kernel_implINS0_13AUnaryFunctorIN3c107complexINS4_4HalfEEES7_bNS0_12_GLOBAL__N_116CompareEqFunctorIS7_EEEEEEvRNS_18TensorIteratorBaseERKT_EUlibE0_EEviT1_.num_vgpr, 22
	.set _ZN2at6native32elementwise_kernel_manual_unrollILi128ELi4EZNS0_15gpu_kernel_implINS0_13AUnaryFunctorIN3c107complexINS4_4HalfEEES7_bNS0_12_GLOBAL__N_116CompareEqFunctorIS7_EEEEEEvRNS_18TensorIteratorBaseERKT_EUlibE0_EEviT1_.num_agpr, 0
	.set _ZN2at6native32elementwise_kernel_manual_unrollILi128ELi4EZNS0_15gpu_kernel_implINS0_13AUnaryFunctorIN3c107complexINS4_4HalfEEES7_bNS0_12_GLOBAL__N_116CompareEqFunctorIS7_EEEEEEvRNS_18TensorIteratorBaseERKT_EUlibE0_EEviT1_.numbered_sgpr, 72
	.set _ZN2at6native32elementwise_kernel_manual_unrollILi128ELi4EZNS0_15gpu_kernel_implINS0_13AUnaryFunctorIN3c107complexINS4_4HalfEEES7_bNS0_12_GLOBAL__N_116CompareEqFunctorIS7_EEEEEEvRNS_18TensorIteratorBaseERKT_EUlibE0_EEviT1_.num_named_barrier, 0
	.set _ZN2at6native32elementwise_kernel_manual_unrollILi128ELi4EZNS0_15gpu_kernel_implINS0_13AUnaryFunctorIN3c107complexINS4_4HalfEEES7_bNS0_12_GLOBAL__N_116CompareEqFunctorIS7_EEEEEEvRNS_18TensorIteratorBaseERKT_EUlibE0_EEviT1_.private_seg_size, 0
	.set _ZN2at6native32elementwise_kernel_manual_unrollILi128ELi4EZNS0_15gpu_kernel_implINS0_13AUnaryFunctorIN3c107complexINS4_4HalfEEES7_bNS0_12_GLOBAL__N_116CompareEqFunctorIS7_EEEEEEvRNS_18TensorIteratorBaseERKT_EUlibE0_EEviT1_.uses_vcc, 1
	.set _ZN2at6native32elementwise_kernel_manual_unrollILi128ELi4EZNS0_15gpu_kernel_implINS0_13AUnaryFunctorIN3c107complexINS4_4HalfEEES7_bNS0_12_GLOBAL__N_116CompareEqFunctorIS7_EEEEEEvRNS_18TensorIteratorBaseERKT_EUlibE0_EEviT1_.uses_flat_scratch, 0
	.set _ZN2at6native32elementwise_kernel_manual_unrollILi128ELi4EZNS0_15gpu_kernel_implINS0_13AUnaryFunctorIN3c107complexINS4_4HalfEEES7_bNS0_12_GLOBAL__N_116CompareEqFunctorIS7_EEEEEEvRNS_18TensorIteratorBaseERKT_EUlibE0_EEviT1_.has_dyn_sized_stack, 0
	.set _ZN2at6native32elementwise_kernel_manual_unrollILi128ELi4EZNS0_15gpu_kernel_implINS0_13AUnaryFunctorIN3c107complexINS4_4HalfEEES7_bNS0_12_GLOBAL__N_116CompareEqFunctorIS7_EEEEEEvRNS_18TensorIteratorBaseERKT_EUlibE0_EEviT1_.has_recursion, 0
	.set _ZN2at6native32elementwise_kernel_manual_unrollILi128ELi4EZNS0_15gpu_kernel_implINS0_13AUnaryFunctorIN3c107complexINS4_4HalfEEES7_bNS0_12_GLOBAL__N_116CompareEqFunctorIS7_EEEEEEvRNS_18TensorIteratorBaseERKT_EUlibE0_EEviT1_.has_indirect_call, 0
	.section	.AMDGPU.csdata,"",@progbits
; Kernel info:
; codeLenInByte = 50008
; TotalNumSgprs: 74
; NumVgprs: 22
; ScratchSize: 0
; MemoryBound: 0
; FloatMode: 240
; IeeeMode: 1
; LDSByteSize: 0 bytes/workgroup (compile time only)
; SGPRBlocks: 0
; VGPRBlocks: 1
; NumSGPRsForWavesPerEU: 74
; NumVGPRsForWavesPerEU: 22
; NamedBarCnt: 0
; Occupancy: 16
; WaveLimiterHint : 1
; COMPUTE_PGM_RSRC2:SCRATCH_EN: 0
; COMPUTE_PGM_RSRC2:USER_SGPR: 2
; COMPUTE_PGM_RSRC2:TRAP_HANDLER: 0
; COMPUTE_PGM_RSRC2:TGID_X_EN: 1
; COMPUTE_PGM_RSRC2:TGID_Y_EN: 0
; COMPUTE_PGM_RSRC2:TGID_Z_EN: 0
; COMPUTE_PGM_RSRC2:TIDIG_COMP_CNT: 0
	.section	.text._ZN2at6native29vectorized_elementwise_kernelILi16ENS0_13BinaryFunctorIN3c107complexINS3_8BFloat16EEES6_bNS0_12_GLOBAL__N_116CompareEqFunctorIS6_EEEESt5arrayIPcLm3EEEEviT0_T1_,"axG",@progbits,_ZN2at6native29vectorized_elementwise_kernelILi16ENS0_13BinaryFunctorIN3c107complexINS3_8BFloat16EEES6_bNS0_12_GLOBAL__N_116CompareEqFunctorIS6_EEEESt5arrayIPcLm3EEEEviT0_T1_,comdat
	.globl	_ZN2at6native29vectorized_elementwise_kernelILi16ENS0_13BinaryFunctorIN3c107complexINS3_8BFloat16EEES6_bNS0_12_GLOBAL__N_116CompareEqFunctorIS6_EEEESt5arrayIPcLm3EEEEviT0_T1_ ; -- Begin function _ZN2at6native29vectorized_elementwise_kernelILi16ENS0_13BinaryFunctorIN3c107complexINS3_8BFloat16EEES6_bNS0_12_GLOBAL__N_116CompareEqFunctorIS6_EEEESt5arrayIPcLm3EEEEviT0_T1_
	.p2align	8
	.type	_ZN2at6native29vectorized_elementwise_kernelILi16ENS0_13BinaryFunctorIN3c107complexINS3_8BFloat16EEES6_bNS0_12_GLOBAL__N_116CompareEqFunctorIS6_EEEESt5arrayIPcLm3EEEEviT0_T1_,@function
_ZN2at6native29vectorized_elementwise_kernelILi16ENS0_13BinaryFunctorIN3c107complexINS3_8BFloat16EEES6_bNS0_12_GLOBAL__N_116CompareEqFunctorIS6_EEEESt5arrayIPcLm3EEEEviT0_T1_: ; @_ZN2at6native29vectorized_elementwise_kernelILi16ENS0_13BinaryFunctorIN3c107complexINS3_8BFloat16EEES6_bNS0_12_GLOBAL__N_116CompareEqFunctorIS6_EEEESt5arrayIPcLm3EEEEviT0_T1_
; %bb.0:
	s_clause 0x2
	s_load_b64 s[8:9], s[0:1], 0x0
	s_load_b128 s[4:7], s[0:1], 0x8
	s_load_b64 s[10:11], s[0:1], 0x18
	s_wait_xcnt 0x0
	s_bfe_u32 s0, ttmp6, 0x4000c
	s_and_b32 s1, ttmp6, 15
	s_add_co_i32 s0, s0, 1
	s_getreg_b32 s2, hwreg(HW_REG_IB_STS2, 6, 4)
	s_mul_i32 s0, ttmp9, s0
	s_delay_alu instid0(SALU_CYCLE_1) | instskip(SKIP_2) | instid1(SALU_CYCLE_1)
	s_add_co_i32 s1, s1, s0
	s_cmp_eq_u32 s2, 0
	s_cselect_b32 s0, ttmp9, s1
	s_lshl_b32 s2, s0, 12
	s_mov_b32 s0, -1
	s_wait_kmcnt 0x0
	s_sub_co_i32 s8, s8, s2
	s_delay_alu instid0(SALU_CYCLE_1)
	s_cmp_gt_i32 s8, 0xfff
	s_cbranch_scc0 .LBB160_50
; %bb.1:
	s_ashr_i32 s3, s2, 31
	v_lshlrev_b32_e32 v1, 6, v0
	s_lshl_b64 s[0:1], s[2:3], 2
	s_cmp_lg_u32 s9, 0
	s_add_nc_u64 s[12:13], s[10:11], s[0:1]
	s_add_nc_u64 s[0:1], s[6:7], s[0:1]
	s_clause 0x7
	global_load_b128 v[30:33], v1, s[12:13]
	global_load_b128 v[26:29], v1, s[0:1]
	global_load_b128 v[18:21], v1, s[0:1] offset:16
	global_load_b128 v[22:25], v1, s[12:13] offset:16
	global_load_b128 v[2:5], v1, s[0:1] offset:48
	global_load_b128 v[10:13], v1, s[0:1] offset:32
	global_load_b128 v[6:9], v1, s[12:13] offset:48
	global_load_b128 v[14:17], v1, s[12:13] offset:32
	s_wait_xcnt 0x0
	s_cselect_b32 s12, -1, 0
	s_delay_alu instid0(SALU_CYCLE_1)
	s_and_b32 vcc_lo, exec_lo, s12
	s_wait_loadcnt 0x7
	v_lshlrev_b32_e32 v1, 16, v30
	s_wait_loadcnt 0x6
	v_lshlrev_b32_e32 v34, 16, v26
	v_and_b32_e32 v30, 0xffff0000, v30
	v_and_b32_e32 v26, 0xffff0000, v26
	s_cbranch_vccz .LBB160_196
; %bb.2:
	s_delay_alu instid0(VALU_DEP_3) | instskip(NEXT) | instid1(VALU_DEP_2)
	v_cmp_neq_f32_e32 vcc_lo, v34, v1
	v_cmp_neq_f32_e64 s0, v26, v30
	s_or_b32 s1, vcc_lo, s0
	s_cbranch_execnz .LBB160_4
.LBB160_3:
	v_cmp_eq_f32_e32 vcc_lo, v34, v1
	s_delay_alu instid0(VALU_DEP_2) | instskip(SKIP_2) | instid1(SALU_CYCLE_1)
	v_cmp_eq_f32_e64 s0, v26, v30
	s_and_not1_b32 s1, s1, exec_lo
	s_and_b32 s0, vcc_lo, s0
	s_and_b32 s0, s0, exec_lo
	s_delay_alu instid0(SALU_CYCLE_1)
	s_or_b32 s1, s1, s0
.LBB160_4:
	v_cndmask_b32_e64 v1, 0, 1, s12
	v_lshlrev_b32_e32 v26, 16, v31
	v_lshlrev_b32_e32 v30, 16, v27
	v_and_b32_e32 v31, 0xffff0000, v31
	v_and_b32_e32 v27, 0xffff0000, v27
	s_and_not1_b32 vcc_lo, exec_lo, s12
	s_cbranch_vccnz .LBB160_197
; %bb.5:
	v_cmp_neq_f32_e32 vcc_lo, v30, v26
	s_delay_alu instid0(VALU_DEP_2)
	v_cmp_neq_f32_e64 s0, v27, v31
	s_or_b32 s12, vcc_lo, s0
	s_cbranch_execnz .LBB160_7
.LBB160_6:
	v_cmp_eq_f32_e32 vcc_lo, v30, v26
	v_cmp_eq_f32_e64 s0, v27, v31
	s_and_not1_b32 s12, s12, exec_lo
	s_and_b32 s0, vcc_lo, s0
	s_delay_alu instid0(SALU_CYCLE_1) | instskip(NEXT) | instid1(SALU_CYCLE_1)
	s_and_b32 s0, s0, exec_lo
	s_or_b32 s12, s12, s0
.LBB160_7:
	v_cmp_ne_u32_e32 vcc_lo, 1, v1
	v_lshlrev_b32_e32 v26, 16, v32
	v_lshlrev_b32_e32 v27, 16, v28
	v_and_b32_e32 v30, 0xffff0000, v32
	v_and_b32_e32 v28, 0xffff0000, v28
	s_cbranch_vccnz .LBB160_198
; %bb.8:
	s_delay_alu instid0(VALU_DEP_3) | instskip(NEXT) | instid1(VALU_DEP_2)
	v_cmp_neq_f32_e32 vcc_lo, v27, v26
	v_cmp_neq_f32_e64 s0, v28, v30
	s_or_b32 s13, vcc_lo, s0
	s_cbranch_execnz .LBB160_10
.LBB160_9:
	v_cmp_eq_f32_e32 vcc_lo, v27, v26
	s_delay_alu instid0(VALU_DEP_2) | instskip(SKIP_2) | instid1(SALU_CYCLE_1)
	v_cmp_eq_f32_e64 s0, v28, v30
	s_and_not1_b32 s13, s13, exec_lo
	s_and_b32 s0, vcc_lo, s0
	s_and_b32 s0, s0, exec_lo
	s_delay_alu instid0(SALU_CYCLE_1)
	s_or_b32 s13, s13, s0
.LBB160_10:
	v_cmp_ne_u32_e32 vcc_lo, 1, v1
	v_lshlrev_b32_e32 v26, 16, v33
	v_lshlrev_b32_e32 v27, 16, v29
	v_and_b32_e32 v28, 0xffff0000, v33
	v_and_b32_e32 v29, 0xffff0000, v29
	s_cbranch_vccnz .LBB160_199
; %bb.11:
	s_delay_alu instid0(VALU_DEP_3) | instskip(NEXT) | instid1(VALU_DEP_2)
	v_cmp_neq_f32_e32 vcc_lo, v27, v26
	v_cmp_neq_f32_e64 s0, v29, v28
	s_or_b32 s14, vcc_lo, s0
	s_cbranch_execnz .LBB160_13
.LBB160_12:
	v_cmp_eq_f32_e32 vcc_lo, v27, v26
	s_delay_alu instid0(VALU_DEP_2) | instskip(SKIP_2) | instid1(SALU_CYCLE_1)
	v_cmp_eq_f32_e64 s0, v29, v28
	s_and_not1_b32 s14, s14, exec_lo
	s_and_b32 s0, vcc_lo, s0
	s_and_b32 s0, s0, exec_lo
	s_delay_alu instid0(SALU_CYCLE_1)
	s_or_b32 s14, s14, s0
.LBB160_13:
	v_cmp_ne_u32_e32 vcc_lo, 1, v1
	s_wait_loadcnt 0x4
	v_lshlrev_b32_e32 v26, 16, v22
	v_lshlrev_b32_e32 v27, 16, v18
	v_and_b32_e32 v22, 0xffff0000, v22
	v_and_b32_e32 v18, 0xffff0000, v18
	s_cbranch_vccnz .LBB160_200
; %bb.14:
	s_delay_alu instid0(VALU_DEP_3) | instskip(NEXT) | instid1(VALU_DEP_2)
	v_cmp_neq_f32_e32 vcc_lo, v27, v26
	v_cmp_neq_f32_e64 s0, v18, v22
	s_or_b32 s15, vcc_lo, s0
	s_cbranch_execnz .LBB160_16
.LBB160_15:
	v_cmp_eq_f32_e32 vcc_lo, v27, v26
	s_delay_alu instid0(VALU_DEP_2) | instskip(SKIP_2) | instid1(SALU_CYCLE_1)
	v_cmp_eq_f32_e64 s0, v18, v22
	s_and_not1_b32 s15, s15, exec_lo
	s_and_b32 s0, vcc_lo, s0
	s_and_b32 s0, s0, exec_lo
	s_delay_alu instid0(SALU_CYCLE_1)
	s_or_b32 s15, s15, s0
.LBB160_16:
	v_cmp_ne_u32_e32 vcc_lo, 1, v1
	v_lshlrev_b32_e32 v18, 16, v23
	v_lshlrev_b32_e32 v22, 16, v19
	v_and_b32_e32 v23, 0xffff0000, v23
	v_and_b32_e32 v19, 0xffff0000, v19
	s_cbranch_vccnz .LBB160_201
; %bb.17:
	s_delay_alu instid0(VALU_DEP_3) | instskip(NEXT) | instid1(VALU_DEP_2)
	v_cmp_neq_f32_e32 vcc_lo, v22, v18
	v_cmp_neq_f32_e64 s0, v19, v23
	s_or_b32 s16, vcc_lo, s0
	s_cbranch_execnz .LBB160_19
.LBB160_18:
	v_cmp_eq_f32_e32 vcc_lo, v22, v18
	s_delay_alu instid0(VALU_DEP_2) | instskip(SKIP_2) | instid1(SALU_CYCLE_1)
	v_cmp_eq_f32_e64 s0, v19, v23
	s_and_not1_b32 s16, s16, exec_lo
	s_and_b32 s0, vcc_lo, s0
	s_and_b32 s0, s0, exec_lo
	s_delay_alu instid0(SALU_CYCLE_1)
	s_or_b32 s16, s16, s0
.LBB160_19:
	v_cmp_ne_u32_e32 vcc_lo, 1, v1
	v_lshlrev_b32_e32 v18, 16, v24
	v_lshlrev_b32_e32 v19, 16, v20
	v_and_b32_e32 v22, 0xffff0000, v24
	v_and_b32_e32 v20, 0xffff0000, v20
	s_cbranch_vccnz .LBB160_202
; %bb.20:
	s_delay_alu instid0(VALU_DEP_3) | instskip(NEXT) | instid1(VALU_DEP_2)
	v_cmp_neq_f32_e32 vcc_lo, v19, v18
	v_cmp_neq_f32_e64 s0, v20, v22
	s_or_b32 s17, vcc_lo, s0
	s_cbranch_execnz .LBB160_22
.LBB160_21:
	v_cmp_eq_f32_e32 vcc_lo, v19, v18
	s_delay_alu instid0(VALU_DEP_2) | instskip(SKIP_2) | instid1(SALU_CYCLE_1)
	v_cmp_eq_f32_e64 s0, v20, v22
	s_and_not1_b32 s17, s17, exec_lo
	s_and_b32 s0, vcc_lo, s0
	s_and_b32 s0, s0, exec_lo
	s_delay_alu instid0(SALU_CYCLE_1)
	s_or_b32 s17, s17, s0
.LBB160_22:
	v_cmp_ne_u32_e32 vcc_lo, 1, v1
	v_lshlrev_b32_e32 v18, 16, v25
	v_lshlrev_b32_e32 v19, 16, v21
	v_and_b32_e32 v20, 0xffff0000, v25
	v_and_b32_e32 v21, 0xffff0000, v21
	s_cbranch_vccnz .LBB160_203
; %bb.23:
	s_delay_alu instid0(VALU_DEP_3) | instskip(NEXT) | instid1(VALU_DEP_2)
	v_cmp_neq_f32_e32 vcc_lo, v19, v18
	v_cmp_neq_f32_e64 s0, v21, v20
	s_or_b32 s19, vcc_lo, s0
	s_cbranch_execnz .LBB160_25
.LBB160_24:
	v_cmp_eq_f32_e32 vcc_lo, v19, v18
	s_delay_alu instid0(VALU_DEP_2) | instskip(SKIP_2) | instid1(SALU_CYCLE_1)
	v_cmp_eq_f32_e64 s0, v21, v20
	s_and_not1_b32 s18, s19, exec_lo
	s_and_b32 s0, vcc_lo, s0
	s_and_b32 s0, s0, exec_lo
	s_delay_alu instid0(SALU_CYCLE_1)
	s_or_b32 s19, s18, s0
.LBB160_25:
	v_cmp_ne_u32_e32 vcc_lo, 1, v1
	s_wait_loadcnt 0x0
	v_lshlrev_b32_e32 v18, 16, v14
	v_lshlrev_b32_e32 v19, 16, v10
	v_and_b32_e32 v14, 0xffff0000, v14
	v_and_b32_e32 v10, 0xffff0000, v10
	s_cbranch_vccnz .LBB160_204
; %bb.26:
	s_delay_alu instid0(VALU_DEP_3) | instskip(NEXT) | instid1(VALU_DEP_2)
	v_cmp_neq_f32_e32 vcc_lo, v19, v18
	v_cmp_neq_f32_e64 s0, v10, v14
	s_or_b32 s18, vcc_lo, s0
	s_cbranch_execnz .LBB160_28
.LBB160_27:
	v_cmp_eq_f32_e32 vcc_lo, v19, v18
	s_delay_alu instid0(VALU_DEP_2) | instskip(SKIP_2) | instid1(SALU_CYCLE_1)
	v_cmp_eq_f32_e64 s0, v10, v14
	s_and_not1_b32 s18, s18, exec_lo
	s_and_b32 s0, vcc_lo, s0
	s_and_b32 s0, s0, exec_lo
	s_delay_alu instid0(SALU_CYCLE_1)
	s_or_b32 s18, s18, s0
.LBB160_28:
	v_cmp_ne_u32_e32 vcc_lo, 1, v1
	v_lshlrev_b32_e32 v10, 16, v15
	v_lshlrev_b32_e32 v14, 16, v11
	v_and_b32_e32 v15, 0xffff0000, v15
	v_and_b32_e32 v11, 0xffff0000, v11
	s_cbranch_vccnz .LBB160_205
; %bb.29:
	s_delay_alu instid0(VALU_DEP_3) | instskip(NEXT) | instid1(VALU_DEP_2)
	v_cmp_neq_f32_e32 vcc_lo, v14, v10
	v_cmp_neq_f32_e64 s0, v11, v15
	s_or_b32 s20, vcc_lo, s0
	s_cbranch_execnz .LBB160_31
.LBB160_30:
	v_cmp_eq_f32_e32 vcc_lo, v14, v10
	s_delay_alu instid0(VALU_DEP_2) | instskip(SKIP_2) | instid1(SALU_CYCLE_1)
	v_cmp_eq_f32_e64 s0, v11, v15
	s_and_not1_b32 s20, s20, exec_lo
	s_and_b32 s0, vcc_lo, s0
	s_and_b32 s0, s0, exec_lo
	s_delay_alu instid0(SALU_CYCLE_1)
	s_or_b32 s20, s20, s0
.LBB160_31:
	v_cmp_ne_u32_e32 vcc_lo, 1, v1
	v_lshlrev_b32_e32 v10, 16, v16
	v_lshlrev_b32_e32 v11, 16, v12
	v_and_b32_e32 v14, 0xffff0000, v16
	v_and_b32_e32 v12, 0xffff0000, v12
	s_cbranch_vccnz .LBB160_206
; %bb.32:
	s_delay_alu instid0(VALU_DEP_3) | instskip(NEXT) | instid1(VALU_DEP_2)
	v_cmp_neq_f32_e32 vcc_lo, v11, v10
	v_cmp_neq_f32_e64 s0, v12, v14
	s_or_b32 s21, vcc_lo, s0
	s_cbranch_execnz .LBB160_34
.LBB160_33:
	v_cmp_eq_f32_e32 vcc_lo, v11, v10
	s_delay_alu instid0(VALU_DEP_2) | instskip(SKIP_2) | instid1(SALU_CYCLE_1)
	v_cmp_eq_f32_e64 s0, v12, v14
	s_and_not1_b32 s21, s21, exec_lo
	s_and_b32 s0, vcc_lo, s0
	s_and_b32 s0, s0, exec_lo
	s_delay_alu instid0(SALU_CYCLE_1)
	s_or_b32 s21, s21, s0
.LBB160_34:
	v_cmp_ne_u32_e32 vcc_lo, 1, v1
	v_lshlrev_b32_e32 v10, 16, v17
	v_lshlrev_b32_e32 v11, 16, v13
	v_and_b32_e32 v12, 0xffff0000, v17
	v_and_b32_e32 v13, 0xffff0000, v13
	s_cbranch_vccnz .LBB160_207
; %bb.35:
	s_delay_alu instid0(VALU_DEP_3) | instskip(NEXT) | instid1(VALU_DEP_2)
	v_cmp_neq_f32_e32 vcc_lo, v11, v10
	v_cmp_neq_f32_e64 s0, v13, v12
	s_or_b32 s22, vcc_lo, s0
	s_cbranch_execnz .LBB160_37
.LBB160_36:
	v_cmp_eq_f32_e32 vcc_lo, v11, v10
	s_delay_alu instid0(VALU_DEP_2) | instskip(SKIP_2) | instid1(SALU_CYCLE_1)
	v_cmp_eq_f32_e64 s0, v13, v12
	s_and_not1_b32 s22, s22, exec_lo
	s_and_b32 s0, vcc_lo, s0
	s_and_b32 s0, s0, exec_lo
	s_delay_alu instid0(SALU_CYCLE_1)
	s_or_b32 s22, s22, s0
.LBB160_37:
	v_cmp_ne_u32_e32 vcc_lo, 1, v1
	v_lshlrev_b32_e32 v10, 16, v6
	v_lshlrev_b32_e32 v11, 16, v2
	v_and_b32_e32 v6, 0xffff0000, v6
	v_and_b32_e32 v2, 0xffff0000, v2
	s_cbranch_vccnz .LBB160_208
; %bb.38:
	s_delay_alu instid0(VALU_DEP_3) | instskip(NEXT) | instid1(VALU_DEP_2)
	v_cmp_neq_f32_e32 vcc_lo, v11, v10
	v_cmp_neq_f32_e64 s0, v2, v6
	s_or_b32 s23, vcc_lo, s0
	s_cbranch_execnz .LBB160_40
.LBB160_39:
	v_cmp_eq_f32_e32 vcc_lo, v11, v10
	s_delay_alu instid0(VALU_DEP_2) | instskip(SKIP_2) | instid1(SALU_CYCLE_1)
	v_cmp_eq_f32_e64 s0, v2, v6
	s_and_not1_b32 s23, s23, exec_lo
	s_and_b32 s0, vcc_lo, s0
	s_and_b32 s0, s0, exec_lo
	s_delay_alu instid0(SALU_CYCLE_1)
	s_or_b32 s23, s23, s0
.LBB160_40:
	v_cmp_ne_u32_e32 vcc_lo, 1, v1
	v_lshlrev_b32_e32 v2, 16, v7
	v_lshlrev_b32_e32 v6, 16, v3
	v_and_b32_e32 v7, 0xffff0000, v7
	v_and_b32_e32 v3, 0xffff0000, v3
	s_cbranch_vccnz .LBB160_209
; %bb.41:
	s_delay_alu instid0(VALU_DEP_3) | instskip(NEXT) | instid1(VALU_DEP_2)
	v_cmp_neq_f32_e32 vcc_lo, v6, v2
	v_cmp_neq_f32_e64 s0, v3, v7
	s_or_b32 s24, vcc_lo, s0
	s_cbranch_execnz .LBB160_43
.LBB160_42:
	v_cmp_eq_f32_e32 vcc_lo, v6, v2
	s_delay_alu instid0(VALU_DEP_2) | instskip(SKIP_2) | instid1(SALU_CYCLE_1)
	v_cmp_eq_f32_e64 s0, v3, v7
	s_and_not1_b32 s24, s24, exec_lo
	s_and_b32 s0, vcc_lo, s0
	s_and_b32 s0, s0, exec_lo
	s_delay_alu instid0(SALU_CYCLE_1)
	s_or_b32 s24, s24, s0
.LBB160_43:
	v_cmp_ne_u32_e32 vcc_lo, 1, v1
	v_lshlrev_b32_e32 v2, 16, v8
	v_lshlrev_b32_e32 v3, 16, v4
	v_and_b32_e32 v6, 0xffff0000, v8
	v_and_b32_e32 v4, 0xffff0000, v4
	s_cbranch_vccnz .LBB160_210
; %bb.44:
	s_delay_alu instid0(VALU_DEP_3) | instskip(NEXT) | instid1(VALU_DEP_2)
	v_cmp_neq_f32_e32 vcc_lo, v3, v2
	v_cmp_neq_f32_e64 s0, v4, v6
	s_or_b32 s25, vcc_lo, s0
	s_cbranch_execnz .LBB160_46
.LBB160_45:
	v_cmp_eq_f32_e32 vcc_lo, v3, v2
	s_delay_alu instid0(VALU_DEP_2) | instskip(SKIP_2) | instid1(SALU_CYCLE_1)
	v_cmp_eq_f32_e64 s0, v4, v6
	s_and_not1_b32 s25, s25, exec_lo
	s_and_b32 s0, vcc_lo, s0
	s_and_b32 s0, s0, exec_lo
	s_delay_alu instid0(SALU_CYCLE_1)
	s_or_b32 s25, s25, s0
.LBB160_46:
	v_cmp_ne_u32_e32 vcc_lo, 1, v1
	v_lshlrev_b32_e32 v1, 16, v9
	v_lshlrev_b32_e32 v2, 16, v5
	v_and_b32_e32 v3, 0xffff0000, v9
	v_and_b32_e32 v4, 0xffff0000, v5
	s_cbranch_vccnz .LBB160_211
; %bb.47:
	s_delay_alu instid0(VALU_DEP_3) | instskip(NEXT) | instid1(VALU_DEP_2)
	v_cmp_neq_f32_e32 vcc_lo, v2, v1
	v_cmp_neq_f32_e64 s0, v4, v3
	s_or_b32 s26, vcc_lo, s0
	s_cbranch_execnz .LBB160_49
.LBB160_48:
	v_cmp_eq_f32_e32 vcc_lo, v2, v1
	s_delay_alu instid0(VALU_DEP_2) | instskip(SKIP_2) | instid1(SALU_CYCLE_1)
	v_cmp_eq_f32_e64 s0, v4, v3
	s_and_not1_b32 s26, s26, exec_lo
	s_and_b32 s0, vcc_lo, s0
	s_and_b32 s0, s0, exec_lo
	s_delay_alu instid0(SALU_CYCLE_1)
	s_or_b32 s26, s26, s0
.LBB160_49:
	v_cndmask_b32_e64 v1, 0, 1, s16
	v_cndmask_b32_e64 v2, 0, 1, s19
	v_cndmask_b32_e64 v4, 0, 1, s12
	v_cndmask_b32_e64 v3, 0, 1, s15
	v_cndmask_b32_e64 v5, 0, 1, s17
	v_lshlrev_b16 v1, 8, v1
	v_lshlrev_b16 v2, 8, v2
	v_cndmask_b32_e64 v6, 0, 1, s1
	v_lshlrev_b16 v4, 8, v4
	v_cndmask_b32_e64 v7, 0, 1, s26
	v_cndmask_b32_e64 v8, 0, 1, s20
	v_or_b32_e32 v2, v5, v2
	v_or_b32_e32 v1, v3, v1
	;; [unrolled: 1-line block ×3, first 2 shown]
	v_cndmask_b32_e64 v4, 0, 1, s14
	v_cndmask_b32_e64 v5, 0, 1, s24
	;; [unrolled: 1-line block ×4, first 2 shown]
	v_and_b32_e32 v6, 0xffff, v3
	v_lshlrev_b16 v3, 8, v4
	v_cndmask_b32_e64 v4, 0, 1, s13
	v_lshlrev_b16 v5, 8, v5
	v_lshlrev_b16 v7, 8, v7
	v_cndmask_b32_e64 v11, 0, 1, s25
	v_lshlrev_b16 v8, 8, v8
	v_cndmask_b32_e64 v12, 0, 1, s18
	;; [unrolled: 2-line block ×3, first 2 shown]
	v_or_b32_e32 v3, v4, v3
	v_or_b32_e32 v4, v9, v5
	;; [unrolled: 1-line block ×5, first 2 shown]
	s_add_nc_u64 s[12:13], s[4:5], s[2:3]
	v_and_b32_e32 v4, 0xffff, v4
	v_lshlrev_b32_e32 v5, 16, v5
	v_and_b32_e32 v7, 0xffff, v7
	v_dual_lshlrev_b32 v8, 16, v8 :: v_dual_lshlrev_b32 v9, 16, v3
	v_lshlrev_b32_e32 v2, 16, v2
	v_and_b32_e32 v1, 0xffff, v1
	v_or_b32_e32 v5, v4, v5
	s_delay_alu instid0(VALU_DEP_4) | instskip(SKIP_1) | instid1(VALU_DEP_3)
	v_or_b32_e32 v4, v7, v8
	s_mov_b32 s0, 0
	v_or_b32_e32 v3, v1, v2
	v_or_b32_e32 v2, v6, v9
	global_store_b128 v0, v[2:5], s[12:13] scale_offset
.LBB160_50:
	s_and_b32 vcc_lo, exec_lo, s0
	s_cbranch_vccz .LBB160_195
; %bb.51:
	v_cmp_gt_i32_e64 s0, s8, v0
	v_dual_mov_b32 v10, 0 :: v_dual_bitop2_b32 v1, s2, v0 bitop3:0x54
	v_or_b32_e32 v8, 0x100, v0
	v_dual_mov_b32 v9, 0 :: v_dual_mov_b32 v12, 0
	v_dual_mov_b32 v11, 0 :: v_dual_mov_b32 v14, 0
	;; [unrolled: 1-line block ×13, first 2 shown]
	s_wait_xcnt 0x0
	v_dual_mov_b32 v3, 0 :: v_dual_mov_b32 v35, 0
	v_dual_mov_b32 v36, 0 :: v_dual_mov_b32 v37, 0
	v_mov_b32_e32 v38, 0
	s_and_saveexec_b32 s1, s0
	s_cbranch_execz .LBB160_83
; %bb.52:
	s_clause 0x1
	global_load_b32 v37, v1, s[6:7] scale_offset
	global_load_b32 v38, v1, s[10:11] scale_offset
	v_or_b32_e32 v2, 0x100, v0
	v_dual_mov_b32 v36, 0 :: v_dual_mov_b32 v35, 0
	v_dual_mov_b32 v3, 0 :: v_dual_mov_b32 v34, 0
	s_delay_alu instid0(VALU_DEP_3)
	v_cmp_gt_u32_e32 vcc_lo, s8, v2
	v_dual_mov_b32 v7, 0 :: v_dual_mov_b32 v33, 0
	v_dual_mov_b32 v31, 0 :: v_dual_mov_b32 v32, 0
	;; [unrolled: 1-line block ×13, first 2 shown]
	s_wait_xcnt 0x0
	s_and_saveexec_b32 s3, vcc_lo
	s_cbranch_execz .LBB160_82
; %bb.53:
	v_dual_mov_b32 v3, 0 :: v_dual_add_nc_u32 v2, s2, v0
	v_or_b32_e32 v4, 0x200, v0
	v_dual_mov_b32 v34, 0 :: v_dual_mov_b32 v7, 0
	s_clause 0x1
	global_load_b32 v35, v2, s[6:7] offset:1024 scale_offset
	global_load_b32 v36, v2, s[10:11] offset:1024 scale_offset
	v_dual_mov_b32 v33, 0 :: v_dual_mov_b32 v31, 0
	v_cmp_gt_u32_e32 vcc_lo, s8, v4
	v_dual_mov_b32 v32, 0 :: v_dual_mov_b32 v29, 0
	v_dual_mov_b32 v30, 0 :: v_dual_mov_b32 v27, 0
	;; [unrolled: 1-line block ×11, first 2 shown]
	v_mov_b32_e32 v10, 0
	s_wait_xcnt 0x0
	s_and_saveexec_b32 s12, vcc_lo
	s_cbranch_execz .LBB160_81
; %bb.54:
	v_lshlrev_b64_e32 v[6:7], 2, v[2:3]
	v_or_b32_e32 v9, 0x300, v0
	v_dual_mov_b32 v33, 0 :: v_dual_mov_b32 v31, 0
	v_dual_mov_b32 v32, 0 :: v_dual_mov_b32 v29, 0
	s_delay_alu instid0(VALU_DEP_3)
	v_cmp_gt_u32_e32 vcc_lo, s8, v9
	v_add_nc_u64_e32 v[4:5], s[6:7], v[6:7]
	v_add_nc_u64_e32 v[6:7], s[10:11], v[6:7]
	v_dual_mov_b32 v30, 0 :: v_dual_mov_b32 v27, 0
	v_dual_mov_b32 v28, 0 :: v_dual_mov_b32 v25, 0
	;; [unrolled: 1-line block ×3, first 2 shown]
	global_load_b32 v34, v[4:5], off offset:2048
	global_load_b32 v2, v[6:7], off offset:2048
	v_dual_mov_b32 v24, 0 :: v_dual_mov_b32 v21, 0
	v_dual_mov_b32 v22, 0 :: v_dual_mov_b32 v19, 0
	;; [unrolled: 1-line block ×7, first 2 shown]
	v_mov_b32_e32 v10, 0
	s_wait_xcnt 0x0
	s_and_saveexec_b32 s6, vcc_lo
	s_cbranch_execz .LBB160_80
; %bb.55:
	global_load_b32 v33, v[4:5], off offset:3072
	global_load_b32 v3, v[6:7], off offset:3072
	v_or_b32_e32 v9, 0x400, v0
	v_dual_mov_b32 v31, 0 :: v_dual_mov_b32 v32, 0
	v_dual_mov_b32 v29, 0 :: v_dual_mov_b32 v30, 0
	s_delay_alu instid0(VALU_DEP_3)
	v_cmp_gt_u32_e32 vcc_lo, s8, v9
	v_dual_mov_b32 v27, 0 :: v_dual_mov_b32 v28, 0
	v_dual_mov_b32 v25, 0 :: v_dual_mov_b32 v26, 0
	;; [unrolled: 1-line block ×10, first 2 shown]
	s_wait_xcnt 0x0
	s_and_saveexec_b32 s7, vcc_lo
	s_cbranch_execz .LBB160_79
; %bb.56:
	global_load_b32 v32, v[4:5], off offset:4096
	global_load_b32 v31, v[6:7], off offset:4096
	v_or_b32_e32 v9, 0x500, v0
	v_dual_mov_b32 v29, 0 :: v_dual_mov_b32 v30, 0
	v_dual_mov_b32 v27, 0 :: v_dual_mov_b32 v28, 0
	s_delay_alu instid0(VALU_DEP_3)
	v_cmp_gt_u32_e32 vcc_lo, s8, v9
	v_dual_mov_b32 v25, 0 :: v_dual_mov_b32 v26, 0
	v_dual_mov_b32 v23, 0 :: v_dual_mov_b32 v24, 0
	;; [unrolled: 1-line block ×9, first 2 shown]
	s_wait_xcnt 0x0
	s_and_saveexec_b32 s10, vcc_lo
	s_cbranch_execz .LBB160_78
; %bb.57:
	global_load_b32 v30, v[4:5], off offset:5120
	global_load_b32 v29, v[6:7], off offset:5120
	v_or_b32_e32 v9, 0x600, v0
	v_dual_mov_b32 v27, 0 :: v_dual_mov_b32 v28, 0
	v_dual_mov_b32 v25, 0 :: v_dual_mov_b32 v26, 0
	s_delay_alu instid0(VALU_DEP_3)
	v_cmp_gt_u32_e32 vcc_lo, s8, v9
	v_dual_mov_b32 v23, 0 :: v_dual_mov_b32 v24, 0
	v_dual_mov_b32 v21, 0 :: v_dual_mov_b32 v22, 0
	;; [unrolled: 1-line block ×8, first 2 shown]
	s_wait_xcnt 0x0
	s_and_saveexec_b32 s11, vcc_lo
	s_cbranch_execz .LBB160_77
; %bb.58:
	global_load_b32 v28, v[4:5], off offset:6144
	global_load_b32 v27, v[6:7], off offset:6144
	v_or_b32_e32 v9, 0x700, v0
	v_dual_mov_b32 v25, 0 :: v_dual_mov_b32 v26, 0
	v_dual_mov_b32 v23, 0 :: v_dual_mov_b32 v24, 0
	s_delay_alu instid0(VALU_DEP_3)
	v_cmp_gt_u32_e32 vcc_lo, s8, v9
	v_dual_mov_b32 v21, 0 :: v_dual_mov_b32 v22, 0
	v_dual_mov_b32 v19, 0 :: v_dual_mov_b32 v20, 0
	;; [unrolled: 1-line block ×7, first 2 shown]
	s_wait_xcnt 0x0
	s_and_saveexec_b32 s13, vcc_lo
	s_cbranch_execz .LBB160_76
; %bb.59:
	global_load_b32 v26, v[4:5], off offset:7168
	global_load_b32 v25, v[6:7], off offset:7168
	v_or_b32_e32 v9, 0x800, v0
	v_dual_mov_b32 v23, 0 :: v_dual_mov_b32 v24, 0
	v_dual_mov_b32 v21, 0 :: v_dual_mov_b32 v22, 0
	s_delay_alu instid0(VALU_DEP_3)
	v_cmp_gt_u32_e32 vcc_lo, s8, v9
	v_dual_mov_b32 v19, 0 :: v_dual_mov_b32 v20, 0
	v_dual_mov_b32 v17, 0 :: v_dual_mov_b32 v18, 0
	;; [unrolled: 1-line block ×6, first 2 shown]
	s_wait_xcnt 0x0
	s_and_saveexec_b32 s14, vcc_lo
	s_cbranch_execz .LBB160_75
; %bb.60:
	global_load_b32 v24, v[4:5], off offset:8192
	global_load_b32 v23, v[6:7], off offset:8192
	v_or_b32_e32 v9, 0x900, v0
	v_dual_mov_b32 v21, 0 :: v_dual_mov_b32 v22, 0
	v_dual_mov_b32 v19, 0 :: v_dual_mov_b32 v20, 0
	s_delay_alu instid0(VALU_DEP_3)
	v_cmp_gt_u32_e32 vcc_lo, s8, v9
	v_dual_mov_b32 v17, 0 :: v_dual_mov_b32 v18, 0
	v_dual_mov_b32 v15, 0 :: v_dual_mov_b32 v16, 0
	;; [unrolled: 1-line block ×5, first 2 shown]
	s_wait_xcnt 0x0
	s_and_saveexec_b32 s15, vcc_lo
	s_cbranch_execz .LBB160_74
; %bb.61:
	global_load_b32 v22, v[4:5], off offset:9216
	global_load_b32 v21, v[6:7], off offset:9216
	v_or_b32_e32 v9, 0xa00, v0
	v_dual_mov_b32 v19, 0 :: v_dual_mov_b32 v20, 0
	v_dual_mov_b32 v17, 0 :: v_dual_mov_b32 v18, 0
	s_delay_alu instid0(VALU_DEP_3)
	v_cmp_gt_u32_e32 vcc_lo, s8, v9
	v_dual_mov_b32 v15, 0 :: v_dual_mov_b32 v16, 0
	v_dual_mov_b32 v13, 0 :: v_dual_mov_b32 v14, 0
	;; [unrolled: 1-line block ×4, first 2 shown]
	s_wait_xcnt 0x0
	s_and_saveexec_b32 s16, vcc_lo
	s_cbranch_execz .LBB160_73
; %bb.62:
	global_load_b32 v20, v[4:5], off offset:10240
	global_load_b32 v19, v[6:7], off offset:10240
	v_or_b32_e32 v9, 0xb00, v0
	v_dual_mov_b32 v17, 0 :: v_dual_mov_b32 v18, 0
	v_dual_mov_b32 v15, 0 :: v_dual_mov_b32 v16, 0
	s_delay_alu instid0(VALU_DEP_3)
	v_cmp_gt_u32_e32 vcc_lo, s8, v9
	v_dual_mov_b32 v13, 0 :: v_dual_mov_b32 v14, 0
	v_dual_mov_b32 v11, 0 :: v_dual_mov_b32 v12, 0
	;; [unrolled: 1-line block ×3, first 2 shown]
	s_wait_xcnt 0x0
	s_and_saveexec_b32 s17, vcc_lo
	s_cbranch_execz .LBB160_72
; %bb.63:
	global_load_b32 v18, v[4:5], off offset:11264
	global_load_b32 v17, v[6:7], off offset:11264
	v_or_b32_e32 v9, 0xc00, v0
	v_dual_mov_b32 v15, 0 :: v_dual_mov_b32 v16, 0
	v_dual_mov_b32 v13, 0 :: v_dual_mov_b32 v14, 0
	s_delay_alu instid0(VALU_DEP_3)
	v_cmp_gt_u32_e32 vcc_lo, s8, v9
	v_dual_mov_b32 v11, 0 :: v_dual_mov_b32 v12, 0
	v_dual_mov_b32 v9, 0 :: v_dual_mov_b32 v10, 0
	s_wait_xcnt 0x0
	s_and_saveexec_b32 s18, vcc_lo
	s_cbranch_execz .LBB160_71
; %bb.64:
	global_load_b32 v16, v[4:5], off offset:12288
	global_load_b32 v15, v[6:7], off offset:12288
	v_or_b32_e32 v9, 0xd00, v0
	v_dual_mov_b32 v13, 0 :: v_dual_mov_b32 v14, 0
	v_dual_mov_b32 v11, 0 :: v_dual_mov_b32 v12, 0
	s_delay_alu instid0(VALU_DEP_3)
	v_cmp_gt_u32_e32 vcc_lo, s8, v9
	v_dual_mov_b32 v9, 0 :: v_dual_mov_b32 v10, 0
	s_wait_xcnt 0x0
	s_and_saveexec_b32 s19, vcc_lo
	s_cbranch_execz .LBB160_70
; %bb.65:
	global_load_b32 v14, v[4:5], off offset:13312
	global_load_b32 v13, v[6:7], off offset:13312
	v_or_b32_e32 v9, 0xe00, v0
	v_dual_mov_b32 v11, 0 :: v_dual_mov_b32 v12, 0
	v_mov_b32_e32 v10, 0
	s_delay_alu instid0(VALU_DEP_3)
	v_cmp_gt_u32_e32 vcc_lo, s8, v9
	v_mov_b32_e32 v9, 0
	s_wait_xcnt 0x0
	s_and_saveexec_b32 s20, vcc_lo
	s_cbranch_execz .LBB160_69
; %bb.66:
	global_load_b32 v12, v[4:5], off offset:14336
	global_load_b32 v11, v[6:7], off offset:14336
	v_or_b32_e32 v9, 0xf00, v0
	v_mov_b32_e32 v10, 0
	s_delay_alu instid0(VALU_DEP_2)
	v_cmp_gt_u32_e32 vcc_lo, s8, v9
	v_mov_b32_e32 v9, 0
	s_wait_xcnt 0x0
	s_and_saveexec_b32 s21, vcc_lo
	s_cbranch_execz .LBB160_68
; %bb.67:
	global_load_b32 v10, v[4:5], off offset:15360
	global_load_b32 v9, v[6:7], off offset:15360
.LBB160_68:
	s_wait_xcnt 0x0
	s_or_b32 exec_lo, exec_lo, s21
.LBB160_69:
	s_delay_alu instid0(SALU_CYCLE_1)
	s_or_b32 exec_lo, exec_lo, s20
.LBB160_70:
	s_delay_alu instid0(SALU_CYCLE_1)
	s_or_b32 exec_lo, exec_lo, s19
.LBB160_71:
	s_delay_alu instid0(SALU_CYCLE_1)
	s_or_b32 exec_lo, exec_lo, s18
.LBB160_72:
	s_delay_alu instid0(SALU_CYCLE_1)
	s_or_b32 exec_lo, exec_lo, s17
.LBB160_73:
	s_delay_alu instid0(SALU_CYCLE_1)
	s_or_b32 exec_lo, exec_lo, s16
.LBB160_74:
	s_delay_alu instid0(SALU_CYCLE_1)
	s_or_b32 exec_lo, exec_lo, s15
.LBB160_75:
	s_delay_alu instid0(SALU_CYCLE_1)
	s_or_b32 exec_lo, exec_lo, s14
.LBB160_76:
	s_delay_alu instid0(SALU_CYCLE_1)
	s_or_b32 exec_lo, exec_lo, s13
.LBB160_77:
	s_delay_alu instid0(SALU_CYCLE_1)
	s_or_b32 exec_lo, exec_lo, s11
.LBB160_78:
	s_delay_alu instid0(SALU_CYCLE_1)
	s_or_b32 exec_lo, exec_lo, s10
.LBB160_79:
	s_delay_alu instid0(SALU_CYCLE_1)
	s_or_b32 exec_lo, exec_lo, s7
.LBB160_80:
	s_delay_alu instid0(SALU_CYCLE_1)
	s_or_b32 exec_lo, exec_lo, s6
	s_wait_loadcnt 0x0
	v_dual_mov_b32 v7, v3 :: v_dual_mov_b32 v3, v2
.LBB160_81:
	s_or_b32 exec_lo, exec_lo, s12
.LBB160_82:
	s_delay_alu instid0(SALU_CYCLE_1)
	s_or_b32 exec_lo, exec_lo, s3
.LBB160_83:
	s_delay_alu instid0(SALU_CYCLE_1)
	s_or_b32 exec_lo, exec_lo, s1
	s_cmp_lg_u32 s9, 0
                                        ; implicit-def: $vgpr2
	s_cselect_b32 s3, -1, 0
	s_and_saveexec_b32 s6, s0
	s_cbranch_execz .LBB160_88
; %bb.84:
	s_wait_loadcnt 0x0
	v_dual_lshlrev_b32 v2, 16, v38 :: v_dual_lshlrev_b32 v4, 16, v37
	v_and_b32_e32 v5, 0xffff0000, v38
	v_and_b32_e32 v6, 0xffff0000, v37
	s_and_b32 vcc_lo, exec_lo, s3
	s_cbranch_vccz .LBB160_212
; %bb.85:
	v_cmp_neq_f32_e32 vcc_lo, v4, v2
	s_delay_alu instid0(VALU_DEP_2)
	v_cmp_neq_f32_e64 s1, v6, v5
	s_or_b32 s7, vcc_lo, s1
	s_cbranch_execnz .LBB160_87
.LBB160_86:
	v_cmp_eq_f32_e32 vcc_lo, v4, v2
	v_cmp_eq_f32_e64 s1, v6, v5
	s_and_not1_b32 s7, s7, exec_lo
	s_and_b32 s1, vcc_lo, s1
	s_delay_alu instid0(SALU_CYCLE_1) | instskip(NEXT) | instid1(SALU_CYCLE_1)
	s_and_b32 s1, s1, exec_lo
	s_or_b32 s7, s7, s1
.LBB160_87:
	s_delay_alu instid0(SALU_CYCLE_1)
	v_cndmask_b32_e64 v2, 0, 1, s7
.LBB160_88:
	s_or_b32 exec_lo, exec_lo, s6
	v_cndmask_b32_e64 v5, 0, 1, s3
	s_mov_b32 s6, exec_lo
                                        ; implicit-def: $vgpr4
	v_cmpx_gt_i32_e64 s8, v8
	s_cbranch_execz .LBB160_93
; %bb.89:
	s_wait_loadcnt 0x0
	v_dual_lshlrev_b32 v4, 16, v36 :: v_dual_lshlrev_b32 v6, 16, v35
	v_and_b32_e32 v36, 0xffff0000, v36
	v_and_b32_e32 v35, 0xffff0000, v35
	s_and_not1_b32 vcc_lo, exec_lo, s3
	s_cbranch_vccnz .LBB160_213
; %bb.90:
	v_cmp_neq_f32_e32 vcc_lo, v6, v4
	s_delay_alu instid0(VALU_DEP_2)
	v_cmp_neq_f32_e64 s1, v35, v36
	s_or_b32 s3, vcc_lo, s1
	s_cbranch_execnz .LBB160_92
.LBB160_91:
	v_cmp_eq_f32_e32 vcc_lo, v6, v4
	v_cmp_eq_f32_e64 s1, v35, v36
	s_and_not1_b32 s3, s3, exec_lo
	s_and_b32 s1, vcc_lo, s1
	s_delay_alu instid0(SALU_CYCLE_1) | instskip(NEXT) | instid1(SALU_CYCLE_1)
	s_and_b32 s1, s1, exec_lo
	s_or_b32 s3, s3, s1
.LBB160_92:
	s_delay_alu instid0(SALU_CYCLE_1)
	v_cndmask_b32_e64 v4, 0, 1, s3
.LBB160_93:
	s_or_b32 exec_lo, exec_lo, s6
	v_or_b32_e32 v6, 0x200, v0
	s_delay_alu instid0(VALU_DEP_1)
	v_cmp_gt_i32_e32 vcc_lo, s8, v6
                                        ; implicit-def: $vgpr6
	s_and_saveexec_b32 s3, vcc_lo
	s_cbranch_execz .LBB160_98
; %bb.94:
	v_cmp_ne_u32_e32 vcc_lo, 1, v5
	s_wait_loadcnt 0x1
	v_dual_lshlrev_b32 v6, 16, v3 :: v_dual_lshlrev_b32 v35, 16, v34
	v_and_b32_e32 v3, 0xffff0000, v3
	v_and_b32_e32 v34, 0xffff0000, v34
	s_cbranch_vccnz .LBB160_214
; %bb.95:
	s_delay_alu instid0(VALU_DEP_3) | instskip(NEXT) | instid1(VALU_DEP_2)
	v_cmp_neq_f32_e32 vcc_lo, v35, v6
	v_cmp_neq_f32_e64 s1, v34, v3
	s_or_b32 s6, vcc_lo, s1
	s_cbranch_execnz .LBB160_97
.LBB160_96:
	v_cmp_eq_f32_e32 vcc_lo, v35, v6
	s_delay_alu instid0(VALU_DEP_2) | instskip(SKIP_2) | instid1(SALU_CYCLE_1)
	v_cmp_eq_f32_e64 s1, v34, v3
	s_and_not1_b32 s6, s6, exec_lo
	s_and_b32 s1, vcc_lo, s1
	s_and_b32 s1, s1, exec_lo
	s_delay_alu instid0(SALU_CYCLE_1)
	s_or_b32 s6, s6, s1
.LBB160_97:
	s_delay_alu instid0(SALU_CYCLE_1)
	v_cndmask_b32_e64 v6, 0, 1, s6
.LBB160_98:
	s_or_b32 exec_lo, exec_lo, s3
	v_or_b32_e32 v3, 0x300, v0
	s_delay_alu instid0(VALU_DEP_1)
	v_cmp_gt_i32_e32 vcc_lo, s8, v3
                                        ; implicit-def: $vgpr3
	s_and_saveexec_b32 s3, vcc_lo
	s_cbranch_execz .LBB160_103
; %bb.99:
	v_cmp_ne_u32_e32 vcc_lo, 1, v5
	v_dual_lshlrev_b32 v3, 16, v7 :: v_dual_lshlrev_b32 v34, 16, v33
	v_and_b32_e32 v7, 0xffff0000, v7
	v_and_b32_e32 v33, 0xffff0000, v33
	s_cbranch_vccnz .LBB160_215
; %bb.100:
	s_delay_alu instid0(VALU_DEP_3) | instskip(NEXT) | instid1(VALU_DEP_2)
	v_cmp_neq_f32_e32 vcc_lo, v34, v3
	v_cmp_neq_f32_e64 s1, v33, v7
	s_or_b32 s6, vcc_lo, s1
	s_cbranch_execnz .LBB160_102
.LBB160_101:
	v_cmp_eq_f32_e32 vcc_lo, v34, v3
	s_delay_alu instid0(VALU_DEP_2) | instskip(SKIP_2) | instid1(SALU_CYCLE_1)
	v_cmp_eq_f32_e64 s1, v33, v7
	s_and_not1_b32 s6, s6, exec_lo
	s_and_b32 s1, vcc_lo, s1
	s_and_b32 s1, s1, exec_lo
	s_delay_alu instid0(SALU_CYCLE_1)
	s_or_b32 s6, s6, s1
.LBB160_102:
	s_delay_alu instid0(SALU_CYCLE_1)
	v_cndmask_b32_e64 v3, 0, 1, s6
.LBB160_103:
	s_or_b32 exec_lo, exec_lo, s3
	v_or_b32_e32 v7, 0x400, v0
	s_delay_alu instid0(VALU_DEP_1)
	v_cmp_gt_i32_e32 vcc_lo, s8, v7
                                        ; implicit-def: $vgpr7
	s_and_saveexec_b32 s3, vcc_lo
	s_cbranch_execz .LBB160_108
; %bb.104:
	v_cmp_ne_u32_e32 vcc_lo, 1, v5
	v_dual_lshlrev_b32 v7, 16, v31 :: v_dual_lshlrev_b32 v33, 16, v32
	v_and_b32_e32 v31, 0xffff0000, v31
	v_and_b32_e32 v32, 0xffff0000, v32
	s_cbranch_vccnz .LBB160_216
; %bb.105:
	s_delay_alu instid0(VALU_DEP_3) | instskip(NEXT) | instid1(VALU_DEP_2)
	v_cmp_neq_f32_e32 vcc_lo, v33, v7
	v_cmp_neq_f32_e64 s1, v32, v31
	s_or_b32 s6, vcc_lo, s1
	s_cbranch_execnz .LBB160_107
.LBB160_106:
	v_cmp_eq_f32_e32 vcc_lo, v33, v7
	s_delay_alu instid0(VALU_DEP_2) | instskip(SKIP_2) | instid1(SALU_CYCLE_1)
	v_cmp_eq_f32_e64 s1, v32, v31
	s_and_not1_b32 s6, s6, exec_lo
	s_and_b32 s1, vcc_lo, s1
	s_and_b32 s1, s1, exec_lo
	s_delay_alu instid0(SALU_CYCLE_1)
	s_or_b32 s6, s6, s1
.LBB160_107:
	s_delay_alu instid0(SALU_CYCLE_1)
	v_cndmask_b32_e64 v7, 0, 1, s6
.LBB160_108:
	s_or_b32 exec_lo, exec_lo, s3
	v_or_b32_e32 v31, 0x500, v0
	s_delay_alu instid0(VALU_DEP_1)
	v_cmp_gt_i32_e32 vcc_lo, s8, v31
                                        ; implicit-def: $vgpr31
	s_and_saveexec_b32 s3, vcc_lo
	s_cbranch_execz .LBB160_113
; %bb.109:
	v_cmp_ne_u32_e32 vcc_lo, 1, v5
	v_dual_lshlrev_b32 v31, 16, v29 :: v_dual_lshlrev_b32 v32, 16, v30
	v_and_b32_e32 v29, 0xffff0000, v29
	v_and_b32_e32 v30, 0xffff0000, v30
	s_cbranch_vccnz .LBB160_217
; %bb.110:
	s_delay_alu instid0(VALU_DEP_3) | instskip(NEXT) | instid1(VALU_DEP_2)
	v_cmp_neq_f32_e32 vcc_lo, v32, v31
	v_cmp_neq_f32_e64 s1, v30, v29
	s_or_b32 s6, vcc_lo, s1
	s_cbranch_execnz .LBB160_112
.LBB160_111:
	v_cmp_eq_f32_e32 vcc_lo, v32, v31
	s_delay_alu instid0(VALU_DEP_2) | instskip(SKIP_2) | instid1(SALU_CYCLE_1)
	v_cmp_eq_f32_e64 s1, v30, v29
	s_and_not1_b32 s6, s6, exec_lo
	s_and_b32 s1, vcc_lo, s1
	s_and_b32 s1, s1, exec_lo
	s_delay_alu instid0(SALU_CYCLE_1)
	s_or_b32 s6, s6, s1
.LBB160_112:
	s_delay_alu instid0(SALU_CYCLE_1)
	v_cndmask_b32_e64 v31, 0, 1, s6
.LBB160_113:
	s_or_b32 exec_lo, exec_lo, s3
	v_or_b32_e32 v29, 0x600, v0
	s_delay_alu instid0(VALU_DEP_1)
	v_cmp_gt_i32_e32 vcc_lo, s8, v29
                                        ; implicit-def: $vgpr29
	s_and_saveexec_b32 s3, vcc_lo
	s_cbranch_execz .LBB160_118
; %bb.114:
	v_cmp_ne_u32_e32 vcc_lo, 1, v5
	v_dual_lshlrev_b32 v29, 16, v27 :: v_dual_lshlrev_b32 v30, 16, v28
	v_and_b32_e32 v27, 0xffff0000, v27
	v_and_b32_e32 v28, 0xffff0000, v28
	s_cbranch_vccnz .LBB160_218
; %bb.115:
	s_delay_alu instid0(VALU_DEP_3) | instskip(NEXT) | instid1(VALU_DEP_2)
	v_cmp_neq_f32_e32 vcc_lo, v30, v29
	v_cmp_neq_f32_e64 s1, v28, v27
	s_or_b32 s6, vcc_lo, s1
	s_cbranch_execnz .LBB160_117
.LBB160_116:
	v_cmp_eq_f32_e32 vcc_lo, v30, v29
	s_delay_alu instid0(VALU_DEP_2) | instskip(SKIP_2) | instid1(SALU_CYCLE_1)
	v_cmp_eq_f32_e64 s1, v28, v27
	s_and_not1_b32 s6, s6, exec_lo
	s_and_b32 s1, vcc_lo, s1
	s_and_b32 s1, s1, exec_lo
	s_delay_alu instid0(SALU_CYCLE_1)
	s_or_b32 s6, s6, s1
.LBB160_117:
	s_delay_alu instid0(SALU_CYCLE_1)
	v_cndmask_b32_e64 v29, 0, 1, s6
.LBB160_118:
	s_or_b32 exec_lo, exec_lo, s3
	v_or_b32_e32 v27, 0x700, v0
	s_delay_alu instid0(VALU_DEP_1)
	v_cmp_gt_i32_e32 vcc_lo, s8, v27
                                        ; implicit-def: $vgpr27
	s_and_saveexec_b32 s3, vcc_lo
	s_cbranch_execz .LBB160_123
; %bb.119:
	v_cmp_ne_u32_e32 vcc_lo, 1, v5
	v_dual_lshlrev_b32 v27, 16, v25 :: v_dual_lshlrev_b32 v28, 16, v26
	v_and_b32_e32 v25, 0xffff0000, v25
	v_and_b32_e32 v26, 0xffff0000, v26
	s_cbranch_vccnz .LBB160_219
; %bb.120:
	s_delay_alu instid0(VALU_DEP_3) | instskip(NEXT) | instid1(VALU_DEP_2)
	v_cmp_neq_f32_e32 vcc_lo, v28, v27
	v_cmp_neq_f32_e64 s1, v26, v25
	s_or_b32 s6, vcc_lo, s1
	s_cbranch_execnz .LBB160_122
.LBB160_121:
	v_cmp_eq_f32_e32 vcc_lo, v28, v27
	s_delay_alu instid0(VALU_DEP_2) | instskip(SKIP_2) | instid1(SALU_CYCLE_1)
	v_cmp_eq_f32_e64 s1, v26, v25
	s_and_not1_b32 s6, s6, exec_lo
	s_and_b32 s1, vcc_lo, s1
	s_and_b32 s1, s1, exec_lo
	s_delay_alu instid0(SALU_CYCLE_1)
	s_or_b32 s6, s6, s1
.LBB160_122:
	s_delay_alu instid0(SALU_CYCLE_1)
	v_cndmask_b32_e64 v27, 0, 1, s6
.LBB160_123:
	s_or_b32 exec_lo, exec_lo, s3
	v_or_b32_e32 v25, 0x800, v0
	s_delay_alu instid0(VALU_DEP_1)
	v_cmp_gt_i32_e32 vcc_lo, s8, v25
                                        ; implicit-def: $vgpr25
	s_and_saveexec_b32 s3, vcc_lo
	s_cbranch_execz .LBB160_128
; %bb.124:
	v_cmp_ne_u32_e32 vcc_lo, 1, v5
	v_dual_lshlrev_b32 v25, 16, v23 :: v_dual_lshlrev_b32 v26, 16, v24
	v_and_b32_e32 v23, 0xffff0000, v23
	v_and_b32_e32 v24, 0xffff0000, v24
	s_cbranch_vccnz .LBB160_220
; %bb.125:
	s_delay_alu instid0(VALU_DEP_3) | instskip(NEXT) | instid1(VALU_DEP_2)
	v_cmp_neq_f32_e32 vcc_lo, v26, v25
	v_cmp_neq_f32_e64 s1, v24, v23
	s_or_b32 s6, vcc_lo, s1
	s_cbranch_execnz .LBB160_127
.LBB160_126:
	v_cmp_eq_f32_e32 vcc_lo, v26, v25
	s_delay_alu instid0(VALU_DEP_2) | instskip(SKIP_2) | instid1(SALU_CYCLE_1)
	v_cmp_eq_f32_e64 s1, v24, v23
	s_and_not1_b32 s6, s6, exec_lo
	s_and_b32 s1, vcc_lo, s1
	s_and_b32 s1, s1, exec_lo
	s_delay_alu instid0(SALU_CYCLE_1)
	s_or_b32 s6, s6, s1
.LBB160_127:
	s_delay_alu instid0(SALU_CYCLE_1)
	v_cndmask_b32_e64 v25, 0, 1, s6
.LBB160_128:
	s_or_b32 exec_lo, exec_lo, s3
	v_or_b32_e32 v23, 0x900, v0
	s_delay_alu instid0(VALU_DEP_1)
	v_cmp_gt_i32_e32 vcc_lo, s8, v23
                                        ; implicit-def: $vgpr23
	s_and_saveexec_b32 s3, vcc_lo
	s_cbranch_execz .LBB160_133
; %bb.129:
	v_cmp_ne_u32_e32 vcc_lo, 1, v5
	v_dual_lshlrev_b32 v23, 16, v21 :: v_dual_lshlrev_b32 v24, 16, v22
	v_and_b32_e32 v21, 0xffff0000, v21
	v_and_b32_e32 v22, 0xffff0000, v22
	s_cbranch_vccnz .LBB160_221
; %bb.130:
	s_delay_alu instid0(VALU_DEP_3) | instskip(NEXT) | instid1(VALU_DEP_2)
	v_cmp_neq_f32_e32 vcc_lo, v24, v23
	v_cmp_neq_f32_e64 s1, v22, v21
	s_or_b32 s6, vcc_lo, s1
	s_cbranch_execnz .LBB160_132
.LBB160_131:
	v_cmp_eq_f32_e32 vcc_lo, v24, v23
	s_delay_alu instid0(VALU_DEP_2) | instskip(SKIP_2) | instid1(SALU_CYCLE_1)
	v_cmp_eq_f32_e64 s1, v22, v21
	s_and_not1_b32 s6, s6, exec_lo
	s_and_b32 s1, vcc_lo, s1
	s_and_b32 s1, s1, exec_lo
	s_delay_alu instid0(SALU_CYCLE_1)
	s_or_b32 s6, s6, s1
.LBB160_132:
	s_delay_alu instid0(SALU_CYCLE_1)
	v_cndmask_b32_e64 v23, 0, 1, s6
.LBB160_133:
	s_or_b32 exec_lo, exec_lo, s3
	v_or_b32_e32 v21, 0xa00, v0
	s_delay_alu instid0(VALU_DEP_1)
	v_cmp_gt_i32_e32 vcc_lo, s8, v21
                                        ; implicit-def: $vgpr21
	s_and_saveexec_b32 s3, vcc_lo
	s_cbranch_execz .LBB160_138
; %bb.134:
	v_cmp_ne_u32_e32 vcc_lo, 1, v5
	v_dual_lshlrev_b32 v21, 16, v19 :: v_dual_lshlrev_b32 v22, 16, v20
	v_and_b32_e32 v19, 0xffff0000, v19
	v_and_b32_e32 v20, 0xffff0000, v20
	s_cbranch_vccnz .LBB160_222
; %bb.135:
	s_delay_alu instid0(VALU_DEP_3) | instskip(NEXT) | instid1(VALU_DEP_2)
	v_cmp_neq_f32_e32 vcc_lo, v22, v21
	v_cmp_neq_f32_e64 s1, v20, v19
	s_or_b32 s6, vcc_lo, s1
	s_cbranch_execnz .LBB160_137
.LBB160_136:
	v_cmp_eq_f32_e32 vcc_lo, v22, v21
	s_delay_alu instid0(VALU_DEP_2) | instskip(SKIP_2) | instid1(SALU_CYCLE_1)
	v_cmp_eq_f32_e64 s1, v20, v19
	s_and_not1_b32 s6, s6, exec_lo
	s_and_b32 s1, vcc_lo, s1
	s_and_b32 s1, s1, exec_lo
	s_delay_alu instid0(SALU_CYCLE_1)
	s_or_b32 s6, s6, s1
.LBB160_137:
	s_delay_alu instid0(SALU_CYCLE_1)
	v_cndmask_b32_e64 v21, 0, 1, s6
.LBB160_138:
	s_or_b32 exec_lo, exec_lo, s3
	v_or_b32_e32 v19, 0xb00, v0
	s_delay_alu instid0(VALU_DEP_1)
	v_cmp_gt_i32_e32 vcc_lo, s8, v19
                                        ; implicit-def: $vgpr19
	s_and_saveexec_b32 s3, vcc_lo
	s_cbranch_execz .LBB160_143
; %bb.139:
	v_cmp_ne_u32_e32 vcc_lo, 1, v5
	v_dual_lshlrev_b32 v19, 16, v17 :: v_dual_lshlrev_b32 v20, 16, v18
	v_and_b32_e32 v17, 0xffff0000, v17
	v_and_b32_e32 v18, 0xffff0000, v18
	s_cbranch_vccnz .LBB160_223
; %bb.140:
	s_delay_alu instid0(VALU_DEP_3) | instskip(NEXT) | instid1(VALU_DEP_2)
	v_cmp_neq_f32_e32 vcc_lo, v20, v19
	v_cmp_neq_f32_e64 s1, v18, v17
	s_or_b32 s6, vcc_lo, s1
	s_cbranch_execnz .LBB160_142
.LBB160_141:
	v_cmp_eq_f32_e32 vcc_lo, v20, v19
	s_delay_alu instid0(VALU_DEP_2) | instskip(SKIP_2) | instid1(SALU_CYCLE_1)
	v_cmp_eq_f32_e64 s1, v18, v17
	s_and_not1_b32 s6, s6, exec_lo
	s_and_b32 s1, vcc_lo, s1
	s_and_b32 s1, s1, exec_lo
	s_delay_alu instid0(SALU_CYCLE_1)
	s_or_b32 s6, s6, s1
.LBB160_142:
	s_delay_alu instid0(SALU_CYCLE_1)
	v_cndmask_b32_e64 v19, 0, 1, s6
.LBB160_143:
	s_or_b32 exec_lo, exec_lo, s3
	v_or_b32_e32 v17, 0xc00, v0
	s_delay_alu instid0(VALU_DEP_1)
	v_cmp_gt_i32_e32 vcc_lo, s8, v17
                                        ; implicit-def: $vgpr17
	s_and_saveexec_b32 s3, vcc_lo
	s_cbranch_execz .LBB160_148
; %bb.144:
	v_cmp_ne_u32_e32 vcc_lo, 1, v5
	v_dual_lshlrev_b32 v17, 16, v15 :: v_dual_lshlrev_b32 v18, 16, v16
	v_and_b32_e32 v15, 0xffff0000, v15
	v_and_b32_e32 v16, 0xffff0000, v16
	s_cbranch_vccnz .LBB160_224
; %bb.145:
	s_delay_alu instid0(VALU_DEP_3) | instskip(NEXT) | instid1(VALU_DEP_2)
	v_cmp_neq_f32_e32 vcc_lo, v18, v17
	v_cmp_neq_f32_e64 s1, v16, v15
	s_or_b32 s6, vcc_lo, s1
	s_cbranch_execnz .LBB160_147
.LBB160_146:
	v_cmp_eq_f32_e32 vcc_lo, v18, v17
	s_delay_alu instid0(VALU_DEP_2) | instskip(SKIP_2) | instid1(SALU_CYCLE_1)
	v_cmp_eq_f32_e64 s1, v16, v15
	s_and_not1_b32 s6, s6, exec_lo
	s_and_b32 s1, vcc_lo, s1
	s_and_b32 s1, s1, exec_lo
	s_delay_alu instid0(SALU_CYCLE_1)
	s_or_b32 s6, s6, s1
.LBB160_147:
	s_delay_alu instid0(SALU_CYCLE_1)
	v_cndmask_b32_e64 v17, 0, 1, s6
.LBB160_148:
	s_or_b32 exec_lo, exec_lo, s3
	v_or_b32_e32 v15, 0xd00, v0
	s_delay_alu instid0(VALU_DEP_1)
	v_cmp_gt_i32_e32 vcc_lo, s8, v15
                                        ; implicit-def: $vgpr15
	s_and_saveexec_b32 s3, vcc_lo
	s_cbranch_execz .LBB160_153
; %bb.149:
	v_cmp_ne_u32_e32 vcc_lo, 1, v5
	v_dual_lshlrev_b32 v15, 16, v13 :: v_dual_lshlrev_b32 v16, 16, v14
	v_and_b32_e32 v13, 0xffff0000, v13
	v_and_b32_e32 v14, 0xffff0000, v14
	s_cbranch_vccnz .LBB160_225
; %bb.150:
	s_delay_alu instid0(VALU_DEP_3) | instskip(NEXT) | instid1(VALU_DEP_2)
	v_cmp_neq_f32_e32 vcc_lo, v16, v15
	v_cmp_neq_f32_e64 s1, v14, v13
	s_or_b32 s6, vcc_lo, s1
	s_cbranch_execnz .LBB160_152
.LBB160_151:
	v_cmp_eq_f32_e32 vcc_lo, v16, v15
	s_delay_alu instid0(VALU_DEP_2) | instskip(SKIP_2) | instid1(SALU_CYCLE_1)
	v_cmp_eq_f32_e64 s1, v14, v13
	s_and_not1_b32 s6, s6, exec_lo
	s_and_b32 s1, vcc_lo, s1
	s_and_b32 s1, s1, exec_lo
	s_delay_alu instid0(SALU_CYCLE_1)
	s_or_b32 s6, s6, s1
.LBB160_152:
	s_delay_alu instid0(SALU_CYCLE_1)
	v_cndmask_b32_e64 v15, 0, 1, s6
.LBB160_153:
	s_or_b32 exec_lo, exec_lo, s3
	v_or_b32_e32 v13, 0xe00, v0
	s_delay_alu instid0(VALU_DEP_1)
	v_cmp_gt_i32_e32 vcc_lo, s8, v13
                                        ; implicit-def: $vgpr13
	s_and_saveexec_b32 s3, vcc_lo
	s_cbranch_execz .LBB160_158
; %bb.154:
	v_cmp_ne_u32_e32 vcc_lo, 1, v5
	v_dual_lshlrev_b32 v13, 16, v11 :: v_dual_lshlrev_b32 v14, 16, v12
	v_and_b32_e32 v11, 0xffff0000, v11
	v_and_b32_e32 v12, 0xffff0000, v12
	s_cbranch_vccnz .LBB160_226
; %bb.155:
	s_delay_alu instid0(VALU_DEP_3) | instskip(NEXT) | instid1(VALU_DEP_2)
	v_cmp_neq_f32_e32 vcc_lo, v14, v13
	v_cmp_neq_f32_e64 s1, v12, v11
	s_or_b32 s6, vcc_lo, s1
	s_cbranch_execnz .LBB160_157
.LBB160_156:
	v_cmp_eq_f32_e32 vcc_lo, v14, v13
	s_delay_alu instid0(VALU_DEP_2) | instskip(SKIP_2) | instid1(SALU_CYCLE_1)
	v_cmp_eq_f32_e64 s1, v12, v11
	s_and_not1_b32 s6, s6, exec_lo
	s_and_b32 s1, vcc_lo, s1
	s_and_b32 s1, s1, exec_lo
	s_delay_alu instid0(SALU_CYCLE_1)
	s_or_b32 s6, s6, s1
.LBB160_157:
	s_delay_alu instid0(SALU_CYCLE_1)
	v_cndmask_b32_e64 v13, 0, 1, s6
.LBB160_158:
	s_or_b32 exec_lo, exec_lo, s3
	v_or_b32_e32 v11, 0xf00, v0
	s_delay_alu instid0(VALU_DEP_1)
	v_cmp_gt_i32_e32 vcc_lo, s8, v11
                                        ; implicit-def: $vgpr11
	s_and_saveexec_b32 s3, vcc_lo
	s_cbranch_execz .LBB160_163
; %bb.159:
	v_cmp_ne_u32_e32 vcc_lo, 1, v5
	v_dual_lshlrev_b32 v5, 16, v9 :: v_dual_lshlrev_b32 v11, 16, v10
	v_and_b32_e32 v9, 0xffff0000, v9
	v_and_b32_e32 v10, 0xffff0000, v10
	s_cbranch_vccnz .LBB160_227
; %bb.160:
	s_delay_alu instid0(VALU_DEP_3) | instskip(NEXT) | instid1(VALU_DEP_2)
	v_cmp_neq_f32_e32 vcc_lo, v11, v5
	v_cmp_neq_f32_e64 s1, v10, v9
	s_or_b32 s6, vcc_lo, s1
	s_cbranch_execnz .LBB160_162
.LBB160_161:
	v_cmp_eq_f32_e32 vcc_lo, v11, v5
	s_delay_alu instid0(VALU_DEP_2) | instskip(SKIP_2) | instid1(SALU_CYCLE_1)
	v_cmp_eq_f32_e64 s1, v10, v9
	s_and_not1_b32 s6, s6, exec_lo
	s_and_b32 s1, vcc_lo, s1
	s_and_b32 s1, s1, exec_lo
	s_delay_alu instid0(SALU_CYCLE_1)
	s_or_b32 s6, s6, s1
.LBB160_162:
	s_delay_alu instid0(SALU_CYCLE_1)
	v_cndmask_b32_e64 v11, 0, 1, s6
.LBB160_163:
	s_or_b32 exec_lo, exec_lo, s3
	s_and_saveexec_b32 s1, s0
	s_delay_alu instid0(SALU_CYCLE_1)
	s_xor_b32 s0, exec_lo, s1
	s_cbranch_execz .LBB160_165
; %bb.164:
	v_mov_b32_e32 v0, v8
	global_store_b8 v1, v2, s[4:5]
.LBB160_165:
	s_wait_xcnt 0x0
	s_or_b32 exec_lo, exec_lo, s0
	s_delay_alu instid0(SALU_CYCLE_1)
	s_mov_b32 s0, exec_lo
	v_cmpx_gt_i32_e64 s8, v0
	s_cbranch_execnz .LBB160_181
; %bb.166:
	s_or_b32 exec_lo, exec_lo, s0
	s_delay_alu instid0(SALU_CYCLE_1)
	s_mov_b32 s0, exec_lo
	v_cmpx_gt_i32_e64 s8, v0
	s_cbranch_execnz .LBB160_182
.LBB160_167:
	s_or_b32 exec_lo, exec_lo, s0
	s_delay_alu instid0(SALU_CYCLE_1)
	s_mov_b32 s0, exec_lo
	v_cmpx_gt_i32_e64 s8, v0
	s_cbranch_execnz .LBB160_183
.LBB160_168:
	s_or_b32 exec_lo, exec_lo, s0
	s_delay_alu instid0(SALU_CYCLE_1)
	s_mov_b32 s0, exec_lo
	v_cmpx_gt_i32_e64 s8, v0
	s_cbranch_execnz .LBB160_184
.LBB160_169:
	s_or_b32 exec_lo, exec_lo, s0
	s_delay_alu instid0(SALU_CYCLE_1)
	s_mov_b32 s0, exec_lo
	v_cmpx_gt_i32_e64 s8, v0
	s_cbranch_execnz .LBB160_185
.LBB160_170:
	s_or_b32 exec_lo, exec_lo, s0
	s_delay_alu instid0(SALU_CYCLE_1)
	s_mov_b32 s0, exec_lo
	v_cmpx_gt_i32_e64 s8, v0
	s_cbranch_execnz .LBB160_186
.LBB160_171:
	s_or_b32 exec_lo, exec_lo, s0
	s_delay_alu instid0(SALU_CYCLE_1)
	s_mov_b32 s0, exec_lo
	v_cmpx_gt_i32_e64 s8, v0
	s_cbranch_execnz .LBB160_187
.LBB160_172:
	s_or_b32 exec_lo, exec_lo, s0
	s_delay_alu instid0(SALU_CYCLE_1)
	s_mov_b32 s0, exec_lo
	v_cmpx_gt_i32_e64 s8, v0
	s_cbranch_execnz .LBB160_188
.LBB160_173:
	s_or_b32 exec_lo, exec_lo, s0
	s_delay_alu instid0(SALU_CYCLE_1)
	s_mov_b32 s0, exec_lo
	v_cmpx_gt_i32_e64 s8, v0
	s_cbranch_execnz .LBB160_189
.LBB160_174:
	s_or_b32 exec_lo, exec_lo, s0
	s_delay_alu instid0(SALU_CYCLE_1)
	s_mov_b32 s0, exec_lo
	v_cmpx_gt_i32_e64 s8, v0
	s_cbranch_execnz .LBB160_190
.LBB160_175:
	s_or_b32 exec_lo, exec_lo, s0
	s_delay_alu instid0(SALU_CYCLE_1)
	s_mov_b32 s0, exec_lo
	v_cmpx_gt_i32_e64 s8, v0
	s_cbranch_execnz .LBB160_191
.LBB160_176:
	s_or_b32 exec_lo, exec_lo, s0
	s_delay_alu instid0(SALU_CYCLE_1)
	s_mov_b32 s0, exec_lo
	v_cmpx_gt_i32_e64 s8, v0
	s_cbranch_execnz .LBB160_192
.LBB160_177:
	s_or_b32 exec_lo, exec_lo, s0
	s_delay_alu instid0(SALU_CYCLE_1)
	s_mov_b32 s0, exec_lo
	v_cmpx_gt_i32_e64 s8, v0
	s_cbranch_execnz .LBB160_193
.LBB160_178:
	s_or_b32 exec_lo, exec_lo, s0
	s_delay_alu instid0(SALU_CYCLE_1)
	s_mov_b32 s0, exec_lo
	v_cmpx_gt_i32_e64 s8, v0
	s_cbranch_execnz .LBB160_194
.LBB160_179:
	s_or_b32 exec_lo, exec_lo, s0
	s_delay_alu instid0(SALU_CYCLE_1)
	s_mov_b32 s0, exec_lo
	v_cmpx_gt_i32_e64 s8, v0
	s_cbranch_execz .LBB160_195
.LBB160_180:
	v_add_nc_u32_e32 v0, s2, v0
	global_store_b8 v0, v11, s[4:5]
	s_endpgm
.LBB160_181:
	v_add_nc_u32_e32 v1, s2, v0
	v_add_nc_u32_e32 v0, 0x100, v0
	global_store_b8 v1, v4, s[4:5]
	s_wait_xcnt 0x0
	s_or_b32 exec_lo, exec_lo, s0
	s_delay_alu instid0(SALU_CYCLE_1)
	s_mov_b32 s0, exec_lo
	v_cmpx_gt_i32_e64 s8, v0
	s_cbranch_execz .LBB160_167
.LBB160_182:
	v_add_nc_u32_e32 v1, s2, v0
	v_add_nc_u32_e32 v0, 0x100, v0
	global_store_b8 v1, v6, s[4:5]
	s_wait_xcnt 0x0
	s_or_b32 exec_lo, exec_lo, s0
	s_delay_alu instid0(SALU_CYCLE_1)
	s_mov_b32 s0, exec_lo
	v_cmpx_gt_i32_e64 s8, v0
	s_cbranch_execz .LBB160_168
.LBB160_183:
	v_add_nc_u32_e32 v1, s2, v0
	v_add_nc_u32_e32 v0, 0x100, v0
	global_store_b8 v1, v3, s[4:5]
	s_wait_xcnt 0x0
	s_or_b32 exec_lo, exec_lo, s0
	s_delay_alu instid0(SALU_CYCLE_1)
	s_mov_b32 s0, exec_lo
	v_cmpx_gt_i32_e64 s8, v0
	s_cbranch_execz .LBB160_169
.LBB160_184:
	v_add_nc_u32_e32 v1, s2, v0
	v_add_nc_u32_e32 v0, 0x100, v0
	global_store_b8 v1, v7, s[4:5]
	s_wait_xcnt 0x0
	s_or_b32 exec_lo, exec_lo, s0
	s_delay_alu instid0(SALU_CYCLE_1)
	s_mov_b32 s0, exec_lo
	v_cmpx_gt_i32_e64 s8, v0
	s_cbranch_execz .LBB160_170
.LBB160_185:
	v_add_nc_u32_e32 v1, s2, v0
	v_add_nc_u32_e32 v0, 0x100, v0
	global_store_b8 v1, v31, s[4:5]
	s_wait_xcnt 0x0
	s_or_b32 exec_lo, exec_lo, s0
	s_delay_alu instid0(SALU_CYCLE_1)
	s_mov_b32 s0, exec_lo
	v_cmpx_gt_i32_e64 s8, v0
	s_cbranch_execz .LBB160_171
.LBB160_186:
	v_add_nc_u32_e32 v1, s2, v0
	v_add_nc_u32_e32 v0, 0x100, v0
	global_store_b8 v1, v29, s[4:5]
	s_wait_xcnt 0x0
	s_or_b32 exec_lo, exec_lo, s0
	s_delay_alu instid0(SALU_CYCLE_1)
	s_mov_b32 s0, exec_lo
	v_cmpx_gt_i32_e64 s8, v0
	s_cbranch_execz .LBB160_172
.LBB160_187:
	v_add_nc_u32_e32 v1, s2, v0
	v_add_nc_u32_e32 v0, 0x100, v0
	global_store_b8 v1, v27, s[4:5]
	s_wait_xcnt 0x0
	s_or_b32 exec_lo, exec_lo, s0
	s_delay_alu instid0(SALU_CYCLE_1)
	s_mov_b32 s0, exec_lo
	v_cmpx_gt_i32_e64 s8, v0
	s_cbranch_execz .LBB160_173
.LBB160_188:
	v_add_nc_u32_e32 v1, s2, v0
	v_add_nc_u32_e32 v0, 0x100, v0
	global_store_b8 v1, v25, s[4:5]
	s_wait_xcnt 0x0
	s_or_b32 exec_lo, exec_lo, s0
	s_delay_alu instid0(SALU_CYCLE_1)
	s_mov_b32 s0, exec_lo
	v_cmpx_gt_i32_e64 s8, v0
	s_cbranch_execz .LBB160_174
.LBB160_189:
	v_add_nc_u32_e32 v1, s2, v0
	v_add_nc_u32_e32 v0, 0x100, v0
	global_store_b8 v1, v23, s[4:5]
	s_wait_xcnt 0x0
	s_or_b32 exec_lo, exec_lo, s0
	s_delay_alu instid0(SALU_CYCLE_1)
	s_mov_b32 s0, exec_lo
	v_cmpx_gt_i32_e64 s8, v0
	s_cbranch_execz .LBB160_175
.LBB160_190:
	v_add_nc_u32_e32 v1, s2, v0
	v_add_nc_u32_e32 v0, 0x100, v0
	global_store_b8 v1, v21, s[4:5]
	s_wait_xcnt 0x0
	s_or_b32 exec_lo, exec_lo, s0
	s_delay_alu instid0(SALU_CYCLE_1)
	s_mov_b32 s0, exec_lo
	v_cmpx_gt_i32_e64 s8, v0
	s_cbranch_execz .LBB160_176
.LBB160_191:
	v_add_nc_u32_e32 v1, s2, v0
	v_add_nc_u32_e32 v0, 0x100, v0
	global_store_b8 v1, v19, s[4:5]
	s_wait_xcnt 0x0
	s_or_b32 exec_lo, exec_lo, s0
	s_delay_alu instid0(SALU_CYCLE_1)
	s_mov_b32 s0, exec_lo
	v_cmpx_gt_i32_e64 s8, v0
	s_cbranch_execz .LBB160_177
.LBB160_192:
	v_add_nc_u32_e32 v1, s2, v0
	v_add_nc_u32_e32 v0, 0x100, v0
	global_store_b8 v1, v17, s[4:5]
	s_wait_xcnt 0x0
	s_or_b32 exec_lo, exec_lo, s0
	s_delay_alu instid0(SALU_CYCLE_1)
	s_mov_b32 s0, exec_lo
	v_cmpx_gt_i32_e64 s8, v0
	s_cbranch_execz .LBB160_178
.LBB160_193:
	v_add_nc_u32_e32 v1, s2, v0
	v_add_nc_u32_e32 v0, 0x100, v0
	global_store_b8 v1, v15, s[4:5]
	s_wait_xcnt 0x0
	s_or_b32 exec_lo, exec_lo, s0
	s_delay_alu instid0(SALU_CYCLE_1)
	s_mov_b32 s0, exec_lo
	v_cmpx_gt_i32_e64 s8, v0
	s_cbranch_execz .LBB160_179
.LBB160_194:
	v_add_nc_u32_e32 v1, s2, v0
	v_add_nc_u32_e32 v0, 0x100, v0
	global_store_b8 v1, v13, s[4:5]
	s_wait_xcnt 0x0
	s_or_b32 exec_lo, exec_lo, s0
	s_delay_alu instid0(SALU_CYCLE_1)
	s_mov_b32 s0, exec_lo
	v_cmpx_gt_i32_e64 s8, v0
	s_cbranch_execnz .LBB160_180
.LBB160_195:
	s_endpgm
.LBB160_196:
                                        ; implicit-def: $sgpr1
	s_branch .LBB160_3
.LBB160_197:
                                        ; implicit-def: $sgpr12
	s_branch .LBB160_6
.LBB160_198:
                                        ; implicit-def: $sgpr13
	s_branch .LBB160_9
.LBB160_199:
                                        ; implicit-def: $sgpr14
	s_branch .LBB160_12
.LBB160_200:
                                        ; implicit-def: $sgpr15
	s_branch .LBB160_15
.LBB160_201:
                                        ; implicit-def: $sgpr16
	s_branch .LBB160_18
.LBB160_202:
                                        ; implicit-def: $sgpr17
	s_branch .LBB160_21
.LBB160_203:
                                        ; implicit-def: $sgpr19
	s_branch .LBB160_24
.LBB160_204:
                                        ; implicit-def: $sgpr18
	s_branch .LBB160_27
.LBB160_205:
                                        ; implicit-def: $sgpr20
	s_branch .LBB160_30
.LBB160_206:
                                        ; implicit-def: $sgpr21
	s_branch .LBB160_33
.LBB160_207:
                                        ; implicit-def: $sgpr22
	s_branch .LBB160_36
.LBB160_208:
                                        ; implicit-def: $sgpr23
	s_branch .LBB160_39
.LBB160_209:
                                        ; implicit-def: $sgpr24
	s_branch .LBB160_42
.LBB160_210:
                                        ; implicit-def: $sgpr25
	s_branch .LBB160_45
.LBB160_211:
                                        ; implicit-def: $sgpr26
	s_branch .LBB160_48
.LBB160_212:
                                        ; implicit-def: $sgpr7
	s_branch .LBB160_86
.LBB160_213:
                                        ; implicit-def: $sgpr3
	s_branch .LBB160_91
.LBB160_214:
                                        ; implicit-def: $sgpr6
	s_branch .LBB160_96
.LBB160_215:
                                        ; implicit-def: $sgpr6
	s_branch .LBB160_101
.LBB160_216:
                                        ; implicit-def: $sgpr6
	s_branch .LBB160_106
.LBB160_217:
                                        ; implicit-def: $sgpr6
	s_branch .LBB160_111
.LBB160_218:
                                        ; implicit-def: $sgpr6
	s_branch .LBB160_116
.LBB160_219:
                                        ; implicit-def: $sgpr6
	s_branch .LBB160_121
.LBB160_220:
                                        ; implicit-def: $sgpr6
	s_branch .LBB160_126
.LBB160_221:
                                        ; implicit-def: $sgpr6
	s_branch .LBB160_131
.LBB160_222:
                                        ; implicit-def: $sgpr6
	s_branch .LBB160_136
.LBB160_223:
                                        ; implicit-def: $sgpr6
	s_branch .LBB160_141
.LBB160_224:
                                        ; implicit-def: $sgpr6
	s_branch .LBB160_146
.LBB160_225:
                                        ; implicit-def: $sgpr6
	s_branch .LBB160_151
.LBB160_226:
                                        ; implicit-def: $sgpr6
	s_branch .LBB160_156
.LBB160_227:
                                        ; implicit-def: $sgpr6
	s_branch .LBB160_161
	.section	.rodata,"a",@progbits
	.p2align	6, 0x0
	.amdhsa_kernel _ZN2at6native29vectorized_elementwise_kernelILi16ENS0_13BinaryFunctorIN3c107complexINS3_8BFloat16EEES6_bNS0_12_GLOBAL__N_116CompareEqFunctorIS6_EEEESt5arrayIPcLm3EEEEviT0_T1_
		.amdhsa_group_segment_fixed_size 0
		.amdhsa_private_segment_fixed_size 0
		.amdhsa_kernarg_size 32
		.amdhsa_user_sgpr_count 2
		.amdhsa_user_sgpr_dispatch_ptr 0
		.amdhsa_user_sgpr_queue_ptr 0
		.amdhsa_user_sgpr_kernarg_segment_ptr 1
		.amdhsa_user_sgpr_dispatch_id 0
		.amdhsa_user_sgpr_kernarg_preload_length 0
		.amdhsa_user_sgpr_kernarg_preload_offset 0
		.amdhsa_user_sgpr_private_segment_size 0
		.amdhsa_wavefront_size32 1
		.amdhsa_uses_dynamic_stack 0
		.amdhsa_enable_private_segment 0
		.amdhsa_system_sgpr_workgroup_id_x 1
		.amdhsa_system_sgpr_workgroup_id_y 0
		.amdhsa_system_sgpr_workgroup_id_z 0
		.amdhsa_system_sgpr_workgroup_info 0
		.amdhsa_system_vgpr_workitem_id 0
		.amdhsa_next_free_vgpr 39
		.amdhsa_next_free_sgpr 27
		.amdhsa_named_barrier_count 0
		.amdhsa_reserve_vcc 1
		.amdhsa_float_round_mode_32 0
		.amdhsa_float_round_mode_16_64 0
		.amdhsa_float_denorm_mode_32 3
		.amdhsa_float_denorm_mode_16_64 3
		.amdhsa_fp16_overflow 0
		.amdhsa_memory_ordered 1
		.amdhsa_forward_progress 1
		.amdhsa_inst_pref_size 60
		.amdhsa_round_robin_scheduling 0
		.amdhsa_exception_fp_ieee_invalid_op 0
		.amdhsa_exception_fp_denorm_src 0
		.amdhsa_exception_fp_ieee_div_zero 0
		.amdhsa_exception_fp_ieee_overflow 0
		.amdhsa_exception_fp_ieee_underflow 0
		.amdhsa_exception_fp_ieee_inexact 0
		.amdhsa_exception_int_div_zero 0
	.end_amdhsa_kernel
	.section	.text._ZN2at6native29vectorized_elementwise_kernelILi16ENS0_13BinaryFunctorIN3c107complexINS3_8BFloat16EEES6_bNS0_12_GLOBAL__N_116CompareEqFunctorIS6_EEEESt5arrayIPcLm3EEEEviT0_T1_,"axG",@progbits,_ZN2at6native29vectorized_elementwise_kernelILi16ENS0_13BinaryFunctorIN3c107complexINS3_8BFloat16EEES6_bNS0_12_GLOBAL__N_116CompareEqFunctorIS6_EEEESt5arrayIPcLm3EEEEviT0_T1_,comdat
.Lfunc_end160:
	.size	_ZN2at6native29vectorized_elementwise_kernelILi16ENS0_13BinaryFunctorIN3c107complexINS3_8BFloat16EEES6_bNS0_12_GLOBAL__N_116CompareEqFunctorIS6_EEEESt5arrayIPcLm3EEEEviT0_T1_, .Lfunc_end160-_ZN2at6native29vectorized_elementwise_kernelILi16ENS0_13BinaryFunctorIN3c107complexINS3_8BFloat16EEES6_bNS0_12_GLOBAL__N_116CompareEqFunctorIS6_EEEESt5arrayIPcLm3EEEEviT0_T1_
                                        ; -- End function
	.set _ZN2at6native29vectorized_elementwise_kernelILi16ENS0_13BinaryFunctorIN3c107complexINS3_8BFloat16EEES6_bNS0_12_GLOBAL__N_116CompareEqFunctorIS6_EEEESt5arrayIPcLm3EEEEviT0_T1_.num_vgpr, 39
	.set _ZN2at6native29vectorized_elementwise_kernelILi16ENS0_13BinaryFunctorIN3c107complexINS3_8BFloat16EEES6_bNS0_12_GLOBAL__N_116CompareEqFunctorIS6_EEEESt5arrayIPcLm3EEEEviT0_T1_.num_agpr, 0
	.set _ZN2at6native29vectorized_elementwise_kernelILi16ENS0_13BinaryFunctorIN3c107complexINS3_8BFloat16EEES6_bNS0_12_GLOBAL__N_116CompareEqFunctorIS6_EEEESt5arrayIPcLm3EEEEviT0_T1_.numbered_sgpr, 27
	.set _ZN2at6native29vectorized_elementwise_kernelILi16ENS0_13BinaryFunctorIN3c107complexINS3_8BFloat16EEES6_bNS0_12_GLOBAL__N_116CompareEqFunctorIS6_EEEESt5arrayIPcLm3EEEEviT0_T1_.num_named_barrier, 0
	.set _ZN2at6native29vectorized_elementwise_kernelILi16ENS0_13BinaryFunctorIN3c107complexINS3_8BFloat16EEES6_bNS0_12_GLOBAL__N_116CompareEqFunctorIS6_EEEESt5arrayIPcLm3EEEEviT0_T1_.private_seg_size, 0
	.set _ZN2at6native29vectorized_elementwise_kernelILi16ENS0_13BinaryFunctorIN3c107complexINS3_8BFloat16EEES6_bNS0_12_GLOBAL__N_116CompareEqFunctorIS6_EEEESt5arrayIPcLm3EEEEviT0_T1_.uses_vcc, 1
	.set _ZN2at6native29vectorized_elementwise_kernelILi16ENS0_13BinaryFunctorIN3c107complexINS3_8BFloat16EEES6_bNS0_12_GLOBAL__N_116CompareEqFunctorIS6_EEEESt5arrayIPcLm3EEEEviT0_T1_.uses_flat_scratch, 0
	.set _ZN2at6native29vectorized_elementwise_kernelILi16ENS0_13BinaryFunctorIN3c107complexINS3_8BFloat16EEES6_bNS0_12_GLOBAL__N_116CompareEqFunctorIS6_EEEESt5arrayIPcLm3EEEEviT0_T1_.has_dyn_sized_stack, 0
	.set _ZN2at6native29vectorized_elementwise_kernelILi16ENS0_13BinaryFunctorIN3c107complexINS3_8BFloat16EEES6_bNS0_12_GLOBAL__N_116CompareEqFunctorIS6_EEEESt5arrayIPcLm3EEEEviT0_T1_.has_recursion, 0
	.set _ZN2at6native29vectorized_elementwise_kernelILi16ENS0_13BinaryFunctorIN3c107complexINS3_8BFloat16EEES6_bNS0_12_GLOBAL__N_116CompareEqFunctorIS6_EEEESt5arrayIPcLm3EEEEviT0_T1_.has_indirect_call, 0
	.section	.AMDGPU.csdata,"",@progbits
; Kernel info:
; codeLenInByte = 7608
; TotalNumSgprs: 29
; NumVgprs: 39
; ScratchSize: 0
; MemoryBound: 1
; FloatMode: 240
; IeeeMode: 1
; LDSByteSize: 0 bytes/workgroup (compile time only)
; SGPRBlocks: 0
; VGPRBlocks: 2
; NumSGPRsForWavesPerEU: 29
; NumVGPRsForWavesPerEU: 39
; NamedBarCnt: 0
; Occupancy: 16
; WaveLimiterHint : 0
; COMPUTE_PGM_RSRC2:SCRATCH_EN: 0
; COMPUTE_PGM_RSRC2:USER_SGPR: 2
; COMPUTE_PGM_RSRC2:TRAP_HANDLER: 0
; COMPUTE_PGM_RSRC2:TGID_X_EN: 1
; COMPUTE_PGM_RSRC2:TGID_Y_EN: 0
; COMPUTE_PGM_RSRC2:TGID_Z_EN: 0
; COMPUTE_PGM_RSRC2:TIDIG_COMP_CNT: 0
	.section	.text._ZN2at6native29vectorized_elementwise_kernelILi8ENS0_13BinaryFunctorIN3c107complexINS3_8BFloat16EEES6_bNS0_12_GLOBAL__N_116CompareEqFunctorIS6_EEEESt5arrayIPcLm3EEEEviT0_T1_,"axG",@progbits,_ZN2at6native29vectorized_elementwise_kernelILi8ENS0_13BinaryFunctorIN3c107complexINS3_8BFloat16EEES6_bNS0_12_GLOBAL__N_116CompareEqFunctorIS6_EEEESt5arrayIPcLm3EEEEviT0_T1_,comdat
	.globl	_ZN2at6native29vectorized_elementwise_kernelILi8ENS0_13BinaryFunctorIN3c107complexINS3_8BFloat16EEES6_bNS0_12_GLOBAL__N_116CompareEqFunctorIS6_EEEESt5arrayIPcLm3EEEEviT0_T1_ ; -- Begin function _ZN2at6native29vectorized_elementwise_kernelILi8ENS0_13BinaryFunctorIN3c107complexINS3_8BFloat16EEES6_bNS0_12_GLOBAL__N_116CompareEqFunctorIS6_EEEESt5arrayIPcLm3EEEEviT0_T1_
	.p2align	8
	.type	_ZN2at6native29vectorized_elementwise_kernelILi8ENS0_13BinaryFunctorIN3c107complexINS3_8BFloat16EEES6_bNS0_12_GLOBAL__N_116CompareEqFunctorIS6_EEEESt5arrayIPcLm3EEEEviT0_T1_,@function
_ZN2at6native29vectorized_elementwise_kernelILi8ENS0_13BinaryFunctorIN3c107complexINS3_8BFloat16EEES6_bNS0_12_GLOBAL__N_116CompareEqFunctorIS6_EEEESt5arrayIPcLm3EEEEviT0_T1_: ; @_ZN2at6native29vectorized_elementwise_kernelILi8ENS0_13BinaryFunctorIN3c107complexINS3_8BFloat16EEES6_bNS0_12_GLOBAL__N_116CompareEqFunctorIS6_EEEESt5arrayIPcLm3EEEEviT0_T1_
; %bb.0:
	s_clause 0x2
	s_load_b64 s[8:9], s[0:1], 0x0
	s_load_b128 s[4:7], s[0:1], 0x8
	s_load_b64 s[10:11], s[0:1], 0x18
	s_wait_xcnt 0x0
	s_bfe_u32 s0, ttmp6, 0x4000c
	s_and_b32 s1, ttmp6, 15
	s_add_co_i32 s0, s0, 1
	s_getreg_b32 s2, hwreg(HW_REG_IB_STS2, 6, 4)
	s_mul_i32 s0, ttmp9, s0
	s_delay_alu instid0(SALU_CYCLE_1) | instskip(SKIP_2) | instid1(SALU_CYCLE_1)
	s_add_co_i32 s1, s1, s0
	s_cmp_eq_u32 s2, 0
	s_cselect_b32 s0, ttmp9, s1
	s_lshl_b32 s2, s0, 12
	s_mov_b32 s0, -1
	s_wait_kmcnt 0x0
	s_sub_co_i32 s8, s8, s2
	s_delay_alu instid0(SALU_CYCLE_1)
	s_cmp_gt_i32 s8, 0xfff
	s_cbranch_scc0 .LBB161_50
; %bb.1:
	s_ashr_i32 s3, s2, 31
	v_lshlrev_b32_e32 v1, 5, v0
	s_lshl_b64 s[0:1], s[2:3], 2
	s_cmp_lg_u32 s9, 0
	s_add_nc_u64 s[12:13], s[10:11], s[0:1]
	s_add_nc_u64 s[0:1], s[6:7], s[0:1]
	s_clause 0x7
	global_load_b128 v[30:33], v1, s[12:13]
	global_load_b128 v[26:29], v1, s[0:1]
	global_load_b128 v[18:21], v1, s[0:1] offset:16
	global_load_b128 v[22:25], v1, s[12:13] offset:16
	;; [unrolled: 1-line block ×6, first 2 shown]
	s_wait_xcnt 0x0
	s_cselect_b32 s12, -1, 0
	s_delay_alu instid0(SALU_CYCLE_1)
	s_and_b32 vcc_lo, exec_lo, s12
	s_wait_loadcnt 0x7
	v_lshlrev_b32_e32 v1, 16, v30
	s_wait_loadcnt 0x6
	v_lshlrev_b32_e32 v34, 16, v26
	v_and_b32_e32 v30, 0xffff0000, v30
	v_and_b32_e32 v26, 0xffff0000, v26
	s_cbranch_vccz .LBB161_196
; %bb.2:
	s_delay_alu instid0(VALU_DEP_3) | instskip(NEXT) | instid1(VALU_DEP_2)
	v_cmp_neq_f32_e32 vcc_lo, v34, v1
	v_cmp_neq_f32_e64 s0, v26, v30
	s_or_b32 s1, vcc_lo, s0
	s_cbranch_execnz .LBB161_4
.LBB161_3:
	v_cmp_eq_f32_e32 vcc_lo, v34, v1
	s_delay_alu instid0(VALU_DEP_2) | instskip(SKIP_2) | instid1(SALU_CYCLE_1)
	v_cmp_eq_f32_e64 s0, v26, v30
	s_and_not1_b32 s1, s1, exec_lo
	s_and_b32 s0, vcc_lo, s0
	s_and_b32 s0, s0, exec_lo
	s_delay_alu instid0(SALU_CYCLE_1)
	s_or_b32 s1, s1, s0
.LBB161_4:
	v_cndmask_b32_e64 v1, 0, 1, s12
	v_lshlrev_b32_e32 v26, 16, v31
	v_lshlrev_b32_e32 v30, 16, v27
	v_and_b32_e32 v31, 0xffff0000, v31
	v_and_b32_e32 v27, 0xffff0000, v27
	s_and_not1_b32 vcc_lo, exec_lo, s12
	s_cbranch_vccnz .LBB161_197
; %bb.5:
	v_cmp_neq_f32_e32 vcc_lo, v30, v26
	s_delay_alu instid0(VALU_DEP_2)
	v_cmp_neq_f32_e64 s0, v27, v31
	s_or_b32 s12, vcc_lo, s0
	s_cbranch_execnz .LBB161_7
.LBB161_6:
	v_cmp_eq_f32_e32 vcc_lo, v30, v26
	v_cmp_eq_f32_e64 s0, v27, v31
	s_and_not1_b32 s12, s12, exec_lo
	s_and_b32 s0, vcc_lo, s0
	s_delay_alu instid0(SALU_CYCLE_1) | instskip(NEXT) | instid1(SALU_CYCLE_1)
	s_and_b32 s0, s0, exec_lo
	s_or_b32 s12, s12, s0
.LBB161_7:
	v_cmp_ne_u32_e32 vcc_lo, 1, v1
	v_lshlrev_b32_e32 v26, 16, v32
	v_lshlrev_b32_e32 v27, 16, v28
	v_and_b32_e32 v30, 0xffff0000, v32
	v_and_b32_e32 v28, 0xffff0000, v28
	s_cbranch_vccnz .LBB161_198
; %bb.8:
	s_delay_alu instid0(VALU_DEP_3) | instskip(NEXT) | instid1(VALU_DEP_2)
	v_cmp_neq_f32_e32 vcc_lo, v27, v26
	v_cmp_neq_f32_e64 s0, v28, v30
	s_or_b32 s13, vcc_lo, s0
	s_cbranch_execnz .LBB161_10
.LBB161_9:
	v_cmp_eq_f32_e32 vcc_lo, v27, v26
	s_delay_alu instid0(VALU_DEP_2) | instskip(SKIP_2) | instid1(SALU_CYCLE_1)
	v_cmp_eq_f32_e64 s0, v28, v30
	s_and_not1_b32 s13, s13, exec_lo
	s_and_b32 s0, vcc_lo, s0
	s_and_b32 s0, s0, exec_lo
	s_delay_alu instid0(SALU_CYCLE_1)
	s_or_b32 s13, s13, s0
.LBB161_10:
	v_cmp_ne_u32_e32 vcc_lo, 1, v1
	v_lshlrev_b32_e32 v26, 16, v33
	v_lshlrev_b32_e32 v27, 16, v29
	v_and_b32_e32 v28, 0xffff0000, v33
	v_and_b32_e32 v29, 0xffff0000, v29
	s_cbranch_vccnz .LBB161_199
; %bb.11:
	s_delay_alu instid0(VALU_DEP_3) | instskip(NEXT) | instid1(VALU_DEP_2)
	v_cmp_neq_f32_e32 vcc_lo, v27, v26
	v_cmp_neq_f32_e64 s0, v29, v28
	s_or_b32 s14, vcc_lo, s0
	s_cbranch_execnz .LBB161_13
.LBB161_12:
	v_cmp_eq_f32_e32 vcc_lo, v27, v26
	s_delay_alu instid0(VALU_DEP_2) | instskip(SKIP_2) | instid1(SALU_CYCLE_1)
	v_cmp_eq_f32_e64 s0, v29, v28
	s_and_not1_b32 s14, s14, exec_lo
	s_and_b32 s0, vcc_lo, s0
	s_and_b32 s0, s0, exec_lo
	s_delay_alu instid0(SALU_CYCLE_1)
	s_or_b32 s14, s14, s0
.LBB161_13:
	v_cmp_ne_u32_e32 vcc_lo, 1, v1
	s_wait_loadcnt 0x4
	v_lshlrev_b32_e32 v26, 16, v22
	v_lshlrev_b32_e32 v27, 16, v18
	v_and_b32_e32 v22, 0xffff0000, v22
	v_and_b32_e32 v18, 0xffff0000, v18
	s_cbranch_vccnz .LBB161_200
; %bb.14:
	s_delay_alu instid0(VALU_DEP_3) | instskip(NEXT) | instid1(VALU_DEP_2)
	v_cmp_neq_f32_e32 vcc_lo, v27, v26
	v_cmp_neq_f32_e64 s0, v18, v22
	s_or_b32 s15, vcc_lo, s0
	s_cbranch_execnz .LBB161_16
.LBB161_15:
	v_cmp_eq_f32_e32 vcc_lo, v27, v26
	s_delay_alu instid0(VALU_DEP_2) | instskip(SKIP_2) | instid1(SALU_CYCLE_1)
	v_cmp_eq_f32_e64 s0, v18, v22
	s_and_not1_b32 s15, s15, exec_lo
	s_and_b32 s0, vcc_lo, s0
	s_and_b32 s0, s0, exec_lo
	s_delay_alu instid0(SALU_CYCLE_1)
	s_or_b32 s15, s15, s0
.LBB161_16:
	v_cmp_ne_u32_e32 vcc_lo, 1, v1
	v_lshlrev_b32_e32 v18, 16, v23
	v_lshlrev_b32_e32 v22, 16, v19
	v_and_b32_e32 v23, 0xffff0000, v23
	v_and_b32_e32 v19, 0xffff0000, v19
	s_cbranch_vccnz .LBB161_201
; %bb.17:
	s_delay_alu instid0(VALU_DEP_3) | instskip(NEXT) | instid1(VALU_DEP_2)
	v_cmp_neq_f32_e32 vcc_lo, v22, v18
	v_cmp_neq_f32_e64 s0, v19, v23
	s_or_b32 s16, vcc_lo, s0
	s_cbranch_execnz .LBB161_19
.LBB161_18:
	v_cmp_eq_f32_e32 vcc_lo, v22, v18
	s_delay_alu instid0(VALU_DEP_2) | instskip(SKIP_2) | instid1(SALU_CYCLE_1)
	v_cmp_eq_f32_e64 s0, v19, v23
	s_and_not1_b32 s16, s16, exec_lo
	s_and_b32 s0, vcc_lo, s0
	s_and_b32 s0, s0, exec_lo
	s_delay_alu instid0(SALU_CYCLE_1)
	s_or_b32 s16, s16, s0
.LBB161_19:
	v_cmp_ne_u32_e32 vcc_lo, 1, v1
	v_lshlrev_b32_e32 v18, 16, v24
	v_lshlrev_b32_e32 v19, 16, v20
	v_and_b32_e32 v22, 0xffff0000, v24
	v_and_b32_e32 v20, 0xffff0000, v20
	s_cbranch_vccnz .LBB161_202
; %bb.20:
	s_delay_alu instid0(VALU_DEP_3) | instskip(NEXT) | instid1(VALU_DEP_2)
	v_cmp_neq_f32_e32 vcc_lo, v19, v18
	v_cmp_neq_f32_e64 s0, v20, v22
	s_or_b32 s17, vcc_lo, s0
	s_cbranch_execnz .LBB161_22
.LBB161_21:
	v_cmp_eq_f32_e32 vcc_lo, v19, v18
	s_delay_alu instid0(VALU_DEP_2) | instskip(SKIP_2) | instid1(SALU_CYCLE_1)
	v_cmp_eq_f32_e64 s0, v20, v22
	s_and_not1_b32 s17, s17, exec_lo
	s_and_b32 s0, vcc_lo, s0
	s_and_b32 s0, s0, exec_lo
	s_delay_alu instid0(SALU_CYCLE_1)
	s_or_b32 s17, s17, s0
.LBB161_22:
	v_cmp_ne_u32_e32 vcc_lo, 1, v1
	v_lshlrev_b32_e32 v18, 16, v25
	v_lshlrev_b32_e32 v19, 16, v21
	v_and_b32_e32 v20, 0xffff0000, v25
	v_and_b32_e32 v21, 0xffff0000, v21
	s_cbranch_vccnz .LBB161_203
; %bb.23:
	s_delay_alu instid0(VALU_DEP_3) | instskip(NEXT) | instid1(VALU_DEP_2)
	v_cmp_neq_f32_e32 vcc_lo, v19, v18
	v_cmp_neq_f32_e64 s0, v21, v20
	s_or_b32 s18, vcc_lo, s0
	s_cbranch_execnz .LBB161_25
.LBB161_24:
	v_cmp_eq_f32_e32 vcc_lo, v19, v18
	s_delay_alu instid0(VALU_DEP_2) | instskip(SKIP_2) | instid1(SALU_CYCLE_1)
	v_cmp_eq_f32_e64 s0, v21, v20
	s_and_not1_b32 s18, s18, exec_lo
	s_and_b32 s0, vcc_lo, s0
	s_and_b32 s0, s0, exec_lo
	s_delay_alu instid0(SALU_CYCLE_1)
	s_or_b32 s18, s18, s0
.LBB161_25:
	v_cmp_ne_u32_e32 vcc_lo, 1, v1
	s_wait_loadcnt 0x0
	v_lshlrev_b32_e32 v18, 16, v14
	v_lshlrev_b32_e32 v19, 16, v10
	v_and_b32_e32 v14, 0xffff0000, v14
	v_and_b32_e32 v10, 0xffff0000, v10
	s_cbranch_vccnz .LBB161_204
; %bb.26:
	s_delay_alu instid0(VALU_DEP_3) | instskip(NEXT) | instid1(VALU_DEP_2)
	v_cmp_neq_f32_e32 vcc_lo, v19, v18
	v_cmp_neq_f32_e64 s0, v10, v14
	s_or_b32 s19, vcc_lo, s0
	s_cbranch_execnz .LBB161_28
.LBB161_27:
	v_cmp_eq_f32_e32 vcc_lo, v19, v18
	s_delay_alu instid0(VALU_DEP_2) | instskip(SKIP_2) | instid1(SALU_CYCLE_1)
	v_cmp_eq_f32_e64 s0, v10, v14
	s_and_not1_b32 s19, s19, exec_lo
	s_and_b32 s0, vcc_lo, s0
	s_and_b32 s0, s0, exec_lo
	s_delay_alu instid0(SALU_CYCLE_1)
	s_or_b32 s19, s19, s0
.LBB161_28:
	v_cmp_ne_u32_e32 vcc_lo, 1, v1
	v_lshlrev_b32_e32 v10, 16, v15
	v_lshlrev_b32_e32 v14, 16, v11
	v_and_b32_e32 v15, 0xffff0000, v15
	v_and_b32_e32 v11, 0xffff0000, v11
	s_cbranch_vccnz .LBB161_205
; %bb.29:
	s_delay_alu instid0(VALU_DEP_3) | instskip(NEXT) | instid1(VALU_DEP_2)
	v_cmp_neq_f32_e32 vcc_lo, v14, v10
	v_cmp_neq_f32_e64 s0, v11, v15
	s_or_b32 s20, vcc_lo, s0
	s_cbranch_execnz .LBB161_31
.LBB161_30:
	v_cmp_eq_f32_e32 vcc_lo, v14, v10
	s_delay_alu instid0(VALU_DEP_2) | instskip(SKIP_2) | instid1(SALU_CYCLE_1)
	v_cmp_eq_f32_e64 s0, v11, v15
	s_and_not1_b32 s20, s20, exec_lo
	s_and_b32 s0, vcc_lo, s0
	s_and_b32 s0, s0, exec_lo
	s_delay_alu instid0(SALU_CYCLE_1)
	s_or_b32 s20, s20, s0
.LBB161_31:
	v_cmp_ne_u32_e32 vcc_lo, 1, v1
	v_lshlrev_b32_e32 v10, 16, v16
	v_lshlrev_b32_e32 v11, 16, v12
	v_and_b32_e32 v14, 0xffff0000, v16
	v_and_b32_e32 v12, 0xffff0000, v12
	s_cbranch_vccnz .LBB161_206
; %bb.32:
	s_delay_alu instid0(VALU_DEP_3) | instskip(NEXT) | instid1(VALU_DEP_2)
	v_cmp_neq_f32_e32 vcc_lo, v11, v10
	v_cmp_neq_f32_e64 s0, v12, v14
	s_or_b32 s21, vcc_lo, s0
	s_cbranch_execnz .LBB161_34
.LBB161_33:
	v_cmp_eq_f32_e32 vcc_lo, v11, v10
	s_delay_alu instid0(VALU_DEP_2) | instskip(SKIP_2) | instid1(SALU_CYCLE_1)
	v_cmp_eq_f32_e64 s0, v12, v14
	s_and_not1_b32 s21, s21, exec_lo
	s_and_b32 s0, vcc_lo, s0
	s_and_b32 s0, s0, exec_lo
	s_delay_alu instid0(SALU_CYCLE_1)
	s_or_b32 s21, s21, s0
.LBB161_34:
	v_cmp_ne_u32_e32 vcc_lo, 1, v1
	v_lshlrev_b32_e32 v10, 16, v17
	v_lshlrev_b32_e32 v11, 16, v13
	v_and_b32_e32 v12, 0xffff0000, v17
	v_and_b32_e32 v13, 0xffff0000, v13
	s_cbranch_vccnz .LBB161_207
; %bb.35:
	s_delay_alu instid0(VALU_DEP_3) | instskip(NEXT) | instid1(VALU_DEP_2)
	v_cmp_neq_f32_e32 vcc_lo, v11, v10
	v_cmp_neq_f32_e64 s0, v13, v12
	s_or_b32 s22, vcc_lo, s0
	s_cbranch_execnz .LBB161_37
.LBB161_36:
	v_cmp_eq_f32_e32 vcc_lo, v11, v10
	s_delay_alu instid0(VALU_DEP_2) | instskip(SKIP_2) | instid1(SALU_CYCLE_1)
	v_cmp_eq_f32_e64 s0, v13, v12
	s_and_not1_b32 s22, s22, exec_lo
	s_and_b32 s0, vcc_lo, s0
	s_and_b32 s0, s0, exec_lo
	s_delay_alu instid0(SALU_CYCLE_1)
	s_or_b32 s22, s22, s0
.LBB161_37:
	v_cmp_ne_u32_e32 vcc_lo, 1, v1
	v_lshlrev_b32_e32 v10, 16, v6
	v_lshlrev_b32_e32 v11, 16, v2
	v_and_b32_e32 v6, 0xffff0000, v6
	v_and_b32_e32 v2, 0xffff0000, v2
	s_cbranch_vccnz .LBB161_208
; %bb.38:
	s_delay_alu instid0(VALU_DEP_3) | instskip(NEXT) | instid1(VALU_DEP_2)
	v_cmp_neq_f32_e32 vcc_lo, v11, v10
	v_cmp_neq_f32_e64 s0, v2, v6
	s_or_b32 s23, vcc_lo, s0
	s_cbranch_execnz .LBB161_40
.LBB161_39:
	v_cmp_eq_f32_e32 vcc_lo, v11, v10
	s_delay_alu instid0(VALU_DEP_2) | instskip(SKIP_2) | instid1(SALU_CYCLE_1)
	v_cmp_eq_f32_e64 s0, v2, v6
	s_and_not1_b32 s23, s23, exec_lo
	s_and_b32 s0, vcc_lo, s0
	s_and_b32 s0, s0, exec_lo
	s_delay_alu instid0(SALU_CYCLE_1)
	s_or_b32 s23, s23, s0
.LBB161_40:
	v_cmp_ne_u32_e32 vcc_lo, 1, v1
	v_lshlrev_b32_e32 v2, 16, v7
	v_lshlrev_b32_e32 v6, 16, v3
	v_and_b32_e32 v7, 0xffff0000, v7
	v_and_b32_e32 v3, 0xffff0000, v3
	s_cbranch_vccnz .LBB161_209
; %bb.41:
	s_delay_alu instid0(VALU_DEP_3) | instskip(NEXT) | instid1(VALU_DEP_2)
	v_cmp_neq_f32_e32 vcc_lo, v6, v2
	v_cmp_neq_f32_e64 s0, v3, v7
	s_or_b32 s24, vcc_lo, s0
	s_cbranch_execnz .LBB161_43
.LBB161_42:
	v_cmp_eq_f32_e32 vcc_lo, v6, v2
	s_delay_alu instid0(VALU_DEP_2) | instskip(SKIP_2) | instid1(SALU_CYCLE_1)
	v_cmp_eq_f32_e64 s0, v3, v7
	s_and_not1_b32 s24, s24, exec_lo
	s_and_b32 s0, vcc_lo, s0
	s_and_b32 s0, s0, exec_lo
	s_delay_alu instid0(SALU_CYCLE_1)
	s_or_b32 s24, s24, s0
.LBB161_43:
	v_cmp_ne_u32_e32 vcc_lo, 1, v1
	v_lshlrev_b32_e32 v2, 16, v8
	v_lshlrev_b32_e32 v3, 16, v4
	v_and_b32_e32 v6, 0xffff0000, v8
	v_and_b32_e32 v4, 0xffff0000, v4
	s_cbranch_vccnz .LBB161_210
; %bb.44:
	s_delay_alu instid0(VALU_DEP_3) | instskip(NEXT) | instid1(VALU_DEP_2)
	v_cmp_neq_f32_e32 vcc_lo, v3, v2
	v_cmp_neq_f32_e64 s0, v4, v6
	s_or_b32 s25, vcc_lo, s0
	s_cbranch_execnz .LBB161_46
.LBB161_45:
	v_cmp_eq_f32_e32 vcc_lo, v3, v2
	s_delay_alu instid0(VALU_DEP_2) | instskip(SKIP_2) | instid1(SALU_CYCLE_1)
	v_cmp_eq_f32_e64 s0, v4, v6
	s_and_not1_b32 s25, s25, exec_lo
	s_and_b32 s0, vcc_lo, s0
	s_and_b32 s0, s0, exec_lo
	s_delay_alu instid0(SALU_CYCLE_1)
	s_or_b32 s25, s25, s0
.LBB161_46:
	v_cmp_ne_u32_e32 vcc_lo, 1, v1
	v_lshlrev_b32_e32 v1, 16, v9
	v_lshlrev_b32_e32 v2, 16, v5
	v_and_b32_e32 v3, 0xffff0000, v9
	v_and_b32_e32 v4, 0xffff0000, v5
	s_cbranch_vccnz .LBB161_211
; %bb.47:
	s_delay_alu instid0(VALU_DEP_3) | instskip(NEXT) | instid1(VALU_DEP_2)
	v_cmp_neq_f32_e32 vcc_lo, v2, v1
	v_cmp_neq_f32_e64 s0, v4, v3
	s_or_b32 s26, vcc_lo, s0
	s_cbranch_execnz .LBB161_49
.LBB161_48:
	v_cmp_eq_f32_e32 vcc_lo, v2, v1
	s_delay_alu instid0(VALU_DEP_2) | instskip(SKIP_2) | instid1(SALU_CYCLE_1)
	v_cmp_eq_f32_e64 s0, v4, v3
	s_and_not1_b32 s26, s26, exec_lo
	s_and_b32 s0, vcc_lo, s0
	s_and_b32 s0, s0, exec_lo
	s_delay_alu instid0(SALU_CYCLE_1)
	s_or_b32 s26, s26, s0
.LBB161_49:
	v_cndmask_b32_e64 v1, 0, 0x100, s20
	v_cndmask_b32_e64 v2, 0, 1, s19
	;; [unrolled: 1-line block ×6, first 2 shown]
	v_or_b32_e32 v1, v1, v2
	v_cndmask_b32_e64 v2, 0, 0x1000000, s22
	v_or_b32_e32 v4, v4, v5
	v_cndmask_b32_e64 v5, 0, 0x10000, s13
	v_or3_b32 v6, 0, 0, 0
	v_cndmask_b32_e64 v7, 0, 1, s23
	v_cndmask_b32_e64 v8, 0, 0x100, s24
	;; [unrolled: 1-line block ×4, first 2 shown]
	v_or3_b32 v1, v1, v3, v2
	v_or3_b32 v2, v4, v5, v9
	;; [unrolled: 1-line block ×3, first 2 shown]
	v_cndmask_b32_e64 v5, 0, 0x10000, s17
	v_or3_b32 v3, v6, v10, v11
	v_cndmask_b32_e64 v6, 0, 0x1000000, s18
	v_or3_b32 v2, v2, 0, 0
	v_cndmask_b32_e64 v4, 0, 0x10000, s25
	v_cndmask_b32_e64 v8, 0, 0x1000000, s26
	v_or3_b32 v1, v1, 0, 0
	v_or3_b32 v3, v3, v5, v6
	;; [unrolled: 1-line block ×3, first 2 shown]
	s_add_nc_u64 s[12:13], s[4:5], s[2:3]
	v_or3_b32 v5, v7, v4, v8
	v_or3_b32 v4, v1, 0, 0
	s_mov_b32 s0, 0
	s_clause 0x1
	global_store_b64 v0, v[2:3], s[12:13] scale_offset
	global_store_b64 v0, v[4:5], s[12:13] offset:2048 scale_offset
.LBB161_50:
	s_and_b32 vcc_lo, exec_lo, s0
	s_cbranch_vccz .LBB161_195
; %bb.51:
	v_cmp_gt_i32_e64 s0, s8, v0
	v_dual_mov_b32 v10, 0 :: v_dual_bitop2_b32 v1, s2, v0 bitop3:0x54
	v_or_b32_e32 v8, 0x100, v0
	v_dual_mov_b32 v9, 0 :: v_dual_mov_b32 v12, 0
	v_dual_mov_b32 v11, 0 :: v_dual_mov_b32 v14, 0
	;; [unrolled: 1-line block ×13, first 2 shown]
	s_wait_xcnt 0x1
	v_dual_mov_b32 v3, 0 :: v_dual_mov_b32 v35, 0
	v_dual_mov_b32 v36, 0 :: v_dual_mov_b32 v37, 0
	v_mov_b32_e32 v38, 0
	s_wait_xcnt 0x0
	s_and_saveexec_b32 s1, s0
	s_cbranch_execz .LBB161_83
; %bb.52:
	s_clause 0x1
	global_load_b32 v37, v1, s[6:7] scale_offset
	global_load_b32 v38, v1, s[10:11] scale_offset
	v_or_b32_e32 v2, 0x100, v0
	v_dual_mov_b32 v36, 0 :: v_dual_mov_b32 v35, 0
	v_dual_mov_b32 v3, 0 :: v_dual_mov_b32 v34, 0
	s_delay_alu instid0(VALU_DEP_3)
	v_cmp_gt_u32_e32 vcc_lo, s8, v2
	v_dual_mov_b32 v7, 0 :: v_dual_mov_b32 v33, 0
	v_dual_mov_b32 v31, 0 :: v_dual_mov_b32 v32, 0
	;; [unrolled: 1-line block ×13, first 2 shown]
	s_wait_xcnt 0x0
	s_and_saveexec_b32 s3, vcc_lo
	s_cbranch_execz .LBB161_82
; %bb.53:
	v_dual_mov_b32 v3, 0 :: v_dual_add_nc_u32 v2, s2, v0
	v_or_b32_e32 v4, 0x200, v0
	v_dual_mov_b32 v34, 0 :: v_dual_mov_b32 v7, 0
	s_clause 0x1
	global_load_b32 v35, v2, s[6:7] offset:1024 scale_offset
	global_load_b32 v36, v2, s[10:11] offset:1024 scale_offset
	v_dual_mov_b32 v33, 0 :: v_dual_mov_b32 v31, 0
	v_cmp_gt_u32_e32 vcc_lo, s8, v4
	v_dual_mov_b32 v32, 0 :: v_dual_mov_b32 v29, 0
	v_dual_mov_b32 v30, 0 :: v_dual_mov_b32 v27, 0
	;; [unrolled: 1-line block ×11, first 2 shown]
	v_mov_b32_e32 v10, 0
	s_wait_xcnt 0x0
	s_and_saveexec_b32 s12, vcc_lo
	s_cbranch_execz .LBB161_81
; %bb.54:
	v_lshlrev_b64_e32 v[6:7], 2, v[2:3]
	v_or_b32_e32 v9, 0x300, v0
	v_dual_mov_b32 v33, 0 :: v_dual_mov_b32 v31, 0
	v_dual_mov_b32 v32, 0 :: v_dual_mov_b32 v29, 0
	s_delay_alu instid0(VALU_DEP_3)
	v_cmp_gt_u32_e32 vcc_lo, s8, v9
	v_add_nc_u64_e32 v[4:5], s[6:7], v[6:7]
	v_add_nc_u64_e32 v[6:7], s[10:11], v[6:7]
	v_dual_mov_b32 v30, 0 :: v_dual_mov_b32 v27, 0
	v_dual_mov_b32 v28, 0 :: v_dual_mov_b32 v25, 0
	;; [unrolled: 1-line block ×3, first 2 shown]
	global_load_b32 v34, v[4:5], off offset:2048
	global_load_b32 v2, v[6:7], off offset:2048
	v_dual_mov_b32 v24, 0 :: v_dual_mov_b32 v21, 0
	v_dual_mov_b32 v22, 0 :: v_dual_mov_b32 v19, 0
	;; [unrolled: 1-line block ×7, first 2 shown]
	v_mov_b32_e32 v10, 0
	s_wait_xcnt 0x0
	s_and_saveexec_b32 s6, vcc_lo
	s_cbranch_execz .LBB161_80
; %bb.55:
	global_load_b32 v33, v[4:5], off offset:3072
	global_load_b32 v3, v[6:7], off offset:3072
	v_or_b32_e32 v9, 0x400, v0
	v_dual_mov_b32 v31, 0 :: v_dual_mov_b32 v32, 0
	v_dual_mov_b32 v29, 0 :: v_dual_mov_b32 v30, 0
	s_delay_alu instid0(VALU_DEP_3)
	v_cmp_gt_u32_e32 vcc_lo, s8, v9
	v_dual_mov_b32 v27, 0 :: v_dual_mov_b32 v28, 0
	v_dual_mov_b32 v25, 0 :: v_dual_mov_b32 v26, 0
	;; [unrolled: 1-line block ×10, first 2 shown]
	s_wait_xcnt 0x0
	s_and_saveexec_b32 s7, vcc_lo
	s_cbranch_execz .LBB161_79
; %bb.56:
	global_load_b32 v32, v[4:5], off offset:4096
	global_load_b32 v31, v[6:7], off offset:4096
	v_or_b32_e32 v9, 0x500, v0
	v_dual_mov_b32 v29, 0 :: v_dual_mov_b32 v30, 0
	v_dual_mov_b32 v27, 0 :: v_dual_mov_b32 v28, 0
	s_delay_alu instid0(VALU_DEP_3)
	v_cmp_gt_u32_e32 vcc_lo, s8, v9
	v_dual_mov_b32 v25, 0 :: v_dual_mov_b32 v26, 0
	v_dual_mov_b32 v23, 0 :: v_dual_mov_b32 v24, 0
	;; [unrolled: 1-line block ×9, first 2 shown]
	s_wait_xcnt 0x0
	s_and_saveexec_b32 s10, vcc_lo
	s_cbranch_execz .LBB161_78
; %bb.57:
	global_load_b32 v30, v[4:5], off offset:5120
	global_load_b32 v29, v[6:7], off offset:5120
	v_or_b32_e32 v9, 0x600, v0
	v_dual_mov_b32 v27, 0 :: v_dual_mov_b32 v28, 0
	v_dual_mov_b32 v25, 0 :: v_dual_mov_b32 v26, 0
	s_delay_alu instid0(VALU_DEP_3)
	v_cmp_gt_u32_e32 vcc_lo, s8, v9
	v_dual_mov_b32 v23, 0 :: v_dual_mov_b32 v24, 0
	v_dual_mov_b32 v21, 0 :: v_dual_mov_b32 v22, 0
	;; [unrolled: 1-line block ×8, first 2 shown]
	s_wait_xcnt 0x0
	s_and_saveexec_b32 s11, vcc_lo
	s_cbranch_execz .LBB161_77
; %bb.58:
	global_load_b32 v28, v[4:5], off offset:6144
	global_load_b32 v27, v[6:7], off offset:6144
	v_or_b32_e32 v9, 0x700, v0
	v_dual_mov_b32 v25, 0 :: v_dual_mov_b32 v26, 0
	v_dual_mov_b32 v23, 0 :: v_dual_mov_b32 v24, 0
	s_delay_alu instid0(VALU_DEP_3)
	v_cmp_gt_u32_e32 vcc_lo, s8, v9
	v_dual_mov_b32 v21, 0 :: v_dual_mov_b32 v22, 0
	v_dual_mov_b32 v19, 0 :: v_dual_mov_b32 v20, 0
	;; [unrolled: 1-line block ×7, first 2 shown]
	s_wait_xcnt 0x0
	s_and_saveexec_b32 s13, vcc_lo
	s_cbranch_execz .LBB161_76
; %bb.59:
	global_load_b32 v26, v[4:5], off offset:7168
	global_load_b32 v25, v[6:7], off offset:7168
	v_or_b32_e32 v9, 0x800, v0
	v_dual_mov_b32 v23, 0 :: v_dual_mov_b32 v24, 0
	v_dual_mov_b32 v21, 0 :: v_dual_mov_b32 v22, 0
	s_delay_alu instid0(VALU_DEP_3)
	v_cmp_gt_u32_e32 vcc_lo, s8, v9
	v_dual_mov_b32 v19, 0 :: v_dual_mov_b32 v20, 0
	v_dual_mov_b32 v17, 0 :: v_dual_mov_b32 v18, 0
	;; [unrolled: 1-line block ×6, first 2 shown]
	s_wait_xcnt 0x0
	s_and_saveexec_b32 s14, vcc_lo
	s_cbranch_execz .LBB161_75
; %bb.60:
	global_load_b32 v24, v[4:5], off offset:8192
	global_load_b32 v23, v[6:7], off offset:8192
	v_or_b32_e32 v9, 0x900, v0
	v_dual_mov_b32 v21, 0 :: v_dual_mov_b32 v22, 0
	v_dual_mov_b32 v19, 0 :: v_dual_mov_b32 v20, 0
	s_delay_alu instid0(VALU_DEP_3)
	v_cmp_gt_u32_e32 vcc_lo, s8, v9
	v_dual_mov_b32 v17, 0 :: v_dual_mov_b32 v18, 0
	v_dual_mov_b32 v15, 0 :: v_dual_mov_b32 v16, 0
	;; [unrolled: 1-line block ×5, first 2 shown]
	s_wait_xcnt 0x0
	s_and_saveexec_b32 s15, vcc_lo
	s_cbranch_execz .LBB161_74
; %bb.61:
	global_load_b32 v22, v[4:5], off offset:9216
	global_load_b32 v21, v[6:7], off offset:9216
	v_or_b32_e32 v9, 0xa00, v0
	v_dual_mov_b32 v19, 0 :: v_dual_mov_b32 v20, 0
	v_dual_mov_b32 v17, 0 :: v_dual_mov_b32 v18, 0
	s_delay_alu instid0(VALU_DEP_3)
	v_cmp_gt_u32_e32 vcc_lo, s8, v9
	v_dual_mov_b32 v15, 0 :: v_dual_mov_b32 v16, 0
	v_dual_mov_b32 v13, 0 :: v_dual_mov_b32 v14, 0
	v_dual_mov_b32 v11, 0 :: v_dual_mov_b32 v12, 0
	v_dual_mov_b32 v9, 0 :: v_dual_mov_b32 v10, 0
	s_wait_xcnt 0x0
	s_and_saveexec_b32 s16, vcc_lo
	s_cbranch_execz .LBB161_73
; %bb.62:
	global_load_b32 v20, v[4:5], off offset:10240
	global_load_b32 v19, v[6:7], off offset:10240
	v_or_b32_e32 v9, 0xb00, v0
	v_dual_mov_b32 v17, 0 :: v_dual_mov_b32 v18, 0
	v_dual_mov_b32 v15, 0 :: v_dual_mov_b32 v16, 0
	s_delay_alu instid0(VALU_DEP_3)
	v_cmp_gt_u32_e32 vcc_lo, s8, v9
	v_dual_mov_b32 v13, 0 :: v_dual_mov_b32 v14, 0
	v_dual_mov_b32 v11, 0 :: v_dual_mov_b32 v12, 0
	;; [unrolled: 1-line block ×3, first 2 shown]
	s_wait_xcnt 0x0
	s_and_saveexec_b32 s17, vcc_lo
	s_cbranch_execz .LBB161_72
; %bb.63:
	global_load_b32 v18, v[4:5], off offset:11264
	global_load_b32 v17, v[6:7], off offset:11264
	v_or_b32_e32 v9, 0xc00, v0
	v_dual_mov_b32 v15, 0 :: v_dual_mov_b32 v16, 0
	v_dual_mov_b32 v13, 0 :: v_dual_mov_b32 v14, 0
	s_delay_alu instid0(VALU_DEP_3)
	v_cmp_gt_u32_e32 vcc_lo, s8, v9
	v_dual_mov_b32 v11, 0 :: v_dual_mov_b32 v12, 0
	v_dual_mov_b32 v9, 0 :: v_dual_mov_b32 v10, 0
	s_wait_xcnt 0x0
	s_and_saveexec_b32 s18, vcc_lo
	s_cbranch_execz .LBB161_71
; %bb.64:
	global_load_b32 v16, v[4:5], off offset:12288
	global_load_b32 v15, v[6:7], off offset:12288
	v_or_b32_e32 v9, 0xd00, v0
	v_dual_mov_b32 v13, 0 :: v_dual_mov_b32 v14, 0
	v_dual_mov_b32 v11, 0 :: v_dual_mov_b32 v12, 0
	s_delay_alu instid0(VALU_DEP_3)
	v_cmp_gt_u32_e32 vcc_lo, s8, v9
	v_dual_mov_b32 v9, 0 :: v_dual_mov_b32 v10, 0
	s_wait_xcnt 0x0
	s_and_saveexec_b32 s19, vcc_lo
	s_cbranch_execz .LBB161_70
; %bb.65:
	global_load_b32 v14, v[4:5], off offset:13312
	global_load_b32 v13, v[6:7], off offset:13312
	v_or_b32_e32 v9, 0xe00, v0
	v_dual_mov_b32 v11, 0 :: v_dual_mov_b32 v12, 0
	v_mov_b32_e32 v10, 0
	s_delay_alu instid0(VALU_DEP_3)
	v_cmp_gt_u32_e32 vcc_lo, s8, v9
	v_mov_b32_e32 v9, 0
	s_wait_xcnt 0x0
	s_and_saveexec_b32 s20, vcc_lo
	s_cbranch_execz .LBB161_69
; %bb.66:
	global_load_b32 v12, v[4:5], off offset:14336
	global_load_b32 v11, v[6:7], off offset:14336
	v_or_b32_e32 v9, 0xf00, v0
	v_mov_b32_e32 v10, 0
	s_delay_alu instid0(VALU_DEP_2)
	v_cmp_gt_u32_e32 vcc_lo, s8, v9
	v_mov_b32_e32 v9, 0
	s_wait_xcnt 0x0
	s_and_saveexec_b32 s21, vcc_lo
	s_cbranch_execz .LBB161_68
; %bb.67:
	global_load_b32 v10, v[4:5], off offset:15360
	global_load_b32 v9, v[6:7], off offset:15360
.LBB161_68:
	s_wait_xcnt 0x0
	s_or_b32 exec_lo, exec_lo, s21
.LBB161_69:
	s_delay_alu instid0(SALU_CYCLE_1)
	s_or_b32 exec_lo, exec_lo, s20
.LBB161_70:
	s_delay_alu instid0(SALU_CYCLE_1)
	s_or_b32 exec_lo, exec_lo, s19
.LBB161_71:
	s_delay_alu instid0(SALU_CYCLE_1)
	s_or_b32 exec_lo, exec_lo, s18
.LBB161_72:
	s_delay_alu instid0(SALU_CYCLE_1)
	s_or_b32 exec_lo, exec_lo, s17
.LBB161_73:
	s_delay_alu instid0(SALU_CYCLE_1)
	s_or_b32 exec_lo, exec_lo, s16
.LBB161_74:
	s_delay_alu instid0(SALU_CYCLE_1)
	s_or_b32 exec_lo, exec_lo, s15
.LBB161_75:
	s_delay_alu instid0(SALU_CYCLE_1)
	s_or_b32 exec_lo, exec_lo, s14
.LBB161_76:
	s_delay_alu instid0(SALU_CYCLE_1)
	s_or_b32 exec_lo, exec_lo, s13
.LBB161_77:
	s_delay_alu instid0(SALU_CYCLE_1)
	s_or_b32 exec_lo, exec_lo, s11
.LBB161_78:
	s_delay_alu instid0(SALU_CYCLE_1)
	s_or_b32 exec_lo, exec_lo, s10
.LBB161_79:
	s_delay_alu instid0(SALU_CYCLE_1)
	s_or_b32 exec_lo, exec_lo, s7
.LBB161_80:
	s_delay_alu instid0(SALU_CYCLE_1)
	s_or_b32 exec_lo, exec_lo, s6
	s_wait_loadcnt 0x0
	v_dual_mov_b32 v7, v3 :: v_dual_mov_b32 v3, v2
.LBB161_81:
	s_or_b32 exec_lo, exec_lo, s12
.LBB161_82:
	s_delay_alu instid0(SALU_CYCLE_1)
	s_or_b32 exec_lo, exec_lo, s3
.LBB161_83:
	s_delay_alu instid0(SALU_CYCLE_1)
	s_or_b32 exec_lo, exec_lo, s1
	s_cmp_lg_u32 s9, 0
                                        ; implicit-def: $vgpr2
	s_cselect_b32 s3, -1, 0
	s_and_saveexec_b32 s6, s0
	s_cbranch_execz .LBB161_88
; %bb.84:
	s_wait_loadcnt 0x0
	v_dual_lshlrev_b32 v2, 16, v38 :: v_dual_lshlrev_b32 v4, 16, v37
	v_and_b32_e32 v5, 0xffff0000, v38
	v_and_b32_e32 v6, 0xffff0000, v37
	s_and_b32 vcc_lo, exec_lo, s3
	s_cbranch_vccz .LBB161_212
; %bb.85:
	v_cmp_neq_f32_e32 vcc_lo, v4, v2
	s_delay_alu instid0(VALU_DEP_2)
	v_cmp_neq_f32_e64 s1, v6, v5
	s_or_b32 s7, vcc_lo, s1
	s_cbranch_execnz .LBB161_87
.LBB161_86:
	v_cmp_eq_f32_e32 vcc_lo, v4, v2
	v_cmp_eq_f32_e64 s1, v6, v5
	s_and_not1_b32 s7, s7, exec_lo
	s_and_b32 s1, vcc_lo, s1
	s_delay_alu instid0(SALU_CYCLE_1) | instskip(NEXT) | instid1(SALU_CYCLE_1)
	s_and_b32 s1, s1, exec_lo
	s_or_b32 s7, s7, s1
.LBB161_87:
	s_delay_alu instid0(SALU_CYCLE_1)
	v_cndmask_b32_e64 v2, 0, 1, s7
.LBB161_88:
	s_or_b32 exec_lo, exec_lo, s6
	v_cndmask_b32_e64 v5, 0, 1, s3
	s_mov_b32 s6, exec_lo
                                        ; implicit-def: $vgpr4
	v_cmpx_gt_i32_e64 s8, v8
	s_cbranch_execz .LBB161_93
; %bb.89:
	s_wait_loadcnt 0x0
	v_dual_lshlrev_b32 v4, 16, v36 :: v_dual_lshlrev_b32 v6, 16, v35
	v_and_b32_e32 v36, 0xffff0000, v36
	v_and_b32_e32 v35, 0xffff0000, v35
	s_and_not1_b32 vcc_lo, exec_lo, s3
	s_cbranch_vccnz .LBB161_213
; %bb.90:
	v_cmp_neq_f32_e32 vcc_lo, v6, v4
	s_delay_alu instid0(VALU_DEP_2)
	v_cmp_neq_f32_e64 s1, v35, v36
	s_or_b32 s3, vcc_lo, s1
	s_cbranch_execnz .LBB161_92
.LBB161_91:
	v_cmp_eq_f32_e32 vcc_lo, v6, v4
	v_cmp_eq_f32_e64 s1, v35, v36
	s_and_not1_b32 s3, s3, exec_lo
	s_and_b32 s1, vcc_lo, s1
	s_delay_alu instid0(SALU_CYCLE_1) | instskip(NEXT) | instid1(SALU_CYCLE_1)
	s_and_b32 s1, s1, exec_lo
	s_or_b32 s3, s3, s1
.LBB161_92:
	s_delay_alu instid0(SALU_CYCLE_1)
	v_cndmask_b32_e64 v4, 0, 1, s3
.LBB161_93:
	s_or_b32 exec_lo, exec_lo, s6
	v_or_b32_e32 v6, 0x200, v0
	s_delay_alu instid0(VALU_DEP_1)
	v_cmp_gt_i32_e32 vcc_lo, s8, v6
                                        ; implicit-def: $vgpr6
	s_and_saveexec_b32 s3, vcc_lo
	s_cbranch_execz .LBB161_98
; %bb.94:
	v_cmp_ne_u32_e32 vcc_lo, 1, v5
	s_wait_loadcnt 0x1
	v_dual_lshlrev_b32 v6, 16, v3 :: v_dual_lshlrev_b32 v35, 16, v34
	v_and_b32_e32 v3, 0xffff0000, v3
	v_and_b32_e32 v34, 0xffff0000, v34
	s_cbranch_vccnz .LBB161_214
; %bb.95:
	s_delay_alu instid0(VALU_DEP_3) | instskip(NEXT) | instid1(VALU_DEP_2)
	v_cmp_neq_f32_e32 vcc_lo, v35, v6
	v_cmp_neq_f32_e64 s1, v34, v3
	s_or_b32 s6, vcc_lo, s1
	s_cbranch_execnz .LBB161_97
.LBB161_96:
	v_cmp_eq_f32_e32 vcc_lo, v35, v6
	s_delay_alu instid0(VALU_DEP_2) | instskip(SKIP_2) | instid1(SALU_CYCLE_1)
	v_cmp_eq_f32_e64 s1, v34, v3
	s_and_not1_b32 s6, s6, exec_lo
	s_and_b32 s1, vcc_lo, s1
	s_and_b32 s1, s1, exec_lo
	s_delay_alu instid0(SALU_CYCLE_1)
	s_or_b32 s6, s6, s1
.LBB161_97:
	s_delay_alu instid0(SALU_CYCLE_1)
	v_cndmask_b32_e64 v6, 0, 1, s6
.LBB161_98:
	s_or_b32 exec_lo, exec_lo, s3
	v_or_b32_e32 v3, 0x300, v0
	s_delay_alu instid0(VALU_DEP_1)
	v_cmp_gt_i32_e32 vcc_lo, s8, v3
                                        ; implicit-def: $vgpr3
	s_and_saveexec_b32 s3, vcc_lo
	s_cbranch_execz .LBB161_103
; %bb.99:
	v_cmp_ne_u32_e32 vcc_lo, 1, v5
	v_dual_lshlrev_b32 v3, 16, v7 :: v_dual_lshlrev_b32 v34, 16, v33
	v_and_b32_e32 v7, 0xffff0000, v7
	v_and_b32_e32 v33, 0xffff0000, v33
	s_cbranch_vccnz .LBB161_215
; %bb.100:
	s_delay_alu instid0(VALU_DEP_3) | instskip(NEXT) | instid1(VALU_DEP_2)
	v_cmp_neq_f32_e32 vcc_lo, v34, v3
	v_cmp_neq_f32_e64 s1, v33, v7
	s_or_b32 s6, vcc_lo, s1
	s_cbranch_execnz .LBB161_102
.LBB161_101:
	v_cmp_eq_f32_e32 vcc_lo, v34, v3
	s_delay_alu instid0(VALU_DEP_2) | instskip(SKIP_2) | instid1(SALU_CYCLE_1)
	v_cmp_eq_f32_e64 s1, v33, v7
	s_and_not1_b32 s6, s6, exec_lo
	s_and_b32 s1, vcc_lo, s1
	s_and_b32 s1, s1, exec_lo
	s_delay_alu instid0(SALU_CYCLE_1)
	s_or_b32 s6, s6, s1
.LBB161_102:
	s_delay_alu instid0(SALU_CYCLE_1)
	v_cndmask_b32_e64 v3, 0, 1, s6
.LBB161_103:
	s_or_b32 exec_lo, exec_lo, s3
	v_or_b32_e32 v7, 0x400, v0
	s_delay_alu instid0(VALU_DEP_1)
	v_cmp_gt_i32_e32 vcc_lo, s8, v7
                                        ; implicit-def: $vgpr7
	s_and_saveexec_b32 s3, vcc_lo
	s_cbranch_execz .LBB161_108
; %bb.104:
	v_cmp_ne_u32_e32 vcc_lo, 1, v5
	v_dual_lshlrev_b32 v7, 16, v31 :: v_dual_lshlrev_b32 v33, 16, v32
	v_and_b32_e32 v31, 0xffff0000, v31
	v_and_b32_e32 v32, 0xffff0000, v32
	s_cbranch_vccnz .LBB161_216
; %bb.105:
	s_delay_alu instid0(VALU_DEP_3) | instskip(NEXT) | instid1(VALU_DEP_2)
	v_cmp_neq_f32_e32 vcc_lo, v33, v7
	v_cmp_neq_f32_e64 s1, v32, v31
	s_or_b32 s6, vcc_lo, s1
	s_cbranch_execnz .LBB161_107
.LBB161_106:
	v_cmp_eq_f32_e32 vcc_lo, v33, v7
	s_delay_alu instid0(VALU_DEP_2) | instskip(SKIP_2) | instid1(SALU_CYCLE_1)
	v_cmp_eq_f32_e64 s1, v32, v31
	s_and_not1_b32 s6, s6, exec_lo
	s_and_b32 s1, vcc_lo, s1
	s_and_b32 s1, s1, exec_lo
	s_delay_alu instid0(SALU_CYCLE_1)
	s_or_b32 s6, s6, s1
.LBB161_107:
	s_delay_alu instid0(SALU_CYCLE_1)
	v_cndmask_b32_e64 v7, 0, 1, s6
.LBB161_108:
	s_or_b32 exec_lo, exec_lo, s3
	v_or_b32_e32 v31, 0x500, v0
	s_delay_alu instid0(VALU_DEP_1)
	v_cmp_gt_i32_e32 vcc_lo, s8, v31
                                        ; implicit-def: $vgpr31
	s_and_saveexec_b32 s3, vcc_lo
	s_cbranch_execz .LBB161_113
; %bb.109:
	v_cmp_ne_u32_e32 vcc_lo, 1, v5
	v_dual_lshlrev_b32 v31, 16, v29 :: v_dual_lshlrev_b32 v32, 16, v30
	v_and_b32_e32 v29, 0xffff0000, v29
	v_and_b32_e32 v30, 0xffff0000, v30
	s_cbranch_vccnz .LBB161_217
; %bb.110:
	s_delay_alu instid0(VALU_DEP_3) | instskip(NEXT) | instid1(VALU_DEP_2)
	v_cmp_neq_f32_e32 vcc_lo, v32, v31
	v_cmp_neq_f32_e64 s1, v30, v29
	s_or_b32 s6, vcc_lo, s1
	s_cbranch_execnz .LBB161_112
.LBB161_111:
	v_cmp_eq_f32_e32 vcc_lo, v32, v31
	s_delay_alu instid0(VALU_DEP_2) | instskip(SKIP_2) | instid1(SALU_CYCLE_1)
	v_cmp_eq_f32_e64 s1, v30, v29
	s_and_not1_b32 s6, s6, exec_lo
	s_and_b32 s1, vcc_lo, s1
	s_and_b32 s1, s1, exec_lo
	s_delay_alu instid0(SALU_CYCLE_1)
	s_or_b32 s6, s6, s1
.LBB161_112:
	s_delay_alu instid0(SALU_CYCLE_1)
	v_cndmask_b32_e64 v31, 0, 1, s6
.LBB161_113:
	s_or_b32 exec_lo, exec_lo, s3
	v_or_b32_e32 v29, 0x600, v0
	s_delay_alu instid0(VALU_DEP_1)
	v_cmp_gt_i32_e32 vcc_lo, s8, v29
                                        ; implicit-def: $vgpr29
	s_and_saveexec_b32 s3, vcc_lo
	s_cbranch_execz .LBB161_118
; %bb.114:
	v_cmp_ne_u32_e32 vcc_lo, 1, v5
	v_dual_lshlrev_b32 v29, 16, v27 :: v_dual_lshlrev_b32 v30, 16, v28
	v_and_b32_e32 v27, 0xffff0000, v27
	v_and_b32_e32 v28, 0xffff0000, v28
	s_cbranch_vccnz .LBB161_218
; %bb.115:
	s_delay_alu instid0(VALU_DEP_3) | instskip(NEXT) | instid1(VALU_DEP_2)
	v_cmp_neq_f32_e32 vcc_lo, v30, v29
	v_cmp_neq_f32_e64 s1, v28, v27
	s_or_b32 s6, vcc_lo, s1
	s_cbranch_execnz .LBB161_117
.LBB161_116:
	v_cmp_eq_f32_e32 vcc_lo, v30, v29
	s_delay_alu instid0(VALU_DEP_2) | instskip(SKIP_2) | instid1(SALU_CYCLE_1)
	v_cmp_eq_f32_e64 s1, v28, v27
	s_and_not1_b32 s6, s6, exec_lo
	s_and_b32 s1, vcc_lo, s1
	s_and_b32 s1, s1, exec_lo
	s_delay_alu instid0(SALU_CYCLE_1)
	s_or_b32 s6, s6, s1
.LBB161_117:
	s_delay_alu instid0(SALU_CYCLE_1)
	v_cndmask_b32_e64 v29, 0, 1, s6
.LBB161_118:
	s_or_b32 exec_lo, exec_lo, s3
	v_or_b32_e32 v27, 0x700, v0
	s_delay_alu instid0(VALU_DEP_1)
	v_cmp_gt_i32_e32 vcc_lo, s8, v27
                                        ; implicit-def: $vgpr27
	s_and_saveexec_b32 s3, vcc_lo
	s_cbranch_execz .LBB161_123
; %bb.119:
	v_cmp_ne_u32_e32 vcc_lo, 1, v5
	v_dual_lshlrev_b32 v27, 16, v25 :: v_dual_lshlrev_b32 v28, 16, v26
	v_and_b32_e32 v25, 0xffff0000, v25
	v_and_b32_e32 v26, 0xffff0000, v26
	s_cbranch_vccnz .LBB161_219
; %bb.120:
	s_delay_alu instid0(VALU_DEP_3) | instskip(NEXT) | instid1(VALU_DEP_2)
	v_cmp_neq_f32_e32 vcc_lo, v28, v27
	v_cmp_neq_f32_e64 s1, v26, v25
	s_or_b32 s6, vcc_lo, s1
	s_cbranch_execnz .LBB161_122
.LBB161_121:
	v_cmp_eq_f32_e32 vcc_lo, v28, v27
	s_delay_alu instid0(VALU_DEP_2) | instskip(SKIP_2) | instid1(SALU_CYCLE_1)
	v_cmp_eq_f32_e64 s1, v26, v25
	s_and_not1_b32 s6, s6, exec_lo
	s_and_b32 s1, vcc_lo, s1
	s_and_b32 s1, s1, exec_lo
	s_delay_alu instid0(SALU_CYCLE_1)
	s_or_b32 s6, s6, s1
.LBB161_122:
	s_delay_alu instid0(SALU_CYCLE_1)
	v_cndmask_b32_e64 v27, 0, 1, s6
.LBB161_123:
	s_or_b32 exec_lo, exec_lo, s3
	v_or_b32_e32 v25, 0x800, v0
	s_delay_alu instid0(VALU_DEP_1)
	v_cmp_gt_i32_e32 vcc_lo, s8, v25
                                        ; implicit-def: $vgpr25
	s_and_saveexec_b32 s3, vcc_lo
	s_cbranch_execz .LBB161_128
; %bb.124:
	v_cmp_ne_u32_e32 vcc_lo, 1, v5
	v_dual_lshlrev_b32 v25, 16, v23 :: v_dual_lshlrev_b32 v26, 16, v24
	v_and_b32_e32 v23, 0xffff0000, v23
	v_and_b32_e32 v24, 0xffff0000, v24
	s_cbranch_vccnz .LBB161_220
; %bb.125:
	s_delay_alu instid0(VALU_DEP_3) | instskip(NEXT) | instid1(VALU_DEP_2)
	v_cmp_neq_f32_e32 vcc_lo, v26, v25
	v_cmp_neq_f32_e64 s1, v24, v23
	s_or_b32 s6, vcc_lo, s1
	s_cbranch_execnz .LBB161_127
.LBB161_126:
	v_cmp_eq_f32_e32 vcc_lo, v26, v25
	s_delay_alu instid0(VALU_DEP_2) | instskip(SKIP_2) | instid1(SALU_CYCLE_1)
	v_cmp_eq_f32_e64 s1, v24, v23
	s_and_not1_b32 s6, s6, exec_lo
	s_and_b32 s1, vcc_lo, s1
	s_and_b32 s1, s1, exec_lo
	s_delay_alu instid0(SALU_CYCLE_1)
	s_or_b32 s6, s6, s1
.LBB161_127:
	s_delay_alu instid0(SALU_CYCLE_1)
	v_cndmask_b32_e64 v25, 0, 1, s6
.LBB161_128:
	s_or_b32 exec_lo, exec_lo, s3
	v_or_b32_e32 v23, 0x900, v0
	s_delay_alu instid0(VALU_DEP_1)
	v_cmp_gt_i32_e32 vcc_lo, s8, v23
                                        ; implicit-def: $vgpr23
	s_and_saveexec_b32 s3, vcc_lo
	s_cbranch_execz .LBB161_133
; %bb.129:
	v_cmp_ne_u32_e32 vcc_lo, 1, v5
	v_dual_lshlrev_b32 v23, 16, v21 :: v_dual_lshlrev_b32 v24, 16, v22
	v_and_b32_e32 v21, 0xffff0000, v21
	v_and_b32_e32 v22, 0xffff0000, v22
	s_cbranch_vccnz .LBB161_221
; %bb.130:
	s_delay_alu instid0(VALU_DEP_3) | instskip(NEXT) | instid1(VALU_DEP_2)
	v_cmp_neq_f32_e32 vcc_lo, v24, v23
	v_cmp_neq_f32_e64 s1, v22, v21
	s_or_b32 s6, vcc_lo, s1
	s_cbranch_execnz .LBB161_132
.LBB161_131:
	v_cmp_eq_f32_e32 vcc_lo, v24, v23
	s_delay_alu instid0(VALU_DEP_2) | instskip(SKIP_2) | instid1(SALU_CYCLE_1)
	v_cmp_eq_f32_e64 s1, v22, v21
	s_and_not1_b32 s6, s6, exec_lo
	s_and_b32 s1, vcc_lo, s1
	s_and_b32 s1, s1, exec_lo
	s_delay_alu instid0(SALU_CYCLE_1)
	s_or_b32 s6, s6, s1
.LBB161_132:
	s_delay_alu instid0(SALU_CYCLE_1)
	v_cndmask_b32_e64 v23, 0, 1, s6
.LBB161_133:
	s_or_b32 exec_lo, exec_lo, s3
	v_or_b32_e32 v21, 0xa00, v0
	s_delay_alu instid0(VALU_DEP_1)
	v_cmp_gt_i32_e32 vcc_lo, s8, v21
                                        ; implicit-def: $vgpr21
	s_and_saveexec_b32 s3, vcc_lo
	s_cbranch_execz .LBB161_138
; %bb.134:
	v_cmp_ne_u32_e32 vcc_lo, 1, v5
	v_dual_lshlrev_b32 v21, 16, v19 :: v_dual_lshlrev_b32 v22, 16, v20
	v_and_b32_e32 v19, 0xffff0000, v19
	v_and_b32_e32 v20, 0xffff0000, v20
	s_cbranch_vccnz .LBB161_222
; %bb.135:
	s_delay_alu instid0(VALU_DEP_3) | instskip(NEXT) | instid1(VALU_DEP_2)
	v_cmp_neq_f32_e32 vcc_lo, v22, v21
	v_cmp_neq_f32_e64 s1, v20, v19
	s_or_b32 s6, vcc_lo, s1
	s_cbranch_execnz .LBB161_137
.LBB161_136:
	v_cmp_eq_f32_e32 vcc_lo, v22, v21
	s_delay_alu instid0(VALU_DEP_2) | instskip(SKIP_2) | instid1(SALU_CYCLE_1)
	v_cmp_eq_f32_e64 s1, v20, v19
	s_and_not1_b32 s6, s6, exec_lo
	s_and_b32 s1, vcc_lo, s1
	s_and_b32 s1, s1, exec_lo
	s_delay_alu instid0(SALU_CYCLE_1)
	s_or_b32 s6, s6, s1
.LBB161_137:
	s_delay_alu instid0(SALU_CYCLE_1)
	v_cndmask_b32_e64 v21, 0, 1, s6
.LBB161_138:
	s_or_b32 exec_lo, exec_lo, s3
	v_or_b32_e32 v19, 0xb00, v0
	s_delay_alu instid0(VALU_DEP_1)
	v_cmp_gt_i32_e32 vcc_lo, s8, v19
                                        ; implicit-def: $vgpr19
	s_and_saveexec_b32 s3, vcc_lo
	s_cbranch_execz .LBB161_143
; %bb.139:
	v_cmp_ne_u32_e32 vcc_lo, 1, v5
	v_dual_lshlrev_b32 v19, 16, v17 :: v_dual_lshlrev_b32 v20, 16, v18
	v_and_b32_e32 v17, 0xffff0000, v17
	v_and_b32_e32 v18, 0xffff0000, v18
	s_cbranch_vccnz .LBB161_223
; %bb.140:
	s_delay_alu instid0(VALU_DEP_3) | instskip(NEXT) | instid1(VALU_DEP_2)
	v_cmp_neq_f32_e32 vcc_lo, v20, v19
	v_cmp_neq_f32_e64 s1, v18, v17
	s_or_b32 s6, vcc_lo, s1
	s_cbranch_execnz .LBB161_142
.LBB161_141:
	v_cmp_eq_f32_e32 vcc_lo, v20, v19
	s_delay_alu instid0(VALU_DEP_2) | instskip(SKIP_2) | instid1(SALU_CYCLE_1)
	v_cmp_eq_f32_e64 s1, v18, v17
	s_and_not1_b32 s6, s6, exec_lo
	s_and_b32 s1, vcc_lo, s1
	s_and_b32 s1, s1, exec_lo
	s_delay_alu instid0(SALU_CYCLE_1)
	s_or_b32 s6, s6, s1
.LBB161_142:
	s_delay_alu instid0(SALU_CYCLE_1)
	v_cndmask_b32_e64 v19, 0, 1, s6
.LBB161_143:
	s_or_b32 exec_lo, exec_lo, s3
	v_or_b32_e32 v17, 0xc00, v0
	s_delay_alu instid0(VALU_DEP_1)
	v_cmp_gt_i32_e32 vcc_lo, s8, v17
                                        ; implicit-def: $vgpr17
	s_and_saveexec_b32 s3, vcc_lo
	s_cbranch_execz .LBB161_148
; %bb.144:
	v_cmp_ne_u32_e32 vcc_lo, 1, v5
	v_dual_lshlrev_b32 v17, 16, v15 :: v_dual_lshlrev_b32 v18, 16, v16
	v_and_b32_e32 v15, 0xffff0000, v15
	v_and_b32_e32 v16, 0xffff0000, v16
	s_cbranch_vccnz .LBB161_224
; %bb.145:
	s_delay_alu instid0(VALU_DEP_3) | instskip(NEXT) | instid1(VALU_DEP_2)
	v_cmp_neq_f32_e32 vcc_lo, v18, v17
	v_cmp_neq_f32_e64 s1, v16, v15
	s_or_b32 s6, vcc_lo, s1
	s_cbranch_execnz .LBB161_147
.LBB161_146:
	v_cmp_eq_f32_e32 vcc_lo, v18, v17
	s_delay_alu instid0(VALU_DEP_2) | instskip(SKIP_2) | instid1(SALU_CYCLE_1)
	v_cmp_eq_f32_e64 s1, v16, v15
	s_and_not1_b32 s6, s6, exec_lo
	s_and_b32 s1, vcc_lo, s1
	s_and_b32 s1, s1, exec_lo
	s_delay_alu instid0(SALU_CYCLE_1)
	s_or_b32 s6, s6, s1
.LBB161_147:
	s_delay_alu instid0(SALU_CYCLE_1)
	v_cndmask_b32_e64 v17, 0, 1, s6
.LBB161_148:
	s_or_b32 exec_lo, exec_lo, s3
	v_or_b32_e32 v15, 0xd00, v0
	s_delay_alu instid0(VALU_DEP_1)
	v_cmp_gt_i32_e32 vcc_lo, s8, v15
                                        ; implicit-def: $vgpr15
	s_and_saveexec_b32 s3, vcc_lo
	s_cbranch_execz .LBB161_153
; %bb.149:
	v_cmp_ne_u32_e32 vcc_lo, 1, v5
	v_dual_lshlrev_b32 v15, 16, v13 :: v_dual_lshlrev_b32 v16, 16, v14
	v_and_b32_e32 v13, 0xffff0000, v13
	v_and_b32_e32 v14, 0xffff0000, v14
	s_cbranch_vccnz .LBB161_225
; %bb.150:
	s_delay_alu instid0(VALU_DEP_3) | instskip(NEXT) | instid1(VALU_DEP_2)
	v_cmp_neq_f32_e32 vcc_lo, v16, v15
	v_cmp_neq_f32_e64 s1, v14, v13
	s_or_b32 s6, vcc_lo, s1
	s_cbranch_execnz .LBB161_152
.LBB161_151:
	v_cmp_eq_f32_e32 vcc_lo, v16, v15
	s_delay_alu instid0(VALU_DEP_2) | instskip(SKIP_2) | instid1(SALU_CYCLE_1)
	v_cmp_eq_f32_e64 s1, v14, v13
	s_and_not1_b32 s6, s6, exec_lo
	s_and_b32 s1, vcc_lo, s1
	s_and_b32 s1, s1, exec_lo
	s_delay_alu instid0(SALU_CYCLE_1)
	s_or_b32 s6, s6, s1
.LBB161_152:
	s_delay_alu instid0(SALU_CYCLE_1)
	v_cndmask_b32_e64 v15, 0, 1, s6
.LBB161_153:
	s_or_b32 exec_lo, exec_lo, s3
	v_or_b32_e32 v13, 0xe00, v0
	s_delay_alu instid0(VALU_DEP_1)
	v_cmp_gt_i32_e32 vcc_lo, s8, v13
                                        ; implicit-def: $vgpr13
	s_and_saveexec_b32 s3, vcc_lo
	s_cbranch_execz .LBB161_158
; %bb.154:
	v_cmp_ne_u32_e32 vcc_lo, 1, v5
	v_dual_lshlrev_b32 v13, 16, v11 :: v_dual_lshlrev_b32 v14, 16, v12
	v_and_b32_e32 v11, 0xffff0000, v11
	v_and_b32_e32 v12, 0xffff0000, v12
	s_cbranch_vccnz .LBB161_226
; %bb.155:
	s_delay_alu instid0(VALU_DEP_3) | instskip(NEXT) | instid1(VALU_DEP_2)
	v_cmp_neq_f32_e32 vcc_lo, v14, v13
	v_cmp_neq_f32_e64 s1, v12, v11
	s_or_b32 s6, vcc_lo, s1
	s_cbranch_execnz .LBB161_157
.LBB161_156:
	v_cmp_eq_f32_e32 vcc_lo, v14, v13
	s_delay_alu instid0(VALU_DEP_2) | instskip(SKIP_2) | instid1(SALU_CYCLE_1)
	v_cmp_eq_f32_e64 s1, v12, v11
	s_and_not1_b32 s6, s6, exec_lo
	s_and_b32 s1, vcc_lo, s1
	s_and_b32 s1, s1, exec_lo
	s_delay_alu instid0(SALU_CYCLE_1)
	s_or_b32 s6, s6, s1
.LBB161_157:
	s_delay_alu instid0(SALU_CYCLE_1)
	v_cndmask_b32_e64 v13, 0, 1, s6
.LBB161_158:
	s_or_b32 exec_lo, exec_lo, s3
	v_or_b32_e32 v11, 0xf00, v0
	s_delay_alu instid0(VALU_DEP_1)
	v_cmp_gt_i32_e32 vcc_lo, s8, v11
                                        ; implicit-def: $vgpr11
	s_and_saveexec_b32 s3, vcc_lo
	s_cbranch_execz .LBB161_163
; %bb.159:
	v_cmp_ne_u32_e32 vcc_lo, 1, v5
	v_dual_lshlrev_b32 v5, 16, v9 :: v_dual_lshlrev_b32 v11, 16, v10
	v_and_b32_e32 v9, 0xffff0000, v9
	v_and_b32_e32 v10, 0xffff0000, v10
	s_cbranch_vccnz .LBB161_227
; %bb.160:
	s_delay_alu instid0(VALU_DEP_3) | instskip(NEXT) | instid1(VALU_DEP_2)
	v_cmp_neq_f32_e32 vcc_lo, v11, v5
	v_cmp_neq_f32_e64 s1, v10, v9
	s_or_b32 s6, vcc_lo, s1
	s_cbranch_execnz .LBB161_162
.LBB161_161:
	v_cmp_eq_f32_e32 vcc_lo, v11, v5
	s_delay_alu instid0(VALU_DEP_2) | instskip(SKIP_2) | instid1(SALU_CYCLE_1)
	v_cmp_eq_f32_e64 s1, v10, v9
	s_and_not1_b32 s6, s6, exec_lo
	s_and_b32 s1, vcc_lo, s1
	s_and_b32 s1, s1, exec_lo
	s_delay_alu instid0(SALU_CYCLE_1)
	s_or_b32 s6, s6, s1
.LBB161_162:
	s_delay_alu instid0(SALU_CYCLE_1)
	v_cndmask_b32_e64 v11, 0, 1, s6
.LBB161_163:
	s_or_b32 exec_lo, exec_lo, s3
	s_and_saveexec_b32 s1, s0
	s_delay_alu instid0(SALU_CYCLE_1)
	s_xor_b32 s0, exec_lo, s1
	s_cbranch_execz .LBB161_165
; %bb.164:
	v_mov_b32_e32 v0, v8
	global_store_b8 v1, v2, s[4:5]
.LBB161_165:
	s_wait_xcnt 0x0
	s_or_b32 exec_lo, exec_lo, s0
	s_delay_alu instid0(SALU_CYCLE_1)
	s_mov_b32 s0, exec_lo
	v_cmpx_gt_i32_e64 s8, v0
	s_cbranch_execnz .LBB161_181
; %bb.166:
	s_or_b32 exec_lo, exec_lo, s0
	s_delay_alu instid0(SALU_CYCLE_1)
	s_mov_b32 s0, exec_lo
	v_cmpx_gt_i32_e64 s8, v0
	s_cbranch_execnz .LBB161_182
.LBB161_167:
	s_or_b32 exec_lo, exec_lo, s0
	s_delay_alu instid0(SALU_CYCLE_1)
	s_mov_b32 s0, exec_lo
	v_cmpx_gt_i32_e64 s8, v0
	s_cbranch_execnz .LBB161_183
.LBB161_168:
	s_or_b32 exec_lo, exec_lo, s0
	s_delay_alu instid0(SALU_CYCLE_1)
	s_mov_b32 s0, exec_lo
	v_cmpx_gt_i32_e64 s8, v0
	s_cbranch_execnz .LBB161_184
.LBB161_169:
	s_or_b32 exec_lo, exec_lo, s0
	s_delay_alu instid0(SALU_CYCLE_1)
	s_mov_b32 s0, exec_lo
	v_cmpx_gt_i32_e64 s8, v0
	s_cbranch_execnz .LBB161_185
.LBB161_170:
	s_or_b32 exec_lo, exec_lo, s0
	s_delay_alu instid0(SALU_CYCLE_1)
	s_mov_b32 s0, exec_lo
	v_cmpx_gt_i32_e64 s8, v0
	s_cbranch_execnz .LBB161_186
.LBB161_171:
	s_or_b32 exec_lo, exec_lo, s0
	s_delay_alu instid0(SALU_CYCLE_1)
	s_mov_b32 s0, exec_lo
	v_cmpx_gt_i32_e64 s8, v0
	s_cbranch_execnz .LBB161_187
.LBB161_172:
	s_or_b32 exec_lo, exec_lo, s0
	s_delay_alu instid0(SALU_CYCLE_1)
	s_mov_b32 s0, exec_lo
	v_cmpx_gt_i32_e64 s8, v0
	s_cbranch_execnz .LBB161_188
.LBB161_173:
	s_or_b32 exec_lo, exec_lo, s0
	s_delay_alu instid0(SALU_CYCLE_1)
	s_mov_b32 s0, exec_lo
	v_cmpx_gt_i32_e64 s8, v0
	s_cbranch_execnz .LBB161_189
.LBB161_174:
	s_or_b32 exec_lo, exec_lo, s0
	s_delay_alu instid0(SALU_CYCLE_1)
	s_mov_b32 s0, exec_lo
	v_cmpx_gt_i32_e64 s8, v0
	s_cbranch_execnz .LBB161_190
.LBB161_175:
	s_or_b32 exec_lo, exec_lo, s0
	s_delay_alu instid0(SALU_CYCLE_1)
	s_mov_b32 s0, exec_lo
	v_cmpx_gt_i32_e64 s8, v0
	s_cbranch_execnz .LBB161_191
.LBB161_176:
	s_or_b32 exec_lo, exec_lo, s0
	s_delay_alu instid0(SALU_CYCLE_1)
	s_mov_b32 s0, exec_lo
	v_cmpx_gt_i32_e64 s8, v0
	s_cbranch_execnz .LBB161_192
.LBB161_177:
	s_or_b32 exec_lo, exec_lo, s0
	s_delay_alu instid0(SALU_CYCLE_1)
	s_mov_b32 s0, exec_lo
	v_cmpx_gt_i32_e64 s8, v0
	s_cbranch_execnz .LBB161_193
.LBB161_178:
	s_or_b32 exec_lo, exec_lo, s0
	s_delay_alu instid0(SALU_CYCLE_1)
	s_mov_b32 s0, exec_lo
	v_cmpx_gt_i32_e64 s8, v0
	s_cbranch_execnz .LBB161_194
.LBB161_179:
	s_or_b32 exec_lo, exec_lo, s0
	s_delay_alu instid0(SALU_CYCLE_1)
	s_mov_b32 s0, exec_lo
	v_cmpx_gt_i32_e64 s8, v0
	s_cbranch_execz .LBB161_195
.LBB161_180:
	v_add_nc_u32_e32 v0, s2, v0
	global_store_b8 v0, v11, s[4:5]
	s_endpgm
.LBB161_181:
	v_add_nc_u32_e32 v1, s2, v0
	v_add_nc_u32_e32 v0, 0x100, v0
	global_store_b8 v1, v4, s[4:5]
	s_wait_xcnt 0x0
	s_or_b32 exec_lo, exec_lo, s0
	s_delay_alu instid0(SALU_CYCLE_1)
	s_mov_b32 s0, exec_lo
	v_cmpx_gt_i32_e64 s8, v0
	s_cbranch_execz .LBB161_167
.LBB161_182:
	v_add_nc_u32_e32 v1, s2, v0
	v_add_nc_u32_e32 v0, 0x100, v0
	global_store_b8 v1, v6, s[4:5]
	s_wait_xcnt 0x0
	s_or_b32 exec_lo, exec_lo, s0
	s_delay_alu instid0(SALU_CYCLE_1)
	s_mov_b32 s0, exec_lo
	v_cmpx_gt_i32_e64 s8, v0
	s_cbranch_execz .LBB161_168
.LBB161_183:
	v_add_nc_u32_e32 v1, s2, v0
	v_add_nc_u32_e32 v0, 0x100, v0
	global_store_b8 v1, v3, s[4:5]
	s_wait_xcnt 0x0
	s_or_b32 exec_lo, exec_lo, s0
	s_delay_alu instid0(SALU_CYCLE_1)
	s_mov_b32 s0, exec_lo
	v_cmpx_gt_i32_e64 s8, v0
	s_cbranch_execz .LBB161_169
.LBB161_184:
	v_add_nc_u32_e32 v1, s2, v0
	v_add_nc_u32_e32 v0, 0x100, v0
	global_store_b8 v1, v7, s[4:5]
	s_wait_xcnt 0x0
	s_or_b32 exec_lo, exec_lo, s0
	s_delay_alu instid0(SALU_CYCLE_1)
	s_mov_b32 s0, exec_lo
	v_cmpx_gt_i32_e64 s8, v0
	s_cbranch_execz .LBB161_170
.LBB161_185:
	v_add_nc_u32_e32 v1, s2, v0
	v_add_nc_u32_e32 v0, 0x100, v0
	global_store_b8 v1, v31, s[4:5]
	s_wait_xcnt 0x0
	s_or_b32 exec_lo, exec_lo, s0
	s_delay_alu instid0(SALU_CYCLE_1)
	s_mov_b32 s0, exec_lo
	v_cmpx_gt_i32_e64 s8, v0
	s_cbranch_execz .LBB161_171
.LBB161_186:
	v_add_nc_u32_e32 v1, s2, v0
	v_add_nc_u32_e32 v0, 0x100, v0
	global_store_b8 v1, v29, s[4:5]
	s_wait_xcnt 0x0
	s_or_b32 exec_lo, exec_lo, s0
	s_delay_alu instid0(SALU_CYCLE_1)
	s_mov_b32 s0, exec_lo
	v_cmpx_gt_i32_e64 s8, v0
	s_cbranch_execz .LBB161_172
.LBB161_187:
	v_add_nc_u32_e32 v1, s2, v0
	v_add_nc_u32_e32 v0, 0x100, v0
	global_store_b8 v1, v27, s[4:5]
	s_wait_xcnt 0x0
	s_or_b32 exec_lo, exec_lo, s0
	s_delay_alu instid0(SALU_CYCLE_1)
	s_mov_b32 s0, exec_lo
	v_cmpx_gt_i32_e64 s8, v0
	s_cbranch_execz .LBB161_173
.LBB161_188:
	v_add_nc_u32_e32 v1, s2, v0
	v_add_nc_u32_e32 v0, 0x100, v0
	global_store_b8 v1, v25, s[4:5]
	s_wait_xcnt 0x0
	s_or_b32 exec_lo, exec_lo, s0
	s_delay_alu instid0(SALU_CYCLE_1)
	s_mov_b32 s0, exec_lo
	v_cmpx_gt_i32_e64 s8, v0
	s_cbranch_execz .LBB161_174
.LBB161_189:
	v_add_nc_u32_e32 v1, s2, v0
	v_add_nc_u32_e32 v0, 0x100, v0
	global_store_b8 v1, v23, s[4:5]
	s_wait_xcnt 0x0
	s_or_b32 exec_lo, exec_lo, s0
	s_delay_alu instid0(SALU_CYCLE_1)
	s_mov_b32 s0, exec_lo
	v_cmpx_gt_i32_e64 s8, v0
	s_cbranch_execz .LBB161_175
.LBB161_190:
	v_add_nc_u32_e32 v1, s2, v0
	v_add_nc_u32_e32 v0, 0x100, v0
	global_store_b8 v1, v21, s[4:5]
	s_wait_xcnt 0x0
	s_or_b32 exec_lo, exec_lo, s0
	s_delay_alu instid0(SALU_CYCLE_1)
	s_mov_b32 s0, exec_lo
	v_cmpx_gt_i32_e64 s8, v0
	s_cbranch_execz .LBB161_176
.LBB161_191:
	v_add_nc_u32_e32 v1, s2, v0
	v_add_nc_u32_e32 v0, 0x100, v0
	global_store_b8 v1, v19, s[4:5]
	s_wait_xcnt 0x0
	s_or_b32 exec_lo, exec_lo, s0
	s_delay_alu instid0(SALU_CYCLE_1)
	s_mov_b32 s0, exec_lo
	v_cmpx_gt_i32_e64 s8, v0
	s_cbranch_execz .LBB161_177
.LBB161_192:
	v_add_nc_u32_e32 v1, s2, v0
	v_add_nc_u32_e32 v0, 0x100, v0
	global_store_b8 v1, v17, s[4:5]
	s_wait_xcnt 0x0
	s_or_b32 exec_lo, exec_lo, s0
	s_delay_alu instid0(SALU_CYCLE_1)
	s_mov_b32 s0, exec_lo
	v_cmpx_gt_i32_e64 s8, v0
	s_cbranch_execz .LBB161_178
.LBB161_193:
	v_add_nc_u32_e32 v1, s2, v0
	v_add_nc_u32_e32 v0, 0x100, v0
	global_store_b8 v1, v15, s[4:5]
	s_wait_xcnt 0x0
	s_or_b32 exec_lo, exec_lo, s0
	s_delay_alu instid0(SALU_CYCLE_1)
	s_mov_b32 s0, exec_lo
	v_cmpx_gt_i32_e64 s8, v0
	s_cbranch_execz .LBB161_179
.LBB161_194:
	v_add_nc_u32_e32 v1, s2, v0
	v_add_nc_u32_e32 v0, 0x100, v0
	global_store_b8 v1, v13, s[4:5]
	s_wait_xcnt 0x0
	s_or_b32 exec_lo, exec_lo, s0
	s_delay_alu instid0(SALU_CYCLE_1)
	s_mov_b32 s0, exec_lo
	v_cmpx_gt_i32_e64 s8, v0
	s_cbranch_execnz .LBB161_180
.LBB161_195:
	s_endpgm
.LBB161_196:
                                        ; implicit-def: $sgpr1
	s_branch .LBB161_3
.LBB161_197:
                                        ; implicit-def: $sgpr12
	s_branch .LBB161_6
.LBB161_198:
                                        ; implicit-def: $sgpr13
	s_branch .LBB161_9
.LBB161_199:
                                        ; implicit-def: $sgpr14
	s_branch .LBB161_12
.LBB161_200:
                                        ; implicit-def: $sgpr15
	s_branch .LBB161_15
.LBB161_201:
                                        ; implicit-def: $sgpr16
	s_branch .LBB161_18
.LBB161_202:
                                        ; implicit-def: $sgpr17
	s_branch .LBB161_21
.LBB161_203:
                                        ; implicit-def: $sgpr18
	s_branch .LBB161_24
.LBB161_204:
                                        ; implicit-def: $sgpr19
	s_branch .LBB161_27
.LBB161_205:
                                        ; implicit-def: $sgpr20
	s_branch .LBB161_30
.LBB161_206:
                                        ; implicit-def: $sgpr21
	s_branch .LBB161_33
.LBB161_207:
                                        ; implicit-def: $sgpr22
	s_branch .LBB161_36
.LBB161_208:
                                        ; implicit-def: $sgpr23
	s_branch .LBB161_39
.LBB161_209:
                                        ; implicit-def: $sgpr24
	s_branch .LBB161_42
.LBB161_210:
                                        ; implicit-def: $sgpr25
	s_branch .LBB161_45
.LBB161_211:
                                        ; implicit-def: $sgpr26
	s_branch .LBB161_48
.LBB161_212:
                                        ; implicit-def: $sgpr7
	s_branch .LBB161_86
.LBB161_213:
                                        ; implicit-def: $sgpr3
	s_branch .LBB161_91
.LBB161_214:
                                        ; implicit-def: $sgpr6
	s_branch .LBB161_96
.LBB161_215:
                                        ; implicit-def: $sgpr6
	s_branch .LBB161_101
.LBB161_216:
                                        ; implicit-def: $sgpr6
	s_branch .LBB161_106
.LBB161_217:
                                        ; implicit-def: $sgpr6
	s_branch .LBB161_111
.LBB161_218:
                                        ; implicit-def: $sgpr6
	s_branch .LBB161_116
.LBB161_219:
                                        ; implicit-def: $sgpr6
	s_branch .LBB161_121
.LBB161_220:
                                        ; implicit-def: $sgpr6
	s_branch .LBB161_126
.LBB161_221:
                                        ; implicit-def: $sgpr6
	s_branch .LBB161_131
.LBB161_222:
                                        ; implicit-def: $sgpr6
	s_branch .LBB161_136
.LBB161_223:
                                        ; implicit-def: $sgpr6
	s_branch .LBB161_141
.LBB161_224:
                                        ; implicit-def: $sgpr6
	s_branch .LBB161_146
.LBB161_225:
                                        ; implicit-def: $sgpr6
	s_branch .LBB161_151
.LBB161_226:
                                        ; implicit-def: $sgpr6
	s_branch .LBB161_156
.LBB161_227:
                                        ; implicit-def: $sgpr6
	s_branch .LBB161_161
	.section	.rodata,"a",@progbits
	.p2align	6, 0x0
	.amdhsa_kernel _ZN2at6native29vectorized_elementwise_kernelILi8ENS0_13BinaryFunctorIN3c107complexINS3_8BFloat16EEES6_bNS0_12_GLOBAL__N_116CompareEqFunctorIS6_EEEESt5arrayIPcLm3EEEEviT0_T1_
		.amdhsa_group_segment_fixed_size 0
		.amdhsa_private_segment_fixed_size 0
		.amdhsa_kernarg_size 32
		.amdhsa_user_sgpr_count 2
		.amdhsa_user_sgpr_dispatch_ptr 0
		.amdhsa_user_sgpr_queue_ptr 0
		.amdhsa_user_sgpr_kernarg_segment_ptr 1
		.amdhsa_user_sgpr_dispatch_id 0
		.amdhsa_user_sgpr_kernarg_preload_length 0
		.amdhsa_user_sgpr_kernarg_preload_offset 0
		.amdhsa_user_sgpr_private_segment_size 0
		.amdhsa_wavefront_size32 1
		.amdhsa_uses_dynamic_stack 0
		.amdhsa_enable_private_segment 0
		.amdhsa_system_sgpr_workgroup_id_x 1
		.amdhsa_system_sgpr_workgroup_id_y 0
		.amdhsa_system_sgpr_workgroup_id_z 0
		.amdhsa_system_sgpr_workgroup_info 0
		.amdhsa_system_vgpr_workitem_id 0
		.amdhsa_next_free_vgpr 39
		.amdhsa_next_free_sgpr 27
		.amdhsa_named_barrier_count 0
		.amdhsa_reserve_vcc 1
		.amdhsa_float_round_mode_32 0
		.amdhsa_float_round_mode_16_64 0
		.amdhsa_float_denorm_mode_32 3
		.amdhsa_float_denorm_mode_16_64 3
		.amdhsa_fp16_overflow 0
		.amdhsa_memory_ordered 1
		.amdhsa_forward_progress 1
		.amdhsa_inst_pref_size 60
		.amdhsa_round_robin_scheduling 0
		.amdhsa_exception_fp_ieee_invalid_op 0
		.amdhsa_exception_fp_denorm_src 0
		.amdhsa_exception_fp_ieee_div_zero 0
		.amdhsa_exception_fp_ieee_overflow 0
		.amdhsa_exception_fp_ieee_underflow 0
		.amdhsa_exception_fp_ieee_inexact 0
		.amdhsa_exception_int_div_zero 0
	.end_amdhsa_kernel
	.section	.text._ZN2at6native29vectorized_elementwise_kernelILi8ENS0_13BinaryFunctorIN3c107complexINS3_8BFloat16EEES6_bNS0_12_GLOBAL__N_116CompareEqFunctorIS6_EEEESt5arrayIPcLm3EEEEviT0_T1_,"axG",@progbits,_ZN2at6native29vectorized_elementwise_kernelILi8ENS0_13BinaryFunctorIN3c107complexINS3_8BFloat16EEES6_bNS0_12_GLOBAL__N_116CompareEqFunctorIS6_EEEESt5arrayIPcLm3EEEEviT0_T1_,comdat
.Lfunc_end161:
	.size	_ZN2at6native29vectorized_elementwise_kernelILi8ENS0_13BinaryFunctorIN3c107complexINS3_8BFloat16EEES6_bNS0_12_GLOBAL__N_116CompareEqFunctorIS6_EEEESt5arrayIPcLm3EEEEviT0_T1_, .Lfunc_end161-_ZN2at6native29vectorized_elementwise_kernelILi8ENS0_13BinaryFunctorIN3c107complexINS3_8BFloat16EEES6_bNS0_12_GLOBAL__N_116CompareEqFunctorIS6_EEEESt5arrayIPcLm3EEEEviT0_T1_
                                        ; -- End function
	.set _ZN2at6native29vectorized_elementwise_kernelILi8ENS0_13BinaryFunctorIN3c107complexINS3_8BFloat16EEES6_bNS0_12_GLOBAL__N_116CompareEqFunctorIS6_EEEESt5arrayIPcLm3EEEEviT0_T1_.num_vgpr, 39
	.set _ZN2at6native29vectorized_elementwise_kernelILi8ENS0_13BinaryFunctorIN3c107complexINS3_8BFloat16EEES6_bNS0_12_GLOBAL__N_116CompareEqFunctorIS6_EEEESt5arrayIPcLm3EEEEviT0_T1_.num_agpr, 0
	.set _ZN2at6native29vectorized_elementwise_kernelILi8ENS0_13BinaryFunctorIN3c107complexINS3_8BFloat16EEES6_bNS0_12_GLOBAL__N_116CompareEqFunctorIS6_EEEESt5arrayIPcLm3EEEEviT0_T1_.numbered_sgpr, 27
	.set _ZN2at6native29vectorized_elementwise_kernelILi8ENS0_13BinaryFunctorIN3c107complexINS3_8BFloat16EEES6_bNS0_12_GLOBAL__N_116CompareEqFunctorIS6_EEEESt5arrayIPcLm3EEEEviT0_T1_.num_named_barrier, 0
	.set _ZN2at6native29vectorized_elementwise_kernelILi8ENS0_13BinaryFunctorIN3c107complexINS3_8BFloat16EEES6_bNS0_12_GLOBAL__N_116CompareEqFunctorIS6_EEEESt5arrayIPcLm3EEEEviT0_T1_.private_seg_size, 0
	.set _ZN2at6native29vectorized_elementwise_kernelILi8ENS0_13BinaryFunctorIN3c107complexINS3_8BFloat16EEES6_bNS0_12_GLOBAL__N_116CompareEqFunctorIS6_EEEESt5arrayIPcLm3EEEEviT0_T1_.uses_vcc, 1
	.set _ZN2at6native29vectorized_elementwise_kernelILi8ENS0_13BinaryFunctorIN3c107complexINS3_8BFloat16EEES6_bNS0_12_GLOBAL__N_116CompareEqFunctorIS6_EEEESt5arrayIPcLm3EEEEviT0_T1_.uses_flat_scratch, 0
	.set _ZN2at6native29vectorized_elementwise_kernelILi8ENS0_13BinaryFunctorIN3c107complexINS3_8BFloat16EEES6_bNS0_12_GLOBAL__N_116CompareEqFunctorIS6_EEEESt5arrayIPcLm3EEEEviT0_T1_.has_dyn_sized_stack, 0
	.set _ZN2at6native29vectorized_elementwise_kernelILi8ENS0_13BinaryFunctorIN3c107complexINS3_8BFloat16EEES6_bNS0_12_GLOBAL__N_116CompareEqFunctorIS6_EEEESt5arrayIPcLm3EEEEviT0_T1_.has_recursion, 0
	.set _ZN2at6native29vectorized_elementwise_kernelILi8ENS0_13BinaryFunctorIN3c107complexINS3_8BFloat16EEES6_bNS0_12_GLOBAL__N_116CompareEqFunctorIS6_EEEESt5arrayIPcLm3EEEEviT0_T1_.has_indirect_call, 0
	.section	.AMDGPU.csdata,"",@progbits
; Kernel info:
; codeLenInByte = 7604
; TotalNumSgprs: 29
; NumVgprs: 39
; ScratchSize: 0
; MemoryBound: 1
; FloatMode: 240
; IeeeMode: 1
; LDSByteSize: 0 bytes/workgroup (compile time only)
; SGPRBlocks: 0
; VGPRBlocks: 2
; NumSGPRsForWavesPerEU: 29
; NumVGPRsForWavesPerEU: 39
; NamedBarCnt: 0
; Occupancy: 16
; WaveLimiterHint : 1
; COMPUTE_PGM_RSRC2:SCRATCH_EN: 0
; COMPUTE_PGM_RSRC2:USER_SGPR: 2
; COMPUTE_PGM_RSRC2:TRAP_HANDLER: 0
; COMPUTE_PGM_RSRC2:TGID_X_EN: 1
; COMPUTE_PGM_RSRC2:TGID_Y_EN: 0
; COMPUTE_PGM_RSRC2:TGID_Z_EN: 0
; COMPUTE_PGM_RSRC2:TIDIG_COMP_CNT: 0
	.section	.text._ZN2at6native29vectorized_elementwise_kernelILi4ENS0_13BinaryFunctorIN3c107complexINS3_8BFloat16EEES6_bNS0_12_GLOBAL__N_116CompareEqFunctorIS6_EEEESt5arrayIPcLm3EEEEviT0_T1_,"axG",@progbits,_ZN2at6native29vectorized_elementwise_kernelILi4ENS0_13BinaryFunctorIN3c107complexINS3_8BFloat16EEES6_bNS0_12_GLOBAL__N_116CompareEqFunctorIS6_EEEESt5arrayIPcLm3EEEEviT0_T1_,comdat
	.globl	_ZN2at6native29vectorized_elementwise_kernelILi4ENS0_13BinaryFunctorIN3c107complexINS3_8BFloat16EEES6_bNS0_12_GLOBAL__N_116CompareEqFunctorIS6_EEEESt5arrayIPcLm3EEEEviT0_T1_ ; -- Begin function _ZN2at6native29vectorized_elementwise_kernelILi4ENS0_13BinaryFunctorIN3c107complexINS3_8BFloat16EEES6_bNS0_12_GLOBAL__N_116CompareEqFunctorIS6_EEEESt5arrayIPcLm3EEEEviT0_T1_
	.p2align	8
	.type	_ZN2at6native29vectorized_elementwise_kernelILi4ENS0_13BinaryFunctorIN3c107complexINS3_8BFloat16EEES6_bNS0_12_GLOBAL__N_116CompareEqFunctorIS6_EEEESt5arrayIPcLm3EEEEviT0_T1_,@function
_ZN2at6native29vectorized_elementwise_kernelILi4ENS0_13BinaryFunctorIN3c107complexINS3_8BFloat16EEES6_bNS0_12_GLOBAL__N_116CompareEqFunctorIS6_EEEESt5arrayIPcLm3EEEEviT0_T1_: ; @_ZN2at6native29vectorized_elementwise_kernelILi4ENS0_13BinaryFunctorIN3c107complexINS3_8BFloat16EEES6_bNS0_12_GLOBAL__N_116CompareEqFunctorIS6_EEEESt5arrayIPcLm3EEEEviT0_T1_
; %bb.0:
	s_clause 0x2
	s_load_b64 s[8:9], s[0:1], 0x0
	s_load_b128 s[4:7], s[0:1], 0x8
	s_load_b64 s[10:11], s[0:1], 0x18
	s_wait_xcnt 0x0
	s_bfe_u32 s0, ttmp6, 0x4000c
	s_and_b32 s1, ttmp6, 15
	s_add_co_i32 s0, s0, 1
	s_getreg_b32 s2, hwreg(HW_REG_IB_STS2, 6, 4)
	s_mul_i32 s0, ttmp9, s0
	s_delay_alu instid0(SALU_CYCLE_1) | instskip(SKIP_2) | instid1(SALU_CYCLE_1)
	s_add_co_i32 s1, s1, s0
	s_cmp_eq_u32 s2, 0
	s_cselect_b32 s0, ttmp9, s1
	s_lshl_b32 s2, s0, 12
	s_mov_b32 s0, -1
	s_wait_kmcnt 0x0
	s_sub_co_i32 s8, s8, s2
	s_delay_alu instid0(SALU_CYCLE_1)
	s_cmp_gt_i32 s8, 0xfff
	s_cbranch_scc0 .LBB162_50
; %bb.1:
	s_ashr_i32 s3, s2, 31
	s_delay_alu instid0(SALU_CYCLE_1)
	s_lshl_b64 s[0:1], s[2:3], 2
	s_cmp_lg_u32 s9, 0
	s_add_nc_u64 s[12:13], s[10:11], s[0:1]
	s_add_nc_u64 s[0:1], s[6:7], s[0:1]
	s_clause 0x7
	global_load_b128 v[30:33], v0, s[12:13] scale_offset
	global_load_b128 v[26:29], v0, s[0:1] scale_offset
	global_load_b128 v[18:21], v0, s[0:1] offset:4096 scale_offset
	global_load_b128 v[10:13], v0, s[0:1] offset:8192 scale_offset
	;; [unrolled: 1-line block ×6, first 2 shown]
	s_wait_xcnt 0x0
	s_cselect_b32 s12, -1, 0
	s_delay_alu instid0(SALU_CYCLE_1)
	s_and_b32 vcc_lo, exec_lo, s12
	s_wait_loadcnt 0x7
	v_lshlrev_b32_e32 v1, 16, v30
	s_wait_loadcnt 0x6
	v_lshlrev_b32_e32 v34, 16, v26
	v_and_b32_e32 v30, 0xffff0000, v30
	v_and_b32_e32 v26, 0xffff0000, v26
	s_cbranch_vccz .LBB162_196
; %bb.2:
	s_delay_alu instid0(VALU_DEP_3) | instskip(NEXT) | instid1(VALU_DEP_2)
	v_cmp_neq_f32_e32 vcc_lo, v34, v1
	v_cmp_neq_f32_e64 s0, v26, v30
	s_or_b32 s1, vcc_lo, s0
	s_cbranch_execnz .LBB162_4
.LBB162_3:
	v_cmp_eq_f32_e32 vcc_lo, v34, v1
	s_delay_alu instid0(VALU_DEP_2) | instskip(SKIP_2) | instid1(SALU_CYCLE_1)
	v_cmp_eq_f32_e64 s0, v26, v30
	s_and_not1_b32 s1, s1, exec_lo
	s_and_b32 s0, vcc_lo, s0
	s_and_b32 s0, s0, exec_lo
	s_delay_alu instid0(SALU_CYCLE_1)
	s_or_b32 s1, s1, s0
.LBB162_4:
	v_cndmask_b32_e64 v1, 0, 1, s12
	v_lshlrev_b32_e32 v26, 16, v31
	v_lshlrev_b32_e32 v30, 16, v27
	v_and_b32_e32 v31, 0xffff0000, v31
	v_and_b32_e32 v27, 0xffff0000, v27
	s_and_not1_b32 vcc_lo, exec_lo, s12
	s_cbranch_vccnz .LBB162_197
; %bb.5:
	v_cmp_neq_f32_e32 vcc_lo, v30, v26
	s_delay_alu instid0(VALU_DEP_2)
	v_cmp_neq_f32_e64 s0, v27, v31
	s_or_b32 s12, vcc_lo, s0
	s_cbranch_execnz .LBB162_7
.LBB162_6:
	v_cmp_eq_f32_e32 vcc_lo, v30, v26
	v_cmp_eq_f32_e64 s0, v27, v31
	s_and_not1_b32 s12, s12, exec_lo
	s_and_b32 s0, vcc_lo, s0
	s_delay_alu instid0(SALU_CYCLE_1) | instskip(NEXT) | instid1(SALU_CYCLE_1)
	s_and_b32 s0, s0, exec_lo
	s_or_b32 s12, s12, s0
.LBB162_7:
	v_cmp_ne_u32_e32 vcc_lo, 1, v1
	v_lshlrev_b32_e32 v26, 16, v32
	v_lshlrev_b32_e32 v27, 16, v28
	v_and_b32_e32 v30, 0xffff0000, v32
	v_and_b32_e32 v28, 0xffff0000, v28
	s_cbranch_vccnz .LBB162_198
; %bb.8:
	s_delay_alu instid0(VALU_DEP_3) | instskip(NEXT) | instid1(VALU_DEP_2)
	v_cmp_neq_f32_e32 vcc_lo, v27, v26
	v_cmp_neq_f32_e64 s0, v28, v30
	s_or_b32 s13, vcc_lo, s0
	s_cbranch_execnz .LBB162_10
.LBB162_9:
	v_cmp_eq_f32_e32 vcc_lo, v27, v26
	s_delay_alu instid0(VALU_DEP_2) | instskip(SKIP_2) | instid1(SALU_CYCLE_1)
	v_cmp_eq_f32_e64 s0, v28, v30
	s_and_not1_b32 s13, s13, exec_lo
	s_and_b32 s0, vcc_lo, s0
	s_and_b32 s0, s0, exec_lo
	s_delay_alu instid0(SALU_CYCLE_1)
	s_or_b32 s13, s13, s0
.LBB162_10:
	v_cmp_ne_u32_e32 vcc_lo, 1, v1
	v_lshlrev_b32_e32 v26, 16, v33
	v_lshlrev_b32_e32 v27, 16, v29
	v_and_b32_e32 v28, 0xffff0000, v33
	v_and_b32_e32 v29, 0xffff0000, v29
	s_cbranch_vccnz .LBB162_199
; %bb.11:
	s_delay_alu instid0(VALU_DEP_3) | instskip(NEXT) | instid1(VALU_DEP_2)
	v_cmp_neq_f32_e32 vcc_lo, v27, v26
	v_cmp_neq_f32_e64 s0, v29, v28
	s_or_b32 s14, vcc_lo, s0
	s_cbranch_execnz .LBB162_13
.LBB162_12:
	v_cmp_eq_f32_e32 vcc_lo, v27, v26
	s_delay_alu instid0(VALU_DEP_2) | instskip(SKIP_2) | instid1(SALU_CYCLE_1)
	v_cmp_eq_f32_e64 s0, v29, v28
	s_and_not1_b32 s14, s14, exec_lo
	s_and_b32 s0, vcc_lo, s0
	s_and_b32 s0, s0, exec_lo
	s_delay_alu instid0(SALU_CYCLE_1)
	s_or_b32 s14, s14, s0
.LBB162_13:
	v_cmp_ne_u32_e32 vcc_lo, 1, v1
	s_wait_loadcnt 0x2
	v_lshlrev_b32_e32 v26, 16, v22
	v_lshlrev_b32_e32 v27, 16, v18
	v_and_b32_e32 v22, 0xffff0000, v22
	v_and_b32_e32 v18, 0xffff0000, v18
	s_cbranch_vccnz .LBB162_200
; %bb.14:
	s_delay_alu instid0(VALU_DEP_3) | instskip(NEXT) | instid1(VALU_DEP_2)
	v_cmp_neq_f32_e32 vcc_lo, v27, v26
	v_cmp_neq_f32_e64 s0, v18, v22
	s_or_b32 s15, vcc_lo, s0
	s_cbranch_execnz .LBB162_16
.LBB162_15:
	v_cmp_eq_f32_e32 vcc_lo, v27, v26
	s_delay_alu instid0(VALU_DEP_2) | instskip(SKIP_2) | instid1(SALU_CYCLE_1)
	v_cmp_eq_f32_e64 s0, v18, v22
	s_and_not1_b32 s15, s15, exec_lo
	s_and_b32 s0, vcc_lo, s0
	s_and_b32 s0, s0, exec_lo
	s_delay_alu instid0(SALU_CYCLE_1)
	s_or_b32 s15, s15, s0
.LBB162_16:
	v_cmp_ne_u32_e32 vcc_lo, 1, v1
	v_lshlrev_b32_e32 v18, 16, v23
	v_lshlrev_b32_e32 v22, 16, v19
	v_and_b32_e32 v23, 0xffff0000, v23
	v_and_b32_e32 v19, 0xffff0000, v19
	s_cbranch_vccnz .LBB162_201
; %bb.17:
	s_delay_alu instid0(VALU_DEP_3) | instskip(NEXT) | instid1(VALU_DEP_2)
	v_cmp_neq_f32_e32 vcc_lo, v22, v18
	v_cmp_neq_f32_e64 s0, v19, v23
	s_or_b32 s16, vcc_lo, s0
	s_cbranch_execnz .LBB162_19
.LBB162_18:
	v_cmp_eq_f32_e32 vcc_lo, v22, v18
	s_delay_alu instid0(VALU_DEP_2) | instskip(SKIP_2) | instid1(SALU_CYCLE_1)
	v_cmp_eq_f32_e64 s0, v19, v23
	s_and_not1_b32 s16, s16, exec_lo
	s_and_b32 s0, vcc_lo, s0
	s_and_b32 s0, s0, exec_lo
	s_delay_alu instid0(SALU_CYCLE_1)
	s_or_b32 s16, s16, s0
.LBB162_19:
	v_cmp_ne_u32_e32 vcc_lo, 1, v1
	v_lshlrev_b32_e32 v18, 16, v24
	v_lshlrev_b32_e32 v19, 16, v20
	v_and_b32_e32 v22, 0xffff0000, v24
	v_and_b32_e32 v20, 0xffff0000, v20
	s_cbranch_vccnz .LBB162_202
; %bb.20:
	s_delay_alu instid0(VALU_DEP_3) | instskip(NEXT) | instid1(VALU_DEP_2)
	v_cmp_neq_f32_e32 vcc_lo, v19, v18
	v_cmp_neq_f32_e64 s0, v20, v22
	s_or_b32 s17, vcc_lo, s0
	s_cbranch_execnz .LBB162_22
.LBB162_21:
	v_cmp_eq_f32_e32 vcc_lo, v19, v18
	s_delay_alu instid0(VALU_DEP_2) | instskip(SKIP_2) | instid1(SALU_CYCLE_1)
	v_cmp_eq_f32_e64 s0, v20, v22
	s_and_not1_b32 s17, s17, exec_lo
	s_and_b32 s0, vcc_lo, s0
	s_and_b32 s0, s0, exec_lo
	s_delay_alu instid0(SALU_CYCLE_1)
	s_or_b32 s17, s17, s0
.LBB162_22:
	v_cmp_ne_u32_e32 vcc_lo, 1, v1
	v_lshlrev_b32_e32 v18, 16, v25
	v_lshlrev_b32_e32 v19, 16, v21
	v_and_b32_e32 v20, 0xffff0000, v25
	v_and_b32_e32 v21, 0xffff0000, v21
	s_cbranch_vccnz .LBB162_203
; %bb.23:
	s_delay_alu instid0(VALU_DEP_3) | instskip(NEXT) | instid1(VALU_DEP_2)
	v_cmp_neq_f32_e32 vcc_lo, v19, v18
	v_cmp_neq_f32_e64 s0, v21, v20
	s_or_b32 s18, vcc_lo, s0
	s_cbranch_execnz .LBB162_25
.LBB162_24:
	v_cmp_eq_f32_e32 vcc_lo, v19, v18
	s_delay_alu instid0(VALU_DEP_2) | instskip(SKIP_2) | instid1(SALU_CYCLE_1)
	v_cmp_eq_f32_e64 s0, v21, v20
	s_and_not1_b32 s18, s18, exec_lo
	s_and_b32 s0, vcc_lo, s0
	s_and_b32 s0, s0, exec_lo
	s_delay_alu instid0(SALU_CYCLE_1)
	s_or_b32 s18, s18, s0
.LBB162_25:
	v_cmp_ne_u32_e32 vcc_lo, 1, v1
	s_wait_loadcnt 0x1
	v_lshlrev_b32_e32 v18, 16, v14
	v_lshlrev_b32_e32 v19, 16, v10
	v_and_b32_e32 v14, 0xffff0000, v14
	v_and_b32_e32 v10, 0xffff0000, v10
	s_cbranch_vccnz .LBB162_204
; %bb.26:
	s_delay_alu instid0(VALU_DEP_3) | instskip(NEXT) | instid1(VALU_DEP_2)
	v_cmp_neq_f32_e32 vcc_lo, v19, v18
	v_cmp_neq_f32_e64 s0, v10, v14
	s_or_b32 s19, vcc_lo, s0
	s_cbranch_execnz .LBB162_28
.LBB162_27:
	v_cmp_eq_f32_e32 vcc_lo, v19, v18
	s_delay_alu instid0(VALU_DEP_2) | instskip(SKIP_2) | instid1(SALU_CYCLE_1)
	v_cmp_eq_f32_e64 s0, v10, v14
	s_and_not1_b32 s19, s19, exec_lo
	s_and_b32 s0, vcc_lo, s0
	s_and_b32 s0, s0, exec_lo
	s_delay_alu instid0(SALU_CYCLE_1)
	s_or_b32 s19, s19, s0
.LBB162_28:
	v_cmp_ne_u32_e32 vcc_lo, 1, v1
	v_lshlrev_b32_e32 v10, 16, v15
	v_lshlrev_b32_e32 v14, 16, v11
	v_and_b32_e32 v15, 0xffff0000, v15
	v_and_b32_e32 v11, 0xffff0000, v11
	s_cbranch_vccnz .LBB162_205
; %bb.29:
	s_delay_alu instid0(VALU_DEP_3) | instskip(NEXT) | instid1(VALU_DEP_2)
	v_cmp_neq_f32_e32 vcc_lo, v14, v10
	v_cmp_neq_f32_e64 s0, v11, v15
	s_or_b32 s20, vcc_lo, s0
	s_cbranch_execnz .LBB162_31
.LBB162_30:
	v_cmp_eq_f32_e32 vcc_lo, v14, v10
	s_delay_alu instid0(VALU_DEP_2) | instskip(SKIP_2) | instid1(SALU_CYCLE_1)
	v_cmp_eq_f32_e64 s0, v11, v15
	s_and_not1_b32 s20, s20, exec_lo
	s_and_b32 s0, vcc_lo, s0
	s_and_b32 s0, s0, exec_lo
	s_delay_alu instid0(SALU_CYCLE_1)
	s_or_b32 s20, s20, s0
.LBB162_31:
	v_cmp_ne_u32_e32 vcc_lo, 1, v1
	v_lshlrev_b32_e32 v10, 16, v16
	v_lshlrev_b32_e32 v11, 16, v12
	v_and_b32_e32 v14, 0xffff0000, v16
	v_and_b32_e32 v12, 0xffff0000, v12
	s_cbranch_vccnz .LBB162_206
; %bb.32:
	s_delay_alu instid0(VALU_DEP_3) | instskip(NEXT) | instid1(VALU_DEP_2)
	v_cmp_neq_f32_e32 vcc_lo, v11, v10
	v_cmp_neq_f32_e64 s0, v12, v14
	s_or_b32 s21, vcc_lo, s0
	s_cbranch_execnz .LBB162_34
.LBB162_33:
	v_cmp_eq_f32_e32 vcc_lo, v11, v10
	s_delay_alu instid0(VALU_DEP_2) | instskip(SKIP_2) | instid1(SALU_CYCLE_1)
	v_cmp_eq_f32_e64 s0, v12, v14
	s_and_not1_b32 s21, s21, exec_lo
	s_and_b32 s0, vcc_lo, s0
	s_and_b32 s0, s0, exec_lo
	s_delay_alu instid0(SALU_CYCLE_1)
	s_or_b32 s21, s21, s0
.LBB162_34:
	v_cmp_ne_u32_e32 vcc_lo, 1, v1
	v_lshlrev_b32_e32 v10, 16, v17
	v_lshlrev_b32_e32 v11, 16, v13
	v_and_b32_e32 v12, 0xffff0000, v17
	v_and_b32_e32 v13, 0xffff0000, v13
	s_cbranch_vccnz .LBB162_207
; %bb.35:
	s_delay_alu instid0(VALU_DEP_3) | instskip(NEXT) | instid1(VALU_DEP_2)
	v_cmp_neq_f32_e32 vcc_lo, v11, v10
	v_cmp_neq_f32_e64 s0, v13, v12
	s_or_b32 s22, vcc_lo, s0
	s_cbranch_execnz .LBB162_37
.LBB162_36:
	v_cmp_eq_f32_e32 vcc_lo, v11, v10
	s_delay_alu instid0(VALU_DEP_2) | instskip(SKIP_2) | instid1(SALU_CYCLE_1)
	v_cmp_eq_f32_e64 s0, v13, v12
	s_and_not1_b32 s22, s22, exec_lo
	s_and_b32 s0, vcc_lo, s0
	s_and_b32 s0, s0, exec_lo
	s_delay_alu instid0(SALU_CYCLE_1)
	s_or_b32 s22, s22, s0
.LBB162_37:
	v_cmp_ne_u32_e32 vcc_lo, 1, v1
	s_wait_loadcnt 0x0
	v_lshlrev_b32_e32 v10, 16, v6
	v_lshlrev_b32_e32 v11, 16, v2
	v_and_b32_e32 v6, 0xffff0000, v6
	v_and_b32_e32 v2, 0xffff0000, v2
	s_cbranch_vccnz .LBB162_208
; %bb.38:
	s_delay_alu instid0(VALU_DEP_3) | instskip(NEXT) | instid1(VALU_DEP_2)
	v_cmp_neq_f32_e32 vcc_lo, v11, v10
	v_cmp_neq_f32_e64 s0, v2, v6
	s_or_b32 s23, vcc_lo, s0
	s_cbranch_execnz .LBB162_40
.LBB162_39:
	v_cmp_eq_f32_e32 vcc_lo, v11, v10
	s_delay_alu instid0(VALU_DEP_2) | instskip(SKIP_2) | instid1(SALU_CYCLE_1)
	v_cmp_eq_f32_e64 s0, v2, v6
	s_and_not1_b32 s23, s23, exec_lo
	s_and_b32 s0, vcc_lo, s0
	s_and_b32 s0, s0, exec_lo
	s_delay_alu instid0(SALU_CYCLE_1)
	s_or_b32 s23, s23, s0
.LBB162_40:
	v_cmp_ne_u32_e32 vcc_lo, 1, v1
	v_lshlrev_b32_e32 v2, 16, v7
	v_lshlrev_b32_e32 v6, 16, v3
	v_and_b32_e32 v7, 0xffff0000, v7
	v_and_b32_e32 v3, 0xffff0000, v3
	s_cbranch_vccnz .LBB162_209
; %bb.41:
	s_delay_alu instid0(VALU_DEP_3) | instskip(NEXT) | instid1(VALU_DEP_2)
	v_cmp_neq_f32_e32 vcc_lo, v6, v2
	v_cmp_neq_f32_e64 s0, v3, v7
	s_or_b32 s24, vcc_lo, s0
	s_cbranch_execnz .LBB162_43
.LBB162_42:
	v_cmp_eq_f32_e32 vcc_lo, v6, v2
	s_delay_alu instid0(VALU_DEP_2) | instskip(SKIP_2) | instid1(SALU_CYCLE_1)
	v_cmp_eq_f32_e64 s0, v3, v7
	s_and_not1_b32 s24, s24, exec_lo
	s_and_b32 s0, vcc_lo, s0
	s_and_b32 s0, s0, exec_lo
	s_delay_alu instid0(SALU_CYCLE_1)
	s_or_b32 s24, s24, s0
.LBB162_43:
	v_cmp_ne_u32_e32 vcc_lo, 1, v1
	v_lshlrev_b32_e32 v2, 16, v8
	v_lshlrev_b32_e32 v3, 16, v4
	v_and_b32_e32 v6, 0xffff0000, v8
	v_and_b32_e32 v4, 0xffff0000, v4
	s_cbranch_vccnz .LBB162_210
; %bb.44:
	s_delay_alu instid0(VALU_DEP_3) | instskip(NEXT) | instid1(VALU_DEP_2)
	v_cmp_neq_f32_e32 vcc_lo, v3, v2
	v_cmp_neq_f32_e64 s0, v4, v6
	s_or_b32 s25, vcc_lo, s0
	s_cbranch_execnz .LBB162_46
.LBB162_45:
	v_cmp_eq_f32_e32 vcc_lo, v3, v2
	s_delay_alu instid0(VALU_DEP_2) | instskip(SKIP_2) | instid1(SALU_CYCLE_1)
	v_cmp_eq_f32_e64 s0, v4, v6
	s_and_not1_b32 s25, s25, exec_lo
	s_and_b32 s0, vcc_lo, s0
	s_and_b32 s0, s0, exec_lo
	s_delay_alu instid0(SALU_CYCLE_1)
	s_or_b32 s25, s25, s0
.LBB162_46:
	v_cmp_ne_u32_e32 vcc_lo, 1, v1
	v_lshlrev_b32_e32 v1, 16, v9
	v_lshlrev_b32_e32 v2, 16, v5
	v_and_b32_e32 v3, 0xffff0000, v9
	v_and_b32_e32 v4, 0xffff0000, v5
	s_cbranch_vccnz .LBB162_211
; %bb.47:
	s_delay_alu instid0(VALU_DEP_3) | instskip(NEXT) | instid1(VALU_DEP_2)
	v_cmp_neq_f32_e32 vcc_lo, v2, v1
	v_cmp_neq_f32_e64 s0, v4, v3
	s_or_b32 s26, vcc_lo, s0
	s_cbranch_execnz .LBB162_49
.LBB162_48:
	v_cmp_eq_f32_e32 vcc_lo, v2, v1
	s_delay_alu instid0(VALU_DEP_2) | instskip(SKIP_2) | instid1(SALU_CYCLE_1)
	v_cmp_eq_f32_e64 s0, v4, v3
	s_and_not1_b32 s26, s26, exec_lo
	s_and_b32 s0, vcc_lo, s0
	s_and_b32 s0, s0, exec_lo
	s_delay_alu instid0(SALU_CYCLE_1)
	s_or_b32 s26, s26, s0
.LBB162_49:
	v_cndmask_b32_e64 v1, 0, 0x100, s24
	v_cndmask_b32_e64 v2, 0, 1, s23
	;; [unrolled: 1-line block ×6, first 2 shown]
	v_or_b32_e32 v1, v1, v2
	v_cndmask_b32_e64 v10, 0, 0x1000000, s14
	v_or_b32_e32 v2, v3, v4
	v_cndmask_b32_e64 v3, 0, 0x100, s16
	v_cndmask_b32_e64 v4, 0, 1, s15
	v_or_b32_e32 v6, v6, v7
	v_cndmask_b32_e64 v7, 0, 0x10000, s13
	v_cndmask_b32_e64 v11, 0, 0x1000000, s18
	;; [unrolled: 1-line block ×3, first 2 shown]
	v_or_b32_e32 v3, v3, v4
	v_cndmask_b32_e64 v4, 0, 0x10000, s17
	v_cndmask_b32_e64 v9, 0, 0x1000000, s22
	;; [unrolled: 1-line block ×4, first 2 shown]
	v_or3_b32 v6, v6, v7, v10
	v_or3_b32 v3, v3, v4, v11
	;; [unrolled: 1-line block ×3, first 2 shown]
	s_add_nc_u64 s[12:13], s[4:5], s[2:3]
	v_or3_b32 v1, v1, v5, v12
	s_mov_b32 s0, 0
	s_clause 0x3
	global_store_b32 v0, v6, s[12:13] scale_offset
	global_store_b32 v0, v3, s[12:13] offset:1024 scale_offset
	global_store_b32 v0, v2, s[12:13] offset:2048 scale_offset
	;; [unrolled: 1-line block ×3, first 2 shown]
.LBB162_50:
	s_and_b32 vcc_lo, exec_lo, s0
	s_cbranch_vccz .LBB162_195
; %bb.51:
	v_cmp_gt_i32_e64 s0, s8, v0
	s_wait_xcnt 0x0
	v_dual_mov_b32 v10, 0 :: v_dual_bitop2_b32 v1, s2, v0 bitop3:0x54
	v_or_b32_e32 v8, 0x100, v0
	v_dual_mov_b32 v9, 0 :: v_dual_mov_b32 v12, 0
	v_dual_mov_b32 v11, 0 :: v_dual_mov_b32 v14, 0
	v_dual_mov_b32 v13, 0 :: v_dual_mov_b32 v16, 0
	v_dual_mov_b32 v15, 0 :: v_dual_mov_b32 v18, 0
	v_dual_mov_b32 v17, 0 :: v_dual_mov_b32 v20, 0
	v_dual_mov_b32 v19, 0 :: v_dual_mov_b32 v22, 0
	v_dual_mov_b32 v21, 0 :: v_dual_mov_b32 v24, 0
	v_dual_mov_b32 v23, 0 :: v_dual_mov_b32 v26, 0
	v_dual_mov_b32 v25, 0 :: v_dual_mov_b32 v28, 0
	v_dual_mov_b32 v27, 0 :: v_dual_mov_b32 v30, 0
	v_dual_mov_b32 v29, 0 :: v_dual_mov_b32 v32, 0
	v_dual_mov_b32 v31, 0 :: v_dual_mov_b32 v33, 0
	v_dual_mov_b32 v7, 0 :: v_dual_mov_b32 v34, 0
	v_dual_mov_b32 v3, 0 :: v_dual_mov_b32 v35, 0
	v_dual_mov_b32 v36, 0 :: v_dual_mov_b32 v37, 0
	v_mov_b32_e32 v38, 0
	s_and_saveexec_b32 s1, s0
	s_cbranch_execz .LBB162_83
; %bb.52:
	s_clause 0x1
	global_load_b32 v37, v1, s[6:7] scale_offset
	global_load_b32 v38, v1, s[10:11] scale_offset
	v_or_b32_e32 v2, 0x100, v0
	v_dual_mov_b32 v36, 0 :: v_dual_mov_b32 v35, 0
	v_dual_mov_b32 v3, 0 :: v_dual_mov_b32 v34, 0
	s_delay_alu instid0(VALU_DEP_3)
	v_cmp_gt_u32_e32 vcc_lo, s8, v2
	v_dual_mov_b32 v7, 0 :: v_dual_mov_b32 v33, 0
	v_dual_mov_b32 v31, 0 :: v_dual_mov_b32 v32, 0
	;; [unrolled: 1-line block ×13, first 2 shown]
	s_wait_xcnt 0x0
	s_and_saveexec_b32 s3, vcc_lo
	s_cbranch_execz .LBB162_82
; %bb.53:
	v_dual_mov_b32 v3, 0 :: v_dual_add_nc_u32 v2, s2, v0
	v_or_b32_e32 v4, 0x200, v0
	v_dual_mov_b32 v34, 0 :: v_dual_mov_b32 v7, 0
	s_clause 0x1
	global_load_b32 v35, v2, s[6:7] offset:1024 scale_offset
	global_load_b32 v36, v2, s[10:11] offset:1024 scale_offset
	v_dual_mov_b32 v33, 0 :: v_dual_mov_b32 v31, 0
	v_cmp_gt_u32_e32 vcc_lo, s8, v4
	v_dual_mov_b32 v32, 0 :: v_dual_mov_b32 v29, 0
	v_dual_mov_b32 v30, 0 :: v_dual_mov_b32 v27, 0
	;; [unrolled: 1-line block ×11, first 2 shown]
	v_mov_b32_e32 v10, 0
	s_wait_xcnt 0x0
	s_and_saveexec_b32 s12, vcc_lo
	s_cbranch_execz .LBB162_81
; %bb.54:
	v_lshlrev_b64_e32 v[6:7], 2, v[2:3]
	v_or_b32_e32 v9, 0x300, v0
	v_dual_mov_b32 v33, 0 :: v_dual_mov_b32 v31, 0
	v_dual_mov_b32 v32, 0 :: v_dual_mov_b32 v29, 0
	s_delay_alu instid0(VALU_DEP_3)
	v_cmp_gt_u32_e32 vcc_lo, s8, v9
	v_add_nc_u64_e32 v[4:5], s[6:7], v[6:7]
	v_add_nc_u64_e32 v[6:7], s[10:11], v[6:7]
	v_dual_mov_b32 v30, 0 :: v_dual_mov_b32 v27, 0
	v_dual_mov_b32 v28, 0 :: v_dual_mov_b32 v25, 0
	;; [unrolled: 1-line block ×3, first 2 shown]
	global_load_b32 v34, v[4:5], off offset:2048
	global_load_b32 v2, v[6:7], off offset:2048
	v_dual_mov_b32 v24, 0 :: v_dual_mov_b32 v21, 0
	v_dual_mov_b32 v22, 0 :: v_dual_mov_b32 v19, 0
	v_dual_mov_b32 v20, 0 :: v_dual_mov_b32 v17, 0
	v_dual_mov_b32 v18, 0 :: v_dual_mov_b32 v15, 0
	v_dual_mov_b32 v16, 0 :: v_dual_mov_b32 v13, 0
	v_dual_mov_b32 v14, 0 :: v_dual_mov_b32 v11, 0
	v_dual_mov_b32 v12, 0 :: v_dual_mov_b32 v9, 0
	v_mov_b32_e32 v10, 0
	s_wait_xcnt 0x0
	s_and_saveexec_b32 s6, vcc_lo
	s_cbranch_execz .LBB162_80
; %bb.55:
	global_load_b32 v33, v[4:5], off offset:3072
	global_load_b32 v3, v[6:7], off offset:3072
	v_or_b32_e32 v9, 0x400, v0
	v_dual_mov_b32 v31, 0 :: v_dual_mov_b32 v32, 0
	v_dual_mov_b32 v29, 0 :: v_dual_mov_b32 v30, 0
	s_delay_alu instid0(VALU_DEP_3)
	v_cmp_gt_u32_e32 vcc_lo, s8, v9
	v_dual_mov_b32 v27, 0 :: v_dual_mov_b32 v28, 0
	v_dual_mov_b32 v25, 0 :: v_dual_mov_b32 v26, 0
	;; [unrolled: 1-line block ×10, first 2 shown]
	s_wait_xcnt 0x0
	s_and_saveexec_b32 s7, vcc_lo
	s_cbranch_execz .LBB162_79
; %bb.56:
	global_load_b32 v32, v[4:5], off offset:4096
	global_load_b32 v31, v[6:7], off offset:4096
	v_or_b32_e32 v9, 0x500, v0
	v_dual_mov_b32 v29, 0 :: v_dual_mov_b32 v30, 0
	v_dual_mov_b32 v27, 0 :: v_dual_mov_b32 v28, 0
	s_delay_alu instid0(VALU_DEP_3)
	v_cmp_gt_u32_e32 vcc_lo, s8, v9
	v_dual_mov_b32 v25, 0 :: v_dual_mov_b32 v26, 0
	v_dual_mov_b32 v23, 0 :: v_dual_mov_b32 v24, 0
	;; [unrolled: 1-line block ×9, first 2 shown]
	s_wait_xcnt 0x0
	s_and_saveexec_b32 s10, vcc_lo
	s_cbranch_execz .LBB162_78
; %bb.57:
	global_load_b32 v30, v[4:5], off offset:5120
	global_load_b32 v29, v[6:7], off offset:5120
	v_or_b32_e32 v9, 0x600, v0
	v_dual_mov_b32 v27, 0 :: v_dual_mov_b32 v28, 0
	v_dual_mov_b32 v25, 0 :: v_dual_mov_b32 v26, 0
	s_delay_alu instid0(VALU_DEP_3)
	v_cmp_gt_u32_e32 vcc_lo, s8, v9
	v_dual_mov_b32 v23, 0 :: v_dual_mov_b32 v24, 0
	v_dual_mov_b32 v21, 0 :: v_dual_mov_b32 v22, 0
	;; [unrolled: 1-line block ×8, first 2 shown]
	s_wait_xcnt 0x0
	s_and_saveexec_b32 s11, vcc_lo
	s_cbranch_execz .LBB162_77
; %bb.58:
	global_load_b32 v28, v[4:5], off offset:6144
	global_load_b32 v27, v[6:7], off offset:6144
	v_or_b32_e32 v9, 0x700, v0
	v_dual_mov_b32 v25, 0 :: v_dual_mov_b32 v26, 0
	v_dual_mov_b32 v23, 0 :: v_dual_mov_b32 v24, 0
	s_delay_alu instid0(VALU_DEP_3)
	v_cmp_gt_u32_e32 vcc_lo, s8, v9
	v_dual_mov_b32 v21, 0 :: v_dual_mov_b32 v22, 0
	v_dual_mov_b32 v19, 0 :: v_dual_mov_b32 v20, 0
	;; [unrolled: 1-line block ×7, first 2 shown]
	s_wait_xcnt 0x0
	s_and_saveexec_b32 s13, vcc_lo
	s_cbranch_execz .LBB162_76
; %bb.59:
	global_load_b32 v26, v[4:5], off offset:7168
	global_load_b32 v25, v[6:7], off offset:7168
	v_or_b32_e32 v9, 0x800, v0
	v_dual_mov_b32 v23, 0 :: v_dual_mov_b32 v24, 0
	v_dual_mov_b32 v21, 0 :: v_dual_mov_b32 v22, 0
	s_delay_alu instid0(VALU_DEP_3)
	v_cmp_gt_u32_e32 vcc_lo, s8, v9
	v_dual_mov_b32 v19, 0 :: v_dual_mov_b32 v20, 0
	v_dual_mov_b32 v17, 0 :: v_dual_mov_b32 v18, 0
	;; [unrolled: 1-line block ×6, first 2 shown]
	s_wait_xcnt 0x0
	s_and_saveexec_b32 s14, vcc_lo
	s_cbranch_execz .LBB162_75
; %bb.60:
	global_load_b32 v24, v[4:5], off offset:8192
	global_load_b32 v23, v[6:7], off offset:8192
	v_or_b32_e32 v9, 0x900, v0
	v_dual_mov_b32 v21, 0 :: v_dual_mov_b32 v22, 0
	v_dual_mov_b32 v19, 0 :: v_dual_mov_b32 v20, 0
	s_delay_alu instid0(VALU_DEP_3)
	v_cmp_gt_u32_e32 vcc_lo, s8, v9
	v_dual_mov_b32 v17, 0 :: v_dual_mov_b32 v18, 0
	v_dual_mov_b32 v15, 0 :: v_dual_mov_b32 v16, 0
	v_dual_mov_b32 v13, 0 :: v_dual_mov_b32 v14, 0
	v_dual_mov_b32 v11, 0 :: v_dual_mov_b32 v12, 0
	v_dual_mov_b32 v9, 0 :: v_dual_mov_b32 v10, 0
	s_wait_xcnt 0x0
	s_and_saveexec_b32 s15, vcc_lo
	s_cbranch_execz .LBB162_74
; %bb.61:
	global_load_b32 v22, v[4:5], off offset:9216
	global_load_b32 v21, v[6:7], off offset:9216
	v_or_b32_e32 v9, 0xa00, v0
	v_dual_mov_b32 v19, 0 :: v_dual_mov_b32 v20, 0
	v_dual_mov_b32 v17, 0 :: v_dual_mov_b32 v18, 0
	s_delay_alu instid0(VALU_DEP_3)
	v_cmp_gt_u32_e32 vcc_lo, s8, v9
	v_dual_mov_b32 v15, 0 :: v_dual_mov_b32 v16, 0
	v_dual_mov_b32 v13, 0 :: v_dual_mov_b32 v14, 0
	;; [unrolled: 1-line block ×4, first 2 shown]
	s_wait_xcnt 0x0
	s_and_saveexec_b32 s16, vcc_lo
	s_cbranch_execz .LBB162_73
; %bb.62:
	global_load_b32 v20, v[4:5], off offset:10240
	global_load_b32 v19, v[6:7], off offset:10240
	v_or_b32_e32 v9, 0xb00, v0
	v_dual_mov_b32 v17, 0 :: v_dual_mov_b32 v18, 0
	v_dual_mov_b32 v15, 0 :: v_dual_mov_b32 v16, 0
	s_delay_alu instid0(VALU_DEP_3)
	v_cmp_gt_u32_e32 vcc_lo, s8, v9
	v_dual_mov_b32 v13, 0 :: v_dual_mov_b32 v14, 0
	v_dual_mov_b32 v11, 0 :: v_dual_mov_b32 v12, 0
	v_dual_mov_b32 v9, 0 :: v_dual_mov_b32 v10, 0
	s_wait_xcnt 0x0
	s_and_saveexec_b32 s17, vcc_lo
	s_cbranch_execz .LBB162_72
; %bb.63:
	global_load_b32 v18, v[4:5], off offset:11264
	global_load_b32 v17, v[6:7], off offset:11264
	v_or_b32_e32 v9, 0xc00, v0
	v_dual_mov_b32 v15, 0 :: v_dual_mov_b32 v16, 0
	v_dual_mov_b32 v13, 0 :: v_dual_mov_b32 v14, 0
	s_delay_alu instid0(VALU_DEP_3)
	v_cmp_gt_u32_e32 vcc_lo, s8, v9
	v_dual_mov_b32 v11, 0 :: v_dual_mov_b32 v12, 0
	v_dual_mov_b32 v9, 0 :: v_dual_mov_b32 v10, 0
	s_wait_xcnt 0x0
	s_and_saveexec_b32 s18, vcc_lo
	s_cbranch_execz .LBB162_71
; %bb.64:
	global_load_b32 v16, v[4:5], off offset:12288
	global_load_b32 v15, v[6:7], off offset:12288
	v_or_b32_e32 v9, 0xd00, v0
	v_dual_mov_b32 v13, 0 :: v_dual_mov_b32 v14, 0
	v_dual_mov_b32 v11, 0 :: v_dual_mov_b32 v12, 0
	s_delay_alu instid0(VALU_DEP_3)
	v_cmp_gt_u32_e32 vcc_lo, s8, v9
	v_dual_mov_b32 v9, 0 :: v_dual_mov_b32 v10, 0
	s_wait_xcnt 0x0
	s_and_saveexec_b32 s19, vcc_lo
	s_cbranch_execz .LBB162_70
; %bb.65:
	global_load_b32 v14, v[4:5], off offset:13312
	global_load_b32 v13, v[6:7], off offset:13312
	v_or_b32_e32 v9, 0xe00, v0
	v_dual_mov_b32 v11, 0 :: v_dual_mov_b32 v12, 0
	v_mov_b32_e32 v10, 0
	s_delay_alu instid0(VALU_DEP_3)
	v_cmp_gt_u32_e32 vcc_lo, s8, v9
	v_mov_b32_e32 v9, 0
	s_wait_xcnt 0x0
	s_and_saveexec_b32 s20, vcc_lo
	s_cbranch_execz .LBB162_69
; %bb.66:
	global_load_b32 v12, v[4:5], off offset:14336
	global_load_b32 v11, v[6:7], off offset:14336
	v_or_b32_e32 v9, 0xf00, v0
	v_mov_b32_e32 v10, 0
	s_delay_alu instid0(VALU_DEP_2)
	v_cmp_gt_u32_e32 vcc_lo, s8, v9
	v_mov_b32_e32 v9, 0
	s_wait_xcnt 0x0
	s_and_saveexec_b32 s21, vcc_lo
	s_cbranch_execz .LBB162_68
; %bb.67:
	global_load_b32 v10, v[4:5], off offset:15360
	global_load_b32 v9, v[6:7], off offset:15360
.LBB162_68:
	s_wait_xcnt 0x0
	s_or_b32 exec_lo, exec_lo, s21
.LBB162_69:
	s_delay_alu instid0(SALU_CYCLE_1)
	s_or_b32 exec_lo, exec_lo, s20
.LBB162_70:
	s_delay_alu instid0(SALU_CYCLE_1)
	s_or_b32 exec_lo, exec_lo, s19
.LBB162_71:
	s_delay_alu instid0(SALU_CYCLE_1)
	s_or_b32 exec_lo, exec_lo, s18
.LBB162_72:
	s_delay_alu instid0(SALU_CYCLE_1)
	s_or_b32 exec_lo, exec_lo, s17
.LBB162_73:
	s_delay_alu instid0(SALU_CYCLE_1)
	s_or_b32 exec_lo, exec_lo, s16
.LBB162_74:
	s_delay_alu instid0(SALU_CYCLE_1)
	s_or_b32 exec_lo, exec_lo, s15
.LBB162_75:
	s_delay_alu instid0(SALU_CYCLE_1)
	s_or_b32 exec_lo, exec_lo, s14
.LBB162_76:
	s_delay_alu instid0(SALU_CYCLE_1)
	s_or_b32 exec_lo, exec_lo, s13
.LBB162_77:
	s_delay_alu instid0(SALU_CYCLE_1)
	s_or_b32 exec_lo, exec_lo, s11
.LBB162_78:
	s_delay_alu instid0(SALU_CYCLE_1)
	s_or_b32 exec_lo, exec_lo, s10
.LBB162_79:
	s_delay_alu instid0(SALU_CYCLE_1)
	s_or_b32 exec_lo, exec_lo, s7
.LBB162_80:
	s_delay_alu instid0(SALU_CYCLE_1)
	s_or_b32 exec_lo, exec_lo, s6
	s_wait_loadcnt 0x0
	v_dual_mov_b32 v7, v3 :: v_dual_mov_b32 v3, v2
.LBB162_81:
	s_or_b32 exec_lo, exec_lo, s12
.LBB162_82:
	s_delay_alu instid0(SALU_CYCLE_1)
	s_or_b32 exec_lo, exec_lo, s3
.LBB162_83:
	s_delay_alu instid0(SALU_CYCLE_1)
	s_or_b32 exec_lo, exec_lo, s1
	s_cmp_lg_u32 s9, 0
                                        ; implicit-def: $vgpr2
	s_cselect_b32 s3, -1, 0
	s_and_saveexec_b32 s6, s0
	s_cbranch_execz .LBB162_88
; %bb.84:
	s_wait_loadcnt 0x0
	v_dual_lshlrev_b32 v2, 16, v38 :: v_dual_lshlrev_b32 v4, 16, v37
	v_and_b32_e32 v5, 0xffff0000, v38
	v_and_b32_e32 v6, 0xffff0000, v37
	s_and_b32 vcc_lo, exec_lo, s3
	s_cbranch_vccz .LBB162_212
; %bb.85:
	v_cmp_neq_f32_e32 vcc_lo, v4, v2
	s_delay_alu instid0(VALU_DEP_2)
	v_cmp_neq_f32_e64 s1, v6, v5
	s_or_b32 s7, vcc_lo, s1
	s_cbranch_execnz .LBB162_87
.LBB162_86:
	v_cmp_eq_f32_e32 vcc_lo, v4, v2
	v_cmp_eq_f32_e64 s1, v6, v5
	s_and_not1_b32 s7, s7, exec_lo
	s_and_b32 s1, vcc_lo, s1
	s_delay_alu instid0(SALU_CYCLE_1) | instskip(NEXT) | instid1(SALU_CYCLE_1)
	s_and_b32 s1, s1, exec_lo
	s_or_b32 s7, s7, s1
.LBB162_87:
	s_delay_alu instid0(SALU_CYCLE_1)
	v_cndmask_b32_e64 v2, 0, 1, s7
.LBB162_88:
	s_or_b32 exec_lo, exec_lo, s6
	v_cndmask_b32_e64 v5, 0, 1, s3
	s_mov_b32 s6, exec_lo
                                        ; implicit-def: $vgpr4
	v_cmpx_gt_i32_e64 s8, v8
	s_cbranch_execz .LBB162_93
; %bb.89:
	s_wait_loadcnt 0x0
	v_dual_lshlrev_b32 v4, 16, v36 :: v_dual_lshlrev_b32 v6, 16, v35
	v_and_b32_e32 v36, 0xffff0000, v36
	v_and_b32_e32 v35, 0xffff0000, v35
	s_and_not1_b32 vcc_lo, exec_lo, s3
	s_cbranch_vccnz .LBB162_213
; %bb.90:
	v_cmp_neq_f32_e32 vcc_lo, v6, v4
	s_delay_alu instid0(VALU_DEP_2)
	v_cmp_neq_f32_e64 s1, v35, v36
	s_or_b32 s3, vcc_lo, s1
	s_cbranch_execnz .LBB162_92
.LBB162_91:
	v_cmp_eq_f32_e32 vcc_lo, v6, v4
	v_cmp_eq_f32_e64 s1, v35, v36
	s_and_not1_b32 s3, s3, exec_lo
	s_and_b32 s1, vcc_lo, s1
	s_delay_alu instid0(SALU_CYCLE_1) | instskip(NEXT) | instid1(SALU_CYCLE_1)
	s_and_b32 s1, s1, exec_lo
	s_or_b32 s3, s3, s1
.LBB162_92:
	s_delay_alu instid0(SALU_CYCLE_1)
	v_cndmask_b32_e64 v4, 0, 1, s3
.LBB162_93:
	s_or_b32 exec_lo, exec_lo, s6
	v_or_b32_e32 v6, 0x200, v0
	s_delay_alu instid0(VALU_DEP_1)
	v_cmp_gt_i32_e32 vcc_lo, s8, v6
                                        ; implicit-def: $vgpr6
	s_and_saveexec_b32 s3, vcc_lo
	s_cbranch_execz .LBB162_98
; %bb.94:
	v_cmp_ne_u32_e32 vcc_lo, 1, v5
	s_wait_loadcnt 0x1
	v_dual_lshlrev_b32 v6, 16, v3 :: v_dual_lshlrev_b32 v35, 16, v34
	v_and_b32_e32 v3, 0xffff0000, v3
	v_and_b32_e32 v34, 0xffff0000, v34
	s_cbranch_vccnz .LBB162_214
; %bb.95:
	s_delay_alu instid0(VALU_DEP_3) | instskip(NEXT) | instid1(VALU_DEP_2)
	v_cmp_neq_f32_e32 vcc_lo, v35, v6
	v_cmp_neq_f32_e64 s1, v34, v3
	s_or_b32 s6, vcc_lo, s1
	s_cbranch_execnz .LBB162_97
.LBB162_96:
	v_cmp_eq_f32_e32 vcc_lo, v35, v6
	s_delay_alu instid0(VALU_DEP_2) | instskip(SKIP_2) | instid1(SALU_CYCLE_1)
	v_cmp_eq_f32_e64 s1, v34, v3
	s_and_not1_b32 s6, s6, exec_lo
	s_and_b32 s1, vcc_lo, s1
	s_and_b32 s1, s1, exec_lo
	s_delay_alu instid0(SALU_CYCLE_1)
	s_or_b32 s6, s6, s1
.LBB162_97:
	s_delay_alu instid0(SALU_CYCLE_1)
	v_cndmask_b32_e64 v6, 0, 1, s6
.LBB162_98:
	s_or_b32 exec_lo, exec_lo, s3
	v_or_b32_e32 v3, 0x300, v0
	s_delay_alu instid0(VALU_DEP_1)
	v_cmp_gt_i32_e32 vcc_lo, s8, v3
                                        ; implicit-def: $vgpr3
	s_and_saveexec_b32 s3, vcc_lo
	s_cbranch_execz .LBB162_103
; %bb.99:
	v_cmp_ne_u32_e32 vcc_lo, 1, v5
	v_dual_lshlrev_b32 v3, 16, v7 :: v_dual_lshlrev_b32 v34, 16, v33
	v_and_b32_e32 v7, 0xffff0000, v7
	v_and_b32_e32 v33, 0xffff0000, v33
	s_cbranch_vccnz .LBB162_215
; %bb.100:
	s_delay_alu instid0(VALU_DEP_3) | instskip(NEXT) | instid1(VALU_DEP_2)
	v_cmp_neq_f32_e32 vcc_lo, v34, v3
	v_cmp_neq_f32_e64 s1, v33, v7
	s_or_b32 s6, vcc_lo, s1
	s_cbranch_execnz .LBB162_102
.LBB162_101:
	v_cmp_eq_f32_e32 vcc_lo, v34, v3
	s_delay_alu instid0(VALU_DEP_2) | instskip(SKIP_2) | instid1(SALU_CYCLE_1)
	v_cmp_eq_f32_e64 s1, v33, v7
	s_and_not1_b32 s6, s6, exec_lo
	s_and_b32 s1, vcc_lo, s1
	s_and_b32 s1, s1, exec_lo
	s_delay_alu instid0(SALU_CYCLE_1)
	s_or_b32 s6, s6, s1
.LBB162_102:
	s_delay_alu instid0(SALU_CYCLE_1)
	v_cndmask_b32_e64 v3, 0, 1, s6
.LBB162_103:
	s_or_b32 exec_lo, exec_lo, s3
	v_or_b32_e32 v7, 0x400, v0
	s_delay_alu instid0(VALU_DEP_1)
	v_cmp_gt_i32_e32 vcc_lo, s8, v7
                                        ; implicit-def: $vgpr7
	s_and_saveexec_b32 s3, vcc_lo
	s_cbranch_execz .LBB162_108
; %bb.104:
	v_cmp_ne_u32_e32 vcc_lo, 1, v5
	v_dual_lshlrev_b32 v7, 16, v31 :: v_dual_lshlrev_b32 v33, 16, v32
	v_and_b32_e32 v31, 0xffff0000, v31
	v_and_b32_e32 v32, 0xffff0000, v32
	s_cbranch_vccnz .LBB162_216
; %bb.105:
	s_delay_alu instid0(VALU_DEP_3) | instskip(NEXT) | instid1(VALU_DEP_2)
	v_cmp_neq_f32_e32 vcc_lo, v33, v7
	v_cmp_neq_f32_e64 s1, v32, v31
	s_or_b32 s6, vcc_lo, s1
	s_cbranch_execnz .LBB162_107
.LBB162_106:
	v_cmp_eq_f32_e32 vcc_lo, v33, v7
	s_delay_alu instid0(VALU_DEP_2) | instskip(SKIP_2) | instid1(SALU_CYCLE_1)
	v_cmp_eq_f32_e64 s1, v32, v31
	s_and_not1_b32 s6, s6, exec_lo
	s_and_b32 s1, vcc_lo, s1
	s_and_b32 s1, s1, exec_lo
	s_delay_alu instid0(SALU_CYCLE_1)
	s_or_b32 s6, s6, s1
.LBB162_107:
	s_delay_alu instid0(SALU_CYCLE_1)
	v_cndmask_b32_e64 v7, 0, 1, s6
.LBB162_108:
	s_or_b32 exec_lo, exec_lo, s3
	v_or_b32_e32 v31, 0x500, v0
	s_delay_alu instid0(VALU_DEP_1)
	v_cmp_gt_i32_e32 vcc_lo, s8, v31
                                        ; implicit-def: $vgpr31
	s_and_saveexec_b32 s3, vcc_lo
	s_cbranch_execz .LBB162_113
; %bb.109:
	v_cmp_ne_u32_e32 vcc_lo, 1, v5
	v_dual_lshlrev_b32 v31, 16, v29 :: v_dual_lshlrev_b32 v32, 16, v30
	v_and_b32_e32 v29, 0xffff0000, v29
	v_and_b32_e32 v30, 0xffff0000, v30
	s_cbranch_vccnz .LBB162_217
; %bb.110:
	s_delay_alu instid0(VALU_DEP_3) | instskip(NEXT) | instid1(VALU_DEP_2)
	v_cmp_neq_f32_e32 vcc_lo, v32, v31
	v_cmp_neq_f32_e64 s1, v30, v29
	s_or_b32 s6, vcc_lo, s1
	s_cbranch_execnz .LBB162_112
.LBB162_111:
	v_cmp_eq_f32_e32 vcc_lo, v32, v31
	s_delay_alu instid0(VALU_DEP_2) | instskip(SKIP_2) | instid1(SALU_CYCLE_1)
	v_cmp_eq_f32_e64 s1, v30, v29
	s_and_not1_b32 s6, s6, exec_lo
	s_and_b32 s1, vcc_lo, s1
	s_and_b32 s1, s1, exec_lo
	s_delay_alu instid0(SALU_CYCLE_1)
	s_or_b32 s6, s6, s1
.LBB162_112:
	s_delay_alu instid0(SALU_CYCLE_1)
	v_cndmask_b32_e64 v31, 0, 1, s6
.LBB162_113:
	s_or_b32 exec_lo, exec_lo, s3
	v_or_b32_e32 v29, 0x600, v0
	s_delay_alu instid0(VALU_DEP_1)
	v_cmp_gt_i32_e32 vcc_lo, s8, v29
                                        ; implicit-def: $vgpr29
	s_and_saveexec_b32 s3, vcc_lo
	s_cbranch_execz .LBB162_118
; %bb.114:
	v_cmp_ne_u32_e32 vcc_lo, 1, v5
	v_dual_lshlrev_b32 v29, 16, v27 :: v_dual_lshlrev_b32 v30, 16, v28
	v_and_b32_e32 v27, 0xffff0000, v27
	v_and_b32_e32 v28, 0xffff0000, v28
	s_cbranch_vccnz .LBB162_218
; %bb.115:
	s_delay_alu instid0(VALU_DEP_3) | instskip(NEXT) | instid1(VALU_DEP_2)
	v_cmp_neq_f32_e32 vcc_lo, v30, v29
	v_cmp_neq_f32_e64 s1, v28, v27
	s_or_b32 s6, vcc_lo, s1
	s_cbranch_execnz .LBB162_117
.LBB162_116:
	v_cmp_eq_f32_e32 vcc_lo, v30, v29
	s_delay_alu instid0(VALU_DEP_2) | instskip(SKIP_2) | instid1(SALU_CYCLE_1)
	v_cmp_eq_f32_e64 s1, v28, v27
	s_and_not1_b32 s6, s6, exec_lo
	s_and_b32 s1, vcc_lo, s1
	s_and_b32 s1, s1, exec_lo
	s_delay_alu instid0(SALU_CYCLE_1)
	s_or_b32 s6, s6, s1
.LBB162_117:
	s_delay_alu instid0(SALU_CYCLE_1)
	v_cndmask_b32_e64 v29, 0, 1, s6
.LBB162_118:
	s_or_b32 exec_lo, exec_lo, s3
	v_or_b32_e32 v27, 0x700, v0
	s_delay_alu instid0(VALU_DEP_1)
	v_cmp_gt_i32_e32 vcc_lo, s8, v27
                                        ; implicit-def: $vgpr27
	s_and_saveexec_b32 s3, vcc_lo
	s_cbranch_execz .LBB162_123
; %bb.119:
	v_cmp_ne_u32_e32 vcc_lo, 1, v5
	v_dual_lshlrev_b32 v27, 16, v25 :: v_dual_lshlrev_b32 v28, 16, v26
	v_and_b32_e32 v25, 0xffff0000, v25
	v_and_b32_e32 v26, 0xffff0000, v26
	s_cbranch_vccnz .LBB162_219
; %bb.120:
	s_delay_alu instid0(VALU_DEP_3) | instskip(NEXT) | instid1(VALU_DEP_2)
	v_cmp_neq_f32_e32 vcc_lo, v28, v27
	v_cmp_neq_f32_e64 s1, v26, v25
	s_or_b32 s6, vcc_lo, s1
	s_cbranch_execnz .LBB162_122
.LBB162_121:
	v_cmp_eq_f32_e32 vcc_lo, v28, v27
	s_delay_alu instid0(VALU_DEP_2) | instskip(SKIP_2) | instid1(SALU_CYCLE_1)
	v_cmp_eq_f32_e64 s1, v26, v25
	s_and_not1_b32 s6, s6, exec_lo
	s_and_b32 s1, vcc_lo, s1
	s_and_b32 s1, s1, exec_lo
	s_delay_alu instid0(SALU_CYCLE_1)
	s_or_b32 s6, s6, s1
.LBB162_122:
	s_delay_alu instid0(SALU_CYCLE_1)
	v_cndmask_b32_e64 v27, 0, 1, s6
.LBB162_123:
	s_or_b32 exec_lo, exec_lo, s3
	v_or_b32_e32 v25, 0x800, v0
	s_delay_alu instid0(VALU_DEP_1)
	v_cmp_gt_i32_e32 vcc_lo, s8, v25
                                        ; implicit-def: $vgpr25
	s_and_saveexec_b32 s3, vcc_lo
	s_cbranch_execz .LBB162_128
; %bb.124:
	v_cmp_ne_u32_e32 vcc_lo, 1, v5
	v_dual_lshlrev_b32 v25, 16, v23 :: v_dual_lshlrev_b32 v26, 16, v24
	v_and_b32_e32 v23, 0xffff0000, v23
	v_and_b32_e32 v24, 0xffff0000, v24
	s_cbranch_vccnz .LBB162_220
; %bb.125:
	s_delay_alu instid0(VALU_DEP_3) | instskip(NEXT) | instid1(VALU_DEP_2)
	v_cmp_neq_f32_e32 vcc_lo, v26, v25
	v_cmp_neq_f32_e64 s1, v24, v23
	s_or_b32 s6, vcc_lo, s1
	s_cbranch_execnz .LBB162_127
.LBB162_126:
	v_cmp_eq_f32_e32 vcc_lo, v26, v25
	s_delay_alu instid0(VALU_DEP_2) | instskip(SKIP_2) | instid1(SALU_CYCLE_1)
	v_cmp_eq_f32_e64 s1, v24, v23
	s_and_not1_b32 s6, s6, exec_lo
	s_and_b32 s1, vcc_lo, s1
	s_and_b32 s1, s1, exec_lo
	s_delay_alu instid0(SALU_CYCLE_1)
	s_or_b32 s6, s6, s1
.LBB162_127:
	s_delay_alu instid0(SALU_CYCLE_1)
	v_cndmask_b32_e64 v25, 0, 1, s6
.LBB162_128:
	s_or_b32 exec_lo, exec_lo, s3
	v_or_b32_e32 v23, 0x900, v0
	s_delay_alu instid0(VALU_DEP_1)
	v_cmp_gt_i32_e32 vcc_lo, s8, v23
                                        ; implicit-def: $vgpr23
	s_and_saveexec_b32 s3, vcc_lo
	s_cbranch_execz .LBB162_133
; %bb.129:
	v_cmp_ne_u32_e32 vcc_lo, 1, v5
	v_dual_lshlrev_b32 v23, 16, v21 :: v_dual_lshlrev_b32 v24, 16, v22
	v_and_b32_e32 v21, 0xffff0000, v21
	v_and_b32_e32 v22, 0xffff0000, v22
	s_cbranch_vccnz .LBB162_221
; %bb.130:
	s_delay_alu instid0(VALU_DEP_3) | instskip(NEXT) | instid1(VALU_DEP_2)
	v_cmp_neq_f32_e32 vcc_lo, v24, v23
	v_cmp_neq_f32_e64 s1, v22, v21
	s_or_b32 s6, vcc_lo, s1
	s_cbranch_execnz .LBB162_132
.LBB162_131:
	v_cmp_eq_f32_e32 vcc_lo, v24, v23
	s_delay_alu instid0(VALU_DEP_2) | instskip(SKIP_2) | instid1(SALU_CYCLE_1)
	v_cmp_eq_f32_e64 s1, v22, v21
	s_and_not1_b32 s6, s6, exec_lo
	s_and_b32 s1, vcc_lo, s1
	s_and_b32 s1, s1, exec_lo
	s_delay_alu instid0(SALU_CYCLE_1)
	s_or_b32 s6, s6, s1
.LBB162_132:
	s_delay_alu instid0(SALU_CYCLE_1)
	v_cndmask_b32_e64 v23, 0, 1, s6
.LBB162_133:
	s_or_b32 exec_lo, exec_lo, s3
	v_or_b32_e32 v21, 0xa00, v0
	s_delay_alu instid0(VALU_DEP_1)
	v_cmp_gt_i32_e32 vcc_lo, s8, v21
                                        ; implicit-def: $vgpr21
	s_and_saveexec_b32 s3, vcc_lo
	s_cbranch_execz .LBB162_138
; %bb.134:
	v_cmp_ne_u32_e32 vcc_lo, 1, v5
	v_dual_lshlrev_b32 v21, 16, v19 :: v_dual_lshlrev_b32 v22, 16, v20
	v_and_b32_e32 v19, 0xffff0000, v19
	v_and_b32_e32 v20, 0xffff0000, v20
	s_cbranch_vccnz .LBB162_222
; %bb.135:
	s_delay_alu instid0(VALU_DEP_3) | instskip(NEXT) | instid1(VALU_DEP_2)
	v_cmp_neq_f32_e32 vcc_lo, v22, v21
	v_cmp_neq_f32_e64 s1, v20, v19
	s_or_b32 s6, vcc_lo, s1
	s_cbranch_execnz .LBB162_137
.LBB162_136:
	v_cmp_eq_f32_e32 vcc_lo, v22, v21
	s_delay_alu instid0(VALU_DEP_2) | instskip(SKIP_2) | instid1(SALU_CYCLE_1)
	v_cmp_eq_f32_e64 s1, v20, v19
	s_and_not1_b32 s6, s6, exec_lo
	s_and_b32 s1, vcc_lo, s1
	s_and_b32 s1, s1, exec_lo
	s_delay_alu instid0(SALU_CYCLE_1)
	s_or_b32 s6, s6, s1
.LBB162_137:
	s_delay_alu instid0(SALU_CYCLE_1)
	v_cndmask_b32_e64 v21, 0, 1, s6
.LBB162_138:
	s_or_b32 exec_lo, exec_lo, s3
	v_or_b32_e32 v19, 0xb00, v0
	s_delay_alu instid0(VALU_DEP_1)
	v_cmp_gt_i32_e32 vcc_lo, s8, v19
                                        ; implicit-def: $vgpr19
	s_and_saveexec_b32 s3, vcc_lo
	s_cbranch_execz .LBB162_143
; %bb.139:
	v_cmp_ne_u32_e32 vcc_lo, 1, v5
	v_dual_lshlrev_b32 v19, 16, v17 :: v_dual_lshlrev_b32 v20, 16, v18
	v_and_b32_e32 v17, 0xffff0000, v17
	v_and_b32_e32 v18, 0xffff0000, v18
	s_cbranch_vccnz .LBB162_223
; %bb.140:
	s_delay_alu instid0(VALU_DEP_3) | instskip(NEXT) | instid1(VALU_DEP_2)
	v_cmp_neq_f32_e32 vcc_lo, v20, v19
	v_cmp_neq_f32_e64 s1, v18, v17
	s_or_b32 s6, vcc_lo, s1
	s_cbranch_execnz .LBB162_142
.LBB162_141:
	v_cmp_eq_f32_e32 vcc_lo, v20, v19
	s_delay_alu instid0(VALU_DEP_2) | instskip(SKIP_2) | instid1(SALU_CYCLE_1)
	v_cmp_eq_f32_e64 s1, v18, v17
	s_and_not1_b32 s6, s6, exec_lo
	s_and_b32 s1, vcc_lo, s1
	s_and_b32 s1, s1, exec_lo
	s_delay_alu instid0(SALU_CYCLE_1)
	s_or_b32 s6, s6, s1
.LBB162_142:
	s_delay_alu instid0(SALU_CYCLE_1)
	v_cndmask_b32_e64 v19, 0, 1, s6
.LBB162_143:
	s_or_b32 exec_lo, exec_lo, s3
	v_or_b32_e32 v17, 0xc00, v0
	s_delay_alu instid0(VALU_DEP_1)
	v_cmp_gt_i32_e32 vcc_lo, s8, v17
                                        ; implicit-def: $vgpr17
	s_and_saveexec_b32 s3, vcc_lo
	s_cbranch_execz .LBB162_148
; %bb.144:
	v_cmp_ne_u32_e32 vcc_lo, 1, v5
	v_dual_lshlrev_b32 v17, 16, v15 :: v_dual_lshlrev_b32 v18, 16, v16
	v_and_b32_e32 v15, 0xffff0000, v15
	v_and_b32_e32 v16, 0xffff0000, v16
	s_cbranch_vccnz .LBB162_224
; %bb.145:
	s_delay_alu instid0(VALU_DEP_3) | instskip(NEXT) | instid1(VALU_DEP_2)
	v_cmp_neq_f32_e32 vcc_lo, v18, v17
	v_cmp_neq_f32_e64 s1, v16, v15
	s_or_b32 s6, vcc_lo, s1
	s_cbranch_execnz .LBB162_147
.LBB162_146:
	v_cmp_eq_f32_e32 vcc_lo, v18, v17
	s_delay_alu instid0(VALU_DEP_2) | instskip(SKIP_2) | instid1(SALU_CYCLE_1)
	v_cmp_eq_f32_e64 s1, v16, v15
	s_and_not1_b32 s6, s6, exec_lo
	s_and_b32 s1, vcc_lo, s1
	s_and_b32 s1, s1, exec_lo
	s_delay_alu instid0(SALU_CYCLE_1)
	s_or_b32 s6, s6, s1
.LBB162_147:
	s_delay_alu instid0(SALU_CYCLE_1)
	v_cndmask_b32_e64 v17, 0, 1, s6
.LBB162_148:
	s_or_b32 exec_lo, exec_lo, s3
	v_or_b32_e32 v15, 0xd00, v0
	s_delay_alu instid0(VALU_DEP_1)
	v_cmp_gt_i32_e32 vcc_lo, s8, v15
                                        ; implicit-def: $vgpr15
	s_and_saveexec_b32 s3, vcc_lo
	s_cbranch_execz .LBB162_153
; %bb.149:
	v_cmp_ne_u32_e32 vcc_lo, 1, v5
	v_dual_lshlrev_b32 v15, 16, v13 :: v_dual_lshlrev_b32 v16, 16, v14
	v_and_b32_e32 v13, 0xffff0000, v13
	v_and_b32_e32 v14, 0xffff0000, v14
	s_cbranch_vccnz .LBB162_225
; %bb.150:
	s_delay_alu instid0(VALU_DEP_3) | instskip(NEXT) | instid1(VALU_DEP_2)
	v_cmp_neq_f32_e32 vcc_lo, v16, v15
	v_cmp_neq_f32_e64 s1, v14, v13
	s_or_b32 s6, vcc_lo, s1
	s_cbranch_execnz .LBB162_152
.LBB162_151:
	v_cmp_eq_f32_e32 vcc_lo, v16, v15
	s_delay_alu instid0(VALU_DEP_2) | instskip(SKIP_2) | instid1(SALU_CYCLE_1)
	v_cmp_eq_f32_e64 s1, v14, v13
	s_and_not1_b32 s6, s6, exec_lo
	s_and_b32 s1, vcc_lo, s1
	s_and_b32 s1, s1, exec_lo
	s_delay_alu instid0(SALU_CYCLE_1)
	s_or_b32 s6, s6, s1
.LBB162_152:
	s_delay_alu instid0(SALU_CYCLE_1)
	v_cndmask_b32_e64 v15, 0, 1, s6
.LBB162_153:
	s_or_b32 exec_lo, exec_lo, s3
	v_or_b32_e32 v13, 0xe00, v0
	s_delay_alu instid0(VALU_DEP_1)
	v_cmp_gt_i32_e32 vcc_lo, s8, v13
                                        ; implicit-def: $vgpr13
	s_and_saveexec_b32 s3, vcc_lo
	s_cbranch_execz .LBB162_158
; %bb.154:
	v_cmp_ne_u32_e32 vcc_lo, 1, v5
	v_dual_lshlrev_b32 v13, 16, v11 :: v_dual_lshlrev_b32 v14, 16, v12
	v_and_b32_e32 v11, 0xffff0000, v11
	v_and_b32_e32 v12, 0xffff0000, v12
	s_cbranch_vccnz .LBB162_226
; %bb.155:
	s_delay_alu instid0(VALU_DEP_3) | instskip(NEXT) | instid1(VALU_DEP_2)
	v_cmp_neq_f32_e32 vcc_lo, v14, v13
	v_cmp_neq_f32_e64 s1, v12, v11
	s_or_b32 s6, vcc_lo, s1
	s_cbranch_execnz .LBB162_157
.LBB162_156:
	v_cmp_eq_f32_e32 vcc_lo, v14, v13
	s_delay_alu instid0(VALU_DEP_2) | instskip(SKIP_2) | instid1(SALU_CYCLE_1)
	v_cmp_eq_f32_e64 s1, v12, v11
	s_and_not1_b32 s6, s6, exec_lo
	s_and_b32 s1, vcc_lo, s1
	s_and_b32 s1, s1, exec_lo
	s_delay_alu instid0(SALU_CYCLE_1)
	s_or_b32 s6, s6, s1
.LBB162_157:
	s_delay_alu instid0(SALU_CYCLE_1)
	v_cndmask_b32_e64 v13, 0, 1, s6
.LBB162_158:
	s_or_b32 exec_lo, exec_lo, s3
	v_or_b32_e32 v11, 0xf00, v0
	s_delay_alu instid0(VALU_DEP_1)
	v_cmp_gt_i32_e32 vcc_lo, s8, v11
                                        ; implicit-def: $vgpr11
	s_and_saveexec_b32 s3, vcc_lo
	s_cbranch_execz .LBB162_163
; %bb.159:
	v_cmp_ne_u32_e32 vcc_lo, 1, v5
	v_dual_lshlrev_b32 v5, 16, v9 :: v_dual_lshlrev_b32 v11, 16, v10
	v_and_b32_e32 v9, 0xffff0000, v9
	v_and_b32_e32 v10, 0xffff0000, v10
	s_cbranch_vccnz .LBB162_227
; %bb.160:
	s_delay_alu instid0(VALU_DEP_3) | instskip(NEXT) | instid1(VALU_DEP_2)
	v_cmp_neq_f32_e32 vcc_lo, v11, v5
	v_cmp_neq_f32_e64 s1, v10, v9
	s_or_b32 s6, vcc_lo, s1
	s_cbranch_execnz .LBB162_162
.LBB162_161:
	v_cmp_eq_f32_e32 vcc_lo, v11, v5
	s_delay_alu instid0(VALU_DEP_2) | instskip(SKIP_2) | instid1(SALU_CYCLE_1)
	v_cmp_eq_f32_e64 s1, v10, v9
	s_and_not1_b32 s6, s6, exec_lo
	s_and_b32 s1, vcc_lo, s1
	s_and_b32 s1, s1, exec_lo
	s_delay_alu instid0(SALU_CYCLE_1)
	s_or_b32 s6, s6, s1
.LBB162_162:
	s_delay_alu instid0(SALU_CYCLE_1)
	v_cndmask_b32_e64 v11, 0, 1, s6
.LBB162_163:
	s_or_b32 exec_lo, exec_lo, s3
	s_and_saveexec_b32 s1, s0
	s_delay_alu instid0(SALU_CYCLE_1)
	s_xor_b32 s0, exec_lo, s1
	s_cbranch_execz .LBB162_165
; %bb.164:
	v_mov_b32_e32 v0, v8
	global_store_b8 v1, v2, s[4:5]
.LBB162_165:
	s_wait_xcnt 0x0
	s_or_b32 exec_lo, exec_lo, s0
	s_delay_alu instid0(SALU_CYCLE_1)
	s_mov_b32 s0, exec_lo
	v_cmpx_gt_i32_e64 s8, v0
	s_cbranch_execnz .LBB162_181
; %bb.166:
	s_or_b32 exec_lo, exec_lo, s0
	s_delay_alu instid0(SALU_CYCLE_1)
	s_mov_b32 s0, exec_lo
	v_cmpx_gt_i32_e64 s8, v0
	s_cbranch_execnz .LBB162_182
.LBB162_167:
	s_or_b32 exec_lo, exec_lo, s0
	s_delay_alu instid0(SALU_CYCLE_1)
	s_mov_b32 s0, exec_lo
	v_cmpx_gt_i32_e64 s8, v0
	s_cbranch_execnz .LBB162_183
.LBB162_168:
	s_or_b32 exec_lo, exec_lo, s0
	s_delay_alu instid0(SALU_CYCLE_1)
	s_mov_b32 s0, exec_lo
	v_cmpx_gt_i32_e64 s8, v0
	s_cbranch_execnz .LBB162_184
.LBB162_169:
	s_or_b32 exec_lo, exec_lo, s0
	s_delay_alu instid0(SALU_CYCLE_1)
	s_mov_b32 s0, exec_lo
	v_cmpx_gt_i32_e64 s8, v0
	s_cbranch_execnz .LBB162_185
.LBB162_170:
	s_or_b32 exec_lo, exec_lo, s0
	s_delay_alu instid0(SALU_CYCLE_1)
	s_mov_b32 s0, exec_lo
	v_cmpx_gt_i32_e64 s8, v0
	s_cbranch_execnz .LBB162_186
.LBB162_171:
	s_or_b32 exec_lo, exec_lo, s0
	s_delay_alu instid0(SALU_CYCLE_1)
	s_mov_b32 s0, exec_lo
	v_cmpx_gt_i32_e64 s8, v0
	s_cbranch_execnz .LBB162_187
.LBB162_172:
	s_or_b32 exec_lo, exec_lo, s0
	s_delay_alu instid0(SALU_CYCLE_1)
	s_mov_b32 s0, exec_lo
	v_cmpx_gt_i32_e64 s8, v0
	s_cbranch_execnz .LBB162_188
.LBB162_173:
	s_or_b32 exec_lo, exec_lo, s0
	s_delay_alu instid0(SALU_CYCLE_1)
	s_mov_b32 s0, exec_lo
	v_cmpx_gt_i32_e64 s8, v0
	s_cbranch_execnz .LBB162_189
.LBB162_174:
	s_or_b32 exec_lo, exec_lo, s0
	s_delay_alu instid0(SALU_CYCLE_1)
	s_mov_b32 s0, exec_lo
	v_cmpx_gt_i32_e64 s8, v0
	s_cbranch_execnz .LBB162_190
.LBB162_175:
	s_or_b32 exec_lo, exec_lo, s0
	s_delay_alu instid0(SALU_CYCLE_1)
	s_mov_b32 s0, exec_lo
	v_cmpx_gt_i32_e64 s8, v0
	s_cbranch_execnz .LBB162_191
.LBB162_176:
	s_or_b32 exec_lo, exec_lo, s0
	s_delay_alu instid0(SALU_CYCLE_1)
	s_mov_b32 s0, exec_lo
	v_cmpx_gt_i32_e64 s8, v0
	s_cbranch_execnz .LBB162_192
.LBB162_177:
	s_or_b32 exec_lo, exec_lo, s0
	s_delay_alu instid0(SALU_CYCLE_1)
	s_mov_b32 s0, exec_lo
	v_cmpx_gt_i32_e64 s8, v0
	s_cbranch_execnz .LBB162_193
.LBB162_178:
	s_or_b32 exec_lo, exec_lo, s0
	s_delay_alu instid0(SALU_CYCLE_1)
	s_mov_b32 s0, exec_lo
	v_cmpx_gt_i32_e64 s8, v0
	s_cbranch_execnz .LBB162_194
.LBB162_179:
	s_or_b32 exec_lo, exec_lo, s0
	s_delay_alu instid0(SALU_CYCLE_1)
	s_mov_b32 s0, exec_lo
	v_cmpx_gt_i32_e64 s8, v0
	s_cbranch_execz .LBB162_195
.LBB162_180:
	v_add_nc_u32_e32 v0, s2, v0
	global_store_b8 v0, v11, s[4:5]
	s_endpgm
.LBB162_181:
	v_add_nc_u32_e32 v1, s2, v0
	v_add_nc_u32_e32 v0, 0x100, v0
	global_store_b8 v1, v4, s[4:5]
	s_wait_xcnt 0x0
	s_or_b32 exec_lo, exec_lo, s0
	s_delay_alu instid0(SALU_CYCLE_1)
	s_mov_b32 s0, exec_lo
	v_cmpx_gt_i32_e64 s8, v0
	s_cbranch_execz .LBB162_167
.LBB162_182:
	v_add_nc_u32_e32 v1, s2, v0
	v_add_nc_u32_e32 v0, 0x100, v0
	global_store_b8 v1, v6, s[4:5]
	s_wait_xcnt 0x0
	s_or_b32 exec_lo, exec_lo, s0
	s_delay_alu instid0(SALU_CYCLE_1)
	s_mov_b32 s0, exec_lo
	v_cmpx_gt_i32_e64 s8, v0
	s_cbranch_execz .LBB162_168
.LBB162_183:
	v_add_nc_u32_e32 v1, s2, v0
	v_add_nc_u32_e32 v0, 0x100, v0
	global_store_b8 v1, v3, s[4:5]
	s_wait_xcnt 0x0
	s_or_b32 exec_lo, exec_lo, s0
	s_delay_alu instid0(SALU_CYCLE_1)
	s_mov_b32 s0, exec_lo
	v_cmpx_gt_i32_e64 s8, v0
	s_cbranch_execz .LBB162_169
.LBB162_184:
	v_add_nc_u32_e32 v1, s2, v0
	v_add_nc_u32_e32 v0, 0x100, v0
	global_store_b8 v1, v7, s[4:5]
	s_wait_xcnt 0x0
	s_or_b32 exec_lo, exec_lo, s0
	s_delay_alu instid0(SALU_CYCLE_1)
	s_mov_b32 s0, exec_lo
	v_cmpx_gt_i32_e64 s8, v0
	s_cbranch_execz .LBB162_170
.LBB162_185:
	v_add_nc_u32_e32 v1, s2, v0
	v_add_nc_u32_e32 v0, 0x100, v0
	global_store_b8 v1, v31, s[4:5]
	s_wait_xcnt 0x0
	s_or_b32 exec_lo, exec_lo, s0
	s_delay_alu instid0(SALU_CYCLE_1)
	s_mov_b32 s0, exec_lo
	v_cmpx_gt_i32_e64 s8, v0
	s_cbranch_execz .LBB162_171
.LBB162_186:
	v_add_nc_u32_e32 v1, s2, v0
	v_add_nc_u32_e32 v0, 0x100, v0
	global_store_b8 v1, v29, s[4:5]
	s_wait_xcnt 0x0
	s_or_b32 exec_lo, exec_lo, s0
	s_delay_alu instid0(SALU_CYCLE_1)
	s_mov_b32 s0, exec_lo
	v_cmpx_gt_i32_e64 s8, v0
	s_cbranch_execz .LBB162_172
.LBB162_187:
	v_add_nc_u32_e32 v1, s2, v0
	v_add_nc_u32_e32 v0, 0x100, v0
	global_store_b8 v1, v27, s[4:5]
	s_wait_xcnt 0x0
	s_or_b32 exec_lo, exec_lo, s0
	s_delay_alu instid0(SALU_CYCLE_1)
	s_mov_b32 s0, exec_lo
	v_cmpx_gt_i32_e64 s8, v0
	s_cbranch_execz .LBB162_173
.LBB162_188:
	v_add_nc_u32_e32 v1, s2, v0
	v_add_nc_u32_e32 v0, 0x100, v0
	global_store_b8 v1, v25, s[4:5]
	s_wait_xcnt 0x0
	s_or_b32 exec_lo, exec_lo, s0
	s_delay_alu instid0(SALU_CYCLE_1)
	s_mov_b32 s0, exec_lo
	v_cmpx_gt_i32_e64 s8, v0
	s_cbranch_execz .LBB162_174
.LBB162_189:
	v_add_nc_u32_e32 v1, s2, v0
	v_add_nc_u32_e32 v0, 0x100, v0
	global_store_b8 v1, v23, s[4:5]
	s_wait_xcnt 0x0
	s_or_b32 exec_lo, exec_lo, s0
	s_delay_alu instid0(SALU_CYCLE_1)
	s_mov_b32 s0, exec_lo
	v_cmpx_gt_i32_e64 s8, v0
	s_cbranch_execz .LBB162_175
.LBB162_190:
	v_add_nc_u32_e32 v1, s2, v0
	v_add_nc_u32_e32 v0, 0x100, v0
	global_store_b8 v1, v21, s[4:5]
	s_wait_xcnt 0x0
	s_or_b32 exec_lo, exec_lo, s0
	s_delay_alu instid0(SALU_CYCLE_1)
	s_mov_b32 s0, exec_lo
	v_cmpx_gt_i32_e64 s8, v0
	s_cbranch_execz .LBB162_176
.LBB162_191:
	v_add_nc_u32_e32 v1, s2, v0
	v_add_nc_u32_e32 v0, 0x100, v0
	global_store_b8 v1, v19, s[4:5]
	s_wait_xcnt 0x0
	s_or_b32 exec_lo, exec_lo, s0
	s_delay_alu instid0(SALU_CYCLE_1)
	s_mov_b32 s0, exec_lo
	v_cmpx_gt_i32_e64 s8, v0
	s_cbranch_execz .LBB162_177
.LBB162_192:
	v_add_nc_u32_e32 v1, s2, v0
	v_add_nc_u32_e32 v0, 0x100, v0
	global_store_b8 v1, v17, s[4:5]
	s_wait_xcnt 0x0
	s_or_b32 exec_lo, exec_lo, s0
	s_delay_alu instid0(SALU_CYCLE_1)
	s_mov_b32 s0, exec_lo
	v_cmpx_gt_i32_e64 s8, v0
	s_cbranch_execz .LBB162_178
.LBB162_193:
	v_add_nc_u32_e32 v1, s2, v0
	v_add_nc_u32_e32 v0, 0x100, v0
	global_store_b8 v1, v15, s[4:5]
	s_wait_xcnt 0x0
	s_or_b32 exec_lo, exec_lo, s0
	s_delay_alu instid0(SALU_CYCLE_1)
	s_mov_b32 s0, exec_lo
	v_cmpx_gt_i32_e64 s8, v0
	s_cbranch_execz .LBB162_179
.LBB162_194:
	v_add_nc_u32_e32 v1, s2, v0
	v_add_nc_u32_e32 v0, 0x100, v0
	global_store_b8 v1, v13, s[4:5]
	s_wait_xcnt 0x0
	s_or_b32 exec_lo, exec_lo, s0
	s_delay_alu instid0(SALU_CYCLE_1)
	s_mov_b32 s0, exec_lo
	v_cmpx_gt_i32_e64 s8, v0
	s_cbranch_execnz .LBB162_180
.LBB162_195:
	s_endpgm
.LBB162_196:
                                        ; implicit-def: $sgpr1
	s_branch .LBB162_3
.LBB162_197:
                                        ; implicit-def: $sgpr12
	s_branch .LBB162_6
.LBB162_198:
                                        ; implicit-def: $sgpr13
	s_branch .LBB162_9
.LBB162_199:
                                        ; implicit-def: $sgpr14
	s_branch .LBB162_12
.LBB162_200:
                                        ; implicit-def: $sgpr15
	s_branch .LBB162_15
.LBB162_201:
                                        ; implicit-def: $sgpr16
	s_branch .LBB162_18
.LBB162_202:
                                        ; implicit-def: $sgpr17
	s_branch .LBB162_21
.LBB162_203:
                                        ; implicit-def: $sgpr18
	s_branch .LBB162_24
.LBB162_204:
                                        ; implicit-def: $sgpr19
	s_branch .LBB162_27
.LBB162_205:
                                        ; implicit-def: $sgpr20
	s_branch .LBB162_30
.LBB162_206:
                                        ; implicit-def: $sgpr21
	s_branch .LBB162_33
.LBB162_207:
                                        ; implicit-def: $sgpr22
	s_branch .LBB162_36
.LBB162_208:
                                        ; implicit-def: $sgpr23
	s_branch .LBB162_39
.LBB162_209:
                                        ; implicit-def: $sgpr24
	s_branch .LBB162_42
.LBB162_210:
                                        ; implicit-def: $sgpr25
	s_branch .LBB162_45
.LBB162_211:
                                        ; implicit-def: $sgpr26
	s_branch .LBB162_48
.LBB162_212:
                                        ; implicit-def: $sgpr7
	s_branch .LBB162_86
.LBB162_213:
                                        ; implicit-def: $sgpr3
	s_branch .LBB162_91
.LBB162_214:
                                        ; implicit-def: $sgpr6
	s_branch .LBB162_96
.LBB162_215:
                                        ; implicit-def: $sgpr6
	s_branch .LBB162_101
.LBB162_216:
                                        ; implicit-def: $sgpr6
	s_branch .LBB162_106
.LBB162_217:
                                        ; implicit-def: $sgpr6
	s_branch .LBB162_111
.LBB162_218:
                                        ; implicit-def: $sgpr6
	s_branch .LBB162_116
.LBB162_219:
                                        ; implicit-def: $sgpr6
	s_branch .LBB162_121
.LBB162_220:
                                        ; implicit-def: $sgpr6
	s_branch .LBB162_126
.LBB162_221:
                                        ; implicit-def: $sgpr6
	s_branch .LBB162_131
.LBB162_222:
                                        ; implicit-def: $sgpr6
	s_branch .LBB162_136
.LBB162_223:
                                        ; implicit-def: $sgpr6
	s_branch .LBB162_141
.LBB162_224:
                                        ; implicit-def: $sgpr6
	s_branch .LBB162_146
.LBB162_225:
                                        ; implicit-def: $sgpr6
	s_branch .LBB162_151
.LBB162_226:
                                        ; implicit-def: $sgpr6
	s_branch .LBB162_156
.LBB162_227:
                                        ; implicit-def: $sgpr6
	s_branch .LBB162_161
	.section	.rodata,"a",@progbits
	.p2align	6, 0x0
	.amdhsa_kernel _ZN2at6native29vectorized_elementwise_kernelILi4ENS0_13BinaryFunctorIN3c107complexINS3_8BFloat16EEES6_bNS0_12_GLOBAL__N_116CompareEqFunctorIS6_EEEESt5arrayIPcLm3EEEEviT0_T1_
		.amdhsa_group_segment_fixed_size 0
		.amdhsa_private_segment_fixed_size 0
		.amdhsa_kernarg_size 32
		.amdhsa_user_sgpr_count 2
		.amdhsa_user_sgpr_dispatch_ptr 0
		.amdhsa_user_sgpr_queue_ptr 0
		.amdhsa_user_sgpr_kernarg_segment_ptr 1
		.amdhsa_user_sgpr_dispatch_id 0
		.amdhsa_user_sgpr_kernarg_preload_length 0
		.amdhsa_user_sgpr_kernarg_preload_offset 0
		.amdhsa_user_sgpr_private_segment_size 0
		.amdhsa_wavefront_size32 1
		.amdhsa_uses_dynamic_stack 0
		.amdhsa_enable_private_segment 0
		.amdhsa_system_sgpr_workgroup_id_x 1
		.amdhsa_system_sgpr_workgroup_id_y 0
		.amdhsa_system_sgpr_workgroup_id_z 0
		.amdhsa_system_sgpr_workgroup_info 0
		.amdhsa_system_vgpr_workitem_id 0
		.amdhsa_next_free_vgpr 39
		.amdhsa_next_free_sgpr 27
		.amdhsa_named_barrier_count 0
		.amdhsa_reserve_vcc 1
		.amdhsa_float_round_mode_32 0
		.amdhsa_float_round_mode_16_64 0
		.amdhsa_float_denorm_mode_32 3
		.amdhsa_float_denorm_mode_16_64 3
		.amdhsa_fp16_overflow 0
		.amdhsa_memory_ordered 1
		.amdhsa_forward_progress 1
		.amdhsa_inst_pref_size 60
		.amdhsa_round_robin_scheduling 0
		.amdhsa_exception_fp_ieee_invalid_op 0
		.amdhsa_exception_fp_denorm_src 0
		.amdhsa_exception_fp_ieee_div_zero 0
		.amdhsa_exception_fp_ieee_overflow 0
		.amdhsa_exception_fp_ieee_underflow 0
		.amdhsa_exception_fp_ieee_inexact 0
		.amdhsa_exception_int_div_zero 0
	.end_amdhsa_kernel
	.section	.text._ZN2at6native29vectorized_elementwise_kernelILi4ENS0_13BinaryFunctorIN3c107complexINS3_8BFloat16EEES6_bNS0_12_GLOBAL__N_116CompareEqFunctorIS6_EEEESt5arrayIPcLm3EEEEviT0_T1_,"axG",@progbits,_ZN2at6native29vectorized_elementwise_kernelILi4ENS0_13BinaryFunctorIN3c107complexINS3_8BFloat16EEES6_bNS0_12_GLOBAL__N_116CompareEqFunctorIS6_EEEESt5arrayIPcLm3EEEEviT0_T1_,comdat
.Lfunc_end162:
	.size	_ZN2at6native29vectorized_elementwise_kernelILi4ENS0_13BinaryFunctorIN3c107complexINS3_8BFloat16EEES6_bNS0_12_GLOBAL__N_116CompareEqFunctorIS6_EEEESt5arrayIPcLm3EEEEviT0_T1_, .Lfunc_end162-_ZN2at6native29vectorized_elementwise_kernelILi4ENS0_13BinaryFunctorIN3c107complexINS3_8BFloat16EEES6_bNS0_12_GLOBAL__N_116CompareEqFunctorIS6_EEEESt5arrayIPcLm3EEEEviT0_T1_
                                        ; -- End function
	.set _ZN2at6native29vectorized_elementwise_kernelILi4ENS0_13BinaryFunctorIN3c107complexINS3_8BFloat16EEES6_bNS0_12_GLOBAL__N_116CompareEqFunctorIS6_EEEESt5arrayIPcLm3EEEEviT0_T1_.num_vgpr, 39
	.set _ZN2at6native29vectorized_elementwise_kernelILi4ENS0_13BinaryFunctorIN3c107complexINS3_8BFloat16EEES6_bNS0_12_GLOBAL__N_116CompareEqFunctorIS6_EEEESt5arrayIPcLm3EEEEviT0_T1_.num_agpr, 0
	.set _ZN2at6native29vectorized_elementwise_kernelILi4ENS0_13BinaryFunctorIN3c107complexINS3_8BFloat16EEES6_bNS0_12_GLOBAL__N_116CompareEqFunctorIS6_EEEESt5arrayIPcLm3EEEEviT0_T1_.numbered_sgpr, 27
	.set _ZN2at6native29vectorized_elementwise_kernelILi4ENS0_13BinaryFunctorIN3c107complexINS3_8BFloat16EEES6_bNS0_12_GLOBAL__N_116CompareEqFunctorIS6_EEEESt5arrayIPcLm3EEEEviT0_T1_.num_named_barrier, 0
	.set _ZN2at6native29vectorized_elementwise_kernelILi4ENS0_13BinaryFunctorIN3c107complexINS3_8BFloat16EEES6_bNS0_12_GLOBAL__N_116CompareEqFunctorIS6_EEEESt5arrayIPcLm3EEEEviT0_T1_.private_seg_size, 0
	.set _ZN2at6native29vectorized_elementwise_kernelILi4ENS0_13BinaryFunctorIN3c107complexINS3_8BFloat16EEES6_bNS0_12_GLOBAL__N_116CompareEqFunctorIS6_EEEESt5arrayIPcLm3EEEEviT0_T1_.uses_vcc, 1
	.set _ZN2at6native29vectorized_elementwise_kernelILi4ENS0_13BinaryFunctorIN3c107complexINS3_8BFloat16EEES6_bNS0_12_GLOBAL__N_116CompareEqFunctorIS6_EEEESt5arrayIPcLm3EEEEviT0_T1_.uses_flat_scratch, 0
	.set _ZN2at6native29vectorized_elementwise_kernelILi4ENS0_13BinaryFunctorIN3c107complexINS3_8BFloat16EEES6_bNS0_12_GLOBAL__N_116CompareEqFunctorIS6_EEEESt5arrayIPcLm3EEEEviT0_T1_.has_dyn_sized_stack, 0
	.set _ZN2at6native29vectorized_elementwise_kernelILi4ENS0_13BinaryFunctorIN3c107complexINS3_8BFloat16EEES6_bNS0_12_GLOBAL__N_116CompareEqFunctorIS6_EEEESt5arrayIPcLm3EEEEviT0_T1_.has_recursion, 0
	.set _ZN2at6native29vectorized_elementwise_kernelILi4ENS0_13BinaryFunctorIN3c107complexINS3_8BFloat16EEES6_bNS0_12_GLOBAL__N_116CompareEqFunctorIS6_EEEESt5arrayIPcLm3EEEEviT0_T1_.has_indirect_call, 0
	.section	.AMDGPU.csdata,"",@progbits
; Kernel info:
; codeLenInByte = 7580
; TotalNumSgprs: 29
; NumVgprs: 39
; ScratchSize: 0
; MemoryBound: 0
; FloatMode: 240
; IeeeMode: 1
; LDSByteSize: 0 bytes/workgroup (compile time only)
; SGPRBlocks: 0
; VGPRBlocks: 2
; NumSGPRsForWavesPerEU: 29
; NumVGPRsForWavesPerEU: 39
; NamedBarCnt: 0
; Occupancy: 16
; WaveLimiterHint : 1
; COMPUTE_PGM_RSRC2:SCRATCH_EN: 0
; COMPUTE_PGM_RSRC2:USER_SGPR: 2
; COMPUTE_PGM_RSRC2:TRAP_HANDLER: 0
; COMPUTE_PGM_RSRC2:TGID_X_EN: 1
; COMPUTE_PGM_RSRC2:TGID_Y_EN: 0
; COMPUTE_PGM_RSRC2:TGID_Z_EN: 0
; COMPUTE_PGM_RSRC2:TIDIG_COMP_CNT: 0
	.section	.text._ZN2at6native29vectorized_elementwise_kernelILi2ENS0_13BinaryFunctorIN3c107complexINS3_8BFloat16EEES6_bNS0_12_GLOBAL__N_116CompareEqFunctorIS6_EEEESt5arrayIPcLm3EEEEviT0_T1_,"axG",@progbits,_ZN2at6native29vectorized_elementwise_kernelILi2ENS0_13BinaryFunctorIN3c107complexINS3_8BFloat16EEES6_bNS0_12_GLOBAL__N_116CompareEqFunctorIS6_EEEESt5arrayIPcLm3EEEEviT0_T1_,comdat
	.globl	_ZN2at6native29vectorized_elementwise_kernelILi2ENS0_13BinaryFunctorIN3c107complexINS3_8BFloat16EEES6_bNS0_12_GLOBAL__N_116CompareEqFunctorIS6_EEEESt5arrayIPcLm3EEEEviT0_T1_ ; -- Begin function _ZN2at6native29vectorized_elementwise_kernelILi2ENS0_13BinaryFunctorIN3c107complexINS3_8BFloat16EEES6_bNS0_12_GLOBAL__N_116CompareEqFunctorIS6_EEEESt5arrayIPcLm3EEEEviT0_T1_
	.p2align	8
	.type	_ZN2at6native29vectorized_elementwise_kernelILi2ENS0_13BinaryFunctorIN3c107complexINS3_8BFloat16EEES6_bNS0_12_GLOBAL__N_116CompareEqFunctorIS6_EEEESt5arrayIPcLm3EEEEviT0_T1_,@function
_ZN2at6native29vectorized_elementwise_kernelILi2ENS0_13BinaryFunctorIN3c107complexINS3_8BFloat16EEES6_bNS0_12_GLOBAL__N_116CompareEqFunctorIS6_EEEESt5arrayIPcLm3EEEEviT0_T1_: ; @_ZN2at6native29vectorized_elementwise_kernelILi2ENS0_13BinaryFunctorIN3c107complexINS3_8BFloat16EEES6_bNS0_12_GLOBAL__N_116CompareEqFunctorIS6_EEEESt5arrayIPcLm3EEEEviT0_T1_
; %bb.0:
	s_clause 0x2
	s_load_b64 s[8:9], s[0:1], 0x0
	s_load_b128 s[4:7], s[0:1], 0x8
	s_load_b64 s[10:11], s[0:1], 0x18
	s_wait_xcnt 0x0
	s_bfe_u32 s0, ttmp6, 0x4000c
	s_and_b32 s1, ttmp6, 15
	s_add_co_i32 s0, s0, 1
	s_getreg_b32 s2, hwreg(HW_REG_IB_STS2, 6, 4)
	s_mul_i32 s0, ttmp9, s0
	s_delay_alu instid0(SALU_CYCLE_1) | instskip(SKIP_2) | instid1(SALU_CYCLE_1)
	s_add_co_i32 s1, s1, s0
	s_cmp_eq_u32 s2, 0
	s_cselect_b32 s0, ttmp9, s1
	s_lshl_b32 s2, s0, 12
	s_mov_b32 s0, -1
	s_wait_kmcnt 0x0
	s_sub_co_i32 s8, s8, s2
	s_delay_alu instid0(SALU_CYCLE_1)
	s_cmp_gt_i32 s8, 0xfff
	s_cbranch_scc0 .LBB163_50
; %bb.1:
	s_ashr_i32 s3, s2, 31
	s_delay_alu instid0(SALU_CYCLE_1)
	s_lshl_b64 s[0:1], s[2:3], 2
	s_cmp_lg_u32 s9, 0
	s_add_nc_u64 s[12:13], s[6:7], s[0:1]
	s_add_nc_u64 s[0:1], s[10:11], s[0:1]
	s_clause 0xf
	global_load_b64 v[30:31], v0, s[12:13] scale_offset
	global_load_b64 v[26:27], v0, s[12:13] offset:2048 scale_offset
	global_load_b64 v[22:23], v0, s[12:13] offset:4096 scale_offset
	;; [unrolled: 1-line block ×3, first 2 shown]
	global_load_b64 v[32:33], v0, s[0:1] scale_offset
	global_load_b64 v[14:15], v0, s[12:13] offset:8192 scale_offset
	global_load_b64 v[10:11], v0, s[12:13] offset:10240 scale_offset
	;; [unrolled: 1-line block ×10, first 2 shown]
	; meta instruction
	global_load_b64 v[4:5], v0, s[0:1] offset:14336 scale_offset
	s_wait_xcnt 0x7
	s_cselect_b32 s12, -1, 0
	s_delay_alu instid0(SALU_CYCLE_1)
	s_and_b32 vcc_lo, exec_lo, s12
	s_wait_loadcnt 0xf
	v_lshlrev_b32_e32 v34, 16, v30
	v_and_b32_e32 v30, 0xffff0000, v30
	s_wait_loadcnt 0xb
	v_lshlrev_b32_e32 v1, 16, v32
	v_and_b32_e32 v32, 0xffff0000, v32
	s_cbranch_vccz .LBB163_196
; %bb.2:
	s_delay_alu instid0(VALU_DEP_2) | instskip(SKIP_1) | instid1(VALU_DEP_2)
	v_cmp_neq_f32_e32 vcc_lo, v34, v1
	s_wait_xcnt 0x0
	v_cmp_neq_f32_e64 s0, v30, v32
	s_or_b32 s1, vcc_lo, s0
	s_cbranch_execnz .LBB163_4
.LBB163_3:
	v_cmp_eq_f32_e32 vcc_lo, v34, v1
	v_cmp_eq_f32_e64 s0, v30, v32
	s_and_not1_b32 s1, s1, exec_lo
	s_and_b32 s0, vcc_lo, s0
	s_delay_alu instid0(SALU_CYCLE_1) | instskip(NEXT) | instid1(SALU_CYCLE_1)
	s_and_b32 s0, s0, exec_lo
	s_or_b32 s1, s1, s0
.LBB163_4:
	v_cndmask_b32_e64 v1, 0, 1, s12
	v_dual_lshlrev_b32 v30, 16, v33 :: v_dual_lshlrev_b32 v32, 16, v31
	v_and_b32_e32 v33, 0xffff0000, v33
	v_and_b32_e32 v31, 0xffff0000, v31
	s_and_not1_b32 vcc_lo, exec_lo, s12
	s_cbranch_vccnz .LBB163_197
; %bb.5:
	v_cmp_neq_f32_e32 vcc_lo, v32, v30
	s_delay_alu instid0(VALU_DEP_2)
	v_cmp_neq_f32_e64 s0, v31, v33
	s_or_b32 s12, vcc_lo, s0
	s_cbranch_execnz .LBB163_7
.LBB163_6:
	v_cmp_eq_f32_e32 vcc_lo, v32, v30
	v_cmp_eq_f32_e64 s0, v31, v33
	s_and_not1_b32 s12, s12, exec_lo
	s_and_b32 s0, vcc_lo, s0
	s_delay_alu instid0(SALU_CYCLE_1) | instskip(NEXT) | instid1(SALU_CYCLE_1)
	s_and_b32 s0, s0, exec_lo
	s_or_b32 s12, s12, s0
.LBB163_7:
	v_cmp_ne_u32_e32 vcc_lo, 1, v1
	s_wait_loadcnt 0x6
	v_dual_lshlrev_b32 v30, 16, v28 :: v_dual_lshlrev_b32 v31, 16, v26
	v_and_b32_e32 v28, 0xffff0000, v28
	v_and_b32_e32 v26, 0xffff0000, v26
	s_cbranch_vccnz .LBB163_198
; %bb.8:
	s_delay_alu instid0(VALU_DEP_3) | instskip(NEXT) | instid1(VALU_DEP_2)
	v_cmp_neq_f32_e32 vcc_lo, v31, v30
	v_cmp_neq_f32_e64 s0, v26, v28
	s_or_b32 s13, vcc_lo, s0
	s_cbranch_execnz .LBB163_10
.LBB163_9:
	v_cmp_eq_f32_e32 vcc_lo, v31, v30
	s_delay_alu instid0(VALU_DEP_2) | instskip(SKIP_2) | instid1(SALU_CYCLE_1)
	v_cmp_eq_f32_e64 s0, v26, v28
	s_and_not1_b32 s13, s13, exec_lo
	s_and_b32 s0, vcc_lo, s0
	s_and_b32 s0, s0, exec_lo
	s_delay_alu instid0(SALU_CYCLE_1)
	s_or_b32 s13, s13, s0
.LBB163_10:
	v_cmp_ne_u32_e32 vcc_lo, 1, v1
	v_dual_lshlrev_b32 v26, 16, v29 :: v_dual_lshlrev_b32 v28, 16, v27
	v_and_b32_e32 v29, 0xffff0000, v29
	v_and_b32_e32 v27, 0xffff0000, v27
	s_cbranch_vccnz .LBB163_199
; %bb.11:
	s_delay_alu instid0(VALU_DEP_3) | instskip(NEXT) | instid1(VALU_DEP_2)
	v_cmp_neq_f32_e32 vcc_lo, v28, v26
	v_cmp_neq_f32_e64 s0, v27, v29
	s_or_b32 s14, vcc_lo, s0
	s_cbranch_execnz .LBB163_13
.LBB163_12:
	v_cmp_eq_f32_e32 vcc_lo, v28, v26
	s_delay_alu instid0(VALU_DEP_2) | instskip(SKIP_2) | instid1(SALU_CYCLE_1)
	v_cmp_eq_f32_e64 s0, v27, v29
	s_and_not1_b32 s14, s14, exec_lo
	s_and_b32 s0, vcc_lo, s0
	s_and_b32 s0, s0, exec_lo
	s_delay_alu instid0(SALU_CYCLE_1)
	s_or_b32 s14, s14, s0
.LBB163_13:
	v_cmp_ne_u32_e32 vcc_lo, 1, v1
	s_wait_loadcnt 0x5
	v_dual_lshlrev_b32 v26, 16, v24 :: v_dual_lshlrev_b32 v27, 16, v22
	v_and_b32_e32 v24, 0xffff0000, v24
	v_and_b32_e32 v22, 0xffff0000, v22
	s_cbranch_vccnz .LBB163_200
; %bb.14:
	s_delay_alu instid0(VALU_DEP_3) | instskip(NEXT) | instid1(VALU_DEP_2)
	v_cmp_neq_f32_e32 vcc_lo, v27, v26
	v_cmp_neq_f32_e64 s0, v22, v24
	s_or_b32 s15, vcc_lo, s0
	s_cbranch_execnz .LBB163_16
.LBB163_15:
	v_cmp_eq_f32_e32 vcc_lo, v27, v26
	s_delay_alu instid0(VALU_DEP_2) | instskip(SKIP_2) | instid1(SALU_CYCLE_1)
	v_cmp_eq_f32_e64 s0, v22, v24
	s_and_not1_b32 s15, s15, exec_lo
	s_and_b32 s0, vcc_lo, s0
	s_and_b32 s0, s0, exec_lo
	s_delay_alu instid0(SALU_CYCLE_1)
	s_or_b32 s15, s15, s0
.LBB163_16:
	v_cmp_ne_u32_e32 vcc_lo, 1, v1
	v_dual_lshlrev_b32 v22, 16, v25 :: v_dual_lshlrev_b32 v24, 16, v23
	v_and_b32_e32 v25, 0xffff0000, v25
	v_and_b32_e32 v23, 0xffff0000, v23
	s_cbranch_vccnz .LBB163_201
; %bb.17:
	s_delay_alu instid0(VALU_DEP_3) | instskip(NEXT) | instid1(VALU_DEP_2)
	v_cmp_neq_f32_e32 vcc_lo, v24, v22
	v_cmp_neq_f32_e64 s0, v23, v25
	s_or_b32 s16, vcc_lo, s0
	s_cbranch_execnz .LBB163_19
.LBB163_18:
	v_cmp_eq_f32_e32 vcc_lo, v24, v22
	s_delay_alu instid0(VALU_DEP_2) | instskip(SKIP_2) | instid1(SALU_CYCLE_1)
	v_cmp_eq_f32_e64 s0, v23, v25
	s_and_not1_b32 s16, s16, exec_lo
	s_and_b32 s0, vcc_lo, s0
	s_and_b32 s0, s0, exec_lo
	s_delay_alu instid0(SALU_CYCLE_1)
	s_or_b32 s16, s16, s0
.LBB163_19:
	v_cmp_ne_u32_e32 vcc_lo, 1, v1
	s_wait_loadcnt 0x4
	v_dual_lshlrev_b32 v22, 16, v20 :: v_dual_lshlrev_b32 v23, 16, v18
	v_and_b32_e32 v20, 0xffff0000, v20
	v_and_b32_e32 v18, 0xffff0000, v18
	s_cbranch_vccnz .LBB163_202
; %bb.20:
	s_delay_alu instid0(VALU_DEP_3) | instskip(NEXT) | instid1(VALU_DEP_2)
	v_cmp_neq_f32_e32 vcc_lo, v23, v22
	v_cmp_neq_f32_e64 s0, v18, v20
	s_or_b32 s17, vcc_lo, s0
	s_cbranch_execnz .LBB163_22
.LBB163_21:
	v_cmp_eq_f32_e32 vcc_lo, v23, v22
	s_delay_alu instid0(VALU_DEP_2) | instskip(SKIP_2) | instid1(SALU_CYCLE_1)
	v_cmp_eq_f32_e64 s0, v18, v20
	s_and_not1_b32 s17, s17, exec_lo
	s_and_b32 s0, vcc_lo, s0
	s_and_b32 s0, s0, exec_lo
	s_delay_alu instid0(SALU_CYCLE_1)
	s_or_b32 s17, s17, s0
.LBB163_22:
	v_cmp_ne_u32_e32 vcc_lo, 1, v1
	v_dual_lshlrev_b32 v18, 16, v21 :: v_dual_lshlrev_b32 v20, 16, v19
	v_and_b32_e32 v21, 0xffff0000, v21
	v_and_b32_e32 v19, 0xffff0000, v19
	s_cbranch_vccnz .LBB163_203
; %bb.23:
	s_delay_alu instid0(VALU_DEP_3) | instskip(NEXT) | instid1(VALU_DEP_2)
	v_cmp_neq_f32_e32 vcc_lo, v20, v18
	v_cmp_neq_f32_e64 s0, v19, v21
	s_or_b32 s18, vcc_lo, s0
	s_cbranch_execnz .LBB163_25
.LBB163_24:
	v_cmp_eq_f32_e32 vcc_lo, v20, v18
	s_delay_alu instid0(VALU_DEP_2) | instskip(SKIP_2) | instid1(SALU_CYCLE_1)
	v_cmp_eq_f32_e64 s0, v19, v21
	s_and_not1_b32 s18, s18, exec_lo
	s_and_b32 s0, vcc_lo, s0
	s_and_b32 s0, s0, exec_lo
	s_delay_alu instid0(SALU_CYCLE_1)
	s_or_b32 s18, s18, s0
.LBB163_25:
	v_cmp_ne_u32_e32 vcc_lo, 1, v1
	s_wait_loadcnt 0x3
	v_dual_lshlrev_b32 v18, 16, v16 :: v_dual_lshlrev_b32 v19, 16, v14
	v_and_b32_e32 v16, 0xffff0000, v16
	v_and_b32_e32 v14, 0xffff0000, v14
	s_cbranch_vccnz .LBB163_204
; %bb.26:
	s_delay_alu instid0(VALU_DEP_3) | instskip(NEXT) | instid1(VALU_DEP_2)
	v_cmp_neq_f32_e32 vcc_lo, v19, v18
	v_cmp_neq_f32_e64 s0, v14, v16
	s_or_b32 s19, vcc_lo, s0
	s_cbranch_execnz .LBB163_28
.LBB163_27:
	v_cmp_eq_f32_e32 vcc_lo, v19, v18
	s_delay_alu instid0(VALU_DEP_2) | instskip(SKIP_2) | instid1(SALU_CYCLE_1)
	v_cmp_eq_f32_e64 s0, v14, v16
	s_and_not1_b32 s19, s19, exec_lo
	s_and_b32 s0, vcc_lo, s0
	s_and_b32 s0, s0, exec_lo
	s_delay_alu instid0(SALU_CYCLE_1)
	s_or_b32 s19, s19, s0
.LBB163_28:
	v_cmp_ne_u32_e32 vcc_lo, 1, v1
	v_dual_lshlrev_b32 v14, 16, v17 :: v_dual_lshlrev_b32 v16, 16, v15
	v_and_b32_e32 v17, 0xffff0000, v17
	v_and_b32_e32 v15, 0xffff0000, v15
	s_cbranch_vccnz .LBB163_205
; %bb.29:
	s_delay_alu instid0(VALU_DEP_3) | instskip(NEXT) | instid1(VALU_DEP_2)
	v_cmp_neq_f32_e32 vcc_lo, v16, v14
	v_cmp_neq_f32_e64 s0, v15, v17
	s_or_b32 s20, vcc_lo, s0
	s_cbranch_execnz .LBB163_31
.LBB163_30:
	v_cmp_eq_f32_e32 vcc_lo, v16, v14
	s_delay_alu instid0(VALU_DEP_2) | instskip(SKIP_2) | instid1(SALU_CYCLE_1)
	v_cmp_eq_f32_e64 s0, v15, v17
	s_and_not1_b32 s20, s20, exec_lo
	s_and_b32 s0, vcc_lo, s0
	s_and_b32 s0, s0, exec_lo
	s_delay_alu instid0(SALU_CYCLE_1)
	s_or_b32 s20, s20, s0
.LBB163_31:
	v_cmp_ne_u32_e32 vcc_lo, 1, v1
	s_wait_loadcnt 0x2
	v_dual_lshlrev_b32 v14, 16, v12 :: v_dual_lshlrev_b32 v15, 16, v10
	v_and_b32_e32 v12, 0xffff0000, v12
	v_and_b32_e32 v10, 0xffff0000, v10
	s_cbranch_vccnz .LBB163_206
; %bb.32:
	s_delay_alu instid0(VALU_DEP_3) | instskip(NEXT) | instid1(VALU_DEP_2)
	v_cmp_neq_f32_e32 vcc_lo, v15, v14
	v_cmp_neq_f32_e64 s0, v10, v12
	s_or_b32 s21, vcc_lo, s0
	s_cbranch_execnz .LBB163_34
.LBB163_33:
	v_cmp_eq_f32_e32 vcc_lo, v15, v14
	s_delay_alu instid0(VALU_DEP_2) | instskip(SKIP_2) | instid1(SALU_CYCLE_1)
	v_cmp_eq_f32_e64 s0, v10, v12
	s_and_not1_b32 s21, s21, exec_lo
	s_and_b32 s0, vcc_lo, s0
	s_and_b32 s0, s0, exec_lo
	s_delay_alu instid0(SALU_CYCLE_1)
	s_or_b32 s21, s21, s0
.LBB163_34:
	v_cmp_ne_u32_e32 vcc_lo, 1, v1
	v_dual_lshlrev_b32 v10, 16, v13 :: v_dual_lshlrev_b32 v12, 16, v11
	v_and_b32_e32 v13, 0xffff0000, v13
	v_and_b32_e32 v11, 0xffff0000, v11
	s_cbranch_vccnz .LBB163_207
; %bb.35:
	s_delay_alu instid0(VALU_DEP_3) | instskip(NEXT) | instid1(VALU_DEP_2)
	v_cmp_neq_f32_e32 vcc_lo, v12, v10
	v_cmp_neq_f32_e64 s0, v11, v13
	s_or_b32 s22, vcc_lo, s0
	s_cbranch_execnz .LBB163_37
.LBB163_36:
	v_cmp_eq_f32_e32 vcc_lo, v12, v10
	s_delay_alu instid0(VALU_DEP_2) | instskip(SKIP_2) | instid1(SALU_CYCLE_1)
	v_cmp_eq_f32_e64 s0, v11, v13
	s_and_not1_b32 s22, s22, exec_lo
	s_and_b32 s0, vcc_lo, s0
	s_and_b32 s0, s0, exec_lo
	s_delay_alu instid0(SALU_CYCLE_1)
	s_or_b32 s22, s22, s0
.LBB163_37:
	v_cmp_ne_u32_e32 vcc_lo, 1, v1
	s_wait_loadcnt 0x1
	v_dual_lshlrev_b32 v10, 16, v8 :: v_dual_lshlrev_b32 v11, 16, v6
	v_and_b32_e32 v8, 0xffff0000, v8
	v_and_b32_e32 v6, 0xffff0000, v6
	s_cbranch_vccnz .LBB163_208
; %bb.38:
	s_delay_alu instid0(VALU_DEP_3) | instskip(NEXT) | instid1(VALU_DEP_2)
	v_cmp_neq_f32_e32 vcc_lo, v11, v10
	v_cmp_neq_f32_e64 s0, v6, v8
	s_or_b32 s23, vcc_lo, s0
	s_cbranch_execnz .LBB163_40
.LBB163_39:
	v_cmp_eq_f32_e32 vcc_lo, v11, v10
	s_delay_alu instid0(VALU_DEP_2) | instskip(SKIP_2) | instid1(SALU_CYCLE_1)
	v_cmp_eq_f32_e64 s0, v6, v8
	s_and_not1_b32 s23, s23, exec_lo
	s_and_b32 s0, vcc_lo, s0
	s_and_b32 s0, s0, exec_lo
	s_delay_alu instid0(SALU_CYCLE_1)
	s_or_b32 s23, s23, s0
.LBB163_40:
	v_cmp_ne_u32_e32 vcc_lo, 1, v1
	v_dual_lshlrev_b32 v6, 16, v9 :: v_dual_lshlrev_b32 v8, 16, v7
	v_and_b32_e32 v9, 0xffff0000, v9
	v_and_b32_e32 v7, 0xffff0000, v7
	s_cbranch_vccnz .LBB163_209
; %bb.41:
	s_delay_alu instid0(VALU_DEP_3) | instskip(NEXT) | instid1(VALU_DEP_2)
	v_cmp_neq_f32_e32 vcc_lo, v8, v6
	v_cmp_neq_f32_e64 s0, v7, v9
	s_or_b32 s24, vcc_lo, s0
	s_cbranch_execnz .LBB163_43
.LBB163_42:
	v_cmp_eq_f32_e32 vcc_lo, v8, v6
	s_delay_alu instid0(VALU_DEP_2) | instskip(SKIP_2) | instid1(SALU_CYCLE_1)
	v_cmp_eq_f32_e64 s0, v7, v9
	s_and_not1_b32 s24, s24, exec_lo
	s_and_b32 s0, vcc_lo, s0
	s_and_b32 s0, s0, exec_lo
	s_delay_alu instid0(SALU_CYCLE_1)
	s_or_b32 s24, s24, s0
.LBB163_43:
	v_cmp_ne_u32_e32 vcc_lo, 1, v1
	s_wait_loadcnt 0x0
	v_dual_lshlrev_b32 v6, 16, v4 :: v_dual_lshlrev_b32 v7, 16, v2
	v_and_b32_e32 v4, 0xffff0000, v4
	v_and_b32_e32 v2, 0xffff0000, v2
	s_cbranch_vccnz .LBB163_210
; %bb.44:
	s_delay_alu instid0(VALU_DEP_3) | instskip(NEXT) | instid1(VALU_DEP_2)
	v_cmp_neq_f32_e32 vcc_lo, v7, v6
	v_cmp_neq_f32_e64 s0, v2, v4
	s_or_b32 s25, vcc_lo, s0
	s_cbranch_execnz .LBB163_46
.LBB163_45:
	v_cmp_eq_f32_e32 vcc_lo, v7, v6
	s_delay_alu instid0(VALU_DEP_2) | instskip(SKIP_2) | instid1(SALU_CYCLE_1)
	v_cmp_eq_f32_e64 s0, v2, v4
	s_and_not1_b32 s25, s25, exec_lo
	s_and_b32 s0, vcc_lo, s0
	s_and_b32 s0, s0, exec_lo
	s_delay_alu instid0(SALU_CYCLE_1)
	s_or_b32 s25, s25, s0
.LBB163_46:
	v_cmp_ne_u32_e32 vcc_lo, 1, v1
	v_dual_lshlrev_b32 v1, 16, v5 :: v_dual_lshlrev_b32 v2, 16, v3
	v_and_b32_e32 v4, 0xffff0000, v5
	v_and_b32_e32 v3, 0xffff0000, v3
	s_cbranch_vccnz .LBB163_211
; %bb.47:
	s_delay_alu instid0(VALU_DEP_3) | instskip(NEXT) | instid1(VALU_DEP_2)
	v_cmp_neq_f32_e32 vcc_lo, v2, v1
	v_cmp_neq_f32_e64 s0, v3, v4
	s_or_b32 s26, vcc_lo, s0
	s_cbranch_execnz .LBB163_49
.LBB163_48:
	v_cmp_eq_f32_e32 vcc_lo, v2, v1
	s_delay_alu instid0(VALU_DEP_2) | instskip(SKIP_2) | instid1(SALU_CYCLE_1)
	v_cmp_eq_f32_e64 s0, v3, v4
	s_and_not1_b32 s26, s26, exec_lo
	s_and_b32 s0, vcc_lo, s0
	s_and_b32 s0, s0, exec_lo
	s_delay_alu instid0(SALU_CYCLE_1)
	s_or_b32 s26, s26, s0
.LBB163_49:
	v_cndmask_b32_e64 v1, 0, 1, s23
	v_cndmask_b32_e64 v2, 0, 0x100, s24
	;; [unrolled: 1-line block ×6, first 2 shown]
	v_or_b32_e32 v1, v2, v1
	v_cndmask_b32_e64 v9, 0, 1, s1
	v_or_b32_e32 v2, v4, v3
	v_cndmask_b32_e64 v4, 0, 1, s17
	v_or_b32_e32 v3, v6, v5
	v_cndmask_b32_e64 v5, 0, 0x100, s18
	v_cndmask_b32_e64 v10, 0, 0x100, s12
	v_cndmask_b32_e64 v8, 0, 1, s13
	;; [unrolled: 1-line block ×6, first 2 shown]
	v_or_b32_e32 v4, v5, v4
	v_cndmask_b32_e64 v5, 0, 0x100, s26
	v_or_b32_e32 v9, v10, v9
	v_or_b32_e32 v8, v11, v8
	;; [unrolled: 1-line block ×3, first 2 shown]
	s_mov_b32 s0, 0
	s_add_nc_u64 s[12:13], s[4:5], s[2:3]
	v_or_b32_e32 v5, v5, v7
	s_clause 0x7
	global_store_b16 v0, v9, s[12:13] scale_offset
	global_store_b16 v0, v8, s[12:13] offset:512 scale_offset
	global_store_b16 v0, v6, s[12:13] offset:1024 scale_offset
	;; [unrolled: 1-line block ×7, first 2 shown]
.LBB163_50:
	s_and_b32 vcc_lo, exec_lo, s0
	s_cbranch_vccz .LBB163_195
; %bb.51:
	v_cmp_gt_i32_e64 s0, s8, v0
	s_wait_xcnt 0x1
	v_dual_mov_b32 v10, 0 :: v_dual_bitop2_b32 v1, s2, v0 bitop3:0x54
	v_or_b32_e32 v8, 0x100, v0
	v_dual_mov_b32 v9, 0 :: v_dual_mov_b32 v12, 0
	v_dual_mov_b32 v11, 0 :: v_dual_mov_b32 v14, 0
	;; [unrolled: 1-line block ×15, first 2 shown]
	v_mov_b32_e32 v38, 0
	s_wait_xcnt 0x0
	s_and_saveexec_b32 s1, s0
	s_cbranch_execz .LBB163_83
; %bb.52:
	s_clause 0x1
	global_load_b32 v37, v1, s[6:7] scale_offset
	global_load_b32 v38, v1, s[10:11] scale_offset
	v_or_b32_e32 v2, 0x100, v0
	v_dual_mov_b32 v36, 0 :: v_dual_mov_b32 v35, 0
	v_dual_mov_b32 v3, 0 :: v_dual_mov_b32 v34, 0
	s_delay_alu instid0(VALU_DEP_3)
	v_cmp_gt_u32_e32 vcc_lo, s8, v2
	v_dual_mov_b32 v7, 0 :: v_dual_mov_b32 v33, 0
	v_dual_mov_b32 v31, 0 :: v_dual_mov_b32 v32, 0
	;; [unrolled: 1-line block ×13, first 2 shown]
	s_wait_xcnt 0x0
	s_and_saveexec_b32 s3, vcc_lo
	s_cbranch_execz .LBB163_82
; %bb.53:
	v_dual_mov_b32 v3, 0 :: v_dual_add_nc_u32 v2, s2, v0
	v_or_b32_e32 v4, 0x200, v0
	v_dual_mov_b32 v34, 0 :: v_dual_mov_b32 v7, 0
	s_clause 0x1
	global_load_b32 v35, v2, s[6:7] offset:1024 scale_offset
	global_load_b32 v36, v2, s[10:11] offset:1024 scale_offset
	v_dual_mov_b32 v33, 0 :: v_dual_mov_b32 v31, 0
	v_cmp_gt_u32_e32 vcc_lo, s8, v4
	v_dual_mov_b32 v32, 0 :: v_dual_mov_b32 v29, 0
	v_dual_mov_b32 v30, 0 :: v_dual_mov_b32 v27, 0
	;; [unrolled: 1-line block ×11, first 2 shown]
	v_mov_b32_e32 v10, 0
	s_wait_xcnt 0x0
	s_and_saveexec_b32 s12, vcc_lo
	s_cbranch_execz .LBB163_81
; %bb.54:
	v_lshlrev_b64_e32 v[6:7], 2, v[2:3]
	v_or_b32_e32 v9, 0x300, v0
	v_dual_mov_b32 v33, 0 :: v_dual_mov_b32 v31, 0
	v_dual_mov_b32 v32, 0 :: v_dual_mov_b32 v29, 0
	s_delay_alu instid0(VALU_DEP_3)
	v_cmp_gt_u32_e32 vcc_lo, s8, v9
	v_add_nc_u64_e32 v[4:5], s[6:7], v[6:7]
	v_add_nc_u64_e32 v[6:7], s[10:11], v[6:7]
	v_dual_mov_b32 v30, 0 :: v_dual_mov_b32 v27, 0
	v_dual_mov_b32 v28, 0 :: v_dual_mov_b32 v25, 0
	;; [unrolled: 1-line block ×3, first 2 shown]
	global_load_b32 v34, v[4:5], off offset:2048
	global_load_b32 v2, v[6:7], off offset:2048
	v_dual_mov_b32 v24, 0 :: v_dual_mov_b32 v21, 0
	v_dual_mov_b32 v22, 0 :: v_dual_mov_b32 v19, 0
	;; [unrolled: 1-line block ×7, first 2 shown]
	v_mov_b32_e32 v10, 0
	s_wait_xcnt 0x0
	s_and_saveexec_b32 s6, vcc_lo
	s_cbranch_execz .LBB163_80
; %bb.55:
	global_load_b32 v33, v[4:5], off offset:3072
	global_load_b32 v3, v[6:7], off offset:3072
	v_or_b32_e32 v9, 0x400, v0
	v_dual_mov_b32 v31, 0 :: v_dual_mov_b32 v32, 0
	v_dual_mov_b32 v29, 0 :: v_dual_mov_b32 v30, 0
	s_delay_alu instid0(VALU_DEP_3)
	v_cmp_gt_u32_e32 vcc_lo, s8, v9
	v_dual_mov_b32 v27, 0 :: v_dual_mov_b32 v28, 0
	v_dual_mov_b32 v25, 0 :: v_dual_mov_b32 v26, 0
	;; [unrolled: 1-line block ×10, first 2 shown]
	s_wait_xcnt 0x0
	s_and_saveexec_b32 s7, vcc_lo
	s_cbranch_execz .LBB163_79
; %bb.56:
	global_load_b32 v32, v[4:5], off offset:4096
	global_load_b32 v31, v[6:7], off offset:4096
	v_or_b32_e32 v9, 0x500, v0
	v_dual_mov_b32 v29, 0 :: v_dual_mov_b32 v30, 0
	v_dual_mov_b32 v27, 0 :: v_dual_mov_b32 v28, 0
	s_delay_alu instid0(VALU_DEP_3)
	v_cmp_gt_u32_e32 vcc_lo, s8, v9
	v_dual_mov_b32 v25, 0 :: v_dual_mov_b32 v26, 0
	v_dual_mov_b32 v23, 0 :: v_dual_mov_b32 v24, 0
	;; [unrolled: 1-line block ×9, first 2 shown]
	s_wait_xcnt 0x0
	s_and_saveexec_b32 s10, vcc_lo
	s_cbranch_execz .LBB163_78
; %bb.57:
	global_load_b32 v30, v[4:5], off offset:5120
	global_load_b32 v29, v[6:7], off offset:5120
	v_or_b32_e32 v9, 0x600, v0
	v_dual_mov_b32 v27, 0 :: v_dual_mov_b32 v28, 0
	v_dual_mov_b32 v25, 0 :: v_dual_mov_b32 v26, 0
	s_delay_alu instid0(VALU_DEP_3)
	v_cmp_gt_u32_e32 vcc_lo, s8, v9
	v_dual_mov_b32 v23, 0 :: v_dual_mov_b32 v24, 0
	v_dual_mov_b32 v21, 0 :: v_dual_mov_b32 v22, 0
	;; [unrolled: 1-line block ×8, first 2 shown]
	s_wait_xcnt 0x0
	s_and_saveexec_b32 s11, vcc_lo
	s_cbranch_execz .LBB163_77
; %bb.58:
	global_load_b32 v28, v[4:5], off offset:6144
	global_load_b32 v27, v[6:7], off offset:6144
	v_or_b32_e32 v9, 0x700, v0
	v_dual_mov_b32 v25, 0 :: v_dual_mov_b32 v26, 0
	v_dual_mov_b32 v23, 0 :: v_dual_mov_b32 v24, 0
	s_delay_alu instid0(VALU_DEP_3)
	v_cmp_gt_u32_e32 vcc_lo, s8, v9
	v_dual_mov_b32 v21, 0 :: v_dual_mov_b32 v22, 0
	v_dual_mov_b32 v19, 0 :: v_dual_mov_b32 v20, 0
	;; [unrolled: 1-line block ×7, first 2 shown]
	s_wait_xcnt 0x0
	s_and_saveexec_b32 s13, vcc_lo
	s_cbranch_execz .LBB163_76
; %bb.59:
	global_load_b32 v26, v[4:5], off offset:7168
	global_load_b32 v25, v[6:7], off offset:7168
	v_or_b32_e32 v9, 0x800, v0
	v_dual_mov_b32 v23, 0 :: v_dual_mov_b32 v24, 0
	v_dual_mov_b32 v21, 0 :: v_dual_mov_b32 v22, 0
	s_delay_alu instid0(VALU_DEP_3)
	v_cmp_gt_u32_e32 vcc_lo, s8, v9
	v_dual_mov_b32 v19, 0 :: v_dual_mov_b32 v20, 0
	v_dual_mov_b32 v17, 0 :: v_dual_mov_b32 v18, 0
	;; [unrolled: 1-line block ×6, first 2 shown]
	s_wait_xcnt 0x0
	s_and_saveexec_b32 s14, vcc_lo
	s_cbranch_execz .LBB163_75
; %bb.60:
	global_load_b32 v24, v[4:5], off offset:8192
	global_load_b32 v23, v[6:7], off offset:8192
	v_or_b32_e32 v9, 0x900, v0
	v_dual_mov_b32 v21, 0 :: v_dual_mov_b32 v22, 0
	v_dual_mov_b32 v19, 0 :: v_dual_mov_b32 v20, 0
	s_delay_alu instid0(VALU_DEP_3)
	v_cmp_gt_u32_e32 vcc_lo, s8, v9
	v_dual_mov_b32 v17, 0 :: v_dual_mov_b32 v18, 0
	v_dual_mov_b32 v15, 0 :: v_dual_mov_b32 v16, 0
	;; [unrolled: 1-line block ×5, first 2 shown]
	s_wait_xcnt 0x0
	s_and_saveexec_b32 s15, vcc_lo
	s_cbranch_execz .LBB163_74
; %bb.61:
	global_load_b32 v22, v[4:5], off offset:9216
	global_load_b32 v21, v[6:7], off offset:9216
	v_or_b32_e32 v9, 0xa00, v0
	v_dual_mov_b32 v19, 0 :: v_dual_mov_b32 v20, 0
	v_dual_mov_b32 v17, 0 :: v_dual_mov_b32 v18, 0
	s_delay_alu instid0(VALU_DEP_3)
	v_cmp_gt_u32_e32 vcc_lo, s8, v9
	v_dual_mov_b32 v15, 0 :: v_dual_mov_b32 v16, 0
	v_dual_mov_b32 v13, 0 :: v_dual_mov_b32 v14, 0
	;; [unrolled: 1-line block ×4, first 2 shown]
	s_wait_xcnt 0x0
	s_and_saveexec_b32 s16, vcc_lo
	s_cbranch_execz .LBB163_73
; %bb.62:
	global_load_b32 v20, v[4:5], off offset:10240
	global_load_b32 v19, v[6:7], off offset:10240
	v_or_b32_e32 v9, 0xb00, v0
	v_dual_mov_b32 v17, 0 :: v_dual_mov_b32 v18, 0
	v_dual_mov_b32 v15, 0 :: v_dual_mov_b32 v16, 0
	s_delay_alu instid0(VALU_DEP_3)
	v_cmp_gt_u32_e32 vcc_lo, s8, v9
	v_dual_mov_b32 v13, 0 :: v_dual_mov_b32 v14, 0
	v_dual_mov_b32 v11, 0 :: v_dual_mov_b32 v12, 0
	;; [unrolled: 1-line block ×3, first 2 shown]
	s_wait_xcnt 0x0
	s_and_saveexec_b32 s17, vcc_lo
	s_cbranch_execz .LBB163_72
; %bb.63:
	global_load_b32 v18, v[4:5], off offset:11264
	global_load_b32 v17, v[6:7], off offset:11264
	v_or_b32_e32 v9, 0xc00, v0
	v_dual_mov_b32 v15, 0 :: v_dual_mov_b32 v16, 0
	v_dual_mov_b32 v13, 0 :: v_dual_mov_b32 v14, 0
	s_delay_alu instid0(VALU_DEP_3)
	v_cmp_gt_u32_e32 vcc_lo, s8, v9
	v_dual_mov_b32 v11, 0 :: v_dual_mov_b32 v12, 0
	v_dual_mov_b32 v9, 0 :: v_dual_mov_b32 v10, 0
	s_wait_xcnt 0x0
	s_and_saveexec_b32 s18, vcc_lo
	s_cbranch_execz .LBB163_71
; %bb.64:
	global_load_b32 v16, v[4:5], off offset:12288
	global_load_b32 v15, v[6:7], off offset:12288
	v_or_b32_e32 v9, 0xd00, v0
	v_dual_mov_b32 v13, 0 :: v_dual_mov_b32 v14, 0
	v_dual_mov_b32 v11, 0 :: v_dual_mov_b32 v12, 0
	s_delay_alu instid0(VALU_DEP_3)
	v_cmp_gt_u32_e32 vcc_lo, s8, v9
	v_dual_mov_b32 v9, 0 :: v_dual_mov_b32 v10, 0
	s_wait_xcnt 0x0
	s_and_saveexec_b32 s19, vcc_lo
	s_cbranch_execz .LBB163_70
; %bb.65:
	global_load_b32 v14, v[4:5], off offset:13312
	global_load_b32 v13, v[6:7], off offset:13312
	v_or_b32_e32 v9, 0xe00, v0
	v_dual_mov_b32 v11, 0 :: v_dual_mov_b32 v12, 0
	v_mov_b32_e32 v10, 0
	s_delay_alu instid0(VALU_DEP_3)
	v_cmp_gt_u32_e32 vcc_lo, s8, v9
	v_mov_b32_e32 v9, 0
	s_wait_xcnt 0x0
	s_and_saveexec_b32 s20, vcc_lo
	s_cbranch_execz .LBB163_69
; %bb.66:
	global_load_b32 v12, v[4:5], off offset:14336
	global_load_b32 v11, v[6:7], off offset:14336
	v_or_b32_e32 v9, 0xf00, v0
	v_mov_b32_e32 v10, 0
	s_delay_alu instid0(VALU_DEP_2)
	v_cmp_gt_u32_e32 vcc_lo, s8, v9
	v_mov_b32_e32 v9, 0
	s_wait_xcnt 0x0
	s_and_saveexec_b32 s21, vcc_lo
	s_cbranch_execz .LBB163_68
; %bb.67:
	global_load_b32 v10, v[4:5], off offset:15360
	global_load_b32 v9, v[6:7], off offset:15360
.LBB163_68:
	s_wait_xcnt 0x0
	s_or_b32 exec_lo, exec_lo, s21
.LBB163_69:
	s_delay_alu instid0(SALU_CYCLE_1)
	s_or_b32 exec_lo, exec_lo, s20
.LBB163_70:
	s_delay_alu instid0(SALU_CYCLE_1)
	s_or_b32 exec_lo, exec_lo, s19
.LBB163_71:
	s_delay_alu instid0(SALU_CYCLE_1)
	s_or_b32 exec_lo, exec_lo, s18
.LBB163_72:
	s_delay_alu instid0(SALU_CYCLE_1)
	s_or_b32 exec_lo, exec_lo, s17
.LBB163_73:
	s_delay_alu instid0(SALU_CYCLE_1)
	s_or_b32 exec_lo, exec_lo, s16
.LBB163_74:
	s_delay_alu instid0(SALU_CYCLE_1)
	s_or_b32 exec_lo, exec_lo, s15
.LBB163_75:
	s_delay_alu instid0(SALU_CYCLE_1)
	s_or_b32 exec_lo, exec_lo, s14
.LBB163_76:
	s_delay_alu instid0(SALU_CYCLE_1)
	s_or_b32 exec_lo, exec_lo, s13
.LBB163_77:
	s_delay_alu instid0(SALU_CYCLE_1)
	s_or_b32 exec_lo, exec_lo, s11
.LBB163_78:
	s_delay_alu instid0(SALU_CYCLE_1)
	s_or_b32 exec_lo, exec_lo, s10
.LBB163_79:
	s_delay_alu instid0(SALU_CYCLE_1)
	s_or_b32 exec_lo, exec_lo, s7
.LBB163_80:
	s_delay_alu instid0(SALU_CYCLE_1)
	s_or_b32 exec_lo, exec_lo, s6
	s_wait_loadcnt 0x0
	v_dual_mov_b32 v7, v3 :: v_dual_mov_b32 v3, v2
.LBB163_81:
	s_or_b32 exec_lo, exec_lo, s12
.LBB163_82:
	s_delay_alu instid0(SALU_CYCLE_1)
	s_or_b32 exec_lo, exec_lo, s3
.LBB163_83:
	s_delay_alu instid0(SALU_CYCLE_1)
	s_or_b32 exec_lo, exec_lo, s1
	s_cmp_lg_u32 s9, 0
                                        ; implicit-def: $vgpr2
	s_cselect_b32 s3, -1, 0
	s_and_saveexec_b32 s6, s0
	s_cbranch_execz .LBB163_88
; %bb.84:
	s_wait_loadcnt 0x0
	v_dual_lshlrev_b32 v2, 16, v38 :: v_dual_lshlrev_b32 v4, 16, v37
	v_and_b32_e32 v5, 0xffff0000, v38
	v_and_b32_e32 v6, 0xffff0000, v37
	s_and_b32 vcc_lo, exec_lo, s3
	s_cbranch_vccz .LBB163_212
; %bb.85:
	v_cmp_neq_f32_e32 vcc_lo, v4, v2
	s_delay_alu instid0(VALU_DEP_2)
	v_cmp_neq_f32_e64 s1, v6, v5
	s_or_b32 s7, vcc_lo, s1
	s_cbranch_execnz .LBB163_87
.LBB163_86:
	v_cmp_eq_f32_e32 vcc_lo, v4, v2
	v_cmp_eq_f32_e64 s1, v6, v5
	s_and_not1_b32 s7, s7, exec_lo
	s_and_b32 s1, vcc_lo, s1
	s_delay_alu instid0(SALU_CYCLE_1) | instskip(NEXT) | instid1(SALU_CYCLE_1)
	s_and_b32 s1, s1, exec_lo
	s_or_b32 s7, s7, s1
.LBB163_87:
	s_delay_alu instid0(SALU_CYCLE_1)
	v_cndmask_b32_e64 v2, 0, 1, s7
.LBB163_88:
	s_or_b32 exec_lo, exec_lo, s6
	v_cndmask_b32_e64 v5, 0, 1, s3
	s_mov_b32 s6, exec_lo
                                        ; implicit-def: $vgpr4
	v_cmpx_gt_i32_e64 s8, v8
	s_cbranch_execz .LBB163_93
; %bb.89:
	s_wait_loadcnt 0x0
	v_dual_lshlrev_b32 v4, 16, v36 :: v_dual_lshlrev_b32 v6, 16, v35
	v_and_b32_e32 v36, 0xffff0000, v36
	v_and_b32_e32 v35, 0xffff0000, v35
	s_and_not1_b32 vcc_lo, exec_lo, s3
	s_cbranch_vccnz .LBB163_213
; %bb.90:
	v_cmp_neq_f32_e32 vcc_lo, v6, v4
	s_delay_alu instid0(VALU_DEP_2)
	v_cmp_neq_f32_e64 s1, v35, v36
	s_or_b32 s3, vcc_lo, s1
	s_cbranch_execnz .LBB163_92
.LBB163_91:
	v_cmp_eq_f32_e32 vcc_lo, v6, v4
	v_cmp_eq_f32_e64 s1, v35, v36
	s_and_not1_b32 s3, s3, exec_lo
	s_and_b32 s1, vcc_lo, s1
	s_delay_alu instid0(SALU_CYCLE_1) | instskip(NEXT) | instid1(SALU_CYCLE_1)
	s_and_b32 s1, s1, exec_lo
	s_or_b32 s3, s3, s1
.LBB163_92:
	s_delay_alu instid0(SALU_CYCLE_1)
	v_cndmask_b32_e64 v4, 0, 1, s3
.LBB163_93:
	s_or_b32 exec_lo, exec_lo, s6
	v_or_b32_e32 v6, 0x200, v0
	s_delay_alu instid0(VALU_DEP_1)
	v_cmp_gt_i32_e32 vcc_lo, s8, v6
                                        ; implicit-def: $vgpr6
	s_and_saveexec_b32 s3, vcc_lo
	s_cbranch_execz .LBB163_98
; %bb.94:
	v_cmp_ne_u32_e32 vcc_lo, 1, v5
	s_wait_loadcnt 0x1
	v_dual_lshlrev_b32 v6, 16, v3 :: v_dual_lshlrev_b32 v35, 16, v34
	v_and_b32_e32 v3, 0xffff0000, v3
	v_and_b32_e32 v34, 0xffff0000, v34
	s_cbranch_vccnz .LBB163_214
; %bb.95:
	s_delay_alu instid0(VALU_DEP_3) | instskip(NEXT) | instid1(VALU_DEP_2)
	v_cmp_neq_f32_e32 vcc_lo, v35, v6
	v_cmp_neq_f32_e64 s1, v34, v3
	s_or_b32 s6, vcc_lo, s1
	s_cbranch_execnz .LBB163_97
.LBB163_96:
	v_cmp_eq_f32_e32 vcc_lo, v35, v6
	s_delay_alu instid0(VALU_DEP_2) | instskip(SKIP_2) | instid1(SALU_CYCLE_1)
	v_cmp_eq_f32_e64 s1, v34, v3
	s_and_not1_b32 s6, s6, exec_lo
	s_and_b32 s1, vcc_lo, s1
	s_and_b32 s1, s1, exec_lo
	s_delay_alu instid0(SALU_CYCLE_1)
	s_or_b32 s6, s6, s1
.LBB163_97:
	s_delay_alu instid0(SALU_CYCLE_1)
	v_cndmask_b32_e64 v6, 0, 1, s6
.LBB163_98:
	s_or_b32 exec_lo, exec_lo, s3
	v_or_b32_e32 v3, 0x300, v0
	s_delay_alu instid0(VALU_DEP_1)
	v_cmp_gt_i32_e32 vcc_lo, s8, v3
                                        ; implicit-def: $vgpr3
	s_and_saveexec_b32 s3, vcc_lo
	s_cbranch_execz .LBB163_103
; %bb.99:
	v_cmp_ne_u32_e32 vcc_lo, 1, v5
	v_dual_lshlrev_b32 v3, 16, v7 :: v_dual_lshlrev_b32 v34, 16, v33
	v_and_b32_e32 v7, 0xffff0000, v7
	v_and_b32_e32 v33, 0xffff0000, v33
	s_cbranch_vccnz .LBB163_215
; %bb.100:
	s_delay_alu instid0(VALU_DEP_3) | instskip(NEXT) | instid1(VALU_DEP_2)
	v_cmp_neq_f32_e32 vcc_lo, v34, v3
	v_cmp_neq_f32_e64 s1, v33, v7
	s_or_b32 s6, vcc_lo, s1
	s_cbranch_execnz .LBB163_102
.LBB163_101:
	v_cmp_eq_f32_e32 vcc_lo, v34, v3
	s_delay_alu instid0(VALU_DEP_2) | instskip(SKIP_2) | instid1(SALU_CYCLE_1)
	v_cmp_eq_f32_e64 s1, v33, v7
	s_and_not1_b32 s6, s6, exec_lo
	s_and_b32 s1, vcc_lo, s1
	s_and_b32 s1, s1, exec_lo
	s_delay_alu instid0(SALU_CYCLE_1)
	s_or_b32 s6, s6, s1
.LBB163_102:
	s_delay_alu instid0(SALU_CYCLE_1)
	v_cndmask_b32_e64 v3, 0, 1, s6
.LBB163_103:
	s_or_b32 exec_lo, exec_lo, s3
	v_or_b32_e32 v7, 0x400, v0
	s_delay_alu instid0(VALU_DEP_1)
	v_cmp_gt_i32_e32 vcc_lo, s8, v7
                                        ; implicit-def: $vgpr7
	s_and_saveexec_b32 s3, vcc_lo
	s_cbranch_execz .LBB163_108
; %bb.104:
	v_cmp_ne_u32_e32 vcc_lo, 1, v5
	v_dual_lshlrev_b32 v7, 16, v31 :: v_dual_lshlrev_b32 v33, 16, v32
	v_and_b32_e32 v31, 0xffff0000, v31
	v_and_b32_e32 v32, 0xffff0000, v32
	s_cbranch_vccnz .LBB163_216
; %bb.105:
	s_delay_alu instid0(VALU_DEP_3) | instskip(NEXT) | instid1(VALU_DEP_2)
	v_cmp_neq_f32_e32 vcc_lo, v33, v7
	v_cmp_neq_f32_e64 s1, v32, v31
	s_or_b32 s6, vcc_lo, s1
	s_cbranch_execnz .LBB163_107
.LBB163_106:
	v_cmp_eq_f32_e32 vcc_lo, v33, v7
	s_delay_alu instid0(VALU_DEP_2) | instskip(SKIP_2) | instid1(SALU_CYCLE_1)
	v_cmp_eq_f32_e64 s1, v32, v31
	s_and_not1_b32 s6, s6, exec_lo
	s_and_b32 s1, vcc_lo, s1
	s_and_b32 s1, s1, exec_lo
	s_delay_alu instid0(SALU_CYCLE_1)
	s_or_b32 s6, s6, s1
.LBB163_107:
	s_delay_alu instid0(SALU_CYCLE_1)
	v_cndmask_b32_e64 v7, 0, 1, s6
.LBB163_108:
	s_or_b32 exec_lo, exec_lo, s3
	v_or_b32_e32 v31, 0x500, v0
	s_delay_alu instid0(VALU_DEP_1)
	v_cmp_gt_i32_e32 vcc_lo, s8, v31
                                        ; implicit-def: $vgpr31
	s_and_saveexec_b32 s3, vcc_lo
	s_cbranch_execz .LBB163_113
; %bb.109:
	v_cmp_ne_u32_e32 vcc_lo, 1, v5
	v_dual_lshlrev_b32 v31, 16, v29 :: v_dual_lshlrev_b32 v32, 16, v30
	v_and_b32_e32 v29, 0xffff0000, v29
	v_and_b32_e32 v30, 0xffff0000, v30
	s_cbranch_vccnz .LBB163_217
; %bb.110:
	s_delay_alu instid0(VALU_DEP_3) | instskip(NEXT) | instid1(VALU_DEP_2)
	v_cmp_neq_f32_e32 vcc_lo, v32, v31
	v_cmp_neq_f32_e64 s1, v30, v29
	s_or_b32 s6, vcc_lo, s1
	s_cbranch_execnz .LBB163_112
.LBB163_111:
	v_cmp_eq_f32_e32 vcc_lo, v32, v31
	s_delay_alu instid0(VALU_DEP_2) | instskip(SKIP_2) | instid1(SALU_CYCLE_1)
	v_cmp_eq_f32_e64 s1, v30, v29
	s_and_not1_b32 s6, s6, exec_lo
	s_and_b32 s1, vcc_lo, s1
	s_and_b32 s1, s1, exec_lo
	s_delay_alu instid0(SALU_CYCLE_1)
	s_or_b32 s6, s6, s1
.LBB163_112:
	s_delay_alu instid0(SALU_CYCLE_1)
	v_cndmask_b32_e64 v31, 0, 1, s6
.LBB163_113:
	s_or_b32 exec_lo, exec_lo, s3
	v_or_b32_e32 v29, 0x600, v0
	s_delay_alu instid0(VALU_DEP_1)
	v_cmp_gt_i32_e32 vcc_lo, s8, v29
                                        ; implicit-def: $vgpr29
	s_and_saveexec_b32 s3, vcc_lo
	s_cbranch_execz .LBB163_118
; %bb.114:
	v_cmp_ne_u32_e32 vcc_lo, 1, v5
	v_dual_lshlrev_b32 v29, 16, v27 :: v_dual_lshlrev_b32 v30, 16, v28
	v_and_b32_e32 v27, 0xffff0000, v27
	v_and_b32_e32 v28, 0xffff0000, v28
	s_cbranch_vccnz .LBB163_218
; %bb.115:
	s_delay_alu instid0(VALU_DEP_3) | instskip(NEXT) | instid1(VALU_DEP_2)
	v_cmp_neq_f32_e32 vcc_lo, v30, v29
	v_cmp_neq_f32_e64 s1, v28, v27
	s_or_b32 s6, vcc_lo, s1
	s_cbranch_execnz .LBB163_117
.LBB163_116:
	v_cmp_eq_f32_e32 vcc_lo, v30, v29
	s_delay_alu instid0(VALU_DEP_2) | instskip(SKIP_2) | instid1(SALU_CYCLE_1)
	v_cmp_eq_f32_e64 s1, v28, v27
	s_and_not1_b32 s6, s6, exec_lo
	s_and_b32 s1, vcc_lo, s1
	s_and_b32 s1, s1, exec_lo
	s_delay_alu instid0(SALU_CYCLE_1)
	s_or_b32 s6, s6, s1
.LBB163_117:
	s_delay_alu instid0(SALU_CYCLE_1)
	v_cndmask_b32_e64 v29, 0, 1, s6
.LBB163_118:
	s_or_b32 exec_lo, exec_lo, s3
	v_or_b32_e32 v27, 0x700, v0
	s_delay_alu instid0(VALU_DEP_1)
	v_cmp_gt_i32_e32 vcc_lo, s8, v27
                                        ; implicit-def: $vgpr27
	s_and_saveexec_b32 s3, vcc_lo
	s_cbranch_execz .LBB163_123
; %bb.119:
	v_cmp_ne_u32_e32 vcc_lo, 1, v5
	v_dual_lshlrev_b32 v27, 16, v25 :: v_dual_lshlrev_b32 v28, 16, v26
	v_and_b32_e32 v25, 0xffff0000, v25
	v_and_b32_e32 v26, 0xffff0000, v26
	s_cbranch_vccnz .LBB163_219
; %bb.120:
	s_delay_alu instid0(VALU_DEP_3) | instskip(NEXT) | instid1(VALU_DEP_2)
	v_cmp_neq_f32_e32 vcc_lo, v28, v27
	v_cmp_neq_f32_e64 s1, v26, v25
	s_or_b32 s6, vcc_lo, s1
	s_cbranch_execnz .LBB163_122
.LBB163_121:
	v_cmp_eq_f32_e32 vcc_lo, v28, v27
	s_delay_alu instid0(VALU_DEP_2) | instskip(SKIP_2) | instid1(SALU_CYCLE_1)
	v_cmp_eq_f32_e64 s1, v26, v25
	s_and_not1_b32 s6, s6, exec_lo
	s_and_b32 s1, vcc_lo, s1
	s_and_b32 s1, s1, exec_lo
	s_delay_alu instid0(SALU_CYCLE_1)
	s_or_b32 s6, s6, s1
.LBB163_122:
	s_delay_alu instid0(SALU_CYCLE_1)
	v_cndmask_b32_e64 v27, 0, 1, s6
.LBB163_123:
	s_or_b32 exec_lo, exec_lo, s3
	v_or_b32_e32 v25, 0x800, v0
	s_delay_alu instid0(VALU_DEP_1)
	v_cmp_gt_i32_e32 vcc_lo, s8, v25
                                        ; implicit-def: $vgpr25
	s_and_saveexec_b32 s3, vcc_lo
	s_cbranch_execz .LBB163_128
; %bb.124:
	v_cmp_ne_u32_e32 vcc_lo, 1, v5
	v_dual_lshlrev_b32 v25, 16, v23 :: v_dual_lshlrev_b32 v26, 16, v24
	v_and_b32_e32 v23, 0xffff0000, v23
	v_and_b32_e32 v24, 0xffff0000, v24
	s_cbranch_vccnz .LBB163_220
; %bb.125:
	s_delay_alu instid0(VALU_DEP_3) | instskip(NEXT) | instid1(VALU_DEP_2)
	v_cmp_neq_f32_e32 vcc_lo, v26, v25
	v_cmp_neq_f32_e64 s1, v24, v23
	s_or_b32 s6, vcc_lo, s1
	s_cbranch_execnz .LBB163_127
.LBB163_126:
	v_cmp_eq_f32_e32 vcc_lo, v26, v25
	s_delay_alu instid0(VALU_DEP_2) | instskip(SKIP_2) | instid1(SALU_CYCLE_1)
	v_cmp_eq_f32_e64 s1, v24, v23
	s_and_not1_b32 s6, s6, exec_lo
	s_and_b32 s1, vcc_lo, s1
	s_and_b32 s1, s1, exec_lo
	s_delay_alu instid0(SALU_CYCLE_1)
	s_or_b32 s6, s6, s1
.LBB163_127:
	s_delay_alu instid0(SALU_CYCLE_1)
	v_cndmask_b32_e64 v25, 0, 1, s6
.LBB163_128:
	s_or_b32 exec_lo, exec_lo, s3
	v_or_b32_e32 v23, 0x900, v0
	s_delay_alu instid0(VALU_DEP_1)
	v_cmp_gt_i32_e32 vcc_lo, s8, v23
                                        ; implicit-def: $vgpr23
	s_and_saveexec_b32 s3, vcc_lo
	s_cbranch_execz .LBB163_133
; %bb.129:
	v_cmp_ne_u32_e32 vcc_lo, 1, v5
	v_dual_lshlrev_b32 v23, 16, v21 :: v_dual_lshlrev_b32 v24, 16, v22
	v_and_b32_e32 v21, 0xffff0000, v21
	v_and_b32_e32 v22, 0xffff0000, v22
	s_cbranch_vccnz .LBB163_221
; %bb.130:
	s_delay_alu instid0(VALU_DEP_3) | instskip(NEXT) | instid1(VALU_DEP_2)
	v_cmp_neq_f32_e32 vcc_lo, v24, v23
	v_cmp_neq_f32_e64 s1, v22, v21
	s_or_b32 s6, vcc_lo, s1
	s_cbranch_execnz .LBB163_132
.LBB163_131:
	v_cmp_eq_f32_e32 vcc_lo, v24, v23
	s_delay_alu instid0(VALU_DEP_2) | instskip(SKIP_2) | instid1(SALU_CYCLE_1)
	v_cmp_eq_f32_e64 s1, v22, v21
	s_and_not1_b32 s6, s6, exec_lo
	s_and_b32 s1, vcc_lo, s1
	s_and_b32 s1, s1, exec_lo
	s_delay_alu instid0(SALU_CYCLE_1)
	s_or_b32 s6, s6, s1
.LBB163_132:
	s_delay_alu instid0(SALU_CYCLE_1)
	v_cndmask_b32_e64 v23, 0, 1, s6
.LBB163_133:
	s_or_b32 exec_lo, exec_lo, s3
	v_or_b32_e32 v21, 0xa00, v0
	s_delay_alu instid0(VALU_DEP_1)
	v_cmp_gt_i32_e32 vcc_lo, s8, v21
                                        ; implicit-def: $vgpr21
	s_and_saveexec_b32 s3, vcc_lo
	s_cbranch_execz .LBB163_138
; %bb.134:
	v_cmp_ne_u32_e32 vcc_lo, 1, v5
	v_dual_lshlrev_b32 v21, 16, v19 :: v_dual_lshlrev_b32 v22, 16, v20
	v_and_b32_e32 v19, 0xffff0000, v19
	v_and_b32_e32 v20, 0xffff0000, v20
	s_cbranch_vccnz .LBB163_222
; %bb.135:
	s_delay_alu instid0(VALU_DEP_3) | instskip(NEXT) | instid1(VALU_DEP_2)
	v_cmp_neq_f32_e32 vcc_lo, v22, v21
	v_cmp_neq_f32_e64 s1, v20, v19
	s_or_b32 s6, vcc_lo, s1
	s_cbranch_execnz .LBB163_137
.LBB163_136:
	v_cmp_eq_f32_e32 vcc_lo, v22, v21
	s_delay_alu instid0(VALU_DEP_2) | instskip(SKIP_2) | instid1(SALU_CYCLE_1)
	v_cmp_eq_f32_e64 s1, v20, v19
	s_and_not1_b32 s6, s6, exec_lo
	s_and_b32 s1, vcc_lo, s1
	s_and_b32 s1, s1, exec_lo
	s_delay_alu instid0(SALU_CYCLE_1)
	s_or_b32 s6, s6, s1
.LBB163_137:
	s_delay_alu instid0(SALU_CYCLE_1)
	v_cndmask_b32_e64 v21, 0, 1, s6
.LBB163_138:
	s_or_b32 exec_lo, exec_lo, s3
	v_or_b32_e32 v19, 0xb00, v0
	s_delay_alu instid0(VALU_DEP_1)
	v_cmp_gt_i32_e32 vcc_lo, s8, v19
                                        ; implicit-def: $vgpr19
	s_and_saveexec_b32 s3, vcc_lo
	s_cbranch_execz .LBB163_143
; %bb.139:
	v_cmp_ne_u32_e32 vcc_lo, 1, v5
	v_dual_lshlrev_b32 v19, 16, v17 :: v_dual_lshlrev_b32 v20, 16, v18
	v_and_b32_e32 v17, 0xffff0000, v17
	v_and_b32_e32 v18, 0xffff0000, v18
	s_cbranch_vccnz .LBB163_223
; %bb.140:
	s_delay_alu instid0(VALU_DEP_3) | instskip(NEXT) | instid1(VALU_DEP_2)
	v_cmp_neq_f32_e32 vcc_lo, v20, v19
	v_cmp_neq_f32_e64 s1, v18, v17
	s_or_b32 s6, vcc_lo, s1
	s_cbranch_execnz .LBB163_142
.LBB163_141:
	v_cmp_eq_f32_e32 vcc_lo, v20, v19
	s_delay_alu instid0(VALU_DEP_2) | instskip(SKIP_2) | instid1(SALU_CYCLE_1)
	v_cmp_eq_f32_e64 s1, v18, v17
	s_and_not1_b32 s6, s6, exec_lo
	s_and_b32 s1, vcc_lo, s1
	s_and_b32 s1, s1, exec_lo
	s_delay_alu instid0(SALU_CYCLE_1)
	s_or_b32 s6, s6, s1
.LBB163_142:
	s_delay_alu instid0(SALU_CYCLE_1)
	v_cndmask_b32_e64 v19, 0, 1, s6
.LBB163_143:
	s_or_b32 exec_lo, exec_lo, s3
	v_or_b32_e32 v17, 0xc00, v0
	s_delay_alu instid0(VALU_DEP_1)
	v_cmp_gt_i32_e32 vcc_lo, s8, v17
                                        ; implicit-def: $vgpr17
	s_and_saveexec_b32 s3, vcc_lo
	s_cbranch_execz .LBB163_148
; %bb.144:
	v_cmp_ne_u32_e32 vcc_lo, 1, v5
	v_dual_lshlrev_b32 v17, 16, v15 :: v_dual_lshlrev_b32 v18, 16, v16
	v_and_b32_e32 v15, 0xffff0000, v15
	v_and_b32_e32 v16, 0xffff0000, v16
	s_cbranch_vccnz .LBB163_224
; %bb.145:
	s_delay_alu instid0(VALU_DEP_3) | instskip(NEXT) | instid1(VALU_DEP_2)
	v_cmp_neq_f32_e32 vcc_lo, v18, v17
	v_cmp_neq_f32_e64 s1, v16, v15
	s_or_b32 s6, vcc_lo, s1
	s_cbranch_execnz .LBB163_147
.LBB163_146:
	v_cmp_eq_f32_e32 vcc_lo, v18, v17
	s_delay_alu instid0(VALU_DEP_2) | instskip(SKIP_2) | instid1(SALU_CYCLE_1)
	v_cmp_eq_f32_e64 s1, v16, v15
	s_and_not1_b32 s6, s6, exec_lo
	s_and_b32 s1, vcc_lo, s1
	s_and_b32 s1, s1, exec_lo
	s_delay_alu instid0(SALU_CYCLE_1)
	s_or_b32 s6, s6, s1
.LBB163_147:
	s_delay_alu instid0(SALU_CYCLE_1)
	v_cndmask_b32_e64 v17, 0, 1, s6
.LBB163_148:
	s_or_b32 exec_lo, exec_lo, s3
	v_or_b32_e32 v15, 0xd00, v0
	s_delay_alu instid0(VALU_DEP_1)
	v_cmp_gt_i32_e32 vcc_lo, s8, v15
                                        ; implicit-def: $vgpr15
	s_and_saveexec_b32 s3, vcc_lo
	s_cbranch_execz .LBB163_153
; %bb.149:
	v_cmp_ne_u32_e32 vcc_lo, 1, v5
	v_dual_lshlrev_b32 v15, 16, v13 :: v_dual_lshlrev_b32 v16, 16, v14
	v_and_b32_e32 v13, 0xffff0000, v13
	v_and_b32_e32 v14, 0xffff0000, v14
	s_cbranch_vccnz .LBB163_225
; %bb.150:
	s_delay_alu instid0(VALU_DEP_3) | instskip(NEXT) | instid1(VALU_DEP_2)
	v_cmp_neq_f32_e32 vcc_lo, v16, v15
	v_cmp_neq_f32_e64 s1, v14, v13
	s_or_b32 s6, vcc_lo, s1
	s_cbranch_execnz .LBB163_152
.LBB163_151:
	v_cmp_eq_f32_e32 vcc_lo, v16, v15
	s_delay_alu instid0(VALU_DEP_2) | instskip(SKIP_2) | instid1(SALU_CYCLE_1)
	v_cmp_eq_f32_e64 s1, v14, v13
	s_and_not1_b32 s6, s6, exec_lo
	s_and_b32 s1, vcc_lo, s1
	s_and_b32 s1, s1, exec_lo
	s_delay_alu instid0(SALU_CYCLE_1)
	s_or_b32 s6, s6, s1
.LBB163_152:
	s_delay_alu instid0(SALU_CYCLE_1)
	v_cndmask_b32_e64 v15, 0, 1, s6
.LBB163_153:
	s_or_b32 exec_lo, exec_lo, s3
	v_or_b32_e32 v13, 0xe00, v0
	s_delay_alu instid0(VALU_DEP_1)
	v_cmp_gt_i32_e32 vcc_lo, s8, v13
                                        ; implicit-def: $vgpr13
	s_and_saveexec_b32 s3, vcc_lo
	s_cbranch_execz .LBB163_158
; %bb.154:
	v_cmp_ne_u32_e32 vcc_lo, 1, v5
	v_dual_lshlrev_b32 v13, 16, v11 :: v_dual_lshlrev_b32 v14, 16, v12
	v_and_b32_e32 v11, 0xffff0000, v11
	v_and_b32_e32 v12, 0xffff0000, v12
	s_cbranch_vccnz .LBB163_226
; %bb.155:
	s_delay_alu instid0(VALU_DEP_3) | instskip(NEXT) | instid1(VALU_DEP_2)
	v_cmp_neq_f32_e32 vcc_lo, v14, v13
	v_cmp_neq_f32_e64 s1, v12, v11
	s_or_b32 s6, vcc_lo, s1
	s_cbranch_execnz .LBB163_157
.LBB163_156:
	v_cmp_eq_f32_e32 vcc_lo, v14, v13
	s_delay_alu instid0(VALU_DEP_2) | instskip(SKIP_2) | instid1(SALU_CYCLE_1)
	v_cmp_eq_f32_e64 s1, v12, v11
	s_and_not1_b32 s6, s6, exec_lo
	s_and_b32 s1, vcc_lo, s1
	s_and_b32 s1, s1, exec_lo
	s_delay_alu instid0(SALU_CYCLE_1)
	s_or_b32 s6, s6, s1
.LBB163_157:
	s_delay_alu instid0(SALU_CYCLE_1)
	v_cndmask_b32_e64 v13, 0, 1, s6
.LBB163_158:
	s_or_b32 exec_lo, exec_lo, s3
	v_or_b32_e32 v11, 0xf00, v0
	s_delay_alu instid0(VALU_DEP_1)
	v_cmp_gt_i32_e32 vcc_lo, s8, v11
                                        ; implicit-def: $vgpr11
	s_and_saveexec_b32 s3, vcc_lo
	s_cbranch_execz .LBB163_163
; %bb.159:
	v_cmp_ne_u32_e32 vcc_lo, 1, v5
	v_dual_lshlrev_b32 v5, 16, v9 :: v_dual_lshlrev_b32 v11, 16, v10
	v_and_b32_e32 v9, 0xffff0000, v9
	v_and_b32_e32 v10, 0xffff0000, v10
	s_cbranch_vccnz .LBB163_227
; %bb.160:
	s_delay_alu instid0(VALU_DEP_3) | instskip(NEXT) | instid1(VALU_DEP_2)
	v_cmp_neq_f32_e32 vcc_lo, v11, v5
	v_cmp_neq_f32_e64 s1, v10, v9
	s_or_b32 s6, vcc_lo, s1
	s_cbranch_execnz .LBB163_162
.LBB163_161:
	v_cmp_eq_f32_e32 vcc_lo, v11, v5
	s_delay_alu instid0(VALU_DEP_2) | instskip(SKIP_2) | instid1(SALU_CYCLE_1)
	v_cmp_eq_f32_e64 s1, v10, v9
	s_and_not1_b32 s6, s6, exec_lo
	s_and_b32 s1, vcc_lo, s1
	s_and_b32 s1, s1, exec_lo
	s_delay_alu instid0(SALU_CYCLE_1)
	s_or_b32 s6, s6, s1
.LBB163_162:
	s_delay_alu instid0(SALU_CYCLE_1)
	v_cndmask_b32_e64 v11, 0, 1, s6
.LBB163_163:
	s_or_b32 exec_lo, exec_lo, s3
	s_and_saveexec_b32 s1, s0
	s_delay_alu instid0(SALU_CYCLE_1)
	s_xor_b32 s0, exec_lo, s1
	s_cbranch_execz .LBB163_165
; %bb.164:
	v_mov_b32_e32 v0, v8
	global_store_b8 v1, v2, s[4:5]
.LBB163_165:
	s_wait_xcnt 0x0
	s_or_b32 exec_lo, exec_lo, s0
	s_delay_alu instid0(SALU_CYCLE_1)
	s_mov_b32 s0, exec_lo
	v_cmpx_gt_i32_e64 s8, v0
	s_cbranch_execnz .LBB163_181
; %bb.166:
	s_or_b32 exec_lo, exec_lo, s0
	s_delay_alu instid0(SALU_CYCLE_1)
	s_mov_b32 s0, exec_lo
	v_cmpx_gt_i32_e64 s8, v0
	s_cbranch_execnz .LBB163_182
.LBB163_167:
	s_or_b32 exec_lo, exec_lo, s0
	s_delay_alu instid0(SALU_CYCLE_1)
	s_mov_b32 s0, exec_lo
	v_cmpx_gt_i32_e64 s8, v0
	s_cbranch_execnz .LBB163_183
.LBB163_168:
	s_or_b32 exec_lo, exec_lo, s0
	s_delay_alu instid0(SALU_CYCLE_1)
	s_mov_b32 s0, exec_lo
	v_cmpx_gt_i32_e64 s8, v0
	s_cbranch_execnz .LBB163_184
.LBB163_169:
	s_or_b32 exec_lo, exec_lo, s0
	s_delay_alu instid0(SALU_CYCLE_1)
	s_mov_b32 s0, exec_lo
	v_cmpx_gt_i32_e64 s8, v0
	s_cbranch_execnz .LBB163_185
.LBB163_170:
	s_or_b32 exec_lo, exec_lo, s0
	s_delay_alu instid0(SALU_CYCLE_1)
	s_mov_b32 s0, exec_lo
	v_cmpx_gt_i32_e64 s8, v0
	s_cbranch_execnz .LBB163_186
.LBB163_171:
	s_or_b32 exec_lo, exec_lo, s0
	s_delay_alu instid0(SALU_CYCLE_1)
	s_mov_b32 s0, exec_lo
	v_cmpx_gt_i32_e64 s8, v0
	s_cbranch_execnz .LBB163_187
.LBB163_172:
	s_or_b32 exec_lo, exec_lo, s0
	s_delay_alu instid0(SALU_CYCLE_1)
	s_mov_b32 s0, exec_lo
	v_cmpx_gt_i32_e64 s8, v0
	s_cbranch_execnz .LBB163_188
.LBB163_173:
	s_or_b32 exec_lo, exec_lo, s0
	s_delay_alu instid0(SALU_CYCLE_1)
	s_mov_b32 s0, exec_lo
	v_cmpx_gt_i32_e64 s8, v0
	s_cbranch_execnz .LBB163_189
.LBB163_174:
	s_or_b32 exec_lo, exec_lo, s0
	s_delay_alu instid0(SALU_CYCLE_1)
	s_mov_b32 s0, exec_lo
	v_cmpx_gt_i32_e64 s8, v0
	s_cbranch_execnz .LBB163_190
.LBB163_175:
	s_or_b32 exec_lo, exec_lo, s0
	s_delay_alu instid0(SALU_CYCLE_1)
	s_mov_b32 s0, exec_lo
	v_cmpx_gt_i32_e64 s8, v0
	s_cbranch_execnz .LBB163_191
.LBB163_176:
	s_or_b32 exec_lo, exec_lo, s0
	s_delay_alu instid0(SALU_CYCLE_1)
	s_mov_b32 s0, exec_lo
	v_cmpx_gt_i32_e64 s8, v0
	s_cbranch_execnz .LBB163_192
.LBB163_177:
	s_or_b32 exec_lo, exec_lo, s0
	s_delay_alu instid0(SALU_CYCLE_1)
	s_mov_b32 s0, exec_lo
	v_cmpx_gt_i32_e64 s8, v0
	s_cbranch_execnz .LBB163_193
.LBB163_178:
	s_or_b32 exec_lo, exec_lo, s0
	s_delay_alu instid0(SALU_CYCLE_1)
	s_mov_b32 s0, exec_lo
	v_cmpx_gt_i32_e64 s8, v0
	s_cbranch_execnz .LBB163_194
.LBB163_179:
	s_or_b32 exec_lo, exec_lo, s0
	s_delay_alu instid0(SALU_CYCLE_1)
	s_mov_b32 s0, exec_lo
	v_cmpx_gt_i32_e64 s8, v0
	s_cbranch_execz .LBB163_195
.LBB163_180:
	v_add_nc_u32_e32 v0, s2, v0
	global_store_b8 v0, v11, s[4:5]
	s_endpgm
.LBB163_181:
	v_add_nc_u32_e32 v1, s2, v0
	v_add_nc_u32_e32 v0, 0x100, v0
	global_store_b8 v1, v4, s[4:5]
	s_wait_xcnt 0x0
	s_or_b32 exec_lo, exec_lo, s0
	s_delay_alu instid0(SALU_CYCLE_1)
	s_mov_b32 s0, exec_lo
	v_cmpx_gt_i32_e64 s8, v0
	s_cbranch_execz .LBB163_167
.LBB163_182:
	v_add_nc_u32_e32 v1, s2, v0
	v_add_nc_u32_e32 v0, 0x100, v0
	global_store_b8 v1, v6, s[4:5]
	s_wait_xcnt 0x0
	s_or_b32 exec_lo, exec_lo, s0
	s_delay_alu instid0(SALU_CYCLE_1)
	s_mov_b32 s0, exec_lo
	v_cmpx_gt_i32_e64 s8, v0
	s_cbranch_execz .LBB163_168
.LBB163_183:
	v_add_nc_u32_e32 v1, s2, v0
	v_add_nc_u32_e32 v0, 0x100, v0
	global_store_b8 v1, v3, s[4:5]
	s_wait_xcnt 0x0
	s_or_b32 exec_lo, exec_lo, s0
	s_delay_alu instid0(SALU_CYCLE_1)
	s_mov_b32 s0, exec_lo
	v_cmpx_gt_i32_e64 s8, v0
	s_cbranch_execz .LBB163_169
.LBB163_184:
	v_add_nc_u32_e32 v1, s2, v0
	v_add_nc_u32_e32 v0, 0x100, v0
	global_store_b8 v1, v7, s[4:5]
	s_wait_xcnt 0x0
	s_or_b32 exec_lo, exec_lo, s0
	s_delay_alu instid0(SALU_CYCLE_1)
	s_mov_b32 s0, exec_lo
	v_cmpx_gt_i32_e64 s8, v0
	s_cbranch_execz .LBB163_170
.LBB163_185:
	v_add_nc_u32_e32 v1, s2, v0
	v_add_nc_u32_e32 v0, 0x100, v0
	global_store_b8 v1, v31, s[4:5]
	s_wait_xcnt 0x0
	s_or_b32 exec_lo, exec_lo, s0
	s_delay_alu instid0(SALU_CYCLE_1)
	s_mov_b32 s0, exec_lo
	v_cmpx_gt_i32_e64 s8, v0
	s_cbranch_execz .LBB163_171
.LBB163_186:
	v_add_nc_u32_e32 v1, s2, v0
	v_add_nc_u32_e32 v0, 0x100, v0
	global_store_b8 v1, v29, s[4:5]
	s_wait_xcnt 0x0
	s_or_b32 exec_lo, exec_lo, s0
	s_delay_alu instid0(SALU_CYCLE_1)
	s_mov_b32 s0, exec_lo
	v_cmpx_gt_i32_e64 s8, v0
	s_cbranch_execz .LBB163_172
.LBB163_187:
	v_add_nc_u32_e32 v1, s2, v0
	v_add_nc_u32_e32 v0, 0x100, v0
	global_store_b8 v1, v27, s[4:5]
	s_wait_xcnt 0x0
	s_or_b32 exec_lo, exec_lo, s0
	s_delay_alu instid0(SALU_CYCLE_1)
	s_mov_b32 s0, exec_lo
	v_cmpx_gt_i32_e64 s8, v0
	s_cbranch_execz .LBB163_173
.LBB163_188:
	v_add_nc_u32_e32 v1, s2, v0
	v_add_nc_u32_e32 v0, 0x100, v0
	global_store_b8 v1, v25, s[4:5]
	s_wait_xcnt 0x0
	s_or_b32 exec_lo, exec_lo, s0
	s_delay_alu instid0(SALU_CYCLE_1)
	s_mov_b32 s0, exec_lo
	v_cmpx_gt_i32_e64 s8, v0
	s_cbranch_execz .LBB163_174
.LBB163_189:
	v_add_nc_u32_e32 v1, s2, v0
	v_add_nc_u32_e32 v0, 0x100, v0
	global_store_b8 v1, v23, s[4:5]
	s_wait_xcnt 0x0
	s_or_b32 exec_lo, exec_lo, s0
	s_delay_alu instid0(SALU_CYCLE_1)
	s_mov_b32 s0, exec_lo
	v_cmpx_gt_i32_e64 s8, v0
	s_cbranch_execz .LBB163_175
.LBB163_190:
	v_add_nc_u32_e32 v1, s2, v0
	v_add_nc_u32_e32 v0, 0x100, v0
	global_store_b8 v1, v21, s[4:5]
	s_wait_xcnt 0x0
	s_or_b32 exec_lo, exec_lo, s0
	s_delay_alu instid0(SALU_CYCLE_1)
	s_mov_b32 s0, exec_lo
	v_cmpx_gt_i32_e64 s8, v0
	s_cbranch_execz .LBB163_176
.LBB163_191:
	v_add_nc_u32_e32 v1, s2, v0
	v_add_nc_u32_e32 v0, 0x100, v0
	global_store_b8 v1, v19, s[4:5]
	s_wait_xcnt 0x0
	s_or_b32 exec_lo, exec_lo, s0
	s_delay_alu instid0(SALU_CYCLE_1)
	s_mov_b32 s0, exec_lo
	v_cmpx_gt_i32_e64 s8, v0
	s_cbranch_execz .LBB163_177
.LBB163_192:
	v_add_nc_u32_e32 v1, s2, v0
	v_add_nc_u32_e32 v0, 0x100, v0
	global_store_b8 v1, v17, s[4:5]
	s_wait_xcnt 0x0
	s_or_b32 exec_lo, exec_lo, s0
	s_delay_alu instid0(SALU_CYCLE_1)
	s_mov_b32 s0, exec_lo
	v_cmpx_gt_i32_e64 s8, v0
	s_cbranch_execz .LBB163_178
.LBB163_193:
	v_add_nc_u32_e32 v1, s2, v0
	v_add_nc_u32_e32 v0, 0x100, v0
	global_store_b8 v1, v15, s[4:5]
	s_wait_xcnt 0x0
	s_or_b32 exec_lo, exec_lo, s0
	s_delay_alu instid0(SALU_CYCLE_1)
	s_mov_b32 s0, exec_lo
	v_cmpx_gt_i32_e64 s8, v0
	s_cbranch_execz .LBB163_179
.LBB163_194:
	v_add_nc_u32_e32 v1, s2, v0
	v_add_nc_u32_e32 v0, 0x100, v0
	global_store_b8 v1, v13, s[4:5]
	s_wait_xcnt 0x0
	s_or_b32 exec_lo, exec_lo, s0
	s_delay_alu instid0(SALU_CYCLE_1)
	s_mov_b32 s0, exec_lo
	v_cmpx_gt_i32_e64 s8, v0
	s_cbranch_execnz .LBB163_180
.LBB163_195:
	s_endpgm
.LBB163_196:
	s_wait_xcnt 0x0
                                        ; implicit-def: $sgpr1
	s_branch .LBB163_3
.LBB163_197:
                                        ; implicit-def: $sgpr12
	s_branch .LBB163_6
.LBB163_198:
                                        ; implicit-def: $sgpr13
	s_branch .LBB163_9
.LBB163_199:
                                        ; implicit-def: $sgpr14
	s_branch .LBB163_12
.LBB163_200:
                                        ; implicit-def: $sgpr15
	s_branch .LBB163_15
.LBB163_201:
                                        ; implicit-def: $sgpr16
	s_branch .LBB163_18
.LBB163_202:
                                        ; implicit-def: $sgpr17
	s_branch .LBB163_21
.LBB163_203:
                                        ; implicit-def: $sgpr18
	s_branch .LBB163_24
.LBB163_204:
                                        ; implicit-def: $sgpr19
	s_branch .LBB163_27
.LBB163_205:
                                        ; implicit-def: $sgpr20
	s_branch .LBB163_30
.LBB163_206:
                                        ; implicit-def: $sgpr21
	s_branch .LBB163_33
.LBB163_207:
                                        ; implicit-def: $sgpr22
	s_branch .LBB163_36
.LBB163_208:
                                        ; implicit-def: $sgpr23
	s_branch .LBB163_39
.LBB163_209:
                                        ; implicit-def: $sgpr24
	s_branch .LBB163_42
.LBB163_210:
                                        ; implicit-def: $sgpr25
	s_branch .LBB163_45
.LBB163_211:
                                        ; implicit-def: $sgpr26
	s_branch .LBB163_48
.LBB163_212:
                                        ; implicit-def: $sgpr7
	s_branch .LBB163_86
.LBB163_213:
                                        ; implicit-def: $sgpr3
	s_branch .LBB163_91
.LBB163_214:
                                        ; implicit-def: $sgpr6
	s_branch .LBB163_96
.LBB163_215:
                                        ; implicit-def: $sgpr6
	s_branch .LBB163_101
.LBB163_216:
                                        ; implicit-def: $sgpr6
	s_branch .LBB163_106
.LBB163_217:
                                        ; implicit-def: $sgpr6
	s_branch .LBB163_111
.LBB163_218:
                                        ; implicit-def: $sgpr6
	s_branch .LBB163_116
.LBB163_219:
                                        ; implicit-def: $sgpr6
	s_branch .LBB163_121
.LBB163_220:
                                        ; implicit-def: $sgpr6
	s_branch .LBB163_126
.LBB163_221:
                                        ; implicit-def: $sgpr6
	s_branch .LBB163_131
.LBB163_222:
                                        ; implicit-def: $sgpr6
	s_branch .LBB163_136
.LBB163_223:
                                        ; implicit-def: $sgpr6
	s_branch .LBB163_141
.LBB163_224:
                                        ; implicit-def: $sgpr6
	s_branch .LBB163_146
.LBB163_225:
                                        ; implicit-def: $sgpr6
	s_branch .LBB163_151
.LBB163_226:
                                        ; implicit-def: $sgpr6
	s_branch .LBB163_156
.LBB163_227:
                                        ; implicit-def: $sgpr6
	s_branch .LBB163_161
	.section	.rodata,"a",@progbits
	.p2align	6, 0x0
	.amdhsa_kernel _ZN2at6native29vectorized_elementwise_kernelILi2ENS0_13BinaryFunctorIN3c107complexINS3_8BFloat16EEES6_bNS0_12_GLOBAL__N_116CompareEqFunctorIS6_EEEESt5arrayIPcLm3EEEEviT0_T1_
		.amdhsa_group_segment_fixed_size 0
		.amdhsa_private_segment_fixed_size 0
		.amdhsa_kernarg_size 32
		.amdhsa_user_sgpr_count 2
		.amdhsa_user_sgpr_dispatch_ptr 0
		.amdhsa_user_sgpr_queue_ptr 0
		.amdhsa_user_sgpr_kernarg_segment_ptr 1
		.amdhsa_user_sgpr_dispatch_id 0
		.amdhsa_user_sgpr_kernarg_preload_length 0
		.amdhsa_user_sgpr_kernarg_preload_offset 0
		.amdhsa_user_sgpr_private_segment_size 0
		.amdhsa_wavefront_size32 1
		.amdhsa_uses_dynamic_stack 0
		.amdhsa_enable_private_segment 0
		.amdhsa_system_sgpr_workgroup_id_x 1
		.amdhsa_system_sgpr_workgroup_id_y 0
		.amdhsa_system_sgpr_workgroup_id_z 0
		.amdhsa_system_sgpr_workgroup_info 0
		.amdhsa_system_vgpr_workitem_id 0
		.amdhsa_next_free_vgpr 39
		.amdhsa_next_free_sgpr 27
		.amdhsa_named_barrier_count 0
		.amdhsa_reserve_vcc 1
		.amdhsa_float_round_mode_32 0
		.amdhsa_float_round_mode_16_64 0
		.amdhsa_float_denorm_mode_32 3
		.amdhsa_float_denorm_mode_16_64 3
		.amdhsa_fp16_overflow 0
		.amdhsa_memory_ordered 1
		.amdhsa_forward_progress 1
		.amdhsa_inst_pref_size 61
		.amdhsa_round_robin_scheduling 0
		.amdhsa_exception_fp_ieee_invalid_op 0
		.amdhsa_exception_fp_denorm_src 0
		.amdhsa_exception_fp_ieee_div_zero 0
		.amdhsa_exception_fp_ieee_overflow 0
		.amdhsa_exception_fp_ieee_underflow 0
		.amdhsa_exception_fp_ieee_inexact 0
		.amdhsa_exception_int_div_zero 0
	.end_amdhsa_kernel
	.section	.text._ZN2at6native29vectorized_elementwise_kernelILi2ENS0_13BinaryFunctorIN3c107complexINS3_8BFloat16EEES6_bNS0_12_GLOBAL__N_116CompareEqFunctorIS6_EEEESt5arrayIPcLm3EEEEviT0_T1_,"axG",@progbits,_ZN2at6native29vectorized_elementwise_kernelILi2ENS0_13BinaryFunctorIN3c107complexINS3_8BFloat16EEES6_bNS0_12_GLOBAL__N_116CompareEqFunctorIS6_EEEESt5arrayIPcLm3EEEEviT0_T1_,comdat
.Lfunc_end163:
	.size	_ZN2at6native29vectorized_elementwise_kernelILi2ENS0_13BinaryFunctorIN3c107complexINS3_8BFloat16EEES6_bNS0_12_GLOBAL__N_116CompareEqFunctorIS6_EEEESt5arrayIPcLm3EEEEviT0_T1_, .Lfunc_end163-_ZN2at6native29vectorized_elementwise_kernelILi2ENS0_13BinaryFunctorIN3c107complexINS3_8BFloat16EEES6_bNS0_12_GLOBAL__N_116CompareEqFunctorIS6_EEEESt5arrayIPcLm3EEEEviT0_T1_
                                        ; -- End function
	.set _ZN2at6native29vectorized_elementwise_kernelILi2ENS0_13BinaryFunctorIN3c107complexINS3_8BFloat16EEES6_bNS0_12_GLOBAL__N_116CompareEqFunctorIS6_EEEESt5arrayIPcLm3EEEEviT0_T1_.num_vgpr, 39
	.set _ZN2at6native29vectorized_elementwise_kernelILi2ENS0_13BinaryFunctorIN3c107complexINS3_8BFloat16EEES6_bNS0_12_GLOBAL__N_116CompareEqFunctorIS6_EEEESt5arrayIPcLm3EEEEviT0_T1_.num_agpr, 0
	.set _ZN2at6native29vectorized_elementwise_kernelILi2ENS0_13BinaryFunctorIN3c107complexINS3_8BFloat16EEES6_bNS0_12_GLOBAL__N_116CompareEqFunctorIS6_EEEESt5arrayIPcLm3EEEEviT0_T1_.numbered_sgpr, 27
	.set _ZN2at6native29vectorized_elementwise_kernelILi2ENS0_13BinaryFunctorIN3c107complexINS3_8BFloat16EEES6_bNS0_12_GLOBAL__N_116CompareEqFunctorIS6_EEEESt5arrayIPcLm3EEEEviT0_T1_.num_named_barrier, 0
	.set _ZN2at6native29vectorized_elementwise_kernelILi2ENS0_13BinaryFunctorIN3c107complexINS3_8BFloat16EEES6_bNS0_12_GLOBAL__N_116CompareEqFunctorIS6_EEEESt5arrayIPcLm3EEEEviT0_T1_.private_seg_size, 0
	.set _ZN2at6native29vectorized_elementwise_kernelILi2ENS0_13BinaryFunctorIN3c107complexINS3_8BFloat16EEES6_bNS0_12_GLOBAL__N_116CompareEqFunctorIS6_EEEESt5arrayIPcLm3EEEEviT0_T1_.uses_vcc, 1
	.set _ZN2at6native29vectorized_elementwise_kernelILi2ENS0_13BinaryFunctorIN3c107complexINS3_8BFloat16EEES6_bNS0_12_GLOBAL__N_116CompareEqFunctorIS6_EEEESt5arrayIPcLm3EEEEviT0_T1_.uses_flat_scratch, 0
	.set _ZN2at6native29vectorized_elementwise_kernelILi2ENS0_13BinaryFunctorIN3c107complexINS3_8BFloat16EEES6_bNS0_12_GLOBAL__N_116CompareEqFunctorIS6_EEEESt5arrayIPcLm3EEEEviT0_T1_.has_dyn_sized_stack, 0
	.set _ZN2at6native29vectorized_elementwise_kernelILi2ENS0_13BinaryFunctorIN3c107complexINS3_8BFloat16EEES6_bNS0_12_GLOBAL__N_116CompareEqFunctorIS6_EEEESt5arrayIPcLm3EEEEviT0_T1_.has_recursion, 0
	.set _ZN2at6native29vectorized_elementwise_kernelILi2ENS0_13BinaryFunctorIN3c107complexINS3_8BFloat16EEES6_bNS0_12_GLOBAL__N_116CompareEqFunctorIS6_EEEESt5arrayIPcLm3EEEEviT0_T1_.has_indirect_call, 0
	.section	.AMDGPU.csdata,"",@progbits
; Kernel info:
; codeLenInByte = 7776
; TotalNumSgprs: 29
; NumVgprs: 39
; ScratchSize: 0
; MemoryBound: 0
; FloatMode: 240
; IeeeMode: 1
; LDSByteSize: 0 bytes/workgroup (compile time only)
; SGPRBlocks: 0
; VGPRBlocks: 2
; NumSGPRsForWavesPerEU: 29
; NumVGPRsForWavesPerEU: 39
; NamedBarCnt: 0
; Occupancy: 16
; WaveLimiterHint : 1
; COMPUTE_PGM_RSRC2:SCRATCH_EN: 0
; COMPUTE_PGM_RSRC2:USER_SGPR: 2
; COMPUTE_PGM_RSRC2:TRAP_HANDLER: 0
; COMPUTE_PGM_RSRC2:TGID_X_EN: 1
; COMPUTE_PGM_RSRC2:TGID_Y_EN: 0
; COMPUTE_PGM_RSRC2:TGID_Z_EN: 0
; COMPUTE_PGM_RSRC2:TIDIG_COMP_CNT: 0
	.section	.text._ZN2at6native27unrolled_elementwise_kernelINS0_13BinaryFunctorIN3c107complexINS3_8BFloat16EEES6_bNS0_12_GLOBAL__N_116CompareEqFunctorIS6_EEEESt5arrayIPcLm3EELi4E23TrivialOffsetCalculatorILi2EjESE_ILi1EjENS0_6memory15LoadWithoutCastENSH_16StoreWithoutCastEEEviT_T0_T2_T3_T4_T5_,"axG",@progbits,_ZN2at6native27unrolled_elementwise_kernelINS0_13BinaryFunctorIN3c107complexINS3_8BFloat16EEES6_bNS0_12_GLOBAL__N_116CompareEqFunctorIS6_EEEESt5arrayIPcLm3EELi4E23TrivialOffsetCalculatorILi2EjESE_ILi1EjENS0_6memory15LoadWithoutCastENSH_16StoreWithoutCastEEEviT_T0_T2_T3_T4_T5_,comdat
	.globl	_ZN2at6native27unrolled_elementwise_kernelINS0_13BinaryFunctorIN3c107complexINS3_8BFloat16EEES6_bNS0_12_GLOBAL__N_116CompareEqFunctorIS6_EEEESt5arrayIPcLm3EELi4E23TrivialOffsetCalculatorILi2EjESE_ILi1EjENS0_6memory15LoadWithoutCastENSH_16StoreWithoutCastEEEviT_T0_T2_T3_T4_T5_ ; -- Begin function _ZN2at6native27unrolled_elementwise_kernelINS0_13BinaryFunctorIN3c107complexINS3_8BFloat16EEES6_bNS0_12_GLOBAL__N_116CompareEqFunctorIS6_EEEESt5arrayIPcLm3EELi4E23TrivialOffsetCalculatorILi2EjESE_ILi1EjENS0_6memory15LoadWithoutCastENSH_16StoreWithoutCastEEEviT_T0_T2_T3_T4_T5_
	.p2align	8
	.type	_ZN2at6native27unrolled_elementwise_kernelINS0_13BinaryFunctorIN3c107complexINS3_8BFloat16EEES6_bNS0_12_GLOBAL__N_116CompareEqFunctorIS6_EEEESt5arrayIPcLm3EELi4E23TrivialOffsetCalculatorILi2EjESE_ILi1EjENS0_6memory15LoadWithoutCastENSH_16StoreWithoutCastEEEviT_T0_T2_T3_T4_T5_,@function
_ZN2at6native27unrolled_elementwise_kernelINS0_13BinaryFunctorIN3c107complexINS3_8BFloat16EEES6_bNS0_12_GLOBAL__N_116CompareEqFunctorIS6_EEEESt5arrayIPcLm3EELi4E23TrivialOffsetCalculatorILi2EjESE_ILi1EjENS0_6memory15LoadWithoutCastENSH_16StoreWithoutCastEEEviT_T0_T2_T3_T4_T5_: ; @_ZN2at6native27unrolled_elementwise_kernelINS0_13BinaryFunctorIN3c107complexINS3_8BFloat16EEES6_bNS0_12_GLOBAL__N_116CompareEqFunctorIS6_EEEESt5arrayIPcLm3EELi4E23TrivialOffsetCalculatorILi2EjESE_ILi1EjENS0_6memory15LoadWithoutCastENSH_16StoreWithoutCastEEEviT_T0_T2_T3_T4_T5_
; %bb.0:
	s_load_b64 s[2:3], s[0:1], 0x0
	s_bfe_u32 s11, ttmp6, 0x4000c
	s_clause 0x1
	s_load_b128 s[4:7], s[0:1], 0x8
	s_load_b64 s[8:9], s[0:1], 0x18
	s_add_co_i32 s11, s11, 1
	s_and_b32 s10, ttmp6, 15
	s_wait_xcnt 0x0
	s_mul_i32 s0, ttmp9, s11
	s_getreg_b32 s12, hwreg(HW_REG_IB_STS2, 6, 4)
	s_add_co_i32 s10, s10, s0
	s_cmp_eq_u32 s12, 0
	v_dual_mov_b32 v1, 0 :: v_dual_mov_b32 v5, 0
	s_cselect_b32 s0, ttmp9, s10
	v_dual_mov_b32 v4, 0 :: v_dual_mov_b32 v6, 0
	s_lshl_b32 s10, s0, 10
	v_dual_mov_b32 v7, 0 :: v_dual_mov_b32 v8, 0
	v_dual_mov_b32 v9, 0 :: v_dual_bitop2_b32 v3, s10, v0 bitop3:0x54
	v_or_b32_e32 v2, 0x100, v0
	s_wait_kmcnt 0x0
	s_sub_co_i32 s2, s2, s10
	v_dual_mov_b32 v10, 0 :: v_dual_mov_b32 v11, 0
	v_cmp_gt_i32_e64 s0, s2, v0
	s_and_saveexec_b32 s1, s0
	s_cbranch_execz .LBB164_8
; %bb.1:
	s_clause 0x1
	global_load_b32 v10, v3, s[6:7] scale_offset
	global_load_b32 v11, v3, s[8:9] scale_offset
	v_or_b32_e32 v12, 0x100, v0
	v_dual_mov_b32 v9, 0 :: v_dual_mov_b32 v8, 0
	v_dual_mov_b32 v7, 0 :: v_dual_mov_b32 v6, 0
	;; [unrolled: 1-line block ×3, first 2 shown]
	s_mov_b32 s11, exec_lo
	s_wait_xcnt 0x0
	v_cmpx_gt_u32_e64 s2, v12
	s_cbranch_execz .LBB164_7
; %bb.2:
	v_dual_mov_b32 v7, 0 :: v_dual_add_nc_u32 v4, s10, v12
	v_or_b32_e32 v12, 0x200, v0
	v_dual_mov_b32 v6, 0 :: v_dual_mov_b32 v5, 0
	s_clause 0x1
	global_load_b32 v8, v4, s[6:7] scale_offset
	global_load_b32 v9, v4, s[8:9] scale_offset
	s_wait_xcnt 0x0
	v_mov_b32_e32 v4, 0
	s_mov_b32 s12, exec_lo
	v_cmpx_gt_u32_e64 s2, v12
	s_cbranch_execz .LBB164_6
; %bb.3:
	v_dual_mov_b32 v5, 0 :: v_dual_add_nc_u32 v4, s10, v12
	v_or_b32_e32 v12, 0x300, v0
	s_mov_b32 s13, exec_lo
	s_clause 0x1
	global_load_b32 v6, v4, s[6:7] scale_offset
	global_load_b32 v7, v4, s[8:9] scale_offset
	s_wait_xcnt 0x0
	v_mov_b32_e32 v4, 0
	v_cmpx_gt_u32_e64 s2, v12
	s_cbranch_execz .LBB164_5
; %bb.4:
	v_add_nc_u32_e32 v12, s10, v12
	s_clause 0x1
	global_load_b32 v5, v12, s[6:7] scale_offset
	global_load_b32 v4, v12, s[8:9] scale_offset
.LBB164_5:
	s_wait_xcnt 0x0
	s_or_b32 exec_lo, exec_lo, s13
.LBB164_6:
	s_delay_alu instid0(SALU_CYCLE_1)
	s_or_b32 exec_lo, exec_lo, s12
.LBB164_7:
	s_delay_alu instid0(SALU_CYCLE_1)
	s_or_b32 exec_lo, exec_lo, s11
.LBB164_8:
	s_delay_alu instid0(SALU_CYCLE_1)
	s_or_b32 exec_lo, exec_lo, s1
	s_cmp_lg_u32 s3, 0
	s_cselect_b32 s3, -1, 0
	s_and_saveexec_b32 s6, s0
	s_cbranch_execz .LBB164_13
; %bb.9:
	s_wait_loadcnt 0x0
	v_dual_lshlrev_b32 v1, 16, v11 :: v_dual_lshlrev_b32 v12, 16, v10
	v_and_b32_e32 v11, 0xffff0000, v11
	v_and_b32_e32 v10, 0xffff0000, v10
	s_and_b32 vcc_lo, exec_lo, s3
	s_cbranch_vccz .LBB164_37
; %bb.10:
	v_cmp_neq_f32_e32 vcc_lo, v12, v1
	s_delay_alu instid0(VALU_DEP_2)
	v_cmp_neq_f32_e64 s1, v10, v11
	s_or_b32 s7, vcc_lo, s1
	s_cbranch_execnz .LBB164_12
.LBB164_11:
	v_cmp_eq_f32_e32 vcc_lo, v12, v1
	v_cmp_eq_f32_e64 s1, v10, v11
	s_and_not1_b32 s7, s7, exec_lo
	s_and_b32 s1, vcc_lo, s1
	s_delay_alu instid0(SALU_CYCLE_1) | instskip(NEXT) | instid1(SALU_CYCLE_1)
	s_and_b32 s1, s1, exec_lo
	s_or_b32 s7, s7, s1
.LBB164_12:
	s_delay_alu instid0(SALU_CYCLE_1)
	v_cndmask_b32_e64 v1, 0, 1, s7
.LBB164_13:
	s_or_b32 exec_lo, exec_lo, s6
	s_wait_loadcnt 0x1
	v_cndmask_b32_e64 v10, 0, 1, s3
	s_mov_b32 s6, exec_lo
	v_cmpx_gt_i32_e64 s2, v2
	s_cbranch_execz .LBB164_18
; %bb.14:
	s_wait_loadcnt 0x0
	v_dual_lshlrev_b32 v11, 16, v9 :: v_dual_lshlrev_b32 v12, 16, v8
	v_and_b32_e32 v9, 0xffff0000, v9
	v_and_b32_e32 v8, 0xffff0000, v8
	s_and_not1_b32 vcc_lo, exec_lo, s3
	s_cbranch_vccnz .LBB164_38
; %bb.15:
	v_cmp_neq_f32_e32 vcc_lo, v12, v11
	s_delay_alu instid0(VALU_DEP_2)
	v_cmp_neq_f32_e64 s1, v8, v9
	s_or_b32 s3, vcc_lo, s1
	s_cbranch_execnz .LBB164_17
.LBB164_16:
	v_cmp_eq_f32_e32 vcc_lo, v12, v11
	v_cmp_eq_f32_e64 s1, v8, v9
	s_and_not1_b32 s3, s3, exec_lo
	s_and_b32 s1, vcc_lo, s1
	s_delay_alu instid0(SALU_CYCLE_1) | instskip(NEXT) | instid1(SALU_CYCLE_1)
	s_and_b32 s1, s1, exec_lo
	s_or_b32 s3, s3, s1
.LBB164_17:
	s_delay_alu instid0(SALU_CYCLE_1) | instskip(NEXT) | instid1(VALU_DEP_1)
	v_cndmask_b32_e64 v8, 0, 1, s3
	v_lshlrev_b16 v8, 8, v8
	s_delay_alu instid0(VALU_DEP_1) | instskip(NEXT) | instid1(VALU_DEP_1)
	v_or_b32_e32 v1, v1, v8
	v_and_b32_e32 v1, 0xffff, v1
.LBB164_18:
	s_or_b32 exec_lo, exec_lo, s6
	v_or_b32_e32 v8, 0x200, v0
	s_mov_b32 s3, exec_lo
	s_delay_alu instid0(VALU_DEP_1)
	v_cmpx_gt_i32_e64 s2, v8
	s_cbranch_execz .LBB164_23
; %bb.19:
	v_cmp_ne_u32_e32 vcc_lo, 1, v10
	s_wait_loadcnt 0x0
	v_dual_lshlrev_b32 v8, 16, v7 :: v_dual_lshlrev_b32 v9, 16, v6
	v_and_b32_e32 v7, 0xffff0000, v7
	v_and_b32_e32 v6, 0xffff0000, v6
	s_cbranch_vccnz .LBB164_39
; %bb.20:
	s_delay_alu instid0(VALU_DEP_3) | instskip(NEXT) | instid1(VALU_DEP_2)
	v_cmp_neq_f32_e32 vcc_lo, v9, v8
	v_cmp_neq_f32_e64 s1, v6, v7
	s_or_b32 s6, vcc_lo, s1
	s_cbranch_execnz .LBB164_22
.LBB164_21:
	v_cmp_eq_f32_e32 vcc_lo, v9, v8
	s_delay_alu instid0(VALU_DEP_2) | instskip(SKIP_2) | instid1(SALU_CYCLE_1)
	v_cmp_eq_f32_e64 s1, v6, v7
	s_and_not1_b32 s6, s6, exec_lo
	s_and_b32 s1, vcc_lo, s1
	s_and_b32 s1, s1, exec_lo
	s_delay_alu instid0(SALU_CYCLE_1)
	s_or_b32 s6, s6, s1
.LBB164_22:
	s_delay_alu instid0(SALU_CYCLE_1) | instskip(NEXT) | instid1(VALU_DEP_1)
	v_cndmask_b32_e64 v6, 0, 1, s6
	v_lshl_or_b32 v1, v6, 16, v1
.LBB164_23:
	s_or_b32 exec_lo, exec_lo, s3
	v_or_b32_e32 v6, 0x300, v0
	s_mov_b32 s3, exec_lo
	s_delay_alu instid0(VALU_DEP_1)
	v_cmpx_gt_i32_e64 s2, v6
	s_cbranch_execz .LBB164_28
; %bb.24:
	v_cmp_ne_u32_e32 vcc_lo, 1, v10
	s_wait_loadcnt 0x0
	v_dual_lshlrev_b32 v6, 16, v4 :: v_dual_lshlrev_b32 v7, 16, v5
	v_and_b32_e32 v4, 0xffff0000, v4
	v_and_b32_e32 v5, 0xffff0000, v5
	s_cbranch_vccnz .LBB164_40
; %bb.25:
	s_delay_alu instid0(VALU_DEP_3) | instskip(NEXT) | instid1(VALU_DEP_2)
	v_cmp_neq_f32_e32 vcc_lo, v7, v6
	v_cmp_neq_f32_e64 s1, v5, v4
	s_or_b32 s6, vcc_lo, s1
	s_cbranch_execnz .LBB164_27
.LBB164_26:
	v_cmp_eq_f32_e32 vcc_lo, v7, v6
	s_delay_alu instid0(VALU_DEP_2) | instskip(SKIP_2) | instid1(SALU_CYCLE_1)
	v_cmp_eq_f32_e64 s1, v5, v4
	s_and_not1_b32 s6, s6, exec_lo
	s_and_b32 s1, vcc_lo, s1
	s_and_b32 s1, s1, exec_lo
	s_delay_alu instid0(SALU_CYCLE_1)
	s_or_b32 s6, s6, s1
.LBB164_27:
	s_delay_alu instid0(SALU_CYCLE_1) | instskip(SKIP_1) | instid1(VALU_DEP_2)
	v_cndmask_b32_e64 v4, 0, 1, s6
	v_lshrrev_b32_e32 v5, 16, v1
	v_lshlrev_b16 v4, 8, v4
	s_delay_alu instid0(VALU_DEP_1) | instskip(NEXT) | instid1(VALU_DEP_1)
	v_or_b32_e32 v4, v5, v4
	v_lshlrev_b32_e32 v4, 16, v4
	s_delay_alu instid0(VALU_DEP_1)
	v_and_or_b32 v1, 0xffff, v1, v4
.LBB164_28:
	s_or_b32 exec_lo, exec_lo, s3
	s_and_saveexec_b32 s1, s0
	s_delay_alu instid0(SALU_CYCLE_1)
	s_xor_b32 s0, exec_lo, s1
	s_cbranch_execz .LBB164_30
; %bb.29:
	v_mov_b32_e32 v0, v2
	global_store_b8 v3, v1, s[4:5]
.LBB164_30:
	s_wait_xcnt 0x0
	s_or_b32 exec_lo, exec_lo, s0
	s_delay_alu instid0(SALU_CYCLE_1)
	s_mov_b32 s0, exec_lo
	v_cmpx_gt_i32_e64 s2, v0
	s_cbranch_execnz .LBB164_34
; %bb.31:
	s_or_b32 exec_lo, exec_lo, s0
	s_delay_alu instid0(SALU_CYCLE_1)
	s_mov_b32 s0, exec_lo
	v_cmpx_gt_i32_e64 s2, v0
	s_cbranch_execnz .LBB164_35
.LBB164_32:
	s_or_b32 exec_lo, exec_lo, s0
	s_delay_alu instid0(SALU_CYCLE_1)
	s_mov_b32 s0, exec_lo
	v_cmpx_gt_i32_e64 s2, v0
	s_cbranch_execnz .LBB164_36
.LBB164_33:
	s_endpgm
.LBB164_34:
	v_add_nc_u32_e32 v2, 0x100, v0
	s_wait_loadcnt 0x0
	v_dual_add_nc_u32 v3, s10, v0 :: v_dual_lshrrev_b32 v4, 8, v1
	s_delay_alu instid0(VALU_DEP_2) | instskip(SKIP_3) | instid1(SALU_CYCLE_1)
	v_mov_b32_e32 v0, v2
	global_store_b8 v3, v4, s[4:5]
	s_wait_xcnt 0x0
	s_or_b32 exec_lo, exec_lo, s0
	s_mov_b32 s0, exec_lo
	v_cmpx_gt_i32_e64 s2, v0
	s_cbranch_execz .LBB164_32
.LBB164_35:
	v_add_nc_u32_e32 v2, 0x100, v0
	s_delay_alu instid0(VALU_DEP_1) | instskip(SKIP_3) | instid1(SALU_CYCLE_1)
	v_dual_mov_b32 v0, v2 :: v_dual_add_nc_u32 v3, s10, v0
	global_store_d16_hi_b8 v3, v1, s[4:5]
	s_wait_xcnt 0x0
	s_or_b32 exec_lo, exec_lo, s0
	s_mov_b32 s0, exec_lo
	v_cmpx_gt_i32_e64 s2, v0
	s_cbranch_execz .LBB164_33
.LBB164_36:
	v_dual_add_nc_u32 v0, s10, v0 :: v_dual_lshrrev_b32 v1, 24, v1
	global_store_b8 v0, v1, s[4:5]
	s_endpgm
.LBB164_37:
                                        ; implicit-def: $sgpr7
	s_branch .LBB164_11
.LBB164_38:
                                        ; implicit-def: $sgpr3
	s_branch .LBB164_16
.LBB164_39:
                                        ; implicit-def: $sgpr6
	s_branch .LBB164_21
.LBB164_40:
                                        ; implicit-def: $sgpr6
	s_branch .LBB164_26
	.section	.rodata,"a",@progbits
	.p2align	6, 0x0
	.amdhsa_kernel _ZN2at6native27unrolled_elementwise_kernelINS0_13BinaryFunctorIN3c107complexINS3_8BFloat16EEES6_bNS0_12_GLOBAL__N_116CompareEqFunctorIS6_EEEESt5arrayIPcLm3EELi4E23TrivialOffsetCalculatorILi2EjESE_ILi1EjENS0_6memory15LoadWithoutCastENSH_16StoreWithoutCastEEEviT_T0_T2_T3_T4_T5_
		.amdhsa_group_segment_fixed_size 0
		.amdhsa_private_segment_fixed_size 0
		.amdhsa_kernarg_size 36
		.amdhsa_user_sgpr_count 2
		.amdhsa_user_sgpr_dispatch_ptr 0
		.amdhsa_user_sgpr_queue_ptr 0
		.amdhsa_user_sgpr_kernarg_segment_ptr 1
		.amdhsa_user_sgpr_dispatch_id 0
		.amdhsa_user_sgpr_kernarg_preload_length 0
		.amdhsa_user_sgpr_kernarg_preload_offset 0
		.amdhsa_user_sgpr_private_segment_size 0
		.amdhsa_wavefront_size32 1
		.amdhsa_uses_dynamic_stack 0
		.amdhsa_enable_private_segment 0
		.amdhsa_system_sgpr_workgroup_id_x 1
		.amdhsa_system_sgpr_workgroup_id_y 0
		.amdhsa_system_sgpr_workgroup_id_z 0
		.amdhsa_system_sgpr_workgroup_info 0
		.amdhsa_system_vgpr_workitem_id 0
		.amdhsa_next_free_vgpr 13
		.amdhsa_next_free_sgpr 14
		.amdhsa_named_barrier_count 0
		.amdhsa_reserve_vcc 1
		.amdhsa_float_round_mode_32 0
		.amdhsa_float_round_mode_16_64 0
		.amdhsa_float_denorm_mode_32 3
		.amdhsa_float_denorm_mode_16_64 3
		.amdhsa_fp16_overflow 0
		.amdhsa_memory_ordered 1
		.amdhsa_forward_progress 1
		.amdhsa_inst_pref_size 11
		.amdhsa_round_robin_scheduling 0
		.amdhsa_exception_fp_ieee_invalid_op 0
		.amdhsa_exception_fp_denorm_src 0
		.amdhsa_exception_fp_ieee_div_zero 0
		.amdhsa_exception_fp_ieee_overflow 0
		.amdhsa_exception_fp_ieee_underflow 0
		.amdhsa_exception_fp_ieee_inexact 0
		.amdhsa_exception_int_div_zero 0
	.end_amdhsa_kernel
	.section	.text._ZN2at6native27unrolled_elementwise_kernelINS0_13BinaryFunctorIN3c107complexINS3_8BFloat16EEES6_bNS0_12_GLOBAL__N_116CompareEqFunctorIS6_EEEESt5arrayIPcLm3EELi4E23TrivialOffsetCalculatorILi2EjESE_ILi1EjENS0_6memory15LoadWithoutCastENSH_16StoreWithoutCastEEEviT_T0_T2_T3_T4_T5_,"axG",@progbits,_ZN2at6native27unrolled_elementwise_kernelINS0_13BinaryFunctorIN3c107complexINS3_8BFloat16EEES6_bNS0_12_GLOBAL__N_116CompareEqFunctorIS6_EEEESt5arrayIPcLm3EELi4E23TrivialOffsetCalculatorILi2EjESE_ILi1EjENS0_6memory15LoadWithoutCastENSH_16StoreWithoutCastEEEviT_T0_T2_T3_T4_T5_,comdat
.Lfunc_end164:
	.size	_ZN2at6native27unrolled_elementwise_kernelINS0_13BinaryFunctorIN3c107complexINS3_8BFloat16EEES6_bNS0_12_GLOBAL__N_116CompareEqFunctorIS6_EEEESt5arrayIPcLm3EELi4E23TrivialOffsetCalculatorILi2EjESE_ILi1EjENS0_6memory15LoadWithoutCastENSH_16StoreWithoutCastEEEviT_T0_T2_T3_T4_T5_, .Lfunc_end164-_ZN2at6native27unrolled_elementwise_kernelINS0_13BinaryFunctorIN3c107complexINS3_8BFloat16EEES6_bNS0_12_GLOBAL__N_116CompareEqFunctorIS6_EEEESt5arrayIPcLm3EELi4E23TrivialOffsetCalculatorILi2EjESE_ILi1EjENS0_6memory15LoadWithoutCastENSH_16StoreWithoutCastEEEviT_T0_T2_T3_T4_T5_
                                        ; -- End function
	.set _ZN2at6native27unrolled_elementwise_kernelINS0_13BinaryFunctorIN3c107complexINS3_8BFloat16EEES6_bNS0_12_GLOBAL__N_116CompareEqFunctorIS6_EEEESt5arrayIPcLm3EELi4E23TrivialOffsetCalculatorILi2EjESE_ILi1EjENS0_6memory15LoadWithoutCastENSH_16StoreWithoutCastEEEviT_T0_T2_T3_T4_T5_.num_vgpr, 13
	.set _ZN2at6native27unrolled_elementwise_kernelINS0_13BinaryFunctorIN3c107complexINS3_8BFloat16EEES6_bNS0_12_GLOBAL__N_116CompareEqFunctorIS6_EEEESt5arrayIPcLm3EELi4E23TrivialOffsetCalculatorILi2EjESE_ILi1EjENS0_6memory15LoadWithoutCastENSH_16StoreWithoutCastEEEviT_T0_T2_T3_T4_T5_.num_agpr, 0
	.set _ZN2at6native27unrolled_elementwise_kernelINS0_13BinaryFunctorIN3c107complexINS3_8BFloat16EEES6_bNS0_12_GLOBAL__N_116CompareEqFunctorIS6_EEEESt5arrayIPcLm3EELi4E23TrivialOffsetCalculatorILi2EjESE_ILi1EjENS0_6memory15LoadWithoutCastENSH_16StoreWithoutCastEEEviT_T0_T2_T3_T4_T5_.numbered_sgpr, 14
	.set _ZN2at6native27unrolled_elementwise_kernelINS0_13BinaryFunctorIN3c107complexINS3_8BFloat16EEES6_bNS0_12_GLOBAL__N_116CompareEqFunctorIS6_EEEESt5arrayIPcLm3EELi4E23TrivialOffsetCalculatorILi2EjESE_ILi1EjENS0_6memory15LoadWithoutCastENSH_16StoreWithoutCastEEEviT_T0_T2_T3_T4_T5_.num_named_barrier, 0
	.set _ZN2at6native27unrolled_elementwise_kernelINS0_13BinaryFunctorIN3c107complexINS3_8BFloat16EEES6_bNS0_12_GLOBAL__N_116CompareEqFunctorIS6_EEEESt5arrayIPcLm3EELi4E23TrivialOffsetCalculatorILi2EjESE_ILi1EjENS0_6memory15LoadWithoutCastENSH_16StoreWithoutCastEEEviT_T0_T2_T3_T4_T5_.private_seg_size, 0
	.set _ZN2at6native27unrolled_elementwise_kernelINS0_13BinaryFunctorIN3c107complexINS3_8BFloat16EEES6_bNS0_12_GLOBAL__N_116CompareEqFunctorIS6_EEEESt5arrayIPcLm3EELi4E23TrivialOffsetCalculatorILi2EjESE_ILi1EjENS0_6memory15LoadWithoutCastENSH_16StoreWithoutCastEEEviT_T0_T2_T3_T4_T5_.uses_vcc, 1
	.set _ZN2at6native27unrolled_elementwise_kernelINS0_13BinaryFunctorIN3c107complexINS3_8BFloat16EEES6_bNS0_12_GLOBAL__N_116CompareEqFunctorIS6_EEEESt5arrayIPcLm3EELi4E23TrivialOffsetCalculatorILi2EjESE_ILi1EjENS0_6memory15LoadWithoutCastENSH_16StoreWithoutCastEEEviT_T0_T2_T3_T4_T5_.uses_flat_scratch, 0
	.set _ZN2at6native27unrolled_elementwise_kernelINS0_13BinaryFunctorIN3c107complexINS3_8BFloat16EEES6_bNS0_12_GLOBAL__N_116CompareEqFunctorIS6_EEEESt5arrayIPcLm3EELi4E23TrivialOffsetCalculatorILi2EjESE_ILi1EjENS0_6memory15LoadWithoutCastENSH_16StoreWithoutCastEEEviT_T0_T2_T3_T4_T5_.has_dyn_sized_stack, 0
	.set _ZN2at6native27unrolled_elementwise_kernelINS0_13BinaryFunctorIN3c107complexINS3_8BFloat16EEES6_bNS0_12_GLOBAL__N_116CompareEqFunctorIS6_EEEESt5arrayIPcLm3EELi4E23TrivialOffsetCalculatorILi2EjESE_ILi1EjENS0_6memory15LoadWithoutCastENSH_16StoreWithoutCastEEEviT_T0_T2_T3_T4_T5_.has_recursion, 0
	.set _ZN2at6native27unrolled_elementwise_kernelINS0_13BinaryFunctorIN3c107complexINS3_8BFloat16EEES6_bNS0_12_GLOBAL__N_116CompareEqFunctorIS6_EEEESt5arrayIPcLm3EELi4E23TrivialOffsetCalculatorILi2EjESE_ILi1EjENS0_6memory15LoadWithoutCastENSH_16StoreWithoutCastEEEviT_T0_T2_T3_T4_T5_.has_indirect_call, 0
	.section	.AMDGPU.csdata,"",@progbits
; Kernel info:
; codeLenInByte = 1352
; TotalNumSgprs: 16
; NumVgprs: 13
; ScratchSize: 0
; MemoryBound: 0
; FloatMode: 240
; IeeeMode: 1
; LDSByteSize: 0 bytes/workgroup (compile time only)
; SGPRBlocks: 0
; VGPRBlocks: 0
; NumSGPRsForWavesPerEU: 16
; NumVGPRsForWavesPerEU: 13
; NamedBarCnt: 0
; Occupancy: 16
; WaveLimiterHint : 0
; COMPUTE_PGM_RSRC2:SCRATCH_EN: 0
; COMPUTE_PGM_RSRC2:USER_SGPR: 2
; COMPUTE_PGM_RSRC2:TRAP_HANDLER: 0
; COMPUTE_PGM_RSRC2:TGID_X_EN: 1
; COMPUTE_PGM_RSRC2:TGID_Y_EN: 0
; COMPUTE_PGM_RSRC2:TGID_Z_EN: 0
; COMPUTE_PGM_RSRC2:TIDIG_COMP_CNT: 0
	.section	.text._ZN2at6native32elementwise_kernel_manual_unrollILi128ELi8EZNS0_22gpu_kernel_impl_nocastINS0_13BinaryFunctorIN3c107complexINS4_8BFloat16EEES7_bNS0_12_GLOBAL__N_116CompareEqFunctorIS7_EEEEEEvRNS_18TensorIteratorBaseERKT_EUlibE_EEviT1_,"axG",@progbits,_ZN2at6native32elementwise_kernel_manual_unrollILi128ELi8EZNS0_22gpu_kernel_impl_nocastINS0_13BinaryFunctorIN3c107complexINS4_8BFloat16EEES7_bNS0_12_GLOBAL__N_116CompareEqFunctorIS7_EEEEEEvRNS_18TensorIteratorBaseERKT_EUlibE_EEviT1_,comdat
	.globl	_ZN2at6native32elementwise_kernel_manual_unrollILi128ELi8EZNS0_22gpu_kernel_impl_nocastINS0_13BinaryFunctorIN3c107complexINS4_8BFloat16EEES7_bNS0_12_GLOBAL__N_116CompareEqFunctorIS7_EEEEEEvRNS_18TensorIteratorBaseERKT_EUlibE_EEviT1_ ; -- Begin function _ZN2at6native32elementwise_kernel_manual_unrollILi128ELi8EZNS0_22gpu_kernel_impl_nocastINS0_13BinaryFunctorIN3c107complexINS4_8BFloat16EEES7_bNS0_12_GLOBAL__N_116CompareEqFunctorIS7_EEEEEEvRNS_18TensorIteratorBaseERKT_EUlibE_EEviT1_
	.p2align	8
	.type	_ZN2at6native32elementwise_kernel_manual_unrollILi128ELi8EZNS0_22gpu_kernel_impl_nocastINS0_13BinaryFunctorIN3c107complexINS4_8BFloat16EEES7_bNS0_12_GLOBAL__N_116CompareEqFunctorIS7_EEEEEEvRNS_18TensorIteratorBaseERKT_EUlibE_EEviT1_,@function
_ZN2at6native32elementwise_kernel_manual_unrollILi128ELi8EZNS0_22gpu_kernel_impl_nocastINS0_13BinaryFunctorIN3c107complexINS4_8BFloat16EEES7_bNS0_12_GLOBAL__N_116CompareEqFunctorIS7_EEEEEEvRNS_18TensorIteratorBaseERKT_EUlibE_EEviT1_: ; @_ZN2at6native32elementwise_kernel_manual_unrollILi128ELi8EZNS0_22gpu_kernel_impl_nocastINS0_13BinaryFunctorIN3c107complexINS4_8BFloat16EEES7_bNS0_12_GLOBAL__N_116CompareEqFunctorIS7_EEEEEEvRNS_18TensorIteratorBaseERKT_EUlibE_EEviT1_
; %bb.0:
	s_clause 0x1
	s_load_b32 s26, s[0:1], 0x8
	s_load_b32 s33, s[0:1], 0x0
	s_bfe_u32 s2, ttmp6, 0x4000c
	s_and_b32 s3, ttmp6, 15
	s_add_co_i32 s2, s2, 1
	s_getreg_b32 s4, hwreg(HW_REG_IB_STS2, 6, 4)
	s_mul_i32 s2, ttmp9, s2
	s_mov_b32 s21, 0
	s_add_co_i32 s3, s3, s2
	s_cmp_eq_u32 s4, 0
	s_cselect_b32 s2, ttmp9, s3
	s_delay_alu instid0(SALU_CYCLE_1) | instskip(SKIP_3) | instid1(VALU_DEP_1)
	v_lshl_or_b32 v0, s2, 10, v0
	s_add_nc_u64 s[2:3], s[0:1], 8
	s_wait_xcnt 0x0
	s_mov_b32 s0, exec_lo
	v_or_b32_e32 v3, 0x380, v0
	s_wait_kmcnt 0x0
	s_add_co_i32 s27, s26, -1
	s_delay_alu instid0(SALU_CYCLE_1)
	s_cmp_gt_u32 s27, 1
	s_cselect_b32 s28, -1, 0
	v_cmpx_le_i32_e64 s33, v3
	s_xor_b32 s29, exec_lo, s0
	s_cbranch_execz .LBB165_137
; %bb.1:
	s_clause 0x5
	s_load_b128 s[8:11], s[2:3], 0x4
	s_load_b64 s[0:1], s[2:3], 0x14
	s_load_b96 s[16:18], s[2:3], 0x198
	s_load_b128 s[12:15], s[2:3], 0xc4
	s_load_b64 s[22:23], s[2:3], 0xd4
	s_load_b128 s[4:7], s[2:3], 0x188
	s_cmp_lg_u32 s26, 0
	s_mov_b32 s25, s21
	s_cselect_b32 s34, -1, 0
	s_min_u32 s31, s27, 15
	s_cmp_gt_u32 s26, 1
	s_mov_b32 s35, exec_lo
	s_cselect_b32 s30, -1, 0
	s_wait_kmcnt 0x0
	s_mov_b32 s20, s9
	s_mov_b32 s24, s0
	s_cmp_lg_u32 s18, 0
	s_cselect_b32 s9, -1, 0
	v_cmpx_gt_i32_e64 s33, v0
	s_cbranch_execnz .LBB165_9
; %bb.2:
	s_or_b32 exec_lo, exec_lo, s35
	s_delay_alu instid0(SALU_CYCLE_1)
	s_mov_b32 s35, exec_lo
	v_cmpx_gt_i32_e64 s33, v0
	s_cbranch_execnz .LBB165_24
.LBB165_3:
	s_or_b32 exec_lo, exec_lo, s35
	s_delay_alu instid0(SALU_CYCLE_1)
	s_mov_b32 s35, exec_lo
	v_cmpx_gt_i32_e64 s33, v0
	s_cbranch_execnz .LBB165_40
.LBB165_4:
	s_or_b32 exec_lo, exec_lo, s35
	s_delay_alu instid0(SALU_CYCLE_1)
	s_mov_b32 s35, exec_lo
	v_cmpx_gt_i32_e64 s33, v0
	s_cbranch_execnz .LBB165_56
.LBB165_5:
	s_or_b32 exec_lo, exec_lo, s35
	s_delay_alu instid0(SALU_CYCLE_1)
	s_mov_b32 s35, exec_lo
	v_cmpx_gt_i32_e64 s33, v0
	s_cbranch_execnz .LBB165_72
.LBB165_6:
	s_or_b32 exec_lo, exec_lo, s35
	s_delay_alu instid0(SALU_CYCLE_1)
	s_mov_b32 s35, exec_lo
	v_cmpx_gt_i32_e64 s33, v0
	s_cbranch_execnz .LBB165_88
.LBB165_7:
	s_or_b32 exec_lo, exec_lo, s35
	s_delay_alu instid0(SALU_CYCLE_1)
	s_mov_b32 s35, exec_lo
	v_cmpx_gt_i32_e64 s33, v0
	s_cbranch_execnz .LBB165_104
.LBB165_8:
	s_or_b32 exec_lo, exec_lo, s35
	v_cmp_gt_i32_e32 vcc_lo, s33, v0
	s_and_saveexec_b32 s33, vcc_lo
	s_cbranch_execnz .LBB165_120
	s_branch .LBB165_136
.LBB165_9:
	s_and_not1_b32 vcc_lo, exec_lo, s28
	s_cbranch_vccnz .LBB165_15
; %bb.10:
	s_and_not1_b32 vcc_lo, exec_lo, s34
	s_cbranch_vccnz .LBB165_16
; %bb.11:
	v_dual_mov_b32 v4, 0 :: v_dual_mov_b32 v1, v0
	v_dual_mov_b32 v6, 0 :: v_dual_mov_b32 v5, 0
	s_add_co_i32 s0, s31, 1
	s_mov_b64 s[18:19], 0xffffffffffffffe8
	s_and_b32 s0, s0, 30
	s_add_nc_u64 s[18:19], s[2:3], s[18:19]
.LBB165_12:                             ; =>This Inner Loop Header: Depth=1
	s_clause 0x1
	s_load_b128 s[36:39], s[18:19], 0x1c
	s_load_b64 s[44:45], s[18:19], 0x2c
	s_add_co_i32 s0, s0, -2
	s_delay_alu instid0(SALU_CYCLE_1) | instskip(SKIP_2) | instid1(VALU_DEP_1)
	s_cmp_lg_u32 s0, 0
	s_wait_kmcnt 0x0
	v_mul_hi_u32 v2, s37, v1
	v_add_nc_u32_e32 v2, v1, v2
	s_delay_alu instid0(VALU_DEP_1) | instskip(NEXT) | instid1(VALU_DEP_1)
	v_lshrrev_b32_e32 v2, s38, v2
	v_mul_hi_u32 v3, s44, v2
	v_mul_lo_u32 v7, v2, s36
	s_clause 0x1
	s_load_b128 s[40:43], s[18:19], 0xdc
	s_load_b64 s[36:37], s[18:19], 0xec
	s_wait_xcnt 0x0
	s_add_nc_u64 s[18:19], s[18:19], 24
	s_delay_alu instid0(VALU_DEP_2) | instskip(NEXT) | instid1(VALU_DEP_2)
	v_add_nc_u32_e32 v3, v2, v3
	v_sub_nc_u32_e32 v7, v1, v7
	s_delay_alu instid0(VALU_DEP_2) | instskip(SKIP_1) | instid1(VALU_DEP_2)
	v_lshrrev_b32_e32 v1, s45, v3
	s_wait_kmcnt 0x0
	v_mad_u32 v4, v7, s40, v4
	s_delay_alu instid0(VALU_DEP_2) | instskip(SKIP_2) | instid1(VALU_DEP_3)
	v_mul_lo_u32 v3, v1, s39
	v_mad_u32 v5, v7, s42, v5
	v_mad_u32 v6, v7, s41, v6
	v_sub_nc_u32_e32 v2, v2, v3
	s_delay_alu instid0(VALU_DEP_1) | instskip(NEXT) | instid1(VALU_DEP_4)
	v_mad_u32 v4, v2, s43, v4
	v_mad_u32 v5, v2, s37, v5
	s_delay_alu instid0(VALU_DEP_4)
	v_mad_u32 v6, v2, s36, v6
	s_cbranch_scc1 .LBB165_12
; %bb.13:
	s_bitcmp1_b32 s31, 0
	s_cselect_b32 s0, -1, 0
	s_delay_alu instid0(SALU_CYCLE_1)
	s_and_b32 vcc_lo, exec_lo, s0
	s_cbranch_vccnz .LBB165_17
; %bb.14:
	s_clause 0x1
	s_load_b96 s[36:38], s[18:19], 0x1c
	s_load_b96 s[40:42], s[18:19], 0xdc
	s_wait_kmcnt 0x0
	v_mul_hi_u32 v2, s37, v1
	s_delay_alu instid0(VALU_DEP_1) | instskip(NEXT) | instid1(VALU_DEP_1)
	v_add_nc_u32_e32 v2, v1, v2
	v_lshrrev_b32_e32 v2, s38, v2
	s_delay_alu instid0(VALU_DEP_1) | instskip(NEXT) | instid1(VALU_DEP_1)
	v_mul_lo_u32 v2, v2, s36
	v_sub_nc_u32_e32 v1, v1, v2
	s_delay_alu instid0(VALU_DEP_1)
	v_mad_u32 v4, v1, s40, v4
	v_mad_u32 v6, v1, s41, v6
	;; [unrolled: 1-line block ×3, first 2 shown]
	s_cbranch_execz .LBB165_18
	s_branch .LBB165_20
.LBB165_15:
                                        ; implicit-def: $vgpr5
                                        ; implicit-def: $vgpr6
                                        ; implicit-def: $vgpr4
	s_branch .LBB165_18
.LBB165_16:
	v_dual_mov_b32 v5, 0 :: v_dual_mov_b32 v6, 0
	v_mov_b32_e32 v4, 0
.LBB165_17:
	s_cbranch_execnz .LBB165_20
.LBB165_18:
	v_mov_b32_e32 v1, 0
	s_and_not1_b32 vcc_lo, exec_lo, s30
	s_delay_alu instid0(VALU_DEP_1) | instskip(NEXT) | instid1(VALU_DEP_1)
	v_mul_u64_e32 v[2:3], s[20:21], v[0:1]
	v_add_nc_u32_e32 v2, v0, v3
	s_delay_alu instid0(VALU_DEP_1) | instskip(NEXT) | instid1(VALU_DEP_1)
	v_lshrrev_b32_e32 v2, s10, v2
	v_mul_lo_u32 v3, v2, s8
	s_delay_alu instid0(VALU_DEP_1) | instskip(NEXT) | instid1(VALU_DEP_1)
	v_sub_nc_u32_e32 v3, v0, v3
	v_mul_lo_u32 v4, v3, s12
	v_mul_lo_u32 v5, v3, s14
	;; [unrolled: 1-line block ×3, first 2 shown]
	s_cbranch_vccnz .LBB165_20
; %bb.19:
	v_mov_b32_e32 v3, v1
	s_delay_alu instid0(VALU_DEP_1) | instskip(NEXT) | instid1(VALU_DEP_1)
	v_mul_u64_e32 v[8:9], s[24:25], v[2:3]
	v_add_nc_u32_e32 v1, v2, v9
	s_delay_alu instid0(VALU_DEP_1) | instskip(NEXT) | instid1(VALU_DEP_1)
	v_lshrrev_b32_e32 v1, s1, v1
	v_mul_lo_u32 v1, v1, s11
	s_delay_alu instid0(VALU_DEP_1) | instskip(NEXT) | instid1(VALU_DEP_1)
	v_sub_nc_u32_e32 v1, v2, v1
	v_mad_u32 v4, v1, s15, v4
	v_mad_u32 v6, v1, s22, v6
	;; [unrolled: 1-line block ×3, first 2 shown]
.LBB165_20:
	global_load_b32 v3, v5, s[16:17]
	global_load_b32 v7, v6, s[6:7]
	s_and_b32 vcc_lo, exec_lo, s9
	s_wait_loadcnt 0x1
	v_lshlrev_b32_e32 v1, 16, v3
	s_wait_loadcnt 0x0
	v_lshlrev_b32_e32 v2, 16, v7
	v_and_b32_e32 v3, 0xffff0000, v3
	v_and_b32_e32 v5, 0xffff0000, v7
	s_cbranch_vccz .LBB165_31
; %bb.21:
	s_delay_alu instid0(VALU_DEP_3) | instskip(NEXT) | instid1(VALU_DEP_2)
	v_cmp_neq_f32_e32 vcc_lo, v2, v1
	v_cmp_neq_f32_e64 s0, v5, v3
	s_or_b32 s18, vcc_lo, s0
	s_cbranch_execnz .LBB165_23
.LBB165_22:
	v_cmp_eq_f32_e32 vcc_lo, v2, v1
	s_delay_alu instid0(VALU_DEP_2) | instskip(SKIP_2) | instid1(SALU_CYCLE_1)
	v_cmp_eq_f32_e64 s0, v5, v3
	s_and_not1_b32 s18, s18, exec_lo
	s_and_b32 s0, vcc_lo, s0
	s_and_b32 s0, s0, exec_lo
	s_delay_alu instid0(SALU_CYCLE_1)
	s_or_b32 s18, s18, s0
.LBB165_23:
	s_delay_alu instid0(SALU_CYCLE_1) | instskip(SKIP_4) | instid1(SALU_CYCLE_1)
	v_cndmask_b32_e64 v1, 0, 1, s18
	v_add_nc_u32_e32 v0, 0x80, v0
	global_store_b8 v4, v1, s[4:5]
	s_wait_xcnt 0x0
	s_or_b32 exec_lo, exec_lo, s35
	s_mov_b32 s35, exec_lo
	v_cmpx_gt_i32_e64 s33, v0
	s_cbranch_execz .LBB165_3
.LBB165_24:
	s_and_not1_b32 vcc_lo, exec_lo, s28
	s_cbranch_vccnz .LBB165_30
; %bb.25:
	s_and_not1_b32 vcc_lo, exec_lo, s34
	s_cbranch_vccnz .LBB165_32
; %bb.26:
	v_dual_mov_b32 v4, 0 :: v_dual_mov_b32 v1, v0
	v_dual_mov_b32 v6, 0 :: v_dual_mov_b32 v5, 0
	s_add_co_i32 s0, s31, 1
	s_mov_b64 s[18:19], 0xffffffffffffffe8
	s_and_b32 s0, s0, 30
	s_add_nc_u64 s[18:19], s[2:3], s[18:19]
.LBB165_27:                             ; =>This Inner Loop Header: Depth=1
	s_clause 0x1
	s_load_b128 s[36:39], s[18:19], 0x1c
	s_load_b64 s[44:45], s[18:19], 0x2c
	s_add_co_i32 s0, s0, -2
	s_delay_alu instid0(SALU_CYCLE_1) | instskip(SKIP_2) | instid1(VALU_DEP_1)
	s_cmp_eq_u32 s0, 0
	s_wait_kmcnt 0x0
	v_mul_hi_u32 v2, s37, v1
	v_add_nc_u32_e32 v2, v1, v2
	s_delay_alu instid0(VALU_DEP_1) | instskip(NEXT) | instid1(VALU_DEP_1)
	v_lshrrev_b32_e32 v2, s38, v2
	v_mul_hi_u32 v3, s44, v2
	v_mul_lo_u32 v7, v2, s36
	s_clause 0x1
	s_load_b128 s[40:43], s[18:19], 0xdc
	s_load_b64 s[36:37], s[18:19], 0xec
	s_wait_xcnt 0x0
	s_add_nc_u64 s[18:19], s[18:19], 24
	s_delay_alu instid0(VALU_DEP_2) | instskip(NEXT) | instid1(VALU_DEP_2)
	v_add_nc_u32_e32 v3, v2, v3
	v_sub_nc_u32_e32 v7, v1, v7
	s_delay_alu instid0(VALU_DEP_2) | instskip(SKIP_1) | instid1(VALU_DEP_2)
	v_lshrrev_b32_e32 v1, s45, v3
	s_wait_kmcnt 0x0
	v_mad_u32 v4, v7, s40, v4
	s_delay_alu instid0(VALU_DEP_2) | instskip(SKIP_2) | instid1(VALU_DEP_3)
	v_mul_lo_u32 v3, v1, s39
	v_mad_u32 v5, v7, s42, v5
	v_mad_u32 v6, v7, s41, v6
	v_sub_nc_u32_e32 v2, v2, v3
	s_delay_alu instid0(VALU_DEP_1) | instskip(NEXT) | instid1(VALU_DEP_4)
	v_mad_u32 v4, v2, s43, v4
	v_mad_u32 v5, v2, s37, v5
	s_delay_alu instid0(VALU_DEP_4)
	v_mad_u32 v6, v2, s36, v6
	s_cbranch_scc0 .LBB165_27
; %bb.28:
	s_bitcmp1_b32 s31, 0
	s_cselect_b32 s0, -1, 0
	s_delay_alu instid0(SALU_CYCLE_1)
	s_and_b32 vcc_lo, exec_lo, s0
	s_cbranch_vccnz .LBB165_33
; %bb.29:
	s_clause 0x1
	s_load_b96 s[36:38], s[18:19], 0x1c
	s_load_b96 s[40:42], s[18:19], 0xdc
	s_wait_kmcnt 0x0
	v_mul_hi_u32 v2, s37, v1
	s_delay_alu instid0(VALU_DEP_1) | instskip(NEXT) | instid1(VALU_DEP_1)
	v_add_nc_u32_e32 v2, v1, v2
	v_lshrrev_b32_e32 v2, s38, v2
	s_delay_alu instid0(VALU_DEP_1) | instskip(NEXT) | instid1(VALU_DEP_1)
	v_mul_lo_u32 v2, v2, s36
	v_sub_nc_u32_e32 v1, v1, v2
	s_delay_alu instid0(VALU_DEP_1)
	v_mad_u32 v4, v1, s40, v4
	v_mad_u32 v6, v1, s41, v6
	;; [unrolled: 1-line block ×3, first 2 shown]
	s_branch .LBB165_33
.LBB165_30:
                                        ; implicit-def: $vgpr5
                                        ; implicit-def: $vgpr6
                                        ; implicit-def: $vgpr4
	s_branch .LBB165_34
.LBB165_31:
                                        ; implicit-def: $sgpr18
	s_branch .LBB165_22
.LBB165_32:
	v_dual_mov_b32 v5, 0 :: v_dual_mov_b32 v6, 0
	v_mov_b32_e32 v4, 0
.LBB165_33:
	s_cbranch_execnz .LBB165_36
.LBB165_34:
	v_mov_b32_e32 v1, 0
	s_and_not1_b32 vcc_lo, exec_lo, s30
	s_delay_alu instid0(VALU_DEP_1) | instskip(NEXT) | instid1(VALU_DEP_1)
	v_mul_u64_e32 v[2:3], s[20:21], v[0:1]
	v_add_nc_u32_e32 v2, v0, v3
	s_delay_alu instid0(VALU_DEP_1) | instskip(NEXT) | instid1(VALU_DEP_1)
	v_lshrrev_b32_e32 v2, s10, v2
	v_mul_lo_u32 v3, v2, s8
	s_delay_alu instid0(VALU_DEP_1) | instskip(NEXT) | instid1(VALU_DEP_1)
	v_sub_nc_u32_e32 v3, v0, v3
	v_mul_lo_u32 v4, v3, s12
	v_mul_lo_u32 v5, v3, s14
	;; [unrolled: 1-line block ×3, first 2 shown]
	s_cbranch_vccnz .LBB165_36
; %bb.35:
	v_mov_b32_e32 v3, v1
	s_delay_alu instid0(VALU_DEP_1) | instskip(NEXT) | instid1(VALU_DEP_1)
	v_mul_u64_e32 v[8:9], s[24:25], v[2:3]
	v_add_nc_u32_e32 v1, v2, v9
	s_delay_alu instid0(VALU_DEP_1) | instskip(NEXT) | instid1(VALU_DEP_1)
	v_lshrrev_b32_e32 v1, s1, v1
	v_mul_lo_u32 v1, v1, s11
	s_delay_alu instid0(VALU_DEP_1) | instskip(NEXT) | instid1(VALU_DEP_1)
	v_sub_nc_u32_e32 v1, v2, v1
	v_mad_u32 v4, v1, s15, v4
	v_mad_u32 v6, v1, s22, v6
	;; [unrolled: 1-line block ×3, first 2 shown]
.LBB165_36:
	global_load_b32 v3, v5, s[16:17]
	global_load_b32 v7, v6, s[6:7]
	s_and_not1_b32 vcc_lo, exec_lo, s9
	s_wait_loadcnt 0x1
	v_lshlrev_b32_e32 v1, 16, v3
	s_wait_loadcnt 0x0
	v_lshlrev_b32_e32 v2, 16, v7
	v_and_b32_e32 v3, 0xffff0000, v3
	s_wait_xcnt 0x1
	v_and_b32_e32 v5, 0xffff0000, v7
	s_cbranch_vccnz .LBB165_47
; %bb.37:
	v_cmp_neq_f32_e32 vcc_lo, v2, v1
	s_delay_alu instid0(VALU_DEP_2)
	v_cmp_neq_f32_e64 s0, v5, v3
	s_or_b32 s18, vcc_lo, s0
	s_cbranch_execnz .LBB165_39
.LBB165_38:
	v_cmp_eq_f32_e32 vcc_lo, v2, v1
	s_delay_alu instid0(VALU_DEP_2) | instskip(SKIP_2) | instid1(SALU_CYCLE_1)
	v_cmp_eq_f32_e64 s0, v5, v3
	s_and_not1_b32 s18, s18, exec_lo
	s_and_b32 s0, vcc_lo, s0
	s_and_b32 s0, s0, exec_lo
	s_delay_alu instid0(SALU_CYCLE_1)
	s_or_b32 s18, s18, s0
.LBB165_39:
	s_delay_alu instid0(SALU_CYCLE_1) | instskip(SKIP_4) | instid1(SALU_CYCLE_1)
	v_cndmask_b32_e64 v1, 0, 1, s18
	v_add_nc_u32_e32 v0, 0x80, v0
	global_store_b8 v4, v1, s[4:5]
	s_wait_xcnt 0x0
	s_or_b32 exec_lo, exec_lo, s35
	s_mov_b32 s35, exec_lo
	v_cmpx_gt_i32_e64 s33, v0
	s_cbranch_execz .LBB165_4
.LBB165_40:
	s_and_not1_b32 vcc_lo, exec_lo, s28
	s_cbranch_vccnz .LBB165_46
; %bb.41:
	s_and_not1_b32 vcc_lo, exec_lo, s34
	s_cbranch_vccnz .LBB165_48
; %bb.42:
	v_dual_mov_b32 v4, 0 :: v_dual_mov_b32 v1, v0
	v_dual_mov_b32 v6, 0 :: v_dual_mov_b32 v5, 0
	s_add_co_i32 s0, s31, 1
	s_mov_b64 s[18:19], 0xffffffffffffffe8
	s_and_b32 s0, s0, 30
	s_add_nc_u64 s[18:19], s[2:3], s[18:19]
.LBB165_43:                             ; =>This Inner Loop Header: Depth=1
	s_clause 0x1
	s_load_b128 s[36:39], s[18:19], 0x1c
	s_load_b64 s[44:45], s[18:19], 0x2c
	s_add_co_i32 s0, s0, -2
	s_delay_alu instid0(SALU_CYCLE_1) | instskip(SKIP_2) | instid1(VALU_DEP_1)
	s_cmp_eq_u32 s0, 0
	s_wait_kmcnt 0x0
	v_mul_hi_u32 v2, s37, v1
	v_add_nc_u32_e32 v2, v1, v2
	s_delay_alu instid0(VALU_DEP_1) | instskip(NEXT) | instid1(VALU_DEP_1)
	v_lshrrev_b32_e32 v2, s38, v2
	v_mul_hi_u32 v3, s44, v2
	v_mul_lo_u32 v7, v2, s36
	s_clause 0x1
	s_load_b128 s[40:43], s[18:19], 0xdc
	s_load_b64 s[36:37], s[18:19], 0xec
	s_wait_xcnt 0x0
	s_add_nc_u64 s[18:19], s[18:19], 24
	s_delay_alu instid0(VALU_DEP_2) | instskip(NEXT) | instid1(VALU_DEP_2)
	v_add_nc_u32_e32 v3, v2, v3
	v_sub_nc_u32_e32 v7, v1, v7
	s_delay_alu instid0(VALU_DEP_2) | instskip(SKIP_1) | instid1(VALU_DEP_2)
	v_lshrrev_b32_e32 v1, s45, v3
	s_wait_kmcnt 0x0
	v_mad_u32 v4, v7, s40, v4
	s_delay_alu instid0(VALU_DEP_2) | instskip(SKIP_2) | instid1(VALU_DEP_3)
	v_mul_lo_u32 v3, v1, s39
	v_mad_u32 v5, v7, s42, v5
	v_mad_u32 v6, v7, s41, v6
	v_sub_nc_u32_e32 v2, v2, v3
	s_delay_alu instid0(VALU_DEP_1) | instskip(NEXT) | instid1(VALU_DEP_4)
	v_mad_u32 v4, v2, s43, v4
	v_mad_u32 v5, v2, s37, v5
	s_delay_alu instid0(VALU_DEP_4)
	v_mad_u32 v6, v2, s36, v6
	s_cbranch_scc0 .LBB165_43
; %bb.44:
	s_bitcmp1_b32 s31, 0
	s_cselect_b32 s0, -1, 0
	s_delay_alu instid0(SALU_CYCLE_1)
	s_and_b32 vcc_lo, exec_lo, s0
	s_cbranch_vccnz .LBB165_49
; %bb.45:
	s_clause 0x1
	s_load_b96 s[36:38], s[18:19], 0x1c
	s_load_b96 s[40:42], s[18:19], 0xdc
	s_wait_kmcnt 0x0
	v_mul_hi_u32 v2, s37, v1
	s_delay_alu instid0(VALU_DEP_1) | instskip(NEXT) | instid1(VALU_DEP_1)
	v_add_nc_u32_e32 v2, v1, v2
	v_lshrrev_b32_e32 v2, s38, v2
	s_delay_alu instid0(VALU_DEP_1) | instskip(NEXT) | instid1(VALU_DEP_1)
	v_mul_lo_u32 v2, v2, s36
	v_sub_nc_u32_e32 v1, v1, v2
	s_delay_alu instid0(VALU_DEP_1)
	v_mad_u32 v4, v1, s40, v4
	v_mad_u32 v6, v1, s41, v6
	;; [unrolled: 1-line block ×3, first 2 shown]
	s_branch .LBB165_49
.LBB165_46:
                                        ; implicit-def: $vgpr5
                                        ; implicit-def: $vgpr6
                                        ; implicit-def: $vgpr4
	s_branch .LBB165_50
.LBB165_47:
                                        ; implicit-def: $sgpr18
	s_branch .LBB165_38
.LBB165_48:
	v_dual_mov_b32 v5, 0 :: v_dual_mov_b32 v6, 0
	v_mov_b32_e32 v4, 0
.LBB165_49:
	s_cbranch_execnz .LBB165_52
.LBB165_50:
	v_mov_b32_e32 v1, 0
	s_and_not1_b32 vcc_lo, exec_lo, s30
	s_delay_alu instid0(VALU_DEP_1) | instskip(NEXT) | instid1(VALU_DEP_1)
	v_mul_u64_e32 v[2:3], s[20:21], v[0:1]
	v_add_nc_u32_e32 v2, v0, v3
	s_delay_alu instid0(VALU_DEP_1) | instskip(NEXT) | instid1(VALU_DEP_1)
	v_lshrrev_b32_e32 v2, s10, v2
	v_mul_lo_u32 v3, v2, s8
	s_delay_alu instid0(VALU_DEP_1) | instskip(NEXT) | instid1(VALU_DEP_1)
	v_sub_nc_u32_e32 v3, v0, v3
	v_mul_lo_u32 v4, v3, s12
	v_mul_lo_u32 v5, v3, s14
	;; [unrolled: 1-line block ×3, first 2 shown]
	s_cbranch_vccnz .LBB165_52
; %bb.51:
	v_mov_b32_e32 v3, v1
	s_delay_alu instid0(VALU_DEP_1) | instskip(NEXT) | instid1(VALU_DEP_1)
	v_mul_u64_e32 v[8:9], s[24:25], v[2:3]
	v_add_nc_u32_e32 v1, v2, v9
	s_delay_alu instid0(VALU_DEP_1) | instskip(NEXT) | instid1(VALU_DEP_1)
	v_lshrrev_b32_e32 v1, s1, v1
	v_mul_lo_u32 v1, v1, s11
	s_delay_alu instid0(VALU_DEP_1) | instskip(NEXT) | instid1(VALU_DEP_1)
	v_sub_nc_u32_e32 v1, v2, v1
	v_mad_u32 v4, v1, s15, v4
	v_mad_u32 v6, v1, s22, v6
	v_mad_u32 v5, v1, s23, v5
.LBB165_52:
	global_load_b32 v3, v5, s[16:17]
	global_load_b32 v7, v6, s[6:7]
	s_and_not1_b32 vcc_lo, exec_lo, s9
	s_wait_loadcnt 0x1
	v_lshlrev_b32_e32 v1, 16, v3
	s_wait_loadcnt 0x0
	v_lshlrev_b32_e32 v2, 16, v7
	v_and_b32_e32 v3, 0xffff0000, v3
	s_wait_xcnt 0x1
	v_and_b32_e32 v5, 0xffff0000, v7
	s_cbranch_vccnz .LBB165_63
; %bb.53:
	v_cmp_neq_f32_e32 vcc_lo, v2, v1
	s_delay_alu instid0(VALU_DEP_2)
	v_cmp_neq_f32_e64 s0, v5, v3
	s_or_b32 s18, vcc_lo, s0
	s_cbranch_execnz .LBB165_55
.LBB165_54:
	v_cmp_eq_f32_e32 vcc_lo, v2, v1
	s_delay_alu instid0(VALU_DEP_2) | instskip(SKIP_2) | instid1(SALU_CYCLE_1)
	v_cmp_eq_f32_e64 s0, v5, v3
	s_and_not1_b32 s18, s18, exec_lo
	s_and_b32 s0, vcc_lo, s0
	s_and_b32 s0, s0, exec_lo
	s_delay_alu instid0(SALU_CYCLE_1)
	s_or_b32 s18, s18, s0
.LBB165_55:
	s_delay_alu instid0(SALU_CYCLE_1) | instskip(SKIP_4) | instid1(SALU_CYCLE_1)
	v_cndmask_b32_e64 v1, 0, 1, s18
	v_add_nc_u32_e32 v0, 0x80, v0
	global_store_b8 v4, v1, s[4:5]
	s_wait_xcnt 0x0
	s_or_b32 exec_lo, exec_lo, s35
	s_mov_b32 s35, exec_lo
	v_cmpx_gt_i32_e64 s33, v0
	s_cbranch_execz .LBB165_5
.LBB165_56:
	s_and_not1_b32 vcc_lo, exec_lo, s28
	s_cbranch_vccnz .LBB165_62
; %bb.57:
	s_and_not1_b32 vcc_lo, exec_lo, s34
	s_cbranch_vccnz .LBB165_64
; %bb.58:
	v_dual_mov_b32 v4, 0 :: v_dual_mov_b32 v1, v0
	v_dual_mov_b32 v6, 0 :: v_dual_mov_b32 v5, 0
	s_add_co_i32 s0, s31, 1
	s_mov_b64 s[18:19], 0xffffffffffffffe8
	s_and_b32 s0, s0, 30
	s_add_nc_u64 s[18:19], s[2:3], s[18:19]
.LBB165_59:                             ; =>This Inner Loop Header: Depth=1
	s_clause 0x1
	s_load_b128 s[36:39], s[18:19], 0x1c
	s_load_b64 s[44:45], s[18:19], 0x2c
	s_add_co_i32 s0, s0, -2
	s_delay_alu instid0(SALU_CYCLE_1) | instskip(SKIP_2) | instid1(VALU_DEP_1)
	s_cmp_eq_u32 s0, 0
	s_wait_kmcnt 0x0
	v_mul_hi_u32 v2, s37, v1
	v_add_nc_u32_e32 v2, v1, v2
	s_delay_alu instid0(VALU_DEP_1) | instskip(NEXT) | instid1(VALU_DEP_1)
	v_lshrrev_b32_e32 v2, s38, v2
	v_mul_hi_u32 v3, s44, v2
	v_mul_lo_u32 v7, v2, s36
	s_clause 0x1
	s_load_b128 s[40:43], s[18:19], 0xdc
	s_load_b64 s[36:37], s[18:19], 0xec
	s_wait_xcnt 0x0
	s_add_nc_u64 s[18:19], s[18:19], 24
	s_delay_alu instid0(VALU_DEP_2) | instskip(NEXT) | instid1(VALU_DEP_2)
	v_add_nc_u32_e32 v3, v2, v3
	v_sub_nc_u32_e32 v7, v1, v7
	s_delay_alu instid0(VALU_DEP_2) | instskip(SKIP_1) | instid1(VALU_DEP_2)
	v_lshrrev_b32_e32 v1, s45, v3
	s_wait_kmcnt 0x0
	v_mad_u32 v4, v7, s40, v4
	s_delay_alu instid0(VALU_DEP_2) | instskip(SKIP_2) | instid1(VALU_DEP_3)
	v_mul_lo_u32 v3, v1, s39
	v_mad_u32 v5, v7, s42, v5
	v_mad_u32 v6, v7, s41, v6
	v_sub_nc_u32_e32 v2, v2, v3
	s_delay_alu instid0(VALU_DEP_1) | instskip(NEXT) | instid1(VALU_DEP_4)
	v_mad_u32 v4, v2, s43, v4
	v_mad_u32 v5, v2, s37, v5
	s_delay_alu instid0(VALU_DEP_4)
	v_mad_u32 v6, v2, s36, v6
	s_cbranch_scc0 .LBB165_59
; %bb.60:
	s_bitcmp1_b32 s31, 0
	s_cselect_b32 s0, -1, 0
	s_delay_alu instid0(SALU_CYCLE_1)
	s_and_b32 vcc_lo, exec_lo, s0
	s_cbranch_vccnz .LBB165_65
; %bb.61:
	s_clause 0x1
	s_load_b96 s[36:38], s[18:19], 0x1c
	s_load_b96 s[40:42], s[18:19], 0xdc
	s_wait_kmcnt 0x0
	v_mul_hi_u32 v2, s37, v1
	s_delay_alu instid0(VALU_DEP_1) | instskip(NEXT) | instid1(VALU_DEP_1)
	v_add_nc_u32_e32 v2, v1, v2
	v_lshrrev_b32_e32 v2, s38, v2
	s_delay_alu instid0(VALU_DEP_1) | instskip(NEXT) | instid1(VALU_DEP_1)
	v_mul_lo_u32 v2, v2, s36
	v_sub_nc_u32_e32 v1, v1, v2
	s_delay_alu instid0(VALU_DEP_1)
	v_mad_u32 v4, v1, s40, v4
	v_mad_u32 v6, v1, s41, v6
	;; [unrolled: 1-line block ×3, first 2 shown]
	s_branch .LBB165_65
.LBB165_62:
                                        ; implicit-def: $vgpr5
                                        ; implicit-def: $vgpr6
                                        ; implicit-def: $vgpr4
	s_branch .LBB165_66
.LBB165_63:
                                        ; implicit-def: $sgpr18
	s_branch .LBB165_54
.LBB165_64:
	v_dual_mov_b32 v5, 0 :: v_dual_mov_b32 v6, 0
	v_mov_b32_e32 v4, 0
.LBB165_65:
	s_cbranch_execnz .LBB165_68
.LBB165_66:
	v_mov_b32_e32 v1, 0
	s_and_not1_b32 vcc_lo, exec_lo, s30
	s_delay_alu instid0(VALU_DEP_1) | instskip(NEXT) | instid1(VALU_DEP_1)
	v_mul_u64_e32 v[2:3], s[20:21], v[0:1]
	v_add_nc_u32_e32 v2, v0, v3
	s_delay_alu instid0(VALU_DEP_1) | instskip(NEXT) | instid1(VALU_DEP_1)
	v_lshrrev_b32_e32 v2, s10, v2
	v_mul_lo_u32 v3, v2, s8
	s_delay_alu instid0(VALU_DEP_1) | instskip(NEXT) | instid1(VALU_DEP_1)
	v_sub_nc_u32_e32 v3, v0, v3
	v_mul_lo_u32 v4, v3, s12
	v_mul_lo_u32 v5, v3, s14
	v_mul_lo_u32 v6, v3, s13
	s_cbranch_vccnz .LBB165_68
; %bb.67:
	v_mov_b32_e32 v3, v1
	s_delay_alu instid0(VALU_DEP_1) | instskip(NEXT) | instid1(VALU_DEP_1)
	v_mul_u64_e32 v[8:9], s[24:25], v[2:3]
	v_add_nc_u32_e32 v1, v2, v9
	s_delay_alu instid0(VALU_DEP_1) | instskip(NEXT) | instid1(VALU_DEP_1)
	v_lshrrev_b32_e32 v1, s1, v1
	v_mul_lo_u32 v1, v1, s11
	s_delay_alu instid0(VALU_DEP_1) | instskip(NEXT) | instid1(VALU_DEP_1)
	v_sub_nc_u32_e32 v1, v2, v1
	v_mad_u32 v4, v1, s15, v4
	v_mad_u32 v6, v1, s22, v6
	;; [unrolled: 1-line block ×3, first 2 shown]
.LBB165_68:
	global_load_b32 v3, v5, s[16:17]
	global_load_b32 v7, v6, s[6:7]
	s_and_not1_b32 vcc_lo, exec_lo, s9
	s_wait_loadcnt 0x1
	v_lshlrev_b32_e32 v1, 16, v3
	s_wait_loadcnt 0x0
	v_lshlrev_b32_e32 v2, 16, v7
	v_and_b32_e32 v3, 0xffff0000, v3
	s_wait_xcnt 0x1
	v_and_b32_e32 v5, 0xffff0000, v7
	s_cbranch_vccnz .LBB165_79
; %bb.69:
	v_cmp_neq_f32_e32 vcc_lo, v2, v1
	s_delay_alu instid0(VALU_DEP_2)
	v_cmp_neq_f32_e64 s0, v5, v3
	s_or_b32 s18, vcc_lo, s0
	s_cbranch_execnz .LBB165_71
.LBB165_70:
	v_cmp_eq_f32_e32 vcc_lo, v2, v1
	s_delay_alu instid0(VALU_DEP_2) | instskip(SKIP_2) | instid1(SALU_CYCLE_1)
	v_cmp_eq_f32_e64 s0, v5, v3
	s_and_not1_b32 s18, s18, exec_lo
	s_and_b32 s0, vcc_lo, s0
	s_and_b32 s0, s0, exec_lo
	s_delay_alu instid0(SALU_CYCLE_1)
	s_or_b32 s18, s18, s0
.LBB165_71:
	s_delay_alu instid0(SALU_CYCLE_1) | instskip(SKIP_4) | instid1(SALU_CYCLE_1)
	v_cndmask_b32_e64 v1, 0, 1, s18
	v_add_nc_u32_e32 v0, 0x80, v0
	global_store_b8 v4, v1, s[4:5]
	s_wait_xcnt 0x0
	s_or_b32 exec_lo, exec_lo, s35
	s_mov_b32 s35, exec_lo
	v_cmpx_gt_i32_e64 s33, v0
	s_cbranch_execz .LBB165_6
.LBB165_72:
	s_and_not1_b32 vcc_lo, exec_lo, s28
	s_cbranch_vccnz .LBB165_78
; %bb.73:
	s_and_not1_b32 vcc_lo, exec_lo, s34
	s_cbranch_vccnz .LBB165_80
; %bb.74:
	v_dual_mov_b32 v4, 0 :: v_dual_mov_b32 v1, v0
	v_dual_mov_b32 v6, 0 :: v_dual_mov_b32 v5, 0
	s_add_co_i32 s0, s31, 1
	s_mov_b64 s[18:19], 0xffffffffffffffe8
	s_and_b32 s0, s0, 30
	s_add_nc_u64 s[18:19], s[2:3], s[18:19]
.LBB165_75:                             ; =>This Inner Loop Header: Depth=1
	s_clause 0x1
	s_load_b128 s[36:39], s[18:19], 0x1c
	s_load_b64 s[44:45], s[18:19], 0x2c
	s_add_co_i32 s0, s0, -2
	s_delay_alu instid0(SALU_CYCLE_1) | instskip(SKIP_2) | instid1(VALU_DEP_1)
	s_cmp_eq_u32 s0, 0
	s_wait_kmcnt 0x0
	v_mul_hi_u32 v2, s37, v1
	v_add_nc_u32_e32 v2, v1, v2
	s_delay_alu instid0(VALU_DEP_1) | instskip(NEXT) | instid1(VALU_DEP_1)
	v_lshrrev_b32_e32 v2, s38, v2
	v_mul_hi_u32 v3, s44, v2
	v_mul_lo_u32 v7, v2, s36
	s_clause 0x1
	s_load_b128 s[40:43], s[18:19], 0xdc
	s_load_b64 s[36:37], s[18:19], 0xec
	s_wait_xcnt 0x0
	s_add_nc_u64 s[18:19], s[18:19], 24
	s_delay_alu instid0(VALU_DEP_2) | instskip(NEXT) | instid1(VALU_DEP_2)
	v_add_nc_u32_e32 v3, v2, v3
	v_sub_nc_u32_e32 v7, v1, v7
	s_delay_alu instid0(VALU_DEP_2) | instskip(SKIP_1) | instid1(VALU_DEP_2)
	v_lshrrev_b32_e32 v1, s45, v3
	s_wait_kmcnt 0x0
	v_mad_u32 v4, v7, s40, v4
	s_delay_alu instid0(VALU_DEP_2) | instskip(SKIP_2) | instid1(VALU_DEP_3)
	v_mul_lo_u32 v3, v1, s39
	v_mad_u32 v5, v7, s42, v5
	v_mad_u32 v6, v7, s41, v6
	v_sub_nc_u32_e32 v2, v2, v3
	s_delay_alu instid0(VALU_DEP_1) | instskip(NEXT) | instid1(VALU_DEP_4)
	v_mad_u32 v4, v2, s43, v4
	v_mad_u32 v5, v2, s37, v5
	s_delay_alu instid0(VALU_DEP_4)
	v_mad_u32 v6, v2, s36, v6
	s_cbranch_scc0 .LBB165_75
; %bb.76:
	s_bitcmp1_b32 s31, 0
	s_cselect_b32 s0, -1, 0
	s_delay_alu instid0(SALU_CYCLE_1)
	s_and_b32 vcc_lo, exec_lo, s0
	s_cbranch_vccnz .LBB165_81
; %bb.77:
	s_clause 0x1
	s_load_b96 s[36:38], s[18:19], 0x1c
	s_load_b96 s[40:42], s[18:19], 0xdc
	s_wait_kmcnt 0x0
	v_mul_hi_u32 v2, s37, v1
	s_delay_alu instid0(VALU_DEP_1) | instskip(NEXT) | instid1(VALU_DEP_1)
	v_add_nc_u32_e32 v2, v1, v2
	v_lshrrev_b32_e32 v2, s38, v2
	s_delay_alu instid0(VALU_DEP_1) | instskip(NEXT) | instid1(VALU_DEP_1)
	v_mul_lo_u32 v2, v2, s36
	v_sub_nc_u32_e32 v1, v1, v2
	s_delay_alu instid0(VALU_DEP_1)
	v_mad_u32 v4, v1, s40, v4
	v_mad_u32 v6, v1, s41, v6
	;; [unrolled: 1-line block ×3, first 2 shown]
	s_branch .LBB165_81
.LBB165_78:
                                        ; implicit-def: $vgpr5
                                        ; implicit-def: $vgpr6
                                        ; implicit-def: $vgpr4
	s_branch .LBB165_82
.LBB165_79:
                                        ; implicit-def: $sgpr18
	s_branch .LBB165_70
.LBB165_80:
	v_dual_mov_b32 v5, 0 :: v_dual_mov_b32 v6, 0
	v_mov_b32_e32 v4, 0
.LBB165_81:
	s_cbranch_execnz .LBB165_84
.LBB165_82:
	v_mov_b32_e32 v1, 0
	s_and_not1_b32 vcc_lo, exec_lo, s30
	s_delay_alu instid0(VALU_DEP_1) | instskip(NEXT) | instid1(VALU_DEP_1)
	v_mul_u64_e32 v[2:3], s[20:21], v[0:1]
	v_add_nc_u32_e32 v2, v0, v3
	s_delay_alu instid0(VALU_DEP_1) | instskip(NEXT) | instid1(VALU_DEP_1)
	v_lshrrev_b32_e32 v2, s10, v2
	v_mul_lo_u32 v3, v2, s8
	s_delay_alu instid0(VALU_DEP_1) | instskip(NEXT) | instid1(VALU_DEP_1)
	v_sub_nc_u32_e32 v3, v0, v3
	v_mul_lo_u32 v4, v3, s12
	v_mul_lo_u32 v5, v3, s14
	;; [unrolled: 1-line block ×3, first 2 shown]
	s_cbranch_vccnz .LBB165_84
; %bb.83:
	v_mov_b32_e32 v3, v1
	s_delay_alu instid0(VALU_DEP_1) | instskip(NEXT) | instid1(VALU_DEP_1)
	v_mul_u64_e32 v[8:9], s[24:25], v[2:3]
	v_add_nc_u32_e32 v1, v2, v9
	s_delay_alu instid0(VALU_DEP_1) | instskip(NEXT) | instid1(VALU_DEP_1)
	v_lshrrev_b32_e32 v1, s1, v1
	v_mul_lo_u32 v1, v1, s11
	s_delay_alu instid0(VALU_DEP_1) | instskip(NEXT) | instid1(VALU_DEP_1)
	v_sub_nc_u32_e32 v1, v2, v1
	v_mad_u32 v4, v1, s15, v4
	v_mad_u32 v6, v1, s22, v6
	;; [unrolled: 1-line block ×3, first 2 shown]
.LBB165_84:
	global_load_b32 v3, v5, s[16:17]
	global_load_b32 v7, v6, s[6:7]
	s_and_not1_b32 vcc_lo, exec_lo, s9
	s_wait_loadcnt 0x1
	v_lshlrev_b32_e32 v1, 16, v3
	s_wait_loadcnt 0x0
	v_lshlrev_b32_e32 v2, 16, v7
	v_and_b32_e32 v3, 0xffff0000, v3
	s_wait_xcnt 0x1
	v_and_b32_e32 v5, 0xffff0000, v7
	s_cbranch_vccnz .LBB165_95
; %bb.85:
	v_cmp_neq_f32_e32 vcc_lo, v2, v1
	s_delay_alu instid0(VALU_DEP_2)
	v_cmp_neq_f32_e64 s0, v5, v3
	s_or_b32 s18, vcc_lo, s0
	s_cbranch_execnz .LBB165_87
.LBB165_86:
	v_cmp_eq_f32_e32 vcc_lo, v2, v1
	s_delay_alu instid0(VALU_DEP_2) | instskip(SKIP_2) | instid1(SALU_CYCLE_1)
	v_cmp_eq_f32_e64 s0, v5, v3
	s_and_not1_b32 s18, s18, exec_lo
	s_and_b32 s0, vcc_lo, s0
	s_and_b32 s0, s0, exec_lo
	s_delay_alu instid0(SALU_CYCLE_1)
	s_or_b32 s18, s18, s0
.LBB165_87:
	s_delay_alu instid0(SALU_CYCLE_1) | instskip(SKIP_4) | instid1(SALU_CYCLE_1)
	v_cndmask_b32_e64 v1, 0, 1, s18
	v_add_nc_u32_e32 v0, 0x80, v0
	global_store_b8 v4, v1, s[4:5]
	s_wait_xcnt 0x0
	s_or_b32 exec_lo, exec_lo, s35
	s_mov_b32 s35, exec_lo
	v_cmpx_gt_i32_e64 s33, v0
	s_cbranch_execz .LBB165_7
.LBB165_88:
	s_and_not1_b32 vcc_lo, exec_lo, s28
	s_cbranch_vccnz .LBB165_94
; %bb.89:
	s_and_not1_b32 vcc_lo, exec_lo, s34
	s_cbranch_vccnz .LBB165_96
; %bb.90:
	v_dual_mov_b32 v4, 0 :: v_dual_mov_b32 v1, v0
	v_dual_mov_b32 v6, 0 :: v_dual_mov_b32 v5, 0
	s_add_co_i32 s0, s31, 1
	s_mov_b64 s[18:19], 0xffffffffffffffe8
	s_and_b32 s0, s0, 30
	s_add_nc_u64 s[18:19], s[2:3], s[18:19]
.LBB165_91:                             ; =>This Inner Loop Header: Depth=1
	s_clause 0x1
	s_load_b128 s[36:39], s[18:19], 0x1c
	s_load_b64 s[44:45], s[18:19], 0x2c
	s_add_co_i32 s0, s0, -2
	s_delay_alu instid0(SALU_CYCLE_1) | instskip(SKIP_2) | instid1(VALU_DEP_1)
	s_cmp_eq_u32 s0, 0
	s_wait_kmcnt 0x0
	v_mul_hi_u32 v2, s37, v1
	v_add_nc_u32_e32 v2, v1, v2
	s_delay_alu instid0(VALU_DEP_1) | instskip(NEXT) | instid1(VALU_DEP_1)
	v_lshrrev_b32_e32 v2, s38, v2
	v_mul_hi_u32 v3, s44, v2
	v_mul_lo_u32 v7, v2, s36
	s_clause 0x1
	s_load_b128 s[40:43], s[18:19], 0xdc
	s_load_b64 s[36:37], s[18:19], 0xec
	s_wait_xcnt 0x0
	s_add_nc_u64 s[18:19], s[18:19], 24
	s_delay_alu instid0(VALU_DEP_2) | instskip(NEXT) | instid1(VALU_DEP_2)
	v_add_nc_u32_e32 v3, v2, v3
	v_sub_nc_u32_e32 v7, v1, v7
	s_delay_alu instid0(VALU_DEP_2) | instskip(SKIP_1) | instid1(VALU_DEP_2)
	v_lshrrev_b32_e32 v1, s45, v3
	s_wait_kmcnt 0x0
	v_mad_u32 v4, v7, s40, v4
	s_delay_alu instid0(VALU_DEP_2) | instskip(SKIP_2) | instid1(VALU_DEP_3)
	v_mul_lo_u32 v3, v1, s39
	v_mad_u32 v5, v7, s42, v5
	v_mad_u32 v6, v7, s41, v6
	v_sub_nc_u32_e32 v2, v2, v3
	s_delay_alu instid0(VALU_DEP_1) | instskip(NEXT) | instid1(VALU_DEP_4)
	v_mad_u32 v4, v2, s43, v4
	v_mad_u32 v5, v2, s37, v5
	s_delay_alu instid0(VALU_DEP_4)
	v_mad_u32 v6, v2, s36, v6
	s_cbranch_scc0 .LBB165_91
; %bb.92:
	s_bitcmp1_b32 s31, 0
	s_cselect_b32 s0, -1, 0
	s_delay_alu instid0(SALU_CYCLE_1)
	s_and_b32 vcc_lo, exec_lo, s0
	s_cbranch_vccnz .LBB165_97
; %bb.93:
	s_clause 0x1
	s_load_b96 s[36:38], s[18:19], 0x1c
	s_load_b96 s[40:42], s[18:19], 0xdc
	s_wait_kmcnt 0x0
	v_mul_hi_u32 v2, s37, v1
	s_delay_alu instid0(VALU_DEP_1) | instskip(NEXT) | instid1(VALU_DEP_1)
	v_add_nc_u32_e32 v2, v1, v2
	v_lshrrev_b32_e32 v2, s38, v2
	s_delay_alu instid0(VALU_DEP_1) | instskip(NEXT) | instid1(VALU_DEP_1)
	v_mul_lo_u32 v2, v2, s36
	v_sub_nc_u32_e32 v1, v1, v2
	s_delay_alu instid0(VALU_DEP_1)
	v_mad_u32 v4, v1, s40, v4
	v_mad_u32 v6, v1, s41, v6
	;; [unrolled: 1-line block ×3, first 2 shown]
	s_branch .LBB165_97
.LBB165_94:
                                        ; implicit-def: $vgpr5
                                        ; implicit-def: $vgpr6
                                        ; implicit-def: $vgpr4
	s_branch .LBB165_98
.LBB165_95:
                                        ; implicit-def: $sgpr18
	s_branch .LBB165_86
.LBB165_96:
	v_dual_mov_b32 v5, 0 :: v_dual_mov_b32 v6, 0
	v_mov_b32_e32 v4, 0
.LBB165_97:
	s_cbranch_execnz .LBB165_100
.LBB165_98:
	v_mov_b32_e32 v1, 0
	s_and_not1_b32 vcc_lo, exec_lo, s30
	s_delay_alu instid0(VALU_DEP_1) | instskip(NEXT) | instid1(VALU_DEP_1)
	v_mul_u64_e32 v[2:3], s[20:21], v[0:1]
	v_add_nc_u32_e32 v2, v0, v3
	s_delay_alu instid0(VALU_DEP_1) | instskip(NEXT) | instid1(VALU_DEP_1)
	v_lshrrev_b32_e32 v2, s10, v2
	v_mul_lo_u32 v3, v2, s8
	s_delay_alu instid0(VALU_DEP_1) | instskip(NEXT) | instid1(VALU_DEP_1)
	v_sub_nc_u32_e32 v3, v0, v3
	v_mul_lo_u32 v4, v3, s12
	v_mul_lo_u32 v5, v3, s14
	;; [unrolled: 1-line block ×3, first 2 shown]
	s_cbranch_vccnz .LBB165_100
; %bb.99:
	v_mov_b32_e32 v3, v1
	s_delay_alu instid0(VALU_DEP_1) | instskip(NEXT) | instid1(VALU_DEP_1)
	v_mul_u64_e32 v[8:9], s[24:25], v[2:3]
	v_add_nc_u32_e32 v1, v2, v9
	s_delay_alu instid0(VALU_DEP_1) | instskip(NEXT) | instid1(VALU_DEP_1)
	v_lshrrev_b32_e32 v1, s1, v1
	v_mul_lo_u32 v1, v1, s11
	s_delay_alu instid0(VALU_DEP_1) | instskip(NEXT) | instid1(VALU_DEP_1)
	v_sub_nc_u32_e32 v1, v2, v1
	v_mad_u32 v4, v1, s15, v4
	v_mad_u32 v6, v1, s22, v6
	;; [unrolled: 1-line block ×3, first 2 shown]
.LBB165_100:
	global_load_b32 v3, v5, s[16:17]
	global_load_b32 v7, v6, s[6:7]
	s_and_not1_b32 vcc_lo, exec_lo, s9
	s_wait_loadcnt 0x1
	v_lshlrev_b32_e32 v1, 16, v3
	s_wait_loadcnt 0x0
	v_lshlrev_b32_e32 v2, 16, v7
	v_and_b32_e32 v3, 0xffff0000, v3
	s_wait_xcnt 0x1
	v_and_b32_e32 v5, 0xffff0000, v7
	s_cbranch_vccnz .LBB165_111
; %bb.101:
	v_cmp_neq_f32_e32 vcc_lo, v2, v1
	s_delay_alu instid0(VALU_DEP_2)
	v_cmp_neq_f32_e64 s0, v5, v3
	s_or_b32 s18, vcc_lo, s0
	s_cbranch_execnz .LBB165_103
.LBB165_102:
	v_cmp_eq_f32_e32 vcc_lo, v2, v1
	s_delay_alu instid0(VALU_DEP_2) | instskip(SKIP_2) | instid1(SALU_CYCLE_1)
	v_cmp_eq_f32_e64 s0, v5, v3
	s_and_not1_b32 s18, s18, exec_lo
	s_and_b32 s0, vcc_lo, s0
	s_and_b32 s0, s0, exec_lo
	s_delay_alu instid0(SALU_CYCLE_1)
	s_or_b32 s18, s18, s0
.LBB165_103:
	s_delay_alu instid0(SALU_CYCLE_1) | instskip(SKIP_4) | instid1(SALU_CYCLE_1)
	v_cndmask_b32_e64 v1, 0, 1, s18
	v_add_nc_u32_e32 v0, 0x80, v0
	global_store_b8 v4, v1, s[4:5]
	s_wait_xcnt 0x0
	s_or_b32 exec_lo, exec_lo, s35
	s_mov_b32 s35, exec_lo
	v_cmpx_gt_i32_e64 s33, v0
	s_cbranch_execz .LBB165_8
.LBB165_104:
	s_and_not1_b32 vcc_lo, exec_lo, s28
	s_cbranch_vccnz .LBB165_110
; %bb.105:
	s_and_not1_b32 vcc_lo, exec_lo, s34
	s_cbranch_vccnz .LBB165_112
; %bb.106:
	v_dual_mov_b32 v4, 0 :: v_dual_mov_b32 v1, v0
	v_dual_mov_b32 v6, 0 :: v_dual_mov_b32 v5, 0
	s_add_co_i32 s0, s31, 1
	s_mov_b64 s[18:19], 0xffffffffffffffe8
	s_and_b32 s0, s0, 30
	s_add_nc_u64 s[18:19], s[2:3], s[18:19]
.LBB165_107:                            ; =>This Inner Loop Header: Depth=1
	s_clause 0x1
	s_load_b128 s[36:39], s[18:19], 0x1c
	s_load_b64 s[44:45], s[18:19], 0x2c
	s_add_co_i32 s0, s0, -2
	s_delay_alu instid0(SALU_CYCLE_1) | instskip(SKIP_2) | instid1(VALU_DEP_1)
	s_cmp_eq_u32 s0, 0
	s_wait_kmcnt 0x0
	v_mul_hi_u32 v2, s37, v1
	v_add_nc_u32_e32 v2, v1, v2
	s_delay_alu instid0(VALU_DEP_1) | instskip(NEXT) | instid1(VALU_DEP_1)
	v_lshrrev_b32_e32 v2, s38, v2
	v_mul_hi_u32 v3, s44, v2
	v_mul_lo_u32 v7, v2, s36
	s_clause 0x1
	s_load_b128 s[40:43], s[18:19], 0xdc
	s_load_b64 s[36:37], s[18:19], 0xec
	s_wait_xcnt 0x0
	s_add_nc_u64 s[18:19], s[18:19], 24
	s_delay_alu instid0(VALU_DEP_2) | instskip(NEXT) | instid1(VALU_DEP_2)
	v_add_nc_u32_e32 v3, v2, v3
	v_sub_nc_u32_e32 v7, v1, v7
	s_delay_alu instid0(VALU_DEP_2) | instskip(SKIP_1) | instid1(VALU_DEP_2)
	v_lshrrev_b32_e32 v1, s45, v3
	s_wait_kmcnt 0x0
	v_mad_u32 v4, v7, s40, v4
	s_delay_alu instid0(VALU_DEP_2) | instskip(SKIP_2) | instid1(VALU_DEP_3)
	v_mul_lo_u32 v3, v1, s39
	v_mad_u32 v5, v7, s42, v5
	v_mad_u32 v6, v7, s41, v6
	v_sub_nc_u32_e32 v2, v2, v3
	s_delay_alu instid0(VALU_DEP_1) | instskip(NEXT) | instid1(VALU_DEP_4)
	v_mad_u32 v4, v2, s43, v4
	v_mad_u32 v5, v2, s37, v5
	s_delay_alu instid0(VALU_DEP_4)
	v_mad_u32 v6, v2, s36, v6
	s_cbranch_scc0 .LBB165_107
; %bb.108:
	s_bitcmp1_b32 s31, 0
	s_cselect_b32 s0, -1, 0
	s_delay_alu instid0(SALU_CYCLE_1)
	s_and_b32 vcc_lo, exec_lo, s0
	s_cbranch_vccnz .LBB165_113
; %bb.109:
	s_clause 0x1
	s_load_b96 s[36:38], s[18:19], 0x1c
	s_load_b96 s[40:42], s[18:19], 0xdc
	s_wait_kmcnt 0x0
	v_mul_hi_u32 v2, s37, v1
	s_delay_alu instid0(VALU_DEP_1) | instskip(NEXT) | instid1(VALU_DEP_1)
	v_add_nc_u32_e32 v2, v1, v2
	v_lshrrev_b32_e32 v2, s38, v2
	s_delay_alu instid0(VALU_DEP_1) | instskip(NEXT) | instid1(VALU_DEP_1)
	v_mul_lo_u32 v2, v2, s36
	v_sub_nc_u32_e32 v1, v1, v2
	s_delay_alu instid0(VALU_DEP_1)
	v_mad_u32 v4, v1, s40, v4
	v_mad_u32 v6, v1, s41, v6
	;; [unrolled: 1-line block ×3, first 2 shown]
	s_branch .LBB165_113
.LBB165_110:
                                        ; implicit-def: $vgpr5
                                        ; implicit-def: $vgpr6
                                        ; implicit-def: $vgpr4
	s_branch .LBB165_114
.LBB165_111:
                                        ; implicit-def: $sgpr18
	s_branch .LBB165_102
.LBB165_112:
	v_dual_mov_b32 v5, 0 :: v_dual_mov_b32 v6, 0
	v_mov_b32_e32 v4, 0
.LBB165_113:
	s_cbranch_execnz .LBB165_116
.LBB165_114:
	v_mov_b32_e32 v1, 0
	s_and_not1_b32 vcc_lo, exec_lo, s30
	s_delay_alu instid0(VALU_DEP_1) | instskip(NEXT) | instid1(VALU_DEP_1)
	v_mul_u64_e32 v[2:3], s[20:21], v[0:1]
	v_add_nc_u32_e32 v2, v0, v3
	s_delay_alu instid0(VALU_DEP_1) | instskip(NEXT) | instid1(VALU_DEP_1)
	v_lshrrev_b32_e32 v2, s10, v2
	v_mul_lo_u32 v3, v2, s8
	s_delay_alu instid0(VALU_DEP_1) | instskip(NEXT) | instid1(VALU_DEP_1)
	v_sub_nc_u32_e32 v3, v0, v3
	v_mul_lo_u32 v4, v3, s12
	v_mul_lo_u32 v5, v3, s14
	;; [unrolled: 1-line block ×3, first 2 shown]
	s_cbranch_vccnz .LBB165_116
; %bb.115:
	v_mov_b32_e32 v3, v1
	s_delay_alu instid0(VALU_DEP_1) | instskip(NEXT) | instid1(VALU_DEP_1)
	v_mul_u64_e32 v[8:9], s[24:25], v[2:3]
	v_add_nc_u32_e32 v1, v2, v9
	s_delay_alu instid0(VALU_DEP_1) | instskip(NEXT) | instid1(VALU_DEP_1)
	v_lshrrev_b32_e32 v1, s1, v1
	v_mul_lo_u32 v1, v1, s11
	s_delay_alu instid0(VALU_DEP_1) | instskip(NEXT) | instid1(VALU_DEP_1)
	v_sub_nc_u32_e32 v1, v2, v1
	v_mad_u32 v4, v1, s15, v4
	v_mad_u32 v6, v1, s22, v6
	v_mad_u32 v5, v1, s23, v5
.LBB165_116:
	global_load_b32 v3, v5, s[16:17]
	global_load_b32 v7, v6, s[6:7]
	s_and_not1_b32 vcc_lo, exec_lo, s9
	s_wait_loadcnt 0x1
	v_lshlrev_b32_e32 v1, 16, v3
	s_wait_loadcnt 0x0
	v_lshlrev_b32_e32 v2, 16, v7
	v_and_b32_e32 v3, 0xffff0000, v3
	s_wait_xcnt 0x1
	v_and_b32_e32 v5, 0xffff0000, v7
	s_cbranch_vccnz .LBB165_127
; %bb.117:
	v_cmp_neq_f32_e32 vcc_lo, v2, v1
	s_delay_alu instid0(VALU_DEP_2)
	v_cmp_neq_f32_e64 s0, v5, v3
	s_or_b32 s18, vcc_lo, s0
	s_cbranch_execnz .LBB165_119
.LBB165_118:
	v_cmp_eq_f32_e32 vcc_lo, v2, v1
	s_delay_alu instid0(VALU_DEP_2) | instskip(SKIP_2) | instid1(SALU_CYCLE_1)
	v_cmp_eq_f32_e64 s0, v5, v3
	s_and_not1_b32 s18, s18, exec_lo
	s_and_b32 s0, vcc_lo, s0
	s_and_b32 s0, s0, exec_lo
	s_delay_alu instid0(SALU_CYCLE_1)
	s_or_b32 s18, s18, s0
.LBB165_119:
	s_delay_alu instid0(SALU_CYCLE_1)
	v_cndmask_b32_e64 v1, 0, 1, s18
	v_add_nc_u32_e32 v0, 0x80, v0
	global_store_b8 v4, v1, s[4:5]
	s_wait_xcnt 0x0
	s_or_b32 exec_lo, exec_lo, s35
	v_cmp_gt_i32_e32 vcc_lo, s33, v0
	s_and_saveexec_b32 s33, vcc_lo
	s_cbranch_execz .LBB165_136
.LBB165_120:
	s_and_not1_b32 vcc_lo, exec_lo, s28
	s_cbranch_vccnz .LBB165_126
; %bb.121:
	s_and_not1_b32 vcc_lo, exec_lo, s34
	s_cbranch_vccnz .LBB165_128
; %bb.122:
	v_dual_mov_b32 v4, 0 :: v_dual_mov_b32 v1, v0
	v_dual_mov_b32 v6, 0 :: v_dual_mov_b32 v5, 0
	s_add_co_i32 s0, s31, 1
	s_mov_b64 s[18:19], 0xffffffffffffffe8
	s_and_b32 s0, s0, 30
	s_add_nc_u64 s[18:19], s[2:3], s[18:19]
.LBB165_123:                            ; =>This Inner Loop Header: Depth=1
	s_clause 0x1
	s_load_b128 s[36:39], s[18:19], 0x1c
	s_load_b64 s[34:35], s[18:19], 0x2c
	s_add_co_i32 s0, s0, -2
	s_delay_alu instid0(SALU_CYCLE_1) | instskip(SKIP_2) | instid1(VALU_DEP_1)
	s_cmp_eq_u32 s0, 0
	s_wait_kmcnt 0x0
	v_mul_hi_u32 v2, s37, v1
	v_add_nc_u32_e32 v2, v1, v2
	s_delay_alu instid0(VALU_DEP_1) | instskip(NEXT) | instid1(VALU_DEP_1)
	v_lshrrev_b32_e32 v2, s38, v2
	v_mul_hi_u32 v3, s34, v2
	v_mul_lo_u32 v7, v2, s36
	s_clause 0x1
	s_load_b128 s[40:43], s[18:19], 0xdc
	s_load_b64 s[36:37], s[18:19], 0xec
	s_wait_xcnt 0x0
	s_add_nc_u64 s[18:19], s[18:19], 24
	s_delay_alu instid0(VALU_DEP_2) | instskip(NEXT) | instid1(VALU_DEP_2)
	v_add_nc_u32_e32 v3, v2, v3
	v_sub_nc_u32_e32 v7, v1, v7
	s_delay_alu instid0(VALU_DEP_2) | instskip(SKIP_1) | instid1(VALU_DEP_2)
	v_lshrrev_b32_e32 v1, s35, v3
	s_wait_kmcnt 0x0
	v_mad_u32 v4, v7, s40, v4
	s_delay_alu instid0(VALU_DEP_2) | instskip(SKIP_2) | instid1(VALU_DEP_3)
	v_mul_lo_u32 v3, v1, s39
	v_mad_u32 v5, v7, s42, v5
	v_mad_u32 v6, v7, s41, v6
	v_sub_nc_u32_e32 v2, v2, v3
	s_delay_alu instid0(VALU_DEP_1) | instskip(NEXT) | instid1(VALU_DEP_4)
	v_mad_u32 v4, v2, s43, v4
	v_mad_u32 v5, v2, s37, v5
	s_delay_alu instid0(VALU_DEP_4)
	v_mad_u32 v6, v2, s36, v6
	s_cbranch_scc0 .LBB165_123
; %bb.124:
	s_bitcmp1_b32 s31, 0
	s_cselect_b32 s0, -1, 0
	s_delay_alu instid0(SALU_CYCLE_1)
	s_and_b32 vcc_lo, exec_lo, s0
	s_cbranch_vccnz .LBB165_129
; %bb.125:
	s_clause 0x1
	s_load_b96 s[36:38], s[18:19], 0x1c
	s_load_b96 s[40:42], s[18:19], 0xdc
	s_wait_kmcnt 0x0
	v_mul_hi_u32 v2, s37, v1
	s_delay_alu instid0(VALU_DEP_1) | instskip(NEXT) | instid1(VALU_DEP_1)
	v_add_nc_u32_e32 v2, v1, v2
	v_lshrrev_b32_e32 v2, s38, v2
	s_delay_alu instid0(VALU_DEP_1) | instskip(NEXT) | instid1(VALU_DEP_1)
	v_mul_lo_u32 v2, v2, s36
	v_sub_nc_u32_e32 v1, v1, v2
	s_delay_alu instid0(VALU_DEP_1)
	v_mad_u32 v4, v1, s40, v4
	v_mad_u32 v6, v1, s41, v6
	;; [unrolled: 1-line block ×3, first 2 shown]
	s_branch .LBB165_129
.LBB165_126:
                                        ; implicit-def: $vgpr5
                                        ; implicit-def: $vgpr6
                                        ; implicit-def: $vgpr4
	s_branch .LBB165_130
.LBB165_127:
                                        ; implicit-def: $sgpr18
	s_branch .LBB165_118
.LBB165_128:
	v_dual_mov_b32 v5, 0 :: v_dual_mov_b32 v6, 0
	v_mov_b32_e32 v4, 0
.LBB165_129:
	s_cbranch_execnz .LBB165_132
.LBB165_130:
	v_mov_b32_e32 v1, 0
	s_and_not1_b32 vcc_lo, exec_lo, s30
	s_delay_alu instid0(VALU_DEP_1) | instskip(NEXT) | instid1(VALU_DEP_1)
	v_mul_u64_e32 v[2:3], s[20:21], v[0:1]
	v_add_nc_u32_e32 v2, v0, v3
	s_delay_alu instid0(VALU_DEP_1) | instskip(NEXT) | instid1(VALU_DEP_1)
	v_lshrrev_b32_e32 v2, s10, v2
	v_mul_lo_u32 v3, v2, s8
	s_delay_alu instid0(VALU_DEP_1) | instskip(NEXT) | instid1(VALU_DEP_1)
	v_sub_nc_u32_e32 v0, v0, v3
	v_mul_lo_u32 v4, v0, s12
	v_mul_lo_u32 v5, v0, s14
	;; [unrolled: 1-line block ×3, first 2 shown]
	s_cbranch_vccnz .LBB165_132
; %bb.131:
	v_mov_b32_e32 v3, v1
	s_delay_alu instid0(VALU_DEP_1) | instskip(NEXT) | instid1(VALU_DEP_1)
	v_mul_u64_e32 v[0:1], s[24:25], v[2:3]
	v_add_nc_u32_e32 v0, v2, v1
	s_delay_alu instid0(VALU_DEP_1) | instskip(NEXT) | instid1(VALU_DEP_1)
	v_lshrrev_b32_e32 v0, s1, v0
	v_mul_lo_u32 v0, v0, s11
	s_delay_alu instid0(VALU_DEP_1) | instskip(NEXT) | instid1(VALU_DEP_1)
	v_sub_nc_u32_e32 v0, v2, v0
	v_mad_u32 v4, v0, s15, v4
	v_mad_u32 v6, v0, s22, v6
	;; [unrolled: 1-line block ×3, first 2 shown]
.LBB165_132:
	global_load_b32 v2, v5, s[16:17]
	global_load_b32 v3, v6, s[6:7]
	s_and_not1_b32 vcc_lo, exec_lo, s9
	s_wait_loadcnt 0x0
	v_dual_lshlrev_b32 v0, 16, v2 :: v_dual_lshlrev_b32 v1, 16, v3
	v_and_b32_e32 v2, 0xffff0000, v2
	v_and_b32_e32 v3, 0xffff0000, v3
	s_cbranch_vccnz .LBB165_149
; %bb.133:
	s_delay_alu instid0(VALU_DEP_3) | instskip(NEXT) | instid1(VALU_DEP_2)
	v_cmp_neq_f32_e32 vcc_lo, v1, v0
	v_cmp_neq_f32_e64 s0, v3, v2
	s_or_b32 s1, vcc_lo, s0
	s_cbranch_execnz .LBB165_135
.LBB165_134:
	v_cmp_eq_f32_e32 vcc_lo, v1, v0
	s_delay_alu instid0(VALU_DEP_2) | instskip(SKIP_2) | instid1(SALU_CYCLE_1)
	v_cmp_eq_f32_e64 s0, v3, v2
	s_and_not1_b32 s1, s1, exec_lo
	s_and_b32 s0, vcc_lo, s0
	s_and_b32 s0, s0, exec_lo
	s_delay_alu instid0(SALU_CYCLE_1)
	s_or_b32 s1, s1, s0
.LBB165_135:
	s_delay_alu instid0(SALU_CYCLE_1)
	v_cndmask_b32_e64 v0, 0, 1, s1
	global_store_b8 v4, v0, s[4:5]
.LBB165_136:
	s_wait_xcnt 0x0
	s_or_b32 exec_lo, exec_lo, s33
                                        ; implicit-def: $vgpr3
                                        ; implicit-def: $vgpr0
.LBB165_137:
	s_and_not1_saveexec_b32 s0, s29
	s_cbranch_execz .LBB165_144
; %bb.138:
	v_cndmask_b32_e64 v9, 0, 1, s28
	s_and_not1_b32 vcc_lo, exec_lo, s28
	s_cbranch_vccnz .LBB165_145
; %bb.139:
	s_cmp_lg_u32 s26, 0
	s_mov_b32 s4, 0
	s_cbranch_scc0 .LBB165_150
; %bb.140:
	s_min_u32 s5, s27, 15
	v_dual_mov_b32 v1, 0 :: v_dual_mov_b32 v2, v0
	v_dual_mov_b32 v5, 0 :: v_dual_mov_b32 v4, 0
	s_add_co_i32 s6, s5, 1
	s_mov_b64 s[0:1], 0xffffffffffffffe8
	s_and_b32 s6, s6, 30
	s_add_nc_u64 s[0:1], s[2:3], s[0:1]
.LBB165_141:                            ; =>This Inner Loop Header: Depth=1
	s_clause 0x1
	s_load_b128 s[8:11], s[0:1], 0x1c
	s_load_b64 s[16:17], s[0:1], 0x2c
	s_add_co_i32 s6, s6, -2
	s_delay_alu instid0(SALU_CYCLE_1) | instskip(SKIP_2) | instid1(VALU_DEP_1)
	s_cmp_lg_u32 s6, 0
	s_wait_kmcnt 0x0
	v_mul_hi_u32 v6, s9, v2
	v_add_nc_u32_e32 v6, v2, v6
	s_delay_alu instid0(VALU_DEP_1) | instskip(NEXT) | instid1(VALU_DEP_1)
	v_lshrrev_b32_e32 v6, s10, v6
	v_mul_hi_u32 v7, s16, v6
	v_mul_lo_u32 v8, v6, s8
	s_clause 0x1
	s_load_b128 s[12:15], s[0:1], 0xdc
	s_load_b64 s[8:9], s[0:1], 0xec
	s_wait_xcnt 0x0
	s_add_nc_u64 s[0:1], s[0:1], 24
	s_delay_alu instid0(VALU_DEP_2) | instskip(NEXT) | instid1(VALU_DEP_1)
	v_add_nc_u32_e32 v7, v6, v7
	v_dual_sub_nc_u32 v8, v2, v8 :: v_dual_lshrrev_b32 v2, s17, v7
	s_wait_kmcnt 0x0
	s_delay_alu instid0(VALU_DEP_1) | instskip(NEXT) | instid1(VALU_DEP_2)
	v_mad_u32 v1, v8, s12, v1
	v_mul_lo_u32 v7, v2, s11
	v_mad_u32 v4, v8, s14, v4
	v_mad_u32 v5, v8, s13, v5
	s_delay_alu instid0(VALU_DEP_3) | instskip(NEXT) | instid1(VALU_DEP_1)
	v_sub_nc_u32_e32 v6, v6, v7
	v_mad_u32 v1, v6, s15, v1
	s_delay_alu instid0(VALU_DEP_4) | instskip(NEXT) | instid1(VALU_DEP_4)
	v_mad_u32 v4, v6, s9, v4
	v_mad_u32 v5, v6, s8, v5
	s_cbranch_scc1 .LBB165_141
; %bb.142:
	s_bitcmp1_b32 s5, 0
	s_cselect_b32 s5, -1, 0
	s_delay_alu instid0(SALU_CYCLE_1)
	s_and_b32 vcc_lo, exec_lo, s5
	s_cbranch_vccnz .LBB165_146
; %bb.143:
	s_clause 0x1
	s_load_b96 s[8:10], s[0:1], 0x1c
	s_load_b96 s[12:14], s[0:1], 0xdc
	s_wait_kmcnt 0x0
	v_mul_hi_u32 v6, s9, v2
	s_delay_alu instid0(VALU_DEP_1) | instskip(NEXT) | instid1(VALU_DEP_1)
	v_add_nc_u32_e32 v6, v2, v6
	v_lshrrev_b32_e32 v6, s10, v6
	s_delay_alu instid0(VALU_DEP_1) | instskip(NEXT) | instid1(VALU_DEP_1)
	v_mul_lo_u32 v6, v6, s8
	v_sub_nc_u32_e32 v2, v2, v6
	s_delay_alu instid0(VALU_DEP_1)
	v_mad_u32 v1, v2, s12, v1
	v_mad_u32 v5, v2, s13, v5
	;; [unrolled: 1-line block ×3, first 2 shown]
	s_and_not1_b32 vcc_lo, exec_lo, s4
	s_cbranch_vccz .LBB165_147
	s_branch .LBB165_151
.LBB165_144:
	s_endpgm
.LBB165_145:
	s_mov_b32 s4, -1
                                        ; implicit-def: $vgpr4
                                        ; implicit-def: $vgpr5
                                        ; implicit-def: $vgpr1
.LBB165_146:
	s_delay_alu instid0(SALU_CYCLE_1)
	s_and_not1_b32 vcc_lo, exec_lo, s4
	s_cbranch_vccnz .LBB165_151
.LBB165_147:
	s_clause 0x1
	s_load_b96 s[4:6], s[2:3], 0x4
	s_load_b96 s[8:10], s[2:3], 0xc4
	s_cmp_lt_u32 s26, 2
	s_wait_kmcnt 0x0
	v_mul_hi_u32 v1, s5, v0
	s_delay_alu instid0(VALU_DEP_1) | instskip(NEXT) | instid1(VALU_DEP_1)
	v_add_nc_u32_e32 v1, v0, v1
	v_lshrrev_b32_e32 v2, s6, v1
	s_delay_alu instid0(VALU_DEP_1) | instskip(NEXT) | instid1(VALU_DEP_1)
	v_mul_lo_u32 v1, v2, s4
	v_sub_nc_u32_e32 v5, v0, v1
	s_delay_alu instid0(VALU_DEP_1)
	v_mul_lo_u32 v1, v5, s8
	v_mul_lo_u32 v4, v5, s10
	;; [unrolled: 1-line block ×3, first 2 shown]
	s_cbranch_scc1 .LBB165_151
; %bb.148:
	s_clause 0x1
	s_load_b96 s[4:6], s[2:3], 0x10
	s_load_b96 s[8:10], s[2:3], 0xd0
	s_wait_kmcnt 0x0
	v_mul_hi_u32 v6, s5, v2
	s_delay_alu instid0(VALU_DEP_1) | instskip(NEXT) | instid1(VALU_DEP_1)
	v_add_nc_u32_e32 v6, v2, v6
	v_lshrrev_b32_e32 v6, s6, v6
	s_delay_alu instid0(VALU_DEP_1) | instskip(NEXT) | instid1(VALU_DEP_1)
	v_mul_lo_u32 v6, v6, s4
	v_sub_nc_u32_e32 v2, v2, v6
	s_delay_alu instid0(VALU_DEP_1)
	v_mad_u32 v1, v2, s8, v1
	v_mad_u32 v5, v2, s9, v5
	;; [unrolled: 1-line block ×3, first 2 shown]
	s_branch .LBB165_151
.LBB165_149:
                                        ; implicit-def: $sgpr1
	s_branch .LBB165_134
.LBB165_150:
	v_dual_mov_b32 v4, 0 :: v_dual_mov_b32 v5, 0
	v_mov_b32_e32 v1, 0
	s_and_not1_b32 vcc_lo, exec_lo, s4
	s_cbranch_vccz .LBB165_147
.LBB165_151:
	v_cmp_ne_u32_e32 vcc_lo, 1, v9
	v_add_nc_u32_e32 v6, 0x80, v0
	s_cbranch_vccnz .LBB165_157
; %bb.152:
	s_cmp_lg_u32 s26, 0
	s_mov_b32 s4, 0
	s_cbranch_scc0 .LBB165_161
; %bb.153:
	s_min_u32 s5, s27, 15
	v_dual_mov_b32 v2, 0 :: v_dual_mov_b32 v10, v6
	v_dual_mov_b32 v8, 0 :: v_dual_mov_b32 v7, 0
	s_add_co_i32 s6, s5, 1
	s_mov_b64 s[0:1], 0xffffffffffffffe8
	s_and_b32 s6, s6, 30
	s_add_nc_u64 s[0:1], s[2:3], s[0:1]
.LBB165_154:                            ; =>This Inner Loop Header: Depth=1
	s_clause 0x1
	s_load_b128 s[8:11], s[0:1], 0x1c
	s_load_b64 s[16:17], s[0:1], 0x2c
	s_add_co_i32 s6, s6, -2
	s_delay_alu instid0(SALU_CYCLE_1) | instskip(SKIP_2) | instid1(VALU_DEP_1)
	s_cmp_lg_u32 s6, 0
	s_wait_kmcnt 0x0
	v_mul_hi_u32 v11, s9, v10
	v_add_nc_u32_e32 v11, v10, v11
	s_delay_alu instid0(VALU_DEP_1) | instskip(NEXT) | instid1(VALU_DEP_1)
	v_lshrrev_b32_e32 v11, s10, v11
	v_mul_hi_u32 v12, s16, v11
	v_mul_lo_u32 v13, v11, s8
	s_clause 0x1
	s_load_b128 s[12:15], s[0:1], 0xdc
	s_load_b64 s[8:9], s[0:1], 0xec
	s_wait_xcnt 0x0
	s_add_nc_u64 s[0:1], s[0:1], 24
	s_delay_alu instid0(VALU_DEP_1) | instskip(NEXT) | instid1(VALU_DEP_1)
	v_dual_add_nc_u32 v12, v11, v12 :: v_dual_sub_nc_u32 v13, v10, v13
	v_lshrrev_b32_e32 v10, s17, v12
	s_wait_kmcnt 0x0
	s_delay_alu instid0(VALU_DEP_2) | instskip(NEXT) | instid1(VALU_DEP_2)
	v_mad_u32 v2, v13, s12, v2
	v_mul_lo_u32 v12, v10, s11
	v_mad_u32 v7, v13, s14, v7
	v_mad_u32 v8, v13, s13, v8
	s_delay_alu instid0(VALU_DEP_3) | instskip(NEXT) | instid1(VALU_DEP_1)
	v_sub_nc_u32_e32 v11, v11, v12
	v_mad_u32 v2, v11, s15, v2
	s_delay_alu instid0(VALU_DEP_4) | instskip(NEXT) | instid1(VALU_DEP_4)
	v_mad_u32 v7, v11, s9, v7
	v_mad_u32 v8, v11, s8, v8
	s_cbranch_scc1 .LBB165_154
; %bb.155:
	s_bitcmp1_b32 s5, 0
	s_cselect_b32 s5, -1, 0
	s_delay_alu instid0(SALU_CYCLE_1)
	s_and_b32 vcc_lo, exec_lo, s5
	s_cbranch_vccnz .LBB165_158
; %bb.156:
	s_clause 0x1
	s_load_b96 s[8:10], s[0:1], 0x1c
	s_load_b96 s[12:14], s[0:1], 0xdc
	s_wait_kmcnt 0x0
	v_mul_hi_u32 v11, s9, v10
	s_delay_alu instid0(VALU_DEP_1) | instskip(NEXT) | instid1(VALU_DEP_1)
	v_add_nc_u32_e32 v11, v10, v11
	v_lshrrev_b32_e32 v11, s10, v11
	s_delay_alu instid0(VALU_DEP_1) | instskip(NEXT) | instid1(VALU_DEP_1)
	v_mul_lo_u32 v11, v11, s8
	v_sub_nc_u32_e32 v10, v10, v11
	s_delay_alu instid0(VALU_DEP_1)
	v_mad_u32 v2, v10, s12, v2
	v_mad_u32 v8, v10, s13, v8
	;; [unrolled: 1-line block ×3, first 2 shown]
	s_and_not1_b32 vcc_lo, exec_lo, s4
	s_cbranch_vccz .LBB165_159
	s_branch .LBB165_162
.LBB165_157:
	s_mov_b32 s4, -1
                                        ; implicit-def: $vgpr7
                                        ; implicit-def: $vgpr8
                                        ; implicit-def: $vgpr2
.LBB165_158:
	s_delay_alu instid0(SALU_CYCLE_1)
	s_and_not1_b32 vcc_lo, exec_lo, s4
	s_cbranch_vccnz .LBB165_162
.LBB165_159:
	s_clause 0x1
	s_load_b96 s[4:6], s[2:3], 0x4
	s_load_b96 s[8:10], s[2:3], 0xc4
	s_cmp_lt_u32 s26, 2
	s_wait_kmcnt 0x0
	v_mul_hi_u32 v2, s5, v6
	s_delay_alu instid0(VALU_DEP_1) | instskip(NEXT) | instid1(VALU_DEP_1)
	v_add_nc_u32_e32 v2, v6, v2
	v_lshrrev_b32_e32 v10, s6, v2
	s_delay_alu instid0(VALU_DEP_1) | instskip(NEXT) | instid1(VALU_DEP_1)
	v_mul_lo_u32 v2, v10, s4
	v_sub_nc_u32_e32 v6, v6, v2
	s_delay_alu instid0(VALU_DEP_1)
	v_mul_lo_u32 v2, v6, s8
	v_mul_lo_u32 v7, v6, s10
	v_mul_lo_u32 v8, v6, s9
	s_cbranch_scc1 .LBB165_162
; %bb.160:
	s_clause 0x1
	s_load_b96 s[4:6], s[2:3], 0x10
	s_load_b96 s[8:10], s[2:3], 0xd0
	s_wait_kmcnt 0x0
	v_mul_hi_u32 v6, s5, v10
	s_delay_alu instid0(VALU_DEP_1) | instskip(NEXT) | instid1(VALU_DEP_1)
	v_add_nc_u32_e32 v6, v10, v6
	v_lshrrev_b32_e32 v6, s6, v6
	s_delay_alu instid0(VALU_DEP_1) | instskip(NEXT) | instid1(VALU_DEP_1)
	v_mul_lo_u32 v6, v6, s4
	v_sub_nc_u32_e32 v6, v10, v6
	s_delay_alu instid0(VALU_DEP_1)
	v_mad_u32 v2, v6, s8, v2
	v_mad_u32 v8, v6, s9, v8
	;; [unrolled: 1-line block ×3, first 2 shown]
	s_branch .LBB165_162
.LBB165_161:
	v_dual_mov_b32 v7, 0 :: v_dual_mov_b32 v8, 0
	v_mov_b32_e32 v2, 0
	s_and_not1_b32 vcc_lo, exec_lo, s4
	s_cbranch_vccz .LBB165_159
.LBB165_162:
	v_cmp_ne_u32_e32 vcc_lo, 1, v9
	v_add_nc_u32_e32 v10, 0x100, v0
	s_cbranch_vccnz .LBB165_168
; %bb.163:
	s_cmp_lg_u32 s26, 0
	s_mov_b32 s4, 0
	s_cbranch_scc0 .LBB165_172
; %bb.164:
	s_min_u32 s5, s27, 15
	v_dual_mov_b32 v6, 0 :: v_dual_mov_b32 v13, v10
	v_dual_mov_b32 v12, 0 :: v_dual_mov_b32 v11, 0
	s_add_co_i32 s6, s5, 1
	s_mov_b64 s[0:1], 0xffffffffffffffe8
	s_and_b32 s6, s6, 30
	s_add_nc_u64 s[0:1], s[2:3], s[0:1]
.LBB165_165:                            ; =>This Inner Loop Header: Depth=1
	s_clause 0x1
	s_load_b128 s[8:11], s[0:1], 0x1c
	s_load_b64 s[16:17], s[0:1], 0x2c
	s_add_co_i32 s6, s6, -2
	s_delay_alu instid0(SALU_CYCLE_1) | instskip(SKIP_2) | instid1(VALU_DEP_1)
	s_cmp_lg_u32 s6, 0
	s_wait_kmcnt 0x0
	v_mul_hi_u32 v14, s9, v13
	v_add_nc_u32_e32 v14, v13, v14
	s_delay_alu instid0(VALU_DEP_1) | instskip(NEXT) | instid1(VALU_DEP_1)
	v_lshrrev_b32_e32 v14, s10, v14
	v_mul_hi_u32 v15, s16, v14
	v_mul_lo_u32 v16, v14, s8
	s_clause 0x1
	s_load_b128 s[12:15], s[0:1], 0xdc
	s_load_b64 s[8:9], s[0:1], 0xec
	s_wait_xcnt 0x0
	s_add_nc_u64 s[0:1], s[0:1], 24
	s_delay_alu instid0(VALU_DEP_1) | instskip(NEXT) | instid1(VALU_DEP_1)
	v_dual_add_nc_u32 v15, v14, v15 :: v_dual_sub_nc_u32 v16, v13, v16
	v_lshrrev_b32_e32 v13, s17, v15
	s_wait_kmcnt 0x0
	s_delay_alu instid0(VALU_DEP_2) | instskip(NEXT) | instid1(VALU_DEP_2)
	v_mad_u32 v6, v16, s12, v6
	v_mul_lo_u32 v15, v13, s11
	v_mad_u32 v11, v16, s14, v11
	v_mad_u32 v12, v16, s13, v12
	s_delay_alu instid0(VALU_DEP_3) | instskip(NEXT) | instid1(VALU_DEP_1)
	v_sub_nc_u32_e32 v14, v14, v15
	v_mad_u32 v6, v14, s15, v6
	s_delay_alu instid0(VALU_DEP_4) | instskip(NEXT) | instid1(VALU_DEP_4)
	v_mad_u32 v11, v14, s9, v11
	v_mad_u32 v12, v14, s8, v12
	s_cbranch_scc1 .LBB165_165
; %bb.166:
	s_bitcmp1_b32 s5, 0
	s_cselect_b32 s5, -1, 0
	s_delay_alu instid0(SALU_CYCLE_1)
	s_and_b32 vcc_lo, exec_lo, s5
	s_cbranch_vccnz .LBB165_169
; %bb.167:
	s_clause 0x1
	s_load_b96 s[8:10], s[0:1], 0x1c
	s_load_b96 s[12:14], s[0:1], 0xdc
	s_wait_kmcnt 0x0
	v_mul_hi_u32 v14, s9, v13
	s_delay_alu instid0(VALU_DEP_1) | instskip(NEXT) | instid1(VALU_DEP_1)
	v_add_nc_u32_e32 v14, v13, v14
	v_lshrrev_b32_e32 v14, s10, v14
	s_delay_alu instid0(VALU_DEP_1) | instskip(NEXT) | instid1(VALU_DEP_1)
	v_mul_lo_u32 v14, v14, s8
	v_sub_nc_u32_e32 v13, v13, v14
	s_delay_alu instid0(VALU_DEP_1)
	v_mad_u32 v6, v13, s12, v6
	v_mad_u32 v12, v13, s13, v12
	;; [unrolled: 1-line block ×3, first 2 shown]
	s_and_not1_b32 vcc_lo, exec_lo, s4
	s_cbranch_vccz .LBB165_170
	s_branch .LBB165_173
.LBB165_168:
	s_mov_b32 s4, -1
                                        ; implicit-def: $vgpr11
                                        ; implicit-def: $vgpr12
                                        ; implicit-def: $vgpr6
.LBB165_169:
	s_delay_alu instid0(SALU_CYCLE_1)
	s_and_not1_b32 vcc_lo, exec_lo, s4
	s_cbranch_vccnz .LBB165_173
.LBB165_170:
	s_clause 0x1
	s_load_b96 s[4:6], s[2:3], 0x4
	s_load_b96 s[8:10], s[2:3], 0xc4
	s_cmp_lt_u32 s26, 2
	s_wait_kmcnt 0x0
	v_mul_hi_u32 v6, s5, v10
	s_delay_alu instid0(VALU_DEP_1) | instskip(NEXT) | instid1(VALU_DEP_1)
	v_add_nc_u32_e32 v6, v10, v6
	v_lshrrev_b32_e32 v13, s6, v6
	s_delay_alu instid0(VALU_DEP_1) | instskip(NEXT) | instid1(VALU_DEP_1)
	v_mul_lo_u32 v6, v13, s4
	v_sub_nc_u32_e32 v10, v10, v6
	s_delay_alu instid0(VALU_DEP_1)
	v_mul_lo_u32 v6, v10, s8
	v_mul_lo_u32 v11, v10, s10
	;; [unrolled: 1-line block ×3, first 2 shown]
	s_cbranch_scc1 .LBB165_173
; %bb.171:
	s_clause 0x1
	s_load_b96 s[4:6], s[2:3], 0x10
	s_load_b96 s[8:10], s[2:3], 0xd0
	s_wait_kmcnt 0x0
	v_mul_hi_u32 v10, s5, v13
	s_delay_alu instid0(VALU_DEP_1) | instskip(NEXT) | instid1(VALU_DEP_1)
	v_add_nc_u32_e32 v10, v13, v10
	v_lshrrev_b32_e32 v10, s6, v10
	s_delay_alu instid0(VALU_DEP_1) | instskip(NEXT) | instid1(VALU_DEP_1)
	v_mul_lo_u32 v10, v10, s4
	v_sub_nc_u32_e32 v10, v13, v10
	s_delay_alu instid0(VALU_DEP_1)
	v_mad_u32 v6, v10, s8, v6
	v_mad_u32 v12, v10, s9, v12
	;; [unrolled: 1-line block ×3, first 2 shown]
	s_branch .LBB165_173
.LBB165_172:
	v_dual_mov_b32 v11, 0 :: v_dual_mov_b32 v12, 0
	v_mov_b32_e32 v6, 0
	s_and_not1_b32 vcc_lo, exec_lo, s4
	s_cbranch_vccz .LBB165_170
.LBB165_173:
	v_cmp_ne_u32_e32 vcc_lo, 1, v9
	v_add_nc_u32_e32 v13, 0x180, v0
	s_cbranch_vccnz .LBB165_179
; %bb.174:
	s_cmp_lg_u32 s26, 0
	s_mov_b32 s4, 0
	s_cbranch_scc0 .LBB165_183
; %bb.175:
	s_min_u32 s5, s27, 15
	v_dual_mov_b32 v10, 0 :: v_dual_mov_b32 v16, v13
	v_dual_mov_b32 v15, 0 :: v_dual_mov_b32 v14, 0
	s_add_co_i32 s6, s5, 1
	s_mov_b64 s[0:1], 0xffffffffffffffe8
	s_and_b32 s6, s6, 30
	s_add_nc_u64 s[0:1], s[2:3], s[0:1]
.LBB165_176:                            ; =>This Inner Loop Header: Depth=1
	s_clause 0x1
	s_load_b128 s[8:11], s[0:1], 0x1c
	s_load_b64 s[16:17], s[0:1], 0x2c
	s_add_co_i32 s6, s6, -2
	s_delay_alu instid0(SALU_CYCLE_1) | instskip(SKIP_2) | instid1(VALU_DEP_1)
	s_cmp_lg_u32 s6, 0
	s_wait_kmcnt 0x0
	v_mul_hi_u32 v17, s9, v16
	v_add_nc_u32_e32 v17, v16, v17
	s_delay_alu instid0(VALU_DEP_1) | instskip(NEXT) | instid1(VALU_DEP_1)
	v_lshrrev_b32_e32 v17, s10, v17
	v_mul_hi_u32 v18, s16, v17
	v_mul_lo_u32 v19, v17, s8
	s_clause 0x1
	s_load_b128 s[12:15], s[0:1], 0xdc
	s_load_b64 s[8:9], s[0:1], 0xec
	s_wait_xcnt 0x0
	s_add_nc_u64 s[0:1], s[0:1], 24
	s_delay_alu instid0(VALU_DEP_1) | instskip(NEXT) | instid1(VALU_DEP_1)
	v_dual_add_nc_u32 v18, v17, v18 :: v_dual_sub_nc_u32 v19, v16, v19
	v_lshrrev_b32_e32 v16, s17, v18
	s_wait_kmcnt 0x0
	s_delay_alu instid0(VALU_DEP_2) | instskip(NEXT) | instid1(VALU_DEP_2)
	v_mad_u32 v10, v19, s12, v10
	v_mul_lo_u32 v18, v16, s11
	v_mad_u32 v14, v19, s14, v14
	v_mad_u32 v15, v19, s13, v15
	s_delay_alu instid0(VALU_DEP_3) | instskip(NEXT) | instid1(VALU_DEP_1)
	v_sub_nc_u32_e32 v17, v17, v18
	v_mad_u32 v10, v17, s15, v10
	s_delay_alu instid0(VALU_DEP_4) | instskip(NEXT) | instid1(VALU_DEP_4)
	v_mad_u32 v14, v17, s9, v14
	v_mad_u32 v15, v17, s8, v15
	s_cbranch_scc1 .LBB165_176
; %bb.177:
	s_bitcmp1_b32 s5, 0
	s_cselect_b32 s5, -1, 0
	s_delay_alu instid0(SALU_CYCLE_1)
	s_and_b32 vcc_lo, exec_lo, s5
	s_cbranch_vccnz .LBB165_180
; %bb.178:
	s_clause 0x1
	s_load_b96 s[8:10], s[0:1], 0x1c
	s_load_b96 s[12:14], s[0:1], 0xdc
	s_wait_kmcnt 0x0
	v_mul_hi_u32 v17, s9, v16
	s_delay_alu instid0(VALU_DEP_1) | instskip(NEXT) | instid1(VALU_DEP_1)
	v_add_nc_u32_e32 v17, v16, v17
	v_lshrrev_b32_e32 v17, s10, v17
	s_delay_alu instid0(VALU_DEP_1) | instskip(NEXT) | instid1(VALU_DEP_1)
	v_mul_lo_u32 v17, v17, s8
	v_sub_nc_u32_e32 v16, v16, v17
	s_delay_alu instid0(VALU_DEP_1)
	v_mad_u32 v10, v16, s12, v10
	v_mad_u32 v15, v16, s13, v15
	;; [unrolled: 1-line block ×3, first 2 shown]
	s_and_not1_b32 vcc_lo, exec_lo, s4
	s_cbranch_vccz .LBB165_181
	s_branch .LBB165_184
.LBB165_179:
	s_mov_b32 s4, -1
                                        ; implicit-def: $vgpr14
                                        ; implicit-def: $vgpr15
                                        ; implicit-def: $vgpr10
.LBB165_180:
	s_delay_alu instid0(SALU_CYCLE_1)
	s_and_not1_b32 vcc_lo, exec_lo, s4
	s_cbranch_vccnz .LBB165_184
.LBB165_181:
	s_clause 0x1
	s_load_b96 s[4:6], s[2:3], 0x4
	s_load_b96 s[8:10], s[2:3], 0xc4
	s_cmp_lt_u32 s26, 2
	s_wait_kmcnt 0x0
	v_mul_hi_u32 v10, s5, v13
	s_delay_alu instid0(VALU_DEP_1) | instskip(NEXT) | instid1(VALU_DEP_1)
	v_add_nc_u32_e32 v10, v13, v10
	v_lshrrev_b32_e32 v16, s6, v10
	s_delay_alu instid0(VALU_DEP_1) | instskip(NEXT) | instid1(VALU_DEP_1)
	v_mul_lo_u32 v10, v16, s4
	v_sub_nc_u32_e32 v13, v13, v10
	s_delay_alu instid0(VALU_DEP_1)
	v_mul_lo_u32 v10, v13, s8
	v_mul_lo_u32 v14, v13, s10
	;; [unrolled: 1-line block ×3, first 2 shown]
	s_cbranch_scc1 .LBB165_184
; %bb.182:
	s_clause 0x1
	s_load_b96 s[4:6], s[2:3], 0x10
	s_load_b96 s[8:10], s[2:3], 0xd0
	s_wait_kmcnt 0x0
	v_mul_hi_u32 v13, s5, v16
	s_delay_alu instid0(VALU_DEP_1) | instskip(NEXT) | instid1(VALU_DEP_1)
	v_add_nc_u32_e32 v13, v16, v13
	v_lshrrev_b32_e32 v13, s6, v13
	s_delay_alu instid0(VALU_DEP_1) | instskip(NEXT) | instid1(VALU_DEP_1)
	v_mul_lo_u32 v13, v13, s4
	v_sub_nc_u32_e32 v13, v16, v13
	s_delay_alu instid0(VALU_DEP_1)
	v_mad_u32 v10, v13, s8, v10
	v_mad_u32 v15, v13, s9, v15
	;; [unrolled: 1-line block ×3, first 2 shown]
	s_branch .LBB165_184
.LBB165_183:
	v_dual_mov_b32 v14, 0 :: v_dual_mov_b32 v15, 0
	v_mov_b32_e32 v10, 0
	s_and_not1_b32 vcc_lo, exec_lo, s4
	s_cbranch_vccz .LBB165_181
.LBB165_184:
	v_cmp_ne_u32_e32 vcc_lo, 1, v9
	v_add_nc_u32_e32 v16, 0x200, v0
	s_cbranch_vccnz .LBB165_190
; %bb.185:
	s_cmp_lg_u32 s26, 0
	s_mov_b32 s4, 0
	s_cbranch_scc0 .LBB165_194
; %bb.186:
	s_min_u32 s5, s27, 15
	v_dual_mov_b32 v13, 0 :: v_dual_mov_b32 v19, v16
	v_dual_mov_b32 v18, 0 :: v_dual_mov_b32 v17, 0
	s_add_co_i32 s6, s5, 1
	s_mov_b64 s[0:1], 0xffffffffffffffe8
	s_and_b32 s6, s6, 30
	s_add_nc_u64 s[0:1], s[2:3], s[0:1]
.LBB165_187:                            ; =>This Inner Loop Header: Depth=1
	s_clause 0x1
	s_load_b128 s[8:11], s[0:1], 0x1c
	s_load_b64 s[16:17], s[0:1], 0x2c
	s_add_co_i32 s6, s6, -2
	s_delay_alu instid0(SALU_CYCLE_1) | instskip(SKIP_2) | instid1(VALU_DEP_1)
	s_cmp_lg_u32 s6, 0
	s_wait_kmcnt 0x0
	v_mul_hi_u32 v20, s9, v19
	v_add_nc_u32_e32 v20, v19, v20
	s_delay_alu instid0(VALU_DEP_1) | instskip(NEXT) | instid1(VALU_DEP_1)
	v_lshrrev_b32_e32 v20, s10, v20
	v_mul_hi_u32 v21, s16, v20
	v_mul_lo_u32 v22, v20, s8
	s_clause 0x1
	s_load_b128 s[12:15], s[0:1], 0xdc
	s_load_b64 s[8:9], s[0:1], 0xec
	s_wait_xcnt 0x0
	s_add_nc_u64 s[0:1], s[0:1], 24
	s_delay_alu instid0(VALU_DEP_1) | instskip(NEXT) | instid1(VALU_DEP_1)
	v_dual_add_nc_u32 v21, v20, v21 :: v_dual_sub_nc_u32 v22, v19, v22
	v_lshrrev_b32_e32 v19, s17, v21
	s_wait_kmcnt 0x0
	s_delay_alu instid0(VALU_DEP_2) | instskip(NEXT) | instid1(VALU_DEP_2)
	v_mad_u32 v13, v22, s12, v13
	v_mul_lo_u32 v21, v19, s11
	v_mad_u32 v17, v22, s14, v17
	v_mad_u32 v18, v22, s13, v18
	s_delay_alu instid0(VALU_DEP_3) | instskip(NEXT) | instid1(VALU_DEP_1)
	v_sub_nc_u32_e32 v20, v20, v21
	v_mad_u32 v13, v20, s15, v13
	s_delay_alu instid0(VALU_DEP_4) | instskip(NEXT) | instid1(VALU_DEP_4)
	v_mad_u32 v17, v20, s9, v17
	v_mad_u32 v18, v20, s8, v18
	s_cbranch_scc1 .LBB165_187
; %bb.188:
	s_bitcmp1_b32 s5, 0
	s_cselect_b32 s5, -1, 0
	s_delay_alu instid0(SALU_CYCLE_1)
	s_and_b32 vcc_lo, exec_lo, s5
	s_cbranch_vccnz .LBB165_191
; %bb.189:
	s_clause 0x1
	s_load_b96 s[8:10], s[0:1], 0x1c
	s_load_b96 s[12:14], s[0:1], 0xdc
	s_wait_kmcnt 0x0
	v_mul_hi_u32 v20, s9, v19
	s_delay_alu instid0(VALU_DEP_1) | instskip(NEXT) | instid1(VALU_DEP_1)
	v_add_nc_u32_e32 v20, v19, v20
	v_lshrrev_b32_e32 v20, s10, v20
	s_delay_alu instid0(VALU_DEP_1) | instskip(NEXT) | instid1(VALU_DEP_1)
	v_mul_lo_u32 v20, v20, s8
	v_sub_nc_u32_e32 v19, v19, v20
	s_delay_alu instid0(VALU_DEP_1)
	v_mad_u32 v13, v19, s12, v13
	v_mad_u32 v18, v19, s13, v18
	;; [unrolled: 1-line block ×3, first 2 shown]
	s_and_not1_b32 vcc_lo, exec_lo, s4
	s_cbranch_vccz .LBB165_192
	s_branch .LBB165_195
.LBB165_190:
	s_mov_b32 s4, -1
                                        ; implicit-def: $vgpr17
                                        ; implicit-def: $vgpr18
                                        ; implicit-def: $vgpr13
.LBB165_191:
	s_delay_alu instid0(SALU_CYCLE_1)
	s_and_not1_b32 vcc_lo, exec_lo, s4
	s_cbranch_vccnz .LBB165_195
.LBB165_192:
	s_clause 0x1
	s_load_b96 s[4:6], s[2:3], 0x4
	s_load_b96 s[8:10], s[2:3], 0xc4
	s_cmp_lt_u32 s26, 2
	s_wait_kmcnt 0x0
	v_mul_hi_u32 v13, s5, v16
	s_delay_alu instid0(VALU_DEP_1) | instskip(NEXT) | instid1(VALU_DEP_1)
	v_add_nc_u32_e32 v13, v16, v13
	v_lshrrev_b32_e32 v19, s6, v13
	s_delay_alu instid0(VALU_DEP_1) | instskip(NEXT) | instid1(VALU_DEP_1)
	v_mul_lo_u32 v13, v19, s4
	v_sub_nc_u32_e32 v16, v16, v13
	s_delay_alu instid0(VALU_DEP_1)
	v_mul_lo_u32 v13, v16, s8
	v_mul_lo_u32 v17, v16, s10
	;; [unrolled: 1-line block ×3, first 2 shown]
	s_cbranch_scc1 .LBB165_195
; %bb.193:
	s_clause 0x1
	s_load_b96 s[4:6], s[2:3], 0x10
	s_load_b96 s[8:10], s[2:3], 0xd0
	s_wait_kmcnt 0x0
	v_mul_hi_u32 v16, s5, v19
	s_delay_alu instid0(VALU_DEP_1) | instskip(NEXT) | instid1(VALU_DEP_1)
	v_add_nc_u32_e32 v16, v19, v16
	v_lshrrev_b32_e32 v16, s6, v16
	s_delay_alu instid0(VALU_DEP_1) | instskip(NEXT) | instid1(VALU_DEP_1)
	v_mul_lo_u32 v16, v16, s4
	v_sub_nc_u32_e32 v16, v19, v16
	s_delay_alu instid0(VALU_DEP_1)
	v_mad_u32 v13, v16, s8, v13
	v_mad_u32 v18, v16, s9, v18
	;; [unrolled: 1-line block ×3, first 2 shown]
	s_branch .LBB165_195
.LBB165_194:
	v_dual_mov_b32 v17, 0 :: v_dual_mov_b32 v18, 0
	v_mov_b32_e32 v13, 0
	s_and_not1_b32 vcc_lo, exec_lo, s4
	s_cbranch_vccz .LBB165_192
.LBB165_195:
	v_cmp_ne_u32_e32 vcc_lo, 1, v9
	v_add_nc_u32_e32 v21, 0x280, v0
	s_cbranch_vccnz .LBB165_201
; %bb.196:
	s_cmp_lg_u32 s26, 0
	s_mov_b32 s4, 0
	s_cbranch_scc0 .LBB165_205
; %bb.197:
	s_min_u32 s5, s27, 15
	v_dual_mov_b32 v16, 0 :: v_dual_mov_b32 v22, v21
	v_dual_mov_b32 v20, 0 :: v_dual_mov_b32 v19, 0
	s_add_co_i32 s6, s5, 1
	s_mov_b64 s[0:1], 0xffffffffffffffe8
	s_and_b32 s6, s6, 30
	s_add_nc_u64 s[0:1], s[2:3], s[0:1]
.LBB165_198:                            ; =>This Inner Loop Header: Depth=1
	s_clause 0x1
	s_load_b128 s[8:11], s[0:1], 0x1c
	s_load_b64 s[16:17], s[0:1], 0x2c
	s_add_co_i32 s6, s6, -2
	s_delay_alu instid0(SALU_CYCLE_1) | instskip(SKIP_2) | instid1(VALU_DEP_1)
	s_cmp_lg_u32 s6, 0
	s_wait_kmcnt 0x0
	v_mul_hi_u32 v23, s9, v22
	v_add_nc_u32_e32 v23, v22, v23
	s_delay_alu instid0(VALU_DEP_1) | instskip(NEXT) | instid1(VALU_DEP_1)
	v_lshrrev_b32_e32 v23, s10, v23
	v_mul_hi_u32 v24, s16, v23
	v_mul_lo_u32 v25, v23, s8
	s_clause 0x1
	s_load_b128 s[12:15], s[0:1], 0xdc
	s_load_b64 s[8:9], s[0:1], 0xec
	s_wait_xcnt 0x0
	s_add_nc_u64 s[0:1], s[0:1], 24
	s_delay_alu instid0(VALU_DEP_1) | instskip(NEXT) | instid1(VALU_DEP_1)
	v_dual_add_nc_u32 v24, v23, v24 :: v_dual_sub_nc_u32 v25, v22, v25
	v_lshrrev_b32_e32 v22, s17, v24
	s_wait_kmcnt 0x0
	s_delay_alu instid0(VALU_DEP_2) | instskip(NEXT) | instid1(VALU_DEP_2)
	v_mad_u32 v16, v25, s12, v16
	v_mul_lo_u32 v24, v22, s11
	v_mad_u32 v19, v25, s14, v19
	v_mad_u32 v20, v25, s13, v20
	s_delay_alu instid0(VALU_DEP_3) | instskip(NEXT) | instid1(VALU_DEP_1)
	v_sub_nc_u32_e32 v23, v23, v24
	v_mad_u32 v16, v23, s15, v16
	s_delay_alu instid0(VALU_DEP_4) | instskip(NEXT) | instid1(VALU_DEP_4)
	v_mad_u32 v19, v23, s9, v19
	v_mad_u32 v20, v23, s8, v20
	s_cbranch_scc1 .LBB165_198
; %bb.199:
	s_bitcmp1_b32 s5, 0
	s_cselect_b32 s5, -1, 0
	s_delay_alu instid0(SALU_CYCLE_1)
	s_and_b32 vcc_lo, exec_lo, s5
	s_cbranch_vccnz .LBB165_202
; %bb.200:
	s_clause 0x1
	s_load_b96 s[8:10], s[0:1], 0x1c
	s_load_b96 s[12:14], s[0:1], 0xdc
	s_wait_kmcnt 0x0
	v_mul_hi_u32 v23, s9, v22
	s_delay_alu instid0(VALU_DEP_1) | instskip(NEXT) | instid1(VALU_DEP_1)
	v_add_nc_u32_e32 v23, v22, v23
	v_lshrrev_b32_e32 v23, s10, v23
	s_delay_alu instid0(VALU_DEP_1) | instskip(NEXT) | instid1(VALU_DEP_1)
	v_mul_lo_u32 v23, v23, s8
	v_sub_nc_u32_e32 v22, v22, v23
	s_delay_alu instid0(VALU_DEP_1)
	v_mad_u32 v16, v22, s12, v16
	v_mad_u32 v20, v22, s13, v20
	;; [unrolled: 1-line block ×3, first 2 shown]
	s_and_not1_b32 vcc_lo, exec_lo, s4
	s_cbranch_vccz .LBB165_203
	s_branch .LBB165_206
.LBB165_201:
	s_mov_b32 s4, -1
                                        ; implicit-def: $vgpr19
                                        ; implicit-def: $vgpr20
                                        ; implicit-def: $vgpr16
.LBB165_202:
	s_delay_alu instid0(SALU_CYCLE_1)
	s_and_not1_b32 vcc_lo, exec_lo, s4
	s_cbranch_vccnz .LBB165_206
.LBB165_203:
	s_clause 0x1
	s_load_b96 s[4:6], s[2:3], 0x4
	s_load_b96 s[8:10], s[2:3], 0xc4
	s_cmp_lt_u32 s26, 2
	s_wait_kmcnt 0x0
	v_mul_hi_u32 v16, s5, v21
	s_delay_alu instid0(VALU_DEP_1) | instskip(NEXT) | instid1(VALU_DEP_1)
	v_add_nc_u32_e32 v16, v21, v16
	v_lshrrev_b32_e32 v22, s6, v16
	s_delay_alu instid0(VALU_DEP_1) | instskip(NEXT) | instid1(VALU_DEP_1)
	v_mul_lo_u32 v16, v22, s4
	v_sub_nc_u32_e32 v20, v21, v16
	s_delay_alu instid0(VALU_DEP_1)
	v_mul_lo_u32 v16, v20, s8
	v_mul_lo_u32 v19, v20, s10
	;; [unrolled: 1-line block ×3, first 2 shown]
	s_cbranch_scc1 .LBB165_206
; %bb.204:
	s_clause 0x1
	s_load_b96 s[4:6], s[2:3], 0x10
	s_load_b96 s[8:10], s[2:3], 0xd0
	s_wait_kmcnt 0x0
	v_mul_hi_u32 v21, s5, v22
	s_delay_alu instid0(VALU_DEP_1) | instskip(NEXT) | instid1(VALU_DEP_1)
	v_add_nc_u32_e32 v21, v22, v21
	v_lshrrev_b32_e32 v21, s6, v21
	s_delay_alu instid0(VALU_DEP_1) | instskip(NEXT) | instid1(VALU_DEP_1)
	v_mul_lo_u32 v21, v21, s4
	v_sub_nc_u32_e32 v21, v22, v21
	s_delay_alu instid0(VALU_DEP_1)
	v_mad_u32 v16, v21, s8, v16
	v_mad_u32 v20, v21, s9, v20
	v_mad_u32 v19, v21, s10, v19
	s_branch .LBB165_206
.LBB165_205:
	v_dual_mov_b32 v19, 0 :: v_dual_mov_b32 v20, 0
	v_mov_b32_e32 v16, 0
	s_and_not1_b32 vcc_lo, exec_lo, s4
	s_cbranch_vccz .LBB165_203
.LBB165_206:
	v_cmp_ne_u32_e32 vcc_lo, 1, v9
	v_add_nc_u32_e32 v23, 0x300, v0
	s_cbranch_vccnz .LBB165_212
; %bb.207:
	s_cmp_lg_u32 s26, 0
	s_mov_b32 s4, 0
	s_cbranch_scc0 .LBB165_216
; %bb.208:
	s_min_u32 s5, s27, 15
	v_dual_mov_b32 v0, 0 :: v_dual_mov_b32 v24, v23
	v_dual_mov_b32 v22, 0 :: v_dual_mov_b32 v21, 0
	s_add_co_i32 s6, s5, 1
	s_mov_b64 s[0:1], 0xffffffffffffffe8
	s_and_b32 s6, s6, 30
	s_add_nc_u64 s[0:1], s[2:3], s[0:1]
.LBB165_209:                            ; =>This Inner Loop Header: Depth=1
	s_clause 0x1
	s_load_b128 s[8:11], s[0:1], 0x1c
	s_load_b64 s[16:17], s[0:1], 0x2c
	s_add_co_i32 s6, s6, -2
	s_delay_alu instid0(SALU_CYCLE_1) | instskip(SKIP_2) | instid1(VALU_DEP_1)
	s_cmp_lg_u32 s6, 0
	s_wait_kmcnt 0x0
	v_mul_hi_u32 v25, s9, v24
	v_add_nc_u32_e32 v25, v24, v25
	s_delay_alu instid0(VALU_DEP_1) | instskip(NEXT) | instid1(VALU_DEP_1)
	v_lshrrev_b32_e32 v25, s10, v25
	v_mul_hi_u32 v26, s16, v25
	v_mul_lo_u32 v27, v25, s8
	s_clause 0x1
	s_load_b128 s[12:15], s[0:1], 0xdc
	s_load_b64 s[8:9], s[0:1], 0xec
	s_wait_xcnt 0x0
	s_add_nc_u64 s[0:1], s[0:1], 24
	s_delay_alu instid0(VALU_DEP_1) | instskip(NEXT) | instid1(VALU_DEP_1)
	v_dual_add_nc_u32 v26, v25, v26 :: v_dual_sub_nc_u32 v27, v24, v27
	v_lshrrev_b32_e32 v24, s17, v26
	s_wait_kmcnt 0x0
	s_delay_alu instid0(VALU_DEP_2) | instskip(NEXT) | instid1(VALU_DEP_2)
	v_mad_u32 v0, v27, s12, v0
	v_mul_lo_u32 v26, v24, s11
	v_mad_u32 v21, v27, s14, v21
	v_mad_u32 v22, v27, s13, v22
	s_delay_alu instid0(VALU_DEP_3) | instskip(NEXT) | instid1(VALU_DEP_1)
	v_sub_nc_u32_e32 v25, v25, v26
	v_mad_u32 v0, v25, s15, v0
	s_delay_alu instid0(VALU_DEP_4) | instskip(NEXT) | instid1(VALU_DEP_4)
	v_mad_u32 v21, v25, s9, v21
	v_mad_u32 v22, v25, s8, v22
	s_cbranch_scc1 .LBB165_209
; %bb.210:
	s_bitcmp1_b32 s5, 0
	s_cselect_b32 s5, -1, 0
	s_delay_alu instid0(SALU_CYCLE_1)
	s_and_b32 vcc_lo, exec_lo, s5
	s_cbranch_vccnz .LBB165_213
; %bb.211:
	s_clause 0x1
	s_load_b96 s[8:10], s[0:1], 0x1c
	s_load_b96 s[12:14], s[0:1], 0xdc
	s_wait_kmcnt 0x0
	v_mul_hi_u32 v25, s9, v24
	s_delay_alu instid0(VALU_DEP_1) | instskip(NEXT) | instid1(VALU_DEP_1)
	v_add_nc_u32_e32 v25, v24, v25
	v_lshrrev_b32_e32 v25, s10, v25
	s_delay_alu instid0(VALU_DEP_1) | instskip(NEXT) | instid1(VALU_DEP_1)
	v_mul_lo_u32 v25, v25, s8
	v_sub_nc_u32_e32 v24, v24, v25
	s_delay_alu instid0(VALU_DEP_1)
	v_mad_u32 v0, v24, s12, v0
	v_mad_u32 v22, v24, s13, v22
	;; [unrolled: 1-line block ×3, first 2 shown]
	s_and_not1_b32 vcc_lo, exec_lo, s4
	s_cbranch_vccz .LBB165_214
	s_branch .LBB165_217
.LBB165_212:
	s_mov_b32 s4, -1
                                        ; implicit-def: $vgpr21
                                        ; implicit-def: $vgpr22
                                        ; implicit-def: $vgpr0
.LBB165_213:
	s_delay_alu instid0(SALU_CYCLE_1)
	s_and_not1_b32 vcc_lo, exec_lo, s4
	s_cbranch_vccnz .LBB165_217
.LBB165_214:
	s_clause 0x1
	s_load_b96 s[4:6], s[2:3], 0x4
	s_load_b96 s[8:10], s[2:3], 0xc4
	s_cmp_lt_u32 s26, 2
	s_wait_kmcnt 0x0
	v_mul_hi_u32 v0, s5, v23
	s_delay_alu instid0(VALU_DEP_1) | instskip(NEXT) | instid1(VALU_DEP_1)
	v_add_nc_u32_e32 v0, v23, v0
	v_lshrrev_b32_e32 v24, s6, v0
	s_delay_alu instid0(VALU_DEP_1) | instskip(NEXT) | instid1(VALU_DEP_1)
	v_mul_lo_u32 v0, v24, s4
	v_sub_nc_u32_e32 v22, v23, v0
	s_delay_alu instid0(VALU_DEP_1)
	v_mul_lo_u32 v0, v22, s8
	v_mul_lo_u32 v21, v22, s10
	;; [unrolled: 1-line block ×3, first 2 shown]
	s_cbranch_scc1 .LBB165_217
; %bb.215:
	s_clause 0x1
	s_load_b96 s[4:6], s[2:3], 0x10
	s_load_b96 s[8:10], s[2:3], 0xd0
	s_wait_kmcnt 0x0
	v_mul_hi_u32 v23, s5, v24
	s_delay_alu instid0(VALU_DEP_1) | instskip(NEXT) | instid1(VALU_DEP_1)
	v_add_nc_u32_e32 v23, v24, v23
	v_lshrrev_b32_e32 v23, s6, v23
	s_delay_alu instid0(VALU_DEP_1) | instskip(NEXT) | instid1(VALU_DEP_1)
	v_mul_lo_u32 v23, v23, s4
	v_sub_nc_u32_e32 v23, v24, v23
	s_delay_alu instid0(VALU_DEP_1)
	v_mad_u32 v0, v23, s8, v0
	v_mad_u32 v22, v23, s9, v22
	;; [unrolled: 1-line block ×3, first 2 shown]
	s_branch .LBB165_217
.LBB165_216:
	v_dual_mov_b32 v21, 0 :: v_dual_mov_b32 v22, 0
	v_mov_b32_e32 v0, 0
	s_and_not1_b32 vcc_lo, exec_lo, s4
	s_cbranch_vccz .LBB165_214
.LBB165_217:
	v_cmp_ne_u32_e32 vcc_lo, 1, v9
	s_cbranch_vccnz .LBB165_223
; %bb.218:
	s_cmp_lg_u32 s26, 0
	s_mov_b32 s4, 0
	s_cbranch_scc0 .LBB165_227
; %bb.219:
	s_min_u32 s5, s27, 15
	v_dual_mov_b32 v9, 0 :: v_dual_mov_b32 v25, v3
	v_dual_mov_b32 v24, 0 :: v_dual_mov_b32 v23, 0
	s_add_co_i32 s6, s5, 1
	s_mov_b64 s[0:1], 0xffffffffffffffe8
	s_and_b32 s6, s6, 30
	s_add_nc_u64 s[0:1], s[2:3], s[0:1]
.LBB165_220:                            ; =>This Inner Loop Header: Depth=1
	s_clause 0x1
	s_load_b128 s[8:11], s[0:1], 0x1c
	s_load_b64 s[16:17], s[0:1], 0x2c
	s_add_co_i32 s6, s6, -2
	s_delay_alu instid0(SALU_CYCLE_1) | instskip(SKIP_2) | instid1(VALU_DEP_1)
	s_cmp_lg_u32 s6, 0
	s_wait_kmcnt 0x0
	v_mul_hi_u32 v26, s9, v25
	v_add_nc_u32_e32 v26, v25, v26
	s_delay_alu instid0(VALU_DEP_1) | instskip(NEXT) | instid1(VALU_DEP_1)
	v_lshrrev_b32_e32 v26, s10, v26
	v_mul_hi_u32 v27, s16, v26
	v_mul_lo_u32 v28, v26, s8
	s_clause 0x1
	s_load_b128 s[12:15], s[0:1], 0xdc
	s_load_b64 s[8:9], s[0:1], 0xec
	s_wait_xcnt 0x0
	s_add_nc_u64 s[0:1], s[0:1], 24
	s_delay_alu instid0(VALU_DEP_1) | instskip(NEXT) | instid1(VALU_DEP_1)
	v_dual_add_nc_u32 v27, v26, v27 :: v_dual_sub_nc_u32 v28, v25, v28
	v_lshrrev_b32_e32 v25, s17, v27
	s_wait_kmcnt 0x0
	s_delay_alu instid0(VALU_DEP_2) | instskip(NEXT) | instid1(VALU_DEP_2)
	v_mad_u32 v9, v28, s12, v9
	v_mul_lo_u32 v27, v25, s11
	v_mad_u32 v23, v28, s14, v23
	v_mad_u32 v24, v28, s13, v24
	s_delay_alu instid0(VALU_DEP_3) | instskip(NEXT) | instid1(VALU_DEP_1)
	v_sub_nc_u32_e32 v26, v26, v27
	v_mad_u32 v9, v26, s15, v9
	s_delay_alu instid0(VALU_DEP_4) | instskip(NEXT) | instid1(VALU_DEP_4)
	v_mad_u32 v23, v26, s9, v23
	v_mad_u32 v24, v26, s8, v24
	s_cbranch_scc1 .LBB165_220
; %bb.221:
	s_bitcmp1_b32 s5, 0
	s_cselect_b32 s5, -1, 0
	s_delay_alu instid0(SALU_CYCLE_1)
	s_and_b32 vcc_lo, exec_lo, s5
	s_cbranch_vccnz .LBB165_224
; %bb.222:
	s_clause 0x1
	s_load_b96 s[8:10], s[0:1], 0x1c
	s_load_b96 s[12:14], s[0:1], 0xdc
	s_wait_kmcnt 0x0
	v_mul_hi_u32 v26, s9, v25
	s_delay_alu instid0(VALU_DEP_1) | instskip(NEXT) | instid1(VALU_DEP_1)
	v_add_nc_u32_e32 v26, v25, v26
	v_lshrrev_b32_e32 v26, s10, v26
	s_delay_alu instid0(VALU_DEP_1) | instskip(NEXT) | instid1(VALU_DEP_1)
	v_mul_lo_u32 v26, v26, s8
	v_sub_nc_u32_e32 v25, v25, v26
	s_delay_alu instid0(VALU_DEP_1)
	v_mad_u32 v9, v25, s12, v9
	v_mad_u32 v24, v25, s13, v24
	;; [unrolled: 1-line block ×3, first 2 shown]
	s_and_not1_b32 vcc_lo, exec_lo, s4
	s_cbranch_vccz .LBB165_225
	s_branch .LBB165_228
.LBB165_223:
	s_mov_b32 s4, -1
                                        ; implicit-def: $vgpr23
                                        ; implicit-def: $vgpr24
                                        ; implicit-def: $vgpr9
.LBB165_224:
	s_delay_alu instid0(SALU_CYCLE_1)
	s_and_not1_b32 vcc_lo, exec_lo, s4
	s_cbranch_vccnz .LBB165_228
.LBB165_225:
	s_clause 0x1
	s_load_b96 s[4:6], s[2:3], 0x4
	s_load_b96 s[8:10], s[2:3], 0xc4
	s_cmp_lt_u32 s26, 2
	s_wait_kmcnt 0x0
	v_mul_hi_u32 v9, s5, v3
	s_delay_alu instid0(VALU_DEP_1) | instskip(NEXT) | instid1(VALU_DEP_1)
	v_add_nc_u32_e32 v9, v3, v9
	v_lshrrev_b32_e32 v25, s6, v9
	s_delay_alu instid0(VALU_DEP_1) | instskip(NEXT) | instid1(VALU_DEP_1)
	v_mul_lo_u32 v9, v25, s4
	v_sub_nc_u32_e32 v3, v3, v9
	s_delay_alu instid0(VALU_DEP_1)
	v_mul_lo_u32 v9, v3, s8
	v_mul_lo_u32 v23, v3, s10
	;; [unrolled: 1-line block ×3, first 2 shown]
	s_cbranch_scc1 .LBB165_228
; %bb.226:
	s_clause 0x1
	s_load_b96 s[4:6], s[2:3], 0x10
	s_load_b96 s[8:10], s[2:3], 0xd0
	s_wait_kmcnt 0x0
	v_mul_hi_u32 v3, s5, v25
	s_delay_alu instid0(VALU_DEP_1) | instskip(NEXT) | instid1(VALU_DEP_1)
	v_add_nc_u32_e32 v3, v25, v3
	v_lshrrev_b32_e32 v3, s6, v3
	s_delay_alu instid0(VALU_DEP_1) | instskip(NEXT) | instid1(VALU_DEP_1)
	v_mul_lo_u32 v3, v3, s4
	v_sub_nc_u32_e32 v3, v25, v3
	s_delay_alu instid0(VALU_DEP_1)
	v_mad_u32 v9, v3, s8, v9
	v_mad_u32 v24, v3, s9, v24
	;; [unrolled: 1-line block ×3, first 2 shown]
	s_branch .LBB165_228
.LBB165_227:
	v_dual_mov_b32 v23, 0 :: v_dual_mov_b32 v24, 0
	v_mov_b32_e32 v9, 0
	s_and_not1_b32 vcc_lo, exec_lo, s4
	s_cbranch_vccz .LBB165_225
.LBB165_228:
	s_clause 0x1
	s_load_b96 s[8:10], s[2:3], 0x198
	s_load_b128 s[4:7], s[2:3], 0x188
	s_wait_xcnt 0x0
	s_mov_b32 s3, 0
	s_wait_kmcnt 0x0
	global_load_b32 v25, v4, s[8:9]
	global_load_b32 v26, v5, s[6:7]
	s_cmp_lg_u32 s10, 0
	s_cselect_b32 s2, -1, 0
	s_delay_alu instid0(SALU_CYCLE_1)
	s_and_b32 vcc_lo, exec_lo, s2
	s_wait_loadcnt 0x0
	s_wait_xcnt 0x1
	v_dual_lshlrev_b32 v3, 16, v25 :: v_dual_lshlrev_b32 v4, 16, v26
	s_wait_xcnt 0x0
	v_and_b32_e32 v5, 0xffff0000, v25
	v_and_b32_e32 v25, 0xffff0000, v26
	s_cbranch_vccz .LBB165_253
; %bb.229:
	v_cmp_neq_f32_e32 vcc_lo, v4, v3
	s_delay_alu instid0(VALU_DEP_2)
	v_cmp_neq_f32_e64 s0, v25, v5
	s_or_b32 s1, vcc_lo, s0
	s_and_not1_b32 vcc_lo, exec_lo, s3
	s_cbranch_vccnz .LBB165_231
.LBB165_230:
	v_cmp_eq_f32_e32 vcc_lo, v4, v3
	s_delay_alu instid0(VALU_DEP_2) | instskip(SKIP_2) | instid1(SALU_CYCLE_1)
	v_cmp_eq_f32_e64 s0, v25, v5
	s_and_not1_b32 s1, s1, exec_lo
	s_and_b32 s0, vcc_lo, s0
	s_and_b32 s0, s0, exec_lo
	s_delay_alu instid0(SALU_CYCLE_1)
	s_or_b32 s1, s1, s0
.LBB165_231:
	global_load_b32 v5, v7, s[8:9]
	global_load_b32 v25, v8, s[6:7]
	s_and_b32 vcc_lo, exec_lo, s2
	s_wait_loadcnt 0x1
	v_lshlrev_b32_e32 v3, 16, v5
	s_wait_loadcnt 0x0
	v_lshlrev_b32_e32 v4, 16, v25
	v_and_b32_e32 v5, 0xffff0000, v5
	s_wait_xcnt 0x1
	v_and_b32_e32 v7, 0xffff0000, v25
	s_cbranch_vccz .LBB165_254
; %bb.232:
	v_cmp_neq_f32_e32 vcc_lo, v4, v3
	s_delay_alu instid0(VALU_DEP_2)
	v_cmp_neq_f32_e64 s0, v7, v5
	s_or_b32 s3, vcc_lo, s0
	s_cbranch_execnz .LBB165_234
.LBB165_233:
	v_cmp_eq_f32_e32 vcc_lo, v4, v3
	s_delay_alu instid0(VALU_DEP_2) | instskip(SKIP_2) | instid1(SALU_CYCLE_1)
	v_cmp_eq_f32_e64 s0, v7, v5
	s_and_not1_b32 s3, s3, exec_lo
	s_and_b32 s0, vcc_lo, s0
	s_and_b32 s0, s0, exec_lo
	s_delay_alu instid0(SALU_CYCLE_1)
	s_or_b32 s3, s3, s0
.LBB165_234:
	global_load_b32 v5, v11, s[8:9]
	global_load_b32 v7, v12, s[6:7]
	s_and_b32 vcc_lo, exec_lo, s2
	s_wait_loadcnt 0x0
	v_dual_lshlrev_b32 v3, 16, v5 :: v_dual_lshlrev_b32 v4, 16, v7
	v_and_b32_e32 v5, 0xffff0000, v5
	v_and_b32_e32 v7, 0xffff0000, v7
	s_cbranch_vccz .LBB165_255
; %bb.235:
	s_delay_alu instid0(VALU_DEP_3) | instskip(NEXT) | instid1(VALU_DEP_2)
	v_cmp_neq_f32_e32 vcc_lo, v4, v3
	v_cmp_neq_f32_e64 s0, v7, v5
	s_or_b32 s10, vcc_lo, s0
	s_cbranch_execnz .LBB165_237
.LBB165_236:
	v_cmp_eq_f32_e32 vcc_lo, v4, v3
	s_delay_alu instid0(VALU_DEP_2) | instskip(SKIP_2) | instid1(SALU_CYCLE_1)
	v_cmp_eq_f32_e64 s0, v7, v5
	s_and_not1_b32 s10, s10, exec_lo
	s_and_b32 s0, vcc_lo, s0
	s_and_b32 s0, s0, exec_lo
	s_delay_alu instid0(SALU_CYCLE_1)
	s_or_b32 s10, s10, s0
.LBB165_237:
	global_load_b32 v5, v14, s[8:9]
	global_load_b32 v7, v15, s[6:7]
	s_and_b32 vcc_lo, exec_lo, s2
	s_wait_loadcnt 0x0
	v_dual_lshlrev_b32 v3, 16, v5 :: v_dual_lshlrev_b32 v4, 16, v7
	v_and_b32_e32 v5, 0xffff0000, v5
	v_and_b32_e32 v7, 0xffff0000, v7
	s_cbranch_vccz .LBB165_256
; %bb.238:
	s_delay_alu instid0(VALU_DEP_3) | instskip(NEXT) | instid1(VALU_DEP_2)
	v_cmp_neq_f32_e32 vcc_lo, v4, v3
	v_cmp_neq_f32_e64 s0, v7, v5
	s_or_b32 s11, vcc_lo, s0
	s_cbranch_execnz .LBB165_240
.LBB165_239:
	v_cmp_eq_f32_e32 vcc_lo, v4, v3
	s_delay_alu instid0(VALU_DEP_2) | instskip(SKIP_2) | instid1(SALU_CYCLE_1)
	v_cmp_eq_f32_e64 s0, v7, v5
	s_and_not1_b32 s11, s11, exec_lo
	s_and_b32 s0, vcc_lo, s0
	s_and_b32 s0, s0, exec_lo
	s_delay_alu instid0(SALU_CYCLE_1)
	s_or_b32 s11, s11, s0
.LBB165_240:
	global_load_b32 v5, v17, s[8:9]
	global_load_b32 v7, v18, s[6:7]
	s_and_b32 vcc_lo, exec_lo, s2
	s_wait_loadcnt 0x0
	v_dual_lshlrev_b32 v3, 16, v5 :: v_dual_lshlrev_b32 v4, 16, v7
	v_and_b32_e32 v5, 0xffff0000, v5
	v_and_b32_e32 v7, 0xffff0000, v7
	s_cbranch_vccz .LBB165_257
; %bb.241:
	s_delay_alu instid0(VALU_DEP_3) | instskip(NEXT) | instid1(VALU_DEP_2)
	v_cmp_neq_f32_e32 vcc_lo, v4, v3
	v_cmp_neq_f32_e64 s0, v7, v5
	s_or_b32 s12, vcc_lo, s0
	s_cbranch_execnz .LBB165_243
.LBB165_242:
	v_cmp_eq_f32_e32 vcc_lo, v4, v3
	s_delay_alu instid0(VALU_DEP_2) | instskip(SKIP_2) | instid1(SALU_CYCLE_1)
	v_cmp_eq_f32_e64 s0, v7, v5
	s_and_not1_b32 s12, s12, exec_lo
	s_and_b32 s0, vcc_lo, s0
	s_and_b32 s0, s0, exec_lo
	s_delay_alu instid0(SALU_CYCLE_1)
	s_or_b32 s12, s12, s0
.LBB165_243:
	global_load_b32 v5, v19, s[8:9]
	global_load_b32 v7, v20, s[6:7]
	s_and_b32 vcc_lo, exec_lo, s2
	s_wait_loadcnt 0x0
	v_dual_lshlrev_b32 v3, 16, v5 :: v_dual_lshlrev_b32 v4, 16, v7
	v_and_b32_e32 v5, 0xffff0000, v5
	v_and_b32_e32 v7, 0xffff0000, v7
	s_cbranch_vccz .LBB165_258
; %bb.244:
	s_delay_alu instid0(VALU_DEP_3) | instskip(NEXT) | instid1(VALU_DEP_2)
	v_cmp_neq_f32_e32 vcc_lo, v4, v3
	v_cmp_neq_f32_e64 s0, v7, v5
	s_or_b32 s13, vcc_lo, s0
	s_cbranch_execnz .LBB165_246
.LBB165_245:
	v_cmp_eq_f32_e32 vcc_lo, v4, v3
	s_delay_alu instid0(VALU_DEP_2) | instskip(SKIP_2) | instid1(SALU_CYCLE_1)
	v_cmp_eq_f32_e64 s0, v7, v5
	s_and_not1_b32 s13, s13, exec_lo
	s_and_b32 s0, vcc_lo, s0
	s_and_b32 s0, s0, exec_lo
	s_delay_alu instid0(SALU_CYCLE_1)
	s_or_b32 s13, s13, s0
.LBB165_246:
	global_load_b32 v5, v21, s[8:9]
	global_load_b32 v7, v22, s[6:7]
	s_and_b32 vcc_lo, exec_lo, s2
	s_wait_loadcnt 0x0
	v_dual_lshlrev_b32 v3, 16, v5 :: v_dual_lshlrev_b32 v4, 16, v7
	v_and_b32_e32 v5, 0xffff0000, v5
	v_and_b32_e32 v7, 0xffff0000, v7
	s_cbranch_vccz .LBB165_259
; %bb.247:
	s_delay_alu instid0(VALU_DEP_3) | instskip(NEXT) | instid1(VALU_DEP_2)
	v_cmp_neq_f32_e32 vcc_lo, v4, v3
	v_cmp_neq_f32_e64 s0, v7, v5
	s_or_b32 s14, vcc_lo, s0
	s_cbranch_execnz .LBB165_249
.LBB165_248:
	v_cmp_eq_f32_e32 vcc_lo, v4, v3
	s_delay_alu instid0(VALU_DEP_2) | instskip(SKIP_2) | instid1(SALU_CYCLE_1)
	v_cmp_eq_f32_e64 s0, v7, v5
	s_and_not1_b32 s14, s14, exec_lo
	s_and_b32 s0, vcc_lo, s0
	s_and_b32 s0, s0, exec_lo
	s_delay_alu instid0(SALU_CYCLE_1)
	s_or_b32 s14, s14, s0
.LBB165_249:
	global_load_b32 v5, v23, s[8:9]
	global_load_b32 v7, v24, s[6:7]
	s_and_b32 vcc_lo, exec_lo, s2
	s_wait_loadcnt 0x0
	v_dual_lshlrev_b32 v3, 16, v5 :: v_dual_lshlrev_b32 v4, 16, v7
	v_and_b32_e32 v5, 0xffff0000, v5
	v_and_b32_e32 v7, 0xffff0000, v7
	s_cbranch_vccz .LBB165_260
; %bb.250:
	s_delay_alu instid0(VALU_DEP_3) | instskip(NEXT) | instid1(VALU_DEP_2)
	v_cmp_neq_f32_e32 vcc_lo, v4, v3
	v_cmp_neq_f32_e64 s0, v7, v5
	s_or_b32 s2, vcc_lo, s0
	s_cbranch_execnz .LBB165_252
.LBB165_251:
	v_cmp_eq_f32_e32 vcc_lo, v4, v3
	s_delay_alu instid0(VALU_DEP_2) | instskip(SKIP_2) | instid1(SALU_CYCLE_1)
	v_cmp_eq_f32_e64 s0, v7, v5
	s_and_not1_b32 s2, s2, exec_lo
	s_and_b32 s0, vcc_lo, s0
	s_and_b32 s0, s0, exec_lo
	s_delay_alu instid0(SALU_CYCLE_1)
	s_or_b32 s2, s2, s0
.LBB165_252:
	v_cndmask_b32_e64 v7, 0, 1, s1
	s_wait_xcnt 0xc
	v_cndmask_b32_e64 v8, 0, 1, s3
	s_wait_xcnt 0xb
	v_cndmask_b32_e64 v11, 0, 1, s10
	s_wait_xcnt 0xa
	v_cndmask_b32_e64 v12, 0, 1, s11
	v_cndmask_b32_e64 v5, 0, 1, s12
	;; [unrolled: 1-line block ×4, first 2 shown]
	s_wait_xcnt 0x9
	v_cndmask_b32_e64 v14, 0, 1, s2
	s_clause 0x7
	global_store_b8 v1, v7, s[4:5]
	global_store_b8 v2, v8, s[4:5]
	;; [unrolled: 1-line block ×8, first 2 shown]
	s_endpgm
.LBB165_253:
                                        ; implicit-def: $sgpr1
	s_branch .LBB165_230
.LBB165_254:
                                        ; implicit-def: $sgpr3
	s_branch .LBB165_233
.LBB165_255:
                                        ; implicit-def: $sgpr10
	s_branch .LBB165_236
.LBB165_256:
                                        ; implicit-def: $sgpr11
	s_branch .LBB165_239
.LBB165_257:
                                        ; implicit-def: $sgpr12
	s_branch .LBB165_242
.LBB165_258:
                                        ; implicit-def: $sgpr13
	s_branch .LBB165_245
.LBB165_259:
                                        ; implicit-def: $sgpr14
	s_branch .LBB165_248
.LBB165_260:
                                        ; implicit-def: $sgpr2
	s_branch .LBB165_251
	.section	.rodata,"a",@progbits
	.p2align	6, 0x0
	.amdhsa_kernel _ZN2at6native32elementwise_kernel_manual_unrollILi128ELi8EZNS0_22gpu_kernel_impl_nocastINS0_13BinaryFunctorIN3c107complexINS4_8BFloat16EEES7_bNS0_12_GLOBAL__N_116CompareEqFunctorIS7_EEEEEEvRNS_18TensorIteratorBaseERKT_EUlibE_EEviT1_
		.amdhsa_group_segment_fixed_size 0
		.amdhsa_private_segment_fixed_size 0
		.amdhsa_kernarg_size 432
		.amdhsa_user_sgpr_count 2
		.amdhsa_user_sgpr_dispatch_ptr 0
		.amdhsa_user_sgpr_queue_ptr 0
		.amdhsa_user_sgpr_kernarg_segment_ptr 1
		.amdhsa_user_sgpr_dispatch_id 0
		.amdhsa_user_sgpr_kernarg_preload_length 0
		.amdhsa_user_sgpr_kernarg_preload_offset 0
		.amdhsa_user_sgpr_private_segment_size 0
		.amdhsa_wavefront_size32 1
		.amdhsa_uses_dynamic_stack 0
		.amdhsa_enable_private_segment 0
		.amdhsa_system_sgpr_workgroup_id_x 1
		.amdhsa_system_sgpr_workgroup_id_y 0
		.amdhsa_system_sgpr_workgroup_id_z 0
		.amdhsa_system_sgpr_workgroup_info 0
		.amdhsa_system_vgpr_workitem_id 0
		.amdhsa_next_free_vgpr 29
		.amdhsa_next_free_sgpr 46
		.amdhsa_named_barrier_count 0
		.amdhsa_reserve_vcc 1
		.amdhsa_float_round_mode_32 0
		.amdhsa_float_round_mode_16_64 0
		.amdhsa_float_denorm_mode_32 3
		.amdhsa_float_denorm_mode_16_64 3
		.amdhsa_fp16_overflow 0
		.amdhsa_memory_ordered 1
		.amdhsa_forward_progress 1
		.amdhsa_inst_pref_size 96
		.amdhsa_round_robin_scheduling 0
		.amdhsa_exception_fp_ieee_invalid_op 0
		.amdhsa_exception_fp_denorm_src 0
		.amdhsa_exception_fp_ieee_div_zero 0
		.amdhsa_exception_fp_ieee_overflow 0
		.amdhsa_exception_fp_ieee_underflow 0
		.amdhsa_exception_fp_ieee_inexact 0
		.amdhsa_exception_int_div_zero 0
	.end_amdhsa_kernel
	.section	.text._ZN2at6native32elementwise_kernel_manual_unrollILi128ELi8EZNS0_22gpu_kernel_impl_nocastINS0_13BinaryFunctorIN3c107complexINS4_8BFloat16EEES7_bNS0_12_GLOBAL__N_116CompareEqFunctorIS7_EEEEEEvRNS_18TensorIteratorBaseERKT_EUlibE_EEviT1_,"axG",@progbits,_ZN2at6native32elementwise_kernel_manual_unrollILi128ELi8EZNS0_22gpu_kernel_impl_nocastINS0_13BinaryFunctorIN3c107complexINS4_8BFloat16EEES7_bNS0_12_GLOBAL__N_116CompareEqFunctorIS7_EEEEEEvRNS_18TensorIteratorBaseERKT_EUlibE_EEviT1_,comdat
.Lfunc_end165:
	.size	_ZN2at6native32elementwise_kernel_manual_unrollILi128ELi8EZNS0_22gpu_kernel_impl_nocastINS0_13BinaryFunctorIN3c107complexINS4_8BFloat16EEES7_bNS0_12_GLOBAL__N_116CompareEqFunctorIS7_EEEEEEvRNS_18TensorIteratorBaseERKT_EUlibE_EEviT1_, .Lfunc_end165-_ZN2at6native32elementwise_kernel_manual_unrollILi128ELi8EZNS0_22gpu_kernel_impl_nocastINS0_13BinaryFunctorIN3c107complexINS4_8BFloat16EEES7_bNS0_12_GLOBAL__N_116CompareEqFunctorIS7_EEEEEEvRNS_18TensorIteratorBaseERKT_EUlibE_EEviT1_
                                        ; -- End function
	.set _ZN2at6native32elementwise_kernel_manual_unrollILi128ELi8EZNS0_22gpu_kernel_impl_nocastINS0_13BinaryFunctorIN3c107complexINS4_8BFloat16EEES7_bNS0_12_GLOBAL__N_116CompareEqFunctorIS7_EEEEEEvRNS_18TensorIteratorBaseERKT_EUlibE_EEviT1_.num_vgpr, 29
	.set _ZN2at6native32elementwise_kernel_manual_unrollILi128ELi8EZNS0_22gpu_kernel_impl_nocastINS0_13BinaryFunctorIN3c107complexINS4_8BFloat16EEES7_bNS0_12_GLOBAL__N_116CompareEqFunctorIS7_EEEEEEvRNS_18TensorIteratorBaseERKT_EUlibE_EEviT1_.num_agpr, 0
	.set _ZN2at6native32elementwise_kernel_manual_unrollILi128ELi8EZNS0_22gpu_kernel_impl_nocastINS0_13BinaryFunctorIN3c107complexINS4_8BFloat16EEES7_bNS0_12_GLOBAL__N_116CompareEqFunctorIS7_EEEEEEvRNS_18TensorIteratorBaseERKT_EUlibE_EEviT1_.numbered_sgpr, 46
	.set _ZN2at6native32elementwise_kernel_manual_unrollILi128ELi8EZNS0_22gpu_kernel_impl_nocastINS0_13BinaryFunctorIN3c107complexINS4_8BFloat16EEES7_bNS0_12_GLOBAL__N_116CompareEqFunctorIS7_EEEEEEvRNS_18TensorIteratorBaseERKT_EUlibE_EEviT1_.num_named_barrier, 0
	.set _ZN2at6native32elementwise_kernel_manual_unrollILi128ELi8EZNS0_22gpu_kernel_impl_nocastINS0_13BinaryFunctorIN3c107complexINS4_8BFloat16EEES7_bNS0_12_GLOBAL__N_116CompareEqFunctorIS7_EEEEEEvRNS_18TensorIteratorBaseERKT_EUlibE_EEviT1_.private_seg_size, 0
	.set _ZN2at6native32elementwise_kernel_manual_unrollILi128ELi8EZNS0_22gpu_kernel_impl_nocastINS0_13BinaryFunctorIN3c107complexINS4_8BFloat16EEES7_bNS0_12_GLOBAL__N_116CompareEqFunctorIS7_EEEEEEvRNS_18TensorIteratorBaseERKT_EUlibE_EEviT1_.uses_vcc, 1
	.set _ZN2at6native32elementwise_kernel_manual_unrollILi128ELi8EZNS0_22gpu_kernel_impl_nocastINS0_13BinaryFunctorIN3c107complexINS4_8BFloat16EEES7_bNS0_12_GLOBAL__N_116CompareEqFunctorIS7_EEEEEEvRNS_18TensorIteratorBaseERKT_EUlibE_EEviT1_.uses_flat_scratch, 0
	.set _ZN2at6native32elementwise_kernel_manual_unrollILi128ELi8EZNS0_22gpu_kernel_impl_nocastINS0_13BinaryFunctorIN3c107complexINS4_8BFloat16EEES7_bNS0_12_GLOBAL__N_116CompareEqFunctorIS7_EEEEEEvRNS_18TensorIteratorBaseERKT_EUlibE_EEviT1_.has_dyn_sized_stack, 0
	.set _ZN2at6native32elementwise_kernel_manual_unrollILi128ELi8EZNS0_22gpu_kernel_impl_nocastINS0_13BinaryFunctorIN3c107complexINS4_8BFloat16EEES7_bNS0_12_GLOBAL__N_116CompareEqFunctorIS7_EEEEEEvRNS_18TensorIteratorBaseERKT_EUlibE_EEviT1_.has_recursion, 0
	.set _ZN2at6native32elementwise_kernel_manual_unrollILi128ELi8EZNS0_22gpu_kernel_impl_nocastINS0_13BinaryFunctorIN3c107complexINS4_8BFloat16EEES7_bNS0_12_GLOBAL__N_116CompareEqFunctorIS7_EEEEEEvRNS_18TensorIteratorBaseERKT_EUlibE_EEviT1_.has_indirect_call, 0
	.section	.AMDGPU.csdata,"",@progbits
; Kernel info:
; codeLenInByte = 12228
; TotalNumSgprs: 48
; NumVgprs: 29
; ScratchSize: 0
; MemoryBound: 0
; FloatMode: 240
; IeeeMode: 1
; LDSByteSize: 0 bytes/workgroup (compile time only)
; SGPRBlocks: 0
; VGPRBlocks: 1
; NumSGPRsForWavesPerEU: 48
; NumVGPRsForWavesPerEU: 29
; NamedBarCnt: 0
; Occupancy: 16
; WaveLimiterHint : 1
; COMPUTE_PGM_RSRC2:SCRATCH_EN: 0
; COMPUTE_PGM_RSRC2:USER_SGPR: 2
; COMPUTE_PGM_RSRC2:TRAP_HANDLER: 0
; COMPUTE_PGM_RSRC2:TGID_X_EN: 1
; COMPUTE_PGM_RSRC2:TGID_Y_EN: 0
; COMPUTE_PGM_RSRC2:TGID_Z_EN: 0
; COMPUTE_PGM_RSRC2:TIDIG_COMP_CNT: 0
	.section	.text._ZN2at6native32elementwise_kernel_manual_unrollILi128ELi4EZNS0_15gpu_kernel_implINS0_13BinaryFunctorIN3c107complexINS4_8BFloat16EEES7_bNS0_12_GLOBAL__N_116CompareEqFunctorIS7_EEEEEEvRNS_18TensorIteratorBaseERKT_EUlibE_EEviT1_,"axG",@progbits,_ZN2at6native32elementwise_kernel_manual_unrollILi128ELi4EZNS0_15gpu_kernel_implINS0_13BinaryFunctorIN3c107complexINS4_8BFloat16EEES7_bNS0_12_GLOBAL__N_116CompareEqFunctorIS7_EEEEEEvRNS_18TensorIteratorBaseERKT_EUlibE_EEviT1_,comdat
	.globl	_ZN2at6native32elementwise_kernel_manual_unrollILi128ELi4EZNS0_15gpu_kernel_implINS0_13BinaryFunctorIN3c107complexINS4_8BFloat16EEES7_bNS0_12_GLOBAL__N_116CompareEqFunctorIS7_EEEEEEvRNS_18TensorIteratorBaseERKT_EUlibE_EEviT1_ ; -- Begin function _ZN2at6native32elementwise_kernel_manual_unrollILi128ELi4EZNS0_15gpu_kernel_implINS0_13BinaryFunctorIN3c107complexINS4_8BFloat16EEES7_bNS0_12_GLOBAL__N_116CompareEqFunctorIS7_EEEEEEvRNS_18TensorIteratorBaseERKT_EUlibE_EEviT1_
	.p2align	8
	.type	_ZN2at6native32elementwise_kernel_manual_unrollILi128ELi4EZNS0_15gpu_kernel_implINS0_13BinaryFunctorIN3c107complexINS4_8BFloat16EEES7_bNS0_12_GLOBAL__N_116CompareEqFunctorIS7_EEEEEEvRNS_18TensorIteratorBaseERKT_EUlibE_EEviT1_,@function
_ZN2at6native32elementwise_kernel_manual_unrollILi128ELi4EZNS0_15gpu_kernel_implINS0_13BinaryFunctorIN3c107complexINS4_8BFloat16EEES7_bNS0_12_GLOBAL__N_116CompareEqFunctorIS7_EEEEEEvRNS_18TensorIteratorBaseERKT_EUlibE_EEviT1_: ; @_ZN2at6native32elementwise_kernel_manual_unrollILi128ELi4EZNS0_15gpu_kernel_implINS0_13BinaryFunctorIN3c107complexINS4_8BFloat16EEES7_bNS0_12_GLOBAL__N_116CompareEqFunctorIS7_EEEEEEvRNS_18TensorIteratorBaseERKT_EUlibE_EEviT1_
; %bb.0:
	s_load_b32 s12, s[0:1], 0x30
	s_bfe_u32 s2, ttmp6, 0x4000c
	s_clause 0x1
	s_load_b32 s17, s[0:1], 0x0
	s_load_b128 s[4:7], s[0:1], 0x8
	s_add_co_i32 s14, s2, 1
	s_clause 0x1
	s_load_b64 s[2:3], s[0:1], 0x18
	s_load_b128 s[8:11], s[0:1], 0x20
	s_and_b32 s13, ttmp6, 15
	s_wait_xcnt 0x0
	s_mul_i32 s0, ttmp9, s14
	s_getreg_b32 s15, hwreg(HW_REG_IB_STS2, 6, 4)
	s_add_co_i32 s13, s13, s0
	s_mov_b32 s16, 0
	s_wait_kmcnt 0x0
	s_lshr_b32 s14, s12, 8
	s_lshr_b32 s1, s12, 16
	s_cmp_eq_u32 s15, 0
	s_cselect_b32 s0, ttmp9, s13
	s_mov_b32 s13, 0
	v_lshl_or_b32 v6, s0, 9, v0
	s_mov_b32 s0, exec_lo
	s_delay_alu instid0(VALU_DEP_1) | instskip(NEXT) | instid1(VALU_DEP_1)
	v_or_b32_e32 v0, 0x180, v6
	v_cmpx_le_i32_e64 s17, v0
	s_xor_b32 s15, exec_lo, s0
	s_cbranch_execz .LBB166_1604
; %bb.1:
	s_cmp_lg_u32 s11, 0
	s_mov_b32 s22, 0
	s_cselect_b32 s16, -1, 0
	s_mov_b32 s25, -1
	s_mov_b32 s20, 0
	s_mov_b32 s19, 0
	;; [unrolled: 1-line block ×3, first 2 shown]
	s_mov_b32 s21, exec_lo
	v_cmpx_gt_i32_e64 s17, v6
	s_cbranch_execz .LBB166_395
; %bb.2:
	v_mul_lo_u32 v0, v6, s9
	s_and_b32 s0, s14, 0xff
	s_delay_alu instid0(SALU_CYCLE_1) | instskip(NEXT) | instid1(VALU_DEP_1)
	s_cmp_lt_i32 s0, 11
	v_ashrrev_i32_e32 v1, 31, v0
	s_delay_alu instid0(VALU_DEP_1)
	v_add_nc_u64_e32 v[0:1], s[6:7], v[0:1]
	s_cbranch_scc1 .LBB166_9
; %bb.3:
	s_and_b32 s18, 0xffff, s0
	s_delay_alu instid0(SALU_CYCLE_1)
	s_cmp_gt_i32 s18, 25
	s_cbranch_scc0 .LBB166_18
; %bb.4:
	s_cmp_gt_i32 s18, 28
	s_cbranch_scc0 .LBB166_31
; %bb.5:
	;; [unrolled: 3-line block ×4, first 2 shown]
	s_cmp_eq_u32 s18, 46
	s_mov_b32 s23, 0
	s_cbranch_scc0 .LBB166_41
; %bb.8:
	global_load_b32 v2, v[0:1], off
	s_mov_b32 s19, -1
	s_wait_loadcnt 0x0
	v_and_b32_e32 v3, 0xffff0000, v2
	s_branch .LBB166_43
.LBB166_9:
                                        ; implicit-def: $vgpr3
                                        ; implicit-def: $vgpr2
	s_cbranch_execnz .LBB166_111
.LBB166_10:
	s_and_not1_b32 vcc_lo, exec_lo, s19
	s_cbranch_vccnz .LBB166_160
.LBB166_11:
	s_wait_xcnt 0x0
	v_mul_lo_u32 v0, v6, s10
	s_and_b32 s0, s1, 0xff
	s_delay_alu instid0(SALU_CYCLE_1) | instskip(NEXT) | instid1(VALU_DEP_1)
	s_cmp_lt_i32 s0, 11
	v_ashrrev_i32_e32 v1, 31, v0
	s_delay_alu instid0(VALU_DEP_1)
	v_add_nc_u64_e32 v[0:1], s[2:3], v[0:1]
	s_cbranch_scc1 .LBB166_19
; %bb.12:
	s_and_b32 s18, 0xffff, s0
	s_delay_alu instid0(SALU_CYCLE_1)
	s_cmp_gt_i32 s18, 25
	s_cbranch_scc0 .LBB166_32
; %bb.13:
	s_cmp_gt_i32 s18, 28
	s_cbranch_scc0 .LBB166_36
; %bb.14:
	;; [unrolled: 3-line block ×4, first 2 shown]
	s_cmp_eq_u32 s18, 46
	s_mov_b32 s24, 0
	s_cbranch_scc0 .LBB166_161
; %bb.17:
	global_load_b32 v4, v[0:1], off
	s_mov_b32 s23, -1
	s_mov_b32 s19, 0
	s_wait_loadcnt 0x0
	v_and_b32_e32 v5, 0xffff0000, v4
	s_branch .LBB166_163
.LBB166_18:
                                        ; implicit-def: $vgpr3
                                        ; implicit-def: $vgpr2
	s_cbranch_execnz .LBB166_76
	s_branch .LBB166_110
.LBB166_19:
	s_mov_b32 s19, 0
	s_mov_b32 s23, 0
                                        ; implicit-def: $vgpr5
                                        ; implicit-def: $vgpr4
	s_cbranch_execnz .LBB166_342
.LBB166_20:
	s_and_not1_b32 vcc_lo, exec_lo, s23
	s_cbranch_vccnz .LBB166_392
.LBB166_21:
	s_wait_loadcnt 0x0
	s_delay_alu instid0(VALU_DEP_2) | instskip(SKIP_2) | instid1(VALU_DEP_2)
	v_and_b32_e32 v0, 0xffff, v4
	v_and_b32_e32 v1, 0xffff, v2
	s_and_b32 vcc_lo, exec_lo, s16
	v_or_b32_e32 v2, v5, v0
	s_delay_alu instid0(VALU_DEP_2) | instskip(SKIP_2) | instid1(VALU_DEP_3)
	v_or_b32_e32 v4, v3, v1
	v_and_b32_e32 v0, 0xffff0000, v5
	v_and_b32_e32 v3, 0xffff0000, v3
	v_dual_lshlrev_b32 v1, 16, v2 :: v_dual_lshlrev_b32 v2, 16, v4
	s_cbranch_vccz .LBB166_34
; %bb.22:
	s_delay_alu instid0(VALU_DEP_1) | instskip(NEXT) | instid1(VALU_DEP_3)
	v_cmp_neq_f32_e32 vcc_lo, v2, v1
	v_cmp_neq_f32_e64 s0, v3, v0
	s_or_b32 s18, vcc_lo, s0
	s_cbranch_execnz .LBB166_24
.LBB166_23:
	s_delay_alu instid0(VALU_DEP_1) | instskip(SKIP_3) | instid1(SALU_CYCLE_1)
	v_cmp_eq_f32_e32 vcc_lo, v2, v1
	v_cmp_eq_f32_e64 s0, v3, v0
	s_and_not1_b32 s18, s18, exec_lo
	s_and_b32 s0, vcc_lo, s0
	s_and_b32 s0, s0, exec_lo
	s_delay_alu instid0(SALU_CYCLE_1)
	s_or_b32 s18, s18, s0
.LBB166_24:
	v_mul_lo_u32 v0, v6, s8
	s_and_b32 s23, s12, 0xff
	s_delay_alu instid0(SALU_CYCLE_1) | instskip(NEXT) | instid1(VALU_DEP_1)
	s_cmp_lt_i32 s23, 11
	v_ashrrev_i32_e32 v1, 31, v0
	s_delay_alu instid0(VALU_DEP_1)
	v_add_nc_u64_e32 v[0:1], s[4:5], v[0:1]
	s_cbranch_scc1 .LBB166_33
; %bb.25:
	s_and_b32 s24, 0xffff, s23
	s_delay_alu instid0(SALU_CYCLE_1)
	s_cmp_gt_i32 s24, 25
	s_cbranch_scc0 .LBB166_37
; %bb.26:
	s_cmp_gt_i32 s24, 28
	s_cbranch_scc0 .LBB166_40
; %bb.27:
	;; [unrolled: 3-line block ×4, first 2 shown]
	s_mov_b32 s26, 0
	s_mov_b32 s0, -1
	s_cmp_eq_u32 s24, 46
	s_mov_b32 s25, 0
	s_cbranch_scc0 .LBB166_167
; %bb.30:
	v_cndmask_b32_e64 v2, 0, 1.0, s18
	s_mov_b32 s25, -1
	s_mov_b32 s0, 0
	s_delay_alu instid0(VALU_DEP_1) | instskip(NEXT) | instid1(VALU_DEP_1)
	v_bfe_u32 v3, v2, 16, 1
	v_add3_u32 v2, v2, v3, 0x7fff
	s_delay_alu instid0(VALU_DEP_1)
	v_lshrrev_b32_e32 v2, 16, v2
	global_store_b32 v[0:1], v2, off
	s_branch .LBB166_167
.LBB166_31:
	s_mov_b32 s23, -1
                                        ; implicit-def: $vgpr3
                                        ; implicit-def: $vgpr2
	s_branch .LBB166_57
.LBB166_32:
	s_mov_b32 s24, -1
	s_mov_b32 s19, 0
	s_mov_b32 s23, 0
                                        ; implicit-def: $vgpr5
                                        ; implicit-def: $vgpr4
	s_branch .LBB166_305
.LBB166_33:
	s_mov_b32 s24, -1
	s_mov_b32 s0, 0
	s_mov_b32 s25, 0
	s_branch .LBB166_236
.LBB166_34:
                                        ; implicit-def: $sgpr18
	s_branch .LBB166_23
.LBB166_35:
	s_mov_b32 s23, -1
                                        ; implicit-def: $vgpr3
                                        ; implicit-def: $vgpr2
	s_branch .LBB166_51
.LBB166_36:
	s_mov_b32 s24, -1
	s_mov_b32 s19, 0
	s_mov_b32 s23, 0
                                        ; implicit-def: $vgpr5
                                        ; implicit-def: $vgpr4
	s_branch .LBB166_286
.LBB166_37:
	s_mov_b32 s26, -1
	s_mov_b32 s0, 0
	s_mov_b32 s25, 0
	s_branch .LBB166_194
.LBB166_38:
	s_mov_b32 s23, -1
	s_branch .LBB166_42
.LBB166_39:
	s_mov_b32 s24, -1
	s_mov_b32 s19, 0
	s_mov_b32 s23, 0
                                        ; implicit-def: $vgpr5
                                        ; implicit-def: $vgpr4
	s_branch .LBB166_280
.LBB166_40:
	s_mov_b32 s26, -1
	s_mov_b32 s0, 0
	s_mov_b32 s25, 0
	s_branch .LBB166_177
.LBB166_41:
	s_mov_b32 s20, -1
.LBB166_42:
                                        ; implicit-def: $vgpr3
                                        ; implicit-def: $vgpr2
.LBB166_43:
	s_and_b32 vcc_lo, exec_lo, s23
	s_cbranch_vccz .LBB166_50
; %bb.44:
	s_cmp_eq_u32 s18, 44
	s_cbranch_scc0 .LBB166_48
; %bb.45:
	global_load_u8 v2, v[0:1], off
	s_mov_b32 s20, 0
	s_mov_b32 s19, -1
	s_wait_loadcnt 0x0
	v_lshlrev_b32_e32 v3, 23, v2
	v_cmp_ne_u32_e32 vcc_lo, 0xff, v2
	s_delay_alu instid0(VALU_DEP_2) | instskip(SKIP_1) | instid1(VALU_DEP_2)
	v_cndmask_b32_e32 v3, 0x7f800001, v3, vcc_lo
	v_cmp_ne_u32_e32 vcc_lo, 0, v2
	v_cndmask_b32_e32 v2, 0x400000, v3, vcc_lo
	s_delay_alu instid0(VALU_DEP_1) | instskip(NEXT) | instid1(VALU_DEP_1)
	v_add_nc_u32_e32 v3, 0x7fff, v2
	v_lshrrev_b32_e32 v3, 16, v3
	v_cmp_o_f32_e32 vcc_lo, v2, v2
	s_delay_alu instid0(VALU_DEP_2)
	v_cndmask_b32_e32 v2, 0x7fc0, v3, vcc_lo
	s_branch .LBB166_49
.LBB166_46:
	s_mov_b32 s24, -1
	s_mov_b32 s19, 0
	s_branch .LBB166_162
.LBB166_47:
	s_mov_b32 s26, -1
	s_mov_b32 s0, 0
	s_mov_b32 s25, 0
	s_branch .LBB166_173
.LBB166_48:
	s_mov_b32 s20, -1
                                        ; implicit-def: $vgpr2
.LBB166_49:
	v_mov_b32_e32 v3, 0
.LBB166_50:
	s_mov_b32 s23, 0
.LBB166_51:
	s_delay_alu instid0(SALU_CYCLE_1)
	s_and_b32 vcc_lo, exec_lo, s23
	s_cbranch_vccz .LBB166_56
; %bb.52:
	s_cmp_eq_u32 s18, 29
	s_cbranch_scc0 .LBB166_54
; %bb.53:
	global_load_b64 v[2:3], v[0:1], off
	s_mov_b32 s19, -1
	s_mov_b32 s20, 0
	s_wait_loadcnt 0x0
	v_clz_i32_u32_e32 v4, v3
	s_delay_alu instid0(VALU_DEP_1) | instskip(NEXT) | instid1(VALU_DEP_1)
	v_min_u32_e32 v4, 32, v4
	v_lshlrev_b64_e32 v[2:3], v4, v[2:3]
	s_delay_alu instid0(VALU_DEP_1) | instskip(NEXT) | instid1(VALU_DEP_1)
	v_min_u32_e32 v2, 1, v2
	v_dual_sub_nc_u32 v3, 32, v4 :: v_dual_bitop2_b32 v2, v3, v2 bitop3:0x54
	s_delay_alu instid0(VALU_DEP_1) | instskip(NEXT) | instid1(VALU_DEP_1)
	v_cvt_f32_u32_e32 v2, v2
	v_ldexp_f32 v2, v2, v3
	s_delay_alu instid0(VALU_DEP_1) | instskip(NEXT) | instid1(VALU_DEP_1)
	v_bfe_u32 v3, v2, 16, 1
	v_add3_u32 v2, v2, v3, 0x7fff
	s_delay_alu instid0(VALU_DEP_1)
	v_lshrrev_b32_e32 v2, 16, v2
	s_branch .LBB166_55
.LBB166_54:
	s_mov_b32 s20, -1
                                        ; implicit-def: $vgpr2
.LBB166_55:
	v_mov_b32_e32 v3, 0
.LBB166_56:
	s_mov_b32 s23, 0
.LBB166_57:
	s_delay_alu instid0(SALU_CYCLE_1)
	s_and_b32 vcc_lo, exec_lo, s23
	s_cbranch_vccz .LBB166_75
; %bb.58:
	s_cmp_lt_i32 s18, 27
	s_cbranch_scc1 .LBB166_61
; %bb.59:
	s_cmp_gt_i32 s18, 27
	s_cbranch_scc0 .LBB166_62
; %bb.60:
	global_load_b32 v2, v[0:1], off
	s_mov_b32 s19, 0
	s_wait_loadcnt 0x0
	v_cvt_f32_u32_e32 v2, v2
	s_delay_alu instid0(VALU_DEP_1) | instskip(NEXT) | instid1(VALU_DEP_1)
	v_bfe_u32 v3, v2, 16, 1
	v_add3_u32 v2, v2, v3, 0x7fff
	s_delay_alu instid0(VALU_DEP_1)
	v_lshrrev_b32_e32 v2, 16, v2
	s_branch .LBB166_63
.LBB166_61:
	s_mov_b32 s19, -1
                                        ; implicit-def: $vgpr2
	s_branch .LBB166_66
.LBB166_62:
	s_mov_b32 s19, -1
                                        ; implicit-def: $vgpr2
.LBB166_63:
	s_delay_alu instid0(SALU_CYCLE_1)
	s_and_not1_b32 vcc_lo, exec_lo, s19
	s_cbranch_vccnz .LBB166_65
; %bb.64:
	global_load_u16 v2, v[0:1], off
	s_wait_loadcnt 0x0
	v_cvt_f32_u32_e32 v2, v2
	s_delay_alu instid0(VALU_DEP_1) | instskip(NEXT) | instid1(VALU_DEP_1)
	v_bfe_u32 v3, v2, 16, 1
	v_add3_u32 v2, v2, v3, 0x7fff
	s_delay_alu instid0(VALU_DEP_1)
	v_lshrrev_b32_e32 v2, 16, v2
.LBB166_65:
	s_mov_b32 s19, 0
.LBB166_66:
	s_delay_alu instid0(SALU_CYCLE_1)
	s_and_not1_b32 vcc_lo, exec_lo, s19
	s_cbranch_vccnz .LBB166_74
; %bb.67:
	global_load_u8 v2, v[0:1], off
	s_mov_b32 s19, 0
	s_mov_b32 s23, exec_lo
	s_wait_loadcnt 0x0
	v_cmpx_lt_i16_e32 0x7f, v2
	s_xor_b32 s23, exec_lo, s23
	s_cbranch_execz .LBB166_87
; %bb.68:
	s_mov_b32 s19, -1
	s_mov_b32 s24, exec_lo
	v_cmpx_eq_u16_e32 0x80, v2
; %bb.69:
	s_xor_b32 s19, exec_lo, -1
; %bb.70:
	s_or_b32 exec_lo, exec_lo, s24
	s_delay_alu instid0(SALU_CYCLE_1)
	s_and_b32 s19, s19, exec_lo
	s_or_saveexec_b32 s23, s23
	v_mov_b32_e32 v3, 0x7f800001
	s_xor_b32 exec_lo, exec_lo, s23
	s_cbranch_execnz .LBB166_88
.LBB166_71:
	s_or_b32 exec_lo, exec_lo, s23
	s_and_saveexec_b32 s23, s19
	s_cbranch_execz .LBB166_73
.LBB166_72:
	v_and_b32_e32 v3, 0xffff, v2
	s_delay_alu instid0(VALU_DEP_1) | instskip(SKIP_1) | instid1(VALU_DEP_2)
	v_and_b32_e32 v4, 7, v3
	v_bfe_u32 v8, v3, 3, 4
	v_clz_i32_u32_e32 v5, v4
	s_delay_alu instid0(VALU_DEP_2) | instskip(NEXT) | instid1(VALU_DEP_2)
	v_cmp_eq_u32_e32 vcc_lo, 0, v8
	v_min_u32_e32 v5, 32, v5
	s_delay_alu instid0(VALU_DEP_1) | instskip(NEXT) | instid1(VALU_DEP_1)
	v_subrev_nc_u32_e32 v7, 28, v5
	v_dual_lshlrev_b32 v3, v7, v3 :: v_dual_sub_nc_u32 v5, 29, v5
	s_delay_alu instid0(VALU_DEP_1) | instskip(NEXT) | instid1(VALU_DEP_2)
	v_dual_lshlrev_b32 v2, 24, v2 :: v_dual_bitop2_b32 v3, 7, v3 bitop3:0x40
	v_cndmask_b32_e32 v5, v8, v5, vcc_lo
	s_delay_alu instid0(VALU_DEP_2) | instskip(NEXT) | instid1(VALU_DEP_3)
	v_cndmask_b32_e32 v3, v4, v3, vcc_lo
	v_and_b32_e32 v2, 0x80000000, v2
	s_delay_alu instid0(VALU_DEP_3) | instskip(NEXT) | instid1(VALU_DEP_3)
	v_lshl_add_u32 v4, v5, 23, 0x3b800000
	v_lshlrev_b32_e32 v3, 20, v3
	s_delay_alu instid0(VALU_DEP_1)
	v_or3_b32 v3, v2, v4, v3
.LBB166_73:
	s_or_b32 exec_lo, exec_lo, s23
	s_delay_alu instid0(VALU_DEP_1) | instskip(SKIP_1) | instid1(VALU_DEP_2)
	v_bfe_u32 v2, v3, 16, 1
	v_cmp_o_f32_e32 vcc_lo, v3, v3
	v_add3_u32 v2, v3, v2, 0x7fff
	s_delay_alu instid0(VALU_DEP_1) | instskip(NEXT) | instid1(VALU_DEP_1)
	v_lshrrev_b32_e32 v2, 16, v2
	v_cndmask_b32_e32 v2, 0x7fc0, v2, vcc_lo
.LBB166_74:
	v_mov_b32_e32 v3, 0
	s_mov_b32 s19, -1
.LBB166_75:
	s_branch .LBB166_110
.LBB166_76:
	s_cmp_gt_i32 s18, 22
	s_cbranch_scc0 .LBB166_86
; %bb.77:
	s_cmp_lt_i32 s18, 24
	s_cbranch_scc1 .LBB166_89
; %bb.78:
	s_cmp_gt_i32 s18, 24
	s_cbranch_scc0 .LBB166_90
; %bb.79:
	global_load_u8 v2, v[0:1], off
	s_mov_b32 s19, 0
	s_mov_b32 s23, exec_lo
	s_wait_loadcnt 0x0
	v_cmpx_lt_i16_e32 0x7f, v2
	s_xor_b32 s23, exec_lo, s23
	s_cbranch_execz .LBB166_101
; %bb.80:
	s_mov_b32 s19, -1
	s_mov_b32 s24, exec_lo
	v_cmpx_eq_u16_e32 0x80, v2
; %bb.81:
	s_xor_b32 s19, exec_lo, -1
; %bb.82:
	s_or_b32 exec_lo, exec_lo, s24
	s_delay_alu instid0(SALU_CYCLE_1)
	s_and_b32 s19, s19, exec_lo
	s_or_saveexec_b32 s23, s23
	v_mov_b32_e32 v3, 0x7f800001
	s_xor_b32 exec_lo, exec_lo, s23
	s_cbranch_execnz .LBB166_102
.LBB166_83:
	s_or_b32 exec_lo, exec_lo, s23
	s_and_saveexec_b32 s23, s19
	s_cbranch_execz .LBB166_85
.LBB166_84:
	v_and_b32_e32 v3, 0xffff, v2
	s_delay_alu instid0(VALU_DEP_1) | instskip(SKIP_1) | instid1(VALU_DEP_2)
	v_and_b32_e32 v4, 3, v3
	v_bfe_u32 v8, v3, 2, 5
	v_clz_i32_u32_e32 v5, v4
	s_delay_alu instid0(VALU_DEP_2) | instskip(NEXT) | instid1(VALU_DEP_2)
	v_cmp_eq_u32_e32 vcc_lo, 0, v8
	v_min_u32_e32 v5, 32, v5
	s_delay_alu instid0(VALU_DEP_1) | instskip(NEXT) | instid1(VALU_DEP_1)
	v_subrev_nc_u32_e32 v7, 29, v5
	v_dual_lshlrev_b32 v3, v7, v3 :: v_dual_sub_nc_u32 v5, 30, v5
	s_delay_alu instid0(VALU_DEP_1) | instskip(NEXT) | instid1(VALU_DEP_2)
	v_dual_lshlrev_b32 v2, 24, v2 :: v_dual_bitop2_b32 v3, 3, v3 bitop3:0x40
	v_cndmask_b32_e32 v5, v8, v5, vcc_lo
	s_delay_alu instid0(VALU_DEP_2) | instskip(NEXT) | instid1(VALU_DEP_3)
	v_cndmask_b32_e32 v3, v4, v3, vcc_lo
	v_and_b32_e32 v2, 0x80000000, v2
	s_delay_alu instid0(VALU_DEP_3) | instskip(NEXT) | instid1(VALU_DEP_3)
	v_lshl_add_u32 v4, v5, 23, 0x37800000
	v_lshlrev_b32_e32 v3, 21, v3
	s_delay_alu instid0(VALU_DEP_1)
	v_or3_b32 v3, v2, v4, v3
.LBB166_85:
	s_or_b32 exec_lo, exec_lo, s23
	s_delay_alu instid0(VALU_DEP_1) | instskip(SKIP_2) | instid1(VALU_DEP_2)
	v_bfe_u32 v2, v3, 16, 1
	v_cmp_o_f32_e32 vcc_lo, v3, v3
	s_mov_b32 s19, 0
	v_add3_u32 v2, v3, v2, 0x7fff
	s_delay_alu instid0(VALU_DEP_1) | instskip(NEXT) | instid1(VALU_DEP_1)
	v_lshrrev_b32_e32 v2, 16, v2
	v_cndmask_b32_e32 v2, 0x7fc0, v2, vcc_lo
	s_branch .LBB166_91
.LBB166_86:
                                        ; implicit-def: $vgpr2
	s_branch .LBB166_97
.LBB166_87:
	s_or_saveexec_b32 s23, s23
	v_mov_b32_e32 v3, 0x7f800001
	s_xor_b32 exec_lo, exec_lo, s23
	s_cbranch_execz .LBB166_71
.LBB166_88:
	v_cmp_ne_u16_e32 vcc_lo, 0, v2
	v_mov_b32_e32 v3, 0
	s_and_not1_b32 s19, s19, exec_lo
	s_and_b32 s24, vcc_lo, exec_lo
	s_delay_alu instid0(SALU_CYCLE_1)
	s_or_b32 s19, s19, s24
	s_or_b32 exec_lo, exec_lo, s23
	s_and_saveexec_b32 s23, s19
	s_cbranch_execnz .LBB166_72
	s_branch .LBB166_73
.LBB166_89:
	s_mov_b32 s19, -1
                                        ; implicit-def: $vgpr2
	s_branch .LBB166_94
.LBB166_90:
	s_mov_b32 s19, -1
                                        ; implicit-def: $vgpr2
.LBB166_91:
	s_delay_alu instid0(SALU_CYCLE_1)
	s_and_b32 vcc_lo, exec_lo, s19
	s_cbranch_vccz .LBB166_93
; %bb.92:
	global_load_u8 v2, v[0:1], off
	s_wait_loadcnt 0x0
	v_lshlrev_b32_e32 v2, 24, v2
	s_delay_alu instid0(VALU_DEP_1) | instskip(NEXT) | instid1(VALU_DEP_1)
	v_and_b32_e32 v3, 0x7f000000, v2
	v_clz_i32_u32_e32 v4, v3
	v_add_nc_u32_e32 v7, 0x1000000, v3
	v_cmp_ne_u32_e32 vcc_lo, 0, v3
	s_delay_alu instid0(VALU_DEP_3) | instskip(NEXT) | instid1(VALU_DEP_1)
	v_min_u32_e32 v4, 32, v4
	v_sub_nc_u32_e64 v4, v4, 4 clamp
	s_delay_alu instid0(VALU_DEP_1) | instskip(NEXT) | instid1(VALU_DEP_1)
	v_dual_lshlrev_b32 v5, v4, v3 :: v_dual_lshlrev_b32 v4, 23, v4
	v_lshrrev_b32_e32 v5, 4, v5
	s_delay_alu instid0(VALU_DEP_1) | instskip(NEXT) | instid1(VALU_DEP_1)
	v_dual_sub_nc_u32 v4, v5, v4 :: v_dual_ashrrev_i32 v5, 8, v7
	v_add_nc_u32_e32 v4, 0x3c000000, v4
	s_delay_alu instid0(VALU_DEP_1) | instskip(NEXT) | instid1(VALU_DEP_1)
	v_and_or_b32 v4, 0x7f800000, v5, v4
	v_cndmask_b32_e32 v3, 0, v4, vcc_lo
	s_delay_alu instid0(VALU_DEP_1) | instskip(SKIP_1) | instid1(VALU_DEP_2)
	v_and_or_b32 v2, 0x80000000, v2, v3
	v_bfe_u32 v3, v3, 16, 1
	v_cmp_o_f32_e32 vcc_lo, v2, v2
	s_delay_alu instid0(VALU_DEP_2) | instskip(NEXT) | instid1(VALU_DEP_1)
	v_add3_u32 v3, v2, v3, 0x7fff
	v_lshrrev_b32_e32 v3, 16, v3
	s_delay_alu instid0(VALU_DEP_1)
	v_cndmask_b32_e32 v2, 0x7fc0, v3, vcc_lo
.LBB166_93:
	s_mov_b32 s19, 0
.LBB166_94:
	s_delay_alu instid0(SALU_CYCLE_1)
	s_and_not1_b32 vcc_lo, exec_lo, s19
	s_cbranch_vccnz .LBB166_96
; %bb.95:
	global_load_u8 v2, v[0:1], off
	s_wait_loadcnt 0x0
	v_lshlrev_b32_e32 v3, 25, v2
	v_lshlrev_b16 v2, 8, v2
	s_delay_alu instid0(VALU_DEP_1) | instskip(SKIP_1) | instid1(VALU_DEP_2)
	v_and_or_b32 v5, 0x7f00, v2, 0.5
	v_bfe_i32 v2, v2, 0, 16
	v_dual_add_f32 v5, -0.5, v5 :: v_dual_lshrrev_b32 v4, 4, v3
	v_cmp_gt_u32_e32 vcc_lo, 0x8000000, v3
	s_delay_alu instid0(VALU_DEP_2) | instskip(NEXT) | instid1(VALU_DEP_1)
	v_or_b32_e32 v4, 0x70000000, v4
	v_mul_f32_e32 v4, 0x7800000, v4
	s_delay_alu instid0(VALU_DEP_1) | instskip(NEXT) | instid1(VALU_DEP_1)
	v_cndmask_b32_e32 v3, v4, v5, vcc_lo
	v_and_or_b32 v2, 0x80000000, v2, v3
	v_bfe_u32 v3, v3, 16, 1
	s_delay_alu instid0(VALU_DEP_2) | instskip(NEXT) | instid1(VALU_DEP_2)
	v_cmp_o_f32_e32 vcc_lo, v2, v2
	v_add3_u32 v3, v2, v3, 0x7fff
	s_delay_alu instid0(VALU_DEP_1) | instskip(NEXT) | instid1(VALU_DEP_1)
	v_lshrrev_b32_e32 v3, 16, v3
	v_cndmask_b32_e32 v2, 0x7fc0, v3, vcc_lo
.LBB166_96:
	s_mov_b32 s19, -1
	s_cbranch_execnz .LBB166_109
.LBB166_97:
	s_cmp_gt_i32 s18, 14
	s_cbranch_scc0 .LBB166_100
; %bb.98:
	s_cmp_eq_u32 s18, 15
	s_cbranch_scc0 .LBB166_103
; %bb.99:
	global_load_u16 v2, v[0:1], off
	s_mov_b32 s19, -1
	s_mov_b32 s20, 0
	s_branch .LBB166_104
.LBB166_100:
	s_mov_b32 s23, -1
                                        ; implicit-def: $vgpr2
	s_branch .LBB166_105
.LBB166_101:
	s_or_saveexec_b32 s23, s23
	v_mov_b32_e32 v3, 0x7f800001
	s_xor_b32 exec_lo, exec_lo, s23
	s_cbranch_execz .LBB166_83
.LBB166_102:
	v_cmp_ne_u16_e32 vcc_lo, 0, v2
	v_mov_b32_e32 v3, 0
	s_and_not1_b32 s19, s19, exec_lo
	s_and_b32 s24, vcc_lo, exec_lo
	s_delay_alu instid0(SALU_CYCLE_1)
	s_or_b32 s19, s19, s24
	s_or_b32 exec_lo, exec_lo, s23
	s_and_saveexec_b32 s23, s19
	s_cbranch_execnz .LBB166_84
	s_branch .LBB166_85
.LBB166_103:
	s_mov_b32 s20, -1
                                        ; implicit-def: $vgpr2
.LBB166_104:
	s_mov_b32 s23, 0
.LBB166_105:
	s_delay_alu instid0(SALU_CYCLE_1)
	s_and_b32 vcc_lo, exec_lo, s23
	s_cbranch_vccz .LBB166_109
; %bb.106:
	s_cmp_eq_u32 s18, 11
	s_cbranch_scc0 .LBB166_108
; %bb.107:
	s_wait_loadcnt 0x0
	global_load_u8 v2, v[0:1], off
	s_mov_b32 s20, 0
	s_mov_b32 s19, -1
	v_mov_b32_e32 v3, 0
	s_wait_loadcnt 0x0
	v_cmp_ne_u16_e32 vcc_lo, 0, v2
	v_cndmask_b32_e64 v2, 0, 1.0, vcc_lo
	s_delay_alu instid0(VALU_DEP_1)
	v_lshrrev_b32_e32 v2, 16, v2
	s_branch .LBB166_110
.LBB166_108:
	s_mov_b32 s20, -1
                                        ; implicit-def: $vgpr2
.LBB166_109:
	v_mov_b32_e32 v3, 0
.LBB166_110:
	s_branch .LBB166_10
.LBB166_111:
	s_and_b32 s0, 0xffff, s0
	s_delay_alu instid0(SALU_CYCLE_1)
	s_cmp_lt_i32 s0, 5
	s_cbranch_scc1 .LBB166_116
; %bb.112:
	s_cmp_lt_i32 s0, 8
	s_cbranch_scc1 .LBB166_117
; %bb.113:
	;; [unrolled: 3-line block ×3, first 2 shown]
	s_cmp_gt_i32 s0, 9
	s_cbranch_scc0 .LBB166_119
; %bb.115:
	s_wait_loadcnt 0x0
	global_load_b128 v[2:5], v[0:1], off
	s_mov_b32 s18, 0
	s_wait_loadcnt 0x0
	v_cvt_f32_f64_e32 v2, v[2:3]
	v_cvt_f32_f64_e32 v3, v[4:5]
	s_delay_alu instid0(VALU_DEP_2) | instskip(NEXT) | instid1(VALU_DEP_2)
	v_bfe_u32 v4, v2, 16, 1
	v_bfe_u32 v5, v3, 16, 1
	v_cmp_o_f32_e32 vcc_lo, v2, v2
	s_delay_alu instid0(VALU_DEP_3) | instskip(NEXT) | instid1(VALU_DEP_3)
	v_add3_u32 v4, v2, v4, 0x7fff
	v_add3_u32 v5, v3, v5, 0x7fff
	s_delay_alu instid0(VALU_DEP_1) | instskip(NEXT) | instid1(VALU_DEP_3)
	v_and_b32_e32 v5, 0xffff0000, v5
	v_lshrrev_b32_e32 v4, 16, v4
	s_delay_alu instid0(VALU_DEP_1) | instskip(SKIP_1) | instid1(VALU_DEP_4)
	v_cndmask_b32_e32 v2, 0x7fc0, v4, vcc_lo
	v_cmp_o_f32_e32 vcc_lo, v3, v3
	v_cndmask_b32_e32 v3, 0x7fc00000, v5, vcc_lo
	s_branch .LBB166_120
.LBB166_116:
                                        ; implicit-def: $vgpr3
                                        ; implicit-def: $vgpr2
	s_branch .LBB166_139
.LBB166_117:
	s_mov_b32 s18, -1
                                        ; implicit-def: $vgpr3
                                        ; implicit-def: $vgpr2
	s_branch .LBB166_126
.LBB166_118:
	s_mov_b32 s18, -1
                                        ; implicit-def: $vgpr3
                                        ; implicit-def: $vgpr2
	s_branch .LBB166_123
.LBB166_119:
	s_mov_b32 s18, -1
                                        ; implicit-def: $vgpr3
                                        ; implicit-def: $vgpr2
.LBB166_120:
	s_delay_alu instid0(SALU_CYCLE_1)
	s_and_not1_b32 vcc_lo, exec_lo, s18
	s_cbranch_vccnz .LBB166_122
; %bb.121:
	s_wait_loadcnt 0x0
	global_load_b64 v[2:3], v[0:1], off
	s_wait_loadcnt 0x0
	v_bfe_u32 v4, v2, 16, 1
	v_bfe_u32 v5, v3, 16, 1
	v_cmp_o_f32_e32 vcc_lo, v2, v2
	s_delay_alu instid0(VALU_DEP_3) | instskip(NEXT) | instid1(VALU_DEP_3)
	v_add3_u32 v4, v2, v4, 0x7fff
	v_add3_u32 v5, v3, v5, 0x7fff
	s_delay_alu instid0(VALU_DEP_1) | instskip(NEXT) | instid1(VALU_DEP_3)
	v_and_b32_e32 v5, 0xffff0000, v5
	v_lshrrev_b32_e32 v4, 16, v4
	s_delay_alu instid0(VALU_DEP_1) | instskip(SKIP_1) | instid1(VALU_DEP_4)
	v_cndmask_b32_e32 v2, 0x7fc0, v4, vcc_lo
	v_cmp_o_f32_e32 vcc_lo, v3, v3
	v_cndmask_b32_e32 v3, 0x7fc00000, v5, vcc_lo
.LBB166_122:
	s_mov_b32 s18, 0
.LBB166_123:
	s_delay_alu instid0(SALU_CYCLE_1)
	s_and_not1_b32 vcc_lo, exec_lo, s18
	s_cbranch_vccnz .LBB166_125
; %bb.124:
	s_wait_loadcnt 0x0
	global_load_b32 v2, v[0:1], off
	s_wait_loadcnt 0x0
	v_cvt_f32_f16_e32 v4, v2
	v_cmp_o_f16_e32 vcc_lo, v2, v2
	s_delay_alu instid0(VALU_DEP_2) | instskip(NEXT) | instid1(VALU_DEP_1)
	v_bfe_u32 v7, v4, 16, 1
	v_add3_u32 v4, v4, v7, 0x7fff
	s_delay_alu instid0(VALU_DEP_1) | instskip(NEXT) | instid1(VALU_DEP_1)
	v_dual_lshrrev_b32 v3, 16, v2 :: v_dual_lshrrev_b32 v4, 16, v4
	v_cvt_f32_f16_e32 v5, v3
	s_delay_alu instid0(VALU_DEP_2) | instskip(NEXT) | instid1(VALU_DEP_2)
	v_cndmask_b32_e32 v2, 0x7fc0, v4, vcc_lo
	v_bfe_u32 v8, v5, 16, 1
	v_cmp_o_f16_e32 vcc_lo, v3, v3
	s_delay_alu instid0(VALU_DEP_2) | instskip(NEXT) | instid1(VALU_DEP_1)
	v_add3_u32 v5, v5, v8, 0x7fff
	v_and_b32_e32 v5, 0xffff0000, v5
	s_delay_alu instid0(VALU_DEP_1)
	v_cndmask_b32_e32 v3, 0x7fc00000, v5, vcc_lo
.LBB166_125:
	s_mov_b32 s18, 0
.LBB166_126:
	s_delay_alu instid0(SALU_CYCLE_1)
	s_and_not1_b32 vcc_lo, exec_lo, s18
	s_cbranch_vccnz .LBB166_138
; %bb.127:
	s_cmp_lt_i32 s0, 6
	s_cbranch_scc1 .LBB166_130
; %bb.128:
	s_cmp_gt_i32 s0, 6
	s_cbranch_scc0 .LBB166_131
; %bb.129:
	s_wait_loadcnt 0x0
	global_load_b64 v[2:3], v[0:1], off
	s_mov_b32 s18, 0
	s_wait_loadcnt 0x0
	v_cvt_f32_f64_e32 v2, v[2:3]
	s_delay_alu instid0(VALU_DEP_1) | instskip(SKIP_1) | instid1(VALU_DEP_2)
	v_bfe_u32 v3, v2, 16, 1
	v_cmp_o_f32_e32 vcc_lo, v2, v2
	v_add3_u32 v3, v2, v3, 0x7fff
	s_delay_alu instid0(VALU_DEP_1) | instskip(NEXT) | instid1(VALU_DEP_1)
	v_lshrrev_b32_e32 v3, 16, v3
	v_cndmask_b32_e32 v2, 0x7fc0, v3, vcc_lo
	s_branch .LBB166_132
.LBB166_130:
	s_mov_b32 s18, -1
                                        ; implicit-def: $vgpr2
	s_branch .LBB166_135
.LBB166_131:
	s_mov_b32 s18, -1
                                        ; implicit-def: $vgpr2
.LBB166_132:
	s_delay_alu instid0(SALU_CYCLE_1)
	s_and_not1_b32 vcc_lo, exec_lo, s18
	s_cbranch_vccnz .LBB166_134
; %bb.133:
	s_wait_loadcnt 0x0
	global_load_b32 v2, v[0:1], off
	s_wait_loadcnt 0x0
	v_bfe_u32 v3, v2, 16, 1
	v_cmp_o_f32_e32 vcc_lo, v2, v2
	s_delay_alu instid0(VALU_DEP_2) | instskip(NEXT) | instid1(VALU_DEP_1)
	v_add3_u32 v3, v2, v3, 0x7fff
	v_lshrrev_b32_e32 v3, 16, v3
	s_delay_alu instid0(VALU_DEP_1)
	v_cndmask_b32_e32 v2, 0x7fc0, v3, vcc_lo
.LBB166_134:
	s_mov_b32 s18, 0
.LBB166_135:
	s_delay_alu instid0(SALU_CYCLE_1)
	s_and_not1_b32 vcc_lo, exec_lo, s18
	s_cbranch_vccnz .LBB166_137
; %bb.136:
	s_wait_loadcnt 0x0
	global_load_u16 v2, v[0:1], off
	s_wait_loadcnt 0x0
	v_cvt_f32_f16_e32 v3, v2
	v_cmp_o_f16_e32 vcc_lo, v2, v2
	s_delay_alu instid0(VALU_DEP_2) | instskip(NEXT) | instid1(VALU_DEP_1)
	v_bfe_u32 v4, v3, 16, 1
	v_add3_u32 v3, v3, v4, 0x7fff
	s_delay_alu instid0(VALU_DEP_1) | instskip(NEXT) | instid1(VALU_DEP_1)
	v_lshrrev_b32_e32 v3, 16, v3
	v_cndmask_b32_e32 v2, 0x7fc0, v3, vcc_lo
.LBB166_137:
	v_mov_b32_e32 v3, 0
.LBB166_138:
	s_cbranch_execnz .LBB166_159
.LBB166_139:
	s_cmp_lt_i32 s0, 2
	s_cbranch_scc1 .LBB166_143
; %bb.140:
	s_cmp_lt_i32 s0, 3
	s_cbranch_scc1 .LBB166_144
; %bb.141:
	s_cmp_gt_i32 s0, 3
	s_cbranch_scc0 .LBB166_145
; %bb.142:
	s_wait_loadcnt 0x0
	global_load_b64 v[2:3], v[0:1], off
	s_mov_b32 s18, 0
	s_wait_loadcnt 0x0
	v_xor_b32_e32 v4, v2, v3
	v_cls_i32_e32 v5, v3
	s_delay_alu instid0(VALU_DEP_2) | instskip(NEXT) | instid1(VALU_DEP_1)
	v_ashrrev_i32_e32 v4, 31, v4
	v_add_nc_u32_e32 v4, 32, v4
	s_delay_alu instid0(VALU_DEP_1) | instskip(NEXT) | instid1(VALU_DEP_1)
	v_add_min_u32_e64 v4, v5, -1, v4
	v_lshlrev_b64_e32 v[2:3], v4, v[2:3]
	s_delay_alu instid0(VALU_DEP_1) | instskip(NEXT) | instid1(VALU_DEP_1)
	v_min_u32_e32 v2, 1, v2
	v_dual_sub_nc_u32 v3, 32, v4 :: v_dual_bitop2_b32 v2, v3, v2 bitop3:0x54
	s_delay_alu instid0(VALU_DEP_1) | instskip(NEXT) | instid1(VALU_DEP_1)
	v_cvt_f32_i32_e32 v2, v2
	v_ldexp_f32 v2, v2, v3
	s_delay_alu instid0(VALU_DEP_1) | instskip(NEXT) | instid1(VALU_DEP_1)
	v_bfe_u32 v3, v2, 16, 1
	v_add3_u32 v2, v2, v3, 0x7fff
	s_delay_alu instid0(VALU_DEP_1)
	v_lshrrev_b32_e32 v2, 16, v2
	s_branch .LBB166_146
.LBB166_143:
	s_mov_b32 s18, -1
                                        ; implicit-def: $vgpr2
	s_branch .LBB166_152
.LBB166_144:
	s_mov_b32 s18, -1
                                        ; implicit-def: $vgpr2
	s_branch .LBB166_149
.LBB166_145:
	s_mov_b32 s18, -1
                                        ; implicit-def: $vgpr2
.LBB166_146:
	s_delay_alu instid0(SALU_CYCLE_1)
	s_and_not1_b32 vcc_lo, exec_lo, s18
	s_cbranch_vccnz .LBB166_148
; %bb.147:
	s_wait_loadcnt 0x0
	global_load_b32 v2, v[0:1], off
	s_wait_loadcnt 0x0
	v_cvt_f32_i32_e32 v2, v2
	s_delay_alu instid0(VALU_DEP_1) | instskip(NEXT) | instid1(VALU_DEP_1)
	v_bfe_u32 v3, v2, 16, 1
	v_add3_u32 v2, v2, v3, 0x7fff
	s_delay_alu instid0(VALU_DEP_1)
	v_lshrrev_b32_e32 v2, 16, v2
.LBB166_148:
	s_mov_b32 s18, 0
.LBB166_149:
	s_delay_alu instid0(SALU_CYCLE_1)
	s_and_not1_b32 vcc_lo, exec_lo, s18
	s_cbranch_vccnz .LBB166_151
; %bb.150:
	s_wait_loadcnt 0x0
	global_load_i16 v2, v[0:1], off
	s_wait_loadcnt 0x0
	v_cvt_f32_i32_e32 v2, v2
	s_delay_alu instid0(VALU_DEP_1) | instskip(NEXT) | instid1(VALU_DEP_1)
	v_bfe_u32 v3, v2, 16, 1
	v_add3_u32 v2, v2, v3, 0x7fff
	s_delay_alu instid0(VALU_DEP_1)
	v_lshrrev_b32_e32 v2, 16, v2
.LBB166_151:
	s_mov_b32 s18, 0
.LBB166_152:
	s_delay_alu instid0(SALU_CYCLE_1)
	s_and_not1_b32 vcc_lo, exec_lo, s18
	s_cbranch_vccnz .LBB166_158
; %bb.153:
	s_cmp_gt_i32 s0, 0
	s_mov_b32 s0, 0
	s_cbranch_scc0 .LBB166_155
; %bb.154:
	s_wait_loadcnt 0x0
	global_load_i8 v2, v[0:1], off
	s_wait_loadcnt 0x0
	v_cvt_f32_i32_e32 v2, v2
	s_delay_alu instid0(VALU_DEP_1) | instskip(NEXT) | instid1(VALU_DEP_1)
	v_bfe_u32 v3, v2, 16, 1
	v_add3_u32 v2, v2, v3, 0x7fff
	s_delay_alu instid0(VALU_DEP_1)
	v_lshrrev_b32_e32 v2, 16, v2
	s_branch .LBB166_156
.LBB166_155:
	s_mov_b32 s0, -1
                                        ; implicit-def: $vgpr2
.LBB166_156:
	s_delay_alu instid0(SALU_CYCLE_1)
	s_and_not1_b32 vcc_lo, exec_lo, s0
	s_cbranch_vccnz .LBB166_158
; %bb.157:
	global_load_u8 v0, v[0:1], off
	s_wait_loadcnt 0x0
	v_cvt_f32_ubyte0_e32 v0, v0
	s_delay_alu instid0(VALU_DEP_1) | instskip(NEXT) | instid1(VALU_DEP_1)
	v_bfe_u32 v1, v0, 16, 1
	v_add3_u32 v0, v0, v1, 0x7fff
	s_delay_alu instid0(VALU_DEP_1)
	v_lshrrev_b32_e32 v2, 16, v0
.LBB166_158:
	v_mov_b32_e32 v3, 0
.LBB166_159:
	s_branch .LBB166_11
.LBB166_160:
	s_mov_b32 s0, 0
	s_mov_b32 s19, 0
	s_branch .LBB166_393
.LBB166_161:
	s_mov_b32 s19, -1
.LBB166_162:
	s_mov_b32 s23, 0
                                        ; implicit-def: $vgpr5
                                        ; implicit-def: $vgpr4
.LBB166_163:
	s_and_b32 vcc_lo, exec_lo, s24
	s_cbranch_vccz .LBB166_279
; %bb.164:
	s_cmp_eq_u32 s18, 44
	s_cbranch_scc0 .LBB166_277
; %bb.165:
	global_load_u8 v4, v[0:1], off
	s_mov_b32 s19, 0
	s_mov_b32 s23, -1
	s_wait_loadcnt 0x0
	v_lshlrev_b32_e32 v5, 23, v4
	v_cmp_ne_u32_e32 vcc_lo, 0xff, v4
	s_delay_alu instid0(VALU_DEP_2) | instskip(SKIP_1) | instid1(VALU_DEP_2)
	v_cndmask_b32_e32 v5, 0x7f800001, v5, vcc_lo
	v_cmp_ne_u32_e32 vcc_lo, 0, v4
	v_cndmask_b32_e32 v4, 0x400000, v5, vcc_lo
	s_delay_alu instid0(VALU_DEP_1) | instskip(NEXT) | instid1(VALU_DEP_1)
	v_add_nc_u32_e32 v5, 0x7fff, v4
	v_lshrrev_b32_e32 v5, 16, v5
	v_cmp_o_f32_e32 vcc_lo, v4, v4
	s_delay_alu instid0(VALU_DEP_2)
	v_cndmask_b32_e32 v4, 0x7fc0, v5, vcc_lo
	s_branch .LBB166_278
.LBB166_166:
	s_mov_b32 s26, -1
	s_mov_b32 s0, 0
	s_mov_b32 s25, 0
.LBB166_167:
	s_and_b32 vcc_lo, exec_lo, s26
	s_cbranch_vccz .LBB166_172
; %bb.168:
	s_cmp_eq_u32 s24, 44
	s_mov_b32 s0, -1
	s_cbranch_scc0 .LBB166_172
; %bb.169:
	v_cndmask_b32_e64 v4, 0, 1.0, s18
	s_mov_b32 s25, exec_lo
	s_wait_xcnt 0x0
	s_delay_alu instid0(VALU_DEP_1) | instskip(NEXT) | instid1(VALU_DEP_1)
	v_dual_mov_b32 v3, 0xff :: v_dual_lshrrev_b32 v2, 23, v4
	v_cmpx_ne_u32_e32 0xff, v2
; %bb.170:
	v_and_b32_e32 v3, 0x400000, v4
	v_and_or_b32 v4, 0x3fffff, v4, v2
	s_delay_alu instid0(VALU_DEP_2) | instskip(NEXT) | instid1(VALU_DEP_2)
	v_cmp_ne_u32_e32 vcc_lo, 0, v3
	v_cmp_ne_u32_e64 s0, 0, v4
	s_and_b32 s0, vcc_lo, s0
	s_delay_alu instid0(SALU_CYCLE_1) | instskip(NEXT) | instid1(VALU_DEP_1)
	v_cndmask_b32_e64 v3, 0, 1, s0
	v_add_nc_u32_e32 v3, v2, v3
; %bb.171:
	s_or_b32 exec_lo, exec_lo, s25
	s_mov_b32 s25, -1
	s_mov_b32 s0, 0
	global_store_b8 v[0:1], v3, off
.LBB166_172:
	s_mov_b32 s26, 0
.LBB166_173:
	s_delay_alu instid0(SALU_CYCLE_1)
	s_and_b32 vcc_lo, exec_lo, s26
	s_cbranch_vccz .LBB166_176
; %bb.174:
	s_cmp_eq_u32 s24, 29
	s_mov_b32 s0, -1
	s_cbranch_scc0 .LBB166_176
; %bb.175:
	s_mov_b32 s0, 0
	s_wait_xcnt 0x0
	v_cndmask_b32_e64 v2, 0, 1, s18
	v_mov_b32_e32 v3, s0
	s_mov_b32 s25, -1
	s_mov_b32 s26, 0
	global_store_b64 v[0:1], v[2:3], off
	s_branch .LBB166_177
.LBB166_176:
	s_mov_b32 s26, 0
.LBB166_177:
	s_delay_alu instid0(SALU_CYCLE_1)
	s_and_b32 vcc_lo, exec_lo, s26
	s_cbranch_vccz .LBB166_193
; %bb.178:
	s_cmp_lt_i32 s24, 27
	s_mov_b32 s25, -1
	s_cbranch_scc1 .LBB166_184
; %bb.179:
	s_cmp_gt_i32 s24, 27
	s_cbranch_scc0 .LBB166_181
; %bb.180:
	s_wait_xcnt 0x0
	v_cndmask_b32_e64 v2, 0, 1, s18
	s_mov_b32 s25, 0
	global_store_b32 v[0:1], v2, off
.LBB166_181:
	s_and_not1_b32 vcc_lo, exec_lo, s25
	s_cbranch_vccnz .LBB166_183
; %bb.182:
	s_wait_xcnt 0x0
	v_cndmask_b32_e64 v2, 0, 1, s18
	global_store_b16 v[0:1], v2, off
.LBB166_183:
	s_mov_b32 s25, 0
.LBB166_184:
	s_delay_alu instid0(SALU_CYCLE_1)
	s_and_not1_b32 vcc_lo, exec_lo, s25
	s_cbranch_vccnz .LBB166_192
; %bb.185:
	s_wait_xcnt 0x0
	v_cndmask_b32_e64 v3, 0, 1.0, s18
	v_mov_b32_e32 v4, 0x80
	s_mov_b32 s25, exec_lo
	s_delay_alu instid0(VALU_DEP_2)
	v_cmpx_gt_u32_e32 0x43800000, v3
	s_cbranch_execz .LBB166_191
; %bb.186:
	s_mov_b32 s26, 0
	s_mov_b32 s27, exec_lo
                                        ; implicit-def: $vgpr2
	v_cmpx_lt_u32_e32 0x3bffffff, v3
	s_xor_b32 s27, exec_lo, s27
	s_cbranch_execz .LBB166_424
; %bb.187:
	v_bfe_u32 v2, v3, 20, 1
	s_mov_b32 s26, exec_lo
	s_delay_alu instid0(VALU_DEP_1) | instskip(NEXT) | instid1(VALU_DEP_1)
	v_add3_u32 v2, v3, v2, 0x487ffff
                                        ; implicit-def: $vgpr3
	v_lshrrev_b32_e32 v2, 20, v2
	s_and_not1_saveexec_b32 s27, s27
	s_cbranch_execnz .LBB166_425
.LBB166_188:
	s_or_b32 exec_lo, exec_lo, s27
	v_mov_b32_e32 v4, 0
	s_and_saveexec_b32 s27, s26
.LBB166_189:
	v_mov_b32_e32 v4, v2
.LBB166_190:
	s_or_b32 exec_lo, exec_lo, s27
.LBB166_191:
	s_delay_alu instid0(SALU_CYCLE_1)
	s_or_b32 exec_lo, exec_lo, s25
	global_store_b8 v[0:1], v4, off
.LBB166_192:
	s_mov_b32 s25, -1
.LBB166_193:
	s_mov_b32 s26, 0
.LBB166_194:
	s_delay_alu instid0(SALU_CYCLE_1)
	s_and_b32 vcc_lo, exec_lo, s26
	s_cbranch_vccz .LBB166_235
; %bb.195:
	s_cmp_gt_i32 s24, 22
	s_mov_b32 s26, -1
	s_cbranch_scc0 .LBB166_227
; %bb.196:
	s_cmp_lt_i32 s24, 24
	s_mov_b32 s25, -1
	s_cbranch_scc1 .LBB166_216
; %bb.197:
	s_cmp_gt_i32 s24, 24
	s_cbranch_scc0 .LBB166_205
; %bb.198:
	s_wait_xcnt 0x0
	v_cndmask_b32_e64 v3, 0, 1.0, s18
	v_mov_b32_e32 v4, 0x80
	s_mov_b32 s25, exec_lo
	s_delay_alu instid0(VALU_DEP_2)
	v_cmpx_gt_u32_e32 0x47800000, v3
	s_cbranch_execz .LBB166_204
; %bb.199:
	s_mov_b32 s26, 0
	s_mov_b32 s27, exec_lo
                                        ; implicit-def: $vgpr2
	v_cmpx_lt_u32_e32 0x37ffffff, v3
	s_xor_b32 s27, exec_lo, s27
	s_cbranch_execz .LBB166_548
; %bb.200:
	v_bfe_u32 v2, v3, 21, 1
	s_mov_b32 s26, exec_lo
	s_delay_alu instid0(VALU_DEP_1) | instskip(NEXT) | instid1(VALU_DEP_1)
	v_add3_u32 v2, v3, v2, 0x88fffff
                                        ; implicit-def: $vgpr3
	v_lshrrev_b32_e32 v2, 21, v2
	s_and_not1_saveexec_b32 s27, s27
	s_cbranch_execnz .LBB166_549
.LBB166_201:
	s_or_b32 exec_lo, exec_lo, s27
	v_mov_b32_e32 v4, 0
	s_and_saveexec_b32 s27, s26
.LBB166_202:
	v_mov_b32_e32 v4, v2
.LBB166_203:
	s_or_b32 exec_lo, exec_lo, s27
.LBB166_204:
	s_delay_alu instid0(SALU_CYCLE_1)
	s_or_b32 exec_lo, exec_lo, s25
	s_mov_b32 s25, 0
	global_store_b8 v[0:1], v4, off
.LBB166_205:
	s_and_b32 vcc_lo, exec_lo, s25
	s_cbranch_vccz .LBB166_215
; %bb.206:
	s_wait_xcnt 0x0
	v_cndmask_b32_e64 v3, 0, 1.0, s18
	s_mov_b32 s25, exec_lo
                                        ; implicit-def: $vgpr2
	s_delay_alu instid0(VALU_DEP_1)
	v_cmpx_gt_u32_e32 0x43f00000, v3
	s_xor_b32 s25, exec_lo, s25
	s_cbranch_execz .LBB166_212
; %bb.207:
	s_mov_b32 s26, exec_lo
                                        ; implicit-def: $vgpr2
	v_cmpx_lt_u32_e32 0x3c7fffff, v3
	s_xor_b32 s26, exec_lo, s26
; %bb.208:
	v_bfe_u32 v2, v3, 20, 1
	s_delay_alu instid0(VALU_DEP_1) | instskip(NEXT) | instid1(VALU_DEP_1)
	v_add3_u32 v2, v3, v2, 0x407ffff
	v_and_b32_e32 v3, 0xff00000, v2
	v_lshrrev_b32_e32 v2, 20, v2
	s_delay_alu instid0(VALU_DEP_2) | instskip(NEXT) | instid1(VALU_DEP_2)
	v_cmp_ne_u32_e32 vcc_lo, 0x7f00000, v3
                                        ; implicit-def: $vgpr3
	v_cndmask_b32_e32 v2, 0x7e, v2, vcc_lo
; %bb.209:
	s_and_not1_saveexec_b32 s26, s26
; %bb.210:
	v_add_f32_e32 v2, 0x46800000, v3
; %bb.211:
	s_or_b32 exec_lo, exec_lo, s26
                                        ; implicit-def: $vgpr3
.LBB166_212:
	s_and_not1_saveexec_b32 s25, s25
; %bb.213:
	v_mov_b32_e32 v2, 0x7f
	v_cmp_lt_u32_e32 vcc_lo, 0x7f800000, v3
	s_delay_alu instid0(VALU_DEP_2)
	v_cndmask_b32_e32 v2, 0x7e, v2, vcc_lo
; %bb.214:
	s_or_b32 exec_lo, exec_lo, s25
	global_store_b8 v[0:1], v2, off
.LBB166_215:
	s_mov_b32 s25, 0
.LBB166_216:
	s_delay_alu instid0(SALU_CYCLE_1)
	s_and_not1_b32 vcc_lo, exec_lo, s25
	s_cbranch_vccnz .LBB166_226
; %bb.217:
	s_wait_xcnt 0x0
	v_cndmask_b32_e64 v3, 0, 1.0, s18
	s_mov_b32 s25, exec_lo
                                        ; implicit-def: $vgpr2
	s_delay_alu instid0(VALU_DEP_1)
	v_cmpx_gt_u32_e32 0x47800000, v3
	s_xor_b32 s25, exec_lo, s25
	s_cbranch_execz .LBB166_223
; %bb.218:
	s_mov_b32 s26, exec_lo
                                        ; implicit-def: $vgpr2
	v_cmpx_lt_u32_e32 0x387fffff, v3
	s_xor_b32 s26, exec_lo, s26
; %bb.219:
	v_bfe_u32 v2, v3, 21, 1
	s_delay_alu instid0(VALU_DEP_1) | instskip(NEXT) | instid1(VALU_DEP_1)
	v_add3_u32 v2, v3, v2, 0x80fffff
                                        ; implicit-def: $vgpr3
	v_lshrrev_b32_e32 v2, 21, v2
; %bb.220:
	s_and_not1_saveexec_b32 s26, s26
; %bb.221:
	v_add_f32_e32 v2, 0x43000000, v3
; %bb.222:
	s_or_b32 exec_lo, exec_lo, s26
                                        ; implicit-def: $vgpr3
.LBB166_223:
	s_and_not1_saveexec_b32 s25, s25
; %bb.224:
	v_mov_b32_e32 v2, 0x7f
	v_cmp_lt_u32_e32 vcc_lo, 0x7f800000, v3
	s_delay_alu instid0(VALU_DEP_2)
	v_cndmask_b32_e32 v2, 0x7c, v2, vcc_lo
; %bb.225:
	s_or_b32 exec_lo, exec_lo, s25
	global_store_b8 v[0:1], v2, off
.LBB166_226:
	s_mov_b32 s26, 0
	s_mov_b32 s25, -1
.LBB166_227:
	s_and_not1_b32 vcc_lo, exec_lo, s26
	s_cbranch_vccnz .LBB166_235
; %bb.228:
	s_cmp_gt_i32 s24, 14
	s_mov_b32 s26, -1
	s_cbranch_scc0 .LBB166_232
; %bb.229:
	s_cmp_eq_u32 s24, 15
	s_mov_b32 s0, -1
	s_cbranch_scc0 .LBB166_231
; %bb.230:
	s_wait_xcnt 0x0
	v_cndmask_b32_e64 v2, 0, 1.0, s18
	s_mov_b32 s25, -1
	s_mov_b32 s0, 0
	s_delay_alu instid0(VALU_DEP_1) | instskip(NEXT) | instid1(VALU_DEP_1)
	v_bfe_u32 v3, v2, 16, 1
	v_add3_u32 v2, v2, v3, 0x7fff
	global_store_d16_hi_b16 v[0:1], v2, off
.LBB166_231:
	s_mov_b32 s26, 0
.LBB166_232:
	s_delay_alu instid0(SALU_CYCLE_1)
	s_and_b32 vcc_lo, exec_lo, s26
	s_cbranch_vccz .LBB166_235
; %bb.233:
	s_cmp_eq_u32 s24, 11
	s_mov_b32 s0, -1
	s_cbranch_scc0 .LBB166_235
; %bb.234:
	s_wait_xcnt 0x0
	v_cndmask_b32_e64 v2, 0, 1, s18
	s_mov_b32 s25, -1
	s_mov_b32 s0, 0
	global_store_b8 v[0:1], v2, off
.LBB166_235:
	s_mov_b32 s24, 0
.LBB166_236:
	s_delay_alu instid0(SALU_CYCLE_1)
	s_and_b32 vcc_lo, exec_lo, s24
	s_cbranch_vccz .LBB166_275
; %bb.237:
	s_and_b32 s23, 0xffff, s23
	s_mov_b32 s24, -1
	s_cmp_lt_i32 s23, 5
	s_cbranch_scc1 .LBB166_258
; %bb.238:
	s_cmp_lt_i32 s23, 8
	s_cbranch_scc1 .LBB166_248
; %bb.239:
	s_cmp_lt_i32 s23, 9
	s_cbranch_scc1 .LBB166_245
; %bb.240:
	s_cmp_gt_i32 s23, 9
	s_cbranch_scc0 .LBB166_242
; %bb.241:
	s_wait_xcnt 0x0
	v_cndmask_b32_e64 v2, 0, 1, s18
	v_mov_b32_e32 v4, 0
	s_mov_b32 s24, 0
	s_delay_alu instid0(VALU_DEP_2) | instskip(NEXT) | instid1(VALU_DEP_2)
	v_cvt_f64_u32_e32 v[2:3], v2
	v_mov_b32_e32 v5, v4
	global_store_b128 v[0:1], v[2:5], off
.LBB166_242:
	s_and_not1_b32 vcc_lo, exec_lo, s24
	s_cbranch_vccnz .LBB166_244
; %bb.243:
	s_wait_xcnt 0x0
	v_cndmask_b32_e64 v2, 0, 1.0, s18
	v_mov_b32_e32 v3, 0
	global_store_b64 v[0:1], v[2:3], off
.LBB166_244:
	s_mov_b32 s24, 0
.LBB166_245:
	s_delay_alu instid0(SALU_CYCLE_1)
	s_and_not1_b32 vcc_lo, exec_lo, s24
	s_cbranch_vccnz .LBB166_247
; %bb.246:
	s_wait_xcnt 0x0
	v_cndmask_b32_e64 v2, 0, 1.0, s18
	s_delay_alu instid0(VALU_DEP_1) | instskip(NEXT) | instid1(VALU_DEP_1)
	v_cvt_f16_f32_e32 v2, v2
	v_and_b32_e32 v2, 0xffff, v2
	global_store_b32 v[0:1], v2, off
.LBB166_247:
	s_mov_b32 s24, 0
.LBB166_248:
	s_delay_alu instid0(SALU_CYCLE_1)
	s_and_not1_b32 vcc_lo, exec_lo, s24
	s_cbranch_vccnz .LBB166_257
; %bb.249:
	s_cmp_lt_i32 s23, 6
	s_mov_b32 s24, -1
	s_cbranch_scc1 .LBB166_255
; %bb.250:
	s_cmp_gt_i32 s23, 6
	s_cbranch_scc0 .LBB166_252
; %bb.251:
	s_wait_xcnt 0x0
	v_cndmask_b32_e64 v2, 0, 1, s18
	s_mov_b32 s24, 0
	s_delay_alu instid0(VALU_DEP_1)
	v_cvt_f64_u32_e32 v[2:3], v2
	global_store_b64 v[0:1], v[2:3], off
.LBB166_252:
	s_and_not1_b32 vcc_lo, exec_lo, s24
	s_cbranch_vccnz .LBB166_254
; %bb.253:
	s_wait_xcnt 0x0
	v_cndmask_b32_e64 v2, 0, 1.0, s18
	global_store_b32 v[0:1], v2, off
.LBB166_254:
	s_mov_b32 s24, 0
.LBB166_255:
	s_delay_alu instid0(SALU_CYCLE_1)
	s_and_not1_b32 vcc_lo, exec_lo, s24
	s_cbranch_vccnz .LBB166_257
; %bb.256:
	s_wait_xcnt 0x0
	v_cndmask_b32_e64 v2, 0, 1.0, s18
	s_delay_alu instid0(VALU_DEP_1)
	v_cvt_f16_f32_e32 v2, v2
	global_store_b16 v[0:1], v2, off
.LBB166_257:
	s_mov_b32 s24, 0
.LBB166_258:
	s_delay_alu instid0(SALU_CYCLE_1)
	s_and_not1_b32 vcc_lo, exec_lo, s24
	s_cbranch_vccnz .LBB166_274
; %bb.259:
	s_cmp_lt_i32 s23, 2
	s_mov_b32 s24, -1
	s_cbranch_scc1 .LBB166_269
; %bb.260:
	s_cmp_lt_i32 s23, 3
	s_cbranch_scc1 .LBB166_266
; %bb.261:
	s_cmp_gt_i32 s23, 3
	s_cbranch_scc0 .LBB166_263
; %bb.262:
	s_mov_b32 s24, 0
	s_wait_xcnt 0x0
	v_cndmask_b32_e64 v2, 0, 1, s18
	v_mov_b32_e32 v3, s24
	global_store_b64 v[0:1], v[2:3], off
.LBB166_263:
	s_and_not1_b32 vcc_lo, exec_lo, s24
	s_cbranch_vccnz .LBB166_265
; %bb.264:
	s_wait_xcnt 0x0
	v_cndmask_b32_e64 v2, 0, 1, s18
	global_store_b32 v[0:1], v2, off
.LBB166_265:
	s_mov_b32 s24, 0
.LBB166_266:
	s_delay_alu instid0(SALU_CYCLE_1)
	s_and_not1_b32 vcc_lo, exec_lo, s24
	s_cbranch_vccnz .LBB166_268
; %bb.267:
	s_wait_xcnt 0x0
	v_cndmask_b32_e64 v2, 0, 1, s18
	global_store_b16 v[0:1], v2, off
.LBB166_268:
	s_mov_b32 s24, 0
.LBB166_269:
	s_delay_alu instid0(SALU_CYCLE_1)
	s_and_not1_b32 vcc_lo, exec_lo, s24
	s_cbranch_vccnz .LBB166_274
; %bb.270:
	s_wait_xcnt 0x0
	v_cndmask_b32_e64 v2, 0, 1, s18
	s_cmp_gt_i32 s23, 0
	s_mov_b32 s18, -1
	s_cbranch_scc0 .LBB166_272
; %bb.271:
	s_mov_b32 s18, 0
	global_store_b8 v[0:1], v2, off
.LBB166_272:
	s_and_not1_b32 vcc_lo, exec_lo, s18
	s_cbranch_vccnz .LBB166_274
; %bb.273:
	global_store_b8 v[0:1], v2, off
.LBB166_274:
	s_mov_b32 s25, -1
.LBB166_275:
	s_delay_alu instid0(SALU_CYCLE_1)
	s_and_not1_b32 vcc_lo, exec_lo, s25
	s_cbranch_vccnz .LBB166_393
; %bb.276:
	v_add_nc_u32_e32 v6, 0x80, v6
	s_mov_b32 s23, -1
	s_branch .LBB166_394
.LBB166_277:
	s_mov_b32 s19, -1
                                        ; implicit-def: $vgpr4
.LBB166_278:
	v_mov_b32_e32 v5, 0
.LBB166_279:
	s_mov_b32 s24, 0
.LBB166_280:
	s_delay_alu instid0(SALU_CYCLE_1)
	s_and_b32 vcc_lo, exec_lo, s24
	s_cbranch_vccz .LBB166_285
; %bb.281:
	s_cmp_eq_u32 s18, 29
	s_cbranch_scc0 .LBB166_283
; %bb.282:
	global_load_b64 v[4:5], v[0:1], off
	s_mov_b32 s23, -1
	s_mov_b32 s19, 0
	s_wait_loadcnt 0x0
	v_clz_i32_u32_e32 v7, v5
	s_delay_alu instid0(VALU_DEP_1) | instskip(NEXT) | instid1(VALU_DEP_1)
	v_min_u32_e32 v7, 32, v7
	v_lshlrev_b64_e32 v[4:5], v7, v[4:5]
	s_delay_alu instid0(VALU_DEP_1) | instskip(NEXT) | instid1(VALU_DEP_1)
	v_min_u32_e32 v4, 1, v4
	v_dual_sub_nc_u32 v5, 32, v7 :: v_dual_bitop2_b32 v4, v5, v4 bitop3:0x54
	s_delay_alu instid0(VALU_DEP_1) | instskip(NEXT) | instid1(VALU_DEP_1)
	v_cvt_f32_u32_e32 v4, v4
	v_ldexp_f32 v4, v4, v5
	s_delay_alu instid0(VALU_DEP_1) | instskip(NEXT) | instid1(VALU_DEP_1)
	v_bfe_u32 v5, v4, 16, 1
	v_add3_u32 v4, v4, v5, 0x7fff
	s_delay_alu instid0(VALU_DEP_1)
	v_lshrrev_b32_e32 v4, 16, v4
	s_branch .LBB166_284
.LBB166_283:
	s_mov_b32 s19, -1
                                        ; implicit-def: $vgpr4
.LBB166_284:
	v_mov_b32_e32 v5, 0
.LBB166_285:
	s_mov_b32 s24, 0
.LBB166_286:
	s_delay_alu instid0(SALU_CYCLE_1)
	s_and_b32 vcc_lo, exec_lo, s24
	s_cbranch_vccz .LBB166_304
; %bb.287:
	s_cmp_lt_i32 s18, 27
	s_cbranch_scc1 .LBB166_290
; %bb.288:
	s_cmp_gt_i32 s18, 27
	s_cbranch_scc0 .LBB166_291
; %bb.289:
	global_load_b32 v4, v[0:1], off
	s_mov_b32 s23, 0
	s_wait_loadcnt 0x0
	v_cvt_f32_u32_e32 v4, v4
	s_delay_alu instid0(VALU_DEP_1) | instskip(NEXT) | instid1(VALU_DEP_1)
	v_bfe_u32 v5, v4, 16, 1
	v_add3_u32 v4, v4, v5, 0x7fff
	s_delay_alu instid0(VALU_DEP_1)
	v_lshrrev_b32_e32 v4, 16, v4
	s_branch .LBB166_292
.LBB166_290:
	s_mov_b32 s23, -1
                                        ; implicit-def: $vgpr4
	s_branch .LBB166_295
.LBB166_291:
	s_mov_b32 s23, -1
                                        ; implicit-def: $vgpr4
.LBB166_292:
	s_delay_alu instid0(SALU_CYCLE_1)
	s_and_not1_b32 vcc_lo, exec_lo, s23
	s_cbranch_vccnz .LBB166_294
; %bb.293:
	global_load_u16 v4, v[0:1], off
	s_wait_loadcnt 0x0
	v_cvt_f32_u32_e32 v4, v4
	s_delay_alu instid0(VALU_DEP_1) | instskip(NEXT) | instid1(VALU_DEP_1)
	v_bfe_u32 v5, v4, 16, 1
	v_add3_u32 v4, v4, v5, 0x7fff
	s_delay_alu instid0(VALU_DEP_1)
	v_lshrrev_b32_e32 v4, 16, v4
.LBB166_294:
	s_mov_b32 s23, 0
.LBB166_295:
	s_delay_alu instid0(SALU_CYCLE_1)
	s_and_not1_b32 vcc_lo, exec_lo, s23
	s_cbranch_vccnz .LBB166_303
; %bb.296:
	global_load_u8 v4, v[0:1], off
	s_mov_b32 s23, 0
	s_mov_b32 s24, exec_lo
	s_wait_loadcnt 0x0
	v_cmpx_lt_i16_e32 0x7f, v4
	s_xor_b32 s24, exec_lo, s24
	s_cbranch_execz .LBB166_317
; %bb.297:
	s_mov_b32 s23, -1
	s_mov_b32 s25, exec_lo
	v_cmpx_eq_u16_e32 0x80, v4
; %bb.298:
	s_xor_b32 s23, exec_lo, -1
; %bb.299:
	s_or_b32 exec_lo, exec_lo, s25
	s_delay_alu instid0(SALU_CYCLE_1)
	s_and_b32 s23, s23, exec_lo
	s_or_saveexec_b32 s24, s24
	v_mov_b32_e32 v5, 0x7f800001
	s_xor_b32 exec_lo, exec_lo, s24
	s_cbranch_execnz .LBB166_318
.LBB166_300:
	s_or_b32 exec_lo, exec_lo, s24
	s_and_saveexec_b32 s24, s23
	s_cbranch_execz .LBB166_302
.LBB166_301:
	v_and_b32_e32 v5, 0xffff, v4
	s_delay_alu instid0(VALU_DEP_1) | instskip(SKIP_1) | instid1(VALU_DEP_2)
	v_and_b32_e32 v7, 7, v5
	v_bfe_u32 v10, v5, 3, 4
	v_clz_i32_u32_e32 v8, v7
	s_delay_alu instid0(VALU_DEP_2) | instskip(NEXT) | instid1(VALU_DEP_2)
	v_cmp_eq_u32_e32 vcc_lo, 0, v10
	v_min_u32_e32 v8, 32, v8
	s_delay_alu instid0(VALU_DEP_1) | instskip(NEXT) | instid1(VALU_DEP_1)
	v_subrev_nc_u32_e32 v9, 28, v8
	v_dual_lshlrev_b32 v5, v9, v5 :: v_dual_sub_nc_u32 v8, 29, v8
	s_delay_alu instid0(VALU_DEP_1) | instskip(NEXT) | instid1(VALU_DEP_1)
	v_dual_lshlrev_b32 v4, 24, v4 :: v_dual_bitop2_b32 v5, 7, v5 bitop3:0x40
	v_dual_cndmask_b32 v5, v7, v5 :: v_dual_cndmask_b32 v8, v10, v8
	s_delay_alu instid0(VALU_DEP_2) | instskip(NEXT) | instid1(VALU_DEP_2)
	v_and_b32_e32 v4, 0x80000000, v4
	v_lshlrev_b32_e32 v5, 20, v5
	s_delay_alu instid0(VALU_DEP_3) | instskip(NEXT) | instid1(VALU_DEP_1)
	v_lshl_add_u32 v7, v8, 23, 0x3b800000
	v_or3_b32 v5, v4, v7, v5
.LBB166_302:
	s_or_b32 exec_lo, exec_lo, s24
	s_delay_alu instid0(VALU_DEP_1) | instskip(SKIP_1) | instid1(VALU_DEP_2)
	v_bfe_u32 v4, v5, 16, 1
	v_cmp_o_f32_e32 vcc_lo, v5, v5
	v_add3_u32 v4, v5, v4, 0x7fff
	s_delay_alu instid0(VALU_DEP_1) | instskip(NEXT) | instid1(VALU_DEP_1)
	v_lshrrev_b32_e32 v4, 16, v4
	v_cndmask_b32_e32 v4, 0x7fc0, v4, vcc_lo
.LBB166_303:
	v_mov_b32_e32 v5, 0
	s_mov_b32 s23, -1
.LBB166_304:
	s_mov_b32 s24, 0
.LBB166_305:
	s_delay_alu instid0(SALU_CYCLE_1)
	s_and_b32 vcc_lo, exec_lo, s24
	s_cbranch_vccz .LBB166_341
; %bb.306:
	s_cmp_gt_i32 s18, 22
	s_cbranch_scc0 .LBB166_316
; %bb.307:
	s_cmp_lt_i32 s18, 24
	s_cbranch_scc1 .LBB166_319
; %bb.308:
	s_cmp_gt_i32 s18, 24
	s_cbranch_scc0 .LBB166_320
; %bb.309:
	global_load_u8 v4, v[0:1], off
	s_mov_b32 s23, 0
	s_mov_b32 s24, exec_lo
	s_wait_loadcnt 0x0
	v_cmpx_lt_i16_e32 0x7f, v4
	s_xor_b32 s24, exec_lo, s24
	s_cbranch_execz .LBB166_332
; %bb.310:
	s_mov_b32 s23, -1
	s_mov_b32 s25, exec_lo
	v_cmpx_eq_u16_e32 0x80, v4
; %bb.311:
	s_xor_b32 s23, exec_lo, -1
; %bb.312:
	s_or_b32 exec_lo, exec_lo, s25
	s_delay_alu instid0(SALU_CYCLE_1)
	s_and_b32 s23, s23, exec_lo
	s_or_saveexec_b32 s24, s24
	v_mov_b32_e32 v5, 0x7f800001
	s_xor_b32 exec_lo, exec_lo, s24
	s_cbranch_execnz .LBB166_333
.LBB166_313:
	s_or_b32 exec_lo, exec_lo, s24
	s_and_saveexec_b32 s24, s23
	s_cbranch_execz .LBB166_315
.LBB166_314:
	v_and_b32_e32 v5, 0xffff, v4
	s_delay_alu instid0(VALU_DEP_1) | instskip(SKIP_1) | instid1(VALU_DEP_2)
	v_and_b32_e32 v7, 3, v5
	v_bfe_u32 v10, v5, 2, 5
	v_clz_i32_u32_e32 v8, v7
	s_delay_alu instid0(VALU_DEP_2) | instskip(NEXT) | instid1(VALU_DEP_2)
	v_cmp_eq_u32_e32 vcc_lo, 0, v10
	v_min_u32_e32 v8, 32, v8
	s_delay_alu instid0(VALU_DEP_1) | instskip(NEXT) | instid1(VALU_DEP_1)
	v_subrev_nc_u32_e32 v9, 29, v8
	v_dual_lshlrev_b32 v5, v9, v5 :: v_dual_sub_nc_u32 v8, 30, v8
	s_delay_alu instid0(VALU_DEP_1) | instskip(NEXT) | instid1(VALU_DEP_1)
	v_dual_lshlrev_b32 v4, 24, v4 :: v_dual_bitop2_b32 v5, 3, v5 bitop3:0x40
	v_dual_cndmask_b32 v5, v7, v5 :: v_dual_cndmask_b32 v8, v10, v8
	s_delay_alu instid0(VALU_DEP_2) | instskip(NEXT) | instid1(VALU_DEP_2)
	v_and_b32_e32 v4, 0x80000000, v4
	v_lshlrev_b32_e32 v5, 21, v5
	s_delay_alu instid0(VALU_DEP_3) | instskip(NEXT) | instid1(VALU_DEP_1)
	v_lshl_add_u32 v7, v8, 23, 0x37800000
	v_or3_b32 v5, v4, v7, v5
.LBB166_315:
	s_or_b32 exec_lo, exec_lo, s24
	s_delay_alu instid0(VALU_DEP_1) | instskip(SKIP_2) | instid1(VALU_DEP_2)
	v_bfe_u32 v4, v5, 16, 1
	v_cmp_o_f32_e32 vcc_lo, v5, v5
	s_mov_b32 s23, 0
	v_add3_u32 v4, v5, v4, 0x7fff
	s_delay_alu instid0(VALU_DEP_1) | instskip(NEXT) | instid1(VALU_DEP_1)
	v_lshrrev_b32_e32 v4, 16, v4
	v_cndmask_b32_e32 v4, 0x7fc0, v4, vcc_lo
	s_branch .LBB166_321
.LBB166_316:
	s_mov_b32 s24, -1
                                        ; implicit-def: $vgpr4
	s_branch .LBB166_327
.LBB166_317:
	s_or_saveexec_b32 s24, s24
	v_mov_b32_e32 v5, 0x7f800001
	s_xor_b32 exec_lo, exec_lo, s24
	s_cbranch_execz .LBB166_300
.LBB166_318:
	v_cmp_ne_u16_e32 vcc_lo, 0, v4
	v_mov_b32_e32 v5, 0
	s_and_not1_b32 s23, s23, exec_lo
	s_and_b32 s25, vcc_lo, exec_lo
	s_delay_alu instid0(SALU_CYCLE_1)
	s_or_b32 s23, s23, s25
	s_or_b32 exec_lo, exec_lo, s24
	s_and_saveexec_b32 s24, s23
	s_cbranch_execnz .LBB166_301
	s_branch .LBB166_302
.LBB166_319:
	s_mov_b32 s23, -1
                                        ; implicit-def: $vgpr4
	s_branch .LBB166_324
.LBB166_320:
	s_mov_b32 s23, -1
                                        ; implicit-def: $vgpr4
.LBB166_321:
	s_delay_alu instid0(SALU_CYCLE_1)
	s_and_b32 vcc_lo, exec_lo, s23
	s_cbranch_vccz .LBB166_323
; %bb.322:
	global_load_u8 v4, v[0:1], off
	s_wait_loadcnt 0x0
	v_lshlrev_b32_e32 v4, 24, v4
	s_delay_alu instid0(VALU_DEP_1) | instskip(NEXT) | instid1(VALU_DEP_1)
	v_and_b32_e32 v5, 0x7f000000, v4
	v_clz_i32_u32_e32 v7, v5
	v_add_nc_u32_e32 v9, 0x1000000, v5
	v_cmp_ne_u32_e32 vcc_lo, 0, v5
	s_delay_alu instid0(VALU_DEP_3) | instskip(NEXT) | instid1(VALU_DEP_1)
	v_min_u32_e32 v7, 32, v7
	v_sub_nc_u32_e64 v7, v7, 4 clamp
	s_delay_alu instid0(VALU_DEP_1) | instskip(NEXT) | instid1(VALU_DEP_1)
	v_dual_lshlrev_b32 v8, v7, v5 :: v_dual_lshlrev_b32 v7, 23, v7
	v_lshrrev_b32_e32 v8, 4, v8
	s_delay_alu instid0(VALU_DEP_1) | instskip(NEXT) | instid1(VALU_DEP_1)
	v_dual_sub_nc_u32 v7, v8, v7 :: v_dual_ashrrev_i32 v8, 8, v9
	v_add_nc_u32_e32 v7, 0x3c000000, v7
	s_delay_alu instid0(VALU_DEP_1) | instskip(NEXT) | instid1(VALU_DEP_1)
	v_and_or_b32 v7, 0x7f800000, v8, v7
	v_cndmask_b32_e32 v5, 0, v7, vcc_lo
	s_delay_alu instid0(VALU_DEP_1) | instskip(SKIP_1) | instid1(VALU_DEP_2)
	v_and_or_b32 v4, 0x80000000, v4, v5
	v_bfe_u32 v5, v5, 16, 1
	v_cmp_o_f32_e32 vcc_lo, v4, v4
	s_delay_alu instid0(VALU_DEP_2) | instskip(NEXT) | instid1(VALU_DEP_1)
	v_add3_u32 v5, v4, v5, 0x7fff
	v_lshrrev_b32_e32 v5, 16, v5
	s_delay_alu instid0(VALU_DEP_1)
	v_cndmask_b32_e32 v4, 0x7fc0, v5, vcc_lo
.LBB166_323:
	s_mov_b32 s23, 0
.LBB166_324:
	s_delay_alu instid0(SALU_CYCLE_1)
	s_and_not1_b32 vcc_lo, exec_lo, s23
	s_cbranch_vccnz .LBB166_326
; %bb.325:
	global_load_u8 v4, v[0:1], off
	s_wait_loadcnt 0x0
	v_lshlrev_b32_e32 v5, 25, v4
	v_lshlrev_b16 v4, 8, v4
	s_delay_alu instid0(VALU_DEP_2) | instskip(NEXT) | instid1(VALU_DEP_2)
	v_cmp_gt_u32_e32 vcc_lo, 0x8000000, v5
	v_and_or_b32 v8, 0x7f00, v4, 0.5
	v_lshrrev_b32_e32 v7, 4, v5
	v_bfe_i32 v4, v4, 0, 16
	s_delay_alu instid0(VALU_DEP_3) | instskip(NEXT) | instid1(VALU_DEP_3)
	v_add_f32_e32 v8, -0.5, v8
	v_or_b32_e32 v7, 0x70000000, v7
	s_delay_alu instid0(VALU_DEP_1) | instskip(NEXT) | instid1(VALU_DEP_1)
	v_mul_f32_e32 v7, 0x7800000, v7
	v_cndmask_b32_e32 v5, v7, v8, vcc_lo
	s_delay_alu instid0(VALU_DEP_1) | instskip(SKIP_1) | instid1(VALU_DEP_2)
	v_and_or_b32 v4, 0x80000000, v4, v5
	v_bfe_u32 v5, v5, 16, 1
	v_cmp_o_f32_e32 vcc_lo, v4, v4
	s_delay_alu instid0(VALU_DEP_2) | instskip(NEXT) | instid1(VALU_DEP_1)
	v_add3_u32 v5, v4, v5, 0x7fff
	v_lshrrev_b32_e32 v5, 16, v5
	s_delay_alu instid0(VALU_DEP_1)
	v_cndmask_b32_e32 v4, 0x7fc0, v5, vcc_lo
.LBB166_326:
	s_mov_b32 s24, 0
	s_mov_b32 s23, -1
.LBB166_327:
	s_and_not1_b32 vcc_lo, exec_lo, s24
	s_cbranch_vccnz .LBB166_340
; %bb.328:
	s_cmp_gt_i32 s18, 14
	s_cbranch_scc0 .LBB166_331
; %bb.329:
	s_cmp_eq_u32 s18, 15
	s_cbranch_scc0 .LBB166_334
; %bb.330:
	global_load_u16 v4, v[0:1], off
	s_mov_b32 s23, -1
	s_mov_b32 s19, 0
	s_branch .LBB166_335
.LBB166_331:
	s_mov_b32 s24, -1
                                        ; implicit-def: $vgpr4
	s_branch .LBB166_336
.LBB166_332:
	s_or_saveexec_b32 s24, s24
	v_mov_b32_e32 v5, 0x7f800001
	s_xor_b32 exec_lo, exec_lo, s24
	s_cbranch_execz .LBB166_313
.LBB166_333:
	v_cmp_ne_u16_e32 vcc_lo, 0, v4
	v_mov_b32_e32 v5, 0
	s_and_not1_b32 s23, s23, exec_lo
	s_and_b32 s25, vcc_lo, exec_lo
	s_delay_alu instid0(SALU_CYCLE_1)
	s_or_b32 s23, s23, s25
	s_or_b32 exec_lo, exec_lo, s24
	s_and_saveexec_b32 s24, s23
	s_cbranch_execnz .LBB166_314
	s_branch .LBB166_315
.LBB166_334:
	s_mov_b32 s19, -1
                                        ; implicit-def: $vgpr4
.LBB166_335:
	s_mov_b32 s24, 0
.LBB166_336:
	s_delay_alu instid0(SALU_CYCLE_1)
	s_and_b32 vcc_lo, exec_lo, s24
	s_cbranch_vccz .LBB166_340
; %bb.337:
	s_cmp_eq_u32 s18, 11
	s_cbranch_scc0 .LBB166_339
; %bb.338:
	s_wait_loadcnt 0x0
	global_load_u8 v4, v[0:1], off
	s_mov_b32 s19, 0
	s_mov_b32 s23, -1
	v_mov_b32_e32 v5, 0
	s_wait_loadcnt 0x0
	v_cmp_ne_u16_e32 vcc_lo, 0, v4
	v_cndmask_b32_e64 v4, 0, 1.0, vcc_lo
	s_delay_alu instid0(VALU_DEP_1)
	v_lshrrev_b32_e32 v4, 16, v4
	s_branch .LBB166_341
.LBB166_339:
	s_mov_b32 s19, -1
                                        ; implicit-def: $vgpr4
.LBB166_340:
	v_mov_b32_e32 v5, 0
.LBB166_341:
	s_branch .LBB166_20
.LBB166_342:
	s_and_b32 s0, 0xffff, s0
	s_delay_alu instid0(SALU_CYCLE_1)
	s_cmp_lt_i32 s0, 5
	s_cbranch_scc1 .LBB166_347
; %bb.343:
	s_cmp_lt_i32 s0, 8
	s_cbranch_scc1 .LBB166_348
; %bb.344:
	;; [unrolled: 3-line block ×3, first 2 shown]
	s_cmp_gt_i32 s0, 9
	s_cbranch_scc0 .LBB166_350
; %bb.346:
	global_load_b128 v[8:11], v[0:1], off
	s_mov_b32 s18, 0
	s_wait_loadcnt 0x0
	v_cvt_f32_f64_e32 v4, v[8:9]
	v_cvt_f32_f64_e32 v5, v[10:11]
	s_delay_alu instid0(VALU_DEP_2) | instskip(NEXT) | instid1(VALU_DEP_2)
	v_bfe_u32 v7, v4, 16, 1
	v_bfe_u32 v8, v5, 16, 1
	v_cmp_o_f32_e32 vcc_lo, v4, v4
	s_delay_alu instid0(VALU_DEP_3) | instskip(NEXT) | instid1(VALU_DEP_3)
	v_add3_u32 v7, v4, v7, 0x7fff
	v_add3_u32 v8, v5, v8, 0x7fff
	s_delay_alu instid0(VALU_DEP_2) | instskip(NEXT) | instid1(VALU_DEP_2)
	v_lshrrev_b32_e32 v7, 16, v7
	v_and_b32_e32 v8, 0xffff0000, v8
	s_delay_alu instid0(VALU_DEP_2) | instskip(SKIP_1) | instid1(VALU_DEP_3)
	v_cndmask_b32_e32 v4, 0x7fc0, v7, vcc_lo
	v_cmp_o_f32_e32 vcc_lo, v5, v5
	v_cndmask_b32_e32 v5, 0x7fc00000, v8, vcc_lo
	s_branch .LBB166_351
.LBB166_347:
	s_mov_b32 s18, -1
                                        ; implicit-def: $vgpr5
                                        ; implicit-def: $vgpr4
	s_branch .LBB166_370
.LBB166_348:
	s_mov_b32 s18, -1
                                        ; implicit-def: $vgpr5
                                        ; implicit-def: $vgpr4
	s_branch .LBB166_357
.LBB166_349:
	s_mov_b32 s18, -1
                                        ; implicit-def: $vgpr5
                                        ; implicit-def: $vgpr4
	s_branch .LBB166_354
.LBB166_350:
	s_mov_b32 s18, -1
                                        ; implicit-def: $vgpr5
                                        ; implicit-def: $vgpr4
.LBB166_351:
	s_delay_alu instid0(SALU_CYCLE_1)
	s_and_not1_b32 vcc_lo, exec_lo, s18
	s_cbranch_vccnz .LBB166_353
; %bb.352:
	s_wait_loadcnt 0x0
	global_load_b64 v[4:5], v[0:1], off
	s_wait_loadcnt 0x0
	v_bfe_u32 v7, v4, 16, 1
	v_bfe_u32 v8, v5, 16, 1
	v_cmp_o_f32_e32 vcc_lo, v4, v4
	s_delay_alu instid0(VALU_DEP_3) | instskip(NEXT) | instid1(VALU_DEP_3)
	v_add3_u32 v7, v4, v7, 0x7fff
	v_add3_u32 v8, v5, v8, 0x7fff
	s_delay_alu instid0(VALU_DEP_2) | instskip(NEXT) | instid1(VALU_DEP_2)
	v_lshrrev_b32_e32 v7, 16, v7
	v_and_b32_e32 v8, 0xffff0000, v8
	s_delay_alu instid0(VALU_DEP_2) | instskip(SKIP_1) | instid1(VALU_DEP_3)
	v_cndmask_b32_e32 v4, 0x7fc0, v7, vcc_lo
	v_cmp_o_f32_e32 vcc_lo, v5, v5
	v_cndmask_b32_e32 v5, 0x7fc00000, v8, vcc_lo
.LBB166_353:
	s_mov_b32 s18, 0
.LBB166_354:
	s_delay_alu instid0(SALU_CYCLE_1)
	s_and_not1_b32 vcc_lo, exec_lo, s18
	s_cbranch_vccnz .LBB166_356
; %bb.355:
	s_wait_loadcnt 0x0
	global_load_b32 v4, v[0:1], off
	s_wait_loadcnt 0x0
	v_cvt_f32_f16_e32 v7, v4
	v_cmp_o_f16_e32 vcc_lo, v4, v4
	s_delay_alu instid0(VALU_DEP_2) | instskip(NEXT) | instid1(VALU_DEP_1)
	v_bfe_u32 v9, v7, 16, 1
	v_add3_u32 v7, v7, v9, 0x7fff
	s_delay_alu instid0(VALU_DEP_1) | instskip(NEXT) | instid1(VALU_DEP_1)
	v_dual_lshrrev_b32 v5, 16, v4 :: v_dual_lshrrev_b32 v7, 16, v7
	v_cvt_f32_f16_e32 v8, v5
	s_delay_alu instid0(VALU_DEP_2) | instskip(NEXT) | instid1(VALU_DEP_2)
	v_cndmask_b32_e32 v4, 0x7fc0, v7, vcc_lo
	v_bfe_u32 v10, v8, 16, 1
	v_cmp_o_f16_e32 vcc_lo, v5, v5
	s_delay_alu instid0(VALU_DEP_2) | instskip(NEXT) | instid1(VALU_DEP_1)
	v_add3_u32 v8, v8, v10, 0x7fff
	v_and_b32_e32 v8, 0xffff0000, v8
	s_delay_alu instid0(VALU_DEP_1)
	v_cndmask_b32_e32 v5, 0x7fc00000, v8, vcc_lo
.LBB166_356:
	s_mov_b32 s18, 0
.LBB166_357:
	s_delay_alu instid0(SALU_CYCLE_1)
	s_and_not1_b32 vcc_lo, exec_lo, s18
	s_cbranch_vccnz .LBB166_369
; %bb.358:
	s_cmp_lt_i32 s0, 6
	s_cbranch_scc1 .LBB166_361
; %bb.359:
	s_cmp_gt_i32 s0, 6
	s_cbranch_scc0 .LBB166_362
; %bb.360:
	s_wait_loadcnt 0x0
	global_load_b64 v[4:5], v[0:1], off
	s_mov_b32 s18, 0
	s_wait_loadcnt 0x0
	v_cvt_f32_f64_e32 v4, v[4:5]
	s_delay_alu instid0(VALU_DEP_1) | instskip(SKIP_1) | instid1(VALU_DEP_2)
	v_bfe_u32 v5, v4, 16, 1
	v_cmp_o_f32_e32 vcc_lo, v4, v4
	v_add3_u32 v5, v4, v5, 0x7fff
	s_delay_alu instid0(VALU_DEP_1) | instskip(NEXT) | instid1(VALU_DEP_1)
	v_lshrrev_b32_e32 v5, 16, v5
	v_cndmask_b32_e32 v4, 0x7fc0, v5, vcc_lo
	s_branch .LBB166_363
.LBB166_361:
	s_mov_b32 s18, -1
                                        ; implicit-def: $vgpr4
	s_branch .LBB166_366
.LBB166_362:
	s_mov_b32 s18, -1
                                        ; implicit-def: $vgpr4
.LBB166_363:
	s_delay_alu instid0(SALU_CYCLE_1)
	s_and_not1_b32 vcc_lo, exec_lo, s18
	s_cbranch_vccnz .LBB166_365
; %bb.364:
	s_wait_loadcnt 0x0
	global_load_b32 v4, v[0:1], off
	s_wait_loadcnt 0x0
	v_bfe_u32 v5, v4, 16, 1
	v_cmp_o_f32_e32 vcc_lo, v4, v4
	s_delay_alu instid0(VALU_DEP_2) | instskip(NEXT) | instid1(VALU_DEP_1)
	v_add3_u32 v5, v4, v5, 0x7fff
	v_lshrrev_b32_e32 v5, 16, v5
	s_delay_alu instid0(VALU_DEP_1)
	v_cndmask_b32_e32 v4, 0x7fc0, v5, vcc_lo
.LBB166_365:
	s_mov_b32 s18, 0
.LBB166_366:
	s_delay_alu instid0(SALU_CYCLE_1)
	s_and_not1_b32 vcc_lo, exec_lo, s18
	s_cbranch_vccnz .LBB166_368
; %bb.367:
	s_wait_loadcnt 0x0
	global_load_u16 v4, v[0:1], off
	s_wait_loadcnt 0x0
	v_cvt_f32_f16_e32 v5, v4
	v_cmp_o_f16_e32 vcc_lo, v4, v4
	s_delay_alu instid0(VALU_DEP_2) | instskip(NEXT) | instid1(VALU_DEP_1)
	v_bfe_u32 v7, v5, 16, 1
	v_add3_u32 v5, v5, v7, 0x7fff
	s_delay_alu instid0(VALU_DEP_1) | instskip(NEXT) | instid1(VALU_DEP_1)
	v_lshrrev_b32_e32 v5, 16, v5
	v_cndmask_b32_e32 v4, 0x7fc0, v5, vcc_lo
.LBB166_368:
	v_mov_b32_e32 v5, 0
.LBB166_369:
	s_mov_b32 s18, 0
.LBB166_370:
	s_delay_alu instid0(SALU_CYCLE_1)
	s_and_not1_b32 vcc_lo, exec_lo, s18
	s_cbranch_vccnz .LBB166_391
; %bb.371:
	s_cmp_lt_i32 s0, 2
	s_cbranch_scc1 .LBB166_375
; %bb.372:
	s_cmp_lt_i32 s0, 3
	s_cbranch_scc1 .LBB166_376
; %bb.373:
	s_cmp_gt_i32 s0, 3
	s_cbranch_scc0 .LBB166_377
; %bb.374:
	s_wait_loadcnt 0x0
	global_load_b64 v[4:5], v[0:1], off
	s_mov_b32 s18, 0
	s_wait_loadcnt 0x0
	v_xor_b32_e32 v7, v4, v5
	v_cls_i32_e32 v8, v5
	s_delay_alu instid0(VALU_DEP_2) | instskip(NEXT) | instid1(VALU_DEP_1)
	v_ashrrev_i32_e32 v7, 31, v7
	v_add_nc_u32_e32 v7, 32, v7
	s_delay_alu instid0(VALU_DEP_1) | instskip(NEXT) | instid1(VALU_DEP_1)
	v_add_min_u32_e64 v7, v8, -1, v7
	v_lshlrev_b64_e32 v[4:5], v7, v[4:5]
	s_delay_alu instid0(VALU_DEP_1) | instskip(NEXT) | instid1(VALU_DEP_1)
	v_min_u32_e32 v4, 1, v4
	v_dual_sub_nc_u32 v5, 32, v7 :: v_dual_bitop2_b32 v4, v5, v4 bitop3:0x54
	s_delay_alu instid0(VALU_DEP_1) | instskip(NEXT) | instid1(VALU_DEP_1)
	v_cvt_f32_i32_e32 v4, v4
	v_ldexp_f32 v4, v4, v5
	s_delay_alu instid0(VALU_DEP_1) | instskip(NEXT) | instid1(VALU_DEP_1)
	v_bfe_u32 v5, v4, 16, 1
	v_add3_u32 v4, v4, v5, 0x7fff
	s_delay_alu instid0(VALU_DEP_1)
	v_lshrrev_b32_e32 v4, 16, v4
	s_branch .LBB166_378
.LBB166_375:
	s_mov_b32 s18, -1
                                        ; implicit-def: $vgpr4
	s_branch .LBB166_384
.LBB166_376:
	s_mov_b32 s18, -1
                                        ; implicit-def: $vgpr4
	s_branch .LBB166_381
.LBB166_377:
	s_mov_b32 s18, -1
                                        ; implicit-def: $vgpr4
.LBB166_378:
	s_delay_alu instid0(SALU_CYCLE_1)
	s_and_not1_b32 vcc_lo, exec_lo, s18
	s_cbranch_vccnz .LBB166_380
; %bb.379:
	s_wait_loadcnt 0x0
	global_load_b32 v4, v[0:1], off
	s_wait_loadcnt 0x0
	v_cvt_f32_i32_e32 v4, v4
	s_delay_alu instid0(VALU_DEP_1) | instskip(NEXT) | instid1(VALU_DEP_1)
	v_bfe_u32 v5, v4, 16, 1
	v_add3_u32 v4, v4, v5, 0x7fff
	s_delay_alu instid0(VALU_DEP_1)
	v_lshrrev_b32_e32 v4, 16, v4
.LBB166_380:
	s_mov_b32 s18, 0
.LBB166_381:
	s_delay_alu instid0(SALU_CYCLE_1)
	s_and_not1_b32 vcc_lo, exec_lo, s18
	s_cbranch_vccnz .LBB166_383
; %bb.382:
	s_wait_loadcnt 0x0
	global_load_i16 v4, v[0:1], off
	s_wait_loadcnt 0x0
	v_cvt_f32_i32_e32 v4, v4
	s_delay_alu instid0(VALU_DEP_1) | instskip(NEXT) | instid1(VALU_DEP_1)
	v_bfe_u32 v5, v4, 16, 1
	v_add3_u32 v4, v4, v5, 0x7fff
	s_delay_alu instid0(VALU_DEP_1)
	v_lshrrev_b32_e32 v4, 16, v4
.LBB166_383:
	s_mov_b32 s18, 0
.LBB166_384:
	s_delay_alu instid0(SALU_CYCLE_1)
	s_and_not1_b32 vcc_lo, exec_lo, s18
	s_cbranch_vccnz .LBB166_390
; %bb.385:
	s_cmp_gt_i32 s0, 0
	s_mov_b32 s0, 0
	s_cbranch_scc0 .LBB166_387
; %bb.386:
	s_wait_loadcnt 0x0
	global_load_i8 v4, v[0:1], off
	s_wait_loadcnt 0x0
	v_cvt_f32_i32_e32 v4, v4
	s_delay_alu instid0(VALU_DEP_1) | instskip(NEXT) | instid1(VALU_DEP_1)
	v_bfe_u32 v5, v4, 16, 1
	v_add3_u32 v4, v4, v5, 0x7fff
	s_delay_alu instid0(VALU_DEP_1)
	v_lshrrev_b32_e32 v4, 16, v4
	s_branch .LBB166_388
.LBB166_387:
	s_mov_b32 s0, -1
                                        ; implicit-def: $vgpr4
.LBB166_388:
	s_delay_alu instid0(SALU_CYCLE_1)
	s_and_not1_b32 vcc_lo, exec_lo, s0
	s_cbranch_vccnz .LBB166_390
; %bb.389:
	global_load_u8 v0, v[0:1], off
	s_wait_loadcnt 0x0
	v_cvt_f32_ubyte0_e32 v0, v0
	s_delay_alu instid0(VALU_DEP_1) | instskip(NEXT) | instid1(VALU_DEP_1)
	v_bfe_u32 v1, v0, 16, 1
	v_add3_u32 v0, v0, v1, 0x7fff
	s_delay_alu instid0(VALU_DEP_1)
	v_lshrrev_b32_e32 v4, 16, v0
.LBB166_390:
	v_mov_b32_e32 v5, 0
.LBB166_391:
	s_branch .LBB166_21
.LBB166_392:
	s_mov_b32 s0, 0
.LBB166_393:
	s_mov_b32 s23, 0
                                        ; implicit-def: $vgpr6
.LBB166_394:
	s_and_b32 s18, s0, exec_lo
	s_and_b32 s19, s19, exec_lo
	;; [unrolled: 1-line block ×3, first 2 shown]
	s_or_not1_b32 s25, s23, exec_lo
.LBB166_395:
	s_wait_xcnt 0x0
	s_or_b32 exec_lo, exec_lo, s21
	s_mov_b32 s24, 0
	s_mov_b32 s23, 0
                                        ; implicit-def: $sgpr0
                                        ; implicit-def: $vgpr0_vgpr1
                                        ; implicit-def: $vgpr3
                                        ; implicit-def: $vgpr2
	s_and_saveexec_b32 s21, s25
	s_cbranch_execz .LBB166_404
; %bb.396:
	s_mov_b32 s27, -1
	s_mov_b32 s22, s20
	s_mov_b32 s24, s19
	;; [unrolled: 1-line block ×3, first 2 shown]
	s_mov_b32 s25, exec_lo
	v_cmpx_gt_i32_e64 s17, v6
	s_cbranch_execz .LBB166_803
; %bb.397:
	v_mul_lo_u32 v0, v6, s9
	s_and_b32 s0, s14, 0xff
	s_delay_alu instid0(SALU_CYCLE_1) | instskip(NEXT) | instid1(VALU_DEP_1)
	s_cmp_lt_i32 s0, 11
	v_ashrrev_i32_e32 v1, 31, v0
	s_delay_alu instid0(VALU_DEP_1)
	v_add_nc_u64_e32 v[0:1], s[6:7], v[0:1]
	s_cbranch_scc1 .LBB166_407
; %bb.398:
	s_and_b32 s23, 0xffff, s0
	s_delay_alu instid0(SALU_CYCLE_1)
	s_cmp_gt_i32 s23, 25
	s_cbranch_scc0 .LBB166_416
; %bb.399:
	s_cmp_gt_i32 s23, 28
	s_cbranch_scc0 .LBB166_418
; %bb.400:
	;; [unrolled: 3-line block ×4, first 2 shown]
	s_cmp_eq_u32 s23, 46
	s_mov_b32 s26, 0
	s_cbranch_scc0 .LBB166_426
; %bb.403:
	s_wait_loadcnt 0x0
	global_load_b32 v2, v[0:1], off
	s_mov_b32 s24, -1
	s_mov_b32 s22, 0
	s_wait_loadcnt 0x0
	v_and_b32_e32 v3, 0xffff0000, v2
	s_branch .LBB166_428
.LBB166_404:
	s_or_b32 exec_lo, exec_lo, s21
	s_mov_b32 s17, 0
	s_and_saveexec_b32 s21, s20
	s_cbranch_execnz .LBB166_1297
.LBB166_405:
	s_or_b32 exec_lo, exec_lo, s21
	s_and_saveexec_b32 s20, s22
	s_delay_alu instid0(SALU_CYCLE_1)
	s_xor_b32 s20, exec_lo, s20
	s_cbranch_execz .LBB166_1298
.LBB166_406:
	s_wait_loadcnt 0x0
	global_load_u8 v2, v[0:1], off
	s_or_b32 s23, s23, exec_lo
	v_mov_b32_e32 v3, 0
	s_wait_loadcnt 0x0
	v_cmp_ne_u16_e32 vcc_lo, 0, v2
	v_cndmask_b32_e64 v2, 0, 1.0, vcc_lo
	s_delay_alu instid0(VALU_DEP_1)
	v_lshrrev_b32_e32 v2, 16, v2
	s_wait_xcnt 0x0
	s_or_b32 exec_lo, exec_lo, s20
	s_and_saveexec_b32 s20, s24
	s_cbranch_execz .LBB166_1346
	s_branch .LBB166_1299
.LBB166_407:
	s_mov_b32 s24, 0
	s_mov_b32 s22, s20
                                        ; implicit-def: $vgpr3
                                        ; implicit-def: $vgpr2
	s_cbranch_execnz .LBB166_497
.LBB166_408:
	s_and_not1_b32 vcc_lo, exec_lo, s24
	s_cbranch_vccnz .LBB166_547
.LBB166_409:
	s_wait_xcnt 0x0
	v_mul_lo_u32 v0, v6, s10
	s_and_b32 s0, s1, 0xff
	s_delay_alu instid0(SALU_CYCLE_1) | instskip(NEXT) | instid1(VALU_DEP_1)
	s_cmp_lt_i32 s0, 11
	v_ashrrev_i32_e32 v1, 31, v0
	s_delay_alu instid0(VALU_DEP_1)
	v_add_nc_u64_e32 v[0:1], s[2:3], v[0:1]
	s_cbranch_scc1 .LBB166_417
; %bb.410:
	s_and_b32 s23, 0xffff, s0
	s_delay_alu instid0(SALU_CYCLE_1)
	s_cmp_gt_i32 s23, 25
	s_cbranch_scc0 .LBB166_419
; %bb.411:
	s_cmp_gt_i32 s23, 28
	s_cbranch_scc0 .LBB166_421
; %bb.412:
	;; [unrolled: 3-line block ×4, first 2 shown]
	s_cmp_eq_u32 s23, 46
	s_mov_b32 s27, 0
	s_cbranch_scc0 .LBB166_550
; %bb.415:
	s_wait_loadcnt 0x0
	global_load_b32 v4, v[0:1], off
	s_mov_b32 s26, -1
	s_mov_b32 s24, 0
	s_wait_loadcnt 0x0
	v_and_b32_e32 v5, 0xffff0000, v4
	s_branch .LBB166_552
.LBB166_416:
	s_mov_b32 s26, -1
	s_mov_b32 s24, 0
	s_mov_b32 s22, s20
                                        ; implicit-def: $vgpr3
                                        ; implicit-def: $vgpr2
	s_branch .LBB166_460
.LBB166_417:
	s_mov_b32 s23, -1
	s_mov_b32 s26, 0
	s_mov_b32 s24, s19
                                        ; implicit-def: $vgpr5
                                        ; implicit-def: $vgpr4
	s_branch .LBB166_620
.LBB166_418:
	s_mov_b32 s26, -1
	s_mov_b32 s24, 0
	s_mov_b32 s22, s20
                                        ; implicit-def: $vgpr3
                                        ; implicit-def: $vgpr2
	s_branch .LBB166_441
.LBB166_419:
	s_mov_b32 s27, -1
	s_mov_b32 s26, 0
	s_mov_b32 s24, s19
                                        ; implicit-def: $vgpr5
                                        ; implicit-def: $vgpr4
	s_branch .LBB166_583
.LBB166_420:
	s_mov_b32 s26, -1
	s_mov_b32 s24, 0
	s_mov_b32 s22, s20
                                        ; implicit-def: $vgpr3
                                        ; implicit-def: $vgpr2
	s_branch .LBB166_435
.LBB166_421:
	s_mov_b32 s27, -1
	s_mov_b32 s26, 0
	s_mov_b32 s24, s19
                                        ; implicit-def: $vgpr5
                                        ; implicit-def: $vgpr4
	s_branch .LBB166_564
.LBB166_422:
	s_mov_b32 s26, -1
	s_mov_b32 s24, 0
	s_mov_b32 s22, s20
	s_branch .LBB166_427
.LBB166_423:
	s_mov_b32 s27, -1
	s_mov_b32 s26, 0
	s_mov_b32 s24, s19
                                        ; implicit-def: $vgpr5
                                        ; implicit-def: $vgpr4
	s_branch .LBB166_558
.LBB166_424:
	s_and_not1_saveexec_b32 s27, s27
	s_cbranch_execz .LBB166_188
.LBB166_425:
	v_add_f32_e32 v2, 0x46000000, v3
	s_and_not1_b32 s26, s26, exec_lo
	s_delay_alu instid0(VALU_DEP_1) | instskip(NEXT) | instid1(VALU_DEP_1)
	v_and_b32_e32 v2, 0xff, v2
	v_cmp_ne_u32_e32 vcc_lo, 0, v2
	s_and_b32 s28, vcc_lo, exec_lo
	s_delay_alu instid0(SALU_CYCLE_1)
	s_or_b32 s26, s26, s28
	s_or_b32 exec_lo, exec_lo, s27
	v_mov_b32_e32 v4, 0
	s_and_saveexec_b32 s27, s26
	s_cbranch_execnz .LBB166_189
	s_branch .LBB166_190
.LBB166_426:
	s_mov_b32 s22, -1
	s_mov_b32 s24, 0
.LBB166_427:
                                        ; implicit-def: $vgpr3
                                        ; implicit-def: $vgpr2
.LBB166_428:
	s_and_b32 vcc_lo, exec_lo, s26
	s_cbranch_vccz .LBB166_434
; %bb.429:
	s_cmp_eq_u32 s23, 44
	s_cbranch_scc0 .LBB166_432
; %bb.430:
	s_wait_loadcnt 0x0
	global_load_u8 v2, v[0:1], off
	s_mov_b32 s22, 0
	s_mov_b32 s24, -1
	s_wait_loadcnt 0x0
	v_lshlrev_b32_e32 v3, 23, v2
	v_cmp_ne_u32_e32 vcc_lo, 0xff, v2
	s_delay_alu instid0(VALU_DEP_2) | instskip(SKIP_1) | instid1(VALU_DEP_2)
	v_cndmask_b32_e32 v3, 0x7f800001, v3, vcc_lo
	v_cmp_ne_u32_e32 vcc_lo, 0, v2
	v_cndmask_b32_e32 v2, 0x400000, v3, vcc_lo
	s_delay_alu instid0(VALU_DEP_1) | instskip(NEXT) | instid1(VALU_DEP_1)
	v_add_nc_u32_e32 v3, 0x7fff, v2
	v_lshrrev_b32_e32 v3, 16, v3
	v_cmp_o_f32_e32 vcc_lo, v2, v2
	s_delay_alu instid0(VALU_DEP_2)
	v_cndmask_b32_e32 v2, 0x7fc0, v3, vcc_lo
	s_branch .LBB166_433
.LBB166_431:
	s_mov_b32 s27, -1
	s_mov_b32 s26, 0
	s_mov_b32 s24, s19
	s_branch .LBB166_551
.LBB166_432:
	s_mov_b32 s22, -1
                                        ; implicit-def: $vgpr2
.LBB166_433:
	v_mov_b32_e32 v3, 0
.LBB166_434:
	s_mov_b32 s26, 0
.LBB166_435:
	s_delay_alu instid0(SALU_CYCLE_1)
	s_and_b32 vcc_lo, exec_lo, s26
	s_cbranch_vccz .LBB166_440
; %bb.436:
	s_cmp_eq_u32 s23, 29
	s_cbranch_scc0 .LBB166_438
; %bb.437:
	s_wait_loadcnt 0x0
	global_load_b64 v[2:3], v[0:1], off
	s_mov_b32 s24, -1
	s_mov_b32 s22, 0
	s_wait_loadcnt 0x0
	v_clz_i32_u32_e32 v4, v3
	s_delay_alu instid0(VALU_DEP_1) | instskip(NEXT) | instid1(VALU_DEP_1)
	v_min_u32_e32 v4, 32, v4
	v_lshlrev_b64_e32 v[2:3], v4, v[2:3]
	s_delay_alu instid0(VALU_DEP_1) | instskip(NEXT) | instid1(VALU_DEP_1)
	v_min_u32_e32 v2, 1, v2
	v_dual_sub_nc_u32 v3, 32, v4 :: v_dual_bitop2_b32 v2, v3, v2 bitop3:0x54
	s_delay_alu instid0(VALU_DEP_1) | instskip(NEXT) | instid1(VALU_DEP_1)
	v_cvt_f32_u32_e32 v2, v2
	v_ldexp_f32 v2, v2, v3
	s_delay_alu instid0(VALU_DEP_1) | instskip(NEXT) | instid1(VALU_DEP_1)
	v_bfe_u32 v3, v2, 16, 1
	v_add3_u32 v2, v2, v3, 0x7fff
	s_delay_alu instid0(VALU_DEP_1)
	v_lshrrev_b32_e32 v2, 16, v2
	s_branch .LBB166_439
.LBB166_438:
	s_mov_b32 s22, -1
                                        ; implicit-def: $vgpr2
.LBB166_439:
	v_mov_b32_e32 v3, 0
.LBB166_440:
	s_mov_b32 s26, 0
.LBB166_441:
	s_delay_alu instid0(SALU_CYCLE_1)
	s_and_b32 vcc_lo, exec_lo, s26
	s_cbranch_vccz .LBB166_459
; %bb.442:
	s_cmp_lt_i32 s23, 27
	s_cbranch_scc1 .LBB166_445
; %bb.443:
	s_cmp_gt_i32 s23, 27
	s_cbranch_scc0 .LBB166_446
; %bb.444:
	s_wait_loadcnt 0x0
	global_load_b32 v2, v[0:1], off
	s_mov_b32 s24, 0
	s_wait_loadcnt 0x0
	v_cvt_f32_u32_e32 v2, v2
	s_delay_alu instid0(VALU_DEP_1) | instskip(NEXT) | instid1(VALU_DEP_1)
	v_bfe_u32 v3, v2, 16, 1
	v_add3_u32 v2, v2, v3, 0x7fff
	s_delay_alu instid0(VALU_DEP_1)
	v_lshrrev_b32_e32 v2, 16, v2
	s_branch .LBB166_447
.LBB166_445:
	s_mov_b32 s24, -1
                                        ; implicit-def: $vgpr2
	s_branch .LBB166_450
.LBB166_446:
	s_mov_b32 s24, -1
                                        ; implicit-def: $vgpr2
.LBB166_447:
	s_delay_alu instid0(SALU_CYCLE_1)
	s_and_not1_b32 vcc_lo, exec_lo, s24
	s_cbranch_vccnz .LBB166_449
; %bb.448:
	s_wait_loadcnt 0x0
	global_load_u16 v2, v[0:1], off
	s_wait_loadcnt 0x0
	v_cvt_f32_u32_e32 v2, v2
	s_delay_alu instid0(VALU_DEP_1) | instskip(NEXT) | instid1(VALU_DEP_1)
	v_bfe_u32 v3, v2, 16, 1
	v_add3_u32 v2, v2, v3, 0x7fff
	s_delay_alu instid0(VALU_DEP_1)
	v_lshrrev_b32_e32 v2, 16, v2
.LBB166_449:
	s_mov_b32 s24, 0
.LBB166_450:
	s_delay_alu instid0(SALU_CYCLE_1)
	s_and_not1_b32 vcc_lo, exec_lo, s24
	s_cbranch_vccnz .LBB166_458
; %bb.451:
	s_wait_loadcnt 0x0
	global_load_u8 v2, v[0:1], off
	s_mov_b32 s24, 0
	s_mov_b32 s26, exec_lo
	s_wait_loadcnt 0x0
	v_cmpx_lt_i16_e32 0x7f, v2
	s_xor_b32 s26, exec_lo, s26
	s_cbranch_execz .LBB166_472
; %bb.452:
	s_mov_b32 s24, -1
	s_mov_b32 s27, exec_lo
	v_cmpx_eq_u16_e32 0x80, v2
; %bb.453:
	s_xor_b32 s24, exec_lo, -1
; %bb.454:
	s_or_b32 exec_lo, exec_lo, s27
	s_delay_alu instid0(SALU_CYCLE_1)
	s_and_b32 s24, s24, exec_lo
	s_or_saveexec_b32 s26, s26
	v_mov_b32_e32 v3, 0x7f800001
	s_xor_b32 exec_lo, exec_lo, s26
	s_cbranch_execnz .LBB166_473
.LBB166_455:
	s_or_b32 exec_lo, exec_lo, s26
	s_and_saveexec_b32 s26, s24
	s_cbranch_execz .LBB166_457
.LBB166_456:
	v_and_b32_e32 v3, 0xffff, v2
	s_delay_alu instid0(VALU_DEP_1) | instskip(SKIP_1) | instid1(VALU_DEP_2)
	v_and_b32_e32 v4, 7, v3
	v_bfe_u32 v8, v3, 3, 4
	v_clz_i32_u32_e32 v5, v4
	s_delay_alu instid0(VALU_DEP_2) | instskip(NEXT) | instid1(VALU_DEP_2)
	v_cmp_eq_u32_e32 vcc_lo, 0, v8
	v_min_u32_e32 v5, 32, v5
	s_delay_alu instid0(VALU_DEP_1) | instskip(NEXT) | instid1(VALU_DEP_1)
	v_subrev_nc_u32_e32 v7, 28, v5
	v_dual_lshlrev_b32 v3, v7, v3 :: v_dual_sub_nc_u32 v5, 29, v5
	s_delay_alu instid0(VALU_DEP_1) | instskip(NEXT) | instid1(VALU_DEP_2)
	v_dual_lshlrev_b32 v2, 24, v2 :: v_dual_bitop2_b32 v3, 7, v3 bitop3:0x40
	v_cndmask_b32_e32 v5, v8, v5, vcc_lo
	s_delay_alu instid0(VALU_DEP_2) | instskip(NEXT) | instid1(VALU_DEP_3)
	v_cndmask_b32_e32 v3, v4, v3, vcc_lo
	v_and_b32_e32 v2, 0x80000000, v2
	s_delay_alu instid0(VALU_DEP_3) | instskip(NEXT) | instid1(VALU_DEP_3)
	v_lshl_add_u32 v4, v5, 23, 0x3b800000
	v_lshlrev_b32_e32 v3, 20, v3
	s_delay_alu instid0(VALU_DEP_1)
	v_or3_b32 v3, v2, v4, v3
.LBB166_457:
	s_or_b32 exec_lo, exec_lo, s26
	s_delay_alu instid0(VALU_DEP_1) | instskip(SKIP_1) | instid1(VALU_DEP_2)
	v_bfe_u32 v2, v3, 16, 1
	v_cmp_o_f32_e32 vcc_lo, v3, v3
	v_add3_u32 v2, v3, v2, 0x7fff
	s_delay_alu instid0(VALU_DEP_1) | instskip(NEXT) | instid1(VALU_DEP_1)
	v_lshrrev_b32_e32 v2, 16, v2
	v_cndmask_b32_e32 v2, 0x7fc0, v2, vcc_lo
.LBB166_458:
	v_mov_b32_e32 v3, 0
	s_mov_b32 s24, -1
.LBB166_459:
	s_mov_b32 s26, 0
.LBB166_460:
	s_delay_alu instid0(SALU_CYCLE_1)
	s_and_b32 vcc_lo, exec_lo, s26
	s_cbranch_vccz .LBB166_496
; %bb.461:
	s_cmp_gt_i32 s23, 22
	s_cbranch_scc0 .LBB166_471
; %bb.462:
	s_cmp_lt_i32 s23, 24
	s_cbranch_scc1 .LBB166_474
; %bb.463:
	s_cmp_gt_i32 s23, 24
	s_cbranch_scc0 .LBB166_475
; %bb.464:
	s_wait_loadcnt 0x0
	global_load_u8 v2, v[0:1], off
	s_mov_b32 s24, 0
	s_mov_b32 s26, exec_lo
	s_wait_loadcnt 0x0
	v_cmpx_lt_i16_e32 0x7f, v2
	s_xor_b32 s26, exec_lo, s26
	s_cbranch_execz .LBB166_487
; %bb.465:
	s_mov_b32 s24, -1
	s_mov_b32 s27, exec_lo
	v_cmpx_eq_u16_e32 0x80, v2
; %bb.466:
	s_xor_b32 s24, exec_lo, -1
; %bb.467:
	s_or_b32 exec_lo, exec_lo, s27
	s_delay_alu instid0(SALU_CYCLE_1)
	s_and_b32 s24, s24, exec_lo
	s_or_saveexec_b32 s26, s26
	v_mov_b32_e32 v3, 0x7f800001
	s_xor_b32 exec_lo, exec_lo, s26
	s_cbranch_execnz .LBB166_488
.LBB166_468:
	s_or_b32 exec_lo, exec_lo, s26
	s_and_saveexec_b32 s26, s24
	s_cbranch_execz .LBB166_470
.LBB166_469:
	v_and_b32_e32 v3, 0xffff, v2
	s_delay_alu instid0(VALU_DEP_1) | instskip(SKIP_1) | instid1(VALU_DEP_2)
	v_and_b32_e32 v4, 3, v3
	v_bfe_u32 v8, v3, 2, 5
	v_clz_i32_u32_e32 v5, v4
	s_delay_alu instid0(VALU_DEP_2) | instskip(NEXT) | instid1(VALU_DEP_2)
	v_cmp_eq_u32_e32 vcc_lo, 0, v8
	v_min_u32_e32 v5, 32, v5
	s_delay_alu instid0(VALU_DEP_1) | instskip(NEXT) | instid1(VALU_DEP_1)
	v_subrev_nc_u32_e32 v7, 29, v5
	v_dual_lshlrev_b32 v3, v7, v3 :: v_dual_sub_nc_u32 v5, 30, v5
	s_delay_alu instid0(VALU_DEP_1) | instskip(NEXT) | instid1(VALU_DEP_2)
	v_dual_lshlrev_b32 v2, 24, v2 :: v_dual_bitop2_b32 v3, 3, v3 bitop3:0x40
	v_cndmask_b32_e32 v5, v8, v5, vcc_lo
	s_delay_alu instid0(VALU_DEP_2) | instskip(NEXT) | instid1(VALU_DEP_3)
	v_cndmask_b32_e32 v3, v4, v3, vcc_lo
	v_and_b32_e32 v2, 0x80000000, v2
	s_delay_alu instid0(VALU_DEP_3) | instskip(NEXT) | instid1(VALU_DEP_3)
	v_lshl_add_u32 v4, v5, 23, 0x37800000
	v_lshlrev_b32_e32 v3, 21, v3
	s_delay_alu instid0(VALU_DEP_1)
	v_or3_b32 v3, v2, v4, v3
.LBB166_470:
	s_or_b32 exec_lo, exec_lo, s26
	s_delay_alu instid0(VALU_DEP_1) | instskip(SKIP_2) | instid1(VALU_DEP_2)
	v_bfe_u32 v2, v3, 16, 1
	v_cmp_o_f32_e32 vcc_lo, v3, v3
	s_mov_b32 s24, 0
	v_add3_u32 v2, v3, v2, 0x7fff
	s_delay_alu instid0(VALU_DEP_1) | instskip(NEXT) | instid1(VALU_DEP_1)
	v_lshrrev_b32_e32 v2, 16, v2
	v_cndmask_b32_e32 v2, 0x7fc0, v2, vcc_lo
	s_branch .LBB166_476
.LBB166_471:
	s_mov_b32 s26, -1
                                        ; implicit-def: $vgpr2
	s_branch .LBB166_482
.LBB166_472:
	s_or_saveexec_b32 s26, s26
	v_mov_b32_e32 v3, 0x7f800001
	s_xor_b32 exec_lo, exec_lo, s26
	s_cbranch_execz .LBB166_455
.LBB166_473:
	v_cmp_ne_u16_e32 vcc_lo, 0, v2
	v_mov_b32_e32 v3, 0
	s_and_not1_b32 s24, s24, exec_lo
	s_and_b32 s27, vcc_lo, exec_lo
	s_delay_alu instid0(SALU_CYCLE_1)
	s_or_b32 s24, s24, s27
	s_or_b32 exec_lo, exec_lo, s26
	s_and_saveexec_b32 s26, s24
	s_cbranch_execnz .LBB166_456
	s_branch .LBB166_457
.LBB166_474:
	s_mov_b32 s24, -1
                                        ; implicit-def: $vgpr2
	s_branch .LBB166_479
.LBB166_475:
	s_mov_b32 s24, -1
                                        ; implicit-def: $vgpr2
.LBB166_476:
	s_delay_alu instid0(SALU_CYCLE_1)
	s_and_b32 vcc_lo, exec_lo, s24
	s_cbranch_vccz .LBB166_478
; %bb.477:
	s_wait_loadcnt 0x0
	global_load_u8 v2, v[0:1], off
	s_wait_loadcnt 0x0
	v_lshlrev_b32_e32 v2, 24, v2
	s_delay_alu instid0(VALU_DEP_1) | instskip(NEXT) | instid1(VALU_DEP_1)
	v_and_b32_e32 v3, 0x7f000000, v2
	v_clz_i32_u32_e32 v4, v3
	v_add_nc_u32_e32 v7, 0x1000000, v3
	v_cmp_ne_u32_e32 vcc_lo, 0, v3
	s_delay_alu instid0(VALU_DEP_3) | instskip(NEXT) | instid1(VALU_DEP_1)
	v_min_u32_e32 v4, 32, v4
	v_sub_nc_u32_e64 v4, v4, 4 clamp
	s_delay_alu instid0(VALU_DEP_1) | instskip(NEXT) | instid1(VALU_DEP_1)
	v_dual_lshlrev_b32 v5, v4, v3 :: v_dual_lshlrev_b32 v4, 23, v4
	v_lshrrev_b32_e32 v5, 4, v5
	s_delay_alu instid0(VALU_DEP_1) | instskip(NEXT) | instid1(VALU_DEP_1)
	v_dual_sub_nc_u32 v4, v5, v4 :: v_dual_ashrrev_i32 v5, 8, v7
	v_add_nc_u32_e32 v4, 0x3c000000, v4
	s_delay_alu instid0(VALU_DEP_1) | instskip(NEXT) | instid1(VALU_DEP_1)
	v_and_or_b32 v4, 0x7f800000, v5, v4
	v_cndmask_b32_e32 v3, 0, v4, vcc_lo
	s_delay_alu instid0(VALU_DEP_1) | instskip(SKIP_1) | instid1(VALU_DEP_2)
	v_and_or_b32 v2, 0x80000000, v2, v3
	v_bfe_u32 v3, v3, 16, 1
	v_cmp_o_f32_e32 vcc_lo, v2, v2
	s_delay_alu instid0(VALU_DEP_2) | instskip(NEXT) | instid1(VALU_DEP_1)
	v_add3_u32 v3, v2, v3, 0x7fff
	v_lshrrev_b32_e32 v3, 16, v3
	s_delay_alu instid0(VALU_DEP_1)
	v_cndmask_b32_e32 v2, 0x7fc0, v3, vcc_lo
.LBB166_478:
	s_mov_b32 s24, 0
.LBB166_479:
	s_delay_alu instid0(SALU_CYCLE_1)
	s_and_not1_b32 vcc_lo, exec_lo, s24
	s_cbranch_vccnz .LBB166_481
; %bb.480:
	s_wait_loadcnt 0x0
	global_load_u8 v2, v[0:1], off
	s_wait_loadcnt 0x0
	v_lshlrev_b32_e32 v3, 25, v2
	v_lshlrev_b16 v2, 8, v2
	s_delay_alu instid0(VALU_DEP_1) | instskip(SKIP_1) | instid1(VALU_DEP_2)
	v_and_or_b32 v5, 0x7f00, v2, 0.5
	v_bfe_i32 v2, v2, 0, 16
	v_dual_add_f32 v5, -0.5, v5 :: v_dual_lshrrev_b32 v4, 4, v3
	v_cmp_gt_u32_e32 vcc_lo, 0x8000000, v3
	s_delay_alu instid0(VALU_DEP_2) | instskip(NEXT) | instid1(VALU_DEP_1)
	v_or_b32_e32 v4, 0x70000000, v4
	v_mul_f32_e32 v4, 0x7800000, v4
	s_delay_alu instid0(VALU_DEP_1) | instskip(NEXT) | instid1(VALU_DEP_1)
	v_cndmask_b32_e32 v3, v4, v5, vcc_lo
	v_and_or_b32 v2, 0x80000000, v2, v3
	v_bfe_u32 v3, v3, 16, 1
	s_delay_alu instid0(VALU_DEP_2) | instskip(NEXT) | instid1(VALU_DEP_2)
	v_cmp_o_f32_e32 vcc_lo, v2, v2
	v_add3_u32 v3, v2, v3, 0x7fff
	s_delay_alu instid0(VALU_DEP_1) | instskip(NEXT) | instid1(VALU_DEP_1)
	v_lshrrev_b32_e32 v3, 16, v3
	v_cndmask_b32_e32 v2, 0x7fc0, v3, vcc_lo
.LBB166_481:
	s_mov_b32 s26, 0
	s_mov_b32 s24, -1
.LBB166_482:
	s_and_not1_b32 vcc_lo, exec_lo, s26
	s_cbranch_vccnz .LBB166_495
; %bb.483:
	s_cmp_gt_i32 s23, 14
	s_cbranch_scc0 .LBB166_486
; %bb.484:
	s_cmp_eq_u32 s23, 15
	s_cbranch_scc0 .LBB166_489
; %bb.485:
	s_wait_loadcnt 0x0
	global_load_u16 v2, v[0:1], off
	s_mov_b32 s24, -1
	s_mov_b32 s22, 0
	s_branch .LBB166_490
.LBB166_486:
	s_mov_b32 s26, -1
                                        ; implicit-def: $vgpr2
	s_branch .LBB166_491
.LBB166_487:
	s_or_saveexec_b32 s26, s26
	v_mov_b32_e32 v3, 0x7f800001
	s_xor_b32 exec_lo, exec_lo, s26
	s_cbranch_execz .LBB166_468
.LBB166_488:
	v_cmp_ne_u16_e32 vcc_lo, 0, v2
	v_mov_b32_e32 v3, 0
	s_and_not1_b32 s24, s24, exec_lo
	s_and_b32 s27, vcc_lo, exec_lo
	s_delay_alu instid0(SALU_CYCLE_1)
	s_or_b32 s24, s24, s27
	s_or_b32 exec_lo, exec_lo, s26
	s_and_saveexec_b32 s26, s24
	s_cbranch_execnz .LBB166_469
	s_branch .LBB166_470
.LBB166_489:
	s_mov_b32 s22, -1
                                        ; implicit-def: $vgpr2
.LBB166_490:
	s_mov_b32 s26, 0
.LBB166_491:
	s_delay_alu instid0(SALU_CYCLE_1)
	s_and_b32 vcc_lo, exec_lo, s26
	s_cbranch_vccz .LBB166_495
; %bb.492:
	s_cmp_eq_u32 s23, 11
	s_cbranch_scc0 .LBB166_494
; %bb.493:
	s_wait_loadcnt 0x0
	global_load_u8 v2, v[0:1], off
	s_mov_b32 s22, 0
	s_mov_b32 s24, -1
	v_mov_b32_e32 v3, 0
	s_wait_loadcnt 0x0
	v_cmp_ne_u16_e32 vcc_lo, 0, v2
	v_cndmask_b32_e64 v2, 0, 1.0, vcc_lo
	s_delay_alu instid0(VALU_DEP_1)
	v_lshrrev_b32_e32 v2, 16, v2
	s_branch .LBB166_496
.LBB166_494:
	s_mov_b32 s22, -1
                                        ; implicit-def: $vgpr2
.LBB166_495:
	v_mov_b32_e32 v3, 0
.LBB166_496:
	s_branch .LBB166_408
.LBB166_497:
	s_and_b32 s0, 0xffff, s0
	s_delay_alu instid0(SALU_CYCLE_1)
	s_cmp_lt_i32 s0, 5
	s_cbranch_scc1 .LBB166_502
; %bb.498:
	s_cmp_lt_i32 s0, 8
	s_cbranch_scc1 .LBB166_503
; %bb.499:
	;; [unrolled: 3-line block ×3, first 2 shown]
	s_cmp_gt_i32 s0, 9
	s_cbranch_scc0 .LBB166_505
; %bb.501:
	s_wait_loadcnt 0x0
	global_load_b128 v[2:5], v[0:1], off
	s_mov_b32 s23, 0
	s_wait_loadcnt 0x0
	v_cvt_f32_f64_e32 v2, v[2:3]
	v_cvt_f32_f64_e32 v3, v[4:5]
	s_delay_alu instid0(VALU_DEP_2) | instskip(NEXT) | instid1(VALU_DEP_2)
	v_bfe_u32 v4, v2, 16, 1
	v_bfe_u32 v5, v3, 16, 1
	v_cmp_o_f32_e32 vcc_lo, v2, v2
	s_delay_alu instid0(VALU_DEP_3) | instskip(NEXT) | instid1(VALU_DEP_3)
	v_add3_u32 v4, v2, v4, 0x7fff
	v_add3_u32 v5, v3, v5, 0x7fff
	s_delay_alu instid0(VALU_DEP_1) | instskip(NEXT) | instid1(VALU_DEP_3)
	v_and_b32_e32 v5, 0xffff0000, v5
	v_lshrrev_b32_e32 v4, 16, v4
	s_delay_alu instid0(VALU_DEP_1) | instskip(SKIP_1) | instid1(VALU_DEP_4)
	v_cndmask_b32_e32 v2, 0x7fc0, v4, vcc_lo
	v_cmp_o_f32_e32 vcc_lo, v3, v3
	v_cndmask_b32_e32 v3, 0x7fc00000, v5, vcc_lo
	s_branch .LBB166_506
.LBB166_502:
	s_mov_b32 s23, -1
                                        ; implicit-def: $vgpr3
                                        ; implicit-def: $vgpr2
	s_branch .LBB166_525
.LBB166_503:
	s_mov_b32 s23, -1
                                        ; implicit-def: $vgpr3
                                        ; implicit-def: $vgpr2
	s_branch .LBB166_512
.LBB166_504:
	s_mov_b32 s23, -1
                                        ; implicit-def: $vgpr3
                                        ; implicit-def: $vgpr2
	s_branch .LBB166_509
.LBB166_505:
	s_mov_b32 s23, -1
                                        ; implicit-def: $vgpr3
                                        ; implicit-def: $vgpr2
.LBB166_506:
	s_delay_alu instid0(SALU_CYCLE_1)
	s_and_not1_b32 vcc_lo, exec_lo, s23
	s_cbranch_vccnz .LBB166_508
; %bb.507:
	s_wait_loadcnt 0x0
	global_load_b64 v[2:3], v[0:1], off
	s_wait_loadcnt 0x0
	v_bfe_u32 v4, v2, 16, 1
	v_bfe_u32 v5, v3, 16, 1
	v_cmp_o_f32_e32 vcc_lo, v2, v2
	s_delay_alu instid0(VALU_DEP_3) | instskip(NEXT) | instid1(VALU_DEP_3)
	v_add3_u32 v4, v2, v4, 0x7fff
	v_add3_u32 v5, v3, v5, 0x7fff
	s_delay_alu instid0(VALU_DEP_1) | instskip(NEXT) | instid1(VALU_DEP_3)
	v_and_b32_e32 v5, 0xffff0000, v5
	v_lshrrev_b32_e32 v4, 16, v4
	s_delay_alu instid0(VALU_DEP_1) | instskip(SKIP_1) | instid1(VALU_DEP_4)
	v_cndmask_b32_e32 v2, 0x7fc0, v4, vcc_lo
	v_cmp_o_f32_e32 vcc_lo, v3, v3
	v_cndmask_b32_e32 v3, 0x7fc00000, v5, vcc_lo
.LBB166_508:
	s_mov_b32 s23, 0
.LBB166_509:
	s_delay_alu instid0(SALU_CYCLE_1)
	s_and_not1_b32 vcc_lo, exec_lo, s23
	s_cbranch_vccnz .LBB166_511
; %bb.510:
	s_wait_loadcnt 0x0
	global_load_b32 v2, v[0:1], off
	s_wait_loadcnt 0x0
	v_cvt_f32_f16_e32 v4, v2
	v_cmp_o_f16_e32 vcc_lo, v2, v2
	s_delay_alu instid0(VALU_DEP_2) | instskip(NEXT) | instid1(VALU_DEP_1)
	v_bfe_u32 v7, v4, 16, 1
	v_add3_u32 v4, v4, v7, 0x7fff
	s_delay_alu instid0(VALU_DEP_1) | instskip(NEXT) | instid1(VALU_DEP_1)
	v_dual_lshrrev_b32 v3, 16, v2 :: v_dual_lshrrev_b32 v4, 16, v4
	v_cvt_f32_f16_e32 v5, v3
	s_delay_alu instid0(VALU_DEP_2) | instskip(NEXT) | instid1(VALU_DEP_2)
	v_cndmask_b32_e32 v2, 0x7fc0, v4, vcc_lo
	v_bfe_u32 v8, v5, 16, 1
	v_cmp_o_f16_e32 vcc_lo, v3, v3
	s_delay_alu instid0(VALU_DEP_2) | instskip(NEXT) | instid1(VALU_DEP_1)
	v_add3_u32 v5, v5, v8, 0x7fff
	v_and_b32_e32 v5, 0xffff0000, v5
	s_delay_alu instid0(VALU_DEP_1)
	v_cndmask_b32_e32 v3, 0x7fc00000, v5, vcc_lo
.LBB166_511:
	s_mov_b32 s23, 0
.LBB166_512:
	s_delay_alu instid0(SALU_CYCLE_1)
	s_and_not1_b32 vcc_lo, exec_lo, s23
	s_cbranch_vccnz .LBB166_524
; %bb.513:
	s_cmp_lt_i32 s0, 6
	s_cbranch_scc1 .LBB166_516
; %bb.514:
	s_cmp_gt_i32 s0, 6
	s_cbranch_scc0 .LBB166_517
; %bb.515:
	s_wait_loadcnt 0x0
	global_load_b64 v[2:3], v[0:1], off
	s_mov_b32 s23, 0
	s_wait_loadcnt 0x0
	v_cvt_f32_f64_e32 v2, v[2:3]
	s_delay_alu instid0(VALU_DEP_1) | instskip(SKIP_1) | instid1(VALU_DEP_2)
	v_bfe_u32 v3, v2, 16, 1
	v_cmp_o_f32_e32 vcc_lo, v2, v2
	v_add3_u32 v3, v2, v3, 0x7fff
	s_delay_alu instid0(VALU_DEP_1) | instskip(NEXT) | instid1(VALU_DEP_1)
	v_lshrrev_b32_e32 v3, 16, v3
	v_cndmask_b32_e32 v2, 0x7fc0, v3, vcc_lo
	s_branch .LBB166_518
.LBB166_516:
	s_mov_b32 s23, -1
                                        ; implicit-def: $vgpr2
	s_branch .LBB166_521
.LBB166_517:
	s_mov_b32 s23, -1
                                        ; implicit-def: $vgpr2
.LBB166_518:
	s_delay_alu instid0(SALU_CYCLE_1)
	s_and_not1_b32 vcc_lo, exec_lo, s23
	s_cbranch_vccnz .LBB166_520
; %bb.519:
	s_wait_loadcnt 0x0
	global_load_b32 v2, v[0:1], off
	s_wait_loadcnt 0x0
	v_bfe_u32 v3, v2, 16, 1
	v_cmp_o_f32_e32 vcc_lo, v2, v2
	s_delay_alu instid0(VALU_DEP_2) | instskip(NEXT) | instid1(VALU_DEP_1)
	v_add3_u32 v3, v2, v3, 0x7fff
	v_lshrrev_b32_e32 v3, 16, v3
	s_delay_alu instid0(VALU_DEP_1)
	v_cndmask_b32_e32 v2, 0x7fc0, v3, vcc_lo
.LBB166_520:
	s_mov_b32 s23, 0
.LBB166_521:
	s_delay_alu instid0(SALU_CYCLE_1)
	s_and_not1_b32 vcc_lo, exec_lo, s23
	s_cbranch_vccnz .LBB166_523
; %bb.522:
	s_wait_loadcnt 0x0
	global_load_u16 v2, v[0:1], off
	s_wait_loadcnt 0x0
	v_cvt_f32_f16_e32 v3, v2
	v_cmp_o_f16_e32 vcc_lo, v2, v2
	s_delay_alu instid0(VALU_DEP_2) | instskip(NEXT) | instid1(VALU_DEP_1)
	v_bfe_u32 v4, v3, 16, 1
	v_add3_u32 v3, v3, v4, 0x7fff
	s_delay_alu instid0(VALU_DEP_1) | instskip(NEXT) | instid1(VALU_DEP_1)
	v_lshrrev_b32_e32 v3, 16, v3
	v_cndmask_b32_e32 v2, 0x7fc0, v3, vcc_lo
.LBB166_523:
	v_mov_b32_e32 v3, 0
.LBB166_524:
	s_mov_b32 s23, 0
.LBB166_525:
	s_delay_alu instid0(SALU_CYCLE_1)
	s_and_not1_b32 vcc_lo, exec_lo, s23
	s_cbranch_vccnz .LBB166_546
; %bb.526:
	s_cmp_lt_i32 s0, 2
	s_cbranch_scc1 .LBB166_530
; %bb.527:
	s_cmp_lt_i32 s0, 3
	s_cbranch_scc1 .LBB166_531
; %bb.528:
	s_cmp_gt_i32 s0, 3
	s_cbranch_scc0 .LBB166_532
; %bb.529:
	s_wait_loadcnt 0x0
	global_load_b64 v[2:3], v[0:1], off
	s_mov_b32 s23, 0
	s_wait_loadcnt 0x0
	v_xor_b32_e32 v4, v2, v3
	v_cls_i32_e32 v5, v3
	s_delay_alu instid0(VALU_DEP_2) | instskip(NEXT) | instid1(VALU_DEP_1)
	v_ashrrev_i32_e32 v4, 31, v4
	v_add_nc_u32_e32 v4, 32, v4
	s_delay_alu instid0(VALU_DEP_1) | instskip(NEXT) | instid1(VALU_DEP_1)
	v_add_min_u32_e64 v4, v5, -1, v4
	v_lshlrev_b64_e32 v[2:3], v4, v[2:3]
	s_delay_alu instid0(VALU_DEP_1) | instskip(NEXT) | instid1(VALU_DEP_1)
	v_min_u32_e32 v2, 1, v2
	v_dual_sub_nc_u32 v3, 32, v4 :: v_dual_bitop2_b32 v2, v3, v2 bitop3:0x54
	s_delay_alu instid0(VALU_DEP_1) | instskip(NEXT) | instid1(VALU_DEP_1)
	v_cvt_f32_i32_e32 v2, v2
	v_ldexp_f32 v2, v2, v3
	s_delay_alu instid0(VALU_DEP_1) | instskip(NEXT) | instid1(VALU_DEP_1)
	v_bfe_u32 v3, v2, 16, 1
	v_add3_u32 v2, v2, v3, 0x7fff
	s_delay_alu instid0(VALU_DEP_1)
	v_lshrrev_b32_e32 v2, 16, v2
	s_branch .LBB166_533
.LBB166_530:
	s_mov_b32 s23, -1
                                        ; implicit-def: $vgpr2
	s_branch .LBB166_539
.LBB166_531:
	s_mov_b32 s23, -1
                                        ; implicit-def: $vgpr2
	s_branch .LBB166_536
.LBB166_532:
	s_mov_b32 s23, -1
                                        ; implicit-def: $vgpr2
.LBB166_533:
	s_delay_alu instid0(SALU_CYCLE_1)
	s_and_not1_b32 vcc_lo, exec_lo, s23
	s_cbranch_vccnz .LBB166_535
; %bb.534:
	s_wait_loadcnt 0x0
	global_load_b32 v2, v[0:1], off
	s_wait_loadcnt 0x0
	v_cvt_f32_i32_e32 v2, v2
	s_delay_alu instid0(VALU_DEP_1) | instskip(NEXT) | instid1(VALU_DEP_1)
	v_bfe_u32 v3, v2, 16, 1
	v_add3_u32 v2, v2, v3, 0x7fff
	s_delay_alu instid0(VALU_DEP_1)
	v_lshrrev_b32_e32 v2, 16, v2
.LBB166_535:
	s_mov_b32 s23, 0
.LBB166_536:
	s_delay_alu instid0(SALU_CYCLE_1)
	s_and_not1_b32 vcc_lo, exec_lo, s23
	s_cbranch_vccnz .LBB166_538
; %bb.537:
	s_wait_loadcnt 0x0
	global_load_i16 v2, v[0:1], off
	s_wait_loadcnt 0x0
	v_cvt_f32_i32_e32 v2, v2
	s_delay_alu instid0(VALU_DEP_1) | instskip(NEXT) | instid1(VALU_DEP_1)
	v_bfe_u32 v3, v2, 16, 1
	v_add3_u32 v2, v2, v3, 0x7fff
	s_delay_alu instid0(VALU_DEP_1)
	v_lshrrev_b32_e32 v2, 16, v2
.LBB166_538:
	s_mov_b32 s23, 0
.LBB166_539:
	s_delay_alu instid0(SALU_CYCLE_1)
	s_and_not1_b32 vcc_lo, exec_lo, s23
	s_cbranch_vccnz .LBB166_545
; %bb.540:
	s_cmp_gt_i32 s0, 0
	s_mov_b32 s0, 0
	s_cbranch_scc0 .LBB166_542
; %bb.541:
	s_wait_loadcnt 0x0
	global_load_i8 v2, v[0:1], off
	s_wait_loadcnt 0x0
	v_cvt_f32_i32_e32 v2, v2
	s_delay_alu instid0(VALU_DEP_1) | instskip(NEXT) | instid1(VALU_DEP_1)
	v_bfe_u32 v3, v2, 16, 1
	v_add3_u32 v2, v2, v3, 0x7fff
	s_delay_alu instid0(VALU_DEP_1)
	v_lshrrev_b32_e32 v2, 16, v2
	s_branch .LBB166_543
.LBB166_542:
	s_mov_b32 s0, -1
                                        ; implicit-def: $vgpr2
.LBB166_543:
	s_delay_alu instid0(SALU_CYCLE_1)
	s_and_not1_b32 vcc_lo, exec_lo, s0
	s_cbranch_vccnz .LBB166_545
; %bb.544:
	global_load_u8 v0, v[0:1], off
	s_wait_loadcnt 0x0
	v_cvt_f32_ubyte0_e32 v0, v0
	s_delay_alu instid0(VALU_DEP_1) | instskip(NEXT) | instid1(VALU_DEP_1)
	v_bfe_u32 v1, v0, 16, 1
	v_add3_u32 v0, v0, v1, 0x7fff
	s_delay_alu instid0(VALU_DEP_1)
	v_lshrrev_b32_e32 v2, 16, v0
.LBB166_545:
	v_mov_b32_e32 v3, 0
.LBB166_546:
	s_branch .LBB166_409
.LBB166_547:
	s_mov_b32 s26, 0
	s_mov_b32 s0, s18
	;; [unrolled: 1-line block ×3, first 2 shown]
	s_branch .LBB166_801
.LBB166_548:
	s_and_not1_saveexec_b32 s27, s27
	s_cbranch_execz .LBB166_201
.LBB166_549:
	v_add_f32_e32 v2, 0x42800000, v3
	s_and_not1_b32 s26, s26, exec_lo
	s_delay_alu instid0(VALU_DEP_1) | instskip(NEXT) | instid1(VALU_DEP_1)
	v_and_b32_e32 v2, 0xff, v2
	v_cmp_ne_u32_e32 vcc_lo, 0, v2
	s_and_b32 s28, vcc_lo, exec_lo
	s_delay_alu instid0(SALU_CYCLE_1)
	s_or_b32 s26, s26, s28
	s_or_b32 exec_lo, exec_lo, s27
	v_mov_b32_e32 v4, 0
	s_and_saveexec_b32 s27, s26
	s_cbranch_execnz .LBB166_202
	s_branch .LBB166_203
.LBB166_550:
	s_mov_b32 s24, -1
	s_mov_b32 s26, 0
.LBB166_551:
                                        ; implicit-def: $vgpr5
                                        ; implicit-def: $vgpr4
.LBB166_552:
	s_and_b32 vcc_lo, exec_lo, s27
	s_cbranch_vccz .LBB166_557
; %bb.553:
	s_cmp_eq_u32 s23, 44
	s_cbranch_scc0 .LBB166_555
; %bb.554:
	s_wait_loadcnt 0x0
	global_load_u8 v4, v[0:1], off
	s_mov_b32 s24, 0
	s_mov_b32 s26, -1
	s_wait_loadcnt 0x0
	v_lshlrev_b32_e32 v5, 23, v4
	v_cmp_ne_u32_e32 vcc_lo, 0xff, v4
	s_delay_alu instid0(VALU_DEP_2) | instskip(SKIP_1) | instid1(VALU_DEP_2)
	v_cndmask_b32_e32 v5, 0x7f800001, v5, vcc_lo
	v_cmp_ne_u32_e32 vcc_lo, 0, v4
	v_cndmask_b32_e32 v4, 0x400000, v5, vcc_lo
	s_delay_alu instid0(VALU_DEP_1) | instskip(NEXT) | instid1(VALU_DEP_1)
	v_add_nc_u32_e32 v5, 0x7fff, v4
	v_lshrrev_b32_e32 v5, 16, v5
	v_cmp_o_f32_e32 vcc_lo, v4, v4
	s_delay_alu instid0(VALU_DEP_2)
	v_cndmask_b32_e32 v4, 0x7fc0, v5, vcc_lo
	s_branch .LBB166_556
.LBB166_555:
	s_mov_b32 s24, -1
                                        ; implicit-def: $vgpr4
.LBB166_556:
	v_mov_b32_e32 v5, 0
.LBB166_557:
	s_mov_b32 s27, 0
.LBB166_558:
	s_delay_alu instid0(SALU_CYCLE_1)
	s_and_b32 vcc_lo, exec_lo, s27
	s_cbranch_vccz .LBB166_563
; %bb.559:
	s_cmp_eq_u32 s23, 29
	s_cbranch_scc0 .LBB166_561
; %bb.560:
	s_wait_loadcnt 0x0
	global_load_b64 v[4:5], v[0:1], off
	s_mov_b32 s26, -1
	s_mov_b32 s24, 0
	s_wait_loadcnt 0x0
	v_clz_i32_u32_e32 v7, v5
	s_delay_alu instid0(VALU_DEP_1) | instskip(NEXT) | instid1(VALU_DEP_1)
	v_min_u32_e32 v7, 32, v7
	v_lshlrev_b64_e32 v[4:5], v7, v[4:5]
	s_delay_alu instid0(VALU_DEP_1) | instskip(NEXT) | instid1(VALU_DEP_1)
	v_min_u32_e32 v4, 1, v4
	v_dual_sub_nc_u32 v5, 32, v7 :: v_dual_bitop2_b32 v4, v5, v4 bitop3:0x54
	s_delay_alu instid0(VALU_DEP_1) | instskip(NEXT) | instid1(VALU_DEP_1)
	v_cvt_f32_u32_e32 v4, v4
	v_ldexp_f32 v4, v4, v5
	s_delay_alu instid0(VALU_DEP_1) | instskip(NEXT) | instid1(VALU_DEP_1)
	v_bfe_u32 v5, v4, 16, 1
	v_add3_u32 v4, v4, v5, 0x7fff
	s_delay_alu instid0(VALU_DEP_1)
	v_lshrrev_b32_e32 v4, 16, v4
	s_branch .LBB166_562
.LBB166_561:
	s_mov_b32 s24, -1
                                        ; implicit-def: $vgpr4
.LBB166_562:
	v_mov_b32_e32 v5, 0
.LBB166_563:
	s_mov_b32 s27, 0
.LBB166_564:
	s_delay_alu instid0(SALU_CYCLE_1)
	s_and_b32 vcc_lo, exec_lo, s27
	s_cbranch_vccz .LBB166_582
; %bb.565:
	s_cmp_lt_i32 s23, 27
	s_cbranch_scc1 .LBB166_568
; %bb.566:
	s_cmp_gt_i32 s23, 27
	s_cbranch_scc0 .LBB166_569
; %bb.567:
	s_wait_loadcnt 0x0
	global_load_b32 v4, v[0:1], off
	s_mov_b32 s26, 0
	s_wait_loadcnt 0x0
	v_cvt_f32_u32_e32 v4, v4
	s_delay_alu instid0(VALU_DEP_1) | instskip(NEXT) | instid1(VALU_DEP_1)
	v_bfe_u32 v5, v4, 16, 1
	v_add3_u32 v4, v4, v5, 0x7fff
	s_delay_alu instid0(VALU_DEP_1)
	v_lshrrev_b32_e32 v4, 16, v4
	s_branch .LBB166_570
.LBB166_568:
	s_mov_b32 s26, -1
                                        ; implicit-def: $vgpr4
	s_branch .LBB166_573
.LBB166_569:
	s_mov_b32 s26, -1
                                        ; implicit-def: $vgpr4
.LBB166_570:
	s_delay_alu instid0(SALU_CYCLE_1)
	s_and_not1_b32 vcc_lo, exec_lo, s26
	s_cbranch_vccnz .LBB166_572
; %bb.571:
	s_wait_loadcnt 0x0
	global_load_u16 v4, v[0:1], off
	s_wait_loadcnt 0x0
	v_cvt_f32_u32_e32 v4, v4
	s_delay_alu instid0(VALU_DEP_1) | instskip(NEXT) | instid1(VALU_DEP_1)
	v_bfe_u32 v5, v4, 16, 1
	v_add3_u32 v4, v4, v5, 0x7fff
	s_delay_alu instid0(VALU_DEP_1)
	v_lshrrev_b32_e32 v4, 16, v4
.LBB166_572:
	s_mov_b32 s26, 0
.LBB166_573:
	s_delay_alu instid0(SALU_CYCLE_1)
	s_and_not1_b32 vcc_lo, exec_lo, s26
	s_cbranch_vccnz .LBB166_581
; %bb.574:
	s_wait_loadcnt 0x0
	global_load_u8 v4, v[0:1], off
	s_mov_b32 s26, 0
	s_mov_b32 s27, exec_lo
	s_wait_loadcnt 0x0
	v_cmpx_lt_i16_e32 0x7f, v4
	s_xor_b32 s27, exec_lo, s27
	s_cbranch_execz .LBB166_595
; %bb.575:
	s_mov_b32 s26, -1
	s_mov_b32 s28, exec_lo
	v_cmpx_eq_u16_e32 0x80, v4
; %bb.576:
	s_xor_b32 s26, exec_lo, -1
; %bb.577:
	s_or_b32 exec_lo, exec_lo, s28
	s_delay_alu instid0(SALU_CYCLE_1)
	s_and_b32 s26, s26, exec_lo
	s_or_saveexec_b32 s27, s27
	v_mov_b32_e32 v5, 0x7f800001
	s_xor_b32 exec_lo, exec_lo, s27
	s_cbranch_execnz .LBB166_596
.LBB166_578:
	s_or_b32 exec_lo, exec_lo, s27
	s_and_saveexec_b32 s27, s26
	s_cbranch_execz .LBB166_580
.LBB166_579:
	v_and_b32_e32 v5, 0xffff, v4
	s_delay_alu instid0(VALU_DEP_1) | instskip(SKIP_1) | instid1(VALU_DEP_2)
	v_and_b32_e32 v7, 7, v5
	v_bfe_u32 v10, v5, 3, 4
	v_clz_i32_u32_e32 v8, v7
	s_delay_alu instid0(VALU_DEP_2) | instskip(NEXT) | instid1(VALU_DEP_2)
	v_cmp_eq_u32_e32 vcc_lo, 0, v10
	v_min_u32_e32 v8, 32, v8
	s_delay_alu instid0(VALU_DEP_1) | instskip(NEXT) | instid1(VALU_DEP_1)
	v_subrev_nc_u32_e32 v9, 28, v8
	v_dual_lshlrev_b32 v5, v9, v5 :: v_dual_sub_nc_u32 v8, 29, v8
	s_delay_alu instid0(VALU_DEP_1) | instskip(NEXT) | instid1(VALU_DEP_1)
	v_dual_lshlrev_b32 v4, 24, v4 :: v_dual_bitop2_b32 v5, 7, v5 bitop3:0x40
	v_dual_cndmask_b32 v5, v7, v5 :: v_dual_cndmask_b32 v8, v10, v8
	s_delay_alu instid0(VALU_DEP_2) | instskip(NEXT) | instid1(VALU_DEP_2)
	v_and_b32_e32 v4, 0x80000000, v4
	v_lshlrev_b32_e32 v5, 20, v5
	s_delay_alu instid0(VALU_DEP_3) | instskip(NEXT) | instid1(VALU_DEP_1)
	v_lshl_add_u32 v7, v8, 23, 0x3b800000
	v_or3_b32 v5, v4, v7, v5
.LBB166_580:
	s_or_b32 exec_lo, exec_lo, s27
	s_delay_alu instid0(VALU_DEP_1) | instskip(SKIP_1) | instid1(VALU_DEP_2)
	v_bfe_u32 v4, v5, 16, 1
	v_cmp_o_f32_e32 vcc_lo, v5, v5
	v_add3_u32 v4, v5, v4, 0x7fff
	s_delay_alu instid0(VALU_DEP_1) | instskip(NEXT) | instid1(VALU_DEP_1)
	v_lshrrev_b32_e32 v4, 16, v4
	v_cndmask_b32_e32 v4, 0x7fc0, v4, vcc_lo
.LBB166_581:
	v_mov_b32_e32 v5, 0
	s_mov_b32 s26, -1
.LBB166_582:
	s_mov_b32 s27, 0
.LBB166_583:
	s_delay_alu instid0(SALU_CYCLE_1)
	s_and_b32 vcc_lo, exec_lo, s27
	s_cbranch_vccz .LBB166_619
; %bb.584:
	s_cmp_gt_i32 s23, 22
	s_cbranch_scc0 .LBB166_594
; %bb.585:
	s_cmp_lt_i32 s23, 24
	s_cbranch_scc1 .LBB166_597
; %bb.586:
	s_cmp_gt_i32 s23, 24
	s_cbranch_scc0 .LBB166_598
; %bb.587:
	s_wait_loadcnt 0x0
	global_load_u8 v4, v[0:1], off
	s_mov_b32 s26, 0
	s_mov_b32 s27, exec_lo
	s_wait_loadcnt 0x0
	v_cmpx_lt_i16_e32 0x7f, v4
	s_xor_b32 s27, exec_lo, s27
	s_cbranch_execz .LBB166_610
; %bb.588:
	s_mov_b32 s26, -1
	s_mov_b32 s28, exec_lo
	v_cmpx_eq_u16_e32 0x80, v4
; %bb.589:
	s_xor_b32 s26, exec_lo, -1
; %bb.590:
	s_or_b32 exec_lo, exec_lo, s28
	s_delay_alu instid0(SALU_CYCLE_1)
	s_and_b32 s26, s26, exec_lo
	s_or_saveexec_b32 s27, s27
	v_mov_b32_e32 v5, 0x7f800001
	s_xor_b32 exec_lo, exec_lo, s27
	s_cbranch_execnz .LBB166_611
.LBB166_591:
	s_or_b32 exec_lo, exec_lo, s27
	s_and_saveexec_b32 s27, s26
	s_cbranch_execz .LBB166_593
.LBB166_592:
	v_and_b32_e32 v5, 0xffff, v4
	s_delay_alu instid0(VALU_DEP_1) | instskip(SKIP_1) | instid1(VALU_DEP_2)
	v_and_b32_e32 v7, 3, v5
	v_bfe_u32 v10, v5, 2, 5
	v_clz_i32_u32_e32 v8, v7
	s_delay_alu instid0(VALU_DEP_2) | instskip(NEXT) | instid1(VALU_DEP_2)
	v_cmp_eq_u32_e32 vcc_lo, 0, v10
	v_min_u32_e32 v8, 32, v8
	s_delay_alu instid0(VALU_DEP_1) | instskip(NEXT) | instid1(VALU_DEP_1)
	v_subrev_nc_u32_e32 v9, 29, v8
	v_dual_lshlrev_b32 v5, v9, v5 :: v_dual_sub_nc_u32 v8, 30, v8
	s_delay_alu instid0(VALU_DEP_1) | instskip(NEXT) | instid1(VALU_DEP_1)
	v_dual_lshlrev_b32 v4, 24, v4 :: v_dual_bitop2_b32 v5, 3, v5 bitop3:0x40
	v_dual_cndmask_b32 v5, v7, v5 :: v_dual_cndmask_b32 v8, v10, v8
	s_delay_alu instid0(VALU_DEP_2) | instskip(NEXT) | instid1(VALU_DEP_2)
	v_and_b32_e32 v4, 0x80000000, v4
	v_lshlrev_b32_e32 v5, 21, v5
	s_delay_alu instid0(VALU_DEP_3) | instskip(NEXT) | instid1(VALU_DEP_1)
	v_lshl_add_u32 v7, v8, 23, 0x37800000
	v_or3_b32 v5, v4, v7, v5
.LBB166_593:
	s_or_b32 exec_lo, exec_lo, s27
	s_delay_alu instid0(VALU_DEP_1) | instskip(SKIP_2) | instid1(VALU_DEP_2)
	v_bfe_u32 v4, v5, 16, 1
	v_cmp_o_f32_e32 vcc_lo, v5, v5
	s_mov_b32 s26, 0
	v_add3_u32 v4, v5, v4, 0x7fff
	s_delay_alu instid0(VALU_DEP_1) | instskip(NEXT) | instid1(VALU_DEP_1)
	v_lshrrev_b32_e32 v4, 16, v4
	v_cndmask_b32_e32 v4, 0x7fc0, v4, vcc_lo
	s_branch .LBB166_599
.LBB166_594:
	s_mov_b32 s27, -1
                                        ; implicit-def: $vgpr4
	s_branch .LBB166_605
.LBB166_595:
	s_or_saveexec_b32 s27, s27
	v_mov_b32_e32 v5, 0x7f800001
	s_xor_b32 exec_lo, exec_lo, s27
	s_cbranch_execz .LBB166_578
.LBB166_596:
	v_cmp_ne_u16_e32 vcc_lo, 0, v4
	v_mov_b32_e32 v5, 0
	s_and_not1_b32 s26, s26, exec_lo
	s_and_b32 s28, vcc_lo, exec_lo
	s_delay_alu instid0(SALU_CYCLE_1)
	s_or_b32 s26, s26, s28
	s_or_b32 exec_lo, exec_lo, s27
	s_and_saveexec_b32 s27, s26
	s_cbranch_execnz .LBB166_579
	s_branch .LBB166_580
.LBB166_597:
	s_mov_b32 s26, -1
                                        ; implicit-def: $vgpr4
	s_branch .LBB166_602
.LBB166_598:
	s_mov_b32 s26, -1
                                        ; implicit-def: $vgpr4
.LBB166_599:
	s_delay_alu instid0(SALU_CYCLE_1)
	s_and_b32 vcc_lo, exec_lo, s26
	s_cbranch_vccz .LBB166_601
; %bb.600:
	s_wait_loadcnt 0x0
	global_load_u8 v4, v[0:1], off
	s_wait_loadcnt 0x0
	v_lshlrev_b32_e32 v4, 24, v4
	s_delay_alu instid0(VALU_DEP_1) | instskip(NEXT) | instid1(VALU_DEP_1)
	v_and_b32_e32 v5, 0x7f000000, v4
	v_clz_i32_u32_e32 v7, v5
	v_add_nc_u32_e32 v9, 0x1000000, v5
	v_cmp_ne_u32_e32 vcc_lo, 0, v5
	s_delay_alu instid0(VALU_DEP_3) | instskip(NEXT) | instid1(VALU_DEP_1)
	v_min_u32_e32 v7, 32, v7
	v_sub_nc_u32_e64 v7, v7, 4 clamp
	s_delay_alu instid0(VALU_DEP_1) | instskip(NEXT) | instid1(VALU_DEP_1)
	v_dual_lshlrev_b32 v8, v7, v5 :: v_dual_lshlrev_b32 v7, 23, v7
	v_lshrrev_b32_e32 v8, 4, v8
	s_delay_alu instid0(VALU_DEP_1) | instskip(NEXT) | instid1(VALU_DEP_1)
	v_dual_sub_nc_u32 v7, v8, v7 :: v_dual_ashrrev_i32 v8, 8, v9
	v_add_nc_u32_e32 v7, 0x3c000000, v7
	s_delay_alu instid0(VALU_DEP_1) | instskip(NEXT) | instid1(VALU_DEP_1)
	v_and_or_b32 v7, 0x7f800000, v8, v7
	v_cndmask_b32_e32 v5, 0, v7, vcc_lo
	s_delay_alu instid0(VALU_DEP_1) | instskip(SKIP_1) | instid1(VALU_DEP_2)
	v_and_or_b32 v4, 0x80000000, v4, v5
	v_bfe_u32 v5, v5, 16, 1
	v_cmp_o_f32_e32 vcc_lo, v4, v4
	s_delay_alu instid0(VALU_DEP_2) | instskip(NEXT) | instid1(VALU_DEP_1)
	v_add3_u32 v5, v4, v5, 0x7fff
	v_lshrrev_b32_e32 v5, 16, v5
	s_delay_alu instid0(VALU_DEP_1)
	v_cndmask_b32_e32 v4, 0x7fc0, v5, vcc_lo
.LBB166_601:
	s_mov_b32 s26, 0
.LBB166_602:
	s_delay_alu instid0(SALU_CYCLE_1)
	s_and_not1_b32 vcc_lo, exec_lo, s26
	s_cbranch_vccnz .LBB166_604
; %bb.603:
	s_wait_loadcnt 0x0
	global_load_u8 v4, v[0:1], off
	s_wait_loadcnt 0x0
	v_lshlrev_b32_e32 v5, 25, v4
	v_lshlrev_b16 v4, 8, v4
	s_delay_alu instid0(VALU_DEP_2) | instskip(NEXT) | instid1(VALU_DEP_2)
	v_cmp_gt_u32_e32 vcc_lo, 0x8000000, v5
	v_and_or_b32 v8, 0x7f00, v4, 0.5
	v_lshrrev_b32_e32 v7, 4, v5
	v_bfe_i32 v4, v4, 0, 16
	s_delay_alu instid0(VALU_DEP_3) | instskip(NEXT) | instid1(VALU_DEP_3)
	v_add_f32_e32 v8, -0.5, v8
	v_or_b32_e32 v7, 0x70000000, v7
	s_delay_alu instid0(VALU_DEP_1) | instskip(NEXT) | instid1(VALU_DEP_1)
	v_mul_f32_e32 v7, 0x7800000, v7
	v_cndmask_b32_e32 v5, v7, v8, vcc_lo
	s_delay_alu instid0(VALU_DEP_1) | instskip(SKIP_1) | instid1(VALU_DEP_2)
	v_and_or_b32 v4, 0x80000000, v4, v5
	v_bfe_u32 v5, v5, 16, 1
	v_cmp_o_f32_e32 vcc_lo, v4, v4
	s_delay_alu instid0(VALU_DEP_2) | instskip(NEXT) | instid1(VALU_DEP_1)
	v_add3_u32 v5, v4, v5, 0x7fff
	v_lshrrev_b32_e32 v5, 16, v5
	s_delay_alu instid0(VALU_DEP_1)
	v_cndmask_b32_e32 v4, 0x7fc0, v5, vcc_lo
.LBB166_604:
	s_mov_b32 s27, 0
	s_mov_b32 s26, -1
.LBB166_605:
	s_and_not1_b32 vcc_lo, exec_lo, s27
	s_cbranch_vccnz .LBB166_618
; %bb.606:
	s_cmp_gt_i32 s23, 14
	s_cbranch_scc0 .LBB166_609
; %bb.607:
	s_cmp_eq_u32 s23, 15
	s_cbranch_scc0 .LBB166_612
; %bb.608:
	s_wait_loadcnt 0x0
	global_load_u16 v4, v[0:1], off
	s_mov_b32 s26, -1
	s_mov_b32 s24, 0
	s_branch .LBB166_613
.LBB166_609:
	s_mov_b32 s27, -1
                                        ; implicit-def: $vgpr4
	s_branch .LBB166_614
.LBB166_610:
	s_or_saveexec_b32 s27, s27
	v_mov_b32_e32 v5, 0x7f800001
	s_xor_b32 exec_lo, exec_lo, s27
	s_cbranch_execz .LBB166_591
.LBB166_611:
	v_cmp_ne_u16_e32 vcc_lo, 0, v4
	v_mov_b32_e32 v5, 0
	s_and_not1_b32 s26, s26, exec_lo
	s_and_b32 s28, vcc_lo, exec_lo
	s_delay_alu instid0(SALU_CYCLE_1)
	s_or_b32 s26, s26, s28
	s_or_b32 exec_lo, exec_lo, s27
	s_and_saveexec_b32 s27, s26
	s_cbranch_execnz .LBB166_592
	s_branch .LBB166_593
.LBB166_612:
	s_mov_b32 s24, -1
                                        ; implicit-def: $vgpr4
.LBB166_613:
	s_mov_b32 s27, 0
.LBB166_614:
	s_delay_alu instid0(SALU_CYCLE_1)
	s_and_b32 vcc_lo, exec_lo, s27
	s_cbranch_vccz .LBB166_618
; %bb.615:
	s_cmp_eq_u32 s23, 11
	s_cbranch_scc0 .LBB166_617
; %bb.616:
	s_wait_loadcnt 0x0
	global_load_u8 v4, v[0:1], off
	s_mov_b32 s24, 0
	s_mov_b32 s26, -1
	v_mov_b32_e32 v5, 0
	s_wait_loadcnt 0x0
	v_cmp_ne_u16_e32 vcc_lo, 0, v4
	v_cndmask_b32_e64 v4, 0, 1.0, vcc_lo
	s_delay_alu instid0(VALU_DEP_1)
	v_lshrrev_b32_e32 v4, 16, v4
	s_branch .LBB166_619
.LBB166_617:
	s_mov_b32 s24, -1
                                        ; implicit-def: $vgpr4
.LBB166_618:
	v_mov_b32_e32 v5, 0
.LBB166_619:
	s_mov_b32 s23, 0
.LBB166_620:
	s_delay_alu instid0(SALU_CYCLE_1)
	s_and_b32 vcc_lo, exec_lo, s23
	s_cbranch_vccz .LBB166_671
; %bb.621:
	s_and_b32 s0, 0xffff, s0
	s_delay_alu instid0(SALU_CYCLE_1)
	s_cmp_lt_i32 s0, 5
	s_cbranch_scc1 .LBB166_626
; %bb.622:
	s_cmp_lt_i32 s0, 8
	s_cbranch_scc1 .LBB166_627
; %bb.623:
	;; [unrolled: 3-line block ×3, first 2 shown]
	s_cmp_gt_i32 s0, 9
	s_cbranch_scc0 .LBB166_629
; %bb.625:
	global_load_b128 v[8:11], v[0:1], off
	s_mov_b32 s23, 0
	s_wait_loadcnt 0x0
	v_cvt_f32_f64_e32 v4, v[8:9]
	v_cvt_f32_f64_e32 v5, v[10:11]
	s_delay_alu instid0(VALU_DEP_2) | instskip(NEXT) | instid1(VALU_DEP_2)
	v_bfe_u32 v7, v4, 16, 1
	v_bfe_u32 v8, v5, 16, 1
	v_cmp_o_f32_e32 vcc_lo, v4, v4
	s_delay_alu instid0(VALU_DEP_3) | instskip(NEXT) | instid1(VALU_DEP_3)
	v_add3_u32 v7, v4, v7, 0x7fff
	v_add3_u32 v8, v5, v8, 0x7fff
	s_delay_alu instid0(VALU_DEP_2) | instskip(NEXT) | instid1(VALU_DEP_2)
	v_lshrrev_b32_e32 v7, 16, v7
	v_and_b32_e32 v8, 0xffff0000, v8
	s_delay_alu instid0(VALU_DEP_2) | instskip(SKIP_1) | instid1(VALU_DEP_3)
	v_cndmask_b32_e32 v4, 0x7fc0, v7, vcc_lo
	v_cmp_o_f32_e32 vcc_lo, v5, v5
	v_cndmask_b32_e32 v5, 0x7fc00000, v8, vcc_lo
	s_branch .LBB166_630
.LBB166_626:
	s_mov_b32 s23, -1
                                        ; implicit-def: $vgpr5
                                        ; implicit-def: $vgpr4
	s_branch .LBB166_649
.LBB166_627:
	s_mov_b32 s23, -1
                                        ; implicit-def: $vgpr5
                                        ; implicit-def: $vgpr4
	s_branch .LBB166_636
.LBB166_628:
	s_mov_b32 s23, -1
                                        ; implicit-def: $vgpr5
                                        ; implicit-def: $vgpr4
	s_branch .LBB166_633
.LBB166_629:
	s_mov_b32 s23, -1
                                        ; implicit-def: $vgpr5
                                        ; implicit-def: $vgpr4
.LBB166_630:
	s_delay_alu instid0(SALU_CYCLE_1)
	s_and_not1_b32 vcc_lo, exec_lo, s23
	s_cbranch_vccnz .LBB166_632
; %bb.631:
	s_wait_loadcnt 0x0
	global_load_b64 v[4:5], v[0:1], off
	s_wait_loadcnt 0x0
	v_bfe_u32 v7, v4, 16, 1
	v_bfe_u32 v8, v5, 16, 1
	v_cmp_o_f32_e32 vcc_lo, v4, v4
	s_delay_alu instid0(VALU_DEP_3) | instskip(NEXT) | instid1(VALU_DEP_3)
	v_add3_u32 v7, v4, v7, 0x7fff
	v_add3_u32 v8, v5, v8, 0x7fff
	s_delay_alu instid0(VALU_DEP_2) | instskip(NEXT) | instid1(VALU_DEP_2)
	v_lshrrev_b32_e32 v7, 16, v7
	v_and_b32_e32 v8, 0xffff0000, v8
	s_delay_alu instid0(VALU_DEP_2) | instskip(SKIP_1) | instid1(VALU_DEP_3)
	v_cndmask_b32_e32 v4, 0x7fc0, v7, vcc_lo
	v_cmp_o_f32_e32 vcc_lo, v5, v5
	v_cndmask_b32_e32 v5, 0x7fc00000, v8, vcc_lo
.LBB166_632:
	s_mov_b32 s23, 0
.LBB166_633:
	s_delay_alu instid0(SALU_CYCLE_1)
	s_and_not1_b32 vcc_lo, exec_lo, s23
	s_cbranch_vccnz .LBB166_635
; %bb.634:
	s_wait_loadcnt 0x0
	global_load_b32 v4, v[0:1], off
	s_wait_loadcnt 0x0
	v_cvt_f32_f16_e32 v7, v4
	v_cmp_o_f16_e32 vcc_lo, v4, v4
	s_delay_alu instid0(VALU_DEP_2) | instskip(NEXT) | instid1(VALU_DEP_1)
	v_bfe_u32 v9, v7, 16, 1
	v_add3_u32 v7, v7, v9, 0x7fff
	s_delay_alu instid0(VALU_DEP_1) | instskip(NEXT) | instid1(VALU_DEP_1)
	v_dual_lshrrev_b32 v5, 16, v4 :: v_dual_lshrrev_b32 v7, 16, v7
	v_cvt_f32_f16_e32 v8, v5
	s_delay_alu instid0(VALU_DEP_2) | instskip(NEXT) | instid1(VALU_DEP_2)
	v_cndmask_b32_e32 v4, 0x7fc0, v7, vcc_lo
	v_bfe_u32 v10, v8, 16, 1
	v_cmp_o_f16_e32 vcc_lo, v5, v5
	s_delay_alu instid0(VALU_DEP_2) | instskip(NEXT) | instid1(VALU_DEP_1)
	v_add3_u32 v8, v8, v10, 0x7fff
	v_and_b32_e32 v8, 0xffff0000, v8
	s_delay_alu instid0(VALU_DEP_1)
	v_cndmask_b32_e32 v5, 0x7fc00000, v8, vcc_lo
.LBB166_635:
	s_mov_b32 s23, 0
.LBB166_636:
	s_delay_alu instid0(SALU_CYCLE_1)
	s_and_not1_b32 vcc_lo, exec_lo, s23
	s_cbranch_vccnz .LBB166_648
; %bb.637:
	s_cmp_lt_i32 s0, 6
	s_cbranch_scc1 .LBB166_640
; %bb.638:
	s_cmp_gt_i32 s0, 6
	s_cbranch_scc0 .LBB166_641
; %bb.639:
	s_wait_loadcnt 0x0
	global_load_b64 v[4:5], v[0:1], off
	s_mov_b32 s23, 0
	s_wait_loadcnt 0x0
	v_cvt_f32_f64_e32 v4, v[4:5]
	s_delay_alu instid0(VALU_DEP_1) | instskip(SKIP_1) | instid1(VALU_DEP_2)
	v_bfe_u32 v5, v4, 16, 1
	v_cmp_o_f32_e32 vcc_lo, v4, v4
	v_add3_u32 v5, v4, v5, 0x7fff
	s_delay_alu instid0(VALU_DEP_1) | instskip(NEXT) | instid1(VALU_DEP_1)
	v_lshrrev_b32_e32 v5, 16, v5
	v_cndmask_b32_e32 v4, 0x7fc0, v5, vcc_lo
	s_branch .LBB166_642
.LBB166_640:
	s_mov_b32 s23, -1
                                        ; implicit-def: $vgpr4
	s_branch .LBB166_645
.LBB166_641:
	s_mov_b32 s23, -1
                                        ; implicit-def: $vgpr4
.LBB166_642:
	s_delay_alu instid0(SALU_CYCLE_1)
	s_and_not1_b32 vcc_lo, exec_lo, s23
	s_cbranch_vccnz .LBB166_644
; %bb.643:
	s_wait_loadcnt 0x0
	global_load_b32 v4, v[0:1], off
	s_wait_loadcnt 0x0
	v_bfe_u32 v5, v4, 16, 1
	v_cmp_o_f32_e32 vcc_lo, v4, v4
	s_delay_alu instid0(VALU_DEP_2) | instskip(NEXT) | instid1(VALU_DEP_1)
	v_add3_u32 v5, v4, v5, 0x7fff
	v_lshrrev_b32_e32 v5, 16, v5
	s_delay_alu instid0(VALU_DEP_1)
	v_cndmask_b32_e32 v4, 0x7fc0, v5, vcc_lo
.LBB166_644:
	s_mov_b32 s23, 0
.LBB166_645:
	s_delay_alu instid0(SALU_CYCLE_1)
	s_and_not1_b32 vcc_lo, exec_lo, s23
	s_cbranch_vccnz .LBB166_647
; %bb.646:
	s_wait_loadcnt 0x0
	global_load_u16 v4, v[0:1], off
	s_wait_loadcnt 0x0
	v_cvt_f32_f16_e32 v5, v4
	v_cmp_o_f16_e32 vcc_lo, v4, v4
	s_delay_alu instid0(VALU_DEP_2) | instskip(NEXT) | instid1(VALU_DEP_1)
	v_bfe_u32 v7, v5, 16, 1
	v_add3_u32 v5, v5, v7, 0x7fff
	s_delay_alu instid0(VALU_DEP_1) | instskip(NEXT) | instid1(VALU_DEP_1)
	v_lshrrev_b32_e32 v5, 16, v5
	v_cndmask_b32_e32 v4, 0x7fc0, v5, vcc_lo
.LBB166_647:
	v_mov_b32_e32 v5, 0
.LBB166_648:
	s_mov_b32 s23, 0
.LBB166_649:
	s_delay_alu instid0(SALU_CYCLE_1)
	s_and_not1_b32 vcc_lo, exec_lo, s23
	s_cbranch_vccnz .LBB166_670
; %bb.650:
	s_cmp_lt_i32 s0, 2
	s_cbranch_scc1 .LBB166_654
; %bb.651:
	s_cmp_lt_i32 s0, 3
	s_cbranch_scc1 .LBB166_655
; %bb.652:
	s_cmp_gt_i32 s0, 3
	s_cbranch_scc0 .LBB166_656
; %bb.653:
	s_wait_loadcnt 0x0
	global_load_b64 v[4:5], v[0:1], off
	s_mov_b32 s23, 0
	s_wait_loadcnt 0x0
	v_xor_b32_e32 v7, v4, v5
	v_cls_i32_e32 v8, v5
	s_delay_alu instid0(VALU_DEP_2) | instskip(NEXT) | instid1(VALU_DEP_1)
	v_ashrrev_i32_e32 v7, 31, v7
	v_add_nc_u32_e32 v7, 32, v7
	s_delay_alu instid0(VALU_DEP_1) | instskip(NEXT) | instid1(VALU_DEP_1)
	v_add_min_u32_e64 v7, v8, -1, v7
	v_lshlrev_b64_e32 v[4:5], v7, v[4:5]
	s_delay_alu instid0(VALU_DEP_1) | instskip(NEXT) | instid1(VALU_DEP_1)
	v_min_u32_e32 v4, 1, v4
	v_dual_sub_nc_u32 v5, 32, v7 :: v_dual_bitop2_b32 v4, v5, v4 bitop3:0x54
	s_delay_alu instid0(VALU_DEP_1) | instskip(NEXT) | instid1(VALU_DEP_1)
	v_cvt_f32_i32_e32 v4, v4
	v_ldexp_f32 v4, v4, v5
	s_delay_alu instid0(VALU_DEP_1) | instskip(NEXT) | instid1(VALU_DEP_1)
	v_bfe_u32 v5, v4, 16, 1
	v_add3_u32 v4, v4, v5, 0x7fff
	s_delay_alu instid0(VALU_DEP_1)
	v_lshrrev_b32_e32 v4, 16, v4
	s_branch .LBB166_657
.LBB166_654:
	s_mov_b32 s23, -1
                                        ; implicit-def: $vgpr4
	s_branch .LBB166_663
.LBB166_655:
	s_mov_b32 s23, -1
                                        ; implicit-def: $vgpr4
	s_branch .LBB166_660
.LBB166_656:
	s_mov_b32 s23, -1
                                        ; implicit-def: $vgpr4
.LBB166_657:
	s_delay_alu instid0(SALU_CYCLE_1)
	s_and_not1_b32 vcc_lo, exec_lo, s23
	s_cbranch_vccnz .LBB166_659
; %bb.658:
	s_wait_loadcnt 0x0
	global_load_b32 v4, v[0:1], off
	s_wait_loadcnt 0x0
	v_cvt_f32_i32_e32 v4, v4
	s_delay_alu instid0(VALU_DEP_1) | instskip(NEXT) | instid1(VALU_DEP_1)
	v_bfe_u32 v5, v4, 16, 1
	v_add3_u32 v4, v4, v5, 0x7fff
	s_delay_alu instid0(VALU_DEP_1)
	v_lshrrev_b32_e32 v4, 16, v4
.LBB166_659:
	s_mov_b32 s23, 0
.LBB166_660:
	s_delay_alu instid0(SALU_CYCLE_1)
	s_and_not1_b32 vcc_lo, exec_lo, s23
	s_cbranch_vccnz .LBB166_662
; %bb.661:
	s_wait_loadcnt 0x0
	global_load_i16 v4, v[0:1], off
	s_wait_loadcnt 0x0
	v_cvt_f32_i32_e32 v4, v4
	s_delay_alu instid0(VALU_DEP_1) | instskip(NEXT) | instid1(VALU_DEP_1)
	v_bfe_u32 v5, v4, 16, 1
	v_add3_u32 v4, v4, v5, 0x7fff
	s_delay_alu instid0(VALU_DEP_1)
	v_lshrrev_b32_e32 v4, 16, v4
.LBB166_662:
	s_mov_b32 s23, 0
.LBB166_663:
	s_delay_alu instid0(SALU_CYCLE_1)
	s_and_not1_b32 vcc_lo, exec_lo, s23
	s_cbranch_vccnz .LBB166_669
; %bb.664:
	s_cmp_gt_i32 s0, 0
	s_mov_b32 s0, 0
	s_cbranch_scc0 .LBB166_666
; %bb.665:
	s_wait_loadcnt 0x0
	global_load_i8 v4, v[0:1], off
	s_wait_loadcnt 0x0
	v_cvt_f32_i32_e32 v4, v4
	s_delay_alu instid0(VALU_DEP_1) | instskip(NEXT) | instid1(VALU_DEP_1)
	v_bfe_u32 v5, v4, 16, 1
	v_add3_u32 v4, v4, v5, 0x7fff
	s_delay_alu instid0(VALU_DEP_1)
	v_lshrrev_b32_e32 v4, 16, v4
	s_branch .LBB166_667
.LBB166_666:
	s_mov_b32 s0, -1
                                        ; implicit-def: $vgpr4
.LBB166_667:
	s_delay_alu instid0(SALU_CYCLE_1)
	s_and_not1_b32 vcc_lo, exec_lo, s0
	s_cbranch_vccnz .LBB166_669
; %bb.668:
	global_load_u8 v0, v[0:1], off
	s_wait_loadcnt 0x0
	v_cvt_f32_ubyte0_e32 v0, v0
	s_delay_alu instid0(VALU_DEP_1) | instskip(NEXT) | instid1(VALU_DEP_1)
	v_bfe_u32 v1, v0, 16, 1
	v_add3_u32 v0, v0, v1, 0x7fff
	s_delay_alu instid0(VALU_DEP_1)
	v_lshrrev_b32_e32 v4, 16, v0
.LBB166_669:
	v_mov_b32_e32 v5, 0
.LBB166_670:
	s_mov_b32 s26, -1
.LBB166_671:
	s_delay_alu instid0(SALU_CYCLE_1)
	s_and_not1_b32 vcc_lo, exec_lo, s26
	s_cbranch_vccnz .LBB166_674
; %bb.672:
	s_wait_loadcnt 0x0
	v_and_b32_e32 v0, 0xffff, v4
	v_and_b32_e32 v1, 0xffff, v2
	s_and_not1_b32 vcc_lo, exec_lo, s16
	s_delay_alu instid0(VALU_DEP_2) | instskip(NEXT) | instid1(VALU_DEP_2)
	v_or_b32_e32 v2, v5, v0
	v_or_b32_e32 v4, v3, v1
	v_and_b32_e32 v0, 0xffff0000, v5
	v_and_b32_e32 v3, 0xffff0000, v3
	s_delay_alu instid0(VALU_DEP_3)
	v_dual_lshlrev_b32 v1, 16, v2 :: v_dual_lshlrev_b32 v2, 16, v4
	s_cbranch_vccnz .LBB166_675
; %bb.673:
	s_delay_alu instid0(VALU_DEP_1) | instskip(NEXT) | instid1(VALU_DEP_3)
	v_cmp_neq_f32_e32 vcc_lo, v2, v1
	v_cmp_neq_f32_e64 s0, v3, v0
	s_or_b32 s23, vcc_lo, s0
	s_mov_b32 s0, 0
	s_branch .LBB166_676
.LBB166_674:
	s_mov_b32 s26, 0
	s_mov_b32 s0, s18
	s_branch .LBB166_801
.LBB166_675:
	s_mov_b32 s0, -1
                                        ; implicit-def: $sgpr23
.LBB166_676:
	s_delay_alu instid0(SALU_CYCLE_1)
	s_and_not1_b32 vcc_lo, exec_lo, s0
	s_cbranch_vccnz .LBB166_678
; %bb.677:
	v_cmp_eq_f32_e32 vcc_lo, v2, v1
	v_cmp_eq_f32_e64 s0, v3, v0
	s_and_not1_b32 s23, s23, exec_lo
	s_and_b32 s0, vcc_lo, s0
	s_delay_alu instid0(SALU_CYCLE_1) | instskip(NEXT) | instid1(SALU_CYCLE_1)
	s_and_b32 s0, s0, exec_lo
	s_or_b32 s23, s23, s0
.LBB166_678:
	v_mul_lo_u32 v0, v6, s8
	s_and_b32 s26, s12, 0xff
	s_delay_alu instid0(SALU_CYCLE_1) | instskip(NEXT) | instid1(VALU_DEP_1)
	s_cmp_lt_i32 s26, 11
	v_ashrrev_i32_e32 v1, 31, v0
	s_delay_alu instid0(VALU_DEP_1)
	v_add_nc_u64_e32 v[0:1], s[4:5], v[0:1]
	s_cbranch_scc1 .LBB166_685
; %bb.679:
	s_and_b32 s27, 0xffff, s26
	s_delay_alu instid0(SALU_CYCLE_1)
	s_cmp_gt_i32 s27, 25
	s_cbranch_scc0 .LBB166_686
; %bb.680:
	s_cmp_gt_i32 s27, 28
	s_cbranch_scc0 .LBB166_687
; %bb.681:
	;; [unrolled: 3-line block ×4, first 2 shown]
	s_mov_b32 s29, 0
	s_mov_b32 s0, -1
	s_cmp_eq_u32 s27, 46
	s_mov_b32 s28, 0
	s_cbranch_scc0 .LBB166_690
; %bb.684:
	v_cndmask_b32_e64 v2, 0, 1.0, s23
	s_mov_b32 s28, -1
	s_mov_b32 s0, 0
	s_delay_alu instid0(VALU_DEP_1) | instskip(NEXT) | instid1(VALU_DEP_1)
	v_bfe_u32 v3, v2, 16, 1
	v_add3_u32 v2, v2, v3, 0x7fff
	s_delay_alu instid0(VALU_DEP_1)
	v_lshrrev_b32_e32 v2, 16, v2
	global_store_b32 v[0:1], v2, off
	s_branch .LBB166_690
.LBB166_685:
	s_mov_b32 s27, -1
	s_mov_b32 s28, 0
	s_mov_b32 s0, s18
	s_branch .LBB166_759
.LBB166_686:
	s_mov_b32 s29, -1
	s_mov_b32 s28, 0
	s_mov_b32 s0, s18
	s_branch .LBB166_717
.LBB166_687:
	s_mov_b32 s29, -1
	s_mov_b32 s28, 0
	s_mov_b32 s0, s18
	s_branch .LBB166_700
.LBB166_688:
	s_mov_b32 s29, -1
	s_mov_b32 s28, 0
	s_mov_b32 s0, s18
	s_branch .LBB166_696
.LBB166_689:
	s_mov_b32 s29, -1
	s_mov_b32 s28, 0
	s_mov_b32 s0, s18
.LBB166_690:
	s_and_b32 vcc_lo, exec_lo, s29
	s_cbranch_vccz .LBB166_695
; %bb.691:
	s_cmp_eq_u32 s27, 44
	s_mov_b32 s0, -1
	s_cbranch_scc0 .LBB166_695
; %bb.692:
	v_cndmask_b32_e64 v4, 0, 1.0, s23
	s_mov_b32 s28, exec_lo
	s_wait_xcnt 0x0
	s_delay_alu instid0(VALU_DEP_1) | instskip(NEXT) | instid1(VALU_DEP_1)
	v_dual_mov_b32 v3, 0xff :: v_dual_lshrrev_b32 v2, 23, v4
	v_cmpx_ne_u32_e32 0xff, v2
; %bb.693:
	v_and_b32_e32 v3, 0x400000, v4
	v_and_or_b32 v4, 0x3fffff, v4, v2
	s_delay_alu instid0(VALU_DEP_2) | instskip(NEXT) | instid1(VALU_DEP_2)
	v_cmp_ne_u32_e32 vcc_lo, 0, v3
	v_cmp_ne_u32_e64 s0, 0, v4
	s_and_b32 s0, vcc_lo, s0
	s_delay_alu instid0(SALU_CYCLE_1) | instskip(NEXT) | instid1(VALU_DEP_1)
	v_cndmask_b32_e64 v3, 0, 1, s0
	v_add_nc_u32_e32 v3, v2, v3
; %bb.694:
	s_or_b32 exec_lo, exec_lo, s28
	s_mov_b32 s28, -1
	s_mov_b32 s0, 0
	global_store_b8 v[0:1], v3, off
.LBB166_695:
	s_mov_b32 s29, 0
.LBB166_696:
	s_delay_alu instid0(SALU_CYCLE_1)
	s_and_b32 vcc_lo, exec_lo, s29
	s_cbranch_vccz .LBB166_699
; %bb.697:
	s_cmp_eq_u32 s27, 29
	s_mov_b32 s0, -1
	s_cbranch_scc0 .LBB166_699
; %bb.698:
	s_mov_b32 s0, 0
	s_wait_xcnt 0x0
	v_cndmask_b32_e64 v2, 0, 1, s23
	v_mov_b32_e32 v3, s0
	s_mov_b32 s28, -1
	s_mov_b32 s29, 0
	global_store_b64 v[0:1], v[2:3], off
	s_branch .LBB166_700
.LBB166_699:
	s_mov_b32 s29, 0
.LBB166_700:
	s_delay_alu instid0(SALU_CYCLE_1)
	s_and_b32 vcc_lo, exec_lo, s29
	s_cbranch_vccz .LBB166_716
; %bb.701:
	s_cmp_lt_i32 s27, 27
	s_mov_b32 s28, -1
	s_cbranch_scc1 .LBB166_707
; %bb.702:
	s_cmp_gt_i32 s27, 27
	s_cbranch_scc0 .LBB166_704
; %bb.703:
	s_wait_xcnt 0x0
	v_cndmask_b32_e64 v2, 0, 1, s23
	s_mov_b32 s28, 0
	global_store_b32 v[0:1], v2, off
.LBB166_704:
	s_and_not1_b32 vcc_lo, exec_lo, s28
	s_cbranch_vccnz .LBB166_706
; %bb.705:
	s_wait_xcnt 0x0
	v_cndmask_b32_e64 v2, 0, 1, s23
	global_store_b16 v[0:1], v2, off
.LBB166_706:
	s_mov_b32 s28, 0
.LBB166_707:
	s_delay_alu instid0(SALU_CYCLE_1)
	s_and_not1_b32 vcc_lo, exec_lo, s28
	s_cbranch_vccnz .LBB166_715
; %bb.708:
	s_wait_xcnt 0x0
	v_cndmask_b32_e64 v3, 0, 1.0, s23
	v_mov_b32_e32 v4, 0x80
	s_mov_b32 s28, exec_lo
	s_delay_alu instid0(VALU_DEP_2)
	v_cmpx_gt_u32_e32 0x43800000, v3
	s_cbranch_execz .LBB166_714
; %bb.709:
	s_mov_b32 s29, 0
	s_mov_b32 s30, exec_lo
                                        ; implicit-def: $vgpr2
	v_cmpx_lt_u32_e32 0x3bffffff, v3
	s_xor_b32 s30, exec_lo, s30
	s_cbranch_execz .LBB166_817
; %bb.710:
	v_bfe_u32 v2, v3, 20, 1
	s_mov_b32 s29, exec_lo
	s_delay_alu instid0(VALU_DEP_1) | instskip(NEXT) | instid1(VALU_DEP_1)
	v_add3_u32 v2, v3, v2, 0x487ffff
                                        ; implicit-def: $vgpr3
	v_lshrrev_b32_e32 v2, 20, v2
	s_and_not1_saveexec_b32 s30, s30
	s_cbranch_execnz .LBB166_818
.LBB166_711:
	s_or_b32 exec_lo, exec_lo, s30
	v_mov_b32_e32 v4, 0
	s_and_saveexec_b32 s30, s29
.LBB166_712:
	v_mov_b32_e32 v4, v2
.LBB166_713:
	s_or_b32 exec_lo, exec_lo, s30
.LBB166_714:
	s_delay_alu instid0(SALU_CYCLE_1)
	s_or_b32 exec_lo, exec_lo, s28
	global_store_b8 v[0:1], v4, off
.LBB166_715:
	s_mov_b32 s28, -1
.LBB166_716:
	s_mov_b32 s29, 0
.LBB166_717:
	s_delay_alu instid0(SALU_CYCLE_1)
	s_and_b32 vcc_lo, exec_lo, s29
	s_cbranch_vccz .LBB166_758
; %bb.718:
	s_cmp_gt_i32 s27, 22
	s_mov_b32 s29, -1
	s_cbranch_scc0 .LBB166_750
; %bb.719:
	s_cmp_lt_i32 s27, 24
	s_mov_b32 s28, -1
	s_cbranch_scc1 .LBB166_739
; %bb.720:
	s_cmp_gt_i32 s27, 24
	s_cbranch_scc0 .LBB166_728
; %bb.721:
	s_wait_xcnt 0x0
	v_cndmask_b32_e64 v3, 0, 1.0, s23
	v_mov_b32_e32 v4, 0x80
	s_mov_b32 s28, exec_lo
	s_delay_alu instid0(VALU_DEP_2)
	v_cmpx_gt_u32_e32 0x47800000, v3
	s_cbranch_execz .LBB166_727
; %bb.722:
	s_mov_b32 s29, 0
	s_mov_b32 s30, exec_lo
                                        ; implicit-def: $vgpr2
	v_cmpx_lt_u32_e32 0x37ffffff, v3
	s_xor_b32 s30, exec_lo, s30
	s_cbranch_execz .LBB166_954
; %bb.723:
	v_bfe_u32 v2, v3, 21, 1
	s_mov_b32 s29, exec_lo
	s_delay_alu instid0(VALU_DEP_1) | instskip(NEXT) | instid1(VALU_DEP_1)
	v_add3_u32 v2, v3, v2, 0x88fffff
                                        ; implicit-def: $vgpr3
	v_lshrrev_b32_e32 v2, 21, v2
	s_and_not1_saveexec_b32 s30, s30
	s_cbranch_execnz .LBB166_955
.LBB166_724:
	s_or_b32 exec_lo, exec_lo, s30
	v_mov_b32_e32 v4, 0
	s_and_saveexec_b32 s30, s29
.LBB166_725:
	v_mov_b32_e32 v4, v2
.LBB166_726:
	s_or_b32 exec_lo, exec_lo, s30
.LBB166_727:
	s_delay_alu instid0(SALU_CYCLE_1)
	s_or_b32 exec_lo, exec_lo, s28
	s_mov_b32 s28, 0
	global_store_b8 v[0:1], v4, off
.LBB166_728:
	s_and_b32 vcc_lo, exec_lo, s28
	s_cbranch_vccz .LBB166_738
; %bb.729:
	s_wait_xcnt 0x0
	v_cndmask_b32_e64 v3, 0, 1.0, s23
	s_mov_b32 s28, exec_lo
                                        ; implicit-def: $vgpr2
	s_delay_alu instid0(VALU_DEP_1)
	v_cmpx_gt_u32_e32 0x43f00000, v3
	s_xor_b32 s28, exec_lo, s28
	s_cbranch_execz .LBB166_735
; %bb.730:
	s_mov_b32 s29, exec_lo
                                        ; implicit-def: $vgpr2
	v_cmpx_lt_u32_e32 0x3c7fffff, v3
	s_xor_b32 s29, exec_lo, s29
; %bb.731:
	v_bfe_u32 v2, v3, 20, 1
	s_delay_alu instid0(VALU_DEP_1) | instskip(NEXT) | instid1(VALU_DEP_1)
	v_add3_u32 v2, v3, v2, 0x407ffff
	v_and_b32_e32 v3, 0xff00000, v2
	v_lshrrev_b32_e32 v2, 20, v2
	s_delay_alu instid0(VALU_DEP_2) | instskip(NEXT) | instid1(VALU_DEP_2)
	v_cmp_ne_u32_e32 vcc_lo, 0x7f00000, v3
                                        ; implicit-def: $vgpr3
	v_cndmask_b32_e32 v2, 0x7e, v2, vcc_lo
; %bb.732:
	s_and_not1_saveexec_b32 s29, s29
; %bb.733:
	v_add_f32_e32 v2, 0x46800000, v3
; %bb.734:
	s_or_b32 exec_lo, exec_lo, s29
                                        ; implicit-def: $vgpr3
.LBB166_735:
	s_and_not1_saveexec_b32 s28, s28
; %bb.736:
	v_mov_b32_e32 v2, 0x7f
	v_cmp_lt_u32_e32 vcc_lo, 0x7f800000, v3
	s_delay_alu instid0(VALU_DEP_2)
	v_cndmask_b32_e32 v2, 0x7e, v2, vcc_lo
; %bb.737:
	s_or_b32 exec_lo, exec_lo, s28
	global_store_b8 v[0:1], v2, off
.LBB166_738:
	s_mov_b32 s28, 0
.LBB166_739:
	s_delay_alu instid0(SALU_CYCLE_1)
	s_and_not1_b32 vcc_lo, exec_lo, s28
	s_cbranch_vccnz .LBB166_749
; %bb.740:
	s_wait_xcnt 0x0
	v_cndmask_b32_e64 v3, 0, 1.0, s23
	s_mov_b32 s28, exec_lo
                                        ; implicit-def: $vgpr2
	s_delay_alu instid0(VALU_DEP_1)
	v_cmpx_gt_u32_e32 0x47800000, v3
	s_xor_b32 s28, exec_lo, s28
	s_cbranch_execz .LBB166_746
; %bb.741:
	s_mov_b32 s29, exec_lo
                                        ; implicit-def: $vgpr2
	v_cmpx_lt_u32_e32 0x387fffff, v3
	s_xor_b32 s29, exec_lo, s29
; %bb.742:
	v_bfe_u32 v2, v3, 21, 1
	s_delay_alu instid0(VALU_DEP_1) | instskip(NEXT) | instid1(VALU_DEP_1)
	v_add3_u32 v2, v3, v2, 0x80fffff
                                        ; implicit-def: $vgpr3
	v_lshrrev_b32_e32 v2, 21, v2
; %bb.743:
	s_and_not1_saveexec_b32 s29, s29
; %bb.744:
	v_add_f32_e32 v2, 0x43000000, v3
; %bb.745:
	s_or_b32 exec_lo, exec_lo, s29
                                        ; implicit-def: $vgpr3
.LBB166_746:
	s_and_not1_saveexec_b32 s28, s28
; %bb.747:
	v_mov_b32_e32 v2, 0x7f
	v_cmp_lt_u32_e32 vcc_lo, 0x7f800000, v3
	s_delay_alu instid0(VALU_DEP_2)
	v_cndmask_b32_e32 v2, 0x7c, v2, vcc_lo
; %bb.748:
	s_or_b32 exec_lo, exec_lo, s28
	global_store_b8 v[0:1], v2, off
.LBB166_749:
	s_mov_b32 s29, 0
	s_mov_b32 s28, -1
.LBB166_750:
	s_and_not1_b32 vcc_lo, exec_lo, s29
	s_cbranch_vccnz .LBB166_758
; %bb.751:
	s_cmp_gt_i32 s27, 14
	s_mov_b32 s29, -1
	s_cbranch_scc0 .LBB166_755
; %bb.752:
	s_cmp_eq_u32 s27, 15
	s_mov_b32 s0, -1
	s_cbranch_scc0 .LBB166_754
; %bb.753:
	s_wait_xcnt 0x0
	v_cndmask_b32_e64 v2, 0, 1.0, s23
	s_mov_b32 s28, -1
	s_mov_b32 s0, 0
	s_delay_alu instid0(VALU_DEP_1) | instskip(NEXT) | instid1(VALU_DEP_1)
	v_bfe_u32 v3, v2, 16, 1
	v_add3_u32 v2, v2, v3, 0x7fff
	global_store_d16_hi_b16 v[0:1], v2, off
.LBB166_754:
	s_mov_b32 s29, 0
.LBB166_755:
	s_delay_alu instid0(SALU_CYCLE_1)
	s_and_b32 vcc_lo, exec_lo, s29
	s_cbranch_vccz .LBB166_758
; %bb.756:
	s_cmp_eq_u32 s27, 11
	s_mov_b32 s0, -1
	s_cbranch_scc0 .LBB166_758
; %bb.757:
	s_wait_xcnt 0x0
	v_cndmask_b32_e64 v2, 0, 1, s23
	s_mov_b32 s28, -1
	s_mov_b32 s0, 0
	global_store_b8 v[0:1], v2, off
.LBB166_758:
	s_mov_b32 s27, 0
.LBB166_759:
	s_delay_alu instid0(SALU_CYCLE_1)
	s_and_b32 vcc_lo, exec_lo, s27
	s_cbranch_vccz .LBB166_798
; %bb.760:
	s_and_b32 s26, 0xffff, s26
	s_mov_b32 s27, -1
	s_cmp_lt_i32 s26, 5
	s_cbranch_scc1 .LBB166_781
; %bb.761:
	s_cmp_lt_i32 s26, 8
	s_cbranch_scc1 .LBB166_771
; %bb.762:
	;; [unrolled: 3-line block ×3, first 2 shown]
	s_cmp_gt_i32 s26, 9
	s_cbranch_scc0 .LBB166_765
; %bb.764:
	s_wait_xcnt 0x0
	v_cndmask_b32_e64 v2, 0, 1, s23
	v_mov_b32_e32 v4, 0
	s_mov_b32 s27, 0
	s_delay_alu instid0(VALU_DEP_2) | instskip(NEXT) | instid1(VALU_DEP_2)
	v_cvt_f64_u32_e32 v[2:3], v2
	v_mov_b32_e32 v5, v4
	global_store_b128 v[0:1], v[2:5], off
.LBB166_765:
	s_and_not1_b32 vcc_lo, exec_lo, s27
	s_cbranch_vccnz .LBB166_767
; %bb.766:
	s_wait_xcnt 0x0
	v_cndmask_b32_e64 v2, 0, 1.0, s23
	v_mov_b32_e32 v3, 0
	global_store_b64 v[0:1], v[2:3], off
.LBB166_767:
	s_mov_b32 s27, 0
.LBB166_768:
	s_delay_alu instid0(SALU_CYCLE_1)
	s_and_not1_b32 vcc_lo, exec_lo, s27
	s_cbranch_vccnz .LBB166_770
; %bb.769:
	s_wait_xcnt 0x0
	v_cndmask_b32_e64 v2, 0, 1.0, s23
	s_delay_alu instid0(VALU_DEP_1) | instskip(NEXT) | instid1(VALU_DEP_1)
	v_cvt_f16_f32_e32 v2, v2
	v_and_b32_e32 v2, 0xffff, v2
	global_store_b32 v[0:1], v2, off
.LBB166_770:
	s_mov_b32 s27, 0
.LBB166_771:
	s_delay_alu instid0(SALU_CYCLE_1)
	s_and_not1_b32 vcc_lo, exec_lo, s27
	s_cbranch_vccnz .LBB166_780
; %bb.772:
	s_cmp_lt_i32 s26, 6
	s_mov_b32 s27, -1
	s_cbranch_scc1 .LBB166_778
; %bb.773:
	s_cmp_gt_i32 s26, 6
	s_cbranch_scc0 .LBB166_775
; %bb.774:
	s_wait_xcnt 0x0
	v_cndmask_b32_e64 v2, 0, 1, s23
	s_mov_b32 s27, 0
	s_delay_alu instid0(VALU_DEP_1)
	v_cvt_f64_u32_e32 v[2:3], v2
	global_store_b64 v[0:1], v[2:3], off
.LBB166_775:
	s_and_not1_b32 vcc_lo, exec_lo, s27
	s_cbranch_vccnz .LBB166_777
; %bb.776:
	s_wait_xcnt 0x0
	v_cndmask_b32_e64 v2, 0, 1.0, s23
	global_store_b32 v[0:1], v2, off
.LBB166_777:
	s_mov_b32 s27, 0
.LBB166_778:
	s_delay_alu instid0(SALU_CYCLE_1)
	s_and_not1_b32 vcc_lo, exec_lo, s27
	s_cbranch_vccnz .LBB166_780
; %bb.779:
	s_wait_xcnt 0x0
	v_cndmask_b32_e64 v2, 0, 1.0, s23
	s_delay_alu instid0(VALU_DEP_1)
	v_cvt_f16_f32_e32 v2, v2
	global_store_b16 v[0:1], v2, off
.LBB166_780:
	s_mov_b32 s27, 0
.LBB166_781:
	s_delay_alu instid0(SALU_CYCLE_1)
	s_and_not1_b32 vcc_lo, exec_lo, s27
	s_cbranch_vccnz .LBB166_797
; %bb.782:
	s_cmp_lt_i32 s26, 2
	s_mov_b32 s27, -1
	s_cbranch_scc1 .LBB166_792
; %bb.783:
	s_cmp_lt_i32 s26, 3
	s_cbranch_scc1 .LBB166_789
; %bb.784:
	s_cmp_gt_i32 s26, 3
	s_cbranch_scc0 .LBB166_786
; %bb.785:
	s_mov_b32 s27, 0
	s_wait_xcnt 0x0
	v_cndmask_b32_e64 v2, 0, 1, s23
	v_mov_b32_e32 v3, s27
	global_store_b64 v[0:1], v[2:3], off
.LBB166_786:
	s_and_not1_b32 vcc_lo, exec_lo, s27
	s_cbranch_vccnz .LBB166_788
; %bb.787:
	s_wait_xcnt 0x0
	v_cndmask_b32_e64 v2, 0, 1, s23
	global_store_b32 v[0:1], v2, off
.LBB166_788:
	s_mov_b32 s27, 0
.LBB166_789:
	s_delay_alu instid0(SALU_CYCLE_1)
	s_and_not1_b32 vcc_lo, exec_lo, s27
	s_cbranch_vccnz .LBB166_791
; %bb.790:
	s_wait_xcnt 0x0
	v_cndmask_b32_e64 v2, 0, 1, s23
	global_store_b16 v[0:1], v2, off
.LBB166_791:
	s_mov_b32 s27, 0
.LBB166_792:
	s_delay_alu instid0(SALU_CYCLE_1)
	s_and_not1_b32 vcc_lo, exec_lo, s27
	s_cbranch_vccnz .LBB166_797
; %bb.793:
	s_wait_xcnt 0x0
	v_cndmask_b32_e64 v2, 0, 1, s23
	s_cmp_gt_i32 s26, 0
	s_mov_b32 s23, -1
	s_cbranch_scc0 .LBB166_795
; %bb.794:
	s_mov_b32 s23, 0
	global_store_b8 v[0:1], v2, off
.LBB166_795:
	s_and_not1_b32 vcc_lo, exec_lo, s23
	s_cbranch_vccnz .LBB166_797
; %bb.796:
	global_store_b8 v[0:1], v2, off
.LBB166_797:
	s_mov_b32 s28, -1
.LBB166_798:
	s_delay_alu instid0(SALU_CYCLE_1)
	s_and_not1_b32 vcc_lo, exec_lo, s28
	s_cbranch_vccnz .LBB166_800
; %bb.799:
	v_add_nc_u32_e32 v6, 0x80, v6
	s_mov_b32 s26, -1
	s_branch .LBB166_802
.LBB166_800:
	s_mov_b32 s26, 0
.LBB166_801:
                                        ; implicit-def: $vgpr6
.LBB166_802:
	s_and_not1_b32 s23, s18, exec_lo
	s_and_b32 s0, s0, exec_lo
	s_and_b32 s24, s24, exec_lo
	s_or_b32 s23, s23, s0
	s_and_not1_b32 s0, s19, exec_lo
	s_and_not1_b32 s27, s20, exec_lo
	s_and_b32 s22, s22, exec_lo
	s_or_b32 s24, s0, s24
	s_or_b32 s22, s27, s22
	s_or_not1_b32 s27, s26, exec_lo
.LBB166_803:
	s_wait_xcnt 0x0
	s_or_b32 exec_lo, exec_lo, s25
	s_mov_b32 s26, 0
	s_mov_b32 s28, 0
	;; [unrolled: 1-line block ×3, first 2 shown]
                                        ; implicit-def: $sgpr0
                                        ; implicit-def: $vgpr0_vgpr1
                                        ; implicit-def: $vgpr3
                                        ; implicit-def: $vgpr2
	s_and_saveexec_b32 s25, s27
	s_cbranch_execz .LBB166_1296
; %bb.804:
	s_mov_b32 s34, -1
	s_mov_b32 s27, s22
	s_mov_b32 s28, s24
	;; [unrolled: 1-line block ×3, first 2 shown]
	s_mov_b32 s26, exec_lo
	v_cmpx_gt_i32_e64 s17, v6
	s_cbranch_execz .LBB166_1209
; %bb.805:
	v_mul_lo_u32 v0, v6, s9
	s_and_b32 s0, s14, 0xff
	s_delay_alu instid0(SALU_CYCLE_1) | instskip(NEXT) | instid1(VALU_DEP_1)
	s_cmp_lt_i32 s0, 11
	v_ashrrev_i32_e32 v1, 31, v0
	s_delay_alu instid0(VALU_DEP_1)
	v_add_nc_u64_e32 v[0:1], s[6:7], v[0:1]
	s_cbranch_scc1 .LBB166_812
; %bb.806:
	s_and_b32 s28, 0xffff, s0
	s_delay_alu instid0(SALU_CYCLE_1)
	s_cmp_gt_i32 s28, 25
	s_cbranch_scc0 .LBB166_813
; %bb.807:
	s_cmp_gt_i32 s28, 28
	s_cbranch_scc0 .LBB166_814
; %bb.808:
	;; [unrolled: 3-line block ×4, first 2 shown]
	s_cmp_eq_u32 s28, 46
	s_mov_b32 s30, 0
	s_cbranch_scc0 .LBB166_819
; %bb.811:
	s_wait_loadcnt 0x0
	global_load_b32 v2, v[0:1], off
	s_mov_b32 s29, -1
	s_mov_b32 s27, 0
	s_wait_loadcnt 0x0
	v_and_b32_e32 v3, 0xffff0000, v2
	s_branch .LBB166_821
.LBB166_812:
	s_mov_b32 s28, -1
	s_mov_b32 s29, 0
	s_mov_b32 s27, s22
                                        ; implicit-def: $vgpr3
                                        ; implicit-def: $vgpr2
	s_branch .LBB166_889
.LBB166_813:
	s_mov_b32 s30, -1
	s_mov_b32 s29, 0
	s_mov_b32 s27, s22
                                        ; implicit-def: $vgpr3
                                        ; implicit-def: $vgpr2
	s_branch .LBB166_852
.LBB166_814:
	s_mov_b32 s30, -1
	s_mov_b32 s29, 0
	s_mov_b32 s27, s22
                                        ; implicit-def: $vgpr3
                                        ; implicit-def: $vgpr2
	s_branch .LBB166_833
.LBB166_815:
	s_mov_b32 s30, -1
	s_mov_b32 s29, 0
	s_mov_b32 s27, s22
                                        ; implicit-def: $vgpr3
                                        ; implicit-def: $vgpr2
	s_branch .LBB166_827
.LBB166_816:
	s_mov_b32 s30, -1
	s_mov_b32 s29, 0
	s_mov_b32 s27, s22
	s_branch .LBB166_820
.LBB166_817:
	s_and_not1_saveexec_b32 s30, s30
	s_cbranch_execz .LBB166_711
.LBB166_818:
	v_add_f32_e32 v2, 0x46000000, v3
	s_and_not1_b32 s29, s29, exec_lo
	s_delay_alu instid0(VALU_DEP_1) | instskip(NEXT) | instid1(VALU_DEP_1)
	v_and_b32_e32 v2, 0xff, v2
	v_cmp_ne_u32_e32 vcc_lo, 0, v2
	s_and_b32 s31, vcc_lo, exec_lo
	s_delay_alu instid0(SALU_CYCLE_1)
	s_or_b32 s29, s29, s31
	s_or_b32 exec_lo, exec_lo, s30
	v_mov_b32_e32 v4, 0
	s_and_saveexec_b32 s30, s29
	s_cbranch_execnz .LBB166_712
	s_branch .LBB166_713
.LBB166_819:
	s_mov_b32 s27, -1
	s_mov_b32 s29, 0
.LBB166_820:
                                        ; implicit-def: $vgpr3
                                        ; implicit-def: $vgpr2
.LBB166_821:
	s_and_b32 vcc_lo, exec_lo, s30
	s_cbranch_vccz .LBB166_826
; %bb.822:
	s_cmp_eq_u32 s28, 44
	s_cbranch_scc0 .LBB166_824
; %bb.823:
	s_wait_loadcnt 0x0
	global_load_u8 v2, v[0:1], off
	s_mov_b32 s27, 0
	s_mov_b32 s29, -1
	s_wait_loadcnt 0x0
	v_lshlrev_b32_e32 v3, 23, v2
	v_cmp_ne_u32_e32 vcc_lo, 0xff, v2
	s_delay_alu instid0(VALU_DEP_2) | instskip(SKIP_1) | instid1(VALU_DEP_2)
	v_cndmask_b32_e32 v3, 0x7f800001, v3, vcc_lo
	v_cmp_ne_u32_e32 vcc_lo, 0, v2
	v_cndmask_b32_e32 v2, 0x400000, v3, vcc_lo
	s_delay_alu instid0(VALU_DEP_1) | instskip(NEXT) | instid1(VALU_DEP_1)
	v_add_nc_u32_e32 v3, 0x7fff, v2
	v_lshrrev_b32_e32 v3, 16, v3
	v_cmp_o_f32_e32 vcc_lo, v2, v2
	s_delay_alu instid0(VALU_DEP_2)
	v_cndmask_b32_e32 v2, 0x7fc0, v3, vcc_lo
	s_branch .LBB166_825
.LBB166_824:
	s_mov_b32 s27, -1
                                        ; implicit-def: $vgpr2
.LBB166_825:
	v_mov_b32_e32 v3, 0
.LBB166_826:
	s_mov_b32 s30, 0
.LBB166_827:
	s_delay_alu instid0(SALU_CYCLE_1)
	s_and_b32 vcc_lo, exec_lo, s30
	s_cbranch_vccz .LBB166_832
; %bb.828:
	s_cmp_eq_u32 s28, 29
	s_cbranch_scc0 .LBB166_830
; %bb.829:
	s_wait_loadcnt 0x0
	global_load_b64 v[2:3], v[0:1], off
	s_mov_b32 s29, -1
	s_mov_b32 s27, 0
	s_wait_loadcnt 0x0
	v_clz_i32_u32_e32 v4, v3
	s_delay_alu instid0(VALU_DEP_1) | instskip(NEXT) | instid1(VALU_DEP_1)
	v_min_u32_e32 v4, 32, v4
	v_lshlrev_b64_e32 v[2:3], v4, v[2:3]
	s_delay_alu instid0(VALU_DEP_1) | instskip(NEXT) | instid1(VALU_DEP_1)
	v_min_u32_e32 v2, 1, v2
	v_dual_sub_nc_u32 v3, 32, v4 :: v_dual_bitop2_b32 v2, v3, v2 bitop3:0x54
	s_delay_alu instid0(VALU_DEP_1) | instskip(NEXT) | instid1(VALU_DEP_1)
	v_cvt_f32_u32_e32 v2, v2
	v_ldexp_f32 v2, v2, v3
	s_delay_alu instid0(VALU_DEP_1) | instskip(NEXT) | instid1(VALU_DEP_1)
	v_bfe_u32 v3, v2, 16, 1
	v_add3_u32 v2, v2, v3, 0x7fff
	s_delay_alu instid0(VALU_DEP_1)
	v_lshrrev_b32_e32 v2, 16, v2
	s_branch .LBB166_831
.LBB166_830:
	s_mov_b32 s27, -1
                                        ; implicit-def: $vgpr2
.LBB166_831:
	v_mov_b32_e32 v3, 0
.LBB166_832:
	s_mov_b32 s30, 0
.LBB166_833:
	s_delay_alu instid0(SALU_CYCLE_1)
	s_and_b32 vcc_lo, exec_lo, s30
	s_cbranch_vccz .LBB166_851
; %bb.834:
	s_cmp_lt_i32 s28, 27
	s_cbranch_scc1 .LBB166_837
; %bb.835:
	s_cmp_gt_i32 s28, 27
	s_cbranch_scc0 .LBB166_838
; %bb.836:
	s_wait_loadcnt 0x0
	global_load_b32 v2, v[0:1], off
	s_mov_b32 s29, 0
	s_wait_loadcnt 0x0
	v_cvt_f32_u32_e32 v2, v2
	s_delay_alu instid0(VALU_DEP_1) | instskip(NEXT) | instid1(VALU_DEP_1)
	v_bfe_u32 v3, v2, 16, 1
	v_add3_u32 v2, v2, v3, 0x7fff
	s_delay_alu instid0(VALU_DEP_1)
	v_lshrrev_b32_e32 v2, 16, v2
	s_branch .LBB166_839
.LBB166_837:
	s_mov_b32 s29, -1
                                        ; implicit-def: $vgpr2
	s_branch .LBB166_842
.LBB166_838:
	s_mov_b32 s29, -1
                                        ; implicit-def: $vgpr2
.LBB166_839:
	s_delay_alu instid0(SALU_CYCLE_1)
	s_and_not1_b32 vcc_lo, exec_lo, s29
	s_cbranch_vccnz .LBB166_841
; %bb.840:
	s_wait_loadcnt 0x0
	global_load_u16 v2, v[0:1], off
	s_wait_loadcnt 0x0
	v_cvt_f32_u32_e32 v2, v2
	s_delay_alu instid0(VALU_DEP_1) | instskip(NEXT) | instid1(VALU_DEP_1)
	v_bfe_u32 v3, v2, 16, 1
	v_add3_u32 v2, v2, v3, 0x7fff
	s_delay_alu instid0(VALU_DEP_1)
	v_lshrrev_b32_e32 v2, 16, v2
.LBB166_841:
	s_mov_b32 s29, 0
.LBB166_842:
	s_delay_alu instid0(SALU_CYCLE_1)
	s_and_not1_b32 vcc_lo, exec_lo, s29
	s_cbranch_vccnz .LBB166_850
; %bb.843:
	s_wait_loadcnt 0x0
	global_load_u8 v2, v[0:1], off
	s_mov_b32 s29, 0
	s_mov_b32 s30, exec_lo
	s_wait_loadcnt 0x0
	v_cmpx_lt_i16_e32 0x7f, v2
	s_xor_b32 s30, exec_lo, s30
	s_cbranch_execz .LBB166_864
; %bb.844:
	s_mov_b32 s29, -1
	s_mov_b32 s31, exec_lo
	v_cmpx_eq_u16_e32 0x80, v2
; %bb.845:
	s_xor_b32 s29, exec_lo, -1
; %bb.846:
	s_or_b32 exec_lo, exec_lo, s31
	s_delay_alu instid0(SALU_CYCLE_1)
	s_and_b32 s29, s29, exec_lo
	s_or_saveexec_b32 s30, s30
	v_mov_b32_e32 v3, 0x7f800001
	s_xor_b32 exec_lo, exec_lo, s30
	s_cbranch_execnz .LBB166_865
.LBB166_847:
	s_or_b32 exec_lo, exec_lo, s30
	s_and_saveexec_b32 s30, s29
	s_cbranch_execz .LBB166_849
.LBB166_848:
	v_and_b32_e32 v3, 0xffff, v2
	s_delay_alu instid0(VALU_DEP_1) | instskip(SKIP_1) | instid1(VALU_DEP_2)
	v_and_b32_e32 v4, 7, v3
	v_bfe_u32 v8, v3, 3, 4
	v_clz_i32_u32_e32 v5, v4
	s_delay_alu instid0(VALU_DEP_2) | instskip(NEXT) | instid1(VALU_DEP_2)
	v_cmp_eq_u32_e32 vcc_lo, 0, v8
	v_min_u32_e32 v5, 32, v5
	s_delay_alu instid0(VALU_DEP_1) | instskip(NEXT) | instid1(VALU_DEP_1)
	v_subrev_nc_u32_e32 v7, 28, v5
	v_dual_lshlrev_b32 v3, v7, v3 :: v_dual_sub_nc_u32 v5, 29, v5
	s_delay_alu instid0(VALU_DEP_1) | instskip(NEXT) | instid1(VALU_DEP_2)
	v_dual_lshlrev_b32 v2, 24, v2 :: v_dual_bitop2_b32 v3, 7, v3 bitop3:0x40
	v_cndmask_b32_e32 v5, v8, v5, vcc_lo
	s_delay_alu instid0(VALU_DEP_2) | instskip(NEXT) | instid1(VALU_DEP_3)
	v_cndmask_b32_e32 v3, v4, v3, vcc_lo
	v_and_b32_e32 v2, 0x80000000, v2
	s_delay_alu instid0(VALU_DEP_3) | instskip(NEXT) | instid1(VALU_DEP_3)
	v_lshl_add_u32 v4, v5, 23, 0x3b800000
	v_lshlrev_b32_e32 v3, 20, v3
	s_delay_alu instid0(VALU_DEP_1)
	v_or3_b32 v3, v2, v4, v3
.LBB166_849:
	s_or_b32 exec_lo, exec_lo, s30
	s_delay_alu instid0(VALU_DEP_1) | instskip(SKIP_1) | instid1(VALU_DEP_2)
	v_bfe_u32 v2, v3, 16, 1
	v_cmp_o_f32_e32 vcc_lo, v3, v3
	v_add3_u32 v2, v3, v2, 0x7fff
	s_delay_alu instid0(VALU_DEP_1) | instskip(NEXT) | instid1(VALU_DEP_1)
	v_lshrrev_b32_e32 v2, 16, v2
	v_cndmask_b32_e32 v2, 0x7fc0, v2, vcc_lo
.LBB166_850:
	v_mov_b32_e32 v3, 0
	s_mov_b32 s29, -1
.LBB166_851:
	s_mov_b32 s30, 0
.LBB166_852:
	s_delay_alu instid0(SALU_CYCLE_1)
	s_and_b32 vcc_lo, exec_lo, s30
	s_cbranch_vccz .LBB166_888
; %bb.853:
	s_cmp_gt_i32 s28, 22
	s_cbranch_scc0 .LBB166_863
; %bb.854:
	s_cmp_lt_i32 s28, 24
	s_cbranch_scc1 .LBB166_866
; %bb.855:
	s_cmp_gt_i32 s28, 24
	s_cbranch_scc0 .LBB166_867
; %bb.856:
	s_wait_loadcnt 0x0
	global_load_u8 v2, v[0:1], off
	s_mov_b32 s29, 0
	s_mov_b32 s30, exec_lo
	s_wait_loadcnt 0x0
	v_cmpx_lt_i16_e32 0x7f, v2
	s_xor_b32 s30, exec_lo, s30
	s_cbranch_execz .LBB166_879
; %bb.857:
	s_mov_b32 s29, -1
	s_mov_b32 s31, exec_lo
	v_cmpx_eq_u16_e32 0x80, v2
; %bb.858:
	s_xor_b32 s29, exec_lo, -1
; %bb.859:
	s_or_b32 exec_lo, exec_lo, s31
	s_delay_alu instid0(SALU_CYCLE_1)
	s_and_b32 s29, s29, exec_lo
	s_or_saveexec_b32 s30, s30
	v_mov_b32_e32 v3, 0x7f800001
	s_xor_b32 exec_lo, exec_lo, s30
	s_cbranch_execnz .LBB166_880
.LBB166_860:
	s_or_b32 exec_lo, exec_lo, s30
	s_and_saveexec_b32 s30, s29
	s_cbranch_execz .LBB166_862
.LBB166_861:
	v_and_b32_e32 v3, 0xffff, v2
	s_delay_alu instid0(VALU_DEP_1) | instskip(SKIP_1) | instid1(VALU_DEP_2)
	v_and_b32_e32 v4, 3, v3
	v_bfe_u32 v8, v3, 2, 5
	v_clz_i32_u32_e32 v5, v4
	s_delay_alu instid0(VALU_DEP_2) | instskip(NEXT) | instid1(VALU_DEP_2)
	v_cmp_eq_u32_e32 vcc_lo, 0, v8
	v_min_u32_e32 v5, 32, v5
	s_delay_alu instid0(VALU_DEP_1) | instskip(NEXT) | instid1(VALU_DEP_1)
	v_subrev_nc_u32_e32 v7, 29, v5
	v_dual_lshlrev_b32 v3, v7, v3 :: v_dual_sub_nc_u32 v5, 30, v5
	s_delay_alu instid0(VALU_DEP_1) | instskip(NEXT) | instid1(VALU_DEP_2)
	v_dual_lshlrev_b32 v2, 24, v2 :: v_dual_bitop2_b32 v3, 3, v3 bitop3:0x40
	v_cndmask_b32_e32 v5, v8, v5, vcc_lo
	s_delay_alu instid0(VALU_DEP_2) | instskip(NEXT) | instid1(VALU_DEP_3)
	v_cndmask_b32_e32 v3, v4, v3, vcc_lo
	v_and_b32_e32 v2, 0x80000000, v2
	s_delay_alu instid0(VALU_DEP_3) | instskip(NEXT) | instid1(VALU_DEP_3)
	v_lshl_add_u32 v4, v5, 23, 0x37800000
	v_lshlrev_b32_e32 v3, 21, v3
	s_delay_alu instid0(VALU_DEP_1)
	v_or3_b32 v3, v2, v4, v3
.LBB166_862:
	s_or_b32 exec_lo, exec_lo, s30
	s_delay_alu instid0(VALU_DEP_1) | instskip(SKIP_2) | instid1(VALU_DEP_2)
	v_bfe_u32 v2, v3, 16, 1
	v_cmp_o_f32_e32 vcc_lo, v3, v3
	s_mov_b32 s29, 0
	v_add3_u32 v2, v3, v2, 0x7fff
	s_delay_alu instid0(VALU_DEP_1) | instskip(NEXT) | instid1(VALU_DEP_1)
	v_lshrrev_b32_e32 v2, 16, v2
	v_cndmask_b32_e32 v2, 0x7fc0, v2, vcc_lo
	s_branch .LBB166_868
.LBB166_863:
	s_mov_b32 s30, -1
                                        ; implicit-def: $vgpr2
	s_branch .LBB166_874
.LBB166_864:
	s_or_saveexec_b32 s30, s30
	v_mov_b32_e32 v3, 0x7f800001
	s_xor_b32 exec_lo, exec_lo, s30
	s_cbranch_execz .LBB166_847
.LBB166_865:
	v_cmp_ne_u16_e32 vcc_lo, 0, v2
	v_mov_b32_e32 v3, 0
	s_and_not1_b32 s29, s29, exec_lo
	s_and_b32 s31, vcc_lo, exec_lo
	s_delay_alu instid0(SALU_CYCLE_1)
	s_or_b32 s29, s29, s31
	s_or_b32 exec_lo, exec_lo, s30
	s_and_saveexec_b32 s30, s29
	s_cbranch_execnz .LBB166_848
	s_branch .LBB166_849
.LBB166_866:
	s_mov_b32 s29, -1
                                        ; implicit-def: $vgpr2
	s_branch .LBB166_871
.LBB166_867:
	s_mov_b32 s29, -1
                                        ; implicit-def: $vgpr2
.LBB166_868:
	s_delay_alu instid0(SALU_CYCLE_1)
	s_and_b32 vcc_lo, exec_lo, s29
	s_cbranch_vccz .LBB166_870
; %bb.869:
	s_wait_loadcnt 0x0
	global_load_u8 v2, v[0:1], off
	s_wait_loadcnt 0x0
	v_lshlrev_b32_e32 v2, 24, v2
	s_delay_alu instid0(VALU_DEP_1) | instskip(NEXT) | instid1(VALU_DEP_1)
	v_and_b32_e32 v3, 0x7f000000, v2
	v_clz_i32_u32_e32 v4, v3
	v_add_nc_u32_e32 v7, 0x1000000, v3
	v_cmp_ne_u32_e32 vcc_lo, 0, v3
	s_delay_alu instid0(VALU_DEP_3) | instskip(NEXT) | instid1(VALU_DEP_1)
	v_min_u32_e32 v4, 32, v4
	v_sub_nc_u32_e64 v4, v4, 4 clamp
	s_delay_alu instid0(VALU_DEP_1) | instskip(NEXT) | instid1(VALU_DEP_1)
	v_dual_lshlrev_b32 v5, v4, v3 :: v_dual_lshlrev_b32 v4, 23, v4
	v_lshrrev_b32_e32 v5, 4, v5
	s_delay_alu instid0(VALU_DEP_1) | instskip(NEXT) | instid1(VALU_DEP_1)
	v_dual_sub_nc_u32 v4, v5, v4 :: v_dual_ashrrev_i32 v5, 8, v7
	v_add_nc_u32_e32 v4, 0x3c000000, v4
	s_delay_alu instid0(VALU_DEP_1) | instskip(NEXT) | instid1(VALU_DEP_1)
	v_and_or_b32 v4, 0x7f800000, v5, v4
	v_cndmask_b32_e32 v3, 0, v4, vcc_lo
	s_delay_alu instid0(VALU_DEP_1) | instskip(SKIP_1) | instid1(VALU_DEP_2)
	v_and_or_b32 v2, 0x80000000, v2, v3
	v_bfe_u32 v3, v3, 16, 1
	v_cmp_o_f32_e32 vcc_lo, v2, v2
	s_delay_alu instid0(VALU_DEP_2) | instskip(NEXT) | instid1(VALU_DEP_1)
	v_add3_u32 v3, v2, v3, 0x7fff
	v_lshrrev_b32_e32 v3, 16, v3
	s_delay_alu instid0(VALU_DEP_1)
	v_cndmask_b32_e32 v2, 0x7fc0, v3, vcc_lo
.LBB166_870:
	s_mov_b32 s29, 0
.LBB166_871:
	s_delay_alu instid0(SALU_CYCLE_1)
	s_and_not1_b32 vcc_lo, exec_lo, s29
	s_cbranch_vccnz .LBB166_873
; %bb.872:
	s_wait_loadcnt 0x0
	global_load_u8 v2, v[0:1], off
	s_wait_loadcnt 0x0
	v_lshlrev_b32_e32 v3, 25, v2
	v_lshlrev_b16 v2, 8, v2
	s_delay_alu instid0(VALU_DEP_1) | instskip(SKIP_1) | instid1(VALU_DEP_2)
	v_and_or_b32 v5, 0x7f00, v2, 0.5
	v_bfe_i32 v2, v2, 0, 16
	v_dual_add_f32 v5, -0.5, v5 :: v_dual_lshrrev_b32 v4, 4, v3
	v_cmp_gt_u32_e32 vcc_lo, 0x8000000, v3
	s_delay_alu instid0(VALU_DEP_2) | instskip(NEXT) | instid1(VALU_DEP_1)
	v_or_b32_e32 v4, 0x70000000, v4
	v_mul_f32_e32 v4, 0x7800000, v4
	s_delay_alu instid0(VALU_DEP_1) | instskip(NEXT) | instid1(VALU_DEP_1)
	v_cndmask_b32_e32 v3, v4, v5, vcc_lo
	v_and_or_b32 v2, 0x80000000, v2, v3
	v_bfe_u32 v3, v3, 16, 1
	s_delay_alu instid0(VALU_DEP_2) | instskip(NEXT) | instid1(VALU_DEP_2)
	v_cmp_o_f32_e32 vcc_lo, v2, v2
	v_add3_u32 v3, v2, v3, 0x7fff
	s_delay_alu instid0(VALU_DEP_1) | instskip(NEXT) | instid1(VALU_DEP_1)
	v_lshrrev_b32_e32 v3, 16, v3
	v_cndmask_b32_e32 v2, 0x7fc0, v3, vcc_lo
.LBB166_873:
	s_mov_b32 s30, 0
	s_mov_b32 s29, -1
.LBB166_874:
	s_and_not1_b32 vcc_lo, exec_lo, s30
	s_cbranch_vccnz .LBB166_887
; %bb.875:
	s_cmp_gt_i32 s28, 14
	s_cbranch_scc0 .LBB166_878
; %bb.876:
	s_cmp_eq_u32 s28, 15
	s_cbranch_scc0 .LBB166_881
; %bb.877:
	s_wait_loadcnt 0x0
	global_load_u16 v2, v[0:1], off
	s_mov_b32 s29, -1
	s_mov_b32 s27, 0
	s_branch .LBB166_882
.LBB166_878:
	s_mov_b32 s30, -1
                                        ; implicit-def: $vgpr2
	s_branch .LBB166_883
.LBB166_879:
	s_or_saveexec_b32 s30, s30
	v_mov_b32_e32 v3, 0x7f800001
	s_xor_b32 exec_lo, exec_lo, s30
	s_cbranch_execz .LBB166_860
.LBB166_880:
	v_cmp_ne_u16_e32 vcc_lo, 0, v2
	v_mov_b32_e32 v3, 0
	s_and_not1_b32 s29, s29, exec_lo
	s_and_b32 s31, vcc_lo, exec_lo
	s_delay_alu instid0(SALU_CYCLE_1)
	s_or_b32 s29, s29, s31
	s_or_b32 exec_lo, exec_lo, s30
	s_and_saveexec_b32 s30, s29
	s_cbranch_execnz .LBB166_861
	s_branch .LBB166_862
.LBB166_881:
	s_mov_b32 s27, -1
                                        ; implicit-def: $vgpr2
.LBB166_882:
	s_mov_b32 s30, 0
.LBB166_883:
	s_delay_alu instid0(SALU_CYCLE_1)
	s_and_b32 vcc_lo, exec_lo, s30
	s_cbranch_vccz .LBB166_887
; %bb.884:
	s_cmp_eq_u32 s28, 11
	s_cbranch_scc0 .LBB166_886
; %bb.885:
	s_wait_loadcnt 0x0
	global_load_u8 v2, v[0:1], off
	s_mov_b32 s27, 0
	s_mov_b32 s29, -1
	v_mov_b32_e32 v3, 0
	s_wait_loadcnt 0x0
	v_cmp_ne_u16_e32 vcc_lo, 0, v2
	v_cndmask_b32_e64 v2, 0, 1.0, vcc_lo
	s_delay_alu instid0(VALU_DEP_1)
	v_lshrrev_b32_e32 v2, 16, v2
	s_branch .LBB166_888
.LBB166_886:
	s_mov_b32 s27, -1
                                        ; implicit-def: $vgpr2
.LBB166_887:
	v_mov_b32_e32 v3, 0
.LBB166_888:
	s_mov_b32 s28, 0
.LBB166_889:
	s_delay_alu instid0(SALU_CYCLE_1)
	s_and_b32 vcc_lo, exec_lo, s28
	s_cbranch_vccz .LBB166_940
; %bb.890:
	s_and_b32 s0, 0xffff, s0
	s_delay_alu instid0(SALU_CYCLE_1)
	s_cmp_lt_i32 s0, 5
	s_cbranch_scc1 .LBB166_895
; %bb.891:
	s_cmp_lt_i32 s0, 8
	s_cbranch_scc1 .LBB166_896
; %bb.892:
	s_cmp_lt_i32 s0, 9
	s_cbranch_scc1 .LBB166_897
; %bb.893:
	s_cmp_gt_i32 s0, 9
	s_cbranch_scc0 .LBB166_898
; %bb.894:
	s_wait_loadcnt 0x0
	global_load_b128 v[2:5], v[0:1], off
	s_mov_b32 s28, 0
	s_wait_loadcnt 0x0
	v_cvt_f32_f64_e32 v2, v[2:3]
	v_cvt_f32_f64_e32 v3, v[4:5]
	s_delay_alu instid0(VALU_DEP_2) | instskip(NEXT) | instid1(VALU_DEP_2)
	v_bfe_u32 v4, v2, 16, 1
	v_bfe_u32 v5, v3, 16, 1
	v_cmp_o_f32_e32 vcc_lo, v2, v2
	s_delay_alu instid0(VALU_DEP_3) | instskip(NEXT) | instid1(VALU_DEP_3)
	v_add3_u32 v4, v2, v4, 0x7fff
	v_add3_u32 v5, v3, v5, 0x7fff
	s_delay_alu instid0(VALU_DEP_1) | instskip(NEXT) | instid1(VALU_DEP_3)
	v_and_b32_e32 v5, 0xffff0000, v5
	v_lshrrev_b32_e32 v4, 16, v4
	s_delay_alu instid0(VALU_DEP_1) | instskip(SKIP_1) | instid1(VALU_DEP_4)
	v_cndmask_b32_e32 v2, 0x7fc0, v4, vcc_lo
	v_cmp_o_f32_e32 vcc_lo, v3, v3
	v_cndmask_b32_e32 v3, 0x7fc00000, v5, vcc_lo
	s_branch .LBB166_899
.LBB166_895:
	s_mov_b32 s28, -1
                                        ; implicit-def: $vgpr3
                                        ; implicit-def: $vgpr2
	s_branch .LBB166_918
.LBB166_896:
	s_mov_b32 s28, -1
                                        ; implicit-def: $vgpr3
                                        ; implicit-def: $vgpr2
	s_branch .LBB166_905
.LBB166_897:
	s_mov_b32 s28, -1
                                        ; implicit-def: $vgpr3
                                        ; implicit-def: $vgpr2
	s_branch .LBB166_902
.LBB166_898:
	s_mov_b32 s28, -1
                                        ; implicit-def: $vgpr3
                                        ; implicit-def: $vgpr2
.LBB166_899:
	s_delay_alu instid0(SALU_CYCLE_1)
	s_and_not1_b32 vcc_lo, exec_lo, s28
	s_cbranch_vccnz .LBB166_901
; %bb.900:
	s_wait_loadcnt 0x0
	global_load_b64 v[2:3], v[0:1], off
	s_wait_loadcnt 0x0
	v_bfe_u32 v4, v2, 16, 1
	v_bfe_u32 v5, v3, 16, 1
	v_cmp_o_f32_e32 vcc_lo, v2, v2
	s_delay_alu instid0(VALU_DEP_3) | instskip(NEXT) | instid1(VALU_DEP_3)
	v_add3_u32 v4, v2, v4, 0x7fff
	v_add3_u32 v5, v3, v5, 0x7fff
	s_delay_alu instid0(VALU_DEP_1) | instskip(NEXT) | instid1(VALU_DEP_3)
	v_and_b32_e32 v5, 0xffff0000, v5
	v_lshrrev_b32_e32 v4, 16, v4
	s_delay_alu instid0(VALU_DEP_1) | instskip(SKIP_1) | instid1(VALU_DEP_4)
	v_cndmask_b32_e32 v2, 0x7fc0, v4, vcc_lo
	v_cmp_o_f32_e32 vcc_lo, v3, v3
	v_cndmask_b32_e32 v3, 0x7fc00000, v5, vcc_lo
.LBB166_901:
	s_mov_b32 s28, 0
.LBB166_902:
	s_delay_alu instid0(SALU_CYCLE_1)
	s_and_not1_b32 vcc_lo, exec_lo, s28
	s_cbranch_vccnz .LBB166_904
; %bb.903:
	s_wait_loadcnt 0x0
	global_load_b32 v2, v[0:1], off
	s_wait_loadcnt 0x0
	v_cvt_f32_f16_e32 v4, v2
	v_cmp_o_f16_e32 vcc_lo, v2, v2
	s_delay_alu instid0(VALU_DEP_2) | instskip(NEXT) | instid1(VALU_DEP_1)
	v_bfe_u32 v7, v4, 16, 1
	v_add3_u32 v4, v4, v7, 0x7fff
	s_delay_alu instid0(VALU_DEP_1) | instskip(NEXT) | instid1(VALU_DEP_1)
	v_dual_lshrrev_b32 v3, 16, v2 :: v_dual_lshrrev_b32 v4, 16, v4
	v_cvt_f32_f16_e32 v5, v3
	s_delay_alu instid0(VALU_DEP_2) | instskip(NEXT) | instid1(VALU_DEP_2)
	v_cndmask_b32_e32 v2, 0x7fc0, v4, vcc_lo
	v_bfe_u32 v8, v5, 16, 1
	v_cmp_o_f16_e32 vcc_lo, v3, v3
	s_delay_alu instid0(VALU_DEP_2) | instskip(NEXT) | instid1(VALU_DEP_1)
	v_add3_u32 v5, v5, v8, 0x7fff
	v_and_b32_e32 v5, 0xffff0000, v5
	s_delay_alu instid0(VALU_DEP_1)
	v_cndmask_b32_e32 v3, 0x7fc00000, v5, vcc_lo
.LBB166_904:
	s_mov_b32 s28, 0
.LBB166_905:
	s_delay_alu instid0(SALU_CYCLE_1)
	s_and_not1_b32 vcc_lo, exec_lo, s28
	s_cbranch_vccnz .LBB166_917
; %bb.906:
	s_cmp_lt_i32 s0, 6
	s_cbranch_scc1 .LBB166_909
; %bb.907:
	s_cmp_gt_i32 s0, 6
	s_cbranch_scc0 .LBB166_910
; %bb.908:
	s_wait_loadcnt 0x0
	global_load_b64 v[2:3], v[0:1], off
	s_mov_b32 s28, 0
	s_wait_loadcnt 0x0
	v_cvt_f32_f64_e32 v2, v[2:3]
	s_delay_alu instid0(VALU_DEP_1) | instskip(SKIP_1) | instid1(VALU_DEP_2)
	v_bfe_u32 v3, v2, 16, 1
	v_cmp_o_f32_e32 vcc_lo, v2, v2
	v_add3_u32 v3, v2, v3, 0x7fff
	s_delay_alu instid0(VALU_DEP_1) | instskip(NEXT) | instid1(VALU_DEP_1)
	v_lshrrev_b32_e32 v3, 16, v3
	v_cndmask_b32_e32 v2, 0x7fc0, v3, vcc_lo
	s_branch .LBB166_911
.LBB166_909:
	s_mov_b32 s28, -1
                                        ; implicit-def: $vgpr2
	s_branch .LBB166_914
.LBB166_910:
	s_mov_b32 s28, -1
                                        ; implicit-def: $vgpr2
.LBB166_911:
	s_delay_alu instid0(SALU_CYCLE_1)
	s_and_not1_b32 vcc_lo, exec_lo, s28
	s_cbranch_vccnz .LBB166_913
; %bb.912:
	s_wait_loadcnt 0x0
	global_load_b32 v2, v[0:1], off
	s_wait_loadcnt 0x0
	v_bfe_u32 v3, v2, 16, 1
	v_cmp_o_f32_e32 vcc_lo, v2, v2
	s_delay_alu instid0(VALU_DEP_2) | instskip(NEXT) | instid1(VALU_DEP_1)
	v_add3_u32 v3, v2, v3, 0x7fff
	v_lshrrev_b32_e32 v3, 16, v3
	s_delay_alu instid0(VALU_DEP_1)
	v_cndmask_b32_e32 v2, 0x7fc0, v3, vcc_lo
.LBB166_913:
	s_mov_b32 s28, 0
.LBB166_914:
	s_delay_alu instid0(SALU_CYCLE_1)
	s_and_not1_b32 vcc_lo, exec_lo, s28
	s_cbranch_vccnz .LBB166_916
; %bb.915:
	s_wait_loadcnt 0x0
	global_load_u16 v2, v[0:1], off
	s_wait_loadcnt 0x0
	v_cvt_f32_f16_e32 v3, v2
	v_cmp_o_f16_e32 vcc_lo, v2, v2
	s_delay_alu instid0(VALU_DEP_2) | instskip(NEXT) | instid1(VALU_DEP_1)
	v_bfe_u32 v4, v3, 16, 1
	v_add3_u32 v3, v3, v4, 0x7fff
	s_delay_alu instid0(VALU_DEP_1) | instskip(NEXT) | instid1(VALU_DEP_1)
	v_lshrrev_b32_e32 v3, 16, v3
	v_cndmask_b32_e32 v2, 0x7fc0, v3, vcc_lo
.LBB166_916:
	v_mov_b32_e32 v3, 0
.LBB166_917:
	s_mov_b32 s28, 0
.LBB166_918:
	s_delay_alu instid0(SALU_CYCLE_1)
	s_and_not1_b32 vcc_lo, exec_lo, s28
	s_cbranch_vccnz .LBB166_939
; %bb.919:
	s_cmp_lt_i32 s0, 2
	s_cbranch_scc1 .LBB166_923
; %bb.920:
	s_cmp_lt_i32 s0, 3
	s_cbranch_scc1 .LBB166_924
; %bb.921:
	s_cmp_gt_i32 s0, 3
	s_cbranch_scc0 .LBB166_925
; %bb.922:
	s_wait_loadcnt 0x0
	global_load_b64 v[2:3], v[0:1], off
	s_mov_b32 s28, 0
	s_wait_loadcnt 0x0
	v_xor_b32_e32 v4, v2, v3
	v_cls_i32_e32 v5, v3
	s_delay_alu instid0(VALU_DEP_2) | instskip(NEXT) | instid1(VALU_DEP_1)
	v_ashrrev_i32_e32 v4, 31, v4
	v_add_nc_u32_e32 v4, 32, v4
	s_delay_alu instid0(VALU_DEP_1) | instskip(NEXT) | instid1(VALU_DEP_1)
	v_add_min_u32_e64 v4, v5, -1, v4
	v_lshlrev_b64_e32 v[2:3], v4, v[2:3]
	s_delay_alu instid0(VALU_DEP_1) | instskip(NEXT) | instid1(VALU_DEP_1)
	v_min_u32_e32 v2, 1, v2
	v_dual_sub_nc_u32 v3, 32, v4 :: v_dual_bitop2_b32 v2, v3, v2 bitop3:0x54
	s_delay_alu instid0(VALU_DEP_1) | instskip(NEXT) | instid1(VALU_DEP_1)
	v_cvt_f32_i32_e32 v2, v2
	v_ldexp_f32 v2, v2, v3
	s_delay_alu instid0(VALU_DEP_1) | instskip(NEXT) | instid1(VALU_DEP_1)
	v_bfe_u32 v3, v2, 16, 1
	v_add3_u32 v2, v2, v3, 0x7fff
	s_delay_alu instid0(VALU_DEP_1)
	v_lshrrev_b32_e32 v2, 16, v2
	s_branch .LBB166_926
.LBB166_923:
	s_mov_b32 s28, -1
                                        ; implicit-def: $vgpr2
	s_branch .LBB166_932
.LBB166_924:
	s_mov_b32 s28, -1
                                        ; implicit-def: $vgpr2
	s_branch .LBB166_929
.LBB166_925:
	s_mov_b32 s28, -1
                                        ; implicit-def: $vgpr2
.LBB166_926:
	s_delay_alu instid0(SALU_CYCLE_1)
	s_and_not1_b32 vcc_lo, exec_lo, s28
	s_cbranch_vccnz .LBB166_928
; %bb.927:
	s_wait_loadcnt 0x0
	global_load_b32 v2, v[0:1], off
	s_wait_loadcnt 0x0
	v_cvt_f32_i32_e32 v2, v2
	s_delay_alu instid0(VALU_DEP_1) | instskip(NEXT) | instid1(VALU_DEP_1)
	v_bfe_u32 v3, v2, 16, 1
	v_add3_u32 v2, v2, v3, 0x7fff
	s_delay_alu instid0(VALU_DEP_1)
	v_lshrrev_b32_e32 v2, 16, v2
.LBB166_928:
	s_mov_b32 s28, 0
.LBB166_929:
	s_delay_alu instid0(SALU_CYCLE_1)
	s_and_not1_b32 vcc_lo, exec_lo, s28
	s_cbranch_vccnz .LBB166_931
; %bb.930:
	s_wait_loadcnt 0x0
	global_load_i16 v2, v[0:1], off
	s_wait_loadcnt 0x0
	v_cvt_f32_i32_e32 v2, v2
	s_delay_alu instid0(VALU_DEP_1) | instskip(NEXT) | instid1(VALU_DEP_1)
	v_bfe_u32 v3, v2, 16, 1
	v_add3_u32 v2, v2, v3, 0x7fff
	s_delay_alu instid0(VALU_DEP_1)
	v_lshrrev_b32_e32 v2, 16, v2
.LBB166_931:
	s_mov_b32 s28, 0
.LBB166_932:
	s_delay_alu instid0(SALU_CYCLE_1)
	s_and_not1_b32 vcc_lo, exec_lo, s28
	s_cbranch_vccnz .LBB166_938
; %bb.933:
	s_cmp_gt_i32 s0, 0
	s_mov_b32 s0, 0
	s_cbranch_scc0 .LBB166_935
; %bb.934:
	s_wait_loadcnt 0x0
	global_load_i8 v2, v[0:1], off
	s_wait_loadcnt 0x0
	v_cvt_f32_i32_e32 v2, v2
	s_delay_alu instid0(VALU_DEP_1) | instskip(NEXT) | instid1(VALU_DEP_1)
	v_bfe_u32 v3, v2, 16, 1
	v_add3_u32 v2, v2, v3, 0x7fff
	s_delay_alu instid0(VALU_DEP_1)
	v_lshrrev_b32_e32 v2, 16, v2
	s_branch .LBB166_936
.LBB166_935:
	s_mov_b32 s0, -1
                                        ; implicit-def: $vgpr2
.LBB166_936:
	s_delay_alu instid0(SALU_CYCLE_1)
	s_and_not1_b32 vcc_lo, exec_lo, s0
	s_cbranch_vccnz .LBB166_938
; %bb.937:
	global_load_u8 v0, v[0:1], off
	s_wait_loadcnt 0x0
	v_cvt_f32_ubyte0_e32 v0, v0
	s_delay_alu instid0(VALU_DEP_1) | instskip(NEXT) | instid1(VALU_DEP_1)
	v_bfe_u32 v1, v0, 16, 1
	v_add3_u32 v0, v0, v1, 0x7fff
	s_delay_alu instid0(VALU_DEP_1)
	v_lshrrev_b32_e32 v2, 16, v0
.LBB166_938:
	v_mov_b32_e32 v3, 0
.LBB166_939:
	s_mov_b32 s29, -1
.LBB166_940:
	s_delay_alu instid0(SALU_CYCLE_1)
	s_and_not1_b32 vcc_lo, exec_lo, s29
	s_cbranch_vccnz .LBB166_948
; %bb.941:
	s_wait_xcnt 0x0
	v_mul_lo_u32 v0, v6, s10
	s_and_b32 s0, s1, 0xff
	s_delay_alu instid0(SALU_CYCLE_1) | instskip(NEXT) | instid1(VALU_DEP_1)
	s_cmp_lt_i32 s0, 11
	v_ashrrev_i32_e32 v1, 31, v0
	s_delay_alu instid0(VALU_DEP_1)
	v_add_nc_u64_e32 v[0:1], s[2:3], v[0:1]
	s_cbranch_scc1 .LBB166_949
; %bb.942:
	s_and_b32 s29, 0xffff, s0
	s_delay_alu instid0(SALU_CYCLE_1)
	s_cmp_gt_i32 s29, 25
	s_cbranch_scc0 .LBB166_950
; %bb.943:
	s_cmp_gt_i32 s29, 28
	s_cbranch_scc0 .LBB166_951
; %bb.944:
	;; [unrolled: 3-line block ×4, first 2 shown]
	s_cmp_eq_u32 s29, 46
	s_mov_b32 s31, 0
	s_cbranch_scc0 .LBB166_956
; %bb.947:
	s_wait_loadcnt 0x0
	global_load_b32 v4, v[0:1], off
	s_mov_b32 s30, -1
	s_mov_b32 s28, 0
	s_wait_loadcnt 0x0
	v_and_b32_e32 v5, 0xffff0000, v4
	s_branch .LBB166_958
.LBB166_948:
	s_mov_b32 s30, 0
	s_mov_b32 s0, s23
	;; [unrolled: 1-line block ×3, first 2 shown]
	s_branch .LBB166_1207
.LBB166_949:
	s_mov_b32 s29, -1
	s_mov_b32 s30, 0
	s_mov_b32 s28, s24
                                        ; implicit-def: $vgpr5
                                        ; implicit-def: $vgpr4
	s_branch .LBB166_1026
.LBB166_950:
	s_mov_b32 s31, -1
	s_mov_b32 s30, 0
	s_mov_b32 s28, s24
                                        ; implicit-def: $vgpr5
                                        ; implicit-def: $vgpr4
	s_branch .LBB166_989
.LBB166_951:
	s_mov_b32 s31, -1
	s_mov_b32 s30, 0
	s_mov_b32 s28, s24
                                        ; implicit-def: $vgpr5
                                        ; implicit-def: $vgpr4
	s_branch .LBB166_970
.LBB166_952:
	s_mov_b32 s31, -1
	s_mov_b32 s30, 0
	s_mov_b32 s28, s24
                                        ; implicit-def: $vgpr5
                                        ; implicit-def: $vgpr4
	s_branch .LBB166_964
.LBB166_953:
	s_mov_b32 s31, -1
	s_mov_b32 s30, 0
	s_mov_b32 s28, s24
	s_branch .LBB166_957
.LBB166_954:
	s_and_not1_saveexec_b32 s30, s30
	s_cbranch_execz .LBB166_724
.LBB166_955:
	v_add_f32_e32 v2, 0x42800000, v3
	s_and_not1_b32 s29, s29, exec_lo
	s_delay_alu instid0(VALU_DEP_1) | instskip(NEXT) | instid1(VALU_DEP_1)
	v_and_b32_e32 v2, 0xff, v2
	v_cmp_ne_u32_e32 vcc_lo, 0, v2
	s_and_b32 s31, vcc_lo, exec_lo
	s_delay_alu instid0(SALU_CYCLE_1)
	s_or_b32 s29, s29, s31
	s_or_b32 exec_lo, exec_lo, s30
	v_mov_b32_e32 v4, 0
	s_and_saveexec_b32 s30, s29
	s_cbranch_execnz .LBB166_725
	s_branch .LBB166_726
.LBB166_956:
	s_mov_b32 s28, -1
	s_mov_b32 s30, 0
.LBB166_957:
                                        ; implicit-def: $vgpr5
                                        ; implicit-def: $vgpr4
.LBB166_958:
	s_and_b32 vcc_lo, exec_lo, s31
	s_cbranch_vccz .LBB166_963
; %bb.959:
	s_cmp_eq_u32 s29, 44
	s_cbranch_scc0 .LBB166_961
; %bb.960:
	s_wait_loadcnt 0x0
	global_load_u8 v4, v[0:1], off
	s_mov_b32 s28, 0
	s_mov_b32 s30, -1
	s_wait_loadcnt 0x0
	v_lshlrev_b32_e32 v5, 23, v4
	v_cmp_ne_u32_e32 vcc_lo, 0xff, v4
	s_delay_alu instid0(VALU_DEP_2) | instskip(SKIP_1) | instid1(VALU_DEP_2)
	v_cndmask_b32_e32 v5, 0x7f800001, v5, vcc_lo
	v_cmp_ne_u32_e32 vcc_lo, 0, v4
	v_cndmask_b32_e32 v4, 0x400000, v5, vcc_lo
	s_delay_alu instid0(VALU_DEP_1) | instskip(NEXT) | instid1(VALU_DEP_1)
	v_add_nc_u32_e32 v5, 0x7fff, v4
	v_lshrrev_b32_e32 v5, 16, v5
	v_cmp_o_f32_e32 vcc_lo, v4, v4
	s_delay_alu instid0(VALU_DEP_2)
	v_cndmask_b32_e32 v4, 0x7fc0, v5, vcc_lo
	s_branch .LBB166_962
.LBB166_961:
	s_mov_b32 s28, -1
                                        ; implicit-def: $vgpr4
.LBB166_962:
	v_mov_b32_e32 v5, 0
.LBB166_963:
	s_mov_b32 s31, 0
.LBB166_964:
	s_delay_alu instid0(SALU_CYCLE_1)
	s_and_b32 vcc_lo, exec_lo, s31
	s_cbranch_vccz .LBB166_969
; %bb.965:
	s_cmp_eq_u32 s29, 29
	s_cbranch_scc0 .LBB166_967
; %bb.966:
	s_wait_loadcnt 0x0
	global_load_b64 v[4:5], v[0:1], off
	s_mov_b32 s30, -1
	s_mov_b32 s28, 0
	s_wait_loadcnt 0x0
	v_clz_i32_u32_e32 v7, v5
	s_delay_alu instid0(VALU_DEP_1) | instskip(NEXT) | instid1(VALU_DEP_1)
	v_min_u32_e32 v7, 32, v7
	v_lshlrev_b64_e32 v[4:5], v7, v[4:5]
	s_delay_alu instid0(VALU_DEP_1) | instskip(NEXT) | instid1(VALU_DEP_1)
	v_min_u32_e32 v4, 1, v4
	v_dual_sub_nc_u32 v5, 32, v7 :: v_dual_bitop2_b32 v4, v5, v4 bitop3:0x54
	s_delay_alu instid0(VALU_DEP_1) | instskip(NEXT) | instid1(VALU_DEP_1)
	v_cvt_f32_u32_e32 v4, v4
	v_ldexp_f32 v4, v4, v5
	s_delay_alu instid0(VALU_DEP_1) | instskip(NEXT) | instid1(VALU_DEP_1)
	v_bfe_u32 v5, v4, 16, 1
	v_add3_u32 v4, v4, v5, 0x7fff
	s_delay_alu instid0(VALU_DEP_1)
	v_lshrrev_b32_e32 v4, 16, v4
	s_branch .LBB166_968
.LBB166_967:
	s_mov_b32 s28, -1
                                        ; implicit-def: $vgpr4
.LBB166_968:
	v_mov_b32_e32 v5, 0
.LBB166_969:
	s_mov_b32 s31, 0
.LBB166_970:
	s_delay_alu instid0(SALU_CYCLE_1)
	s_and_b32 vcc_lo, exec_lo, s31
	s_cbranch_vccz .LBB166_988
; %bb.971:
	s_cmp_lt_i32 s29, 27
	s_cbranch_scc1 .LBB166_974
; %bb.972:
	s_cmp_gt_i32 s29, 27
	s_cbranch_scc0 .LBB166_975
; %bb.973:
	s_wait_loadcnt 0x0
	global_load_b32 v4, v[0:1], off
	s_mov_b32 s30, 0
	s_wait_loadcnt 0x0
	v_cvt_f32_u32_e32 v4, v4
	s_delay_alu instid0(VALU_DEP_1) | instskip(NEXT) | instid1(VALU_DEP_1)
	v_bfe_u32 v5, v4, 16, 1
	v_add3_u32 v4, v4, v5, 0x7fff
	s_delay_alu instid0(VALU_DEP_1)
	v_lshrrev_b32_e32 v4, 16, v4
	s_branch .LBB166_976
.LBB166_974:
	s_mov_b32 s30, -1
                                        ; implicit-def: $vgpr4
	s_branch .LBB166_979
.LBB166_975:
	s_mov_b32 s30, -1
                                        ; implicit-def: $vgpr4
.LBB166_976:
	s_delay_alu instid0(SALU_CYCLE_1)
	s_and_not1_b32 vcc_lo, exec_lo, s30
	s_cbranch_vccnz .LBB166_978
; %bb.977:
	s_wait_loadcnt 0x0
	global_load_u16 v4, v[0:1], off
	s_wait_loadcnt 0x0
	v_cvt_f32_u32_e32 v4, v4
	s_delay_alu instid0(VALU_DEP_1) | instskip(NEXT) | instid1(VALU_DEP_1)
	v_bfe_u32 v5, v4, 16, 1
	v_add3_u32 v4, v4, v5, 0x7fff
	s_delay_alu instid0(VALU_DEP_1)
	v_lshrrev_b32_e32 v4, 16, v4
.LBB166_978:
	s_mov_b32 s30, 0
.LBB166_979:
	s_delay_alu instid0(SALU_CYCLE_1)
	s_and_not1_b32 vcc_lo, exec_lo, s30
	s_cbranch_vccnz .LBB166_987
; %bb.980:
	s_wait_loadcnt 0x0
	global_load_u8 v4, v[0:1], off
	s_mov_b32 s30, 0
	s_mov_b32 s31, exec_lo
	s_wait_loadcnt 0x0
	v_cmpx_lt_i16_e32 0x7f, v4
	s_xor_b32 s31, exec_lo, s31
	s_cbranch_execz .LBB166_1001
; %bb.981:
	s_mov_b32 s30, -1
	s_mov_b32 s33, exec_lo
	v_cmpx_eq_u16_e32 0x80, v4
; %bb.982:
	s_xor_b32 s30, exec_lo, -1
; %bb.983:
	s_or_b32 exec_lo, exec_lo, s33
	s_delay_alu instid0(SALU_CYCLE_1)
	s_and_b32 s30, s30, exec_lo
	s_or_saveexec_b32 s31, s31
	v_mov_b32_e32 v5, 0x7f800001
	s_xor_b32 exec_lo, exec_lo, s31
	s_cbranch_execnz .LBB166_1002
.LBB166_984:
	s_or_b32 exec_lo, exec_lo, s31
	s_and_saveexec_b32 s31, s30
	s_cbranch_execz .LBB166_986
.LBB166_985:
	v_and_b32_e32 v5, 0xffff, v4
	s_delay_alu instid0(VALU_DEP_1) | instskip(SKIP_1) | instid1(VALU_DEP_2)
	v_and_b32_e32 v7, 7, v5
	v_bfe_u32 v10, v5, 3, 4
	v_clz_i32_u32_e32 v8, v7
	s_delay_alu instid0(VALU_DEP_2) | instskip(NEXT) | instid1(VALU_DEP_2)
	v_cmp_eq_u32_e32 vcc_lo, 0, v10
	v_min_u32_e32 v8, 32, v8
	s_delay_alu instid0(VALU_DEP_1) | instskip(NEXT) | instid1(VALU_DEP_1)
	v_subrev_nc_u32_e32 v9, 28, v8
	v_dual_lshlrev_b32 v5, v9, v5 :: v_dual_sub_nc_u32 v8, 29, v8
	s_delay_alu instid0(VALU_DEP_1) | instskip(NEXT) | instid1(VALU_DEP_1)
	v_dual_lshlrev_b32 v4, 24, v4 :: v_dual_bitop2_b32 v5, 7, v5 bitop3:0x40
	v_dual_cndmask_b32 v5, v7, v5 :: v_dual_cndmask_b32 v8, v10, v8
	s_delay_alu instid0(VALU_DEP_2) | instskip(NEXT) | instid1(VALU_DEP_2)
	v_and_b32_e32 v4, 0x80000000, v4
	v_lshlrev_b32_e32 v5, 20, v5
	s_delay_alu instid0(VALU_DEP_3) | instskip(NEXT) | instid1(VALU_DEP_1)
	v_lshl_add_u32 v7, v8, 23, 0x3b800000
	v_or3_b32 v5, v4, v7, v5
.LBB166_986:
	s_or_b32 exec_lo, exec_lo, s31
	s_delay_alu instid0(VALU_DEP_1) | instskip(SKIP_1) | instid1(VALU_DEP_2)
	v_bfe_u32 v4, v5, 16, 1
	v_cmp_o_f32_e32 vcc_lo, v5, v5
	v_add3_u32 v4, v5, v4, 0x7fff
	s_delay_alu instid0(VALU_DEP_1) | instskip(NEXT) | instid1(VALU_DEP_1)
	v_lshrrev_b32_e32 v4, 16, v4
	v_cndmask_b32_e32 v4, 0x7fc0, v4, vcc_lo
.LBB166_987:
	v_mov_b32_e32 v5, 0
	s_mov_b32 s30, -1
.LBB166_988:
	s_mov_b32 s31, 0
.LBB166_989:
	s_delay_alu instid0(SALU_CYCLE_1)
	s_and_b32 vcc_lo, exec_lo, s31
	s_cbranch_vccz .LBB166_1025
; %bb.990:
	s_cmp_gt_i32 s29, 22
	s_cbranch_scc0 .LBB166_1000
; %bb.991:
	s_cmp_lt_i32 s29, 24
	s_cbranch_scc1 .LBB166_1003
; %bb.992:
	s_cmp_gt_i32 s29, 24
	s_cbranch_scc0 .LBB166_1004
; %bb.993:
	s_wait_loadcnt 0x0
	global_load_u8 v4, v[0:1], off
	s_mov_b32 s30, 0
	s_mov_b32 s31, exec_lo
	s_wait_loadcnt 0x0
	v_cmpx_lt_i16_e32 0x7f, v4
	s_xor_b32 s31, exec_lo, s31
	s_cbranch_execz .LBB166_1016
; %bb.994:
	s_mov_b32 s30, -1
	s_mov_b32 s33, exec_lo
	v_cmpx_eq_u16_e32 0x80, v4
; %bb.995:
	s_xor_b32 s30, exec_lo, -1
; %bb.996:
	s_or_b32 exec_lo, exec_lo, s33
	s_delay_alu instid0(SALU_CYCLE_1)
	s_and_b32 s30, s30, exec_lo
	s_or_saveexec_b32 s31, s31
	v_mov_b32_e32 v5, 0x7f800001
	s_xor_b32 exec_lo, exec_lo, s31
	s_cbranch_execnz .LBB166_1017
.LBB166_997:
	s_or_b32 exec_lo, exec_lo, s31
	s_and_saveexec_b32 s31, s30
	s_cbranch_execz .LBB166_999
.LBB166_998:
	v_and_b32_e32 v5, 0xffff, v4
	s_delay_alu instid0(VALU_DEP_1) | instskip(SKIP_1) | instid1(VALU_DEP_2)
	v_and_b32_e32 v7, 3, v5
	v_bfe_u32 v10, v5, 2, 5
	v_clz_i32_u32_e32 v8, v7
	s_delay_alu instid0(VALU_DEP_2) | instskip(NEXT) | instid1(VALU_DEP_2)
	v_cmp_eq_u32_e32 vcc_lo, 0, v10
	v_min_u32_e32 v8, 32, v8
	s_delay_alu instid0(VALU_DEP_1) | instskip(NEXT) | instid1(VALU_DEP_1)
	v_subrev_nc_u32_e32 v9, 29, v8
	v_dual_lshlrev_b32 v5, v9, v5 :: v_dual_sub_nc_u32 v8, 30, v8
	s_delay_alu instid0(VALU_DEP_1) | instskip(NEXT) | instid1(VALU_DEP_1)
	v_dual_lshlrev_b32 v4, 24, v4 :: v_dual_bitop2_b32 v5, 3, v5 bitop3:0x40
	v_dual_cndmask_b32 v5, v7, v5 :: v_dual_cndmask_b32 v8, v10, v8
	s_delay_alu instid0(VALU_DEP_2) | instskip(NEXT) | instid1(VALU_DEP_2)
	v_and_b32_e32 v4, 0x80000000, v4
	v_lshlrev_b32_e32 v5, 21, v5
	s_delay_alu instid0(VALU_DEP_3) | instskip(NEXT) | instid1(VALU_DEP_1)
	v_lshl_add_u32 v7, v8, 23, 0x37800000
	v_or3_b32 v5, v4, v7, v5
.LBB166_999:
	s_or_b32 exec_lo, exec_lo, s31
	s_delay_alu instid0(VALU_DEP_1) | instskip(SKIP_2) | instid1(VALU_DEP_2)
	v_bfe_u32 v4, v5, 16, 1
	v_cmp_o_f32_e32 vcc_lo, v5, v5
	s_mov_b32 s30, 0
	v_add3_u32 v4, v5, v4, 0x7fff
	s_delay_alu instid0(VALU_DEP_1) | instskip(NEXT) | instid1(VALU_DEP_1)
	v_lshrrev_b32_e32 v4, 16, v4
	v_cndmask_b32_e32 v4, 0x7fc0, v4, vcc_lo
	s_branch .LBB166_1005
.LBB166_1000:
	s_mov_b32 s31, -1
                                        ; implicit-def: $vgpr4
	s_branch .LBB166_1011
.LBB166_1001:
	s_or_saveexec_b32 s31, s31
	v_mov_b32_e32 v5, 0x7f800001
	s_xor_b32 exec_lo, exec_lo, s31
	s_cbranch_execz .LBB166_984
.LBB166_1002:
	v_cmp_ne_u16_e32 vcc_lo, 0, v4
	v_mov_b32_e32 v5, 0
	s_and_not1_b32 s30, s30, exec_lo
	s_and_b32 s33, vcc_lo, exec_lo
	s_delay_alu instid0(SALU_CYCLE_1)
	s_or_b32 s30, s30, s33
	s_or_b32 exec_lo, exec_lo, s31
	s_and_saveexec_b32 s31, s30
	s_cbranch_execnz .LBB166_985
	s_branch .LBB166_986
.LBB166_1003:
	s_mov_b32 s30, -1
                                        ; implicit-def: $vgpr4
	s_branch .LBB166_1008
.LBB166_1004:
	s_mov_b32 s30, -1
                                        ; implicit-def: $vgpr4
.LBB166_1005:
	s_delay_alu instid0(SALU_CYCLE_1)
	s_and_b32 vcc_lo, exec_lo, s30
	s_cbranch_vccz .LBB166_1007
; %bb.1006:
	s_wait_loadcnt 0x0
	global_load_u8 v4, v[0:1], off
	s_wait_loadcnt 0x0
	v_lshlrev_b32_e32 v4, 24, v4
	s_delay_alu instid0(VALU_DEP_1) | instskip(NEXT) | instid1(VALU_DEP_1)
	v_and_b32_e32 v5, 0x7f000000, v4
	v_clz_i32_u32_e32 v7, v5
	v_add_nc_u32_e32 v9, 0x1000000, v5
	v_cmp_ne_u32_e32 vcc_lo, 0, v5
	s_delay_alu instid0(VALU_DEP_3) | instskip(NEXT) | instid1(VALU_DEP_1)
	v_min_u32_e32 v7, 32, v7
	v_sub_nc_u32_e64 v7, v7, 4 clamp
	s_delay_alu instid0(VALU_DEP_1) | instskip(NEXT) | instid1(VALU_DEP_1)
	v_dual_lshlrev_b32 v8, v7, v5 :: v_dual_lshlrev_b32 v7, 23, v7
	v_lshrrev_b32_e32 v8, 4, v8
	s_delay_alu instid0(VALU_DEP_1) | instskip(NEXT) | instid1(VALU_DEP_1)
	v_dual_sub_nc_u32 v7, v8, v7 :: v_dual_ashrrev_i32 v8, 8, v9
	v_add_nc_u32_e32 v7, 0x3c000000, v7
	s_delay_alu instid0(VALU_DEP_1) | instskip(NEXT) | instid1(VALU_DEP_1)
	v_and_or_b32 v7, 0x7f800000, v8, v7
	v_cndmask_b32_e32 v5, 0, v7, vcc_lo
	s_delay_alu instid0(VALU_DEP_1) | instskip(SKIP_1) | instid1(VALU_DEP_2)
	v_and_or_b32 v4, 0x80000000, v4, v5
	v_bfe_u32 v5, v5, 16, 1
	v_cmp_o_f32_e32 vcc_lo, v4, v4
	s_delay_alu instid0(VALU_DEP_2) | instskip(NEXT) | instid1(VALU_DEP_1)
	v_add3_u32 v5, v4, v5, 0x7fff
	v_lshrrev_b32_e32 v5, 16, v5
	s_delay_alu instid0(VALU_DEP_1)
	v_cndmask_b32_e32 v4, 0x7fc0, v5, vcc_lo
.LBB166_1007:
	s_mov_b32 s30, 0
.LBB166_1008:
	s_delay_alu instid0(SALU_CYCLE_1)
	s_and_not1_b32 vcc_lo, exec_lo, s30
	s_cbranch_vccnz .LBB166_1010
; %bb.1009:
	s_wait_loadcnt 0x0
	global_load_u8 v4, v[0:1], off
	s_wait_loadcnt 0x0
	v_lshlrev_b32_e32 v5, 25, v4
	v_lshlrev_b16 v4, 8, v4
	s_delay_alu instid0(VALU_DEP_2) | instskip(NEXT) | instid1(VALU_DEP_2)
	v_cmp_gt_u32_e32 vcc_lo, 0x8000000, v5
	v_and_or_b32 v8, 0x7f00, v4, 0.5
	v_lshrrev_b32_e32 v7, 4, v5
	v_bfe_i32 v4, v4, 0, 16
	s_delay_alu instid0(VALU_DEP_3) | instskip(NEXT) | instid1(VALU_DEP_3)
	v_add_f32_e32 v8, -0.5, v8
	v_or_b32_e32 v7, 0x70000000, v7
	s_delay_alu instid0(VALU_DEP_1) | instskip(NEXT) | instid1(VALU_DEP_1)
	v_mul_f32_e32 v7, 0x7800000, v7
	v_cndmask_b32_e32 v5, v7, v8, vcc_lo
	s_delay_alu instid0(VALU_DEP_1) | instskip(SKIP_1) | instid1(VALU_DEP_2)
	v_and_or_b32 v4, 0x80000000, v4, v5
	v_bfe_u32 v5, v5, 16, 1
	v_cmp_o_f32_e32 vcc_lo, v4, v4
	s_delay_alu instid0(VALU_DEP_2) | instskip(NEXT) | instid1(VALU_DEP_1)
	v_add3_u32 v5, v4, v5, 0x7fff
	v_lshrrev_b32_e32 v5, 16, v5
	s_delay_alu instid0(VALU_DEP_1)
	v_cndmask_b32_e32 v4, 0x7fc0, v5, vcc_lo
.LBB166_1010:
	s_mov_b32 s31, 0
	s_mov_b32 s30, -1
.LBB166_1011:
	s_and_not1_b32 vcc_lo, exec_lo, s31
	s_cbranch_vccnz .LBB166_1024
; %bb.1012:
	s_cmp_gt_i32 s29, 14
	s_cbranch_scc0 .LBB166_1015
; %bb.1013:
	s_cmp_eq_u32 s29, 15
	s_cbranch_scc0 .LBB166_1018
; %bb.1014:
	s_wait_loadcnt 0x0
	global_load_u16 v4, v[0:1], off
	s_mov_b32 s30, -1
	s_mov_b32 s28, 0
	s_branch .LBB166_1019
.LBB166_1015:
	s_mov_b32 s31, -1
                                        ; implicit-def: $vgpr4
	s_branch .LBB166_1020
.LBB166_1016:
	s_or_saveexec_b32 s31, s31
	v_mov_b32_e32 v5, 0x7f800001
	s_xor_b32 exec_lo, exec_lo, s31
	s_cbranch_execz .LBB166_997
.LBB166_1017:
	v_cmp_ne_u16_e32 vcc_lo, 0, v4
	v_mov_b32_e32 v5, 0
	s_and_not1_b32 s30, s30, exec_lo
	s_and_b32 s33, vcc_lo, exec_lo
	s_delay_alu instid0(SALU_CYCLE_1)
	s_or_b32 s30, s30, s33
	s_or_b32 exec_lo, exec_lo, s31
	s_and_saveexec_b32 s31, s30
	s_cbranch_execnz .LBB166_998
	s_branch .LBB166_999
.LBB166_1018:
	s_mov_b32 s28, -1
                                        ; implicit-def: $vgpr4
.LBB166_1019:
	s_mov_b32 s31, 0
.LBB166_1020:
	s_delay_alu instid0(SALU_CYCLE_1)
	s_and_b32 vcc_lo, exec_lo, s31
	s_cbranch_vccz .LBB166_1024
; %bb.1021:
	s_cmp_eq_u32 s29, 11
	s_cbranch_scc0 .LBB166_1023
; %bb.1022:
	s_wait_loadcnt 0x0
	global_load_u8 v4, v[0:1], off
	s_mov_b32 s28, 0
	s_mov_b32 s30, -1
	v_mov_b32_e32 v5, 0
	s_wait_loadcnt 0x0
	v_cmp_ne_u16_e32 vcc_lo, 0, v4
	v_cndmask_b32_e64 v4, 0, 1.0, vcc_lo
	s_delay_alu instid0(VALU_DEP_1)
	v_lshrrev_b32_e32 v4, 16, v4
	s_branch .LBB166_1025
.LBB166_1023:
	s_mov_b32 s28, -1
                                        ; implicit-def: $vgpr4
.LBB166_1024:
	v_mov_b32_e32 v5, 0
.LBB166_1025:
	s_mov_b32 s29, 0
.LBB166_1026:
	s_delay_alu instid0(SALU_CYCLE_1)
	s_and_b32 vcc_lo, exec_lo, s29
	s_cbranch_vccz .LBB166_1077
; %bb.1027:
	s_and_b32 s0, 0xffff, s0
	s_delay_alu instid0(SALU_CYCLE_1)
	s_cmp_lt_i32 s0, 5
	s_cbranch_scc1 .LBB166_1032
; %bb.1028:
	s_cmp_lt_i32 s0, 8
	s_cbranch_scc1 .LBB166_1033
; %bb.1029:
	;; [unrolled: 3-line block ×3, first 2 shown]
	s_cmp_gt_i32 s0, 9
	s_cbranch_scc0 .LBB166_1035
; %bb.1031:
	global_load_b128 v[8:11], v[0:1], off
	s_mov_b32 s29, 0
	s_wait_loadcnt 0x0
	v_cvt_f32_f64_e32 v4, v[8:9]
	v_cvt_f32_f64_e32 v5, v[10:11]
	s_delay_alu instid0(VALU_DEP_2) | instskip(NEXT) | instid1(VALU_DEP_2)
	v_bfe_u32 v7, v4, 16, 1
	v_bfe_u32 v8, v5, 16, 1
	v_cmp_o_f32_e32 vcc_lo, v4, v4
	s_delay_alu instid0(VALU_DEP_3) | instskip(NEXT) | instid1(VALU_DEP_3)
	v_add3_u32 v7, v4, v7, 0x7fff
	v_add3_u32 v8, v5, v8, 0x7fff
	s_delay_alu instid0(VALU_DEP_2) | instskip(NEXT) | instid1(VALU_DEP_2)
	v_lshrrev_b32_e32 v7, 16, v7
	v_and_b32_e32 v8, 0xffff0000, v8
	s_delay_alu instid0(VALU_DEP_2) | instskip(SKIP_1) | instid1(VALU_DEP_3)
	v_cndmask_b32_e32 v4, 0x7fc0, v7, vcc_lo
	v_cmp_o_f32_e32 vcc_lo, v5, v5
	v_cndmask_b32_e32 v5, 0x7fc00000, v8, vcc_lo
	s_branch .LBB166_1036
.LBB166_1032:
	s_mov_b32 s29, -1
                                        ; implicit-def: $vgpr5
                                        ; implicit-def: $vgpr4
	s_branch .LBB166_1055
.LBB166_1033:
	s_mov_b32 s29, -1
                                        ; implicit-def: $vgpr5
                                        ; implicit-def: $vgpr4
	s_branch .LBB166_1042
.LBB166_1034:
	s_mov_b32 s29, -1
                                        ; implicit-def: $vgpr5
                                        ; implicit-def: $vgpr4
	s_branch .LBB166_1039
.LBB166_1035:
	s_mov_b32 s29, -1
                                        ; implicit-def: $vgpr5
                                        ; implicit-def: $vgpr4
.LBB166_1036:
	s_delay_alu instid0(SALU_CYCLE_1)
	s_and_not1_b32 vcc_lo, exec_lo, s29
	s_cbranch_vccnz .LBB166_1038
; %bb.1037:
	s_wait_loadcnt 0x0
	global_load_b64 v[4:5], v[0:1], off
	s_wait_loadcnt 0x0
	v_bfe_u32 v7, v4, 16, 1
	v_bfe_u32 v8, v5, 16, 1
	v_cmp_o_f32_e32 vcc_lo, v4, v4
	s_delay_alu instid0(VALU_DEP_3) | instskip(NEXT) | instid1(VALU_DEP_3)
	v_add3_u32 v7, v4, v7, 0x7fff
	v_add3_u32 v8, v5, v8, 0x7fff
	s_delay_alu instid0(VALU_DEP_2) | instskip(NEXT) | instid1(VALU_DEP_2)
	v_lshrrev_b32_e32 v7, 16, v7
	v_and_b32_e32 v8, 0xffff0000, v8
	s_delay_alu instid0(VALU_DEP_2) | instskip(SKIP_1) | instid1(VALU_DEP_3)
	v_cndmask_b32_e32 v4, 0x7fc0, v7, vcc_lo
	v_cmp_o_f32_e32 vcc_lo, v5, v5
	v_cndmask_b32_e32 v5, 0x7fc00000, v8, vcc_lo
.LBB166_1038:
	s_mov_b32 s29, 0
.LBB166_1039:
	s_delay_alu instid0(SALU_CYCLE_1)
	s_and_not1_b32 vcc_lo, exec_lo, s29
	s_cbranch_vccnz .LBB166_1041
; %bb.1040:
	s_wait_loadcnt 0x0
	global_load_b32 v4, v[0:1], off
	s_wait_loadcnt 0x0
	v_cvt_f32_f16_e32 v7, v4
	v_cmp_o_f16_e32 vcc_lo, v4, v4
	s_delay_alu instid0(VALU_DEP_2) | instskip(NEXT) | instid1(VALU_DEP_1)
	v_bfe_u32 v9, v7, 16, 1
	v_add3_u32 v7, v7, v9, 0x7fff
	s_delay_alu instid0(VALU_DEP_1) | instskip(NEXT) | instid1(VALU_DEP_1)
	v_dual_lshrrev_b32 v5, 16, v4 :: v_dual_lshrrev_b32 v7, 16, v7
	v_cvt_f32_f16_e32 v8, v5
	s_delay_alu instid0(VALU_DEP_2) | instskip(NEXT) | instid1(VALU_DEP_2)
	v_cndmask_b32_e32 v4, 0x7fc0, v7, vcc_lo
	v_bfe_u32 v10, v8, 16, 1
	v_cmp_o_f16_e32 vcc_lo, v5, v5
	s_delay_alu instid0(VALU_DEP_2) | instskip(NEXT) | instid1(VALU_DEP_1)
	v_add3_u32 v8, v8, v10, 0x7fff
	v_and_b32_e32 v8, 0xffff0000, v8
	s_delay_alu instid0(VALU_DEP_1)
	v_cndmask_b32_e32 v5, 0x7fc00000, v8, vcc_lo
.LBB166_1041:
	s_mov_b32 s29, 0
.LBB166_1042:
	s_delay_alu instid0(SALU_CYCLE_1)
	s_and_not1_b32 vcc_lo, exec_lo, s29
	s_cbranch_vccnz .LBB166_1054
; %bb.1043:
	s_cmp_lt_i32 s0, 6
	s_cbranch_scc1 .LBB166_1046
; %bb.1044:
	s_cmp_gt_i32 s0, 6
	s_cbranch_scc0 .LBB166_1047
; %bb.1045:
	s_wait_loadcnt 0x0
	global_load_b64 v[4:5], v[0:1], off
	s_mov_b32 s29, 0
	s_wait_loadcnt 0x0
	v_cvt_f32_f64_e32 v4, v[4:5]
	s_delay_alu instid0(VALU_DEP_1) | instskip(SKIP_1) | instid1(VALU_DEP_2)
	v_bfe_u32 v5, v4, 16, 1
	v_cmp_o_f32_e32 vcc_lo, v4, v4
	v_add3_u32 v5, v4, v5, 0x7fff
	s_delay_alu instid0(VALU_DEP_1) | instskip(NEXT) | instid1(VALU_DEP_1)
	v_lshrrev_b32_e32 v5, 16, v5
	v_cndmask_b32_e32 v4, 0x7fc0, v5, vcc_lo
	s_branch .LBB166_1048
.LBB166_1046:
	s_mov_b32 s29, -1
                                        ; implicit-def: $vgpr4
	s_branch .LBB166_1051
.LBB166_1047:
	s_mov_b32 s29, -1
                                        ; implicit-def: $vgpr4
.LBB166_1048:
	s_delay_alu instid0(SALU_CYCLE_1)
	s_and_not1_b32 vcc_lo, exec_lo, s29
	s_cbranch_vccnz .LBB166_1050
; %bb.1049:
	s_wait_loadcnt 0x0
	global_load_b32 v4, v[0:1], off
	s_wait_loadcnt 0x0
	v_bfe_u32 v5, v4, 16, 1
	v_cmp_o_f32_e32 vcc_lo, v4, v4
	s_delay_alu instid0(VALU_DEP_2) | instskip(NEXT) | instid1(VALU_DEP_1)
	v_add3_u32 v5, v4, v5, 0x7fff
	v_lshrrev_b32_e32 v5, 16, v5
	s_delay_alu instid0(VALU_DEP_1)
	v_cndmask_b32_e32 v4, 0x7fc0, v5, vcc_lo
.LBB166_1050:
	s_mov_b32 s29, 0
.LBB166_1051:
	s_delay_alu instid0(SALU_CYCLE_1)
	s_and_not1_b32 vcc_lo, exec_lo, s29
	s_cbranch_vccnz .LBB166_1053
; %bb.1052:
	s_wait_loadcnt 0x0
	global_load_u16 v4, v[0:1], off
	s_wait_loadcnt 0x0
	v_cvt_f32_f16_e32 v5, v4
	v_cmp_o_f16_e32 vcc_lo, v4, v4
	s_delay_alu instid0(VALU_DEP_2) | instskip(NEXT) | instid1(VALU_DEP_1)
	v_bfe_u32 v7, v5, 16, 1
	v_add3_u32 v5, v5, v7, 0x7fff
	s_delay_alu instid0(VALU_DEP_1) | instskip(NEXT) | instid1(VALU_DEP_1)
	v_lshrrev_b32_e32 v5, 16, v5
	v_cndmask_b32_e32 v4, 0x7fc0, v5, vcc_lo
.LBB166_1053:
	v_mov_b32_e32 v5, 0
.LBB166_1054:
	s_mov_b32 s29, 0
.LBB166_1055:
	s_delay_alu instid0(SALU_CYCLE_1)
	s_and_not1_b32 vcc_lo, exec_lo, s29
	s_cbranch_vccnz .LBB166_1076
; %bb.1056:
	s_cmp_lt_i32 s0, 2
	s_cbranch_scc1 .LBB166_1060
; %bb.1057:
	s_cmp_lt_i32 s0, 3
	s_cbranch_scc1 .LBB166_1061
; %bb.1058:
	s_cmp_gt_i32 s0, 3
	s_cbranch_scc0 .LBB166_1062
; %bb.1059:
	s_wait_loadcnt 0x0
	global_load_b64 v[4:5], v[0:1], off
	s_mov_b32 s29, 0
	s_wait_loadcnt 0x0
	v_xor_b32_e32 v7, v4, v5
	v_cls_i32_e32 v8, v5
	s_delay_alu instid0(VALU_DEP_2) | instskip(NEXT) | instid1(VALU_DEP_1)
	v_ashrrev_i32_e32 v7, 31, v7
	v_add_nc_u32_e32 v7, 32, v7
	s_delay_alu instid0(VALU_DEP_1) | instskip(NEXT) | instid1(VALU_DEP_1)
	v_add_min_u32_e64 v7, v8, -1, v7
	v_lshlrev_b64_e32 v[4:5], v7, v[4:5]
	s_delay_alu instid0(VALU_DEP_1) | instskip(NEXT) | instid1(VALU_DEP_1)
	v_min_u32_e32 v4, 1, v4
	v_dual_sub_nc_u32 v5, 32, v7 :: v_dual_bitop2_b32 v4, v5, v4 bitop3:0x54
	s_delay_alu instid0(VALU_DEP_1) | instskip(NEXT) | instid1(VALU_DEP_1)
	v_cvt_f32_i32_e32 v4, v4
	v_ldexp_f32 v4, v4, v5
	s_delay_alu instid0(VALU_DEP_1) | instskip(NEXT) | instid1(VALU_DEP_1)
	v_bfe_u32 v5, v4, 16, 1
	v_add3_u32 v4, v4, v5, 0x7fff
	s_delay_alu instid0(VALU_DEP_1)
	v_lshrrev_b32_e32 v4, 16, v4
	s_branch .LBB166_1063
.LBB166_1060:
	s_mov_b32 s29, -1
                                        ; implicit-def: $vgpr4
	s_branch .LBB166_1069
.LBB166_1061:
	s_mov_b32 s29, -1
                                        ; implicit-def: $vgpr4
	s_branch .LBB166_1066
.LBB166_1062:
	s_mov_b32 s29, -1
                                        ; implicit-def: $vgpr4
.LBB166_1063:
	s_delay_alu instid0(SALU_CYCLE_1)
	s_and_not1_b32 vcc_lo, exec_lo, s29
	s_cbranch_vccnz .LBB166_1065
; %bb.1064:
	s_wait_loadcnt 0x0
	global_load_b32 v4, v[0:1], off
	s_wait_loadcnt 0x0
	v_cvt_f32_i32_e32 v4, v4
	s_delay_alu instid0(VALU_DEP_1) | instskip(NEXT) | instid1(VALU_DEP_1)
	v_bfe_u32 v5, v4, 16, 1
	v_add3_u32 v4, v4, v5, 0x7fff
	s_delay_alu instid0(VALU_DEP_1)
	v_lshrrev_b32_e32 v4, 16, v4
.LBB166_1065:
	s_mov_b32 s29, 0
.LBB166_1066:
	s_delay_alu instid0(SALU_CYCLE_1)
	s_and_not1_b32 vcc_lo, exec_lo, s29
	s_cbranch_vccnz .LBB166_1068
; %bb.1067:
	s_wait_loadcnt 0x0
	global_load_i16 v4, v[0:1], off
	s_wait_loadcnt 0x0
	v_cvt_f32_i32_e32 v4, v4
	s_delay_alu instid0(VALU_DEP_1) | instskip(NEXT) | instid1(VALU_DEP_1)
	v_bfe_u32 v5, v4, 16, 1
	v_add3_u32 v4, v4, v5, 0x7fff
	s_delay_alu instid0(VALU_DEP_1)
	v_lshrrev_b32_e32 v4, 16, v4
.LBB166_1068:
	s_mov_b32 s29, 0
.LBB166_1069:
	s_delay_alu instid0(SALU_CYCLE_1)
	s_and_not1_b32 vcc_lo, exec_lo, s29
	s_cbranch_vccnz .LBB166_1075
; %bb.1070:
	s_cmp_gt_i32 s0, 0
	s_mov_b32 s0, 0
	s_cbranch_scc0 .LBB166_1072
; %bb.1071:
	s_wait_loadcnt 0x0
	global_load_i8 v4, v[0:1], off
	s_wait_loadcnt 0x0
	v_cvt_f32_i32_e32 v4, v4
	s_delay_alu instid0(VALU_DEP_1) | instskip(NEXT) | instid1(VALU_DEP_1)
	v_bfe_u32 v5, v4, 16, 1
	v_add3_u32 v4, v4, v5, 0x7fff
	s_delay_alu instid0(VALU_DEP_1)
	v_lshrrev_b32_e32 v4, 16, v4
	s_branch .LBB166_1073
.LBB166_1072:
	s_mov_b32 s0, -1
                                        ; implicit-def: $vgpr4
.LBB166_1073:
	s_delay_alu instid0(SALU_CYCLE_1)
	s_and_not1_b32 vcc_lo, exec_lo, s0
	s_cbranch_vccnz .LBB166_1075
; %bb.1074:
	global_load_u8 v0, v[0:1], off
	s_wait_loadcnt 0x0
	v_cvt_f32_ubyte0_e32 v0, v0
	s_delay_alu instid0(VALU_DEP_1) | instskip(NEXT) | instid1(VALU_DEP_1)
	v_bfe_u32 v1, v0, 16, 1
	v_add3_u32 v0, v0, v1, 0x7fff
	s_delay_alu instid0(VALU_DEP_1)
	v_lshrrev_b32_e32 v4, 16, v0
.LBB166_1075:
	v_mov_b32_e32 v5, 0
.LBB166_1076:
	s_mov_b32 s30, -1
.LBB166_1077:
	s_delay_alu instid0(SALU_CYCLE_1)
	s_and_not1_b32 vcc_lo, exec_lo, s30
	s_cbranch_vccnz .LBB166_1080
; %bb.1078:
	s_wait_loadcnt 0x0
	v_and_b32_e32 v0, 0xffff, v4
	v_and_b32_e32 v1, 0xffff, v2
	s_and_not1_b32 vcc_lo, exec_lo, s16
	s_delay_alu instid0(VALU_DEP_2) | instskip(NEXT) | instid1(VALU_DEP_2)
	v_or_b32_e32 v2, v5, v0
	v_or_b32_e32 v4, v3, v1
	v_and_b32_e32 v0, 0xffff0000, v5
	v_and_b32_e32 v3, 0xffff0000, v3
	s_delay_alu instid0(VALU_DEP_3)
	v_dual_lshlrev_b32 v1, 16, v2 :: v_dual_lshlrev_b32 v2, 16, v4
	s_cbranch_vccnz .LBB166_1081
; %bb.1079:
	s_delay_alu instid0(VALU_DEP_1) | instskip(NEXT) | instid1(VALU_DEP_3)
	v_cmp_neq_f32_e32 vcc_lo, v2, v1
	v_cmp_neq_f32_e64 s0, v3, v0
	s_or_b32 s29, vcc_lo, s0
	s_mov_b32 s0, 0
	s_branch .LBB166_1082
.LBB166_1080:
	s_mov_b32 s30, 0
	s_mov_b32 s0, s23
	s_branch .LBB166_1207
.LBB166_1081:
	s_mov_b32 s0, -1
                                        ; implicit-def: $sgpr29
.LBB166_1082:
	s_delay_alu instid0(SALU_CYCLE_1)
	s_and_not1_b32 vcc_lo, exec_lo, s0
	s_cbranch_vccnz .LBB166_1084
; %bb.1083:
	v_cmp_eq_f32_e32 vcc_lo, v2, v1
	v_cmp_eq_f32_e64 s0, v3, v0
	s_and_not1_b32 s29, s29, exec_lo
	s_and_b32 s0, vcc_lo, s0
	s_delay_alu instid0(SALU_CYCLE_1) | instskip(NEXT) | instid1(SALU_CYCLE_1)
	s_and_b32 s0, s0, exec_lo
	s_or_b32 s29, s29, s0
.LBB166_1084:
	v_mul_lo_u32 v0, v6, s8
	s_and_b32 s30, s12, 0xff
	s_delay_alu instid0(SALU_CYCLE_1) | instskip(NEXT) | instid1(VALU_DEP_1)
	s_cmp_lt_i32 s30, 11
	v_ashrrev_i32_e32 v1, 31, v0
	s_delay_alu instid0(VALU_DEP_1)
	v_add_nc_u64_e32 v[0:1], s[4:5], v[0:1]
	s_cbranch_scc1 .LBB166_1091
; %bb.1085:
	s_and_b32 s31, 0xffff, s30
	s_delay_alu instid0(SALU_CYCLE_1)
	s_cmp_gt_i32 s31, 25
	s_cbranch_scc0 .LBB166_1092
; %bb.1086:
	s_cmp_gt_i32 s31, 28
	s_cbranch_scc0 .LBB166_1093
; %bb.1087:
	;; [unrolled: 3-line block ×4, first 2 shown]
	s_mov_b32 s34, 0
	s_mov_b32 s0, -1
	s_cmp_eq_u32 s31, 46
	s_mov_b32 s33, 0
	s_cbranch_scc0 .LBB166_1096
; %bb.1090:
	v_cndmask_b32_e64 v2, 0, 1.0, s29
	s_mov_b32 s33, -1
	s_mov_b32 s0, 0
	s_delay_alu instid0(VALU_DEP_1) | instskip(NEXT) | instid1(VALU_DEP_1)
	v_bfe_u32 v3, v2, 16, 1
	v_add3_u32 v2, v2, v3, 0x7fff
	s_delay_alu instid0(VALU_DEP_1)
	v_lshrrev_b32_e32 v2, 16, v2
	global_store_b32 v[0:1], v2, off
	s_branch .LBB166_1096
.LBB166_1091:
	s_mov_b32 s31, -1
	s_mov_b32 s33, 0
	s_mov_b32 s0, s23
	s_branch .LBB166_1165
.LBB166_1092:
	s_mov_b32 s33, 0
	s_mov_b32 s0, s23
	s_branch .LBB166_1123
.LBB166_1093:
	s_mov_b32 s33, 0
	s_mov_b32 s0, s23
	s_branch .LBB166_1106
.LBB166_1094:
	s_mov_b32 s33, 0
	s_mov_b32 s0, s23
	s_branch .LBB166_1102
.LBB166_1095:
	s_mov_b32 s33, 0
	s_mov_b32 s0, s23
.LBB166_1096:
	s_and_b32 vcc_lo, exec_lo, s34
	s_cbranch_vccz .LBB166_1101
; %bb.1097:
	s_cmp_eq_u32 s31, 44
	s_mov_b32 s0, -1
	s_cbranch_scc0 .LBB166_1101
; %bb.1098:
	v_cndmask_b32_e64 v4, 0, 1.0, s29
	s_mov_b32 s33, exec_lo
	s_wait_xcnt 0x0
	s_delay_alu instid0(VALU_DEP_1) | instskip(NEXT) | instid1(VALU_DEP_1)
	v_dual_mov_b32 v3, 0xff :: v_dual_lshrrev_b32 v2, 23, v4
	v_cmpx_ne_u32_e32 0xff, v2
; %bb.1099:
	v_and_b32_e32 v3, 0x400000, v4
	v_and_or_b32 v4, 0x3fffff, v4, v2
	s_delay_alu instid0(VALU_DEP_2) | instskip(NEXT) | instid1(VALU_DEP_2)
	v_cmp_ne_u32_e32 vcc_lo, 0, v3
	v_cmp_ne_u32_e64 s0, 0, v4
	s_and_b32 s0, vcc_lo, s0
	s_delay_alu instid0(SALU_CYCLE_1) | instskip(NEXT) | instid1(VALU_DEP_1)
	v_cndmask_b32_e64 v3, 0, 1, s0
	v_add_nc_u32_e32 v3, v2, v3
; %bb.1100:
	s_or_b32 exec_lo, exec_lo, s33
	s_mov_b32 s33, -1
	s_mov_b32 s0, 0
	global_store_b8 v[0:1], v3, off
.LBB166_1101:
	s_mov_b32 s34, 0
.LBB166_1102:
	s_delay_alu instid0(SALU_CYCLE_1)
	s_and_b32 vcc_lo, exec_lo, s34
	s_cbranch_vccz .LBB166_1105
; %bb.1103:
	s_cmp_eq_u32 s31, 29
	s_mov_b32 s0, -1
	s_cbranch_scc0 .LBB166_1105
; %bb.1104:
	s_mov_b32 s0, 0
	s_wait_xcnt 0x0
	v_cndmask_b32_e64 v2, 0, 1, s29
	v_mov_b32_e32 v3, s0
	s_mov_b32 s33, -1
	s_mov_b32 s34, 0
	global_store_b64 v[0:1], v[2:3], off
	s_branch .LBB166_1106
.LBB166_1105:
	s_mov_b32 s34, 0
.LBB166_1106:
	s_delay_alu instid0(SALU_CYCLE_1)
	s_and_b32 vcc_lo, exec_lo, s34
	s_cbranch_vccz .LBB166_1122
; %bb.1107:
	s_cmp_lt_i32 s31, 27
	s_mov_b32 s33, -1
	s_cbranch_scc1 .LBB166_1113
; %bb.1108:
	s_cmp_gt_i32 s31, 27
	s_cbranch_scc0 .LBB166_1110
; %bb.1109:
	s_wait_xcnt 0x0
	v_cndmask_b32_e64 v2, 0, 1, s29
	s_mov_b32 s33, 0
	global_store_b32 v[0:1], v2, off
.LBB166_1110:
	s_and_not1_b32 vcc_lo, exec_lo, s33
	s_cbranch_vccnz .LBB166_1112
; %bb.1111:
	s_wait_xcnt 0x0
	v_cndmask_b32_e64 v2, 0, 1, s29
	global_store_b16 v[0:1], v2, off
.LBB166_1112:
	s_mov_b32 s33, 0
.LBB166_1113:
	s_delay_alu instid0(SALU_CYCLE_1)
	s_and_not1_b32 vcc_lo, exec_lo, s33
	s_cbranch_vccnz .LBB166_1121
; %bb.1114:
	s_wait_xcnt 0x0
	v_cndmask_b32_e64 v3, 0, 1.0, s29
	v_mov_b32_e32 v4, 0x80
	s_mov_b32 s33, exec_lo
	s_delay_alu instid0(VALU_DEP_2)
	v_cmpx_gt_u32_e32 0x43800000, v3
	s_cbranch_execz .LBB166_1120
; %bb.1115:
	s_mov_b32 s34, 0
	s_mov_b32 s35, exec_lo
                                        ; implicit-def: $vgpr2
	v_cmpx_lt_u32_e32 0x3bffffff, v3
	s_xor_b32 s35, exec_lo, s35
	s_cbranch_execz .LBB166_1223
; %bb.1116:
	v_bfe_u32 v2, v3, 20, 1
	s_mov_b32 s34, exec_lo
	s_delay_alu instid0(VALU_DEP_1) | instskip(NEXT) | instid1(VALU_DEP_1)
	v_add3_u32 v2, v3, v2, 0x487ffff
                                        ; implicit-def: $vgpr3
	v_lshrrev_b32_e32 v2, 20, v2
	s_and_not1_saveexec_b32 s35, s35
	s_cbranch_execnz .LBB166_1224
.LBB166_1117:
	s_or_b32 exec_lo, exec_lo, s35
	v_mov_b32_e32 v4, 0
	s_and_saveexec_b32 s35, s34
.LBB166_1118:
	v_mov_b32_e32 v4, v2
.LBB166_1119:
	s_or_b32 exec_lo, exec_lo, s35
.LBB166_1120:
	s_delay_alu instid0(SALU_CYCLE_1)
	s_or_b32 exec_lo, exec_lo, s33
	global_store_b8 v[0:1], v4, off
.LBB166_1121:
	s_mov_b32 s33, -1
.LBB166_1122:
	s_mov_b32 s34, 0
.LBB166_1123:
	s_delay_alu instid0(SALU_CYCLE_1)
	s_and_b32 vcc_lo, exec_lo, s34
	s_cbranch_vccz .LBB166_1164
; %bb.1124:
	s_cmp_gt_i32 s31, 22
	s_mov_b32 s34, -1
	s_cbranch_scc0 .LBB166_1156
; %bb.1125:
	s_cmp_lt_i32 s31, 24
	s_mov_b32 s33, -1
	s_cbranch_scc1 .LBB166_1145
; %bb.1126:
	s_cmp_gt_i32 s31, 24
	s_cbranch_scc0 .LBB166_1134
; %bb.1127:
	s_wait_xcnt 0x0
	v_cndmask_b32_e64 v3, 0, 1.0, s29
	v_mov_b32_e32 v4, 0x80
	s_mov_b32 s33, exec_lo
	s_delay_alu instid0(VALU_DEP_2)
	v_cmpx_gt_u32_e32 0x47800000, v3
	s_cbranch_execz .LBB166_1133
; %bb.1128:
	s_mov_b32 s34, 0
	s_mov_b32 s35, exec_lo
                                        ; implicit-def: $vgpr2
	v_cmpx_lt_u32_e32 0x37ffffff, v3
	s_xor_b32 s35, exec_lo, s35
	s_cbranch_execz .LBB166_2298
; %bb.1129:
	v_bfe_u32 v2, v3, 21, 1
	s_mov_b32 s34, exec_lo
	s_delay_alu instid0(VALU_DEP_1) | instskip(NEXT) | instid1(VALU_DEP_1)
	v_add3_u32 v2, v3, v2, 0x88fffff
                                        ; implicit-def: $vgpr3
	v_lshrrev_b32_e32 v2, 21, v2
	s_and_not1_saveexec_b32 s35, s35
	s_cbranch_execnz .LBB166_2299
.LBB166_1130:
	s_or_b32 exec_lo, exec_lo, s35
	v_mov_b32_e32 v4, 0
	s_and_saveexec_b32 s35, s34
.LBB166_1131:
	v_mov_b32_e32 v4, v2
.LBB166_1132:
	s_or_b32 exec_lo, exec_lo, s35
.LBB166_1133:
	s_delay_alu instid0(SALU_CYCLE_1)
	s_or_b32 exec_lo, exec_lo, s33
	s_mov_b32 s33, 0
	global_store_b8 v[0:1], v4, off
.LBB166_1134:
	s_and_b32 vcc_lo, exec_lo, s33
	s_cbranch_vccz .LBB166_1144
; %bb.1135:
	s_wait_xcnt 0x0
	v_cndmask_b32_e64 v3, 0, 1.0, s29
	s_mov_b32 s33, exec_lo
                                        ; implicit-def: $vgpr2
	s_delay_alu instid0(VALU_DEP_1)
	v_cmpx_gt_u32_e32 0x43f00000, v3
	s_xor_b32 s33, exec_lo, s33
	s_cbranch_execz .LBB166_1141
; %bb.1136:
	s_mov_b32 s34, exec_lo
                                        ; implicit-def: $vgpr2
	v_cmpx_lt_u32_e32 0x3c7fffff, v3
	s_xor_b32 s34, exec_lo, s34
; %bb.1137:
	v_bfe_u32 v2, v3, 20, 1
	s_delay_alu instid0(VALU_DEP_1) | instskip(NEXT) | instid1(VALU_DEP_1)
	v_add3_u32 v2, v3, v2, 0x407ffff
	v_and_b32_e32 v3, 0xff00000, v2
	v_lshrrev_b32_e32 v2, 20, v2
	s_delay_alu instid0(VALU_DEP_2) | instskip(NEXT) | instid1(VALU_DEP_2)
	v_cmp_ne_u32_e32 vcc_lo, 0x7f00000, v3
                                        ; implicit-def: $vgpr3
	v_cndmask_b32_e32 v2, 0x7e, v2, vcc_lo
; %bb.1138:
	s_and_not1_saveexec_b32 s34, s34
; %bb.1139:
	v_add_f32_e32 v2, 0x46800000, v3
; %bb.1140:
	s_or_b32 exec_lo, exec_lo, s34
                                        ; implicit-def: $vgpr3
.LBB166_1141:
	s_and_not1_saveexec_b32 s33, s33
; %bb.1142:
	v_mov_b32_e32 v2, 0x7f
	v_cmp_lt_u32_e32 vcc_lo, 0x7f800000, v3
	s_delay_alu instid0(VALU_DEP_2)
	v_cndmask_b32_e32 v2, 0x7e, v2, vcc_lo
; %bb.1143:
	s_or_b32 exec_lo, exec_lo, s33
	global_store_b8 v[0:1], v2, off
.LBB166_1144:
	s_mov_b32 s33, 0
.LBB166_1145:
	s_delay_alu instid0(SALU_CYCLE_1)
	s_and_not1_b32 vcc_lo, exec_lo, s33
	s_cbranch_vccnz .LBB166_1155
; %bb.1146:
	s_wait_xcnt 0x0
	v_cndmask_b32_e64 v3, 0, 1.0, s29
	s_mov_b32 s33, exec_lo
                                        ; implicit-def: $vgpr2
	s_delay_alu instid0(VALU_DEP_1)
	v_cmpx_gt_u32_e32 0x47800000, v3
	s_xor_b32 s33, exec_lo, s33
	s_cbranch_execz .LBB166_1152
; %bb.1147:
	s_mov_b32 s34, exec_lo
                                        ; implicit-def: $vgpr2
	v_cmpx_lt_u32_e32 0x387fffff, v3
	s_xor_b32 s34, exec_lo, s34
; %bb.1148:
	v_bfe_u32 v2, v3, 21, 1
	s_delay_alu instid0(VALU_DEP_1) | instskip(NEXT) | instid1(VALU_DEP_1)
	v_add3_u32 v2, v3, v2, 0x80fffff
                                        ; implicit-def: $vgpr3
	v_lshrrev_b32_e32 v2, 21, v2
; %bb.1149:
	s_and_not1_saveexec_b32 s34, s34
; %bb.1150:
	v_add_f32_e32 v2, 0x43000000, v3
; %bb.1151:
	s_or_b32 exec_lo, exec_lo, s34
                                        ; implicit-def: $vgpr3
.LBB166_1152:
	s_and_not1_saveexec_b32 s33, s33
; %bb.1153:
	v_mov_b32_e32 v2, 0x7f
	v_cmp_lt_u32_e32 vcc_lo, 0x7f800000, v3
	s_delay_alu instid0(VALU_DEP_2)
	v_cndmask_b32_e32 v2, 0x7c, v2, vcc_lo
; %bb.1154:
	s_or_b32 exec_lo, exec_lo, s33
	global_store_b8 v[0:1], v2, off
.LBB166_1155:
	s_mov_b32 s34, 0
	s_mov_b32 s33, -1
.LBB166_1156:
	s_and_not1_b32 vcc_lo, exec_lo, s34
	s_cbranch_vccnz .LBB166_1164
; %bb.1157:
	s_cmp_gt_i32 s31, 14
	s_mov_b32 s34, -1
	s_cbranch_scc0 .LBB166_1161
; %bb.1158:
	s_cmp_eq_u32 s31, 15
	s_mov_b32 s0, -1
	s_cbranch_scc0 .LBB166_1160
; %bb.1159:
	s_wait_xcnt 0x0
	v_cndmask_b32_e64 v2, 0, 1.0, s29
	s_mov_b32 s33, -1
	s_mov_b32 s0, 0
	s_delay_alu instid0(VALU_DEP_1) | instskip(NEXT) | instid1(VALU_DEP_1)
	v_bfe_u32 v3, v2, 16, 1
	v_add3_u32 v2, v2, v3, 0x7fff
	global_store_d16_hi_b16 v[0:1], v2, off
.LBB166_1160:
	s_mov_b32 s34, 0
.LBB166_1161:
	s_delay_alu instid0(SALU_CYCLE_1)
	s_and_b32 vcc_lo, exec_lo, s34
	s_cbranch_vccz .LBB166_1164
; %bb.1162:
	s_cmp_eq_u32 s31, 11
	s_mov_b32 s0, -1
	s_cbranch_scc0 .LBB166_1164
; %bb.1163:
	s_wait_xcnt 0x0
	v_cndmask_b32_e64 v2, 0, 1, s29
	s_mov_b32 s33, -1
	s_mov_b32 s0, 0
	global_store_b8 v[0:1], v2, off
.LBB166_1164:
	s_mov_b32 s31, 0
.LBB166_1165:
	s_delay_alu instid0(SALU_CYCLE_1)
	s_and_b32 vcc_lo, exec_lo, s31
	s_cbranch_vccz .LBB166_1204
; %bb.1166:
	s_and_b32 s30, 0xffff, s30
	s_mov_b32 s31, -1
	s_cmp_lt_i32 s30, 5
	s_cbranch_scc1 .LBB166_1187
; %bb.1167:
	s_cmp_lt_i32 s30, 8
	s_cbranch_scc1 .LBB166_1177
; %bb.1168:
	;; [unrolled: 3-line block ×3, first 2 shown]
	s_cmp_gt_i32 s30, 9
	s_cbranch_scc0 .LBB166_1171
; %bb.1170:
	s_wait_xcnt 0x0
	v_cndmask_b32_e64 v2, 0, 1, s29
	v_mov_b32_e32 v4, 0
	s_mov_b32 s31, 0
	s_delay_alu instid0(VALU_DEP_2) | instskip(NEXT) | instid1(VALU_DEP_2)
	v_cvt_f64_u32_e32 v[2:3], v2
	v_mov_b32_e32 v5, v4
	global_store_b128 v[0:1], v[2:5], off
.LBB166_1171:
	s_and_not1_b32 vcc_lo, exec_lo, s31
	s_cbranch_vccnz .LBB166_1173
; %bb.1172:
	s_wait_xcnt 0x0
	v_cndmask_b32_e64 v2, 0, 1.0, s29
	v_mov_b32_e32 v3, 0
	global_store_b64 v[0:1], v[2:3], off
.LBB166_1173:
	s_mov_b32 s31, 0
.LBB166_1174:
	s_delay_alu instid0(SALU_CYCLE_1)
	s_and_not1_b32 vcc_lo, exec_lo, s31
	s_cbranch_vccnz .LBB166_1176
; %bb.1175:
	s_wait_xcnt 0x0
	v_cndmask_b32_e64 v2, 0, 1.0, s29
	s_delay_alu instid0(VALU_DEP_1) | instskip(NEXT) | instid1(VALU_DEP_1)
	v_cvt_f16_f32_e32 v2, v2
	v_and_b32_e32 v2, 0xffff, v2
	global_store_b32 v[0:1], v2, off
.LBB166_1176:
	s_mov_b32 s31, 0
.LBB166_1177:
	s_delay_alu instid0(SALU_CYCLE_1)
	s_and_not1_b32 vcc_lo, exec_lo, s31
	s_cbranch_vccnz .LBB166_1186
; %bb.1178:
	s_cmp_lt_i32 s30, 6
	s_mov_b32 s31, -1
	s_cbranch_scc1 .LBB166_1184
; %bb.1179:
	s_cmp_gt_i32 s30, 6
	s_cbranch_scc0 .LBB166_1181
; %bb.1180:
	s_wait_xcnt 0x0
	v_cndmask_b32_e64 v2, 0, 1, s29
	s_mov_b32 s31, 0
	s_delay_alu instid0(VALU_DEP_1)
	v_cvt_f64_u32_e32 v[2:3], v2
	global_store_b64 v[0:1], v[2:3], off
.LBB166_1181:
	s_and_not1_b32 vcc_lo, exec_lo, s31
	s_cbranch_vccnz .LBB166_1183
; %bb.1182:
	s_wait_xcnt 0x0
	v_cndmask_b32_e64 v2, 0, 1.0, s29
	global_store_b32 v[0:1], v2, off
.LBB166_1183:
	s_mov_b32 s31, 0
.LBB166_1184:
	s_delay_alu instid0(SALU_CYCLE_1)
	s_and_not1_b32 vcc_lo, exec_lo, s31
	s_cbranch_vccnz .LBB166_1186
; %bb.1185:
	s_wait_xcnt 0x0
	v_cndmask_b32_e64 v2, 0, 1.0, s29
	s_delay_alu instid0(VALU_DEP_1)
	v_cvt_f16_f32_e32 v2, v2
	global_store_b16 v[0:1], v2, off
.LBB166_1186:
	s_mov_b32 s31, 0
.LBB166_1187:
	s_delay_alu instid0(SALU_CYCLE_1)
	s_and_not1_b32 vcc_lo, exec_lo, s31
	s_cbranch_vccnz .LBB166_1203
; %bb.1188:
	s_cmp_lt_i32 s30, 2
	s_mov_b32 s31, -1
	s_cbranch_scc1 .LBB166_1198
; %bb.1189:
	s_cmp_lt_i32 s30, 3
	s_cbranch_scc1 .LBB166_1195
; %bb.1190:
	s_cmp_gt_i32 s30, 3
	s_cbranch_scc0 .LBB166_1192
; %bb.1191:
	s_mov_b32 s31, 0
	s_wait_xcnt 0x0
	v_cndmask_b32_e64 v2, 0, 1, s29
	v_mov_b32_e32 v3, s31
	global_store_b64 v[0:1], v[2:3], off
.LBB166_1192:
	s_and_not1_b32 vcc_lo, exec_lo, s31
	s_cbranch_vccnz .LBB166_1194
; %bb.1193:
	s_wait_xcnt 0x0
	v_cndmask_b32_e64 v2, 0, 1, s29
	global_store_b32 v[0:1], v2, off
.LBB166_1194:
	s_mov_b32 s31, 0
.LBB166_1195:
	s_delay_alu instid0(SALU_CYCLE_1)
	s_and_not1_b32 vcc_lo, exec_lo, s31
	s_cbranch_vccnz .LBB166_1197
; %bb.1196:
	s_wait_xcnt 0x0
	v_cndmask_b32_e64 v2, 0, 1, s29
	global_store_b16 v[0:1], v2, off
.LBB166_1197:
	s_mov_b32 s31, 0
.LBB166_1198:
	s_delay_alu instid0(SALU_CYCLE_1)
	s_and_not1_b32 vcc_lo, exec_lo, s31
	s_cbranch_vccnz .LBB166_1203
; %bb.1199:
	s_wait_xcnt 0x0
	v_cndmask_b32_e64 v2, 0, 1, s29
	s_cmp_gt_i32 s30, 0
	s_mov_b32 s29, -1
	s_cbranch_scc0 .LBB166_1201
; %bb.1200:
	s_mov_b32 s29, 0
	global_store_b8 v[0:1], v2, off
.LBB166_1201:
	s_and_not1_b32 vcc_lo, exec_lo, s29
	s_cbranch_vccnz .LBB166_1203
; %bb.1202:
	global_store_b8 v[0:1], v2, off
.LBB166_1203:
	s_mov_b32 s33, -1
.LBB166_1204:
	s_delay_alu instid0(SALU_CYCLE_1)
	s_and_not1_b32 vcc_lo, exec_lo, s33
	s_cbranch_vccnz .LBB166_1206
; %bb.1205:
	v_add_nc_u32_e32 v6, 0x80, v6
	s_mov_b32 s30, -1
	s_branch .LBB166_1208
.LBB166_1206:
	s_mov_b32 s30, 0
.LBB166_1207:
                                        ; implicit-def: $vgpr6
.LBB166_1208:
	s_and_not1_b32 s29, s23, exec_lo
	s_and_b32 s0, s0, exec_lo
	s_and_b32 s28, s28, exec_lo
	s_or_b32 s29, s29, s0
	s_and_not1_b32 s0, s24, exec_lo
	s_and_not1_b32 s31, s22, exec_lo
	s_and_b32 s27, s27, exec_lo
	s_or_b32 s28, s0, s28
	s_or_b32 s27, s31, s27
	s_or_not1_b32 s34, s30, exec_lo
.LBB166_1209:
	s_wait_xcnt 0x0
	s_or_b32 exec_lo, exec_lo, s26
	s_mov_b32 s30, 0
	s_mov_b32 s31, 0
	;; [unrolled: 1-line block ×3, first 2 shown]
                                        ; implicit-def: $sgpr0
                                        ; implicit-def: $vgpr0_vgpr1
                                        ; implicit-def: $vgpr3
                                        ; implicit-def: $vgpr2
	s_and_saveexec_b32 s26, s34
	s_cbranch_execz .LBB166_1295
; %bb.1210:
	v_cmp_gt_i32_e32 vcc_lo, s17, v6
	s_mov_b32 s35, s27
	s_mov_b32 s34, 0
	;; [unrolled: 1-line block ×3, first 2 shown]
                                        ; implicit-def: $sgpr0
                                        ; implicit-def: $vgpr0_vgpr1
                                        ; implicit-def: $vgpr3
                                        ; implicit-def: $vgpr2
	s_and_saveexec_b32 s17, vcc_lo
	s_cbranch_execz .LBB166_1294
; %bb.1211:
	v_mul_lo_u32 v0, v6, s9
	s_and_b32 s0, s14, 0xff
	s_delay_alu instid0(SALU_CYCLE_1) | instskip(NEXT) | instid1(VALU_DEP_1)
	s_cmp_lt_i32 s0, 11
	v_ashrrev_i32_e32 v1, 31, v0
	s_delay_alu instid0(VALU_DEP_1)
	v_add_nc_u64_e32 v[0:1], s[6:7], v[0:1]
	s_cbranch_scc1 .LBB166_1218
; %bb.1212:
	s_and_b32 s30, 0xffff, s0
	s_delay_alu instid0(SALU_CYCLE_1)
	s_cmp_gt_i32 s30, 25
	s_cbranch_scc0 .LBB166_1219
; %bb.1213:
	s_cmp_gt_i32 s30, 28
	s_cbranch_scc0 .LBB166_1220
; %bb.1214:
	;; [unrolled: 3-line block ×4, first 2 shown]
	s_cmp_eq_u32 s30, 46
	s_mov_b32 s35, 0
	s_cbranch_scc0 .LBB166_1225
; %bb.1217:
	s_wait_loadcnt 0x0
	global_load_b32 v2, v[0:1], off
	s_mov_b32 s34, -1
	s_wait_loadcnt 0x0
	v_and_b32_e32 v3, 0xffff0000, v2
	s_branch .LBB166_1227
.LBB166_1218:
	s_mov_b32 s30, -1
	s_mov_b32 s31, s27
                                        ; implicit-def: $vgpr3
                                        ; implicit-def: $vgpr2
	s_branch .LBB166_1293
.LBB166_1219:
	s_mov_b32 s35, -1
	s_mov_b32 s31, s27
                                        ; implicit-def: $vgpr3
                                        ; implicit-def: $vgpr2
	s_branch .LBB166_1258
.LBB166_1220:
	s_mov_b32 s35, -1
	s_mov_b32 s31, s27
                                        ; implicit-def: $vgpr3
                                        ; implicit-def: $vgpr2
	s_branch .LBB166_1239
.LBB166_1221:
	s_mov_b32 s35, -1
	s_mov_b32 s31, s27
                                        ; implicit-def: $vgpr3
                                        ; implicit-def: $vgpr2
	s_branch .LBB166_1233
.LBB166_1222:
	s_mov_b32 s35, -1
	s_mov_b32 s31, s27
	s_branch .LBB166_1226
.LBB166_1223:
	s_and_not1_saveexec_b32 s35, s35
	s_cbranch_execz .LBB166_1117
.LBB166_1224:
	v_add_f32_e32 v2, 0x46000000, v3
	s_and_not1_b32 s34, s34, exec_lo
	s_delay_alu instid0(VALU_DEP_1) | instskip(NEXT) | instid1(VALU_DEP_1)
	v_and_b32_e32 v2, 0xff, v2
	v_cmp_ne_u32_e32 vcc_lo, 0, v2
	s_and_b32 s36, vcc_lo, exec_lo
	s_delay_alu instid0(SALU_CYCLE_1)
	s_or_b32 s34, s34, s36
	s_or_b32 exec_lo, exec_lo, s35
	v_mov_b32_e32 v4, 0
	s_and_saveexec_b32 s35, s34
	s_cbranch_execnz .LBB166_1118
	s_branch .LBB166_1119
.LBB166_1225:
	s_mov_b32 s31, -1
.LBB166_1226:
                                        ; implicit-def: $vgpr3
                                        ; implicit-def: $vgpr2
.LBB166_1227:
	s_and_b32 vcc_lo, exec_lo, s35
	s_cbranch_vccz .LBB166_1232
; %bb.1228:
	s_cmp_eq_u32 s30, 44
	s_cbranch_scc0 .LBB166_1230
; %bb.1229:
	s_wait_loadcnt 0x0
	global_load_u8 v2, v[0:1], off
	s_mov_b32 s31, 0
	s_mov_b32 s34, -1
	s_wait_loadcnt 0x0
	v_lshlrev_b32_e32 v3, 23, v2
	v_cmp_ne_u32_e32 vcc_lo, 0xff, v2
	s_delay_alu instid0(VALU_DEP_2) | instskip(SKIP_1) | instid1(VALU_DEP_2)
	v_cndmask_b32_e32 v3, 0x7f800001, v3, vcc_lo
	v_cmp_ne_u32_e32 vcc_lo, 0, v2
	v_cndmask_b32_e32 v2, 0x400000, v3, vcc_lo
	s_delay_alu instid0(VALU_DEP_1) | instskip(NEXT) | instid1(VALU_DEP_1)
	v_add_nc_u32_e32 v3, 0x7fff, v2
	v_lshrrev_b32_e32 v3, 16, v3
	v_cmp_o_f32_e32 vcc_lo, v2, v2
	s_delay_alu instid0(VALU_DEP_2)
	v_cndmask_b32_e32 v2, 0x7fc0, v3, vcc_lo
	s_branch .LBB166_1231
.LBB166_1230:
	s_mov_b32 s31, -1
                                        ; implicit-def: $vgpr2
.LBB166_1231:
	v_mov_b32_e32 v3, 0
.LBB166_1232:
	s_mov_b32 s35, 0
.LBB166_1233:
	s_delay_alu instid0(SALU_CYCLE_1)
	s_and_b32 vcc_lo, exec_lo, s35
	s_cbranch_vccz .LBB166_1238
; %bb.1234:
	s_cmp_eq_u32 s30, 29
	s_cbranch_scc0 .LBB166_1236
; %bb.1235:
	s_wait_loadcnt 0x0
	global_load_b64 v[2:3], v[0:1], off
	s_mov_b32 s31, 0
	s_mov_b32 s34, -1
	s_wait_loadcnt 0x0
	v_clz_i32_u32_e32 v4, v3
	s_delay_alu instid0(VALU_DEP_1) | instskip(NEXT) | instid1(VALU_DEP_1)
	v_min_u32_e32 v4, 32, v4
	v_lshlrev_b64_e32 v[2:3], v4, v[2:3]
	s_delay_alu instid0(VALU_DEP_1) | instskip(NEXT) | instid1(VALU_DEP_1)
	v_min_u32_e32 v2, 1, v2
	v_dual_sub_nc_u32 v3, 32, v4 :: v_dual_bitop2_b32 v2, v3, v2 bitop3:0x54
	s_delay_alu instid0(VALU_DEP_1) | instskip(NEXT) | instid1(VALU_DEP_1)
	v_cvt_f32_u32_e32 v2, v2
	v_ldexp_f32 v2, v2, v3
	s_delay_alu instid0(VALU_DEP_1) | instskip(NEXT) | instid1(VALU_DEP_1)
	v_bfe_u32 v3, v2, 16, 1
	v_add3_u32 v2, v2, v3, 0x7fff
	s_delay_alu instid0(VALU_DEP_1)
	v_lshrrev_b32_e32 v2, 16, v2
	s_branch .LBB166_1237
.LBB166_1236:
	s_mov_b32 s31, -1
                                        ; implicit-def: $vgpr2
.LBB166_1237:
	v_mov_b32_e32 v3, 0
.LBB166_1238:
	s_mov_b32 s35, 0
.LBB166_1239:
	s_delay_alu instid0(SALU_CYCLE_1)
	s_and_b32 vcc_lo, exec_lo, s35
	s_cbranch_vccz .LBB166_1257
; %bb.1240:
	s_cmp_lt_i32 s30, 27
	s_cbranch_scc1 .LBB166_1243
; %bb.1241:
	s_cmp_gt_i32 s30, 27
	s_cbranch_scc0 .LBB166_1244
; %bb.1242:
	s_wait_loadcnt 0x0
	global_load_b32 v2, v[0:1], off
	s_mov_b32 s34, 0
	s_wait_loadcnt 0x0
	v_cvt_f32_u32_e32 v2, v2
	s_delay_alu instid0(VALU_DEP_1) | instskip(NEXT) | instid1(VALU_DEP_1)
	v_bfe_u32 v3, v2, 16, 1
	v_add3_u32 v2, v2, v3, 0x7fff
	s_delay_alu instid0(VALU_DEP_1)
	v_lshrrev_b32_e32 v2, 16, v2
	s_branch .LBB166_1245
.LBB166_1243:
	s_mov_b32 s34, -1
                                        ; implicit-def: $vgpr2
	s_branch .LBB166_1248
.LBB166_1244:
	s_mov_b32 s34, -1
                                        ; implicit-def: $vgpr2
.LBB166_1245:
	s_delay_alu instid0(SALU_CYCLE_1)
	s_and_not1_b32 vcc_lo, exec_lo, s34
	s_cbranch_vccnz .LBB166_1247
; %bb.1246:
	s_wait_loadcnt 0x0
	global_load_u16 v2, v[0:1], off
	s_wait_loadcnt 0x0
	v_cvt_f32_u32_e32 v2, v2
	s_delay_alu instid0(VALU_DEP_1) | instskip(NEXT) | instid1(VALU_DEP_1)
	v_bfe_u32 v3, v2, 16, 1
	v_add3_u32 v2, v2, v3, 0x7fff
	s_delay_alu instid0(VALU_DEP_1)
	v_lshrrev_b32_e32 v2, 16, v2
.LBB166_1247:
	s_mov_b32 s34, 0
.LBB166_1248:
	s_delay_alu instid0(SALU_CYCLE_1)
	s_and_not1_b32 vcc_lo, exec_lo, s34
	s_cbranch_vccnz .LBB166_1256
; %bb.1249:
	s_wait_loadcnt 0x0
	global_load_u8 v2, v[0:1], off
	s_mov_b32 s34, 0
	s_mov_b32 s35, exec_lo
	s_wait_loadcnt 0x0
	v_cmpx_lt_i16_e32 0x7f, v2
	s_xor_b32 s35, exec_lo, s35
	s_cbranch_execz .LBB166_1270
; %bb.1250:
	s_mov_b32 s34, -1
	s_mov_b32 s36, exec_lo
	v_cmpx_eq_u16_e32 0x80, v2
; %bb.1251:
	s_xor_b32 s34, exec_lo, -1
; %bb.1252:
	s_or_b32 exec_lo, exec_lo, s36
	s_delay_alu instid0(SALU_CYCLE_1)
	s_and_b32 s34, s34, exec_lo
	s_or_saveexec_b32 s35, s35
	v_mov_b32_e32 v3, 0x7f800001
	s_xor_b32 exec_lo, exec_lo, s35
	s_cbranch_execnz .LBB166_1271
.LBB166_1253:
	s_or_b32 exec_lo, exec_lo, s35
	s_and_saveexec_b32 s35, s34
	s_cbranch_execz .LBB166_1255
.LBB166_1254:
	v_and_b32_e32 v3, 0xffff, v2
	s_delay_alu instid0(VALU_DEP_1) | instskip(SKIP_1) | instid1(VALU_DEP_2)
	v_and_b32_e32 v4, 7, v3
	v_bfe_u32 v8, v3, 3, 4
	v_clz_i32_u32_e32 v5, v4
	s_delay_alu instid0(VALU_DEP_2) | instskip(NEXT) | instid1(VALU_DEP_2)
	v_cmp_eq_u32_e32 vcc_lo, 0, v8
	v_min_u32_e32 v5, 32, v5
	s_delay_alu instid0(VALU_DEP_1) | instskip(NEXT) | instid1(VALU_DEP_1)
	v_subrev_nc_u32_e32 v7, 28, v5
	v_dual_lshlrev_b32 v3, v7, v3 :: v_dual_sub_nc_u32 v5, 29, v5
	s_delay_alu instid0(VALU_DEP_1) | instskip(NEXT) | instid1(VALU_DEP_2)
	v_dual_lshlrev_b32 v2, 24, v2 :: v_dual_bitop2_b32 v3, 7, v3 bitop3:0x40
	v_cndmask_b32_e32 v5, v8, v5, vcc_lo
	s_delay_alu instid0(VALU_DEP_2) | instskip(NEXT) | instid1(VALU_DEP_3)
	v_cndmask_b32_e32 v3, v4, v3, vcc_lo
	v_and_b32_e32 v2, 0x80000000, v2
	s_delay_alu instid0(VALU_DEP_3) | instskip(NEXT) | instid1(VALU_DEP_3)
	v_lshl_add_u32 v4, v5, 23, 0x3b800000
	v_lshlrev_b32_e32 v3, 20, v3
	s_delay_alu instid0(VALU_DEP_1)
	v_or3_b32 v3, v2, v4, v3
.LBB166_1255:
	s_or_b32 exec_lo, exec_lo, s35
	s_delay_alu instid0(VALU_DEP_1) | instskip(SKIP_1) | instid1(VALU_DEP_2)
	v_bfe_u32 v2, v3, 16, 1
	v_cmp_o_f32_e32 vcc_lo, v3, v3
	v_add3_u32 v2, v3, v2, 0x7fff
	s_delay_alu instid0(VALU_DEP_1) | instskip(NEXT) | instid1(VALU_DEP_1)
	v_lshrrev_b32_e32 v2, 16, v2
	v_cndmask_b32_e32 v2, 0x7fc0, v2, vcc_lo
.LBB166_1256:
	v_mov_b32_e32 v3, 0
	s_mov_b32 s34, -1
.LBB166_1257:
	s_mov_b32 s35, 0
.LBB166_1258:
	s_delay_alu instid0(SALU_CYCLE_1)
	s_and_b32 vcc_lo, exec_lo, s35
	s_cbranch_vccz .LBB166_1292
; %bb.1259:
	s_cmp_gt_i32 s30, 22
	s_cbranch_scc0 .LBB166_1269
; %bb.1260:
	s_cmp_lt_i32 s30, 24
	s_cbranch_scc1 .LBB166_1272
; %bb.1261:
	s_cmp_gt_i32 s30, 24
	s_cbranch_scc0 .LBB166_1273
; %bb.1262:
	s_wait_loadcnt 0x0
	global_load_u8 v2, v[0:1], off
	s_mov_b32 s34, exec_lo
	s_wait_loadcnt 0x0
	v_cmpx_lt_i16_e32 0x7f, v2
	s_xor_b32 s34, exec_lo, s34
	s_cbranch_execz .LBB166_1285
; %bb.1263:
	s_mov_b32 s33, -1
	s_mov_b32 s35, exec_lo
	v_cmpx_eq_u16_e32 0x80, v2
; %bb.1264:
	s_xor_b32 s33, exec_lo, -1
; %bb.1265:
	s_or_b32 exec_lo, exec_lo, s35
	s_delay_alu instid0(SALU_CYCLE_1)
	s_and_b32 s33, s33, exec_lo
	s_or_saveexec_b32 s34, s34
	v_mov_b32_e32 v3, 0x7f800001
	s_xor_b32 exec_lo, exec_lo, s34
	s_cbranch_execnz .LBB166_1286
.LBB166_1266:
	s_or_b32 exec_lo, exec_lo, s34
	s_and_saveexec_b32 s34, s33
	s_cbranch_execz .LBB166_1268
.LBB166_1267:
	v_and_b32_e32 v3, 0xffff, v2
	s_delay_alu instid0(VALU_DEP_1) | instskip(SKIP_1) | instid1(VALU_DEP_2)
	v_and_b32_e32 v4, 3, v3
	v_bfe_u32 v8, v3, 2, 5
	v_clz_i32_u32_e32 v5, v4
	s_delay_alu instid0(VALU_DEP_2) | instskip(NEXT) | instid1(VALU_DEP_2)
	v_cmp_eq_u32_e32 vcc_lo, 0, v8
	v_min_u32_e32 v5, 32, v5
	s_delay_alu instid0(VALU_DEP_1) | instskip(NEXT) | instid1(VALU_DEP_1)
	v_subrev_nc_u32_e32 v7, 29, v5
	v_dual_lshlrev_b32 v3, v7, v3 :: v_dual_sub_nc_u32 v5, 30, v5
	s_delay_alu instid0(VALU_DEP_1) | instskip(NEXT) | instid1(VALU_DEP_2)
	v_dual_lshlrev_b32 v2, 24, v2 :: v_dual_bitop2_b32 v3, 3, v3 bitop3:0x40
	v_cndmask_b32_e32 v5, v8, v5, vcc_lo
	s_delay_alu instid0(VALU_DEP_2) | instskip(NEXT) | instid1(VALU_DEP_3)
	v_cndmask_b32_e32 v3, v4, v3, vcc_lo
	v_and_b32_e32 v2, 0x80000000, v2
	s_delay_alu instid0(VALU_DEP_3) | instskip(NEXT) | instid1(VALU_DEP_3)
	v_lshl_add_u32 v4, v5, 23, 0x37800000
	v_lshlrev_b32_e32 v3, 21, v3
	s_delay_alu instid0(VALU_DEP_1)
	v_or3_b32 v3, v2, v4, v3
.LBB166_1268:
	s_or_b32 exec_lo, exec_lo, s34
	s_delay_alu instid0(VALU_DEP_1) | instskip(SKIP_2) | instid1(VALU_DEP_2)
	v_bfe_u32 v2, v3, 16, 1
	v_cmp_o_f32_e32 vcc_lo, v3, v3
	s_mov_b32 s33, 0
	v_add3_u32 v2, v3, v2, 0x7fff
	s_delay_alu instid0(VALU_DEP_1) | instskip(NEXT) | instid1(VALU_DEP_1)
	v_lshrrev_b32_e32 v2, 16, v2
	v_cndmask_b32_e32 v2, 0x7fc0, v2, vcc_lo
	s_branch .LBB166_1274
.LBB166_1269:
	s_mov_b32 s33, -1
                                        ; implicit-def: $vgpr2
	s_branch .LBB166_1280
.LBB166_1270:
	s_or_saveexec_b32 s35, s35
	v_mov_b32_e32 v3, 0x7f800001
	s_xor_b32 exec_lo, exec_lo, s35
	s_cbranch_execz .LBB166_1253
.LBB166_1271:
	v_cmp_ne_u16_e32 vcc_lo, 0, v2
	v_mov_b32_e32 v3, 0
	s_and_not1_b32 s34, s34, exec_lo
	s_and_b32 s36, vcc_lo, exec_lo
	s_delay_alu instid0(SALU_CYCLE_1)
	s_or_b32 s34, s34, s36
	s_or_b32 exec_lo, exec_lo, s35
	s_and_saveexec_b32 s35, s34
	s_cbranch_execnz .LBB166_1254
	s_branch .LBB166_1255
.LBB166_1272:
	s_mov_b32 s33, -1
                                        ; implicit-def: $vgpr2
	s_branch .LBB166_1277
.LBB166_1273:
	s_mov_b32 s33, -1
                                        ; implicit-def: $vgpr2
.LBB166_1274:
	s_delay_alu instid0(SALU_CYCLE_1)
	s_and_b32 vcc_lo, exec_lo, s33
	s_cbranch_vccz .LBB166_1276
; %bb.1275:
	s_wait_loadcnt 0x0
	global_load_u8 v2, v[0:1], off
	s_wait_loadcnt 0x0
	v_lshlrev_b32_e32 v2, 24, v2
	s_delay_alu instid0(VALU_DEP_1) | instskip(NEXT) | instid1(VALU_DEP_1)
	v_and_b32_e32 v3, 0x7f000000, v2
	v_clz_i32_u32_e32 v4, v3
	v_add_nc_u32_e32 v7, 0x1000000, v3
	v_cmp_ne_u32_e32 vcc_lo, 0, v3
	s_delay_alu instid0(VALU_DEP_3) | instskip(NEXT) | instid1(VALU_DEP_1)
	v_min_u32_e32 v4, 32, v4
	v_sub_nc_u32_e64 v4, v4, 4 clamp
	s_delay_alu instid0(VALU_DEP_1) | instskip(NEXT) | instid1(VALU_DEP_1)
	v_dual_lshlrev_b32 v5, v4, v3 :: v_dual_lshlrev_b32 v4, 23, v4
	v_lshrrev_b32_e32 v5, 4, v5
	s_delay_alu instid0(VALU_DEP_1) | instskip(NEXT) | instid1(VALU_DEP_1)
	v_dual_sub_nc_u32 v4, v5, v4 :: v_dual_ashrrev_i32 v5, 8, v7
	v_add_nc_u32_e32 v4, 0x3c000000, v4
	s_delay_alu instid0(VALU_DEP_1) | instskip(NEXT) | instid1(VALU_DEP_1)
	v_and_or_b32 v4, 0x7f800000, v5, v4
	v_cndmask_b32_e32 v3, 0, v4, vcc_lo
	s_delay_alu instid0(VALU_DEP_1) | instskip(SKIP_1) | instid1(VALU_DEP_2)
	v_and_or_b32 v2, 0x80000000, v2, v3
	v_bfe_u32 v3, v3, 16, 1
	v_cmp_o_f32_e32 vcc_lo, v2, v2
	s_delay_alu instid0(VALU_DEP_2) | instskip(NEXT) | instid1(VALU_DEP_1)
	v_add3_u32 v3, v2, v3, 0x7fff
	v_lshrrev_b32_e32 v3, 16, v3
	s_delay_alu instid0(VALU_DEP_1)
	v_cndmask_b32_e32 v2, 0x7fc0, v3, vcc_lo
.LBB166_1276:
	s_mov_b32 s33, 0
.LBB166_1277:
	s_delay_alu instid0(SALU_CYCLE_1)
	s_and_not1_b32 vcc_lo, exec_lo, s33
	s_cbranch_vccnz .LBB166_1279
; %bb.1278:
	s_wait_loadcnt 0x0
	global_load_u8 v2, v[0:1], off
	s_wait_loadcnt 0x0
	v_lshlrev_b32_e32 v3, 25, v2
	v_lshlrev_b16 v2, 8, v2
	s_delay_alu instid0(VALU_DEP_1) | instskip(SKIP_1) | instid1(VALU_DEP_2)
	v_and_or_b32 v5, 0x7f00, v2, 0.5
	v_bfe_i32 v2, v2, 0, 16
	v_dual_add_f32 v5, -0.5, v5 :: v_dual_lshrrev_b32 v4, 4, v3
	v_cmp_gt_u32_e32 vcc_lo, 0x8000000, v3
	s_delay_alu instid0(VALU_DEP_2) | instskip(NEXT) | instid1(VALU_DEP_1)
	v_or_b32_e32 v4, 0x70000000, v4
	v_mul_f32_e32 v4, 0x7800000, v4
	s_delay_alu instid0(VALU_DEP_1) | instskip(NEXT) | instid1(VALU_DEP_1)
	v_cndmask_b32_e32 v3, v4, v5, vcc_lo
	v_and_or_b32 v2, 0x80000000, v2, v3
	v_bfe_u32 v3, v3, 16, 1
	s_delay_alu instid0(VALU_DEP_2) | instskip(NEXT) | instid1(VALU_DEP_2)
	v_cmp_o_f32_e32 vcc_lo, v2, v2
	v_add3_u32 v3, v2, v3, 0x7fff
	s_delay_alu instid0(VALU_DEP_1) | instskip(NEXT) | instid1(VALU_DEP_1)
	v_lshrrev_b32_e32 v3, 16, v3
	v_cndmask_b32_e32 v2, 0x7fc0, v3, vcc_lo
.LBB166_1279:
	s_mov_b32 s33, 0
	s_mov_b32 s34, -1
.LBB166_1280:
	s_and_not1_b32 vcc_lo, exec_lo, s33
	s_mov_b32 s33, 0
	s_cbranch_vccnz .LBB166_1291
; %bb.1281:
	s_cmp_gt_i32 s30, 14
	s_cbranch_scc0 .LBB166_1284
; %bb.1282:
	s_cmp_eq_u32 s30, 15
	s_cbranch_scc0 .LBB166_1287
; %bb.1283:
	s_wait_loadcnt 0x0
	global_load_u16 v2, v[0:1], off
	s_mov_b32 s31, 0
	s_mov_b32 s34, -1
	s_branch .LBB166_1289
.LBB166_1284:
	s_mov_b32 s33, -1
	s_branch .LBB166_1288
.LBB166_1285:
	s_or_saveexec_b32 s34, s34
	v_mov_b32_e32 v3, 0x7f800001
	s_xor_b32 exec_lo, exec_lo, s34
	s_cbranch_execz .LBB166_1266
.LBB166_1286:
	v_cmp_ne_u16_e32 vcc_lo, 0, v2
	v_mov_b32_e32 v3, 0
	s_and_not1_b32 s33, s33, exec_lo
	s_and_b32 s35, vcc_lo, exec_lo
	s_delay_alu instid0(SALU_CYCLE_1)
	s_or_b32 s33, s33, s35
	s_or_b32 exec_lo, exec_lo, s34
	s_and_saveexec_b32 s34, s33
	s_cbranch_execnz .LBB166_1267
	s_branch .LBB166_1268
.LBB166_1287:
	s_mov_b32 s31, -1
.LBB166_1288:
                                        ; implicit-def: $vgpr2
.LBB166_1289:
	s_and_b32 vcc_lo, exec_lo, s33
	s_mov_b32 s33, 0
	s_cbranch_vccz .LBB166_1291
; %bb.1290:
	s_cmp_lg_u32 s30, 11
	s_mov_b32 s33, -1
	s_cselect_b32 s30, -1, 0
	s_and_not1_b32 s31, s31, exec_lo
	s_and_b32 s30, s30, exec_lo
	s_delay_alu instid0(SALU_CYCLE_1)
	s_or_b32 s31, s31, s30
.LBB166_1291:
	v_mov_b32_e32 v3, 0
.LBB166_1292:
	s_mov_b32 s30, 0
.LBB166_1293:
	s_and_not1_b32 s35, s27, exec_lo
	s_and_b32 s31, s31, exec_lo
	s_and_b32 s36, s34, exec_lo
	;; [unrolled: 1-line block ×4, first 2 shown]
	s_or_b32 s35, s35, s31
.LBB166_1294:
	s_wait_xcnt 0x0
	s_or_b32 exec_lo, exec_lo, s17
	s_delay_alu instid0(SALU_CYCLE_1)
	s_and_not1_b32 s17, s27, exec_lo
	s_and_b32 s27, s35, exec_lo
	s_and_b32 s33, s36, exec_lo
	;; [unrolled: 1-line block ×4, first 2 shown]
	s_or_b32 s27, s17, s27
.LBB166_1295:
	s_or_b32 exec_lo, exec_lo, s26
	s_delay_alu instid0(SALU_CYCLE_1)
	s_and_not1_b32 s17, s23, exec_lo
	s_and_b32 s23, s29, exec_lo
	s_and_not1_b32 s24, s24, exec_lo
	s_and_b32 s26, s28, exec_lo
	s_or_b32 s23, s17, s23
	s_and_not1_b32 s17, s22, exec_lo
	s_and_b32 s22, s27, exec_lo
	s_or_b32 s24, s24, s26
	s_and_b32 s29, s33, exec_lo
	s_and_b32 s28, s31, exec_lo
	;; [unrolled: 1-line block ×3, first 2 shown]
	s_or_b32 s22, s17, s22
.LBB166_1296:
	s_or_b32 exec_lo, exec_lo, s25
	s_delay_alu instid0(SALU_CYCLE_1)
	s_and_not1_b32 s17, s18, exec_lo
	s_and_b32 s18, s23, exec_lo
	s_and_not1_b32 s19, s19, exec_lo
	s_and_b32 s23, s24, exec_lo
	s_or_b32 s18, s17, s18
	s_and_not1_b32 s17, s20, exec_lo
	s_and_b32 s20, s22, exec_lo
	s_or_b32 s19, s19, s23
	s_and_b32 s23, s29, exec_lo
	s_and_b32 s24, s28, exec_lo
	;; [unrolled: 1-line block ×3, first 2 shown]
	s_or_b32 s20, s17, s20
	s_or_b32 exec_lo, exec_lo, s21
	s_mov_b32 s17, 0
	s_and_saveexec_b32 s21, s20
	s_cbranch_execz .LBB166_405
.LBB166_1297:
	s_mov_b32 s17, exec_lo
	s_and_not1_b32 s22, s22, exec_lo
	s_trap 2
	s_or_b32 exec_lo, exec_lo, s21
	s_and_saveexec_b32 s20, s22
	s_delay_alu instid0(SALU_CYCLE_1)
	s_xor_b32 s20, exec_lo, s20
	s_cbranch_execnz .LBB166_406
.LBB166_1298:
	s_or_b32 exec_lo, exec_lo, s20
	s_and_saveexec_b32 s20, s24
	s_cbranch_execz .LBB166_1346
.LBB166_1299:
	s_sext_i32_i16 s21, s0
	s_delay_alu instid0(SALU_CYCLE_1)
	s_cmp_lt_i32 s21, 5
	s_cbranch_scc1 .LBB166_1304
; %bb.1300:
	s_cmp_lt_i32 s21, 8
	s_cbranch_scc1 .LBB166_1305
; %bb.1301:
	;; [unrolled: 3-line block ×3, first 2 shown]
	s_cmp_gt_i32 s21, 9
	s_cbranch_scc0 .LBB166_1307
; %bb.1303:
	s_wait_loadcnt 0x0
	global_load_b128 v[2:5], v[0:1], off
	s_mov_b32 s21, 0
	s_wait_loadcnt 0x0
	v_cvt_f32_f64_e32 v2, v[2:3]
	v_cvt_f32_f64_e32 v3, v[4:5]
	s_delay_alu instid0(VALU_DEP_2) | instskip(NEXT) | instid1(VALU_DEP_2)
	v_bfe_u32 v4, v2, 16, 1
	v_bfe_u32 v5, v3, 16, 1
	v_cmp_o_f32_e32 vcc_lo, v2, v2
	s_delay_alu instid0(VALU_DEP_3) | instskip(NEXT) | instid1(VALU_DEP_3)
	v_add3_u32 v4, v2, v4, 0x7fff
	v_add3_u32 v5, v3, v5, 0x7fff
	s_delay_alu instid0(VALU_DEP_1) | instskip(NEXT) | instid1(VALU_DEP_3)
	v_and_b32_e32 v5, 0xffff0000, v5
	v_lshrrev_b32_e32 v4, 16, v4
	s_delay_alu instid0(VALU_DEP_1) | instskip(SKIP_1) | instid1(VALU_DEP_4)
	v_cndmask_b32_e32 v2, 0x7fc0, v4, vcc_lo
	v_cmp_o_f32_e32 vcc_lo, v3, v3
	v_cndmask_b32_e32 v3, 0x7fc00000, v5, vcc_lo
	s_branch .LBB166_1308
.LBB166_1304:
                                        ; implicit-def: $vgpr3
                                        ; implicit-def: $vgpr2
	s_branch .LBB166_1326
.LBB166_1305:
                                        ; implicit-def: $vgpr3
                                        ; implicit-def: $vgpr2
	s_branch .LBB166_1314
.LBB166_1306:
	s_mov_b32 s21, -1
                                        ; implicit-def: $vgpr3
                                        ; implicit-def: $vgpr2
	s_branch .LBB166_1311
.LBB166_1307:
	s_mov_b32 s21, -1
                                        ; implicit-def: $vgpr3
                                        ; implicit-def: $vgpr2
.LBB166_1308:
	s_delay_alu instid0(SALU_CYCLE_1)
	s_and_not1_b32 vcc_lo, exec_lo, s21
	s_cbranch_vccnz .LBB166_1310
; %bb.1309:
	s_wait_loadcnt 0x0
	global_load_b64 v[2:3], v[0:1], off
	s_wait_loadcnt 0x0
	v_bfe_u32 v4, v2, 16, 1
	v_bfe_u32 v5, v3, 16, 1
	v_cmp_o_f32_e32 vcc_lo, v2, v2
	s_delay_alu instid0(VALU_DEP_3) | instskip(NEXT) | instid1(VALU_DEP_3)
	v_add3_u32 v4, v2, v4, 0x7fff
	v_add3_u32 v5, v3, v5, 0x7fff
	s_delay_alu instid0(VALU_DEP_1) | instskip(NEXT) | instid1(VALU_DEP_3)
	v_and_b32_e32 v5, 0xffff0000, v5
	v_lshrrev_b32_e32 v4, 16, v4
	s_delay_alu instid0(VALU_DEP_1) | instskip(SKIP_1) | instid1(VALU_DEP_4)
	v_cndmask_b32_e32 v2, 0x7fc0, v4, vcc_lo
	v_cmp_o_f32_e32 vcc_lo, v3, v3
	v_cndmask_b32_e32 v3, 0x7fc00000, v5, vcc_lo
.LBB166_1310:
	s_mov_b32 s21, 0
.LBB166_1311:
	s_delay_alu instid0(SALU_CYCLE_1)
	s_and_not1_b32 vcc_lo, exec_lo, s21
	s_cbranch_vccnz .LBB166_1313
; %bb.1312:
	s_wait_loadcnt 0x0
	global_load_b32 v2, v[0:1], off
	s_wait_loadcnt 0x0
	v_cvt_f32_f16_e32 v4, v2
	v_cmp_o_f16_e32 vcc_lo, v2, v2
	s_delay_alu instid0(VALU_DEP_2) | instskip(NEXT) | instid1(VALU_DEP_1)
	v_bfe_u32 v7, v4, 16, 1
	v_add3_u32 v4, v4, v7, 0x7fff
	s_delay_alu instid0(VALU_DEP_1) | instskip(NEXT) | instid1(VALU_DEP_1)
	v_dual_lshrrev_b32 v3, 16, v2 :: v_dual_lshrrev_b32 v4, 16, v4
	v_cvt_f32_f16_e32 v5, v3
	s_delay_alu instid0(VALU_DEP_2) | instskip(NEXT) | instid1(VALU_DEP_2)
	v_cndmask_b32_e32 v2, 0x7fc0, v4, vcc_lo
	v_bfe_u32 v8, v5, 16, 1
	v_cmp_o_f16_e32 vcc_lo, v3, v3
	s_delay_alu instid0(VALU_DEP_2) | instskip(NEXT) | instid1(VALU_DEP_1)
	v_add3_u32 v5, v5, v8, 0x7fff
	v_and_b32_e32 v5, 0xffff0000, v5
	s_delay_alu instid0(VALU_DEP_1)
	v_cndmask_b32_e32 v3, 0x7fc00000, v5, vcc_lo
.LBB166_1313:
	s_cbranch_execnz .LBB166_1325
.LBB166_1314:
	s_sext_i32_i16 s21, s0
	s_delay_alu instid0(SALU_CYCLE_1)
	s_cmp_lt_i32 s21, 6
	s_cbranch_scc1 .LBB166_1317
; %bb.1315:
	s_cmp_gt_i32 s21, 6
	s_cbranch_scc0 .LBB166_1318
; %bb.1316:
	s_wait_loadcnt 0x0
	global_load_b64 v[2:3], v[0:1], off
	s_mov_b32 s21, 0
	s_wait_loadcnt 0x0
	v_cvt_f32_f64_e32 v2, v[2:3]
	s_delay_alu instid0(VALU_DEP_1) | instskip(SKIP_1) | instid1(VALU_DEP_2)
	v_bfe_u32 v3, v2, 16, 1
	v_cmp_o_f32_e32 vcc_lo, v2, v2
	v_add3_u32 v3, v2, v3, 0x7fff
	s_delay_alu instid0(VALU_DEP_1) | instskip(NEXT) | instid1(VALU_DEP_1)
	v_lshrrev_b32_e32 v3, 16, v3
	v_cndmask_b32_e32 v2, 0x7fc0, v3, vcc_lo
	s_branch .LBB166_1319
.LBB166_1317:
	s_mov_b32 s21, -1
                                        ; implicit-def: $vgpr2
	s_branch .LBB166_1322
.LBB166_1318:
	s_mov_b32 s21, -1
                                        ; implicit-def: $vgpr2
.LBB166_1319:
	s_delay_alu instid0(SALU_CYCLE_1)
	s_and_not1_b32 vcc_lo, exec_lo, s21
	s_cbranch_vccnz .LBB166_1321
; %bb.1320:
	s_wait_loadcnt 0x0
	global_load_b32 v2, v[0:1], off
	s_wait_loadcnt 0x0
	v_bfe_u32 v3, v2, 16, 1
	v_cmp_o_f32_e32 vcc_lo, v2, v2
	s_delay_alu instid0(VALU_DEP_2) | instskip(NEXT) | instid1(VALU_DEP_1)
	v_add3_u32 v3, v2, v3, 0x7fff
	v_lshrrev_b32_e32 v3, 16, v3
	s_delay_alu instid0(VALU_DEP_1)
	v_cndmask_b32_e32 v2, 0x7fc0, v3, vcc_lo
.LBB166_1321:
	s_mov_b32 s21, 0
.LBB166_1322:
	s_delay_alu instid0(SALU_CYCLE_1)
	s_and_not1_b32 vcc_lo, exec_lo, s21
	s_cbranch_vccnz .LBB166_1324
; %bb.1323:
	s_wait_loadcnt 0x0
	global_load_u16 v2, v[0:1], off
	s_wait_loadcnt 0x0
	v_cvt_f32_f16_e32 v3, v2
	v_cmp_o_f16_e32 vcc_lo, v2, v2
	s_delay_alu instid0(VALU_DEP_2) | instskip(NEXT) | instid1(VALU_DEP_1)
	v_bfe_u32 v4, v3, 16, 1
	v_add3_u32 v3, v3, v4, 0x7fff
	s_delay_alu instid0(VALU_DEP_1) | instskip(NEXT) | instid1(VALU_DEP_1)
	v_lshrrev_b32_e32 v3, 16, v3
	v_cndmask_b32_e32 v2, 0x7fc0, v3, vcc_lo
.LBB166_1324:
	v_mov_b32_e32 v3, 0
.LBB166_1325:
	s_cbranch_execnz .LBB166_1345
.LBB166_1326:
	s_sext_i32_i16 s21, s0
	s_delay_alu instid0(SALU_CYCLE_1)
	s_cmp_lt_i32 s21, 2
	s_cbranch_scc1 .LBB166_1330
; %bb.1327:
	s_cmp_lt_i32 s21, 3
	s_cbranch_scc1 .LBB166_1331
; %bb.1328:
	s_cmp_gt_i32 s21, 3
	s_cbranch_scc0 .LBB166_1332
; %bb.1329:
	s_wait_loadcnt 0x0
	global_load_b64 v[2:3], v[0:1], off
	s_mov_b32 s21, 0
	s_wait_loadcnt 0x0
	v_xor_b32_e32 v4, v2, v3
	v_cls_i32_e32 v5, v3
	s_delay_alu instid0(VALU_DEP_2) | instskip(NEXT) | instid1(VALU_DEP_1)
	v_ashrrev_i32_e32 v4, 31, v4
	v_add_nc_u32_e32 v4, 32, v4
	s_delay_alu instid0(VALU_DEP_1) | instskip(NEXT) | instid1(VALU_DEP_1)
	v_add_min_u32_e64 v4, v5, -1, v4
	v_lshlrev_b64_e32 v[2:3], v4, v[2:3]
	s_delay_alu instid0(VALU_DEP_1) | instskip(NEXT) | instid1(VALU_DEP_1)
	v_min_u32_e32 v2, 1, v2
	v_dual_sub_nc_u32 v3, 32, v4 :: v_dual_bitop2_b32 v2, v3, v2 bitop3:0x54
	s_delay_alu instid0(VALU_DEP_1) | instskip(NEXT) | instid1(VALU_DEP_1)
	v_cvt_f32_i32_e32 v2, v2
	v_ldexp_f32 v2, v2, v3
	s_delay_alu instid0(VALU_DEP_1) | instskip(NEXT) | instid1(VALU_DEP_1)
	v_bfe_u32 v3, v2, 16, 1
	v_add3_u32 v2, v2, v3, 0x7fff
	s_delay_alu instid0(VALU_DEP_1)
	v_lshrrev_b32_e32 v2, 16, v2
	s_branch .LBB166_1333
.LBB166_1330:
                                        ; implicit-def: $vgpr2
	s_branch .LBB166_1339
.LBB166_1331:
	s_mov_b32 s21, -1
                                        ; implicit-def: $vgpr2
	s_branch .LBB166_1336
.LBB166_1332:
	s_mov_b32 s21, -1
                                        ; implicit-def: $vgpr2
.LBB166_1333:
	s_delay_alu instid0(SALU_CYCLE_1)
	s_and_not1_b32 vcc_lo, exec_lo, s21
	s_cbranch_vccnz .LBB166_1335
; %bb.1334:
	s_wait_loadcnt 0x0
	global_load_b32 v2, v[0:1], off
	s_wait_loadcnt 0x0
	v_cvt_f32_i32_e32 v2, v2
	s_delay_alu instid0(VALU_DEP_1) | instskip(NEXT) | instid1(VALU_DEP_1)
	v_bfe_u32 v3, v2, 16, 1
	v_add3_u32 v2, v2, v3, 0x7fff
	s_delay_alu instid0(VALU_DEP_1)
	v_lshrrev_b32_e32 v2, 16, v2
.LBB166_1335:
	s_mov_b32 s21, 0
.LBB166_1336:
	s_delay_alu instid0(SALU_CYCLE_1)
	s_and_not1_b32 vcc_lo, exec_lo, s21
	s_cbranch_vccnz .LBB166_1338
; %bb.1337:
	s_wait_loadcnt 0x0
	global_load_i16 v2, v[0:1], off
	s_wait_loadcnt 0x0
	v_cvt_f32_i32_e32 v2, v2
	s_delay_alu instid0(VALU_DEP_1) | instskip(NEXT) | instid1(VALU_DEP_1)
	v_bfe_u32 v3, v2, 16, 1
	v_add3_u32 v2, v2, v3, 0x7fff
	s_delay_alu instid0(VALU_DEP_1)
	v_lshrrev_b32_e32 v2, 16, v2
.LBB166_1338:
	s_cbranch_execnz .LBB166_1344
.LBB166_1339:
	s_sext_i32_i16 s0, s0
	s_delay_alu instid0(SALU_CYCLE_1)
	s_cmp_gt_i32 s0, 0
	s_mov_b32 s0, 0
	s_cbranch_scc0 .LBB166_1341
; %bb.1340:
	s_wait_loadcnt 0x0
	global_load_i8 v2, v[0:1], off
	s_wait_loadcnt 0x0
	v_cvt_f32_i32_e32 v2, v2
	s_delay_alu instid0(VALU_DEP_1) | instskip(NEXT) | instid1(VALU_DEP_1)
	v_bfe_u32 v3, v2, 16, 1
	v_add3_u32 v2, v2, v3, 0x7fff
	s_delay_alu instid0(VALU_DEP_1)
	v_lshrrev_b32_e32 v2, 16, v2
	s_branch .LBB166_1342
.LBB166_1341:
	s_mov_b32 s0, -1
                                        ; implicit-def: $vgpr2
.LBB166_1342:
	s_delay_alu instid0(SALU_CYCLE_1)
	s_and_not1_b32 vcc_lo, exec_lo, s0
	s_cbranch_vccnz .LBB166_1344
; %bb.1343:
	global_load_u8 v0, v[0:1], off
	s_wait_loadcnt 0x0
	v_cvt_f32_ubyte0_e32 v0, v0
	s_delay_alu instid0(VALU_DEP_1) | instskip(NEXT) | instid1(VALU_DEP_1)
	v_bfe_u32 v1, v0, 16, 1
	v_add3_u32 v0, v0, v1, 0x7fff
	s_delay_alu instid0(VALU_DEP_1)
	v_lshrrev_b32_e32 v2, 16, v0
.LBB166_1344:
	v_mov_b32_e32 v3, 0
.LBB166_1345:
	s_or_b32 s23, s23, exec_lo
.LBB166_1346:
	s_wait_xcnt 0x0
	s_or_b32 exec_lo, exec_lo, s20
	s_mov_b32 s22, 0
	s_mov_b32 s21, 0
	;; [unrolled: 1-line block ×3, first 2 shown]
                                        ; implicit-def: $sgpr0
                                        ; implicit-def: $vgpr0_vgpr1
                                        ; implicit-def: $vgpr5
                                        ; implicit-def: $vgpr4
	s_and_saveexec_b32 s20, s23
	s_cbranch_execz .LBB166_1354
; %bb.1347:
	v_mul_lo_u32 v0, v6, s10
	s_and_b32 s0, s1, 0xff
	s_delay_alu instid0(SALU_CYCLE_1) | instskip(NEXT) | instid1(VALU_DEP_1)
	s_cmp_lt_i32 s0, 11
	v_ashrrev_i32_e32 v1, 31, v0
	s_delay_alu instid0(VALU_DEP_1)
	v_add_nc_u64_e32 v[0:1], s[2:3], v[0:1]
	s_cbranch_scc1 .LBB166_1357
; %bb.1348:
	s_and_b32 s21, 0xffff, s0
	s_mov_b32 s23, 0
	s_cmp_gt_i32 s21, 25
	s_cbranch_scc0 .LBB166_1358
; %bb.1349:
	s_cmp_gt_i32 s21, 28
	s_cbranch_scc0 .LBB166_1359
; %bb.1350:
	;; [unrolled: 3-line block ×4, first 2 shown]
	s_cmp_eq_u32 s21, 46
	s_mov_b32 s25, 0
	s_cbranch_scc0 .LBB166_1362
; %bb.1353:
	s_wait_loadcnt 0x0
	global_load_b32 v4, v[0:1], off
	s_mov_b32 s24, -1
	s_wait_loadcnt 0x0
	v_and_b32_e32 v5, 0xffff0000, v4
	s_branch .LBB166_1364
.LBB166_1354:
	s_or_b32 exec_lo, exec_lo, s20
	s_and_saveexec_b32 s20, s19
	s_cbranch_execnz .LBB166_1430
.LBB166_1355:
	s_or_b32 exec_lo, exec_lo, s20
	s_and_saveexec_b32 s19, s22
	s_delay_alu instid0(SALU_CYCLE_1)
	s_xor_b32 s19, exec_lo, s19
	s_cbranch_execz .LBB166_1431
.LBB166_1356:
	s_wait_loadcnt 0x0
	global_load_u8 v4, v[0:1], off
	s_or_b32 s24, s24, exec_lo
	v_mov_b32_e32 v5, 0
	s_wait_loadcnt 0x0
	v_cmp_ne_u16_e32 vcc_lo, 0, v4
	v_cndmask_b32_e64 v4, 0, 1.0, vcc_lo
	s_delay_alu instid0(VALU_DEP_1)
	v_lshrrev_b32_e32 v4, 16, v4
	s_wait_xcnt 0x0
	s_or_b32 exec_lo, exec_lo, s19
	s_and_saveexec_b32 s19, s21
	s_cbranch_execz .LBB166_1479
	s_branch .LBB166_1432
.LBB166_1357:
	s_mov_b32 s21, -1
	s_mov_b32 s23, 0
	s_mov_b32 s22, s19
                                        ; implicit-def: $vgpr5
                                        ; implicit-def: $vgpr4
	s_branch .LBB166_1429
.LBB166_1358:
	s_mov_b32 s22, s19
                                        ; implicit-def: $vgpr5
                                        ; implicit-def: $vgpr4
	s_cbranch_execnz .LBB166_1395
	s_branch .LBB166_1428
.LBB166_1359:
	s_mov_b32 s25, -1
	s_mov_b32 s22, s19
                                        ; implicit-def: $vgpr5
                                        ; implicit-def: $vgpr4
	s_branch .LBB166_1376
.LBB166_1360:
	s_mov_b32 s25, -1
	s_mov_b32 s22, s19
                                        ; implicit-def: $vgpr5
                                        ; implicit-def: $vgpr4
	s_branch .LBB166_1370
.LBB166_1361:
	s_mov_b32 s25, -1
	s_mov_b32 s22, s19
	s_branch .LBB166_1363
.LBB166_1362:
	s_mov_b32 s22, -1
.LBB166_1363:
                                        ; implicit-def: $vgpr5
                                        ; implicit-def: $vgpr4
.LBB166_1364:
	s_and_b32 vcc_lo, exec_lo, s25
	s_cbranch_vccz .LBB166_1369
; %bb.1365:
	s_cmp_eq_u32 s21, 44
	s_cbranch_scc0 .LBB166_1367
; %bb.1366:
	s_wait_loadcnt 0x0
	global_load_u8 v4, v[0:1], off
	s_mov_b32 s22, 0
	s_mov_b32 s24, -1
	s_wait_loadcnt 0x0
	v_lshlrev_b32_e32 v5, 23, v4
	v_cmp_ne_u32_e32 vcc_lo, 0xff, v4
	s_delay_alu instid0(VALU_DEP_2) | instskip(SKIP_1) | instid1(VALU_DEP_2)
	v_cndmask_b32_e32 v5, 0x7f800001, v5, vcc_lo
	v_cmp_ne_u32_e32 vcc_lo, 0, v4
	v_cndmask_b32_e32 v4, 0x400000, v5, vcc_lo
	s_delay_alu instid0(VALU_DEP_1) | instskip(NEXT) | instid1(VALU_DEP_1)
	v_add_nc_u32_e32 v5, 0x7fff, v4
	v_lshrrev_b32_e32 v5, 16, v5
	v_cmp_o_f32_e32 vcc_lo, v4, v4
	s_delay_alu instid0(VALU_DEP_2)
	v_cndmask_b32_e32 v4, 0x7fc0, v5, vcc_lo
	s_branch .LBB166_1368
.LBB166_1367:
	s_mov_b32 s22, -1
                                        ; implicit-def: $vgpr4
.LBB166_1368:
	v_mov_b32_e32 v5, 0
.LBB166_1369:
	s_mov_b32 s25, 0
.LBB166_1370:
	s_delay_alu instid0(SALU_CYCLE_1)
	s_and_b32 vcc_lo, exec_lo, s25
	s_cbranch_vccz .LBB166_1375
; %bb.1371:
	s_cmp_eq_u32 s21, 29
	s_cbranch_scc0 .LBB166_1373
; %bb.1372:
	s_wait_loadcnt 0x0
	global_load_b64 v[4:5], v[0:1], off
	s_mov_b32 s22, 0
	s_mov_b32 s24, -1
	s_wait_loadcnt 0x0
	v_clz_i32_u32_e32 v7, v5
	s_delay_alu instid0(VALU_DEP_1) | instskip(NEXT) | instid1(VALU_DEP_1)
	v_min_u32_e32 v7, 32, v7
	v_lshlrev_b64_e32 v[4:5], v7, v[4:5]
	s_delay_alu instid0(VALU_DEP_1) | instskip(NEXT) | instid1(VALU_DEP_1)
	v_min_u32_e32 v4, 1, v4
	v_dual_sub_nc_u32 v5, 32, v7 :: v_dual_bitop2_b32 v4, v5, v4 bitop3:0x54
	s_delay_alu instid0(VALU_DEP_1) | instskip(NEXT) | instid1(VALU_DEP_1)
	v_cvt_f32_u32_e32 v4, v4
	v_ldexp_f32 v4, v4, v5
	s_delay_alu instid0(VALU_DEP_1) | instskip(NEXT) | instid1(VALU_DEP_1)
	v_bfe_u32 v5, v4, 16, 1
	v_add3_u32 v4, v4, v5, 0x7fff
	s_delay_alu instid0(VALU_DEP_1)
	v_lshrrev_b32_e32 v4, 16, v4
	s_branch .LBB166_1374
.LBB166_1373:
	s_mov_b32 s22, -1
                                        ; implicit-def: $vgpr4
.LBB166_1374:
	v_mov_b32_e32 v5, 0
.LBB166_1375:
	s_mov_b32 s25, 0
.LBB166_1376:
	s_delay_alu instid0(SALU_CYCLE_1)
	s_and_b32 vcc_lo, exec_lo, s25
	s_cbranch_vccz .LBB166_1394
; %bb.1377:
	s_cmp_lt_i32 s21, 27
	s_cbranch_scc1 .LBB166_1380
; %bb.1378:
	s_cmp_gt_i32 s21, 27
	s_cbranch_scc0 .LBB166_1381
; %bb.1379:
	s_wait_loadcnt 0x0
	global_load_b32 v4, v[0:1], off
	s_mov_b32 s24, 0
	s_wait_loadcnt 0x0
	v_cvt_f32_u32_e32 v4, v4
	s_delay_alu instid0(VALU_DEP_1) | instskip(NEXT) | instid1(VALU_DEP_1)
	v_bfe_u32 v5, v4, 16, 1
	v_add3_u32 v4, v4, v5, 0x7fff
	s_delay_alu instid0(VALU_DEP_1)
	v_lshrrev_b32_e32 v4, 16, v4
	s_branch .LBB166_1382
.LBB166_1380:
	s_mov_b32 s24, -1
                                        ; implicit-def: $vgpr4
	s_branch .LBB166_1385
.LBB166_1381:
	s_mov_b32 s24, -1
                                        ; implicit-def: $vgpr4
.LBB166_1382:
	s_delay_alu instid0(SALU_CYCLE_1)
	s_and_not1_b32 vcc_lo, exec_lo, s24
	s_cbranch_vccnz .LBB166_1384
; %bb.1383:
	s_wait_loadcnt 0x0
	global_load_u16 v4, v[0:1], off
	s_wait_loadcnt 0x0
	v_cvt_f32_u32_e32 v4, v4
	s_delay_alu instid0(VALU_DEP_1) | instskip(NEXT) | instid1(VALU_DEP_1)
	v_bfe_u32 v5, v4, 16, 1
	v_add3_u32 v4, v4, v5, 0x7fff
	s_delay_alu instid0(VALU_DEP_1)
	v_lshrrev_b32_e32 v4, 16, v4
.LBB166_1384:
	s_mov_b32 s24, 0
.LBB166_1385:
	s_delay_alu instid0(SALU_CYCLE_1)
	s_and_not1_b32 vcc_lo, exec_lo, s24
	s_cbranch_vccnz .LBB166_1393
; %bb.1386:
	s_wait_loadcnt 0x0
	global_load_u8 v4, v[0:1], off
	s_mov_b32 s24, 0
	s_mov_b32 s25, exec_lo
	s_wait_loadcnt 0x0
	v_cmpx_lt_i16_e32 0x7f, v4
	s_xor_b32 s25, exec_lo, s25
	s_cbranch_execz .LBB166_1406
; %bb.1387:
	s_mov_b32 s24, -1
	s_mov_b32 s26, exec_lo
	v_cmpx_eq_u16_e32 0x80, v4
; %bb.1388:
	s_xor_b32 s24, exec_lo, -1
; %bb.1389:
	s_or_b32 exec_lo, exec_lo, s26
	s_delay_alu instid0(SALU_CYCLE_1)
	s_and_b32 s24, s24, exec_lo
	s_or_saveexec_b32 s25, s25
	v_mov_b32_e32 v5, 0x7f800001
	s_xor_b32 exec_lo, exec_lo, s25
	s_cbranch_execnz .LBB166_1407
.LBB166_1390:
	s_or_b32 exec_lo, exec_lo, s25
	s_and_saveexec_b32 s25, s24
	s_cbranch_execz .LBB166_1392
.LBB166_1391:
	v_and_b32_e32 v5, 0xffff, v4
	s_delay_alu instid0(VALU_DEP_1) | instskip(SKIP_1) | instid1(VALU_DEP_2)
	v_and_b32_e32 v7, 7, v5
	v_bfe_u32 v10, v5, 3, 4
	v_clz_i32_u32_e32 v8, v7
	s_delay_alu instid0(VALU_DEP_2) | instskip(NEXT) | instid1(VALU_DEP_2)
	v_cmp_eq_u32_e32 vcc_lo, 0, v10
	v_min_u32_e32 v8, 32, v8
	s_delay_alu instid0(VALU_DEP_1) | instskip(NEXT) | instid1(VALU_DEP_1)
	v_subrev_nc_u32_e32 v9, 28, v8
	v_dual_lshlrev_b32 v5, v9, v5 :: v_dual_sub_nc_u32 v8, 29, v8
	s_delay_alu instid0(VALU_DEP_1) | instskip(NEXT) | instid1(VALU_DEP_1)
	v_dual_lshlrev_b32 v4, 24, v4 :: v_dual_bitop2_b32 v5, 7, v5 bitop3:0x40
	v_dual_cndmask_b32 v5, v7, v5 :: v_dual_cndmask_b32 v8, v10, v8
	s_delay_alu instid0(VALU_DEP_2) | instskip(NEXT) | instid1(VALU_DEP_2)
	v_and_b32_e32 v4, 0x80000000, v4
	v_lshlrev_b32_e32 v5, 20, v5
	s_delay_alu instid0(VALU_DEP_3) | instskip(NEXT) | instid1(VALU_DEP_1)
	v_lshl_add_u32 v7, v8, 23, 0x3b800000
	v_or3_b32 v5, v4, v7, v5
.LBB166_1392:
	s_or_b32 exec_lo, exec_lo, s25
	s_delay_alu instid0(VALU_DEP_1) | instskip(SKIP_1) | instid1(VALU_DEP_2)
	v_bfe_u32 v4, v5, 16, 1
	v_cmp_o_f32_e32 vcc_lo, v5, v5
	v_add3_u32 v4, v5, v4, 0x7fff
	s_delay_alu instid0(VALU_DEP_1) | instskip(NEXT) | instid1(VALU_DEP_1)
	v_lshrrev_b32_e32 v4, 16, v4
	v_cndmask_b32_e32 v4, 0x7fc0, v4, vcc_lo
.LBB166_1393:
	v_mov_b32_e32 v5, 0
	s_mov_b32 s24, -1
.LBB166_1394:
	s_branch .LBB166_1428
.LBB166_1395:
	s_cmp_gt_i32 s21, 22
	s_cbranch_scc0 .LBB166_1405
; %bb.1396:
	s_cmp_lt_i32 s21, 24
	s_cbranch_scc1 .LBB166_1408
; %bb.1397:
	s_cmp_gt_i32 s21, 24
	s_cbranch_scc0 .LBB166_1409
; %bb.1398:
	s_wait_loadcnt 0x0
	global_load_u8 v4, v[0:1], off
	s_mov_b32 s24, exec_lo
	s_wait_loadcnt 0x0
	v_cmpx_lt_i16_e32 0x7f, v4
	s_xor_b32 s24, exec_lo, s24
	s_cbranch_execz .LBB166_1421
; %bb.1399:
	s_mov_b32 s23, -1
	s_mov_b32 s25, exec_lo
	v_cmpx_eq_u16_e32 0x80, v4
; %bb.1400:
	s_xor_b32 s23, exec_lo, -1
; %bb.1401:
	s_or_b32 exec_lo, exec_lo, s25
	s_delay_alu instid0(SALU_CYCLE_1)
	s_and_b32 s23, s23, exec_lo
	s_or_saveexec_b32 s24, s24
	v_mov_b32_e32 v5, 0x7f800001
	s_xor_b32 exec_lo, exec_lo, s24
	s_cbranch_execnz .LBB166_1422
.LBB166_1402:
	s_or_b32 exec_lo, exec_lo, s24
	s_and_saveexec_b32 s24, s23
	s_cbranch_execz .LBB166_1404
.LBB166_1403:
	v_and_b32_e32 v5, 0xffff, v4
	s_delay_alu instid0(VALU_DEP_1) | instskip(SKIP_1) | instid1(VALU_DEP_2)
	v_and_b32_e32 v7, 3, v5
	v_bfe_u32 v10, v5, 2, 5
	v_clz_i32_u32_e32 v8, v7
	s_delay_alu instid0(VALU_DEP_2) | instskip(NEXT) | instid1(VALU_DEP_2)
	v_cmp_eq_u32_e32 vcc_lo, 0, v10
	v_min_u32_e32 v8, 32, v8
	s_delay_alu instid0(VALU_DEP_1) | instskip(NEXT) | instid1(VALU_DEP_1)
	v_subrev_nc_u32_e32 v9, 29, v8
	v_dual_lshlrev_b32 v5, v9, v5 :: v_dual_sub_nc_u32 v8, 30, v8
	s_delay_alu instid0(VALU_DEP_1) | instskip(NEXT) | instid1(VALU_DEP_1)
	v_dual_lshlrev_b32 v4, 24, v4 :: v_dual_bitop2_b32 v5, 3, v5 bitop3:0x40
	v_dual_cndmask_b32 v5, v7, v5 :: v_dual_cndmask_b32 v8, v10, v8
	s_delay_alu instid0(VALU_DEP_2) | instskip(NEXT) | instid1(VALU_DEP_2)
	v_and_b32_e32 v4, 0x80000000, v4
	v_lshlrev_b32_e32 v5, 21, v5
	s_delay_alu instid0(VALU_DEP_3) | instskip(NEXT) | instid1(VALU_DEP_1)
	v_lshl_add_u32 v7, v8, 23, 0x37800000
	v_or3_b32 v5, v4, v7, v5
.LBB166_1404:
	s_or_b32 exec_lo, exec_lo, s24
	s_delay_alu instid0(VALU_DEP_1) | instskip(SKIP_2) | instid1(VALU_DEP_2)
	v_bfe_u32 v4, v5, 16, 1
	v_cmp_o_f32_e32 vcc_lo, v5, v5
	s_mov_b32 s23, 0
	v_add3_u32 v4, v5, v4, 0x7fff
	s_delay_alu instid0(VALU_DEP_1) | instskip(NEXT) | instid1(VALU_DEP_1)
	v_lshrrev_b32_e32 v4, 16, v4
	v_cndmask_b32_e32 v4, 0x7fc0, v4, vcc_lo
	s_branch .LBB166_1410
.LBB166_1405:
	s_mov_b32 s23, -1
                                        ; implicit-def: $vgpr4
	s_branch .LBB166_1416
.LBB166_1406:
	s_or_saveexec_b32 s25, s25
	v_mov_b32_e32 v5, 0x7f800001
	s_xor_b32 exec_lo, exec_lo, s25
	s_cbranch_execz .LBB166_1390
.LBB166_1407:
	v_cmp_ne_u16_e32 vcc_lo, 0, v4
	v_mov_b32_e32 v5, 0
	s_and_not1_b32 s24, s24, exec_lo
	s_and_b32 s26, vcc_lo, exec_lo
	s_delay_alu instid0(SALU_CYCLE_1)
	s_or_b32 s24, s24, s26
	s_or_b32 exec_lo, exec_lo, s25
	s_and_saveexec_b32 s25, s24
	s_cbranch_execnz .LBB166_1391
	s_branch .LBB166_1392
.LBB166_1408:
	s_mov_b32 s23, -1
                                        ; implicit-def: $vgpr4
	s_branch .LBB166_1413
.LBB166_1409:
	s_mov_b32 s23, -1
                                        ; implicit-def: $vgpr4
.LBB166_1410:
	s_delay_alu instid0(SALU_CYCLE_1)
	s_and_b32 vcc_lo, exec_lo, s23
	s_cbranch_vccz .LBB166_1412
; %bb.1411:
	s_wait_loadcnt 0x0
	global_load_u8 v4, v[0:1], off
	s_wait_loadcnt 0x0
	v_lshlrev_b32_e32 v4, 24, v4
	s_delay_alu instid0(VALU_DEP_1) | instskip(NEXT) | instid1(VALU_DEP_1)
	v_and_b32_e32 v5, 0x7f000000, v4
	v_clz_i32_u32_e32 v7, v5
	v_add_nc_u32_e32 v9, 0x1000000, v5
	v_cmp_ne_u32_e32 vcc_lo, 0, v5
	s_delay_alu instid0(VALU_DEP_3) | instskip(NEXT) | instid1(VALU_DEP_1)
	v_min_u32_e32 v7, 32, v7
	v_sub_nc_u32_e64 v7, v7, 4 clamp
	s_delay_alu instid0(VALU_DEP_1) | instskip(NEXT) | instid1(VALU_DEP_1)
	v_dual_lshlrev_b32 v8, v7, v5 :: v_dual_lshlrev_b32 v7, 23, v7
	v_lshrrev_b32_e32 v8, 4, v8
	s_delay_alu instid0(VALU_DEP_1) | instskip(NEXT) | instid1(VALU_DEP_1)
	v_dual_sub_nc_u32 v7, v8, v7 :: v_dual_ashrrev_i32 v8, 8, v9
	v_add_nc_u32_e32 v7, 0x3c000000, v7
	s_delay_alu instid0(VALU_DEP_1) | instskip(NEXT) | instid1(VALU_DEP_1)
	v_and_or_b32 v7, 0x7f800000, v8, v7
	v_cndmask_b32_e32 v5, 0, v7, vcc_lo
	s_delay_alu instid0(VALU_DEP_1) | instskip(SKIP_1) | instid1(VALU_DEP_2)
	v_and_or_b32 v4, 0x80000000, v4, v5
	v_bfe_u32 v5, v5, 16, 1
	v_cmp_o_f32_e32 vcc_lo, v4, v4
	s_delay_alu instid0(VALU_DEP_2) | instskip(NEXT) | instid1(VALU_DEP_1)
	v_add3_u32 v5, v4, v5, 0x7fff
	v_lshrrev_b32_e32 v5, 16, v5
	s_delay_alu instid0(VALU_DEP_1)
	v_cndmask_b32_e32 v4, 0x7fc0, v5, vcc_lo
.LBB166_1412:
	s_mov_b32 s23, 0
.LBB166_1413:
	s_delay_alu instid0(SALU_CYCLE_1)
	s_and_not1_b32 vcc_lo, exec_lo, s23
	s_cbranch_vccnz .LBB166_1415
; %bb.1414:
	s_wait_loadcnt 0x0
	global_load_u8 v4, v[0:1], off
	s_wait_loadcnt 0x0
	v_lshlrev_b32_e32 v5, 25, v4
	v_lshlrev_b16 v4, 8, v4
	s_delay_alu instid0(VALU_DEP_2) | instskip(NEXT) | instid1(VALU_DEP_2)
	v_cmp_gt_u32_e32 vcc_lo, 0x8000000, v5
	v_and_or_b32 v8, 0x7f00, v4, 0.5
	v_lshrrev_b32_e32 v7, 4, v5
	v_bfe_i32 v4, v4, 0, 16
	s_delay_alu instid0(VALU_DEP_3) | instskip(NEXT) | instid1(VALU_DEP_3)
	v_add_f32_e32 v8, -0.5, v8
	v_or_b32_e32 v7, 0x70000000, v7
	s_delay_alu instid0(VALU_DEP_1) | instskip(NEXT) | instid1(VALU_DEP_1)
	v_mul_f32_e32 v7, 0x7800000, v7
	v_cndmask_b32_e32 v5, v7, v8, vcc_lo
	s_delay_alu instid0(VALU_DEP_1) | instskip(SKIP_1) | instid1(VALU_DEP_2)
	v_and_or_b32 v4, 0x80000000, v4, v5
	v_bfe_u32 v5, v5, 16, 1
	v_cmp_o_f32_e32 vcc_lo, v4, v4
	s_delay_alu instid0(VALU_DEP_2) | instskip(NEXT) | instid1(VALU_DEP_1)
	v_add3_u32 v5, v4, v5, 0x7fff
	v_lshrrev_b32_e32 v5, 16, v5
	s_delay_alu instid0(VALU_DEP_1)
	v_cndmask_b32_e32 v4, 0x7fc0, v5, vcc_lo
.LBB166_1415:
	s_mov_b32 s23, 0
	s_mov_b32 s24, -1
.LBB166_1416:
	s_and_not1_b32 vcc_lo, exec_lo, s23
	s_mov_b32 s23, 0
	s_cbranch_vccnz .LBB166_1427
; %bb.1417:
	s_cmp_gt_i32 s21, 14
	s_cbranch_scc0 .LBB166_1420
; %bb.1418:
	s_cmp_eq_u32 s21, 15
	s_cbranch_scc0 .LBB166_1423
; %bb.1419:
	s_wait_loadcnt 0x0
	global_load_u16 v4, v[0:1], off
	s_mov_b32 s22, 0
	s_mov_b32 s24, -1
	s_branch .LBB166_1425
.LBB166_1420:
	s_mov_b32 s23, -1
	s_branch .LBB166_1424
.LBB166_1421:
	s_or_saveexec_b32 s24, s24
	v_mov_b32_e32 v5, 0x7f800001
	s_xor_b32 exec_lo, exec_lo, s24
	s_cbranch_execz .LBB166_1402
.LBB166_1422:
	v_cmp_ne_u16_e32 vcc_lo, 0, v4
	v_mov_b32_e32 v5, 0
	s_and_not1_b32 s23, s23, exec_lo
	s_and_b32 s25, vcc_lo, exec_lo
	s_delay_alu instid0(SALU_CYCLE_1)
	s_or_b32 s23, s23, s25
	s_or_b32 exec_lo, exec_lo, s24
	s_and_saveexec_b32 s24, s23
	s_cbranch_execnz .LBB166_1403
	s_branch .LBB166_1404
.LBB166_1423:
	s_mov_b32 s22, -1
.LBB166_1424:
                                        ; implicit-def: $vgpr4
.LBB166_1425:
	s_and_b32 vcc_lo, exec_lo, s23
	s_mov_b32 s23, 0
	s_cbranch_vccz .LBB166_1427
; %bb.1426:
	s_cmp_lg_u32 s21, 11
	s_mov_b32 s23, -1
	s_cselect_b32 s21, -1, 0
	s_and_not1_b32 s22, s22, exec_lo
	s_and_b32 s21, s21, exec_lo
	s_delay_alu instid0(SALU_CYCLE_1)
	s_or_b32 s22, s22, s21
.LBB166_1427:
	v_mov_b32_e32 v5, 0
.LBB166_1428:
	s_mov_b32 s21, 0
.LBB166_1429:
	s_and_not1_b32 s19, s19, exec_lo
	s_and_b32 s25, s22, exec_lo
	s_and_b32 s24, s24, exec_lo
	;; [unrolled: 1-line block ×4, first 2 shown]
	s_or_b32 s19, s19, s25
	s_wait_xcnt 0x0
	s_or_b32 exec_lo, exec_lo, s20
	s_and_saveexec_b32 s20, s19
	s_cbranch_execz .LBB166_1355
.LBB166_1430:
	s_or_b32 s17, s17, exec_lo
	s_and_not1_b32 s22, s22, exec_lo
	s_trap 2
	s_or_b32 exec_lo, exec_lo, s20
	s_and_saveexec_b32 s19, s22
	s_delay_alu instid0(SALU_CYCLE_1)
	s_xor_b32 s19, exec_lo, s19
	s_cbranch_execnz .LBB166_1356
.LBB166_1431:
	s_or_b32 exec_lo, exec_lo, s19
	s_and_saveexec_b32 s19, s21
	s_cbranch_execz .LBB166_1479
.LBB166_1432:
	s_sext_i32_i16 s20, s0
	s_delay_alu instid0(SALU_CYCLE_1)
	s_cmp_lt_i32 s20, 5
	s_cbranch_scc1 .LBB166_1437
; %bb.1433:
	s_cmp_lt_i32 s20, 8
	s_cbranch_scc1 .LBB166_1438
; %bb.1434:
	;; [unrolled: 3-line block ×3, first 2 shown]
	s_cmp_gt_i32 s20, 9
	s_cbranch_scc0 .LBB166_1440
; %bb.1436:
	global_load_b128 v[8:11], v[0:1], off
	s_mov_b32 s20, 0
	s_wait_loadcnt 0x0
	v_cvt_f32_f64_e32 v4, v[8:9]
	v_cvt_f32_f64_e32 v5, v[10:11]
	s_delay_alu instid0(VALU_DEP_2) | instskip(NEXT) | instid1(VALU_DEP_2)
	v_bfe_u32 v7, v4, 16, 1
	v_bfe_u32 v8, v5, 16, 1
	v_cmp_o_f32_e32 vcc_lo, v4, v4
	s_delay_alu instid0(VALU_DEP_3) | instskip(NEXT) | instid1(VALU_DEP_3)
	v_add3_u32 v7, v4, v7, 0x7fff
	v_add3_u32 v8, v5, v8, 0x7fff
	s_delay_alu instid0(VALU_DEP_2) | instskip(NEXT) | instid1(VALU_DEP_2)
	v_lshrrev_b32_e32 v7, 16, v7
	v_and_b32_e32 v8, 0xffff0000, v8
	s_delay_alu instid0(VALU_DEP_2) | instskip(SKIP_1) | instid1(VALU_DEP_3)
	v_cndmask_b32_e32 v4, 0x7fc0, v7, vcc_lo
	v_cmp_o_f32_e32 vcc_lo, v5, v5
	v_cndmask_b32_e32 v5, 0x7fc00000, v8, vcc_lo
	s_branch .LBB166_1441
.LBB166_1437:
                                        ; implicit-def: $vgpr5
                                        ; implicit-def: $vgpr4
	s_branch .LBB166_1459
.LBB166_1438:
                                        ; implicit-def: $vgpr5
                                        ; implicit-def: $vgpr4
	s_branch .LBB166_1447
.LBB166_1439:
	s_mov_b32 s20, -1
                                        ; implicit-def: $vgpr5
                                        ; implicit-def: $vgpr4
	s_branch .LBB166_1444
.LBB166_1440:
	s_mov_b32 s20, -1
                                        ; implicit-def: $vgpr5
                                        ; implicit-def: $vgpr4
.LBB166_1441:
	s_delay_alu instid0(SALU_CYCLE_1)
	s_and_not1_b32 vcc_lo, exec_lo, s20
	s_cbranch_vccnz .LBB166_1443
; %bb.1442:
	s_wait_loadcnt 0x0
	global_load_b64 v[4:5], v[0:1], off
	s_wait_loadcnt 0x0
	v_bfe_u32 v7, v4, 16, 1
	v_bfe_u32 v8, v5, 16, 1
	v_cmp_o_f32_e32 vcc_lo, v4, v4
	s_delay_alu instid0(VALU_DEP_3) | instskip(NEXT) | instid1(VALU_DEP_3)
	v_add3_u32 v7, v4, v7, 0x7fff
	v_add3_u32 v8, v5, v8, 0x7fff
	s_delay_alu instid0(VALU_DEP_2) | instskip(NEXT) | instid1(VALU_DEP_2)
	v_lshrrev_b32_e32 v7, 16, v7
	v_and_b32_e32 v8, 0xffff0000, v8
	s_delay_alu instid0(VALU_DEP_2) | instskip(SKIP_1) | instid1(VALU_DEP_3)
	v_cndmask_b32_e32 v4, 0x7fc0, v7, vcc_lo
	v_cmp_o_f32_e32 vcc_lo, v5, v5
	v_cndmask_b32_e32 v5, 0x7fc00000, v8, vcc_lo
.LBB166_1443:
	s_mov_b32 s20, 0
.LBB166_1444:
	s_delay_alu instid0(SALU_CYCLE_1)
	s_and_not1_b32 vcc_lo, exec_lo, s20
	s_cbranch_vccnz .LBB166_1446
; %bb.1445:
	s_wait_loadcnt 0x0
	global_load_b32 v4, v[0:1], off
	s_wait_loadcnt 0x0
	v_cvt_f32_f16_e32 v7, v4
	v_cmp_o_f16_e32 vcc_lo, v4, v4
	s_delay_alu instid0(VALU_DEP_2) | instskip(NEXT) | instid1(VALU_DEP_1)
	v_bfe_u32 v9, v7, 16, 1
	v_add3_u32 v7, v7, v9, 0x7fff
	s_delay_alu instid0(VALU_DEP_1) | instskip(NEXT) | instid1(VALU_DEP_1)
	v_dual_lshrrev_b32 v5, 16, v4 :: v_dual_lshrrev_b32 v7, 16, v7
	v_cvt_f32_f16_e32 v8, v5
	s_delay_alu instid0(VALU_DEP_2) | instskip(NEXT) | instid1(VALU_DEP_2)
	v_cndmask_b32_e32 v4, 0x7fc0, v7, vcc_lo
	v_bfe_u32 v10, v8, 16, 1
	v_cmp_o_f16_e32 vcc_lo, v5, v5
	s_delay_alu instid0(VALU_DEP_2) | instskip(NEXT) | instid1(VALU_DEP_1)
	v_add3_u32 v8, v8, v10, 0x7fff
	v_and_b32_e32 v8, 0xffff0000, v8
	s_delay_alu instid0(VALU_DEP_1)
	v_cndmask_b32_e32 v5, 0x7fc00000, v8, vcc_lo
.LBB166_1446:
	s_cbranch_execnz .LBB166_1458
.LBB166_1447:
	s_sext_i32_i16 s20, s0
	s_delay_alu instid0(SALU_CYCLE_1)
	s_cmp_lt_i32 s20, 6
	s_cbranch_scc1 .LBB166_1450
; %bb.1448:
	s_cmp_gt_i32 s20, 6
	s_cbranch_scc0 .LBB166_1451
; %bb.1449:
	s_wait_loadcnt 0x0
	global_load_b64 v[4:5], v[0:1], off
	s_mov_b32 s20, 0
	s_wait_loadcnt 0x0
	v_cvt_f32_f64_e32 v4, v[4:5]
	s_delay_alu instid0(VALU_DEP_1) | instskip(SKIP_1) | instid1(VALU_DEP_2)
	v_bfe_u32 v5, v4, 16, 1
	v_cmp_o_f32_e32 vcc_lo, v4, v4
	v_add3_u32 v5, v4, v5, 0x7fff
	s_delay_alu instid0(VALU_DEP_1) | instskip(NEXT) | instid1(VALU_DEP_1)
	v_lshrrev_b32_e32 v5, 16, v5
	v_cndmask_b32_e32 v4, 0x7fc0, v5, vcc_lo
	s_branch .LBB166_1452
.LBB166_1450:
	s_mov_b32 s20, -1
                                        ; implicit-def: $vgpr4
	s_branch .LBB166_1455
.LBB166_1451:
	s_mov_b32 s20, -1
                                        ; implicit-def: $vgpr4
.LBB166_1452:
	s_delay_alu instid0(SALU_CYCLE_1)
	s_and_not1_b32 vcc_lo, exec_lo, s20
	s_cbranch_vccnz .LBB166_1454
; %bb.1453:
	s_wait_loadcnt 0x0
	global_load_b32 v4, v[0:1], off
	s_wait_loadcnt 0x0
	v_bfe_u32 v5, v4, 16, 1
	v_cmp_o_f32_e32 vcc_lo, v4, v4
	s_delay_alu instid0(VALU_DEP_2) | instskip(NEXT) | instid1(VALU_DEP_1)
	v_add3_u32 v5, v4, v5, 0x7fff
	v_lshrrev_b32_e32 v5, 16, v5
	s_delay_alu instid0(VALU_DEP_1)
	v_cndmask_b32_e32 v4, 0x7fc0, v5, vcc_lo
.LBB166_1454:
	s_mov_b32 s20, 0
.LBB166_1455:
	s_delay_alu instid0(SALU_CYCLE_1)
	s_and_not1_b32 vcc_lo, exec_lo, s20
	s_cbranch_vccnz .LBB166_1457
; %bb.1456:
	s_wait_loadcnt 0x0
	global_load_u16 v4, v[0:1], off
	s_wait_loadcnt 0x0
	v_cvt_f32_f16_e32 v5, v4
	v_cmp_o_f16_e32 vcc_lo, v4, v4
	s_delay_alu instid0(VALU_DEP_2) | instskip(NEXT) | instid1(VALU_DEP_1)
	v_bfe_u32 v7, v5, 16, 1
	v_add3_u32 v5, v5, v7, 0x7fff
	s_delay_alu instid0(VALU_DEP_1) | instskip(NEXT) | instid1(VALU_DEP_1)
	v_lshrrev_b32_e32 v5, 16, v5
	v_cndmask_b32_e32 v4, 0x7fc0, v5, vcc_lo
.LBB166_1457:
	v_mov_b32_e32 v5, 0
.LBB166_1458:
	s_cbranch_execnz .LBB166_1478
.LBB166_1459:
	s_sext_i32_i16 s20, s0
	s_delay_alu instid0(SALU_CYCLE_1)
	s_cmp_lt_i32 s20, 2
	s_cbranch_scc1 .LBB166_1463
; %bb.1460:
	s_cmp_lt_i32 s20, 3
	s_cbranch_scc1 .LBB166_1464
; %bb.1461:
	s_cmp_gt_i32 s20, 3
	s_cbranch_scc0 .LBB166_1465
; %bb.1462:
	s_wait_loadcnt 0x0
	global_load_b64 v[4:5], v[0:1], off
	s_mov_b32 s20, 0
	s_wait_loadcnt 0x0
	v_xor_b32_e32 v7, v4, v5
	v_cls_i32_e32 v8, v5
	s_delay_alu instid0(VALU_DEP_2) | instskip(NEXT) | instid1(VALU_DEP_1)
	v_ashrrev_i32_e32 v7, 31, v7
	v_add_nc_u32_e32 v7, 32, v7
	s_delay_alu instid0(VALU_DEP_1) | instskip(NEXT) | instid1(VALU_DEP_1)
	v_add_min_u32_e64 v7, v8, -1, v7
	v_lshlrev_b64_e32 v[4:5], v7, v[4:5]
	s_delay_alu instid0(VALU_DEP_1) | instskip(NEXT) | instid1(VALU_DEP_1)
	v_min_u32_e32 v4, 1, v4
	v_dual_sub_nc_u32 v5, 32, v7 :: v_dual_bitop2_b32 v4, v5, v4 bitop3:0x54
	s_delay_alu instid0(VALU_DEP_1) | instskip(NEXT) | instid1(VALU_DEP_1)
	v_cvt_f32_i32_e32 v4, v4
	v_ldexp_f32 v4, v4, v5
	s_delay_alu instid0(VALU_DEP_1) | instskip(NEXT) | instid1(VALU_DEP_1)
	v_bfe_u32 v5, v4, 16, 1
	v_add3_u32 v4, v4, v5, 0x7fff
	s_delay_alu instid0(VALU_DEP_1)
	v_lshrrev_b32_e32 v4, 16, v4
	s_branch .LBB166_1466
.LBB166_1463:
                                        ; implicit-def: $vgpr4
	s_branch .LBB166_1472
.LBB166_1464:
	s_mov_b32 s20, -1
                                        ; implicit-def: $vgpr4
	s_branch .LBB166_1469
.LBB166_1465:
	s_mov_b32 s20, -1
                                        ; implicit-def: $vgpr4
.LBB166_1466:
	s_delay_alu instid0(SALU_CYCLE_1)
	s_and_not1_b32 vcc_lo, exec_lo, s20
	s_cbranch_vccnz .LBB166_1468
; %bb.1467:
	s_wait_loadcnt 0x0
	global_load_b32 v4, v[0:1], off
	s_wait_loadcnt 0x0
	v_cvt_f32_i32_e32 v4, v4
	s_delay_alu instid0(VALU_DEP_1) | instskip(NEXT) | instid1(VALU_DEP_1)
	v_bfe_u32 v5, v4, 16, 1
	v_add3_u32 v4, v4, v5, 0x7fff
	s_delay_alu instid0(VALU_DEP_1)
	v_lshrrev_b32_e32 v4, 16, v4
.LBB166_1468:
	s_mov_b32 s20, 0
.LBB166_1469:
	s_delay_alu instid0(SALU_CYCLE_1)
	s_and_not1_b32 vcc_lo, exec_lo, s20
	s_cbranch_vccnz .LBB166_1471
; %bb.1470:
	s_wait_loadcnt 0x0
	global_load_i16 v4, v[0:1], off
	s_wait_loadcnt 0x0
	v_cvt_f32_i32_e32 v4, v4
	s_delay_alu instid0(VALU_DEP_1) | instskip(NEXT) | instid1(VALU_DEP_1)
	v_bfe_u32 v5, v4, 16, 1
	v_add3_u32 v4, v4, v5, 0x7fff
	s_delay_alu instid0(VALU_DEP_1)
	v_lshrrev_b32_e32 v4, 16, v4
.LBB166_1471:
	s_cbranch_execnz .LBB166_1477
.LBB166_1472:
	s_sext_i32_i16 s0, s0
	s_delay_alu instid0(SALU_CYCLE_1)
	s_cmp_gt_i32 s0, 0
	s_mov_b32 s0, 0
	s_cbranch_scc0 .LBB166_1474
; %bb.1473:
	s_wait_loadcnt 0x0
	global_load_i8 v4, v[0:1], off
	s_wait_loadcnt 0x0
	v_cvt_f32_i32_e32 v4, v4
	s_delay_alu instid0(VALU_DEP_1) | instskip(NEXT) | instid1(VALU_DEP_1)
	v_bfe_u32 v5, v4, 16, 1
	v_add3_u32 v4, v4, v5, 0x7fff
	s_delay_alu instid0(VALU_DEP_1)
	v_lshrrev_b32_e32 v4, 16, v4
	s_branch .LBB166_1475
.LBB166_1474:
	s_mov_b32 s0, -1
                                        ; implicit-def: $vgpr4
.LBB166_1475:
	s_delay_alu instid0(SALU_CYCLE_1)
	s_and_not1_b32 vcc_lo, exec_lo, s0
	s_cbranch_vccnz .LBB166_1477
; %bb.1476:
	global_load_u8 v0, v[0:1], off
	s_wait_loadcnt 0x0
	v_cvt_f32_ubyte0_e32 v0, v0
	s_delay_alu instid0(VALU_DEP_1) | instskip(NEXT) | instid1(VALU_DEP_1)
	v_bfe_u32 v1, v0, 16, 1
	v_add3_u32 v0, v0, v1, 0x7fff
	s_delay_alu instid0(VALU_DEP_1)
	v_lshrrev_b32_e32 v4, 16, v0
.LBB166_1477:
	v_mov_b32_e32 v5, 0
.LBB166_1478:
	s_or_b32 s24, s24, exec_lo
.LBB166_1479:
	s_wait_xcnt 0x0
	s_or_b32 exec_lo, exec_lo, s19
	s_mov_b32 s0, 0
	s_mov_b32 s22, 0
                                        ; implicit-def: $sgpr19
                                        ; implicit-def: $sgpr20
                                        ; implicit-def: $vgpr0_vgpr1
	s_and_saveexec_b32 s21, s24
	s_cbranch_execz .LBB166_1490
; %bb.1480:
	s_wait_loadcnt 0x0
	v_and_b32_e32 v0, 0xffff, v4
	v_and_b32_e32 v1, 0xffff, v2
	s_and_not1_b32 vcc_lo, exec_lo, s16
	s_delay_alu instid0(VALU_DEP_2) | instskip(NEXT) | instid1(VALU_DEP_2)
	v_or_b32_e32 v2, v5, v0
	v_or_b32_e32 v4, v3, v1
	v_and_b32_e32 v0, 0xffff0000, v5
	v_and_b32_e32 v3, 0xffff0000, v3
	s_delay_alu instid0(VALU_DEP_3)
	v_dual_lshlrev_b32 v1, 16, v2 :: v_dual_lshlrev_b32 v2, 16, v4
	s_cbranch_vccnz .LBB166_1494
; %bb.1481:
	s_delay_alu instid0(VALU_DEP_1) | instskip(NEXT) | instid1(VALU_DEP_3)
	v_cmp_neq_f32_e32 vcc_lo, v2, v1
	v_cmp_neq_f32_e64 s0, v3, v0
	s_or_b32 s19, vcc_lo, s0
	s_cbranch_execnz .LBB166_1483
.LBB166_1482:
	s_delay_alu instid0(VALU_DEP_1) | instskip(SKIP_3) | instid1(SALU_CYCLE_1)
	v_cmp_eq_f32_e32 vcc_lo, v2, v1
	v_cmp_eq_f32_e64 s0, v3, v0
	s_and_not1_b32 s16, s19, exec_lo
	s_and_b32 s0, vcc_lo, s0
	s_and_b32 s0, s0, exec_lo
	s_delay_alu instid0(SALU_CYCLE_1)
	s_or_b32 s19, s16, s0
.LBB166_1483:
	v_mul_lo_u32 v0, v6, s8
	s_and_b32 s20, s12, 0xff
	s_delay_alu instid0(SALU_CYCLE_1) | instskip(NEXT) | instid1(VALU_DEP_1)
	s_cmp_lt_i32 s20, 11
	v_ashrrev_i32_e32 v1, 31, v0
	s_delay_alu instid0(VALU_DEP_1)
	v_add_nc_u64_e32 v[0:1], s[4:5], v[0:1]
	s_cbranch_scc1 .LBB166_1493
; %bb.1484:
	s_and_b32 s16, 0xffff, s20
	s_mov_b32 s22, -1
	s_cmp_gt_i32 s16, 25
	s_mov_b32 s0, s18
	s_cbranch_scc0 .LBB166_1522
; %bb.1485:
	s_cmp_gt_i32 s16, 28
	s_mov_b32 s0, s18
	s_cbranch_scc0 .LBB166_1506
; %bb.1486:
	;; [unrolled: 4-line block ×4, first 2 shown]
	s_cmp_eq_u32 s16, 46
	s_mov_b32 s0, -1
	s_cbranch_scc0 .LBB166_1495
; %bb.1489:
	v_cndmask_b32_e64 v2, 0, 1.0, s19
	s_mov_b32 s0, 0
	s_mov_b32 s22, 0
	s_delay_alu instid0(VALU_DEP_1) | instskip(NEXT) | instid1(VALU_DEP_1)
	v_bfe_u32 v3, v2, 16, 1
	v_add3_u32 v2, v2, v3, 0x7fff
	s_delay_alu instid0(VALU_DEP_1)
	v_lshrrev_b32_e32 v2, 16, v2
	global_store_b32 v[0:1], v2, off
	s_branch .LBB166_1496
.LBB166_1490:
	s_or_b32 exec_lo, exec_lo, s21
	s_and_saveexec_b32 s16, s18
	s_cbranch_execnz .LBB166_1564
.LBB166_1491:
	s_or_b32 exec_lo, exec_lo, s16
	s_and_saveexec_b32 s16, s0
	s_delay_alu instid0(SALU_CYCLE_1)
	s_xor_b32 s0, exec_lo, s16
	s_cbranch_execz .LBB166_1565
.LBB166_1492:
	s_wait_loadcnt 0x0
	v_cndmask_b32_e64 v2, 0, 1, s19
	global_store_b8 v[0:1], v2, off
	s_wait_xcnt 0x0
	s_or_b32 exec_lo, exec_lo, s0
	s_and_saveexec_b32 s0, s22
	s_delay_alu instid0(SALU_CYCLE_1)
	s_xor_b32 s0, exec_lo, s0
	s_cbranch_execz .LBB166_1603
	s_branch .LBB166_1566
.LBB166_1493:
	s_mov_b32 s23, 0
	s_mov_b32 s22, -1
	s_mov_b32 s0, s18
	s_branch .LBB166_1563
.LBB166_1494:
                                        ; implicit-def: $sgpr19
	s_branch .LBB166_1482
.LBB166_1495:
	s_mov_b32 s22, 0
.LBB166_1496:
	s_delay_alu instid0(SALU_CYCLE_1)
	s_and_b32 vcc_lo, exec_lo, s22
	s_cbranch_vccz .LBB166_1501
; %bb.1497:
	s_cmp_eq_u32 s16, 44
	s_mov_b32 s0, -1
	s_cbranch_scc0 .LBB166_1501
; %bb.1498:
	v_cndmask_b32_e64 v4, 0, 1.0, s19
	s_mov_b32 s22, exec_lo
	s_wait_xcnt 0x0
	s_delay_alu instid0(VALU_DEP_1) | instskip(NEXT) | instid1(VALU_DEP_1)
	v_dual_mov_b32 v3, 0xff :: v_dual_lshrrev_b32 v2, 23, v4
	v_cmpx_ne_u32_e32 0xff, v2
; %bb.1499:
	v_and_b32_e32 v3, 0x400000, v4
	v_and_or_b32 v4, 0x3fffff, v4, v2
	s_delay_alu instid0(VALU_DEP_2) | instskip(NEXT) | instid1(VALU_DEP_2)
	v_cmp_ne_u32_e32 vcc_lo, 0, v3
	v_cmp_ne_u32_e64 s0, 0, v4
	s_and_b32 s0, vcc_lo, s0
	s_delay_alu instid0(SALU_CYCLE_1) | instskip(NEXT) | instid1(VALU_DEP_1)
	v_cndmask_b32_e64 v3, 0, 1, s0
	v_add_nc_u32_e32 v3, v2, v3
; %bb.1500:
	s_or_b32 exec_lo, exec_lo, s22
	s_mov_b32 s0, 0
	global_store_b8 v[0:1], v3, off
.LBB166_1501:
	s_mov_b32 s22, 0
.LBB166_1502:
	s_delay_alu instid0(SALU_CYCLE_1)
	s_and_b32 vcc_lo, exec_lo, s22
	s_cbranch_vccz .LBB166_1505
; %bb.1503:
	s_cmp_eq_u32 s16, 29
	s_mov_b32 s0, -1
	s_cbranch_scc0 .LBB166_1505
; %bb.1504:
	s_mov_b32 s0, 0
	s_wait_xcnt 0x0
	v_cndmask_b32_e64 v2, 0, 1, s19
	v_mov_b32_e32 v3, s0
	s_mov_b32 s22, 0
	global_store_b64 v[0:1], v[2:3], off
	s_branch .LBB166_1506
.LBB166_1505:
	s_mov_b32 s22, 0
.LBB166_1506:
	s_delay_alu instid0(SALU_CYCLE_1)
	s_and_b32 vcc_lo, exec_lo, s22
	s_cbranch_vccz .LBB166_1521
; %bb.1507:
	s_cmp_lt_i32 s16, 27
	s_mov_b32 s22, -1
	s_cbranch_scc1 .LBB166_1513
; %bb.1508:
	s_wait_xcnt 0x0
	v_cndmask_b32_e64 v2, 0, 1, s19
	s_cmp_gt_i32 s16, 27
	s_cbranch_scc0 .LBB166_1510
; %bb.1509:
	s_mov_b32 s22, 0
	global_store_b32 v[0:1], v2, off
.LBB166_1510:
	s_and_not1_b32 vcc_lo, exec_lo, s22
	s_cbranch_vccnz .LBB166_1512
; %bb.1511:
	global_store_b16 v[0:1], v2, off
.LBB166_1512:
	s_mov_b32 s22, 0
.LBB166_1513:
	s_delay_alu instid0(SALU_CYCLE_1)
	s_and_not1_b32 vcc_lo, exec_lo, s22
	s_cbranch_vccnz .LBB166_1521
; %bb.1514:
	s_wait_xcnt 0x0
	v_cndmask_b32_e64 v3, 0, 1.0, s19
	v_mov_b32_e32 v4, 0x80
	s_mov_b32 s22, exec_lo
	s_delay_alu instid0(VALU_DEP_2)
	v_cmpx_gt_u32_e32 0x43800000, v3
	s_cbranch_execz .LBB166_1520
; %bb.1515:
	s_mov_b32 s23, 0
	s_mov_b32 s24, exec_lo
                                        ; implicit-def: $vgpr2
	v_cmpx_lt_u32_e32 0x3bffffff, v3
	s_xor_b32 s24, exec_lo, s24
	s_cbranch_execz .LBB166_1618
; %bb.1516:
	v_bfe_u32 v2, v3, 20, 1
	s_mov_b32 s23, exec_lo
	s_delay_alu instid0(VALU_DEP_1) | instskip(NEXT) | instid1(VALU_DEP_1)
	v_add3_u32 v2, v3, v2, 0x487ffff
                                        ; implicit-def: $vgpr3
	v_lshrrev_b32_e32 v2, 20, v2
	s_and_not1_saveexec_b32 s24, s24
	s_cbranch_execnz .LBB166_1619
.LBB166_1517:
	s_or_b32 exec_lo, exec_lo, s24
	v_mov_b32_e32 v4, 0
	s_and_saveexec_b32 s24, s23
.LBB166_1518:
	v_mov_b32_e32 v4, v2
.LBB166_1519:
	s_or_b32 exec_lo, exec_lo, s24
.LBB166_1520:
	s_delay_alu instid0(SALU_CYCLE_1)
	s_or_b32 exec_lo, exec_lo, s22
	global_store_b8 v[0:1], v4, off
.LBB166_1521:
	s_mov_b32 s22, 0
.LBB166_1522:
	s_delay_alu instid0(SALU_CYCLE_1)
	s_and_b32 vcc_lo, exec_lo, s22
	s_mov_b32 s22, 0
	s_cbranch_vccz .LBB166_1562
; %bb.1523:
	s_cmp_gt_i32 s16, 22
	s_mov_b32 s23, -1
	s_cbranch_scc0 .LBB166_1555
; %bb.1524:
	s_cmp_lt_i32 s16, 24
	s_cbranch_scc1 .LBB166_1544
; %bb.1525:
	s_cmp_gt_i32 s16, 24
	s_cbranch_scc0 .LBB166_1533
; %bb.1526:
	s_wait_xcnt 0x0
	v_cndmask_b32_e64 v3, 0, 1.0, s19
	v_mov_b32_e32 v4, 0x80
	s_mov_b32 s23, exec_lo
	s_delay_alu instid0(VALU_DEP_2)
	v_cmpx_gt_u32_e32 0x47800000, v3
	s_cbranch_execz .LBB166_1532
; %bb.1527:
	s_mov_b32 s24, 0
	s_mov_b32 s25, exec_lo
                                        ; implicit-def: $vgpr2
	v_cmpx_lt_u32_e32 0x37ffffff, v3
	s_xor_b32 s25, exec_lo, s25
	s_cbranch_execz .LBB166_1749
; %bb.1528:
	v_bfe_u32 v2, v3, 21, 1
	s_mov_b32 s24, exec_lo
	s_delay_alu instid0(VALU_DEP_1) | instskip(NEXT) | instid1(VALU_DEP_1)
	v_add3_u32 v2, v3, v2, 0x88fffff
                                        ; implicit-def: $vgpr3
	v_lshrrev_b32_e32 v2, 21, v2
	s_and_not1_saveexec_b32 s25, s25
	s_cbranch_execnz .LBB166_1750
.LBB166_1529:
	s_or_b32 exec_lo, exec_lo, s25
	v_mov_b32_e32 v4, 0
	s_and_saveexec_b32 s25, s24
.LBB166_1530:
	v_mov_b32_e32 v4, v2
.LBB166_1531:
	s_or_b32 exec_lo, exec_lo, s25
.LBB166_1532:
	s_delay_alu instid0(SALU_CYCLE_1)
	s_or_b32 exec_lo, exec_lo, s23
	s_mov_b32 s23, 0
	global_store_b8 v[0:1], v4, off
.LBB166_1533:
	s_and_b32 vcc_lo, exec_lo, s23
	s_cbranch_vccz .LBB166_1543
; %bb.1534:
	s_wait_xcnt 0x0
	v_cndmask_b32_e64 v3, 0, 1.0, s19
	s_mov_b32 s23, exec_lo
                                        ; implicit-def: $vgpr2
	s_delay_alu instid0(VALU_DEP_1)
	v_cmpx_gt_u32_e32 0x43f00000, v3
	s_xor_b32 s23, exec_lo, s23
	s_cbranch_execz .LBB166_1540
; %bb.1535:
	s_mov_b32 s24, exec_lo
                                        ; implicit-def: $vgpr2
	v_cmpx_lt_u32_e32 0x3c7fffff, v3
	s_xor_b32 s24, exec_lo, s24
; %bb.1536:
	v_bfe_u32 v2, v3, 20, 1
	s_delay_alu instid0(VALU_DEP_1) | instskip(NEXT) | instid1(VALU_DEP_1)
	v_add3_u32 v2, v3, v2, 0x407ffff
	v_and_b32_e32 v3, 0xff00000, v2
	v_lshrrev_b32_e32 v2, 20, v2
	s_delay_alu instid0(VALU_DEP_2) | instskip(NEXT) | instid1(VALU_DEP_2)
	v_cmp_ne_u32_e32 vcc_lo, 0x7f00000, v3
                                        ; implicit-def: $vgpr3
	v_cndmask_b32_e32 v2, 0x7e, v2, vcc_lo
; %bb.1537:
	s_and_not1_saveexec_b32 s24, s24
; %bb.1538:
	v_add_f32_e32 v2, 0x46800000, v3
; %bb.1539:
	s_or_b32 exec_lo, exec_lo, s24
                                        ; implicit-def: $vgpr3
.LBB166_1540:
	s_and_not1_saveexec_b32 s23, s23
; %bb.1541:
	v_mov_b32_e32 v2, 0x7f
	v_cmp_lt_u32_e32 vcc_lo, 0x7f800000, v3
	s_delay_alu instid0(VALU_DEP_2)
	v_cndmask_b32_e32 v2, 0x7e, v2, vcc_lo
; %bb.1542:
	s_or_b32 exec_lo, exec_lo, s23
	global_store_b8 v[0:1], v2, off
.LBB166_1543:
	s_mov_b32 s23, 0
.LBB166_1544:
	s_delay_alu instid0(SALU_CYCLE_1)
	s_and_not1_b32 vcc_lo, exec_lo, s23
	s_cbranch_vccnz .LBB166_1554
; %bb.1545:
	s_wait_xcnt 0x0
	v_cndmask_b32_e64 v3, 0, 1.0, s19
	s_mov_b32 s23, exec_lo
                                        ; implicit-def: $vgpr2
	s_delay_alu instid0(VALU_DEP_1)
	v_cmpx_gt_u32_e32 0x47800000, v3
	s_xor_b32 s23, exec_lo, s23
	s_cbranch_execz .LBB166_1551
; %bb.1546:
	s_mov_b32 s24, exec_lo
                                        ; implicit-def: $vgpr2
	v_cmpx_lt_u32_e32 0x387fffff, v3
	s_xor_b32 s24, exec_lo, s24
; %bb.1547:
	v_bfe_u32 v2, v3, 21, 1
	s_delay_alu instid0(VALU_DEP_1) | instskip(NEXT) | instid1(VALU_DEP_1)
	v_add3_u32 v2, v3, v2, 0x80fffff
                                        ; implicit-def: $vgpr3
	v_lshrrev_b32_e32 v2, 21, v2
; %bb.1548:
	s_and_not1_saveexec_b32 s24, s24
; %bb.1549:
	v_add_f32_e32 v2, 0x43000000, v3
; %bb.1550:
	s_or_b32 exec_lo, exec_lo, s24
                                        ; implicit-def: $vgpr3
.LBB166_1551:
	s_and_not1_saveexec_b32 s23, s23
; %bb.1552:
	v_mov_b32_e32 v2, 0x7f
	v_cmp_lt_u32_e32 vcc_lo, 0x7f800000, v3
	s_delay_alu instid0(VALU_DEP_2)
	v_cndmask_b32_e32 v2, 0x7c, v2, vcc_lo
; %bb.1553:
	s_or_b32 exec_lo, exec_lo, s23
	global_store_b8 v[0:1], v2, off
.LBB166_1554:
	s_mov_b32 s23, 0
.LBB166_1555:
	s_delay_alu instid0(SALU_CYCLE_1)
	s_and_not1_b32 vcc_lo, exec_lo, s23
	s_mov_b32 s23, 0
	s_cbranch_vccnz .LBB166_1563
; %bb.1556:
	s_cmp_gt_i32 s16, 14
	s_mov_b32 s23, -1
	s_cbranch_scc0 .LBB166_1560
; %bb.1557:
	s_cmp_eq_u32 s16, 15
	s_mov_b32 s0, -1
	s_cbranch_scc0 .LBB166_1559
; %bb.1558:
	s_wait_xcnt 0x0
	v_cndmask_b32_e64 v2, 0, 1.0, s19
	s_mov_b32 s0, 0
	s_delay_alu instid0(VALU_DEP_1) | instskip(NEXT) | instid1(VALU_DEP_1)
	v_bfe_u32 v3, v2, 16, 1
	v_add3_u32 v2, v2, v3, 0x7fff
	global_store_d16_hi_b16 v[0:1], v2, off
.LBB166_1559:
	s_mov_b32 s23, 0
.LBB166_1560:
	s_delay_alu instid0(SALU_CYCLE_1)
	s_and_b32 vcc_lo, exec_lo, s23
	s_mov_b32 s23, 0
	s_cbranch_vccz .LBB166_1563
; %bb.1561:
	s_cmp_lg_u32 s16, 11
	s_mov_b32 s23, -1
	s_cselect_b32 s16, -1, 0
	s_and_not1_b32 s0, s0, exec_lo
	s_and_b32 s16, s16, exec_lo
	s_delay_alu instid0(SALU_CYCLE_1)
	s_or_b32 s0, s0, s16
	s_branch .LBB166_1563
.LBB166_1562:
	s_mov_b32 s23, 0
.LBB166_1563:
	s_and_not1_b32 s16, s18, exec_lo
	s_and_b32 s18, s0, exec_lo
	s_and_b32 s22, s22, exec_lo
	s_and_b32 s0, s23, exec_lo
	s_or_b32 s18, s16, s18
	s_wait_xcnt 0x0
	s_or_b32 exec_lo, exec_lo, s21
	s_and_saveexec_b32 s16, s18
	s_cbranch_execz .LBB166_1491
.LBB166_1564:
	s_or_b32 s17, s17, exec_lo
	s_and_not1_b32 s0, s0, exec_lo
	s_trap 2
	s_or_b32 exec_lo, exec_lo, s16
	s_and_saveexec_b32 s16, s0
	s_delay_alu instid0(SALU_CYCLE_1)
	s_xor_b32 s0, exec_lo, s16
	s_cbranch_execnz .LBB166_1492
.LBB166_1565:
	s_or_b32 exec_lo, exec_lo, s0
	s_and_saveexec_b32 s0, s22
	s_delay_alu instid0(SALU_CYCLE_1)
	s_xor_b32 s0, exec_lo, s0
	s_cbranch_execz .LBB166_1603
.LBB166_1566:
	s_sext_i32_i16 s18, s20
	s_mov_b32 s16, -1
	s_cmp_lt_i32 s18, 5
	s_cbranch_scc1 .LBB166_1587
; %bb.1567:
	s_cmp_lt_i32 s18, 8
	s_cbranch_scc1 .LBB166_1577
; %bb.1568:
	s_cmp_lt_i32 s18, 9
	s_cbranch_scc1 .LBB166_1574
; %bb.1569:
	s_cmp_gt_i32 s18, 9
	s_cbranch_scc0 .LBB166_1571
; %bb.1570:
	s_wait_loadcnt 0x0
	v_cndmask_b32_e64 v2, 0, 1, s19
	v_mov_b32_e32 v4, 0
	s_mov_b32 s16, 0
	s_delay_alu instid0(VALU_DEP_2) | instskip(NEXT) | instid1(VALU_DEP_2)
	v_cvt_f64_u32_e32 v[2:3], v2
	v_mov_b32_e32 v5, v4
	global_store_b128 v[0:1], v[2:5], off
.LBB166_1571:
	s_and_not1_b32 vcc_lo, exec_lo, s16
	s_cbranch_vccnz .LBB166_1573
; %bb.1572:
	s_wait_loadcnt 0x0
	v_cndmask_b32_e64 v2, 0, 1.0, s19
	v_mov_b32_e32 v3, 0
	global_store_b64 v[0:1], v[2:3], off
.LBB166_1573:
	s_mov_b32 s16, 0
.LBB166_1574:
	s_delay_alu instid0(SALU_CYCLE_1)
	s_and_not1_b32 vcc_lo, exec_lo, s16
	s_cbranch_vccnz .LBB166_1576
; %bb.1575:
	s_wait_loadcnt 0x0
	v_cndmask_b32_e64 v2, 0, 1.0, s19
	s_delay_alu instid0(VALU_DEP_1) | instskip(NEXT) | instid1(VALU_DEP_1)
	v_cvt_f16_f32_e32 v2, v2
	v_and_b32_e32 v2, 0xffff, v2
	global_store_b32 v[0:1], v2, off
.LBB166_1576:
	s_mov_b32 s16, 0
.LBB166_1577:
	s_delay_alu instid0(SALU_CYCLE_1)
	s_and_not1_b32 vcc_lo, exec_lo, s16
	s_cbranch_vccnz .LBB166_1586
; %bb.1578:
	s_sext_i32_i16 s18, s20
	s_mov_b32 s16, -1
	s_cmp_lt_i32 s18, 6
	s_cbranch_scc1 .LBB166_1584
; %bb.1579:
	s_cmp_gt_i32 s18, 6
	s_cbranch_scc0 .LBB166_1581
; %bb.1580:
	s_wait_loadcnt 0x0
	v_cndmask_b32_e64 v2, 0, 1, s19
	s_mov_b32 s16, 0
	s_delay_alu instid0(VALU_DEP_1)
	v_cvt_f64_u32_e32 v[2:3], v2
	global_store_b64 v[0:1], v[2:3], off
.LBB166_1581:
	s_and_not1_b32 vcc_lo, exec_lo, s16
	s_cbranch_vccnz .LBB166_1583
; %bb.1582:
	s_wait_loadcnt 0x0
	v_cndmask_b32_e64 v2, 0, 1.0, s19
	global_store_b32 v[0:1], v2, off
.LBB166_1583:
	s_mov_b32 s16, 0
.LBB166_1584:
	s_delay_alu instid0(SALU_CYCLE_1)
	s_and_not1_b32 vcc_lo, exec_lo, s16
	s_cbranch_vccnz .LBB166_1586
; %bb.1585:
	s_wait_loadcnt 0x0
	v_cndmask_b32_e64 v2, 0, 1.0, s19
	s_delay_alu instid0(VALU_DEP_1)
	v_cvt_f16_f32_e32 v2, v2
	global_store_b16 v[0:1], v2, off
.LBB166_1586:
	s_mov_b32 s16, 0
.LBB166_1587:
	s_delay_alu instid0(SALU_CYCLE_1)
	s_and_not1_b32 vcc_lo, exec_lo, s16
	s_cbranch_vccnz .LBB166_1603
; %bb.1588:
	s_sext_i32_i16 s18, s20
	s_mov_b32 s16, -1
	s_cmp_lt_i32 s18, 2
	s_cbranch_scc1 .LBB166_1598
; %bb.1589:
	s_cmp_lt_i32 s18, 3
	s_cbranch_scc1 .LBB166_1595
; %bb.1590:
	s_cmp_gt_i32 s18, 3
	s_cbranch_scc0 .LBB166_1592
; %bb.1591:
	s_mov_b32 s16, 0
	s_wait_loadcnt 0x0
	v_cndmask_b32_e64 v2, 0, 1, s19
	v_mov_b32_e32 v3, s16
	global_store_b64 v[0:1], v[2:3], off
.LBB166_1592:
	s_and_not1_b32 vcc_lo, exec_lo, s16
	s_cbranch_vccnz .LBB166_1594
; %bb.1593:
	s_wait_loadcnt 0x0
	v_cndmask_b32_e64 v2, 0, 1, s19
	global_store_b32 v[0:1], v2, off
.LBB166_1594:
	s_mov_b32 s16, 0
.LBB166_1595:
	s_delay_alu instid0(SALU_CYCLE_1)
	s_and_not1_b32 vcc_lo, exec_lo, s16
	s_cbranch_vccnz .LBB166_1597
; %bb.1596:
	s_wait_loadcnt 0x0
	v_cndmask_b32_e64 v2, 0, 1, s19
	global_store_b16 v[0:1], v2, off
.LBB166_1597:
	s_mov_b32 s16, 0
.LBB166_1598:
	s_delay_alu instid0(SALU_CYCLE_1)
	s_and_not1_b32 vcc_lo, exec_lo, s16
	s_cbranch_vccnz .LBB166_1603
; %bb.1599:
	s_wait_loadcnt 0x0
	v_cndmask_b32_e64 v2, 0, 1, s19
	s_sext_i32_i16 s16, s20
	s_delay_alu instid0(SALU_CYCLE_1)
	s_cmp_gt_i32 s16, 0
	s_mov_b32 s16, -1
	s_cbranch_scc0 .LBB166_1601
; %bb.1600:
	s_mov_b32 s16, 0
	global_store_b8 v[0:1], v2, off
.LBB166_1601:
	s_and_not1_b32 vcc_lo, exec_lo, s16
	s_cbranch_vccnz .LBB166_1603
; %bb.1602:
	global_store_b8 v[0:1], v2, off
.LBB166_1603:
	s_wait_xcnt 0x0
	s_or_b32 exec_lo, exec_lo, s0
	s_delay_alu instid0(SALU_CYCLE_1)
	s_and_b32 s16, s17, exec_lo
                                        ; implicit-def: $vgpr6
.LBB166_1604:
	s_or_saveexec_b32 s15, s15
	s_mov_b32 s0, 0
                                        ; implicit-def: $sgpr17
                                        ; implicit-def: $sgpr18
                                        ; implicit-def: $vgpr0_vgpr1
	s_xor_b32 exec_lo, exec_lo, s15
	s_cbranch_execz .LBB166_2706
; %bb.1605:
	v_mul_lo_u32 v0, s9, v6
	s_and_b32 s14, s14, 0xff
	s_delay_alu instid0(SALU_CYCLE_1) | instskip(NEXT) | instid1(VALU_DEP_1)
	s_cmp_lt_i32 s14, 11
	v_ashrrev_i32_e32 v1, 31, v0
	s_wait_loadcnt 0x0
	s_delay_alu instid0(VALU_DEP_1)
	v_add_nc_u64_e32 v[2:3], s[6:7], v[0:1]
	s_cbranch_scc1 .LBB166_1612
; %bb.1606:
	s_and_b32 s0, 0xffff, s14
	s_mov_b32 s17, 0
	s_cmp_gt_i32 s0, 25
	s_cbranch_scc0 .LBB166_1614
; %bb.1607:
	s_cmp_gt_i32 s0, 28
	s_cbranch_scc0 .LBB166_1615
; %bb.1608:
	;; [unrolled: 3-line block ×4, first 2 shown]
	s_cmp_eq_u32 s0, 46
	s_mov_b32 s19, 0
	s_cbranch_scc0 .LBB166_1620
; %bb.1611:
	global_load_b32 v1, v[2:3], off
	s_mov_b32 s18, -1
	s_wait_loadcnt 0x0
	v_and_b32_e32 v7, 0xffff0000, v1
	s_branch .LBB166_1622
.LBB166_1612:
	s_mov_b32 s18, 0
	s_mov_b32 s13, s16
                                        ; implicit-def: $vgpr7
                                        ; implicit-def: $vgpr1
	s_cbranch_execnz .LBB166_1688
.LBB166_1613:
	s_and_not1_b32 vcc_lo, exec_lo, s18
	s_cbranch_vccz .LBB166_1735
	s_branch .LBB166_2703
.LBB166_1614:
	s_mov_b32 s18, 0
                                        ; implicit-def: $vgpr7
                                        ; implicit-def: $vgpr1
	s_cbranch_execnz .LBB166_1652
	s_branch .LBB166_1684
.LBB166_1615:
	s_mov_b32 s18, 0
                                        ; implicit-def: $vgpr7
                                        ; implicit-def: $vgpr1
	s_cbranch_execnz .LBB166_1634
	s_branch .LBB166_1651
.LBB166_1616:
	s_mov_b32 s19, -1
	s_mov_b32 s18, 0
                                        ; implicit-def: $vgpr7
                                        ; implicit-def: $vgpr1
	s_branch .LBB166_1628
.LBB166_1617:
	s_mov_b32 s19, -1
	s_branch .LBB166_1621
.LBB166_1618:
	s_and_not1_saveexec_b32 s24, s24
	s_cbranch_execz .LBB166_1517
.LBB166_1619:
	v_add_f32_e32 v2, 0x46000000, v3
	s_and_not1_b32 s23, s23, exec_lo
	s_delay_alu instid0(VALU_DEP_1) | instskip(NEXT) | instid1(VALU_DEP_1)
	v_and_b32_e32 v2, 0xff, v2
	v_cmp_ne_u32_e32 vcc_lo, 0, v2
	s_and_b32 s25, vcc_lo, exec_lo
	s_delay_alu instid0(SALU_CYCLE_1)
	s_or_b32 s23, s23, s25
	s_or_b32 exec_lo, exec_lo, s24
	v_mov_b32_e32 v4, 0
	s_and_saveexec_b32 s24, s23
	s_cbranch_execnz .LBB166_1518
	s_branch .LBB166_1519
.LBB166_1620:
	s_mov_b32 s13, -1
.LBB166_1621:
	s_mov_b32 s18, 0
                                        ; implicit-def: $vgpr7
                                        ; implicit-def: $vgpr1
.LBB166_1622:
	s_and_b32 vcc_lo, exec_lo, s19
	s_cbranch_vccz .LBB166_1627
; %bb.1623:
	s_cmp_eq_u32 s0, 44
	s_cbranch_scc0 .LBB166_1625
; %bb.1624:
	global_load_u8 v1, v[2:3], off
	s_mov_b32 s13, 0
	s_mov_b32 s18, -1
	s_wait_loadcnt 0x0
	v_lshlrev_b32_e32 v4, 23, v1
	v_cmp_ne_u32_e32 vcc_lo, 0xff, v1
	s_delay_alu instid0(VALU_DEP_2) | instskip(SKIP_1) | instid1(VALU_DEP_2)
	v_cndmask_b32_e32 v4, 0x7f800001, v4, vcc_lo
	v_cmp_ne_u32_e32 vcc_lo, 0, v1
	v_cndmask_b32_e32 v1, 0x400000, v4, vcc_lo
	s_delay_alu instid0(VALU_DEP_1) | instskip(NEXT) | instid1(VALU_DEP_1)
	v_add_nc_u32_e32 v4, 0x7fff, v1
	v_lshrrev_b32_e32 v4, 16, v4
	v_cmp_o_f32_e32 vcc_lo, v1, v1
	s_delay_alu instid0(VALU_DEP_2)
	v_cndmask_b32_e32 v1, 0x7fc0, v4, vcc_lo
	s_branch .LBB166_1626
.LBB166_1625:
	s_mov_b32 s13, -1
                                        ; implicit-def: $vgpr1
.LBB166_1626:
	v_mov_b32_e32 v7, 0
.LBB166_1627:
	s_mov_b32 s19, 0
.LBB166_1628:
	s_delay_alu instid0(SALU_CYCLE_1)
	s_and_b32 vcc_lo, exec_lo, s19
	s_cbranch_vccz .LBB166_1633
; %bb.1629:
	s_cmp_eq_u32 s0, 29
	s_cbranch_scc0 .LBB166_1631
; %bb.1630:
	global_load_b64 v[4:5], v[2:3], off
	s_mov_b32 s13, 0
	s_mov_b32 s18, -1
	s_wait_loadcnt 0x0
	v_clz_i32_u32_e32 v1, v5
	s_delay_alu instid0(VALU_DEP_1) | instskip(NEXT) | instid1(VALU_DEP_1)
	v_min_u32_e32 v1, 32, v1
	v_lshlrev_b64_e32 v[4:5], v1, v[4:5]
	v_sub_nc_u32_e32 v1, 32, v1
	s_delay_alu instid0(VALU_DEP_2) | instskip(NEXT) | instid1(VALU_DEP_1)
	v_min_u32_e32 v4, 1, v4
	v_or_b32_e32 v4, v5, v4
	s_delay_alu instid0(VALU_DEP_1) | instskip(NEXT) | instid1(VALU_DEP_1)
	v_cvt_f32_u32_e32 v4, v4
	v_ldexp_f32 v1, v4, v1
	s_delay_alu instid0(VALU_DEP_1) | instskip(NEXT) | instid1(VALU_DEP_1)
	v_bfe_u32 v4, v1, 16, 1
	v_add3_u32 v1, v1, v4, 0x7fff
	s_delay_alu instid0(VALU_DEP_1)
	v_lshrrev_b32_e32 v1, 16, v1
	s_branch .LBB166_1632
.LBB166_1631:
	s_mov_b32 s13, -1
                                        ; implicit-def: $vgpr1
.LBB166_1632:
	v_mov_b32_e32 v7, 0
.LBB166_1633:
	s_branch .LBB166_1651
.LBB166_1634:
	s_cmp_lt_i32 s0, 27
	s_cbranch_scc1 .LBB166_1637
; %bb.1635:
	s_cmp_gt_i32 s0, 27
	s_cbranch_scc0 .LBB166_1638
; %bb.1636:
	global_load_b32 v1, v[2:3], off
	s_mov_b32 s18, 0
	s_wait_loadcnt 0x0
	v_cvt_f32_u32_e32 v1, v1
	s_delay_alu instid0(VALU_DEP_1) | instskip(NEXT) | instid1(VALU_DEP_1)
	v_bfe_u32 v4, v1, 16, 1
	v_add3_u32 v1, v1, v4, 0x7fff
	s_delay_alu instid0(VALU_DEP_1)
	v_lshrrev_b32_e32 v1, 16, v1
	s_branch .LBB166_1639
.LBB166_1637:
	s_mov_b32 s18, -1
                                        ; implicit-def: $vgpr1
	s_branch .LBB166_1642
.LBB166_1638:
	s_mov_b32 s18, -1
                                        ; implicit-def: $vgpr1
.LBB166_1639:
	s_delay_alu instid0(SALU_CYCLE_1)
	s_and_not1_b32 vcc_lo, exec_lo, s18
	s_cbranch_vccnz .LBB166_1641
; %bb.1640:
	global_load_u16 v1, v[2:3], off
	s_wait_loadcnt 0x0
	v_cvt_f32_u32_e32 v1, v1
	s_delay_alu instid0(VALU_DEP_1) | instskip(NEXT) | instid1(VALU_DEP_1)
	v_bfe_u32 v4, v1, 16, 1
	v_add3_u32 v1, v1, v4, 0x7fff
	s_delay_alu instid0(VALU_DEP_1)
	v_lshrrev_b32_e32 v1, 16, v1
.LBB166_1641:
	s_mov_b32 s18, 0
.LBB166_1642:
	s_delay_alu instid0(SALU_CYCLE_1)
	s_and_not1_b32 vcc_lo, exec_lo, s18
	s_cbranch_vccnz .LBB166_1650
; %bb.1643:
	global_load_u8 v1, v[2:3], off
	s_mov_b32 s18, 0
	s_mov_b32 s19, exec_lo
	s_wait_loadcnt 0x0
	v_cmpx_lt_i16_e32 0x7f, v1
	s_xor_b32 s19, exec_lo, s19
	s_cbranch_execz .LBB166_1663
; %bb.1644:
	s_mov_b32 s18, -1
	s_mov_b32 s20, exec_lo
	v_cmpx_eq_u16_e32 0x80, v1
; %bb.1645:
	s_xor_b32 s18, exec_lo, -1
; %bb.1646:
	s_or_b32 exec_lo, exec_lo, s20
	s_delay_alu instid0(SALU_CYCLE_1)
	s_and_b32 s18, s18, exec_lo
	s_or_saveexec_b32 s19, s19
	v_mov_b32_e32 v4, 0x7f800001
	s_xor_b32 exec_lo, exec_lo, s19
	s_cbranch_execnz .LBB166_1664
.LBB166_1647:
	s_or_b32 exec_lo, exec_lo, s19
	s_and_saveexec_b32 s19, s18
	s_cbranch_execz .LBB166_1649
.LBB166_1648:
	v_and_b32_e32 v4, 0xffff, v1
	s_delay_alu instid0(VALU_DEP_1) | instskip(SKIP_1) | instid1(VALU_DEP_2)
	v_and_b32_e32 v5, 7, v4
	v_bfe_u32 v9, v4, 3, 4
	v_clz_i32_u32_e32 v7, v5
	s_delay_alu instid0(VALU_DEP_2) | instskip(NEXT) | instid1(VALU_DEP_2)
	v_cmp_eq_u32_e32 vcc_lo, 0, v9
	v_min_u32_e32 v7, 32, v7
	s_delay_alu instid0(VALU_DEP_1) | instskip(NEXT) | instid1(VALU_DEP_1)
	v_subrev_nc_u32_e32 v8, 28, v7
	v_dual_lshlrev_b32 v4, v8, v4 :: v_dual_sub_nc_u32 v7, 29, v7
	s_delay_alu instid0(VALU_DEP_1) | instskip(NEXT) | instid1(VALU_DEP_2)
	v_dual_lshlrev_b32 v1, 24, v1 :: v_dual_bitop2_b32 v4, 7, v4 bitop3:0x40
	v_cndmask_b32_e32 v7, v9, v7, vcc_lo
	s_delay_alu instid0(VALU_DEP_2) | instskip(NEXT) | instid1(VALU_DEP_3)
	v_cndmask_b32_e32 v4, v5, v4, vcc_lo
	v_and_b32_e32 v1, 0x80000000, v1
	s_delay_alu instid0(VALU_DEP_3) | instskip(NEXT) | instid1(VALU_DEP_3)
	v_lshl_add_u32 v5, v7, 23, 0x3b800000
	v_lshlrev_b32_e32 v4, 20, v4
	s_delay_alu instid0(VALU_DEP_1)
	v_or3_b32 v4, v1, v5, v4
.LBB166_1649:
	s_or_b32 exec_lo, exec_lo, s19
	s_delay_alu instid0(VALU_DEP_1) | instskip(SKIP_1) | instid1(VALU_DEP_2)
	v_bfe_u32 v1, v4, 16, 1
	v_cmp_o_f32_e32 vcc_lo, v4, v4
	v_add3_u32 v1, v4, v1, 0x7fff
	s_delay_alu instid0(VALU_DEP_1) | instskip(NEXT) | instid1(VALU_DEP_1)
	v_lshrrev_b32_e32 v1, 16, v1
	v_cndmask_b32_e32 v1, 0x7fc0, v1, vcc_lo
.LBB166_1650:
	v_mov_b32_e32 v7, 0
	s_mov_b32 s18, -1
.LBB166_1651:
	s_branch .LBB166_1684
.LBB166_1652:
	s_cmp_gt_i32 s0, 22
	s_cbranch_scc0 .LBB166_1662
; %bb.1653:
	s_cmp_lt_i32 s0, 24
	s_cbranch_scc1 .LBB166_1665
; %bb.1654:
	s_cmp_gt_i32 s0, 24
	s_cbranch_scc0 .LBB166_1666
; %bb.1655:
	global_load_u8 v1, v[2:3], off
	s_mov_b32 s18, exec_lo
	s_wait_loadcnt 0x0
	v_cmpx_lt_i16_e32 0x7f, v1
	s_xor_b32 s18, exec_lo, s18
	s_cbranch_execz .LBB166_1677
; %bb.1656:
	s_mov_b32 s17, -1
	s_mov_b32 s19, exec_lo
	v_cmpx_eq_u16_e32 0x80, v1
; %bb.1657:
	s_xor_b32 s17, exec_lo, -1
; %bb.1658:
	s_or_b32 exec_lo, exec_lo, s19
	s_delay_alu instid0(SALU_CYCLE_1)
	s_and_b32 s17, s17, exec_lo
	s_or_saveexec_b32 s18, s18
	v_mov_b32_e32 v4, 0x7f800001
	s_xor_b32 exec_lo, exec_lo, s18
	s_cbranch_execnz .LBB166_1678
.LBB166_1659:
	s_or_b32 exec_lo, exec_lo, s18
	s_and_saveexec_b32 s18, s17
	s_cbranch_execz .LBB166_1661
.LBB166_1660:
	v_and_b32_e32 v4, 0xffff, v1
	s_delay_alu instid0(VALU_DEP_1) | instskip(SKIP_1) | instid1(VALU_DEP_2)
	v_and_b32_e32 v5, 3, v4
	v_bfe_u32 v9, v4, 2, 5
	v_clz_i32_u32_e32 v7, v5
	s_delay_alu instid0(VALU_DEP_2) | instskip(NEXT) | instid1(VALU_DEP_2)
	v_cmp_eq_u32_e32 vcc_lo, 0, v9
	v_min_u32_e32 v7, 32, v7
	s_delay_alu instid0(VALU_DEP_1) | instskip(NEXT) | instid1(VALU_DEP_1)
	v_subrev_nc_u32_e32 v8, 29, v7
	v_dual_lshlrev_b32 v4, v8, v4 :: v_dual_sub_nc_u32 v7, 30, v7
	s_delay_alu instid0(VALU_DEP_1) | instskip(NEXT) | instid1(VALU_DEP_2)
	v_dual_lshlrev_b32 v1, 24, v1 :: v_dual_bitop2_b32 v4, 3, v4 bitop3:0x40
	v_cndmask_b32_e32 v7, v9, v7, vcc_lo
	s_delay_alu instid0(VALU_DEP_2) | instskip(NEXT) | instid1(VALU_DEP_3)
	v_cndmask_b32_e32 v4, v5, v4, vcc_lo
	v_and_b32_e32 v1, 0x80000000, v1
	s_delay_alu instid0(VALU_DEP_3) | instskip(NEXT) | instid1(VALU_DEP_3)
	v_lshl_add_u32 v5, v7, 23, 0x37800000
	v_lshlrev_b32_e32 v4, 21, v4
	s_delay_alu instid0(VALU_DEP_1)
	v_or3_b32 v4, v1, v5, v4
.LBB166_1661:
	s_or_b32 exec_lo, exec_lo, s18
	s_delay_alu instid0(VALU_DEP_1) | instskip(SKIP_2) | instid1(VALU_DEP_2)
	v_bfe_u32 v1, v4, 16, 1
	v_cmp_o_f32_e32 vcc_lo, v4, v4
	s_mov_b32 s17, 0
	v_add3_u32 v1, v4, v1, 0x7fff
	s_delay_alu instid0(VALU_DEP_1) | instskip(NEXT) | instid1(VALU_DEP_1)
	v_lshrrev_b32_e32 v1, 16, v1
	v_cndmask_b32_e32 v1, 0x7fc0, v1, vcc_lo
	s_branch .LBB166_1667
.LBB166_1662:
                                        ; implicit-def: $vgpr1
	s_mov_b32 s17, 0
	s_branch .LBB166_1673
.LBB166_1663:
	s_or_saveexec_b32 s19, s19
	v_mov_b32_e32 v4, 0x7f800001
	s_xor_b32 exec_lo, exec_lo, s19
	s_cbranch_execz .LBB166_1647
.LBB166_1664:
	v_cmp_ne_u16_e32 vcc_lo, 0, v1
	v_mov_b32_e32 v4, 0
	s_and_not1_b32 s18, s18, exec_lo
	s_and_b32 s20, vcc_lo, exec_lo
	s_delay_alu instid0(SALU_CYCLE_1)
	s_or_b32 s18, s18, s20
	s_or_b32 exec_lo, exec_lo, s19
	s_and_saveexec_b32 s19, s18
	s_cbranch_execnz .LBB166_1648
	s_branch .LBB166_1649
.LBB166_1665:
	s_mov_b32 s17, -1
                                        ; implicit-def: $vgpr1
	s_branch .LBB166_1670
.LBB166_1666:
	s_mov_b32 s17, -1
                                        ; implicit-def: $vgpr1
.LBB166_1667:
	s_delay_alu instid0(SALU_CYCLE_1)
	s_and_b32 vcc_lo, exec_lo, s17
	s_cbranch_vccz .LBB166_1669
; %bb.1668:
	global_load_u8 v1, v[2:3], off
	s_wait_loadcnt 0x0
	v_lshlrev_b32_e32 v1, 24, v1
	s_delay_alu instid0(VALU_DEP_1) | instskip(NEXT) | instid1(VALU_DEP_1)
	v_and_b32_e32 v4, 0x7f000000, v1
	v_clz_i32_u32_e32 v5, v4
	v_add_nc_u32_e32 v8, 0x1000000, v4
	v_cmp_ne_u32_e32 vcc_lo, 0, v4
	s_delay_alu instid0(VALU_DEP_3) | instskip(NEXT) | instid1(VALU_DEP_1)
	v_min_u32_e32 v5, 32, v5
	v_sub_nc_u32_e64 v5, v5, 4 clamp
	s_delay_alu instid0(VALU_DEP_1) | instskip(NEXT) | instid1(VALU_DEP_1)
	v_dual_lshlrev_b32 v7, v5, v4 :: v_dual_lshlrev_b32 v5, 23, v5
	v_lshrrev_b32_e32 v7, 4, v7
	s_delay_alu instid0(VALU_DEP_1) | instskip(NEXT) | instid1(VALU_DEP_1)
	v_dual_sub_nc_u32 v5, v7, v5 :: v_dual_ashrrev_i32 v7, 8, v8
	v_add_nc_u32_e32 v5, 0x3c000000, v5
	s_delay_alu instid0(VALU_DEP_1) | instskip(NEXT) | instid1(VALU_DEP_1)
	v_and_or_b32 v5, 0x7f800000, v7, v5
	v_cndmask_b32_e32 v4, 0, v5, vcc_lo
	s_delay_alu instid0(VALU_DEP_1) | instskip(SKIP_1) | instid1(VALU_DEP_2)
	v_and_or_b32 v1, 0x80000000, v1, v4
	v_bfe_u32 v4, v4, 16, 1
	v_cmp_o_f32_e32 vcc_lo, v1, v1
	s_delay_alu instid0(VALU_DEP_2) | instskip(NEXT) | instid1(VALU_DEP_1)
	v_add3_u32 v4, v1, v4, 0x7fff
	v_lshrrev_b32_e32 v4, 16, v4
	s_delay_alu instid0(VALU_DEP_1)
	v_cndmask_b32_e32 v1, 0x7fc0, v4, vcc_lo
.LBB166_1669:
	s_mov_b32 s17, 0
.LBB166_1670:
	s_delay_alu instid0(SALU_CYCLE_1)
	s_and_not1_b32 vcc_lo, exec_lo, s17
	s_cbranch_vccnz .LBB166_1672
; %bb.1671:
	global_load_u8 v1, v[2:3], off
	s_wait_loadcnt 0x0
	v_lshlrev_b32_e32 v4, 25, v1
	v_lshlrev_b16 v1, 8, v1
	s_delay_alu instid0(VALU_DEP_1) | instskip(SKIP_1) | instid1(VALU_DEP_2)
	v_and_or_b32 v7, 0x7f00, v1, 0.5
	v_bfe_i32 v1, v1, 0, 16
	v_dual_add_f32 v7, -0.5, v7 :: v_dual_lshrrev_b32 v5, 4, v4
	v_cmp_gt_u32_e32 vcc_lo, 0x8000000, v4
	s_delay_alu instid0(VALU_DEP_2) | instskip(NEXT) | instid1(VALU_DEP_1)
	v_or_b32_e32 v5, 0x70000000, v5
	v_mul_f32_e32 v5, 0x7800000, v5
	s_delay_alu instid0(VALU_DEP_1) | instskip(NEXT) | instid1(VALU_DEP_1)
	v_cndmask_b32_e32 v4, v5, v7, vcc_lo
	v_and_or_b32 v1, 0x80000000, v1, v4
	v_bfe_u32 v4, v4, 16, 1
	s_delay_alu instid0(VALU_DEP_2) | instskip(NEXT) | instid1(VALU_DEP_2)
	v_cmp_o_f32_e32 vcc_lo, v1, v1
	v_add3_u32 v4, v1, v4, 0x7fff
	s_delay_alu instid0(VALU_DEP_1) | instskip(NEXT) | instid1(VALU_DEP_1)
	v_lshrrev_b32_e32 v4, 16, v4
	v_cndmask_b32_e32 v1, 0x7fc0, v4, vcc_lo
.LBB166_1672:
	s_mov_b32 s18, -1
	s_mov_b32 s17, 0
	s_cbranch_execnz .LBB166_1683
.LBB166_1673:
	s_cmp_gt_i32 s0, 14
	s_cbranch_scc0 .LBB166_1676
; %bb.1674:
	s_cmp_eq_u32 s0, 15
	s_cbranch_scc0 .LBB166_1679
; %bb.1675:
	global_load_u16 v1, v[2:3], off
	s_mov_b32 s13, 0
	s_mov_b32 s18, -1
	s_branch .LBB166_1681
.LBB166_1676:
	s_mov_b32 s17, -1
	s_branch .LBB166_1680
.LBB166_1677:
	s_or_saveexec_b32 s18, s18
	v_mov_b32_e32 v4, 0x7f800001
	s_xor_b32 exec_lo, exec_lo, s18
	s_cbranch_execz .LBB166_1659
.LBB166_1678:
	v_cmp_ne_u16_e32 vcc_lo, 0, v1
	v_mov_b32_e32 v4, 0
	s_and_not1_b32 s17, s17, exec_lo
	s_and_b32 s19, vcc_lo, exec_lo
	s_delay_alu instid0(SALU_CYCLE_1)
	s_or_b32 s17, s17, s19
	s_or_b32 exec_lo, exec_lo, s18
	s_and_saveexec_b32 s18, s17
	s_cbranch_execnz .LBB166_1660
	s_branch .LBB166_1661
.LBB166_1679:
	s_mov_b32 s13, -1
.LBB166_1680:
                                        ; implicit-def: $vgpr1
.LBB166_1681:
	s_and_b32 vcc_lo, exec_lo, s17
	s_mov_b32 s17, 0
	s_cbranch_vccz .LBB166_1683
; %bb.1682:
	s_cmp_lg_u32 s0, 11
	s_mov_b32 s17, -1
	s_cselect_b32 s13, -1, 0
.LBB166_1683:
	v_mov_b32_e32 v7, 0
.LBB166_1684:
	s_and_b32 vcc_lo, exec_lo, s13
	s_mov_b32 s13, s16
	s_cbranch_vccnz .LBB166_1747
; %bb.1685:
	s_and_not1_b32 vcc_lo, exec_lo, s17
	s_cbranch_vccnz .LBB166_1687
.LBB166_1686:
	s_wait_loadcnt 0x0
	global_load_u8 v1, v[2:3], off
	s_mov_b32 s18, -1
	v_mov_b32_e32 v7, 0
	s_wait_loadcnt 0x0
	v_cmp_ne_u16_e32 vcc_lo, 0, v1
	v_cndmask_b32_e64 v1, 0, 1.0, vcc_lo
	s_delay_alu instid0(VALU_DEP_1)
	v_lshrrev_b32_e32 v1, 16, v1
.LBB166_1687:
	s_branch .LBB166_1613
.LBB166_1688:
	s_and_b32 s0, 0xffff, s14
	s_delay_alu instid0(SALU_CYCLE_1)
	s_cmp_lt_i32 s0, 5
	s_cbranch_scc1 .LBB166_1693
; %bb.1689:
	s_cmp_lt_i32 s0, 8
	s_cbranch_scc1 .LBB166_1695
; %bb.1690:
	;; [unrolled: 3-line block ×3, first 2 shown]
	s_cmp_gt_i32 s0, 9
	s_cbranch_scc0 .LBB166_1697
; %bb.1692:
	global_load_b128 v[8:11], v[2:3], off
	s_mov_b32 s17, 0
	s_wait_loadcnt 0x0
	v_cvt_f32_f64_e32 v1, v[8:9]
	v_cvt_f32_f64_e32 v4, v[10:11]
	s_delay_alu instid0(VALU_DEP_2) | instskip(NEXT) | instid1(VALU_DEP_2)
	v_bfe_u32 v5, v1, 16, 1
	v_bfe_u32 v7, v4, 16, 1
	v_cmp_o_f32_e32 vcc_lo, v1, v1
	s_delay_alu instid0(VALU_DEP_3) | instskip(NEXT) | instid1(VALU_DEP_3)
	v_add3_u32 v5, v1, v5, 0x7fff
	v_add3_u32 v7, v4, v7, 0x7fff
	s_delay_alu instid0(VALU_DEP_2) | instskip(NEXT) | instid1(VALU_DEP_2)
	v_lshrrev_b32_e32 v5, 16, v5
	v_and_b32_e32 v7, 0xffff0000, v7
	s_delay_alu instid0(VALU_DEP_2) | instskip(SKIP_1) | instid1(VALU_DEP_3)
	v_cndmask_b32_e32 v1, 0x7fc0, v5, vcc_lo
	v_cmp_o_f32_e32 vcc_lo, v4, v4
	v_cndmask_b32_e32 v7, 0x7fc00000, v7, vcc_lo
	s_branch .LBB166_1698
.LBB166_1693:
                                        ; implicit-def: $vgpr7
                                        ; implicit-def: $vgpr1
	s_branch .LBB166_1716
.LBB166_1694:
	s_branch .LBB166_1735
.LBB166_1695:
                                        ; implicit-def: $vgpr7
                                        ; implicit-def: $vgpr1
	s_branch .LBB166_1704
.LBB166_1696:
	s_mov_b32 s17, -1
                                        ; implicit-def: $vgpr7
                                        ; implicit-def: $vgpr1
	s_branch .LBB166_1701
.LBB166_1697:
	s_mov_b32 s17, -1
                                        ; implicit-def: $vgpr7
                                        ; implicit-def: $vgpr1
.LBB166_1698:
	s_delay_alu instid0(SALU_CYCLE_1)
	s_and_not1_b32 vcc_lo, exec_lo, s17
	s_cbranch_vccnz .LBB166_1700
; %bb.1699:
	global_load_b64 v[4:5], v[2:3], off
	s_wait_loadcnt 0x0
	v_bfe_u32 v1, v4, 16, 1
	v_bfe_u32 v7, v5, 16, 1
	v_cmp_o_f32_e32 vcc_lo, v4, v4
	s_delay_alu instid0(VALU_DEP_3) | instskip(NEXT) | instid1(VALU_DEP_3)
	v_add3_u32 v1, v4, v1, 0x7fff
	v_add3_u32 v7, v5, v7, 0x7fff
	s_delay_alu instid0(VALU_DEP_2) | instskip(NEXT) | instid1(VALU_DEP_2)
	v_lshrrev_b32_e32 v1, 16, v1
	v_and_b32_e32 v7, 0xffff0000, v7
	s_delay_alu instid0(VALU_DEP_2) | instskip(SKIP_1) | instid1(VALU_DEP_3)
	v_cndmask_b32_e32 v1, 0x7fc0, v1, vcc_lo
	v_cmp_o_f32_e32 vcc_lo, v5, v5
	v_cndmask_b32_e32 v7, 0x7fc00000, v7, vcc_lo
.LBB166_1700:
	s_mov_b32 s17, 0
.LBB166_1701:
	s_delay_alu instid0(SALU_CYCLE_1)
	s_and_not1_b32 vcc_lo, exec_lo, s17
	s_cbranch_vccnz .LBB166_1703
; %bb.1702:
	s_wait_loadcnt 0x0
	global_load_b32 v1, v[2:3], off
	s_wait_loadcnt 0x0
	v_lshrrev_b32_e32 v4, 16, v1
	v_cvt_f32_f16_e32 v5, v1
	v_cmp_o_f16_e32 vcc_lo, v1, v1
	s_delay_alu instid0(VALU_DEP_3) | instskip(NEXT) | instid1(VALU_DEP_3)
	v_cvt_f32_f16_e32 v7, v4
	v_bfe_u32 v8, v5, 16, 1
	s_delay_alu instid0(VALU_DEP_2) | instskip(NEXT) | instid1(VALU_DEP_2)
	v_bfe_u32 v9, v7, 16, 1
	v_add3_u32 v5, v5, v8, 0x7fff
	s_delay_alu instid0(VALU_DEP_2) | instskip(NEXT) | instid1(VALU_DEP_2)
	v_add3_u32 v7, v7, v9, 0x7fff
	v_lshrrev_b32_e32 v5, 16, v5
	s_delay_alu instid0(VALU_DEP_2) | instskip(NEXT) | instid1(VALU_DEP_2)
	v_and_b32_e32 v7, 0xffff0000, v7
	v_cndmask_b32_e32 v1, 0x7fc0, v5, vcc_lo
	v_cmp_o_f16_e32 vcc_lo, v4, v4
	s_delay_alu instid0(VALU_DEP_3)
	v_cndmask_b32_e32 v7, 0x7fc00000, v7, vcc_lo
.LBB166_1703:
	s_cbranch_execnz .LBB166_1715
.LBB166_1704:
	s_cmp_lt_i32 s0, 6
	s_cbranch_scc1 .LBB166_1707
; %bb.1705:
	s_cmp_gt_i32 s0, 6
	s_cbranch_scc0 .LBB166_1708
; %bb.1706:
	global_load_b64 v[4:5], v[2:3], off
	s_mov_b32 s17, 0
	s_wait_loadcnt 0x0
	v_cvt_f32_f64_e32 v1, v[4:5]
	s_delay_alu instid0(VALU_DEP_1) | instskip(SKIP_1) | instid1(VALU_DEP_2)
	v_bfe_u32 v4, v1, 16, 1
	v_cmp_o_f32_e32 vcc_lo, v1, v1
	v_add3_u32 v4, v1, v4, 0x7fff
	s_delay_alu instid0(VALU_DEP_1) | instskip(NEXT) | instid1(VALU_DEP_1)
	v_lshrrev_b32_e32 v4, 16, v4
	v_cndmask_b32_e32 v1, 0x7fc0, v4, vcc_lo
	s_branch .LBB166_1709
.LBB166_1707:
	s_mov_b32 s17, -1
                                        ; implicit-def: $vgpr1
	s_branch .LBB166_1712
.LBB166_1708:
	s_mov_b32 s17, -1
                                        ; implicit-def: $vgpr1
.LBB166_1709:
	s_delay_alu instid0(SALU_CYCLE_1)
	s_and_not1_b32 vcc_lo, exec_lo, s17
	s_cbranch_vccnz .LBB166_1711
; %bb.1710:
	s_wait_loadcnt 0x0
	global_load_b32 v1, v[2:3], off
	s_wait_loadcnt 0x0
	v_bfe_u32 v4, v1, 16, 1
	v_cmp_o_f32_e32 vcc_lo, v1, v1
	s_delay_alu instid0(VALU_DEP_2) | instskip(NEXT) | instid1(VALU_DEP_1)
	v_add3_u32 v4, v1, v4, 0x7fff
	v_lshrrev_b32_e32 v4, 16, v4
	s_delay_alu instid0(VALU_DEP_1)
	v_cndmask_b32_e32 v1, 0x7fc0, v4, vcc_lo
.LBB166_1711:
	s_mov_b32 s17, 0
.LBB166_1712:
	s_delay_alu instid0(SALU_CYCLE_1)
	s_and_not1_b32 vcc_lo, exec_lo, s17
	s_cbranch_vccnz .LBB166_1714
; %bb.1713:
	s_wait_loadcnt 0x0
	global_load_u16 v1, v[2:3], off
	s_wait_loadcnt 0x0
	v_cvt_f32_f16_e32 v4, v1
	v_cmp_o_f16_e32 vcc_lo, v1, v1
	s_delay_alu instid0(VALU_DEP_2) | instskip(NEXT) | instid1(VALU_DEP_1)
	v_bfe_u32 v5, v4, 16, 1
	v_add3_u32 v4, v4, v5, 0x7fff
	s_delay_alu instid0(VALU_DEP_1) | instskip(NEXT) | instid1(VALU_DEP_1)
	v_lshrrev_b32_e32 v4, 16, v4
	v_cndmask_b32_e32 v1, 0x7fc0, v4, vcc_lo
.LBB166_1714:
	v_mov_b32_e32 v7, 0
.LBB166_1715:
	s_cbranch_execnz .LBB166_1694
.LBB166_1716:
	s_cmp_lt_i32 s0, 2
	s_cbranch_scc1 .LBB166_1720
; %bb.1717:
	s_cmp_lt_i32 s0, 3
	s_cbranch_scc1 .LBB166_1721
; %bb.1718:
	s_cmp_gt_i32 s0, 3
	s_cbranch_scc0 .LBB166_1722
; %bb.1719:
	global_load_b64 v[4:5], v[2:3], off
	s_mov_b32 s17, 0
	s_wait_loadcnt 0x0
	v_xor_b32_e32 v1, v4, v5
	v_cls_i32_e32 v7, v5
	s_delay_alu instid0(VALU_DEP_2) | instskip(NEXT) | instid1(VALU_DEP_1)
	v_ashrrev_i32_e32 v1, 31, v1
	v_add_nc_u32_e32 v1, 32, v1
	s_delay_alu instid0(VALU_DEP_1) | instskip(NEXT) | instid1(VALU_DEP_1)
	v_add_min_u32_e64 v1, v7, -1, v1
	v_lshlrev_b64_e32 v[4:5], v1, v[4:5]
	v_sub_nc_u32_e32 v1, 32, v1
	s_delay_alu instid0(VALU_DEP_2) | instskip(NEXT) | instid1(VALU_DEP_1)
	v_min_u32_e32 v4, 1, v4
	v_or_b32_e32 v4, v5, v4
	s_delay_alu instid0(VALU_DEP_1) | instskip(NEXT) | instid1(VALU_DEP_1)
	v_cvt_f32_i32_e32 v4, v4
	v_ldexp_f32 v1, v4, v1
	s_delay_alu instid0(VALU_DEP_1) | instskip(NEXT) | instid1(VALU_DEP_1)
	v_bfe_u32 v4, v1, 16, 1
	v_add3_u32 v1, v1, v4, 0x7fff
	s_delay_alu instid0(VALU_DEP_1)
	v_lshrrev_b32_e32 v1, 16, v1
	s_branch .LBB166_1723
.LBB166_1720:
                                        ; implicit-def: $vgpr1
	s_branch .LBB166_1729
.LBB166_1721:
	s_mov_b32 s17, -1
                                        ; implicit-def: $vgpr1
	s_branch .LBB166_1726
.LBB166_1722:
	s_mov_b32 s17, -1
                                        ; implicit-def: $vgpr1
.LBB166_1723:
	s_delay_alu instid0(SALU_CYCLE_1)
	s_and_not1_b32 vcc_lo, exec_lo, s17
	s_cbranch_vccnz .LBB166_1725
; %bb.1724:
	s_wait_loadcnt 0x0
	global_load_b32 v1, v[2:3], off
	s_wait_loadcnt 0x0
	v_cvt_f32_i32_e32 v1, v1
	s_delay_alu instid0(VALU_DEP_1) | instskip(NEXT) | instid1(VALU_DEP_1)
	v_bfe_u32 v4, v1, 16, 1
	v_add3_u32 v1, v1, v4, 0x7fff
	s_delay_alu instid0(VALU_DEP_1)
	v_lshrrev_b32_e32 v1, 16, v1
.LBB166_1725:
	s_mov_b32 s17, 0
.LBB166_1726:
	s_delay_alu instid0(SALU_CYCLE_1)
	s_and_not1_b32 vcc_lo, exec_lo, s17
	s_cbranch_vccnz .LBB166_1728
; %bb.1727:
	s_wait_loadcnt 0x0
	global_load_i16 v1, v[2:3], off
	s_wait_loadcnt 0x0
	v_cvt_f32_i32_e32 v1, v1
	s_delay_alu instid0(VALU_DEP_1) | instskip(NEXT) | instid1(VALU_DEP_1)
	v_bfe_u32 v4, v1, 16, 1
	v_add3_u32 v1, v1, v4, 0x7fff
	s_delay_alu instid0(VALU_DEP_1)
	v_lshrrev_b32_e32 v1, 16, v1
.LBB166_1728:
	s_cbranch_execnz .LBB166_1734
.LBB166_1729:
	s_cmp_gt_i32 s0, 0
	s_mov_b32 s0, 0
	s_cbranch_scc0 .LBB166_1731
; %bb.1730:
	s_wait_loadcnt 0x0
	global_load_i8 v1, v[2:3], off
	s_wait_loadcnt 0x0
	v_cvt_f32_i32_e32 v1, v1
	s_delay_alu instid0(VALU_DEP_1) | instskip(NEXT) | instid1(VALU_DEP_1)
	v_bfe_u32 v4, v1, 16, 1
	v_add3_u32 v1, v1, v4, 0x7fff
	s_delay_alu instid0(VALU_DEP_1)
	v_lshrrev_b32_e32 v1, 16, v1
	s_branch .LBB166_1732
.LBB166_1731:
	s_mov_b32 s0, -1
                                        ; implicit-def: $vgpr1
.LBB166_1732:
	s_delay_alu instid0(SALU_CYCLE_1)
	s_and_not1_b32 vcc_lo, exec_lo, s0
	s_cbranch_vccnz .LBB166_1734
; %bb.1733:
	s_wait_loadcnt 0x0
	global_load_u8 v1, v[2:3], off
	s_wait_loadcnt 0x0
	v_cvt_f32_ubyte0_e32 v1, v1
	s_wait_xcnt 0x0
	s_delay_alu instid0(VALU_DEP_1) | instskip(NEXT) | instid1(VALU_DEP_1)
	v_bfe_u32 v2, v1, 16, 1
	v_add3_u32 v1, v1, v2, 0x7fff
	s_delay_alu instid0(VALU_DEP_1)
	v_lshrrev_b32_e32 v1, 16, v1
.LBB166_1734:
	v_mov_b32_e32 v7, 0
.LBB166_1735:
	s_wait_xcnt 0x0
	v_mul_lo_u32 v2, s10, v6
	s_and_b32 s17, s1, 0xff
	s_delay_alu instid0(SALU_CYCLE_1) | instskip(NEXT) | instid1(VALU_DEP_1)
	s_cmp_lt_i32 s17, 11
	v_ashrrev_i32_e32 v3, 31, v2
	s_delay_alu instid0(VALU_DEP_1)
	v_add_nc_u64_e32 v[4:5], s[2:3], v[2:3]
	s_cbranch_scc1 .LBB166_1742
; %bb.1736:
	s_and_b32 s0, 0xffff, s17
	s_mov_b32 s18, 0
	s_cmp_gt_i32 s0, 25
	s_cbranch_scc0 .LBB166_1744
; %bb.1737:
	s_cmp_gt_i32 s0, 28
	s_cbranch_scc0 .LBB166_1745
; %bb.1738:
	;; [unrolled: 3-line block ×4, first 2 shown]
	s_cmp_eq_u32 s0, 46
	s_mov_b32 s20, 0
	s_cbranch_scc0 .LBB166_1751
; %bb.1741:
	global_load_b32 v3, v[4:5], off
	s_mov_b32 s1, 0
	s_mov_b32 s19, -1
	s_wait_loadcnt 0x0
	v_and_b32_e32 v8, 0xffff0000, v3
	s_branch .LBB166_1753
.LBB166_1742:
	s_mov_b32 s19, 0
                                        ; implicit-def: $vgpr8
                                        ; implicit-def: $vgpr3
	s_cbranch_execnz .LBB166_1821
.LBB166_1743:
	s_and_not1_b32 vcc_lo, exec_lo, s19
	s_cbranch_vccnz .LBB166_2703
	s_branch .LBB166_1870
.LBB166_1744:
	s_mov_b32 s19, 0
	s_mov_b32 s1, 0
                                        ; implicit-def: $vgpr8
                                        ; implicit-def: $vgpr3
	s_cbranch_execnz .LBB166_1784
	s_branch .LBB166_1817
.LBB166_1745:
	s_mov_b32 s20, -1
	s_mov_b32 s19, 0
	s_mov_b32 s1, 0
                                        ; implicit-def: $vgpr8
                                        ; implicit-def: $vgpr3
	s_branch .LBB166_1765
.LBB166_1746:
	s_mov_b32 s20, -1
	s_mov_b32 s19, 0
	s_mov_b32 s1, 0
                                        ; implicit-def: $vgpr8
                                        ; implicit-def: $vgpr3
	s_branch .LBB166_1759
.LBB166_1747:
	s_or_b32 s13, s16, exec_lo
	s_trap 2
	s_cbranch_execz .LBB166_1686
	s_branch .LBB166_1687
.LBB166_1748:
	s_mov_b32 s20, -1
	s_mov_b32 s19, 0
	s_mov_b32 s1, 0
	s_branch .LBB166_1752
.LBB166_1749:
	s_and_not1_saveexec_b32 s25, s25
	s_cbranch_execz .LBB166_1529
.LBB166_1750:
	v_add_f32_e32 v2, 0x42800000, v3
	s_and_not1_b32 s24, s24, exec_lo
	s_delay_alu instid0(VALU_DEP_1) | instskip(NEXT) | instid1(VALU_DEP_1)
	v_and_b32_e32 v2, 0xff, v2
	v_cmp_ne_u32_e32 vcc_lo, 0, v2
	s_and_b32 s26, vcc_lo, exec_lo
	s_delay_alu instid0(SALU_CYCLE_1)
	s_or_b32 s24, s24, s26
	s_or_b32 exec_lo, exec_lo, s25
	v_mov_b32_e32 v4, 0
	s_and_saveexec_b32 s25, s24
	s_cbranch_execnz .LBB166_1530
	s_branch .LBB166_1531
.LBB166_1751:
	s_mov_b32 s1, -1
	s_mov_b32 s19, 0
.LBB166_1752:
                                        ; implicit-def: $vgpr8
                                        ; implicit-def: $vgpr3
.LBB166_1753:
	s_and_b32 vcc_lo, exec_lo, s20
	s_cbranch_vccz .LBB166_1758
; %bb.1754:
	s_cmp_eq_u32 s0, 44
	s_cbranch_scc0 .LBB166_1756
; %bb.1755:
	global_load_u8 v3, v[4:5], off
	s_mov_b32 s1, 0
	s_mov_b32 s19, -1
	s_wait_loadcnt 0x0
	v_lshlrev_b32_e32 v8, 23, v3
	v_cmp_ne_u32_e32 vcc_lo, 0xff, v3
	s_delay_alu instid0(VALU_DEP_2) | instskip(SKIP_1) | instid1(VALU_DEP_2)
	v_cndmask_b32_e32 v8, 0x7f800001, v8, vcc_lo
	v_cmp_ne_u32_e32 vcc_lo, 0, v3
	v_cndmask_b32_e32 v3, 0x400000, v8, vcc_lo
	s_delay_alu instid0(VALU_DEP_1) | instskip(NEXT) | instid1(VALU_DEP_1)
	v_add_nc_u32_e32 v8, 0x7fff, v3
	v_lshrrev_b32_e32 v8, 16, v8
	v_cmp_o_f32_e32 vcc_lo, v3, v3
	s_delay_alu instid0(VALU_DEP_2)
	v_cndmask_b32_e32 v3, 0x7fc0, v8, vcc_lo
	s_branch .LBB166_1757
.LBB166_1756:
	s_mov_b32 s1, -1
                                        ; implicit-def: $vgpr3
.LBB166_1757:
	v_mov_b32_e32 v8, 0
.LBB166_1758:
	s_mov_b32 s20, 0
.LBB166_1759:
	s_delay_alu instid0(SALU_CYCLE_1)
	s_and_b32 vcc_lo, exec_lo, s20
	s_cbranch_vccz .LBB166_1764
; %bb.1760:
	s_cmp_eq_u32 s0, 29
	s_cbranch_scc0 .LBB166_1762
; %bb.1761:
	global_load_b64 v[8:9], v[4:5], off
	s_mov_b32 s1, 0
	s_mov_b32 s19, -1
	s_wait_loadcnt 0x0
	v_clz_i32_u32_e32 v3, v9
	s_delay_alu instid0(VALU_DEP_1) | instskip(NEXT) | instid1(VALU_DEP_1)
	v_min_u32_e32 v3, 32, v3
	v_lshlrev_b64_e32 v[8:9], v3, v[8:9]
	v_sub_nc_u32_e32 v3, 32, v3
	s_delay_alu instid0(VALU_DEP_2) | instskip(NEXT) | instid1(VALU_DEP_1)
	v_min_u32_e32 v8, 1, v8
	v_or_b32_e32 v8, v9, v8
	s_delay_alu instid0(VALU_DEP_1) | instskip(NEXT) | instid1(VALU_DEP_1)
	v_cvt_f32_u32_e32 v8, v8
	v_ldexp_f32 v3, v8, v3
	s_delay_alu instid0(VALU_DEP_1) | instskip(NEXT) | instid1(VALU_DEP_1)
	v_bfe_u32 v8, v3, 16, 1
	v_add3_u32 v3, v3, v8, 0x7fff
	s_delay_alu instid0(VALU_DEP_1)
	v_lshrrev_b32_e32 v3, 16, v3
	s_branch .LBB166_1763
.LBB166_1762:
	s_mov_b32 s1, -1
                                        ; implicit-def: $vgpr3
.LBB166_1763:
	v_mov_b32_e32 v8, 0
.LBB166_1764:
	s_mov_b32 s20, 0
.LBB166_1765:
	s_delay_alu instid0(SALU_CYCLE_1)
	s_and_b32 vcc_lo, exec_lo, s20
	s_cbranch_vccz .LBB166_1783
; %bb.1766:
	s_cmp_lt_i32 s0, 27
	s_cbranch_scc1 .LBB166_1769
; %bb.1767:
	s_cmp_gt_i32 s0, 27
	s_cbranch_scc0 .LBB166_1770
; %bb.1768:
	global_load_b32 v3, v[4:5], off
	s_mov_b32 s19, 0
	s_wait_loadcnt 0x0
	v_cvt_f32_u32_e32 v3, v3
	s_delay_alu instid0(VALU_DEP_1) | instskip(NEXT) | instid1(VALU_DEP_1)
	v_bfe_u32 v8, v3, 16, 1
	v_add3_u32 v3, v3, v8, 0x7fff
	s_delay_alu instid0(VALU_DEP_1)
	v_lshrrev_b32_e32 v3, 16, v3
	s_branch .LBB166_1771
.LBB166_1769:
	s_mov_b32 s19, -1
                                        ; implicit-def: $vgpr3
	s_branch .LBB166_1774
.LBB166_1770:
	s_mov_b32 s19, -1
                                        ; implicit-def: $vgpr3
.LBB166_1771:
	s_delay_alu instid0(SALU_CYCLE_1)
	s_and_not1_b32 vcc_lo, exec_lo, s19
	s_cbranch_vccnz .LBB166_1773
; %bb.1772:
	global_load_u16 v3, v[4:5], off
	s_wait_loadcnt 0x0
	v_cvt_f32_u32_e32 v3, v3
	s_delay_alu instid0(VALU_DEP_1) | instskip(NEXT) | instid1(VALU_DEP_1)
	v_bfe_u32 v8, v3, 16, 1
	v_add3_u32 v3, v3, v8, 0x7fff
	s_delay_alu instid0(VALU_DEP_1)
	v_lshrrev_b32_e32 v3, 16, v3
.LBB166_1773:
	s_mov_b32 s19, 0
.LBB166_1774:
	s_delay_alu instid0(SALU_CYCLE_1)
	s_and_not1_b32 vcc_lo, exec_lo, s19
	s_cbranch_vccnz .LBB166_1782
; %bb.1775:
	global_load_u8 v3, v[4:5], off
	s_mov_b32 s19, 0
	s_mov_b32 s20, exec_lo
	s_wait_loadcnt 0x0
	v_cmpx_lt_i16_e32 0x7f, v3
	s_xor_b32 s20, exec_lo, s20
	s_cbranch_execz .LBB166_1795
; %bb.1776:
	s_mov_b32 s19, -1
	s_mov_b32 s21, exec_lo
	v_cmpx_eq_u16_e32 0x80, v3
; %bb.1777:
	s_xor_b32 s19, exec_lo, -1
; %bb.1778:
	s_or_b32 exec_lo, exec_lo, s21
	s_delay_alu instid0(SALU_CYCLE_1)
	s_and_b32 s19, s19, exec_lo
	s_or_saveexec_b32 s20, s20
	v_mov_b32_e32 v8, 0x7f800001
	s_xor_b32 exec_lo, exec_lo, s20
	s_cbranch_execnz .LBB166_1796
.LBB166_1779:
	s_or_b32 exec_lo, exec_lo, s20
	s_and_saveexec_b32 s20, s19
	s_cbranch_execz .LBB166_1781
.LBB166_1780:
	v_and_b32_e32 v8, 0xffff, v3
	s_delay_alu instid0(VALU_DEP_1) | instskip(SKIP_1) | instid1(VALU_DEP_2)
	v_and_b32_e32 v9, 7, v8
	v_bfe_u32 v12, v8, 3, 4
	v_clz_i32_u32_e32 v10, v9
	s_delay_alu instid0(VALU_DEP_2) | instskip(NEXT) | instid1(VALU_DEP_2)
	v_cmp_eq_u32_e32 vcc_lo, 0, v12
	v_min_u32_e32 v10, 32, v10
	s_delay_alu instid0(VALU_DEP_1) | instskip(NEXT) | instid1(VALU_DEP_1)
	v_subrev_nc_u32_e32 v11, 28, v10
	v_dual_lshlrev_b32 v8, v11, v8 :: v_dual_sub_nc_u32 v10, 29, v10
	s_delay_alu instid0(VALU_DEP_1) | instskip(NEXT) | instid1(VALU_DEP_1)
	v_dual_lshlrev_b32 v3, 24, v3 :: v_dual_bitop2_b32 v8, 7, v8 bitop3:0x40
	v_dual_cndmask_b32 v10, v12, v10, vcc_lo :: v_dual_cndmask_b32 v8, v9, v8, vcc_lo
	s_delay_alu instid0(VALU_DEP_2) | instskip(NEXT) | instid1(VALU_DEP_2)
	v_and_b32_e32 v3, 0x80000000, v3
	v_lshl_add_u32 v9, v10, 23, 0x3b800000
	s_delay_alu instid0(VALU_DEP_3) | instskip(NEXT) | instid1(VALU_DEP_1)
	v_lshlrev_b32_e32 v8, 20, v8
	v_or3_b32 v8, v3, v9, v8
.LBB166_1781:
	s_or_b32 exec_lo, exec_lo, s20
	s_delay_alu instid0(VALU_DEP_1) | instskip(SKIP_1) | instid1(VALU_DEP_2)
	v_bfe_u32 v3, v8, 16, 1
	v_cmp_o_f32_e32 vcc_lo, v8, v8
	v_add3_u32 v3, v8, v3, 0x7fff
	s_delay_alu instid0(VALU_DEP_1) | instskip(NEXT) | instid1(VALU_DEP_1)
	v_lshrrev_b32_e32 v3, 16, v3
	v_cndmask_b32_e32 v3, 0x7fc0, v3, vcc_lo
.LBB166_1782:
	v_mov_b32_e32 v8, 0
	s_mov_b32 s19, -1
.LBB166_1783:
	s_branch .LBB166_1817
.LBB166_1784:
	s_cmp_gt_i32 s0, 22
	s_cbranch_scc0 .LBB166_1794
; %bb.1785:
	s_cmp_lt_i32 s0, 24
	s_cbranch_scc1 .LBB166_1797
; %bb.1786:
	s_cmp_gt_i32 s0, 24
	s_cbranch_scc0 .LBB166_1798
; %bb.1787:
	global_load_u8 v3, v[4:5], off
	s_mov_b32 s19, exec_lo
	s_wait_loadcnt 0x0
	v_cmpx_lt_i16_e32 0x7f, v3
	s_xor_b32 s19, exec_lo, s19
	s_cbranch_execz .LBB166_1810
; %bb.1788:
	s_mov_b32 s18, -1
	s_mov_b32 s20, exec_lo
	v_cmpx_eq_u16_e32 0x80, v3
; %bb.1789:
	s_xor_b32 s18, exec_lo, -1
; %bb.1790:
	s_or_b32 exec_lo, exec_lo, s20
	s_delay_alu instid0(SALU_CYCLE_1)
	s_and_b32 s18, s18, exec_lo
	s_or_saveexec_b32 s19, s19
	v_mov_b32_e32 v8, 0x7f800001
	s_xor_b32 exec_lo, exec_lo, s19
	s_cbranch_execnz .LBB166_1811
.LBB166_1791:
	s_or_b32 exec_lo, exec_lo, s19
	s_and_saveexec_b32 s19, s18
	s_cbranch_execz .LBB166_1793
.LBB166_1792:
	v_and_b32_e32 v8, 0xffff, v3
	s_delay_alu instid0(VALU_DEP_1) | instskip(SKIP_1) | instid1(VALU_DEP_2)
	v_and_b32_e32 v9, 3, v8
	v_bfe_u32 v12, v8, 2, 5
	v_clz_i32_u32_e32 v10, v9
	s_delay_alu instid0(VALU_DEP_2) | instskip(NEXT) | instid1(VALU_DEP_2)
	v_cmp_eq_u32_e32 vcc_lo, 0, v12
	v_min_u32_e32 v10, 32, v10
	s_delay_alu instid0(VALU_DEP_1) | instskip(NEXT) | instid1(VALU_DEP_1)
	v_subrev_nc_u32_e32 v11, 29, v10
	v_dual_lshlrev_b32 v8, v11, v8 :: v_dual_sub_nc_u32 v10, 30, v10
	s_delay_alu instid0(VALU_DEP_1) | instskip(NEXT) | instid1(VALU_DEP_1)
	v_dual_lshlrev_b32 v3, 24, v3 :: v_dual_bitop2_b32 v8, 3, v8 bitop3:0x40
	v_dual_cndmask_b32 v10, v12, v10, vcc_lo :: v_dual_cndmask_b32 v8, v9, v8, vcc_lo
	s_delay_alu instid0(VALU_DEP_2) | instskip(NEXT) | instid1(VALU_DEP_2)
	v_and_b32_e32 v3, 0x80000000, v3
	v_lshl_add_u32 v9, v10, 23, 0x37800000
	s_delay_alu instid0(VALU_DEP_3) | instskip(NEXT) | instid1(VALU_DEP_1)
	v_lshlrev_b32_e32 v8, 21, v8
	v_or3_b32 v8, v3, v9, v8
.LBB166_1793:
	s_or_b32 exec_lo, exec_lo, s19
	s_delay_alu instid0(VALU_DEP_1) | instskip(SKIP_2) | instid1(VALU_DEP_2)
	v_bfe_u32 v3, v8, 16, 1
	v_cmp_o_f32_e32 vcc_lo, v8, v8
	s_mov_b32 s18, 0
	v_add3_u32 v3, v8, v3, 0x7fff
	s_delay_alu instid0(VALU_DEP_1) | instskip(NEXT) | instid1(VALU_DEP_1)
	v_lshrrev_b32_e32 v3, 16, v3
	v_cndmask_b32_e32 v3, 0x7fc0, v3, vcc_lo
	s_branch .LBB166_1799
.LBB166_1794:
	s_mov_b32 s18, -1
                                        ; implicit-def: $vgpr3
	s_branch .LBB166_1805
.LBB166_1795:
	s_or_saveexec_b32 s20, s20
	v_mov_b32_e32 v8, 0x7f800001
	s_xor_b32 exec_lo, exec_lo, s20
	s_cbranch_execz .LBB166_1779
.LBB166_1796:
	v_cmp_ne_u16_e32 vcc_lo, 0, v3
	v_mov_b32_e32 v8, 0
	s_and_not1_b32 s19, s19, exec_lo
	s_and_b32 s21, vcc_lo, exec_lo
	s_delay_alu instid0(SALU_CYCLE_1)
	s_or_b32 s19, s19, s21
	s_or_b32 exec_lo, exec_lo, s20
	s_and_saveexec_b32 s20, s19
	s_cbranch_execnz .LBB166_1780
	s_branch .LBB166_1781
.LBB166_1797:
	s_mov_b32 s18, -1
                                        ; implicit-def: $vgpr3
	s_branch .LBB166_1802
.LBB166_1798:
	s_mov_b32 s18, -1
                                        ; implicit-def: $vgpr3
.LBB166_1799:
	s_delay_alu instid0(SALU_CYCLE_1)
	s_and_b32 vcc_lo, exec_lo, s18
	s_cbranch_vccz .LBB166_1801
; %bb.1800:
	global_load_u8 v3, v[4:5], off
	s_wait_loadcnt 0x0
	v_lshlrev_b32_e32 v3, 24, v3
	s_delay_alu instid0(VALU_DEP_1) | instskip(NEXT) | instid1(VALU_DEP_1)
	v_and_b32_e32 v8, 0x7f000000, v3
	v_clz_i32_u32_e32 v9, v8
	v_cmp_ne_u32_e32 vcc_lo, 0, v8
	v_add_nc_u32_e32 v11, 0x1000000, v8
	s_delay_alu instid0(VALU_DEP_3) | instskip(NEXT) | instid1(VALU_DEP_1)
	v_min_u32_e32 v9, 32, v9
	v_sub_nc_u32_e64 v9, v9, 4 clamp
	s_delay_alu instid0(VALU_DEP_1) | instskip(NEXT) | instid1(VALU_DEP_1)
	v_dual_lshlrev_b32 v10, v9, v8 :: v_dual_lshlrev_b32 v9, 23, v9
	v_lshrrev_b32_e32 v10, 4, v10
	s_delay_alu instid0(VALU_DEP_1) | instskip(NEXT) | instid1(VALU_DEP_1)
	v_dual_sub_nc_u32 v9, v10, v9 :: v_dual_ashrrev_i32 v10, 8, v11
	v_add_nc_u32_e32 v9, 0x3c000000, v9
	s_delay_alu instid0(VALU_DEP_1) | instskip(NEXT) | instid1(VALU_DEP_1)
	v_and_or_b32 v9, 0x7f800000, v10, v9
	v_cndmask_b32_e32 v8, 0, v9, vcc_lo
	s_delay_alu instid0(VALU_DEP_1) | instskip(SKIP_1) | instid1(VALU_DEP_2)
	v_and_or_b32 v3, 0x80000000, v3, v8
	v_bfe_u32 v8, v8, 16, 1
	v_cmp_o_f32_e32 vcc_lo, v3, v3
	s_delay_alu instid0(VALU_DEP_2) | instskip(NEXT) | instid1(VALU_DEP_1)
	v_add3_u32 v8, v3, v8, 0x7fff
	v_lshrrev_b32_e32 v8, 16, v8
	s_delay_alu instid0(VALU_DEP_1)
	v_cndmask_b32_e32 v3, 0x7fc0, v8, vcc_lo
.LBB166_1801:
	s_mov_b32 s18, 0
.LBB166_1802:
	s_delay_alu instid0(SALU_CYCLE_1)
	s_and_not1_b32 vcc_lo, exec_lo, s18
	s_cbranch_vccnz .LBB166_1804
; %bb.1803:
	global_load_u8 v3, v[4:5], off
	s_wait_loadcnt 0x0
	v_lshlrev_b32_e32 v8, 25, v3
	v_lshlrev_b16 v3, 8, v3
	s_delay_alu instid0(VALU_DEP_1) | instskip(SKIP_1) | instid1(VALU_DEP_2)
	v_and_or_b32 v10, 0x7f00, v3, 0.5
	v_bfe_i32 v3, v3, 0, 16
	v_dual_add_f32 v10, -0.5, v10 :: v_dual_lshrrev_b32 v9, 4, v8
	v_cmp_gt_u32_e32 vcc_lo, 0x8000000, v8
	s_delay_alu instid0(VALU_DEP_2) | instskip(NEXT) | instid1(VALU_DEP_1)
	v_or_b32_e32 v9, 0x70000000, v9
	v_mul_f32_e32 v9, 0x7800000, v9
	s_delay_alu instid0(VALU_DEP_1) | instskip(NEXT) | instid1(VALU_DEP_1)
	v_cndmask_b32_e32 v8, v9, v10, vcc_lo
	v_and_or_b32 v3, 0x80000000, v3, v8
	v_bfe_u32 v8, v8, 16, 1
	s_delay_alu instid0(VALU_DEP_2) | instskip(NEXT) | instid1(VALU_DEP_2)
	v_cmp_o_f32_e32 vcc_lo, v3, v3
	v_add3_u32 v8, v3, v8, 0x7fff
	s_delay_alu instid0(VALU_DEP_1) | instskip(NEXT) | instid1(VALU_DEP_1)
	v_lshrrev_b32_e32 v8, 16, v8
	v_cndmask_b32_e32 v3, 0x7fc0, v8, vcc_lo
.LBB166_1804:
	s_mov_b32 s18, 0
	s_mov_b32 s19, -1
.LBB166_1805:
	s_and_not1_b32 vcc_lo, exec_lo, s18
	s_mov_b32 s18, 0
	s_cbranch_vccnz .LBB166_1816
; %bb.1806:
	s_cmp_gt_i32 s0, 14
	s_cbranch_scc0 .LBB166_1809
; %bb.1807:
	s_cmp_eq_u32 s0, 15
	s_cbranch_scc0 .LBB166_1812
; %bb.1808:
	global_load_u16 v3, v[4:5], off
	s_mov_b32 s1, 0
	s_mov_b32 s19, -1
	s_branch .LBB166_1814
.LBB166_1809:
	s_mov_b32 s18, -1
	s_branch .LBB166_1813
.LBB166_1810:
	s_or_saveexec_b32 s19, s19
	v_mov_b32_e32 v8, 0x7f800001
	s_xor_b32 exec_lo, exec_lo, s19
	s_cbranch_execz .LBB166_1791
.LBB166_1811:
	v_cmp_ne_u16_e32 vcc_lo, 0, v3
	v_mov_b32_e32 v8, 0
	s_and_not1_b32 s18, s18, exec_lo
	s_and_b32 s20, vcc_lo, exec_lo
	s_delay_alu instid0(SALU_CYCLE_1)
	s_or_b32 s18, s18, s20
	s_or_b32 exec_lo, exec_lo, s19
	s_and_saveexec_b32 s19, s18
	s_cbranch_execnz .LBB166_1792
	s_branch .LBB166_1793
.LBB166_1812:
	s_mov_b32 s1, -1
.LBB166_1813:
                                        ; implicit-def: $vgpr3
.LBB166_1814:
	s_and_b32 vcc_lo, exec_lo, s18
	s_mov_b32 s18, 0
	s_cbranch_vccz .LBB166_1816
; %bb.1815:
	s_cmp_lg_u32 s0, 11
	s_mov_b32 s18, -1
	s_cselect_b32 s1, -1, 0
.LBB166_1816:
	v_mov_b32_e32 v8, 0
.LBB166_1817:
	s_and_b32 vcc_lo, exec_lo, s1
	s_cbranch_vccnz .LBB166_1898
; %bb.1818:
	s_and_not1_b32 vcc_lo, exec_lo, s18
	s_cbranch_vccnz .LBB166_1820
.LBB166_1819:
	s_wait_loadcnt 0x0
	global_load_u8 v3, v[4:5], off
	s_mov_b32 s19, -1
	v_mov_b32_e32 v8, 0
	s_wait_loadcnt 0x0
	v_cmp_ne_u16_e32 vcc_lo, 0, v3
	v_cndmask_b32_e64 v3, 0, 1.0, vcc_lo
	s_delay_alu instid0(VALU_DEP_1)
	v_lshrrev_b32_e32 v3, 16, v3
.LBB166_1820:
	s_branch .LBB166_1743
.LBB166_1821:
	s_and_b32 s0, 0xffff, s17
	s_delay_alu instid0(SALU_CYCLE_1)
	s_cmp_lt_i32 s0, 5
	s_cbranch_scc1 .LBB166_1826
; %bb.1822:
	s_cmp_lt_i32 s0, 8
	s_cbranch_scc1 .LBB166_1828
; %bb.1823:
	;; [unrolled: 3-line block ×3, first 2 shown]
	s_cmp_gt_i32 s0, 9
	s_cbranch_scc0 .LBB166_1830
; %bb.1825:
	global_load_b128 v[8:11], v[4:5], off
	s_mov_b32 s1, 0
	s_wait_loadcnt 0x0
	v_cvt_f32_f64_e32 v3, v[8:9]
	v_cvt_f32_f64_e32 v8, v[10:11]
	s_delay_alu instid0(VALU_DEP_2) | instskip(NEXT) | instid1(VALU_DEP_2)
	v_bfe_u32 v9, v3, 16, 1
	v_bfe_u32 v10, v8, 16, 1
	v_cmp_o_f32_e32 vcc_lo, v3, v3
	s_delay_alu instid0(VALU_DEP_3) | instskip(NEXT) | instid1(VALU_DEP_3)
	v_add3_u32 v9, v3, v9, 0x7fff
	v_add3_u32 v10, v8, v10, 0x7fff
	s_delay_alu instid0(VALU_DEP_1) | instskip(NEXT) | instid1(VALU_DEP_3)
	v_and_b32_e32 v10, 0xffff0000, v10
	v_lshrrev_b32_e32 v9, 16, v9
	s_delay_alu instid0(VALU_DEP_1) | instskip(SKIP_1) | instid1(VALU_DEP_4)
	v_cndmask_b32_e32 v3, 0x7fc0, v9, vcc_lo
	v_cmp_o_f32_e32 vcc_lo, v8, v8
	v_cndmask_b32_e32 v8, 0x7fc00000, v10, vcc_lo
	s_branch .LBB166_1831
.LBB166_1826:
                                        ; implicit-def: $vgpr8
                                        ; implicit-def: $vgpr3
	s_branch .LBB166_1850
.LBB166_1827:
	s_branch .LBB166_1870
.LBB166_1828:
	s_mov_b32 s1, -1
                                        ; implicit-def: $vgpr8
                                        ; implicit-def: $vgpr3
	s_branch .LBB166_1837
.LBB166_1829:
	s_mov_b32 s1, -1
                                        ; implicit-def: $vgpr8
                                        ; implicit-def: $vgpr3
	s_branch .LBB166_1834
.LBB166_1830:
	s_mov_b32 s1, -1
                                        ; implicit-def: $vgpr8
                                        ; implicit-def: $vgpr3
.LBB166_1831:
	s_delay_alu instid0(SALU_CYCLE_1)
	s_and_not1_b32 vcc_lo, exec_lo, s1
	s_cbranch_vccnz .LBB166_1833
; %bb.1832:
	global_load_b64 v[8:9], v[4:5], off
	s_wait_loadcnt 0x0
	v_bfe_u32 v3, v8, 16, 1
	v_bfe_u32 v10, v9, 16, 1
	v_cmp_o_f32_e32 vcc_lo, v8, v8
	s_delay_alu instid0(VALU_DEP_3) | instskip(NEXT) | instid1(VALU_DEP_3)
	v_add3_u32 v3, v8, v3, 0x7fff
	v_add3_u32 v10, v9, v10, 0x7fff
	s_delay_alu instid0(VALU_DEP_1) | instskip(NEXT) | instid1(VALU_DEP_3)
	v_and_b32_e32 v10, 0xffff0000, v10
	v_lshrrev_b32_e32 v3, 16, v3
	s_delay_alu instid0(VALU_DEP_1) | instskip(SKIP_1) | instid1(VALU_DEP_4)
	v_cndmask_b32_e32 v3, 0x7fc0, v3, vcc_lo
	v_cmp_o_f32_e32 vcc_lo, v9, v9
	v_cndmask_b32_e32 v8, 0x7fc00000, v10, vcc_lo
.LBB166_1833:
	s_mov_b32 s1, 0
.LBB166_1834:
	s_delay_alu instid0(SALU_CYCLE_1)
	s_and_not1_b32 vcc_lo, exec_lo, s1
	s_cbranch_vccnz .LBB166_1836
; %bb.1835:
	s_wait_loadcnt 0x0
	global_load_b32 v3, v[4:5], off
	s_wait_loadcnt 0x0
	v_cvt_f32_f16_e32 v9, v3
	v_cmp_o_f16_e32 vcc_lo, v3, v3
	s_delay_alu instid0(VALU_DEP_2) | instskip(NEXT) | instid1(VALU_DEP_1)
	v_bfe_u32 v11, v9, 16, 1
	v_add3_u32 v9, v9, v11, 0x7fff
	s_delay_alu instid0(VALU_DEP_1) | instskip(NEXT) | instid1(VALU_DEP_1)
	v_dual_lshrrev_b32 v8, 16, v3 :: v_dual_lshrrev_b32 v9, 16, v9
	v_cvt_f32_f16_e32 v10, v8
	s_delay_alu instid0(VALU_DEP_2) | instskip(NEXT) | instid1(VALU_DEP_2)
	v_cndmask_b32_e32 v3, 0x7fc0, v9, vcc_lo
	v_bfe_u32 v12, v10, 16, 1
	v_cmp_o_f16_e32 vcc_lo, v8, v8
	s_delay_alu instid0(VALU_DEP_2) | instskip(NEXT) | instid1(VALU_DEP_1)
	v_add3_u32 v10, v10, v12, 0x7fff
	v_and_b32_e32 v10, 0xffff0000, v10
	s_delay_alu instid0(VALU_DEP_1)
	v_cndmask_b32_e32 v8, 0x7fc00000, v10, vcc_lo
.LBB166_1836:
	s_mov_b32 s1, 0
.LBB166_1837:
	s_delay_alu instid0(SALU_CYCLE_1)
	s_and_not1_b32 vcc_lo, exec_lo, s1
	s_cbranch_vccnz .LBB166_1849
; %bb.1838:
	s_cmp_lt_i32 s0, 6
	s_cbranch_scc1 .LBB166_1841
; %bb.1839:
	s_cmp_gt_i32 s0, 6
	s_cbranch_scc0 .LBB166_1842
; %bb.1840:
	global_load_b64 v[8:9], v[4:5], off
	s_mov_b32 s1, 0
	s_wait_loadcnt 0x0
	v_cvt_f32_f64_e32 v3, v[8:9]
	s_delay_alu instid0(VALU_DEP_1) | instskip(SKIP_1) | instid1(VALU_DEP_2)
	v_bfe_u32 v8, v3, 16, 1
	v_cmp_o_f32_e32 vcc_lo, v3, v3
	v_add3_u32 v8, v3, v8, 0x7fff
	s_delay_alu instid0(VALU_DEP_1) | instskip(NEXT) | instid1(VALU_DEP_1)
	v_lshrrev_b32_e32 v8, 16, v8
	v_cndmask_b32_e32 v3, 0x7fc0, v8, vcc_lo
	s_branch .LBB166_1843
.LBB166_1841:
	s_mov_b32 s1, -1
                                        ; implicit-def: $vgpr3
	s_branch .LBB166_1846
.LBB166_1842:
	s_mov_b32 s1, -1
                                        ; implicit-def: $vgpr3
.LBB166_1843:
	s_delay_alu instid0(SALU_CYCLE_1)
	s_and_not1_b32 vcc_lo, exec_lo, s1
	s_cbranch_vccnz .LBB166_1845
; %bb.1844:
	s_wait_loadcnt 0x0
	global_load_b32 v3, v[4:5], off
	s_wait_loadcnt 0x0
	v_bfe_u32 v8, v3, 16, 1
	v_cmp_o_f32_e32 vcc_lo, v3, v3
	s_delay_alu instid0(VALU_DEP_2) | instskip(NEXT) | instid1(VALU_DEP_1)
	v_add3_u32 v8, v3, v8, 0x7fff
	v_lshrrev_b32_e32 v8, 16, v8
	s_delay_alu instid0(VALU_DEP_1)
	v_cndmask_b32_e32 v3, 0x7fc0, v8, vcc_lo
.LBB166_1845:
	s_mov_b32 s1, 0
.LBB166_1846:
	s_delay_alu instid0(SALU_CYCLE_1)
	s_and_not1_b32 vcc_lo, exec_lo, s1
	s_cbranch_vccnz .LBB166_1848
; %bb.1847:
	s_wait_loadcnt 0x0
	global_load_u16 v3, v[4:5], off
	s_wait_loadcnt 0x0
	v_cvt_f32_f16_e32 v8, v3
	v_cmp_o_f16_e32 vcc_lo, v3, v3
	s_delay_alu instid0(VALU_DEP_2) | instskip(NEXT) | instid1(VALU_DEP_1)
	v_bfe_u32 v9, v8, 16, 1
	v_add3_u32 v8, v8, v9, 0x7fff
	s_delay_alu instid0(VALU_DEP_1) | instskip(NEXT) | instid1(VALU_DEP_1)
	v_lshrrev_b32_e32 v8, 16, v8
	v_cndmask_b32_e32 v3, 0x7fc0, v8, vcc_lo
.LBB166_1848:
	v_mov_b32_e32 v8, 0
.LBB166_1849:
	s_cbranch_execnz .LBB166_1827
.LBB166_1850:
	s_cmp_lt_i32 s0, 2
	s_cbranch_scc1 .LBB166_1854
; %bb.1851:
	s_cmp_lt_i32 s0, 3
	s_cbranch_scc1 .LBB166_1855
; %bb.1852:
	s_cmp_gt_i32 s0, 3
	s_cbranch_scc0 .LBB166_1856
; %bb.1853:
	global_load_b64 v[8:9], v[4:5], off
	s_mov_b32 s1, 0
	s_wait_loadcnt 0x0
	v_xor_b32_e32 v3, v8, v9
	v_cls_i32_e32 v10, v9
	s_delay_alu instid0(VALU_DEP_2) | instskip(NEXT) | instid1(VALU_DEP_1)
	v_ashrrev_i32_e32 v3, 31, v3
	v_add_nc_u32_e32 v3, 32, v3
	s_delay_alu instid0(VALU_DEP_1) | instskip(NEXT) | instid1(VALU_DEP_1)
	v_add_min_u32_e64 v3, v10, -1, v3
	v_lshlrev_b64_e32 v[8:9], v3, v[8:9]
	v_sub_nc_u32_e32 v3, 32, v3
	s_delay_alu instid0(VALU_DEP_2) | instskip(NEXT) | instid1(VALU_DEP_1)
	v_min_u32_e32 v8, 1, v8
	v_or_b32_e32 v8, v9, v8
	s_delay_alu instid0(VALU_DEP_1) | instskip(NEXT) | instid1(VALU_DEP_1)
	v_cvt_f32_i32_e32 v8, v8
	v_ldexp_f32 v3, v8, v3
	s_delay_alu instid0(VALU_DEP_1) | instskip(NEXT) | instid1(VALU_DEP_1)
	v_bfe_u32 v8, v3, 16, 1
	v_add3_u32 v3, v3, v8, 0x7fff
	s_delay_alu instid0(VALU_DEP_1)
	v_lshrrev_b32_e32 v3, 16, v3
	s_branch .LBB166_1857
.LBB166_1854:
	s_mov_b32 s1, -1
                                        ; implicit-def: $vgpr3
	s_branch .LBB166_1863
.LBB166_1855:
	s_mov_b32 s1, -1
                                        ; implicit-def: $vgpr3
	s_branch .LBB166_1860
.LBB166_1856:
	s_mov_b32 s1, -1
                                        ; implicit-def: $vgpr3
.LBB166_1857:
	s_delay_alu instid0(SALU_CYCLE_1)
	s_and_not1_b32 vcc_lo, exec_lo, s1
	s_cbranch_vccnz .LBB166_1859
; %bb.1858:
	s_wait_loadcnt 0x0
	global_load_b32 v3, v[4:5], off
	s_wait_loadcnt 0x0
	v_cvt_f32_i32_e32 v3, v3
	s_delay_alu instid0(VALU_DEP_1) | instskip(NEXT) | instid1(VALU_DEP_1)
	v_bfe_u32 v8, v3, 16, 1
	v_add3_u32 v3, v3, v8, 0x7fff
	s_delay_alu instid0(VALU_DEP_1)
	v_lshrrev_b32_e32 v3, 16, v3
.LBB166_1859:
	s_mov_b32 s1, 0
.LBB166_1860:
	s_delay_alu instid0(SALU_CYCLE_1)
	s_and_not1_b32 vcc_lo, exec_lo, s1
	s_cbranch_vccnz .LBB166_1862
; %bb.1861:
	s_wait_loadcnt 0x0
	global_load_i16 v3, v[4:5], off
	s_wait_loadcnt 0x0
	v_cvt_f32_i32_e32 v3, v3
	s_delay_alu instid0(VALU_DEP_1) | instskip(NEXT) | instid1(VALU_DEP_1)
	v_bfe_u32 v8, v3, 16, 1
	v_add3_u32 v3, v3, v8, 0x7fff
	s_delay_alu instid0(VALU_DEP_1)
	v_lshrrev_b32_e32 v3, 16, v3
.LBB166_1862:
	s_mov_b32 s1, 0
.LBB166_1863:
	s_delay_alu instid0(SALU_CYCLE_1)
	s_and_not1_b32 vcc_lo, exec_lo, s1
	s_cbranch_vccnz .LBB166_1869
; %bb.1864:
	s_cmp_gt_i32 s0, 0
	s_mov_b32 s0, 0
	s_cbranch_scc0 .LBB166_1866
; %bb.1865:
	s_wait_loadcnt 0x0
	global_load_i8 v3, v[4:5], off
	s_wait_loadcnt 0x0
	v_cvt_f32_i32_e32 v3, v3
	s_delay_alu instid0(VALU_DEP_1) | instskip(NEXT) | instid1(VALU_DEP_1)
	v_bfe_u32 v8, v3, 16, 1
	v_add3_u32 v3, v3, v8, 0x7fff
	s_delay_alu instid0(VALU_DEP_1)
	v_lshrrev_b32_e32 v3, 16, v3
	s_branch .LBB166_1867
.LBB166_1866:
	s_mov_b32 s0, -1
                                        ; implicit-def: $vgpr3
.LBB166_1867:
	s_delay_alu instid0(SALU_CYCLE_1)
	s_and_not1_b32 vcc_lo, exec_lo, s0
	s_cbranch_vccnz .LBB166_1869
; %bb.1868:
	s_wait_loadcnt 0x0
	global_load_u8 v3, v[4:5], off
	s_wait_loadcnt 0x0
	v_cvt_f32_ubyte0_e32 v3, v3
	s_wait_xcnt 0x0
	s_delay_alu instid0(VALU_DEP_1) | instskip(NEXT) | instid1(VALU_DEP_1)
	v_bfe_u32 v4, v3, 16, 1
	v_add3_u32 v3, v3, v4, 0x7fff
	s_delay_alu instid0(VALU_DEP_1)
	v_lshrrev_b32_e32 v3, 16, v3
.LBB166_1869:
	v_mov_b32_e32 v8, 0
.LBB166_1870:
	s_wait_loadcnt 0x0
	s_delay_alu instid0(VALU_DEP_2)
	v_and_b32_e32 v3, 0xffff, v3
	v_and_b32_e32 v1, 0xffff, v1
	s_cmp_lg_u32 s11, 0
	s_wait_xcnt 0x0
	v_and_b32_e32 v5, 0xffff0000, v7
	s_cselect_b32 s11, -1, 0
	s_mov_b32 s18, 0
	v_or_b32_e32 v4, v7, v1
	v_or_b32_e32 v3, v8, v3
	v_and_b32_e32 v1, 0xffff0000, v8
	s_and_b32 vcc_lo, exec_lo, s11
	s_delay_alu instid0(VALU_DEP_2)
	v_dual_lshlrev_b32 v4, 16, v4 :: v_dual_lshlrev_b32 v3, 16, v3
	s_cbranch_vccz .LBB166_1882
; %bb.1871:
	s_delay_alu instid0(VALU_DEP_1)
	v_cmp_neq_f32_e32 vcc_lo, v4, v3
	v_cmp_neq_f32_e64 s0, v5, v1
	s_or_b32 s1, vcc_lo, s0
	s_and_not1_b32 vcc_lo, exec_lo, s18
	s_cbranch_vccnz .LBB166_1873
.LBB166_1872:
	s_delay_alu instid0(VALU_DEP_1) | instskip(SKIP_3) | instid1(SALU_CYCLE_1)
	v_cmp_eq_f32_e32 vcc_lo, v4, v3
	v_cmp_eq_f32_e64 s0, v5, v1
	s_and_not1_b32 s1, s1, exec_lo
	s_and_b32 s0, vcc_lo, s0
	s_and_b32 s0, s0, exec_lo
	s_delay_alu instid0(SALU_CYCLE_1)
	s_or_b32 s1, s1, s0
.LBB166_1873:
	s_lshl_b32 s18, s9, 7
	s_cmp_lt_i32 s14, 11
	v_add_nc_u32_e32 v0, s18, v0
	s_delay_alu instid0(VALU_DEP_1) | instskip(NEXT) | instid1(VALU_DEP_1)
	v_ashrrev_i32_e32 v1, 31, v0
	v_add_nc_u64_e32 v[4:5], s[6:7], v[0:1]
	s_cbranch_scc1 .LBB166_1880
; %bb.1874:
	s_and_b32 s0, 0xffff, s14
	s_mov_b32 s19, 0
	s_cmp_gt_i32 s0, 25
	s_cbranch_scc0 .LBB166_1883
; %bb.1875:
	s_cmp_gt_i32 s0, 28
	s_cbranch_scc0 .LBB166_1894
; %bb.1876:
	;; [unrolled: 3-line block ×4, first 2 shown]
	s_cmp_eq_u32 s0, 46
	s_mov_b32 s21, 0
	s_cbranch_scc0 .LBB166_1953
; %bb.1879:
	global_load_b32 v1, v[4:5], off
	s_mov_b32 s9, 0
	s_mov_b32 s20, -1
	s_wait_loadcnt 0x0
	v_and_b32_e32 v7, 0xffff0000, v1
	s_branch .LBB166_1955
.LBB166_1880:
	s_mov_b32 s20, 0
                                        ; implicit-def: $vgpr7
                                        ; implicit-def: $vgpr1
	s_cbranch_execnz .LBB166_1888
.LBB166_1881:
	s_and_not1_b32 vcc_lo, exec_lo, s20
	s_cbranch_vccnz .LBB166_2703
	s_branch .LBB166_1942
.LBB166_1882:
                                        ; implicit-def: $sgpr1
	s_branch .LBB166_1872
.LBB166_1883:
	s_mov_b32 s20, 0
	s_mov_b32 s9, 0
                                        ; implicit-def: $vgpr7
                                        ; implicit-def: $vgpr1
	s_cbranch_execnz .LBB166_1987
.LBB166_1884:
	s_and_b32 vcc_lo, exec_lo, s9
	s_cbranch_vccnz .LBB166_2020
.LBB166_1885:
	s_and_not1_b32 vcc_lo, exec_lo, s19
	s_cbranch_vccnz .LBB166_1887
.LBB166_1886:
	s_wait_loadcnt 0x0
	global_load_u8 v1, v[4:5], off
	s_mov_b32 s20, -1
	v_mov_b32_e32 v7, 0
	s_wait_loadcnt 0x0
	v_cmp_ne_u16_e32 vcc_lo, 0, v1
	v_cndmask_b32_e64 v1, 0, 1.0, vcc_lo
	s_delay_alu instid0(VALU_DEP_1)
	v_lshrrev_b32_e32 v1, 16, v1
.LBB166_1887:
	s_branch .LBB166_1881
.LBB166_1888:
	s_and_b32 s0, 0xffff, s14
	s_delay_alu instid0(SALU_CYCLE_1)
	s_cmp_lt_i32 s0, 5
	s_cbranch_scc1 .LBB166_1893
; %bb.1889:
	s_cmp_lt_i32 s0, 8
	s_cbranch_scc1 .LBB166_1895
; %bb.1890:
	s_cmp_lt_i32 s0, 9
	s_cbranch_scc1 .LBB166_1897
; %bb.1891:
	s_cmp_gt_i32 s0, 9
	s_cbranch_scc0 .LBB166_1900
; %bb.1892:
	global_load_b128 v[8:11], v[4:5], off
	s_mov_b32 s9, 0
	s_wait_loadcnt 0x0
	v_cvt_f32_f64_e32 v1, v[8:9]
	v_cvt_f32_f64_e32 v3, v[10:11]
	s_delay_alu instid0(VALU_DEP_2) | instskip(NEXT) | instid1(VALU_DEP_2)
	v_bfe_u32 v7, v1, 16, 1
	v_bfe_u32 v8, v3, 16, 1
	v_cmp_o_f32_e32 vcc_lo, v1, v1
	s_delay_alu instid0(VALU_DEP_3) | instskip(NEXT) | instid1(VALU_DEP_3)
	v_add3_u32 v7, v1, v7, 0x7fff
	v_add3_u32 v8, v3, v8, 0x7fff
	s_delay_alu instid0(VALU_DEP_2) | instskip(NEXT) | instid1(VALU_DEP_2)
	v_lshrrev_b32_e32 v7, 16, v7
	v_and_b32_e32 v8, 0xffff0000, v8
	s_delay_alu instid0(VALU_DEP_2) | instskip(SKIP_1) | instid1(VALU_DEP_3)
	v_cndmask_b32_e32 v1, 0x7fc0, v7, vcc_lo
	v_cmp_o_f32_e32 vcc_lo, v3, v3
	v_cndmask_b32_e32 v7, 0x7fc00000, v8, vcc_lo
	s_branch .LBB166_1901
.LBB166_1893:
	s_mov_b32 s9, -1
                                        ; implicit-def: $vgpr7
                                        ; implicit-def: $vgpr1
	s_branch .LBB166_1920
.LBB166_1894:
	s_mov_b32 s21, -1
	s_mov_b32 s20, 0
	s_mov_b32 s9, 0
                                        ; implicit-def: $vgpr7
                                        ; implicit-def: $vgpr1
	s_branch .LBB166_1968
.LBB166_1895:
	s_mov_b32 s9, -1
                                        ; implicit-def: $vgpr7
                                        ; implicit-def: $vgpr1
	s_branch .LBB166_1907
.LBB166_1896:
	s_mov_b32 s21, -1
	s_mov_b32 s20, 0
	s_mov_b32 s9, 0
                                        ; implicit-def: $vgpr7
                                        ; implicit-def: $vgpr1
	s_branch .LBB166_1962
.LBB166_1897:
	s_mov_b32 s9, -1
                                        ; implicit-def: $vgpr7
                                        ; implicit-def: $vgpr1
	s_branch .LBB166_1904
.LBB166_1898:
	s_or_b32 s13, s13, exec_lo
	s_trap 2
	s_cbranch_execz .LBB166_1819
	s_branch .LBB166_1820
.LBB166_1899:
	s_mov_b32 s21, -1
	s_mov_b32 s20, 0
	s_mov_b32 s9, 0
	s_branch .LBB166_1954
.LBB166_1900:
	s_mov_b32 s9, -1
                                        ; implicit-def: $vgpr7
                                        ; implicit-def: $vgpr1
.LBB166_1901:
	s_delay_alu instid0(SALU_CYCLE_1)
	s_and_not1_b32 vcc_lo, exec_lo, s9
	s_cbranch_vccnz .LBB166_1903
; %bb.1902:
	global_load_b64 v[8:9], v[4:5], off
	s_wait_loadcnt 0x0
	v_bfe_u32 v1, v8, 16, 1
	v_bfe_u32 v3, v9, 16, 1
	v_cmp_o_f32_e32 vcc_lo, v8, v8
	s_delay_alu instid0(VALU_DEP_3) | instskip(NEXT) | instid1(VALU_DEP_3)
	v_add3_u32 v1, v8, v1, 0x7fff
	v_add3_u32 v3, v9, v3, 0x7fff
	s_delay_alu instid0(VALU_DEP_2) | instskip(NEXT) | instid1(VALU_DEP_2)
	v_lshrrev_b32_e32 v1, 16, v1
	v_and_b32_e32 v3, 0xffff0000, v3
	s_delay_alu instid0(VALU_DEP_2) | instskip(SKIP_1) | instid1(VALU_DEP_3)
	v_cndmask_b32_e32 v1, 0x7fc0, v1, vcc_lo
	v_cmp_o_f32_e32 vcc_lo, v9, v9
	v_cndmask_b32_e32 v7, 0x7fc00000, v3, vcc_lo
.LBB166_1903:
	s_mov_b32 s9, 0
.LBB166_1904:
	s_delay_alu instid0(SALU_CYCLE_1)
	s_and_not1_b32 vcc_lo, exec_lo, s9
	s_cbranch_vccnz .LBB166_1906
; %bb.1905:
	s_wait_loadcnt 0x0
	global_load_b32 v1, v[4:5], off
	s_wait_loadcnt 0x0
	v_cvt_f32_f16_e32 v7, v1
	v_cmp_o_f16_e32 vcc_lo, v1, v1
	s_delay_alu instid0(VALU_DEP_2) | instskip(NEXT) | instid1(VALU_DEP_1)
	v_bfe_u32 v9, v7, 16, 1
	v_add3_u32 v7, v7, v9, 0x7fff
	s_delay_alu instid0(VALU_DEP_1) | instskip(NEXT) | instid1(VALU_DEP_1)
	v_dual_lshrrev_b32 v3, 16, v1 :: v_dual_lshrrev_b32 v7, 16, v7
	v_cvt_f32_f16_e32 v8, v3
	s_delay_alu instid0(VALU_DEP_2) | instskip(NEXT) | instid1(VALU_DEP_2)
	v_cndmask_b32_e32 v1, 0x7fc0, v7, vcc_lo
	v_bfe_u32 v10, v8, 16, 1
	v_cmp_o_f16_e32 vcc_lo, v3, v3
	s_delay_alu instid0(VALU_DEP_2) | instskip(NEXT) | instid1(VALU_DEP_1)
	v_add3_u32 v8, v8, v10, 0x7fff
	v_and_b32_e32 v8, 0xffff0000, v8
	s_delay_alu instid0(VALU_DEP_1)
	v_cndmask_b32_e32 v7, 0x7fc00000, v8, vcc_lo
.LBB166_1906:
	s_mov_b32 s9, 0
.LBB166_1907:
	s_delay_alu instid0(SALU_CYCLE_1)
	s_and_not1_b32 vcc_lo, exec_lo, s9
	s_cbranch_vccnz .LBB166_1919
; %bb.1908:
	s_cmp_lt_i32 s0, 6
	s_cbranch_scc1 .LBB166_1911
; %bb.1909:
	s_cmp_gt_i32 s0, 6
	s_cbranch_scc0 .LBB166_1912
; %bb.1910:
	global_load_b64 v[8:9], v[4:5], off
	s_mov_b32 s9, 0
	s_wait_loadcnt 0x0
	v_cvt_f32_f64_e32 v1, v[8:9]
	s_delay_alu instid0(VALU_DEP_1) | instskip(SKIP_1) | instid1(VALU_DEP_2)
	v_bfe_u32 v3, v1, 16, 1
	v_cmp_o_f32_e32 vcc_lo, v1, v1
	v_add3_u32 v3, v1, v3, 0x7fff
	s_delay_alu instid0(VALU_DEP_1) | instskip(NEXT) | instid1(VALU_DEP_1)
	v_lshrrev_b32_e32 v3, 16, v3
	v_cndmask_b32_e32 v1, 0x7fc0, v3, vcc_lo
	s_branch .LBB166_1913
.LBB166_1911:
	s_mov_b32 s9, -1
                                        ; implicit-def: $vgpr1
	s_branch .LBB166_1916
.LBB166_1912:
	s_mov_b32 s9, -1
                                        ; implicit-def: $vgpr1
.LBB166_1913:
	s_delay_alu instid0(SALU_CYCLE_1)
	s_and_not1_b32 vcc_lo, exec_lo, s9
	s_cbranch_vccnz .LBB166_1915
; %bb.1914:
	s_wait_loadcnt 0x0
	global_load_b32 v1, v[4:5], off
	s_wait_loadcnt 0x0
	v_bfe_u32 v3, v1, 16, 1
	v_cmp_o_f32_e32 vcc_lo, v1, v1
	s_delay_alu instid0(VALU_DEP_2) | instskip(NEXT) | instid1(VALU_DEP_1)
	v_add3_u32 v3, v1, v3, 0x7fff
	v_lshrrev_b32_e32 v3, 16, v3
	s_delay_alu instid0(VALU_DEP_1)
	v_cndmask_b32_e32 v1, 0x7fc0, v3, vcc_lo
.LBB166_1915:
	s_mov_b32 s9, 0
.LBB166_1916:
	s_delay_alu instid0(SALU_CYCLE_1)
	s_and_not1_b32 vcc_lo, exec_lo, s9
	s_cbranch_vccnz .LBB166_1918
; %bb.1917:
	s_wait_loadcnt 0x0
	global_load_u16 v1, v[4:5], off
	s_wait_loadcnt 0x0
	v_cvt_f32_f16_e32 v3, v1
	v_cmp_o_f16_e32 vcc_lo, v1, v1
	s_delay_alu instid0(VALU_DEP_2) | instskip(NEXT) | instid1(VALU_DEP_1)
	v_bfe_u32 v7, v3, 16, 1
	v_add3_u32 v3, v3, v7, 0x7fff
	s_delay_alu instid0(VALU_DEP_1) | instskip(NEXT) | instid1(VALU_DEP_1)
	v_lshrrev_b32_e32 v3, 16, v3
	v_cndmask_b32_e32 v1, 0x7fc0, v3, vcc_lo
.LBB166_1918:
	v_mov_b32_e32 v7, 0
.LBB166_1919:
	s_mov_b32 s9, 0
.LBB166_1920:
	s_delay_alu instid0(SALU_CYCLE_1)
	s_and_not1_b32 vcc_lo, exec_lo, s9
	s_cbranch_vccnz .LBB166_1941
; %bb.1921:
	s_cmp_lt_i32 s0, 2
	s_cbranch_scc1 .LBB166_1925
; %bb.1922:
	s_cmp_lt_i32 s0, 3
	s_cbranch_scc1 .LBB166_1926
; %bb.1923:
	s_cmp_gt_i32 s0, 3
	s_cbranch_scc0 .LBB166_1927
; %bb.1924:
	global_load_b64 v[8:9], v[4:5], off
	s_mov_b32 s9, 0
	s_wait_loadcnt 0x0
	v_xor_b32_e32 v1, v8, v9
	v_cls_i32_e32 v3, v9
	s_delay_alu instid0(VALU_DEP_2) | instskip(NEXT) | instid1(VALU_DEP_1)
	v_ashrrev_i32_e32 v1, 31, v1
	v_add_nc_u32_e32 v1, 32, v1
	s_delay_alu instid0(VALU_DEP_1) | instskip(NEXT) | instid1(VALU_DEP_1)
	v_add_min_u32_e64 v1, v3, -1, v1
	v_lshlrev_b64_e32 v[8:9], v1, v[8:9]
	v_sub_nc_u32_e32 v1, 32, v1
	s_delay_alu instid0(VALU_DEP_2) | instskip(NEXT) | instid1(VALU_DEP_1)
	v_min_u32_e32 v3, 1, v8
	v_or_b32_e32 v3, v9, v3
	s_delay_alu instid0(VALU_DEP_1) | instskip(NEXT) | instid1(VALU_DEP_1)
	v_cvt_f32_i32_e32 v3, v3
	v_ldexp_f32 v1, v3, v1
	s_delay_alu instid0(VALU_DEP_1) | instskip(NEXT) | instid1(VALU_DEP_1)
	v_bfe_u32 v3, v1, 16, 1
	v_add3_u32 v1, v1, v3, 0x7fff
	s_delay_alu instid0(VALU_DEP_1)
	v_lshrrev_b32_e32 v1, 16, v1
	s_branch .LBB166_1928
.LBB166_1925:
	s_mov_b32 s9, -1
                                        ; implicit-def: $vgpr1
	s_branch .LBB166_1934
.LBB166_1926:
	s_mov_b32 s9, -1
                                        ; implicit-def: $vgpr1
	s_branch .LBB166_1931
.LBB166_1927:
	s_mov_b32 s9, -1
                                        ; implicit-def: $vgpr1
.LBB166_1928:
	s_delay_alu instid0(SALU_CYCLE_1)
	s_and_not1_b32 vcc_lo, exec_lo, s9
	s_cbranch_vccnz .LBB166_1930
; %bb.1929:
	s_wait_loadcnt 0x0
	global_load_b32 v1, v[4:5], off
	s_wait_loadcnt 0x0
	v_cvt_f32_i32_e32 v1, v1
	s_delay_alu instid0(VALU_DEP_1) | instskip(NEXT) | instid1(VALU_DEP_1)
	v_bfe_u32 v3, v1, 16, 1
	v_add3_u32 v1, v1, v3, 0x7fff
	s_delay_alu instid0(VALU_DEP_1)
	v_lshrrev_b32_e32 v1, 16, v1
.LBB166_1930:
	s_mov_b32 s9, 0
.LBB166_1931:
	s_delay_alu instid0(SALU_CYCLE_1)
	s_and_not1_b32 vcc_lo, exec_lo, s9
	s_cbranch_vccnz .LBB166_1933
; %bb.1932:
	s_wait_loadcnt 0x0
	global_load_i16 v1, v[4:5], off
	s_wait_loadcnt 0x0
	v_cvt_f32_i32_e32 v1, v1
	s_delay_alu instid0(VALU_DEP_1) | instskip(NEXT) | instid1(VALU_DEP_1)
	v_bfe_u32 v3, v1, 16, 1
	v_add3_u32 v1, v1, v3, 0x7fff
	s_delay_alu instid0(VALU_DEP_1)
	v_lshrrev_b32_e32 v1, 16, v1
.LBB166_1933:
	s_mov_b32 s9, 0
.LBB166_1934:
	s_delay_alu instid0(SALU_CYCLE_1)
	s_and_not1_b32 vcc_lo, exec_lo, s9
	s_cbranch_vccnz .LBB166_1940
; %bb.1935:
	s_cmp_gt_i32 s0, 0
	s_mov_b32 s0, 0
	s_cbranch_scc0 .LBB166_1937
; %bb.1936:
	s_wait_loadcnt 0x0
	global_load_i8 v1, v[4:5], off
	s_wait_loadcnt 0x0
	v_cvt_f32_i32_e32 v1, v1
	s_delay_alu instid0(VALU_DEP_1) | instskip(NEXT) | instid1(VALU_DEP_1)
	v_bfe_u32 v3, v1, 16, 1
	v_add3_u32 v1, v1, v3, 0x7fff
	s_delay_alu instid0(VALU_DEP_1)
	v_lshrrev_b32_e32 v1, 16, v1
	s_branch .LBB166_1938
.LBB166_1937:
	s_mov_b32 s0, -1
                                        ; implicit-def: $vgpr1
.LBB166_1938:
	s_delay_alu instid0(SALU_CYCLE_1)
	s_and_not1_b32 vcc_lo, exec_lo, s0
	s_cbranch_vccnz .LBB166_1940
; %bb.1939:
	s_wait_loadcnt 0x0
	global_load_u8 v1, v[4:5], off
	s_wait_loadcnt 0x0
	v_cvt_f32_ubyte0_e32 v1, v1
	s_delay_alu instid0(VALU_DEP_1) | instskip(NEXT) | instid1(VALU_DEP_1)
	v_bfe_u32 v3, v1, 16, 1
	v_add3_u32 v1, v1, v3, 0x7fff
	s_delay_alu instid0(VALU_DEP_1)
	v_lshrrev_b32_e32 v1, 16, v1
.LBB166_1940:
	v_mov_b32_e32 v7, 0
.LBB166_1941:
.LBB166_1942:
	s_lshl_b32 s19, s10, 7
	s_cmp_lt_i32 s17, 11
	v_add_nc_u32_e32 v2, s19, v2
	s_delay_alu instid0(VALU_DEP_1) | instskip(SKIP_1) | instid1(VALU_DEP_1)
	v_ashrrev_i32_e32 v3, 31, v2
	s_wait_xcnt 0x0
	v_add_nc_u64_e32 v[4:5], s[2:3], v[2:3]
	s_cbranch_scc1 .LBB166_1949
; %bb.1943:
	s_and_b32 s0, 0xffff, s17
	s_mov_b32 s10, 0
	s_cmp_gt_i32 s0, 25
	s_cbranch_scc0 .LBB166_1950
; %bb.1944:
	s_cmp_gt_i32 s0, 28
	s_cbranch_scc0 .LBB166_1951
; %bb.1945:
	;; [unrolled: 3-line block ×4, first 2 shown]
	s_cmp_eq_u32 s0, 46
	s_mov_b32 s21, 0
	s_cbranch_scc0 .LBB166_2021
; %bb.1948:
	global_load_b32 v3, v[4:5], off
	s_mov_b32 s9, 0
	s_mov_b32 s20, -1
	s_wait_loadcnt 0x0
	v_and_b32_e32 v8, 0xffff0000, v3
	s_branch .LBB166_2023
.LBB166_1949:
	s_mov_b32 s0, -1
	s_mov_b32 s20, 0
                                        ; implicit-def: $vgpr8
                                        ; implicit-def: $vgpr3
	s_branch .LBB166_2069
.LBB166_1950:
	s_mov_b32 s21, -1
	s_mov_b32 s20, 0
	s_mov_b32 s9, 0
                                        ; implicit-def: $vgpr8
                                        ; implicit-def: $vgpr3
	s_branch .LBB166_2054
.LBB166_1951:
	s_mov_b32 s21, -1
	s_mov_b32 s20, 0
	s_mov_b32 s9, 0
                                        ; implicit-def: $vgpr8
                                        ; implicit-def: $vgpr3
	s_branch .LBB166_2035
.LBB166_1952:
	s_mov_b32 s21, -1
	s_mov_b32 s20, 0
	s_mov_b32 s9, 0
                                        ; implicit-def: $vgpr8
                                        ; implicit-def: $vgpr3
	s_branch .LBB166_2029
.LBB166_1953:
	s_mov_b32 s9, -1
	s_mov_b32 s20, 0
.LBB166_1954:
                                        ; implicit-def: $vgpr7
                                        ; implicit-def: $vgpr1
.LBB166_1955:
	s_and_b32 vcc_lo, exec_lo, s21
	s_cbranch_vccz .LBB166_1961
; %bb.1956:
	s_cmp_eq_u32 s0, 44
	s_cbranch_scc0 .LBB166_1959
; %bb.1957:
	global_load_u8 v1, v[4:5], off
	s_mov_b32 s9, 0
	s_mov_b32 s20, -1
	s_wait_loadcnt 0x0
	v_lshlrev_b32_e32 v3, 23, v1
	v_cmp_ne_u32_e32 vcc_lo, 0xff, v1
	s_delay_alu instid0(VALU_DEP_2) | instskip(SKIP_1) | instid1(VALU_DEP_2)
	v_cndmask_b32_e32 v3, 0x7f800001, v3, vcc_lo
	v_cmp_ne_u32_e32 vcc_lo, 0, v1
	v_cndmask_b32_e32 v1, 0x400000, v3, vcc_lo
	s_delay_alu instid0(VALU_DEP_1) | instskip(SKIP_1) | instid1(VALU_DEP_2)
	v_add_nc_u32_e32 v3, 0x7fff, v1
	v_cmp_o_f32_e32 vcc_lo, v1, v1
	v_lshrrev_b32_e32 v3, 16, v3
	s_delay_alu instid0(VALU_DEP_1)
	v_cndmask_b32_e32 v1, 0x7fc0, v3, vcc_lo
	s_branch .LBB166_1960
.LBB166_1958:
	s_mov_b32 s21, -1
	s_mov_b32 s20, 0
	s_mov_b32 s9, 0
	s_branch .LBB166_2022
.LBB166_1959:
	s_mov_b32 s9, -1
                                        ; implicit-def: $vgpr1
.LBB166_1960:
	v_mov_b32_e32 v7, 0
.LBB166_1961:
	s_mov_b32 s21, 0
.LBB166_1962:
	s_delay_alu instid0(SALU_CYCLE_1)
	s_and_b32 vcc_lo, exec_lo, s21
	s_cbranch_vccz .LBB166_1967
; %bb.1963:
	s_cmp_eq_u32 s0, 29
	s_cbranch_scc0 .LBB166_1965
; %bb.1964:
	global_load_b64 v[8:9], v[4:5], off
	s_mov_b32 s9, 0
	s_mov_b32 s20, -1
	s_wait_loadcnt 0x0
	v_clz_i32_u32_e32 v1, v9
	s_delay_alu instid0(VALU_DEP_1) | instskip(NEXT) | instid1(VALU_DEP_1)
	v_min_u32_e32 v1, 32, v1
	v_lshlrev_b64_e32 v[8:9], v1, v[8:9]
	v_sub_nc_u32_e32 v1, 32, v1
	s_delay_alu instid0(VALU_DEP_2) | instskip(NEXT) | instid1(VALU_DEP_1)
	v_min_u32_e32 v3, 1, v8
	v_or_b32_e32 v3, v9, v3
	s_delay_alu instid0(VALU_DEP_1) | instskip(NEXT) | instid1(VALU_DEP_1)
	v_cvt_f32_u32_e32 v3, v3
	v_ldexp_f32 v1, v3, v1
	s_delay_alu instid0(VALU_DEP_1) | instskip(NEXT) | instid1(VALU_DEP_1)
	v_bfe_u32 v3, v1, 16, 1
	v_add3_u32 v1, v1, v3, 0x7fff
	s_delay_alu instid0(VALU_DEP_1)
	v_lshrrev_b32_e32 v1, 16, v1
	s_branch .LBB166_1966
.LBB166_1965:
	s_mov_b32 s9, -1
                                        ; implicit-def: $vgpr1
.LBB166_1966:
	v_mov_b32_e32 v7, 0
.LBB166_1967:
	s_mov_b32 s21, 0
.LBB166_1968:
	s_delay_alu instid0(SALU_CYCLE_1)
	s_and_b32 vcc_lo, exec_lo, s21
	s_cbranch_vccz .LBB166_1986
; %bb.1969:
	s_cmp_lt_i32 s0, 27
	s_cbranch_scc1 .LBB166_1972
; %bb.1970:
	s_cmp_gt_i32 s0, 27
	s_cbranch_scc0 .LBB166_1973
; %bb.1971:
	global_load_b32 v1, v[4:5], off
	s_mov_b32 s20, 0
	s_wait_loadcnt 0x0
	v_cvt_f32_u32_e32 v1, v1
	s_delay_alu instid0(VALU_DEP_1) | instskip(NEXT) | instid1(VALU_DEP_1)
	v_bfe_u32 v3, v1, 16, 1
	v_add3_u32 v1, v1, v3, 0x7fff
	s_delay_alu instid0(VALU_DEP_1)
	v_lshrrev_b32_e32 v1, 16, v1
	s_branch .LBB166_1974
.LBB166_1972:
	s_mov_b32 s20, -1
                                        ; implicit-def: $vgpr1
	s_branch .LBB166_1977
.LBB166_1973:
	s_mov_b32 s20, -1
                                        ; implicit-def: $vgpr1
.LBB166_1974:
	s_delay_alu instid0(SALU_CYCLE_1)
	s_and_not1_b32 vcc_lo, exec_lo, s20
	s_cbranch_vccnz .LBB166_1976
; %bb.1975:
	global_load_u16 v1, v[4:5], off
	s_wait_loadcnt 0x0
	v_cvt_f32_u32_e32 v1, v1
	s_delay_alu instid0(VALU_DEP_1) | instskip(NEXT) | instid1(VALU_DEP_1)
	v_bfe_u32 v3, v1, 16, 1
	v_add3_u32 v1, v1, v3, 0x7fff
	s_delay_alu instid0(VALU_DEP_1)
	v_lshrrev_b32_e32 v1, 16, v1
.LBB166_1976:
	s_mov_b32 s20, 0
.LBB166_1977:
	s_delay_alu instid0(SALU_CYCLE_1)
	s_and_not1_b32 vcc_lo, exec_lo, s20
	s_cbranch_vccnz .LBB166_1985
; %bb.1978:
	global_load_u8 v1, v[4:5], off
	s_mov_b32 s20, 0
	s_mov_b32 s21, exec_lo
	s_wait_loadcnt 0x0
	v_cmpx_lt_i16_e32 0x7f, v1
	s_xor_b32 s21, exec_lo, s21
	s_cbranch_execz .LBB166_1998
; %bb.1979:
	s_mov_b32 s20, -1
	s_mov_b32 s22, exec_lo
	v_cmpx_eq_u16_e32 0x80, v1
; %bb.1980:
	s_xor_b32 s20, exec_lo, -1
; %bb.1981:
	s_or_b32 exec_lo, exec_lo, s22
	s_delay_alu instid0(SALU_CYCLE_1)
	s_and_b32 s20, s20, exec_lo
	s_or_saveexec_b32 s21, s21
	v_mov_b32_e32 v3, 0x7f800001
	s_xor_b32 exec_lo, exec_lo, s21
	s_cbranch_execnz .LBB166_1999
.LBB166_1982:
	s_or_b32 exec_lo, exec_lo, s21
	s_and_saveexec_b32 s21, s20
	s_cbranch_execz .LBB166_1984
.LBB166_1983:
	v_and_b32_e32 v3, 0xffff, v1
	s_delay_alu instid0(VALU_DEP_1) | instskip(SKIP_1) | instid1(VALU_DEP_2)
	v_and_b32_e32 v7, 7, v3
	v_bfe_u32 v10, v3, 3, 4
	v_clz_i32_u32_e32 v8, v7
	s_delay_alu instid0(VALU_DEP_2) | instskip(NEXT) | instid1(VALU_DEP_2)
	v_cmp_eq_u32_e32 vcc_lo, 0, v10
	v_min_u32_e32 v8, 32, v8
	s_delay_alu instid0(VALU_DEP_1) | instskip(NEXT) | instid1(VALU_DEP_1)
	v_subrev_nc_u32_e32 v9, 28, v8
	v_dual_lshlrev_b32 v3, v9, v3 :: v_dual_sub_nc_u32 v8, 29, v8
	s_delay_alu instid0(VALU_DEP_1) | instskip(NEXT) | instid1(VALU_DEP_1)
	v_dual_lshlrev_b32 v1, 24, v1 :: v_dual_bitop2_b32 v3, 7, v3 bitop3:0x40
	v_dual_cndmask_b32 v8, v10, v8 :: v_dual_cndmask_b32 v3, v7, v3
	s_delay_alu instid0(VALU_DEP_2) | instskip(NEXT) | instid1(VALU_DEP_2)
	v_and_b32_e32 v1, 0x80000000, v1
	v_lshl_add_u32 v7, v8, 23, 0x3b800000
	s_delay_alu instid0(VALU_DEP_3) | instskip(NEXT) | instid1(VALU_DEP_1)
	v_lshlrev_b32_e32 v3, 20, v3
	v_or3_b32 v3, v1, v7, v3
.LBB166_1984:
	s_or_b32 exec_lo, exec_lo, s21
	s_delay_alu instid0(VALU_DEP_1) | instskip(SKIP_1) | instid1(VALU_DEP_2)
	v_bfe_u32 v1, v3, 16, 1
	v_cmp_o_f32_e32 vcc_lo, v3, v3
	v_add3_u32 v1, v3, v1, 0x7fff
	s_delay_alu instid0(VALU_DEP_1) | instskip(NEXT) | instid1(VALU_DEP_1)
	v_lshrrev_b32_e32 v1, 16, v1
	v_cndmask_b32_e32 v1, 0x7fc0, v1, vcc_lo
.LBB166_1985:
	v_mov_b32_e32 v7, 0
	s_mov_b32 s20, -1
.LBB166_1986:
	s_branch .LBB166_1884
.LBB166_1987:
	s_cmp_gt_i32 s0, 22
	s_cbranch_scc0 .LBB166_1997
; %bb.1988:
	s_cmp_lt_i32 s0, 24
	s_cbranch_scc1 .LBB166_2000
; %bb.1989:
	s_cmp_gt_i32 s0, 24
	s_cbranch_scc0 .LBB166_2001
; %bb.1990:
	global_load_u8 v1, v[4:5], off
	s_mov_b32 s20, exec_lo
	s_wait_loadcnt 0x0
	v_cmpx_lt_i16_e32 0x7f, v1
	s_xor_b32 s20, exec_lo, s20
	s_cbranch_execz .LBB166_2013
; %bb.1991:
	s_mov_b32 s19, -1
	s_mov_b32 s21, exec_lo
	v_cmpx_eq_u16_e32 0x80, v1
; %bb.1992:
	s_xor_b32 s19, exec_lo, -1
; %bb.1993:
	s_or_b32 exec_lo, exec_lo, s21
	s_delay_alu instid0(SALU_CYCLE_1)
	s_and_b32 s19, s19, exec_lo
	s_or_saveexec_b32 s20, s20
	v_mov_b32_e32 v3, 0x7f800001
	s_xor_b32 exec_lo, exec_lo, s20
	s_cbranch_execnz .LBB166_2014
.LBB166_1994:
	s_or_b32 exec_lo, exec_lo, s20
	s_and_saveexec_b32 s20, s19
	s_cbranch_execz .LBB166_1996
.LBB166_1995:
	v_and_b32_e32 v3, 0xffff, v1
	s_delay_alu instid0(VALU_DEP_1) | instskip(SKIP_1) | instid1(VALU_DEP_2)
	v_and_b32_e32 v7, 3, v3
	v_bfe_u32 v10, v3, 2, 5
	v_clz_i32_u32_e32 v8, v7
	s_delay_alu instid0(VALU_DEP_2) | instskip(NEXT) | instid1(VALU_DEP_2)
	v_cmp_eq_u32_e32 vcc_lo, 0, v10
	v_min_u32_e32 v8, 32, v8
	s_delay_alu instid0(VALU_DEP_1) | instskip(NEXT) | instid1(VALU_DEP_1)
	v_subrev_nc_u32_e32 v9, 29, v8
	v_dual_lshlrev_b32 v3, v9, v3 :: v_dual_sub_nc_u32 v8, 30, v8
	s_delay_alu instid0(VALU_DEP_1) | instskip(NEXT) | instid1(VALU_DEP_1)
	v_dual_lshlrev_b32 v1, 24, v1 :: v_dual_bitop2_b32 v3, 3, v3 bitop3:0x40
	v_dual_cndmask_b32 v8, v10, v8 :: v_dual_cndmask_b32 v3, v7, v3
	s_delay_alu instid0(VALU_DEP_2) | instskip(NEXT) | instid1(VALU_DEP_2)
	v_and_b32_e32 v1, 0x80000000, v1
	v_lshl_add_u32 v7, v8, 23, 0x37800000
	s_delay_alu instid0(VALU_DEP_3) | instskip(NEXT) | instid1(VALU_DEP_1)
	v_lshlrev_b32_e32 v3, 21, v3
	v_or3_b32 v3, v1, v7, v3
.LBB166_1996:
	s_or_b32 exec_lo, exec_lo, s20
	s_delay_alu instid0(VALU_DEP_1) | instskip(SKIP_2) | instid1(VALU_DEP_2)
	v_bfe_u32 v1, v3, 16, 1
	v_cmp_o_f32_e32 vcc_lo, v3, v3
	s_mov_b32 s19, 0
	v_add3_u32 v1, v3, v1, 0x7fff
	s_delay_alu instid0(VALU_DEP_1) | instskip(NEXT) | instid1(VALU_DEP_1)
	v_lshrrev_b32_e32 v1, 16, v1
	v_cndmask_b32_e32 v1, 0x7fc0, v1, vcc_lo
	s_branch .LBB166_2002
.LBB166_1997:
	s_mov_b32 s19, -1
                                        ; implicit-def: $vgpr1
	s_branch .LBB166_2008
.LBB166_1998:
	s_or_saveexec_b32 s21, s21
	v_mov_b32_e32 v3, 0x7f800001
	s_xor_b32 exec_lo, exec_lo, s21
	s_cbranch_execz .LBB166_1982
.LBB166_1999:
	v_cmp_ne_u16_e32 vcc_lo, 0, v1
	v_mov_b32_e32 v3, 0
	s_and_not1_b32 s20, s20, exec_lo
	s_and_b32 s22, vcc_lo, exec_lo
	s_delay_alu instid0(SALU_CYCLE_1)
	s_or_b32 s20, s20, s22
	s_or_b32 exec_lo, exec_lo, s21
	s_and_saveexec_b32 s21, s20
	s_cbranch_execnz .LBB166_1983
	s_branch .LBB166_1984
.LBB166_2000:
	s_mov_b32 s19, -1
                                        ; implicit-def: $vgpr1
	s_branch .LBB166_2005
.LBB166_2001:
	s_mov_b32 s19, -1
                                        ; implicit-def: $vgpr1
.LBB166_2002:
	s_delay_alu instid0(SALU_CYCLE_1)
	s_and_b32 vcc_lo, exec_lo, s19
	s_cbranch_vccz .LBB166_2004
; %bb.2003:
	global_load_u8 v1, v[4:5], off
	s_wait_loadcnt 0x0
	v_lshlrev_b32_e32 v1, 24, v1
	s_delay_alu instid0(VALU_DEP_1) | instskip(NEXT) | instid1(VALU_DEP_1)
	v_and_b32_e32 v3, 0x7f000000, v1
	v_clz_i32_u32_e32 v7, v3
	v_add_nc_u32_e32 v9, 0x1000000, v3
	v_cmp_ne_u32_e32 vcc_lo, 0, v3
	s_delay_alu instid0(VALU_DEP_3) | instskip(NEXT) | instid1(VALU_DEP_1)
	v_min_u32_e32 v7, 32, v7
	v_sub_nc_u32_e64 v7, v7, 4 clamp
	s_delay_alu instid0(VALU_DEP_1) | instskip(NEXT) | instid1(VALU_DEP_1)
	v_lshlrev_b32_e32 v8, v7, v3
	v_dual_lshlrev_b32 v7, 23, v7 :: v_dual_lshrrev_b32 v8, 4, v8
	s_delay_alu instid0(VALU_DEP_1) | instskip(NEXT) | instid1(VALU_DEP_1)
	v_dual_sub_nc_u32 v7, v8, v7 :: v_dual_ashrrev_i32 v8, 8, v9
	v_add_nc_u32_e32 v7, 0x3c000000, v7
	s_delay_alu instid0(VALU_DEP_1) | instskip(NEXT) | instid1(VALU_DEP_1)
	v_and_or_b32 v7, 0x7f800000, v8, v7
	v_cndmask_b32_e32 v3, 0, v7, vcc_lo
	s_delay_alu instid0(VALU_DEP_1) | instskip(SKIP_1) | instid1(VALU_DEP_2)
	v_and_or_b32 v1, 0x80000000, v1, v3
	v_bfe_u32 v3, v3, 16, 1
	v_cmp_o_f32_e32 vcc_lo, v1, v1
	s_delay_alu instid0(VALU_DEP_2) | instskip(NEXT) | instid1(VALU_DEP_1)
	v_add3_u32 v3, v1, v3, 0x7fff
	v_lshrrev_b32_e32 v3, 16, v3
	s_delay_alu instid0(VALU_DEP_1)
	v_cndmask_b32_e32 v1, 0x7fc0, v3, vcc_lo
.LBB166_2004:
	s_mov_b32 s19, 0
.LBB166_2005:
	s_delay_alu instid0(SALU_CYCLE_1)
	s_and_not1_b32 vcc_lo, exec_lo, s19
	s_cbranch_vccnz .LBB166_2007
; %bb.2006:
	global_load_u8 v1, v[4:5], off
	s_wait_loadcnt 0x0
	v_lshlrev_b32_e32 v3, 25, v1
	v_lshlrev_b16 v1, 8, v1
	s_delay_alu instid0(VALU_DEP_1) | instskip(SKIP_1) | instid1(VALU_DEP_2)
	v_and_or_b32 v8, 0x7f00, v1, 0.5
	v_bfe_i32 v1, v1, 0, 16
	v_dual_add_f32 v8, -0.5, v8 :: v_dual_lshrrev_b32 v7, 4, v3
	v_cmp_gt_u32_e32 vcc_lo, 0x8000000, v3
	s_delay_alu instid0(VALU_DEP_2) | instskip(NEXT) | instid1(VALU_DEP_1)
	v_or_b32_e32 v7, 0x70000000, v7
	v_mul_f32_e32 v7, 0x7800000, v7
	s_delay_alu instid0(VALU_DEP_1) | instskip(NEXT) | instid1(VALU_DEP_1)
	v_cndmask_b32_e32 v3, v7, v8, vcc_lo
	v_and_or_b32 v1, 0x80000000, v1, v3
	v_bfe_u32 v3, v3, 16, 1
	s_delay_alu instid0(VALU_DEP_2) | instskip(NEXT) | instid1(VALU_DEP_2)
	v_cmp_o_f32_e32 vcc_lo, v1, v1
	v_add3_u32 v3, v1, v3, 0x7fff
	s_delay_alu instid0(VALU_DEP_1) | instskip(NEXT) | instid1(VALU_DEP_1)
	v_lshrrev_b32_e32 v3, 16, v3
	v_cndmask_b32_e32 v1, 0x7fc0, v3, vcc_lo
.LBB166_2007:
	s_mov_b32 s19, 0
	s_mov_b32 s20, -1
.LBB166_2008:
	s_and_not1_b32 vcc_lo, exec_lo, s19
	s_mov_b32 s19, 0
	s_cbranch_vccnz .LBB166_2019
; %bb.2009:
	s_cmp_gt_i32 s0, 14
	s_cbranch_scc0 .LBB166_2012
; %bb.2010:
	s_cmp_eq_u32 s0, 15
	s_cbranch_scc0 .LBB166_2015
; %bb.2011:
	global_load_u16 v1, v[4:5], off
	s_mov_b32 s9, 0
	s_mov_b32 s20, -1
	s_branch .LBB166_2017
.LBB166_2012:
	s_mov_b32 s19, -1
	s_branch .LBB166_2016
.LBB166_2013:
	s_or_saveexec_b32 s20, s20
	v_mov_b32_e32 v3, 0x7f800001
	s_xor_b32 exec_lo, exec_lo, s20
	s_cbranch_execz .LBB166_1994
.LBB166_2014:
	v_cmp_ne_u16_e32 vcc_lo, 0, v1
	v_mov_b32_e32 v3, 0
	s_and_not1_b32 s19, s19, exec_lo
	s_and_b32 s21, vcc_lo, exec_lo
	s_delay_alu instid0(SALU_CYCLE_1)
	s_or_b32 s19, s19, s21
	s_or_b32 exec_lo, exec_lo, s20
	s_and_saveexec_b32 s20, s19
	s_cbranch_execnz .LBB166_1995
	s_branch .LBB166_1996
.LBB166_2015:
	s_mov_b32 s9, -1
.LBB166_2016:
                                        ; implicit-def: $vgpr1
.LBB166_2017:
	s_and_b32 vcc_lo, exec_lo, s19
	s_mov_b32 s19, 0
	s_cbranch_vccz .LBB166_2019
; %bb.2018:
	s_cmp_lg_u32 s0, 11
	s_mov_b32 s19, -1
	s_cselect_b32 s9, -1, 0
.LBB166_2019:
	v_mov_b32_e32 v7, 0
	s_and_b32 vcc_lo, exec_lo, s9
	s_cbranch_vccz .LBB166_1885
.LBB166_2020:
	s_or_b32 s13, s13, exec_lo
	s_trap 2
	s_cbranch_execz .LBB166_1886
	s_branch .LBB166_1887
.LBB166_2021:
	s_mov_b32 s9, -1
	s_mov_b32 s20, 0
.LBB166_2022:
                                        ; implicit-def: $vgpr8
                                        ; implicit-def: $vgpr3
.LBB166_2023:
	s_and_b32 vcc_lo, exec_lo, s21
	s_cbranch_vccz .LBB166_2028
; %bb.2024:
	s_cmp_eq_u32 s0, 44
	s_cbranch_scc0 .LBB166_2026
; %bb.2025:
	global_load_u8 v3, v[4:5], off
	s_mov_b32 s9, 0
	s_mov_b32 s20, -1
	s_wait_loadcnt 0x0
	v_lshlrev_b32_e32 v8, 23, v3
	v_cmp_ne_u32_e32 vcc_lo, 0xff, v3
	s_delay_alu instid0(VALU_DEP_2) | instskip(SKIP_1) | instid1(VALU_DEP_2)
	v_cndmask_b32_e32 v8, 0x7f800001, v8, vcc_lo
	v_cmp_ne_u32_e32 vcc_lo, 0, v3
	v_cndmask_b32_e32 v3, 0x400000, v8, vcc_lo
	s_delay_alu instid0(VALU_DEP_1) | instskip(NEXT) | instid1(VALU_DEP_1)
	v_add_nc_u32_e32 v8, 0x7fff, v3
	v_lshrrev_b32_e32 v8, 16, v8
	v_cmp_o_f32_e32 vcc_lo, v3, v3
	s_delay_alu instid0(VALU_DEP_2)
	v_cndmask_b32_e32 v3, 0x7fc0, v8, vcc_lo
	s_branch .LBB166_2027
.LBB166_2026:
	s_mov_b32 s9, -1
                                        ; implicit-def: $vgpr3
.LBB166_2027:
	v_mov_b32_e32 v8, 0
.LBB166_2028:
	s_mov_b32 s21, 0
.LBB166_2029:
	s_delay_alu instid0(SALU_CYCLE_1)
	s_and_b32 vcc_lo, exec_lo, s21
	s_cbranch_vccz .LBB166_2034
; %bb.2030:
	s_cmp_eq_u32 s0, 29
	s_cbranch_scc0 .LBB166_2032
; %bb.2031:
	global_load_b64 v[8:9], v[4:5], off
	s_mov_b32 s9, 0
	s_mov_b32 s20, -1
	s_wait_loadcnt 0x0
	v_clz_i32_u32_e32 v3, v9
	s_delay_alu instid0(VALU_DEP_1) | instskip(NEXT) | instid1(VALU_DEP_1)
	v_min_u32_e32 v3, 32, v3
	v_lshlrev_b64_e32 v[8:9], v3, v[8:9]
	v_sub_nc_u32_e32 v3, 32, v3
	s_delay_alu instid0(VALU_DEP_2) | instskip(NEXT) | instid1(VALU_DEP_1)
	v_min_u32_e32 v8, 1, v8
	v_or_b32_e32 v8, v9, v8
	s_delay_alu instid0(VALU_DEP_1) | instskip(NEXT) | instid1(VALU_DEP_1)
	v_cvt_f32_u32_e32 v8, v8
	v_ldexp_f32 v3, v8, v3
	s_delay_alu instid0(VALU_DEP_1) | instskip(NEXT) | instid1(VALU_DEP_1)
	v_bfe_u32 v8, v3, 16, 1
	v_add3_u32 v3, v3, v8, 0x7fff
	s_delay_alu instid0(VALU_DEP_1)
	v_lshrrev_b32_e32 v3, 16, v3
	s_branch .LBB166_2033
.LBB166_2032:
	s_mov_b32 s9, -1
                                        ; implicit-def: $vgpr3
.LBB166_2033:
	v_mov_b32_e32 v8, 0
.LBB166_2034:
	s_mov_b32 s21, 0
.LBB166_2035:
	s_delay_alu instid0(SALU_CYCLE_1)
	s_and_b32 vcc_lo, exec_lo, s21
	s_cbranch_vccz .LBB166_2053
; %bb.2036:
	s_cmp_lt_i32 s0, 27
	s_cbranch_scc1 .LBB166_2039
; %bb.2037:
	s_cmp_gt_i32 s0, 27
	s_cbranch_scc0 .LBB166_2040
; %bb.2038:
	global_load_b32 v3, v[4:5], off
	s_mov_b32 s20, 0
	s_wait_loadcnt 0x0
	v_cvt_f32_u32_e32 v3, v3
	s_delay_alu instid0(VALU_DEP_1) | instskip(NEXT) | instid1(VALU_DEP_1)
	v_bfe_u32 v8, v3, 16, 1
	v_add3_u32 v3, v3, v8, 0x7fff
	s_delay_alu instid0(VALU_DEP_1)
	v_lshrrev_b32_e32 v3, 16, v3
	s_branch .LBB166_2041
.LBB166_2039:
	s_mov_b32 s20, -1
                                        ; implicit-def: $vgpr3
	s_branch .LBB166_2044
.LBB166_2040:
	s_mov_b32 s20, -1
                                        ; implicit-def: $vgpr3
.LBB166_2041:
	s_delay_alu instid0(SALU_CYCLE_1)
	s_and_not1_b32 vcc_lo, exec_lo, s20
	s_cbranch_vccnz .LBB166_2043
; %bb.2042:
	global_load_u16 v3, v[4:5], off
	s_wait_loadcnt 0x0
	v_cvt_f32_u32_e32 v3, v3
	s_delay_alu instid0(VALU_DEP_1) | instskip(NEXT) | instid1(VALU_DEP_1)
	v_bfe_u32 v8, v3, 16, 1
	v_add3_u32 v3, v3, v8, 0x7fff
	s_delay_alu instid0(VALU_DEP_1)
	v_lshrrev_b32_e32 v3, 16, v3
.LBB166_2043:
	s_mov_b32 s20, 0
.LBB166_2044:
	s_delay_alu instid0(SALU_CYCLE_1)
	s_and_not1_b32 vcc_lo, exec_lo, s20
	s_cbranch_vccnz .LBB166_2052
; %bb.2045:
	global_load_u8 v3, v[4:5], off
	s_mov_b32 s20, 0
	s_mov_b32 s21, exec_lo
	s_wait_loadcnt 0x0
	v_cmpx_lt_i16_e32 0x7f, v3
	s_xor_b32 s21, exec_lo, s21
	s_cbranch_execz .LBB166_2078
; %bb.2046:
	s_mov_b32 s20, -1
	s_mov_b32 s22, exec_lo
	v_cmpx_eq_u16_e32 0x80, v3
; %bb.2047:
	s_xor_b32 s20, exec_lo, -1
; %bb.2048:
	s_or_b32 exec_lo, exec_lo, s22
	s_delay_alu instid0(SALU_CYCLE_1)
	s_and_b32 s20, s20, exec_lo
	s_or_saveexec_b32 s21, s21
	v_mov_b32_e32 v8, 0x7f800001
	s_xor_b32 exec_lo, exec_lo, s21
	s_cbranch_execnz .LBB166_2079
.LBB166_2049:
	s_or_b32 exec_lo, exec_lo, s21
	s_and_saveexec_b32 s21, s20
	s_cbranch_execz .LBB166_2051
.LBB166_2050:
	v_and_b32_e32 v8, 0xffff, v3
	s_delay_alu instid0(VALU_DEP_1) | instskip(SKIP_1) | instid1(VALU_DEP_2)
	v_and_b32_e32 v9, 7, v8
	v_bfe_u32 v12, v8, 3, 4
	v_clz_i32_u32_e32 v10, v9
	s_delay_alu instid0(VALU_DEP_2) | instskip(NEXT) | instid1(VALU_DEP_2)
	v_cmp_eq_u32_e32 vcc_lo, 0, v12
	v_min_u32_e32 v10, 32, v10
	s_delay_alu instid0(VALU_DEP_1) | instskip(NEXT) | instid1(VALU_DEP_1)
	v_subrev_nc_u32_e32 v11, 28, v10
	v_dual_lshlrev_b32 v8, v11, v8 :: v_dual_sub_nc_u32 v10, 29, v10
	s_delay_alu instid0(VALU_DEP_1) | instskip(NEXT) | instid1(VALU_DEP_1)
	v_dual_lshlrev_b32 v3, 24, v3 :: v_dual_bitop2_b32 v8, 7, v8 bitop3:0x40
	v_dual_cndmask_b32 v10, v12, v10, vcc_lo :: v_dual_cndmask_b32 v8, v9, v8, vcc_lo
	s_delay_alu instid0(VALU_DEP_2) | instskip(NEXT) | instid1(VALU_DEP_2)
	v_and_b32_e32 v3, 0x80000000, v3
	v_lshl_add_u32 v9, v10, 23, 0x3b800000
	s_delay_alu instid0(VALU_DEP_3) | instskip(NEXT) | instid1(VALU_DEP_1)
	v_lshlrev_b32_e32 v8, 20, v8
	v_or3_b32 v8, v3, v9, v8
.LBB166_2051:
	s_or_b32 exec_lo, exec_lo, s21
	s_delay_alu instid0(VALU_DEP_1) | instskip(SKIP_1) | instid1(VALU_DEP_2)
	v_bfe_u32 v3, v8, 16, 1
	v_cmp_o_f32_e32 vcc_lo, v8, v8
	v_add3_u32 v3, v8, v3, 0x7fff
	s_delay_alu instid0(VALU_DEP_1) | instskip(NEXT) | instid1(VALU_DEP_1)
	v_lshrrev_b32_e32 v3, 16, v3
	v_cndmask_b32_e32 v3, 0x7fc0, v3, vcc_lo
.LBB166_2052:
	v_mov_b32_e32 v8, 0
	s_mov_b32 s20, -1
.LBB166_2053:
	s_mov_b32 s21, 0
.LBB166_2054:
	s_delay_alu instid0(SALU_CYCLE_1)
	s_and_b32 vcc_lo, exec_lo, s21
	s_cbranch_vccz .LBB166_2065
; %bb.2055:
	s_cmp_gt_i32 s0, 22
	s_cbranch_scc0 .LBB166_2076
; %bb.2056:
	s_cmp_lt_i32 s0, 24
	s_cbranch_scc1 .LBB166_2080
; %bb.2057:
	s_cmp_gt_i32 s0, 24
	s_cbranch_scc0 .LBB166_2082
; %bb.2058:
	global_load_u8 v3, v[4:5], off
	s_mov_b32 s20, exec_lo
	s_wait_loadcnt 0x0
	v_cmpx_lt_i16_e32 0x7f, v3
	s_xor_b32 s20, exec_lo, s20
	s_cbranch_execz .LBB166_2094
; %bb.2059:
	s_mov_b32 s10, -1
	s_mov_b32 s21, exec_lo
	v_cmpx_eq_u16_e32 0x80, v3
; %bb.2060:
	s_xor_b32 s10, exec_lo, -1
; %bb.2061:
	s_or_b32 exec_lo, exec_lo, s21
	s_delay_alu instid0(SALU_CYCLE_1)
	s_and_b32 s10, s10, exec_lo
	s_or_saveexec_b32 s20, s20
	v_mov_b32_e32 v8, 0x7f800001
	s_xor_b32 exec_lo, exec_lo, s20
	s_cbranch_execnz .LBB166_2095
.LBB166_2062:
	s_or_b32 exec_lo, exec_lo, s20
	s_and_saveexec_b32 s20, s10
	s_cbranch_execz .LBB166_2064
.LBB166_2063:
	v_and_b32_e32 v8, 0xffff, v3
	s_delay_alu instid0(VALU_DEP_1) | instskip(SKIP_1) | instid1(VALU_DEP_2)
	v_and_b32_e32 v9, 3, v8
	v_bfe_u32 v12, v8, 2, 5
	v_clz_i32_u32_e32 v10, v9
	s_delay_alu instid0(VALU_DEP_2) | instskip(NEXT) | instid1(VALU_DEP_2)
	v_cmp_eq_u32_e32 vcc_lo, 0, v12
	v_min_u32_e32 v10, 32, v10
	s_delay_alu instid0(VALU_DEP_1) | instskip(NEXT) | instid1(VALU_DEP_1)
	v_subrev_nc_u32_e32 v11, 29, v10
	v_dual_lshlrev_b32 v8, v11, v8 :: v_dual_sub_nc_u32 v10, 30, v10
	s_delay_alu instid0(VALU_DEP_1) | instskip(NEXT) | instid1(VALU_DEP_1)
	v_dual_lshlrev_b32 v3, 24, v3 :: v_dual_bitop2_b32 v8, 3, v8 bitop3:0x40
	v_dual_cndmask_b32 v10, v12, v10, vcc_lo :: v_dual_cndmask_b32 v8, v9, v8, vcc_lo
	s_delay_alu instid0(VALU_DEP_2) | instskip(NEXT) | instid1(VALU_DEP_2)
	v_and_b32_e32 v3, 0x80000000, v3
	v_lshl_add_u32 v9, v10, 23, 0x37800000
	s_delay_alu instid0(VALU_DEP_3) | instskip(NEXT) | instid1(VALU_DEP_1)
	v_lshlrev_b32_e32 v8, 21, v8
	v_or3_b32 v8, v3, v9, v8
.LBB166_2064:
	s_or_b32 exec_lo, exec_lo, s20
	s_delay_alu instid0(VALU_DEP_1) | instskip(SKIP_2) | instid1(VALU_DEP_2)
	v_bfe_u32 v3, v8, 16, 1
	v_cmp_o_f32_e32 vcc_lo, v8, v8
	s_mov_b32 s10, 0
	v_add3_u32 v3, v8, v3, 0x7fff
	s_delay_alu instid0(VALU_DEP_1) | instskip(NEXT) | instid1(VALU_DEP_1)
	v_lshrrev_b32_e32 v3, 16, v3
	v_cndmask_b32_e32 v3, 0x7fc0, v3, vcc_lo
	s_branch .LBB166_2083
.LBB166_2065:
	s_and_b32 vcc_lo, exec_lo, s9
	s_cbranch_vccnz .LBB166_2113
.LBB166_2066:
	s_and_not1_b32 vcc_lo, exec_lo, s10
	s_cbranch_vccnz .LBB166_2068
.LBB166_2067:
	s_wait_loadcnt 0x0
	global_load_u8 v3, v[4:5], off
	s_mov_b32 s20, -1
	v_mov_b32_e32 v8, 0
	s_wait_loadcnt 0x0
	v_cmp_ne_u16_e32 vcc_lo, 0, v3
	v_cndmask_b32_e64 v3, 0, 1.0, vcc_lo
	s_delay_alu instid0(VALU_DEP_1)
	v_lshrrev_b32_e32 v3, 16, v3
.LBB166_2068:
	s_mov_b32 s0, 0
.LBB166_2069:
	s_delay_alu instid0(SALU_CYCLE_1)
	s_and_b32 vcc_lo, exec_lo, s0
	s_cbranch_vccz .LBB166_2144
; %bb.2070:
	s_and_b32 s0, 0xffff, s17
	s_delay_alu instid0(SALU_CYCLE_1)
	s_cmp_lt_i32 s0, 5
	s_cbranch_scc1 .LBB166_2075
; %bb.2071:
	s_cmp_lt_i32 s0, 8
	s_cbranch_scc1 .LBB166_2077
; %bb.2072:
	;; [unrolled: 3-line block ×3, first 2 shown]
	s_cmp_gt_i32 s0, 9
	s_cbranch_scc0 .LBB166_2096
; %bb.2074:
	global_load_b128 v[8:11], v[4:5], off
	s_mov_b32 s9, 0
	s_wait_loadcnt 0x0
	v_cvt_f32_f64_e32 v3, v[8:9]
	v_cvt_f32_f64_e32 v8, v[10:11]
	s_delay_alu instid0(VALU_DEP_2) | instskip(NEXT) | instid1(VALU_DEP_2)
	v_bfe_u32 v9, v3, 16, 1
	v_bfe_u32 v10, v8, 16, 1
	v_cmp_o_f32_e32 vcc_lo, v3, v3
	s_delay_alu instid0(VALU_DEP_3) | instskip(NEXT) | instid1(VALU_DEP_3)
	v_add3_u32 v9, v3, v9, 0x7fff
	v_add3_u32 v10, v8, v10, 0x7fff
	s_delay_alu instid0(VALU_DEP_1) | instskip(NEXT) | instid1(VALU_DEP_3)
	v_and_b32_e32 v10, 0xffff0000, v10
	v_lshrrev_b32_e32 v9, 16, v9
	s_delay_alu instid0(VALU_DEP_1) | instskip(SKIP_1) | instid1(VALU_DEP_4)
	v_cndmask_b32_e32 v3, 0x7fc0, v9, vcc_lo
	v_cmp_o_f32_e32 vcc_lo, v8, v8
	v_cndmask_b32_e32 v8, 0x7fc00000, v10, vcc_lo
	s_branch .LBB166_2097
.LBB166_2075:
	s_mov_b32 s9, -1
                                        ; implicit-def: $vgpr8
                                        ; implicit-def: $vgpr3
	s_branch .LBB166_2122
.LBB166_2076:
	s_mov_b32 s10, -1
                                        ; implicit-def: $vgpr3
	s_branch .LBB166_2089
.LBB166_2077:
	s_mov_b32 s9, -1
                                        ; implicit-def: $vgpr8
                                        ; implicit-def: $vgpr3
	s_branch .LBB166_2103
.LBB166_2078:
	s_or_saveexec_b32 s21, s21
	v_mov_b32_e32 v8, 0x7f800001
	s_xor_b32 exec_lo, exec_lo, s21
	s_cbranch_execz .LBB166_2049
.LBB166_2079:
	v_cmp_ne_u16_e32 vcc_lo, 0, v3
	v_mov_b32_e32 v8, 0
	s_and_not1_b32 s20, s20, exec_lo
	s_and_b32 s22, vcc_lo, exec_lo
	s_delay_alu instid0(SALU_CYCLE_1)
	s_or_b32 s20, s20, s22
	s_or_b32 exec_lo, exec_lo, s21
	s_and_saveexec_b32 s21, s20
	s_cbranch_execnz .LBB166_2050
	s_branch .LBB166_2051
.LBB166_2080:
	s_mov_b32 s10, -1
                                        ; implicit-def: $vgpr3
	s_branch .LBB166_2086
.LBB166_2081:
	s_mov_b32 s9, -1
                                        ; implicit-def: $vgpr8
                                        ; implicit-def: $vgpr3
	s_branch .LBB166_2100
.LBB166_2082:
	s_mov_b32 s10, -1
                                        ; implicit-def: $vgpr3
.LBB166_2083:
	s_delay_alu instid0(SALU_CYCLE_1)
	s_and_b32 vcc_lo, exec_lo, s10
	s_cbranch_vccz .LBB166_2085
; %bb.2084:
	global_load_u8 v3, v[4:5], off
	s_wait_loadcnt 0x0
	v_lshlrev_b32_e32 v3, 24, v3
	s_delay_alu instid0(VALU_DEP_1) | instskip(NEXT) | instid1(VALU_DEP_1)
	v_and_b32_e32 v8, 0x7f000000, v3
	v_clz_i32_u32_e32 v9, v8
	v_cmp_ne_u32_e32 vcc_lo, 0, v8
	v_add_nc_u32_e32 v11, 0x1000000, v8
	s_delay_alu instid0(VALU_DEP_3) | instskip(NEXT) | instid1(VALU_DEP_1)
	v_min_u32_e32 v9, 32, v9
	v_sub_nc_u32_e64 v9, v9, 4 clamp
	s_delay_alu instid0(VALU_DEP_1) | instskip(NEXT) | instid1(VALU_DEP_1)
	v_dual_lshlrev_b32 v10, v9, v8 :: v_dual_lshlrev_b32 v9, 23, v9
	v_lshrrev_b32_e32 v10, 4, v10
	s_delay_alu instid0(VALU_DEP_1) | instskip(NEXT) | instid1(VALU_DEP_1)
	v_dual_sub_nc_u32 v9, v10, v9 :: v_dual_ashrrev_i32 v10, 8, v11
	v_add_nc_u32_e32 v9, 0x3c000000, v9
	s_delay_alu instid0(VALU_DEP_1) | instskip(NEXT) | instid1(VALU_DEP_1)
	v_and_or_b32 v9, 0x7f800000, v10, v9
	v_cndmask_b32_e32 v8, 0, v9, vcc_lo
	s_delay_alu instid0(VALU_DEP_1) | instskip(SKIP_1) | instid1(VALU_DEP_2)
	v_and_or_b32 v3, 0x80000000, v3, v8
	v_bfe_u32 v8, v8, 16, 1
	v_cmp_o_f32_e32 vcc_lo, v3, v3
	s_delay_alu instid0(VALU_DEP_2) | instskip(NEXT) | instid1(VALU_DEP_1)
	v_add3_u32 v8, v3, v8, 0x7fff
	v_lshrrev_b32_e32 v8, 16, v8
	s_delay_alu instid0(VALU_DEP_1)
	v_cndmask_b32_e32 v3, 0x7fc0, v8, vcc_lo
.LBB166_2085:
	s_mov_b32 s10, 0
.LBB166_2086:
	s_delay_alu instid0(SALU_CYCLE_1)
	s_and_not1_b32 vcc_lo, exec_lo, s10
	s_cbranch_vccnz .LBB166_2088
; %bb.2087:
	global_load_u8 v3, v[4:5], off
	s_wait_loadcnt 0x0
	v_lshlrev_b32_e32 v8, 25, v3
	v_lshlrev_b16 v3, 8, v3
	s_delay_alu instid0(VALU_DEP_1) | instskip(SKIP_1) | instid1(VALU_DEP_2)
	v_and_or_b32 v10, 0x7f00, v3, 0.5
	v_bfe_i32 v3, v3, 0, 16
	v_dual_add_f32 v10, -0.5, v10 :: v_dual_lshrrev_b32 v9, 4, v8
	v_cmp_gt_u32_e32 vcc_lo, 0x8000000, v8
	s_delay_alu instid0(VALU_DEP_2) | instskip(NEXT) | instid1(VALU_DEP_1)
	v_or_b32_e32 v9, 0x70000000, v9
	v_mul_f32_e32 v9, 0x7800000, v9
	s_delay_alu instid0(VALU_DEP_1) | instskip(NEXT) | instid1(VALU_DEP_1)
	v_cndmask_b32_e32 v8, v9, v10, vcc_lo
	v_and_or_b32 v3, 0x80000000, v3, v8
	v_bfe_u32 v8, v8, 16, 1
	s_delay_alu instid0(VALU_DEP_2) | instskip(NEXT) | instid1(VALU_DEP_2)
	v_cmp_o_f32_e32 vcc_lo, v3, v3
	v_add3_u32 v8, v3, v8, 0x7fff
	s_delay_alu instid0(VALU_DEP_1) | instskip(NEXT) | instid1(VALU_DEP_1)
	v_lshrrev_b32_e32 v8, 16, v8
	v_cndmask_b32_e32 v3, 0x7fc0, v8, vcc_lo
.LBB166_2088:
	s_mov_b32 s10, 0
	s_mov_b32 s20, -1
.LBB166_2089:
	s_and_not1_b32 vcc_lo, exec_lo, s10
	s_mov_b32 s10, 0
	s_cbranch_vccnz .LBB166_2112
; %bb.2090:
	s_cmp_gt_i32 s0, 14
	s_cbranch_scc0 .LBB166_2093
; %bb.2091:
	s_cmp_eq_u32 s0, 15
	s_cbranch_scc0 .LBB166_2108
; %bb.2092:
	global_load_u16 v3, v[4:5], off
	s_mov_b32 s9, 0
	s_mov_b32 s20, -1
	s_branch .LBB166_2110
.LBB166_2093:
	s_mov_b32 s10, -1
	s_branch .LBB166_2109
.LBB166_2094:
	s_or_saveexec_b32 s20, s20
	v_mov_b32_e32 v8, 0x7f800001
	s_xor_b32 exec_lo, exec_lo, s20
	s_cbranch_execz .LBB166_2062
.LBB166_2095:
	v_cmp_ne_u16_e32 vcc_lo, 0, v3
	v_mov_b32_e32 v8, 0
	s_and_not1_b32 s10, s10, exec_lo
	s_and_b32 s21, vcc_lo, exec_lo
	s_delay_alu instid0(SALU_CYCLE_1)
	s_or_b32 s10, s10, s21
	s_or_b32 exec_lo, exec_lo, s20
	s_and_saveexec_b32 s20, s10
	s_cbranch_execnz .LBB166_2063
	s_branch .LBB166_2064
.LBB166_2096:
	s_mov_b32 s9, -1
                                        ; implicit-def: $vgpr8
                                        ; implicit-def: $vgpr3
.LBB166_2097:
	s_delay_alu instid0(SALU_CYCLE_1)
	s_and_not1_b32 vcc_lo, exec_lo, s9
	s_cbranch_vccnz .LBB166_2099
; %bb.2098:
	global_load_b64 v[8:9], v[4:5], off
	s_wait_loadcnt 0x0
	v_bfe_u32 v3, v8, 16, 1
	v_bfe_u32 v10, v9, 16, 1
	v_cmp_o_f32_e32 vcc_lo, v8, v8
	s_delay_alu instid0(VALU_DEP_3) | instskip(NEXT) | instid1(VALU_DEP_3)
	v_add3_u32 v3, v8, v3, 0x7fff
	v_add3_u32 v10, v9, v10, 0x7fff
	s_delay_alu instid0(VALU_DEP_1) | instskip(NEXT) | instid1(VALU_DEP_3)
	v_and_b32_e32 v10, 0xffff0000, v10
	v_lshrrev_b32_e32 v3, 16, v3
	s_delay_alu instid0(VALU_DEP_1) | instskip(SKIP_1) | instid1(VALU_DEP_4)
	v_cndmask_b32_e32 v3, 0x7fc0, v3, vcc_lo
	v_cmp_o_f32_e32 vcc_lo, v9, v9
	v_cndmask_b32_e32 v8, 0x7fc00000, v10, vcc_lo
.LBB166_2099:
	s_mov_b32 s9, 0
.LBB166_2100:
	s_delay_alu instid0(SALU_CYCLE_1)
	s_and_not1_b32 vcc_lo, exec_lo, s9
	s_cbranch_vccnz .LBB166_2102
; %bb.2101:
	s_wait_loadcnt 0x0
	global_load_b32 v3, v[4:5], off
	s_wait_loadcnt 0x0
	v_cvt_f32_f16_e32 v9, v3
	v_cmp_o_f16_e32 vcc_lo, v3, v3
	s_delay_alu instid0(VALU_DEP_2) | instskip(NEXT) | instid1(VALU_DEP_1)
	v_bfe_u32 v11, v9, 16, 1
	v_add3_u32 v9, v9, v11, 0x7fff
	s_delay_alu instid0(VALU_DEP_1) | instskip(NEXT) | instid1(VALU_DEP_1)
	v_dual_lshrrev_b32 v8, 16, v3 :: v_dual_lshrrev_b32 v9, 16, v9
	v_cvt_f32_f16_e32 v10, v8
	s_delay_alu instid0(VALU_DEP_2) | instskip(NEXT) | instid1(VALU_DEP_2)
	v_cndmask_b32_e32 v3, 0x7fc0, v9, vcc_lo
	v_bfe_u32 v12, v10, 16, 1
	v_cmp_o_f16_e32 vcc_lo, v8, v8
	s_delay_alu instid0(VALU_DEP_2) | instskip(NEXT) | instid1(VALU_DEP_1)
	v_add3_u32 v10, v10, v12, 0x7fff
	v_and_b32_e32 v10, 0xffff0000, v10
	s_delay_alu instid0(VALU_DEP_1)
	v_cndmask_b32_e32 v8, 0x7fc00000, v10, vcc_lo
.LBB166_2102:
	s_mov_b32 s9, 0
.LBB166_2103:
	s_delay_alu instid0(SALU_CYCLE_1)
	s_and_not1_b32 vcc_lo, exec_lo, s9
	s_cbranch_vccnz .LBB166_2121
; %bb.2104:
	s_cmp_lt_i32 s0, 6
	s_cbranch_scc1 .LBB166_2107
; %bb.2105:
	s_cmp_gt_i32 s0, 6
	s_cbranch_scc0 .LBB166_2114
; %bb.2106:
	global_load_b64 v[8:9], v[4:5], off
	s_mov_b32 s9, 0
	s_wait_loadcnt 0x0
	v_cvt_f32_f64_e32 v3, v[8:9]
	s_delay_alu instid0(VALU_DEP_1) | instskip(SKIP_1) | instid1(VALU_DEP_2)
	v_bfe_u32 v8, v3, 16, 1
	v_cmp_o_f32_e32 vcc_lo, v3, v3
	v_add3_u32 v8, v3, v8, 0x7fff
	s_delay_alu instid0(VALU_DEP_1) | instskip(NEXT) | instid1(VALU_DEP_1)
	v_lshrrev_b32_e32 v8, 16, v8
	v_cndmask_b32_e32 v3, 0x7fc0, v8, vcc_lo
	s_branch .LBB166_2115
.LBB166_2107:
	s_mov_b32 s9, -1
                                        ; implicit-def: $vgpr3
	s_branch .LBB166_2118
.LBB166_2108:
	s_mov_b32 s9, -1
.LBB166_2109:
                                        ; implicit-def: $vgpr3
.LBB166_2110:
	s_and_b32 vcc_lo, exec_lo, s10
	s_mov_b32 s10, 0
	s_cbranch_vccz .LBB166_2112
; %bb.2111:
	s_cmp_lg_u32 s0, 11
	s_mov_b32 s10, -1
	s_cselect_b32 s9, -1, 0
.LBB166_2112:
	v_mov_b32_e32 v8, 0
	s_and_b32 vcc_lo, exec_lo, s9
	s_cbranch_vccz .LBB166_2066
.LBB166_2113:
	s_or_b32 s13, s13, exec_lo
	s_trap 2
	s_cbranch_execz .LBB166_2067
	s_branch .LBB166_2068
.LBB166_2114:
	s_mov_b32 s9, -1
                                        ; implicit-def: $vgpr3
.LBB166_2115:
	s_delay_alu instid0(SALU_CYCLE_1)
	s_and_not1_b32 vcc_lo, exec_lo, s9
	s_cbranch_vccnz .LBB166_2117
; %bb.2116:
	s_wait_loadcnt 0x0
	global_load_b32 v3, v[4:5], off
	s_wait_loadcnt 0x0
	v_bfe_u32 v8, v3, 16, 1
	v_cmp_o_f32_e32 vcc_lo, v3, v3
	s_delay_alu instid0(VALU_DEP_2) | instskip(NEXT) | instid1(VALU_DEP_1)
	v_add3_u32 v8, v3, v8, 0x7fff
	v_lshrrev_b32_e32 v8, 16, v8
	s_delay_alu instid0(VALU_DEP_1)
	v_cndmask_b32_e32 v3, 0x7fc0, v8, vcc_lo
.LBB166_2117:
	s_mov_b32 s9, 0
.LBB166_2118:
	s_delay_alu instid0(SALU_CYCLE_1)
	s_and_not1_b32 vcc_lo, exec_lo, s9
	s_cbranch_vccnz .LBB166_2120
; %bb.2119:
	s_wait_loadcnt 0x0
	global_load_u16 v3, v[4:5], off
	s_wait_loadcnt 0x0
	v_cvt_f32_f16_e32 v8, v3
	v_cmp_o_f16_e32 vcc_lo, v3, v3
	s_delay_alu instid0(VALU_DEP_2) | instskip(NEXT) | instid1(VALU_DEP_1)
	v_bfe_u32 v9, v8, 16, 1
	v_add3_u32 v8, v8, v9, 0x7fff
	s_delay_alu instid0(VALU_DEP_1) | instskip(NEXT) | instid1(VALU_DEP_1)
	v_lshrrev_b32_e32 v8, 16, v8
	v_cndmask_b32_e32 v3, 0x7fc0, v8, vcc_lo
.LBB166_2120:
	v_mov_b32_e32 v8, 0
.LBB166_2121:
	s_mov_b32 s9, 0
.LBB166_2122:
	s_delay_alu instid0(SALU_CYCLE_1)
	s_and_not1_b32 vcc_lo, exec_lo, s9
	s_cbranch_vccnz .LBB166_2143
; %bb.2123:
	s_cmp_lt_i32 s0, 2
	s_cbranch_scc1 .LBB166_2127
; %bb.2124:
	s_cmp_lt_i32 s0, 3
	s_cbranch_scc1 .LBB166_2128
; %bb.2125:
	s_cmp_gt_i32 s0, 3
	s_cbranch_scc0 .LBB166_2129
; %bb.2126:
	global_load_b64 v[8:9], v[4:5], off
	s_mov_b32 s9, 0
	s_wait_loadcnt 0x0
	v_xor_b32_e32 v3, v8, v9
	v_cls_i32_e32 v10, v9
	s_delay_alu instid0(VALU_DEP_2) | instskip(NEXT) | instid1(VALU_DEP_1)
	v_ashrrev_i32_e32 v3, 31, v3
	v_add_nc_u32_e32 v3, 32, v3
	s_delay_alu instid0(VALU_DEP_1) | instskip(NEXT) | instid1(VALU_DEP_1)
	v_add_min_u32_e64 v3, v10, -1, v3
	v_lshlrev_b64_e32 v[8:9], v3, v[8:9]
	v_sub_nc_u32_e32 v3, 32, v3
	s_delay_alu instid0(VALU_DEP_2) | instskip(NEXT) | instid1(VALU_DEP_1)
	v_min_u32_e32 v8, 1, v8
	v_or_b32_e32 v8, v9, v8
	s_delay_alu instid0(VALU_DEP_1) | instskip(NEXT) | instid1(VALU_DEP_1)
	v_cvt_f32_i32_e32 v8, v8
	v_ldexp_f32 v3, v8, v3
	s_delay_alu instid0(VALU_DEP_1) | instskip(NEXT) | instid1(VALU_DEP_1)
	v_bfe_u32 v8, v3, 16, 1
	v_add3_u32 v3, v3, v8, 0x7fff
	s_delay_alu instid0(VALU_DEP_1)
	v_lshrrev_b32_e32 v3, 16, v3
	s_branch .LBB166_2130
.LBB166_2127:
	s_mov_b32 s9, -1
                                        ; implicit-def: $vgpr3
	s_branch .LBB166_2136
.LBB166_2128:
	s_mov_b32 s9, -1
                                        ; implicit-def: $vgpr3
	s_branch .LBB166_2133
.LBB166_2129:
	s_mov_b32 s9, -1
                                        ; implicit-def: $vgpr3
.LBB166_2130:
	s_delay_alu instid0(SALU_CYCLE_1)
	s_and_not1_b32 vcc_lo, exec_lo, s9
	s_cbranch_vccnz .LBB166_2132
; %bb.2131:
	s_wait_loadcnt 0x0
	global_load_b32 v3, v[4:5], off
	s_wait_loadcnt 0x0
	v_cvt_f32_i32_e32 v3, v3
	s_delay_alu instid0(VALU_DEP_1) | instskip(NEXT) | instid1(VALU_DEP_1)
	v_bfe_u32 v8, v3, 16, 1
	v_add3_u32 v3, v3, v8, 0x7fff
	s_delay_alu instid0(VALU_DEP_1)
	v_lshrrev_b32_e32 v3, 16, v3
.LBB166_2132:
	s_mov_b32 s9, 0
.LBB166_2133:
	s_delay_alu instid0(SALU_CYCLE_1)
	s_and_not1_b32 vcc_lo, exec_lo, s9
	s_cbranch_vccnz .LBB166_2135
; %bb.2134:
	s_wait_loadcnt 0x0
	global_load_i16 v3, v[4:5], off
	s_wait_loadcnt 0x0
	v_cvt_f32_i32_e32 v3, v3
	s_delay_alu instid0(VALU_DEP_1) | instskip(NEXT) | instid1(VALU_DEP_1)
	v_bfe_u32 v8, v3, 16, 1
	v_add3_u32 v3, v3, v8, 0x7fff
	s_delay_alu instid0(VALU_DEP_1)
	v_lshrrev_b32_e32 v3, 16, v3
.LBB166_2135:
	s_mov_b32 s9, 0
.LBB166_2136:
	s_delay_alu instid0(SALU_CYCLE_1)
	s_and_not1_b32 vcc_lo, exec_lo, s9
	s_cbranch_vccnz .LBB166_2142
; %bb.2137:
	s_cmp_gt_i32 s0, 0
	s_mov_b32 s0, 0
	s_cbranch_scc0 .LBB166_2139
; %bb.2138:
	s_wait_loadcnt 0x0
	global_load_i8 v3, v[4:5], off
	s_wait_loadcnt 0x0
	v_cvt_f32_i32_e32 v3, v3
	s_delay_alu instid0(VALU_DEP_1) | instskip(NEXT) | instid1(VALU_DEP_1)
	v_bfe_u32 v8, v3, 16, 1
	v_add3_u32 v3, v3, v8, 0x7fff
	s_delay_alu instid0(VALU_DEP_1)
	v_lshrrev_b32_e32 v3, 16, v3
	s_branch .LBB166_2140
.LBB166_2139:
	s_mov_b32 s0, -1
                                        ; implicit-def: $vgpr3
.LBB166_2140:
	s_delay_alu instid0(SALU_CYCLE_1)
	s_and_not1_b32 vcc_lo, exec_lo, s0
	s_cbranch_vccnz .LBB166_2142
; %bb.2141:
	s_wait_loadcnt 0x0
	global_load_u8 v3, v[4:5], off
	s_wait_loadcnt 0x0
	v_cvt_f32_ubyte0_e32 v3, v3
	s_wait_xcnt 0x0
	s_delay_alu instid0(VALU_DEP_1) | instskip(NEXT) | instid1(VALU_DEP_1)
	v_bfe_u32 v4, v3, 16, 1
	v_add3_u32 v3, v3, v4, 0x7fff
	s_delay_alu instid0(VALU_DEP_1)
	v_lshrrev_b32_e32 v3, 16, v3
.LBB166_2142:
	v_mov_b32_e32 v8, 0
.LBB166_2143:
	s_mov_b32 s20, -1
.LBB166_2144:
	s_delay_alu instid0(SALU_CYCLE_1)
	s_and_not1_b32 vcc_lo, exec_lo, s20
	s_cbranch_vccnz .LBB166_2703
; %bb.2145:
	s_wait_loadcnt 0x0
	v_and_b32_e32 v3, 0xffff, v3
	v_and_b32_e32 v1, 0xffff, v1
	s_wait_xcnt 0x0
	v_and_b32_e32 v5, 0xffff0000, v7
	s_and_b32 vcc_lo, exec_lo, s11
	s_delay_alu instid0(VALU_DEP_2) | instskip(SKIP_2) | instid1(VALU_DEP_2)
	v_or_b32_e32 v4, v7, v1
	v_or_b32_e32 v3, v8, v3
	v_and_b32_e32 v1, 0xffff0000, v8
	v_dual_lshlrev_b32 v4, 16, v4 :: v_dual_lshlrev_b32 v3, 16, v3
	s_cbranch_vccz .LBB166_2147
; %bb.2146:
	s_delay_alu instid0(VALU_DEP_1) | instskip(NEXT) | instid1(VALU_DEP_3)
	v_cmp_neq_f32_e32 vcc_lo, v4, v3
	v_cmp_neq_f32_e64 s0, v5, v1
	s_or_b32 s9, vcc_lo, s0
	s_mov_b32 s0, 0
	s_branch .LBB166_2148
.LBB166_2147:
	s_mov_b32 s0, -1
                                        ; implicit-def: $sgpr9
.LBB166_2148:
	s_delay_alu instid0(SALU_CYCLE_1)
	s_and_not1_b32 vcc_lo, exec_lo, s0
	s_cbranch_vccnz .LBB166_2150
; %bb.2149:
	v_cmp_eq_f32_e32 vcc_lo, v4, v3
	v_cmp_eq_f32_e64 s0, v5, v1
	s_and_not1_b32 s9, s9, exec_lo
	s_and_b32 s0, vcc_lo, s0
	s_delay_alu instid0(SALU_CYCLE_1) | instskip(NEXT) | instid1(SALU_CYCLE_1)
	s_and_b32 s0, s0, exec_lo
	s_or_b32 s9, s9, s0
.LBB166_2150:
	v_add_nc_u32_e32 v0, s18, v0
	s_cmp_lt_i32 s14, 11
	s_delay_alu instid0(VALU_DEP_1) | instskip(NEXT) | instid1(VALU_DEP_1)
	v_ashrrev_i32_e32 v1, 31, v0
	v_add_nc_u64_e32 v[4:5], s[6:7], v[0:1]
	s_cbranch_scc1 .LBB166_2157
; %bb.2151:
	s_and_b32 s0, 0xffff, s14
	s_mov_b32 s20, 0
	s_cmp_gt_i32 s0, 25
	s_cbranch_scc0 .LBB166_2158
; %bb.2152:
	s_cmp_gt_i32 s0, 28
	s_cbranch_scc0 .LBB166_2159
; %bb.2153:
	;; [unrolled: 3-line block ×4, first 2 shown]
	s_cmp_eq_u32 s0, 46
	s_mov_b32 s22, 0
	s_cbranch_scc0 .LBB166_2162
; %bb.2156:
	global_load_b32 v1, v[4:5], off
	s_mov_b32 s10, 0
	s_mov_b32 s21, -1
	s_wait_loadcnt 0x0
	v_and_b32_e32 v7, 0xffff0000, v1
	s_branch .LBB166_2164
.LBB166_2157:
	s_mov_b32 s0, -1
	s_mov_b32 s21, 0
                                        ; implicit-def: $vgpr7
                                        ; implicit-def: $vgpr1
	s_branch .LBB166_2210
.LBB166_2158:
	s_mov_b32 s22, -1
	s_mov_b32 s21, 0
	s_mov_b32 s10, 0
                                        ; implicit-def: $vgpr7
                                        ; implicit-def: $vgpr1
	s_branch .LBB166_2195
.LBB166_2159:
	s_mov_b32 s22, -1
	s_mov_b32 s21, 0
	s_mov_b32 s10, 0
                                        ; implicit-def: $vgpr7
                                        ; implicit-def: $vgpr1
	s_branch .LBB166_2176
.LBB166_2160:
	s_mov_b32 s22, -1
	s_mov_b32 s21, 0
	s_mov_b32 s10, 0
                                        ; implicit-def: $vgpr7
                                        ; implicit-def: $vgpr1
	s_branch .LBB166_2170
.LBB166_2161:
	s_mov_b32 s22, -1
	s_mov_b32 s21, 0
	s_mov_b32 s10, 0
	s_branch .LBB166_2163
.LBB166_2162:
	s_mov_b32 s10, -1
	s_mov_b32 s21, 0
.LBB166_2163:
                                        ; implicit-def: $vgpr7
                                        ; implicit-def: $vgpr1
.LBB166_2164:
	s_and_b32 vcc_lo, exec_lo, s22
	s_cbranch_vccz .LBB166_2169
; %bb.2165:
	s_cmp_eq_u32 s0, 44
	s_cbranch_scc0 .LBB166_2167
; %bb.2166:
	global_load_u8 v1, v[4:5], off
	s_mov_b32 s10, 0
	s_mov_b32 s21, -1
	s_wait_loadcnt 0x0
	v_lshlrev_b32_e32 v3, 23, v1
	v_cmp_ne_u32_e32 vcc_lo, 0xff, v1
	s_delay_alu instid0(VALU_DEP_2) | instskip(SKIP_1) | instid1(VALU_DEP_2)
	v_cndmask_b32_e32 v3, 0x7f800001, v3, vcc_lo
	v_cmp_ne_u32_e32 vcc_lo, 0, v1
	v_cndmask_b32_e32 v1, 0x400000, v3, vcc_lo
	s_delay_alu instid0(VALU_DEP_1) | instskip(SKIP_1) | instid1(VALU_DEP_2)
	v_add_nc_u32_e32 v3, 0x7fff, v1
	v_cmp_o_f32_e32 vcc_lo, v1, v1
	v_lshrrev_b32_e32 v3, 16, v3
	s_delay_alu instid0(VALU_DEP_1)
	v_cndmask_b32_e32 v1, 0x7fc0, v3, vcc_lo
	s_branch .LBB166_2168
.LBB166_2167:
	s_mov_b32 s10, -1
                                        ; implicit-def: $vgpr1
.LBB166_2168:
	v_mov_b32_e32 v7, 0
.LBB166_2169:
	s_mov_b32 s22, 0
.LBB166_2170:
	s_delay_alu instid0(SALU_CYCLE_1)
	s_and_b32 vcc_lo, exec_lo, s22
	s_cbranch_vccz .LBB166_2175
; %bb.2171:
	s_cmp_eq_u32 s0, 29
	s_cbranch_scc0 .LBB166_2173
; %bb.2172:
	global_load_b64 v[8:9], v[4:5], off
	s_mov_b32 s10, 0
	s_mov_b32 s21, -1
	s_wait_loadcnt 0x0
	v_clz_i32_u32_e32 v1, v9
	s_delay_alu instid0(VALU_DEP_1) | instskip(NEXT) | instid1(VALU_DEP_1)
	v_min_u32_e32 v1, 32, v1
	v_lshlrev_b64_e32 v[8:9], v1, v[8:9]
	v_sub_nc_u32_e32 v1, 32, v1
	s_delay_alu instid0(VALU_DEP_2) | instskip(NEXT) | instid1(VALU_DEP_1)
	v_min_u32_e32 v3, 1, v8
	v_or_b32_e32 v3, v9, v3
	s_delay_alu instid0(VALU_DEP_1) | instskip(NEXT) | instid1(VALU_DEP_1)
	v_cvt_f32_u32_e32 v3, v3
	v_ldexp_f32 v1, v3, v1
	s_delay_alu instid0(VALU_DEP_1) | instskip(NEXT) | instid1(VALU_DEP_1)
	v_bfe_u32 v3, v1, 16, 1
	v_add3_u32 v1, v1, v3, 0x7fff
	s_delay_alu instid0(VALU_DEP_1)
	v_lshrrev_b32_e32 v1, 16, v1
	s_branch .LBB166_2174
.LBB166_2173:
	s_mov_b32 s10, -1
                                        ; implicit-def: $vgpr1
.LBB166_2174:
	v_mov_b32_e32 v7, 0
.LBB166_2175:
	s_mov_b32 s22, 0
.LBB166_2176:
	s_delay_alu instid0(SALU_CYCLE_1)
	s_and_b32 vcc_lo, exec_lo, s22
	s_cbranch_vccz .LBB166_2194
; %bb.2177:
	s_cmp_lt_i32 s0, 27
	s_cbranch_scc1 .LBB166_2180
; %bb.2178:
	s_cmp_gt_i32 s0, 27
	s_cbranch_scc0 .LBB166_2181
; %bb.2179:
	global_load_b32 v1, v[4:5], off
	s_mov_b32 s21, 0
	s_wait_loadcnt 0x0
	v_cvt_f32_u32_e32 v1, v1
	s_delay_alu instid0(VALU_DEP_1) | instskip(NEXT) | instid1(VALU_DEP_1)
	v_bfe_u32 v3, v1, 16, 1
	v_add3_u32 v1, v1, v3, 0x7fff
	s_delay_alu instid0(VALU_DEP_1)
	v_lshrrev_b32_e32 v1, 16, v1
	s_branch .LBB166_2182
.LBB166_2180:
	s_mov_b32 s21, -1
                                        ; implicit-def: $vgpr1
	s_branch .LBB166_2185
.LBB166_2181:
	s_mov_b32 s21, -1
                                        ; implicit-def: $vgpr1
.LBB166_2182:
	s_delay_alu instid0(SALU_CYCLE_1)
	s_and_not1_b32 vcc_lo, exec_lo, s21
	s_cbranch_vccnz .LBB166_2184
; %bb.2183:
	global_load_u16 v1, v[4:5], off
	s_wait_loadcnt 0x0
	v_cvt_f32_u32_e32 v1, v1
	s_delay_alu instid0(VALU_DEP_1) | instskip(NEXT) | instid1(VALU_DEP_1)
	v_bfe_u32 v3, v1, 16, 1
	v_add3_u32 v1, v1, v3, 0x7fff
	s_delay_alu instid0(VALU_DEP_1)
	v_lshrrev_b32_e32 v1, 16, v1
.LBB166_2184:
	s_mov_b32 s21, 0
.LBB166_2185:
	s_delay_alu instid0(SALU_CYCLE_1)
	s_and_not1_b32 vcc_lo, exec_lo, s21
	s_cbranch_vccnz .LBB166_2193
; %bb.2186:
	global_load_u8 v1, v[4:5], off
	s_mov_b32 s21, 0
	s_mov_b32 s22, exec_lo
	s_wait_loadcnt 0x0
	v_cmpx_lt_i16_e32 0x7f, v1
	s_xor_b32 s22, exec_lo, s22
	s_cbranch_execz .LBB166_2219
; %bb.2187:
	s_mov_b32 s21, -1
	s_mov_b32 s23, exec_lo
	v_cmpx_eq_u16_e32 0x80, v1
; %bb.2188:
	s_xor_b32 s21, exec_lo, -1
; %bb.2189:
	s_or_b32 exec_lo, exec_lo, s23
	s_delay_alu instid0(SALU_CYCLE_1)
	s_and_b32 s21, s21, exec_lo
	s_or_saveexec_b32 s22, s22
	v_mov_b32_e32 v3, 0x7f800001
	s_xor_b32 exec_lo, exec_lo, s22
	s_cbranch_execnz .LBB166_2220
.LBB166_2190:
	s_or_b32 exec_lo, exec_lo, s22
	s_and_saveexec_b32 s22, s21
	s_cbranch_execz .LBB166_2192
.LBB166_2191:
	v_and_b32_e32 v3, 0xffff, v1
	s_delay_alu instid0(VALU_DEP_1) | instskip(SKIP_1) | instid1(VALU_DEP_2)
	v_and_b32_e32 v7, 7, v3
	v_bfe_u32 v10, v3, 3, 4
	v_clz_i32_u32_e32 v8, v7
	s_delay_alu instid0(VALU_DEP_2) | instskip(NEXT) | instid1(VALU_DEP_2)
	v_cmp_eq_u32_e32 vcc_lo, 0, v10
	v_min_u32_e32 v8, 32, v8
	s_delay_alu instid0(VALU_DEP_1) | instskip(NEXT) | instid1(VALU_DEP_1)
	v_subrev_nc_u32_e32 v9, 28, v8
	v_dual_lshlrev_b32 v3, v9, v3 :: v_dual_sub_nc_u32 v8, 29, v8
	s_delay_alu instid0(VALU_DEP_1) | instskip(NEXT) | instid1(VALU_DEP_1)
	v_dual_lshlrev_b32 v1, 24, v1 :: v_dual_bitop2_b32 v3, 7, v3 bitop3:0x40
	v_dual_cndmask_b32 v8, v10, v8 :: v_dual_cndmask_b32 v3, v7, v3
	s_delay_alu instid0(VALU_DEP_2) | instskip(NEXT) | instid1(VALU_DEP_2)
	v_and_b32_e32 v1, 0x80000000, v1
	v_lshl_add_u32 v7, v8, 23, 0x3b800000
	s_delay_alu instid0(VALU_DEP_3) | instskip(NEXT) | instid1(VALU_DEP_1)
	v_lshlrev_b32_e32 v3, 20, v3
	v_or3_b32 v3, v1, v7, v3
.LBB166_2192:
	s_or_b32 exec_lo, exec_lo, s22
	s_delay_alu instid0(VALU_DEP_1) | instskip(SKIP_1) | instid1(VALU_DEP_2)
	v_bfe_u32 v1, v3, 16, 1
	v_cmp_o_f32_e32 vcc_lo, v3, v3
	v_add3_u32 v1, v3, v1, 0x7fff
	s_delay_alu instid0(VALU_DEP_1) | instskip(NEXT) | instid1(VALU_DEP_1)
	v_lshrrev_b32_e32 v1, 16, v1
	v_cndmask_b32_e32 v1, 0x7fc0, v1, vcc_lo
.LBB166_2193:
	v_mov_b32_e32 v7, 0
	s_mov_b32 s21, -1
.LBB166_2194:
	s_mov_b32 s22, 0
.LBB166_2195:
	s_delay_alu instid0(SALU_CYCLE_1)
	s_and_b32 vcc_lo, exec_lo, s22
	s_cbranch_vccz .LBB166_2206
; %bb.2196:
	s_cmp_gt_i32 s0, 22
	s_cbranch_scc0 .LBB166_2217
; %bb.2197:
	s_cmp_lt_i32 s0, 24
	s_cbranch_scc1 .LBB166_2221
; %bb.2198:
	s_cmp_gt_i32 s0, 24
	s_cbranch_scc0 .LBB166_2223
; %bb.2199:
	global_load_u8 v1, v[4:5], off
	s_mov_b32 s21, exec_lo
	s_wait_loadcnt 0x0
	v_cmpx_lt_i16_e32 0x7f, v1
	s_xor_b32 s21, exec_lo, s21
	s_cbranch_execz .LBB166_2235
; %bb.2200:
	s_mov_b32 s20, -1
	s_mov_b32 s22, exec_lo
	v_cmpx_eq_u16_e32 0x80, v1
; %bb.2201:
	s_xor_b32 s20, exec_lo, -1
; %bb.2202:
	s_or_b32 exec_lo, exec_lo, s22
	s_delay_alu instid0(SALU_CYCLE_1)
	s_and_b32 s20, s20, exec_lo
	s_or_saveexec_b32 s21, s21
	v_mov_b32_e32 v3, 0x7f800001
	s_xor_b32 exec_lo, exec_lo, s21
	s_cbranch_execnz .LBB166_2236
.LBB166_2203:
	s_or_b32 exec_lo, exec_lo, s21
	s_and_saveexec_b32 s21, s20
	s_cbranch_execz .LBB166_2205
.LBB166_2204:
	v_and_b32_e32 v3, 0xffff, v1
	s_delay_alu instid0(VALU_DEP_1) | instskip(SKIP_1) | instid1(VALU_DEP_2)
	v_and_b32_e32 v7, 3, v3
	v_bfe_u32 v10, v3, 2, 5
	v_clz_i32_u32_e32 v8, v7
	s_delay_alu instid0(VALU_DEP_2) | instskip(NEXT) | instid1(VALU_DEP_2)
	v_cmp_eq_u32_e32 vcc_lo, 0, v10
	v_min_u32_e32 v8, 32, v8
	s_delay_alu instid0(VALU_DEP_1) | instskip(NEXT) | instid1(VALU_DEP_1)
	v_subrev_nc_u32_e32 v9, 29, v8
	v_dual_lshlrev_b32 v3, v9, v3 :: v_dual_sub_nc_u32 v8, 30, v8
	s_delay_alu instid0(VALU_DEP_1) | instskip(NEXT) | instid1(VALU_DEP_1)
	v_dual_lshlrev_b32 v1, 24, v1 :: v_dual_bitop2_b32 v3, 3, v3 bitop3:0x40
	v_dual_cndmask_b32 v8, v10, v8 :: v_dual_cndmask_b32 v3, v7, v3
	s_delay_alu instid0(VALU_DEP_2) | instskip(NEXT) | instid1(VALU_DEP_2)
	v_and_b32_e32 v1, 0x80000000, v1
	v_lshl_add_u32 v7, v8, 23, 0x37800000
	s_delay_alu instid0(VALU_DEP_3) | instskip(NEXT) | instid1(VALU_DEP_1)
	v_lshlrev_b32_e32 v3, 21, v3
	v_or3_b32 v3, v1, v7, v3
.LBB166_2205:
	s_or_b32 exec_lo, exec_lo, s21
	s_delay_alu instid0(VALU_DEP_1) | instskip(SKIP_2) | instid1(VALU_DEP_2)
	v_bfe_u32 v1, v3, 16, 1
	v_cmp_o_f32_e32 vcc_lo, v3, v3
	s_mov_b32 s20, 0
	v_add3_u32 v1, v3, v1, 0x7fff
	s_delay_alu instid0(VALU_DEP_1) | instskip(NEXT) | instid1(VALU_DEP_1)
	v_lshrrev_b32_e32 v1, 16, v1
	v_cndmask_b32_e32 v1, 0x7fc0, v1, vcc_lo
	s_branch .LBB166_2224
.LBB166_2206:
	s_and_b32 vcc_lo, exec_lo, s10
	s_cbranch_vccnz .LBB166_2254
.LBB166_2207:
	s_and_not1_b32 vcc_lo, exec_lo, s20
	s_cbranch_vccnz .LBB166_2209
.LBB166_2208:
	s_wait_loadcnt 0x0
	global_load_u8 v1, v[4:5], off
	s_mov_b32 s21, -1
	v_mov_b32_e32 v7, 0
	s_wait_loadcnt 0x0
	v_cmp_ne_u16_e32 vcc_lo, 0, v1
	v_cndmask_b32_e64 v1, 0, 1.0, vcc_lo
	s_delay_alu instid0(VALU_DEP_1)
	v_lshrrev_b32_e32 v1, 16, v1
.LBB166_2209:
	s_mov_b32 s0, 0
.LBB166_2210:
	s_delay_alu instid0(SALU_CYCLE_1)
	s_and_b32 vcc_lo, exec_lo, s0
	s_cbranch_vccz .LBB166_2285
; %bb.2211:
	s_and_b32 s0, 0xffff, s14
	s_delay_alu instid0(SALU_CYCLE_1)
	s_cmp_lt_i32 s0, 5
	s_cbranch_scc1 .LBB166_2216
; %bb.2212:
	s_cmp_lt_i32 s0, 8
	s_cbranch_scc1 .LBB166_2218
; %bb.2213:
	;; [unrolled: 3-line block ×3, first 2 shown]
	s_cmp_gt_i32 s0, 9
	s_cbranch_scc0 .LBB166_2237
; %bb.2215:
	global_load_b128 v[8:11], v[4:5], off
	s_mov_b32 s10, 0
	s_wait_loadcnt 0x0
	v_cvt_f32_f64_e32 v1, v[8:9]
	v_cvt_f32_f64_e32 v3, v[10:11]
	s_delay_alu instid0(VALU_DEP_2) | instskip(NEXT) | instid1(VALU_DEP_2)
	v_bfe_u32 v7, v1, 16, 1
	v_bfe_u32 v8, v3, 16, 1
	v_cmp_o_f32_e32 vcc_lo, v1, v1
	s_delay_alu instid0(VALU_DEP_3) | instskip(NEXT) | instid1(VALU_DEP_3)
	v_add3_u32 v7, v1, v7, 0x7fff
	v_add3_u32 v8, v3, v8, 0x7fff
	s_delay_alu instid0(VALU_DEP_2) | instskip(NEXT) | instid1(VALU_DEP_2)
	v_lshrrev_b32_e32 v7, 16, v7
	v_and_b32_e32 v8, 0xffff0000, v8
	s_delay_alu instid0(VALU_DEP_2) | instskip(SKIP_1) | instid1(VALU_DEP_3)
	v_cndmask_b32_e32 v1, 0x7fc0, v7, vcc_lo
	v_cmp_o_f32_e32 vcc_lo, v3, v3
	v_cndmask_b32_e32 v7, 0x7fc00000, v8, vcc_lo
	s_branch .LBB166_2238
.LBB166_2216:
	s_mov_b32 s10, -1
                                        ; implicit-def: $vgpr7
                                        ; implicit-def: $vgpr1
	s_branch .LBB166_2263
.LBB166_2217:
	s_mov_b32 s20, -1
                                        ; implicit-def: $vgpr1
	s_branch .LBB166_2230
.LBB166_2218:
	s_mov_b32 s10, -1
                                        ; implicit-def: $vgpr7
                                        ; implicit-def: $vgpr1
	s_branch .LBB166_2244
.LBB166_2219:
	s_or_saveexec_b32 s22, s22
	v_mov_b32_e32 v3, 0x7f800001
	s_xor_b32 exec_lo, exec_lo, s22
	s_cbranch_execz .LBB166_2190
.LBB166_2220:
	v_cmp_ne_u16_e32 vcc_lo, 0, v1
	v_mov_b32_e32 v3, 0
	s_and_not1_b32 s21, s21, exec_lo
	s_and_b32 s23, vcc_lo, exec_lo
	s_delay_alu instid0(SALU_CYCLE_1)
	s_or_b32 s21, s21, s23
	s_or_b32 exec_lo, exec_lo, s22
	s_and_saveexec_b32 s22, s21
	s_cbranch_execnz .LBB166_2191
	s_branch .LBB166_2192
.LBB166_2221:
	s_mov_b32 s20, -1
                                        ; implicit-def: $vgpr1
	s_branch .LBB166_2227
.LBB166_2222:
	s_mov_b32 s10, -1
                                        ; implicit-def: $vgpr7
                                        ; implicit-def: $vgpr1
	s_branch .LBB166_2241
.LBB166_2223:
	s_mov_b32 s20, -1
                                        ; implicit-def: $vgpr1
.LBB166_2224:
	s_delay_alu instid0(SALU_CYCLE_1)
	s_and_b32 vcc_lo, exec_lo, s20
	s_cbranch_vccz .LBB166_2226
; %bb.2225:
	global_load_u8 v1, v[4:5], off
	s_wait_loadcnt 0x0
	v_lshlrev_b32_e32 v1, 24, v1
	s_delay_alu instid0(VALU_DEP_1) | instskip(NEXT) | instid1(VALU_DEP_1)
	v_and_b32_e32 v3, 0x7f000000, v1
	v_clz_i32_u32_e32 v7, v3
	v_add_nc_u32_e32 v9, 0x1000000, v3
	v_cmp_ne_u32_e32 vcc_lo, 0, v3
	s_delay_alu instid0(VALU_DEP_3) | instskip(NEXT) | instid1(VALU_DEP_1)
	v_min_u32_e32 v7, 32, v7
	v_sub_nc_u32_e64 v7, v7, 4 clamp
	s_delay_alu instid0(VALU_DEP_1) | instskip(NEXT) | instid1(VALU_DEP_1)
	v_lshlrev_b32_e32 v8, v7, v3
	v_dual_lshlrev_b32 v7, 23, v7 :: v_dual_lshrrev_b32 v8, 4, v8
	s_delay_alu instid0(VALU_DEP_1) | instskip(NEXT) | instid1(VALU_DEP_1)
	v_dual_sub_nc_u32 v7, v8, v7 :: v_dual_ashrrev_i32 v8, 8, v9
	v_add_nc_u32_e32 v7, 0x3c000000, v7
	s_delay_alu instid0(VALU_DEP_1) | instskip(NEXT) | instid1(VALU_DEP_1)
	v_and_or_b32 v7, 0x7f800000, v8, v7
	v_cndmask_b32_e32 v3, 0, v7, vcc_lo
	s_delay_alu instid0(VALU_DEP_1) | instskip(SKIP_1) | instid1(VALU_DEP_2)
	v_and_or_b32 v1, 0x80000000, v1, v3
	v_bfe_u32 v3, v3, 16, 1
	v_cmp_o_f32_e32 vcc_lo, v1, v1
	s_delay_alu instid0(VALU_DEP_2) | instskip(NEXT) | instid1(VALU_DEP_1)
	v_add3_u32 v3, v1, v3, 0x7fff
	v_lshrrev_b32_e32 v3, 16, v3
	s_delay_alu instid0(VALU_DEP_1)
	v_cndmask_b32_e32 v1, 0x7fc0, v3, vcc_lo
.LBB166_2226:
	s_mov_b32 s20, 0
.LBB166_2227:
	s_delay_alu instid0(SALU_CYCLE_1)
	s_and_not1_b32 vcc_lo, exec_lo, s20
	s_cbranch_vccnz .LBB166_2229
; %bb.2228:
	global_load_u8 v1, v[4:5], off
	s_wait_loadcnt 0x0
	v_lshlrev_b32_e32 v3, 25, v1
	v_lshlrev_b16 v1, 8, v1
	s_delay_alu instid0(VALU_DEP_1) | instskip(SKIP_1) | instid1(VALU_DEP_2)
	v_and_or_b32 v8, 0x7f00, v1, 0.5
	v_bfe_i32 v1, v1, 0, 16
	v_dual_add_f32 v8, -0.5, v8 :: v_dual_lshrrev_b32 v7, 4, v3
	v_cmp_gt_u32_e32 vcc_lo, 0x8000000, v3
	s_delay_alu instid0(VALU_DEP_2) | instskip(NEXT) | instid1(VALU_DEP_1)
	v_or_b32_e32 v7, 0x70000000, v7
	v_mul_f32_e32 v7, 0x7800000, v7
	s_delay_alu instid0(VALU_DEP_1) | instskip(NEXT) | instid1(VALU_DEP_1)
	v_cndmask_b32_e32 v3, v7, v8, vcc_lo
	v_and_or_b32 v1, 0x80000000, v1, v3
	v_bfe_u32 v3, v3, 16, 1
	s_delay_alu instid0(VALU_DEP_2) | instskip(NEXT) | instid1(VALU_DEP_2)
	v_cmp_o_f32_e32 vcc_lo, v1, v1
	v_add3_u32 v3, v1, v3, 0x7fff
	s_delay_alu instid0(VALU_DEP_1) | instskip(NEXT) | instid1(VALU_DEP_1)
	v_lshrrev_b32_e32 v3, 16, v3
	v_cndmask_b32_e32 v1, 0x7fc0, v3, vcc_lo
.LBB166_2229:
	s_mov_b32 s20, 0
	s_mov_b32 s21, -1
.LBB166_2230:
	s_and_not1_b32 vcc_lo, exec_lo, s20
	s_mov_b32 s20, 0
	s_cbranch_vccnz .LBB166_2253
; %bb.2231:
	s_cmp_gt_i32 s0, 14
	s_cbranch_scc0 .LBB166_2234
; %bb.2232:
	s_cmp_eq_u32 s0, 15
	s_cbranch_scc0 .LBB166_2249
; %bb.2233:
	global_load_u16 v1, v[4:5], off
	s_mov_b32 s10, 0
	s_mov_b32 s21, -1
	s_branch .LBB166_2251
.LBB166_2234:
	s_mov_b32 s20, -1
	s_branch .LBB166_2250
.LBB166_2235:
	s_or_saveexec_b32 s21, s21
	v_mov_b32_e32 v3, 0x7f800001
	s_xor_b32 exec_lo, exec_lo, s21
	s_cbranch_execz .LBB166_2203
.LBB166_2236:
	v_cmp_ne_u16_e32 vcc_lo, 0, v1
	v_mov_b32_e32 v3, 0
	s_and_not1_b32 s20, s20, exec_lo
	s_and_b32 s22, vcc_lo, exec_lo
	s_delay_alu instid0(SALU_CYCLE_1)
	s_or_b32 s20, s20, s22
	s_or_b32 exec_lo, exec_lo, s21
	s_and_saveexec_b32 s21, s20
	s_cbranch_execnz .LBB166_2204
	s_branch .LBB166_2205
.LBB166_2237:
	s_mov_b32 s10, -1
                                        ; implicit-def: $vgpr7
                                        ; implicit-def: $vgpr1
.LBB166_2238:
	s_delay_alu instid0(SALU_CYCLE_1)
	s_and_not1_b32 vcc_lo, exec_lo, s10
	s_cbranch_vccnz .LBB166_2240
; %bb.2239:
	global_load_b64 v[8:9], v[4:5], off
	s_wait_loadcnt 0x0
	v_bfe_u32 v1, v8, 16, 1
	v_bfe_u32 v3, v9, 16, 1
	v_cmp_o_f32_e32 vcc_lo, v8, v8
	s_delay_alu instid0(VALU_DEP_3) | instskip(NEXT) | instid1(VALU_DEP_3)
	v_add3_u32 v1, v8, v1, 0x7fff
	v_add3_u32 v3, v9, v3, 0x7fff
	s_delay_alu instid0(VALU_DEP_2) | instskip(NEXT) | instid1(VALU_DEP_2)
	v_lshrrev_b32_e32 v1, 16, v1
	v_and_b32_e32 v3, 0xffff0000, v3
	s_delay_alu instid0(VALU_DEP_2) | instskip(SKIP_1) | instid1(VALU_DEP_3)
	v_cndmask_b32_e32 v1, 0x7fc0, v1, vcc_lo
	v_cmp_o_f32_e32 vcc_lo, v9, v9
	v_cndmask_b32_e32 v7, 0x7fc00000, v3, vcc_lo
.LBB166_2240:
	s_mov_b32 s10, 0
.LBB166_2241:
	s_delay_alu instid0(SALU_CYCLE_1)
	s_and_not1_b32 vcc_lo, exec_lo, s10
	s_cbranch_vccnz .LBB166_2243
; %bb.2242:
	s_wait_loadcnt 0x0
	global_load_b32 v1, v[4:5], off
	s_wait_loadcnt 0x0
	v_cvt_f32_f16_e32 v7, v1
	v_cmp_o_f16_e32 vcc_lo, v1, v1
	s_delay_alu instid0(VALU_DEP_2) | instskip(NEXT) | instid1(VALU_DEP_1)
	v_bfe_u32 v9, v7, 16, 1
	v_add3_u32 v7, v7, v9, 0x7fff
	s_delay_alu instid0(VALU_DEP_1) | instskip(NEXT) | instid1(VALU_DEP_1)
	v_dual_lshrrev_b32 v3, 16, v1 :: v_dual_lshrrev_b32 v7, 16, v7
	v_cvt_f32_f16_e32 v8, v3
	s_delay_alu instid0(VALU_DEP_2) | instskip(NEXT) | instid1(VALU_DEP_2)
	v_cndmask_b32_e32 v1, 0x7fc0, v7, vcc_lo
	v_bfe_u32 v10, v8, 16, 1
	v_cmp_o_f16_e32 vcc_lo, v3, v3
	s_delay_alu instid0(VALU_DEP_2) | instskip(NEXT) | instid1(VALU_DEP_1)
	v_add3_u32 v8, v8, v10, 0x7fff
	v_and_b32_e32 v8, 0xffff0000, v8
	s_delay_alu instid0(VALU_DEP_1)
	v_cndmask_b32_e32 v7, 0x7fc00000, v8, vcc_lo
.LBB166_2243:
	s_mov_b32 s10, 0
.LBB166_2244:
	s_delay_alu instid0(SALU_CYCLE_1)
	s_and_not1_b32 vcc_lo, exec_lo, s10
	s_cbranch_vccnz .LBB166_2262
; %bb.2245:
	s_cmp_lt_i32 s0, 6
	s_cbranch_scc1 .LBB166_2248
; %bb.2246:
	s_cmp_gt_i32 s0, 6
	s_cbranch_scc0 .LBB166_2255
; %bb.2247:
	global_load_b64 v[8:9], v[4:5], off
	s_mov_b32 s10, 0
	s_wait_loadcnt 0x0
	v_cvt_f32_f64_e32 v1, v[8:9]
	s_delay_alu instid0(VALU_DEP_1) | instskip(SKIP_1) | instid1(VALU_DEP_2)
	v_bfe_u32 v3, v1, 16, 1
	v_cmp_o_f32_e32 vcc_lo, v1, v1
	v_add3_u32 v3, v1, v3, 0x7fff
	s_delay_alu instid0(VALU_DEP_1) | instskip(NEXT) | instid1(VALU_DEP_1)
	v_lshrrev_b32_e32 v3, 16, v3
	v_cndmask_b32_e32 v1, 0x7fc0, v3, vcc_lo
	s_branch .LBB166_2256
.LBB166_2248:
	s_mov_b32 s10, -1
                                        ; implicit-def: $vgpr1
	s_branch .LBB166_2259
.LBB166_2249:
	s_mov_b32 s10, -1
.LBB166_2250:
                                        ; implicit-def: $vgpr1
.LBB166_2251:
	s_and_b32 vcc_lo, exec_lo, s20
	s_mov_b32 s20, 0
	s_cbranch_vccz .LBB166_2253
; %bb.2252:
	s_cmp_lg_u32 s0, 11
	s_mov_b32 s20, -1
	s_cselect_b32 s10, -1, 0
.LBB166_2253:
	v_mov_b32_e32 v7, 0
	s_and_b32 vcc_lo, exec_lo, s10
	s_cbranch_vccz .LBB166_2207
.LBB166_2254:
	s_or_b32 s13, s13, exec_lo
	s_trap 2
	s_cbranch_execz .LBB166_2208
	s_branch .LBB166_2209
.LBB166_2255:
	s_mov_b32 s10, -1
                                        ; implicit-def: $vgpr1
.LBB166_2256:
	s_delay_alu instid0(SALU_CYCLE_1)
	s_and_not1_b32 vcc_lo, exec_lo, s10
	s_cbranch_vccnz .LBB166_2258
; %bb.2257:
	s_wait_loadcnt 0x0
	global_load_b32 v1, v[4:5], off
	s_wait_loadcnt 0x0
	v_bfe_u32 v3, v1, 16, 1
	v_cmp_o_f32_e32 vcc_lo, v1, v1
	s_delay_alu instid0(VALU_DEP_2) | instskip(NEXT) | instid1(VALU_DEP_1)
	v_add3_u32 v3, v1, v3, 0x7fff
	v_lshrrev_b32_e32 v3, 16, v3
	s_delay_alu instid0(VALU_DEP_1)
	v_cndmask_b32_e32 v1, 0x7fc0, v3, vcc_lo
.LBB166_2258:
	s_mov_b32 s10, 0
.LBB166_2259:
	s_delay_alu instid0(SALU_CYCLE_1)
	s_and_not1_b32 vcc_lo, exec_lo, s10
	s_cbranch_vccnz .LBB166_2261
; %bb.2260:
	s_wait_loadcnt 0x0
	global_load_u16 v1, v[4:5], off
	s_wait_loadcnt 0x0
	v_cvt_f32_f16_e32 v3, v1
	v_cmp_o_f16_e32 vcc_lo, v1, v1
	s_delay_alu instid0(VALU_DEP_2) | instskip(NEXT) | instid1(VALU_DEP_1)
	v_bfe_u32 v7, v3, 16, 1
	v_add3_u32 v3, v3, v7, 0x7fff
	s_delay_alu instid0(VALU_DEP_1) | instskip(NEXT) | instid1(VALU_DEP_1)
	v_lshrrev_b32_e32 v3, 16, v3
	v_cndmask_b32_e32 v1, 0x7fc0, v3, vcc_lo
.LBB166_2261:
	v_mov_b32_e32 v7, 0
.LBB166_2262:
	s_mov_b32 s10, 0
.LBB166_2263:
	s_delay_alu instid0(SALU_CYCLE_1)
	s_and_not1_b32 vcc_lo, exec_lo, s10
	s_cbranch_vccnz .LBB166_2284
; %bb.2264:
	s_cmp_lt_i32 s0, 2
	s_cbranch_scc1 .LBB166_2268
; %bb.2265:
	s_cmp_lt_i32 s0, 3
	s_cbranch_scc1 .LBB166_2269
; %bb.2266:
	s_cmp_gt_i32 s0, 3
	s_cbranch_scc0 .LBB166_2270
; %bb.2267:
	global_load_b64 v[8:9], v[4:5], off
	s_mov_b32 s10, 0
	s_wait_loadcnt 0x0
	v_xor_b32_e32 v1, v8, v9
	v_cls_i32_e32 v3, v9
	s_delay_alu instid0(VALU_DEP_2) | instskip(NEXT) | instid1(VALU_DEP_1)
	v_ashrrev_i32_e32 v1, 31, v1
	v_add_nc_u32_e32 v1, 32, v1
	s_delay_alu instid0(VALU_DEP_1) | instskip(NEXT) | instid1(VALU_DEP_1)
	v_add_min_u32_e64 v1, v3, -1, v1
	v_lshlrev_b64_e32 v[8:9], v1, v[8:9]
	v_sub_nc_u32_e32 v1, 32, v1
	s_delay_alu instid0(VALU_DEP_2) | instskip(NEXT) | instid1(VALU_DEP_1)
	v_min_u32_e32 v3, 1, v8
	v_or_b32_e32 v3, v9, v3
	s_delay_alu instid0(VALU_DEP_1) | instskip(NEXT) | instid1(VALU_DEP_1)
	v_cvt_f32_i32_e32 v3, v3
	v_ldexp_f32 v1, v3, v1
	s_delay_alu instid0(VALU_DEP_1) | instskip(NEXT) | instid1(VALU_DEP_1)
	v_bfe_u32 v3, v1, 16, 1
	v_add3_u32 v1, v1, v3, 0x7fff
	s_delay_alu instid0(VALU_DEP_1)
	v_lshrrev_b32_e32 v1, 16, v1
	s_branch .LBB166_2271
.LBB166_2268:
	s_mov_b32 s10, -1
                                        ; implicit-def: $vgpr1
	s_branch .LBB166_2277
.LBB166_2269:
	s_mov_b32 s10, -1
                                        ; implicit-def: $vgpr1
	s_branch .LBB166_2274
.LBB166_2270:
	s_mov_b32 s10, -1
                                        ; implicit-def: $vgpr1
.LBB166_2271:
	s_delay_alu instid0(SALU_CYCLE_1)
	s_and_not1_b32 vcc_lo, exec_lo, s10
	s_cbranch_vccnz .LBB166_2273
; %bb.2272:
	s_wait_loadcnt 0x0
	global_load_b32 v1, v[4:5], off
	s_wait_loadcnt 0x0
	v_cvt_f32_i32_e32 v1, v1
	s_delay_alu instid0(VALU_DEP_1) | instskip(NEXT) | instid1(VALU_DEP_1)
	v_bfe_u32 v3, v1, 16, 1
	v_add3_u32 v1, v1, v3, 0x7fff
	s_delay_alu instid0(VALU_DEP_1)
	v_lshrrev_b32_e32 v1, 16, v1
.LBB166_2273:
	s_mov_b32 s10, 0
.LBB166_2274:
	s_delay_alu instid0(SALU_CYCLE_1)
	s_and_not1_b32 vcc_lo, exec_lo, s10
	s_cbranch_vccnz .LBB166_2276
; %bb.2275:
	s_wait_loadcnt 0x0
	global_load_i16 v1, v[4:5], off
	s_wait_loadcnt 0x0
	v_cvt_f32_i32_e32 v1, v1
	s_delay_alu instid0(VALU_DEP_1) | instskip(NEXT) | instid1(VALU_DEP_1)
	v_bfe_u32 v3, v1, 16, 1
	v_add3_u32 v1, v1, v3, 0x7fff
	s_delay_alu instid0(VALU_DEP_1)
	v_lshrrev_b32_e32 v1, 16, v1
.LBB166_2276:
	s_mov_b32 s10, 0
.LBB166_2277:
	s_delay_alu instid0(SALU_CYCLE_1)
	s_and_not1_b32 vcc_lo, exec_lo, s10
	s_cbranch_vccnz .LBB166_2283
; %bb.2278:
	s_cmp_gt_i32 s0, 0
	s_mov_b32 s0, 0
	s_cbranch_scc0 .LBB166_2280
; %bb.2279:
	s_wait_loadcnt 0x0
	global_load_i8 v1, v[4:5], off
	s_wait_loadcnt 0x0
	v_cvt_f32_i32_e32 v1, v1
	s_delay_alu instid0(VALU_DEP_1) | instskip(NEXT) | instid1(VALU_DEP_1)
	v_bfe_u32 v3, v1, 16, 1
	v_add3_u32 v1, v1, v3, 0x7fff
	s_delay_alu instid0(VALU_DEP_1)
	v_lshrrev_b32_e32 v1, 16, v1
	s_branch .LBB166_2281
.LBB166_2280:
	s_mov_b32 s0, -1
                                        ; implicit-def: $vgpr1
.LBB166_2281:
	s_delay_alu instid0(SALU_CYCLE_1)
	s_and_not1_b32 vcc_lo, exec_lo, s0
	s_cbranch_vccnz .LBB166_2283
; %bb.2282:
	s_wait_loadcnt 0x0
	global_load_u8 v1, v[4:5], off
	s_wait_loadcnt 0x0
	v_cvt_f32_ubyte0_e32 v1, v1
	s_delay_alu instid0(VALU_DEP_1) | instskip(NEXT) | instid1(VALU_DEP_1)
	v_bfe_u32 v3, v1, 16, 1
	v_add3_u32 v1, v1, v3, 0x7fff
	s_delay_alu instid0(VALU_DEP_1)
	v_lshrrev_b32_e32 v1, 16, v1
.LBB166_2283:
	v_mov_b32_e32 v7, 0
.LBB166_2284:
	s_mov_b32 s21, -1
.LBB166_2285:
	s_delay_alu instid0(SALU_CYCLE_1)
	s_and_not1_b32 vcc_lo, exec_lo, s21
	s_cbranch_vccnz .LBB166_2703
; %bb.2286:
	v_add_nc_u32_e32 v2, s19, v2
	s_cmp_lt_i32 s17, 11
	s_delay_alu instid0(VALU_DEP_1) | instskip(SKIP_1) | instid1(VALU_DEP_1)
	v_ashrrev_i32_e32 v3, 31, v2
	s_wait_xcnt 0x0
	v_add_nc_u64_e32 v[4:5], s[2:3], v[2:3]
	s_cbranch_scc1 .LBB166_2293
; %bb.2287:
	s_and_b32 s0, 0xffff, s17
	s_mov_b32 s20, 0
	s_cmp_gt_i32 s0, 25
	s_cbranch_scc0 .LBB166_2294
; %bb.2288:
	s_cmp_gt_i32 s0, 28
	s_cbranch_scc0 .LBB166_2295
; %bb.2289:
	;; [unrolled: 3-line block ×4, first 2 shown]
	s_cmp_eq_u32 s0, 46
	s_mov_b32 s22, 0
	s_cbranch_scc0 .LBB166_2300
; %bb.2292:
	global_load_b32 v3, v[4:5], off
	s_mov_b32 s10, 0
	s_mov_b32 s21, -1
	s_wait_loadcnt 0x0
	v_and_b32_e32 v8, 0xffff0000, v3
	s_branch .LBB166_2302
.LBB166_2293:
	s_mov_b32 s0, -1
	s_mov_b32 s21, 0
                                        ; implicit-def: $vgpr8
                                        ; implicit-def: $vgpr3
	s_branch .LBB166_2348
.LBB166_2294:
	s_mov_b32 s22, -1
	s_mov_b32 s21, 0
	s_mov_b32 s10, 0
                                        ; implicit-def: $vgpr8
                                        ; implicit-def: $vgpr3
	s_branch .LBB166_2333
.LBB166_2295:
	s_mov_b32 s22, -1
	s_mov_b32 s21, 0
	s_mov_b32 s10, 0
                                        ; implicit-def: $vgpr8
                                        ; implicit-def: $vgpr3
	s_branch .LBB166_2314
.LBB166_2296:
	s_mov_b32 s22, -1
	s_mov_b32 s21, 0
	s_mov_b32 s10, 0
                                        ; implicit-def: $vgpr8
                                        ; implicit-def: $vgpr3
	s_branch .LBB166_2308
.LBB166_2297:
	s_mov_b32 s22, -1
	s_mov_b32 s21, 0
	s_mov_b32 s10, 0
	s_branch .LBB166_2301
.LBB166_2298:
	s_and_not1_saveexec_b32 s35, s35
	s_cbranch_execz .LBB166_1130
.LBB166_2299:
	v_add_f32_e32 v2, 0x42800000, v3
	s_and_not1_b32 s34, s34, exec_lo
	s_delay_alu instid0(VALU_DEP_1) | instskip(NEXT) | instid1(VALU_DEP_1)
	v_and_b32_e32 v2, 0xff, v2
	v_cmp_ne_u32_e32 vcc_lo, 0, v2
	s_and_b32 s36, vcc_lo, exec_lo
	s_delay_alu instid0(SALU_CYCLE_1)
	s_or_b32 s34, s34, s36
	s_or_b32 exec_lo, exec_lo, s35
	v_mov_b32_e32 v4, 0
	s_and_saveexec_b32 s35, s34
	s_cbranch_execnz .LBB166_1131
	s_branch .LBB166_1132
.LBB166_2300:
	s_mov_b32 s10, -1
	s_mov_b32 s21, 0
.LBB166_2301:
                                        ; implicit-def: $vgpr8
                                        ; implicit-def: $vgpr3
.LBB166_2302:
	s_and_b32 vcc_lo, exec_lo, s22
	s_cbranch_vccz .LBB166_2307
; %bb.2303:
	s_cmp_eq_u32 s0, 44
	s_cbranch_scc0 .LBB166_2305
; %bb.2304:
	global_load_u8 v3, v[4:5], off
	s_mov_b32 s10, 0
	s_mov_b32 s21, -1
	s_wait_loadcnt 0x0
	v_lshlrev_b32_e32 v8, 23, v3
	v_cmp_ne_u32_e32 vcc_lo, 0xff, v3
	s_delay_alu instid0(VALU_DEP_2) | instskip(SKIP_1) | instid1(VALU_DEP_2)
	v_cndmask_b32_e32 v8, 0x7f800001, v8, vcc_lo
	v_cmp_ne_u32_e32 vcc_lo, 0, v3
	v_cndmask_b32_e32 v3, 0x400000, v8, vcc_lo
	s_delay_alu instid0(VALU_DEP_1) | instskip(NEXT) | instid1(VALU_DEP_1)
	v_add_nc_u32_e32 v8, 0x7fff, v3
	v_lshrrev_b32_e32 v8, 16, v8
	v_cmp_o_f32_e32 vcc_lo, v3, v3
	s_delay_alu instid0(VALU_DEP_2)
	v_cndmask_b32_e32 v3, 0x7fc0, v8, vcc_lo
	s_branch .LBB166_2306
.LBB166_2305:
	s_mov_b32 s10, -1
                                        ; implicit-def: $vgpr3
.LBB166_2306:
	v_mov_b32_e32 v8, 0
.LBB166_2307:
	s_mov_b32 s22, 0
.LBB166_2308:
	s_delay_alu instid0(SALU_CYCLE_1)
	s_and_b32 vcc_lo, exec_lo, s22
	s_cbranch_vccz .LBB166_2313
; %bb.2309:
	s_cmp_eq_u32 s0, 29
	s_cbranch_scc0 .LBB166_2311
; %bb.2310:
	global_load_b64 v[8:9], v[4:5], off
	s_mov_b32 s10, 0
	s_mov_b32 s21, -1
	s_wait_loadcnt 0x0
	v_clz_i32_u32_e32 v3, v9
	s_delay_alu instid0(VALU_DEP_1) | instskip(NEXT) | instid1(VALU_DEP_1)
	v_min_u32_e32 v3, 32, v3
	v_lshlrev_b64_e32 v[8:9], v3, v[8:9]
	v_sub_nc_u32_e32 v3, 32, v3
	s_delay_alu instid0(VALU_DEP_2) | instskip(NEXT) | instid1(VALU_DEP_1)
	v_min_u32_e32 v8, 1, v8
	v_or_b32_e32 v8, v9, v8
	s_delay_alu instid0(VALU_DEP_1) | instskip(NEXT) | instid1(VALU_DEP_1)
	v_cvt_f32_u32_e32 v8, v8
	v_ldexp_f32 v3, v8, v3
	s_delay_alu instid0(VALU_DEP_1) | instskip(NEXT) | instid1(VALU_DEP_1)
	v_bfe_u32 v8, v3, 16, 1
	v_add3_u32 v3, v3, v8, 0x7fff
	s_delay_alu instid0(VALU_DEP_1)
	v_lshrrev_b32_e32 v3, 16, v3
	s_branch .LBB166_2312
.LBB166_2311:
	s_mov_b32 s10, -1
                                        ; implicit-def: $vgpr3
.LBB166_2312:
	v_mov_b32_e32 v8, 0
.LBB166_2313:
	s_mov_b32 s22, 0
.LBB166_2314:
	s_delay_alu instid0(SALU_CYCLE_1)
	s_and_b32 vcc_lo, exec_lo, s22
	s_cbranch_vccz .LBB166_2332
; %bb.2315:
	s_cmp_lt_i32 s0, 27
	s_cbranch_scc1 .LBB166_2318
; %bb.2316:
	s_cmp_gt_i32 s0, 27
	s_cbranch_scc0 .LBB166_2319
; %bb.2317:
	global_load_b32 v3, v[4:5], off
	s_mov_b32 s21, 0
	s_wait_loadcnt 0x0
	v_cvt_f32_u32_e32 v3, v3
	s_delay_alu instid0(VALU_DEP_1) | instskip(NEXT) | instid1(VALU_DEP_1)
	v_bfe_u32 v8, v3, 16, 1
	v_add3_u32 v3, v3, v8, 0x7fff
	s_delay_alu instid0(VALU_DEP_1)
	v_lshrrev_b32_e32 v3, 16, v3
	s_branch .LBB166_2320
.LBB166_2318:
	s_mov_b32 s21, -1
                                        ; implicit-def: $vgpr3
	s_branch .LBB166_2323
.LBB166_2319:
	s_mov_b32 s21, -1
                                        ; implicit-def: $vgpr3
.LBB166_2320:
	s_delay_alu instid0(SALU_CYCLE_1)
	s_and_not1_b32 vcc_lo, exec_lo, s21
	s_cbranch_vccnz .LBB166_2322
; %bb.2321:
	global_load_u16 v3, v[4:5], off
	s_wait_loadcnt 0x0
	v_cvt_f32_u32_e32 v3, v3
	s_delay_alu instid0(VALU_DEP_1) | instskip(NEXT) | instid1(VALU_DEP_1)
	v_bfe_u32 v8, v3, 16, 1
	v_add3_u32 v3, v3, v8, 0x7fff
	s_delay_alu instid0(VALU_DEP_1)
	v_lshrrev_b32_e32 v3, 16, v3
.LBB166_2322:
	s_mov_b32 s21, 0
.LBB166_2323:
	s_delay_alu instid0(SALU_CYCLE_1)
	s_and_not1_b32 vcc_lo, exec_lo, s21
	s_cbranch_vccnz .LBB166_2331
; %bb.2324:
	global_load_u8 v3, v[4:5], off
	s_mov_b32 s21, 0
	s_mov_b32 s22, exec_lo
	s_wait_loadcnt 0x0
	v_cmpx_lt_i16_e32 0x7f, v3
	s_xor_b32 s22, exec_lo, s22
	s_cbranch_execz .LBB166_2357
; %bb.2325:
	s_mov_b32 s21, -1
	s_mov_b32 s23, exec_lo
	v_cmpx_eq_u16_e32 0x80, v3
; %bb.2326:
	s_xor_b32 s21, exec_lo, -1
; %bb.2327:
	s_or_b32 exec_lo, exec_lo, s23
	s_delay_alu instid0(SALU_CYCLE_1)
	s_and_b32 s21, s21, exec_lo
	s_or_saveexec_b32 s22, s22
	v_mov_b32_e32 v8, 0x7f800001
	s_xor_b32 exec_lo, exec_lo, s22
	s_cbranch_execnz .LBB166_2358
.LBB166_2328:
	s_or_b32 exec_lo, exec_lo, s22
	s_and_saveexec_b32 s22, s21
	s_cbranch_execz .LBB166_2330
.LBB166_2329:
	v_and_b32_e32 v8, 0xffff, v3
	s_delay_alu instid0(VALU_DEP_1) | instskip(SKIP_1) | instid1(VALU_DEP_2)
	v_and_b32_e32 v9, 7, v8
	v_bfe_u32 v12, v8, 3, 4
	v_clz_i32_u32_e32 v10, v9
	s_delay_alu instid0(VALU_DEP_2) | instskip(NEXT) | instid1(VALU_DEP_2)
	v_cmp_eq_u32_e32 vcc_lo, 0, v12
	v_min_u32_e32 v10, 32, v10
	s_delay_alu instid0(VALU_DEP_1) | instskip(NEXT) | instid1(VALU_DEP_1)
	v_subrev_nc_u32_e32 v11, 28, v10
	v_dual_lshlrev_b32 v8, v11, v8 :: v_dual_sub_nc_u32 v10, 29, v10
	s_delay_alu instid0(VALU_DEP_1) | instskip(NEXT) | instid1(VALU_DEP_1)
	v_dual_lshlrev_b32 v3, 24, v3 :: v_dual_bitop2_b32 v8, 7, v8 bitop3:0x40
	v_dual_cndmask_b32 v10, v12, v10, vcc_lo :: v_dual_cndmask_b32 v8, v9, v8, vcc_lo
	s_delay_alu instid0(VALU_DEP_2) | instskip(NEXT) | instid1(VALU_DEP_2)
	v_and_b32_e32 v3, 0x80000000, v3
	v_lshl_add_u32 v9, v10, 23, 0x3b800000
	s_delay_alu instid0(VALU_DEP_3) | instskip(NEXT) | instid1(VALU_DEP_1)
	v_lshlrev_b32_e32 v8, 20, v8
	v_or3_b32 v8, v3, v9, v8
.LBB166_2330:
	s_or_b32 exec_lo, exec_lo, s22
	s_delay_alu instid0(VALU_DEP_1) | instskip(SKIP_1) | instid1(VALU_DEP_2)
	v_bfe_u32 v3, v8, 16, 1
	v_cmp_o_f32_e32 vcc_lo, v8, v8
	v_add3_u32 v3, v8, v3, 0x7fff
	s_delay_alu instid0(VALU_DEP_1) | instskip(NEXT) | instid1(VALU_DEP_1)
	v_lshrrev_b32_e32 v3, 16, v3
	v_cndmask_b32_e32 v3, 0x7fc0, v3, vcc_lo
.LBB166_2331:
	v_mov_b32_e32 v8, 0
	s_mov_b32 s21, -1
.LBB166_2332:
	s_mov_b32 s22, 0
.LBB166_2333:
	s_delay_alu instid0(SALU_CYCLE_1)
	s_and_b32 vcc_lo, exec_lo, s22
	s_cbranch_vccz .LBB166_2344
; %bb.2334:
	s_cmp_gt_i32 s0, 22
	s_cbranch_scc0 .LBB166_2355
; %bb.2335:
	s_cmp_lt_i32 s0, 24
	s_cbranch_scc1 .LBB166_2359
; %bb.2336:
	s_cmp_gt_i32 s0, 24
	s_cbranch_scc0 .LBB166_2361
; %bb.2337:
	global_load_u8 v3, v[4:5], off
	s_mov_b32 s21, exec_lo
	s_wait_loadcnt 0x0
	v_cmpx_lt_i16_e32 0x7f, v3
	s_xor_b32 s21, exec_lo, s21
	s_cbranch_execz .LBB166_2373
; %bb.2338:
	s_mov_b32 s20, -1
	s_mov_b32 s22, exec_lo
	v_cmpx_eq_u16_e32 0x80, v3
; %bb.2339:
	s_xor_b32 s20, exec_lo, -1
; %bb.2340:
	s_or_b32 exec_lo, exec_lo, s22
	s_delay_alu instid0(SALU_CYCLE_1)
	s_and_b32 s20, s20, exec_lo
	s_or_saveexec_b32 s21, s21
	v_mov_b32_e32 v8, 0x7f800001
	s_xor_b32 exec_lo, exec_lo, s21
	s_cbranch_execnz .LBB166_2374
.LBB166_2341:
	s_or_b32 exec_lo, exec_lo, s21
	s_and_saveexec_b32 s21, s20
	s_cbranch_execz .LBB166_2343
.LBB166_2342:
	v_and_b32_e32 v8, 0xffff, v3
	s_delay_alu instid0(VALU_DEP_1) | instskip(SKIP_1) | instid1(VALU_DEP_2)
	v_and_b32_e32 v9, 3, v8
	v_bfe_u32 v12, v8, 2, 5
	v_clz_i32_u32_e32 v10, v9
	s_delay_alu instid0(VALU_DEP_2) | instskip(NEXT) | instid1(VALU_DEP_2)
	v_cmp_eq_u32_e32 vcc_lo, 0, v12
	v_min_u32_e32 v10, 32, v10
	s_delay_alu instid0(VALU_DEP_1) | instskip(NEXT) | instid1(VALU_DEP_1)
	v_subrev_nc_u32_e32 v11, 29, v10
	v_dual_lshlrev_b32 v8, v11, v8 :: v_dual_sub_nc_u32 v10, 30, v10
	s_delay_alu instid0(VALU_DEP_1) | instskip(NEXT) | instid1(VALU_DEP_1)
	v_dual_lshlrev_b32 v3, 24, v3 :: v_dual_bitop2_b32 v8, 3, v8 bitop3:0x40
	v_dual_cndmask_b32 v10, v12, v10, vcc_lo :: v_dual_cndmask_b32 v8, v9, v8, vcc_lo
	s_delay_alu instid0(VALU_DEP_2) | instskip(NEXT) | instid1(VALU_DEP_2)
	v_and_b32_e32 v3, 0x80000000, v3
	v_lshl_add_u32 v9, v10, 23, 0x37800000
	s_delay_alu instid0(VALU_DEP_3) | instskip(NEXT) | instid1(VALU_DEP_1)
	v_lshlrev_b32_e32 v8, 21, v8
	v_or3_b32 v8, v3, v9, v8
.LBB166_2343:
	s_or_b32 exec_lo, exec_lo, s21
	s_delay_alu instid0(VALU_DEP_1) | instskip(SKIP_2) | instid1(VALU_DEP_2)
	v_bfe_u32 v3, v8, 16, 1
	v_cmp_o_f32_e32 vcc_lo, v8, v8
	s_mov_b32 s20, 0
	v_add3_u32 v3, v8, v3, 0x7fff
	s_delay_alu instid0(VALU_DEP_1) | instskip(NEXT) | instid1(VALU_DEP_1)
	v_lshrrev_b32_e32 v3, 16, v3
	v_cndmask_b32_e32 v3, 0x7fc0, v3, vcc_lo
	s_branch .LBB166_2362
.LBB166_2344:
	s_and_b32 vcc_lo, exec_lo, s10
	s_cbranch_vccnz .LBB166_2392
.LBB166_2345:
	s_and_not1_b32 vcc_lo, exec_lo, s20
	s_cbranch_vccnz .LBB166_2347
.LBB166_2346:
	s_wait_loadcnt 0x0
	global_load_u8 v3, v[4:5], off
	s_mov_b32 s21, -1
	v_mov_b32_e32 v8, 0
	s_wait_loadcnt 0x0
	v_cmp_ne_u16_e32 vcc_lo, 0, v3
	v_cndmask_b32_e64 v3, 0, 1.0, vcc_lo
	s_delay_alu instid0(VALU_DEP_1)
	v_lshrrev_b32_e32 v3, 16, v3
.LBB166_2347:
	s_mov_b32 s0, 0
.LBB166_2348:
	s_delay_alu instid0(SALU_CYCLE_1)
	s_and_b32 vcc_lo, exec_lo, s0
	s_cbranch_vccz .LBB166_2423
; %bb.2349:
	s_and_b32 s0, 0xffff, s17
	s_delay_alu instid0(SALU_CYCLE_1)
	s_cmp_lt_i32 s0, 5
	s_cbranch_scc1 .LBB166_2354
; %bb.2350:
	s_cmp_lt_i32 s0, 8
	s_cbranch_scc1 .LBB166_2356
; %bb.2351:
	;; [unrolled: 3-line block ×3, first 2 shown]
	s_cmp_gt_i32 s0, 9
	s_cbranch_scc0 .LBB166_2375
; %bb.2353:
	global_load_b128 v[8:11], v[4:5], off
	s_mov_b32 s10, 0
	s_wait_loadcnt 0x0
	v_cvt_f32_f64_e32 v3, v[8:9]
	v_cvt_f32_f64_e32 v8, v[10:11]
	s_delay_alu instid0(VALU_DEP_2) | instskip(NEXT) | instid1(VALU_DEP_2)
	v_bfe_u32 v9, v3, 16, 1
	v_bfe_u32 v10, v8, 16, 1
	v_cmp_o_f32_e32 vcc_lo, v3, v3
	s_delay_alu instid0(VALU_DEP_3) | instskip(NEXT) | instid1(VALU_DEP_3)
	v_add3_u32 v9, v3, v9, 0x7fff
	v_add3_u32 v10, v8, v10, 0x7fff
	s_delay_alu instid0(VALU_DEP_1) | instskip(NEXT) | instid1(VALU_DEP_3)
	v_and_b32_e32 v10, 0xffff0000, v10
	v_lshrrev_b32_e32 v9, 16, v9
	s_delay_alu instid0(VALU_DEP_1) | instskip(SKIP_1) | instid1(VALU_DEP_4)
	v_cndmask_b32_e32 v3, 0x7fc0, v9, vcc_lo
	v_cmp_o_f32_e32 vcc_lo, v8, v8
	v_cndmask_b32_e32 v8, 0x7fc00000, v10, vcc_lo
	s_branch .LBB166_2376
.LBB166_2354:
	s_mov_b32 s10, -1
                                        ; implicit-def: $vgpr8
                                        ; implicit-def: $vgpr3
	s_branch .LBB166_2401
.LBB166_2355:
	s_mov_b32 s20, -1
                                        ; implicit-def: $vgpr3
	s_branch .LBB166_2368
.LBB166_2356:
	s_mov_b32 s10, -1
                                        ; implicit-def: $vgpr8
                                        ; implicit-def: $vgpr3
	s_branch .LBB166_2382
.LBB166_2357:
	s_or_saveexec_b32 s22, s22
	v_mov_b32_e32 v8, 0x7f800001
	s_xor_b32 exec_lo, exec_lo, s22
	s_cbranch_execz .LBB166_2328
.LBB166_2358:
	v_cmp_ne_u16_e32 vcc_lo, 0, v3
	v_mov_b32_e32 v8, 0
	s_and_not1_b32 s21, s21, exec_lo
	s_and_b32 s23, vcc_lo, exec_lo
	s_delay_alu instid0(SALU_CYCLE_1)
	s_or_b32 s21, s21, s23
	s_or_b32 exec_lo, exec_lo, s22
	s_and_saveexec_b32 s22, s21
	s_cbranch_execnz .LBB166_2329
	s_branch .LBB166_2330
.LBB166_2359:
	s_mov_b32 s20, -1
                                        ; implicit-def: $vgpr3
	s_branch .LBB166_2365
.LBB166_2360:
	s_mov_b32 s10, -1
                                        ; implicit-def: $vgpr8
                                        ; implicit-def: $vgpr3
	s_branch .LBB166_2379
.LBB166_2361:
	s_mov_b32 s20, -1
                                        ; implicit-def: $vgpr3
.LBB166_2362:
	s_delay_alu instid0(SALU_CYCLE_1)
	s_and_b32 vcc_lo, exec_lo, s20
	s_cbranch_vccz .LBB166_2364
; %bb.2363:
	global_load_u8 v3, v[4:5], off
	s_wait_loadcnt 0x0
	v_lshlrev_b32_e32 v3, 24, v3
	s_delay_alu instid0(VALU_DEP_1) | instskip(NEXT) | instid1(VALU_DEP_1)
	v_and_b32_e32 v8, 0x7f000000, v3
	v_clz_i32_u32_e32 v9, v8
	v_cmp_ne_u32_e32 vcc_lo, 0, v8
	v_add_nc_u32_e32 v11, 0x1000000, v8
	s_delay_alu instid0(VALU_DEP_3) | instskip(NEXT) | instid1(VALU_DEP_1)
	v_min_u32_e32 v9, 32, v9
	v_sub_nc_u32_e64 v9, v9, 4 clamp
	s_delay_alu instid0(VALU_DEP_1) | instskip(NEXT) | instid1(VALU_DEP_1)
	v_dual_lshlrev_b32 v10, v9, v8 :: v_dual_lshlrev_b32 v9, 23, v9
	v_lshrrev_b32_e32 v10, 4, v10
	s_delay_alu instid0(VALU_DEP_1) | instskip(NEXT) | instid1(VALU_DEP_1)
	v_dual_sub_nc_u32 v9, v10, v9 :: v_dual_ashrrev_i32 v10, 8, v11
	v_add_nc_u32_e32 v9, 0x3c000000, v9
	s_delay_alu instid0(VALU_DEP_1) | instskip(NEXT) | instid1(VALU_DEP_1)
	v_and_or_b32 v9, 0x7f800000, v10, v9
	v_cndmask_b32_e32 v8, 0, v9, vcc_lo
	s_delay_alu instid0(VALU_DEP_1) | instskip(SKIP_1) | instid1(VALU_DEP_2)
	v_and_or_b32 v3, 0x80000000, v3, v8
	v_bfe_u32 v8, v8, 16, 1
	v_cmp_o_f32_e32 vcc_lo, v3, v3
	s_delay_alu instid0(VALU_DEP_2) | instskip(NEXT) | instid1(VALU_DEP_1)
	v_add3_u32 v8, v3, v8, 0x7fff
	v_lshrrev_b32_e32 v8, 16, v8
	s_delay_alu instid0(VALU_DEP_1)
	v_cndmask_b32_e32 v3, 0x7fc0, v8, vcc_lo
.LBB166_2364:
	s_mov_b32 s20, 0
.LBB166_2365:
	s_delay_alu instid0(SALU_CYCLE_1)
	s_and_not1_b32 vcc_lo, exec_lo, s20
	s_cbranch_vccnz .LBB166_2367
; %bb.2366:
	global_load_u8 v3, v[4:5], off
	s_wait_loadcnt 0x0
	v_lshlrev_b32_e32 v8, 25, v3
	v_lshlrev_b16 v3, 8, v3
	s_delay_alu instid0(VALU_DEP_1) | instskip(SKIP_1) | instid1(VALU_DEP_2)
	v_and_or_b32 v10, 0x7f00, v3, 0.5
	v_bfe_i32 v3, v3, 0, 16
	v_dual_add_f32 v10, -0.5, v10 :: v_dual_lshrrev_b32 v9, 4, v8
	v_cmp_gt_u32_e32 vcc_lo, 0x8000000, v8
	s_delay_alu instid0(VALU_DEP_2) | instskip(NEXT) | instid1(VALU_DEP_1)
	v_or_b32_e32 v9, 0x70000000, v9
	v_mul_f32_e32 v9, 0x7800000, v9
	s_delay_alu instid0(VALU_DEP_1) | instskip(NEXT) | instid1(VALU_DEP_1)
	v_cndmask_b32_e32 v8, v9, v10, vcc_lo
	v_and_or_b32 v3, 0x80000000, v3, v8
	v_bfe_u32 v8, v8, 16, 1
	s_delay_alu instid0(VALU_DEP_2) | instskip(NEXT) | instid1(VALU_DEP_2)
	v_cmp_o_f32_e32 vcc_lo, v3, v3
	v_add3_u32 v8, v3, v8, 0x7fff
	s_delay_alu instid0(VALU_DEP_1) | instskip(NEXT) | instid1(VALU_DEP_1)
	v_lshrrev_b32_e32 v8, 16, v8
	v_cndmask_b32_e32 v3, 0x7fc0, v8, vcc_lo
.LBB166_2367:
	s_mov_b32 s20, 0
	s_mov_b32 s21, -1
.LBB166_2368:
	s_and_not1_b32 vcc_lo, exec_lo, s20
	s_mov_b32 s20, 0
	s_cbranch_vccnz .LBB166_2391
; %bb.2369:
	s_cmp_gt_i32 s0, 14
	s_cbranch_scc0 .LBB166_2372
; %bb.2370:
	s_cmp_eq_u32 s0, 15
	s_cbranch_scc0 .LBB166_2387
; %bb.2371:
	global_load_u16 v3, v[4:5], off
	s_mov_b32 s10, 0
	s_mov_b32 s21, -1
	s_branch .LBB166_2389
.LBB166_2372:
	s_mov_b32 s20, -1
	s_branch .LBB166_2388
.LBB166_2373:
	s_or_saveexec_b32 s21, s21
	v_mov_b32_e32 v8, 0x7f800001
	s_xor_b32 exec_lo, exec_lo, s21
	s_cbranch_execz .LBB166_2341
.LBB166_2374:
	v_cmp_ne_u16_e32 vcc_lo, 0, v3
	v_mov_b32_e32 v8, 0
	s_and_not1_b32 s20, s20, exec_lo
	s_and_b32 s22, vcc_lo, exec_lo
	s_delay_alu instid0(SALU_CYCLE_1)
	s_or_b32 s20, s20, s22
	s_or_b32 exec_lo, exec_lo, s21
	s_and_saveexec_b32 s21, s20
	s_cbranch_execnz .LBB166_2342
	s_branch .LBB166_2343
.LBB166_2375:
	s_mov_b32 s10, -1
                                        ; implicit-def: $vgpr8
                                        ; implicit-def: $vgpr3
.LBB166_2376:
	s_delay_alu instid0(SALU_CYCLE_1)
	s_and_not1_b32 vcc_lo, exec_lo, s10
	s_cbranch_vccnz .LBB166_2378
; %bb.2377:
	global_load_b64 v[8:9], v[4:5], off
	s_wait_loadcnt 0x0
	v_bfe_u32 v3, v8, 16, 1
	v_bfe_u32 v10, v9, 16, 1
	v_cmp_o_f32_e32 vcc_lo, v8, v8
	s_delay_alu instid0(VALU_DEP_3) | instskip(NEXT) | instid1(VALU_DEP_3)
	v_add3_u32 v3, v8, v3, 0x7fff
	v_add3_u32 v10, v9, v10, 0x7fff
	s_delay_alu instid0(VALU_DEP_1) | instskip(NEXT) | instid1(VALU_DEP_3)
	v_and_b32_e32 v10, 0xffff0000, v10
	v_lshrrev_b32_e32 v3, 16, v3
	s_delay_alu instid0(VALU_DEP_1) | instskip(SKIP_1) | instid1(VALU_DEP_4)
	v_cndmask_b32_e32 v3, 0x7fc0, v3, vcc_lo
	v_cmp_o_f32_e32 vcc_lo, v9, v9
	v_cndmask_b32_e32 v8, 0x7fc00000, v10, vcc_lo
.LBB166_2378:
	s_mov_b32 s10, 0
.LBB166_2379:
	s_delay_alu instid0(SALU_CYCLE_1)
	s_and_not1_b32 vcc_lo, exec_lo, s10
	s_cbranch_vccnz .LBB166_2381
; %bb.2380:
	s_wait_loadcnt 0x0
	global_load_b32 v3, v[4:5], off
	s_wait_loadcnt 0x0
	v_cvt_f32_f16_e32 v9, v3
	v_cmp_o_f16_e32 vcc_lo, v3, v3
	s_delay_alu instid0(VALU_DEP_2) | instskip(NEXT) | instid1(VALU_DEP_1)
	v_bfe_u32 v11, v9, 16, 1
	v_add3_u32 v9, v9, v11, 0x7fff
	s_delay_alu instid0(VALU_DEP_1) | instskip(NEXT) | instid1(VALU_DEP_1)
	v_dual_lshrrev_b32 v8, 16, v3 :: v_dual_lshrrev_b32 v9, 16, v9
	v_cvt_f32_f16_e32 v10, v8
	s_delay_alu instid0(VALU_DEP_2) | instskip(NEXT) | instid1(VALU_DEP_2)
	v_cndmask_b32_e32 v3, 0x7fc0, v9, vcc_lo
	v_bfe_u32 v12, v10, 16, 1
	v_cmp_o_f16_e32 vcc_lo, v8, v8
	s_delay_alu instid0(VALU_DEP_2) | instskip(NEXT) | instid1(VALU_DEP_1)
	v_add3_u32 v10, v10, v12, 0x7fff
	v_and_b32_e32 v10, 0xffff0000, v10
	s_delay_alu instid0(VALU_DEP_1)
	v_cndmask_b32_e32 v8, 0x7fc00000, v10, vcc_lo
.LBB166_2381:
	s_mov_b32 s10, 0
.LBB166_2382:
	s_delay_alu instid0(SALU_CYCLE_1)
	s_and_not1_b32 vcc_lo, exec_lo, s10
	s_cbranch_vccnz .LBB166_2400
; %bb.2383:
	s_cmp_lt_i32 s0, 6
	s_cbranch_scc1 .LBB166_2386
; %bb.2384:
	s_cmp_gt_i32 s0, 6
	s_cbranch_scc0 .LBB166_2393
; %bb.2385:
	global_load_b64 v[8:9], v[4:5], off
	s_mov_b32 s10, 0
	s_wait_loadcnt 0x0
	v_cvt_f32_f64_e32 v3, v[8:9]
	s_delay_alu instid0(VALU_DEP_1) | instskip(SKIP_1) | instid1(VALU_DEP_2)
	v_bfe_u32 v8, v3, 16, 1
	v_cmp_o_f32_e32 vcc_lo, v3, v3
	v_add3_u32 v8, v3, v8, 0x7fff
	s_delay_alu instid0(VALU_DEP_1) | instskip(NEXT) | instid1(VALU_DEP_1)
	v_lshrrev_b32_e32 v8, 16, v8
	v_cndmask_b32_e32 v3, 0x7fc0, v8, vcc_lo
	s_branch .LBB166_2394
.LBB166_2386:
	s_mov_b32 s10, -1
                                        ; implicit-def: $vgpr3
	s_branch .LBB166_2397
.LBB166_2387:
	s_mov_b32 s10, -1
.LBB166_2388:
                                        ; implicit-def: $vgpr3
.LBB166_2389:
	s_and_b32 vcc_lo, exec_lo, s20
	s_mov_b32 s20, 0
	s_cbranch_vccz .LBB166_2391
; %bb.2390:
	s_cmp_lg_u32 s0, 11
	s_mov_b32 s20, -1
	s_cselect_b32 s10, -1, 0
.LBB166_2391:
	v_mov_b32_e32 v8, 0
	s_and_b32 vcc_lo, exec_lo, s10
	s_cbranch_vccz .LBB166_2345
.LBB166_2392:
	s_or_b32 s13, s13, exec_lo
	s_trap 2
	s_cbranch_execz .LBB166_2346
	s_branch .LBB166_2347
.LBB166_2393:
	s_mov_b32 s10, -1
                                        ; implicit-def: $vgpr3
.LBB166_2394:
	s_delay_alu instid0(SALU_CYCLE_1)
	s_and_not1_b32 vcc_lo, exec_lo, s10
	s_cbranch_vccnz .LBB166_2396
; %bb.2395:
	s_wait_loadcnt 0x0
	global_load_b32 v3, v[4:5], off
	s_wait_loadcnt 0x0
	v_bfe_u32 v8, v3, 16, 1
	v_cmp_o_f32_e32 vcc_lo, v3, v3
	s_delay_alu instid0(VALU_DEP_2) | instskip(NEXT) | instid1(VALU_DEP_1)
	v_add3_u32 v8, v3, v8, 0x7fff
	v_lshrrev_b32_e32 v8, 16, v8
	s_delay_alu instid0(VALU_DEP_1)
	v_cndmask_b32_e32 v3, 0x7fc0, v8, vcc_lo
.LBB166_2396:
	s_mov_b32 s10, 0
.LBB166_2397:
	s_delay_alu instid0(SALU_CYCLE_1)
	s_and_not1_b32 vcc_lo, exec_lo, s10
	s_cbranch_vccnz .LBB166_2399
; %bb.2398:
	s_wait_loadcnt 0x0
	global_load_u16 v3, v[4:5], off
	s_wait_loadcnt 0x0
	v_cvt_f32_f16_e32 v8, v3
	v_cmp_o_f16_e32 vcc_lo, v3, v3
	s_delay_alu instid0(VALU_DEP_2) | instskip(NEXT) | instid1(VALU_DEP_1)
	v_bfe_u32 v9, v8, 16, 1
	v_add3_u32 v8, v8, v9, 0x7fff
	s_delay_alu instid0(VALU_DEP_1) | instskip(NEXT) | instid1(VALU_DEP_1)
	v_lshrrev_b32_e32 v8, 16, v8
	v_cndmask_b32_e32 v3, 0x7fc0, v8, vcc_lo
.LBB166_2399:
	v_mov_b32_e32 v8, 0
.LBB166_2400:
	s_mov_b32 s10, 0
.LBB166_2401:
	s_delay_alu instid0(SALU_CYCLE_1)
	s_and_not1_b32 vcc_lo, exec_lo, s10
	s_cbranch_vccnz .LBB166_2422
; %bb.2402:
	s_cmp_lt_i32 s0, 2
	s_cbranch_scc1 .LBB166_2406
; %bb.2403:
	s_cmp_lt_i32 s0, 3
	s_cbranch_scc1 .LBB166_2407
; %bb.2404:
	s_cmp_gt_i32 s0, 3
	s_cbranch_scc0 .LBB166_2408
; %bb.2405:
	global_load_b64 v[8:9], v[4:5], off
	s_mov_b32 s10, 0
	s_wait_loadcnt 0x0
	v_xor_b32_e32 v3, v8, v9
	v_cls_i32_e32 v10, v9
	s_delay_alu instid0(VALU_DEP_2) | instskip(NEXT) | instid1(VALU_DEP_1)
	v_ashrrev_i32_e32 v3, 31, v3
	v_add_nc_u32_e32 v3, 32, v3
	s_delay_alu instid0(VALU_DEP_1) | instskip(NEXT) | instid1(VALU_DEP_1)
	v_add_min_u32_e64 v3, v10, -1, v3
	v_lshlrev_b64_e32 v[8:9], v3, v[8:9]
	v_sub_nc_u32_e32 v3, 32, v3
	s_delay_alu instid0(VALU_DEP_2) | instskip(NEXT) | instid1(VALU_DEP_1)
	v_min_u32_e32 v8, 1, v8
	v_or_b32_e32 v8, v9, v8
	s_delay_alu instid0(VALU_DEP_1) | instskip(NEXT) | instid1(VALU_DEP_1)
	v_cvt_f32_i32_e32 v8, v8
	v_ldexp_f32 v3, v8, v3
	s_delay_alu instid0(VALU_DEP_1) | instskip(NEXT) | instid1(VALU_DEP_1)
	v_bfe_u32 v8, v3, 16, 1
	v_add3_u32 v3, v3, v8, 0x7fff
	s_delay_alu instid0(VALU_DEP_1)
	v_lshrrev_b32_e32 v3, 16, v3
	s_branch .LBB166_2409
.LBB166_2406:
	s_mov_b32 s10, -1
                                        ; implicit-def: $vgpr3
	s_branch .LBB166_2415
.LBB166_2407:
	s_mov_b32 s10, -1
                                        ; implicit-def: $vgpr3
	s_branch .LBB166_2412
.LBB166_2408:
	s_mov_b32 s10, -1
                                        ; implicit-def: $vgpr3
.LBB166_2409:
	s_delay_alu instid0(SALU_CYCLE_1)
	s_and_not1_b32 vcc_lo, exec_lo, s10
	s_cbranch_vccnz .LBB166_2411
; %bb.2410:
	s_wait_loadcnt 0x0
	global_load_b32 v3, v[4:5], off
	s_wait_loadcnt 0x0
	v_cvt_f32_i32_e32 v3, v3
	s_delay_alu instid0(VALU_DEP_1) | instskip(NEXT) | instid1(VALU_DEP_1)
	v_bfe_u32 v8, v3, 16, 1
	v_add3_u32 v3, v3, v8, 0x7fff
	s_delay_alu instid0(VALU_DEP_1)
	v_lshrrev_b32_e32 v3, 16, v3
.LBB166_2411:
	s_mov_b32 s10, 0
.LBB166_2412:
	s_delay_alu instid0(SALU_CYCLE_1)
	s_and_not1_b32 vcc_lo, exec_lo, s10
	s_cbranch_vccnz .LBB166_2414
; %bb.2413:
	s_wait_loadcnt 0x0
	global_load_i16 v3, v[4:5], off
	s_wait_loadcnt 0x0
	v_cvt_f32_i32_e32 v3, v3
	s_delay_alu instid0(VALU_DEP_1) | instskip(NEXT) | instid1(VALU_DEP_1)
	v_bfe_u32 v8, v3, 16, 1
	v_add3_u32 v3, v3, v8, 0x7fff
	s_delay_alu instid0(VALU_DEP_1)
	v_lshrrev_b32_e32 v3, 16, v3
.LBB166_2414:
	s_mov_b32 s10, 0
.LBB166_2415:
	s_delay_alu instid0(SALU_CYCLE_1)
	s_and_not1_b32 vcc_lo, exec_lo, s10
	s_cbranch_vccnz .LBB166_2421
; %bb.2416:
	s_cmp_gt_i32 s0, 0
	s_mov_b32 s0, 0
	s_cbranch_scc0 .LBB166_2418
; %bb.2417:
	s_wait_loadcnt 0x0
	global_load_i8 v3, v[4:5], off
	s_wait_loadcnt 0x0
	v_cvt_f32_i32_e32 v3, v3
	s_delay_alu instid0(VALU_DEP_1) | instskip(NEXT) | instid1(VALU_DEP_1)
	v_bfe_u32 v8, v3, 16, 1
	v_add3_u32 v3, v3, v8, 0x7fff
	s_delay_alu instid0(VALU_DEP_1)
	v_lshrrev_b32_e32 v3, 16, v3
	s_branch .LBB166_2419
.LBB166_2418:
	s_mov_b32 s0, -1
                                        ; implicit-def: $vgpr3
.LBB166_2419:
	s_delay_alu instid0(SALU_CYCLE_1)
	s_and_not1_b32 vcc_lo, exec_lo, s0
	s_cbranch_vccnz .LBB166_2421
; %bb.2420:
	s_wait_loadcnt 0x0
	global_load_u8 v3, v[4:5], off
	s_wait_loadcnt 0x0
	v_cvt_f32_ubyte0_e32 v3, v3
	s_wait_xcnt 0x0
	s_delay_alu instid0(VALU_DEP_1) | instskip(NEXT) | instid1(VALU_DEP_1)
	v_bfe_u32 v4, v3, 16, 1
	v_add3_u32 v3, v3, v4, 0x7fff
	s_delay_alu instid0(VALU_DEP_1)
	v_lshrrev_b32_e32 v3, 16, v3
.LBB166_2421:
	v_mov_b32_e32 v8, 0
.LBB166_2422:
	s_mov_b32 s21, -1
.LBB166_2423:
	s_delay_alu instid0(SALU_CYCLE_1)
	s_and_not1_b32 vcc_lo, exec_lo, s21
	s_cbranch_vccnz .LBB166_2703
; %bb.2424:
	s_wait_loadcnt 0x0
	v_and_b32_e32 v3, 0xffff, v3
	v_and_b32_e32 v1, 0xffff, v1
	s_wait_xcnt 0x0
	v_and_b32_e32 v5, 0xffff0000, v7
	s_and_b32 vcc_lo, exec_lo, s11
	s_delay_alu instid0(VALU_DEP_2) | instskip(SKIP_2) | instid1(VALU_DEP_2)
	v_or_b32_e32 v4, v7, v1
	v_or_b32_e32 v3, v8, v3
	v_and_b32_e32 v1, 0xffff0000, v8
	v_dual_lshlrev_b32 v4, 16, v4 :: v_dual_lshlrev_b32 v3, 16, v3
	s_cbranch_vccz .LBB166_2426
; %bb.2425:
	s_delay_alu instid0(VALU_DEP_1) | instskip(NEXT) | instid1(VALU_DEP_3)
	v_cmp_neq_f32_e32 vcc_lo, v4, v3
	v_cmp_neq_f32_e64 s0, v5, v1
	s_or_b32 s10, vcc_lo, s0
	s_mov_b32 s0, 0
	s_branch .LBB166_2427
.LBB166_2426:
	s_mov_b32 s0, -1
                                        ; implicit-def: $sgpr10
.LBB166_2427:
	s_delay_alu instid0(SALU_CYCLE_1)
	s_and_not1_b32 vcc_lo, exec_lo, s0
	s_cbranch_vccnz .LBB166_2429
; %bb.2428:
	v_cmp_eq_f32_e32 vcc_lo, v4, v3
	v_cmp_eq_f32_e64 s0, v5, v1
	s_and_not1_b32 s10, s10, exec_lo
	s_and_b32 s0, vcc_lo, s0
	s_delay_alu instid0(SALU_CYCLE_1) | instskip(NEXT) | instid1(SALU_CYCLE_1)
	s_and_b32 s0, s0, exec_lo
	s_or_b32 s10, s10, s0
.LBB166_2429:
	v_add_nc_u32_e32 v0, s18, v0
	s_cmp_lt_i32 s14, 11
	s_delay_alu instid0(VALU_DEP_1) | instskip(NEXT) | instid1(VALU_DEP_1)
	v_ashrrev_i32_e32 v1, 31, v0
	v_add_nc_u64_e32 v[0:1], s[6:7], v[0:1]
	s_cbranch_scc1 .LBB166_2436
; %bb.2430:
	s_and_b32 s0, 0xffff, s14
	s_mov_b32 s7, 0
	s_cmp_gt_i32 s0, 25
	s_cbranch_scc0 .LBB166_2437
; %bb.2431:
	s_cmp_gt_i32 s0, 28
	s_cbranch_scc0 .LBB166_2438
; %bb.2432:
	s_cmp_gt_i32 s0, 43
	s_cbranch_scc0 .LBB166_2439
; %bb.2433:
	s_cmp_gt_i32 s0, 45
	s_cbranch_scc0 .LBB166_2440
; %bb.2434:
	s_cmp_eq_u32 s0, 46
	s_mov_b32 s20, 0
	s_cbranch_scc0 .LBB166_2441
; %bb.2435:
	global_load_b32 v3, v[0:1], off
	s_mov_b32 s6, 0
	s_mov_b32 s18, -1
	s_wait_loadcnt 0x0
	v_and_b32_e32 v4, 0xffff0000, v3
	s_branch .LBB166_2443
.LBB166_2436:
	s_mov_b32 s0, -1
	s_mov_b32 s18, 0
                                        ; implicit-def: $vgpr4
                                        ; implicit-def: $vgpr3
	s_branch .LBB166_2489
.LBB166_2437:
	s_mov_b32 s20, -1
	s_mov_b32 s18, 0
	s_mov_b32 s6, 0
                                        ; implicit-def: $vgpr4
                                        ; implicit-def: $vgpr3
	s_branch .LBB166_2474
.LBB166_2438:
	s_mov_b32 s20, -1
	s_mov_b32 s18, 0
	s_mov_b32 s6, 0
                                        ; implicit-def: $vgpr4
                                        ; implicit-def: $vgpr3
	s_branch .LBB166_2455
.LBB166_2439:
	s_mov_b32 s20, -1
	s_mov_b32 s18, 0
	s_mov_b32 s6, 0
                                        ; implicit-def: $vgpr4
                                        ; implicit-def: $vgpr3
	s_branch .LBB166_2449
.LBB166_2440:
	s_mov_b32 s20, -1
	s_mov_b32 s18, 0
	s_mov_b32 s6, 0
	s_branch .LBB166_2442
.LBB166_2441:
	s_mov_b32 s6, -1
	s_mov_b32 s18, 0
.LBB166_2442:
                                        ; implicit-def: $vgpr4
                                        ; implicit-def: $vgpr3
.LBB166_2443:
	s_and_b32 vcc_lo, exec_lo, s20
	s_cbranch_vccz .LBB166_2448
; %bb.2444:
	s_cmp_eq_u32 s0, 44
	s_cbranch_scc0 .LBB166_2446
; %bb.2445:
	global_load_u8 v3, v[0:1], off
	s_mov_b32 s6, 0
	s_mov_b32 s18, -1
	s_wait_loadcnt 0x0
	v_lshlrev_b32_e32 v4, 23, v3
	v_cmp_ne_u32_e32 vcc_lo, 0xff, v3
	s_delay_alu instid0(VALU_DEP_2) | instskip(SKIP_1) | instid1(VALU_DEP_2)
	v_cndmask_b32_e32 v4, 0x7f800001, v4, vcc_lo
	v_cmp_ne_u32_e32 vcc_lo, 0, v3
	v_cndmask_b32_e32 v3, 0x400000, v4, vcc_lo
	s_delay_alu instid0(VALU_DEP_1) | instskip(NEXT) | instid1(VALU_DEP_1)
	v_add_nc_u32_e32 v4, 0x7fff, v3
	v_lshrrev_b32_e32 v4, 16, v4
	v_cmp_o_f32_e32 vcc_lo, v3, v3
	s_delay_alu instid0(VALU_DEP_2)
	v_cndmask_b32_e32 v3, 0x7fc0, v4, vcc_lo
	s_branch .LBB166_2447
.LBB166_2446:
	s_mov_b32 s6, -1
                                        ; implicit-def: $vgpr3
.LBB166_2447:
	v_mov_b32_e32 v4, 0
.LBB166_2448:
	s_mov_b32 s20, 0
.LBB166_2449:
	s_delay_alu instid0(SALU_CYCLE_1)
	s_and_b32 vcc_lo, exec_lo, s20
	s_cbranch_vccz .LBB166_2454
; %bb.2450:
	s_cmp_eq_u32 s0, 29
	s_cbranch_scc0 .LBB166_2452
; %bb.2451:
	global_load_b64 v[4:5], v[0:1], off
	s_mov_b32 s6, 0
	s_mov_b32 s18, -1
	s_wait_loadcnt 0x0
	v_clz_i32_u32_e32 v3, v5
	s_delay_alu instid0(VALU_DEP_1) | instskip(NEXT) | instid1(VALU_DEP_1)
	v_min_u32_e32 v3, 32, v3
	v_lshlrev_b64_e32 v[4:5], v3, v[4:5]
	v_sub_nc_u32_e32 v3, 32, v3
	s_delay_alu instid0(VALU_DEP_2) | instskip(NEXT) | instid1(VALU_DEP_1)
	v_min_u32_e32 v4, 1, v4
	v_or_b32_e32 v4, v5, v4
	s_delay_alu instid0(VALU_DEP_1) | instskip(NEXT) | instid1(VALU_DEP_1)
	v_cvt_f32_u32_e32 v4, v4
	v_ldexp_f32 v3, v4, v3
	s_delay_alu instid0(VALU_DEP_1) | instskip(NEXT) | instid1(VALU_DEP_1)
	v_bfe_u32 v4, v3, 16, 1
	v_add3_u32 v3, v3, v4, 0x7fff
	s_delay_alu instid0(VALU_DEP_1)
	v_lshrrev_b32_e32 v3, 16, v3
	s_branch .LBB166_2453
.LBB166_2452:
	s_mov_b32 s6, -1
                                        ; implicit-def: $vgpr3
.LBB166_2453:
	v_mov_b32_e32 v4, 0
.LBB166_2454:
	s_mov_b32 s20, 0
.LBB166_2455:
	s_delay_alu instid0(SALU_CYCLE_1)
	s_and_b32 vcc_lo, exec_lo, s20
	s_cbranch_vccz .LBB166_2473
; %bb.2456:
	s_cmp_lt_i32 s0, 27
	s_cbranch_scc1 .LBB166_2459
; %bb.2457:
	s_cmp_gt_i32 s0, 27
	s_cbranch_scc0 .LBB166_2460
; %bb.2458:
	global_load_b32 v3, v[0:1], off
	s_mov_b32 s18, 0
	s_wait_loadcnt 0x0
	v_cvt_f32_u32_e32 v3, v3
	s_delay_alu instid0(VALU_DEP_1) | instskip(NEXT) | instid1(VALU_DEP_1)
	v_bfe_u32 v4, v3, 16, 1
	v_add3_u32 v3, v3, v4, 0x7fff
	s_delay_alu instid0(VALU_DEP_1)
	v_lshrrev_b32_e32 v3, 16, v3
	s_branch .LBB166_2461
.LBB166_2459:
	s_mov_b32 s18, -1
                                        ; implicit-def: $vgpr3
	s_branch .LBB166_2464
.LBB166_2460:
	s_mov_b32 s18, -1
                                        ; implicit-def: $vgpr3
.LBB166_2461:
	s_delay_alu instid0(SALU_CYCLE_1)
	s_and_not1_b32 vcc_lo, exec_lo, s18
	s_cbranch_vccnz .LBB166_2463
; %bb.2462:
	global_load_u16 v3, v[0:1], off
	s_wait_loadcnt 0x0
	v_cvt_f32_u32_e32 v3, v3
	s_delay_alu instid0(VALU_DEP_1) | instskip(NEXT) | instid1(VALU_DEP_1)
	v_bfe_u32 v4, v3, 16, 1
	v_add3_u32 v3, v3, v4, 0x7fff
	s_delay_alu instid0(VALU_DEP_1)
	v_lshrrev_b32_e32 v3, 16, v3
.LBB166_2463:
	s_mov_b32 s18, 0
.LBB166_2464:
	s_delay_alu instid0(SALU_CYCLE_1)
	s_and_not1_b32 vcc_lo, exec_lo, s18
	s_cbranch_vccnz .LBB166_2472
; %bb.2465:
	global_load_u8 v3, v[0:1], off
	s_mov_b32 s18, 0
	s_mov_b32 s20, exec_lo
	s_wait_loadcnt 0x0
	v_cmpx_lt_i16_e32 0x7f, v3
	s_xor_b32 s20, exec_lo, s20
	s_cbranch_execz .LBB166_2498
; %bb.2466:
	s_mov_b32 s18, -1
	s_mov_b32 s21, exec_lo
	v_cmpx_eq_u16_e32 0x80, v3
; %bb.2467:
	s_xor_b32 s18, exec_lo, -1
; %bb.2468:
	s_or_b32 exec_lo, exec_lo, s21
	s_delay_alu instid0(SALU_CYCLE_1)
	s_and_b32 s18, s18, exec_lo
	s_or_saveexec_b32 s20, s20
	v_mov_b32_e32 v4, 0x7f800001
	s_xor_b32 exec_lo, exec_lo, s20
	s_cbranch_execnz .LBB166_2499
.LBB166_2469:
	s_or_b32 exec_lo, exec_lo, s20
	s_and_saveexec_b32 s20, s18
	s_cbranch_execz .LBB166_2471
.LBB166_2470:
	v_and_b32_e32 v4, 0xffff, v3
	s_delay_alu instid0(VALU_DEP_1) | instskip(SKIP_1) | instid1(VALU_DEP_2)
	v_and_b32_e32 v5, 7, v4
	v_bfe_u32 v9, v4, 3, 4
	v_clz_i32_u32_e32 v7, v5
	s_delay_alu instid0(VALU_DEP_2) | instskip(NEXT) | instid1(VALU_DEP_2)
	v_cmp_eq_u32_e32 vcc_lo, 0, v9
	v_min_u32_e32 v7, 32, v7
	s_delay_alu instid0(VALU_DEP_1) | instskip(NEXT) | instid1(VALU_DEP_1)
	v_subrev_nc_u32_e32 v8, 28, v7
	v_dual_lshlrev_b32 v4, v8, v4 :: v_dual_sub_nc_u32 v7, 29, v7
	s_delay_alu instid0(VALU_DEP_1) | instskip(NEXT) | instid1(VALU_DEP_1)
	v_dual_lshlrev_b32 v3, 24, v3 :: v_dual_bitop2_b32 v4, 7, v4 bitop3:0x40
	v_cndmask_b32_e32 v4, v5, v4, vcc_lo
	s_delay_alu instid0(VALU_DEP_3) | instskip(NEXT) | instid1(VALU_DEP_3)
	v_cndmask_b32_e32 v7, v9, v7, vcc_lo
	v_and_b32_e32 v3, 0x80000000, v3
	s_delay_alu instid0(VALU_DEP_3) | instskip(NEXT) | instid1(VALU_DEP_3)
	v_lshlrev_b32_e32 v4, 20, v4
	v_lshl_add_u32 v5, v7, 23, 0x3b800000
	s_delay_alu instid0(VALU_DEP_1)
	v_or3_b32 v4, v3, v5, v4
.LBB166_2471:
	s_or_b32 exec_lo, exec_lo, s20
	s_delay_alu instid0(VALU_DEP_1) | instskip(SKIP_1) | instid1(VALU_DEP_2)
	v_bfe_u32 v3, v4, 16, 1
	v_cmp_o_f32_e32 vcc_lo, v4, v4
	v_add3_u32 v3, v4, v3, 0x7fff
	s_delay_alu instid0(VALU_DEP_1) | instskip(NEXT) | instid1(VALU_DEP_1)
	v_lshrrev_b32_e32 v3, 16, v3
	v_cndmask_b32_e32 v3, 0x7fc0, v3, vcc_lo
.LBB166_2472:
	v_mov_b32_e32 v4, 0
	s_mov_b32 s18, -1
.LBB166_2473:
	s_mov_b32 s20, 0
.LBB166_2474:
	s_delay_alu instid0(SALU_CYCLE_1)
	s_and_b32 vcc_lo, exec_lo, s20
	s_cbranch_vccz .LBB166_2485
; %bb.2475:
	s_cmp_gt_i32 s0, 22
	s_cbranch_scc0 .LBB166_2496
; %bb.2476:
	s_cmp_lt_i32 s0, 24
	s_cbranch_scc1 .LBB166_2500
; %bb.2477:
	s_cmp_gt_i32 s0, 24
	s_cbranch_scc0 .LBB166_2502
; %bb.2478:
	global_load_u8 v3, v[0:1], off
	s_mov_b32 s18, exec_lo
	s_wait_loadcnt 0x0
	v_cmpx_lt_i16_e32 0x7f, v3
	s_xor_b32 s18, exec_lo, s18
	s_cbranch_execz .LBB166_2514
; %bb.2479:
	s_mov_b32 s7, -1
	s_mov_b32 s20, exec_lo
	v_cmpx_eq_u16_e32 0x80, v3
; %bb.2480:
	s_xor_b32 s7, exec_lo, -1
; %bb.2481:
	s_or_b32 exec_lo, exec_lo, s20
	s_delay_alu instid0(SALU_CYCLE_1)
	s_and_b32 s7, s7, exec_lo
	s_or_saveexec_b32 s18, s18
	v_mov_b32_e32 v4, 0x7f800001
	s_xor_b32 exec_lo, exec_lo, s18
	s_cbranch_execnz .LBB166_2515
.LBB166_2482:
	s_or_b32 exec_lo, exec_lo, s18
	s_and_saveexec_b32 s18, s7
	s_cbranch_execz .LBB166_2484
.LBB166_2483:
	v_and_b32_e32 v4, 0xffff, v3
	s_delay_alu instid0(VALU_DEP_1) | instskip(SKIP_1) | instid1(VALU_DEP_2)
	v_and_b32_e32 v5, 3, v4
	v_bfe_u32 v9, v4, 2, 5
	v_clz_i32_u32_e32 v7, v5
	s_delay_alu instid0(VALU_DEP_2) | instskip(NEXT) | instid1(VALU_DEP_2)
	v_cmp_eq_u32_e32 vcc_lo, 0, v9
	v_min_u32_e32 v7, 32, v7
	s_delay_alu instid0(VALU_DEP_1) | instskip(NEXT) | instid1(VALU_DEP_1)
	v_subrev_nc_u32_e32 v8, 29, v7
	v_dual_lshlrev_b32 v4, v8, v4 :: v_dual_sub_nc_u32 v7, 30, v7
	s_delay_alu instid0(VALU_DEP_1) | instskip(NEXT) | instid1(VALU_DEP_1)
	v_dual_lshlrev_b32 v3, 24, v3 :: v_dual_bitop2_b32 v4, 3, v4 bitop3:0x40
	v_cndmask_b32_e32 v4, v5, v4, vcc_lo
	s_delay_alu instid0(VALU_DEP_3) | instskip(NEXT) | instid1(VALU_DEP_3)
	v_cndmask_b32_e32 v7, v9, v7, vcc_lo
	v_and_b32_e32 v3, 0x80000000, v3
	s_delay_alu instid0(VALU_DEP_3) | instskip(NEXT) | instid1(VALU_DEP_3)
	v_lshlrev_b32_e32 v4, 21, v4
	v_lshl_add_u32 v5, v7, 23, 0x37800000
	s_delay_alu instid0(VALU_DEP_1)
	v_or3_b32 v4, v3, v5, v4
.LBB166_2484:
	s_or_b32 exec_lo, exec_lo, s18
	s_delay_alu instid0(VALU_DEP_1) | instskip(SKIP_2) | instid1(VALU_DEP_2)
	v_bfe_u32 v3, v4, 16, 1
	v_cmp_o_f32_e32 vcc_lo, v4, v4
	s_mov_b32 s7, 0
	v_add3_u32 v3, v4, v3, 0x7fff
	s_delay_alu instid0(VALU_DEP_1) | instskip(NEXT) | instid1(VALU_DEP_1)
	v_lshrrev_b32_e32 v3, 16, v3
	v_cndmask_b32_e32 v3, 0x7fc0, v3, vcc_lo
	s_branch .LBB166_2503
.LBB166_2485:
	s_and_b32 vcc_lo, exec_lo, s6
	s_cbranch_vccnz .LBB166_2533
.LBB166_2486:
	s_and_not1_b32 vcc_lo, exec_lo, s7
	s_cbranch_vccnz .LBB166_2488
.LBB166_2487:
	s_wait_loadcnt 0x0
	global_load_u8 v3, v[0:1], off
	s_mov_b32 s18, -1
	v_mov_b32_e32 v4, 0
	s_wait_loadcnt 0x0
	v_cmp_ne_u16_e32 vcc_lo, 0, v3
	v_cndmask_b32_e64 v3, 0, 1.0, vcc_lo
	s_delay_alu instid0(VALU_DEP_1)
	v_lshrrev_b32_e32 v3, 16, v3
.LBB166_2488:
	s_mov_b32 s0, 0
.LBB166_2489:
	s_delay_alu instid0(SALU_CYCLE_1)
	s_and_b32 vcc_lo, exec_lo, s0
	s_cbranch_vccz .LBB166_2564
; %bb.2490:
	s_and_b32 s0, 0xffff, s14
	s_delay_alu instid0(SALU_CYCLE_1)
	s_cmp_lt_i32 s0, 5
	s_cbranch_scc1 .LBB166_2495
; %bb.2491:
	s_cmp_lt_i32 s0, 8
	s_cbranch_scc1 .LBB166_2497
; %bb.2492:
	;; [unrolled: 3-line block ×3, first 2 shown]
	s_cmp_gt_i32 s0, 9
	s_cbranch_scc0 .LBB166_2516
; %bb.2494:
	global_load_b128 v[8:11], v[0:1], off
	s_mov_b32 s6, 0
	s_wait_loadcnt 0x0
	v_cvt_f32_f64_e32 v3, v[8:9]
	v_cvt_f32_f64_e32 v4, v[10:11]
	s_delay_alu instid0(VALU_DEP_2) | instskip(NEXT) | instid1(VALU_DEP_2)
	v_bfe_u32 v5, v3, 16, 1
	v_bfe_u32 v7, v4, 16, 1
	v_cmp_o_f32_e32 vcc_lo, v3, v3
	s_delay_alu instid0(VALU_DEP_3) | instskip(NEXT) | instid1(VALU_DEP_3)
	v_add3_u32 v5, v3, v5, 0x7fff
	v_add3_u32 v7, v4, v7, 0x7fff
	s_delay_alu instid0(VALU_DEP_1) | instskip(NEXT) | instid1(VALU_DEP_3)
	v_and_b32_e32 v7, 0xffff0000, v7
	v_lshrrev_b32_e32 v5, 16, v5
	s_delay_alu instid0(VALU_DEP_1) | instskip(SKIP_1) | instid1(VALU_DEP_4)
	v_cndmask_b32_e32 v3, 0x7fc0, v5, vcc_lo
	v_cmp_o_f32_e32 vcc_lo, v4, v4
	v_cndmask_b32_e32 v4, 0x7fc00000, v7, vcc_lo
	s_branch .LBB166_2517
.LBB166_2495:
	s_mov_b32 s6, -1
                                        ; implicit-def: $vgpr4
                                        ; implicit-def: $vgpr3
	s_branch .LBB166_2542
.LBB166_2496:
	s_mov_b32 s7, -1
                                        ; implicit-def: $vgpr3
	s_branch .LBB166_2509
.LBB166_2497:
	s_mov_b32 s6, -1
                                        ; implicit-def: $vgpr4
                                        ; implicit-def: $vgpr3
	s_branch .LBB166_2523
.LBB166_2498:
	s_or_saveexec_b32 s20, s20
	v_mov_b32_e32 v4, 0x7f800001
	s_xor_b32 exec_lo, exec_lo, s20
	s_cbranch_execz .LBB166_2469
.LBB166_2499:
	v_cmp_ne_u16_e32 vcc_lo, 0, v3
	v_mov_b32_e32 v4, 0
	s_and_not1_b32 s18, s18, exec_lo
	s_and_b32 s21, vcc_lo, exec_lo
	s_delay_alu instid0(SALU_CYCLE_1)
	s_or_b32 s18, s18, s21
	s_or_b32 exec_lo, exec_lo, s20
	s_and_saveexec_b32 s20, s18
	s_cbranch_execnz .LBB166_2470
	s_branch .LBB166_2471
.LBB166_2500:
	s_mov_b32 s7, -1
                                        ; implicit-def: $vgpr3
	s_branch .LBB166_2506
.LBB166_2501:
	s_mov_b32 s6, -1
                                        ; implicit-def: $vgpr4
                                        ; implicit-def: $vgpr3
	s_branch .LBB166_2520
.LBB166_2502:
	s_mov_b32 s7, -1
                                        ; implicit-def: $vgpr3
.LBB166_2503:
	s_delay_alu instid0(SALU_CYCLE_1)
	s_and_b32 vcc_lo, exec_lo, s7
	s_cbranch_vccz .LBB166_2505
; %bb.2504:
	global_load_u8 v3, v[0:1], off
	s_wait_loadcnt 0x0
	v_lshlrev_b32_e32 v3, 24, v3
	s_delay_alu instid0(VALU_DEP_1) | instskip(NEXT) | instid1(VALU_DEP_1)
	v_and_b32_e32 v4, 0x7f000000, v3
	v_clz_i32_u32_e32 v5, v4
	v_add_nc_u32_e32 v8, 0x1000000, v4
	v_cmp_ne_u32_e32 vcc_lo, 0, v4
	s_delay_alu instid0(VALU_DEP_3) | instskip(NEXT) | instid1(VALU_DEP_1)
	v_min_u32_e32 v5, 32, v5
	v_sub_nc_u32_e64 v5, v5, 4 clamp
	s_delay_alu instid0(VALU_DEP_1) | instskip(NEXT) | instid1(VALU_DEP_1)
	v_dual_lshlrev_b32 v7, v5, v4 :: v_dual_lshlrev_b32 v5, 23, v5
	v_lshrrev_b32_e32 v7, 4, v7
	s_delay_alu instid0(VALU_DEP_1) | instskip(NEXT) | instid1(VALU_DEP_1)
	v_dual_sub_nc_u32 v5, v7, v5 :: v_dual_ashrrev_i32 v7, 8, v8
	v_add_nc_u32_e32 v5, 0x3c000000, v5
	s_delay_alu instid0(VALU_DEP_1) | instskip(NEXT) | instid1(VALU_DEP_1)
	v_and_or_b32 v5, 0x7f800000, v7, v5
	v_cndmask_b32_e32 v4, 0, v5, vcc_lo
	s_delay_alu instid0(VALU_DEP_1) | instskip(SKIP_1) | instid1(VALU_DEP_2)
	v_and_or_b32 v3, 0x80000000, v3, v4
	v_bfe_u32 v4, v4, 16, 1
	v_cmp_o_f32_e32 vcc_lo, v3, v3
	s_delay_alu instid0(VALU_DEP_2) | instskip(NEXT) | instid1(VALU_DEP_1)
	v_add3_u32 v4, v3, v4, 0x7fff
	v_lshrrev_b32_e32 v4, 16, v4
	s_delay_alu instid0(VALU_DEP_1)
	v_cndmask_b32_e32 v3, 0x7fc0, v4, vcc_lo
.LBB166_2505:
	s_mov_b32 s7, 0
.LBB166_2506:
	s_delay_alu instid0(SALU_CYCLE_1)
	s_and_not1_b32 vcc_lo, exec_lo, s7
	s_cbranch_vccnz .LBB166_2508
; %bb.2507:
	global_load_u8 v3, v[0:1], off
	s_wait_loadcnt 0x0
	v_lshlrev_b32_e32 v4, 25, v3
	v_lshlrev_b16 v3, 8, v3
	s_delay_alu instid0(VALU_DEP_1) | instskip(NEXT) | instid1(VALU_DEP_3)
	v_and_or_b32 v7, 0x7f00, v3, 0.5
	v_lshrrev_b32_e32 v5, 4, v4
	v_bfe_i32 v3, v3, 0, 16
	s_delay_alu instid0(VALU_DEP_3) | instskip(NEXT) | instid1(VALU_DEP_3)
	v_add_f32_e32 v7, -0.5, v7
	v_or_b32_e32 v5, 0x70000000, v5
	s_delay_alu instid0(VALU_DEP_1) | instskip(SKIP_1) | instid1(VALU_DEP_2)
	v_mul_f32_e32 v5, 0x7800000, v5
	v_cmp_gt_u32_e32 vcc_lo, 0x8000000, v4
	v_cndmask_b32_e32 v4, v5, v7, vcc_lo
	s_delay_alu instid0(VALU_DEP_1) | instskip(SKIP_1) | instid1(VALU_DEP_2)
	v_and_or_b32 v3, 0x80000000, v3, v4
	v_bfe_u32 v4, v4, 16, 1
	v_cmp_o_f32_e32 vcc_lo, v3, v3
	s_delay_alu instid0(VALU_DEP_2) | instskip(NEXT) | instid1(VALU_DEP_1)
	v_add3_u32 v4, v3, v4, 0x7fff
	v_lshrrev_b32_e32 v4, 16, v4
	s_delay_alu instid0(VALU_DEP_1)
	v_cndmask_b32_e32 v3, 0x7fc0, v4, vcc_lo
.LBB166_2508:
	s_mov_b32 s7, 0
	s_mov_b32 s18, -1
.LBB166_2509:
	s_and_not1_b32 vcc_lo, exec_lo, s7
	s_mov_b32 s7, 0
	s_cbranch_vccnz .LBB166_2532
; %bb.2510:
	s_cmp_gt_i32 s0, 14
	s_cbranch_scc0 .LBB166_2513
; %bb.2511:
	s_cmp_eq_u32 s0, 15
	s_cbranch_scc0 .LBB166_2528
; %bb.2512:
	global_load_u16 v3, v[0:1], off
	s_mov_b32 s6, 0
	s_mov_b32 s18, -1
	s_branch .LBB166_2530
.LBB166_2513:
	s_mov_b32 s7, -1
	s_branch .LBB166_2529
.LBB166_2514:
	s_or_saveexec_b32 s18, s18
	v_mov_b32_e32 v4, 0x7f800001
	s_xor_b32 exec_lo, exec_lo, s18
	s_cbranch_execz .LBB166_2482
.LBB166_2515:
	v_cmp_ne_u16_e32 vcc_lo, 0, v3
	v_mov_b32_e32 v4, 0
	s_and_not1_b32 s7, s7, exec_lo
	s_and_b32 s20, vcc_lo, exec_lo
	s_delay_alu instid0(SALU_CYCLE_1)
	s_or_b32 s7, s7, s20
	s_or_b32 exec_lo, exec_lo, s18
	s_and_saveexec_b32 s18, s7
	s_cbranch_execnz .LBB166_2483
	s_branch .LBB166_2484
.LBB166_2516:
	s_mov_b32 s6, -1
                                        ; implicit-def: $vgpr4
                                        ; implicit-def: $vgpr3
.LBB166_2517:
	s_delay_alu instid0(SALU_CYCLE_1)
	s_and_not1_b32 vcc_lo, exec_lo, s6
	s_cbranch_vccnz .LBB166_2519
; %bb.2518:
	global_load_b64 v[4:5], v[0:1], off
	s_wait_loadcnt 0x0
	v_bfe_u32 v3, v4, 16, 1
	v_bfe_u32 v7, v5, 16, 1
	v_cmp_o_f32_e32 vcc_lo, v4, v4
	s_delay_alu instid0(VALU_DEP_3) | instskip(NEXT) | instid1(VALU_DEP_3)
	v_add3_u32 v3, v4, v3, 0x7fff
	v_add3_u32 v7, v5, v7, 0x7fff
	s_delay_alu instid0(VALU_DEP_2) | instskip(NEXT) | instid1(VALU_DEP_2)
	v_lshrrev_b32_e32 v3, 16, v3
	v_and_b32_e32 v7, 0xffff0000, v7
	s_delay_alu instid0(VALU_DEP_2) | instskip(SKIP_1) | instid1(VALU_DEP_3)
	v_cndmask_b32_e32 v3, 0x7fc0, v3, vcc_lo
	v_cmp_o_f32_e32 vcc_lo, v5, v5
	v_cndmask_b32_e32 v4, 0x7fc00000, v7, vcc_lo
.LBB166_2519:
	s_mov_b32 s6, 0
.LBB166_2520:
	s_delay_alu instid0(SALU_CYCLE_1)
	s_and_not1_b32 vcc_lo, exec_lo, s6
	s_cbranch_vccnz .LBB166_2522
; %bb.2521:
	s_wait_loadcnt 0x0
	global_load_b32 v3, v[0:1], off
	s_wait_loadcnt 0x0
	v_cvt_f32_f16_e32 v5, v3
	v_cmp_o_f16_e32 vcc_lo, v3, v3
	s_delay_alu instid0(VALU_DEP_2) | instskip(NEXT) | instid1(VALU_DEP_1)
	v_bfe_u32 v8, v5, 16, 1
	v_add3_u32 v5, v5, v8, 0x7fff
	s_delay_alu instid0(VALU_DEP_1) | instskip(NEXT) | instid1(VALU_DEP_1)
	v_dual_lshrrev_b32 v4, 16, v3 :: v_dual_lshrrev_b32 v5, 16, v5
	v_cvt_f32_f16_e32 v7, v4
	s_delay_alu instid0(VALU_DEP_2) | instskip(NEXT) | instid1(VALU_DEP_2)
	v_cndmask_b32_e32 v3, 0x7fc0, v5, vcc_lo
	v_bfe_u32 v9, v7, 16, 1
	v_cmp_o_f16_e32 vcc_lo, v4, v4
	s_delay_alu instid0(VALU_DEP_2) | instskip(NEXT) | instid1(VALU_DEP_1)
	v_add3_u32 v7, v7, v9, 0x7fff
	v_and_b32_e32 v7, 0xffff0000, v7
	s_delay_alu instid0(VALU_DEP_1)
	v_cndmask_b32_e32 v4, 0x7fc00000, v7, vcc_lo
.LBB166_2522:
	s_mov_b32 s6, 0
.LBB166_2523:
	s_delay_alu instid0(SALU_CYCLE_1)
	s_and_not1_b32 vcc_lo, exec_lo, s6
	s_cbranch_vccnz .LBB166_2541
; %bb.2524:
	s_cmp_lt_i32 s0, 6
	s_cbranch_scc1 .LBB166_2527
; %bb.2525:
	s_cmp_gt_i32 s0, 6
	s_cbranch_scc0 .LBB166_2534
; %bb.2526:
	global_load_b64 v[4:5], v[0:1], off
	s_mov_b32 s6, 0
	s_wait_loadcnt 0x0
	v_cvt_f32_f64_e32 v3, v[4:5]
	s_delay_alu instid0(VALU_DEP_1) | instskip(SKIP_1) | instid1(VALU_DEP_2)
	v_bfe_u32 v4, v3, 16, 1
	v_cmp_o_f32_e32 vcc_lo, v3, v3
	v_add3_u32 v4, v3, v4, 0x7fff
	s_delay_alu instid0(VALU_DEP_1) | instskip(NEXT) | instid1(VALU_DEP_1)
	v_lshrrev_b32_e32 v4, 16, v4
	v_cndmask_b32_e32 v3, 0x7fc0, v4, vcc_lo
	s_branch .LBB166_2535
.LBB166_2527:
	s_mov_b32 s6, -1
                                        ; implicit-def: $vgpr3
	s_branch .LBB166_2538
.LBB166_2528:
	s_mov_b32 s6, -1
.LBB166_2529:
                                        ; implicit-def: $vgpr3
.LBB166_2530:
	s_and_b32 vcc_lo, exec_lo, s7
	s_mov_b32 s7, 0
	s_cbranch_vccz .LBB166_2532
; %bb.2531:
	s_cmp_lg_u32 s0, 11
	s_mov_b32 s7, -1
	s_cselect_b32 s6, -1, 0
.LBB166_2532:
	v_mov_b32_e32 v4, 0
	s_and_b32 vcc_lo, exec_lo, s6
	s_cbranch_vccz .LBB166_2486
.LBB166_2533:
	s_or_b32 s13, s13, exec_lo
	s_trap 2
	s_cbranch_execz .LBB166_2487
	s_branch .LBB166_2488
.LBB166_2534:
	s_mov_b32 s6, -1
                                        ; implicit-def: $vgpr3
.LBB166_2535:
	s_delay_alu instid0(SALU_CYCLE_1)
	s_and_not1_b32 vcc_lo, exec_lo, s6
	s_cbranch_vccnz .LBB166_2537
; %bb.2536:
	s_wait_loadcnt 0x0
	global_load_b32 v3, v[0:1], off
	s_wait_loadcnt 0x0
	v_bfe_u32 v4, v3, 16, 1
	v_cmp_o_f32_e32 vcc_lo, v3, v3
	s_delay_alu instid0(VALU_DEP_2) | instskip(NEXT) | instid1(VALU_DEP_1)
	v_add3_u32 v4, v3, v4, 0x7fff
	v_lshrrev_b32_e32 v4, 16, v4
	s_delay_alu instid0(VALU_DEP_1)
	v_cndmask_b32_e32 v3, 0x7fc0, v4, vcc_lo
.LBB166_2537:
	s_mov_b32 s6, 0
.LBB166_2538:
	s_delay_alu instid0(SALU_CYCLE_1)
	s_and_not1_b32 vcc_lo, exec_lo, s6
	s_cbranch_vccnz .LBB166_2540
; %bb.2539:
	s_wait_loadcnt 0x0
	global_load_u16 v3, v[0:1], off
	s_wait_loadcnt 0x0
	v_cvt_f32_f16_e32 v4, v3
	v_cmp_o_f16_e32 vcc_lo, v3, v3
	s_delay_alu instid0(VALU_DEP_2) | instskip(NEXT) | instid1(VALU_DEP_1)
	v_bfe_u32 v5, v4, 16, 1
	v_add3_u32 v4, v4, v5, 0x7fff
	s_delay_alu instid0(VALU_DEP_1) | instskip(NEXT) | instid1(VALU_DEP_1)
	v_lshrrev_b32_e32 v4, 16, v4
	v_cndmask_b32_e32 v3, 0x7fc0, v4, vcc_lo
.LBB166_2540:
	v_mov_b32_e32 v4, 0
.LBB166_2541:
	s_mov_b32 s6, 0
.LBB166_2542:
	s_delay_alu instid0(SALU_CYCLE_1)
	s_and_not1_b32 vcc_lo, exec_lo, s6
	s_cbranch_vccnz .LBB166_2563
; %bb.2543:
	s_cmp_lt_i32 s0, 2
	s_cbranch_scc1 .LBB166_2547
; %bb.2544:
	s_cmp_lt_i32 s0, 3
	s_cbranch_scc1 .LBB166_2548
; %bb.2545:
	s_cmp_gt_i32 s0, 3
	s_cbranch_scc0 .LBB166_2549
; %bb.2546:
	global_load_b64 v[4:5], v[0:1], off
	s_mov_b32 s6, 0
	s_wait_loadcnt 0x0
	v_xor_b32_e32 v3, v4, v5
	v_cls_i32_e32 v7, v5
	s_delay_alu instid0(VALU_DEP_2) | instskip(NEXT) | instid1(VALU_DEP_1)
	v_ashrrev_i32_e32 v3, 31, v3
	v_add_nc_u32_e32 v3, 32, v3
	s_delay_alu instid0(VALU_DEP_1) | instskip(NEXT) | instid1(VALU_DEP_1)
	v_add_min_u32_e64 v3, v7, -1, v3
	v_lshlrev_b64_e32 v[4:5], v3, v[4:5]
	v_sub_nc_u32_e32 v3, 32, v3
	s_delay_alu instid0(VALU_DEP_2) | instskip(NEXT) | instid1(VALU_DEP_1)
	v_min_u32_e32 v4, 1, v4
	v_or_b32_e32 v4, v5, v4
	s_delay_alu instid0(VALU_DEP_1) | instskip(NEXT) | instid1(VALU_DEP_1)
	v_cvt_f32_i32_e32 v4, v4
	v_ldexp_f32 v3, v4, v3
	s_delay_alu instid0(VALU_DEP_1) | instskip(NEXT) | instid1(VALU_DEP_1)
	v_bfe_u32 v4, v3, 16, 1
	v_add3_u32 v3, v3, v4, 0x7fff
	s_delay_alu instid0(VALU_DEP_1)
	v_lshrrev_b32_e32 v3, 16, v3
	s_branch .LBB166_2550
.LBB166_2547:
	s_mov_b32 s6, -1
                                        ; implicit-def: $vgpr3
	s_branch .LBB166_2556
.LBB166_2548:
	s_mov_b32 s6, -1
                                        ; implicit-def: $vgpr3
	s_branch .LBB166_2553
.LBB166_2549:
	s_mov_b32 s6, -1
                                        ; implicit-def: $vgpr3
.LBB166_2550:
	s_delay_alu instid0(SALU_CYCLE_1)
	s_and_not1_b32 vcc_lo, exec_lo, s6
	s_cbranch_vccnz .LBB166_2552
; %bb.2551:
	s_wait_loadcnt 0x0
	global_load_b32 v3, v[0:1], off
	s_wait_loadcnt 0x0
	v_cvt_f32_i32_e32 v3, v3
	s_delay_alu instid0(VALU_DEP_1) | instskip(NEXT) | instid1(VALU_DEP_1)
	v_bfe_u32 v4, v3, 16, 1
	v_add3_u32 v3, v3, v4, 0x7fff
	s_delay_alu instid0(VALU_DEP_1)
	v_lshrrev_b32_e32 v3, 16, v3
.LBB166_2552:
	s_mov_b32 s6, 0
.LBB166_2553:
	s_delay_alu instid0(SALU_CYCLE_1)
	s_and_not1_b32 vcc_lo, exec_lo, s6
	s_cbranch_vccnz .LBB166_2555
; %bb.2554:
	s_wait_loadcnt 0x0
	global_load_i16 v3, v[0:1], off
	s_wait_loadcnt 0x0
	v_cvt_f32_i32_e32 v3, v3
	s_delay_alu instid0(VALU_DEP_1) | instskip(NEXT) | instid1(VALU_DEP_1)
	v_bfe_u32 v4, v3, 16, 1
	v_add3_u32 v3, v3, v4, 0x7fff
	s_delay_alu instid0(VALU_DEP_1)
	v_lshrrev_b32_e32 v3, 16, v3
.LBB166_2555:
	s_mov_b32 s6, 0
.LBB166_2556:
	s_delay_alu instid0(SALU_CYCLE_1)
	s_and_not1_b32 vcc_lo, exec_lo, s6
	s_cbranch_vccnz .LBB166_2562
; %bb.2557:
	s_cmp_gt_i32 s0, 0
	s_mov_b32 s0, 0
	s_cbranch_scc0 .LBB166_2559
; %bb.2558:
	s_wait_loadcnt 0x0
	global_load_i8 v3, v[0:1], off
	s_wait_loadcnt 0x0
	v_cvt_f32_i32_e32 v3, v3
	s_delay_alu instid0(VALU_DEP_1) | instskip(NEXT) | instid1(VALU_DEP_1)
	v_bfe_u32 v4, v3, 16, 1
	v_add3_u32 v3, v3, v4, 0x7fff
	s_delay_alu instid0(VALU_DEP_1)
	v_lshrrev_b32_e32 v3, 16, v3
	s_branch .LBB166_2560
.LBB166_2559:
	s_mov_b32 s0, -1
                                        ; implicit-def: $vgpr3
.LBB166_2560:
	s_delay_alu instid0(SALU_CYCLE_1)
	s_and_not1_b32 vcc_lo, exec_lo, s0
	s_cbranch_vccnz .LBB166_2562
; %bb.2561:
	global_load_u8 v0, v[0:1], off
	s_wait_loadcnt 0x0
	v_cvt_f32_ubyte0_e32 v0, v0
	s_delay_alu instid0(VALU_DEP_1) | instskip(NEXT) | instid1(VALU_DEP_1)
	v_bfe_u32 v1, v0, 16, 1
	v_add3_u32 v0, v0, v1, 0x7fff
	s_delay_alu instid0(VALU_DEP_1)
	v_lshrrev_b32_e32 v3, 16, v0
.LBB166_2562:
	v_mov_b32_e32 v4, 0
.LBB166_2563:
	s_mov_b32 s18, -1
.LBB166_2564:
	s_delay_alu instid0(SALU_CYCLE_1)
	s_and_not1_b32 vcc_lo, exec_lo, s18
	s_cbranch_vccnz .LBB166_2703
; %bb.2565:
	s_wait_xcnt 0x0
	v_add_nc_u32_e32 v0, s19, v2
	s_cmp_lt_i32 s17, 11
	s_delay_alu instid0(VALU_DEP_1) | instskip(NEXT) | instid1(VALU_DEP_1)
	v_ashrrev_i32_e32 v1, 31, v0
	v_add_nc_u64_e32 v[0:1], s[2:3], v[0:1]
	s_cbranch_scc1 .LBB166_2572
; %bb.2566:
	s_and_b32 s0, 0xffff, s17
	s_mov_b32 s3, 0
	s_cmp_gt_i32 s0, 25
	s_cbranch_scc0 .LBB166_2573
; %bb.2567:
	s_cmp_gt_i32 s0, 28
	s_cbranch_scc0 .LBB166_2574
; %bb.2568:
	s_cmp_gt_i32 s0, 43
	s_cbranch_scc0 .LBB166_2575
; %bb.2569:
	s_cmp_gt_i32 s0, 45
	s_cbranch_scc0 .LBB166_2576
; %bb.2570:
	s_cmp_eq_u32 s0, 46
	s_mov_b32 s7, 0
	s_cbranch_scc0 .LBB166_2577
; %bb.2571:
	global_load_b32 v2, v[0:1], off
	s_mov_b32 s2, 0
	s_mov_b32 s6, -1
	s_wait_loadcnt 0x0
	v_and_b32_e32 v5, 0xffff0000, v2
	s_branch .LBB166_2579
.LBB166_2572:
	s_mov_b32 s0, -1
	s_mov_b32 s6, 0
                                        ; implicit-def: $vgpr5
                                        ; implicit-def: $vgpr2
	s_branch .LBB166_2625
.LBB166_2573:
	s_mov_b32 s7, -1
	s_mov_b32 s6, 0
	s_mov_b32 s2, 0
                                        ; implicit-def: $vgpr5
                                        ; implicit-def: $vgpr2
	s_branch .LBB166_2610
.LBB166_2574:
	s_mov_b32 s7, -1
	s_mov_b32 s6, 0
	s_mov_b32 s2, 0
                                        ; implicit-def: $vgpr5
                                        ; implicit-def: $vgpr2
	s_branch .LBB166_2591
.LBB166_2575:
	s_mov_b32 s7, -1
	s_mov_b32 s6, 0
	s_mov_b32 s2, 0
                                        ; implicit-def: $vgpr5
                                        ; implicit-def: $vgpr2
	s_branch .LBB166_2585
.LBB166_2576:
	s_mov_b32 s7, -1
	s_mov_b32 s6, 0
	s_mov_b32 s2, 0
	s_branch .LBB166_2578
.LBB166_2577:
	s_mov_b32 s2, -1
	s_mov_b32 s6, 0
.LBB166_2578:
                                        ; implicit-def: $vgpr5
                                        ; implicit-def: $vgpr2
.LBB166_2579:
	s_and_b32 vcc_lo, exec_lo, s7
	s_cbranch_vccz .LBB166_2584
; %bb.2580:
	s_cmp_eq_u32 s0, 44
	s_cbranch_scc0 .LBB166_2582
; %bb.2581:
	global_load_u8 v2, v[0:1], off
	s_mov_b32 s2, 0
	s_mov_b32 s6, -1
	s_wait_loadcnt 0x0
	v_lshlrev_b32_e32 v5, 23, v2
	v_cmp_ne_u32_e32 vcc_lo, 0xff, v2
	s_delay_alu instid0(VALU_DEP_2) | instskip(SKIP_1) | instid1(VALU_DEP_2)
	v_cndmask_b32_e32 v5, 0x7f800001, v5, vcc_lo
	v_cmp_ne_u32_e32 vcc_lo, 0, v2
	v_cndmask_b32_e32 v2, 0x400000, v5, vcc_lo
	s_delay_alu instid0(VALU_DEP_1) | instskip(NEXT) | instid1(VALU_DEP_1)
	v_add_nc_u32_e32 v5, 0x7fff, v2
	v_lshrrev_b32_e32 v5, 16, v5
	v_cmp_o_f32_e32 vcc_lo, v2, v2
	s_delay_alu instid0(VALU_DEP_2)
	v_cndmask_b32_e32 v2, 0x7fc0, v5, vcc_lo
	s_branch .LBB166_2583
.LBB166_2582:
	s_mov_b32 s2, -1
                                        ; implicit-def: $vgpr2
.LBB166_2583:
	v_mov_b32_e32 v5, 0
.LBB166_2584:
	s_mov_b32 s7, 0
.LBB166_2585:
	s_delay_alu instid0(SALU_CYCLE_1)
	s_and_b32 vcc_lo, exec_lo, s7
	s_cbranch_vccz .LBB166_2590
; %bb.2586:
	s_cmp_eq_u32 s0, 29
	s_cbranch_scc0 .LBB166_2588
; %bb.2587:
	global_load_b64 v[8:9], v[0:1], off
	s_mov_b32 s2, 0
	s_mov_b32 s6, -1
	s_wait_loadcnt 0x0
	v_clz_i32_u32_e32 v2, v9
	s_delay_alu instid0(VALU_DEP_1) | instskip(NEXT) | instid1(VALU_DEP_1)
	v_min_u32_e32 v2, 32, v2
	v_lshlrev_b64_e32 v[8:9], v2, v[8:9]
	v_sub_nc_u32_e32 v2, 32, v2
	s_delay_alu instid0(VALU_DEP_2) | instskip(NEXT) | instid1(VALU_DEP_1)
	v_min_u32_e32 v5, 1, v8
	v_or_b32_e32 v5, v9, v5
	s_delay_alu instid0(VALU_DEP_1) | instskip(NEXT) | instid1(VALU_DEP_1)
	v_cvt_f32_u32_e32 v5, v5
	v_ldexp_f32 v2, v5, v2
	s_delay_alu instid0(VALU_DEP_1) | instskip(NEXT) | instid1(VALU_DEP_1)
	v_bfe_u32 v5, v2, 16, 1
	v_add3_u32 v2, v2, v5, 0x7fff
	s_delay_alu instid0(VALU_DEP_1)
	v_lshrrev_b32_e32 v2, 16, v2
	s_branch .LBB166_2589
.LBB166_2588:
	s_mov_b32 s2, -1
                                        ; implicit-def: $vgpr2
.LBB166_2589:
	v_mov_b32_e32 v5, 0
.LBB166_2590:
	s_mov_b32 s7, 0
.LBB166_2591:
	s_delay_alu instid0(SALU_CYCLE_1)
	s_and_b32 vcc_lo, exec_lo, s7
	s_cbranch_vccz .LBB166_2609
; %bb.2592:
	s_cmp_lt_i32 s0, 27
	s_cbranch_scc1 .LBB166_2595
; %bb.2593:
	s_cmp_gt_i32 s0, 27
	s_cbranch_scc0 .LBB166_2596
; %bb.2594:
	global_load_b32 v2, v[0:1], off
	s_mov_b32 s6, 0
	s_wait_loadcnt 0x0
	v_cvt_f32_u32_e32 v2, v2
	s_delay_alu instid0(VALU_DEP_1) | instskip(NEXT) | instid1(VALU_DEP_1)
	v_bfe_u32 v5, v2, 16, 1
	v_add3_u32 v2, v2, v5, 0x7fff
	s_delay_alu instid0(VALU_DEP_1)
	v_lshrrev_b32_e32 v2, 16, v2
	s_branch .LBB166_2597
.LBB166_2595:
	s_mov_b32 s6, -1
                                        ; implicit-def: $vgpr2
	s_branch .LBB166_2600
.LBB166_2596:
	s_mov_b32 s6, -1
                                        ; implicit-def: $vgpr2
.LBB166_2597:
	s_delay_alu instid0(SALU_CYCLE_1)
	s_and_not1_b32 vcc_lo, exec_lo, s6
	s_cbranch_vccnz .LBB166_2599
; %bb.2598:
	global_load_u16 v2, v[0:1], off
	s_wait_loadcnt 0x0
	v_cvt_f32_u32_e32 v2, v2
	s_delay_alu instid0(VALU_DEP_1) | instskip(NEXT) | instid1(VALU_DEP_1)
	v_bfe_u32 v5, v2, 16, 1
	v_add3_u32 v2, v2, v5, 0x7fff
	s_delay_alu instid0(VALU_DEP_1)
	v_lshrrev_b32_e32 v2, 16, v2
.LBB166_2599:
	s_mov_b32 s6, 0
.LBB166_2600:
	s_delay_alu instid0(SALU_CYCLE_1)
	s_and_not1_b32 vcc_lo, exec_lo, s6
	s_cbranch_vccnz .LBB166_2608
; %bb.2601:
	global_load_u8 v2, v[0:1], off
	s_mov_b32 s6, 0
	s_mov_b32 s7, exec_lo
	s_wait_loadcnt 0x0
	v_cmpx_lt_i16_e32 0x7f, v2
	s_xor_b32 s7, exec_lo, s7
	s_cbranch_execz .LBB166_2634
; %bb.2602:
	s_mov_b32 s6, -1
	s_mov_b32 s14, exec_lo
	v_cmpx_eq_u16_e32 0x80, v2
; %bb.2603:
	s_xor_b32 s6, exec_lo, -1
; %bb.2604:
	s_or_b32 exec_lo, exec_lo, s14
	s_delay_alu instid0(SALU_CYCLE_1)
	s_and_b32 s6, s6, exec_lo
	s_or_saveexec_b32 s7, s7
	v_mov_b32_e32 v5, 0x7f800001
	s_xor_b32 exec_lo, exec_lo, s7
	s_cbranch_execnz .LBB166_2635
.LBB166_2605:
	s_or_b32 exec_lo, exec_lo, s7
	s_and_saveexec_b32 s7, s6
	s_cbranch_execz .LBB166_2607
.LBB166_2606:
	v_and_b32_e32 v5, 0xffff, v2
	s_delay_alu instid0(VALU_DEP_1) | instskip(SKIP_1) | instid1(VALU_DEP_2)
	v_and_b32_e32 v7, 7, v5
	v_bfe_u32 v10, v5, 3, 4
	v_clz_i32_u32_e32 v8, v7
	s_delay_alu instid0(VALU_DEP_2) | instskip(NEXT) | instid1(VALU_DEP_2)
	v_cmp_eq_u32_e32 vcc_lo, 0, v10
	v_min_u32_e32 v8, 32, v8
	s_delay_alu instid0(VALU_DEP_1) | instskip(NEXT) | instid1(VALU_DEP_1)
	v_subrev_nc_u32_e32 v9, 28, v8
	v_dual_lshlrev_b32 v5, v9, v5 :: v_dual_sub_nc_u32 v8, 29, v8
	s_delay_alu instid0(VALU_DEP_1) | instskip(NEXT) | instid1(VALU_DEP_1)
	v_dual_lshlrev_b32 v2, 24, v2 :: v_dual_bitop2_b32 v5, 7, v5 bitop3:0x40
	v_dual_cndmask_b32 v8, v10, v8 :: v_dual_cndmask_b32 v5, v7, v5
	s_delay_alu instid0(VALU_DEP_2) | instskip(NEXT) | instid1(VALU_DEP_2)
	v_and_b32_e32 v2, 0x80000000, v2
	v_lshl_add_u32 v7, v8, 23, 0x3b800000
	s_delay_alu instid0(VALU_DEP_3) | instskip(NEXT) | instid1(VALU_DEP_1)
	v_lshlrev_b32_e32 v5, 20, v5
	v_or3_b32 v5, v2, v7, v5
.LBB166_2607:
	s_or_b32 exec_lo, exec_lo, s7
	s_delay_alu instid0(VALU_DEP_1) | instskip(SKIP_1) | instid1(VALU_DEP_2)
	v_bfe_u32 v2, v5, 16, 1
	v_cmp_o_f32_e32 vcc_lo, v5, v5
	v_add3_u32 v2, v5, v2, 0x7fff
	s_delay_alu instid0(VALU_DEP_1) | instskip(NEXT) | instid1(VALU_DEP_1)
	v_lshrrev_b32_e32 v2, 16, v2
	v_cndmask_b32_e32 v2, 0x7fc0, v2, vcc_lo
.LBB166_2608:
	v_mov_b32_e32 v5, 0
	s_mov_b32 s6, -1
.LBB166_2609:
	s_mov_b32 s7, 0
.LBB166_2610:
	s_delay_alu instid0(SALU_CYCLE_1)
	s_and_b32 vcc_lo, exec_lo, s7
	s_cbranch_vccz .LBB166_2621
; %bb.2611:
	s_cmp_gt_i32 s0, 22
	s_cbranch_scc0 .LBB166_2632
; %bb.2612:
	s_cmp_lt_i32 s0, 24
	s_cbranch_scc1 .LBB166_2636
; %bb.2613:
	s_cmp_gt_i32 s0, 24
	s_cbranch_scc0 .LBB166_2638
; %bb.2614:
	global_load_u8 v2, v[0:1], off
	s_mov_b32 s6, exec_lo
	s_wait_loadcnt 0x0
	v_cmpx_lt_i16_e32 0x7f, v2
	s_xor_b32 s6, exec_lo, s6
	s_cbranch_execz .LBB166_2650
; %bb.2615:
	s_mov_b32 s3, -1
	s_mov_b32 s7, exec_lo
	v_cmpx_eq_u16_e32 0x80, v2
; %bb.2616:
	s_xor_b32 s3, exec_lo, -1
; %bb.2617:
	s_or_b32 exec_lo, exec_lo, s7
	s_delay_alu instid0(SALU_CYCLE_1)
	s_and_b32 s3, s3, exec_lo
	s_or_saveexec_b32 s6, s6
	v_mov_b32_e32 v5, 0x7f800001
	s_xor_b32 exec_lo, exec_lo, s6
	s_cbranch_execnz .LBB166_2651
.LBB166_2618:
	s_or_b32 exec_lo, exec_lo, s6
	s_and_saveexec_b32 s6, s3
	s_cbranch_execz .LBB166_2620
.LBB166_2619:
	v_and_b32_e32 v5, 0xffff, v2
	s_delay_alu instid0(VALU_DEP_1) | instskip(SKIP_1) | instid1(VALU_DEP_2)
	v_and_b32_e32 v7, 3, v5
	v_bfe_u32 v10, v5, 2, 5
	v_clz_i32_u32_e32 v8, v7
	s_delay_alu instid0(VALU_DEP_2) | instskip(NEXT) | instid1(VALU_DEP_2)
	v_cmp_eq_u32_e32 vcc_lo, 0, v10
	v_min_u32_e32 v8, 32, v8
	s_delay_alu instid0(VALU_DEP_1) | instskip(NEXT) | instid1(VALU_DEP_1)
	v_subrev_nc_u32_e32 v9, 29, v8
	v_dual_lshlrev_b32 v5, v9, v5 :: v_dual_sub_nc_u32 v8, 30, v8
	s_delay_alu instid0(VALU_DEP_1) | instskip(NEXT) | instid1(VALU_DEP_1)
	v_dual_lshlrev_b32 v2, 24, v2 :: v_dual_bitop2_b32 v5, 3, v5 bitop3:0x40
	v_dual_cndmask_b32 v8, v10, v8 :: v_dual_cndmask_b32 v5, v7, v5
	s_delay_alu instid0(VALU_DEP_2) | instskip(NEXT) | instid1(VALU_DEP_2)
	v_and_b32_e32 v2, 0x80000000, v2
	v_lshl_add_u32 v7, v8, 23, 0x37800000
	s_delay_alu instid0(VALU_DEP_3) | instskip(NEXT) | instid1(VALU_DEP_1)
	v_lshlrev_b32_e32 v5, 21, v5
	v_or3_b32 v5, v2, v7, v5
.LBB166_2620:
	s_or_b32 exec_lo, exec_lo, s6
	s_delay_alu instid0(VALU_DEP_1) | instskip(SKIP_2) | instid1(VALU_DEP_2)
	v_bfe_u32 v2, v5, 16, 1
	v_cmp_o_f32_e32 vcc_lo, v5, v5
	s_mov_b32 s3, 0
	v_add3_u32 v2, v5, v2, 0x7fff
	s_delay_alu instid0(VALU_DEP_1) | instskip(NEXT) | instid1(VALU_DEP_1)
	v_lshrrev_b32_e32 v2, 16, v2
	v_cndmask_b32_e32 v2, 0x7fc0, v2, vcc_lo
	s_branch .LBB166_2639
.LBB166_2621:
	s_and_b32 vcc_lo, exec_lo, s2
	s_cbranch_vccnz .LBB166_2669
.LBB166_2622:
	s_and_not1_b32 vcc_lo, exec_lo, s3
	s_cbranch_vccnz .LBB166_2624
.LBB166_2623:
	s_wait_loadcnt 0x0
	global_load_u8 v2, v[0:1], off
	s_mov_b32 s6, -1
	v_mov_b32_e32 v5, 0
	s_wait_loadcnt 0x0
	v_cmp_ne_u16_e32 vcc_lo, 0, v2
	v_cndmask_b32_e64 v2, 0, 1.0, vcc_lo
	s_delay_alu instid0(VALU_DEP_1)
	v_lshrrev_b32_e32 v2, 16, v2
.LBB166_2624:
	s_mov_b32 s0, 0
.LBB166_2625:
	s_delay_alu instid0(SALU_CYCLE_1)
	s_and_b32 vcc_lo, exec_lo, s0
	s_cbranch_vccz .LBB166_2700
; %bb.2626:
	s_and_b32 s0, 0xffff, s17
	s_delay_alu instid0(SALU_CYCLE_1)
	s_cmp_lt_i32 s0, 5
	s_cbranch_scc1 .LBB166_2631
; %bb.2627:
	s_cmp_lt_i32 s0, 8
	s_cbranch_scc1 .LBB166_2633
; %bb.2628:
	;; [unrolled: 3-line block ×3, first 2 shown]
	s_cmp_gt_i32 s0, 9
	s_cbranch_scc0 .LBB166_2652
; %bb.2630:
	global_load_b128 v[8:11], v[0:1], off
	s_mov_b32 s2, 0
	s_wait_loadcnt 0x0
	v_cvt_f32_f64_e32 v2, v[8:9]
	v_cvt_f32_f64_e32 v5, v[10:11]
	s_delay_alu instid0(VALU_DEP_2) | instskip(NEXT) | instid1(VALU_DEP_2)
	v_bfe_u32 v7, v2, 16, 1
	v_bfe_u32 v8, v5, 16, 1
	v_cmp_o_f32_e32 vcc_lo, v2, v2
	s_delay_alu instid0(VALU_DEP_3) | instskip(NEXT) | instid1(VALU_DEP_3)
	v_add3_u32 v7, v2, v7, 0x7fff
	v_add3_u32 v8, v5, v8, 0x7fff
	s_delay_alu instid0(VALU_DEP_2) | instskip(NEXT) | instid1(VALU_DEP_2)
	v_lshrrev_b32_e32 v7, 16, v7
	v_and_b32_e32 v8, 0xffff0000, v8
	s_delay_alu instid0(VALU_DEP_2) | instskip(SKIP_1) | instid1(VALU_DEP_3)
	v_cndmask_b32_e32 v2, 0x7fc0, v7, vcc_lo
	v_cmp_o_f32_e32 vcc_lo, v5, v5
	v_cndmask_b32_e32 v5, 0x7fc00000, v8, vcc_lo
	s_branch .LBB166_2653
.LBB166_2631:
	s_mov_b32 s2, -1
                                        ; implicit-def: $vgpr5
                                        ; implicit-def: $vgpr2
	s_branch .LBB166_2678
.LBB166_2632:
	s_mov_b32 s3, -1
                                        ; implicit-def: $vgpr2
	s_branch .LBB166_2645
.LBB166_2633:
	s_mov_b32 s2, -1
                                        ; implicit-def: $vgpr5
                                        ; implicit-def: $vgpr2
	s_branch .LBB166_2659
.LBB166_2634:
	s_or_saveexec_b32 s7, s7
	v_mov_b32_e32 v5, 0x7f800001
	s_xor_b32 exec_lo, exec_lo, s7
	s_cbranch_execz .LBB166_2605
.LBB166_2635:
	v_cmp_ne_u16_e32 vcc_lo, 0, v2
	v_mov_b32_e32 v5, 0
	s_and_not1_b32 s6, s6, exec_lo
	s_and_b32 s14, vcc_lo, exec_lo
	s_delay_alu instid0(SALU_CYCLE_1)
	s_or_b32 s6, s6, s14
	s_or_b32 exec_lo, exec_lo, s7
	s_and_saveexec_b32 s7, s6
	s_cbranch_execnz .LBB166_2606
	s_branch .LBB166_2607
.LBB166_2636:
	s_mov_b32 s3, -1
                                        ; implicit-def: $vgpr2
	s_branch .LBB166_2642
.LBB166_2637:
	s_mov_b32 s2, -1
                                        ; implicit-def: $vgpr5
                                        ; implicit-def: $vgpr2
	s_branch .LBB166_2656
.LBB166_2638:
	s_mov_b32 s3, -1
                                        ; implicit-def: $vgpr2
.LBB166_2639:
	s_delay_alu instid0(SALU_CYCLE_1)
	s_and_b32 vcc_lo, exec_lo, s3
	s_cbranch_vccz .LBB166_2641
; %bb.2640:
	global_load_u8 v2, v[0:1], off
	s_wait_loadcnt 0x0
	v_lshlrev_b32_e32 v2, 24, v2
	s_delay_alu instid0(VALU_DEP_1) | instskip(NEXT) | instid1(VALU_DEP_1)
	v_and_b32_e32 v5, 0x7f000000, v2
	v_clz_i32_u32_e32 v7, v5
	v_add_nc_u32_e32 v9, 0x1000000, v5
	v_cmp_ne_u32_e32 vcc_lo, 0, v5
	s_delay_alu instid0(VALU_DEP_3) | instskip(NEXT) | instid1(VALU_DEP_1)
	v_min_u32_e32 v7, 32, v7
	v_sub_nc_u32_e64 v7, v7, 4 clamp
	s_delay_alu instid0(VALU_DEP_1) | instskip(NEXT) | instid1(VALU_DEP_1)
	v_dual_lshlrev_b32 v8, v7, v5 :: v_dual_lshlrev_b32 v7, 23, v7
	v_lshrrev_b32_e32 v8, 4, v8
	s_delay_alu instid0(VALU_DEP_1) | instskip(NEXT) | instid1(VALU_DEP_1)
	v_dual_sub_nc_u32 v7, v8, v7 :: v_dual_ashrrev_i32 v8, 8, v9
	v_add_nc_u32_e32 v7, 0x3c000000, v7
	s_delay_alu instid0(VALU_DEP_1) | instskip(NEXT) | instid1(VALU_DEP_1)
	v_and_or_b32 v7, 0x7f800000, v8, v7
	v_cndmask_b32_e32 v5, 0, v7, vcc_lo
	s_delay_alu instid0(VALU_DEP_1) | instskip(SKIP_1) | instid1(VALU_DEP_2)
	v_and_or_b32 v2, 0x80000000, v2, v5
	v_bfe_u32 v5, v5, 16, 1
	v_cmp_o_f32_e32 vcc_lo, v2, v2
	s_delay_alu instid0(VALU_DEP_2) | instskip(NEXT) | instid1(VALU_DEP_1)
	v_add3_u32 v5, v2, v5, 0x7fff
	v_lshrrev_b32_e32 v5, 16, v5
	s_delay_alu instid0(VALU_DEP_1)
	v_cndmask_b32_e32 v2, 0x7fc0, v5, vcc_lo
.LBB166_2641:
	s_mov_b32 s3, 0
.LBB166_2642:
	s_delay_alu instid0(SALU_CYCLE_1)
	s_and_not1_b32 vcc_lo, exec_lo, s3
	s_cbranch_vccnz .LBB166_2644
; %bb.2643:
	global_load_u8 v2, v[0:1], off
	s_wait_loadcnt 0x0
	v_lshlrev_b32_e32 v5, 25, v2
	v_lshlrev_b16 v2, 8, v2
	s_delay_alu instid0(VALU_DEP_1) | instskip(SKIP_1) | instid1(VALU_DEP_2)
	v_and_or_b32 v8, 0x7f00, v2, 0.5
	v_bfe_i32 v2, v2, 0, 16
	v_dual_add_f32 v8, -0.5, v8 :: v_dual_lshrrev_b32 v7, 4, v5
	v_cmp_gt_u32_e32 vcc_lo, 0x8000000, v5
	s_delay_alu instid0(VALU_DEP_2) | instskip(NEXT) | instid1(VALU_DEP_1)
	v_or_b32_e32 v7, 0x70000000, v7
	v_mul_f32_e32 v7, 0x7800000, v7
	s_delay_alu instid0(VALU_DEP_1) | instskip(NEXT) | instid1(VALU_DEP_1)
	v_cndmask_b32_e32 v5, v7, v8, vcc_lo
	v_and_or_b32 v2, 0x80000000, v2, v5
	v_bfe_u32 v5, v5, 16, 1
	s_delay_alu instid0(VALU_DEP_2) | instskip(NEXT) | instid1(VALU_DEP_2)
	v_cmp_o_f32_e32 vcc_lo, v2, v2
	v_add3_u32 v5, v2, v5, 0x7fff
	s_delay_alu instid0(VALU_DEP_1) | instskip(NEXT) | instid1(VALU_DEP_1)
	v_lshrrev_b32_e32 v5, 16, v5
	v_cndmask_b32_e32 v2, 0x7fc0, v5, vcc_lo
.LBB166_2644:
	s_mov_b32 s3, 0
	s_mov_b32 s6, -1
.LBB166_2645:
	s_and_not1_b32 vcc_lo, exec_lo, s3
	s_mov_b32 s3, 0
	s_cbranch_vccnz .LBB166_2668
; %bb.2646:
	s_cmp_gt_i32 s0, 14
	s_cbranch_scc0 .LBB166_2649
; %bb.2647:
	s_cmp_eq_u32 s0, 15
	s_cbranch_scc0 .LBB166_2664
; %bb.2648:
	global_load_u16 v2, v[0:1], off
	s_mov_b32 s2, 0
	s_mov_b32 s6, -1
	s_branch .LBB166_2666
.LBB166_2649:
	s_mov_b32 s3, -1
	s_branch .LBB166_2665
.LBB166_2650:
	s_or_saveexec_b32 s6, s6
	v_mov_b32_e32 v5, 0x7f800001
	s_xor_b32 exec_lo, exec_lo, s6
	s_cbranch_execz .LBB166_2618
.LBB166_2651:
	v_cmp_ne_u16_e32 vcc_lo, 0, v2
	v_mov_b32_e32 v5, 0
	s_and_not1_b32 s3, s3, exec_lo
	s_and_b32 s7, vcc_lo, exec_lo
	s_delay_alu instid0(SALU_CYCLE_1)
	s_or_b32 s3, s3, s7
	s_or_b32 exec_lo, exec_lo, s6
	s_and_saveexec_b32 s6, s3
	s_cbranch_execnz .LBB166_2619
	s_branch .LBB166_2620
.LBB166_2652:
	s_mov_b32 s2, -1
                                        ; implicit-def: $vgpr5
                                        ; implicit-def: $vgpr2
.LBB166_2653:
	s_delay_alu instid0(SALU_CYCLE_1)
	s_and_not1_b32 vcc_lo, exec_lo, s2
	s_cbranch_vccnz .LBB166_2655
; %bb.2654:
	global_load_b64 v[8:9], v[0:1], off
	s_wait_loadcnt 0x0
	v_bfe_u32 v2, v8, 16, 1
	v_bfe_u32 v5, v9, 16, 1
	v_cmp_o_f32_e32 vcc_lo, v8, v8
	s_delay_alu instid0(VALU_DEP_3) | instskip(NEXT) | instid1(VALU_DEP_3)
	v_add3_u32 v2, v8, v2, 0x7fff
	v_add3_u32 v5, v9, v5, 0x7fff
	s_delay_alu instid0(VALU_DEP_1) | instskip(NEXT) | instid1(VALU_DEP_3)
	v_and_b32_e32 v5, 0xffff0000, v5
	v_lshrrev_b32_e32 v2, 16, v2
	s_delay_alu instid0(VALU_DEP_1) | instskip(SKIP_1) | instid1(VALU_DEP_4)
	v_cndmask_b32_e32 v2, 0x7fc0, v2, vcc_lo
	v_cmp_o_f32_e32 vcc_lo, v9, v9
	v_cndmask_b32_e32 v5, 0x7fc00000, v5, vcc_lo
.LBB166_2655:
	s_mov_b32 s2, 0
.LBB166_2656:
	s_delay_alu instid0(SALU_CYCLE_1)
	s_and_not1_b32 vcc_lo, exec_lo, s2
	s_cbranch_vccnz .LBB166_2658
; %bb.2657:
	s_wait_loadcnt 0x0
	global_load_b32 v2, v[0:1], off
	s_wait_loadcnt 0x0
	v_cvt_f32_f16_e32 v7, v2
	v_cmp_o_f16_e32 vcc_lo, v2, v2
	s_delay_alu instid0(VALU_DEP_2) | instskip(NEXT) | instid1(VALU_DEP_1)
	v_bfe_u32 v9, v7, 16, 1
	v_add3_u32 v7, v7, v9, 0x7fff
	s_delay_alu instid0(VALU_DEP_1) | instskip(NEXT) | instid1(VALU_DEP_1)
	v_dual_lshrrev_b32 v5, 16, v2 :: v_dual_lshrrev_b32 v7, 16, v7
	v_cvt_f32_f16_e32 v8, v5
	s_delay_alu instid0(VALU_DEP_2) | instskip(NEXT) | instid1(VALU_DEP_2)
	v_cndmask_b32_e32 v2, 0x7fc0, v7, vcc_lo
	v_bfe_u32 v10, v8, 16, 1
	v_cmp_o_f16_e32 vcc_lo, v5, v5
	s_delay_alu instid0(VALU_DEP_2) | instskip(NEXT) | instid1(VALU_DEP_1)
	v_add3_u32 v8, v8, v10, 0x7fff
	v_and_b32_e32 v8, 0xffff0000, v8
	s_delay_alu instid0(VALU_DEP_1)
	v_cndmask_b32_e32 v5, 0x7fc00000, v8, vcc_lo
.LBB166_2658:
	s_mov_b32 s2, 0
.LBB166_2659:
	s_delay_alu instid0(SALU_CYCLE_1)
	s_and_not1_b32 vcc_lo, exec_lo, s2
	s_cbranch_vccnz .LBB166_2677
; %bb.2660:
	s_cmp_lt_i32 s0, 6
	s_cbranch_scc1 .LBB166_2663
; %bb.2661:
	s_cmp_gt_i32 s0, 6
	s_cbranch_scc0 .LBB166_2670
; %bb.2662:
	global_load_b64 v[8:9], v[0:1], off
	s_mov_b32 s2, 0
	s_wait_loadcnt 0x0
	v_cvt_f32_f64_e32 v2, v[8:9]
	s_delay_alu instid0(VALU_DEP_1) | instskip(SKIP_1) | instid1(VALU_DEP_2)
	v_bfe_u32 v5, v2, 16, 1
	v_cmp_o_f32_e32 vcc_lo, v2, v2
	v_add3_u32 v5, v2, v5, 0x7fff
	s_delay_alu instid0(VALU_DEP_1) | instskip(NEXT) | instid1(VALU_DEP_1)
	v_lshrrev_b32_e32 v5, 16, v5
	v_cndmask_b32_e32 v2, 0x7fc0, v5, vcc_lo
	s_branch .LBB166_2671
.LBB166_2663:
	s_mov_b32 s2, -1
                                        ; implicit-def: $vgpr2
	s_branch .LBB166_2674
.LBB166_2664:
	s_mov_b32 s2, -1
.LBB166_2665:
                                        ; implicit-def: $vgpr2
.LBB166_2666:
	s_and_b32 vcc_lo, exec_lo, s3
	s_mov_b32 s3, 0
	s_cbranch_vccz .LBB166_2668
; %bb.2667:
	s_cmp_lg_u32 s0, 11
	s_mov_b32 s3, -1
	s_cselect_b32 s2, -1, 0
.LBB166_2668:
	v_mov_b32_e32 v5, 0
	s_and_b32 vcc_lo, exec_lo, s2
	s_cbranch_vccz .LBB166_2622
.LBB166_2669:
	s_or_b32 s13, s13, exec_lo
	s_trap 2
	s_cbranch_execz .LBB166_2623
	s_branch .LBB166_2624
.LBB166_2670:
	s_mov_b32 s2, -1
                                        ; implicit-def: $vgpr2
.LBB166_2671:
	s_delay_alu instid0(SALU_CYCLE_1)
	s_and_not1_b32 vcc_lo, exec_lo, s2
	s_cbranch_vccnz .LBB166_2673
; %bb.2672:
	s_wait_loadcnt 0x0
	global_load_b32 v2, v[0:1], off
	s_wait_loadcnt 0x0
	v_bfe_u32 v5, v2, 16, 1
	v_cmp_o_f32_e32 vcc_lo, v2, v2
	s_delay_alu instid0(VALU_DEP_2) | instskip(NEXT) | instid1(VALU_DEP_1)
	v_add3_u32 v5, v2, v5, 0x7fff
	v_lshrrev_b32_e32 v5, 16, v5
	s_delay_alu instid0(VALU_DEP_1)
	v_cndmask_b32_e32 v2, 0x7fc0, v5, vcc_lo
.LBB166_2673:
	s_mov_b32 s2, 0
.LBB166_2674:
	s_delay_alu instid0(SALU_CYCLE_1)
	s_and_not1_b32 vcc_lo, exec_lo, s2
	s_cbranch_vccnz .LBB166_2676
; %bb.2675:
	s_wait_loadcnt 0x0
	global_load_u16 v2, v[0:1], off
	s_wait_loadcnt 0x0
	v_cvt_f32_f16_e32 v5, v2
	v_cmp_o_f16_e32 vcc_lo, v2, v2
	s_delay_alu instid0(VALU_DEP_2) | instskip(NEXT) | instid1(VALU_DEP_1)
	v_bfe_u32 v7, v5, 16, 1
	v_add3_u32 v5, v5, v7, 0x7fff
	s_delay_alu instid0(VALU_DEP_1) | instskip(NEXT) | instid1(VALU_DEP_1)
	v_lshrrev_b32_e32 v5, 16, v5
	v_cndmask_b32_e32 v2, 0x7fc0, v5, vcc_lo
.LBB166_2676:
	v_mov_b32_e32 v5, 0
.LBB166_2677:
	s_mov_b32 s2, 0
.LBB166_2678:
	s_delay_alu instid0(SALU_CYCLE_1)
	s_and_not1_b32 vcc_lo, exec_lo, s2
	s_cbranch_vccnz .LBB166_2699
; %bb.2679:
	s_cmp_lt_i32 s0, 2
	s_cbranch_scc1 .LBB166_2683
; %bb.2680:
	s_cmp_lt_i32 s0, 3
	s_cbranch_scc1 .LBB166_2684
; %bb.2681:
	s_cmp_gt_i32 s0, 3
	s_cbranch_scc0 .LBB166_2685
; %bb.2682:
	global_load_b64 v[8:9], v[0:1], off
	s_mov_b32 s2, 0
	s_wait_loadcnt 0x0
	v_xor_b32_e32 v2, v8, v9
	v_cls_i32_e32 v5, v9
	s_delay_alu instid0(VALU_DEP_2) | instskip(NEXT) | instid1(VALU_DEP_1)
	v_ashrrev_i32_e32 v2, 31, v2
	v_add_nc_u32_e32 v2, 32, v2
	s_delay_alu instid0(VALU_DEP_1) | instskip(NEXT) | instid1(VALU_DEP_1)
	v_add_min_u32_e64 v2, v5, -1, v2
	v_lshlrev_b64_e32 v[8:9], v2, v[8:9]
	v_sub_nc_u32_e32 v2, 32, v2
	s_delay_alu instid0(VALU_DEP_2) | instskip(NEXT) | instid1(VALU_DEP_1)
	v_min_u32_e32 v5, 1, v8
	v_or_b32_e32 v5, v9, v5
	s_delay_alu instid0(VALU_DEP_1) | instskip(NEXT) | instid1(VALU_DEP_1)
	v_cvt_f32_i32_e32 v5, v5
	v_ldexp_f32 v2, v5, v2
	s_delay_alu instid0(VALU_DEP_1) | instskip(NEXT) | instid1(VALU_DEP_1)
	v_bfe_u32 v5, v2, 16, 1
	v_add3_u32 v2, v2, v5, 0x7fff
	s_delay_alu instid0(VALU_DEP_1)
	v_lshrrev_b32_e32 v2, 16, v2
	s_branch .LBB166_2686
.LBB166_2683:
	s_mov_b32 s2, -1
                                        ; implicit-def: $vgpr2
	s_branch .LBB166_2692
.LBB166_2684:
	s_mov_b32 s2, -1
                                        ; implicit-def: $vgpr2
	s_branch .LBB166_2689
.LBB166_2685:
	s_mov_b32 s2, -1
                                        ; implicit-def: $vgpr2
.LBB166_2686:
	s_delay_alu instid0(SALU_CYCLE_1)
	s_and_not1_b32 vcc_lo, exec_lo, s2
	s_cbranch_vccnz .LBB166_2688
; %bb.2687:
	s_wait_loadcnt 0x0
	global_load_b32 v2, v[0:1], off
	s_wait_loadcnt 0x0
	v_cvt_f32_i32_e32 v2, v2
	s_delay_alu instid0(VALU_DEP_1) | instskip(NEXT) | instid1(VALU_DEP_1)
	v_bfe_u32 v5, v2, 16, 1
	v_add3_u32 v2, v2, v5, 0x7fff
	s_delay_alu instid0(VALU_DEP_1)
	v_lshrrev_b32_e32 v2, 16, v2
.LBB166_2688:
	s_mov_b32 s2, 0
.LBB166_2689:
	s_delay_alu instid0(SALU_CYCLE_1)
	s_and_not1_b32 vcc_lo, exec_lo, s2
	s_cbranch_vccnz .LBB166_2691
; %bb.2690:
	s_wait_loadcnt 0x0
	global_load_i16 v2, v[0:1], off
	s_wait_loadcnt 0x0
	v_cvt_f32_i32_e32 v2, v2
	s_delay_alu instid0(VALU_DEP_1) | instskip(NEXT) | instid1(VALU_DEP_1)
	v_bfe_u32 v5, v2, 16, 1
	v_add3_u32 v2, v2, v5, 0x7fff
	s_delay_alu instid0(VALU_DEP_1)
	v_lshrrev_b32_e32 v2, 16, v2
.LBB166_2691:
	s_mov_b32 s2, 0
.LBB166_2692:
	s_delay_alu instid0(SALU_CYCLE_1)
	s_and_not1_b32 vcc_lo, exec_lo, s2
	s_cbranch_vccnz .LBB166_2698
; %bb.2693:
	s_cmp_gt_i32 s0, 0
	s_mov_b32 s0, 0
	s_cbranch_scc0 .LBB166_2695
; %bb.2694:
	s_wait_loadcnt 0x0
	global_load_i8 v2, v[0:1], off
	s_wait_loadcnt 0x0
	v_cvt_f32_i32_e32 v2, v2
	s_delay_alu instid0(VALU_DEP_1) | instskip(NEXT) | instid1(VALU_DEP_1)
	v_bfe_u32 v5, v2, 16, 1
	v_add3_u32 v2, v2, v5, 0x7fff
	s_delay_alu instid0(VALU_DEP_1)
	v_lshrrev_b32_e32 v2, 16, v2
	s_branch .LBB166_2696
.LBB166_2695:
	s_mov_b32 s0, -1
                                        ; implicit-def: $vgpr2
.LBB166_2696:
	s_delay_alu instid0(SALU_CYCLE_1)
	s_and_not1_b32 vcc_lo, exec_lo, s0
	s_cbranch_vccnz .LBB166_2698
; %bb.2697:
	global_load_u8 v0, v[0:1], off
	s_wait_loadcnt 0x0
	v_cvt_f32_ubyte0_e32 v0, v0
	s_delay_alu instid0(VALU_DEP_1) | instskip(NEXT) | instid1(VALU_DEP_1)
	v_bfe_u32 v1, v0, 16, 1
	v_add3_u32 v0, v0, v1, 0x7fff
	s_delay_alu instid0(VALU_DEP_1)
	v_lshrrev_b32_e32 v2, 16, v0
.LBB166_2698:
	v_mov_b32_e32 v5, 0
.LBB166_2699:
	s_mov_b32 s6, -1
.LBB166_2700:
	s_delay_alu instid0(SALU_CYCLE_1)
	s_and_not1_b32 vcc_lo, exec_lo, s6
	s_cbranch_vccnz .LBB166_2703
; %bb.2701:
	s_wait_loadcnt 0x0
	v_and_b32_e32 v0, 0xffff, v2
	v_and_b32_e32 v1, 0xffff, v3
	s_and_b32 vcc_lo, exec_lo, s11
	s_delay_alu instid0(VALU_DEP_2) | instskip(NEXT) | instid1(VALU_DEP_2)
	v_or_b32_e32 v2, v5, v0
	v_or_b32_e32 v3, v4, v1
	v_and_b32_e32 v0, 0xffff0000, v5
	s_delay_alu instid0(VALU_DEP_2)
	v_dual_lshlrev_b32 v1, 16, v2 :: v_dual_lshlrev_b32 v2, 16, v3
	v_and_b32_e32 v3, 0xffff0000, v4
	s_cbranch_vccz .LBB166_2749
; %bb.2702:
	s_delay_alu instid0(VALU_DEP_2) | instskip(NEXT) | instid1(VALU_DEP_2)
	v_cmp_neq_f32_e32 vcc_lo, v2, v1
	v_cmp_neq_f32_e64 s0, v3, v0
	s_or_b32 s17, vcc_lo, s0
	s_mov_b32 s0, 0
	s_branch .LBB166_2750
.LBB166_2703:
	s_mov_b32 s0, 0
	s_mov_b32 s2, 0
                                        ; implicit-def: $sgpr17
.LBB166_2704:
                                        ; implicit-def: $sgpr18
                                        ; implicit-def: $vgpr0_vgpr1
.LBB166_2705:
	s_and_not1_b32 s1, s16, exec_lo
	s_and_b32 s3, s13, exec_lo
	s_and_b32 s0, s0, exec_lo
	;; [unrolled: 1-line block ×3, first 2 shown]
	s_or_b32 s16, s1, s3
.LBB166_2706:
	s_wait_xcnt 0x0
	s_or_b32 exec_lo, exec_lo, s15
	s_and_saveexec_b32 s1, s16
	s_cbranch_execz .LBB166_2709
; %bb.2707:
	; divergent unreachable
	s_or_b32 exec_lo, exec_lo, s1
	s_and_saveexec_b32 s1, s13
	s_delay_alu instid0(SALU_CYCLE_1)
	s_xor_b32 s1, exec_lo, s1
	s_cbranch_execnz .LBB166_2710
.LBB166_2708:
	s_or_b32 exec_lo, exec_lo, s1
	s_and_saveexec_b32 s1, s0
	s_cbranch_execnz .LBB166_2711
	s_branch .LBB166_2748
.LBB166_2709:
	s_or_b32 exec_lo, exec_lo, s1
	s_and_saveexec_b32 s1, s13
	s_delay_alu instid0(SALU_CYCLE_1)
	s_xor_b32 s1, exec_lo, s1
	s_cbranch_execz .LBB166_2708
.LBB166_2710:
	s_wait_loadcnt 0x0
	v_cndmask_b32_e64 v2, 0, 1, s17
	global_store_b8 v[0:1], v2, off
	s_wait_xcnt 0x0
	s_or_b32 exec_lo, exec_lo, s1
	s_and_saveexec_b32 s1, s0
	s_cbranch_execz .LBB166_2748
.LBB166_2711:
	s_sext_i32_i16 s1, s18
	s_mov_b32 s0, -1
	s_cmp_lt_i32 s1, 5
	s_cbranch_scc1 .LBB166_2732
; %bb.2712:
	s_cmp_lt_i32 s1, 8
	s_cbranch_scc1 .LBB166_2722
; %bb.2713:
	;; [unrolled: 3-line block ×3, first 2 shown]
	s_cmp_gt_i32 s1, 9
	s_cbranch_scc0 .LBB166_2716
; %bb.2715:
	s_wait_loadcnt 0x0
	v_cndmask_b32_e64 v2, 0, 1, s17
	v_mov_b32_e32 v4, 0
	s_mov_b32 s0, 0
	s_delay_alu instid0(VALU_DEP_2) | instskip(NEXT) | instid1(VALU_DEP_2)
	v_cvt_f64_u32_e32 v[2:3], v2
	v_mov_b32_e32 v5, v4
	global_store_b128 v[0:1], v[2:5], off
.LBB166_2716:
	s_and_not1_b32 vcc_lo, exec_lo, s0
	s_cbranch_vccnz .LBB166_2718
; %bb.2717:
	s_wait_loadcnt 0x0
	v_cndmask_b32_e64 v2, 0, 1.0, s17
	v_mov_b32_e32 v3, 0
	global_store_b64 v[0:1], v[2:3], off
.LBB166_2718:
	s_mov_b32 s0, 0
.LBB166_2719:
	s_delay_alu instid0(SALU_CYCLE_1)
	s_and_not1_b32 vcc_lo, exec_lo, s0
	s_cbranch_vccnz .LBB166_2721
; %bb.2720:
	s_wait_loadcnt 0x0
	v_cndmask_b32_e64 v2, 0, 1.0, s17
	s_delay_alu instid0(VALU_DEP_1) | instskip(NEXT) | instid1(VALU_DEP_1)
	v_cvt_f16_f32_e32 v2, v2
	v_and_b32_e32 v2, 0xffff, v2
	global_store_b32 v[0:1], v2, off
.LBB166_2721:
	s_mov_b32 s0, 0
.LBB166_2722:
	s_delay_alu instid0(SALU_CYCLE_1)
	s_and_not1_b32 vcc_lo, exec_lo, s0
	s_cbranch_vccnz .LBB166_2731
; %bb.2723:
	s_sext_i32_i16 s1, s18
	s_mov_b32 s0, -1
	s_cmp_lt_i32 s1, 6
	s_cbranch_scc1 .LBB166_2729
; %bb.2724:
	s_cmp_gt_i32 s1, 6
	s_cbranch_scc0 .LBB166_2726
; %bb.2725:
	s_wait_loadcnt 0x0
	v_cndmask_b32_e64 v2, 0, 1, s17
	s_mov_b32 s0, 0
	s_delay_alu instid0(VALU_DEP_1)
	v_cvt_f64_u32_e32 v[2:3], v2
	global_store_b64 v[0:1], v[2:3], off
.LBB166_2726:
	s_and_not1_b32 vcc_lo, exec_lo, s0
	s_cbranch_vccnz .LBB166_2728
; %bb.2727:
	s_wait_loadcnt 0x0
	v_cndmask_b32_e64 v2, 0, 1.0, s17
	global_store_b32 v[0:1], v2, off
.LBB166_2728:
	s_mov_b32 s0, 0
.LBB166_2729:
	s_delay_alu instid0(SALU_CYCLE_1)
	s_and_not1_b32 vcc_lo, exec_lo, s0
	s_cbranch_vccnz .LBB166_2731
; %bb.2730:
	s_wait_loadcnt 0x0
	v_cndmask_b32_e64 v2, 0, 1.0, s17
	s_delay_alu instid0(VALU_DEP_1)
	v_cvt_f16_f32_e32 v2, v2
	global_store_b16 v[0:1], v2, off
.LBB166_2731:
	s_mov_b32 s0, 0
.LBB166_2732:
	s_delay_alu instid0(SALU_CYCLE_1)
	s_and_not1_b32 vcc_lo, exec_lo, s0
	s_cbranch_vccnz .LBB166_2748
; %bb.2733:
	s_sext_i32_i16 s1, s18
	s_mov_b32 s0, -1
	s_cmp_lt_i32 s1, 2
	s_cbranch_scc1 .LBB166_2743
; %bb.2734:
	s_cmp_lt_i32 s1, 3
	s_cbranch_scc1 .LBB166_2740
; %bb.2735:
	s_cmp_gt_i32 s1, 3
	s_cbranch_scc0 .LBB166_2737
; %bb.2736:
	s_mov_b32 s0, 0
	s_wait_loadcnt 0x0
	v_cndmask_b32_e64 v2, 0, 1, s17
	v_mov_b32_e32 v3, s0
	global_store_b64 v[0:1], v[2:3], off
.LBB166_2737:
	s_and_not1_b32 vcc_lo, exec_lo, s0
	s_cbranch_vccnz .LBB166_2739
; %bb.2738:
	s_wait_loadcnt 0x0
	v_cndmask_b32_e64 v2, 0, 1, s17
	global_store_b32 v[0:1], v2, off
.LBB166_2739:
	s_mov_b32 s0, 0
.LBB166_2740:
	s_delay_alu instid0(SALU_CYCLE_1)
	s_and_not1_b32 vcc_lo, exec_lo, s0
	s_cbranch_vccnz .LBB166_2742
; %bb.2741:
	s_wait_loadcnt 0x0
	v_cndmask_b32_e64 v2, 0, 1, s17
	global_store_b16 v[0:1], v2, off
.LBB166_2742:
	s_mov_b32 s0, 0
.LBB166_2743:
	s_delay_alu instid0(SALU_CYCLE_1)
	s_and_not1_b32 vcc_lo, exec_lo, s0
	s_cbranch_vccnz .LBB166_2748
; %bb.2744:
	s_wait_loadcnt 0x0
	v_cndmask_b32_e64 v2, 0, 1, s17
	s_sext_i32_i16 s0, s18
	s_delay_alu instid0(SALU_CYCLE_1)
	s_cmp_gt_i32 s0, 0
	s_mov_b32 s0, -1
	s_cbranch_scc0 .LBB166_2746
; %bb.2745:
	s_mov_b32 s0, 0
	global_store_b8 v[0:1], v2, off
.LBB166_2746:
	s_and_not1_b32 vcc_lo, exec_lo, s0
	s_cbranch_vccnz .LBB166_2748
; %bb.2747:
	global_store_b8 v[0:1], v2, off
	s_endpgm
.LBB166_2748:
	s_endpgm
.LBB166_2749:
	s_mov_b32 s0, -1
                                        ; implicit-def: $sgpr17
.LBB166_2750:
	s_delay_alu instid0(SALU_CYCLE_1)
	s_and_not1_b32 vcc_lo, exec_lo, s0
	s_cbranch_vccnz .LBB166_2752
; %bb.2751:
	v_cmp_eq_f32_e32 vcc_lo, v2, v1
	v_cmp_eq_f32_e64 s0, v3, v0
	s_and_not1_b32 s2, s17, exec_lo
	s_and_b32 s0, vcc_lo, s0
	s_delay_alu instid0(SALU_CYCLE_1) | instskip(NEXT) | instid1(SALU_CYCLE_1)
	s_and_b32 s0, s0, exec_lo
	s_or_b32 s17, s2, s0
.LBB166_2752:
	v_mul_lo_u32 v0, s8, v6
	s_and_b32 s18, s12, 0xff
	s_delay_alu instid0(SALU_CYCLE_1) | instskip(NEXT) | instid1(VALU_DEP_1)
	s_cmp_lt_i32 s18, 11
	v_ashrrev_i32_e32 v1, 31, v0
	s_delay_alu instid0(VALU_DEP_1)
	v_add_nc_u64_e32 v[2:3], s[4:5], v[0:1]
	s_cbranch_scc1 .LBB166_2830
; %bb.2753:
	s_and_b32 s2, 0xffff, s18
	s_mov_b32 s7, -1
	s_mov_b32 s3, 0
	s_cmp_gt_i32 s2, 25
	s_mov_b32 s6, 0
	s_mov_b32 s0, 0
	s_cbranch_scc0 .LBB166_2786
; %bb.2754:
	s_cmp_gt_i32 s2, 28
	s_cbranch_scc0 .LBB166_2769
; %bb.2755:
	s_cmp_gt_i32 s2, 43
	;; [unrolled: 3-line block ×3, first 2 shown]
	s_cbranch_scc0 .LBB166_2759
; %bb.2757:
	s_mov_b32 s0, -1
	s_mov_b32 s7, 0
	s_cmp_eq_u32 s2, 46
	s_cbranch_scc0 .LBB166_2759
; %bb.2758:
	v_cndmask_b32_e64 v1, 0, 1.0, s1
	s_mov_b32 s0, 0
	s_mov_b32 s6, -1
	s_delay_alu instid0(VALU_DEP_1) | instskip(NEXT) | instid1(VALU_DEP_1)
	v_bfe_u32 v4, v1, 16, 1
	v_add3_u32 v1, v1, v4, 0x7fff
	s_delay_alu instid0(VALU_DEP_1)
	v_lshrrev_b32_e32 v1, 16, v1
	global_store_b32 v[2:3], v1, off
.LBB166_2759:
	s_and_b32 vcc_lo, exec_lo, s7
	s_cbranch_vccz .LBB166_2764
; %bb.2760:
	s_cmp_eq_u32 s2, 44
	s_mov_b32 s0, -1
	s_cbranch_scc0 .LBB166_2764
; %bb.2761:
	v_cndmask_b32_e64 v5, 0, 1.0, s1
	s_mov_b32 s6, exec_lo
	s_wait_xcnt 0x0
	s_delay_alu instid0(VALU_DEP_1) | instskip(NEXT) | instid1(VALU_DEP_1)
	v_dual_mov_b32 v4, 0xff :: v_dual_lshrrev_b32 v1, 23, v5
	v_cmpx_ne_u32_e32 0xff, v1
; %bb.2762:
	v_and_b32_e32 v4, 0x400000, v5
	v_and_or_b32 v5, 0x3fffff, v5, v1
	s_delay_alu instid0(VALU_DEP_2) | instskip(NEXT) | instid1(VALU_DEP_2)
	v_cmp_ne_u32_e32 vcc_lo, 0, v4
	v_cmp_ne_u32_e64 s0, 0, v5
	s_and_b32 s0, vcc_lo, s0
	s_delay_alu instid0(SALU_CYCLE_1) | instskip(NEXT) | instid1(VALU_DEP_1)
	v_cndmask_b32_e64 v4, 0, 1, s0
	v_add_nc_u32_e32 v4, v1, v4
; %bb.2763:
	s_or_b32 exec_lo, exec_lo, s6
	s_mov_b32 s0, 0
	s_mov_b32 s6, -1
	global_store_b8 v[2:3], v4, off
.LBB166_2764:
	s_mov_b32 s7, 0
.LBB166_2765:
	s_delay_alu instid0(SALU_CYCLE_1)
	s_and_b32 vcc_lo, exec_lo, s7
	s_cbranch_vccz .LBB166_2768
; %bb.2766:
	s_cmp_eq_u32 s2, 29
	s_mov_b32 s0, -1
	s_cbranch_scc0 .LBB166_2768
; %bb.2767:
	s_mov_b32 s0, 0
	s_wait_xcnt 0x0
	v_cndmask_b32_e64 v4, 0, 1, s1
	v_mov_b32_e32 v5, s0
	s_mov_b32 s6, -1
	global_store_b64 v[2:3], v[4:5], off
.LBB166_2768:
	s_mov_b32 s7, 0
.LBB166_2769:
	s_delay_alu instid0(SALU_CYCLE_1)
	s_and_b32 vcc_lo, exec_lo, s7
	s_cbranch_vccz .LBB166_2785
; %bb.2770:
	s_cmp_lt_i32 s2, 27
	s_mov_b32 s6, -1
	s_cbranch_scc1 .LBB166_2776
; %bb.2771:
	s_cmp_gt_i32 s2, 27
	s_cbranch_scc0 .LBB166_2773
; %bb.2772:
	s_wait_xcnt 0x0
	v_cndmask_b32_e64 v1, 0, 1, s1
	s_mov_b32 s6, 0
	global_store_b32 v[2:3], v1, off
.LBB166_2773:
	s_and_not1_b32 vcc_lo, exec_lo, s6
	s_cbranch_vccnz .LBB166_2775
; %bb.2774:
	s_wait_xcnt 0x0
	v_cndmask_b32_e64 v1, 0, 1, s1
	global_store_b16 v[2:3], v1, off
.LBB166_2775:
	s_mov_b32 s6, 0
.LBB166_2776:
	s_delay_alu instid0(SALU_CYCLE_1)
	s_and_not1_b32 vcc_lo, exec_lo, s6
	s_cbranch_vccnz .LBB166_2784
; %bb.2777:
	s_wait_xcnt 0x0
	v_cndmask_b32_e64 v4, 0, 1.0, s1
	v_mov_b32_e32 v5, 0x80
	s_mov_b32 s6, exec_lo
	s_delay_alu instid0(VALU_DEP_2)
	v_cmpx_gt_u32_e32 0x43800000, v4
	s_cbranch_execz .LBB166_2783
; %bb.2778:
	s_mov_b32 s7, 0
	s_mov_b32 s11, exec_lo
                                        ; implicit-def: $vgpr1
	v_cmpx_lt_u32_e32 0x3bffffff, v4
	s_xor_b32 s11, exec_lo, s11
	s_cbranch_execz .LBB166_3187
; %bb.2779:
	v_bfe_u32 v1, v4, 20, 1
	s_mov_b32 s7, exec_lo
	s_delay_alu instid0(VALU_DEP_1) | instskip(NEXT) | instid1(VALU_DEP_1)
	v_add3_u32 v1, v4, v1, 0x487ffff
                                        ; implicit-def: $vgpr4
	v_lshrrev_b32_e32 v1, 20, v1
	s_and_not1_saveexec_b32 s11, s11
	s_cbranch_execnz .LBB166_3188
.LBB166_2780:
	s_or_b32 exec_lo, exec_lo, s11
	v_mov_b32_e32 v5, 0
	s_and_saveexec_b32 s11, s7
.LBB166_2781:
	v_mov_b32_e32 v5, v1
.LBB166_2782:
	s_or_b32 exec_lo, exec_lo, s11
.LBB166_2783:
	s_delay_alu instid0(SALU_CYCLE_1)
	s_or_b32 exec_lo, exec_lo, s6
	global_store_b8 v[2:3], v5, off
.LBB166_2784:
	s_mov_b32 s6, -1
.LBB166_2785:
	s_mov_b32 s7, 0
.LBB166_2786:
	s_delay_alu instid0(SALU_CYCLE_1)
	s_and_b32 vcc_lo, exec_lo, s7
	s_cbranch_vccz .LBB166_2826
; %bb.2787:
	s_cmp_gt_i32 s2, 22
	s_mov_b32 s3, -1
	s_cbranch_scc0 .LBB166_2819
; %bb.2788:
	s_cmp_lt_i32 s2, 24
	s_cbranch_scc1 .LBB166_2808
; %bb.2789:
	s_cmp_gt_i32 s2, 24
	s_cbranch_scc0 .LBB166_2797
; %bb.2790:
	s_wait_xcnt 0x0
	v_cndmask_b32_e64 v4, 0, 1.0, s1
	v_mov_b32_e32 v5, 0x80
	s_mov_b32 s3, exec_lo
	s_delay_alu instid0(VALU_DEP_2)
	v_cmpx_gt_u32_e32 0x47800000, v4
	s_cbranch_execz .LBB166_2796
; %bb.2791:
	s_mov_b32 s6, 0
	s_mov_b32 s7, exec_lo
                                        ; implicit-def: $vgpr1
	v_cmpx_lt_u32_e32 0x37ffffff, v4
	s_xor_b32 s7, exec_lo, s7
	s_cbranch_execz .LBB166_3190
; %bb.2792:
	v_bfe_u32 v1, v4, 21, 1
	s_mov_b32 s6, exec_lo
	s_delay_alu instid0(VALU_DEP_1) | instskip(NEXT) | instid1(VALU_DEP_1)
	v_add3_u32 v1, v4, v1, 0x88fffff
                                        ; implicit-def: $vgpr4
	v_lshrrev_b32_e32 v1, 21, v1
	s_and_not1_saveexec_b32 s7, s7
	s_cbranch_execnz .LBB166_3191
.LBB166_2793:
	s_or_b32 exec_lo, exec_lo, s7
	v_mov_b32_e32 v5, 0
	s_and_saveexec_b32 s7, s6
.LBB166_2794:
	v_mov_b32_e32 v5, v1
.LBB166_2795:
	s_or_b32 exec_lo, exec_lo, s7
.LBB166_2796:
	s_delay_alu instid0(SALU_CYCLE_1)
	s_or_b32 exec_lo, exec_lo, s3
	s_mov_b32 s3, 0
	global_store_b8 v[2:3], v5, off
.LBB166_2797:
	s_and_b32 vcc_lo, exec_lo, s3
	s_cbranch_vccz .LBB166_2807
; %bb.2798:
	s_wait_xcnt 0x0
	v_cndmask_b32_e64 v4, 0, 1.0, s1
	s_mov_b32 s3, exec_lo
                                        ; implicit-def: $vgpr1
	s_delay_alu instid0(VALU_DEP_1)
	v_cmpx_gt_u32_e32 0x43f00000, v4
	s_xor_b32 s3, exec_lo, s3
	s_cbranch_execz .LBB166_2804
; %bb.2799:
	s_mov_b32 s6, exec_lo
                                        ; implicit-def: $vgpr1
	v_cmpx_lt_u32_e32 0x3c7fffff, v4
	s_xor_b32 s6, exec_lo, s6
; %bb.2800:
	v_bfe_u32 v1, v4, 20, 1
	s_delay_alu instid0(VALU_DEP_1) | instskip(NEXT) | instid1(VALU_DEP_1)
	v_add3_u32 v1, v4, v1, 0x407ffff
	v_and_b32_e32 v4, 0xff00000, v1
	v_lshrrev_b32_e32 v1, 20, v1
	s_delay_alu instid0(VALU_DEP_2) | instskip(NEXT) | instid1(VALU_DEP_2)
	v_cmp_ne_u32_e32 vcc_lo, 0x7f00000, v4
                                        ; implicit-def: $vgpr4
	v_cndmask_b32_e32 v1, 0x7e, v1, vcc_lo
; %bb.2801:
	s_and_not1_saveexec_b32 s6, s6
; %bb.2802:
	v_add_f32_e32 v1, 0x46800000, v4
; %bb.2803:
	s_or_b32 exec_lo, exec_lo, s6
                                        ; implicit-def: $vgpr4
.LBB166_2804:
	s_and_not1_saveexec_b32 s3, s3
; %bb.2805:
	v_mov_b32_e32 v1, 0x7f
	v_cmp_lt_u32_e32 vcc_lo, 0x7f800000, v4
	s_delay_alu instid0(VALU_DEP_2)
	v_cndmask_b32_e32 v1, 0x7e, v1, vcc_lo
; %bb.2806:
	s_or_b32 exec_lo, exec_lo, s3
	global_store_b8 v[2:3], v1, off
.LBB166_2807:
	s_mov_b32 s3, 0
.LBB166_2808:
	s_delay_alu instid0(SALU_CYCLE_1)
	s_and_not1_b32 vcc_lo, exec_lo, s3
	s_cbranch_vccnz .LBB166_2818
; %bb.2809:
	s_wait_xcnt 0x0
	v_cndmask_b32_e64 v4, 0, 1.0, s1
	s_mov_b32 s3, exec_lo
                                        ; implicit-def: $vgpr1
	s_delay_alu instid0(VALU_DEP_1)
	v_cmpx_gt_u32_e32 0x47800000, v4
	s_xor_b32 s3, exec_lo, s3
	s_cbranch_execz .LBB166_2815
; %bb.2810:
	s_mov_b32 s6, exec_lo
                                        ; implicit-def: $vgpr1
	v_cmpx_lt_u32_e32 0x387fffff, v4
	s_xor_b32 s6, exec_lo, s6
; %bb.2811:
	v_bfe_u32 v1, v4, 21, 1
	s_delay_alu instid0(VALU_DEP_1) | instskip(NEXT) | instid1(VALU_DEP_1)
	v_add3_u32 v1, v4, v1, 0x80fffff
                                        ; implicit-def: $vgpr4
	v_lshrrev_b32_e32 v1, 21, v1
; %bb.2812:
	s_and_not1_saveexec_b32 s6, s6
; %bb.2813:
	v_add_f32_e32 v1, 0x43000000, v4
; %bb.2814:
	s_or_b32 exec_lo, exec_lo, s6
                                        ; implicit-def: $vgpr4
.LBB166_2815:
	s_and_not1_saveexec_b32 s3, s3
; %bb.2816:
	v_mov_b32_e32 v1, 0x7f
	v_cmp_lt_u32_e32 vcc_lo, 0x7f800000, v4
	s_delay_alu instid0(VALU_DEP_2)
	v_cndmask_b32_e32 v1, 0x7c, v1, vcc_lo
; %bb.2817:
	s_or_b32 exec_lo, exec_lo, s3
	global_store_b8 v[2:3], v1, off
.LBB166_2818:
	s_mov_b32 s3, 0
	s_mov_b32 s6, -1
.LBB166_2819:
	s_and_not1_b32 vcc_lo, exec_lo, s3
	s_mov_b32 s3, 0
	s_cbranch_vccnz .LBB166_2826
; %bb.2820:
	s_cmp_gt_i32 s2, 14
	s_mov_b32 s3, -1
	s_cbranch_scc0 .LBB166_2824
; %bb.2821:
	s_cmp_eq_u32 s2, 15
	s_mov_b32 s0, -1
	s_cbranch_scc0 .LBB166_2823
; %bb.2822:
	s_wait_xcnt 0x0
	v_cndmask_b32_e64 v1, 0, 1.0, s1
	s_mov_b32 s0, 0
	s_mov_b32 s6, -1
	s_delay_alu instid0(VALU_DEP_1) | instskip(NEXT) | instid1(VALU_DEP_1)
	v_bfe_u32 v4, v1, 16, 1
	v_add3_u32 v1, v1, v4, 0x7fff
	global_store_d16_hi_b16 v[2:3], v1, off
.LBB166_2823:
	s_mov_b32 s3, 0
.LBB166_2824:
	s_delay_alu instid0(SALU_CYCLE_1)
	s_and_b32 vcc_lo, exec_lo, s3
	s_mov_b32 s3, 0
	s_cbranch_vccz .LBB166_2826
; %bb.2825:
	s_cmp_lg_u32 s2, 11
	s_mov_b32 s3, -1
	s_cselect_b32 s0, -1, 0
.LBB166_2826:
	s_delay_alu instid0(SALU_CYCLE_1)
	s_and_b32 vcc_lo, exec_lo, s0
	s_cbranch_vccnz .LBB166_3189
; %bb.2827:
	s_and_not1_b32 vcc_lo, exec_lo, s3
	s_cbranch_vccnz .LBB166_2829
.LBB166_2828:
	s_wait_xcnt 0x0
	v_cndmask_b32_e64 v1, 0, 1, s1
	s_mov_b32 s6, -1
	global_store_b8 v[2:3], v1, off
.LBB166_2829:
	s_mov_b32 s0, 0
	s_branch .LBB166_2831
.LBB166_2830:
	s_mov_b32 s0, -1
	s_mov_b32 s6, 0
.LBB166_2831:
	s_and_b32 vcc_lo, exec_lo, s0
	s_cbranch_vccz .LBB166_2870
; %bb.2832:
	s_and_b32 s0, 0xffff, s18
	s_mov_b32 s2, -1
	s_cmp_lt_i32 s0, 5
	s_cbranch_scc1 .LBB166_2853
; %bb.2833:
	s_cmp_lt_i32 s0, 8
	s_cbranch_scc1 .LBB166_2843
; %bb.2834:
	;; [unrolled: 3-line block ×3, first 2 shown]
	s_cmp_gt_i32 s0, 9
	s_cbranch_scc0 .LBB166_2837
; %bb.2836:
	s_wait_xcnt 0x0
	v_cndmask_b32_e64 v1, 0, 1, s1
	v_mov_b32_e32 v6, 0
	s_mov_b32 s2, 0
	s_delay_alu instid0(VALU_DEP_2) | instskip(NEXT) | instid1(VALU_DEP_2)
	v_cvt_f64_u32_e32 v[4:5], v1
	v_mov_b32_e32 v7, v6
	global_store_b128 v[2:3], v[4:7], off
.LBB166_2837:
	s_and_not1_b32 vcc_lo, exec_lo, s2
	s_cbranch_vccnz .LBB166_2839
; %bb.2838:
	s_wait_xcnt 0x0
	v_cndmask_b32_e64 v4, 0, 1.0, s1
	v_mov_b32_e32 v5, 0
	global_store_b64 v[2:3], v[4:5], off
.LBB166_2839:
	s_mov_b32 s2, 0
.LBB166_2840:
	s_delay_alu instid0(SALU_CYCLE_1)
	s_and_not1_b32 vcc_lo, exec_lo, s2
	s_cbranch_vccnz .LBB166_2842
; %bb.2841:
	s_wait_xcnt 0x0
	v_cndmask_b32_e64 v1, 0, 1.0, s1
	s_delay_alu instid0(VALU_DEP_1) | instskip(NEXT) | instid1(VALU_DEP_1)
	v_cvt_f16_f32_e32 v1, v1
	v_and_b32_e32 v1, 0xffff, v1
	global_store_b32 v[2:3], v1, off
.LBB166_2842:
	s_mov_b32 s2, 0
.LBB166_2843:
	s_delay_alu instid0(SALU_CYCLE_1)
	s_and_not1_b32 vcc_lo, exec_lo, s2
	s_cbranch_vccnz .LBB166_2852
; %bb.2844:
	s_cmp_lt_i32 s0, 6
	s_mov_b32 s2, -1
	s_cbranch_scc1 .LBB166_2850
; %bb.2845:
	s_cmp_gt_i32 s0, 6
	s_cbranch_scc0 .LBB166_2847
; %bb.2846:
	s_wait_xcnt 0x0
	v_cndmask_b32_e64 v1, 0, 1, s1
	s_mov_b32 s2, 0
	s_delay_alu instid0(VALU_DEP_1)
	v_cvt_f64_u32_e32 v[4:5], v1
	global_store_b64 v[2:3], v[4:5], off
.LBB166_2847:
	s_and_not1_b32 vcc_lo, exec_lo, s2
	s_cbranch_vccnz .LBB166_2849
; %bb.2848:
	s_wait_xcnt 0x0
	v_cndmask_b32_e64 v1, 0, 1.0, s1
	global_store_b32 v[2:3], v1, off
.LBB166_2849:
	s_mov_b32 s2, 0
.LBB166_2850:
	s_delay_alu instid0(SALU_CYCLE_1)
	s_and_not1_b32 vcc_lo, exec_lo, s2
	s_cbranch_vccnz .LBB166_2852
; %bb.2851:
	s_wait_xcnt 0x0
	v_cndmask_b32_e64 v1, 0, 1.0, s1
	s_delay_alu instid0(VALU_DEP_1)
	v_cvt_f16_f32_e32 v1, v1
	global_store_b16 v[2:3], v1, off
.LBB166_2852:
	s_mov_b32 s2, 0
.LBB166_2853:
	s_delay_alu instid0(SALU_CYCLE_1)
	s_and_not1_b32 vcc_lo, exec_lo, s2
	s_cbranch_vccnz .LBB166_2869
; %bb.2854:
	s_cmp_lt_i32 s0, 2
	s_mov_b32 s2, -1
	s_cbranch_scc1 .LBB166_2864
; %bb.2855:
	s_cmp_lt_i32 s0, 3
	s_cbranch_scc1 .LBB166_2861
; %bb.2856:
	s_cmp_gt_i32 s0, 3
	s_cbranch_scc0 .LBB166_2858
; %bb.2857:
	s_mov_b32 s2, 0
	s_wait_xcnt 0x0
	v_cndmask_b32_e64 v4, 0, 1, s1
	v_mov_b32_e32 v5, s2
	global_store_b64 v[2:3], v[4:5], off
.LBB166_2858:
	s_and_not1_b32 vcc_lo, exec_lo, s2
	s_cbranch_vccnz .LBB166_2860
; %bb.2859:
	s_wait_xcnt 0x0
	v_cndmask_b32_e64 v1, 0, 1, s1
	global_store_b32 v[2:3], v1, off
.LBB166_2860:
	s_mov_b32 s2, 0
.LBB166_2861:
	s_delay_alu instid0(SALU_CYCLE_1)
	s_and_not1_b32 vcc_lo, exec_lo, s2
	s_cbranch_vccnz .LBB166_2863
; %bb.2862:
	s_wait_xcnt 0x0
	v_cndmask_b32_e64 v1, 0, 1, s1
	global_store_b16 v[2:3], v1, off
.LBB166_2863:
	s_mov_b32 s2, 0
.LBB166_2864:
	s_delay_alu instid0(SALU_CYCLE_1)
	s_and_not1_b32 vcc_lo, exec_lo, s2
	s_cbranch_vccnz .LBB166_2869
; %bb.2865:
	s_wait_xcnt 0x0
	v_cndmask_b32_e64 v1, 0, 1, s1
	s_cmp_gt_i32 s0, 0
	s_mov_b32 s0, -1
	s_cbranch_scc0 .LBB166_2867
; %bb.2866:
	s_mov_b32 s0, 0
	global_store_b8 v[2:3], v1, off
.LBB166_2867:
	s_and_not1_b32 vcc_lo, exec_lo, s0
	s_cbranch_vccnz .LBB166_2869
; %bb.2868:
	global_store_b8 v[2:3], v1, off
.LBB166_2869:
	s_mov_b32 s6, -1
.LBB166_2870:
	s_delay_alu instid0(SALU_CYCLE_1)
	s_and_not1_b32 vcc_lo, exec_lo, s6
	s_cbranch_vccnz .LBB166_3185
; %bb.2871:
	s_lshl_b32 s1, s8, 7
	s_cmp_lt_i32 s18, 11
	v_add_nc_u32_e32 v0, s1, v0
	s_wait_xcnt 0x0
	s_delay_alu instid0(VALU_DEP_1) | instskip(NEXT) | instid1(VALU_DEP_1)
	v_ashrrev_i32_e32 v1, 31, v0
	v_add_nc_u64_e32 v[2:3], s[4:5], v[0:1]
	s_cbranch_scc1 .LBB166_2949
; %bb.2872:
	s_and_b32 s2, 0xffff, s18
	s_mov_b32 s7, -1
	s_mov_b32 s3, 0
	s_cmp_gt_i32 s2, 25
	s_mov_b32 s6, 0
	s_mov_b32 s0, 0
	s_cbranch_scc0 .LBB166_2905
; %bb.2873:
	s_cmp_gt_i32 s2, 28
	s_cbranch_scc0 .LBB166_2888
; %bb.2874:
	s_cmp_gt_i32 s2, 43
	;; [unrolled: 3-line block ×3, first 2 shown]
	s_cbranch_scc0 .LBB166_2878
; %bb.2876:
	s_mov_b32 s0, -1
	s_mov_b32 s7, 0
	s_cmp_eq_u32 s2, 46
	s_cbranch_scc0 .LBB166_2878
; %bb.2877:
	v_cndmask_b32_e64 v1, 0, 1.0, s9
	s_mov_b32 s0, 0
	s_mov_b32 s6, -1
	s_delay_alu instid0(VALU_DEP_1) | instskip(NEXT) | instid1(VALU_DEP_1)
	v_bfe_u32 v4, v1, 16, 1
	v_add3_u32 v1, v1, v4, 0x7fff
	s_delay_alu instid0(VALU_DEP_1)
	v_lshrrev_b32_e32 v1, 16, v1
	global_store_b32 v[2:3], v1, off
.LBB166_2878:
	s_and_b32 vcc_lo, exec_lo, s7
	s_cbranch_vccz .LBB166_2883
; %bb.2879:
	s_cmp_eq_u32 s2, 44
	s_mov_b32 s0, -1
	s_cbranch_scc0 .LBB166_2883
; %bb.2880:
	v_cndmask_b32_e64 v5, 0, 1.0, s9
	s_mov_b32 s6, exec_lo
	s_wait_xcnt 0x0
	s_delay_alu instid0(VALU_DEP_1) | instskip(NEXT) | instid1(VALU_DEP_1)
	v_dual_mov_b32 v4, 0xff :: v_dual_lshrrev_b32 v1, 23, v5
	v_cmpx_ne_u32_e32 0xff, v1
; %bb.2881:
	v_and_b32_e32 v4, 0x400000, v5
	v_and_or_b32 v5, 0x3fffff, v5, v1
	s_delay_alu instid0(VALU_DEP_2) | instskip(NEXT) | instid1(VALU_DEP_2)
	v_cmp_ne_u32_e32 vcc_lo, 0, v4
	v_cmp_ne_u32_e64 s0, 0, v5
	s_and_b32 s0, vcc_lo, s0
	s_delay_alu instid0(SALU_CYCLE_1) | instskip(NEXT) | instid1(VALU_DEP_1)
	v_cndmask_b32_e64 v4, 0, 1, s0
	v_add_nc_u32_e32 v4, v1, v4
; %bb.2882:
	s_or_b32 exec_lo, exec_lo, s6
	s_mov_b32 s0, 0
	s_mov_b32 s6, -1
	global_store_b8 v[2:3], v4, off
.LBB166_2883:
	s_mov_b32 s7, 0
.LBB166_2884:
	s_delay_alu instid0(SALU_CYCLE_1)
	s_and_b32 vcc_lo, exec_lo, s7
	s_cbranch_vccz .LBB166_2887
; %bb.2885:
	s_cmp_eq_u32 s2, 29
	s_mov_b32 s0, -1
	s_cbranch_scc0 .LBB166_2887
; %bb.2886:
	s_mov_b32 s0, 0
	s_wait_xcnt 0x0
	v_cndmask_b32_e64 v4, 0, 1, s9
	v_mov_b32_e32 v5, s0
	s_mov_b32 s6, -1
	global_store_b64 v[2:3], v[4:5], off
.LBB166_2887:
	s_mov_b32 s7, 0
.LBB166_2888:
	s_delay_alu instid0(SALU_CYCLE_1)
	s_and_b32 vcc_lo, exec_lo, s7
	s_cbranch_vccz .LBB166_2904
; %bb.2889:
	s_cmp_lt_i32 s2, 27
	s_mov_b32 s6, -1
	s_cbranch_scc1 .LBB166_2895
; %bb.2890:
	s_cmp_gt_i32 s2, 27
	s_cbranch_scc0 .LBB166_2892
; %bb.2891:
	s_wait_xcnt 0x0
	v_cndmask_b32_e64 v1, 0, 1, s9
	s_mov_b32 s6, 0
	global_store_b32 v[2:3], v1, off
.LBB166_2892:
	s_and_not1_b32 vcc_lo, exec_lo, s6
	s_cbranch_vccnz .LBB166_2894
; %bb.2893:
	s_wait_xcnt 0x0
	v_cndmask_b32_e64 v1, 0, 1, s9
	global_store_b16 v[2:3], v1, off
.LBB166_2894:
	s_mov_b32 s6, 0
.LBB166_2895:
	s_delay_alu instid0(SALU_CYCLE_1)
	s_and_not1_b32 vcc_lo, exec_lo, s6
	s_cbranch_vccnz .LBB166_2903
; %bb.2896:
	s_wait_xcnt 0x0
	v_cndmask_b32_e64 v4, 0, 1.0, s9
	v_mov_b32_e32 v5, 0x80
	s_mov_b32 s6, exec_lo
	s_delay_alu instid0(VALU_DEP_2)
	v_cmpx_gt_u32_e32 0x43800000, v4
	s_cbranch_execz .LBB166_2902
; %bb.2897:
	s_mov_b32 s7, 0
	s_mov_b32 s8, exec_lo
                                        ; implicit-def: $vgpr1
	v_cmpx_lt_u32_e32 0x3bffffff, v4
	s_xor_b32 s8, exec_lo, s8
	s_cbranch_execz .LBB166_3192
; %bb.2898:
	v_bfe_u32 v1, v4, 20, 1
	s_mov_b32 s7, exec_lo
	s_delay_alu instid0(VALU_DEP_1) | instskip(NEXT) | instid1(VALU_DEP_1)
	v_add3_u32 v1, v4, v1, 0x487ffff
                                        ; implicit-def: $vgpr4
	v_lshrrev_b32_e32 v1, 20, v1
	s_and_not1_saveexec_b32 s8, s8
	s_cbranch_execnz .LBB166_3193
.LBB166_2899:
	s_or_b32 exec_lo, exec_lo, s8
	v_mov_b32_e32 v5, 0
	s_and_saveexec_b32 s8, s7
.LBB166_2900:
	v_mov_b32_e32 v5, v1
.LBB166_2901:
	s_or_b32 exec_lo, exec_lo, s8
.LBB166_2902:
	s_delay_alu instid0(SALU_CYCLE_1)
	s_or_b32 exec_lo, exec_lo, s6
	global_store_b8 v[2:3], v5, off
.LBB166_2903:
	s_mov_b32 s6, -1
.LBB166_2904:
	s_mov_b32 s7, 0
.LBB166_2905:
	s_delay_alu instid0(SALU_CYCLE_1)
	s_and_b32 vcc_lo, exec_lo, s7
	s_cbranch_vccz .LBB166_2945
; %bb.2906:
	s_cmp_gt_i32 s2, 22
	s_mov_b32 s3, -1
	s_cbranch_scc0 .LBB166_2938
; %bb.2907:
	s_cmp_lt_i32 s2, 24
	s_cbranch_scc1 .LBB166_2927
; %bb.2908:
	s_cmp_gt_i32 s2, 24
	s_cbranch_scc0 .LBB166_2916
; %bb.2909:
	s_wait_xcnt 0x0
	v_cndmask_b32_e64 v4, 0, 1.0, s9
	v_mov_b32_e32 v5, 0x80
	s_mov_b32 s3, exec_lo
	s_delay_alu instid0(VALU_DEP_2)
	v_cmpx_gt_u32_e32 0x47800000, v4
	s_cbranch_execz .LBB166_2915
; %bb.2910:
	s_mov_b32 s6, 0
	s_mov_b32 s7, exec_lo
                                        ; implicit-def: $vgpr1
	v_cmpx_lt_u32_e32 0x37ffffff, v4
	s_xor_b32 s7, exec_lo, s7
	s_cbranch_execz .LBB166_3195
; %bb.2911:
	v_bfe_u32 v1, v4, 21, 1
	s_mov_b32 s6, exec_lo
	s_delay_alu instid0(VALU_DEP_1) | instskip(NEXT) | instid1(VALU_DEP_1)
	v_add3_u32 v1, v4, v1, 0x88fffff
                                        ; implicit-def: $vgpr4
	v_lshrrev_b32_e32 v1, 21, v1
	s_and_not1_saveexec_b32 s7, s7
	s_cbranch_execnz .LBB166_3196
.LBB166_2912:
	s_or_b32 exec_lo, exec_lo, s7
	v_mov_b32_e32 v5, 0
	s_and_saveexec_b32 s7, s6
.LBB166_2913:
	v_mov_b32_e32 v5, v1
.LBB166_2914:
	s_or_b32 exec_lo, exec_lo, s7
.LBB166_2915:
	s_delay_alu instid0(SALU_CYCLE_1)
	s_or_b32 exec_lo, exec_lo, s3
	s_mov_b32 s3, 0
	global_store_b8 v[2:3], v5, off
.LBB166_2916:
	s_and_b32 vcc_lo, exec_lo, s3
	s_cbranch_vccz .LBB166_2926
; %bb.2917:
	s_wait_xcnt 0x0
	v_cndmask_b32_e64 v4, 0, 1.0, s9
	s_mov_b32 s3, exec_lo
                                        ; implicit-def: $vgpr1
	s_delay_alu instid0(VALU_DEP_1)
	v_cmpx_gt_u32_e32 0x43f00000, v4
	s_xor_b32 s3, exec_lo, s3
	s_cbranch_execz .LBB166_2923
; %bb.2918:
	s_mov_b32 s6, exec_lo
                                        ; implicit-def: $vgpr1
	v_cmpx_lt_u32_e32 0x3c7fffff, v4
	s_xor_b32 s6, exec_lo, s6
; %bb.2919:
	v_bfe_u32 v1, v4, 20, 1
	s_delay_alu instid0(VALU_DEP_1) | instskip(NEXT) | instid1(VALU_DEP_1)
	v_add3_u32 v1, v4, v1, 0x407ffff
	v_and_b32_e32 v4, 0xff00000, v1
	v_lshrrev_b32_e32 v1, 20, v1
	s_delay_alu instid0(VALU_DEP_2) | instskip(NEXT) | instid1(VALU_DEP_2)
	v_cmp_ne_u32_e32 vcc_lo, 0x7f00000, v4
                                        ; implicit-def: $vgpr4
	v_cndmask_b32_e32 v1, 0x7e, v1, vcc_lo
; %bb.2920:
	s_and_not1_saveexec_b32 s6, s6
; %bb.2921:
	v_add_f32_e32 v1, 0x46800000, v4
; %bb.2922:
	s_or_b32 exec_lo, exec_lo, s6
                                        ; implicit-def: $vgpr4
.LBB166_2923:
	s_and_not1_saveexec_b32 s3, s3
; %bb.2924:
	v_mov_b32_e32 v1, 0x7f
	v_cmp_lt_u32_e32 vcc_lo, 0x7f800000, v4
	s_delay_alu instid0(VALU_DEP_2)
	v_cndmask_b32_e32 v1, 0x7e, v1, vcc_lo
; %bb.2925:
	s_or_b32 exec_lo, exec_lo, s3
	global_store_b8 v[2:3], v1, off
.LBB166_2926:
	s_mov_b32 s3, 0
.LBB166_2927:
	s_delay_alu instid0(SALU_CYCLE_1)
	s_and_not1_b32 vcc_lo, exec_lo, s3
	s_cbranch_vccnz .LBB166_2937
; %bb.2928:
	s_wait_xcnt 0x0
	v_cndmask_b32_e64 v4, 0, 1.0, s9
	s_mov_b32 s3, exec_lo
                                        ; implicit-def: $vgpr1
	s_delay_alu instid0(VALU_DEP_1)
	v_cmpx_gt_u32_e32 0x47800000, v4
	s_xor_b32 s3, exec_lo, s3
	s_cbranch_execz .LBB166_2934
; %bb.2929:
	s_mov_b32 s6, exec_lo
                                        ; implicit-def: $vgpr1
	v_cmpx_lt_u32_e32 0x387fffff, v4
	s_xor_b32 s6, exec_lo, s6
; %bb.2930:
	v_bfe_u32 v1, v4, 21, 1
	s_delay_alu instid0(VALU_DEP_1) | instskip(NEXT) | instid1(VALU_DEP_1)
	v_add3_u32 v1, v4, v1, 0x80fffff
                                        ; implicit-def: $vgpr4
	v_lshrrev_b32_e32 v1, 21, v1
; %bb.2931:
	s_and_not1_saveexec_b32 s6, s6
; %bb.2932:
	v_add_f32_e32 v1, 0x43000000, v4
; %bb.2933:
	s_or_b32 exec_lo, exec_lo, s6
                                        ; implicit-def: $vgpr4
.LBB166_2934:
	s_and_not1_saveexec_b32 s3, s3
; %bb.2935:
	v_mov_b32_e32 v1, 0x7f
	v_cmp_lt_u32_e32 vcc_lo, 0x7f800000, v4
	s_delay_alu instid0(VALU_DEP_2)
	v_cndmask_b32_e32 v1, 0x7c, v1, vcc_lo
; %bb.2936:
	s_or_b32 exec_lo, exec_lo, s3
	global_store_b8 v[2:3], v1, off
.LBB166_2937:
	s_mov_b32 s3, 0
	s_mov_b32 s6, -1
.LBB166_2938:
	s_and_not1_b32 vcc_lo, exec_lo, s3
	s_mov_b32 s3, 0
	s_cbranch_vccnz .LBB166_2945
; %bb.2939:
	s_cmp_gt_i32 s2, 14
	s_mov_b32 s3, -1
	s_cbranch_scc0 .LBB166_2943
; %bb.2940:
	s_cmp_eq_u32 s2, 15
	s_mov_b32 s0, -1
	s_cbranch_scc0 .LBB166_2942
; %bb.2941:
	s_wait_xcnt 0x0
	v_cndmask_b32_e64 v1, 0, 1.0, s9
	s_mov_b32 s0, 0
	s_mov_b32 s6, -1
	s_delay_alu instid0(VALU_DEP_1) | instskip(NEXT) | instid1(VALU_DEP_1)
	v_bfe_u32 v4, v1, 16, 1
	v_add3_u32 v1, v1, v4, 0x7fff
	global_store_d16_hi_b16 v[2:3], v1, off
.LBB166_2942:
	s_mov_b32 s3, 0
.LBB166_2943:
	s_delay_alu instid0(SALU_CYCLE_1)
	s_and_b32 vcc_lo, exec_lo, s3
	s_mov_b32 s3, 0
	s_cbranch_vccz .LBB166_2945
; %bb.2944:
	s_cmp_lg_u32 s2, 11
	s_mov_b32 s3, -1
	s_cselect_b32 s0, -1, 0
.LBB166_2945:
	s_delay_alu instid0(SALU_CYCLE_1)
	s_and_b32 vcc_lo, exec_lo, s0
	s_cbranch_vccnz .LBB166_3194
; %bb.2946:
	s_and_not1_b32 vcc_lo, exec_lo, s3
	s_cbranch_vccnz .LBB166_2948
.LBB166_2947:
	s_wait_xcnt 0x0
	v_cndmask_b32_e64 v1, 0, 1, s9
	s_mov_b32 s6, -1
	global_store_b8 v[2:3], v1, off
.LBB166_2948:
	s_mov_b32 s0, 0
	s_branch .LBB166_2950
.LBB166_2949:
	s_mov_b32 s0, -1
	s_mov_b32 s6, 0
.LBB166_2950:
	s_and_b32 vcc_lo, exec_lo, s0
	s_cbranch_vccz .LBB166_2989
; %bb.2951:
	s_and_b32 s0, 0xffff, s18
	s_mov_b32 s2, -1
	s_cmp_lt_i32 s0, 5
	s_cbranch_scc1 .LBB166_2972
; %bb.2952:
	s_cmp_lt_i32 s0, 8
	s_cbranch_scc1 .LBB166_2962
; %bb.2953:
	;; [unrolled: 3-line block ×3, first 2 shown]
	s_cmp_gt_i32 s0, 9
	s_cbranch_scc0 .LBB166_2956
; %bb.2955:
	s_wait_xcnt 0x0
	v_cndmask_b32_e64 v1, 0, 1, s9
	v_mov_b32_e32 v6, 0
	s_mov_b32 s2, 0
	s_delay_alu instid0(VALU_DEP_2) | instskip(NEXT) | instid1(VALU_DEP_2)
	v_cvt_f64_u32_e32 v[4:5], v1
	v_mov_b32_e32 v7, v6
	global_store_b128 v[2:3], v[4:7], off
.LBB166_2956:
	s_and_not1_b32 vcc_lo, exec_lo, s2
	s_cbranch_vccnz .LBB166_2958
; %bb.2957:
	s_wait_xcnt 0x0
	v_cndmask_b32_e64 v4, 0, 1.0, s9
	v_mov_b32_e32 v5, 0
	global_store_b64 v[2:3], v[4:5], off
.LBB166_2958:
	s_mov_b32 s2, 0
.LBB166_2959:
	s_delay_alu instid0(SALU_CYCLE_1)
	s_and_not1_b32 vcc_lo, exec_lo, s2
	s_cbranch_vccnz .LBB166_2961
; %bb.2960:
	s_wait_xcnt 0x0
	v_cndmask_b32_e64 v1, 0, 1.0, s9
	s_delay_alu instid0(VALU_DEP_1) | instskip(NEXT) | instid1(VALU_DEP_1)
	v_cvt_f16_f32_e32 v1, v1
	v_and_b32_e32 v1, 0xffff, v1
	global_store_b32 v[2:3], v1, off
.LBB166_2961:
	s_mov_b32 s2, 0
.LBB166_2962:
	s_delay_alu instid0(SALU_CYCLE_1)
	s_and_not1_b32 vcc_lo, exec_lo, s2
	s_cbranch_vccnz .LBB166_2971
; %bb.2963:
	s_cmp_lt_i32 s0, 6
	s_mov_b32 s2, -1
	s_cbranch_scc1 .LBB166_2969
; %bb.2964:
	s_cmp_gt_i32 s0, 6
	s_cbranch_scc0 .LBB166_2966
; %bb.2965:
	s_wait_xcnt 0x0
	v_cndmask_b32_e64 v1, 0, 1, s9
	s_mov_b32 s2, 0
	s_delay_alu instid0(VALU_DEP_1)
	v_cvt_f64_u32_e32 v[4:5], v1
	global_store_b64 v[2:3], v[4:5], off
.LBB166_2966:
	s_and_not1_b32 vcc_lo, exec_lo, s2
	s_cbranch_vccnz .LBB166_2968
; %bb.2967:
	s_wait_xcnt 0x0
	v_cndmask_b32_e64 v1, 0, 1.0, s9
	global_store_b32 v[2:3], v1, off
.LBB166_2968:
	s_mov_b32 s2, 0
.LBB166_2969:
	s_delay_alu instid0(SALU_CYCLE_1)
	s_and_not1_b32 vcc_lo, exec_lo, s2
	s_cbranch_vccnz .LBB166_2971
; %bb.2970:
	s_wait_xcnt 0x0
	v_cndmask_b32_e64 v1, 0, 1.0, s9
	s_delay_alu instid0(VALU_DEP_1)
	v_cvt_f16_f32_e32 v1, v1
	global_store_b16 v[2:3], v1, off
.LBB166_2971:
	s_mov_b32 s2, 0
.LBB166_2972:
	s_delay_alu instid0(SALU_CYCLE_1)
	s_and_not1_b32 vcc_lo, exec_lo, s2
	s_cbranch_vccnz .LBB166_2988
; %bb.2973:
	s_cmp_lt_i32 s0, 2
	s_mov_b32 s2, -1
	s_cbranch_scc1 .LBB166_2983
; %bb.2974:
	s_cmp_lt_i32 s0, 3
	s_cbranch_scc1 .LBB166_2980
; %bb.2975:
	s_cmp_gt_i32 s0, 3
	s_cbranch_scc0 .LBB166_2977
; %bb.2976:
	s_mov_b32 s2, 0
	s_wait_xcnt 0x0
	v_cndmask_b32_e64 v4, 0, 1, s9
	v_mov_b32_e32 v5, s2
	global_store_b64 v[2:3], v[4:5], off
.LBB166_2977:
	s_and_not1_b32 vcc_lo, exec_lo, s2
	s_cbranch_vccnz .LBB166_2979
; %bb.2978:
	s_wait_xcnt 0x0
	v_cndmask_b32_e64 v1, 0, 1, s9
	global_store_b32 v[2:3], v1, off
.LBB166_2979:
	s_mov_b32 s2, 0
.LBB166_2980:
	s_delay_alu instid0(SALU_CYCLE_1)
	s_and_not1_b32 vcc_lo, exec_lo, s2
	s_cbranch_vccnz .LBB166_2982
; %bb.2981:
	s_wait_xcnt 0x0
	v_cndmask_b32_e64 v1, 0, 1, s9
	global_store_b16 v[2:3], v1, off
.LBB166_2982:
	s_mov_b32 s2, 0
.LBB166_2983:
	s_delay_alu instid0(SALU_CYCLE_1)
	s_and_not1_b32 vcc_lo, exec_lo, s2
	s_cbranch_vccnz .LBB166_2988
; %bb.2984:
	s_wait_xcnt 0x0
	v_cndmask_b32_e64 v1, 0, 1, s9
	s_cmp_gt_i32 s0, 0
	s_mov_b32 s0, -1
	s_cbranch_scc0 .LBB166_2986
; %bb.2985:
	s_mov_b32 s0, 0
	global_store_b8 v[2:3], v1, off
.LBB166_2986:
	s_and_not1_b32 vcc_lo, exec_lo, s0
	s_cbranch_vccnz .LBB166_2988
; %bb.2987:
	global_store_b8 v[2:3], v1, off
.LBB166_2988:
	s_mov_b32 s6, -1
.LBB166_2989:
	s_delay_alu instid0(SALU_CYCLE_1)
	s_and_not1_b32 vcc_lo, exec_lo, s6
	s_cbranch_vccnz .LBB166_3185
; %bb.2990:
	v_add_nc_u32_e32 v0, s1, v0
	s_cmp_lt_i32 s18, 11
	s_wait_xcnt 0x0
	s_delay_alu instid0(VALU_DEP_1) | instskip(NEXT) | instid1(VALU_DEP_1)
	v_ashrrev_i32_e32 v1, 31, v0
	v_add_nc_u64_e32 v[2:3], s[4:5], v[0:1]
	s_cbranch_scc1 .LBB166_3068
; %bb.2991:
	s_and_b32 s2, 0xffff, s18
	s_mov_b32 s7, -1
	s_mov_b32 s3, 0
	s_cmp_gt_i32 s2, 25
	s_mov_b32 s6, 0
	s_mov_b32 s0, 0
	s_cbranch_scc0 .LBB166_3024
; %bb.2992:
	s_cmp_gt_i32 s2, 28
	s_cbranch_scc0 .LBB166_3007
; %bb.2993:
	s_cmp_gt_i32 s2, 43
	;; [unrolled: 3-line block ×3, first 2 shown]
	s_cbranch_scc0 .LBB166_2997
; %bb.2995:
	s_mov_b32 s0, -1
	s_mov_b32 s7, 0
	s_cmp_eq_u32 s2, 46
	s_cbranch_scc0 .LBB166_2997
; %bb.2996:
	v_cndmask_b32_e64 v1, 0, 1.0, s10
	s_mov_b32 s0, 0
	s_mov_b32 s6, -1
	s_delay_alu instid0(VALU_DEP_1) | instskip(NEXT) | instid1(VALU_DEP_1)
	v_bfe_u32 v4, v1, 16, 1
	v_add3_u32 v1, v1, v4, 0x7fff
	s_delay_alu instid0(VALU_DEP_1)
	v_lshrrev_b32_e32 v1, 16, v1
	global_store_b32 v[2:3], v1, off
.LBB166_2997:
	s_and_b32 vcc_lo, exec_lo, s7
	s_cbranch_vccz .LBB166_3002
; %bb.2998:
	s_cmp_eq_u32 s2, 44
	s_mov_b32 s0, -1
	s_cbranch_scc0 .LBB166_3002
; %bb.2999:
	v_cndmask_b32_e64 v5, 0, 1.0, s10
	s_mov_b32 s6, exec_lo
	s_wait_xcnt 0x0
	s_delay_alu instid0(VALU_DEP_1) | instskip(NEXT) | instid1(VALU_DEP_1)
	v_dual_mov_b32 v4, 0xff :: v_dual_lshrrev_b32 v1, 23, v5
	v_cmpx_ne_u32_e32 0xff, v1
; %bb.3000:
	v_and_b32_e32 v4, 0x400000, v5
	v_and_or_b32 v5, 0x3fffff, v5, v1
	s_delay_alu instid0(VALU_DEP_2) | instskip(NEXT) | instid1(VALU_DEP_2)
	v_cmp_ne_u32_e32 vcc_lo, 0, v4
	v_cmp_ne_u32_e64 s0, 0, v5
	s_and_b32 s0, vcc_lo, s0
	s_delay_alu instid0(SALU_CYCLE_1) | instskip(NEXT) | instid1(VALU_DEP_1)
	v_cndmask_b32_e64 v4, 0, 1, s0
	v_add_nc_u32_e32 v4, v1, v4
; %bb.3001:
	s_or_b32 exec_lo, exec_lo, s6
	s_mov_b32 s0, 0
	s_mov_b32 s6, -1
	global_store_b8 v[2:3], v4, off
.LBB166_3002:
	s_mov_b32 s7, 0
.LBB166_3003:
	s_delay_alu instid0(SALU_CYCLE_1)
	s_and_b32 vcc_lo, exec_lo, s7
	s_cbranch_vccz .LBB166_3006
; %bb.3004:
	s_cmp_eq_u32 s2, 29
	s_mov_b32 s0, -1
	s_cbranch_scc0 .LBB166_3006
; %bb.3005:
	s_mov_b32 s0, 0
	s_wait_xcnt 0x0
	v_cndmask_b32_e64 v4, 0, 1, s10
	v_mov_b32_e32 v5, s0
	s_mov_b32 s6, -1
	global_store_b64 v[2:3], v[4:5], off
.LBB166_3006:
	s_mov_b32 s7, 0
.LBB166_3007:
	s_delay_alu instid0(SALU_CYCLE_1)
	s_and_b32 vcc_lo, exec_lo, s7
	s_cbranch_vccz .LBB166_3023
; %bb.3008:
	s_cmp_lt_i32 s2, 27
	s_mov_b32 s6, -1
	s_cbranch_scc1 .LBB166_3014
; %bb.3009:
	s_cmp_gt_i32 s2, 27
	s_cbranch_scc0 .LBB166_3011
; %bb.3010:
	s_wait_xcnt 0x0
	v_cndmask_b32_e64 v1, 0, 1, s10
	s_mov_b32 s6, 0
	global_store_b32 v[2:3], v1, off
.LBB166_3011:
	s_and_not1_b32 vcc_lo, exec_lo, s6
	s_cbranch_vccnz .LBB166_3013
; %bb.3012:
	s_wait_xcnt 0x0
	v_cndmask_b32_e64 v1, 0, 1, s10
	global_store_b16 v[2:3], v1, off
.LBB166_3013:
	s_mov_b32 s6, 0
.LBB166_3014:
	s_delay_alu instid0(SALU_CYCLE_1)
	s_and_not1_b32 vcc_lo, exec_lo, s6
	s_cbranch_vccnz .LBB166_3022
; %bb.3015:
	s_wait_xcnt 0x0
	v_cndmask_b32_e64 v4, 0, 1.0, s10
	v_mov_b32_e32 v5, 0x80
	s_mov_b32 s6, exec_lo
	s_delay_alu instid0(VALU_DEP_2)
	v_cmpx_gt_u32_e32 0x43800000, v4
	s_cbranch_execz .LBB166_3021
; %bb.3016:
	s_mov_b32 s7, 0
	s_mov_b32 s8, exec_lo
                                        ; implicit-def: $vgpr1
	v_cmpx_lt_u32_e32 0x3bffffff, v4
	s_xor_b32 s8, exec_lo, s8
	s_cbranch_execz .LBB166_3197
; %bb.3017:
	v_bfe_u32 v1, v4, 20, 1
	s_mov_b32 s7, exec_lo
	s_delay_alu instid0(VALU_DEP_1) | instskip(NEXT) | instid1(VALU_DEP_1)
	v_add3_u32 v1, v4, v1, 0x487ffff
                                        ; implicit-def: $vgpr4
	v_lshrrev_b32_e32 v1, 20, v1
	s_and_not1_saveexec_b32 s8, s8
	s_cbranch_execnz .LBB166_3198
.LBB166_3018:
	s_or_b32 exec_lo, exec_lo, s8
	v_mov_b32_e32 v5, 0
	s_and_saveexec_b32 s8, s7
.LBB166_3019:
	v_mov_b32_e32 v5, v1
.LBB166_3020:
	s_or_b32 exec_lo, exec_lo, s8
.LBB166_3021:
	s_delay_alu instid0(SALU_CYCLE_1)
	s_or_b32 exec_lo, exec_lo, s6
	global_store_b8 v[2:3], v5, off
.LBB166_3022:
	s_mov_b32 s6, -1
.LBB166_3023:
	s_mov_b32 s7, 0
.LBB166_3024:
	s_delay_alu instid0(SALU_CYCLE_1)
	s_and_b32 vcc_lo, exec_lo, s7
	s_cbranch_vccz .LBB166_3064
; %bb.3025:
	s_cmp_gt_i32 s2, 22
	s_mov_b32 s3, -1
	s_cbranch_scc0 .LBB166_3057
; %bb.3026:
	s_cmp_lt_i32 s2, 24
	s_cbranch_scc1 .LBB166_3046
; %bb.3027:
	s_cmp_gt_i32 s2, 24
	s_cbranch_scc0 .LBB166_3035
; %bb.3028:
	s_wait_xcnt 0x0
	v_cndmask_b32_e64 v4, 0, 1.0, s10
	v_mov_b32_e32 v5, 0x80
	s_mov_b32 s3, exec_lo
	s_delay_alu instid0(VALU_DEP_2)
	v_cmpx_gt_u32_e32 0x47800000, v4
	s_cbranch_execz .LBB166_3034
; %bb.3029:
	s_mov_b32 s6, 0
	s_mov_b32 s7, exec_lo
                                        ; implicit-def: $vgpr1
	v_cmpx_lt_u32_e32 0x37ffffff, v4
	s_xor_b32 s7, exec_lo, s7
	s_cbranch_execz .LBB166_3200
; %bb.3030:
	v_bfe_u32 v1, v4, 21, 1
	s_mov_b32 s6, exec_lo
	s_delay_alu instid0(VALU_DEP_1) | instskip(NEXT) | instid1(VALU_DEP_1)
	v_add3_u32 v1, v4, v1, 0x88fffff
                                        ; implicit-def: $vgpr4
	v_lshrrev_b32_e32 v1, 21, v1
	s_and_not1_saveexec_b32 s7, s7
	s_cbranch_execnz .LBB166_3201
.LBB166_3031:
	s_or_b32 exec_lo, exec_lo, s7
	v_mov_b32_e32 v5, 0
	s_and_saveexec_b32 s7, s6
.LBB166_3032:
	v_mov_b32_e32 v5, v1
.LBB166_3033:
	s_or_b32 exec_lo, exec_lo, s7
.LBB166_3034:
	s_delay_alu instid0(SALU_CYCLE_1)
	s_or_b32 exec_lo, exec_lo, s3
	s_mov_b32 s3, 0
	global_store_b8 v[2:3], v5, off
.LBB166_3035:
	s_and_b32 vcc_lo, exec_lo, s3
	s_cbranch_vccz .LBB166_3045
; %bb.3036:
	s_wait_xcnt 0x0
	v_cndmask_b32_e64 v4, 0, 1.0, s10
	s_mov_b32 s3, exec_lo
                                        ; implicit-def: $vgpr1
	s_delay_alu instid0(VALU_DEP_1)
	v_cmpx_gt_u32_e32 0x43f00000, v4
	s_xor_b32 s3, exec_lo, s3
	s_cbranch_execz .LBB166_3042
; %bb.3037:
	s_mov_b32 s6, exec_lo
                                        ; implicit-def: $vgpr1
	v_cmpx_lt_u32_e32 0x3c7fffff, v4
	s_xor_b32 s6, exec_lo, s6
; %bb.3038:
	v_bfe_u32 v1, v4, 20, 1
	s_delay_alu instid0(VALU_DEP_1) | instskip(NEXT) | instid1(VALU_DEP_1)
	v_add3_u32 v1, v4, v1, 0x407ffff
	v_and_b32_e32 v4, 0xff00000, v1
	v_lshrrev_b32_e32 v1, 20, v1
	s_delay_alu instid0(VALU_DEP_2) | instskip(NEXT) | instid1(VALU_DEP_2)
	v_cmp_ne_u32_e32 vcc_lo, 0x7f00000, v4
                                        ; implicit-def: $vgpr4
	v_cndmask_b32_e32 v1, 0x7e, v1, vcc_lo
; %bb.3039:
	s_and_not1_saveexec_b32 s6, s6
; %bb.3040:
	v_add_f32_e32 v1, 0x46800000, v4
; %bb.3041:
	s_or_b32 exec_lo, exec_lo, s6
                                        ; implicit-def: $vgpr4
.LBB166_3042:
	s_and_not1_saveexec_b32 s3, s3
; %bb.3043:
	v_mov_b32_e32 v1, 0x7f
	v_cmp_lt_u32_e32 vcc_lo, 0x7f800000, v4
	s_delay_alu instid0(VALU_DEP_2)
	v_cndmask_b32_e32 v1, 0x7e, v1, vcc_lo
; %bb.3044:
	s_or_b32 exec_lo, exec_lo, s3
	global_store_b8 v[2:3], v1, off
.LBB166_3045:
	s_mov_b32 s3, 0
.LBB166_3046:
	s_delay_alu instid0(SALU_CYCLE_1)
	s_and_not1_b32 vcc_lo, exec_lo, s3
	s_cbranch_vccnz .LBB166_3056
; %bb.3047:
	s_wait_xcnt 0x0
	v_cndmask_b32_e64 v4, 0, 1.0, s10
	s_mov_b32 s3, exec_lo
                                        ; implicit-def: $vgpr1
	s_delay_alu instid0(VALU_DEP_1)
	v_cmpx_gt_u32_e32 0x47800000, v4
	s_xor_b32 s3, exec_lo, s3
	s_cbranch_execz .LBB166_3053
; %bb.3048:
	s_mov_b32 s6, exec_lo
                                        ; implicit-def: $vgpr1
	v_cmpx_lt_u32_e32 0x387fffff, v4
	s_xor_b32 s6, exec_lo, s6
; %bb.3049:
	v_bfe_u32 v1, v4, 21, 1
	s_delay_alu instid0(VALU_DEP_1) | instskip(NEXT) | instid1(VALU_DEP_1)
	v_add3_u32 v1, v4, v1, 0x80fffff
                                        ; implicit-def: $vgpr4
	v_lshrrev_b32_e32 v1, 21, v1
; %bb.3050:
	s_and_not1_saveexec_b32 s6, s6
; %bb.3051:
	v_add_f32_e32 v1, 0x43000000, v4
; %bb.3052:
	s_or_b32 exec_lo, exec_lo, s6
                                        ; implicit-def: $vgpr4
.LBB166_3053:
	s_and_not1_saveexec_b32 s3, s3
; %bb.3054:
	v_mov_b32_e32 v1, 0x7f
	v_cmp_lt_u32_e32 vcc_lo, 0x7f800000, v4
	s_delay_alu instid0(VALU_DEP_2)
	v_cndmask_b32_e32 v1, 0x7c, v1, vcc_lo
; %bb.3055:
	s_or_b32 exec_lo, exec_lo, s3
	global_store_b8 v[2:3], v1, off
.LBB166_3056:
	s_mov_b32 s3, 0
	s_mov_b32 s6, -1
.LBB166_3057:
	s_and_not1_b32 vcc_lo, exec_lo, s3
	s_mov_b32 s3, 0
	s_cbranch_vccnz .LBB166_3064
; %bb.3058:
	s_cmp_gt_i32 s2, 14
	s_mov_b32 s3, -1
	s_cbranch_scc0 .LBB166_3062
; %bb.3059:
	s_cmp_eq_u32 s2, 15
	s_mov_b32 s0, -1
	s_cbranch_scc0 .LBB166_3061
; %bb.3060:
	s_wait_xcnt 0x0
	v_cndmask_b32_e64 v1, 0, 1.0, s10
	s_mov_b32 s0, 0
	s_mov_b32 s6, -1
	s_delay_alu instid0(VALU_DEP_1) | instskip(NEXT) | instid1(VALU_DEP_1)
	v_bfe_u32 v4, v1, 16, 1
	v_add3_u32 v1, v1, v4, 0x7fff
	global_store_d16_hi_b16 v[2:3], v1, off
.LBB166_3061:
	s_mov_b32 s3, 0
.LBB166_3062:
	s_delay_alu instid0(SALU_CYCLE_1)
	s_and_b32 vcc_lo, exec_lo, s3
	s_mov_b32 s3, 0
	s_cbranch_vccz .LBB166_3064
; %bb.3063:
	s_cmp_lg_u32 s2, 11
	s_mov_b32 s3, -1
	s_cselect_b32 s0, -1, 0
.LBB166_3064:
	s_delay_alu instid0(SALU_CYCLE_1)
	s_and_b32 vcc_lo, exec_lo, s0
	s_cbranch_vccnz .LBB166_3199
; %bb.3065:
	s_and_not1_b32 vcc_lo, exec_lo, s3
	s_cbranch_vccnz .LBB166_3067
.LBB166_3066:
	s_wait_xcnt 0x0
	v_cndmask_b32_e64 v1, 0, 1, s10
	s_mov_b32 s6, -1
	global_store_b8 v[2:3], v1, off
.LBB166_3067:
	s_mov_b32 s0, 0
	s_branch .LBB166_3069
.LBB166_3068:
	s_mov_b32 s0, -1
	s_mov_b32 s6, 0
.LBB166_3069:
	s_and_b32 vcc_lo, exec_lo, s0
	s_cbranch_vccz .LBB166_3108
; %bb.3070:
	s_and_b32 s0, 0xffff, s18
	s_mov_b32 s2, -1
	s_cmp_lt_i32 s0, 5
	s_cbranch_scc1 .LBB166_3091
; %bb.3071:
	s_cmp_lt_i32 s0, 8
	s_cbranch_scc1 .LBB166_3081
; %bb.3072:
	;; [unrolled: 3-line block ×3, first 2 shown]
	s_cmp_gt_i32 s0, 9
	s_cbranch_scc0 .LBB166_3075
; %bb.3074:
	s_wait_xcnt 0x0
	v_cndmask_b32_e64 v1, 0, 1, s10
	v_mov_b32_e32 v6, 0
	s_mov_b32 s2, 0
	s_delay_alu instid0(VALU_DEP_2) | instskip(NEXT) | instid1(VALU_DEP_2)
	v_cvt_f64_u32_e32 v[4:5], v1
	v_mov_b32_e32 v7, v6
	global_store_b128 v[2:3], v[4:7], off
.LBB166_3075:
	s_and_not1_b32 vcc_lo, exec_lo, s2
	s_cbranch_vccnz .LBB166_3077
; %bb.3076:
	s_wait_xcnt 0x0
	v_cndmask_b32_e64 v4, 0, 1.0, s10
	v_mov_b32_e32 v5, 0
	global_store_b64 v[2:3], v[4:5], off
.LBB166_3077:
	s_mov_b32 s2, 0
.LBB166_3078:
	s_delay_alu instid0(SALU_CYCLE_1)
	s_and_not1_b32 vcc_lo, exec_lo, s2
	s_cbranch_vccnz .LBB166_3080
; %bb.3079:
	s_wait_xcnt 0x0
	v_cndmask_b32_e64 v1, 0, 1.0, s10
	s_delay_alu instid0(VALU_DEP_1) | instskip(NEXT) | instid1(VALU_DEP_1)
	v_cvt_f16_f32_e32 v1, v1
	v_and_b32_e32 v1, 0xffff, v1
	global_store_b32 v[2:3], v1, off
.LBB166_3080:
	s_mov_b32 s2, 0
.LBB166_3081:
	s_delay_alu instid0(SALU_CYCLE_1)
	s_and_not1_b32 vcc_lo, exec_lo, s2
	s_cbranch_vccnz .LBB166_3090
; %bb.3082:
	s_cmp_lt_i32 s0, 6
	s_mov_b32 s2, -1
	s_cbranch_scc1 .LBB166_3088
; %bb.3083:
	s_cmp_gt_i32 s0, 6
	s_cbranch_scc0 .LBB166_3085
; %bb.3084:
	s_wait_xcnt 0x0
	v_cndmask_b32_e64 v1, 0, 1, s10
	s_mov_b32 s2, 0
	s_delay_alu instid0(VALU_DEP_1)
	v_cvt_f64_u32_e32 v[4:5], v1
	global_store_b64 v[2:3], v[4:5], off
.LBB166_3085:
	s_and_not1_b32 vcc_lo, exec_lo, s2
	s_cbranch_vccnz .LBB166_3087
; %bb.3086:
	s_wait_xcnt 0x0
	v_cndmask_b32_e64 v1, 0, 1.0, s10
	global_store_b32 v[2:3], v1, off
.LBB166_3087:
	s_mov_b32 s2, 0
.LBB166_3088:
	s_delay_alu instid0(SALU_CYCLE_1)
	s_and_not1_b32 vcc_lo, exec_lo, s2
	s_cbranch_vccnz .LBB166_3090
; %bb.3089:
	s_wait_xcnt 0x0
	v_cndmask_b32_e64 v1, 0, 1.0, s10
	s_delay_alu instid0(VALU_DEP_1)
	v_cvt_f16_f32_e32 v1, v1
	global_store_b16 v[2:3], v1, off
.LBB166_3090:
	s_mov_b32 s2, 0
.LBB166_3091:
	s_delay_alu instid0(SALU_CYCLE_1)
	s_and_not1_b32 vcc_lo, exec_lo, s2
	s_cbranch_vccnz .LBB166_3107
; %bb.3092:
	s_cmp_lt_i32 s0, 2
	s_mov_b32 s2, -1
	s_cbranch_scc1 .LBB166_3102
; %bb.3093:
	s_cmp_lt_i32 s0, 3
	s_cbranch_scc1 .LBB166_3099
; %bb.3094:
	s_cmp_gt_i32 s0, 3
	s_cbranch_scc0 .LBB166_3096
; %bb.3095:
	s_mov_b32 s2, 0
	s_wait_xcnt 0x0
	v_cndmask_b32_e64 v4, 0, 1, s10
	v_mov_b32_e32 v5, s2
	global_store_b64 v[2:3], v[4:5], off
.LBB166_3096:
	s_and_not1_b32 vcc_lo, exec_lo, s2
	s_cbranch_vccnz .LBB166_3098
; %bb.3097:
	s_wait_xcnt 0x0
	v_cndmask_b32_e64 v1, 0, 1, s10
	global_store_b32 v[2:3], v1, off
.LBB166_3098:
	s_mov_b32 s2, 0
.LBB166_3099:
	s_delay_alu instid0(SALU_CYCLE_1)
	s_and_not1_b32 vcc_lo, exec_lo, s2
	s_cbranch_vccnz .LBB166_3101
; %bb.3100:
	s_wait_xcnt 0x0
	v_cndmask_b32_e64 v1, 0, 1, s10
	global_store_b16 v[2:3], v1, off
.LBB166_3101:
	s_mov_b32 s2, 0
.LBB166_3102:
	s_delay_alu instid0(SALU_CYCLE_1)
	s_and_not1_b32 vcc_lo, exec_lo, s2
	s_cbranch_vccnz .LBB166_3107
; %bb.3103:
	s_wait_xcnt 0x0
	v_cndmask_b32_e64 v1, 0, 1, s10
	s_cmp_gt_i32 s0, 0
	s_mov_b32 s0, -1
	s_cbranch_scc0 .LBB166_3105
; %bb.3104:
	s_mov_b32 s0, 0
	global_store_b8 v[2:3], v1, off
.LBB166_3105:
	s_and_not1_b32 vcc_lo, exec_lo, s0
	s_cbranch_vccnz .LBB166_3107
; %bb.3106:
	global_store_b8 v[2:3], v1, off
.LBB166_3107:
	s_mov_b32 s6, -1
.LBB166_3108:
	s_delay_alu instid0(SALU_CYCLE_1)
	s_and_not1_b32 vcc_lo, exec_lo, s6
	s_cbranch_vccnz .LBB166_3185
; %bb.3109:
	v_add_nc_u32_e32 v0, s1, v0
	s_cmp_lt_i32 s18, 11
	s_wait_xcnt 0x0
	s_delay_alu instid0(VALU_DEP_1) | instskip(NEXT) | instid1(VALU_DEP_1)
	v_ashrrev_i32_e32 v1, 31, v0
	v_add_nc_u64_e32 v[0:1], s[4:5], v[0:1]
	s_cbranch_scc1 .LBB166_3186
; %bb.3110:
	s_and_b32 s1, 0xffff, s18
	s_mov_b32 s3, -1
	s_mov_b32 s2, 0
	s_cmp_gt_i32 s1, 25
	s_mov_b32 s0, 0
	s_cbranch_scc0 .LBB166_3143
; %bb.3111:
	s_cmp_gt_i32 s1, 28
	s_cbranch_scc0 .LBB166_3127
; %bb.3112:
	s_cmp_gt_i32 s1, 43
	;; [unrolled: 3-line block ×3, first 2 shown]
	s_cbranch_scc0 .LBB166_3117
; %bb.3114:
	s_cmp_eq_u32 s1, 46
	s_mov_b32 s0, -1
	s_cbranch_scc0 .LBB166_3116
; %bb.3115:
	v_cndmask_b32_e64 v2, 0, 1.0, s17
	s_mov_b32 s0, 0
	s_delay_alu instid0(VALU_DEP_1) | instskip(NEXT) | instid1(VALU_DEP_1)
	v_bfe_u32 v3, v2, 16, 1
	v_add3_u32 v2, v2, v3, 0x7fff
	s_delay_alu instid0(VALU_DEP_1)
	v_lshrrev_b32_e32 v2, 16, v2
	global_store_b32 v[0:1], v2, off
.LBB166_3116:
	s_mov_b32 s3, 0
.LBB166_3117:
	s_delay_alu instid0(SALU_CYCLE_1)
	s_and_b32 vcc_lo, exec_lo, s3
	s_cbranch_vccz .LBB166_3122
; %bb.3118:
	s_cmp_eq_u32 s1, 44
	s_mov_b32 s0, -1
	s_cbranch_scc0 .LBB166_3122
; %bb.3119:
	v_cndmask_b32_e64 v4, 0, 1.0, s17
	s_mov_b32 s3, exec_lo
	s_wait_xcnt 0x0
	s_delay_alu instid0(VALU_DEP_1) | instskip(NEXT) | instid1(VALU_DEP_1)
	v_dual_mov_b32 v3, 0xff :: v_dual_lshrrev_b32 v2, 23, v4
	v_cmpx_ne_u32_e32 0xff, v2
; %bb.3120:
	v_and_b32_e32 v3, 0x400000, v4
	v_and_or_b32 v4, 0x3fffff, v4, v2
	s_delay_alu instid0(VALU_DEP_2) | instskip(NEXT) | instid1(VALU_DEP_2)
	v_cmp_ne_u32_e32 vcc_lo, 0, v3
	v_cmp_ne_u32_e64 s0, 0, v4
	s_and_b32 s0, vcc_lo, s0
	s_delay_alu instid0(SALU_CYCLE_1) | instskip(NEXT) | instid1(VALU_DEP_1)
	v_cndmask_b32_e64 v3, 0, 1, s0
	v_add_nc_u32_e32 v3, v2, v3
; %bb.3121:
	s_or_b32 exec_lo, exec_lo, s3
	s_mov_b32 s0, 0
	global_store_b8 v[0:1], v3, off
.LBB166_3122:
	s_mov_b32 s3, 0
.LBB166_3123:
	s_delay_alu instid0(SALU_CYCLE_1)
	s_and_b32 vcc_lo, exec_lo, s3
	s_cbranch_vccz .LBB166_3126
; %bb.3124:
	s_cmp_eq_u32 s1, 29
	s_mov_b32 s0, -1
	s_cbranch_scc0 .LBB166_3126
; %bb.3125:
	s_mov_b32 s0, 0
	s_wait_xcnt 0x0
	v_cndmask_b32_e64 v2, 0, 1, s17
	v_mov_b32_e32 v3, s0
	global_store_b64 v[0:1], v[2:3], off
.LBB166_3126:
	s_mov_b32 s3, 0
.LBB166_3127:
	s_delay_alu instid0(SALU_CYCLE_1)
	s_and_b32 vcc_lo, exec_lo, s3
	s_cbranch_vccz .LBB166_3142
; %bb.3128:
	s_cmp_lt_i32 s1, 27
	s_mov_b32 s3, -1
	s_cbranch_scc1 .LBB166_3134
; %bb.3129:
	s_wait_xcnt 0x0
	v_cndmask_b32_e64 v2, 0, 1, s17
	s_cmp_gt_i32 s1, 27
	s_cbranch_scc0 .LBB166_3131
; %bb.3130:
	s_mov_b32 s3, 0
	global_store_b32 v[0:1], v2, off
.LBB166_3131:
	s_and_not1_b32 vcc_lo, exec_lo, s3
	s_cbranch_vccnz .LBB166_3133
; %bb.3132:
	global_store_b16 v[0:1], v2, off
.LBB166_3133:
	s_mov_b32 s3, 0
.LBB166_3134:
	s_delay_alu instid0(SALU_CYCLE_1)
	s_and_not1_b32 vcc_lo, exec_lo, s3
	s_cbranch_vccnz .LBB166_3142
; %bb.3135:
	s_wait_xcnt 0x0
	v_cndmask_b32_e64 v3, 0, 1.0, s17
	v_mov_b32_e32 v4, 0x80
	s_mov_b32 s3, exec_lo
	s_delay_alu instid0(VALU_DEP_2)
	v_cmpx_gt_u32_e32 0x43800000, v3
	s_cbranch_execz .LBB166_3141
; %bb.3136:
	s_mov_b32 s4, 0
	s_mov_b32 s5, exec_lo
                                        ; implicit-def: $vgpr2
	v_cmpx_lt_u32_e32 0x3bffffff, v3
	s_xor_b32 s5, exec_lo, s5
	s_cbranch_execz .LBB166_3202
; %bb.3137:
	v_bfe_u32 v2, v3, 20, 1
	s_mov_b32 s4, exec_lo
	s_delay_alu instid0(VALU_DEP_1) | instskip(NEXT) | instid1(VALU_DEP_1)
	v_add3_u32 v2, v3, v2, 0x487ffff
                                        ; implicit-def: $vgpr3
	v_lshrrev_b32_e32 v2, 20, v2
	s_and_not1_saveexec_b32 s5, s5
	s_cbranch_execnz .LBB166_3203
.LBB166_3138:
	s_or_b32 exec_lo, exec_lo, s5
	v_mov_b32_e32 v4, 0
	s_and_saveexec_b32 s5, s4
.LBB166_3139:
	v_mov_b32_e32 v4, v2
.LBB166_3140:
	s_or_b32 exec_lo, exec_lo, s5
.LBB166_3141:
	s_delay_alu instid0(SALU_CYCLE_1)
	s_or_b32 exec_lo, exec_lo, s3
	global_store_b8 v[0:1], v4, off
.LBB166_3142:
	s_mov_b32 s3, 0
.LBB166_3143:
	s_delay_alu instid0(SALU_CYCLE_1)
	s_and_b32 vcc_lo, exec_lo, s3
	s_cbranch_vccz .LBB166_3183
; %bb.3144:
	s_cmp_gt_i32 s1, 22
	s_mov_b32 s2, -1
	s_cbranch_scc0 .LBB166_3176
; %bb.3145:
	s_cmp_lt_i32 s1, 24
	s_cbranch_scc1 .LBB166_3165
; %bb.3146:
	s_cmp_gt_i32 s1, 24
	s_cbranch_scc0 .LBB166_3154
; %bb.3147:
	s_wait_xcnt 0x0
	v_cndmask_b32_e64 v3, 0, 1.0, s17
	v_mov_b32_e32 v4, 0x80
	s_mov_b32 s2, exec_lo
	s_delay_alu instid0(VALU_DEP_2)
	v_cmpx_gt_u32_e32 0x47800000, v3
	s_cbranch_execz .LBB166_3153
; %bb.3148:
	s_mov_b32 s3, 0
	s_mov_b32 s4, exec_lo
                                        ; implicit-def: $vgpr2
	v_cmpx_lt_u32_e32 0x37ffffff, v3
	s_xor_b32 s4, exec_lo, s4
	s_cbranch_execz .LBB166_3205
; %bb.3149:
	v_bfe_u32 v2, v3, 21, 1
	s_mov_b32 s3, exec_lo
	s_delay_alu instid0(VALU_DEP_1) | instskip(NEXT) | instid1(VALU_DEP_1)
	v_add3_u32 v2, v3, v2, 0x88fffff
                                        ; implicit-def: $vgpr3
	v_lshrrev_b32_e32 v2, 21, v2
	s_and_not1_saveexec_b32 s4, s4
	s_cbranch_execnz .LBB166_3206
.LBB166_3150:
	s_or_b32 exec_lo, exec_lo, s4
	v_mov_b32_e32 v4, 0
	s_and_saveexec_b32 s4, s3
.LBB166_3151:
	v_mov_b32_e32 v4, v2
.LBB166_3152:
	s_or_b32 exec_lo, exec_lo, s4
.LBB166_3153:
	s_delay_alu instid0(SALU_CYCLE_1)
	s_or_b32 exec_lo, exec_lo, s2
	s_mov_b32 s2, 0
	global_store_b8 v[0:1], v4, off
.LBB166_3154:
	s_and_b32 vcc_lo, exec_lo, s2
	s_cbranch_vccz .LBB166_3164
; %bb.3155:
	s_wait_xcnt 0x0
	v_cndmask_b32_e64 v3, 0, 1.0, s17
	s_mov_b32 s2, exec_lo
                                        ; implicit-def: $vgpr2
	s_delay_alu instid0(VALU_DEP_1)
	v_cmpx_gt_u32_e32 0x43f00000, v3
	s_xor_b32 s2, exec_lo, s2
	s_cbranch_execz .LBB166_3161
; %bb.3156:
	s_mov_b32 s3, exec_lo
                                        ; implicit-def: $vgpr2
	v_cmpx_lt_u32_e32 0x3c7fffff, v3
	s_xor_b32 s3, exec_lo, s3
; %bb.3157:
	v_bfe_u32 v2, v3, 20, 1
	s_delay_alu instid0(VALU_DEP_1) | instskip(NEXT) | instid1(VALU_DEP_1)
	v_add3_u32 v2, v3, v2, 0x407ffff
	v_and_b32_e32 v3, 0xff00000, v2
	v_lshrrev_b32_e32 v2, 20, v2
	s_delay_alu instid0(VALU_DEP_2) | instskip(NEXT) | instid1(VALU_DEP_2)
	v_cmp_ne_u32_e32 vcc_lo, 0x7f00000, v3
                                        ; implicit-def: $vgpr3
	v_cndmask_b32_e32 v2, 0x7e, v2, vcc_lo
; %bb.3158:
	s_and_not1_saveexec_b32 s3, s3
; %bb.3159:
	v_add_f32_e32 v2, 0x46800000, v3
; %bb.3160:
	s_or_b32 exec_lo, exec_lo, s3
                                        ; implicit-def: $vgpr3
.LBB166_3161:
	s_and_not1_saveexec_b32 s2, s2
; %bb.3162:
	v_mov_b32_e32 v2, 0x7f
	v_cmp_lt_u32_e32 vcc_lo, 0x7f800000, v3
	s_delay_alu instid0(VALU_DEP_2)
	v_cndmask_b32_e32 v2, 0x7e, v2, vcc_lo
; %bb.3163:
	s_or_b32 exec_lo, exec_lo, s2
	global_store_b8 v[0:1], v2, off
.LBB166_3164:
	s_mov_b32 s2, 0
.LBB166_3165:
	s_delay_alu instid0(SALU_CYCLE_1)
	s_and_not1_b32 vcc_lo, exec_lo, s2
	s_cbranch_vccnz .LBB166_3175
; %bb.3166:
	s_wait_xcnt 0x0
	v_cndmask_b32_e64 v3, 0, 1.0, s17
	s_mov_b32 s2, exec_lo
                                        ; implicit-def: $vgpr2
	s_delay_alu instid0(VALU_DEP_1)
	v_cmpx_gt_u32_e32 0x47800000, v3
	s_xor_b32 s2, exec_lo, s2
	s_cbranch_execz .LBB166_3172
; %bb.3167:
	s_mov_b32 s3, exec_lo
                                        ; implicit-def: $vgpr2
	v_cmpx_lt_u32_e32 0x387fffff, v3
	s_xor_b32 s3, exec_lo, s3
; %bb.3168:
	v_bfe_u32 v2, v3, 21, 1
	s_delay_alu instid0(VALU_DEP_1) | instskip(NEXT) | instid1(VALU_DEP_1)
	v_add3_u32 v2, v3, v2, 0x80fffff
                                        ; implicit-def: $vgpr3
	v_lshrrev_b32_e32 v2, 21, v2
; %bb.3169:
	s_and_not1_saveexec_b32 s3, s3
; %bb.3170:
	v_add_f32_e32 v2, 0x43000000, v3
; %bb.3171:
	s_or_b32 exec_lo, exec_lo, s3
                                        ; implicit-def: $vgpr3
.LBB166_3172:
	s_and_not1_saveexec_b32 s2, s2
; %bb.3173:
	v_mov_b32_e32 v2, 0x7f
	v_cmp_lt_u32_e32 vcc_lo, 0x7f800000, v3
	s_delay_alu instid0(VALU_DEP_2)
	v_cndmask_b32_e32 v2, 0x7c, v2, vcc_lo
; %bb.3174:
	s_or_b32 exec_lo, exec_lo, s2
	global_store_b8 v[0:1], v2, off
.LBB166_3175:
	s_mov_b32 s2, 0
.LBB166_3176:
	s_delay_alu instid0(SALU_CYCLE_1)
	s_and_not1_b32 vcc_lo, exec_lo, s2
	s_mov_b32 s2, 0
	s_cbranch_vccnz .LBB166_3183
; %bb.3177:
	s_cmp_gt_i32 s1, 14
	s_mov_b32 s2, -1
	s_cbranch_scc0 .LBB166_3181
; %bb.3178:
	s_cmp_eq_u32 s1, 15
	s_mov_b32 s0, -1
	s_cbranch_scc0 .LBB166_3180
; %bb.3179:
	s_wait_xcnt 0x0
	v_cndmask_b32_e64 v2, 0, 1.0, s17
	s_mov_b32 s0, 0
	s_delay_alu instid0(VALU_DEP_1) | instskip(NEXT) | instid1(VALU_DEP_1)
	v_bfe_u32 v3, v2, 16, 1
	v_add3_u32 v2, v2, v3, 0x7fff
	global_store_d16_hi_b16 v[0:1], v2, off
.LBB166_3180:
	s_mov_b32 s2, 0
.LBB166_3181:
	s_delay_alu instid0(SALU_CYCLE_1)
	s_and_b32 vcc_lo, exec_lo, s2
	s_mov_b32 s2, 0
	s_cbranch_vccz .LBB166_3183
; %bb.3182:
	s_cmp_lg_u32 s1, 11
	s_mov_b32 s2, -1
	s_cselect_b32 s0, -1, 0
.LBB166_3183:
	s_delay_alu instid0(SALU_CYCLE_1)
	s_and_b32 vcc_lo, exec_lo, s0
	s_cbranch_vccnz .LBB166_3204
.LBB166_3184:
	s_mov_b32 s0, 0
	s_branch .LBB166_2705
.LBB166_3185:
	s_mov_b32 s0, 0
	s_mov_b32 s2, 0
	s_branch .LBB166_2704
.LBB166_3186:
	s_mov_b32 s2, 0
	s_mov_b32 s0, -1
	s_branch .LBB166_2705
.LBB166_3187:
	s_and_not1_saveexec_b32 s11, s11
	s_cbranch_execz .LBB166_2780
.LBB166_3188:
	v_add_f32_e32 v1, 0x46000000, v4
	s_and_not1_b32 s7, s7, exec_lo
	s_delay_alu instid0(VALU_DEP_1) | instskip(NEXT) | instid1(VALU_DEP_1)
	v_and_b32_e32 v1, 0xff, v1
	v_cmp_ne_u32_e32 vcc_lo, 0, v1
	s_and_b32 s12, vcc_lo, exec_lo
	s_delay_alu instid0(SALU_CYCLE_1)
	s_or_b32 s7, s7, s12
	s_or_b32 exec_lo, exec_lo, s11
	v_mov_b32_e32 v5, 0
	s_and_saveexec_b32 s11, s7
	s_cbranch_execnz .LBB166_2781
	s_branch .LBB166_2782
.LBB166_3189:
	s_or_b32 s13, s13, exec_lo
	s_trap 2
	s_cbranch_execz .LBB166_2828
	s_branch .LBB166_2829
.LBB166_3190:
	s_and_not1_saveexec_b32 s7, s7
	s_cbranch_execz .LBB166_2793
.LBB166_3191:
	v_add_f32_e32 v1, 0x42800000, v4
	s_and_not1_b32 s6, s6, exec_lo
	s_delay_alu instid0(VALU_DEP_1) | instskip(NEXT) | instid1(VALU_DEP_1)
	v_and_b32_e32 v1, 0xff, v1
	v_cmp_ne_u32_e32 vcc_lo, 0, v1
	s_and_b32 s11, vcc_lo, exec_lo
	s_delay_alu instid0(SALU_CYCLE_1)
	s_or_b32 s6, s6, s11
	s_or_b32 exec_lo, exec_lo, s7
	v_mov_b32_e32 v5, 0
	s_and_saveexec_b32 s7, s6
	s_cbranch_execnz .LBB166_2794
	s_branch .LBB166_2795
.LBB166_3192:
	s_and_not1_saveexec_b32 s8, s8
	s_cbranch_execz .LBB166_2899
.LBB166_3193:
	v_add_f32_e32 v1, 0x46000000, v4
	s_and_not1_b32 s7, s7, exec_lo
	s_delay_alu instid0(VALU_DEP_1) | instskip(NEXT) | instid1(VALU_DEP_1)
	v_and_b32_e32 v1, 0xff, v1
	v_cmp_ne_u32_e32 vcc_lo, 0, v1
	s_and_b32 s11, vcc_lo, exec_lo
	s_delay_alu instid0(SALU_CYCLE_1)
	s_or_b32 s7, s7, s11
	s_or_b32 exec_lo, exec_lo, s8
	v_mov_b32_e32 v5, 0
	s_and_saveexec_b32 s8, s7
	s_cbranch_execnz .LBB166_2900
	s_branch .LBB166_2901
.LBB166_3194:
	s_or_b32 s13, s13, exec_lo
	s_trap 2
	s_cbranch_execz .LBB166_2947
	s_branch .LBB166_2948
.LBB166_3195:
	s_and_not1_saveexec_b32 s7, s7
	s_cbranch_execz .LBB166_2912
.LBB166_3196:
	v_add_f32_e32 v1, 0x42800000, v4
	s_and_not1_b32 s6, s6, exec_lo
	s_delay_alu instid0(VALU_DEP_1) | instskip(NEXT) | instid1(VALU_DEP_1)
	v_and_b32_e32 v1, 0xff, v1
	v_cmp_ne_u32_e32 vcc_lo, 0, v1
	s_and_b32 s8, vcc_lo, exec_lo
	s_delay_alu instid0(SALU_CYCLE_1)
	s_or_b32 s6, s6, s8
	s_or_b32 exec_lo, exec_lo, s7
	v_mov_b32_e32 v5, 0
	s_and_saveexec_b32 s7, s6
	s_cbranch_execnz .LBB166_2913
	s_branch .LBB166_2914
.LBB166_3197:
	s_and_not1_saveexec_b32 s8, s8
	s_cbranch_execz .LBB166_3018
.LBB166_3198:
	v_add_f32_e32 v1, 0x46000000, v4
	s_and_not1_b32 s7, s7, exec_lo
	s_delay_alu instid0(VALU_DEP_1) | instskip(NEXT) | instid1(VALU_DEP_1)
	v_and_b32_e32 v1, 0xff, v1
	v_cmp_ne_u32_e32 vcc_lo, 0, v1
	s_and_b32 s9, vcc_lo, exec_lo
	s_delay_alu instid0(SALU_CYCLE_1)
	s_or_b32 s7, s7, s9
	s_or_b32 exec_lo, exec_lo, s8
	v_mov_b32_e32 v5, 0
	s_and_saveexec_b32 s8, s7
	s_cbranch_execnz .LBB166_3019
	s_branch .LBB166_3020
.LBB166_3199:
	s_or_b32 s13, s13, exec_lo
	s_trap 2
	s_cbranch_execz .LBB166_3066
	s_branch .LBB166_3067
.LBB166_3200:
	s_and_not1_saveexec_b32 s7, s7
	s_cbranch_execz .LBB166_3031
.LBB166_3201:
	v_add_f32_e32 v1, 0x42800000, v4
	s_and_not1_b32 s6, s6, exec_lo
	s_delay_alu instid0(VALU_DEP_1) | instskip(NEXT) | instid1(VALU_DEP_1)
	v_and_b32_e32 v1, 0xff, v1
	v_cmp_ne_u32_e32 vcc_lo, 0, v1
	s_and_b32 s8, vcc_lo, exec_lo
	s_delay_alu instid0(SALU_CYCLE_1)
	s_or_b32 s6, s6, s8
	s_or_b32 exec_lo, exec_lo, s7
	v_mov_b32_e32 v5, 0
	s_and_saveexec_b32 s7, s6
	s_cbranch_execnz .LBB166_3032
	s_branch .LBB166_3033
.LBB166_3202:
	s_and_not1_saveexec_b32 s5, s5
	s_cbranch_execz .LBB166_3138
.LBB166_3203:
	v_add_f32_e32 v2, 0x46000000, v3
	s_and_not1_b32 s4, s4, exec_lo
	s_delay_alu instid0(VALU_DEP_1) | instskip(NEXT) | instid1(VALU_DEP_1)
	v_and_b32_e32 v2, 0xff, v2
	v_cmp_ne_u32_e32 vcc_lo, 0, v2
	s_and_b32 s6, vcc_lo, exec_lo
	s_delay_alu instid0(SALU_CYCLE_1)
	s_or_b32 s4, s4, s6
	s_or_b32 exec_lo, exec_lo, s5
	v_mov_b32_e32 v4, 0
	s_and_saveexec_b32 s5, s4
	s_cbranch_execnz .LBB166_3139
	s_branch .LBB166_3140
.LBB166_3204:
	s_mov_b32 s2, 0
	s_or_b32 s13, s13, exec_lo
	s_trap 2
	s_branch .LBB166_3184
.LBB166_3205:
	s_and_not1_saveexec_b32 s4, s4
	s_cbranch_execz .LBB166_3150
.LBB166_3206:
	v_add_f32_e32 v2, 0x42800000, v3
	s_and_not1_b32 s3, s3, exec_lo
	s_delay_alu instid0(VALU_DEP_1) | instskip(NEXT) | instid1(VALU_DEP_1)
	v_and_b32_e32 v2, 0xff, v2
	v_cmp_ne_u32_e32 vcc_lo, 0, v2
	s_and_b32 s5, vcc_lo, exec_lo
	s_delay_alu instid0(SALU_CYCLE_1)
	s_or_b32 s3, s3, s5
	s_or_b32 exec_lo, exec_lo, s4
	v_mov_b32_e32 v4, 0
	s_and_saveexec_b32 s4, s3
	s_cbranch_execnz .LBB166_3151
	s_branch .LBB166_3152
	.section	.rodata,"a",@progbits
	.p2align	6, 0x0
	.amdhsa_kernel _ZN2at6native32elementwise_kernel_manual_unrollILi128ELi4EZNS0_15gpu_kernel_implINS0_13BinaryFunctorIN3c107complexINS4_8BFloat16EEES7_bNS0_12_GLOBAL__N_116CompareEqFunctorIS7_EEEEEEvRNS_18TensorIteratorBaseERKT_EUlibE_EEviT1_
		.amdhsa_group_segment_fixed_size 0
		.amdhsa_private_segment_fixed_size 0
		.amdhsa_kernarg_size 56
		.amdhsa_user_sgpr_count 2
		.amdhsa_user_sgpr_dispatch_ptr 0
		.amdhsa_user_sgpr_queue_ptr 0
		.amdhsa_user_sgpr_kernarg_segment_ptr 1
		.amdhsa_user_sgpr_dispatch_id 0
		.amdhsa_user_sgpr_kernarg_preload_length 0
		.amdhsa_user_sgpr_kernarg_preload_offset 0
		.amdhsa_user_sgpr_private_segment_size 0
		.amdhsa_wavefront_size32 1
		.amdhsa_uses_dynamic_stack 0
		.amdhsa_enable_private_segment 0
		.amdhsa_system_sgpr_workgroup_id_x 1
		.amdhsa_system_sgpr_workgroup_id_y 0
		.amdhsa_system_sgpr_workgroup_id_z 0
		.amdhsa_system_sgpr_workgroup_info 0
		.amdhsa_system_vgpr_workitem_id 0
		.amdhsa_next_free_vgpr 13
		.amdhsa_next_free_sgpr 37
		.amdhsa_named_barrier_count 0
		.amdhsa_reserve_vcc 1
		.amdhsa_float_round_mode_32 0
		.amdhsa_float_round_mode_16_64 0
		.amdhsa_float_denorm_mode_32 3
		.amdhsa_float_denorm_mode_16_64 3
		.amdhsa_fp16_overflow 0
		.amdhsa_memory_ordered 1
		.amdhsa_forward_progress 1
		.amdhsa_inst_pref_size 255
		.amdhsa_round_robin_scheduling 0
		.amdhsa_exception_fp_ieee_invalid_op 0
		.amdhsa_exception_fp_denorm_src 0
		.amdhsa_exception_fp_ieee_div_zero 0
		.amdhsa_exception_fp_ieee_overflow 0
		.amdhsa_exception_fp_ieee_underflow 0
		.amdhsa_exception_fp_ieee_inexact 0
		.amdhsa_exception_int_div_zero 0
	.end_amdhsa_kernel
	.section	.text._ZN2at6native32elementwise_kernel_manual_unrollILi128ELi4EZNS0_15gpu_kernel_implINS0_13BinaryFunctorIN3c107complexINS4_8BFloat16EEES7_bNS0_12_GLOBAL__N_116CompareEqFunctorIS7_EEEEEEvRNS_18TensorIteratorBaseERKT_EUlibE_EEviT1_,"axG",@progbits,_ZN2at6native32elementwise_kernel_manual_unrollILi128ELi4EZNS0_15gpu_kernel_implINS0_13BinaryFunctorIN3c107complexINS4_8BFloat16EEES7_bNS0_12_GLOBAL__N_116CompareEqFunctorIS7_EEEEEEvRNS_18TensorIteratorBaseERKT_EUlibE_EEviT1_,comdat
.Lfunc_end166:
	.size	_ZN2at6native32elementwise_kernel_manual_unrollILi128ELi4EZNS0_15gpu_kernel_implINS0_13BinaryFunctorIN3c107complexINS4_8BFloat16EEES7_bNS0_12_GLOBAL__N_116CompareEqFunctorIS7_EEEEEEvRNS_18TensorIteratorBaseERKT_EUlibE_EEviT1_, .Lfunc_end166-_ZN2at6native32elementwise_kernel_manual_unrollILi128ELi4EZNS0_15gpu_kernel_implINS0_13BinaryFunctorIN3c107complexINS4_8BFloat16EEES7_bNS0_12_GLOBAL__N_116CompareEqFunctorIS7_EEEEEEvRNS_18TensorIteratorBaseERKT_EUlibE_EEviT1_
                                        ; -- End function
	.set _ZN2at6native32elementwise_kernel_manual_unrollILi128ELi4EZNS0_15gpu_kernel_implINS0_13BinaryFunctorIN3c107complexINS4_8BFloat16EEES7_bNS0_12_GLOBAL__N_116CompareEqFunctorIS7_EEEEEEvRNS_18TensorIteratorBaseERKT_EUlibE_EEviT1_.num_vgpr, 13
	.set _ZN2at6native32elementwise_kernel_manual_unrollILi128ELi4EZNS0_15gpu_kernel_implINS0_13BinaryFunctorIN3c107complexINS4_8BFloat16EEES7_bNS0_12_GLOBAL__N_116CompareEqFunctorIS7_EEEEEEvRNS_18TensorIteratorBaseERKT_EUlibE_EEviT1_.num_agpr, 0
	.set _ZN2at6native32elementwise_kernel_manual_unrollILi128ELi4EZNS0_15gpu_kernel_implINS0_13BinaryFunctorIN3c107complexINS4_8BFloat16EEES7_bNS0_12_GLOBAL__N_116CompareEqFunctorIS7_EEEEEEvRNS_18TensorIteratorBaseERKT_EUlibE_EEviT1_.numbered_sgpr, 37
	.set _ZN2at6native32elementwise_kernel_manual_unrollILi128ELi4EZNS0_15gpu_kernel_implINS0_13BinaryFunctorIN3c107complexINS4_8BFloat16EEES7_bNS0_12_GLOBAL__N_116CompareEqFunctorIS7_EEEEEEvRNS_18TensorIteratorBaseERKT_EUlibE_EEviT1_.num_named_barrier, 0
	.set _ZN2at6native32elementwise_kernel_manual_unrollILi128ELi4EZNS0_15gpu_kernel_implINS0_13BinaryFunctorIN3c107complexINS4_8BFloat16EEES7_bNS0_12_GLOBAL__N_116CompareEqFunctorIS7_EEEEEEvRNS_18TensorIteratorBaseERKT_EUlibE_EEviT1_.private_seg_size, 0
	.set _ZN2at6native32elementwise_kernel_manual_unrollILi128ELi4EZNS0_15gpu_kernel_implINS0_13BinaryFunctorIN3c107complexINS4_8BFloat16EEES7_bNS0_12_GLOBAL__N_116CompareEqFunctorIS7_EEEEEEvRNS_18TensorIteratorBaseERKT_EUlibE_EEviT1_.uses_vcc, 1
	.set _ZN2at6native32elementwise_kernel_manual_unrollILi128ELi4EZNS0_15gpu_kernel_implINS0_13BinaryFunctorIN3c107complexINS4_8BFloat16EEES7_bNS0_12_GLOBAL__N_116CompareEqFunctorIS7_EEEEEEvRNS_18TensorIteratorBaseERKT_EUlibE_EEviT1_.uses_flat_scratch, 0
	.set _ZN2at6native32elementwise_kernel_manual_unrollILi128ELi4EZNS0_15gpu_kernel_implINS0_13BinaryFunctorIN3c107complexINS4_8BFloat16EEES7_bNS0_12_GLOBAL__N_116CompareEqFunctorIS7_EEEEEEvRNS_18TensorIteratorBaseERKT_EUlibE_EEviT1_.has_dyn_sized_stack, 0
	.set _ZN2at6native32elementwise_kernel_manual_unrollILi128ELi4EZNS0_15gpu_kernel_implINS0_13BinaryFunctorIN3c107complexINS4_8BFloat16EEES7_bNS0_12_GLOBAL__N_116CompareEqFunctorIS7_EEEEEEvRNS_18TensorIteratorBaseERKT_EUlibE_EEviT1_.has_recursion, 0
	.set _ZN2at6native32elementwise_kernel_manual_unrollILi128ELi4EZNS0_15gpu_kernel_implINS0_13BinaryFunctorIN3c107complexINS4_8BFloat16EEES7_bNS0_12_GLOBAL__N_116CompareEqFunctorIS7_EEEEEEvRNS_18TensorIteratorBaseERKT_EUlibE_EEviT1_.has_indirect_call, 0
	.section	.AMDGPU.csdata,"",@progbits
; Kernel info:
; codeLenInByte = 70528
; TotalNumSgprs: 39
; NumVgprs: 13
; ScratchSize: 0
; MemoryBound: 0
; FloatMode: 240
; IeeeMode: 1
; LDSByteSize: 0 bytes/workgroup (compile time only)
; SGPRBlocks: 0
; VGPRBlocks: 0
; NumSGPRsForWavesPerEU: 39
; NumVGPRsForWavesPerEU: 13
; NamedBarCnt: 0
; Occupancy: 16
; WaveLimiterHint : 0
; COMPUTE_PGM_RSRC2:SCRATCH_EN: 0
; COMPUTE_PGM_RSRC2:USER_SGPR: 2
; COMPUTE_PGM_RSRC2:TRAP_HANDLER: 0
; COMPUTE_PGM_RSRC2:TGID_X_EN: 1
; COMPUTE_PGM_RSRC2:TGID_Y_EN: 0
; COMPUTE_PGM_RSRC2:TGID_Z_EN: 0
; COMPUTE_PGM_RSRC2:TIDIG_COMP_CNT: 0
	.section	.text._ZN2at6native32elementwise_kernel_manual_unrollILi128ELi4EZNS0_15gpu_kernel_implINS0_13BinaryFunctorIN3c107complexINS4_8BFloat16EEES7_bNS0_12_GLOBAL__N_116CompareEqFunctorIS7_EEEEEEvRNS_18TensorIteratorBaseERKT_EUlibE0_EEviT1_,"axG",@progbits,_ZN2at6native32elementwise_kernel_manual_unrollILi128ELi4EZNS0_15gpu_kernel_implINS0_13BinaryFunctorIN3c107complexINS4_8BFloat16EEES7_bNS0_12_GLOBAL__N_116CompareEqFunctorIS7_EEEEEEvRNS_18TensorIteratorBaseERKT_EUlibE0_EEviT1_,comdat
	.globl	_ZN2at6native32elementwise_kernel_manual_unrollILi128ELi4EZNS0_15gpu_kernel_implINS0_13BinaryFunctorIN3c107complexINS4_8BFloat16EEES7_bNS0_12_GLOBAL__N_116CompareEqFunctorIS7_EEEEEEvRNS_18TensorIteratorBaseERKT_EUlibE0_EEviT1_ ; -- Begin function _ZN2at6native32elementwise_kernel_manual_unrollILi128ELi4EZNS0_15gpu_kernel_implINS0_13BinaryFunctorIN3c107complexINS4_8BFloat16EEES7_bNS0_12_GLOBAL__N_116CompareEqFunctorIS7_EEEEEEvRNS_18TensorIteratorBaseERKT_EUlibE0_EEviT1_
	.p2align	8
	.type	_ZN2at6native32elementwise_kernel_manual_unrollILi128ELi4EZNS0_15gpu_kernel_implINS0_13BinaryFunctorIN3c107complexINS4_8BFloat16EEES7_bNS0_12_GLOBAL__N_116CompareEqFunctorIS7_EEEEEEvRNS_18TensorIteratorBaseERKT_EUlibE0_EEviT1_,@function
_ZN2at6native32elementwise_kernel_manual_unrollILi128ELi4EZNS0_15gpu_kernel_implINS0_13BinaryFunctorIN3c107complexINS4_8BFloat16EEES7_bNS0_12_GLOBAL__N_116CompareEqFunctorIS7_EEEEEEvRNS_18TensorIteratorBaseERKT_EUlibE0_EEviT1_: ; @_ZN2at6native32elementwise_kernel_manual_unrollILi128ELi4EZNS0_15gpu_kernel_implINS0_13BinaryFunctorIN3c107complexINS4_8BFloat16EEES7_bNS0_12_GLOBAL__N_116CompareEqFunctorIS7_EEEEEEvRNS_18TensorIteratorBaseERKT_EUlibE0_EEviT1_
; %bb.0:
	s_clause 0x1
	s_load_b32 s28, s[0:1], 0x8
	s_load_b32 s37, s[0:1], 0x0
	s_bfe_u32 s2, ttmp6, 0x4000c
	s_and_b32 s3, ttmp6, 15
	s_add_co_i32 s2, s2, 1
	s_getreg_b32 s4, hwreg(HW_REG_IB_STS2, 6, 4)
	s_mul_i32 s2, ttmp9, s2
	s_mov_b32 s30, 0
	s_add_co_i32 s3, s3, s2
	s_cmp_eq_u32 s4, 0
	s_mov_b32 s43, -1
	s_cselect_b32 s2, ttmp9, s3
	s_mov_b32 s10, 0
	v_lshl_or_b32 v0, s2, 9, v0
	s_add_nc_u64 s[2:3], s[0:1], 8
	s_wait_xcnt 0x0
	s_mov_b32 s0, exec_lo
	s_delay_alu instid0(VALU_DEP_1) | instskip(SKIP_2) | instid1(SALU_CYCLE_1)
	v_or_b32_e32 v1, 0x180, v0
	s_wait_kmcnt 0x0
	s_add_co_i32 s29, s28, -1
	s_cmp_gt_u32 s29, 1
	s_cselect_b32 s31, -1, 0
	v_cmpx_le_i32_e64 s37, v1
	s_xor_b32 s33, exec_lo, s0
	s_cbranch_execz .LBB167_1650
; %bb.1:
	s_clause 0x4
	s_load_b128 s[12:15], s[2:3], 0x4
	s_load_b256 s[4:11], s[2:3], 0x188
	s_load_b64 s[0:1], s[2:3], 0x14
	s_load_b128 s[16:19], s[2:3], 0xc4
	s_load_b64 s[22:23], s[2:3], 0xd4
	s_cmp_lg_u32 s28, 0
	s_mov_b32 s21, 0
	s_cselect_b32 s38, -1, 0
	s_min_u32 s36, s29, 15
	s_cmp_gt_u32 s28, 1
	s_mov_b32 s25, s21
	s_cselect_b32 s35, -1, 0
	s_mov_b32 s41, s21
	s_mov_b32 s40, s21
	;; [unrolled: 1-line block ×3, first 2 shown]
	s_mov_b32 s42, exec_lo
	s_wait_kmcnt 0x0
	s_mov_b32 s20, s13
	s_lshr_b32 s34, s11, 8
	s_lshr_b32 s13, s11, 16
	s_cmp_lg_u32 s10, 0
	s_mov_b32 s24, s0
	s_cselect_b32 s10, -1, 0
	v_cmpx_gt_i32_e64 s37, v0
	s_cbranch_execz .LBB167_406
; %bb.2:
	s_and_not1_b32 vcc_lo, exec_lo, s31
	s_cbranch_vccnz .LBB167_8
; %bb.3:
	s_and_not1_b32 vcc_lo, exec_lo, s38
	s_cbranch_vccnz .LBB167_9
; %bb.4:
	v_dual_mov_b32 v2, 0 :: v_dual_mov_b32 v1, v0
	v_dual_mov_b32 v6, 0 :: v_dual_mov_b32 v4, 0
	s_add_co_i32 s0, s36, 1
	s_mov_b64 s[26:27], 0xffffffffffffffe8
	s_and_b32 s0, s0, 30
	s_add_nc_u64 s[26:27], s[2:3], s[26:27]
.LBB167_5:                              ; =>This Inner Loop Header: Depth=1
	s_clause 0x1
	s_load_b128 s[44:47], s[26:27], 0x1c
	s_load_b64 s[40:41], s[26:27], 0x2c
	s_add_co_i32 s0, s0, -2
	s_delay_alu instid0(SALU_CYCLE_1) | instskip(SKIP_2) | instid1(VALU_DEP_1)
	s_cmp_lg_u32 s0, 0
	s_wait_kmcnt 0x0
	v_mul_hi_u32 v3, s45, v1
	v_add_nc_u32_e32 v3, v1, v3
	s_delay_alu instid0(VALU_DEP_1) | instskip(NEXT) | instid1(VALU_DEP_1)
	v_lshrrev_b32_e32 v3, s46, v3
	v_mul_hi_u32 v5, s40, v3
	v_mul_lo_u32 v7, v3, s44
	s_clause 0x1
	s_load_b128 s[48:51], s[26:27], 0xdc
	s_load_b64 s[44:45], s[26:27], 0xec
	s_wait_xcnt 0x0
	s_add_nc_u64 s[26:27], s[26:27], 24
	s_delay_alu instid0(VALU_DEP_1) | instskip(NEXT) | instid1(VALU_DEP_1)
	v_dual_add_nc_u32 v5, v3, v5 :: v_dual_sub_nc_u32 v7, v1, v7
	v_lshrrev_b32_e32 v1, s41, v5
	s_wait_kmcnt 0x0
	s_delay_alu instid0(VALU_DEP_2) | instskip(NEXT) | instid1(VALU_DEP_2)
	v_mad_u32 v2, v7, s48, v2
	v_mul_lo_u32 v5, v1, s47
	v_mad_u32 v4, v7, s50, v4
	v_mad_u32 v6, v7, s49, v6
	s_delay_alu instid0(VALU_DEP_3) | instskip(NEXT) | instid1(VALU_DEP_1)
	v_sub_nc_u32_e32 v3, v3, v5
	v_mad_u32 v2, v3, s51, v2
	s_delay_alu instid0(VALU_DEP_4) | instskip(NEXT) | instid1(VALU_DEP_4)
	v_mad_u32 v4, v3, s45, v4
	v_mad_u32 v6, v3, s44, v6
	s_cbranch_scc1 .LBB167_5
; %bb.6:
	s_bitcmp1_b32 s36, 0
	s_cselect_b32 s0, -1, 0
	s_delay_alu instid0(SALU_CYCLE_1)
	s_and_b32 vcc_lo, exec_lo, s0
	s_cbranch_vccnz .LBB167_10
; %bb.7:
	s_clause 0x1
	s_load_b96 s[44:46], s[26:27], 0x1c
	s_load_b96 s[48:50], s[26:27], 0xdc
	s_wait_kmcnt 0x0
	v_mul_hi_u32 v3, s45, v1
	s_delay_alu instid0(VALU_DEP_1) | instskip(NEXT) | instid1(VALU_DEP_1)
	v_add_nc_u32_e32 v3, v1, v3
	v_lshrrev_b32_e32 v3, s46, v3
	s_delay_alu instid0(VALU_DEP_1) | instskip(NEXT) | instid1(VALU_DEP_1)
	v_mul_lo_u32 v3, v3, s44
	v_sub_nc_u32_e32 v1, v1, v3
	s_delay_alu instid0(VALU_DEP_1)
	v_mad_u32 v2, v1, s48, v2
	v_mad_u32 v6, v1, s49, v6
	v_mad_u32 v4, v1, s50, v4
	s_cbranch_execz .LBB167_11
	s_branch .LBB167_13
.LBB167_8:
                                        ; implicit-def: $vgpr4
                                        ; implicit-def: $vgpr6
                                        ; implicit-def: $vgpr2
	s_branch .LBB167_11
.LBB167_9:
	v_dual_mov_b32 v4, 0 :: v_dual_mov_b32 v6, 0
	v_mov_b32_e32 v2, 0
.LBB167_10:
	s_cbranch_execnz .LBB167_13
.LBB167_11:
	v_mov_b32_e32 v1, 0
	s_and_not1_b32 vcc_lo, exec_lo, s35
	s_delay_alu instid0(VALU_DEP_1) | instskip(NEXT) | instid1(VALU_DEP_1)
	v_mul_u64_e32 v[2:3], s[20:21], v[0:1]
	v_add_nc_u32_e32 v2, v0, v3
	s_delay_alu instid0(VALU_DEP_1) | instskip(NEXT) | instid1(VALU_DEP_1)
	v_lshrrev_b32_e32 v8, s14, v2
	v_mul_lo_u32 v2, v8, s12
	s_delay_alu instid0(VALU_DEP_1) | instskip(NEXT) | instid1(VALU_DEP_1)
	v_sub_nc_u32_e32 v3, v0, v2
	v_mul_lo_u32 v2, v3, s16
	v_mul_lo_u32 v4, v3, s18
	;; [unrolled: 1-line block ×3, first 2 shown]
	s_cbranch_vccnz .LBB167_13
; %bb.12:
	v_mov_b32_e32 v9, v1
	s_delay_alu instid0(VALU_DEP_1) | instskip(NEXT) | instid1(VALU_DEP_1)
	v_mul_u64_e32 v[10:11], s[24:25], v[8:9]
	v_add_nc_u32_e32 v1, v8, v11
	s_delay_alu instid0(VALU_DEP_1) | instskip(NEXT) | instid1(VALU_DEP_1)
	v_lshrrev_b32_e32 v1, s1, v1
	v_mul_lo_u32 v1, v1, s15
	s_delay_alu instid0(VALU_DEP_1) | instskip(NEXT) | instid1(VALU_DEP_1)
	v_sub_nc_u32_e32 v1, v8, v1
	v_mad_u32 v2, v1, s19, v2
	v_mad_u32 v6, v1, s22, v6
	;; [unrolled: 1-line block ×3, first 2 shown]
.LBB167_13:
	v_mov_b32_e32 v7, 0
	s_and_b32 s0, s34, 0xff
	s_delay_alu instid0(SALU_CYCLE_1) | instskip(NEXT) | instid1(VALU_DEP_1)
	s_cmp_lt_i32 s0, 11
	v_add_nc_u64_e32 v[6:7], s[6:7], v[6:7]
	s_cbranch_scc1 .LBB167_20
; %bb.14:
	s_and_b32 s27, 0xffff, s0
	s_delay_alu instid0(SALU_CYCLE_1)
	s_cmp_gt_i32 s27, 25
	s_cbranch_scc0 .LBB167_29
; %bb.15:
	s_cmp_gt_i32 s27, 28
	s_cbranch_scc0 .LBB167_42
; %bb.16:
	;; [unrolled: 3-line block ×4, first 2 shown]
	s_cmp_eq_u32 s27, 46
	s_mov_b32 s40, 0
	s_cbranch_scc0 .LBB167_52
; %bb.19:
	global_load_b32 v1, v[6:7], off
	s_mov_b32 s39, -1
	s_mov_b32 s26, 0
	s_wait_loadcnt 0x0
	v_and_b32_e32 v3, 0xffff0000, v1
	s_branch .LBB167_54
.LBB167_20:
	s_mov_b32 s26, 0
	s_mov_b32 s39, 0
                                        ; implicit-def: $vgpr3
                                        ; implicit-def: $vgpr1
	s_cbranch_execnz .LBB167_122
.LBB167_21:
	s_and_not1_b32 vcc_lo, exec_lo, s39
	s_cbranch_vccnz .LBB167_171
.LBB167_22:
	v_mov_b32_e32 v5, 0
	s_and_b32 s0, s13, 0xff
	s_delay_alu instid0(SALU_CYCLE_1) | instskip(NEXT) | instid1(VALU_DEP_1)
	s_cmp_lt_i32 s0, 11
	v_add_nc_u64_e32 v[4:5], s[8:9], v[4:5]
	s_cbranch_scc1 .LBB167_30
; %bb.23:
	s_and_b32 s39, 0xffff, s0
	s_delay_alu instid0(SALU_CYCLE_1)
	s_cmp_gt_i32 s39, 25
	s_cbranch_scc0 .LBB167_43
; %bb.24:
	s_cmp_gt_i32 s39, 28
	s_cbranch_scc0 .LBB167_47
; %bb.25:
	s_cmp_gt_i32 s39, 43
	s_cbranch_scc0 .LBB167_50
; %bb.26:
	s_cmp_gt_i32 s39, 45
	s_cbranch_scc0 .LBB167_57
; %bb.27:
	s_cmp_eq_u32 s39, 46
	s_mov_b32 s41, 0
	s_cbranch_scc0 .LBB167_172
; %bb.28:
	global_load_b32 v6, v[4:5], off
	s_mov_b32 s40, -1
	s_mov_b32 s27, 0
	s_wait_loadcnt 0x0
	v_and_b32_e32 v7, 0xffff0000, v6
	s_branch .LBB167_174
.LBB167_29:
	s_mov_b32 s26, 0
	s_mov_b32 s39, 0
                                        ; implicit-def: $vgpr3
                                        ; implicit-def: $vgpr1
	s_cbranch_execnz .LBB167_87
	s_branch .LBB167_121
.LBB167_30:
	s_mov_b32 s27, 0
	s_mov_b32 s40, 0
                                        ; implicit-def: $vgpr7
                                        ; implicit-def: $vgpr6
	s_cbranch_execnz .LBB167_353
.LBB167_31:
	s_and_not1_b32 vcc_lo, exec_lo, s40
	s_cbranch_vccnz .LBB167_403
.LBB167_32:
	s_wait_loadcnt 0x0
	v_and_b32_e32 v4, 0xffff, v6
	v_and_b32_e32 v1, 0xffff, v1
	s_and_b32 vcc_lo, exec_lo, s10
	s_delay_alu instid0(VALU_DEP_1) | instskip(NEXT) | instid1(VALU_DEP_3)
	v_or_b32_e32 v5, v3, v1
	v_or_b32_e32 v4, v7, v4
	v_and_b32_e32 v1, 0xffff0000, v7
	v_and_b32_e32 v3, 0xffff0000, v3
	s_delay_alu instid0(VALU_DEP_3)
	v_dual_lshlrev_b32 v5, 16, v5 :: v_dual_lshlrev_b32 v4, 16, v4
	s_cbranch_vccz .LBB167_45
; %bb.33:
	s_delay_alu instid0(VALU_DEP_1) | instskip(NEXT) | instid1(VALU_DEP_3)
	v_cmp_neq_f32_e32 vcc_lo, v5, v4
	v_cmp_neq_f32_e64 s0, v3, v1
	s_or_b32 s39, vcc_lo, s0
	s_cbranch_execnz .LBB167_35
.LBB167_34:
	s_delay_alu instid0(VALU_DEP_1) | instskip(SKIP_3) | instid1(SALU_CYCLE_1)
	v_cmp_eq_f32_e32 vcc_lo, v5, v4
	v_cmp_eq_f32_e64 s0, v3, v1
	s_and_not1_b32 s39, s39, exec_lo
	s_and_b32 s0, vcc_lo, s0
	s_and_b32 s0, s0, exec_lo
	s_delay_alu instid0(SALU_CYCLE_1)
	s_or_b32 s39, s39, s0
.LBB167_35:
	v_mov_b32_e32 v3, 0
	s_and_b32 s40, s11, 0xff
	s_delay_alu instid0(SALU_CYCLE_1) | instskip(NEXT) | instid1(VALU_DEP_1)
	s_cmp_lt_i32 s40, 11
	v_add_nc_u64_e32 v[2:3], s[4:5], v[2:3]
	s_cbranch_scc1 .LBB167_44
; %bb.36:
	s_and_b32 s41, 0xffff, s40
	s_delay_alu instid0(SALU_CYCLE_1)
	s_cmp_gt_i32 s41, 25
	s_cbranch_scc0 .LBB167_48
; %bb.37:
	s_cmp_gt_i32 s41, 28
	s_cbranch_scc0 .LBB167_51
; %bb.38:
	;; [unrolled: 3-line block ×4, first 2 shown]
	s_mov_b32 s44, 0
	s_mov_b32 s0, -1
	s_cmp_eq_u32 s41, 46
	s_mov_b32 s43, 0
	s_cbranch_scc0 .LBB167_178
; %bb.41:
	v_cndmask_b32_e64 v1, 0, 1.0, s39
	s_mov_b32 s43, -1
	s_mov_b32 s0, 0
	s_delay_alu instid0(VALU_DEP_1) | instskip(NEXT) | instid1(VALU_DEP_1)
	v_bfe_u32 v4, v1, 16, 1
	v_add3_u32 v1, v1, v4, 0x7fff
	s_delay_alu instid0(VALU_DEP_1)
	v_lshrrev_b32_e32 v1, 16, v1
	global_store_b32 v[2:3], v1, off
	s_branch .LBB167_178
.LBB167_42:
	s_mov_b32 s40, -1
	s_mov_b32 s26, 0
	s_mov_b32 s39, 0
                                        ; implicit-def: $vgpr3
                                        ; implicit-def: $vgpr1
	s_branch .LBB167_68
.LBB167_43:
	s_mov_b32 s41, -1
	s_mov_b32 s27, 0
	s_mov_b32 s40, 0
                                        ; implicit-def: $vgpr7
                                        ; implicit-def: $vgpr6
	s_branch .LBB167_316
.LBB167_44:
	s_mov_b32 s41, -1
	s_mov_b32 s0, 0
	s_mov_b32 s43, 0
	s_branch .LBB167_247
.LBB167_45:
                                        ; implicit-def: $sgpr39
	s_branch .LBB167_34
.LBB167_46:
	s_mov_b32 s40, -1
	s_mov_b32 s26, 0
	s_mov_b32 s39, 0
                                        ; implicit-def: $vgpr3
                                        ; implicit-def: $vgpr1
	s_branch .LBB167_62
.LBB167_47:
	s_mov_b32 s41, -1
	s_mov_b32 s27, 0
	s_mov_b32 s40, 0
                                        ; implicit-def: $vgpr7
                                        ; implicit-def: $vgpr6
	s_branch .LBB167_297
.LBB167_48:
	s_mov_b32 s44, -1
	s_mov_b32 s0, 0
	s_mov_b32 s43, 0
	s_branch .LBB167_205
.LBB167_49:
	s_mov_b32 s40, -1
	s_mov_b32 s26, 0
	s_branch .LBB167_53
.LBB167_50:
	s_mov_b32 s41, -1
	s_mov_b32 s27, 0
	s_mov_b32 s40, 0
                                        ; implicit-def: $vgpr7
                                        ; implicit-def: $vgpr6
	s_branch .LBB167_291
.LBB167_51:
	s_mov_b32 s44, -1
	s_mov_b32 s0, 0
	s_mov_b32 s43, 0
	s_branch .LBB167_188
.LBB167_52:
	s_mov_b32 s26, -1
.LBB167_53:
	s_mov_b32 s39, 0
                                        ; implicit-def: $vgpr3
                                        ; implicit-def: $vgpr1
.LBB167_54:
	s_and_b32 vcc_lo, exec_lo, s40
	s_cbranch_vccz .LBB167_61
; %bb.55:
	s_cmp_eq_u32 s27, 44
	s_cbranch_scc0 .LBB167_59
; %bb.56:
	global_load_u8 v1, v[6:7], off
	s_mov_b32 s26, 0
	s_mov_b32 s39, -1
	s_wait_loadcnt 0x0
	v_lshlrev_b32_e32 v3, 23, v1
	v_cmp_ne_u32_e32 vcc_lo, 0xff, v1
	s_delay_alu instid0(VALU_DEP_2) | instskip(SKIP_1) | instid1(VALU_DEP_2)
	v_cndmask_b32_e32 v3, 0x7f800001, v3, vcc_lo
	v_cmp_ne_u32_e32 vcc_lo, 0, v1
	v_cndmask_b32_e32 v1, 0x400000, v3, vcc_lo
	s_delay_alu instid0(VALU_DEP_1) | instskip(SKIP_1) | instid1(VALU_DEP_2)
	v_add_nc_u32_e32 v3, 0x7fff, v1
	v_cmp_o_f32_e32 vcc_lo, v1, v1
	v_lshrrev_b32_e32 v3, 16, v3
	s_delay_alu instid0(VALU_DEP_1)
	v_cndmask_b32_e32 v1, 0x7fc0, v3, vcc_lo
	s_branch .LBB167_60
.LBB167_57:
	s_mov_b32 s41, -1
	s_mov_b32 s27, 0
	s_branch .LBB167_173
.LBB167_58:
	s_mov_b32 s44, -1
	s_mov_b32 s0, 0
	s_mov_b32 s43, 0
	s_branch .LBB167_184
.LBB167_59:
	s_mov_b32 s26, -1
                                        ; implicit-def: $vgpr1
.LBB167_60:
	v_mov_b32_e32 v3, 0
.LBB167_61:
	s_mov_b32 s40, 0
.LBB167_62:
	s_delay_alu instid0(SALU_CYCLE_1)
	s_and_b32 vcc_lo, exec_lo, s40
	s_cbranch_vccz .LBB167_67
; %bb.63:
	s_cmp_eq_u32 s27, 29
	s_cbranch_scc0 .LBB167_65
; %bb.64:
	global_load_b64 v[8:9], v[6:7], off
	s_mov_b32 s39, -1
	s_mov_b32 s26, 0
	s_wait_loadcnt 0x0
	v_clz_i32_u32_e32 v1, v9
	s_delay_alu instid0(VALU_DEP_1) | instskip(NEXT) | instid1(VALU_DEP_1)
	v_min_u32_e32 v1, 32, v1
	v_lshlrev_b64_e32 v[8:9], v1, v[8:9]
	v_sub_nc_u32_e32 v1, 32, v1
	s_delay_alu instid0(VALU_DEP_2) | instskip(NEXT) | instid1(VALU_DEP_1)
	v_min_u32_e32 v3, 1, v8
	v_or_b32_e32 v3, v9, v3
	s_delay_alu instid0(VALU_DEP_1) | instskip(NEXT) | instid1(VALU_DEP_1)
	v_cvt_f32_u32_e32 v3, v3
	v_ldexp_f32 v1, v3, v1
	s_delay_alu instid0(VALU_DEP_1) | instskip(NEXT) | instid1(VALU_DEP_1)
	v_bfe_u32 v3, v1, 16, 1
	v_add3_u32 v1, v1, v3, 0x7fff
	s_delay_alu instid0(VALU_DEP_1)
	v_lshrrev_b32_e32 v1, 16, v1
	s_branch .LBB167_66
.LBB167_65:
	s_mov_b32 s26, -1
                                        ; implicit-def: $vgpr1
.LBB167_66:
	v_mov_b32_e32 v3, 0
.LBB167_67:
	s_mov_b32 s40, 0
.LBB167_68:
	s_delay_alu instid0(SALU_CYCLE_1)
	s_and_b32 vcc_lo, exec_lo, s40
	s_cbranch_vccz .LBB167_86
; %bb.69:
	s_cmp_lt_i32 s27, 27
	s_cbranch_scc1 .LBB167_72
; %bb.70:
	s_cmp_gt_i32 s27, 27
	s_cbranch_scc0 .LBB167_73
; %bb.71:
	global_load_b32 v1, v[6:7], off
	s_mov_b32 s39, 0
	s_wait_loadcnt 0x0
	v_cvt_f32_u32_e32 v1, v1
	s_delay_alu instid0(VALU_DEP_1) | instskip(NEXT) | instid1(VALU_DEP_1)
	v_bfe_u32 v3, v1, 16, 1
	v_add3_u32 v1, v1, v3, 0x7fff
	s_delay_alu instid0(VALU_DEP_1)
	v_lshrrev_b32_e32 v1, 16, v1
	s_branch .LBB167_74
.LBB167_72:
	s_mov_b32 s39, -1
                                        ; implicit-def: $vgpr1
	s_branch .LBB167_77
.LBB167_73:
	s_mov_b32 s39, -1
                                        ; implicit-def: $vgpr1
.LBB167_74:
	s_delay_alu instid0(SALU_CYCLE_1)
	s_and_not1_b32 vcc_lo, exec_lo, s39
	s_cbranch_vccnz .LBB167_76
; %bb.75:
	global_load_u16 v1, v[6:7], off
	s_wait_loadcnt 0x0
	v_cvt_f32_u32_e32 v1, v1
	s_delay_alu instid0(VALU_DEP_1) | instskip(NEXT) | instid1(VALU_DEP_1)
	v_bfe_u32 v3, v1, 16, 1
	v_add3_u32 v1, v1, v3, 0x7fff
	s_delay_alu instid0(VALU_DEP_1)
	v_lshrrev_b32_e32 v1, 16, v1
.LBB167_76:
	s_mov_b32 s39, 0
.LBB167_77:
	s_delay_alu instid0(SALU_CYCLE_1)
	s_and_not1_b32 vcc_lo, exec_lo, s39
	s_cbranch_vccnz .LBB167_85
; %bb.78:
	global_load_u8 v1, v[6:7], off
	s_mov_b32 s39, 0
	s_mov_b32 s40, exec_lo
	s_wait_loadcnt 0x0
	v_cmpx_lt_i16_e32 0x7f, v1
	s_xor_b32 s40, exec_lo, s40
	s_cbranch_execz .LBB167_98
; %bb.79:
	s_mov_b32 s39, -1
	s_mov_b32 s41, exec_lo
	v_cmpx_eq_u16_e32 0x80, v1
; %bb.80:
	s_xor_b32 s39, exec_lo, -1
; %bb.81:
	s_or_b32 exec_lo, exec_lo, s41
	s_delay_alu instid0(SALU_CYCLE_1)
	s_and_b32 s39, s39, exec_lo
	s_or_saveexec_b32 s40, s40
	v_mov_b32_e32 v3, 0x7f800001
	s_xor_b32 exec_lo, exec_lo, s40
	s_cbranch_execnz .LBB167_99
.LBB167_82:
	s_or_b32 exec_lo, exec_lo, s40
	s_and_saveexec_b32 s40, s39
	s_cbranch_execz .LBB167_84
.LBB167_83:
	v_and_b32_e32 v3, 0xffff, v1
	s_delay_alu instid0(VALU_DEP_1) | instskip(SKIP_1) | instid1(VALU_DEP_2)
	v_and_b32_e32 v5, 7, v3
	v_bfe_u32 v10, v3, 3, 4
	v_clz_i32_u32_e32 v8, v5
	s_delay_alu instid0(VALU_DEP_2) | instskip(NEXT) | instid1(VALU_DEP_2)
	v_cmp_eq_u32_e32 vcc_lo, 0, v10
	v_min_u32_e32 v8, 32, v8
	s_delay_alu instid0(VALU_DEP_1) | instskip(NEXT) | instid1(VALU_DEP_1)
	v_subrev_nc_u32_e32 v9, 28, v8
	v_dual_lshlrev_b32 v3, v9, v3 :: v_dual_sub_nc_u32 v8, 29, v8
	s_delay_alu instid0(VALU_DEP_1) | instskip(NEXT) | instid1(VALU_DEP_1)
	v_dual_lshlrev_b32 v1, 24, v1 :: v_dual_bitop2_b32 v3, 7, v3 bitop3:0x40
	v_dual_cndmask_b32 v8, v10, v8 :: v_dual_cndmask_b32 v3, v5, v3
	s_delay_alu instid0(VALU_DEP_2) | instskip(NEXT) | instid1(VALU_DEP_2)
	v_and_b32_e32 v1, 0x80000000, v1
	v_lshl_add_u32 v5, v8, 23, 0x3b800000
	s_delay_alu instid0(VALU_DEP_3) | instskip(NEXT) | instid1(VALU_DEP_1)
	v_lshlrev_b32_e32 v3, 20, v3
	v_or3_b32 v3, v1, v5, v3
.LBB167_84:
	s_or_b32 exec_lo, exec_lo, s40
	s_delay_alu instid0(VALU_DEP_1) | instskip(SKIP_1) | instid1(VALU_DEP_2)
	v_bfe_u32 v1, v3, 16, 1
	v_cmp_o_f32_e32 vcc_lo, v3, v3
	v_add3_u32 v1, v3, v1, 0x7fff
	s_delay_alu instid0(VALU_DEP_1) | instskip(NEXT) | instid1(VALU_DEP_1)
	v_lshrrev_b32_e32 v1, 16, v1
	v_cndmask_b32_e32 v1, 0x7fc0, v1, vcc_lo
.LBB167_85:
	v_mov_b32_e32 v3, 0
	s_mov_b32 s39, -1
.LBB167_86:
	s_branch .LBB167_121
.LBB167_87:
	s_cmp_gt_i32 s27, 22
	s_cbranch_scc0 .LBB167_97
; %bb.88:
	s_cmp_lt_i32 s27, 24
	s_cbranch_scc1 .LBB167_100
; %bb.89:
	s_cmp_gt_i32 s27, 24
	s_cbranch_scc0 .LBB167_101
; %bb.90:
	global_load_u8 v1, v[6:7], off
	s_mov_b32 s39, 0
	s_mov_b32 s40, exec_lo
	s_wait_loadcnt 0x0
	v_cmpx_lt_i16_e32 0x7f, v1
	s_xor_b32 s40, exec_lo, s40
	s_cbranch_execz .LBB167_112
; %bb.91:
	s_mov_b32 s39, -1
	s_mov_b32 s41, exec_lo
	v_cmpx_eq_u16_e32 0x80, v1
; %bb.92:
	s_xor_b32 s39, exec_lo, -1
; %bb.93:
	s_or_b32 exec_lo, exec_lo, s41
	s_delay_alu instid0(SALU_CYCLE_1)
	s_and_b32 s39, s39, exec_lo
	s_or_saveexec_b32 s40, s40
	v_mov_b32_e32 v3, 0x7f800001
	s_xor_b32 exec_lo, exec_lo, s40
	s_cbranch_execnz .LBB167_113
.LBB167_94:
	s_or_b32 exec_lo, exec_lo, s40
	s_and_saveexec_b32 s40, s39
	s_cbranch_execz .LBB167_96
.LBB167_95:
	v_and_b32_e32 v3, 0xffff, v1
	s_delay_alu instid0(VALU_DEP_1) | instskip(SKIP_1) | instid1(VALU_DEP_2)
	v_and_b32_e32 v5, 3, v3
	v_bfe_u32 v10, v3, 2, 5
	v_clz_i32_u32_e32 v8, v5
	s_delay_alu instid0(VALU_DEP_2) | instskip(NEXT) | instid1(VALU_DEP_2)
	v_cmp_eq_u32_e32 vcc_lo, 0, v10
	v_min_u32_e32 v8, 32, v8
	s_delay_alu instid0(VALU_DEP_1) | instskip(NEXT) | instid1(VALU_DEP_1)
	v_subrev_nc_u32_e32 v9, 29, v8
	v_dual_lshlrev_b32 v3, v9, v3 :: v_dual_sub_nc_u32 v8, 30, v8
	s_delay_alu instid0(VALU_DEP_1) | instskip(NEXT) | instid1(VALU_DEP_1)
	v_dual_lshlrev_b32 v1, 24, v1 :: v_dual_bitop2_b32 v3, 3, v3 bitop3:0x40
	v_dual_cndmask_b32 v8, v10, v8 :: v_dual_cndmask_b32 v3, v5, v3
	s_delay_alu instid0(VALU_DEP_2) | instskip(NEXT) | instid1(VALU_DEP_2)
	v_and_b32_e32 v1, 0x80000000, v1
	v_lshl_add_u32 v5, v8, 23, 0x37800000
	s_delay_alu instid0(VALU_DEP_3) | instskip(NEXT) | instid1(VALU_DEP_1)
	v_lshlrev_b32_e32 v3, 21, v3
	v_or3_b32 v3, v1, v5, v3
.LBB167_96:
	s_or_b32 exec_lo, exec_lo, s40
	s_delay_alu instid0(VALU_DEP_1) | instskip(SKIP_2) | instid1(VALU_DEP_2)
	v_bfe_u32 v1, v3, 16, 1
	v_cmp_o_f32_e32 vcc_lo, v3, v3
	s_mov_b32 s39, 0
	v_add3_u32 v1, v3, v1, 0x7fff
	s_delay_alu instid0(VALU_DEP_1) | instskip(NEXT) | instid1(VALU_DEP_1)
	v_lshrrev_b32_e32 v1, 16, v1
	v_cndmask_b32_e32 v1, 0x7fc0, v1, vcc_lo
	s_branch .LBB167_102
.LBB167_97:
                                        ; implicit-def: $vgpr1
	s_branch .LBB167_108
.LBB167_98:
	s_or_saveexec_b32 s40, s40
	v_mov_b32_e32 v3, 0x7f800001
	s_xor_b32 exec_lo, exec_lo, s40
	s_cbranch_execz .LBB167_82
.LBB167_99:
	v_cmp_ne_u16_e32 vcc_lo, 0, v1
	v_mov_b32_e32 v3, 0
	s_and_not1_b32 s39, s39, exec_lo
	s_and_b32 s41, vcc_lo, exec_lo
	s_delay_alu instid0(SALU_CYCLE_1)
	s_or_b32 s39, s39, s41
	s_or_b32 exec_lo, exec_lo, s40
	s_and_saveexec_b32 s40, s39
	s_cbranch_execnz .LBB167_83
	s_branch .LBB167_84
.LBB167_100:
	s_mov_b32 s39, -1
                                        ; implicit-def: $vgpr1
	s_branch .LBB167_105
.LBB167_101:
	s_mov_b32 s39, -1
                                        ; implicit-def: $vgpr1
.LBB167_102:
	s_delay_alu instid0(SALU_CYCLE_1)
	s_and_b32 vcc_lo, exec_lo, s39
	s_cbranch_vccz .LBB167_104
; %bb.103:
	global_load_u8 v1, v[6:7], off
	s_wait_loadcnt 0x0
	v_lshlrev_b32_e32 v1, 24, v1
	s_delay_alu instid0(VALU_DEP_1) | instskip(NEXT) | instid1(VALU_DEP_1)
	v_and_b32_e32 v3, 0x7f000000, v1
	v_clz_i32_u32_e32 v5, v3
	v_add_nc_u32_e32 v9, 0x1000000, v3
	v_cmp_ne_u32_e32 vcc_lo, 0, v3
	s_delay_alu instid0(VALU_DEP_3) | instskip(NEXT) | instid1(VALU_DEP_1)
	v_min_u32_e32 v5, 32, v5
	v_sub_nc_u32_e64 v5, v5, 4 clamp
	s_delay_alu instid0(VALU_DEP_1) | instskip(NEXT) | instid1(VALU_DEP_1)
	v_dual_lshlrev_b32 v8, v5, v3 :: v_dual_lshlrev_b32 v5, 23, v5
	v_lshrrev_b32_e32 v8, 4, v8
	s_delay_alu instid0(VALU_DEP_1) | instskip(SKIP_1) | instid1(VALU_DEP_2)
	v_sub_nc_u32_e32 v5, v8, v5
	v_ashrrev_i32_e32 v8, 8, v9
	v_add_nc_u32_e32 v5, 0x3c000000, v5
	s_delay_alu instid0(VALU_DEP_1) | instskip(NEXT) | instid1(VALU_DEP_1)
	v_and_or_b32 v5, 0x7f800000, v8, v5
	v_cndmask_b32_e32 v3, 0, v5, vcc_lo
	s_delay_alu instid0(VALU_DEP_1) | instskip(SKIP_1) | instid1(VALU_DEP_2)
	v_and_or_b32 v1, 0x80000000, v1, v3
	v_bfe_u32 v3, v3, 16, 1
	v_cmp_o_f32_e32 vcc_lo, v1, v1
	s_delay_alu instid0(VALU_DEP_2) | instskip(NEXT) | instid1(VALU_DEP_1)
	v_add3_u32 v3, v1, v3, 0x7fff
	v_lshrrev_b32_e32 v3, 16, v3
	s_delay_alu instid0(VALU_DEP_1)
	v_cndmask_b32_e32 v1, 0x7fc0, v3, vcc_lo
.LBB167_104:
	s_mov_b32 s39, 0
.LBB167_105:
	s_delay_alu instid0(SALU_CYCLE_1)
	s_and_not1_b32 vcc_lo, exec_lo, s39
	s_cbranch_vccnz .LBB167_107
; %bb.106:
	global_load_u8 v1, v[6:7], off
	s_wait_loadcnt 0x0
	v_lshlrev_b32_e32 v3, 25, v1
	v_lshlrev_b16 v1, 8, v1
	s_delay_alu instid0(VALU_DEP_1) | instskip(SKIP_1) | instid1(VALU_DEP_2)
	v_and_or_b32 v8, 0x7f00, v1, 0.5
	v_bfe_i32 v1, v1, 0, 16
	v_dual_add_f32 v8, -0.5, v8 :: v_dual_lshrrev_b32 v5, 4, v3
	v_cmp_gt_u32_e32 vcc_lo, 0x8000000, v3
	s_delay_alu instid0(VALU_DEP_2) | instskip(NEXT) | instid1(VALU_DEP_1)
	v_or_b32_e32 v5, 0x70000000, v5
	v_mul_f32_e32 v5, 0x7800000, v5
	s_delay_alu instid0(VALU_DEP_1) | instskip(NEXT) | instid1(VALU_DEP_1)
	v_cndmask_b32_e32 v3, v5, v8, vcc_lo
	v_and_or_b32 v1, 0x80000000, v1, v3
	v_bfe_u32 v3, v3, 16, 1
	s_delay_alu instid0(VALU_DEP_2) | instskip(NEXT) | instid1(VALU_DEP_2)
	v_cmp_o_f32_e32 vcc_lo, v1, v1
	v_add3_u32 v3, v1, v3, 0x7fff
	s_delay_alu instid0(VALU_DEP_1) | instskip(NEXT) | instid1(VALU_DEP_1)
	v_lshrrev_b32_e32 v3, 16, v3
	v_cndmask_b32_e32 v1, 0x7fc0, v3, vcc_lo
.LBB167_107:
	s_mov_b32 s39, -1
	s_cbranch_execnz .LBB167_120
.LBB167_108:
	s_cmp_gt_i32 s27, 14
	s_cbranch_scc0 .LBB167_111
; %bb.109:
	s_cmp_eq_u32 s27, 15
	s_cbranch_scc0 .LBB167_114
; %bb.110:
	global_load_u16 v1, v[6:7], off
	s_mov_b32 s39, -1
	s_mov_b32 s26, 0
	s_branch .LBB167_115
.LBB167_111:
	s_mov_b32 s40, -1
                                        ; implicit-def: $vgpr1
	s_branch .LBB167_116
.LBB167_112:
	s_or_saveexec_b32 s40, s40
	v_mov_b32_e32 v3, 0x7f800001
	s_xor_b32 exec_lo, exec_lo, s40
	s_cbranch_execz .LBB167_94
.LBB167_113:
	v_cmp_ne_u16_e32 vcc_lo, 0, v1
	v_mov_b32_e32 v3, 0
	s_and_not1_b32 s39, s39, exec_lo
	s_and_b32 s41, vcc_lo, exec_lo
	s_delay_alu instid0(SALU_CYCLE_1)
	s_or_b32 s39, s39, s41
	s_or_b32 exec_lo, exec_lo, s40
	s_and_saveexec_b32 s40, s39
	s_cbranch_execnz .LBB167_95
	s_branch .LBB167_96
.LBB167_114:
	s_mov_b32 s26, -1
                                        ; implicit-def: $vgpr1
.LBB167_115:
	s_mov_b32 s40, 0
.LBB167_116:
	s_delay_alu instid0(SALU_CYCLE_1)
	s_and_b32 vcc_lo, exec_lo, s40
	s_cbranch_vccz .LBB167_120
; %bb.117:
	s_cmp_eq_u32 s27, 11
	s_cbranch_scc0 .LBB167_119
; %bb.118:
	s_wait_loadcnt 0x0
	global_load_u8 v1, v[6:7], off
	s_mov_b32 s26, 0
	s_mov_b32 s39, -1
	v_mov_b32_e32 v3, 0
	s_wait_loadcnt 0x0
	v_cmp_ne_u16_e32 vcc_lo, 0, v1
	v_cndmask_b32_e64 v1, 0, 1.0, vcc_lo
	s_delay_alu instid0(VALU_DEP_1)
	v_lshrrev_b32_e32 v1, 16, v1
	s_branch .LBB167_121
.LBB167_119:
	s_mov_b32 s26, -1
                                        ; implicit-def: $vgpr1
.LBB167_120:
	v_mov_b32_e32 v3, 0
.LBB167_121:
	s_branch .LBB167_21
.LBB167_122:
	s_and_b32 s0, 0xffff, s0
	s_delay_alu instid0(SALU_CYCLE_1)
	s_cmp_lt_i32 s0, 5
	s_cbranch_scc1 .LBB167_127
; %bb.123:
	s_cmp_lt_i32 s0, 8
	s_cbranch_scc1 .LBB167_128
; %bb.124:
	;; [unrolled: 3-line block ×3, first 2 shown]
	s_cmp_gt_i32 s0, 9
	s_cbranch_scc0 .LBB167_130
; %bb.126:
	global_load_b128 v[8:11], v[6:7], off
	s_mov_b32 s27, 0
	s_wait_loadcnt 0x0
	v_cvt_f32_f64_e32 v1, v[8:9]
	v_cvt_f32_f64_e32 v3, v[10:11]
	s_delay_alu instid0(VALU_DEP_2) | instskip(NEXT) | instid1(VALU_DEP_2)
	v_bfe_u32 v5, v1, 16, 1
	v_bfe_u32 v8, v3, 16, 1
	v_cmp_o_f32_e32 vcc_lo, v1, v1
	s_delay_alu instid0(VALU_DEP_3) | instskip(NEXT) | instid1(VALU_DEP_3)
	v_add3_u32 v5, v1, v5, 0x7fff
	v_add3_u32 v8, v3, v8, 0x7fff
	s_delay_alu instid0(VALU_DEP_2) | instskip(NEXT) | instid1(VALU_DEP_2)
	v_lshrrev_b32_e32 v5, 16, v5
	v_and_b32_e32 v8, 0xffff0000, v8
	s_delay_alu instid0(VALU_DEP_2) | instskip(SKIP_1) | instid1(VALU_DEP_3)
	v_cndmask_b32_e32 v1, 0x7fc0, v5, vcc_lo
	v_cmp_o_f32_e32 vcc_lo, v3, v3
	v_cndmask_b32_e32 v3, 0x7fc00000, v8, vcc_lo
	s_branch .LBB167_131
.LBB167_127:
                                        ; implicit-def: $vgpr3
                                        ; implicit-def: $vgpr1
	s_branch .LBB167_150
.LBB167_128:
	s_mov_b32 s27, -1
                                        ; implicit-def: $vgpr3
                                        ; implicit-def: $vgpr1
	s_branch .LBB167_137
.LBB167_129:
	s_mov_b32 s27, -1
                                        ; implicit-def: $vgpr3
                                        ; implicit-def: $vgpr1
	s_branch .LBB167_134
.LBB167_130:
	s_mov_b32 s27, -1
                                        ; implicit-def: $vgpr3
                                        ; implicit-def: $vgpr1
.LBB167_131:
	s_delay_alu instid0(SALU_CYCLE_1)
	s_and_not1_b32 vcc_lo, exec_lo, s27
	s_cbranch_vccnz .LBB167_133
; %bb.132:
	global_load_b64 v[8:9], v[6:7], off
	s_wait_loadcnt 0x0
	v_bfe_u32 v1, v8, 16, 1
	v_bfe_u32 v3, v9, 16, 1
	v_cmp_o_f32_e32 vcc_lo, v8, v8
	s_delay_alu instid0(VALU_DEP_3) | instskip(NEXT) | instid1(VALU_DEP_3)
	v_add3_u32 v1, v8, v1, 0x7fff
	v_add3_u32 v3, v9, v3, 0x7fff
	s_delay_alu instid0(VALU_DEP_2) | instskip(NEXT) | instid1(VALU_DEP_2)
	v_lshrrev_b32_e32 v1, 16, v1
	v_and_b32_e32 v3, 0xffff0000, v3
	s_delay_alu instid0(VALU_DEP_2) | instskip(SKIP_1) | instid1(VALU_DEP_3)
	v_cndmask_b32_e32 v1, 0x7fc0, v1, vcc_lo
	v_cmp_o_f32_e32 vcc_lo, v9, v9
	v_cndmask_b32_e32 v3, 0x7fc00000, v3, vcc_lo
.LBB167_133:
	s_mov_b32 s27, 0
.LBB167_134:
	s_delay_alu instid0(SALU_CYCLE_1)
	s_and_not1_b32 vcc_lo, exec_lo, s27
	s_cbranch_vccnz .LBB167_136
; %bb.135:
	s_wait_loadcnt 0x0
	global_load_b32 v1, v[6:7], off
	s_wait_loadcnt 0x0
	v_lshrrev_b32_e32 v3, 16, v1
	v_cvt_f32_f16_e32 v5, v1
	v_cmp_o_f16_e32 vcc_lo, v1, v1
	s_delay_alu instid0(VALU_DEP_3) | instskip(NEXT) | instid1(VALU_DEP_3)
	v_cvt_f32_f16_e32 v8, v3
	v_bfe_u32 v9, v5, 16, 1
	s_delay_alu instid0(VALU_DEP_2) | instskip(NEXT) | instid1(VALU_DEP_2)
	v_bfe_u32 v10, v8, 16, 1
	v_add3_u32 v5, v5, v9, 0x7fff
	s_delay_alu instid0(VALU_DEP_2) | instskip(NEXT) | instid1(VALU_DEP_2)
	v_add3_u32 v8, v8, v10, 0x7fff
	v_lshrrev_b32_e32 v5, 16, v5
	s_delay_alu instid0(VALU_DEP_2) | instskip(NEXT) | instid1(VALU_DEP_2)
	v_and_b32_e32 v8, 0xffff0000, v8
	v_cndmask_b32_e32 v1, 0x7fc0, v5, vcc_lo
	v_cmp_o_f16_e32 vcc_lo, v3, v3
	s_delay_alu instid0(VALU_DEP_3)
	v_cndmask_b32_e32 v3, 0x7fc00000, v8, vcc_lo
.LBB167_136:
	s_mov_b32 s27, 0
.LBB167_137:
	s_delay_alu instid0(SALU_CYCLE_1)
	s_and_not1_b32 vcc_lo, exec_lo, s27
	s_cbranch_vccnz .LBB167_149
; %bb.138:
	s_cmp_lt_i32 s0, 6
	s_cbranch_scc1 .LBB167_141
; %bb.139:
	s_cmp_gt_i32 s0, 6
	s_cbranch_scc0 .LBB167_142
; %bb.140:
	global_load_b64 v[8:9], v[6:7], off
	s_mov_b32 s27, 0
	s_wait_loadcnt 0x0
	v_cvt_f32_f64_e32 v1, v[8:9]
	s_delay_alu instid0(VALU_DEP_1) | instskip(SKIP_1) | instid1(VALU_DEP_2)
	v_bfe_u32 v3, v1, 16, 1
	v_cmp_o_f32_e32 vcc_lo, v1, v1
	v_add3_u32 v3, v1, v3, 0x7fff
	s_delay_alu instid0(VALU_DEP_1) | instskip(NEXT) | instid1(VALU_DEP_1)
	v_lshrrev_b32_e32 v3, 16, v3
	v_cndmask_b32_e32 v1, 0x7fc0, v3, vcc_lo
	s_branch .LBB167_143
.LBB167_141:
	s_mov_b32 s27, -1
                                        ; implicit-def: $vgpr1
	s_branch .LBB167_146
.LBB167_142:
	s_mov_b32 s27, -1
                                        ; implicit-def: $vgpr1
.LBB167_143:
	s_delay_alu instid0(SALU_CYCLE_1)
	s_and_not1_b32 vcc_lo, exec_lo, s27
	s_cbranch_vccnz .LBB167_145
; %bb.144:
	s_wait_loadcnt 0x0
	global_load_b32 v1, v[6:7], off
	s_wait_loadcnt 0x0
	v_bfe_u32 v3, v1, 16, 1
	v_cmp_o_f32_e32 vcc_lo, v1, v1
	s_delay_alu instid0(VALU_DEP_2) | instskip(NEXT) | instid1(VALU_DEP_1)
	v_add3_u32 v3, v1, v3, 0x7fff
	v_lshrrev_b32_e32 v3, 16, v3
	s_delay_alu instid0(VALU_DEP_1)
	v_cndmask_b32_e32 v1, 0x7fc0, v3, vcc_lo
.LBB167_145:
	s_mov_b32 s27, 0
.LBB167_146:
	s_delay_alu instid0(SALU_CYCLE_1)
	s_and_not1_b32 vcc_lo, exec_lo, s27
	s_cbranch_vccnz .LBB167_148
; %bb.147:
	s_wait_loadcnt 0x0
	global_load_u16 v1, v[6:7], off
	s_wait_loadcnt 0x0
	v_cvt_f32_f16_e32 v3, v1
	v_cmp_o_f16_e32 vcc_lo, v1, v1
	s_delay_alu instid0(VALU_DEP_2) | instskip(NEXT) | instid1(VALU_DEP_1)
	v_bfe_u32 v5, v3, 16, 1
	v_add3_u32 v3, v3, v5, 0x7fff
	s_delay_alu instid0(VALU_DEP_1) | instskip(NEXT) | instid1(VALU_DEP_1)
	v_lshrrev_b32_e32 v3, 16, v3
	v_cndmask_b32_e32 v1, 0x7fc0, v3, vcc_lo
.LBB167_148:
	v_mov_b32_e32 v3, 0
.LBB167_149:
	s_cbranch_execnz .LBB167_170
.LBB167_150:
	s_cmp_lt_i32 s0, 2
	s_cbranch_scc1 .LBB167_154
; %bb.151:
	s_cmp_lt_i32 s0, 3
	s_cbranch_scc1 .LBB167_155
; %bb.152:
	s_cmp_gt_i32 s0, 3
	s_cbranch_scc0 .LBB167_156
; %bb.153:
	global_load_b64 v[8:9], v[6:7], off
	s_mov_b32 s27, 0
	s_wait_loadcnt 0x0
	v_xor_b32_e32 v1, v8, v9
	v_cls_i32_e32 v3, v9
	s_delay_alu instid0(VALU_DEP_2) | instskip(NEXT) | instid1(VALU_DEP_1)
	v_ashrrev_i32_e32 v1, 31, v1
	v_add_nc_u32_e32 v1, 32, v1
	s_delay_alu instid0(VALU_DEP_1) | instskip(NEXT) | instid1(VALU_DEP_1)
	v_add_min_u32_e64 v1, v3, -1, v1
	v_lshlrev_b64_e32 v[8:9], v1, v[8:9]
	v_sub_nc_u32_e32 v1, 32, v1
	s_delay_alu instid0(VALU_DEP_2) | instskip(NEXT) | instid1(VALU_DEP_1)
	v_min_u32_e32 v3, 1, v8
	v_or_b32_e32 v3, v9, v3
	s_delay_alu instid0(VALU_DEP_1) | instskip(NEXT) | instid1(VALU_DEP_1)
	v_cvt_f32_i32_e32 v3, v3
	v_ldexp_f32 v1, v3, v1
	s_delay_alu instid0(VALU_DEP_1) | instskip(NEXT) | instid1(VALU_DEP_1)
	v_bfe_u32 v3, v1, 16, 1
	v_add3_u32 v1, v1, v3, 0x7fff
	s_delay_alu instid0(VALU_DEP_1)
	v_lshrrev_b32_e32 v1, 16, v1
	s_branch .LBB167_157
.LBB167_154:
	s_mov_b32 s27, -1
                                        ; implicit-def: $vgpr1
	s_branch .LBB167_163
.LBB167_155:
	s_mov_b32 s27, -1
                                        ; implicit-def: $vgpr1
	s_branch .LBB167_160
.LBB167_156:
	s_mov_b32 s27, -1
                                        ; implicit-def: $vgpr1
.LBB167_157:
	s_delay_alu instid0(SALU_CYCLE_1)
	s_and_not1_b32 vcc_lo, exec_lo, s27
	s_cbranch_vccnz .LBB167_159
; %bb.158:
	s_wait_loadcnt 0x0
	global_load_b32 v1, v[6:7], off
	s_wait_loadcnt 0x0
	v_cvt_f32_i32_e32 v1, v1
	s_delay_alu instid0(VALU_DEP_1) | instskip(NEXT) | instid1(VALU_DEP_1)
	v_bfe_u32 v3, v1, 16, 1
	v_add3_u32 v1, v1, v3, 0x7fff
	s_delay_alu instid0(VALU_DEP_1)
	v_lshrrev_b32_e32 v1, 16, v1
.LBB167_159:
	s_mov_b32 s27, 0
.LBB167_160:
	s_delay_alu instid0(SALU_CYCLE_1)
	s_and_not1_b32 vcc_lo, exec_lo, s27
	s_cbranch_vccnz .LBB167_162
; %bb.161:
	s_wait_loadcnt 0x0
	global_load_i16 v1, v[6:7], off
	s_wait_loadcnt 0x0
	v_cvt_f32_i32_e32 v1, v1
	s_delay_alu instid0(VALU_DEP_1) | instskip(NEXT) | instid1(VALU_DEP_1)
	v_bfe_u32 v3, v1, 16, 1
	v_add3_u32 v1, v1, v3, 0x7fff
	s_delay_alu instid0(VALU_DEP_1)
	v_lshrrev_b32_e32 v1, 16, v1
.LBB167_162:
	s_mov_b32 s27, 0
.LBB167_163:
	s_delay_alu instid0(SALU_CYCLE_1)
	s_and_not1_b32 vcc_lo, exec_lo, s27
	s_cbranch_vccnz .LBB167_169
; %bb.164:
	s_cmp_gt_i32 s0, 0
	s_mov_b32 s0, 0
	s_cbranch_scc0 .LBB167_166
; %bb.165:
	s_wait_loadcnt 0x0
	global_load_i8 v1, v[6:7], off
	s_wait_loadcnt 0x0
	v_cvt_f32_i32_e32 v1, v1
	s_delay_alu instid0(VALU_DEP_1) | instskip(NEXT) | instid1(VALU_DEP_1)
	v_bfe_u32 v3, v1, 16, 1
	v_add3_u32 v1, v1, v3, 0x7fff
	s_delay_alu instid0(VALU_DEP_1)
	v_lshrrev_b32_e32 v1, 16, v1
	s_branch .LBB167_167
.LBB167_166:
	s_mov_b32 s0, -1
                                        ; implicit-def: $vgpr1
.LBB167_167:
	s_delay_alu instid0(SALU_CYCLE_1)
	s_and_not1_b32 vcc_lo, exec_lo, s0
	s_cbranch_vccnz .LBB167_169
; %bb.168:
	s_wait_loadcnt 0x0
	global_load_u8 v1, v[6:7], off
	s_wait_loadcnt 0x0
	v_cvt_f32_ubyte0_e32 v1, v1
	s_delay_alu instid0(VALU_DEP_1) | instskip(NEXT) | instid1(VALU_DEP_1)
	v_bfe_u32 v3, v1, 16, 1
	v_add3_u32 v1, v1, v3, 0x7fff
	s_delay_alu instid0(VALU_DEP_1)
	v_lshrrev_b32_e32 v1, 16, v1
.LBB167_169:
	v_mov_b32_e32 v3, 0
.LBB167_170:
	s_branch .LBB167_22
.LBB167_171:
	s_mov_b32 s0, 0
	s_mov_b32 s27, 0
	s_branch .LBB167_404
.LBB167_172:
	s_mov_b32 s27, -1
.LBB167_173:
	s_mov_b32 s40, 0
                                        ; implicit-def: $vgpr7
                                        ; implicit-def: $vgpr6
.LBB167_174:
	s_and_b32 vcc_lo, exec_lo, s41
	s_cbranch_vccz .LBB167_290
; %bb.175:
	s_cmp_eq_u32 s39, 44
	s_cbranch_scc0 .LBB167_288
; %bb.176:
	global_load_u8 v6, v[4:5], off
	s_mov_b32 s27, 0
	s_mov_b32 s40, -1
	s_wait_loadcnt 0x0
	v_lshlrev_b32_e32 v7, 23, v6
	v_cmp_ne_u32_e32 vcc_lo, 0xff, v6
	s_delay_alu instid0(VALU_DEP_2) | instskip(SKIP_1) | instid1(VALU_DEP_2)
	v_cndmask_b32_e32 v7, 0x7f800001, v7, vcc_lo
	v_cmp_ne_u32_e32 vcc_lo, 0, v6
	v_cndmask_b32_e32 v6, 0x400000, v7, vcc_lo
	s_delay_alu instid0(VALU_DEP_1) | instskip(NEXT) | instid1(VALU_DEP_1)
	v_add_nc_u32_e32 v7, 0x7fff, v6
	v_lshrrev_b32_e32 v7, 16, v7
	v_cmp_o_f32_e32 vcc_lo, v6, v6
	s_delay_alu instid0(VALU_DEP_2)
	v_cndmask_b32_e32 v6, 0x7fc0, v7, vcc_lo
	s_branch .LBB167_289
.LBB167_177:
	s_mov_b32 s44, -1
	s_mov_b32 s0, 0
	s_mov_b32 s43, 0
.LBB167_178:
	s_and_b32 vcc_lo, exec_lo, s44
	s_cbranch_vccz .LBB167_183
; %bb.179:
	s_cmp_eq_u32 s41, 44
	s_mov_b32 s0, -1
	s_cbranch_scc0 .LBB167_183
; %bb.180:
	v_cndmask_b32_e64 v5, 0, 1.0, s39
	s_mov_b32 s43, exec_lo
	s_wait_xcnt 0x0
	s_delay_alu instid0(VALU_DEP_1) | instskip(NEXT) | instid1(VALU_DEP_1)
	v_dual_mov_b32 v4, 0xff :: v_dual_lshrrev_b32 v1, 23, v5
	v_cmpx_ne_u32_e32 0xff, v1
; %bb.181:
	v_and_b32_e32 v4, 0x400000, v5
	v_and_or_b32 v5, 0x3fffff, v5, v1
	s_delay_alu instid0(VALU_DEP_2) | instskip(NEXT) | instid1(VALU_DEP_2)
	v_cmp_ne_u32_e32 vcc_lo, 0, v4
	v_cmp_ne_u32_e64 s0, 0, v5
	s_and_b32 s0, vcc_lo, s0
	s_delay_alu instid0(SALU_CYCLE_1) | instskip(NEXT) | instid1(VALU_DEP_1)
	v_cndmask_b32_e64 v4, 0, 1, s0
	v_add_nc_u32_e32 v4, v1, v4
; %bb.182:
	s_or_b32 exec_lo, exec_lo, s43
	s_mov_b32 s43, -1
	s_mov_b32 s0, 0
	global_store_b8 v[2:3], v4, off
.LBB167_183:
	s_mov_b32 s44, 0
.LBB167_184:
	s_delay_alu instid0(SALU_CYCLE_1)
	s_and_b32 vcc_lo, exec_lo, s44
	s_cbranch_vccz .LBB167_187
; %bb.185:
	s_cmp_eq_u32 s41, 29
	s_mov_b32 s0, -1
	s_cbranch_scc0 .LBB167_187
; %bb.186:
	s_mov_b32 s0, 0
	s_wait_xcnt 0x0
	v_cndmask_b32_e64 v4, 0, 1, s39
	v_mov_b32_e32 v5, s0
	s_mov_b32 s43, -1
	s_mov_b32 s44, 0
	global_store_b64 v[2:3], v[4:5], off
	s_branch .LBB167_188
.LBB167_187:
	s_mov_b32 s44, 0
.LBB167_188:
	s_delay_alu instid0(SALU_CYCLE_1)
	s_and_b32 vcc_lo, exec_lo, s44
	s_cbranch_vccz .LBB167_204
; %bb.189:
	s_cmp_lt_i32 s41, 27
	s_mov_b32 s43, -1
	s_cbranch_scc1 .LBB167_195
; %bb.190:
	s_cmp_gt_i32 s41, 27
	s_cbranch_scc0 .LBB167_192
; %bb.191:
	s_wait_xcnt 0x0
	v_cndmask_b32_e64 v1, 0, 1, s39
	s_mov_b32 s43, 0
	global_store_b32 v[2:3], v1, off
.LBB167_192:
	s_and_not1_b32 vcc_lo, exec_lo, s43
	s_cbranch_vccnz .LBB167_194
; %bb.193:
	s_wait_xcnt 0x0
	v_cndmask_b32_e64 v1, 0, 1, s39
	global_store_b16 v[2:3], v1, off
.LBB167_194:
	s_mov_b32 s43, 0
.LBB167_195:
	s_delay_alu instid0(SALU_CYCLE_1)
	s_and_not1_b32 vcc_lo, exec_lo, s43
	s_cbranch_vccnz .LBB167_203
; %bb.196:
	s_wait_xcnt 0x0
	v_cndmask_b32_e64 v4, 0, 1.0, s39
	v_mov_b32_e32 v5, 0x80
	s_mov_b32 s43, exec_lo
	s_delay_alu instid0(VALU_DEP_2)
	v_cmpx_gt_u32_e32 0x43800000, v4
	s_cbranch_execz .LBB167_202
; %bb.197:
	s_mov_b32 s44, 0
	s_mov_b32 s45, exec_lo
                                        ; implicit-def: $vgpr1
	v_cmpx_lt_u32_e32 0x3bffffff, v4
	s_xor_b32 s45, exec_lo, s45
	s_cbranch_execz .LBB167_446
; %bb.198:
	v_bfe_u32 v1, v4, 20, 1
	s_mov_b32 s44, exec_lo
	s_delay_alu instid0(VALU_DEP_1) | instskip(NEXT) | instid1(VALU_DEP_1)
	v_add3_u32 v1, v4, v1, 0x487ffff
                                        ; implicit-def: $vgpr4
	v_lshrrev_b32_e32 v1, 20, v1
	s_and_not1_saveexec_b32 s45, s45
	s_cbranch_execnz .LBB167_447
.LBB167_199:
	s_or_b32 exec_lo, exec_lo, s45
	v_mov_b32_e32 v5, 0
	s_and_saveexec_b32 s45, s44
.LBB167_200:
	v_mov_b32_e32 v5, v1
.LBB167_201:
	s_or_b32 exec_lo, exec_lo, s45
.LBB167_202:
	s_delay_alu instid0(SALU_CYCLE_1)
	s_or_b32 exec_lo, exec_lo, s43
	global_store_b8 v[2:3], v5, off
.LBB167_203:
	s_mov_b32 s43, -1
.LBB167_204:
	s_mov_b32 s44, 0
.LBB167_205:
	s_delay_alu instid0(SALU_CYCLE_1)
	s_and_b32 vcc_lo, exec_lo, s44
	s_cbranch_vccz .LBB167_246
; %bb.206:
	s_cmp_gt_i32 s41, 22
	s_mov_b32 s44, -1
	s_cbranch_scc0 .LBB167_238
; %bb.207:
	s_cmp_lt_i32 s41, 24
	s_mov_b32 s43, -1
	s_cbranch_scc1 .LBB167_227
; %bb.208:
	s_cmp_gt_i32 s41, 24
	s_cbranch_scc0 .LBB167_216
; %bb.209:
	s_wait_xcnt 0x0
	v_cndmask_b32_e64 v4, 0, 1.0, s39
	v_mov_b32_e32 v5, 0x80
	s_mov_b32 s43, exec_lo
	s_delay_alu instid0(VALU_DEP_2)
	v_cmpx_gt_u32_e32 0x47800000, v4
	s_cbranch_execz .LBB167_215
; %bb.210:
	s_mov_b32 s44, 0
	s_mov_b32 s45, exec_lo
                                        ; implicit-def: $vgpr1
	v_cmpx_lt_u32_e32 0x37ffffff, v4
	s_xor_b32 s45, exec_lo, s45
	s_cbranch_execz .LBB167_570
; %bb.211:
	v_bfe_u32 v1, v4, 21, 1
	s_mov_b32 s44, exec_lo
	s_delay_alu instid0(VALU_DEP_1) | instskip(NEXT) | instid1(VALU_DEP_1)
	v_add3_u32 v1, v4, v1, 0x88fffff
                                        ; implicit-def: $vgpr4
	v_lshrrev_b32_e32 v1, 21, v1
	s_and_not1_saveexec_b32 s45, s45
	s_cbranch_execnz .LBB167_571
.LBB167_212:
	s_or_b32 exec_lo, exec_lo, s45
	v_mov_b32_e32 v5, 0
	s_and_saveexec_b32 s45, s44
.LBB167_213:
	v_mov_b32_e32 v5, v1
.LBB167_214:
	s_or_b32 exec_lo, exec_lo, s45
.LBB167_215:
	s_delay_alu instid0(SALU_CYCLE_1)
	s_or_b32 exec_lo, exec_lo, s43
	s_mov_b32 s43, 0
	global_store_b8 v[2:3], v5, off
.LBB167_216:
	s_and_b32 vcc_lo, exec_lo, s43
	s_cbranch_vccz .LBB167_226
; %bb.217:
	s_wait_xcnt 0x0
	v_cndmask_b32_e64 v4, 0, 1.0, s39
	s_mov_b32 s43, exec_lo
                                        ; implicit-def: $vgpr1
	s_delay_alu instid0(VALU_DEP_1)
	v_cmpx_gt_u32_e32 0x43f00000, v4
	s_xor_b32 s43, exec_lo, s43
	s_cbranch_execz .LBB167_223
; %bb.218:
	s_mov_b32 s44, exec_lo
                                        ; implicit-def: $vgpr1
	v_cmpx_lt_u32_e32 0x3c7fffff, v4
	s_xor_b32 s44, exec_lo, s44
; %bb.219:
	v_bfe_u32 v1, v4, 20, 1
	s_delay_alu instid0(VALU_DEP_1) | instskip(NEXT) | instid1(VALU_DEP_1)
	v_add3_u32 v1, v4, v1, 0x407ffff
	v_and_b32_e32 v4, 0xff00000, v1
	v_lshrrev_b32_e32 v1, 20, v1
	s_delay_alu instid0(VALU_DEP_2) | instskip(NEXT) | instid1(VALU_DEP_2)
	v_cmp_ne_u32_e32 vcc_lo, 0x7f00000, v4
                                        ; implicit-def: $vgpr4
	v_cndmask_b32_e32 v1, 0x7e, v1, vcc_lo
; %bb.220:
	s_and_not1_saveexec_b32 s44, s44
; %bb.221:
	v_add_f32_e32 v1, 0x46800000, v4
; %bb.222:
	s_or_b32 exec_lo, exec_lo, s44
                                        ; implicit-def: $vgpr4
.LBB167_223:
	s_and_not1_saveexec_b32 s43, s43
; %bb.224:
	v_mov_b32_e32 v1, 0x7f
	v_cmp_lt_u32_e32 vcc_lo, 0x7f800000, v4
	s_delay_alu instid0(VALU_DEP_2)
	v_cndmask_b32_e32 v1, 0x7e, v1, vcc_lo
; %bb.225:
	s_or_b32 exec_lo, exec_lo, s43
	global_store_b8 v[2:3], v1, off
.LBB167_226:
	s_mov_b32 s43, 0
.LBB167_227:
	s_delay_alu instid0(SALU_CYCLE_1)
	s_and_not1_b32 vcc_lo, exec_lo, s43
	s_cbranch_vccnz .LBB167_237
; %bb.228:
	s_wait_xcnt 0x0
	v_cndmask_b32_e64 v4, 0, 1.0, s39
	s_mov_b32 s43, exec_lo
                                        ; implicit-def: $vgpr1
	s_delay_alu instid0(VALU_DEP_1)
	v_cmpx_gt_u32_e32 0x47800000, v4
	s_xor_b32 s43, exec_lo, s43
	s_cbranch_execz .LBB167_234
; %bb.229:
	s_mov_b32 s44, exec_lo
                                        ; implicit-def: $vgpr1
	v_cmpx_lt_u32_e32 0x387fffff, v4
	s_xor_b32 s44, exec_lo, s44
; %bb.230:
	v_bfe_u32 v1, v4, 21, 1
	s_delay_alu instid0(VALU_DEP_1) | instskip(NEXT) | instid1(VALU_DEP_1)
	v_add3_u32 v1, v4, v1, 0x80fffff
                                        ; implicit-def: $vgpr4
	v_lshrrev_b32_e32 v1, 21, v1
; %bb.231:
	s_and_not1_saveexec_b32 s44, s44
; %bb.232:
	v_add_f32_e32 v1, 0x43000000, v4
; %bb.233:
	s_or_b32 exec_lo, exec_lo, s44
                                        ; implicit-def: $vgpr4
.LBB167_234:
	s_and_not1_saveexec_b32 s43, s43
; %bb.235:
	v_mov_b32_e32 v1, 0x7f
	v_cmp_lt_u32_e32 vcc_lo, 0x7f800000, v4
	s_delay_alu instid0(VALU_DEP_2)
	v_cndmask_b32_e32 v1, 0x7c, v1, vcc_lo
; %bb.236:
	s_or_b32 exec_lo, exec_lo, s43
	global_store_b8 v[2:3], v1, off
.LBB167_237:
	s_mov_b32 s44, 0
	s_mov_b32 s43, -1
.LBB167_238:
	s_and_not1_b32 vcc_lo, exec_lo, s44
	s_cbranch_vccnz .LBB167_246
; %bb.239:
	s_cmp_gt_i32 s41, 14
	s_mov_b32 s44, -1
	s_cbranch_scc0 .LBB167_243
; %bb.240:
	s_cmp_eq_u32 s41, 15
	s_mov_b32 s0, -1
	s_cbranch_scc0 .LBB167_242
; %bb.241:
	s_wait_xcnt 0x0
	v_cndmask_b32_e64 v1, 0, 1.0, s39
	s_mov_b32 s43, -1
	s_mov_b32 s0, 0
	s_delay_alu instid0(VALU_DEP_1) | instskip(NEXT) | instid1(VALU_DEP_1)
	v_bfe_u32 v4, v1, 16, 1
	v_add3_u32 v1, v1, v4, 0x7fff
	global_store_d16_hi_b16 v[2:3], v1, off
.LBB167_242:
	s_mov_b32 s44, 0
.LBB167_243:
	s_delay_alu instid0(SALU_CYCLE_1)
	s_and_b32 vcc_lo, exec_lo, s44
	s_cbranch_vccz .LBB167_246
; %bb.244:
	s_cmp_eq_u32 s41, 11
	s_mov_b32 s0, -1
	s_cbranch_scc0 .LBB167_246
; %bb.245:
	s_wait_xcnt 0x0
	v_cndmask_b32_e64 v1, 0, 1, s39
	s_mov_b32 s43, -1
	s_mov_b32 s0, 0
	global_store_b8 v[2:3], v1, off
.LBB167_246:
	s_mov_b32 s41, 0
.LBB167_247:
	s_delay_alu instid0(SALU_CYCLE_1)
	s_and_b32 vcc_lo, exec_lo, s41
	s_cbranch_vccz .LBB167_286
; %bb.248:
	s_and_b32 s40, 0xffff, s40
	s_mov_b32 s41, -1
	s_cmp_lt_i32 s40, 5
	s_cbranch_scc1 .LBB167_269
; %bb.249:
	s_cmp_lt_i32 s40, 8
	s_cbranch_scc1 .LBB167_259
; %bb.250:
	;; [unrolled: 3-line block ×3, first 2 shown]
	s_cmp_gt_i32 s40, 9
	s_cbranch_scc0 .LBB167_253
; %bb.252:
	s_wait_xcnt 0x0
	v_cndmask_b32_e64 v1, 0, 1, s39
	v_mov_b32_e32 v6, 0
	s_mov_b32 s41, 0
	s_delay_alu instid0(VALU_DEP_2) | instskip(NEXT) | instid1(VALU_DEP_2)
	v_cvt_f64_u32_e32 v[4:5], v1
	v_mov_b32_e32 v7, v6
	global_store_b128 v[2:3], v[4:7], off
.LBB167_253:
	s_and_not1_b32 vcc_lo, exec_lo, s41
	s_cbranch_vccnz .LBB167_255
; %bb.254:
	s_wait_xcnt 0x0
	v_cndmask_b32_e64 v4, 0, 1.0, s39
	v_mov_b32_e32 v5, 0
	global_store_b64 v[2:3], v[4:5], off
.LBB167_255:
	s_mov_b32 s41, 0
.LBB167_256:
	s_delay_alu instid0(SALU_CYCLE_1)
	s_and_not1_b32 vcc_lo, exec_lo, s41
	s_cbranch_vccnz .LBB167_258
; %bb.257:
	s_wait_xcnt 0x0
	v_cndmask_b32_e64 v1, 0, 1.0, s39
	s_delay_alu instid0(VALU_DEP_1) | instskip(NEXT) | instid1(VALU_DEP_1)
	v_cvt_f16_f32_e32 v1, v1
	v_and_b32_e32 v1, 0xffff, v1
	global_store_b32 v[2:3], v1, off
.LBB167_258:
	s_mov_b32 s41, 0
.LBB167_259:
	s_delay_alu instid0(SALU_CYCLE_1)
	s_and_not1_b32 vcc_lo, exec_lo, s41
	s_cbranch_vccnz .LBB167_268
; %bb.260:
	s_cmp_lt_i32 s40, 6
	s_mov_b32 s41, -1
	s_cbranch_scc1 .LBB167_266
; %bb.261:
	s_cmp_gt_i32 s40, 6
	s_cbranch_scc0 .LBB167_263
; %bb.262:
	s_wait_xcnt 0x0
	v_cndmask_b32_e64 v1, 0, 1, s39
	s_mov_b32 s41, 0
	s_delay_alu instid0(VALU_DEP_1)
	v_cvt_f64_u32_e32 v[4:5], v1
	global_store_b64 v[2:3], v[4:5], off
.LBB167_263:
	s_and_not1_b32 vcc_lo, exec_lo, s41
	s_cbranch_vccnz .LBB167_265
; %bb.264:
	s_wait_xcnt 0x0
	v_cndmask_b32_e64 v1, 0, 1.0, s39
	global_store_b32 v[2:3], v1, off
.LBB167_265:
	s_mov_b32 s41, 0
.LBB167_266:
	s_delay_alu instid0(SALU_CYCLE_1)
	s_and_not1_b32 vcc_lo, exec_lo, s41
	s_cbranch_vccnz .LBB167_268
; %bb.267:
	s_wait_xcnt 0x0
	v_cndmask_b32_e64 v1, 0, 1.0, s39
	s_delay_alu instid0(VALU_DEP_1)
	v_cvt_f16_f32_e32 v1, v1
	global_store_b16 v[2:3], v1, off
.LBB167_268:
	s_mov_b32 s41, 0
.LBB167_269:
	s_delay_alu instid0(SALU_CYCLE_1)
	s_and_not1_b32 vcc_lo, exec_lo, s41
	s_cbranch_vccnz .LBB167_285
; %bb.270:
	s_cmp_lt_i32 s40, 2
	s_mov_b32 s41, -1
	s_cbranch_scc1 .LBB167_280
; %bb.271:
	s_cmp_lt_i32 s40, 3
	s_cbranch_scc1 .LBB167_277
; %bb.272:
	s_cmp_gt_i32 s40, 3
	s_cbranch_scc0 .LBB167_274
; %bb.273:
	s_mov_b32 s41, 0
	s_wait_xcnt 0x0
	v_cndmask_b32_e64 v4, 0, 1, s39
	v_mov_b32_e32 v5, s41
	global_store_b64 v[2:3], v[4:5], off
.LBB167_274:
	s_and_not1_b32 vcc_lo, exec_lo, s41
	s_cbranch_vccnz .LBB167_276
; %bb.275:
	s_wait_xcnt 0x0
	v_cndmask_b32_e64 v1, 0, 1, s39
	global_store_b32 v[2:3], v1, off
.LBB167_276:
	s_mov_b32 s41, 0
.LBB167_277:
	s_delay_alu instid0(SALU_CYCLE_1)
	s_and_not1_b32 vcc_lo, exec_lo, s41
	s_cbranch_vccnz .LBB167_279
; %bb.278:
	s_wait_xcnt 0x0
	v_cndmask_b32_e64 v1, 0, 1, s39
	global_store_b16 v[2:3], v1, off
.LBB167_279:
	s_mov_b32 s41, 0
.LBB167_280:
	s_delay_alu instid0(SALU_CYCLE_1)
	s_and_not1_b32 vcc_lo, exec_lo, s41
	s_cbranch_vccnz .LBB167_285
; %bb.281:
	s_cmp_gt_i32 s40, 0
	s_mov_b32 s40, -1
	s_cbranch_scc0 .LBB167_283
; %bb.282:
	s_wait_xcnt 0x0
	v_cndmask_b32_e64 v1, 0, 1, s39
	s_mov_b32 s40, 0
	global_store_b8 v[2:3], v1, off
.LBB167_283:
	s_and_not1_b32 vcc_lo, exec_lo, s40
	s_cbranch_vccnz .LBB167_285
; %bb.284:
	s_wait_xcnt 0x0
	v_cndmask_b32_e64 v1, 0, 1, s39
	global_store_b8 v[2:3], v1, off
.LBB167_285:
	s_mov_b32 s43, -1
.LBB167_286:
	s_delay_alu instid0(SALU_CYCLE_1)
	s_and_not1_b32 vcc_lo, exec_lo, s43
	s_cbranch_vccnz .LBB167_404
; %bb.287:
	v_add_nc_u32_e32 v0, 0x80, v0
	s_mov_b32 s43, -1
	s_branch .LBB167_405
.LBB167_288:
	s_mov_b32 s27, -1
                                        ; implicit-def: $vgpr6
.LBB167_289:
	s_wait_xcnt 0x0
	v_mov_b32_e32 v7, 0
.LBB167_290:
	s_mov_b32 s41, 0
.LBB167_291:
	s_delay_alu instid0(SALU_CYCLE_1)
	s_and_b32 vcc_lo, exec_lo, s41
	s_cbranch_vccz .LBB167_296
; %bb.292:
	s_cmp_eq_u32 s39, 29
	s_cbranch_scc0 .LBB167_294
; %bb.293:
	global_load_b64 v[6:7], v[4:5], off
	s_mov_b32 s40, -1
	s_mov_b32 s27, 0
	s_wait_loadcnt 0x0
	v_clz_i32_u32_e32 v8, v7
	s_delay_alu instid0(VALU_DEP_1) | instskip(NEXT) | instid1(VALU_DEP_1)
	v_min_u32_e32 v8, 32, v8
	v_lshlrev_b64_e32 v[6:7], v8, v[6:7]
	s_delay_alu instid0(VALU_DEP_1) | instskip(NEXT) | instid1(VALU_DEP_1)
	v_min_u32_e32 v6, 1, v6
	v_dual_sub_nc_u32 v7, 32, v8 :: v_dual_bitop2_b32 v6, v7, v6 bitop3:0x54
	s_delay_alu instid0(VALU_DEP_1) | instskip(NEXT) | instid1(VALU_DEP_1)
	v_cvt_f32_u32_e32 v6, v6
	v_ldexp_f32 v6, v6, v7
	s_delay_alu instid0(VALU_DEP_1) | instskip(NEXT) | instid1(VALU_DEP_1)
	v_bfe_u32 v7, v6, 16, 1
	v_add3_u32 v6, v6, v7, 0x7fff
	s_delay_alu instid0(VALU_DEP_1)
	v_lshrrev_b32_e32 v6, 16, v6
	s_branch .LBB167_295
.LBB167_294:
	s_mov_b32 s27, -1
                                        ; implicit-def: $vgpr6
.LBB167_295:
	s_wait_xcnt 0x0
	v_mov_b32_e32 v7, 0
.LBB167_296:
	s_mov_b32 s41, 0
.LBB167_297:
	s_delay_alu instid0(SALU_CYCLE_1)
	s_and_b32 vcc_lo, exec_lo, s41
	s_cbranch_vccz .LBB167_315
; %bb.298:
	s_cmp_lt_i32 s39, 27
	s_cbranch_scc1 .LBB167_301
; %bb.299:
	s_cmp_gt_i32 s39, 27
	s_cbranch_scc0 .LBB167_302
; %bb.300:
	global_load_b32 v6, v[4:5], off
	s_mov_b32 s40, 0
	s_wait_loadcnt 0x0
	v_cvt_f32_u32_e32 v6, v6
	s_delay_alu instid0(VALU_DEP_1) | instskip(NEXT) | instid1(VALU_DEP_1)
	v_bfe_u32 v7, v6, 16, 1
	v_add3_u32 v6, v6, v7, 0x7fff
	s_delay_alu instid0(VALU_DEP_1)
	v_lshrrev_b32_e32 v6, 16, v6
	s_branch .LBB167_303
.LBB167_301:
	s_mov_b32 s40, -1
                                        ; implicit-def: $vgpr6
	s_branch .LBB167_306
.LBB167_302:
	s_mov_b32 s40, -1
                                        ; implicit-def: $vgpr6
.LBB167_303:
	s_delay_alu instid0(SALU_CYCLE_1)
	s_and_not1_b32 vcc_lo, exec_lo, s40
	s_cbranch_vccnz .LBB167_305
; %bb.304:
	global_load_u16 v6, v[4:5], off
	s_wait_loadcnt 0x0
	v_cvt_f32_u32_e32 v6, v6
	s_delay_alu instid0(VALU_DEP_1) | instskip(NEXT) | instid1(VALU_DEP_1)
	v_bfe_u32 v7, v6, 16, 1
	v_add3_u32 v6, v6, v7, 0x7fff
	s_delay_alu instid0(VALU_DEP_1)
	v_lshrrev_b32_e32 v6, 16, v6
.LBB167_305:
	s_mov_b32 s40, 0
.LBB167_306:
	s_delay_alu instid0(SALU_CYCLE_1)
	s_and_not1_b32 vcc_lo, exec_lo, s40
	s_cbranch_vccnz .LBB167_314
; %bb.307:
	global_load_u8 v6, v[4:5], off
	s_mov_b32 s40, 0
	s_mov_b32 s41, exec_lo
	s_wait_loadcnt 0x0
	v_cmpx_lt_i16_e32 0x7f, v6
	s_xor_b32 s41, exec_lo, s41
	s_cbranch_execz .LBB167_328
; %bb.308:
	s_mov_b32 s40, -1
	s_mov_b32 s43, exec_lo
	v_cmpx_eq_u16_e32 0x80, v6
; %bb.309:
	s_xor_b32 s40, exec_lo, -1
; %bb.310:
	s_or_b32 exec_lo, exec_lo, s43
	s_delay_alu instid0(SALU_CYCLE_1)
	s_and_b32 s40, s40, exec_lo
	s_or_saveexec_b32 s41, s41
	v_mov_b32_e32 v7, 0x7f800001
	s_xor_b32 exec_lo, exec_lo, s41
	s_cbranch_execnz .LBB167_329
.LBB167_311:
	s_or_b32 exec_lo, exec_lo, s41
	s_and_saveexec_b32 s41, s40
	s_cbranch_execz .LBB167_313
.LBB167_312:
	v_and_b32_e32 v7, 0xffff, v6
	s_delay_alu instid0(VALU_DEP_1) | instskip(SKIP_1) | instid1(VALU_DEP_2)
	v_and_b32_e32 v8, 7, v7
	v_bfe_u32 v11, v7, 3, 4
	v_clz_i32_u32_e32 v9, v8
	s_delay_alu instid0(VALU_DEP_2) | instskip(NEXT) | instid1(VALU_DEP_2)
	v_cmp_eq_u32_e32 vcc_lo, 0, v11
	v_min_u32_e32 v9, 32, v9
	s_delay_alu instid0(VALU_DEP_1) | instskip(NEXT) | instid1(VALU_DEP_1)
	v_subrev_nc_u32_e32 v10, 28, v9
	v_dual_lshlrev_b32 v7, v10, v7 :: v_dual_sub_nc_u32 v9, 29, v9
	s_delay_alu instid0(VALU_DEP_1) | instskip(NEXT) | instid1(VALU_DEP_1)
	v_dual_lshlrev_b32 v6, 24, v6 :: v_dual_bitop2_b32 v7, 7, v7 bitop3:0x40
	v_dual_cndmask_b32 v9, v11, v9, vcc_lo :: v_dual_cndmask_b32 v7, v8, v7, vcc_lo
	s_delay_alu instid0(VALU_DEP_2) | instskip(NEXT) | instid1(VALU_DEP_2)
	v_and_b32_e32 v6, 0x80000000, v6
	v_lshl_add_u32 v8, v9, 23, 0x3b800000
	s_delay_alu instid0(VALU_DEP_3) | instskip(NEXT) | instid1(VALU_DEP_1)
	v_lshlrev_b32_e32 v7, 20, v7
	v_or3_b32 v7, v6, v8, v7
.LBB167_313:
	s_or_b32 exec_lo, exec_lo, s41
	s_delay_alu instid0(VALU_DEP_1) | instskip(SKIP_1) | instid1(VALU_DEP_2)
	v_bfe_u32 v6, v7, 16, 1
	v_cmp_o_f32_e32 vcc_lo, v7, v7
	v_add3_u32 v6, v7, v6, 0x7fff
	s_delay_alu instid0(VALU_DEP_1) | instskip(NEXT) | instid1(VALU_DEP_1)
	v_lshrrev_b32_e32 v6, 16, v6
	v_cndmask_b32_e32 v6, 0x7fc0, v6, vcc_lo
.LBB167_314:
	s_wait_xcnt 0x0
	v_mov_b32_e32 v7, 0
	s_mov_b32 s40, -1
.LBB167_315:
	s_mov_b32 s41, 0
.LBB167_316:
	s_delay_alu instid0(SALU_CYCLE_1)
	s_and_b32 vcc_lo, exec_lo, s41
	s_cbranch_vccz .LBB167_352
; %bb.317:
	s_cmp_gt_i32 s39, 22
	s_cbranch_scc0 .LBB167_327
; %bb.318:
	s_cmp_lt_i32 s39, 24
	s_cbranch_scc1 .LBB167_330
; %bb.319:
	s_cmp_gt_i32 s39, 24
	s_cbranch_scc0 .LBB167_331
; %bb.320:
	global_load_u8 v6, v[4:5], off
	s_mov_b32 s40, 0
	s_mov_b32 s41, exec_lo
	s_wait_loadcnt 0x0
	v_cmpx_lt_i16_e32 0x7f, v6
	s_xor_b32 s41, exec_lo, s41
	s_cbranch_execz .LBB167_343
; %bb.321:
	s_mov_b32 s40, -1
	s_mov_b32 s43, exec_lo
	v_cmpx_eq_u16_e32 0x80, v6
; %bb.322:
	s_xor_b32 s40, exec_lo, -1
; %bb.323:
	s_or_b32 exec_lo, exec_lo, s43
	s_delay_alu instid0(SALU_CYCLE_1)
	s_and_b32 s40, s40, exec_lo
	s_or_saveexec_b32 s41, s41
	v_mov_b32_e32 v7, 0x7f800001
	s_xor_b32 exec_lo, exec_lo, s41
	s_cbranch_execnz .LBB167_344
.LBB167_324:
	s_or_b32 exec_lo, exec_lo, s41
	s_and_saveexec_b32 s41, s40
	s_cbranch_execz .LBB167_326
.LBB167_325:
	v_and_b32_e32 v7, 0xffff, v6
	s_delay_alu instid0(VALU_DEP_1) | instskip(SKIP_1) | instid1(VALU_DEP_2)
	v_and_b32_e32 v8, 3, v7
	v_bfe_u32 v11, v7, 2, 5
	v_clz_i32_u32_e32 v9, v8
	s_delay_alu instid0(VALU_DEP_2) | instskip(NEXT) | instid1(VALU_DEP_2)
	v_cmp_eq_u32_e32 vcc_lo, 0, v11
	v_min_u32_e32 v9, 32, v9
	s_delay_alu instid0(VALU_DEP_1) | instskip(NEXT) | instid1(VALU_DEP_1)
	v_subrev_nc_u32_e32 v10, 29, v9
	v_dual_lshlrev_b32 v7, v10, v7 :: v_dual_sub_nc_u32 v9, 30, v9
	s_delay_alu instid0(VALU_DEP_1) | instskip(NEXT) | instid1(VALU_DEP_1)
	v_dual_lshlrev_b32 v6, 24, v6 :: v_dual_bitop2_b32 v7, 3, v7 bitop3:0x40
	v_dual_cndmask_b32 v9, v11, v9, vcc_lo :: v_dual_cndmask_b32 v7, v8, v7, vcc_lo
	s_delay_alu instid0(VALU_DEP_2) | instskip(NEXT) | instid1(VALU_DEP_2)
	v_and_b32_e32 v6, 0x80000000, v6
	v_lshl_add_u32 v8, v9, 23, 0x37800000
	s_delay_alu instid0(VALU_DEP_3) | instskip(NEXT) | instid1(VALU_DEP_1)
	v_lshlrev_b32_e32 v7, 21, v7
	v_or3_b32 v7, v6, v8, v7
.LBB167_326:
	s_or_b32 exec_lo, exec_lo, s41
	s_delay_alu instid0(VALU_DEP_1) | instskip(SKIP_2) | instid1(VALU_DEP_2)
	v_bfe_u32 v6, v7, 16, 1
	v_cmp_o_f32_e32 vcc_lo, v7, v7
	s_mov_b32 s40, 0
	v_add3_u32 v6, v7, v6, 0x7fff
	s_delay_alu instid0(VALU_DEP_1) | instskip(NEXT) | instid1(VALU_DEP_1)
	v_lshrrev_b32_e32 v6, 16, v6
	v_cndmask_b32_e32 v6, 0x7fc0, v6, vcc_lo
	s_branch .LBB167_332
.LBB167_327:
	s_mov_b32 s41, -1
                                        ; implicit-def: $vgpr6
	s_branch .LBB167_338
.LBB167_328:
	s_or_saveexec_b32 s41, s41
	v_mov_b32_e32 v7, 0x7f800001
	s_xor_b32 exec_lo, exec_lo, s41
	s_cbranch_execz .LBB167_311
.LBB167_329:
	v_cmp_ne_u16_e32 vcc_lo, 0, v6
	v_mov_b32_e32 v7, 0
	s_and_not1_b32 s40, s40, exec_lo
	s_and_b32 s43, vcc_lo, exec_lo
	s_delay_alu instid0(SALU_CYCLE_1)
	s_or_b32 s40, s40, s43
	s_or_b32 exec_lo, exec_lo, s41
	s_and_saveexec_b32 s41, s40
	s_cbranch_execnz .LBB167_312
	s_branch .LBB167_313
.LBB167_330:
	s_mov_b32 s40, -1
                                        ; implicit-def: $vgpr6
	s_branch .LBB167_335
.LBB167_331:
	s_mov_b32 s40, -1
                                        ; implicit-def: $vgpr6
.LBB167_332:
	s_delay_alu instid0(SALU_CYCLE_1)
	s_and_b32 vcc_lo, exec_lo, s40
	s_cbranch_vccz .LBB167_334
; %bb.333:
	global_load_u8 v6, v[4:5], off
	s_wait_loadcnt 0x0
	v_lshlrev_b32_e32 v6, 24, v6
	s_delay_alu instid0(VALU_DEP_1) | instskip(NEXT) | instid1(VALU_DEP_1)
	v_and_b32_e32 v7, 0x7f000000, v6
	v_clz_i32_u32_e32 v8, v7
	v_cmp_ne_u32_e32 vcc_lo, 0, v7
	v_add_nc_u32_e32 v10, 0x1000000, v7
	s_delay_alu instid0(VALU_DEP_3) | instskip(NEXT) | instid1(VALU_DEP_1)
	v_min_u32_e32 v8, 32, v8
	v_sub_nc_u32_e64 v8, v8, 4 clamp
	s_delay_alu instid0(VALU_DEP_1) | instskip(NEXT) | instid1(VALU_DEP_1)
	v_dual_lshlrev_b32 v9, v8, v7 :: v_dual_lshlrev_b32 v8, 23, v8
	v_lshrrev_b32_e32 v9, 4, v9
	s_delay_alu instid0(VALU_DEP_1) | instskip(NEXT) | instid1(VALU_DEP_1)
	v_dual_sub_nc_u32 v8, v9, v8 :: v_dual_ashrrev_i32 v9, 8, v10
	v_add_nc_u32_e32 v8, 0x3c000000, v8
	s_delay_alu instid0(VALU_DEP_1) | instskip(NEXT) | instid1(VALU_DEP_1)
	v_and_or_b32 v8, 0x7f800000, v9, v8
	v_cndmask_b32_e32 v7, 0, v8, vcc_lo
	s_delay_alu instid0(VALU_DEP_1) | instskip(SKIP_1) | instid1(VALU_DEP_2)
	v_and_or_b32 v6, 0x80000000, v6, v7
	v_bfe_u32 v7, v7, 16, 1
	v_cmp_o_f32_e32 vcc_lo, v6, v6
	s_delay_alu instid0(VALU_DEP_2) | instskip(NEXT) | instid1(VALU_DEP_1)
	v_add3_u32 v7, v6, v7, 0x7fff
	v_lshrrev_b32_e32 v7, 16, v7
	s_delay_alu instid0(VALU_DEP_1)
	v_cndmask_b32_e32 v6, 0x7fc0, v7, vcc_lo
.LBB167_334:
	s_mov_b32 s40, 0
.LBB167_335:
	s_delay_alu instid0(SALU_CYCLE_1)
	s_and_not1_b32 vcc_lo, exec_lo, s40
	s_cbranch_vccnz .LBB167_337
; %bb.336:
	global_load_u8 v6, v[4:5], off
	s_wait_loadcnt 0x0
	v_lshlrev_b32_e32 v7, 25, v6
	v_lshlrev_b16 v6, 8, v6
	s_delay_alu instid0(VALU_DEP_1) | instskip(SKIP_1) | instid1(VALU_DEP_2)
	v_and_or_b32 v9, 0x7f00, v6, 0.5
	v_bfe_i32 v6, v6, 0, 16
	v_dual_add_f32 v9, -0.5, v9 :: v_dual_lshrrev_b32 v8, 4, v7
	v_cmp_gt_u32_e32 vcc_lo, 0x8000000, v7
	s_delay_alu instid0(VALU_DEP_2) | instskip(NEXT) | instid1(VALU_DEP_1)
	v_or_b32_e32 v8, 0x70000000, v8
	v_mul_f32_e32 v8, 0x7800000, v8
	s_delay_alu instid0(VALU_DEP_1) | instskip(NEXT) | instid1(VALU_DEP_1)
	v_cndmask_b32_e32 v7, v8, v9, vcc_lo
	v_and_or_b32 v6, 0x80000000, v6, v7
	v_bfe_u32 v7, v7, 16, 1
	s_delay_alu instid0(VALU_DEP_2) | instskip(NEXT) | instid1(VALU_DEP_2)
	v_cmp_o_f32_e32 vcc_lo, v6, v6
	v_add3_u32 v7, v6, v7, 0x7fff
	s_delay_alu instid0(VALU_DEP_1) | instskip(NEXT) | instid1(VALU_DEP_1)
	v_lshrrev_b32_e32 v7, 16, v7
	v_cndmask_b32_e32 v6, 0x7fc0, v7, vcc_lo
.LBB167_337:
	s_mov_b32 s41, 0
	s_mov_b32 s40, -1
.LBB167_338:
	s_and_not1_b32 vcc_lo, exec_lo, s41
	s_cbranch_vccnz .LBB167_351
; %bb.339:
	s_cmp_gt_i32 s39, 14
	s_cbranch_scc0 .LBB167_342
; %bb.340:
	s_cmp_eq_u32 s39, 15
	s_cbranch_scc0 .LBB167_345
; %bb.341:
	global_load_u16 v6, v[4:5], off
	s_mov_b32 s40, -1
	s_mov_b32 s27, 0
	s_branch .LBB167_346
.LBB167_342:
	s_mov_b32 s41, -1
                                        ; implicit-def: $vgpr6
	s_branch .LBB167_347
.LBB167_343:
	s_or_saveexec_b32 s41, s41
	v_mov_b32_e32 v7, 0x7f800001
	s_xor_b32 exec_lo, exec_lo, s41
	s_cbranch_execz .LBB167_324
.LBB167_344:
	v_cmp_ne_u16_e32 vcc_lo, 0, v6
	v_mov_b32_e32 v7, 0
	s_and_not1_b32 s40, s40, exec_lo
	s_and_b32 s43, vcc_lo, exec_lo
	s_delay_alu instid0(SALU_CYCLE_1)
	s_or_b32 s40, s40, s43
	s_or_b32 exec_lo, exec_lo, s41
	s_and_saveexec_b32 s41, s40
	s_cbranch_execnz .LBB167_325
	s_branch .LBB167_326
.LBB167_345:
	s_mov_b32 s27, -1
                                        ; implicit-def: $vgpr6
.LBB167_346:
	s_mov_b32 s41, 0
.LBB167_347:
	s_delay_alu instid0(SALU_CYCLE_1)
	s_and_b32 vcc_lo, exec_lo, s41
	s_cbranch_vccz .LBB167_351
; %bb.348:
	s_cmp_eq_u32 s39, 11
	s_cbranch_scc0 .LBB167_350
; %bb.349:
	s_wait_loadcnt 0x0
	global_load_u8 v6, v[4:5], off
	s_mov_b32 s27, 0
	s_mov_b32 s40, -1
	v_mov_b32_e32 v7, 0
	s_wait_loadcnt 0x0
	v_cmp_ne_u16_e32 vcc_lo, 0, v6
	v_cndmask_b32_e64 v6, 0, 1.0, vcc_lo
	s_delay_alu instid0(VALU_DEP_1)
	v_lshrrev_b32_e32 v6, 16, v6
	s_branch .LBB167_352
.LBB167_350:
	s_mov_b32 s27, -1
                                        ; implicit-def: $vgpr6
.LBB167_351:
	s_wait_xcnt 0x0
	v_mov_b32_e32 v7, 0
.LBB167_352:
	s_branch .LBB167_31
.LBB167_353:
	s_and_b32 s0, 0xffff, s0
	s_delay_alu instid0(SALU_CYCLE_1)
	s_cmp_lt_i32 s0, 5
	s_cbranch_scc1 .LBB167_358
; %bb.354:
	s_cmp_lt_i32 s0, 8
	s_cbranch_scc1 .LBB167_359
; %bb.355:
	;; [unrolled: 3-line block ×3, first 2 shown]
	s_cmp_gt_i32 s0, 9
	s_cbranch_scc0 .LBB167_361
; %bb.357:
	s_wait_loadcnt 0x0
	global_load_b128 v[6:9], v[4:5], off
	s_mov_b32 s39, 0
	s_wait_loadcnt 0x0
	v_cvt_f32_f64_e32 v6, v[6:7]
	v_cvt_f32_f64_e32 v7, v[8:9]
	s_delay_alu instid0(VALU_DEP_2) | instskip(NEXT) | instid1(VALU_DEP_2)
	v_bfe_u32 v8, v6, 16, 1
	v_bfe_u32 v9, v7, 16, 1
	v_cmp_o_f32_e32 vcc_lo, v6, v6
	s_delay_alu instid0(VALU_DEP_3) | instskip(NEXT) | instid1(VALU_DEP_3)
	v_add3_u32 v8, v6, v8, 0x7fff
	v_add3_u32 v9, v7, v9, 0x7fff
	s_delay_alu instid0(VALU_DEP_1) | instskip(NEXT) | instid1(VALU_DEP_3)
	v_and_b32_e32 v9, 0xffff0000, v9
	v_lshrrev_b32_e32 v8, 16, v8
	s_delay_alu instid0(VALU_DEP_1) | instskip(SKIP_1) | instid1(VALU_DEP_4)
	v_cndmask_b32_e32 v6, 0x7fc0, v8, vcc_lo
	v_cmp_o_f32_e32 vcc_lo, v7, v7
	v_cndmask_b32_e32 v7, 0x7fc00000, v9, vcc_lo
	s_branch .LBB167_362
.LBB167_358:
	s_mov_b32 s39, -1
                                        ; implicit-def: $vgpr7
                                        ; implicit-def: $vgpr6
	s_branch .LBB167_381
.LBB167_359:
	s_mov_b32 s39, -1
                                        ; implicit-def: $vgpr7
                                        ; implicit-def: $vgpr6
	s_branch .LBB167_368
.LBB167_360:
	s_mov_b32 s39, -1
                                        ; implicit-def: $vgpr7
                                        ; implicit-def: $vgpr6
	s_branch .LBB167_365
.LBB167_361:
	s_mov_b32 s39, -1
                                        ; implicit-def: $vgpr7
                                        ; implicit-def: $vgpr6
.LBB167_362:
	s_delay_alu instid0(SALU_CYCLE_1)
	s_and_not1_b32 vcc_lo, exec_lo, s39
	s_cbranch_vccnz .LBB167_364
; %bb.363:
	s_wait_loadcnt 0x0
	global_load_b64 v[6:7], v[4:5], off
	s_wait_loadcnt 0x0
	v_bfe_u32 v8, v6, 16, 1
	v_bfe_u32 v9, v7, 16, 1
	v_cmp_o_f32_e32 vcc_lo, v6, v6
	s_delay_alu instid0(VALU_DEP_3) | instskip(NEXT) | instid1(VALU_DEP_3)
	v_add3_u32 v8, v6, v8, 0x7fff
	v_add3_u32 v9, v7, v9, 0x7fff
	s_delay_alu instid0(VALU_DEP_1) | instskip(NEXT) | instid1(VALU_DEP_3)
	v_and_b32_e32 v9, 0xffff0000, v9
	v_lshrrev_b32_e32 v8, 16, v8
	s_delay_alu instid0(VALU_DEP_1) | instskip(SKIP_1) | instid1(VALU_DEP_4)
	v_cndmask_b32_e32 v6, 0x7fc0, v8, vcc_lo
	v_cmp_o_f32_e32 vcc_lo, v7, v7
	v_cndmask_b32_e32 v7, 0x7fc00000, v9, vcc_lo
.LBB167_364:
	s_mov_b32 s39, 0
.LBB167_365:
	s_delay_alu instid0(SALU_CYCLE_1)
	s_and_not1_b32 vcc_lo, exec_lo, s39
	s_cbranch_vccnz .LBB167_367
; %bb.366:
	s_wait_loadcnt 0x0
	global_load_b32 v6, v[4:5], off
	s_wait_loadcnt 0x0
	v_cvt_f32_f16_e32 v8, v6
	v_cmp_o_f16_e32 vcc_lo, v6, v6
	s_delay_alu instid0(VALU_DEP_2) | instskip(NEXT) | instid1(VALU_DEP_1)
	v_bfe_u32 v10, v8, 16, 1
	v_add3_u32 v8, v8, v10, 0x7fff
	s_delay_alu instid0(VALU_DEP_1) | instskip(NEXT) | instid1(VALU_DEP_1)
	v_dual_lshrrev_b32 v7, 16, v6 :: v_dual_lshrrev_b32 v8, 16, v8
	v_cvt_f32_f16_e32 v9, v7
	s_delay_alu instid0(VALU_DEP_2) | instskip(NEXT) | instid1(VALU_DEP_2)
	v_cndmask_b32_e32 v6, 0x7fc0, v8, vcc_lo
	v_bfe_u32 v11, v9, 16, 1
	v_cmp_o_f16_e32 vcc_lo, v7, v7
	s_delay_alu instid0(VALU_DEP_2) | instskip(NEXT) | instid1(VALU_DEP_1)
	v_add3_u32 v9, v9, v11, 0x7fff
	v_and_b32_e32 v9, 0xffff0000, v9
	s_delay_alu instid0(VALU_DEP_1)
	v_cndmask_b32_e32 v7, 0x7fc00000, v9, vcc_lo
.LBB167_367:
	s_mov_b32 s39, 0
.LBB167_368:
	s_delay_alu instid0(SALU_CYCLE_1)
	s_and_not1_b32 vcc_lo, exec_lo, s39
	s_cbranch_vccnz .LBB167_380
; %bb.369:
	s_cmp_lt_i32 s0, 6
	s_cbranch_scc1 .LBB167_372
; %bb.370:
	s_cmp_gt_i32 s0, 6
	s_cbranch_scc0 .LBB167_373
; %bb.371:
	s_wait_loadcnt 0x0
	global_load_b64 v[6:7], v[4:5], off
	s_mov_b32 s39, 0
	s_wait_loadcnt 0x0
	v_cvt_f32_f64_e32 v6, v[6:7]
	s_delay_alu instid0(VALU_DEP_1) | instskip(SKIP_1) | instid1(VALU_DEP_2)
	v_bfe_u32 v7, v6, 16, 1
	v_cmp_o_f32_e32 vcc_lo, v6, v6
	v_add3_u32 v7, v6, v7, 0x7fff
	s_delay_alu instid0(VALU_DEP_1) | instskip(NEXT) | instid1(VALU_DEP_1)
	v_lshrrev_b32_e32 v7, 16, v7
	v_cndmask_b32_e32 v6, 0x7fc0, v7, vcc_lo
	s_branch .LBB167_374
.LBB167_372:
	s_mov_b32 s39, -1
                                        ; implicit-def: $vgpr6
	s_branch .LBB167_377
.LBB167_373:
	s_mov_b32 s39, -1
                                        ; implicit-def: $vgpr6
.LBB167_374:
	s_delay_alu instid0(SALU_CYCLE_1)
	s_and_not1_b32 vcc_lo, exec_lo, s39
	s_cbranch_vccnz .LBB167_376
; %bb.375:
	s_wait_loadcnt 0x0
	global_load_b32 v6, v[4:5], off
	s_wait_loadcnt 0x0
	v_bfe_u32 v7, v6, 16, 1
	v_cmp_o_f32_e32 vcc_lo, v6, v6
	s_delay_alu instid0(VALU_DEP_2) | instskip(NEXT) | instid1(VALU_DEP_1)
	v_add3_u32 v7, v6, v7, 0x7fff
	v_lshrrev_b32_e32 v7, 16, v7
	s_delay_alu instid0(VALU_DEP_1)
	v_cndmask_b32_e32 v6, 0x7fc0, v7, vcc_lo
.LBB167_376:
	s_mov_b32 s39, 0
.LBB167_377:
	s_delay_alu instid0(SALU_CYCLE_1)
	s_and_not1_b32 vcc_lo, exec_lo, s39
	s_cbranch_vccnz .LBB167_379
; %bb.378:
	s_wait_loadcnt 0x0
	global_load_u16 v6, v[4:5], off
	s_wait_loadcnt 0x0
	v_cvt_f32_f16_e32 v7, v6
	v_cmp_o_f16_e32 vcc_lo, v6, v6
	s_delay_alu instid0(VALU_DEP_2) | instskip(NEXT) | instid1(VALU_DEP_1)
	v_bfe_u32 v8, v7, 16, 1
	v_add3_u32 v7, v7, v8, 0x7fff
	s_delay_alu instid0(VALU_DEP_1) | instskip(NEXT) | instid1(VALU_DEP_1)
	v_lshrrev_b32_e32 v7, 16, v7
	v_cndmask_b32_e32 v6, 0x7fc0, v7, vcc_lo
.LBB167_379:
	s_wait_xcnt 0x0
	v_mov_b32_e32 v7, 0
.LBB167_380:
	s_mov_b32 s39, 0
.LBB167_381:
	s_delay_alu instid0(SALU_CYCLE_1)
	s_and_not1_b32 vcc_lo, exec_lo, s39
	s_cbranch_vccnz .LBB167_402
; %bb.382:
	s_cmp_lt_i32 s0, 2
	s_cbranch_scc1 .LBB167_386
; %bb.383:
	s_cmp_lt_i32 s0, 3
	s_cbranch_scc1 .LBB167_387
; %bb.384:
	s_cmp_gt_i32 s0, 3
	s_cbranch_scc0 .LBB167_388
; %bb.385:
	s_wait_loadcnt 0x0
	global_load_b64 v[6:7], v[4:5], off
	s_mov_b32 s39, 0
	s_wait_loadcnt 0x0
	v_xor_b32_e32 v8, v6, v7
	v_cls_i32_e32 v9, v7
	s_delay_alu instid0(VALU_DEP_2) | instskip(NEXT) | instid1(VALU_DEP_1)
	v_ashrrev_i32_e32 v8, 31, v8
	v_add_nc_u32_e32 v8, 32, v8
	s_delay_alu instid0(VALU_DEP_1) | instskip(NEXT) | instid1(VALU_DEP_1)
	v_add_min_u32_e64 v8, v9, -1, v8
	v_lshlrev_b64_e32 v[6:7], v8, v[6:7]
	s_delay_alu instid0(VALU_DEP_1) | instskip(NEXT) | instid1(VALU_DEP_1)
	v_min_u32_e32 v6, 1, v6
	v_dual_sub_nc_u32 v7, 32, v8 :: v_dual_bitop2_b32 v6, v7, v6 bitop3:0x54
	s_delay_alu instid0(VALU_DEP_1) | instskip(NEXT) | instid1(VALU_DEP_1)
	v_cvt_f32_i32_e32 v6, v6
	v_ldexp_f32 v6, v6, v7
	s_delay_alu instid0(VALU_DEP_1) | instskip(NEXT) | instid1(VALU_DEP_1)
	v_bfe_u32 v7, v6, 16, 1
	v_add3_u32 v6, v6, v7, 0x7fff
	s_delay_alu instid0(VALU_DEP_1)
	v_lshrrev_b32_e32 v6, 16, v6
	s_branch .LBB167_389
.LBB167_386:
	s_mov_b32 s39, -1
                                        ; implicit-def: $vgpr6
	s_branch .LBB167_395
.LBB167_387:
	s_mov_b32 s39, -1
                                        ; implicit-def: $vgpr6
	s_branch .LBB167_392
.LBB167_388:
	s_mov_b32 s39, -1
                                        ; implicit-def: $vgpr6
.LBB167_389:
	s_delay_alu instid0(SALU_CYCLE_1)
	s_and_not1_b32 vcc_lo, exec_lo, s39
	s_cbranch_vccnz .LBB167_391
; %bb.390:
	s_wait_loadcnt 0x0
	global_load_b32 v6, v[4:5], off
	s_wait_loadcnt 0x0
	v_cvt_f32_i32_e32 v6, v6
	s_delay_alu instid0(VALU_DEP_1) | instskip(NEXT) | instid1(VALU_DEP_1)
	v_bfe_u32 v7, v6, 16, 1
	v_add3_u32 v6, v6, v7, 0x7fff
	s_delay_alu instid0(VALU_DEP_1)
	v_lshrrev_b32_e32 v6, 16, v6
.LBB167_391:
	s_mov_b32 s39, 0
.LBB167_392:
	s_delay_alu instid0(SALU_CYCLE_1)
	s_and_not1_b32 vcc_lo, exec_lo, s39
	s_cbranch_vccnz .LBB167_394
; %bb.393:
	s_wait_loadcnt 0x0
	global_load_i16 v6, v[4:5], off
	s_wait_loadcnt 0x0
	v_cvt_f32_i32_e32 v6, v6
	s_delay_alu instid0(VALU_DEP_1) | instskip(NEXT) | instid1(VALU_DEP_1)
	v_bfe_u32 v7, v6, 16, 1
	v_add3_u32 v6, v6, v7, 0x7fff
	s_delay_alu instid0(VALU_DEP_1)
	v_lshrrev_b32_e32 v6, 16, v6
.LBB167_394:
	s_mov_b32 s39, 0
.LBB167_395:
	s_delay_alu instid0(SALU_CYCLE_1)
	s_and_not1_b32 vcc_lo, exec_lo, s39
	s_cbranch_vccnz .LBB167_401
; %bb.396:
	s_cmp_gt_i32 s0, 0
	s_mov_b32 s0, 0
	s_cbranch_scc0 .LBB167_398
; %bb.397:
	s_wait_loadcnt 0x0
	global_load_i8 v6, v[4:5], off
	s_wait_loadcnt 0x0
	v_cvt_f32_i32_e32 v6, v6
	s_delay_alu instid0(VALU_DEP_1) | instskip(NEXT) | instid1(VALU_DEP_1)
	v_bfe_u32 v7, v6, 16, 1
	v_add3_u32 v6, v6, v7, 0x7fff
	s_delay_alu instid0(VALU_DEP_1)
	v_lshrrev_b32_e32 v6, 16, v6
	s_branch .LBB167_399
.LBB167_398:
	s_mov_b32 s0, -1
                                        ; implicit-def: $vgpr6
.LBB167_399:
	s_delay_alu instid0(SALU_CYCLE_1)
	s_and_not1_b32 vcc_lo, exec_lo, s0
	s_cbranch_vccnz .LBB167_401
; %bb.400:
	global_load_u8 v4, v[4:5], off
	s_wait_loadcnt 0x0
	v_cvt_f32_ubyte0_e32 v4, v4
	s_delay_alu instid0(VALU_DEP_1) | instskip(NEXT) | instid1(VALU_DEP_1)
	v_bfe_u32 v5, v4, 16, 1
	v_add3_u32 v4, v4, v5, 0x7fff
	s_delay_alu instid0(VALU_DEP_1)
	v_lshrrev_b32_e32 v6, 16, v4
.LBB167_401:
	s_wait_xcnt 0x0
	v_mov_b32_e32 v7, 0
.LBB167_402:
	s_branch .LBB167_32
.LBB167_403:
	s_mov_b32 s0, 0
.LBB167_404:
	s_mov_b32 s43, 0
                                        ; implicit-def: $vgpr0
.LBB167_405:
	s_and_b32 s39, s0, exec_lo
	s_and_b32 s40, s27, exec_lo
	;; [unrolled: 1-line block ×3, first 2 shown]
	s_or_not1_b32 s43, s43, exec_lo
.LBB167_406:
	s_wait_xcnt 0x0
	s_or_b32 exec_lo, exec_lo, s42
	s_mov_b32 s27, 0
	s_mov_b32 s26, 0
                                        ; implicit-def: $sgpr0
                                        ; implicit-def: $vgpr6_vgpr7
                                        ; implicit-def: $vgpr4
                                        ; implicit-def: $vgpr2
                                        ; implicit-def: $vgpr8
                                        ; implicit-def: $vgpr3
	s_and_saveexec_b32 s42, s43
	s_cbranch_execz .LBB167_414
; %bb.407:
	s_mov_b32 s48, -1
	s_mov_b32 s43, s41
	s_mov_b32 s45, s40
	;; [unrolled: 1-line block ×3, first 2 shown]
	s_mov_b32 s46, exec_lo
	v_cmpx_gt_i32_e64 s37, v0
	s_cbranch_execz .LBB167_825
; %bb.408:
	s_and_not1_b32 vcc_lo, exec_lo, s31
	s_cbranch_vccnz .LBB167_417
; %bb.409:
	s_and_not1_b32 vcc_lo, exec_lo, s38
	s_cbranch_vccnz .LBB167_418
; %bb.410:
	s_wait_loadcnt 0x0
	v_dual_mov_b32 v2, 0 :: v_dual_mov_b32 v1, v0
	v_dual_mov_b32 v6, 0 :: v_dual_mov_b32 v4, 0
	s_add_co_i32 s0, s36, 1
	s_mov_b64 s[26:27], 0xffffffffffffffe8
	s_and_b32 s0, s0, 30
	s_add_nc_u64 s[26:27], s[2:3], s[26:27]
.LBB167_411:                            ; =>This Inner Loop Header: Depth=1
	s_clause 0x1
	s_load_b128 s[48:51], s[26:27], 0x1c
	s_load_b64 s[44:45], s[26:27], 0x2c
	s_add_co_i32 s0, s0, -2
	s_delay_alu instid0(SALU_CYCLE_1) | instskip(SKIP_2) | instid1(VALU_DEP_1)
	s_cmp_eq_u32 s0, 0
	s_wait_kmcnt 0x0
	v_mul_hi_u32 v3, s49, v1
	v_add_nc_u32_e32 v3, v1, v3
	s_delay_alu instid0(VALU_DEP_1) | instskip(NEXT) | instid1(VALU_DEP_1)
	v_lshrrev_b32_e32 v3, s50, v3
	v_mul_hi_u32 v5, s44, v3
	v_mul_lo_u32 v7, v3, s48
	s_clause 0x1
	s_load_b128 s[52:55], s[26:27], 0xdc
	s_load_b64 s[48:49], s[26:27], 0xec
	s_wait_xcnt 0x0
	s_add_nc_u64 s[26:27], s[26:27], 24
	s_delay_alu instid0(VALU_DEP_1) | instskip(NEXT) | instid1(VALU_DEP_1)
	v_dual_add_nc_u32 v5, v3, v5 :: v_dual_sub_nc_u32 v7, v1, v7
	v_lshrrev_b32_e32 v1, s45, v5
	s_wait_kmcnt 0x0
	s_delay_alu instid0(VALU_DEP_2) | instskip(NEXT) | instid1(VALU_DEP_2)
	v_mad_u32 v2, v7, s52, v2
	v_mul_lo_u32 v5, v1, s51
	v_mad_u32 v4, v7, s54, v4
	v_mad_u32 v6, v7, s53, v6
	s_delay_alu instid0(VALU_DEP_3) | instskip(NEXT) | instid1(VALU_DEP_1)
	v_sub_nc_u32_e32 v3, v3, v5
	v_mad_u32 v2, v3, s55, v2
	s_delay_alu instid0(VALU_DEP_4) | instskip(NEXT) | instid1(VALU_DEP_4)
	v_mad_u32 v4, v3, s49, v4
	v_mad_u32 v6, v3, s48, v6
	s_cbranch_scc0 .LBB167_411
; %bb.412:
	s_bitcmp1_b32 s36, 0
	s_cselect_b32 s0, -1, 0
	s_delay_alu instid0(SALU_CYCLE_1)
	s_and_b32 vcc_lo, exec_lo, s0
	s_cbranch_vccnz .LBB167_419
; %bb.413:
	s_clause 0x1
	s_load_b96 s[48:50], s[26:27], 0x1c
	s_load_b96 s[52:54], s[26:27], 0xdc
	s_wait_kmcnt 0x0
	v_mul_hi_u32 v3, s49, v1
	s_delay_alu instid0(VALU_DEP_1) | instskip(NEXT) | instid1(VALU_DEP_1)
	v_add_nc_u32_e32 v3, v1, v3
	v_lshrrev_b32_e32 v3, s50, v3
	s_delay_alu instid0(VALU_DEP_1) | instskip(NEXT) | instid1(VALU_DEP_1)
	v_mul_lo_u32 v3, v3, s48
	v_sub_nc_u32_e32 v1, v1, v3
	s_delay_alu instid0(VALU_DEP_1)
	v_mad_u32 v2, v1, s52, v2
	v_mad_u32 v6, v1, s53, v6
	v_mad_u32 v4, v1, s54, v4
	s_branch .LBB167_419
.LBB167_414:
	s_or_b32 exec_lo, exec_lo, s42
	s_mov_b32 s1, 0
	s_and_saveexec_b32 s6, s41
	s_cbranch_execnz .LBB167_1343
.LBB167_415:
	s_or_b32 exec_lo, exec_lo, s6
	s_and_saveexec_b32 s6, s21
	s_delay_alu instid0(SALU_CYCLE_1)
	s_xor_b32 s6, exec_lo, s6
	s_cbranch_execz .LBB167_1344
.LBB167_416:
	s_wait_loadcnt 0x0
	global_load_u8 v0, v[6:7], off
	s_or_b32 s26, s26, exec_lo
	v_mov_b32_e32 v8, 0
	s_wait_loadcnt 0x0
	v_cmp_ne_u16_e32 vcc_lo, 0, v0
	v_cndmask_b32_e64 v0, 0, 1.0, vcc_lo
	s_delay_alu instid0(VALU_DEP_1)
	v_lshrrev_b32_e32 v3, 16, v0
	s_wait_xcnt 0x0
	s_or_b32 exec_lo, exec_lo, s6
	s_and_saveexec_b32 s6, s27
	s_cbranch_execz .LBB167_1392
	s_branch .LBB167_1345
.LBB167_417:
                                        ; implicit-def: $vgpr4
                                        ; implicit-def: $vgpr6
                                        ; implicit-def: $vgpr2
	s_branch .LBB167_420
.LBB167_418:
	s_wait_loadcnt 0x0
	v_dual_mov_b32 v4, 0 :: v_dual_mov_b32 v6, 0
	v_mov_b32_e32 v2, 0
.LBB167_419:
	s_cbranch_execnz .LBB167_422
.LBB167_420:
	s_wait_loadcnt 0x0
	v_mov_b32_e32 v1, 0
	s_and_not1_b32 vcc_lo, exec_lo, s35
	s_delay_alu instid0(VALU_DEP_1) | instskip(NEXT) | instid1(VALU_DEP_1)
	v_mul_u64_e32 v[2:3], s[20:21], v[0:1]
	v_add_nc_u32_e32 v2, v0, v3
	s_delay_alu instid0(VALU_DEP_1) | instskip(NEXT) | instid1(VALU_DEP_1)
	v_lshrrev_b32_e32 v8, s14, v2
	v_mul_lo_u32 v2, v8, s12
	s_delay_alu instid0(VALU_DEP_1) | instskip(NEXT) | instid1(VALU_DEP_1)
	v_sub_nc_u32_e32 v3, v0, v2
	v_mul_lo_u32 v2, v3, s16
	v_mul_lo_u32 v4, v3, s18
	;; [unrolled: 1-line block ×3, first 2 shown]
	s_cbranch_vccnz .LBB167_422
; %bb.421:
	v_mov_b32_e32 v9, v1
	s_delay_alu instid0(VALU_DEP_1) | instskip(NEXT) | instid1(VALU_DEP_1)
	v_mul_u64_e32 v[10:11], s[24:25], v[8:9]
	v_add_nc_u32_e32 v1, v8, v11
	s_delay_alu instid0(VALU_DEP_1) | instskip(NEXT) | instid1(VALU_DEP_1)
	v_lshrrev_b32_e32 v1, s1, v1
	v_mul_lo_u32 v1, v1, s15
	s_delay_alu instid0(VALU_DEP_1) | instskip(NEXT) | instid1(VALU_DEP_1)
	v_sub_nc_u32_e32 v1, v8, v1
	v_mad_u32 v2, v1, s19, v2
	v_mad_u32 v6, v1, s22, v6
	;; [unrolled: 1-line block ×3, first 2 shown]
.LBB167_422:
	v_mov_b32_e32 v7, 0
	s_and_b32 s0, s34, 0xff
	s_delay_alu instid0(SALU_CYCLE_1) | instskip(SKIP_1) | instid1(VALU_DEP_1)
	s_cmp_lt_i32 s0, 11
	s_wait_loadcnt 0x0
	v_add_nc_u64_e32 v[6:7], s[6:7], v[6:7]
	s_cbranch_scc1 .LBB167_429
; %bb.423:
	s_and_b32 s27, 0xffff, s0
	s_delay_alu instid0(SALU_CYCLE_1)
	s_cmp_gt_i32 s27, 25
	s_cbranch_scc0 .LBB167_438
; %bb.424:
	s_cmp_gt_i32 s27, 28
	s_cbranch_scc0 .LBB167_440
; %bb.425:
	;; [unrolled: 3-line block ×4, first 2 shown]
	s_cmp_eq_u32 s27, 46
	s_mov_b32 s44, 0
	s_cbranch_scc0 .LBB167_448
; %bb.428:
	global_load_b32 v1, v[6:7], off
	s_mov_b32 s43, -1
	s_mov_b32 s26, 0
	s_wait_loadcnt 0x0
	v_and_b32_e32 v3, 0xffff0000, v1
	s_branch .LBB167_450
.LBB167_429:
	s_mov_b32 s43, 0
	s_mov_b32 s26, s41
                                        ; implicit-def: $vgpr3
                                        ; implicit-def: $vgpr1
	s_cbranch_execnz .LBB167_519
.LBB167_430:
	s_and_not1_b32 vcc_lo, exec_lo, s43
	s_cbranch_vccnz .LBB167_569
.LBB167_431:
	v_mov_b32_e32 v5, 0
	s_and_b32 s0, s13, 0xff
	s_delay_alu instid0(SALU_CYCLE_1) | instskip(NEXT) | instid1(VALU_DEP_1)
	s_cmp_lt_i32 s0, 11
	v_add_nc_u64_e32 v[4:5], s[8:9], v[4:5]
	s_cbranch_scc1 .LBB167_439
; %bb.432:
	s_and_b32 s43, 0xffff, s0
	s_delay_alu instid0(SALU_CYCLE_1)
	s_cmp_gt_i32 s43, 25
	s_cbranch_scc0 .LBB167_441
; %bb.433:
	s_cmp_gt_i32 s43, 28
	s_cbranch_scc0 .LBB167_443
; %bb.434:
	;; [unrolled: 3-line block ×4, first 2 shown]
	s_cmp_eq_u32 s43, 46
	s_mov_b32 s45, 0
	s_cbranch_scc0 .LBB167_572
; %bb.437:
	global_load_b32 v6, v[4:5], off
	s_mov_b32 s44, -1
	s_mov_b32 s27, 0
	s_wait_loadcnt 0x0
	v_and_b32_e32 v7, 0xffff0000, v6
	s_branch .LBB167_574
.LBB167_438:
	s_mov_b32 s44, -1
	s_mov_b32 s43, 0
	s_mov_b32 s26, s41
                                        ; implicit-def: $vgpr3
                                        ; implicit-def: $vgpr1
	s_branch .LBB167_482
.LBB167_439:
	s_mov_b32 s43, -1
	s_mov_b32 s44, 0
	s_mov_b32 s27, s40
                                        ; implicit-def: $vgpr7
                                        ; implicit-def: $vgpr6
	s_branch .LBB167_642
.LBB167_440:
	s_mov_b32 s44, -1
	s_mov_b32 s43, 0
	s_mov_b32 s26, s41
                                        ; implicit-def: $vgpr3
                                        ; implicit-def: $vgpr1
	s_branch .LBB167_463
.LBB167_441:
	s_mov_b32 s45, -1
	s_mov_b32 s44, 0
	s_mov_b32 s27, s40
                                        ; implicit-def: $vgpr7
                                        ; implicit-def: $vgpr6
	s_branch .LBB167_605
.LBB167_442:
	s_mov_b32 s44, -1
	s_mov_b32 s43, 0
	s_mov_b32 s26, s41
                                        ; implicit-def: $vgpr3
                                        ; implicit-def: $vgpr1
	s_branch .LBB167_457
.LBB167_443:
	s_mov_b32 s45, -1
	s_mov_b32 s44, 0
	s_mov_b32 s27, s40
                                        ; implicit-def: $vgpr7
                                        ; implicit-def: $vgpr6
	s_branch .LBB167_586
.LBB167_444:
	s_mov_b32 s44, -1
	s_mov_b32 s43, 0
	s_mov_b32 s26, s41
	s_branch .LBB167_449
.LBB167_445:
	s_mov_b32 s45, -1
	s_mov_b32 s44, 0
	s_mov_b32 s27, s40
                                        ; implicit-def: $vgpr7
                                        ; implicit-def: $vgpr6
	s_branch .LBB167_580
.LBB167_446:
	s_and_not1_saveexec_b32 s45, s45
	s_cbranch_execz .LBB167_199
.LBB167_447:
	v_add_f32_e32 v1, 0x46000000, v4
	s_and_not1_b32 s44, s44, exec_lo
	s_delay_alu instid0(VALU_DEP_1) | instskip(NEXT) | instid1(VALU_DEP_1)
	v_and_b32_e32 v1, 0xff, v1
	v_cmp_ne_u32_e32 vcc_lo, 0, v1
	s_and_b32 s46, vcc_lo, exec_lo
	s_delay_alu instid0(SALU_CYCLE_1)
	s_or_b32 s44, s44, s46
	s_or_b32 exec_lo, exec_lo, s45
	v_mov_b32_e32 v5, 0
	s_and_saveexec_b32 s45, s44
	s_cbranch_execnz .LBB167_200
	s_branch .LBB167_201
.LBB167_448:
	s_mov_b32 s26, -1
	s_mov_b32 s43, 0
.LBB167_449:
                                        ; implicit-def: $vgpr3
                                        ; implicit-def: $vgpr1
.LBB167_450:
	s_and_b32 vcc_lo, exec_lo, s44
	s_cbranch_vccz .LBB167_456
; %bb.451:
	s_cmp_eq_u32 s27, 44
	s_cbranch_scc0 .LBB167_454
; %bb.452:
	global_load_u8 v1, v[6:7], off
	s_mov_b32 s26, 0
	s_mov_b32 s43, -1
	s_wait_loadcnt 0x0
	v_lshlrev_b32_e32 v3, 23, v1
	v_cmp_ne_u32_e32 vcc_lo, 0xff, v1
	s_delay_alu instid0(VALU_DEP_2) | instskip(SKIP_1) | instid1(VALU_DEP_2)
	v_cndmask_b32_e32 v3, 0x7f800001, v3, vcc_lo
	v_cmp_ne_u32_e32 vcc_lo, 0, v1
	v_cndmask_b32_e32 v1, 0x400000, v3, vcc_lo
	s_delay_alu instid0(VALU_DEP_1) | instskip(SKIP_1) | instid1(VALU_DEP_2)
	v_add_nc_u32_e32 v3, 0x7fff, v1
	v_cmp_o_f32_e32 vcc_lo, v1, v1
	v_lshrrev_b32_e32 v3, 16, v3
	s_delay_alu instid0(VALU_DEP_1)
	v_cndmask_b32_e32 v1, 0x7fc0, v3, vcc_lo
	s_branch .LBB167_455
.LBB167_453:
	s_mov_b32 s45, -1
	s_mov_b32 s44, 0
	s_mov_b32 s27, s40
	s_branch .LBB167_573
.LBB167_454:
	s_mov_b32 s26, -1
                                        ; implicit-def: $vgpr1
.LBB167_455:
	v_mov_b32_e32 v3, 0
.LBB167_456:
	s_mov_b32 s44, 0
.LBB167_457:
	s_delay_alu instid0(SALU_CYCLE_1)
	s_and_b32 vcc_lo, exec_lo, s44
	s_cbranch_vccz .LBB167_462
; %bb.458:
	s_cmp_eq_u32 s27, 29
	s_cbranch_scc0 .LBB167_460
; %bb.459:
	global_load_b64 v[8:9], v[6:7], off
	s_mov_b32 s43, -1
	s_mov_b32 s26, 0
	s_wait_loadcnt 0x0
	v_clz_i32_u32_e32 v1, v9
	s_delay_alu instid0(VALU_DEP_1) | instskip(NEXT) | instid1(VALU_DEP_1)
	v_min_u32_e32 v1, 32, v1
	v_lshlrev_b64_e32 v[8:9], v1, v[8:9]
	v_sub_nc_u32_e32 v1, 32, v1
	s_delay_alu instid0(VALU_DEP_2) | instskip(NEXT) | instid1(VALU_DEP_1)
	v_min_u32_e32 v3, 1, v8
	v_or_b32_e32 v3, v9, v3
	s_delay_alu instid0(VALU_DEP_1) | instskip(NEXT) | instid1(VALU_DEP_1)
	v_cvt_f32_u32_e32 v3, v3
	v_ldexp_f32 v1, v3, v1
	s_delay_alu instid0(VALU_DEP_1) | instskip(NEXT) | instid1(VALU_DEP_1)
	v_bfe_u32 v3, v1, 16, 1
	v_add3_u32 v1, v1, v3, 0x7fff
	s_delay_alu instid0(VALU_DEP_1)
	v_lshrrev_b32_e32 v1, 16, v1
	s_branch .LBB167_461
.LBB167_460:
	s_mov_b32 s26, -1
                                        ; implicit-def: $vgpr1
.LBB167_461:
	v_mov_b32_e32 v3, 0
.LBB167_462:
	s_mov_b32 s44, 0
.LBB167_463:
	s_delay_alu instid0(SALU_CYCLE_1)
	s_and_b32 vcc_lo, exec_lo, s44
	s_cbranch_vccz .LBB167_481
; %bb.464:
	s_cmp_lt_i32 s27, 27
	s_cbranch_scc1 .LBB167_467
; %bb.465:
	s_cmp_gt_i32 s27, 27
	s_cbranch_scc0 .LBB167_468
; %bb.466:
	global_load_b32 v1, v[6:7], off
	s_mov_b32 s43, 0
	s_wait_loadcnt 0x0
	v_cvt_f32_u32_e32 v1, v1
	s_delay_alu instid0(VALU_DEP_1) | instskip(NEXT) | instid1(VALU_DEP_1)
	v_bfe_u32 v3, v1, 16, 1
	v_add3_u32 v1, v1, v3, 0x7fff
	s_delay_alu instid0(VALU_DEP_1)
	v_lshrrev_b32_e32 v1, 16, v1
	s_branch .LBB167_469
.LBB167_467:
	s_mov_b32 s43, -1
                                        ; implicit-def: $vgpr1
	s_branch .LBB167_472
.LBB167_468:
	s_mov_b32 s43, -1
                                        ; implicit-def: $vgpr1
.LBB167_469:
	s_delay_alu instid0(SALU_CYCLE_1)
	s_and_not1_b32 vcc_lo, exec_lo, s43
	s_cbranch_vccnz .LBB167_471
; %bb.470:
	global_load_u16 v1, v[6:7], off
	s_wait_loadcnt 0x0
	v_cvt_f32_u32_e32 v1, v1
	s_delay_alu instid0(VALU_DEP_1) | instskip(NEXT) | instid1(VALU_DEP_1)
	v_bfe_u32 v3, v1, 16, 1
	v_add3_u32 v1, v1, v3, 0x7fff
	s_delay_alu instid0(VALU_DEP_1)
	v_lshrrev_b32_e32 v1, 16, v1
.LBB167_471:
	s_mov_b32 s43, 0
.LBB167_472:
	s_delay_alu instid0(SALU_CYCLE_1)
	s_and_not1_b32 vcc_lo, exec_lo, s43
	s_cbranch_vccnz .LBB167_480
; %bb.473:
	global_load_u8 v1, v[6:7], off
	s_mov_b32 s43, 0
	s_mov_b32 s44, exec_lo
	s_wait_loadcnt 0x0
	v_cmpx_lt_i16_e32 0x7f, v1
	s_xor_b32 s44, exec_lo, s44
	s_cbranch_execz .LBB167_494
; %bb.474:
	s_mov_b32 s43, -1
	s_mov_b32 s45, exec_lo
	v_cmpx_eq_u16_e32 0x80, v1
; %bb.475:
	s_xor_b32 s43, exec_lo, -1
; %bb.476:
	s_or_b32 exec_lo, exec_lo, s45
	s_delay_alu instid0(SALU_CYCLE_1)
	s_and_b32 s43, s43, exec_lo
	s_or_saveexec_b32 s44, s44
	v_mov_b32_e32 v3, 0x7f800001
	s_xor_b32 exec_lo, exec_lo, s44
	s_cbranch_execnz .LBB167_495
.LBB167_477:
	s_or_b32 exec_lo, exec_lo, s44
	s_and_saveexec_b32 s44, s43
	s_cbranch_execz .LBB167_479
.LBB167_478:
	v_and_b32_e32 v3, 0xffff, v1
	s_delay_alu instid0(VALU_DEP_1) | instskip(SKIP_1) | instid1(VALU_DEP_2)
	v_and_b32_e32 v5, 7, v3
	v_bfe_u32 v10, v3, 3, 4
	v_clz_i32_u32_e32 v8, v5
	s_delay_alu instid0(VALU_DEP_2) | instskip(NEXT) | instid1(VALU_DEP_2)
	v_cmp_eq_u32_e32 vcc_lo, 0, v10
	v_min_u32_e32 v8, 32, v8
	s_delay_alu instid0(VALU_DEP_1) | instskip(NEXT) | instid1(VALU_DEP_1)
	v_subrev_nc_u32_e32 v9, 28, v8
	v_dual_lshlrev_b32 v3, v9, v3 :: v_dual_sub_nc_u32 v8, 29, v8
	s_delay_alu instid0(VALU_DEP_1) | instskip(NEXT) | instid1(VALU_DEP_1)
	v_dual_lshlrev_b32 v1, 24, v1 :: v_dual_bitop2_b32 v3, 7, v3 bitop3:0x40
	v_dual_cndmask_b32 v8, v10, v8 :: v_dual_cndmask_b32 v3, v5, v3
	s_delay_alu instid0(VALU_DEP_2) | instskip(NEXT) | instid1(VALU_DEP_2)
	v_and_b32_e32 v1, 0x80000000, v1
	v_lshl_add_u32 v5, v8, 23, 0x3b800000
	s_delay_alu instid0(VALU_DEP_3) | instskip(NEXT) | instid1(VALU_DEP_1)
	v_lshlrev_b32_e32 v3, 20, v3
	v_or3_b32 v3, v1, v5, v3
.LBB167_479:
	s_or_b32 exec_lo, exec_lo, s44
	s_delay_alu instid0(VALU_DEP_1) | instskip(SKIP_1) | instid1(VALU_DEP_2)
	v_bfe_u32 v1, v3, 16, 1
	v_cmp_o_f32_e32 vcc_lo, v3, v3
	v_add3_u32 v1, v3, v1, 0x7fff
	s_delay_alu instid0(VALU_DEP_1) | instskip(NEXT) | instid1(VALU_DEP_1)
	v_lshrrev_b32_e32 v1, 16, v1
	v_cndmask_b32_e32 v1, 0x7fc0, v1, vcc_lo
.LBB167_480:
	v_mov_b32_e32 v3, 0
	s_mov_b32 s43, -1
.LBB167_481:
	s_mov_b32 s44, 0
.LBB167_482:
	s_delay_alu instid0(SALU_CYCLE_1)
	s_and_b32 vcc_lo, exec_lo, s44
	s_cbranch_vccz .LBB167_518
; %bb.483:
	s_cmp_gt_i32 s27, 22
	s_cbranch_scc0 .LBB167_493
; %bb.484:
	s_cmp_lt_i32 s27, 24
	s_cbranch_scc1 .LBB167_496
; %bb.485:
	s_cmp_gt_i32 s27, 24
	s_cbranch_scc0 .LBB167_497
; %bb.486:
	global_load_u8 v1, v[6:7], off
	s_mov_b32 s43, 0
	s_mov_b32 s44, exec_lo
	s_wait_loadcnt 0x0
	v_cmpx_lt_i16_e32 0x7f, v1
	s_xor_b32 s44, exec_lo, s44
	s_cbranch_execz .LBB167_509
; %bb.487:
	s_mov_b32 s43, -1
	s_mov_b32 s45, exec_lo
	v_cmpx_eq_u16_e32 0x80, v1
; %bb.488:
	s_xor_b32 s43, exec_lo, -1
; %bb.489:
	s_or_b32 exec_lo, exec_lo, s45
	s_delay_alu instid0(SALU_CYCLE_1)
	s_and_b32 s43, s43, exec_lo
	s_or_saveexec_b32 s44, s44
	v_mov_b32_e32 v3, 0x7f800001
	s_xor_b32 exec_lo, exec_lo, s44
	s_cbranch_execnz .LBB167_510
.LBB167_490:
	s_or_b32 exec_lo, exec_lo, s44
	s_and_saveexec_b32 s44, s43
	s_cbranch_execz .LBB167_492
.LBB167_491:
	v_and_b32_e32 v3, 0xffff, v1
	s_delay_alu instid0(VALU_DEP_1) | instskip(SKIP_1) | instid1(VALU_DEP_2)
	v_and_b32_e32 v5, 3, v3
	v_bfe_u32 v10, v3, 2, 5
	v_clz_i32_u32_e32 v8, v5
	s_delay_alu instid0(VALU_DEP_2) | instskip(NEXT) | instid1(VALU_DEP_2)
	v_cmp_eq_u32_e32 vcc_lo, 0, v10
	v_min_u32_e32 v8, 32, v8
	s_delay_alu instid0(VALU_DEP_1) | instskip(NEXT) | instid1(VALU_DEP_1)
	v_subrev_nc_u32_e32 v9, 29, v8
	v_dual_lshlrev_b32 v3, v9, v3 :: v_dual_sub_nc_u32 v8, 30, v8
	s_delay_alu instid0(VALU_DEP_1) | instskip(NEXT) | instid1(VALU_DEP_1)
	v_dual_lshlrev_b32 v1, 24, v1 :: v_dual_bitop2_b32 v3, 3, v3 bitop3:0x40
	v_dual_cndmask_b32 v8, v10, v8 :: v_dual_cndmask_b32 v3, v5, v3
	s_delay_alu instid0(VALU_DEP_2) | instskip(NEXT) | instid1(VALU_DEP_2)
	v_and_b32_e32 v1, 0x80000000, v1
	v_lshl_add_u32 v5, v8, 23, 0x37800000
	s_delay_alu instid0(VALU_DEP_3) | instskip(NEXT) | instid1(VALU_DEP_1)
	v_lshlrev_b32_e32 v3, 21, v3
	v_or3_b32 v3, v1, v5, v3
.LBB167_492:
	s_or_b32 exec_lo, exec_lo, s44
	s_delay_alu instid0(VALU_DEP_1) | instskip(SKIP_2) | instid1(VALU_DEP_2)
	v_bfe_u32 v1, v3, 16, 1
	v_cmp_o_f32_e32 vcc_lo, v3, v3
	s_mov_b32 s43, 0
	v_add3_u32 v1, v3, v1, 0x7fff
	s_delay_alu instid0(VALU_DEP_1) | instskip(NEXT) | instid1(VALU_DEP_1)
	v_lshrrev_b32_e32 v1, 16, v1
	v_cndmask_b32_e32 v1, 0x7fc0, v1, vcc_lo
	s_branch .LBB167_498
.LBB167_493:
	s_mov_b32 s44, -1
                                        ; implicit-def: $vgpr1
	s_branch .LBB167_504
.LBB167_494:
	s_or_saveexec_b32 s44, s44
	v_mov_b32_e32 v3, 0x7f800001
	s_xor_b32 exec_lo, exec_lo, s44
	s_cbranch_execz .LBB167_477
.LBB167_495:
	v_cmp_ne_u16_e32 vcc_lo, 0, v1
	v_mov_b32_e32 v3, 0
	s_and_not1_b32 s43, s43, exec_lo
	s_and_b32 s45, vcc_lo, exec_lo
	s_delay_alu instid0(SALU_CYCLE_1)
	s_or_b32 s43, s43, s45
	s_or_b32 exec_lo, exec_lo, s44
	s_and_saveexec_b32 s44, s43
	s_cbranch_execnz .LBB167_478
	s_branch .LBB167_479
.LBB167_496:
	s_mov_b32 s43, -1
                                        ; implicit-def: $vgpr1
	s_branch .LBB167_501
.LBB167_497:
	s_mov_b32 s43, -1
                                        ; implicit-def: $vgpr1
.LBB167_498:
	s_delay_alu instid0(SALU_CYCLE_1)
	s_and_b32 vcc_lo, exec_lo, s43
	s_cbranch_vccz .LBB167_500
; %bb.499:
	global_load_u8 v1, v[6:7], off
	s_wait_loadcnt 0x0
	v_lshlrev_b32_e32 v1, 24, v1
	s_delay_alu instid0(VALU_DEP_1) | instskip(NEXT) | instid1(VALU_DEP_1)
	v_and_b32_e32 v3, 0x7f000000, v1
	v_clz_i32_u32_e32 v5, v3
	v_add_nc_u32_e32 v9, 0x1000000, v3
	v_cmp_ne_u32_e32 vcc_lo, 0, v3
	s_delay_alu instid0(VALU_DEP_3) | instskip(NEXT) | instid1(VALU_DEP_1)
	v_min_u32_e32 v5, 32, v5
	v_sub_nc_u32_e64 v5, v5, 4 clamp
	s_delay_alu instid0(VALU_DEP_1) | instskip(NEXT) | instid1(VALU_DEP_1)
	v_dual_lshlrev_b32 v8, v5, v3 :: v_dual_lshlrev_b32 v5, 23, v5
	v_lshrrev_b32_e32 v8, 4, v8
	s_delay_alu instid0(VALU_DEP_1) | instskip(SKIP_1) | instid1(VALU_DEP_2)
	v_sub_nc_u32_e32 v5, v8, v5
	v_ashrrev_i32_e32 v8, 8, v9
	v_add_nc_u32_e32 v5, 0x3c000000, v5
	s_delay_alu instid0(VALU_DEP_1) | instskip(NEXT) | instid1(VALU_DEP_1)
	v_and_or_b32 v5, 0x7f800000, v8, v5
	v_cndmask_b32_e32 v3, 0, v5, vcc_lo
	s_delay_alu instid0(VALU_DEP_1) | instskip(SKIP_1) | instid1(VALU_DEP_2)
	v_and_or_b32 v1, 0x80000000, v1, v3
	v_bfe_u32 v3, v3, 16, 1
	v_cmp_o_f32_e32 vcc_lo, v1, v1
	s_delay_alu instid0(VALU_DEP_2) | instskip(NEXT) | instid1(VALU_DEP_1)
	v_add3_u32 v3, v1, v3, 0x7fff
	v_lshrrev_b32_e32 v3, 16, v3
	s_delay_alu instid0(VALU_DEP_1)
	v_cndmask_b32_e32 v1, 0x7fc0, v3, vcc_lo
.LBB167_500:
	s_mov_b32 s43, 0
.LBB167_501:
	s_delay_alu instid0(SALU_CYCLE_1)
	s_and_not1_b32 vcc_lo, exec_lo, s43
	s_cbranch_vccnz .LBB167_503
; %bb.502:
	global_load_u8 v1, v[6:7], off
	s_wait_loadcnt 0x0
	v_lshlrev_b32_e32 v3, 25, v1
	v_lshlrev_b16 v1, 8, v1
	s_delay_alu instid0(VALU_DEP_1) | instskip(SKIP_1) | instid1(VALU_DEP_2)
	v_and_or_b32 v8, 0x7f00, v1, 0.5
	v_bfe_i32 v1, v1, 0, 16
	v_dual_add_f32 v8, -0.5, v8 :: v_dual_lshrrev_b32 v5, 4, v3
	v_cmp_gt_u32_e32 vcc_lo, 0x8000000, v3
	s_delay_alu instid0(VALU_DEP_2) | instskip(NEXT) | instid1(VALU_DEP_1)
	v_or_b32_e32 v5, 0x70000000, v5
	v_mul_f32_e32 v5, 0x7800000, v5
	s_delay_alu instid0(VALU_DEP_1) | instskip(NEXT) | instid1(VALU_DEP_1)
	v_cndmask_b32_e32 v3, v5, v8, vcc_lo
	v_and_or_b32 v1, 0x80000000, v1, v3
	v_bfe_u32 v3, v3, 16, 1
	s_delay_alu instid0(VALU_DEP_2) | instskip(NEXT) | instid1(VALU_DEP_2)
	v_cmp_o_f32_e32 vcc_lo, v1, v1
	v_add3_u32 v3, v1, v3, 0x7fff
	s_delay_alu instid0(VALU_DEP_1) | instskip(NEXT) | instid1(VALU_DEP_1)
	v_lshrrev_b32_e32 v3, 16, v3
	v_cndmask_b32_e32 v1, 0x7fc0, v3, vcc_lo
.LBB167_503:
	s_mov_b32 s44, 0
	s_mov_b32 s43, -1
.LBB167_504:
	s_and_not1_b32 vcc_lo, exec_lo, s44
	s_cbranch_vccnz .LBB167_517
; %bb.505:
	s_cmp_gt_i32 s27, 14
	s_cbranch_scc0 .LBB167_508
; %bb.506:
	s_cmp_eq_u32 s27, 15
	s_cbranch_scc0 .LBB167_511
; %bb.507:
	global_load_u16 v1, v[6:7], off
	s_mov_b32 s43, -1
	s_mov_b32 s26, 0
	s_branch .LBB167_512
.LBB167_508:
	s_mov_b32 s44, -1
                                        ; implicit-def: $vgpr1
	s_branch .LBB167_513
.LBB167_509:
	s_or_saveexec_b32 s44, s44
	v_mov_b32_e32 v3, 0x7f800001
	s_xor_b32 exec_lo, exec_lo, s44
	s_cbranch_execz .LBB167_490
.LBB167_510:
	v_cmp_ne_u16_e32 vcc_lo, 0, v1
	v_mov_b32_e32 v3, 0
	s_and_not1_b32 s43, s43, exec_lo
	s_and_b32 s45, vcc_lo, exec_lo
	s_delay_alu instid0(SALU_CYCLE_1)
	s_or_b32 s43, s43, s45
	s_or_b32 exec_lo, exec_lo, s44
	s_and_saveexec_b32 s44, s43
	s_cbranch_execnz .LBB167_491
	s_branch .LBB167_492
.LBB167_511:
	s_mov_b32 s26, -1
                                        ; implicit-def: $vgpr1
.LBB167_512:
	s_mov_b32 s44, 0
.LBB167_513:
	s_delay_alu instid0(SALU_CYCLE_1)
	s_and_b32 vcc_lo, exec_lo, s44
	s_cbranch_vccz .LBB167_517
; %bb.514:
	s_cmp_eq_u32 s27, 11
	s_cbranch_scc0 .LBB167_516
; %bb.515:
	s_wait_loadcnt 0x0
	global_load_u8 v1, v[6:7], off
	s_mov_b32 s26, 0
	s_mov_b32 s43, -1
	v_mov_b32_e32 v3, 0
	s_wait_loadcnt 0x0
	v_cmp_ne_u16_e32 vcc_lo, 0, v1
	v_cndmask_b32_e64 v1, 0, 1.0, vcc_lo
	s_delay_alu instid0(VALU_DEP_1)
	v_lshrrev_b32_e32 v1, 16, v1
	s_branch .LBB167_518
.LBB167_516:
	s_mov_b32 s26, -1
                                        ; implicit-def: $vgpr1
.LBB167_517:
	v_mov_b32_e32 v3, 0
.LBB167_518:
	s_branch .LBB167_430
.LBB167_519:
	s_and_b32 s0, 0xffff, s0
	s_delay_alu instid0(SALU_CYCLE_1)
	s_cmp_lt_i32 s0, 5
	s_cbranch_scc1 .LBB167_524
; %bb.520:
	s_cmp_lt_i32 s0, 8
	s_cbranch_scc1 .LBB167_525
; %bb.521:
	;; [unrolled: 3-line block ×3, first 2 shown]
	s_cmp_gt_i32 s0, 9
	s_cbranch_scc0 .LBB167_527
; %bb.523:
	global_load_b128 v[8:11], v[6:7], off
	s_mov_b32 s27, 0
	s_wait_loadcnt 0x0
	v_cvt_f32_f64_e32 v1, v[8:9]
	v_cvt_f32_f64_e32 v3, v[10:11]
	s_delay_alu instid0(VALU_DEP_2) | instskip(NEXT) | instid1(VALU_DEP_2)
	v_bfe_u32 v5, v1, 16, 1
	v_bfe_u32 v8, v3, 16, 1
	v_cmp_o_f32_e32 vcc_lo, v1, v1
	s_delay_alu instid0(VALU_DEP_3) | instskip(NEXT) | instid1(VALU_DEP_3)
	v_add3_u32 v5, v1, v5, 0x7fff
	v_add3_u32 v8, v3, v8, 0x7fff
	s_delay_alu instid0(VALU_DEP_2) | instskip(NEXT) | instid1(VALU_DEP_2)
	v_lshrrev_b32_e32 v5, 16, v5
	v_and_b32_e32 v8, 0xffff0000, v8
	s_delay_alu instid0(VALU_DEP_2) | instskip(SKIP_1) | instid1(VALU_DEP_3)
	v_cndmask_b32_e32 v1, 0x7fc0, v5, vcc_lo
	v_cmp_o_f32_e32 vcc_lo, v3, v3
	v_cndmask_b32_e32 v3, 0x7fc00000, v8, vcc_lo
	s_branch .LBB167_528
.LBB167_524:
	s_mov_b32 s27, -1
                                        ; implicit-def: $vgpr3
                                        ; implicit-def: $vgpr1
	s_branch .LBB167_547
.LBB167_525:
	s_mov_b32 s27, -1
                                        ; implicit-def: $vgpr3
                                        ; implicit-def: $vgpr1
	s_branch .LBB167_534
.LBB167_526:
	s_mov_b32 s27, -1
                                        ; implicit-def: $vgpr3
                                        ; implicit-def: $vgpr1
	s_branch .LBB167_531
.LBB167_527:
	s_mov_b32 s27, -1
                                        ; implicit-def: $vgpr3
                                        ; implicit-def: $vgpr1
.LBB167_528:
	s_delay_alu instid0(SALU_CYCLE_1)
	s_and_not1_b32 vcc_lo, exec_lo, s27
	s_cbranch_vccnz .LBB167_530
; %bb.529:
	global_load_b64 v[8:9], v[6:7], off
	s_wait_loadcnt 0x0
	v_bfe_u32 v1, v8, 16, 1
	v_bfe_u32 v3, v9, 16, 1
	v_cmp_o_f32_e32 vcc_lo, v8, v8
	s_delay_alu instid0(VALU_DEP_3) | instskip(NEXT) | instid1(VALU_DEP_3)
	v_add3_u32 v1, v8, v1, 0x7fff
	v_add3_u32 v3, v9, v3, 0x7fff
	s_delay_alu instid0(VALU_DEP_2) | instskip(NEXT) | instid1(VALU_DEP_2)
	v_lshrrev_b32_e32 v1, 16, v1
	v_and_b32_e32 v3, 0xffff0000, v3
	s_delay_alu instid0(VALU_DEP_2) | instskip(SKIP_1) | instid1(VALU_DEP_3)
	v_cndmask_b32_e32 v1, 0x7fc0, v1, vcc_lo
	v_cmp_o_f32_e32 vcc_lo, v9, v9
	v_cndmask_b32_e32 v3, 0x7fc00000, v3, vcc_lo
.LBB167_530:
	s_mov_b32 s27, 0
.LBB167_531:
	s_delay_alu instid0(SALU_CYCLE_1)
	s_and_not1_b32 vcc_lo, exec_lo, s27
	s_cbranch_vccnz .LBB167_533
; %bb.532:
	s_wait_loadcnt 0x0
	global_load_b32 v1, v[6:7], off
	s_wait_loadcnt 0x0
	v_lshrrev_b32_e32 v3, 16, v1
	v_cvt_f32_f16_e32 v5, v1
	v_cmp_o_f16_e32 vcc_lo, v1, v1
	s_delay_alu instid0(VALU_DEP_3) | instskip(NEXT) | instid1(VALU_DEP_3)
	v_cvt_f32_f16_e32 v8, v3
	v_bfe_u32 v9, v5, 16, 1
	s_delay_alu instid0(VALU_DEP_2) | instskip(NEXT) | instid1(VALU_DEP_2)
	v_bfe_u32 v10, v8, 16, 1
	v_add3_u32 v5, v5, v9, 0x7fff
	s_delay_alu instid0(VALU_DEP_2) | instskip(NEXT) | instid1(VALU_DEP_2)
	v_add3_u32 v8, v8, v10, 0x7fff
	v_lshrrev_b32_e32 v5, 16, v5
	s_delay_alu instid0(VALU_DEP_2) | instskip(NEXT) | instid1(VALU_DEP_2)
	v_and_b32_e32 v8, 0xffff0000, v8
	v_cndmask_b32_e32 v1, 0x7fc0, v5, vcc_lo
	v_cmp_o_f16_e32 vcc_lo, v3, v3
	s_delay_alu instid0(VALU_DEP_3)
	v_cndmask_b32_e32 v3, 0x7fc00000, v8, vcc_lo
.LBB167_533:
	s_mov_b32 s27, 0
.LBB167_534:
	s_delay_alu instid0(SALU_CYCLE_1)
	s_and_not1_b32 vcc_lo, exec_lo, s27
	s_cbranch_vccnz .LBB167_546
; %bb.535:
	s_cmp_lt_i32 s0, 6
	s_cbranch_scc1 .LBB167_538
; %bb.536:
	s_cmp_gt_i32 s0, 6
	s_cbranch_scc0 .LBB167_539
; %bb.537:
	global_load_b64 v[8:9], v[6:7], off
	s_mov_b32 s27, 0
	s_wait_loadcnt 0x0
	v_cvt_f32_f64_e32 v1, v[8:9]
	s_delay_alu instid0(VALU_DEP_1) | instskip(SKIP_1) | instid1(VALU_DEP_2)
	v_bfe_u32 v3, v1, 16, 1
	v_cmp_o_f32_e32 vcc_lo, v1, v1
	v_add3_u32 v3, v1, v3, 0x7fff
	s_delay_alu instid0(VALU_DEP_1) | instskip(NEXT) | instid1(VALU_DEP_1)
	v_lshrrev_b32_e32 v3, 16, v3
	v_cndmask_b32_e32 v1, 0x7fc0, v3, vcc_lo
	s_branch .LBB167_540
.LBB167_538:
	s_mov_b32 s27, -1
                                        ; implicit-def: $vgpr1
	s_branch .LBB167_543
.LBB167_539:
	s_mov_b32 s27, -1
                                        ; implicit-def: $vgpr1
.LBB167_540:
	s_delay_alu instid0(SALU_CYCLE_1)
	s_and_not1_b32 vcc_lo, exec_lo, s27
	s_cbranch_vccnz .LBB167_542
; %bb.541:
	s_wait_loadcnt 0x0
	global_load_b32 v1, v[6:7], off
	s_wait_loadcnt 0x0
	v_bfe_u32 v3, v1, 16, 1
	v_cmp_o_f32_e32 vcc_lo, v1, v1
	s_delay_alu instid0(VALU_DEP_2) | instskip(NEXT) | instid1(VALU_DEP_1)
	v_add3_u32 v3, v1, v3, 0x7fff
	v_lshrrev_b32_e32 v3, 16, v3
	s_delay_alu instid0(VALU_DEP_1)
	v_cndmask_b32_e32 v1, 0x7fc0, v3, vcc_lo
.LBB167_542:
	s_mov_b32 s27, 0
.LBB167_543:
	s_delay_alu instid0(SALU_CYCLE_1)
	s_and_not1_b32 vcc_lo, exec_lo, s27
	s_cbranch_vccnz .LBB167_545
; %bb.544:
	s_wait_loadcnt 0x0
	global_load_u16 v1, v[6:7], off
	s_wait_loadcnt 0x0
	v_cvt_f32_f16_e32 v3, v1
	v_cmp_o_f16_e32 vcc_lo, v1, v1
	s_delay_alu instid0(VALU_DEP_2) | instskip(NEXT) | instid1(VALU_DEP_1)
	v_bfe_u32 v5, v3, 16, 1
	v_add3_u32 v3, v3, v5, 0x7fff
	s_delay_alu instid0(VALU_DEP_1) | instskip(NEXT) | instid1(VALU_DEP_1)
	v_lshrrev_b32_e32 v3, 16, v3
	v_cndmask_b32_e32 v1, 0x7fc0, v3, vcc_lo
.LBB167_545:
	v_mov_b32_e32 v3, 0
.LBB167_546:
	s_mov_b32 s27, 0
.LBB167_547:
	s_delay_alu instid0(SALU_CYCLE_1)
	s_and_not1_b32 vcc_lo, exec_lo, s27
	s_cbranch_vccnz .LBB167_568
; %bb.548:
	s_cmp_lt_i32 s0, 2
	s_cbranch_scc1 .LBB167_552
; %bb.549:
	s_cmp_lt_i32 s0, 3
	s_cbranch_scc1 .LBB167_553
; %bb.550:
	s_cmp_gt_i32 s0, 3
	s_cbranch_scc0 .LBB167_554
; %bb.551:
	global_load_b64 v[8:9], v[6:7], off
	s_mov_b32 s27, 0
	s_wait_loadcnt 0x0
	v_xor_b32_e32 v1, v8, v9
	v_cls_i32_e32 v3, v9
	s_delay_alu instid0(VALU_DEP_2) | instskip(NEXT) | instid1(VALU_DEP_1)
	v_ashrrev_i32_e32 v1, 31, v1
	v_add_nc_u32_e32 v1, 32, v1
	s_delay_alu instid0(VALU_DEP_1) | instskip(NEXT) | instid1(VALU_DEP_1)
	v_add_min_u32_e64 v1, v3, -1, v1
	v_lshlrev_b64_e32 v[8:9], v1, v[8:9]
	v_sub_nc_u32_e32 v1, 32, v1
	s_delay_alu instid0(VALU_DEP_2) | instskip(NEXT) | instid1(VALU_DEP_1)
	v_min_u32_e32 v3, 1, v8
	v_or_b32_e32 v3, v9, v3
	s_delay_alu instid0(VALU_DEP_1) | instskip(NEXT) | instid1(VALU_DEP_1)
	v_cvt_f32_i32_e32 v3, v3
	v_ldexp_f32 v1, v3, v1
	s_delay_alu instid0(VALU_DEP_1) | instskip(NEXT) | instid1(VALU_DEP_1)
	v_bfe_u32 v3, v1, 16, 1
	v_add3_u32 v1, v1, v3, 0x7fff
	s_delay_alu instid0(VALU_DEP_1)
	v_lshrrev_b32_e32 v1, 16, v1
	s_branch .LBB167_555
.LBB167_552:
	s_mov_b32 s27, -1
                                        ; implicit-def: $vgpr1
	s_branch .LBB167_561
.LBB167_553:
	s_mov_b32 s27, -1
                                        ; implicit-def: $vgpr1
	s_branch .LBB167_558
.LBB167_554:
	s_mov_b32 s27, -1
                                        ; implicit-def: $vgpr1
.LBB167_555:
	s_delay_alu instid0(SALU_CYCLE_1)
	s_and_not1_b32 vcc_lo, exec_lo, s27
	s_cbranch_vccnz .LBB167_557
; %bb.556:
	s_wait_loadcnt 0x0
	global_load_b32 v1, v[6:7], off
	s_wait_loadcnt 0x0
	v_cvt_f32_i32_e32 v1, v1
	s_delay_alu instid0(VALU_DEP_1) | instskip(NEXT) | instid1(VALU_DEP_1)
	v_bfe_u32 v3, v1, 16, 1
	v_add3_u32 v1, v1, v3, 0x7fff
	s_delay_alu instid0(VALU_DEP_1)
	v_lshrrev_b32_e32 v1, 16, v1
.LBB167_557:
	s_mov_b32 s27, 0
.LBB167_558:
	s_delay_alu instid0(SALU_CYCLE_1)
	s_and_not1_b32 vcc_lo, exec_lo, s27
	s_cbranch_vccnz .LBB167_560
; %bb.559:
	s_wait_loadcnt 0x0
	global_load_i16 v1, v[6:7], off
	s_wait_loadcnt 0x0
	v_cvt_f32_i32_e32 v1, v1
	s_delay_alu instid0(VALU_DEP_1) | instskip(NEXT) | instid1(VALU_DEP_1)
	v_bfe_u32 v3, v1, 16, 1
	v_add3_u32 v1, v1, v3, 0x7fff
	s_delay_alu instid0(VALU_DEP_1)
	v_lshrrev_b32_e32 v1, 16, v1
.LBB167_560:
	s_mov_b32 s27, 0
.LBB167_561:
	s_delay_alu instid0(SALU_CYCLE_1)
	s_and_not1_b32 vcc_lo, exec_lo, s27
	s_cbranch_vccnz .LBB167_567
; %bb.562:
	s_cmp_gt_i32 s0, 0
	s_mov_b32 s0, 0
	s_cbranch_scc0 .LBB167_564
; %bb.563:
	s_wait_loadcnt 0x0
	global_load_i8 v1, v[6:7], off
	s_wait_loadcnt 0x0
	v_cvt_f32_i32_e32 v1, v1
	s_delay_alu instid0(VALU_DEP_1) | instskip(NEXT) | instid1(VALU_DEP_1)
	v_bfe_u32 v3, v1, 16, 1
	v_add3_u32 v1, v1, v3, 0x7fff
	s_delay_alu instid0(VALU_DEP_1)
	v_lshrrev_b32_e32 v1, 16, v1
	s_branch .LBB167_565
.LBB167_564:
	s_mov_b32 s0, -1
                                        ; implicit-def: $vgpr1
.LBB167_565:
	s_delay_alu instid0(SALU_CYCLE_1)
	s_and_not1_b32 vcc_lo, exec_lo, s0
	s_cbranch_vccnz .LBB167_567
; %bb.566:
	s_wait_loadcnt 0x0
	global_load_u8 v1, v[6:7], off
	s_wait_loadcnt 0x0
	v_cvt_f32_ubyte0_e32 v1, v1
	s_delay_alu instid0(VALU_DEP_1) | instskip(NEXT) | instid1(VALU_DEP_1)
	v_bfe_u32 v3, v1, 16, 1
	v_add3_u32 v1, v1, v3, 0x7fff
	s_delay_alu instid0(VALU_DEP_1)
	v_lshrrev_b32_e32 v1, 16, v1
.LBB167_567:
	v_mov_b32_e32 v3, 0
.LBB167_568:
	s_branch .LBB167_431
.LBB167_569:
	s_mov_b32 s47, 0
	s_mov_b32 s0, s39
	;; [unrolled: 1-line block ×3, first 2 shown]
	s_branch .LBB167_823
.LBB167_570:
	s_and_not1_saveexec_b32 s45, s45
	s_cbranch_execz .LBB167_212
.LBB167_571:
	v_add_f32_e32 v1, 0x42800000, v4
	s_and_not1_b32 s44, s44, exec_lo
	s_delay_alu instid0(VALU_DEP_1) | instskip(NEXT) | instid1(VALU_DEP_1)
	v_and_b32_e32 v1, 0xff, v1
	v_cmp_ne_u32_e32 vcc_lo, 0, v1
	s_and_b32 s46, vcc_lo, exec_lo
	s_delay_alu instid0(SALU_CYCLE_1)
	s_or_b32 s44, s44, s46
	s_or_b32 exec_lo, exec_lo, s45
	v_mov_b32_e32 v5, 0
	s_and_saveexec_b32 s45, s44
	s_cbranch_execnz .LBB167_213
	s_branch .LBB167_214
.LBB167_572:
	s_mov_b32 s27, -1
	s_mov_b32 s44, 0
.LBB167_573:
                                        ; implicit-def: $vgpr7
                                        ; implicit-def: $vgpr6
.LBB167_574:
	s_and_b32 vcc_lo, exec_lo, s45
	s_cbranch_vccz .LBB167_579
; %bb.575:
	s_cmp_eq_u32 s43, 44
	s_cbranch_scc0 .LBB167_577
; %bb.576:
	global_load_u8 v6, v[4:5], off
	s_mov_b32 s27, 0
	s_mov_b32 s44, -1
	s_wait_loadcnt 0x0
	v_lshlrev_b32_e32 v7, 23, v6
	v_cmp_ne_u32_e32 vcc_lo, 0xff, v6
	s_delay_alu instid0(VALU_DEP_2) | instskip(SKIP_1) | instid1(VALU_DEP_2)
	v_cndmask_b32_e32 v7, 0x7f800001, v7, vcc_lo
	v_cmp_ne_u32_e32 vcc_lo, 0, v6
	v_cndmask_b32_e32 v6, 0x400000, v7, vcc_lo
	s_delay_alu instid0(VALU_DEP_1) | instskip(NEXT) | instid1(VALU_DEP_1)
	v_add_nc_u32_e32 v7, 0x7fff, v6
	v_lshrrev_b32_e32 v7, 16, v7
	v_cmp_o_f32_e32 vcc_lo, v6, v6
	s_delay_alu instid0(VALU_DEP_2)
	v_cndmask_b32_e32 v6, 0x7fc0, v7, vcc_lo
	s_branch .LBB167_578
.LBB167_577:
	s_mov_b32 s27, -1
                                        ; implicit-def: $vgpr6
.LBB167_578:
	s_wait_xcnt 0x0
	v_mov_b32_e32 v7, 0
.LBB167_579:
	s_mov_b32 s45, 0
.LBB167_580:
	s_delay_alu instid0(SALU_CYCLE_1)
	s_and_b32 vcc_lo, exec_lo, s45
	s_cbranch_vccz .LBB167_585
; %bb.581:
	s_cmp_eq_u32 s43, 29
	s_cbranch_scc0 .LBB167_583
; %bb.582:
	global_load_b64 v[6:7], v[4:5], off
	s_mov_b32 s44, -1
	s_mov_b32 s27, 0
	s_wait_loadcnt 0x0
	v_clz_i32_u32_e32 v8, v7
	s_delay_alu instid0(VALU_DEP_1) | instskip(NEXT) | instid1(VALU_DEP_1)
	v_min_u32_e32 v8, 32, v8
	v_lshlrev_b64_e32 v[6:7], v8, v[6:7]
	s_delay_alu instid0(VALU_DEP_1) | instskip(NEXT) | instid1(VALU_DEP_1)
	v_min_u32_e32 v6, 1, v6
	v_dual_sub_nc_u32 v7, 32, v8 :: v_dual_bitop2_b32 v6, v7, v6 bitop3:0x54
	s_delay_alu instid0(VALU_DEP_1) | instskip(NEXT) | instid1(VALU_DEP_1)
	v_cvt_f32_u32_e32 v6, v6
	v_ldexp_f32 v6, v6, v7
	s_delay_alu instid0(VALU_DEP_1) | instskip(NEXT) | instid1(VALU_DEP_1)
	v_bfe_u32 v7, v6, 16, 1
	v_add3_u32 v6, v6, v7, 0x7fff
	s_delay_alu instid0(VALU_DEP_1)
	v_lshrrev_b32_e32 v6, 16, v6
	s_branch .LBB167_584
.LBB167_583:
	s_mov_b32 s27, -1
                                        ; implicit-def: $vgpr6
.LBB167_584:
	s_wait_xcnt 0x0
	v_mov_b32_e32 v7, 0
.LBB167_585:
	s_mov_b32 s45, 0
.LBB167_586:
	s_delay_alu instid0(SALU_CYCLE_1)
	s_and_b32 vcc_lo, exec_lo, s45
	s_cbranch_vccz .LBB167_604
; %bb.587:
	s_cmp_lt_i32 s43, 27
	s_cbranch_scc1 .LBB167_590
; %bb.588:
	s_cmp_gt_i32 s43, 27
	s_cbranch_scc0 .LBB167_591
; %bb.589:
	global_load_b32 v6, v[4:5], off
	s_mov_b32 s44, 0
	s_wait_loadcnt 0x0
	v_cvt_f32_u32_e32 v6, v6
	s_delay_alu instid0(VALU_DEP_1) | instskip(NEXT) | instid1(VALU_DEP_1)
	v_bfe_u32 v7, v6, 16, 1
	v_add3_u32 v6, v6, v7, 0x7fff
	s_delay_alu instid0(VALU_DEP_1)
	v_lshrrev_b32_e32 v6, 16, v6
	s_branch .LBB167_592
.LBB167_590:
	s_mov_b32 s44, -1
                                        ; implicit-def: $vgpr6
	s_branch .LBB167_595
.LBB167_591:
	s_mov_b32 s44, -1
                                        ; implicit-def: $vgpr6
.LBB167_592:
	s_delay_alu instid0(SALU_CYCLE_1)
	s_and_not1_b32 vcc_lo, exec_lo, s44
	s_cbranch_vccnz .LBB167_594
; %bb.593:
	global_load_u16 v6, v[4:5], off
	s_wait_loadcnt 0x0
	v_cvt_f32_u32_e32 v6, v6
	s_delay_alu instid0(VALU_DEP_1) | instskip(NEXT) | instid1(VALU_DEP_1)
	v_bfe_u32 v7, v6, 16, 1
	v_add3_u32 v6, v6, v7, 0x7fff
	s_delay_alu instid0(VALU_DEP_1)
	v_lshrrev_b32_e32 v6, 16, v6
.LBB167_594:
	s_mov_b32 s44, 0
.LBB167_595:
	s_delay_alu instid0(SALU_CYCLE_1)
	s_and_not1_b32 vcc_lo, exec_lo, s44
	s_cbranch_vccnz .LBB167_603
; %bb.596:
	global_load_u8 v6, v[4:5], off
	s_mov_b32 s44, 0
	s_mov_b32 s45, exec_lo
	s_wait_loadcnt 0x0
	v_cmpx_lt_i16_e32 0x7f, v6
	s_xor_b32 s45, exec_lo, s45
	s_cbranch_execz .LBB167_617
; %bb.597:
	s_mov_b32 s44, -1
	s_mov_b32 s47, exec_lo
	v_cmpx_eq_u16_e32 0x80, v6
; %bb.598:
	s_xor_b32 s44, exec_lo, -1
; %bb.599:
	s_or_b32 exec_lo, exec_lo, s47
	s_delay_alu instid0(SALU_CYCLE_1)
	s_and_b32 s44, s44, exec_lo
	s_or_saveexec_b32 s45, s45
	v_mov_b32_e32 v7, 0x7f800001
	s_xor_b32 exec_lo, exec_lo, s45
	s_cbranch_execnz .LBB167_618
.LBB167_600:
	s_or_b32 exec_lo, exec_lo, s45
	s_and_saveexec_b32 s45, s44
	s_cbranch_execz .LBB167_602
.LBB167_601:
	v_and_b32_e32 v7, 0xffff, v6
	s_delay_alu instid0(VALU_DEP_1) | instskip(SKIP_1) | instid1(VALU_DEP_2)
	v_and_b32_e32 v8, 7, v7
	v_bfe_u32 v11, v7, 3, 4
	v_clz_i32_u32_e32 v9, v8
	s_delay_alu instid0(VALU_DEP_2) | instskip(NEXT) | instid1(VALU_DEP_2)
	v_cmp_eq_u32_e32 vcc_lo, 0, v11
	v_min_u32_e32 v9, 32, v9
	s_delay_alu instid0(VALU_DEP_1) | instskip(NEXT) | instid1(VALU_DEP_1)
	v_subrev_nc_u32_e32 v10, 28, v9
	v_dual_lshlrev_b32 v7, v10, v7 :: v_dual_sub_nc_u32 v9, 29, v9
	s_delay_alu instid0(VALU_DEP_1) | instskip(NEXT) | instid1(VALU_DEP_1)
	v_dual_lshlrev_b32 v6, 24, v6 :: v_dual_bitop2_b32 v7, 7, v7 bitop3:0x40
	v_dual_cndmask_b32 v9, v11, v9, vcc_lo :: v_dual_cndmask_b32 v7, v8, v7, vcc_lo
	s_delay_alu instid0(VALU_DEP_2) | instskip(NEXT) | instid1(VALU_DEP_2)
	v_and_b32_e32 v6, 0x80000000, v6
	v_lshl_add_u32 v8, v9, 23, 0x3b800000
	s_delay_alu instid0(VALU_DEP_3) | instskip(NEXT) | instid1(VALU_DEP_1)
	v_lshlrev_b32_e32 v7, 20, v7
	v_or3_b32 v7, v6, v8, v7
.LBB167_602:
	s_or_b32 exec_lo, exec_lo, s45
	s_delay_alu instid0(VALU_DEP_1) | instskip(SKIP_1) | instid1(VALU_DEP_2)
	v_bfe_u32 v6, v7, 16, 1
	v_cmp_o_f32_e32 vcc_lo, v7, v7
	v_add3_u32 v6, v7, v6, 0x7fff
	s_delay_alu instid0(VALU_DEP_1) | instskip(NEXT) | instid1(VALU_DEP_1)
	v_lshrrev_b32_e32 v6, 16, v6
	v_cndmask_b32_e32 v6, 0x7fc0, v6, vcc_lo
.LBB167_603:
	s_wait_xcnt 0x0
	v_mov_b32_e32 v7, 0
	s_mov_b32 s44, -1
.LBB167_604:
	s_mov_b32 s45, 0
.LBB167_605:
	s_delay_alu instid0(SALU_CYCLE_1)
	s_and_b32 vcc_lo, exec_lo, s45
	s_cbranch_vccz .LBB167_641
; %bb.606:
	s_cmp_gt_i32 s43, 22
	s_cbranch_scc0 .LBB167_616
; %bb.607:
	s_cmp_lt_i32 s43, 24
	s_cbranch_scc1 .LBB167_619
; %bb.608:
	s_cmp_gt_i32 s43, 24
	s_cbranch_scc0 .LBB167_620
; %bb.609:
	global_load_u8 v6, v[4:5], off
	s_mov_b32 s44, 0
	s_mov_b32 s45, exec_lo
	s_wait_loadcnt 0x0
	v_cmpx_lt_i16_e32 0x7f, v6
	s_xor_b32 s45, exec_lo, s45
	s_cbranch_execz .LBB167_632
; %bb.610:
	s_mov_b32 s44, -1
	s_mov_b32 s47, exec_lo
	v_cmpx_eq_u16_e32 0x80, v6
; %bb.611:
	s_xor_b32 s44, exec_lo, -1
; %bb.612:
	s_or_b32 exec_lo, exec_lo, s47
	s_delay_alu instid0(SALU_CYCLE_1)
	s_and_b32 s44, s44, exec_lo
	s_or_saveexec_b32 s45, s45
	v_mov_b32_e32 v7, 0x7f800001
	s_xor_b32 exec_lo, exec_lo, s45
	s_cbranch_execnz .LBB167_633
.LBB167_613:
	s_or_b32 exec_lo, exec_lo, s45
	s_and_saveexec_b32 s45, s44
	s_cbranch_execz .LBB167_615
.LBB167_614:
	v_and_b32_e32 v7, 0xffff, v6
	s_delay_alu instid0(VALU_DEP_1) | instskip(SKIP_1) | instid1(VALU_DEP_2)
	v_and_b32_e32 v8, 3, v7
	v_bfe_u32 v11, v7, 2, 5
	v_clz_i32_u32_e32 v9, v8
	s_delay_alu instid0(VALU_DEP_2) | instskip(NEXT) | instid1(VALU_DEP_2)
	v_cmp_eq_u32_e32 vcc_lo, 0, v11
	v_min_u32_e32 v9, 32, v9
	s_delay_alu instid0(VALU_DEP_1) | instskip(NEXT) | instid1(VALU_DEP_1)
	v_subrev_nc_u32_e32 v10, 29, v9
	v_dual_lshlrev_b32 v7, v10, v7 :: v_dual_sub_nc_u32 v9, 30, v9
	s_delay_alu instid0(VALU_DEP_1) | instskip(NEXT) | instid1(VALU_DEP_1)
	v_dual_lshlrev_b32 v6, 24, v6 :: v_dual_bitop2_b32 v7, 3, v7 bitop3:0x40
	v_dual_cndmask_b32 v9, v11, v9, vcc_lo :: v_dual_cndmask_b32 v7, v8, v7, vcc_lo
	s_delay_alu instid0(VALU_DEP_2) | instskip(NEXT) | instid1(VALU_DEP_2)
	v_and_b32_e32 v6, 0x80000000, v6
	v_lshl_add_u32 v8, v9, 23, 0x37800000
	s_delay_alu instid0(VALU_DEP_3) | instskip(NEXT) | instid1(VALU_DEP_1)
	v_lshlrev_b32_e32 v7, 21, v7
	v_or3_b32 v7, v6, v8, v7
.LBB167_615:
	s_or_b32 exec_lo, exec_lo, s45
	s_delay_alu instid0(VALU_DEP_1) | instskip(SKIP_2) | instid1(VALU_DEP_2)
	v_bfe_u32 v6, v7, 16, 1
	v_cmp_o_f32_e32 vcc_lo, v7, v7
	s_mov_b32 s44, 0
	v_add3_u32 v6, v7, v6, 0x7fff
	s_delay_alu instid0(VALU_DEP_1) | instskip(NEXT) | instid1(VALU_DEP_1)
	v_lshrrev_b32_e32 v6, 16, v6
	v_cndmask_b32_e32 v6, 0x7fc0, v6, vcc_lo
	s_branch .LBB167_621
.LBB167_616:
	s_mov_b32 s45, -1
                                        ; implicit-def: $vgpr6
	s_branch .LBB167_627
.LBB167_617:
	s_or_saveexec_b32 s45, s45
	v_mov_b32_e32 v7, 0x7f800001
	s_xor_b32 exec_lo, exec_lo, s45
	s_cbranch_execz .LBB167_600
.LBB167_618:
	v_cmp_ne_u16_e32 vcc_lo, 0, v6
	v_mov_b32_e32 v7, 0
	s_and_not1_b32 s44, s44, exec_lo
	s_and_b32 s47, vcc_lo, exec_lo
	s_delay_alu instid0(SALU_CYCLE_1)
	s_or_b32 s44, s44, s47
	s_or_b32 exec_lo, exec_lo, s45
	s_and_saveexec_b32 s45, s44
	s_cbranch_execnz .LBB167_601
	s_branch .LBB167_602
.LBB167_619:
	s_mov_b32 s44, -1
                                        ; implicit-def: $vgpr6
	s_branch .LBB167_624
.LBB167_620:
	s_mov_b32 s44, -1
                                        ; implicit-def: $vgpr6
.LBB167_621:
	s_delay_alu instid0(SALU_CYCLE_1)
	s_and_b32 vcc_lo, exec_lo, s44
	s_cbranch_vccz .LBB167_623
; %bb.622:
	global_load_u8 v6, v[4:5], off
	s_wait_loadcnt 0x0
	v_lshlrev_b32_e32 v6, 24, v6
	s_delay_alu instid0(VALU_DEP_1) | instskip(NEXT) | instid1(VALU_DEP_1)
	v_and_b32_e32 v7, 0x7f000000, v6
	v_clz_i32_u32_e32 v8, v7
	v_cmp_ne_u32_e32 vcc_lo, 0, v7
	v_add_nc_u32_e32 v10, 0x1000000, v7
	s_delay_alu instid0(VALU_DEP_3) | instskip(NEXT) | instid1(VALU_DEP_1)
	v_min_u32_e32 v8, 32, v8
	v_sub_nc_u32_e64 v8, v8, 4 clamp
	s_delay_alu instid0(VALU_DEP_1) | instskip(NEXT) | instid1(VALU_DEP_1)
	v_dual_lshlrev_b32 v9, v8, v7 :: v_dual_lshlrev_b32 v8, 23, v8
	v_lshrrev_b32_e32 v9, 4, v9
	s_delay_alu instid0(VALU_DEP_1) | instskip(NEXT) | instid1(VALU_DEP_1)
	v_dual_sub_nc_u32 v8, v9, v8 :: v_dual_ashrrev_i32 v9, 8, v10
	v_add_nc_u32_e32 v8, 0x3c000000, v8
	s_delay_alu instid0(VALU_DEP_1) | instskip(NEXT) | instid1(VALU_DEP_1)
	v_and_or_b32 v8, 0x7f800000, v9, v8
	v_cndmask_b32_e32 v7, 0, v8, vcc_lo
	s_delay_alu instid0(VALU_DEP_1) | instskip(SKIP_1) | instid1(VALU_DEP_2)
	v_and_or_b32 v6, 0x80000000, v6, v7
	v_bfe_u32 v7, v7, 16, 1
	v_cmp_o_f32_e32 vcc_lo, v6, v6
	s_delay_alu instid0(VALU_DEP_2) | instskip(NEXT) | instid1(VALU_DEP_1)
	v_add3_u32 v7, v6, v7, 0x7fff
	v_lshrrev_b32_e32 v7, 16, v7
	s_delay_alu instid0(VALU_DEP_1)
	v_cndmask_b32_e32 v6, 0x7fc0, v7, vcc_lo
.LBB167_623:
	s_mov_b32 s44, 0
.LBB167_624:
	s_delay_alu instid0(SALU_CYCLE_1)
	s_and_not1_b32 vcc_lo, exec_lo, s44
	s_cbranch_vccnz .LBB167_626
; %bb.625:
	global_load_u8 v6, v[4:5], off
	s_wait_loadcnt 0x0
	v_lshlrev_b32_e32 v7, 25, v6
	v_lshlrev_b16 v6, 8, v6
	s_delay_alu instid0(VALU_DEP_1) | instskip(SKIP_1) | instid1(VALU_DEP_2)
	v_and_or_b32 v9, 0x7f00, v6, 0.5
	v_bfe_i32 v6, v6, 0, 16
	v_dual_add_f32 v9, -0.5, v9 :: v_dual_lshrrev_b32 v8, 4, v7
	v_cmp_gt_u32_e32 vcc_lo, 0x8000000, v7
	s_delay_alu instid0(VALU_DEP_2) | instskip(NEXT) | instid1(VALU_DEP_1)
	v_or_b32_e32 v8, 0x70000000, v8
	v_mul_f32_e32 v8, 0x7800000, v8
	s_delay_alu instid0(VALU_DEP_1) | instskip(NEXT) | instid1(VALU_DEP_1)
	v_cndmask_b32_e32 v7, v8, v9, vcc_lo
	v_and_or_b32 v6, 0x80000000, v6, v7
	v_bfe_u32 v7, v7, 16, 1
	s_delay_alu instid0(VALU_DEP_2) | instskip(NEXT) | instid1(VALU_DEP_2)
	v_cmp_o_f32_e32 vcc_lo, v6, v6
	v_add3_u32 v7, v6, v7, 0x7fff
	s_delay_alu instid0(VALU_DEP_1) | instskip(NEXT) | instid1(VALU_DEP_1)
	v_lshrrev_b32_e32 v7, 16, v7
	v_cndmask_b32_e32 v6, 0x7fc0, v7, vcc_lo
.LBB167_626:
	s_mov_b32 s45, 0
	s_mov_b32 s44, -1
.LBB167_627:
	s_and_not1_b32 vcc_lo, exec_lo, s45
	s_cbranch_vccnz .LBB167_640
; %bb.628:
	s_cmp_gt_i32 s43, 14
	s_cbranch_scc0 .LBB167_631
; %bb.629:
	s_cmp_eq_u32 s43, 15
	s_cbranch_scc0 .LBB167_634
; %bb.630:
	global_load_u16 v6, v[4:5], off
	s_mov_b32 s44, -1
	s_mov_b32 s27, 0
	s_branch .LBB167_635
.LBB167_631:
	s_mov_b32 s45, -1
                                        ; implicit-def: $vgpr6
	s_branch .LBB167_636
.LBB167_632:
	s_or_saveexec_b32 s45, s45
	v_mov_b32_e32 v7, 0x7f800001
	s_xor_b32 exec_lo, exec_lo, s45
	s_cbranch_execz .LBB167_613
.LBB167_633:
	v_cmp_ne_u16_e32 vcc_lo, 0, v6
	v_mov_b32_e32 v7, 0
	s_and_not1_b32 s44, s44, exec_lo
	s_and_b32 s47, vcc_lo, exec_lo
	s_delay_alu instid0(SALU_CYCLE_1)
	s_or_b32 s44, s44, s47
	s_or_b32 exec_lo, exec_lo, s45
	s_and_saveexec_b32 s45, s44
	s_cbranch_execnz .LBB167_614
	s_branch .LBB167_615
.LBB167_634:
	s_mov_b32 s27, -1
                                        ; implicit-def: $vgpr6
.LBB167_635:
	s_mov_b32 s45, 0
.LBB167_636:
	s_delay_alu instid0(SALU_CYCLE_1)
	s_and_b32 vcc_lo, exec_lo, s45
	s_cbranch_vccz .LBB167_640
; %bb.637:
	s_cmp_eq_u32 s43, 11
	s_cbranch_scc0 .LBB167_639
; %bb.638:
	s_wait_loadcnt 0x0
	global_load_u8 v6, v[4:5], off
	s_mov_b32 s27, 0
	s_mov_b32 s44, -1
	v_mov_b32_e32 v7, 0
	s_wait_loadcnt 0x0
	v_cmp_ne_u16_e32 vcc_lo, 0, v6
	v_cndmask_b32_e64 v6, 0, 1.0, vcc_lo
	s_delay_alu instid0(VALU_DEP_1)
	v_lshrrev_b32_e32 v6, 16, v6
	s_branch .LBB167_641
.LBB167_639:
	s_mov_b32 s27, -1
                                        ; implicit-def: $vgpr6
.LBB167_640:
	s_wait_xcnt 0x0
	v_mov_b32_e32 v7, 0
.LBB167_641:
	s_mov_b32 s43, 0
.LBB167_642:
	s_delay_alu instid0(SALU_CYCLE_1)
	s_and_b32 vcc_lo, exec_lo, s43
	s_cbranch_vccz .LBB167_693
; %bb.643:
	s_and_b32 s0, 0xffff, s0
	s_delay_alu instid0(SALU_CYCLE_1)
	s_cmp_lt_i32 s0, 5
	s_cbranch_scc1 .LBB167_648
; %bb.644:
	s_cmp_lt_i32 s0, 8
	s_cbranch_scc1 .LBB167_649
; %bb.645:
	;; [unrolled: 3-line block ×3, first 2 shown]
	s_cmp_gt_i32 s0, 9
	s_cbranch_scc0 .LBB167_651
; %bb.647:
	s_wait_loadcnt 0x0
	global_load_b128 v[6:9], v[4:5], off
	s_mov_b32 s43, 0
	s_wait_loadcnt 0x0
	v_cvt_f32_f64_e32 v6, v[6:7]
	v_cvt_f32_f64_e32 v7, v[8:9]
	s_delay_alu instid0(VALU_DEP_2) | instskip(NEXT) | instid1(VALU_DEP_2)
	v_bfe_u32 v8, v6, 16, 1
	v_bfe_u32 v9, v7, 16, 1
	v_cmp_o_f32_e32 vcc_lo, v6, v6
	s_delay_alu instid0(VALU_DEP_3) | instskip(NEXT) | instid1(VALU_DEP_3)
	v_add3_u32 v8, v6, v8, 0x7fff
	v_add3_u32 v9, v7, v9, 0x7fff
	s_delay_alu instid0(VALU_DEP_1) | instskip(NEXT) | instid1(VALU_DEP_3)
	v_and_b32_e32 v9, 0xffff0000, v9
	v_lshrrev_b32_e32 v8, 16, v8
	s_delay_alu instid0(VALU_DEP_1) | instskip(SKIP_1) | instid1(VALU_DEP_4)
	v_cndmask_b32_e32 v6, 0x7fc0, v8, vcc_lo
	v_cmp_o_f32_e32 vcc_lo, v7, v7
	v_cndmask_b32_e32 v7, 0x7fc00000, v9, vcc_lo
	s_branch .LBB167_652
.LBB167_648:
	s_mov_b32 s43, -1
                                        ; implicit-def: $vgpr7
                                        ; implicit-def: $vgpr6
	s_branch .LBB167_671
.LBB167_649:
	s_mov_b32 s43, -1
                                        ; implicit-def: $vgpr7
                                        ; implicit-def: $vgpr6
	s_branch .LBB167_658
.LBB167_650:
	s_mov_b32 s43, -1
                                        ; implicit-def: $vgpr7
                                        ; implicit-def: $vgpr6
	s_branch .LBB167_655
.LBB167_651:
	s_mov_b32 s43, -1
                                        ; implicit-def: $vgpr7
                                        ; implicit-def: $vgpr6
.LBB167_652:
	s_delay_alu instid0(SALU_CYCLE_1)
	s_and_not1_b32 vcc_lo, exec_lo, s43
	s_cbranch_vccnz .LBB167_654
; %bb.653:
	s_wait_loadcnt 0x0
	global_load_b64 v[6:7], v[4:5], off
	s_wait_loadcnt 0x0
	v_bfe_u32 v8, v6, 16, 1
	v_bfe_u32 v9, v7, 16, 1
	v_cmp_o_f32_e32 vcc_lo, v6, v6
	s_delay_alu instid0(VALU_DEP_3) | instskip(NEXT) | instid1(VALU_DEP_3)
	v_add3_u32 v8, v6, v8, 0x7fff
	v_add3_u32 v9, v7, v9, 0x7fff
	s_delay_alu instid0(VALU_DEP_1) | instskip(NEXT) | instid1(VALU_DEP_3)
	v_and_b32_e32 v9, 0xffff0000, v9
	v_lshrrev_b32_e32 v8, 16, v8
	s_delay_alu instid0(VALU_DEP_1) | instskip(SKIP_1) | instid1(VALU_DEP_4)
	v_cndmask_b32_e32 v6, 0x7fc0, v8, vcc_lo
	v_cmp_o_f32_e32 vcc_lo, v7, v7
	v_cndmask_b32_e32 v7, 0x7fc00000, v9, vcc_lo
.LBB167_654:
	s_mov_b32 s43, 0
.LBB167_655:
	s_delay_alu instid0(SALU_CYCLE_1)
	s_and_not1_b32 vcc_lo, exec_lo, s43
	s_cbranch_vccnz .LBB167_657
; %bb.656:
	s_wait_loadcnt 0x0
	global_load_b32 v6, v[4:5], off
	s_wait_loadcnt 0x0
	v_cvt_f32_f16_e32 v8, v6
	v_cmp_o_f16_e32 vcc_lo, v6, v6
	s_delay_alu instid0(VALU_DEP_2) | instskip(NEXT) | instid1(VALU_DEP_1)
	v_bfe_u32 v10, v8, 16, 1
	v_add3_u32 v8, v8, v10, 0x7fff
	s_delay_alu instid0(VALU_DEP_1) | instskip(NEXT) | instid1(VALU_DEP_1)
	v_dual_lshrrev_b32 v7, 16, v6 :: v_dual_lshrrev_b32 v8, 16, v8
	v_cvt_f32_f16_e32 v9, v7
	s_delay_alu instid0(VALU_DEP_2) | instskip(NEXT) | instid1(VALU_DEP_2)
	v_cndmask_b32_e32 v6, 0x7fc0, v8, vcc_lo
	v_bfe_u32 v11, v9, 16, 1
	v_cmp_o_f16_e32 vcc_lo, v7, v7
	s_delay_alu instid0(VALU_DEP_2) | instskip(NEXT) | instid1(VALU_DEP_1)
	v_add3_u32 v9, v9, v11, 0x7fff
	v_and_b32_e32 v9, 0xffff0000, v9
	s_delay_alu instid0(VALU_DEP_1)
	v_cndmask_b32_e32 v7, 0x7fc00000, v9, vcc_lo
.LBB167_657:
	s_mov_b32 s43, 0
.LBB167_658:
	s_delay_alu instid0(SALU_CYCLE_1)
	s_and_not1_b32 vcc_lo, exec_lo, s43
	s_cbranch_vccnz .LBB167_670
; %bb.659:
	s_cmp_lt_i32 s0, 6
	s_cbranch_scc1 .LBB167_662
; %bb.660:
	s_cmp_gt_i32 s0, 6
	s_cbranch_scc0 .LBB167_663
; %bb.661:
	s_wait_loadcnt 0x0
	global_load_b64 v[6:7], v[4:5], off
	s_mov_b32 s43, 0
	s_wait_loadcnt 0x0
	v_cvt_f32_f64_e32 v6, v[6:7]
	s_delay_alu instid0(VALU_DEP_1) | instskip(SKIP_1) | instid1(VALU_DEP_2)
	v_bfe_u32 v7, v6, 16, 1
	v_cmp_o_f32_e32 vcc_lo, v6, v6
	v_add3_u32 v7, v6, v7, 0x7fff
	s_delay_alu instid0(VALU_DEP_1) | instskip(NEXT) | instid1(VALU_DEP_1)
	v_lshrrev_b32_e32 v7, 16, v7
	v_cndmask_b32_e32 v6, 0x7fc0, v7, vcc_lo
	s_branch .LBB167_664
.LBB167_662:
	s_mov_b32 s43, -1
                                        ; implicit-def: $vgpr6
	s_branch .LBB167_667
.LBB167_663:
	s_mov_b32 s43, -1
                                        ; implicit-def: $vgpr6
.LBB167_664:
	s_delay_alu instid0(SALU_CYCLE_1)
	s_and_not1_b32 vcc_lo, exec_lo, s43
	s_cbranch_vccnz .LBB167_666
; %bb.665:
	s_wait_loadcnt 0x0
	global_load_b32 v6, v[4:5], off
	s_wait_loadcnt 0x0
	v_bfe_u32 v7, v6, 16, 1
	v_cmp_o_f32_e32 vcc_lo, v6, v6
	s_delay_alu instid0(VALU_DEP_2) | instskip(NEXT) | instid1(VALU_DEP_1)
	v_add3_u32 v7, v6, v7, 0x7fff
	v_lshrrev_b32_e32 v7, 16, v7
	s_delay_alu instid0(VALU_DEP_1)
	v_cndmask_b32_e32 v6, 0x7fc0, v7, vcc_lo
.LBB167_666:
	s_mov_b32 s43, 0
.LBB167_667:
	s_delay_alu instid0(SALU_CYCLE_1)
	s_and_not1_b32 vcc_lo, exec_lo, s43
	s_cbranch_vccnz .LBB167_669
; %bb.668:
	s_wait_loadcnt 0x0
	global_load_u16 v6, v[4:5], off
	s_wait_loadcnt 0x0
	v_cvt_f32_f16_e32 v7, v6
	v_cmp_o_f16_e32 vcc_lo, v6, v6
	s_delay_alu instid0(VALU_DEP_2) | instskip(NEXT) | instid1(VALU_DEP_1)
	v_bfe_u32 v8, v7, 16, 1
	v_add3_u32 v7, v7, v8, 0x7fff
	s_delay_alu instid0(VALU_DEP_1) | instskip(NEXT) | instid1(VALU_DEP_1)
	v_lshrrev_b32_e32 v7, 16, v7
	v_cndmask_b32_e32 v6, 0x7fc0, v7, vcc_lo
.LBB167_669:
	s_wait_xcnt 0x0
	v_mov_b32_e32 v7, 0
.LBB167_670:
	s_mov_b32 s43, 0
.LBB167_671:
	s_delay_alu instid0(SALU_CYCLE_1)
	s_and_not1_b32 vcc_lo, exec_lo, s43
	s_cbranch_vccnz .LBB167_692
; %bb.672:
	s_cmp_lt_i32 s0, 2
	s_cbranch_scc1 .LBB167_676
; %bb.673:
	s_cmp_lt_i32 s0, 3
	s_cbranch_scc1 .LBB167_677
; %bb.674:
	s_cmp_gt_i32 s0, 3
	s_cbranch_scc0 .LBB167_678
; %bb.675:
	s_wait_loadcnt 0x0
	global_load_b64 v[6:7], v[4:5], off
	s_mov_b32 s43, 0
	s_wait_loadcnt 0x0
	v_xor_b32_e32 v8, v6, v7
	v_cls_i32_e32 v9, v7
	s_delay_alu instid0(VALU_DEP_2) | instskip(NEXT) | instid1(VALU_DEP_1)
	v_ashrrev_i32_e32 v8, 31, v8
	v_add_nc_u32_e32 v8, 32, v8
	s_delay_alu instid0(VALU_DEP_1) | instskip(NEXT) | instid1(VALU_DEP_1)
	v_add_min_u32_e64 v8, v9, -1, v8
	v_lshlrev_b64_e32 v[6:7], v8, v[6:7]
	s_delay_alu instid0(VALU_DEP_1) | instskip(NEXT) | instid1(VALU_DEP_1)
	v_min_u32_e32 v6, 1, v6
	v_dual_sub_nc_u32 v7, 32, v8 :: v_dual_bitop2_b32 v6, v7, v6 bitop3:0x54
	s_delay_alu instid0(VALU_DEP_1) | instskip(NEXT) | instid1(VALU_DEP_1)
	v_cvt_f32_i32_e32 v6, v6
	v_ldexp_f32 v6, v6, v7
	s_delay_alu instid0(VALU_DEP_1) | instskip(NEXT) | instid1(VALU_DEP_1)
	v_bfe_u32 v7, v6, 16, 1
	v_add3_u32 v6, v6, v7, 0x7fff
	s_delay_alu instid0(VALU_DEP_1)
	v_lshrrev_b32_e32 v6, 16, v6
	s_branch .LBB167_679
.LBB167_676:
	s_mov_b32 s43, -1
                                        ; implicit-def: $vgpr6
	s_branch .LBB167_685
.LBB167_677:
	s_mov_b32 s43, -1
                                        ; implicit-def: $vgpr6
	s_branch .LBB167_682
.LBB167_678:
	s_mov_b32 s43, -1
                                        ; implicit-def: $vgpr6
.LBB167_679:
	s_delay_alu instid0(SALU_CYCLE_1)
	s_and_not1_b32 vcc_lo, exec_lo, s43
	s_cbranch_vccnz .LBB167_681
; %bb.680:
	s_wait_loadcnt 0x0
	global_load_b32 v6, v[4:5], off
	s_wait_loadcnt 0x0
	v_cvt_f32_i32_e32 v6, v6
	s_delay_alu instid0(VALU_DEP_1) | instskip(NEXT) | instid1(VALU_DEP_1)
	v_bfe_u32 v7, v6, 16, 1
	v_add3_u32 v6, v6, v7, 0x7fff
	s_delay_alu instid0(VALU_DEP_1)
	v_lshrrev_b32_e32 v6, 16, v6
.LBB167_681:
	s_mov_b32 s43, 0
.LBB167_682:
	s_delay_alu instid0(SALU_CYCLE_1)
	s_and_not1_b32 vcc_lo, exec_lo, s43
	s_cbranch_vccnz .LBB167_684
; %bb.683:
	s_wait_loadcnt 0x0
	global_load_i16 v6, v[4:5], off
	s_wait_loadcnt 0x0
	v_cvt_f32_i32_e32 v6, v6
	s_delay_alu instid0(VALU_DEP_1) | instskip(NEXT) | instid1(VALU_DEP_1)
	v_bfe_u32 v7, v6, 16, 1
	v_add3_u32 v6, v6, v7, 0x7fff
	s_delay_alu instid0(VALU_DEP_1)
	v_lshrrev_b32_e32 v6, 16, v6
.LBB167_684:
	s_mov_b32 s43, 0
.LBB167_685:
	s_delay_alu instid0(SALU_CYCLE_1)
	s_and_not1_b32 vcc_lo, exec_lo, s43
	s_cbranch_vccnz .LBB167_691
; %bb.686:
	s_cmp_gt_i32 s0, 0
	s_mov_b32 s0, 0
	s_cbranch_scc0 .LBB167_688
; %bb.687:
	s_wait_loadcnt 0x0
	global_load_i8 v6, v[4:5], off
	s_wait_loadcnt 0x0
	v_cvt_f32_i32_e32 v6, v6
	s_delay_alu instid0(VALU_DEP_1) | instskip(NEXT) | instid1(VALU_DEP_1)
	v_bfe_u32 v7, v6, 16, 1
	v_add3_u32 v6, v6, v7, 0x7fff
	s_delay_alu instid0(VALU_DEP_1)
	v_lshrrev_b32_e32 v6, 16, v6
	s_branch .LBB167_689
.LBB167_688:
	s_mov_b32 s0, -1
                                        ; implicit-def: $vgpr6
.LBB167_689:
	s_delay_alu instid0(SALU_CYCLE_1)
	s_and_not1_b32 vcc_lo, exec_lo, s0
	s_cbranch_vccnz .LBB167_691
; %bb.690:
	global_load_u8 v4, v[4:5], off
	s_wait_loadcnt 0x0
	v_cvt_f32_ubyte0_e32 v4, v4
	s_delay_alu instid0(VALU_DEP_1) | instskip(NEXT) | instid1(VALU_DEP_1)
	v_bfe_u32 v5, v4, 16, 1
	v_add3_u32 v4, v4, v5, 0x7fff
	s_delay_alu instid0(VALU_DEP_1)
	v_lshrrev_b32_e32 v6, 16, v4
.LBB167_691:
	s_wait_xcnt 0x0
	v_mov_b32_e32 v7, 0
.LBB167_692:
	s_mov_b32 s44, -1
.LBB167_693:
	s_delay_alu instid0(SALU_CYCLE_1)
	s_and_not1_b32 vcc_lo, exec_lo, s44
	s_cbranch_vccnz .LBB167_696
; %bb.694:
	s_wait_loadcnt 0x0
	v_and_b32_e32 v4, 0xffff, v6
	v_and_b32_e32 v1, 0xffff, v1
	s_and_not1_b32 vcc_lo, exec_lo, s10
	s_delay_alu instid0(VALU_DEP_1) | instskip(NEXT) | instid1(VALU_DEP_3)
	v_or_b32_e32 v5, v3, v1
	v_or_b32_e32 v4, v7, v4
	v_and_b32_e32 v1, 0xffff0000, v7
	v_and_b32_e32 v3, 0xffff0000, v3
	s_delay_alu instid0(VALU_DEP_3)
	v_dual_lshlrev_b32 v5, 16, v5 :: v_dual_lshlrev_b32 v4, 16, v4
	s_cbranch_vccnz .LBB167_697
; %bb.695:
	s_delay_alu instid0(VALU_DEP_1) | instskip(NEXT) | instid1(VALU_DEP_3)
	v_cmp_neq_f32_e32 vcc_lo, v5, v4
	v_cmp_neq_f32_e64 s0, v3, v1
	s_or_b32 s43, vcc_lo, s0
	s_mov_b32 s0, 0
	s_branch .LBB167_698
.LBB167_696:
	s_mov_b32 s47, 0
	s_mov_b32 s0, s39
	s_branch .LBB167_823
.LBB167_697:
	s_mov_b32 s0, -1
                                        ; implicit-def: $sgpr43
.LBB167_698:
	s_delay_alu instid0(SALU_CYCLE_1)
	s_and_not1_b32 vcc_lo, exec_lo, s0
	s_cbranch_vccnz .LBB167_700
; %bb.699:
	v_cmp_eq_f32_e32 vcc_lo, v5, v4
	v_cmp_eq_f32_e64 s0, v3, v1
	s_and_not1_b32 s43, s43, exec_lo
	s_and_b32 s0, vcc_lo, s0
	s_delay_alu instid0(SALU_CYCLE_1) | instskip(NEXT) | instid1(SALU_CYCLE_1)
	s_and_b32 s0, s0, exec_lo
	s_or_b32 s43, s43, s0
.LBB167_700:
	v_mov_b32_e32 v3, 0
	s_and_b32 s44, s11, 0xff
	s_delay_alu instid0(SALU_CYCLE_1) | instskip(NEXT) | instid1(VALU_DEP_1)
	s_cmp_lt_i32 s44, 11
	v_add_nc_u64_e32 v[2:3], s[4:5], v[2:3]
	s_cbranch_scc1 .LBB167_707
; %bb.701:
	s_and_b32 s45, 0xffff, s44
	s_delay_alu instid0(SALU_CYCLE_1)
	s_cmp_gt_i32 s45, 25
	s_cbranch_scc0 .LBB167_708
; %bb.702:
	s_cmp_gt_i32 s45, 28
	s_cbranch_scc0 .LBB167_709
; %bb.703:
	;; [unrolled: 3-line block ×4, first 2 shown]
	s_mov_b32 s48, 0
	s_mov_b32 s0, -1
	s_cmp_eq_u32 s45, 46
	s_mov_b32 s47, 0
	s_cbranch_scc0 .LBB167_712
; %bb.706:
	v_cndmask_b32_e64 v1, 0, 1.0, s43
	s_mov_b32 s47, -1
	s_mov_b32 s0, 0
	s_delay_alu instid0(VALU_DEP_1) | instskip(NEXT) | instid1(VALU_DEP_1)
	v_bfe_u32 v4, v1, 16, 1
	v_add3_u32 v1, v1, v4, 0x7fff
	s_delay_alu instid0(VALU_DEP_1)
	v_lshrrev_b32_e32 v1, 16, v1
	global_store_b32 v[2:3], v1, off
	s_branch .LBB167_712
.LBB167_707:
	s_mov_b32 s45, -1
	s_mov_b32 s47, 0
	s_mov_b32 s0, s39
	s_branch .LBB167_781
.LBB167_708:
	s_mov_b32 s48, -1
	s_mov_b32 s47, 0
	s_mov_b32 s0, s39
	s_branch .LBB167_739
.LBB167_709:
	s_mov_b32 s48, -1
	s_mov_b32 s47, 0
	s_mov_b32 s0, s39
	s_branch .LBB167_722
.LBB167_710:
	s_mov_b32 s48, -1
	s_mov_b32 s47, 0
	s_mov_b32 s0, s39
	s_branch .LBB167_718
.LBB167_711:
	s_mov_b32 s48, -1
	s_mov_b32 s47, 0
	s_mov_b32 s0, s39
.LBB167_712:
	s_and_b32 vcc_lo, exec_lo, s48
	s_cbranch_vccz .LBB167_717
; %bb.713:
	s_cmp_eq_u32 s45, 44
	s_mov_b32 s0, -1
	s_cbranch_scc0 .LBB167_717
; %bb.714:
	v_cndmask_b32_e64 v5, 0, 1.0, s43
	s_mov_b32 s47, exec_lo
	s_wait_xcnt 0x0
	s_delay_alu instid0(VALU_DEP_1) | instskip(NEXT) | instid1(VALU_DEP_1)
	v_dual_mov_b32 v4, 0xff :: v_dual_lshrrev_b32 v1, 23, v5
	v_cmpx_ne_u32_e32 0xff, v1
; %bb.715:
	v_and_b32_e32 v4, 0x400000, v5
	v_and_or_b32 v5, 0x3fffff, v5, v1
	s_delay_alu instid0(VALU_DEP_2) | instskip(NEXT) | instid1(VALU_DEP_2)
	v_cmp_ne_u32_e32 vcc_lo, 0, v4
	v_cmp_ne_u32_e64 s0, 0, v5
	s_and_b32 s0, vcc_lo, s0
	s_delay_alu instid0(SALU_CYCLE_1) | instskip(NEXT) | instid1(VALU_DEP_1)
	v_cndmask_b32_e64 v4, 0, 1, s0
	v_add_nc_u32_e32 v4, v1, v4
; %bb.716:
	s_or_b32 exec_lo, exec_lo, s47
	s_mov_b32 s47, -1
	s_mov_b32 s0, 0
	global_store_b8 v[2:3], v4, off
.LBB167_717:
	s_mov_b32 s48, 0
.LBB167_718:
	s_delay_alu instid0(SALU_CYCLE_1)
	s_and_b32 vcc_lo, exec_lo, s48
	s_cbranch_vccz .LBB167_721
; %bb.719:
	s_cmp_eq_u32 s45, 29
	s_mov_b32 s0, -1
	s_cbranch_scc0 .LBB167_721
; %bb.720:
	s_mov_b32 s0, 0
	s_wait_xcnt 0x0
	v_cndmask_b32_e64 v4, 0, 1, s43
	v_mov_b32_e32 v5, s0
	s_mov_b32 s47, -1
	s_mov_b32 s48, 0
	global_store_b64 v[2:3], v[4:5], off
	s_branch .LBB167_722
.LBB167_721:
	s_mov_b32 s48, 0
.LBB167_722:
	s_delay_alu instid0(SALU_CYCLE_1)
	s_and_b32 vcc_lo, exec_lo, s48
	s_cbranch_vccz .LBB167_738
; %bb.723:
	s_cmp_lt_i32 s45, 27
	s_mov_b32 s47, -1
	s_cbranch_scc1 .LBB167_729
; %bb.724:
	s_cmp_gt_i32 s45, 27
	s_cbranch_scc0 .LBB167_726
; %bb.725:
	s_wait_xcnt 0x0
	v_cndmask_b32_e64 v1, 0, 1, s43
	s_mov_b32 s47, 0
	global_store_b32 v[2:3], v1, off
.LBB167_726:
	s_and_not1_b32 vcc_lo, exec_lo, s47
	s_cbranch_vccnz .LBB167_728
; %bb.727:
	s_wait_xcnt 0x0
	v_cndmask_b32_e64 v1, 0, 1, s43
	global_store_b16 v[2:3], v1, off
.LBB167_728:
	s_mov_b32 s47, 0
.LBB167_729:
	s_delay_alu instid0(SALU_CYCLE_1)
	s_and_not1_b32 vcc_lo, exec_lo, s47
	s_cbranch_vccnz .LBB167_737
; %bb.730:
	s_wait_xcnt 0x0
	v_cndmask_b32_e64 v4, 0, 1.0, s43
	v_mov_b32_e32 v5, 0x80
	s_mov_b32 s47, exec_lo
	s_delay_alu instid0(VALU_DEP_2)
	v_cmpx_gt_u32_e32 0x43800000, v4
	s_cbranch_execz .LBB167_736
; %bb.731:
	s_mov_b32 s48, 0
	s_mov_b32 s49, exec_lo
                                        ; implicit-def: $vgpr1
	v_cmpx_lt_u32_e32 0x3bffffff, v4
	s_xor_b32 s49, exec_lo, s49
	s_cbranch_execz .LBB167_851
; %bb.732:
	v_bfe_u32 v1, v4, 20, 1
	s_mov_b32 s48, exec_lo
	s_delay_alu instid0(VALU_DEP_1) | instskip(NEXT) | instid1(VALU_DEP_1)
	v_add3_u32 v1, v4, v1, 0x487ffff
                                        ; implicit-def: $vgpr4
	v_lshrrev_b32_e32 v1, 20, v1
	s_and_not1_saveexec_b32 s49, s49
	s_cbranch_execnz .LBB167_852
.LBB167_733:
	s_or_b32 exec_lo, exec_lo, s49
	v_mov_b32_e32 v5, 0
	s_and_saveexec_b32 s49, s48
.LBB167_734:
	v_mov_b32_e32 v5, v1
.LBB167_735:
	s_or_b32 exec_lo, exec_lo, s49
.LBB167_736:
	s_delay_alu instid0(SALU_CYCLE_1)
	s_or_b32 exec_lo, exec_lo, s47
	global_store_b8 v[2:3], v5, off
.LBB167_737:
	s_mov_b32 s47, -1
.LBB167_738:
	s_mov_b32 s48, 0
.LBB167_739:
	s_delay_alu instid0(SALU_CYCLE_1)
	s_and_b32 vcc_lo, exec_lo, s48
	s_cbranch_vccz .LBB167_780
; %bb.740:
	s_cmp_gt_i32 s45, 22
	s_mov_b32 s48, -1
	s_cbranch_scc0 .LBB167_772
; %bb.741:
	s_cmp_lt_i32 s45, 24
	s_mov_b32 s47, -1
	s_cbranch_scc1 .LBB167_761
; %bb.742:
	s_cmp_gt_i32 s45, 24
	s_cbranch_scc0 .LBB167_750
; %bb.743:
	s_wait_xcnt 0x0
	v_cndmask_b32_e64 v4, 0, 1.0, s43
	v_mov_b32_e32 v5, 0x80
	s_mov_b32 s47, exec_lo
	s_delay_alu instid0(VALU_DEP_2)
	v_cmpx_gt_u32_e32 0x47800000, v4
	s_cbranch_execz .LBB167_749
; %bb.744:
	s_mov_b32 s48, 0
	s_mov_b32 s49, exec_lo
                                        ; implicit-def: $vgpr1
	v_cmpx_lt_u32_e32 0x37ffffff, v4
	s_xor_b32 s49, exec_lo, s49
	s_cbranch_execz .LBB167_988
; %bb.745:
	v_bfe_u32 v1, v4, 21, 1
	s_mov_b32 s48, exec_lo
	s_delay_alu instid0(VALU_DEP_1) | instskip(NEXT) | instid1(VALU_DEP_1)
	v_add3_u32 v1, v4, v1, 0x88fffff
                                        ; implicit-def: $vgpr4
	v_lshrrev_b32_e32 v1, 21, v1
	s_and_not1_saveexec_b32 s49, s49
	s_cbranch_execnz .LBB167_989
.LBB167_746:
	s_or_b32 exec_lo, exec_lo, s49
	v_mov_b32_e32 v5, 0
	s_and_saveexec_b32 s49, s48
.LBB167_747:
	v_mov_b32_e32 v5, v1
.LBB167_748:
	s_or_b32 exec_lo, exec_lo, s49
.LBB167_749:
	s_delay_alu instid0(SALU_CYCLE_1)
	s_or_b32 exec_lo, exec_lo, s47
	s_mov_b32 s47, 0
	global_store_b8 v[2:3], v5, off
.LBB167_750:
	s_and_b32 vcc_lo, exec_lo, s47
	s_cbranch_vccz .LBB167_760
; %bb.751:
	s_wait_xcnt 0x0
	v_cndmask_b32_e64 v4, 0, 1.0, s43
	s_mov_b32 s47, exec_lo
                                        ; implicit-def: $vgpr1
	s_delay_alu instid0(VALU_DEP_1)
	v_cmpx_gt_u32_e32 0x43f00000, v4
	s_xor_b32 s47, exec_lo, s47
	s_cbranch_execz .LBB167_757
; %bb.752:
	s_mov_b32 s48, exec_lo
                                        ; implicit-def: $vgpr1
	v_cmpx_lt_u32_e32 0x3c7fffff, v4
	s_xor_b32 s48, exec_lo, s48
; %bb.753:
	v_bfe_u32 v1, v4, 20, 1
	s_delay_alu instid0(VALU_DEP_1) | instskip(NEXT) | instid1(VALU_DEP_1)
	v_add3_u32 v1, v4, v1, 0x407ffff
	v_and_b32_e32 v4, 0xff00000, v1
	v_lshrrev_b32_e32 v1, 20, v1
	s_delay_alu instid0(VALU_DEP_2) | instskip(NEXT) | instid1(VALU_DEP_2)
	v_cmp_ne_u32_e32 vcc_lo, 0x7f00000, v4
                                        ; implicit-def: $vgpr4
	v_cndmask_b32_e32 v1, 0x7e, v1, vcc_lo
; %bb.754:
	s_and_not1_saveexec_b32 s48, s48
; %bb.755:
	v_add_f32_e32 v1, 0x46800000, v4
; %bb.756:
	s_or_b32 exec_lo, exec_lo, s48
                                        ; implicit-def: $vgpr4
.LBB167_757:
	s_and_not1_saveexec_b32 s47, s47
; %bb.758:
	v_mov_b32_e32 v1, 0x7f
	v_cmp_lt_u32_e32 vcc_lo, 0x7f800000, v4
	s_delay_alu instid0(VALU_DEP_2)
	v_cndmask_b32_e32 v1, 0x7e, v1, vcc_lo
; %bb.759:
	s_or_b32 exec_lo, exec_lo, s47
	global_store_b8 v[2:3], v1, off
.LBB167_760:
	s_mov_b32 s47, 0
.LBB167_761:
	s_delay_alu instid0(SALU_CYCLE_1)
	s_and_not1_b32 vcc_lo, exec_lo, s47
	s_cbranch_vccnz .LBB167_771
; %bb.762:
	s_wait_xcnt 0x0
	v_cndmask_b32_e64 v4, 0, 1.0, s43
	s_mov_b32 s47, exec_lo
                                        ; implicit-def: $vgpr1
	s_delay_alu instid0(VALU_DEP_1)
	v_cmpx_gt_u32_e32 0x47800000, v4
	s_xor_b32 s47, exec_lo, s47
	s_cbranch_execz .LBB167_768
; %bb.763:
	s_mov_b32 s48, exec_lo
                                        ; implicit-def: $vgpr1
	v_cmpx_lt_u32_e32 0x387fffff, v4
	s_xor_b32 s48, exec_lo, s48
; %bb.764:
	v_bfe_u32 v1, v4, 21, 1
	s_delay_alu instid0(VALU_DEP_1) | instskip(NEXT) | instid1(VALU_DEP_1)
	v_add3_u32 v1, v4, v1, 0x80fffff
                                        ; implicit-def: $vgpr4
	v_lshrrev_b32_e32 v1, 21, v1
; %bb.765:
	s_and_not1_saveexec_b32 s48, s48
; %bb.766:
	v_add_f32_e32 v1, 0x43000000, v4
; %bb.767:
	s_or_b32 exec_lo, exec_lo, s48
                                        ; implicit-def: $vgpr4
.LBB167_768:
	s_and_not1_saveexec_b32 s47, s47
; %bb.769:
	v_mov_b32_e32 v1, 0x7f
	v_cmp_lt_u32_e32 vcc_lo, 0x7f800000, v4
	s_delay_alu instid0(VALU_DEP_2)
	v_cndmask_b32_e32 v1, 0x7c, v1, vcc_lo
; %bb.770:
	s_or_b32 exec_lo, exec_lo, s47
	global_store_b8 v[2:3], v1, off
.LBB167_771:
	s_mov_b32 s48, 0
	s_mov_b32 s47, -1
.LBB167_772:
	s_and_not1_b32 vcc_lo, exec_lo, s48
	s_cbranch_vccnz .LBB167_780
; %bb.773:
	s_cmp_gt_i32 s45, 14
	s_mov_b32 s48, -1
	s_cbranch_scc0 .LBB167_777
; %bb.774:
	s_cmp_eq_u32 s45, 15
	s_mov_b32 s0, -1
	s_cbranch_scc0 .LBB167_776
; %bb.775:
	s_wait_xcnt 0x0
	v_cndmask_b32_e64 v1, 0, 1.0, s43
	s_mov_b32 s47, -1
	s_mov_b32 s0, 0
	s_delay_alu instid0(VALU_DEP_1) | instskip(NEXT) | instid1(VALU_DEP_1)
	v_bfe_u32 v4, v1, 16, 1
	v_add3_u32 v1, v1, v4, 0x7fff
	global_store_d16_hi_b16 v[2:3], v1, off
.LBB167_776:
	s_mov_b32 s48, 0
.LBB167_777:
	s_delay_alu instid0(SALU_CYCLE_1)
	s_and_b32 vcc_lo, exec_lo, s48
	s_cbranch_vccz .LBB167_780
; %bb.778:
	s_cmp_eq_u32 s45, 11
	s_mov_b32 s0, -1
	s_cbranch_scc0 .LBB167_780
; %bb.779:
	s_wait_xcnt 0x0
	v_cndmask_b32_e64 v1, 0, 1, s43
	s_mov_b32 s47, -1
	s_mov_b32 s0, 0
	global_store_b8 v[2:3], v1, off
.LBB167_780:
	s_mov_b32 s45, 0
.LBB167_781:
	s_delay_alu instid0(SALU_CYCLE_1)
	s_and_b32 vcc_lo, exec_lo, s45
	s_cbranch_vccz .LBB167_820
; %bb.782:
	s_and_b32 s44, 0xffff, s44
	s_mov_b32 s45, -1
	s_cmp_lt_i32 s44, 5
	s_cbranch_scc1 .LBB167_803
; %bb.783:
	s_cmp_lt_i32 s44, 8
	s_cbranch_scc1 .LBB167_793
; %bb.784:
	;; [unrolled: 3-line block ×3, first 2 shown]
	s_cmp_gt_i32 s44, 9
	s_cbranch_scc0 .LBB167_787
; %bb.786:
	s_wait_xcnt 0x0
	v_cndmask_b32_e64 v1, 0, 1, s43
	v_mov_b32_e32 v6, 0
	s_mov_b32 s45, 0
	s_delay_alu instid0(VALU_DEP_2) | instskip(NEXT) | instid1(VALU_DEP_2)
	v_cvt_f64_u32_e32 v[4:5], v1
	v_mov_b32_e32 v7, v6
	global_store_b128 v[2:3], v[4:7], off
.LBB167_787:
	s_and_not1_b32 vcc_lo, exec_lo, s45
	s_cbranch_vccnz .LBB167_789
; %bb.788:
	s_wait_xcnt 0x0
	v_cndmask_b32_e64 v4, 0, 1.0, s43
	v_mov_b32_e32 v5, 0
	global_store_b64 v[2:3], v[4:5], off
.LBB167_789:
	s_mov_b32 s45, 0
.LBB167_790:
	s_delay_alu instid0(SALU_CYCLE_1)
	s_and_not1_b32 vcc_lo, exec_lo, s45
	s_cbranch_vccnz .LBB167_792
; %bb.791:
	s_wait_xcnt 0x0
	v_cndmask_b32_e64 v1, 0, 1.0, s43
	s_delay_alu instid0(VALU_DEP_1) | instskip(NEXT) | instid1(VALU_DEP_1)
	v_cvt_f16_f32_e32 v1, v1
	v_and_b32_e32 v1, 0xffff, v1
	global_store_b32 v[2:3], v1, off
.LBB167_792:
	s_mov_b32 s45, 0
.LBB167_793:
	s_delay_alu instid0(SALU_CYCLE_1)
	s_and_not1_b32 vcc_lo, exec_lo, s45
	s_cbranch_vccnz .LBB167_802
; %bb.794:
	s_cmp_lt_i32 s44, 6
	s_mov_b32 s45, -1
	s_cbranch_scc1 .LBB167_800
; %bb.795:
	s_cmp_gt_i32 s44, 6
	s_cbranch_scc0 .LBB167_797
; %bb.796:
	s_wait_xcnt 0x0
	v_cndmask_b32_e64 v1, 0, 1, s43
	s_mov_b32 s45, 0
	s_delay_alu instid0(VALU_DEP_1)
	v_cvt_f64_u32_e32 v[4:5], v1
	global_store_b64 v[2:3], v[4:5], off
.LBB167_797:
	s_and_not1_b32 vcc_lo, exec_lo, s45
	s_cbranch_vccnz .LBB167_799
; %bb.798:
	s_wait_xcnt 0x0
	v_cndmask_b32_e64 v1, 0, 1.0, s43
	global_store_b32 v[2:3], v1, off
.LBB167_799:
	s_mov_b32 s45, 0
.LBB167_800:
	s_delay_alu instid0(SALU_CYCLE_1)
	s_and_not1_b32 vcc_lo, exec_lo, s45
	s_cbranch_vccnz .LBB167_802
; %bb.801:
	s_wait_xcnt 0x0
	v_cndmask_b32_e64 v1, 0, 1.0, s43
	s_delay_alu instid0(VALU_DEP_1)
	v_cvt_f16_f32_e32 v1, v1
	global_store_b16 v[2:3], v1, off
.LBB167_802:
	s_mov_b32 s45, 0
.LBB167_803:
	s_delay_alu instid0(SALU_CYCLE_1)
	s_and_not1_b32 vcc_lo, exec_lo, s45
	s_cbranch_vccnz .LBB167_819
; %bb.804:
	s_cmp_lt_i32 s44, 2
	s_mov_b32 s45, -1
	s_cbranch_scc1 .LBB167_814
; %bb.805:
	s_cmp_lt_i32 s44, 3
	s_cbranch_scc1 .LBB167_811
; %bb.806:
	s_cmp_gt_i32 s44, 3
	s_cbranch_scc0 .LBB167_808
; %bb.807:
	s_mov_b32 s45, 0
	s_wait_xcnt 0x0
	v_cndmask_b32_e64 v4, 0, 1, s43
	v_mov_b32_e32 v5, s45
	global_store_b64 v[2:3], v[4:5], off
.LBB167_808:
	s_and_not1_b32 vcc_lo, exec_lo, s45
	s_cbranch_vccnz .LBB167_810
; %bb.809:
	s_wait_xcnt 0x0
	v_cndmask_b32_e64 v1, 0, 1, s43
	global_store_b32 v[2:3], v1, off
.LBB167_810:
	s_mov_b32 s45, 0
.LBB167_811:
	s_delay_alu instid0(SALU_CYCLE_1)
	s_and_not1_b32 vcc_lo, exec_lo, s45
	s_cbranch_vccnz .LBB167_813
; %bb.812:
	s_wait_xcnt 0x0
	v_cndmask_b32_e64 v1, 0, 1, s43
	global_store_b16 v[2:3], v1, off
.LBB167_813:
	s_mov_b32 s45, 0
.LBB167_814:
	s_delay_alu instid0(SALU_CYCLE_1)
	s_and_not1_b32 vcc_lo, exec_lo, s45
	s_cbranch_vccnz .LBB167_819
; %bb.815:
	s_wait_xcnt 0x0
	v_cndmask_b32_e64 v1, 0, 1, s43
	s_cmp_gt_i32 s44, 0
	s_mov_b32 s43, -1
	s_cbranch_scc0 .LBB167_817
; %bb.816:
	s_mov_b32 s43, 0
	global_store_b8 v[2:3], v1, off
.LBB167_817:
	s_and_not1_b32 vcc_lo, exec_lo, s43
	s_cbranch_vccnz .LBB167_819
; %bb.818:
	global_store_b8 v[2:3], v1, off
.LBB167_819:
	s_mov_b32 s47, -1
.LBB167_820:
	s_delay_alu instid0(SALU_CYCLE_1)
	s_and_not1_b32 vcc_lo, exec_lo, s47
	s_cbranch_vccnz .LBB167_822
; %bb.821:
	v_add_nc_u32_e32 v0, 0x80, v0
	s_mov_b32 s47, -1
	s_branch .LBB167_824
.LBB167_822:
	s_mov_b32 s47, 0
.LBB167_823:
                                        ; implicit-def: $vgpr0
.LBB167_824:
	s_and_not1_b32 s43, s39, exec_lo
	s_and_b32 s0, s0, exec_lo
	s_and_b32 s27, s27, exec_lo
	s_or_b32 s44, s43, s0
	s_and_not1_b32 s0, s40, exec_lo
	s_and_not1_b32 s43, s41, exec_lo
	s_and_b32 s26, s26, exec_lo
	s_or_b32 s45, s0, s27
	s_or_b32 s43, s43, s26
	s_or_not1_b32 s48, s47, exec_lo
.LBB167_825:
	s_wait_xcnt 0x0
	s_or_b32 exec_lo, exec_lo, s46
	s_mov_b32 s47, 0
	s_mov_b32 s27, 0
	;; [unrolled: 1-line block ×3, first 2 shown]
                                        ; implicit-def: $sgpr0
                                        ; implicit-def: $vgpr6_vgpr7
                                        ; implicit-def: $vgpr4
                                        ; implicit-def: $vgpr2
                                        ; implicit-def: $vgpr8
                                        ; implicit-def: $vgpr3
	s_and_saveexec_b32 s46, s48
	s_cbranch_execz .LBB167_1342
; %bb.826:
	s_mov_b32 s52, -1
	s_mov_b32 s48, s43
	s_mov_b32 s50, s45
	s_mov_b32 s49, s44
	s_mov_b32 s47, exec_lo
	v_cmpx_gt_i32_e64 s37, v0
	s_cbranch_execz .LBB167_1243
; %bb.827:
	s_and_not1_b32 vcc_lo, exec_lo, s31
	s_cbranch_vccnz .LBB167_833
; %bb.828:
	s_and_not1_b32 vcc_lo, exec_lo, s38
	s_cbranch_vccnz .LBB167_834
; %bb.829:
	s_wait_loadcnt 0x0
	v_dual_mov_b32 v2, 0 :: v_dual_mov_b32 v1, v0
	v_dual_mov_b32 v6, 0 :: v_dual_mov_b32 v4, 0
	s_add_co_i32 s0, s36, 1
	s_mov_b64 s[26:27], 0xffffffffffffffe8
	s_and_b32 s0, s0, 30
	s_add_nc_u64 s[26:27], s[2:3], s[26:27]
.LBB167_830:                            ; =>This Inner Loop Header: Depth=1
	s_clause 0x1
	s_load_b128 s[48:51], s[26:27], 0x1c
	s_load_b64 s[56:57], s[26:27], 0x2c
	s_add_co_i32 s0, s0, -2
	s_delay_alu instid0(SALU_CYCLE_1) | instskip(SKIP_2) | instid1(VALU_DEP_1)
	s_cmp_eq_u32 s0, 0
	s_wait_kmcnt 0x0
	v_mul_hi_u32 v3, s49, v1
	v_add_nc_u32_e32 v3, v1, v3
	s_delay_alu instid0(VALU_DEP_1) | instskip(NEXT) | instid1(VALU_DEP_1)
	v_lshrrev_b32_e32 v3, s50, v3
	v_mul_hi_u32 v5, s56, v3
	v_mul_lo_u32 v7, v3, s48
	s_clause 0x1
	s_load_b128 s[52:55], s[26:27], 0xdc
	s_load_b64 s[48:49], s[26:27], 0xec
	s_wait_xcnt 0x0
	s_add_nc_u64 s[26:27], s[26:27], 24
	s_delay_alu instid0(VALU_DEP_1) | instskip(NEXT) | instid1(VALU_DEP_1)
	v_dual_add_nc_u32 v5, v3, v5 :: v_dual_sub_nc_u32 v7, v1, v7
	v_lshrrev_b32_e32 v1, s57, v5
	s_wait_kmcnt 0x0
	s_delay_alu instid0(VALU_DEP_2) | instskip(NEXT) | instid1(VALU_DEP_2)
	v_mad_u32 v2, v7, s52, v2
	v_mul_lo_u32 v5, v1, s51
	v_mad_u32 v4, v7, s54, v4
	v_mad_u32 v6, v7, s53, v6
	s_delay_alu instid0(VALU_DEP_3) | instskip(NEXT) | instid1(VALU_DEP_1)
	v_sub_nc_u32_e32 v3, v3, v5
	v_mad_u32 v2, v3, s55, v2
	s_delay_alu instid0(VALU_DEP_4) | instskip(NEXT) | instid1(VALU_DEP_4)
	v_mad_u32 v4, v3, s49, v4
	v_mad_u32 v6, v3, s48, v6
	s_cbranch_scc0 .LBB167_830
; %bb.831:
	s_bitcmp1_b32 s36, 0
	s_cselect_b32 s0, -1, 0
	s_delay_alu instid0(SALU_CYCLE_1)
	s_and_b32 vcc_lo, exec_lo, s0
	s_cbranch_vccnz .LBB167_835
; %bb.832:
	s_clause 0x1
	s_load_b96 s[48:50], s[26:27], 0x1c
	s_load_b96 s[52:54], s[26:27], 0xdc
	s_wait_kmcnt 0x0
	v_mul_hi_u32 v3, s49, v1
	s_delay_alu instid0(VALU_DEP_1) | instskip(NEXT) | instid1(VALU_DEP_1)
	v_add_nc_u32_e32 v3, v1, v3
	v_lshrrev_b32_e32 v3, s50, v3
	s_delay_alu instid0(VALU_DEP_1) | instskip(NEXT) | instid1(VALU_DEP_1)
	v_mul_lo_u32 v3, v3, s48
	v_sub_nc_u32_e32 v1, v1, v3
	s_delay_alu instid0(VALU_DEP_1)
	v_mad_u32 v2, v1, s52, v2
	v_mad_u32 v6, v1, s53, v6
	;; [unrolled: 1-line block ×3, first 2 shown]
	s_branch .LBB167_835
.LBB167_833:
	s_mov_b32 s0, -1
                                        ; implicit-def: $vgpr4
                                        ; implicit-def: $vgpr6
                                        ; implicit-def: $vgpr2
	s_branch .LBB167_836
.LBB167_834:
	s_wait_loadcnt 0x0
	v_dual_mov_b32 v4, 0 :: v_dual_mov_b32 v6, 0
	v_mov_b32_e32 v2, 0
.LBB167_835:
	s_mov_b32 s0, 0
.LBB167_836:
	s_delay_alu instid0(SALU_CYCLE_1)
	s_and_not1_b32 vcc_lo, exec_lo, s0
	s_cbranch_vccnz .LBB167_839
; %bb.837:
	s_wait_loadcnt 0x0
	v_mov_b32_e32 v1, 0
	s_and_not1_b32 vcc_lo, exec_lo, s35
	s_delay_alu instid0(VALU_DEP_1) | instskip(NEXT) | instid1(VALU_DEP_1)
	v_mul_u64_e32 v[2:3], s[20:21], v[0:1]
	v_add_nc_u32_e32 v2, v0, v3
	s_delay_alu instid0(VALU_DEP_1) | instskip(NEXT) | instid1(VALU_DEP_1)
	v_lshrrev_b32_e32 v8, s14, v2
	v_mul_lo_u32 v2, v8, s12
	s_delay_alu instid0(VALU_DEP_1) | instskip(NEXT) | instid1(VALU_DEP_1)
	v_sub_nc_u32_e32 v3, v0, v2
	v_mul_lo_u32 v2, v3, s16
	v_mul_lo_u32 v4, v3, s18
	;; [unrolled: 1-line block ×3, first 2 shown]
	s_cbranch_vccnz .LBB167_839
; %bb.838:
	v_mov_b32_e32 v9, v1
	s_delay_alu instid0(VALU_DEP_1) | instskip(NEXT) | instid1(VALU_DEP_1)
	v_mul_u64_e32 v[10:11], s[24:25], v[8:9]
	v_add_nc_u32_e32 v1, v8, v11
	s_delay_alu instid0(VALU_DEP_1) | instskip(NEXT) | instid1(VALU_DEP_1)
	v_lshrrev_b32_e32 v1, s1, v1
	v_mul_lo_u32 v1, v1, s15
	s_delay_alu instid0(VALU_DEP_1) | instskip(NEXT) | instid1(VALU_DEP_1)
	v_sub_nc_u32_e32 v1, v8, v1
	v_mad_u32 v2, v1, s19, v2
	v_mad_u32 v6, v1, s22, v6
	v_mad_u32 v4, v1, s23, v4
.LBB167_839:
	v_mov_b32_e32 v7, 0
	s_and_b32 s0, s34, 0xff
	s_delay_alu instid0(SALU_CYCLE_1) | instskip(SKIP_1) | instid1(VALU_DEP_1)
	s_cmp_lt_i32 s0, 11
	s_wait_loadcnt 0x0
	v_add_nc_u64_e32 v[6:7], s[6:7], v[6:7]
	s_cbranch_scc1 .LBB167_846
; %bb.840:
	s_and_b32 s27, 0xffff, s0
	s_delay_alu instid0(SALU_CYCLE_1)
	s_cmp_gt_i32 s27, 25
	s_cbranch_scc0 .LBB167_847
; %bb.841:
	s_cmp_gt_i32 s27, 28
	s_cbranch_scc0 .LBB167_848
; %bb.842:
	;; [unrolled: 3-line block ×4, first 2 shown]
	s_cmp_eq_u32 s27, 46
	s_mov_b32 s49, 0
	s_cbranch_scc0 .LBB167_853
; %bb.845:
	global_load_b32 v1, v[6:7], off
	s_mov_b32 s48, -1
	s_mov_b32 s26, 0
	s_wait_loadcnt 0x0
	v_and_b32_e32 v3, 0xffff0000, v1
	s_branch .LBB167_855
.LBB167_846:
	s_mov_b32 s27, -1
	s_mov_b32 s48, 0
	s_mov_b32 s26, s43
                                        ; implicit-def: $vgpr3
                                        ; implicit-def: $vgpr1
	s_branch .LBB167_923
.LBB167_847:
	s_mov_b32 s49, -1
	s_mov_b32 s48, 0
	s_mov_b32 s26, s43
                                        ; implicit-def: $vgpr3
                                        ; implicit-def: $vgpr1
	s_branch .LBB167_886
.LBB167_848:
	s_mov_b32 s49, -1
	s_mov_b32 s48, 0
	s_mov_b32 s26, s43
                                        ; implicit-def: $vgpr3
                                        ; implicit-def: $vgpr1
	s_branch .LBB167_867
.LBB167_849:
	s_mov_b32 s49, -1
	s_mov_b32 s48, 0
	s_mov_b32 s26, s43
                                        ; implicit-def: $vgpr3
                                        ; implicit-def: $vgpr1
	s_branch .LBB167_861
.LBB167_850:
	s_mov_b32 s49, -1
	s_mov_b32 s48, 0
	s_mov_b32 s26, s43
	s_branch .LBB167_854
.LBB167_851:
	s_and_not1_saveexec_b32 s49, s49
	s_cbranch_execz .LBB167_733
.LBB167_852:
	v_add_f32_e32 v1, 0x46000000, v4
	s_and_not1_b32 s48, s48, exec_lo
	s_delay_alu instid0(VALU_DEP_1) | instskip(NEXT) | instid1(VALU_DEP_1)
	v_and_b32_e32 v1, 0xff, v1
	v_cmp_ne_u32_e32 vcc_lo, 0, v1
	s_and_b32 s50, vcc_lo, exec_lo
	s_delay_alu instid0(SALU_CYCLE_1)
	s_or_b32 s48, s48, s50
	s_or_b32 exec_lo, exec_lo, s49
	v_mov_b32_e32 v5, 0
	s_and_saveexec_b32 s49, s48
	s_cbranch_execnz .LBB167_734
	s_branch .LBB167_735
.LBB167_853:
	s_mov_b32 s26, -1
	s_mov_b32 s48, 0
.LBB167_854:
                                        ; implicit-def: $vgpr3
                                        ; implicit-def: $vgpr1
.LBB167_855:
	s_and_b32 vcc_lo, exec_lo, s49
	s_cbranch_vccz .LBB167_860
; %bb.856:
	s_cmp_eq_u32 s27, 44
	s_cbranch_scc0 .LBB167_858
; %bb.857:
	global_load_u8 v1, v[6:7], off
	s_mov_b32 s26, 0
	s_mov_b32 s48, -1
	s_wait_loadcnt 0x0
	v_lshlrev_b32_e32 v3, 23, v1
	v_cmp_ne_u32_e32 vcc_lo, 0xff, v1
	s_delay_alu instid0(VALU_DEP_2) | instskip(SKIP_1) | instid1(VALU_DEP_2)
	v_cndmask_b32_e32 v3, 0x7f800001, v3, vcc_lo
	v_cmp_ne_u32_e32 vcc_lo, 0, v1
	v_cndmask_b32_e32 v1, 0x400000, v3, vcc_lo
	s_delay_alu instid0(VALU_DEP_1) | instskip(SKIP_1) | instid1(VALU_DEP_2)
	v_add_nc_u32_e32 v3, 0x7fff, v1
	v_cmp_o_f32_e32 vcc_lo, v1, v1
	v_lshrrev_b32_e32 v3, 16, v3
	s_delay_alu instid0(VALU_DEP_1)
	v_cndmask_b32_e32 v1, 0x7fc0, v3, vcc_lo
	s_branch .LBB167_859
.LBB167_858:
	s_mov_b32 s26, -1
                                        ; implicit-def: $vgpr1
.LBB167_859:
	v_mov_b32_e32 v3, 0
.LBB167_860:
	s_mov_b32 s49, 0
.LBB167_861:
	s_delay_alu instid0(SALU_CYCLE_1)
	s_and_b32 vcc_lo, exec_lo, s49
	s_cbranch_vccz .LBB167_866
; %bb.862:
	s_cmp_eq_u32 s27, 29
	s_cbranch_scc0 .LBB167_864
; %bb.863:
	global_load_b64 v[8:9], v[6:7], off
	s_mov_b32 s48, -1
	s_mov_b32 s26, 0
	s_wait_loadcnt 0x0
	v_clz_i32_u32_e32 v1, v9
	s_delay_alu instid0(VALU_DEP_1) | instskip(NEXT) | instid1(VALU_DEP_1)
	v_min_u32_e32 v1, 32, v1
	v_lshlrev_b64_e32 v[8:9], v1, v[8:9]
	v_sub_nc_u32_e32 v1, 32, v1
	s_delay_alu instid0(VALU_DEP_2) | instskip(NEXT) | instid1(VALU_DEP_1)
	v_min_u32_e32 v3, 1, v8
	v_or_b32_e32 v3, v9, v3
	s_delay_alu instid0(VALU_DEP_1) | instskip(NEXT) | instid1(VALU_DEP_1)
	v_cvt_f32_u32_e32 v3, v3
	v_ldexp_f32 v1, v3, v1
	s_delay_alu instid0(VALU_DEP_1) | instskip(NEXT) | instid1(VALU_DEP_1)
	v_bfe_u32 v3, v1, 16, 1
	v_add3_u32 v1, v1, v3, 0x7fff
	s_delay_alu instid0(VALU_DEP_1)
	v_lshrrev_b32_e32 v1, 16, v1
	s_branch .LBB167_865
.LBB167_864:
	s_mov_b32 s26, -1
                                        ; implicit-def: $vgpr1
.LBB167_865:
	v_mov_b32_e32 v3, 0
.LBB167_866:
	s_mov_b32 s49, 0
.LBB167_867:
	s_delay_alu instid0(SALU_CYCLE_1)
	s_and_b32 vcc_lo, exec_lo, s49
	s_cbranch_vccz .LBB167_885
; %bb.868:
	s_cmp_lt_i32 s27, 27
	s_cbranch_scc1 .LBB167_871
; %bb.869:
	s_cmp_gt_i32 s27, 27
	s_cbranch_scc0 .LBB167_872
; %bb.870:
	global_load_b32 v1, v[6:7], off
	s_mov_b32 s48, 0
	s_wait_loadcnt 0x0
	v_cvt_f32_u32_e32 v1, v1
	s_delay_alu instid0(VALU_DEP_1) | instskip(NEXT) | instid1(VALU_DEP_1)
	v_bfe_u32 v3, v1, 16, 1
	v_add3_u32 v1, v1, v3, 0x7fff
	s_delay_alu instid0(VALU_DEP_1)
	v_lshrrev_b32_e32 v1, 16, v1
	s_branch .LBB167_873
.LBB167_871:
	s_mov_b32 s48, -1
                                        ; implicit-def: $vgpr1
	s_branch .LBB167_876
.LBB167_872:
	s_mov_b32 s48, -1
                                        ; implicit-def: $vgpr1
.LBB167_873:
	s_delay_alu instid0(SALU_CYCLE_1)
	s_and_not1_b32 vcc_lo, exec_lo, s48
	s_cbranch_vccnz .LBB167_875
; %bb.874:
	global_load_u16 v1, v[6:7], off
	s_wait_loadcnt 0x0
	v_cvt_f32_u32_e32 v1, v1
	s_delay_alu instid0(VALU_DEP_1) | instskip(NEXT) | instid1(VALU_DEP_1)
	v_bfe_u32 v3, v1, 16, 1
	v_add3_u32 v1, v1, v3, 0x7fff
	s_delay_alu instid0(VALU_DEP_1)
	v_lshrrev_b32_e32 v1, 16, v1
.LBB167_875:
	s_mov_b32 s48, 0
.LBB167_876:
	s_delay_alu instid0(SALU_CYCLE_1)
	s_and_not1_b32 vcc_lo, exec_lo, s48
	s_cbranch_vccnz .LBB167_884
; %bb.877:
	global_load_u8 v1, v[6:7], off
	s_mov_b32 s48, 0
	s_mov_b32 s49, exec_lo
	s_wait_loadcnt 0x0
	v_cmpx_lt_i16_e32 0x7f, v1
	s_xor_b32 s49, exec_lo, s49
	s_cbranch_execz .LBB167_898
; %bb.878:
	s_mov_b32 s48, -1
	s_mov_b32 s50, exec_lo
	v_cmpx_eq_u16_e32 0x80, v1
; %bb.879:
	s_xor_b32 s48, exec_lo, -1
; %bb.880:
	s_or_b32 exec_lo, exec_lo, s50
	s_delay_alu instid0(SALU_CYCLE_1)
	s_and_b32 s48, s48, exec_lo
	s_or_saveexec_b32 s49, s49
	v_mov_b32_e32 v3, 0x7f800001
	s_xor_b32 exec_lo, exec_lo, s49
	s_cbranch_execnz .LBB167_899
.LBB167_881:
	s_or_b32 exec_lo, exec_lo, s49
	s_and_saveexec_b32 s49, s48
	s_cbranch_execz .LBB167_883
.LBB167_882:
	v_and_b32_e32 v3, 0xffff, v1
	s_delay_alu instid0(VALU_DEP_1) | instskip(SKIP_1) | instid1(VALU_DEP_2)
	v_and_b32_e32 v5, 7, v3
	v_bfe_u32 v10, v3, 3, 4
	v_clz_i32_u32_e32 v8, v5
	s_delay_alu instid0(VALU_DEP_2) | instskip(NEXT) | instid1(VALU_DEP_2)
	v_cmp_eq_u32_e32 vcc_lo, 0, v10
	v_min_u32_e32 v8, 32, v8
	s_delay_alu instid0(VALU_DEP_1) | instskip(NEXT) | instid1(VALU_DEP_1)
	v_subrev_nc_u32_e32 v9, 28, v8
	v_dual_lshlrev_b32 v3, v9, v3 :: v_dual_sub_nc_u32 v8, 29, v8
	s_delay_alu instid0(VALU_DEP_1) | instskip(NEXT) | instid1(VALU_DEP_1)
	v_dual_lshlrev_b32 v1, 24, v1 :: v_dual_bitop2_b32 v3, 7, v3 bitop3:0x40
	v_dual_cndmask_b32 v8, v10, v8 :: v_dual_cndmask_b32 v3, v5, v3
	s_delay_alu instid0(VALU_DEP_2) | instskip(NEXT) | instid1(VALU_DEP_2)
	v_and_b32_e32 v1, 0x80000000, v1
	v_lshl_add_u32 v5, v8, 23, 0x3b800000
	s_delay_alu instid0(VALU_DEP_3) | instskip(NEXT) | instid1(VALU_DEP_1)
	v_lshlrev_b32_e32 v3, 20, v3
	v_or3_b32 v3, v1, v5, v3
.LBB167_883:
	s_or_b32 exec_lo, exec_lo, s49
	s_delay_alu instid0(VALU_DEP_1) | instskip(SKIP_1) | instid1(VALU_DEP_2)
	v_bfe_u32 v1, v3, 16, 1
	v_cmp_o_f32_e32 vcc_lo, v3, v3
	v_add3_u32 v1, v3, v1, 0x7fff
	s_delay_alu instid0(VALU_DEP_1) | instskip(NEXT) | instid1(VALU_DEP_1)
	v_lshrrev_b32_e32 v1, 16, v1
	v_cndmask_b32_e32 v1, 0x7fc0, v1, vcc_lo
.LBB167_884:
	v_mov_b32_e32 v3, 0
	s_mov_b32 s48, -1
.LBB167_885:
	s_mov_b32 s49, 0
.LBB167_886:
	s_delay_alu instid0(SALU_CYCLE_1)
	s_and_b32 vcc_lo, exec_lo, s49
	s_cbranch_vccz .LBB167_922
; %bb.887:
	s_cmp_gt_i32 s27, 22
	s_cbranch_scc0 .LBB167_897
; %bb.888:
	s_cmp_lt_i32 s27, 24
	s_cbranch_scc1 .LBB167_900
; %bb.889:
	s_cmp_gt_i32 s27, 24
	s_cbranch_scc0 .LBB167_901
; %bb.890:
	global_load_u8 v1, v[6:7], off
	s_mov_b32 s48, 0
	s_mov_b32 s49, exec_lo
	s_wait_loadcnt 0x0
	v_cmpx_lt_i16_e32 0x7f, v1
	s_xor_b32 s49, exec_lo, s49
	s_cbranch_execz .LBB167_913
; %bb.891:
	s_mov_b32 s48, -1
	s_mov_b32 s50, exec_lo
	v_cmpx_eq_u16_e32 0x80, v1
; %bb.892:
	s_xor_b32 s48, exec_lo, -1
; %bb.893:
	s_or_b32 exec_lo, exec_lo, s50
	s_delay_alu instid0(SALU_CYCLE_1)
	s_and_b32 s48, s48, exec_lo
	s_or_saveexec_b32 s49, s49
	v_mov_b32_e32 v3, 0x7f800001
	s_xor_b32 exec_lo, exec_lo, s49
	s_cbranch_execnz .LBB167_914
.LBB167_894:
	s_or_b32 exec_lo, exec_lo, s49
	s_and_saveexec_b32 s49, s48
	s_cbranch_execz .LBB167_896
.LBB167_895:
	v_and_b32_e32 v3, 0xffff, v1
	s_delay_alu instid0(VALU_DEP_1) | instskip(SKIP_1) | instid1(VALU_DEP_2)
	v_and_b32_e32 v5, 3, v3
	v_bfe_u32 v10, v3, 2, 5
	v_clz_i32_u32_e32 v8, v5
	s_delay_alu instid0(VALU_DEP_2) | instskip(NEXT) | instid1(VALU_DEP_2)
	v_cmp_eq_u32_e32 vcc_lo, 0, v10
	v_min_u32_e32 v8, 32, v8
	s_delay_alu instid0(VALU_DEP_1) | instskip(NEXT) | instid1(VALU_DEP_1)
	v_subrev_nc_u32_e32 v9, 29, v8
	v_dual_lshlrev_b32 v3, v9, v3 :: v_dual_sub_nc_u32 v8, 30, v8
	s_delay_alu instid0(VALU_DEP_1) | instskip(NEXT) | instid1(VALU_DEP_1)
	v_dual_lshlrev_b32 v1, 24, v1 :: v_dual_bitop2_b32 v3, 3, v3 bitop3:0x40
	v_dual_cndmask_b32 v8, v10, v8 :: v_dual_cndmask_b32 v3, v5, v3
	s_delay_alu instid0(VALU_DEP_2) | instskip(NEXT) | instid1(VALU_DEP_2)
	v_and_b32_e32 v1, 0x80000000, v1
	v_lshl_add_u32 v5, v8, 23, 0x37800000
	s_delay_alu instid0(VALU_DEP_3) | instskip(NEXT) | instid1(VALU_DEP_1)
	v_lshlrev_b32_e32 v3, 21, v3
	v_or3_b32 v3, v1, v5, v3
.LBB167_896:
	s_or_b32 exec_lo, exec_lo, s49
	s_delay_alu instid0(VALU_DEP_1) | instskip(SKIP_2) | instid1(VALU_DEP_2)
	v_bfe_u32 v1, v3, 16, 1
	v_cmp_o_f32_e32 vcc_lo, v3, v3
	s_mov_b32 s48, 0
	v_add3_u32 v1, v3, v1, 0x7fff
	s_delay_alu instid0(VALU_DEP_1) | instskip(NEXT) | instid1(VALU_DEP_1)
	v_lshrrev_b32_e32 v1, 16, v1
	v_cndmask_b32_e32 v1, 0x7fc0, v1, vcc_lo
	s_branch .LBB167_902
.LBB167_897:
	s_mov_b32 s49, -1
                                        ; implicit-def: $vgpr1
	s_branch .LBB167_908
.LBB167_898:
	s_or_saveexec_b32 s49, s49
	v_mov_b32_e32 v3, 0x7f800001
	s_xor_b32 exec_lo, exec_lo, s49
	s_cbranch_execz .LBB167_881
.LBB167_899:
	v_cmp_ne_u16_e32 vcc_lo, 0, v1
	v_mov_b32_e32 v3, 0
	s_and_not1_b32 s48, s48, exec_lo
	s_and_b32 s50, vcc_lo, exec_lo
	s_delay_alu instid0(SALU_CYCLE_1)
	s_or_b32 s48, s48, s50
	s_or_b32 exec_lo, exec_lo, s49
	s_and_saveexec_b32 s49, s48
	s_cbranch_execnz .LBB167_882
	s_branch .LBB167_883
.LBB167_900:
	s_mov_b32 s48, -1
                                        ; implicit-def: $vgpr1
	s_branch .LBB167_905
.LBB167_901:
	s_mov_b32 s48, -1
                                        ; implicit-def: $vgpr1
.LBB167_902:
	s_delay_alu instid0(SALU_CYCLE_1)
	s_and_b32 vcc_lo, exec_lo, s48
	s_cbranch_vccz .LBB167_904
; %bb.903:
	global_load_u8 v1, v[6:7], off
	s_wait_loadcnt 0x0
	v_lshlrev_b32_e32 v1, 24, v1
	s_delay_alu instid0(VALU_DEP_1) | instskip(NEXT) | instid1(VALU_DEP_1)
	v_and_b32_e32 v3, 0x7f000000, v1
	v_clz_i32_u32_e32 v5, v3
	v_add_nc_u32_e32 v9, 0x1000000, v3
	v_cmp_ne_u32_e32 vcc_lo, 0, v3
	s_delay_alu instid0(VALU_DEP_3) | instskip(NEXT) | instid1(VALU_DEP_1)
	v_min_u32_e32 v5, 32, v5
	v_sub_nc_u32_e64 v5, v5, 4 clamp
	s_delay_alu instid0(VALU_DEP_1) | instskip(NEXT) | instid1(VALU_DEP_1)
	v_dual_lshlrev_b32 v8, v5, v3 :: v_dual_lshlrev_b32 v5, 23, v5
	v_lshrrev_b32_e32 v8, 4, v8
	s_delay_alu instid0(VALU_DEP_1) | instskip(SKIP_1) | instid1(VALU_DEP_2)
	v_sub_nc_u32_e32 v5, v8, v5
	v_ashrrev_i32_e32 v8, 8, v9
	v_add_nc_u32_e32 v5, 0x3c000000, v5
	s_delay_alu instid0(VALU_DEP_1) | instskip(NEXT) | instid1(VALU_DEP_1)
	v_and_or_b32 v5, 0x7f800000, v8, v5
	v_cndmask_b32_e32 v3, 0, v5, vcc_lo
	s_delay_alu instid0(VALU_DEP_1) | instskip(SKIP_1) | instid1(VALU_DEP_2)
	v_and_or_b32 v1, 0x80000000, v1, v3
	v_bfe_u32 v3, v3, 16, 1
	v_cmp_o_f32_e32 vcc_lo, v1, v1
	s_delay_alu instid0(VALU_DEP_2) | instskip(NEXT) | instid1(VALU_DEP_1)
	v_add3_u32 v3, v1, v3, 0x7fff
	v_lshrrev_b32_e32 v3, 16, v3
	s_delay_alu instid0(VALU_DEP_1)
	v_cndmask_b32_e32 v1, 0x7fc0, v3, vcc_lo
.LBB167_904:
	s_mov_b32 s48, 0
.LBB167_905:
	s_delay_alu instid0(SALU_CYCLE_1)
	s_and_not1_b32 vcc_lo, exec_lo, s48
	s_cbranch_vccnz .LBB167_907
; %bb.906:
	global_load_u8 v1, v[6:7], off
	s_wait_loadcnt 0x0
	v_lshlrev_b32_e32 v3, 25, v1
	v_lshlrev_b16 v1, 8, v1
	s_delay_alu instid0(VALU_DEP_1) | instskip(SKIP_1) | instid1(VALU_DEP_2)
	v_and_or_b32 v8, 0x7f00, v1, 0.5
	v_bfe_i32 v1, v1, 0, 16
	v_dual_add_f32 v8, -0.5, v8 :: v_dual_lshrrev_b32 v5, 4, v3
	v_cmp_gt_u32_e32 vcc_lo, 0x8000000, v3
	s_delay_alu instid0(VALU_DEP_2) | instskip(NEXT) | instid1(VALU_DEP_1)
	v_or_b32_e32 v5, 0x70000000, v5
	v_mul_f32_e32 v5, 0x7800000, v5
	s_delay_alu instid0(VALU_DEP_1) | instskip(NEXT) | instid1(VALU_DEP_1)
	v_cndmask_b32_e32 v3, v5, v8, vcc_lo
	v_and_or_b32 v1, 0x80000000, v1, v3
	v_bfe_u32 v3, v3, 16, 1
	s_delay_alu instid0(VALU_DEP_2) | instskip(NEXT) | instid1(VALU_DEP_2)
	v_cmp_o_f32_e32 vcc_lo, v1, v1
	v_add3_u32 v3, v1, v3, 0x7fff
	s_delay_alu instid0(VALU_DEP_1) | instskip(NEXT) | instid1(VALU_DEP_1)
	v_lshrrev_b32_e32 v3, 16, v3
	v_cndmask_b32_e32 v1, 0x7fc0, v3, vcc_lo
.LBB167_907:
	s_mov_b32 s49, 0
	s_mov_b32 s48, -1
.LBB167_908:
	s_and_not1_b32 vcc_lo, exec_lo, s49
	s_cbranch_vccnz .LBB167_921
; %bb.909:
	s_cmp_gt_i32 s27, 14
	s_cbranch_scc0 .LBB167_912
; %bb.910:
	s_cmp_eq_u32 s27, 15
	s_cbranch_scc0 .LBB167_915
; %bb.911:
	global_load_u16 v1, v[6:7], off
	s_mov_b32 s48, -1
	s_mov_b32 s26, 0
	s_branch .LBB167_916
.LBB167_912:
	s_mov_b32 s49, -1
                                        ; implicit-def: $vgpr1
	s_branch .LBB167_917
.LBB167_913:
	s_or_saveexec_b32 s49, s49
	v_mov_b32_e32 v3, 0x7f800001
	s_xor_b32 exec_lo, exec_lo, s49
	s_cbranch_execz .LBB167_894
.LBB167_914:
	v_cmp_ne_u16_e32 vcc_lo, 0, v1
	v_mov_b32_e32 v3, 0
	s_and_not1_b32 s48, s48, exec_lo
	s_and_b32 s50, vcc_lo, exec_lo
	s_delay_alu instid0(SALU_CYCLE_1)
	s_or_b32 s48, s48, s50
	s_or_b32 exec_lo, exec_lo, s49
	s_and_saveexec_b32 s49, s48
	s_cbranch_execnz .LBB167_895
	s_branch .LBB167_896
.LBB167_915:
	s_mov_b32 s26, -1
                                        ; implicit-def: $vgpr1
.LBB167_916:
	s_mov_b32 s49, 0
.LBB167_917:
	s_delay_alu instid0(SALU_CYCLE_1)
	s_and_b32 vcc_lo, exec_lo, s49
	s_cbranch_vccz .LBB167_921
; %bb.918:
	s_cmp_eq_u32 s27, 11
	s_cbranch_scc0 .LBB167_920
; %bb.919:
	s_wait_loadcnt 0x0
	global_load_u8 v1, v[6:7], off
	s_mov_b32 s26, 0
	s_mov_b32 s48, -1
	v_mov_b32_e32 v3, 0
	s_wait_loadcnt 0x0
	v_cmp_ne_u16_e32 vcc_lo, 0, v1
	v_cndmask_b32_e64 v1, 0, 1.0, vcc_lo
	s_delay_alu instid0(VALU_DEP_1)
	v_lshrrev_b32_e32 v1, 16, v1
	s_branch .LBB167_922
.LBB167_920:
	s_mov_b32 s26, -1
                                        ; implicit-def: $vgpr1
.LBB167_921:
	v_mov_b32_e32 v3, 0
.LBB167_922:
	s_mov_b32 s27, 0
.LBB167_923:
	s_delay_alu instid0(SALU_CYCLE_1)
	s_and_b32 vcc_lo, exec_lo, s27
	s_cbranch_vccz .LBB167_974
; %bb.924:
	s_and_b32 s0, 0xffff, s0
	s_delay_alu instid0(SALU_CYCLE_1)
	s_cmp_lt_i32 s0, 5
	s_cbranch_scc1 .LBB167_929
; %bb.925:
	s_cmp_lt_i32 s0, 8
	s_cbranch_scc1 .LBB167_930
; %bb.926:
	;; [unrolled: 3-line block ×3, first 2 shown]
	s_cmp_gt_i32 s0, 9
	s_cbranch_scc0 .LBB167_932
; %bb.928:
	global_load_b128 v[8:11], v[6:7], off
	s_mov_b32 s27, 0
	s_wait_loadcnt 0x0
	v_cvt_f32_f64_e32 v1, v[8:9]
	v_cvt_f32_f64_e32 v3, v[10:11]
	s_delay_alu instid0(VALU_DEP_2) | instskip(NEXT) | instid1(VALU_DEP_2)
	v_bfe_u32 v5, v1, 16, 1
	v_bfe_u32 v8, v3, 16, 1
	v_cmp_o_f32_e32 vcc_lo, v1, v1
	s_delay_alu instid0(VALU_DEP_3) | instskip(NEXT) | instid1(VALU_DEP_3)
	v_add3_u32 v5, v1, v5, 0x7fff
	v_add3_u32 v8, v3, v8, 0x7fff
	s_delay_alu instid0(VALU_DEP_2) | instskip(NEXT) | instid1(VALU_DEP_2)
	v_lshrrev_b32_e32 v5, 16, v5
	v_and_b32_e32 v8, 0xffff0000, v8
	s_delay_alu instid0(VALU_DEP_2) | instskip(SKIP_1) | instid1(VALU_DEP_3)
	v_cndmask_b32_e32 v1, 0x7fc0, v5, vcc_lo
	v_cmp_o_f32_e32 vcc_lo, v3, v3
	v_cndmask_b32_e32 v3, 0x7fc00000, v8, vcc_lo
	s_branch .LBB167_933
.LBB167_929:
	s_mov_b32 s27, -1
                                        ; implicit-def: $vgpr3
                                        ; implicit-def: $vgpr1
	s_branch .LBB167_952
.LBB167_930:
	s_mov_b32 s27, -1
                                        ; implicit-def: $vgpr3
                                        ; implicit-def: $vgpr1
	s_branch .LBB167_939
.LBB167_931:
	s_mov_b32 s27, -1
                                        ; implicit-def: $vgpr3
                                        ; implicit-def: $vgpr1
	s_branch .LBB167_936
.LBB167_932:
	s_mov_b32 s27, -1
                                        ; implicit-def: $vgpr3
                                        ; implicit-def: $vgpr1
.LBB167_933:
	s_delay_alu instid0(SALU_CYCLE_1)
	s_and_not1_b32 vcc_lo, exec_lo, s27
	s_cbranch_vccnz .LBB167_935
; %bb.934:
	global_load_b64 v[8:9], v[6:7], off
	s_wait_loadcnt 0x0
	v_bfe_u32 v1, v8, 16, 1
	v_bfe_u32 v3, v9, 16, 1
	v_cmp_o_f32_e32 vcc_lo, v8, v8
	s_delay_alu instid0(VALU_DEP_3) | instskip(NEXT) | instid1(VALU_DEP_3)
	v_add3_u32 v1, v8, v1, 0x7fff
	v_add3_u32 v3, v9, v3, 0x7fff
	s_delay_alu instid0(VALU_DEP_2) | instskip(NEXT) | instid1(VALU_DEP_2)
	v_lshrrev_b32_e32 v1, 16, v1
	v_and_b32_e32 v3, 0xffff0000, v3
	s_delay_alu instid0(VALU_DEP_2) | instskip(SKIP_1) | instid1(VALU_DEP_3)
	v_cndmask_b32_e32 v1, 0x7fc0, v1, vcc_lo
	v_cmp_o_f32_e32 vcc_lo, v9, v9
	v_cndmask_b32_e32 v3, 0x7fc00000, v3, vcc_lo
.LBB167_935:
	s_mov_b32 s27, 0
.LBB167_936:
	s_delay_alu instid0(SALU_CYCLE_1)
	s_and_not1_b32 vcc_lo, exec_lo, s27
	s_cbranch_vccnz .LBB167_938
; %bb.937:
	s_wait_loadcnt 0x0
	global_load_b32 v1, v[6:7], off
	s_wait_loadcnt 0x0
	v_lshrrev_b32_e32 v3, 16, v1
	v_cvt_f32_f16_e32 v5, v1
	v_cmp_o_f16_e32 vcc_lo, v1, v1
	s_delay_alu instid0(VALU_DEP_3) | instskip(NEXT) | instid1(VALU_DEP_3)
	v_cvt_f32_f16_e32 v8, v3
	v_bfe_u32 v9, v5, 16, 1
	s_delay_alu instid0(VALU_DEP_2) | instskip(NEXT) | instid1(VALU_DEP_2)
	v_bfe_u32 v10, v8, 16, 1
	v_add3_u32 v5, v5, v9, 0x7fff
	s_delay_alu instid0(VALU_DEP_2) | instskip(NEXT) | instid1(VALU_DEP_2)
	v_add3_u32 v8, v8, v10, 0x7fff
	v_lshrrev_b32_e32 v5, 16, v5
	s_delay_alu instid0(VALU_DEP_2) | instskip(NEXT) | instid1(VALU_DEP_2)
	v_and_b32_e32 v8, 0xffff0000, v8
	v_cndmask_b32_e32 v1, 0x7fc0, v5, vcc_lo
	v_cmp_o_f16_e32 vcc_lo, v3, v3
	s_delay_alu instid0(VALU_DEP_3)
	v_cndmask_b32_e32 v3, 0x7fc00000, v8, vcc_lo
.LBB167_938:
	s_mov_b32 s27, 0
.LBB167_939:
	s_delay_alu instid0(SALU_CYCLE_1)
	s_and_not1_b32 vcc_lo, exec_lo, s27
	s_cbranch_vccnz .LBB167_951
; %bb.940:
	s_cmp_lt_i32 s0, 6
	s_cbranch_scc1 .LBB167_943
; %bb.941:
	s_cmp_gt_i32 s0, 6
	s_cbranch_scc0 .LBB167_944
; %bb.942:
	global_load_b64 v[8:9], v[6:7], off
	s_mov_b32 s27, 0
	s_wait_loadcnt 0x0
	v_cvt_f32_f64_e32 v1, v[8:9]
	s_delay_alu instid0(VALU_DEP_1) | instskip(SKIP_1) | instid1(VALU_DEP_2)
	v_bfe_u32 v3, v1, 16, 1
	v_cmp_o_f32_e32 vcc_lo, v1, v1
	v_add3_u32 v3, v1, v3, 0x7fff
	s_delay_alu instid0(VALU_DEP_1) | instskip(NEXT) | instid1(VALU_DEP_1)
	v_lshrrev_b32_e32 v3, 16, v3
	v_cndmask_b32_e32 v1, 0x7fc0, v3, vcc_lo
	s_branch .LBB167_945
.LBB167_943:
	s_mov_b32 s27, -1
                                        ; implicit-def: $vgpr1
	s_branch .LBB167_948
.LBB167_944:
	s_mov_b32 s27, -1
                                        ; implicit-def: $vgpr1
.LBB167_945:
	s_delay_alu instid0(SALU_CYCLE_1)
	s_and_not1_b32 vcc_lo, exec_lo, s27
	s_cbranch_vccnz .LBB167_947
; %bb.946:
	s_wait_loadcnt 0x0
	global_load_b32 v1, v[6:7], off
	s_wait_loadcnt 0x0
	v_bfe_u32 v3, v1, 16, 1
	v_cmp_o_f32_e32 vcc_lo, v1, v1
	s_delay_alu instid0(VALU_DEP_2) | instskip(NEXT) | instid1(VALU_DEP_1)
	v_add3_u32 v3, v1, v3, 0x7fff
	v_lshrrev_b32_e32 v3, 16, v3
	s_delay_alu instid0(VALU_DEP_1)
	v_cndmask_b32_e32 v1, 0x7fc0, v3, vcc_lo
.LBB167_947:
	s_mov_b32 s27, 0
.LBB167_948:
	s_delay_alu instid0(SALU_CYCLE_1)
	s_and_not1_b32 vcc_lo, exec_lo, s27
	s_cbranch_vccnz .LBB167_950
; %bb.949:
	s_wait_loadcnt 0x0
	global_load_u16 v1, v[6:7], off
	s_wait_loadcnt 0x0
	v_cvt_f32_f16_e32 v3, v1
	v_cmp_o_f16_e32 vcc_lo, v1, v1
	s_delay_alu instid0(VALU_DEP_2) | instskip(NEXT) | instid1(VALU_DEP_1)
	v_bfe_u32 v5, v3, 16, 1
	v_add3_u32 v3, v3, v5, 0x7fff
	s_delay_alu instid0(VALU_DEP_1) | instskip(NEXT) | instid1(VALU_DEP_1)
	v_lshrrev_b32_e32 v3, 16, v3
	v_cndmask_b32_e32 v1, 0x7fc0, v3, vcc_lo
.LBB167_950:
	v_mov_b32_e32 v3, 0
.LBB167_951:
	s_mov_b32 s27, 0
.LBB167_952:
	s_delay_alu instid0(SALU_CYCLE_1)
	s_and_not1_b32 vcc_lo, exec_lo, s27
	s_cbranch_vccnz .LBB167_973
; %bb.953:
	s_cmp_lt_i32 s0, 2
	s_cbranch_scc1 .LBB167_957
; %bb.954:
	s_cmp_lt_i32 s0, 3
	s_cbranch_scc1 .LBB167_958
; %bb.955:
	s_cmp_gt_i32 s0, 3
	s_cbranch_scc0 .LBB167_959
; %bb.956:
	global_load_b64 v[8:9], v[6:7], off
	s_mov_b32 s27, 0
	s_wait_loadcnt 0x0
	v_xor_b32_e32 v1, v8, v9
	v_cls_i32_e32 v3, v9
	s_delay_alu instid0(VALU_DEP_2) | instskip(NEXT) | instid1(VALU_DEP_1)
	v_ashrrev_i32_e32 v1, 31, v1
	v_add_nc_u32_e32 v1, 32, v1
	s_delay_alu instid0(VALU_DEP_1) | instskip(NEXT) | instid1(VALU_DEP_1)
	v_add_min_u32_e64 v1, v3, -1, v1
	v_lshlrev_b64_e32 v[8:9], v1, v[8:9]
	v_sub_nc_u32_e32 v1, 32, v1
	s_delay_alu instid0(VALU_DEP_2) | instskip(NEXT) | instid1(VALU_DEP_1)
	v_min_u32_e32 v3, 1, v8
	v_or_b32_e32 v3, v9, v3
	s_delay_alu instid0(VALU_DEP_1) | instskip(NEXT) | instid1(VALU_DEP_1)
	v_cvt_f32_i32_e32 v3, v3
	v_ldexp_f32 v1, v3, v1
	s_delay_alu instid0(VALU_DEP_1) | instskip(NEXT) | instid1(VALU_DEP_1)
	v_bfe_u32 v3, v1, 16, 1
	v_add3_u32 v1, v1, v3, 0x7fff
	s_delay_alu instid0(VALU_DEP_1)
	v_lshrrev_b32_e32 v1, 16, v1
	s_branch .LBB167_960
.LBB167_957:
	s_mov_b32 s27, -1
                                        ; implicit-def: $vgpr1
	s_branch .LBB167_966
.LBB167_958:
	s_mov_b32 s27, -1
                                        ; implicit-def: $vgpr1
	s_branch .LBB167_963
.LBB167_959:
	s_mov_b32 s27, -1
                                        ; implicit-def: $vgpr1
.LBB167_960:
	s_delay_alu instid0(SALU_CYCLE_1)
	s_and_not1_b32 vcc_lo, exec_lo, s27
	s_cbranch_vccnz .LBB167_962
; %bb.961:
	s_wait_loadcnt 0x0
	global_load_b32 v1, v[6:7], off
	s_wait_loadcnt 0x0
	v_cvt_f32_i32_e32 v1, v1
	s_delay_alu instid0(VALU_DEP_1) | instskip(NEXT) | instid1(VALU_DEP_1)
	v_bfe_u32 v3, v1, 16, 1
	v_add3_u32 v1, v1, v3, 0x7fff
	s_delay_alu instid0(VALU_DEP_1)
	v_lshrrev_b32_e32 v1, 16, v1
.LBB167_962:
	s_mov_b32 s27, 0
.LBB167_963:
	s_delay_alu instid0(SALU_CYCLE_1)
	s_and_not1_b32 vcc_lo, exec_lo, s27
	s_cbranch_vccnz .LBB167_965
; %bb.964:
	s_wait_loadcnt 0x0
	global_load_i16 v1, v[6:7], off
	s_wait_loadcnt 0x0
	v_cvt_f32_i32_e32 v1, v1
	s_delay_alu instid0(VALU_DEP_1) | instskip(NEXT) | instid1(VALU_DEP_1)
	v_bfe_u32 v3, v1, 16, 1
	v_add3_u32 v1, v1, v3, 0x7fff
	s_delay_alu instid0(VALU_DEP_1)
	v_lshrrev_b32_e32 v1, 16, v1
.LBB167_965:
	s_mov_b32 s27, 0
.LBB167_966:
	s_delay_alu instid0(SALU_CYCLE_1)
	s_and_not1_b32 vcc_lo, exec_lo, s27
	s_cbranch_vccnz .LBB167_972
; %bb.967:
	s_cmp_gt_i32 s0, 0
	s_mov_b32 s0, 0
	s_cbranch_scc0 .LBB167_969
; %bb.968:
	s_wait_loadcnt 0x0
	global_load_i8 v1, v[6:7], off
	s_wait_loadcnt 0x0
	v_cvt_f32_i32_e32 v1, v1
	s_delay_alu instid0(VALU_DEP_1) | instskip(NEXT) | instid1(VALU_DEP_1)
	v_bfe_u32 v3, v1, 16, 1
	v_add3_u32 v1, v1, v3, 0x7fff
	s_delay_alu instid0(VALU_DEP_1)
	v_lshrrev_b32_e32 v1, 16, v1
	s_branch .LBB167_970
.LBB167_969:
	s_mov_b32 s0, -1
                                        ; implicit-def: $vgpr1
.LBB167_970:
	s_delay_alu instid0(SALU_CYCLE_1)
	s_and_not1_b32 vcc_lo, exec_lo, s0
	s_cbranch_vccnz .LBB167_972
; %bb.971:
	s_wait_loadcnt 0x0
	global_load_u8 v1, v[6:7], off
	s_wait_loadcnt 0x0
	v_cvt_f32_ubyte0_e32 v1, v1
	s_delay_alu instid0(VALU_DEP_1) | instskip(NEXT) | instid1(VALU_DEP_1)
	v_bfe_u32 v3, v1, 16, 1
	v_add3_u32 v1, v1, v3, 0x7fff
	s_delay_alu instid0(VALU_DEP_1)
	v_lshrrev_b32_e32 v1, 16, v1
.LBB167_972:
	v_mov_b32_e32 v3, 0
.LBB167_973:
	s_mov_b32 s48, -1
.LBB167_974:
	s_delay_alu instid0(SALU_CYCLE_1)
	s_and_not1_b32 vcc_lo, exec_lo, s48
	s_cbranch_vccnz .LBB167_982
; %bb.975:
	v_mov_b32_e32 v5, 0
	s_and_b32 s0, s13, 0xff
	s_delay_alu instid0(SALU_CYCLE_1) | instskip(NEXT) | instid1(VALU_DEP_1)
	s_cmp_lt_i32 s0, 11
	v_add_nc_u64_e32 v[4:5], s[8:9], v[4:5]
	s_cbranch_scc1 .LBB167_983
; %bb.976:
	s_and_b32 s48, 0xffff, s0
	s_delay_alu instid0(SALU_CYCLE_1)
	s_cmp_gt_i32 s48, 25
	s_cbranch_scc0 .LBB167_984
; %bb.977:
	s_cmp_gt_i32 s48, 28
	s_cbranch_scc0 .LBB167_985
; %bb.978:
	;; [unrolled: 3-line block ×4, first 2 shown]
	s_cmp_eq_u32 s48, 46
	s_mov_b32 s50, 0
	s_cbranch_scc0 .LBB167_990
; %bb.981:
	global_load_b32 v6, v[4:5], off
	s_mov_b32 s49, -1
	s_mov_b32 s27, 0
	s_wait_loadcnt 0x0
	v_and_b32_e32 v7, 0xffff0000, v6
	s_branch .LBB167_992
.LBB167_982:
	s_mov_b32 s51, 0
	s_mov_b32 s0, s44
	;; [unrolled: 1-line block ×3, first 2 shown]
	s_branch .LBB167_1241
.LBB167_983:
	s_mov_b32 s48, -1
	s_mov_b32 s49, 0
	s_mov_b32 s27, s45
                                        ; implicit-def: $vgpr7
                                        ; implicit-def: $vgpr6
	s_branch .LBB167_1060
.LBB167_984:
	s_mov_b32 s50, -1
	s_mov_b32 s49, 0
	s_mov_b32 s27, s45
                                        ; implicit-def: $vgpr7
                                        ; implicit-def: $vgpr6
	s_branch .LBB167_1023
.LBB167_985:
	s_mov_b32 s50, -1
	s_mov_b32 s49, 0
	s_mov_b32 s27, s45
                                        ; implicit-def: $vgpr7
                                        ; implicit-def: $vgpr6
	s_branch .LBB167_1004
.LBB167_986:
	s_mov_b32 s50, -1
	s_mov_b32 s49, 0
	s_mov_b32 s27, s45
                                        ; implicit-def: $vgpr7
                                        ; implicit-def: $vgpr6
	s_branch .LBB167_998
.LBB167_987:
	s_mov_b32 s50, -1
	s_mov_b32 s49, 0
	s_mov_b32 s27, s45
	s_branch .LBB167_991
.LBB167_988:
	s_and_not1_saveexec_b32 s49, s49
	s_cbranch_execz .LBB167_746
.LBB167_989:
	v_add_f32_e32 v1, 0x42800000, v4
	s_and_not1_b32 s48, s48, exec_lo
	s_delay_alu instid0(VALU_DEP_1) | instskip(NEXT) | instid1(VALU_DEP_1)
	v_and_b32_e32 v1, 0xff, v1
	v_cmp_ne_u32_e32 vcc_lo, 0, v1
	s_and_b32 s50, vcc_lo, exec_lo
	s_delay_alu instid0(SALU_CYCLE_1)
	s_or_b32 s48, s48, s50
	s_or_b32 exec_lo, exec_lo, s49
	v_mov_b32_e32 v5, 0
	s_and_saveexec_b32 s49, s48
	s_cbranch_execnz .LBB167_747
	s_branch .LBB167_748
.LBB167_990:
	s_mov_b32 s27, -1
	s_mov_b32 s49, 0
.LBB167_991:
                                        ; implicit-def: $vgpr7
                                        ; implicit-def: $vgpr6
.LBB167_992:
	s_and_b32 vcc_lo, exec_lo, s50
	s_cbranch_vccz .LBB167_997
; %bb.993:
	s_cmp_eq_u32 s48, 44
	s_cbranch_scc0 .LBB167_995
; %bb.994:
	global_load_u8 v6, v[4:5], off
	s_mov_b32 s27, 0
	s_mov_b32 s49, -1
	s_wait_loadcnt 0x0
	v_lshlrev_b32_e32 v7, 23, v6
	v_cmp_ne_u32_e32 vcc_lo, 0xff, v6
	s_delay_alu instid0(VALU_DEP_2) | instskip(SKIP_1) | instid1(VALU_DEP_2)
	v_cndmask_b32_e32 v7, 0x7f800001, v7, vcc_lo
	v_cmp_ne_u32_e32 vcc_lo, 0, v6
	v_cndmask_b32_e32 v6, 0x400000, v7, vcc_lo
	s_delay_alu instid0(VALU_DEP_1) | instskip(NEXT) | instid1(VALU_DEP_1)
	v_add_nc_u32_e32 v7, 0x7fff, v6
	v_lshrrev_b32_e32 v7, 16, v7
	v_cmp_o_f32_e32 vcc_lo, v6, v6
	s_delay_alu instid0(VALU_DEP_2)
	v_cndmask_b32_e32 v6, 0x7fc0, v7, vcc_lo
	s_branch .LBB167_996
.LBB167_995:
	s_mov_b32 s27, -1
                                        ; implicit-def: $vgpr6
.LBB167_996:
	s_wait_xcnt 0x0
	v_mov_b32_e32 v7, 0
.LBB167_997:
	s_mov_b32 s50, 0
.LBB167_998:
	s_delay_alu instid0(SALU_CYCLE_1)
	s_and_b32 vcc_lo, exec_lo, s50
	s_cbranch_vccz .LBB167_1003
; %bb.999:
	s_cmp_eq_u32 s48, 29
	s_cbranch_scc0 .LBB167_1001
; %bb.1000:
	global_load_b64 v[6:7], v[4:5], off
	s_mov_b32 s49, -1
	s_mov_b32 s27, 0
	s_wait_loadcnt 0x0
	v_clz_i32_u32_e32 v8, v7
	s_delay_alu instid0(VALU_DEP_1) | instskip(NEXT) | instid1(VALU_DEP_1)
	v_min_u32_e32 v8, 32, v8
	v_lshlrev_b64_e32 v[6:7], v8, v[6:7]
	s_delay_alu instid0(VALU_DEP_1) | instskip(NEXT) | instid1(VALU_DEP_1)
	v_min_u32_e32 v6, 1, v6
	v_dual_sub_nc_u32 v7, 32, v8 :: v_dual_bitop2_b32 v6, v7, v6 bitop3:0x54
	s_delay_alu instid0(VALU_DEP_1) | instskip(NEXT) | instid1(VALU_DEP_1)
	v_cvt_f32_u32_e32 v6, v6
	v_ldexp_f32 v6, v6, v7
	s_delay_alu instid0(VALU_DEP_1) | instskip(NEXT) | instid1(VALU_DEP_1)
	v_bfe_u32 v7, v6, 16, 1
	v_add3_u32 v6, v6, v7, 0x7fff
	s_delay_alu instid0(VALU_DEP_1)
	v_lshrrev_b32_e32 v6, 16, v6
	s_branch .LBB167_1002
.LBB167_1001:
	s_mov_b32 s27, -1
                                        ; implicit-def: $vgpr6
.LBB167_1002:
	s_wait_xcnt 0x0
	v_mov_b32_e32 v7, 0
.LBB167_1003:
	s_mov_b32 s50, 0
.LBB167_1004:
	s_delay_alu instid0(SALU_CYCLE_1)
	s_and_b32 vcc_lo, exec_lo, s50
	s_cbranch_vccz .LBB167_1022
; %bb.1005:
	s_cmp_lt_i32 s48, 27
	s_cbranch_scc1 .LBB167_1008
; %bb.1006:
	s_cmp_gt_i32 s48, 27
	s_cbranch_scc0 .LBB167_1009
; %bb.1007:
	global_load_b32 v6, v[4:5], off
	s_mov_b32 s49, 0
	s_wait_loadcnt 0x0
	v_cvt_f32_u32_e32 v6, v6
	s_delay_alu instid0(VALU_DEP_1) | instskip(NEXT) | instid1(VALU_DEP_1)
	v_bfe_u32 v7, v6, 16, 1
	v_add3_u32 v6, v6, v7, 0x7fff
	s_delay_alu instid0(VALU_DEP_1)
	v_lshrrev_b32_e32 v6, 16, v6
	s_branch .LBB167_1010
.LBB167_1008:
	s_mov_b32 s49, -1
                                        ; implicit-def: $vgpr6
	s_branch .LBB167_1013
.LBB167_1009:
	s_mov_b32 s49, -1
                                        ; implicit-def: $vgpr6
.LBB167_1010:
	s_delay_alu instid0(SALU_CYCLE_1)
	s_and_not1_b32 vcc_lo, exec_lo, s49
	s_cbranch_vccnz .LBB167_1012
; %bb.1011:
	global_load_u16 v6, v[4:5], off
	s_wait_loadcnt 0x0
	v_cvt_f32_u32_e32 v6, v6
	s_delay_alu instid0(VALU_DEP_1) | instskip(NEXT) | instid1(VALU_DEP_1)
	v_bfe_u32 v7, v6, 16, 1
	v_add3_u32 v6, v6, v7, 0x7fff
	s_delay_alu instid0(VALU_DEP_1)
	v_lshrrev_b32_e32 v6, 16, v6
.LBB167_1012:
	s_mov_b32 s49, 0
.LBB167_1013:
	s_delay_alu instid0(SALU_CYCLE_1)
	s_and_not1_b32 vcc_lo, exec_lo, s49
	s_cbranch_vccnz .LBB167_1021
; %bb.1014:
	global_load_u8 v6, v[4:5], off
	s_mov_b32 s49, 0
	s_mov_b32 s50, exec_lo
	s_wait_loadcnt 0x0
	v_cmpx_lt_i16_e32 0x7f, v6
	s_xor_b32 s50, exec_lo, s50
	s_cbranch_execz .LBB167_1035
; %bb.1015:
	s_mov_b32 s49, -1
	s_mov_b32 s51, exec_lo
	v_cmpx_eq_u16_e32 0x80, v6
; %bb.1016:
	s_xor_b32 s49, exec_lo, -1
; %bb.1017:
	s_or_b32 exec_lo, exec_lo, s51
	s_delay_alu instid0(SALU_CYCLE_1)
	s_and_b32 s49, s49, exec_lo
	s_or_saveexec_b32 s50, s50
	v_mov_b32_e32 v7, 0x7f800001
	s_xor_b32 exec_lo, exec_lo, s50
	s_cbranch_execnz .LBB167_1036
.LBB167_1018:
	s_or_b32 exec_lo, exec_lo, s50
	s_and_saveexec_b32 s50, s49
	s_cbranch_execz .LBB167_1020
.LBB167_1019:
	v_and_b32_e32 v7, 0xffff, v6
	s_delay_alu instid0(VALU_DEP_1) | instskip(SKIP_1) | instid1(VALU_DEP_2)
	v_and_b32_e32 v8, 7, v7
	v_bfe_u32 v11, v7, 3, 4
	v_clz_i32_u32_e32 v9, v8
	s_delay_alu instid0(VALU_DEP_2) | instskip(NEXT) | instid1(VALU_DEP_2)
	v_cmp_eq_u32_e32 vcc_lo, 0, v11
	v_min_u32_e32 v9, 32, v9
	s_delay_alu instid0(VALU_DEP_1) | instskip(NEXT) | instid1(VALU_DEP_1)
	v_subrev_nc_u32_e32 v10, 28, v9
	v_dual_lshlrev_b32 v7, v10, v7 :: v_dual_sub_nc_u32 v9, 29, v9
	s_delay_alu instid0(VALU_DEP_1) | instskip(NEXT) | instid1(VALU_DEP_1)
	v_dual_lshlrev_b32 v6, 24, v6 :: v_dual_bitop2_b32 v7, 7, v7 bitop3:0x40
	v_dual_cndmask_b32 v9, v11, v9, vcc_lo :: v_dual_cndmask_b32 v7, v8, v7, vcc_lo
	s_delay_alu instid0(VALU_DEP_2) | instskip(NEXT) | instid1(VALU_DEP_2)
	v_and_b32_e32 v6, 0x80000000, v6
	v_lshl_add_u32 v8, v9, 23, 0x3b800000
	s_delay_alu instid0(VALU_DEP_3) | instskip(NEXT) | instid1(VALU_DEP_1)
	v_lshlrev_b32_e32 v7, 20, v7
	v_or3_b32 v7, v6, v8, v7
.LBB167_1020:
	s_or_b32 exec_lo, exec_lo, s50
	s_delay_alu instid0(VALU_DEP_1) | instskip(SKIP_1) | instid1(VALU_DEP_2)
	v_bfe_u32 v6, v7, 16, 1
	v_cmp_o_f32_e32 vcc_lo, v7, v7
	v_add3_u32 v6, v7, v6, 0x7fff
	s_delay_alu instid0(VALU_DEP_1) | instskip(NEXT) | instid1(VALU_DEP_1)
	v_lshrrev_b32_e32 v6, 16, v6
	v_cndmask_b32_e32 v6, 0x7fc0, v6, vcc_lo
.LBB167_1021:
	s_wait_xcnt 0x0
	v_mov_b32_e32 v7, 0
	s_mov_b32 s49, -1
.LBB167_1022:
	s_mov_b32 s50, 0
.LBB167_1023:
	s_delay_alu instid0(SALU_CYCLE_1)
	s_and_b32 vcc_lo, exec_lo, s50
	s_cbranch_vccz .LBB167_1059
; %bb.1024:
	s_cmp_gt_i32 s48, 22
	s_cbranch_scc0 .LBB167_1034
; %bb.1025:
	s_cmp_lt_i32 s48, 24
	s_cbranch_scc1 .LBB167_1037
; %bb.1026:
	s_cmp_gt_i32 s48, 24
	s_cbranch_scc0 .LBB167_1038
; %bb.1027:
	global_load_u8 v6, v[4:5], off
	s_mov_b32 s49, 0
	s_mov_b32 s50, exec_lo
	s_wait_loadcnt 0x0
	v_cmpx_lt_i16_e32 0x7f, v6
	s_xor_b32 s50, exec_lo, s50
	s_cbranch_execz .LBB167_1050
; %bb.1028:
	s_mov_b32 s49, -1
	s_mov_b32 s51, exec_lo
	v_cmpx_eq_u16_e32 0x80, v6
; %bb.1029:
	s_xor_b32 s49, exec_lo, -1
; %bb.1030:
	s_or_b32 exec_lo, exec_lo, s51
	s_delay_alu instid0(SALU_CYCLE_1)
	s_and_b32 s49, s49, exec_lo
	s_or_saveexec_b32 s50, s50
	v_mov_b32_e32 v7, 0x7f800001
	s_xor_b32 exec_lo, exec_lo, s50
	s_cbranch_execnz .LBB167_1051
.LBB167_1031:
	s_or_b32 exec_lo, exec_lo, s50
	s_and_saveexec_b32 s50, s49
	s_cbranch_execz .LBB167_1033
.LBB167_1032:
	v_and_b32_e32 v7, 0xffff, v6
	s_delay_alu instid0(VALU_DEP_1) | instskip(SKIP_1) | instid1(VALU_DEP_2)
	v_and_b32_e32 v8, 3, v7
	v_bfe_u32 v11, v7, 2, 5
	v_clz_i32_u32_e32 v9, v8
	s_delay_alu instid0(VALU_DEP_2) | instskip(NEXT) | instid1(VALU_DEP_2)
	v_cmp_eq_u32_e32 vcc_lo, 0, v11
	v_min_u32_e32 v9, 32, v9
	s_delay_alu instid0(VALU_DEP_1) | instskip(NEXT) | instid1(VALU_DEP_1)
	v_subrev_nc_u32_e32 v10, 29, v9
	v_dual_lshlrev_b32 v7, v10, v7 :: v_dual_sub_nc_u32 v9, 30, v9
	s_delay_alu instid0(VALU_DEP_1) | instskip(NEXT) | instid1(VALU_DEP_1)
	v_dual_lshlrev_b32 v6, 24, v6 :: v_dual_bitop2_b32 v7, 3, v7 bitop3:0x40
	v_dual_cndmask_b32 v9, v11, v9, vcc_lo :: v_dual_cndmask_b32 v7, v8, v7, vcc_lo
	s_delay_alu instid0(VALU_DEP_2) | instskip(NEXT) | instid1(VALU_DEP_2)
	v_and_b32_e32 v6, 0x80000000, v6
	v_lshl_add_u32 v8, v9, 23, 0x37800000
	s_delay_alu instid0(VALU_DEP_3) | instskip(NEXT) | instid1(VALU_DEP_1)
	v_lshlrev_b32_e32 v7, 21, v7
	v_or3_b32 v7, v6, v8, v7
.LBB167_1033:
	s_or_b32 exec_lo, exec_lo, s50
	s_delay_alu instid0(VALU_DEP_1) | instskip(SKIP_2) | instid1(VALU_DEP_2)
	v_bfe_u32 v6, v7, 16, 1
	v_cmp_o_f32_e32 vcc_lo, v7, v7
	s_mov_b32 s49, 0
	v_add3_u32 v6, v7, v6, 0x7fff
	s_delay_alu instid0(VALU_DEP_1) | instskip(NEXT) | instid1(VALU_DEP_1)
	v_lshrrev_b32_e32 v6, 16, v6
	v_cndmask_b32_e32 v6, 0x7fc0, v6, vcc_lo
	s_branch .LBB167_1039
.LBB167_1034:
	s_mov_b32 s50, -1
                                        ; implicit-def: $vgpr6
	s_branch .LBB167_1045
.LBB167_1035:
	s_or_saveexec_b32 s50, s50
	v_mov_b32_e32 v7, 0x7f800001
	s_xor_b32 exec_lo, exec_lo, s50
	s_cbranch_execz .LBB167_1018
.LBB167_1036:
	v_cmp_ne_u16_e32 vcc_lo, 0, v6
	v_mov_b32_e32 v7, 0
	s_and_not1_b32 s49, s49, exec_lo
	s_and_b32 s51, vcc_lo, exec_lo
	s_delay_alu instid0(SALU_CYCLE_1)
	s_or_b32 s49, s49, s51
	s_or_b32 exec_lo, exec_lo, s50
	s_and_saveexec_b32 s50, s49
	s_cbranch_execnz .LBB167_1019
	s_branch .LBB167_1020
.LBB167_1037:
	s_mov_b32 s49, -1
                                        ; implicit-def: $vgpr6
	s_branch .LBB167_1042
.LBB167_1038:
	s_mov_b32 s49, -1
                                        ; implicit-def: $vgpr6
.LBB167_1039:
	s_delay_alu instid0(SALU_CYCLE_1)
	s_and_b32 vcc_lo, exec_lo, s49
	s_cbranch_vccz .LBB167_1041
; %bb.1040:
	global_load_u8 v6, v[4:5], off
	s_wait_loadcnt 0x0
	v_lshlrev_b32_e32 v6, 24, v6
	s_delay_alu instid0(VALU_DEP_1) | instskip(NEXT) | instid1(VALU_DEP_1)
	v_and_b32_e32 v7, 0x7f000000, v6
	v_clz_i32_u32_e32 v8, v7
	v_cmp_ne_u32_e32 vcc_lo, 0, v7
	v_add_nc_u32_e32 v10, 0x1000000, v7
	s_delay_alu instid0(VALU_DEP_3) | instskip(NEXT) | instid1(VALU_DEP_1)
	v_min_u32_e32 v8, 32, v8
	v_sub_nc_u32_e64 v8, v8, 4 clamp
	s_delay_alu instid0(VALU_DEP_1) | instskip(NEXT) | instid1(VALU_DEP_1)
	v_dual_lshlrev_b32 v9, v8, v7 :: v_dual_lshlrev_b32 v8, 23, v8
	v_lshrrev_b32_e32 v9, 4, v9
	s_delay_alu instid0(VALU_DEP_1) | instskip(NEXT) | instid1(VALU_DEP_1)
	v_dual_sub_nc_u32 v8, v9, v8 :: v_dual_ashrrev_i32 v9, 8, v10
	v_add_nc_u32_e32 v8, 0x3c000000, v8
	s_delay_alu instid0(VALU_DEP_1) | instskip(NEXT) | instid1(VALU_DEP_1)
	v_and_or_b32 v8, 0x7f800000, v9, v8
	v_cndmask_b32_e32 v7, 0, v8, vcc_lo
	s_delay_alu instid0(VALU_DEP_1) | instskip(SKIP_1) | instid1(VALU_DEP_2)
	v_and_or_b32 v6, 0x80000000, v6, v7
	v_bfe_u32 v7, v7, 16, 1
	v_cmp_o_f32_e32 vcc_lo, v6, v6
	s_delay_alu instid0(VALU_DEP_2) | instskip(NEXT) | instid1(VALU_DEP_1)
	v_add3_u32 v7, v6, v7, 0x7fff
	v_lshrrev_b32_e32 v7, 16, v7
	s_delay_alu instid0(VALU_DEP_1)
	v_cndmask_b32_e32 v6, 0x7fc0, v7, vcc_lo
.LBB167_1041:
	s_mov_b32 s49, 0
.LBB167_1042:
	s_delay_alu instid0(SALU_CYCLE_1)
	s_and_not1_b32 vcc_lo, exec_lo, s49
	s_cbranch_vccnz .LBB167_1044
; %bb.1043:
	global_load_u8 v6, v[4:5], off
	s_wait_loadcnt 0x0
	v_lshlrev_b32_e32 v7, 25, v6
	v_lshlrev_b16 v6, 8, v6
	s_delay_alu instid0(VALU_DEP_1) | instskip(SKIP_1) | instid1(VALU_DEP_2)
	v_and_or_b32 v9, 0x7f00, v6, 0.5
	v_bfe_i32 v6, v6, 0, 16
	v_dual_add_f32 v9, -0.5, v9 :: v_dual_lshrrev_b32 v8, 4, v7
	v_cmp_gt_u32_e32 vcc_lo, 0x8000000, v7
	s_delay_alu instid0(VALU_DEP_2) | instskip(NEXT) | instid1(VALU_DEP_1)
	v_or_b32_e32 v8, 0x70000000, v8
	v_mul_f32_e32 v8, 0x7800000, v8
	s_delay_alu instid0(VALU_DEP_1) | instskip(NEXT) | instid1(VALU_DEP_1)
	v_cndmask_b32_e32 v7, v8, v9, vcc_lo
	v_and_or_b32 v6, 0x80000000, v6, v7
	v_bfe_u32 v7, v7, 16, 1
	s_delay_alu instid0(VALU_DEP_2) | instskip(NEXT) | instid1(VALU_DEP_2)
	v_cmp_o_f32_e32 vcc_lo, v6, v6
	v_add3_u32 v7, v6, v7, 0x7fff
	s_delay_alu instid0(VALU_DEP_1) | instskip(NEXT) | instid1(VALU_DEP_1)
	v_lshrrev_b32_e32 v7, 16, v7
	v_cndmask_b32_e32 v6, 0x7fc0, v7, vcc_lo
.LBB167_1044:
	s_mov_b32 s50, 0
	s_mov_b32 s49, -1
.LBB167_1045:
	s_and_not1_b32 vcc_lo, exec_lo, s50
	s_cbranch_vccnz .LBB167_1058
; %bb.1046:
	s_cmp_gt_i32 s48, 14
	s_cbranch_scc0 .LBB167_1049
; %bb.1047:
	s_cmp_eq_u32 s48, 15
	s_cbranch_scc0 .LBB167_1052
; %bb.1048:
	global_load_u16 v6, v[4:5], off
	s_mov_b32 s49, -1
	s_mov_b32 s27, 0
	s_branch .LBB167_1053
.LBB167_1049:
	s_mov_b32 s50, -1
                                        ; implicit-def: $vgpr6
	s_branch .LBB167_1054
.LBB167_1050:
	s_or_saveexec_b32 s50, s50
	v_mov_b32_e32 v7, 0x7f800001
	s_xor_b32 exec_lo, exec_lo, s50
	s_cbranch_execz .LBB167_1031
.LBB167_1051:
	v_cmp_ne_u16_e32 vcc_lo, 0, v6
	v_mov_b32_e32 v7, 0
	s_and_not1_b32 s49, s49, exec_lo
	s_and_b32 s51, vcc_lo, exec_lo
	s_delay_alu instid0(SALU_CYCLE_1)
	s_or_b32 s49, s49, s51
	s_or_b32 exec_lo, exec_lo, s50
	s_and_saveexec_b32 s50, s49
	s_cbranch_execnz .LBB167_1032
	s_branch .LBB167_1033
.LBB167_1052:
	s_mov_b32 s27, -1
                                        ; implicit-def: $vgpr6
.LBB167_1053:
	s_mov_b32 s50, 0
.LBB167_1054:
	s_delay_alu instid0(SALU_CYCLE_1)
	s_and_b32 vcc_lo, exec_lo, s50
	s_cbranch_vccz .LBB167_1058
; %bb.1055:
	s_cmp_eq_u32 s48, 11
	s_cbranch_scc0 .LBB167_1057
; %bb.1056:
	s_wait_loadcnt 0x0
	global_load_u8 v6, v[4:5], off
	s_mov_b32 s27, 0
	s_mov_b32 s49, -1
	v_mov_b32_e32 v7, 0
	s_wait_loadcnt 0x0
	v_cmp_ne_u16_e32 vcc_lo, 0, v6
	v_cndmask_b32_e64 v6, 0, 1.0, vcc_lo
	s_delay_alu instid0(VALU_DEP_1)
	v_lshrrev_b32_e32 v6, 16, v6
	s_branch .LBB167_1059
.LBB167_1057:
	s_mov_b32 s27, -1
                                        ; implicit-def: $vgpr6
.LBB167_1058:
	s_wait_xcnt 0x0
	v_mov_b32_e32 v7, 0
.LBB167_1059:
	s_mov_b32 s48, 0
.LBB167_1060:
	s_delay_alu instid0(SALU_CYCLE_1)
	s_and_b32 vcc_lo, exec_lo, s48
	s_cbranch_vccz .LBB167_1111
; %bb.1061:
	s_and_b32 s0, 0xffff, s0
	s_delay_alu instid0(SALU_CYCLE_1)
	s_cmp_lt_i32 s0, 5
	s_cbranch_scc1 .LBB167_1066
; %bb.1062:
	s_cmp_lt_i32 s0, 8
	s_cbranch_scc1 .LBB167_1067
; %bb.1063:
	;; [unrolled: 3-line block ×3, first 2 shown]
	s_cmp_gt_i32 s0, 9
	s_cbranch_scc0 .LBB167_1069
; %bb.1065:
	s_wait_loadcnt 0x0
	global_load_b128 v[6:9], v[4:5], off
	s_mov_b32 s48, 0
	s_wait_loadcnt 0x0
	v_cvt_f32_f64_e32 v6, v[6:7]
	v_cvt_f32_f64_e32 v7, v[8:9]
	s_delay_alu instid0(VALU_DEP_2) | instskip(NEXT) | instid1(VALU_DEP_2)
	v_bfe_u32 v8, v6, 16, 1
	v_bfe_u32 v9, v7, 16, 1
	v_cmp_o_f32_e32 vcc_lo, v6, v6
	s_delay_alu instid0(VALU_DEP_3) | instskip(NEXT) | instid1(VALU_DEP_3)
	v_add3_u32 v8, v6, v8, 0x7fff
	v_add3_u32 v9, v7, v9, 0x7fff
	s_delay_alu instid0(VALU_DEP_1) | instskip(NEXT) | instid1(VALU_DEP_3)
	v_and_b32_e32 v9, 0xffff0000, v9
	v_lshrrev_b32_e32 v8, 16, v8
	s_delay_alu instid0(VALU_DEP_1) | instskip(SKIP_1) | instid1(VALU_DEP_4)
	v_cndmask_b32_e32 v6, 0x7fc0, v8, vcc_lo
	v_cmp_o_f32_e32 vcc_lo, v7, v7
	v_cndmask_b32_e32 v7, 0x7fc00000, v9, vcc_lo
	s_branch .LBB167_1070
.LBB167_1066:
	s_mov_b32 s48, -1
                                        ; implicit-def: $vgpr7
                                        ; implicit-def: $vgpr6
	s_branch .LBB167_1089
.LBB167_1067:
	s_mov_b32 s48, -1
                                        ; implicit-def: $vgpr7
                                        ; implicit-def: $vgpr6
	s_branch .LBB167_1076
.LBB167_1068:
	s_mov_b32 s48, -1
                                        ; implicit-def: $vgpr7
                                        ; implicit-def: $vgpr6
	s_branch .LBB167_1073
.LBB167_1069:
	s_mov_b32 s48, -1
                                        ; implicit-def: $vgpr7
                                        ; implicit-def: $vgpr6
.LBB167_1070:
	s_delay_alu instid0(SALU_CYCLE_1)
	s_and_not1_b32 vcc_lo, exec_lo, s48
	s_cbranch_vccnz .LBB167_1072
; %bb.1071:
	s_wait_loadcnt 0x0
	global_load_b64 v[6:7], v[4:5], off
	s_wait_loadcnt 0x0
	v_bfe_u32 v8, v6, 16, 1
	v_bfe_u32 v9, v7, 16, 1
	v_cmp_o_f32_e32 vcc_lo, v6, v6
	s_delay_alu instid0(VALU_DEP_3) | instskip(NEXT) | instid1(VALU_DEP_3)
	v_add3_u32 v8, v6, v8, 0x7fff
	v_add3_u32 v9, v7, v9, 0x7fff
	s_delay_alu instid0(VALU_DEP_1) | instskip(NEXT) | instid1(VALU_DEP_3)
	v_and_b32_e32 v9, 0xffff0000, v9
	v_lshrrev_b32_e32 v8, 16, v8
	s_delay_alu instid0(VALU_DEP_1) | instskip(SKIP_1) | instid1(VALU_DEP_4)
	v_cndmask_b32_e32 v6, 0x7fc0, v8, vcc_lo
	v_cmp_o_f32_e32 vcc_lo, v7, v7
	v_cndmask_b32_e32 v7, 0x7fc00000, v9, vcc_lo
.LBB167_1072:
	s_mov_b32 s48, 0
.LBB167_1073:
	s_delay_alu instid0(SALU_CYCLE_1)
	s_and_not1_b32 vcc_lo, exec_lo, s48
	s_cbranch_vccnz .LBB167_1075
; %bb.1074:
	s_wait_loadcnt 0x0
	global_load_b32 v6, v[4:5], off
	s_wait_loadcnt 0x0
	v_cvt_f32_f16_e32 v8, v6
	v_cmp_o_f16_e32 vcc_lo, v6, v6
	s_delay_alu instid0(VALU_DEP_2) | instskip(NEXT) | instid1(VALU_DEP_1)
	v_bfe_u32 v10, v8, 16, 1
	v_add3_u32 v8, v8, v10, 0x7fff
	s_delay_alu instid0(VALU_DEP_1) | instskip(NEXT) | instid1(VALU_DEP_1)
	v_dual_lshrrev_b32 v7, 16, v6 :: v_dual_lshrrev_b32 v8, 16, v8
	v_cvt_f32_f16_e32 v9, v7
	s_delay_alu instid0(VALU_DEP_2) | instskip(NEXT) | instid1(VALU_DEP_2)
	v_cndmask_b32_e32 v6, 0x7fc0, v8, vcc_lo
	v_bfe_u32 v11, v9, 16, 1
	v_cmp_o_f16_e32 vcc_lo, v7, v7
	s_delay_alu instid0(VALU_DEP_2) | instskip(NEXT) | instid1(VALU_DEP_1)
	v_add3_u32 v9, v9, v11, 0x7fff
	v_and_b32_e32 v9, 0xffff0000, v9
	s_delay_alu instid0(VALU_DEP_1)
	v_cndmask_b32_e32 v7, 0x7fc00000, v9, vcc_lo
.LBB167_1075:
	s_mov_b32 s48, 0
.LBB167_1076:
	s_delay_alu instid0(SALU_CYCLE_1)
	s_and_not1_b32 vcc_lo, exec_lo, s48
	s_cbranch_vccnz .LBB167_1088
; %bb.1077:
	s_cmp_lt_i32 s0, 6
	s_cbranch_scc1 .LBB167_1080
; %bb.1078:
	s_cmp_gt_i32 s0, 6
	s_cbranch_scc0 .LBB167_1081
; %bb.1079:
	s_wait_loadcnt 0x0
	global_load_b64 v[6:7], v[4:5], off
	s_mov_b32 s48, 0
	s_wait_loadcnt 0x0
	v_cvt_f32_f64_e32 v6, v[6:7]
	s_delay_alu instid0(VALU_DEP_1) | instskip(SKIP_1) | instid1(VALU_DEP_2)
	v_bfe_u32 v7, v6, 16, 1
	v_cmp_o_f32_e32 vcc_lo, v6, v6
	v_add3_u32 v7, v6, v7, 0x7fff
	s_delay_alu instid0(VALU_DEP_1) | instskip(NEXT) | instid1(VALU_DEP_1)
	v_lshrrev_b32_e32 v7, 16, v7
	v_cndmask_b32_e32 v6, 0x7fc0, v7, vcc_lo
	s_branch .LBB167_1082
.LBB167_1080:
	s_mov_b32 s48, -1
                                        ; implicit-def: $vgpr6
	s_branch .LBB167_1085
.LBB167_1081:
	s_mov_b32 s48, -1
                                        ; implicit-def: $vgpr6
.LBB167_1082:
	s_delay_alu instid0(SALU_CYCLE_1)
	s_and_not1_b32 vcc_lo, exec_lo, s48
	s_cbranch_vccnz .LBB167_1084
; %bb.1083:
	s_wait_loadcnt 0x0
	global_load_b32 v6, v[4:5], off
	s_wait_loadcnt 0x0
	v_bfe_u32 v7, v6, 16, 1
	v_cmp_o_f32_e32 vcc_lo, v6, v6
	s_delay_alu instid0(VALU_DEP_2) | instskip(NEXT) | instid1(VALU_DEP_1)
	v_add3_u32 v7, v6, v7, 0x7fff
	v_lshrrev_b32_e32 v7, 16, v7
	s_delay_alu instid0(VALU_DEP_1)
	v_cndmask_b32_e32 v6, 0x7fc0, v7, vcc_lo
.LBB167_1084:
	s_mov_b32 s48, 0
.LBB167_1085:
	s_delay_alu instid0(SALU_CYCLE_1)
	s_and_not1_b32 vcc_lo, exec_lo, s48
	s_cbranch_vccnz .LBB167_1087
; %bb.1086:
	s_wait_loadcnt 0x0
	global_load_u16 v6, v[4:5], off
	s_wait_loadcnt 0x0
	v_cvt_f32_f16_e32 v7, v6
	v_cmp_o_f16_e32 vcc_lo, v6, v6
	s_delay_alu instid0(VALU_DEP_2) | instskip(NEXT) | instid1(VALU_DEP_1)
	v_bfe_u32 v8, v7, 16, 1
	v_add3_u32 v7, v7, v8, 0x7fff
	s_delay_alu instid0(VALU_DEP_1) | instskip(NEXT) | instid1(VALU_DEP_1)
	v_lshrrev_b32_e32 v7, 16, v7
	v_cndmask_b32_e32 v6, 0x7fc0, v7, vcc_lo
.LBB167_1087:
	s_wait_xcnt 0x0
	v_mov_b32_e32 v7, 0
.LBB167_1088:
	s_mov_b32 s48, 0
.LBB167_1089:
	s_delay_alu instid0(SALU_CYCLE_1)
	s_and_not1_b32 vcc_lo, exec_lo, s48
	s_cbranch_vccnz .LBB167_1110
; %bb.1090:
	s_cmp_lt_i32 s0, 2
	s_cbranch_scc1 .LBB167_1094
; %bb.1091:
	s_cmp_lt_i32 s0, 3
	s_cbranch_scc1 .LBB167_1095
; %bb.1092:
	s_cmp_gt_i32 s0, 3
	s_cbranch_scc0 .LBB167_1096
; %bb.1093:
	s_wait_loadcnt 0x0
	global_load_b64 v[6:7], v[4:5], off
	s_mov_b32 s48, 0
	s_wait_loadcnt 0x0
	v_xor_b32_e32 v8, v6, v7
	v_cls_i32_e32 v9, v7
	s_delay_alu instid0(VALU_DEP_2) | instskip(NEXT) | instid1(VALU_DEP_1)
	v_ashrrev_i32_e32 v8, 31, v8
	v_add_nc_u32_e32 v8, 32, v8
	s_delay_alu instid0(VALU_DEP_1) | instskip(NEXT) | instid1(VALU_DEP_1)
	v_add_min_u32_e64 v8, v9, -1, v8
	v_lshlrev_b64_e32 v[6:7], v8, v[6:7]
	s_delay_alu instid0(VALU_DEP_1) | instskip(NEXT) | instid1(VALU_DEP_1)
	v_min_u32_e32 v6, 1, v6
	v_dual_sub_nc_u32 v7, 32, v8 :: v_dual_bitop2_b32 v6, v7, v6 bitop3:0x54
	s_delay_alu instid0(VALU_DEP_1) | instskip(NEXT) | instid1(VALU_DEP_1)
	v_cvt_f32_i32_e32 v6, v6
	v_ldexp_f32 v6, v6, v7
	s_delay_alu instid0(VALU_DEP_1) | instskip(NEXT) | instid1(VALU_DEP_1)
	v_bfe_u32 v7, v6, 16, 1
	v_add3_u32 v6, v6, v7, 0x7fff
	s_delay_alu instid0(VALU_DEP_1)
	v_lshrrev_b32_e32 v6, 16, v6
	s_branch .LBB167_1097
.LBB167_1094:
	s_mov_b32 s48, -1
                                        ; implicit-def: $vgpr6
	s_branch .LBB167_1103
.LBB167_1095:
	s_mov_b32 s48, -1
                                        ; implicit-def: $vgpr6
	s_branch .LBB167_1100
.LBB167_1096:
	s_mov_b32 s48, -1
                                        ; implicit-def: $vgpr6
.LBB167_1097:
	s_delay_alu instid0(SALU_CYCLE_1)
	s_and_not1_b32 vcc_lo, exec_lo, s48
	s_cbranch_vccnz .LBB167_1099
; %bb.1098:
	s_wait_loadcnt 0x0
	global_load_b32 v6, v[4:5], off
	s_wait_loadcnt 0x0
	v_cvt_f32_i32_e32 v6, v6
	s_delay_alu instid0(VALU_DEP_1) | instskip(NEXT) | instid1(VALU_DEP_1)
	v_bfe_u32 v7, v6, 16, 1
	v_add3_u32 v6, v6, v7, 0x7fff
	s_delay_alu instid0(VALU_DEP_1)
	v_lshrrev_b32_e32 v6, 16, v6
.LBB167_1099:
	s_mov_b32 s48, 0
.LBB167_1100:
	s_delay_alu instid0(SALU_CYCLE_1)
	s_and_not1_b32 vcc_lo, exec_lo, s48
	s_cbranch_vccnz .LBB167_1102
; %bb.1101:
	s_wait_loadcnt 0x0
	global_load_i16 v6, v[4:5], off
	s_wait_loadcnt 0x0
	v_cvt_f32_i32_e32 v6, v6
	s_delay_alu instid0(VALU_DEP_1) | instskip(NEXT) | instid1(VALU_DEP_1)
	v_bfe_u32 v7, v6, 16, 1
	v_add3_u32 v6, v6, v7, 0x7fff
	s_delay_alu instid0(VALU_DEP_1)
	v_lshrrev_b32_e32 v6, 16, v6
.LBB167_1102:
	s_mov_b32 s48, 0
.LBB167_1103:
	s_delay_alu instid0(SALU_CYCLE_1)
	s_and_not1_b32 vcc_lo, exec_lo, s48
	s_cbranch_vccnz .LBB167_1109
; %bb.1104:
	s_cmp_gt_i32 s0, 0
	s_mov_b32 s0, 0
	s_cbranch_scc0 .LBB167_1106
; %bb.1105:
	s_wait_loadcnt 0x0
	global_load_i8 v6, v[4:5], off
	s_wait_loadcnt 0x0
	v_cvt_f32_i32_e32 v6, v6
	s_delay_alu instid0(VALU_DEP_1) | instskip(NEXT) | instid1(VALU_DEP_1)
	v_bfe_u32 v7, v6, 16, 1
	v_add3_u32 v6, v6, v7, 0x7fff
	s_delay_alu instid0(VALU_DEP_1)
	v_lshrrev_b32_e32 v6, 16, v6
	s_branch .LBB167_1107
.LBB167_1106:
	s_mov_b32 s0, -1
                                        ; implicit-def: $vgpr6
.LBB167_1107:
	s_delay_alu instid0(SALU_CYCLE_1)
	s_and_not1_b32 vcc_lo, exec_lo, s0
	s_cbranch_vccnz .LBB167_1109
; %bb.1108:
	global_load_u8 v4, v[4:5], off
	s_wait_loadcnt 0x0
	v_cvt_f32_ubyte0_e32 v4, v4
	s_delay_alu instid0(VALU_DEP_1) | instskip(NEXT) | instid1(VALU_DEP_1)
	v_bfe_u32 v5, v4, 16, 1
	v_add3_u32 v4, v4, v5, 0x7fff
	s_delay_alu instid0(VALU_DEP_1)
	v_lshrrev_b32_e32 v6, 16, v4
.LBB167_1109:
	s_wait_xcnt 0x0
	v_mov_b32_e32 v7, 0
.LBB167_1110:
	s_mov_b32 s49, -1
.LBB167_1111:
	s_delay_alu instid0(SALU_CYCLE_1)
	s_and_not1_b32 vcc_lo, exec_lo, s49
	s_cbranch_vccnz .LBB167_1114
; %bb.1112:
	s_wait_loadcnt 0x0
	v_and_b32_e32 v4, 0xffff, v6
	v_and_b32_e32 v1, 0xffff, v1
	s_and_not1_b32 vcc_lo, exec_lo, s10
	s_delay_alu instid0(VALU_DEP_1) | instskip(NEXT) | instid1(VALU_DEP_3)
	v_or_b32_e32 v5, v3, v1
	v_or_b32_e32 v4, v7, v4
	v_and_b32_e32 v1, 0xffff0000, v7
	v_and_b32_e32 v3, 0xffff0000, v3
	s_delay_alu instid0(VALU_DEP_3)
	v_dual_lshlrev_b32 v5, 16, v5 :: v_dual_lshlrev_b32 v4, 16, v4
	s_cbranch_vccnz .LBB167_1115
; %bb.1113:
	s_delay_alu instid0(VALU_DEP_1) | instskip(NEXT) | instid1(VALU_DEP_3)
	v_cmp_neq_f32_e32 vcc_lo, v5, v4
	v_cmp_neq_f32_e64 s0, v3, v1
	s_or_b32 s48, vcc_lo, s0
	s_mov_b32 s0, 0
	s_branch .LBB167_1116
.LBB167_1114:
	s_mov_b32 s51, 0
	s_mov_b32 s0, s44
	s_branch .LBB167_1241
.LBB167_1115:
	s_mov_b32 s0, -1
                                        ; implicit-def: $sgpr48
.LBB167_1116:
	s_delay_alu instid0(SALU_CYCLE_1)
	s_and_not1_b32 vcc_lo, exec_lo, s0
	s_cbranch_vccnz .LBB167_1118
; %bb.1117:
	v_cmp_eq_f32_e32 vcc_lo, v5, v4
	v_cmp_eq_f32_e64 s0, v3, v1
	s_and_not1_b32 s48, s48, exec_lo
	s_and_b32 s0, vcc_lo, s0
	s_delay_alu instid0(SALU_CYCLE_1) | instskip(NEXT) | instid1(SALU_CYCLE_1)
	s_and_b32 s0, s0, exec_lo
	s_or_b32 s48, s48, s0
.LBB167_1118:
	v_mov_b32_e32 v3, 0
	s_and_b32 s49, s11, 0xff
	s_delay_alu instid0(SALU_CYCLE_1) | instskip(NEXT) | instid1(VALU_DEP_1)
	s_cmp_lt_i32 s49, 11
	v_add_nc_u64_e32 v[2:3], s[4:5], v[2:3]
	s_cbranch_scc1 .LBB167_1125
; %bb.1119:
	s_and_b32 s50, 0xffff, s49
	s_delay_alu instid0(SALU_CYCLE_1)
	s_cmp_gt_i32 s50, 25
	s_cbranch_scc0 .LBB167_1126
; %bb.1120:
	s_cmp_gt_i32 s50, 28
	s_cbranch_scc0 .LBB167_1127
; %bb.1121:
	;; [unrolled: 3-line block ×4, first 2 shown]
	s_mov_b32 s52, 0
	s_mov_b32 s0, -1
	s_cmp_eq_u32 s50, 46
	s_mov_b32 s51, 0
	s_cbranch_scc0 .LBB167_1130
; %bb.1124:
	v_cndmask_b32_e64 v1, 0, 1.0, s48
	s_mov_b32 s51, -1
	s_mov_b32 s0, 0
	s_delay_alu instid0(VALU_DEP_1) | instskip(NEXT) | instid1(VALU_DEP_1)
	v_bfe_u32 v4, v1, 16, 1
	v_add3_u32 v1, v1, v4, 0x7fff
	s_delay_alu instid0(VALU_DEP_1)
	v_lshrrev_b32_e32 v1, 16, v1
	global_store_b32 v[2:3], v1, off
	s_branch .LBB167_1130
.LBB167_1125:
	s_mov_b32 s50, -1
	s_mov_b32 s51, 0
	s_mov_b32 s0, s44
	s_branch .LBB167_1199
.LBB167_1126:
	s_mov_b32 s52, -1
	s_mov_b32 s51, 0
	s_mov_b32 s0, s44
	s_branch .LBB167_1157
.LBB167_1127:
	s_mov_b32 s52, -1
	s_mov_b32 s51, 0
	s_mov_b32 s0, s44
	s_branch .LBB167_1140
.LBB167_1128:
	s_mov_b32 s52, -1
	s_mov_b32 s51, 0
	s_mov_b32 s0, s44
	s_branch .LBB167_1136
.LBB167_1129:
	s_mov_b32 s52, -1
	s_mov_b32 s51, 0
	s_mov_b32 s0, s44
.LBB167_1130:
	s_and_b32 vcc_lo, exec_lo, s52
	s_cbranch_vccz .LBB167_1135
; %bb.1131:
	s_cmp_eq_u32 s50, 44
	s_mov_b32 s0, -1
	s_cbranch_scc0 .LBB167_1135
; %bb.1132:
	v_cndmask_b32_e64 v5, 0, 1.0, s48
	s_mov_b32 s51, exec_lo
	s_wait_xcnt 0x0
	s_delay_alu instid0(VALU_DEP_1) | instskip(NEXT) | instid1(VALU_DEP_1)
	v_dual_mov_b32 v4, 0xff :: v_dual_lshrrev_b32 v1, 23, v5
	v_cmpx_ne_u32_e32 0xff, v1
; %bb.1133:
	v_and_b32_e32 v4, 0x400000, v5
	v_and_or_b32 v5, 0x3fffff, v5, v1
	s_delay_alu instid0(VALU_DEP_2) | instskip(NEXT) | instid1(VALU_DEP_2)
	v_cmp_ne_u32_e32 vcc_lo, 0, v4
	v_cmp_ne_u32_e64 s0, 0, v5
	s_and_b32 s0, vcc_lo, s0
	s_delay_alu instid0(SALU_CYCLE_1) | instskip(NEXT) | instid1(VALU_DEP_1)
	v_cndmask_b32_e64 v4, 0, 1, s0
	v_add_nc_u32_e32 v4, v1, v4
; %bb.1134:
	s_or_b32 exec_lo, exec_lo, s51
	s_mov_b32 s51, -1
	s_mov_b32 s0, 0
	global_store_b8 v[2:3], v4, off
.LBB167_1135:
	s_mov_b32 s52, 0
.LBB167_1136:
	s_delay_alu instid0(SALU_CYCLE_1)
	s_and_b32 vcc_lo, exec_lo, s52
	s_cbranch_vccz .LBB167_1139
; %bb.1137:
	s_cmp_eq_u32 s50, 29
	s_mov_b32 s0, -1
	s_cbranch_scc0 .LBB167_1139
; %bb.1138:
	s_mov_b32 s0, 0
	s_wait_xcnt 0x0
	v_cndmask_b32_e64 v4, 0, 1, s48
	v_mov_b32_e32 v5, s0
	s_mov_b32 s51, -1
	s_mov_b32 s52, 0
	global_store_b64 v[2:3], v[4:5], off
	s_branch .LBB167_1140
.LBB167_1139:
	s_mov_b32 s52, 0
.LBB167_1140:
	s_delay_alu instid0(SALU_CYCLE_1)
	s_and_b32 vcc_lo, exec_lo, s52
	s_cbranch_vccz .LBB167_1156
; %bb.1141:
	s_cmp_lt_i32 s50, 27
	s_mov_b32 s51, -1
	s_cbranch_scc1 .LBB167_1147
; %bb.1142:
	s_cmp_gt_i32 s50, 27
	s_cbranch_scc0 .LBB167_1144
; %bb.1143:
	s_wait_xcnt 0x0
	v_cndmask_b32_e64 v1, 0, 1, s48
	s_mov_b32 s51, 0
	global_store_b32 v[2:3], v1, off
.LBB167_1144:
	s_and_not1_b32 vcc_lo, exec_lo, s51
	s_cbranch_vccnz .LBB167_1146
; %bb.1145:
	s_wait_xcnt 0x0
	v_cndmask_b32_e64 v1, 0, 1, s48
	global_store_b16 v[2:3], v1, off
.LBB167_1146:
	s_mov_b32 s51, 0
.LBB167_1147:
	s_delay_alu instid0(SALU_CYCLE_1)
	s_and_not1_b32 vcc_lo, exec_lo, s51
	s_cbranch_vccnz .LBB167_1155
; %bb.1148:
	s_wait_xcnt 0x0
	v_cndmask_b32_e64 v4, 0, 1.0, s48
	v_mov_b32_e32 v5, 0x80
	s_mov_b32 s51, exec_lo
	s_delay_alu instid0(VALU_DEP_2)
	v_cmpx_gt_u32_e32 0x43800000, v4
	s_cbranch_execz .LBB167_1154
; %bb.1149:
	s_mov_b32 s52, 0
	s_mov_b32 s53, exec_lo
                                        ; implicit-def: $vgpr1
	v_cmpx_lt_u32_e32 0x3bffffff, v4
	s_xor_b32 s53, exec_lo, s53
	s_cbranch_execz .LBB167_1269
; %bb.1150:
	v_bfe_u32 v1, v4, 20, 1
	s_mov_b32 s52, exec_lo
	s_delay_alu instid0(VALU_DEP_1) | instskip(NEXT) | instid1(VALU_DEP_1)
	v_add3_u32 v1, v4, v1, 0x487ffff
                                        ; implicit-def: $vgpr4
	v_lshrrev_b32_e32 v1, 20, v1
	s_and_not1_saveexec_b32 s53, s53
	s_cbranch_execnz .LBB167_1270
.LBB167_1151:
	s_or_b32 exec_lo, exec_lo, s53
	v_mov_b32_e32 v5, 0
	s_and_saveexec_b32 s53, s52
.LBB167_1152:
	v_mov_b32_e32 v5, v1
.LBB167_1153:
	s_or_b32 exec_lo, exec_lo, s53
.LBB167_1154:
	s_delay_alu instid0(SALU_CYCLE_1)
	s_or_b32 exec_lo, exec_lo, s51
	global_store_b8 v[2:3], v5, off
.LBB167_1155:
	s_mov_b32 s51, -1
.LBB167_1156:
	s_mov_b32 s52, 0
.LBB167_1157:
	s_delay_alu instid0(SALU_CYCLE_1)
	s_and_b32 vcc_lo, exec_lo, s52
	s_cbranch_vccz .LBB167_1198
; %bb.1158:
	s_cmp_gt_i32 s50, 22
	s_mov_b32 s52, -1
	s_cbranch_scc0 .LBB167_1190
; %bb.1159:
	s_cmp_lt_i32 s50, 24
	s_mov_b32 s51, -1
	s_cbranch_scc1 .LBB167_1179
; %bb.1160:
	s_cmp_gt_i32 s50, 24
	s_cbranch_scc0 .LBB167_1168
; %bb.1161:
	s_wait_xcnt 0x0
	v_cndmask_b32_e64 v4, 0, 1.0, s48
	v_mov_b32_e32 v5, 0x80
	s_mov_b32 s51, exec_lo
	s_delay_alu instid0(VALU_DEP_2)
	v_cmpx_gt_u32_e32 0x47800000, v4
	s_cbranch_execz .LBB167_1167
; %bb.1162:
	s_mov_b32 s52, 0
	s_mov_b32 s53, exec_lo
                                        ; implicit-def: $vgpr1
	v_cmpx_lt_u32_e32 0x37ffffff, v4
	s_xor_b32 s53, exec_lo, s53
	s_cbranch_execz .LBB167_2388
; %bb.1163:
	v_bfe_u32 v1, v4, 21, 1
	s_mov_b32 s52, exec_lo
	s_delay_alu instid0(VALU_DEP_1) | instskip(NEXT) | instid1(VALU_DEP_1)
	v_add3_u32 v1, v4, v1, 0x88fffff
                                        ; implicit-def: $vgpr4
	v_lshrrev_b32_e32 v1, 21, v1
	s_and_not1_saveexec_b32 s53, s53
	s_cbranch_execnz .LBB167_2389
.LBB167_1164:
	s_or_b32 exec_lo, exec_lo, s53
	v_mov_b32_e32 v5, 0
	s_and_saveexec_b32 s53, s52
.LBB167_1165:
	v_mov_b32_e32 v5, v1
.LBB167_1166:
	s_or_b32 exec_lo, exec_lo, s53
.LBB167_1167:
	s_delay_alu instid0(SALU_CYCLE_1)
	s_or_b32 exec_lo, exec_lo, s51
	s_mov_b32 s51, 0
	global_store_b8 v[2:3], v5, off
.LBB167_1168:
	s_and_b32 vcc_lo, exec_lo, s51
	s_cbranch_vccz .LBB167_1178
; %bb.1169:
	s_wait_xcnt 0x0
	v_cndmask_b32_e64 v4, 0, 1.0, s48
	s_mov_b32 s51, exec_lo
                                        ; implicit-def: $vgpr1
	s_delay_alu instid0(VALU_DEP_1)
	v_cmpx_gt_u32_e32 0x43f00000, v4
	s_xor_b32 s51, exec_lo, s51
	s_cbranch_execz .LBB167_1175
; %bb.1170:
	s_mov_b32 s52, exec_lo
                                        ; implicit-def: $vgpr1
	v_cmpx_lt_u32_e32 0x3c7fffff, v4
	s_xor_b32 s52, exec_lo, s52
; %bb.1171:
	v_bfe_u32 v1, v4, 20, 1
	s_delay_alu instid0(VALU_DEP_1) | instskip(NEXT) | instid1(VALU_DEP_1)
	v_add3_u32 v1, v4, v1, 0x407ffff
	v_and_b32_e32 v4, 0xff00000, v1
	v_lshrrev_b32_e32 v1, 20, v1
	s_delay_alu instid0(VALU_DEP_2) | instskip(NEXT) | instid1(VALU_DEP_2)
	v_cmp_ne_u32_e32 vcc_lo, 0x7f00000, v4
                                        ; implicit-def: $vgpr4
	v_cndmask_b32_e32 v1, 0x7e, v1, vcc_lo
; %bb.1172:
	s_and_not1_saveexec_b32 s52, s52
; %bb.1173:
	v_add_f32_e32 v1, 0x46800000, v4
; %bb.1174:
	s_or_b32 exec_lo, exec_lo, s52
                                        ; implicit-def: $vgpr4
.LBB167_1175:
	s_and_not1_saveexec_b32 s51, s51
; %bb.1176:
	v_mov_b32_e32 v1, 0x7f
	v_cmp_lt_u32_e32 vcc_lo, 0x7f800000, v4
	s_delay_alu instid0(VALU_DEP_2)
	v_cndmask_b32_e32 v1, 0x7e, v1, vcc_lo
; %bb.1177:
	s_or_b32 exec_lo, exec_lo, s51
	global_store_b8 v[2:3], v1, off
.LBB167_1178:
	s_mov_b32 s51, 0
.LBB167_1179:
	s_delay_alu instid0(SALU_CYCLE_1)
	s_and_not1_b32 vcc_lo, exec_lo, s51
	s_cbranch_vccnz .LBB167_1189
; %bb.1180:
	s_wait_xcnt 0x0
	v_cndmask_b32_e64 v4, 0, 1.0, s48
	s_mov_b32 s51, exec_lo
                                        ; implicit-def: $vgpr1
	s_delay_alu instid0(VALU_DEP_1)
	v_cmpx_gt_u32_e32 0x47800000, v4
	s_xor_b32 s51, exec_lo, s51
	s_cbranch_execz .LBB167_1186
; %bb.1181:
	s_mov_b32 s52, exec_lo
                                        ; implicit-def: $vgpr1
	v_cmpx_lt_u32_e32 0x387fffff, v4
	s_xor_b32 s52, exec_lo, s52
; %bb.1182:
	v_bfe_u32 v1, v4, 21, 1
	s_delay_alu instid0(VALU_DEP_1) | instskip(NEXT) | instid1(VALU_DEP_1)
	v_add3_u32 v1, v4, v1, 0x80fffff
                                        ; implicit-def: $vgpr4
	v_lshrrev_b32_e32 v1, 21, v1
; %bb.1183:
	s_and_not1_saveexec_b32 s52, s52
; %bb.1184:
	v_add_f32_e32 v1, 0x43000000, v4
; %bb.1185:
	s_or_b32 exec_lo, exec_lo, s52
                                        ; implicit-def: $vgpr4
.LBB167_1186:
	s_and_not1_saveexec_b32 s51, s51
; %bb.1187:
	v_mov_b32_e32 v1, 0x7f
	v_cmp_lt_u32_e32 vcc_lo, 0x7f800000, v4
	s_delay_alu instid0(VALU_DEP_2)
	v_cndmask_b32_e32 v1, 0x7c, v1, vcc_lo
; %bb.1188:
	s_or_b32 exec_lo, exec_lo, s51
	global_store_b8 v[2:3], v1, off
.LBB167_1189:
	s_mov_b32 s52, 0
	s_mov_b32 s51, -1
.LBB167_1190:
	s_and_not1_b32 vcc_lo, exec_lo, s52
	s_cbranch_vccnz .LBB167_1198
; %bb.1191:
	s_cmp_gt_i32 s50, 14
	s_mov_b32 s52, -1
	s_cbranch_scc0 .LBB167_1195
; %bb.1192:
	s_cmp_eq_u32 s50, 15
	s_mov_b32 s0, -1
	s_cbranch_scc0 .LBB167_1194
; %bb.1193:
	s_wait_xcnt 0x0
	v_cndmask_b32_e64 v1, 0, 1.0, s48
	s_mov_b32 s51, -1
	s_mov_b32 s0, 0
	s_delay_alu instid0(VALU_DEP_1) | instskip(NEXT) | instid1(VALU_DEP_1)
	v_bfe_u32 v4, v1, 16, 1
	v_add3_u32 v1, v1, v4, 0x7fff
	global_store_d16_hi_b16 v[2:3], v1, off
.LBB167_1194:
	s_mov_b32 s52, 0
.LBB167_1195:
	s_delay_alu instid0(SALU_CYCLE_1)
	s_and_b32 vcc_lo, exec_lo, s52
	s_cbranch_vccz .LBB167_1198
; %bb.1196:
	s_cmp_eq_u32 s50, 11
	s_mov_b32 s0, -1
	s_cbranch_scc0 .LBB167_1198
; %bb.1197:
	s_wait_xcnt 0x0
	v_cndmask_b32_e64 v1, 0, 1, s48
	s_mov_b32 s51, -1
	s_mov_b32 s0, 0
	global_store_b8 v[2:3], v1, off
.LBB167_1198:
	s_mov_b32 s50, 0
.LBB167_1199:
	s_delay_alu instid0(SALU_CYCLE_1)
	s_and_b32 vcc_lo, exec_lo, s50
	s_cbranch_vccz .LBB167_1238
; %bb.1200:
	s_and_b32 s49, 0xffff, s49
	s_mov_b32 s50, -1
	s_cmp_lt_i32 s49, 5
	s_cbranch_scc1 .LBB167_1221
; %bb.1201:
	s_cmp_lt_i32 s49, 8
	s_cbranch_scc1 .LBB167_1211
; %bb.1202:
	;; [unrolled: 3-line block ×3, first 2 shown]
	s_cmp_gt_i32 s49, 9
	s_cbranch_scc0 .LBB167_1205
; %bb.1204:
	s_wait_xcnt 0x0
	v_cndmask_b32_e64 v1, 0, 1, s48
	v_mov_b32_e32 v6, 0
	s_mov_b32 s50, 0
	s_delay_alu instid0(VALU_DEP_2) | instskip(NEXT) | instid1(VALU_DEP_2)
	v_cvt_f64_u32_e32 v[4:5], v1
	v_mov_b32_e32 v7, v6
	global_store_b128 v[2:3], v[4:7], off
.LBB167_1205:
	s_and_not1_b32 vcc_lo, exec_lo, s50
	s_cbranch_vccnz .LBB167_1207
; %bb.1206:
	s_wait_xcnt 0x0
	v_cndmask_b32_e64 v4, 0, 1.0, s48
	v_mov_b32_e32 v5, 0
	global_store_b64 v[2:3], v[4:5], off
.LBB167_1207:
	s_mov_b32 s50, 0
.LBB167_1208:
	s_delay_alu instid0(SALU_CYCLE_1)
	s_and_not1_b32 vcc_lo, exec_lo, s50
	s_cbranch_vccnz .LBB167_1210
; %bb.1209:
	s_wait_xcnt 0x0
	v_cndmask_b32_e64 v1, 0, 1.0, s48
	s_delay_alu instid0(VALU_DEP_1) | instskip(NEXT) | instid1(VALU_DEP_1)
	v_cvt_f16_f32_e32 v1, v1
	v_and_b32_e32 v1, 0xffff, v1
	global_store_b32 v[2:3], v1, off
.LBB167_1210:
	s_mov_b32 s50, 0
.LBB167_1211:
	s_delay_alu instid0(SALU_CYCLE_1)
	s_and_not1_b32 vcc_lo, exec_lo, s50
	s_cbranch_vccnz .LBB167_1220
; %bb.1212:
	s_cmp_lt_i32 s49, 6
	s_mov_b32 s50, -1
	s_cbranch_scc1 .LBB167_1218
; %bb.1213:
	s_cmp_gt_i32 s49, 6
	s_cbranch_scc0 .LBB167_1215
; %bb.1214:
	s_wait_xcnt 0x0
	v_cndmask_b32_e64 v1, 0, 1, s48
	s_mov_b32 s50, 0
	s_delay_alu instid0(VALU_DEP_1)
	v_cvt_f64_u32_e32 v[4:5], v1
	global_store_b64 v[2:3], v[4:5], off
.LBB167_1215:
	s_and_not1_b32 vcc_lo, exec_lo, s50
	s_cbranch_vccnz .LBB167_1217
; %bb.1216:
	s_wait_xcnt 0x0
	v_cndmask_b32_e64 v1, 0, 1.0, s48
	global_store_b32 v[2:3], v1, off
.LBB167_1217:
	s_mov_b32 s50, 0
.LBB167_1218:
	s_delay_alu instid0(SALU_CYCLE_1)
	s_and_not1_b32 vcc_lo, exec_lo, s50
	s_cbranch_vccnz .LBB167_1220
; %bb.1219:
	s_wait_xcnt 0x0
	v_cndmask_b32_e64 v1, 0, 1.0, s48
	s_delay_alu instid0(VALU_DEP_1)
	v_cvt_f16_f32_e32 v1, v1
	global_store_b16 v[2:3], v1, off
.LBB167_1220:
	s_mov_b32 s50, 0
.LBB167_1221:
	s_delay_alu instid0(SALU_CYCLE_1)
	s_and_not1_b32 vcc_lo, exec_lo, s50
	s_cbranch_vccnz .LBB167_1237
; %bb.1222:
	s_cmp_lt_i32 s49, 2
	s_mov_b32 s50, -1
	s_cbranch_scc1 .LBB167_1232
; %bb.1223:
	s_cmp_lt_i32 s49, 3
	s_cbranch_scc1 .LBB167_1229
; %bb.1224:
	s_cmp_gt_i32 s49, 3
	s_cbranch_scc0 .LBB167_1226
; %bb.1225:
	s_mov_b32 s50, 0
	s_wait_xcnt 0x0
	v_cndmask_b32_e64 v4, 0, 1, s48
	v_mov_b32_e32 v5, s50
	global_store_b64 v[2:3], v[4:5], off
.LBB167_1226:
	s_and_not1_b32 vcc_lo, exec_lo, s50
	s_cbranch_vccnz .LBB167_1228
; %bb.1227:
	s_wait_xcnt 0x0
	v_cndmask_b32_e64 v1, 0, 1, s48
	global_store_b32 v[2:3], v1, off
.LBB167_1228:
	s_mov_b32 s50, 0
.LBB167_1229:
	s_delay_alu instid0(SALU_CYCLE_1)
	s_and_not1_b32 vcc_lo, exec_lo, s50
	s_cbranch_vccnz .LBB167_1231
; %bb.1230:
	s_wait_xcnt 0x0
	v_cndmask_b32_e64 v1, 0, 1, s48
	global_store_b16 v[2:3], v1, off
.LBB167_1231:
	s_mov_b32 s50, 0
.LBB167_1232:
	s_delay_alu instid0(SALU_CYCLE_1)
	s_and_not1_b32 vcc_lo, exec_lo, s50
	s_cbranch_vccnz .LBB167_1237
; %bb.1233:
	s_wait_xcnt 0x0
	v_cndmask_b32_e64 v1, 0, 1, s48
	s_cmp_gt_i32 s49, 0
	s_mov_b32 s48, -1
	s_cbranch_scc0 .LBB167_1235
; %bb.1234:
	s_mov_b32 s48, 0
	global_store_b8 v[2:3], v1, off
.LBB167_1235:
	s_and_not1_b32 vcc_lo, exec_lo, s48
	s_cbranch_vccnz .LBB167_1237
; %bb.1236:
	global_store_b8 v[2:3], v1, off
.LBB167_1237:
	s_mov_b32 s51, -1
.LBB167_1238:
	s_delay_alu instid0(SALU_CYCLE_1)
	s_and_not1_b32 vcc_lo, exec_lo, s51
	s_cbranch_vccnz .LBB167_1240
; %bb.1239:
	v_add_nc_u32_e32 v0, 0x80, v0
	s_mov_b32 s51, -1
	s_branch .LBB167_1242
.LBB167_1240:
	s_mov_b32 s51, 0
.LBB167_1241:
                                        ; implicit-def: $vgpr0
.LBB167_1242:
	s_and_not1_b32 s48, s44, exec_lo
	s_and_b32 s0, s0, exec_lo
	s_and_b32 s27, s27, exec_lo
	s_or_b32 s49, s48, s0
	s_and_not1_b32 s0, s45, exec_lo
	s_and_not1_b32 s48, s43, exec_lo
	s_and_b32 s26, s26, exec_lo
	s_or_b32 s50, s0, s27
	s_or_b32 s48, s48, s26
	s_or_not1_b32 s52, s51, exec_lo
.LBB167_1243:
	s_wait_xcnt 0x0
	s_or_b32 exec_lo, exec_lo, s47
	s_mov_b32 s51, 0
	s_mov_b32 s27, 0
	;; [unrolled: 1-line block ×3, first 2 shown]
                                        ; implicit-def: $sgpr0
                                        ; implicit-def: $vgpr6_vgpr7
                                        ; implicit-def: $vgpr4
                                        ; implicit-def: $vgpr2
                                        ; implicit-def: $vgpr8
                                        ; implicit-def: $vgpr3
	s_and_saveexec_b32 s47, s52
	s_cbranch_execz .LBB167_1341
; %bb.1244:
	v_cmp_gt_i32_e32 vcc_lo, s37, v0
	s_mov_b32 s52, s48
                                        ; implicit-def: $sgpr0
                                        ; implicit-def: $vgpr6_vgpr7
                                        ; implicit-def: $vgpr4
                                        ; implicit-def: $vgpr2
                                        ; implicit-def: $vgpr8
                                        ; implicit-def: $vgpr3
	s_and_saveexec_b32 s37, vcc_lo
	s_cbranch_execz .LBB167_1340
; %bb.1245:
	s_and_not1_b32 vcc_lo, exec_lo, s31
	s_cbranch_vccnz .LBB167_1251
; %bb.1246:
	s_and_not1_b32 vcc_lo, exec_lo, s38
	s_cbranch_vccnz .LBB167_1252
; %bb.1247:
	s_wait_loadcnt 0x0
	v_dual_mov_b32 v2, 0 :: v_dual_mov_b32 v1, v0
	v_dual_mov_b32 v6, 0 :: v_dual_mov_b32 v4, 0
	s_add_co_i32 s0, s36, 1
	s_mov_b64 s[26:27], 0xffffffffffffffe8
	s_and_b32 s0, s0, 30
	s_add_nc_u64 s[26:27], s[2:3], s[26:27]
.LBB167_1248:                           ; =>This Inner Loop Header: Depth=1
	s_clause 0x1
	s_load_b128 s[52:55], s[26:27], 0x1c
	s_load_b64 s[60:61], s[26:27], 0x2c
	s_add_co_i32 s0, s0, -2
	s_delay_alu instid0(SALU_CYCLE_1) | instskip(SKIP_2) | instid1(VALU_DEP_1)
	s_cmp_eq_u32 s0, 0
	s_wait_kmcnt 0x0
	v_mul_hi_u32 v3, s53, v1
	v_add_nc_u32_e32 v3, v1, v3
	s_delay_alu instid0(VALU_DEP_1) | instskip(NEXT) | instid1(VALU_DEP_1)
	v_lshrrev_b32_e32 v3, s54, v3
	v_mul_hi_u32 v5, s60, v3
	v_mul_lo_u32 v7, v3, s52
	s_clause 0x1
	s_load_b128 s[56:59], s[26:27], 0xdc
	s_load_b64 s[52:53], s[26:27], 0xec
	s_wait_xcnt 0x0
	s_add_nc_u64 s[26:27], s[26:27], 24
	s_delay_alu instid0(VALU_DEP_1) | instskip(NEXT) | instid1(VALU_DEP_1)
	v_dual_add_nc_u32 v5, v3, v5 :: v_dual_sub_nc_u32 v7, v1, v7
	v_lshrrev_b32_e32 v1, s61, v5
	s_wait_kmcnt 0x0
	s_delay_alu instid0(VALU_DEP_2) | instskip(NEXT) | instid1(VALU_DEP_2)
	v_mad_u32 v2, v7, s56, v2
	v_mul_lo_u32 v5, v1, s55
	v_mad_u32 v4, v7, s58, v4
	v_mad_u32 v6, v7, s57, v6
	s_delay_alu instid0(VALU_DEP_3) | instskip(NEXT) | instid1(VALU_DEP_1)
	v_sub_nc_u32_e32 v3, v3, v5
	v_mad_u32 v2, v3, s59, v2
	s_delay_alu instid0(VALU_DEP_4) | instskip(NEXT) | instid1(VALU_DEP_4)
	v_mad_u32 v4, v3, s53, v4
	v_mad_u32 v6, v3, s52, v6
	s_cbranch_scc0 .LBB167_1248
; %bb.1249:
	s_bitcmp1_b32 s36, 0
	s_cselect_b32 s0, -1, 0
	s_delay_alu instid0(SALU_CYCLE_1)
	s_and_b32 vcc_lo, exec_lo, s0
	s_cbranch_vccnz .LBB167_1253
; %bb.1250:
	s_clause 0x1
	s_load_b96 s[52:54], s[26:27], 0x1c
	s_load_b96 s[56:58], s[26:27], 0xdc
	s_wait_kmcnt 0x0
	v_mul_hi_u32 v3, s53, v1
	s_delay_alu instid0(VALU_DEP_1) | instskip(NEXT) | instid1(VALU_DEP_1)
	v_add_nc_u32_e32 v3, v1, v3
	v_lshrrev_b32_e32 v3, s54, v3
	s_delay_alu instid0(VALU_DEP_1) | instskip(NEXT) | instid1(VALU_DEP_1)
	v_mul_lo_u32 v3, v3, s52
	v_sub_nc_u32_e32 v1, v1, v3
	s_delay_alu instid0(VALU_DEP_1)
	v_mad_u32 v2, v1, s56, v2
	v_mad_u32 v6, v1, s57, v6
	;; [unrolled: 1-line block ×3, first 2 shown]
	s_branch .LBB167_1253
.LBB167_1251:
	s_mov_b32 s0, -1
                                        ; implicit-def: $vgpr4
                                        ; implicit-def: $vgpr6
                                        ; implicit-def: $vgpr2
	s_branch .LBB167_1254
.LBB167_1252:
	s_wait_loadcnt 0x0
	v_dual_mov_b32 v4, 0 :: v_dual_mov_b32 v6, 0
	v_mov_b32_e32 v2, 0
.LBB167_1253:
	s_mov_b32 s0, 0
.LBB167_1254:
	s_delay_alu instid0(SALU_CYCLE_1)
	s_and_not1_b32 vcc_lo, exec_lo, s0
	s_cbranch_vccnz .LBB167_1257
; %bb.1255:
	s_wait_loadcnt 0x0
	v_mov_b32_e32 v1, 0
	s_and_not1_b32 vcc_lo, exec_lo, s35
	s_delay_alu instid0(VALU_DEP_1) | instskip(NEXT) | instid1(VALU_DEP_1)
	v_mul_u64_e32 v[2:3], s[20:21], v[0:1]
	v_add_nc_u32_e32 v2, v0, v3
	s_delay_alu instid0(VALU_DEP_1) | instskip(NEXT) | instid1(VALU_DEP_1)
	v_lshrrev_b32_e32 v8, s14, v2
	v_mul_lo_u32 v2, v8, s12
	s_delay_alu instid0(VALU_DEP_1) | instskip(NEXT) | instid1(VALU_DEP_1)
	v_sub_nc_u32_e32 v0, v0, v2
	v_mul_lo_u32 v2, v0, s16
	v_mul_lo_u32 v4, v0, s18
	;; [unrolled: 1-line block ×3, first 2 shown]
	s_cbranch_vccnz .LBB167_1257
; %bb.1256:
	v_mov_b32_e32 v9, v1
	s_delay_alu instid0(VALU_DEP_1) | instskip(NEXT) | instid1(VALU_DEP_1)
	v_mul_u64_e32 v[0:1], s[24:25], v[8:9]
	v_add_nc_u32_e32 v0, v8, v1
	s_delay_alu instid0(VALU_DEP_1) | instskip(NEXT) | instid1(VALU_DEP_1)
	v_lshrrev_b32_e32 v0, s1, v0
	v_mul_lo_u32 v0, v0, s15
	s_delay_alu instid0(VALU_DEP_1) | instskip(NEXT) | instid1(VALU_DEP_1)
	v_sub_nc_u32_e32 v0, v8, v0
	v_mad_u32 v2, v0, s19, v2
	v_mad_u32 v6, v0, s22, v6
	;; [unrolled: 1-line block ×3, first 2 shown]
.LBB167_1257:
	v_mov_b32_e32 v7, 0
	s_and_b32 s0, s34, 0xff
	s_delay_alu instid0(SALU_CYCLE_1) | instskip(SKIP_1) | instid1(VALU_DEP_1)
	s_cmp_lt_i32 s0, 11
	s_wait_loadcnt 0x0
	v_add_nc_u64_e32 v[6:7], s[6:7], v[6:7]
	s_cbranch_scc1 .LBB167_1264
; %bb.1258:
	s_and_b32 s1, 0xffff, s0
	s_mov_b32 s7, 0
	s_cmp_gt_i32 s1, 25
	s_cbranch_scc0 .LBB167_1265
; %bb.1259:
	s_cmp_gt_i32 s1, 28
	s_cbranch_scc0 .LBB167_1266
; %bb.1260:
	;; [unrolled: 3-line block ×4, first 2 shown]
	s_cmp_eq_u32 s1, 46
	s_mov_b32 s14, 0
	s_cbranch_scc0 .LBB167_1271
; %bb.1263:
	global_load_b32 v3, v[6:7], off
	s_mov_b32 s6, 0
	s_mov_b32 s12, -1
	s_wait_loadcnt 0x0
	v_and_b32_e32 v8, 0xffff0000, v3
	s_branch .LBB167_1273
.LBB167_1264:
	s_mov_b32 s1, -1
	s_mov_b32 s12, 0
	s_mov_b32 s7, 0
	;; [unrolled: 1-line block ×3, first 2 shown]
                                        ; implicit-def: $vgpr8
                                        ; implicit-def: $vgpr3
	s_branch .LBB167_1339
.LBB167_1265:
	s_mov_b32 s14, -1
	s_mov_b32 s12, 0
	s_mov_b32 s6, s48
                                        ; implicit-def: $vgpr8
                                        ; implicit-def: $vgpr3
	s_branch .LBB167_1304
.LBB167_1266:
	s_mov_b32 s14, -1
	s_mov_b32 s12, 0
	s_mov_b32 s6, s48
                                        ; implicit-def: $vgpr8
                                        ; implicit-def: $vgpr3
	s_branch .LBB167_1285
.LBB167_1267:
	s_mov_b32 s14, -1
	s_mov_b32 s12, 0
	s_mov_b32 s6, s48
                                        ; implicit-def: $vgpr8
                                        ; implicit-def: $vgpr3
	s_branch .LBB167_1279
.LBB167_1268:
	s_mov_b32 s14, -1
	s_mov_b32 s12, 0
	s_mov_b32 s6, s48
	s_branch .LBB167_1272
.LBB167_1269:
	s_and_not1_saveexec_b32 s53, s53
	s_cbranch_execz .LBB167_1151
.LBB167_1270:
	v_add_f32_e32 v1, 0x46000000, v4
	s_and_not1_b32 s52, s52, exec_lo
	s_delay_alu instid0(VALU_DEP_1) | instskip(NEXT) | instid1(VALU_DEP_1)
	v_and_b32_e32 v1, 0xff, v1
	v_cmp_ne_u32_e32 vcc_lo, 0, v1
	s_and_b32 s54, vcc_lo, exec_lo
	s_delay_alu instid0(SALU_CYCLE_1)
	s_or_b32 s52, s52, s54
	s_or_b32 exec_lo, exec_lo, s53
	v_mov_b32_e32 v5, 0
	s_and_saveexec_b32 s53, s52
	s_cbranch_execnz .LBB167_1152
	s_branch .LBB167_1153
.LBB167_1271:
	s_mov_b32 s6, -1
	s_mov_b32 s12, 0
.LBB167_1272:
                                        ; implicit-def: $vgpr8
                                        ; implicit-def: $vgpr3
.LBB167_1273:
	s_and_b32 vcc_lo, exec_lo, s14
	s_cbranch_vccz .LBB167_1278
; %bb.1274:
	s_cmp_eq_u32 s1, 44
	s_cbranch_scc0 .LBB167_1276
; %bb.1275:
	global_load_u8 v0, v[6:7], off
	s_mov_b32 s6, 0
	s_mov_b32 s12, -1
	s_wait_loadcnt 0x0
	v_lshlrev_b32_e32 v1, 23, v0
	v_cmp_ne_u32_e32 vcc_lo, 0xff, v0
	s_delay_alu instid0(VALU_DEP_2) | instskip(SKIP_1) | instid1(VALU_DEP_2)
	v_cndmask_b32_e32 v1, 0x7f800001, v1, vcc_lo
	v_cmp_ne_u32_e32 vcc_lo, 0, v0
	v_cndmask_b32_e32 v0, 0x400000, v1, vcc_lo
	s_delay_alu instid0(VALU_DEP_1) | instskip(NEXT) | instid1(VALU_DEP_1)
	v_add_nc_u32_e32 v1, 0x7fff, v0
	v_lshrrev_b32_e32 v1, 16, v1
	v_cmp_o_f32_e32 vcc_lo, v0, v0
	s_delay_alu instid0(VALU_DEP_2)
	v_cndmask_b32_e32 v3, 0x7fc0, v1, vcc_lo
	s_branch .LBB167_1277
.LBB167_1276:
	s_mov_b32 s6, -1
                                        ; implicit-def: $vgpr3
.LBB167_1277:
	v_mov_b32_e32 v8, 0
.LBB167_1278:
	s_mov_b32 s14, 0
.LBB167_1279:
	s_delay_alu instid0(SALU_CYCLE_1)
	s_and_b32 vcc_lo, exec_lo, s14
	s_cbranch_vccz .LBB167_1284
; %bb.1280:
	s_cmp_eq_u32 s1, 29
	s_cbranch_scc0 .LBB167_1282
; %bb.1281:
	global_load_b64 v[0:1], v[6:7], off
	s_mov_b32 s6, 0
	s_mov_b32 s12, -1
	s_wait_loadcnt 0x0
	v_clz_i32_u32_e32 v3, v1
	s_delay_alu instid0(VALU_DEP_1) | instskip(NEXT) | instid1(VALU_DEP_1)
	v_min_u32_e32 v3, 32, v3
	v_lshlrev_b64_e32 v[0:1], v3, v[0:1]
	s_delay_alu instid0(VALU_DEP_1) | instskip(NEXT) | instid1(VALU_DEP_1)
	v_min_u32_e32 v0, 1, v0
	v_dual_sub_nc_u32 v1, 32, v3 :: v_dual_bitop2_b32 v0, v1, v0 bitop3:0x54
	s_delay_alu instid0(VALU_DEP_1) | instskip(NEXT) | instid1(VALU_DEP_1)
	v_cvt_f32_u32_e32 v0, v0
	v_ldexp_f32 v0, v0, v1
	s_delay_alu instid0(VALU_DEP_1) | instskip(NEXT) | instid1(VALU_DEP_1)
	v_bfe_u32 v1, v0, 16, 1
	v_add3_u32 v0, v0, v1, 0x7fff
	s_delay_alu instid0(VALU_DEP_1)
	v_lshrrev_b32_e32 v3, 16, v0
	s_branch .LBB167_1283
.LBB167_1282:
	s_mov_b32 s6, -1
                                        ; implicit-def: $vgpr3
.LBB167_1283:
	v_mov_b32_e32 v8, 0
.LBB167_1284:
	s_mov_b32 s14, 0
.LBB167_1285:
	s_delay_alu instid0(SALU_CYCLE_1)
	s_and_b32 vcc_lo, exec_lo, s14
	s_cbranch_vccz .LBB167_1303
; %bb.1286:
	s_cmp_lt_i32 s1, 27
	s_cbranch_scc1 .LBB167_1289
; %bb.1287:
	s_cmp_gt_i32 s1, 27
	s_cbranch_scc0 .LBB167_1290
; %bb.1288:
	global_load_b32 v0, v[6:7], off
	s_mov_b32 s12, 0
	s_wait_loadcnt 0x0
	v_cvt_f32_u32_e32 v0, v0
	s_delay_alu instid0(VALU_DEP_1) | instskip(NEXT) | instid1(VALU_DEP_1)
	v_bfe_u32 v1, v0, 16, 1
	v_add3_u32 v0, v0, v1, 0x7fff
	s_delay_alu instid0(VALU_DEP_1)
	v_lshrrev_b32_e32 v3, 16, v0
	s_branch .LBB167_1291
.LBB167_1289:
	s_mov_b32 s12, -1
                                        ; implicit-def: $vgpr3
	s_branch .LBB167_1294
.LBB167_1290:
	s_mov_b32 s12, -1
                                        ; implicit-def: $vgpr3
.LBB167_1291:
	s_delay_alu instid0(SALU_CYCLE_1)
	s_and_not1_b32 vcc_lo, exec_lo, s12
	s_cbranch_vccnz .LBB167_1293
; %bb.1292:
	global_load_u16 v0, v[6:7], off
	s_wait_loadcnt 0x0
	v_cvt_f32_u32_e32 v0, v0
	s_delay_alu instid0(VALU_DEP_1) | instskip(NEXT) | instid1(VALU_DEP_1)
	v_bfe_u32 v1, v0, 16, 1
	v_add3_u32 v0, v0, v1, 0x7fff
	s_delay_alu instid0(VALU_DEP_1)
	v_lshrrev_b32_e32 v3, 16, v0
.LBB167_1293:
	s_mov_b32 s12, 0
.LBB167_1294:
	s_delay_alu instid0(SALU_CYCLE_1)
	s_and_not1_b32 vcc_lo, exec_lo, s12
	s_cbranch_vccnz .LBB167_1302
; %bb.1295:
	global_load_u8 v0, v[6:7], off
	s_mov_b32 s12, 0
	s_mov_b32 s14, exec_lo
	s_wait_loadcnt 0x0
	v_cmpx_lt_i16_e32 0x7f, v0
	s_xor_b32 s14, exec_lo, s14
	s_cbranch_execz .LBB167_1316
; %bb.1296:
	s_mov_b32 s12, -1
	s_mov_b32 s15, exec_lo
	v_cmpx_eq_u16_e32 0x80, v0
; %bb.1297:
	s_xor_b32 s12, exec_lo, -1
; %bb.1298:
	s_or_b32 exec_lo, exec_lo, s15
	s_delay_alu instid0(SALU_CYCLE_1)
	s_and_b32 s12, s12, exec_lo
	s_or_saveexec_b32 s14, s14
	v_mov_b32_e32 v1, 0x7f800001
	s_xor_b32 exec_lo, exec_lo, s14
	s_cbranch_execnz .LBB167_1317
.LBB167_1299:
	s_or_b32 exec_lo, exec_lo, s14
	s_and_saveexec_b32 s14, s12
	s_cbranch_execz .LBB167_1301
.LBB167_1300:
	v_and_b32_e32 v1, 0xffff, v0
	s_delay_alu instid0(VALU_DEP_1) | instskip(SKIP_1) | instid1(VALU_DEP_2)
	v_dual_lshlrev_b32 v0, 24, v0 :: v_dual_bitop2_b32 v3, 7, v1 bitop3:0x40
	v_bfe_u32 v9, v1, 3, 4
	v_and_b32_e32 v0, 0x80000000, v0
	s_delay_alu instid0(VALU_DEP_3) | instskip(NEXT) | instid1(VALU_DEP_3)
	v_clz_i32_u32_e32 v5, v3
	v_cmp_eq_u32_e32 vcc_lo, 0, v9
	s_delay_alu instid0(VALU_DEP_2) | instskip(NEXT) | instid1(VALU_DEP_1)
	v_min_u32_e32 v5, 32, v5
	v_subrev_nc_u32_e32 v8, 28, v5
	v_sub_nc_u32_e32 v5, 29, v5
	s_delay_alu instid0(VALU_DEP_2) | instskip(NEXT) | instid1(VALU_DEP_2)
	v_lshlrev_b32_e32 v1, v8, v1
	v_cndmask_b32_e32 v5, v9, v5, vcc_lo
	s_delay_alu instid0(VALU_DEP_2) | instskip(NEXT) | instid1(VALU_DEP_1)
	v_and_b32_e32 v1, 7, v1
	v_cndmask_b32_e32 v1, v3, v1, vcc_lo
	s_delay_alu instid0(VALU_DEP_3) | instskip(NEXT) | instid1(VALU_DEP_2)
	v_lshl_add_u32 v3, v5, 23, 0x3b800000
	v_lshlrev_b32_e32 v1, 20, v1
	s_delay_alu instid0(VALU_DEP_1)
	v_or3_b32 v1, v0, v3, v1
.LBB167_1301:
	s_or_b32 exec_lo, exec_lo, s14
	s_delay_alu instid0(VALU_DEP_1) | instskip(SKIP_1) | instid1(VALU_DEP_2)
	v_bfe_u32 v0, v1, 16, 1
	v_cmp_o_f32_e32 vcc_lo, v1, v1
	v_add3_u32 v0, v1, v0, 0x7fff
	s_delay_alu instid0(VALU_DEP_1) | instskip(NEXT) | instid1(VALU_DEP_1)
	v_lshrrev_b32_e32 v0, 16, v0
	v_cndmask_b32_e32 v3, 0x7fc0, v0, vcc_lo
.LBB167_1302:
	v_mov_b32_e32 v8, 0
	s_mov_b32 s12, -1
.LBB167_1303:
	s_mov_b32 s14, 0
.LBB167_1304:
	s_delay_alu instid0(SALU_CYCLE_1)
	s_and_b32 vcc_lo, exec_lo, s14
	s_cbranch_vccz .LBB167_1338
; %bb.1305:
	s_cmp_gt_i32 s1, 22
	s_cbranch_scc0 .LBB167_1315
; %bb.1306:
	s_cmp_lt_i32 s1, 24
	s_cbranch_scc1 .LBB167_1318
; %bb.1307:
	s_cmp_gt_i32 s1, 24
	s_cbranch_scc0 .LBB167_1319
; %bb.1308:
	global_load_u8 v0, v[6:7], off
	s_mov_b32 s12, exec_lo
	s_wait_loadcnt 0x0
	v_cmpx_lt_i16_e32 0x7f, v0
	s_xor_b32 s12, exec_lo, s12
	s_cbranch_execz .LBB167_1331
; %bb.1309:
	s_mov_b32 s7, -1
	s_mov_b32 s14, exec_lo
	v_cmpx_eq_u16_e32 0x80, v0
; %bb.1310:
	s_xor_b32 s7, exec_lo, -1
; %bb.1311:
	s_or_b32 exec_lo, exec_lo, s14
	s_delay_alu instid0(SALU_CYCLE_1)
	s_and_b32 s7, s7, exec_lo
	s_or_saveexec_b32 s12, s12
	v_mov_b32_e32 v1, 0x7f800001
	s_xor_b32 exec_lo, exec_lo, s12
	s_cbranch_execnz .LBB167_1332
.LBB167_1312:
	s_or_b32 exec_lo, exec_lo, s12
	s_and_saveexec_b32 s12, s7
	s_cbranch_execz .LBB167_1314
.LBB167_1313:
	v_and_b32_e32 v1, 0xffff, v0
	s_delay_alu instid0(VALU_DEP_1) | instskip(SKIP_1) | instid1(VALU_DEP_2)
	v_dual_lshlrev_b32 v0, 24, v0 :: v_dual_bitop2_b32 v3, 3, v1 bitop3:0x40
	v_bfe_u32 v9, v1, 2, 5
	v_and_b32_e32 v0, 0x80000000, v0
	s_delay_alu instid0(VALU_DEP_3) | instskip(NEXT) | instid1(VALU_DEP_3)
	v_clz_i32_u32_e32 v5, v3
	v_cmp_eq_u32_e32 vcc_lo, 0, v9
	s_delay_alu instid0(VALU_DEP_2) | instskip(NEXT) | instid1(VALU_DEP_1)
	v_min_u32_e32 v5, 32, v5
	v_subrev_nc_u32_e32 v8, 29, v5
	v_sub_nc_u32_e32 v5, 30, v5
	s_delay_alu instid0(VALU_DEP_2) | instskip(NEXT) | instid1(VALU_DEP_2)
	v_lshlrev_b32_e32 v1, v8, v1
	v_cndmask_b32_e32 v5, v9, v5, vcc_lo
	s_delay_alu instid0(VALU_DEP_2) | instskip(NEXT) | instid1(VALU_DEP_1)
	v_and_b32_e32 v1, 3, v1
	v_cndmask_b32_e32 v1, v3, v1, vcc_lo
	s_delay_alu instid0(VALU_DEP_3) | instskip(NEXT) | instid1(VALU_DEP_2)
	v_lshl_add_u32 v3, v5, 23, 0x37800000
	v_lshlrev_b32_e32 v1, 21, v1
	s_delay_alu instid0(VALU_DEP_1)
	v_or3_b32 v1, v0, v3, v1
.LBB167_1314:
	s_or_b32 exec_lo, exec_lo, s12
	s_delay_alu instid0(VALU_DEP_1) | instskip(SKIP_2) | instid1(VALU_DEP_2)
	v_bfe_u32 v0, v1, 16, 1
	v_cmp_o_f32_e32 vcc_lo, v1, v1
	s_mov_b32 s7, 0
	v_add3_u32 v0, v1, v0, 0x7fff
	s_delay_alu instid0(VALU_DEP_1) | instskip(NEXT) | instid1(VALU_DEP_1)
	v_lshrrev_b32_e32 v0, 16, v0
	v_cndmask_b32_e32 v3, 0x7fc0, v0, vcc_lo
	s_branch .LBB167_1320
.LBB167_1315:
	s_mov_b32 s7, -1
                                        ; implicit-def: $vgpr3
	s_branch .LBB167_1326
.LBB167_1316:
	s_or_saveexec_b32 s14, s14
	v_mov_b32_e32 v1, 0x7f800001
	s_xor_b32 exec_lo, exec_lo, s14
	s_cbranch_execz .LBB167_1299
.LBB167_1317:
	v_cmp_ne_u16_e32 vcc_lo, 0, v0
	v_mov_b32_e32 v1, 0
	s_and_not1_b32 s12, s12, exec_lo
	s_and_b32 s15, vcc_lo, exec_lo
	s_delay_alu instid0(SALU_CYCLE_1)
	s_or_b32 s12, s12, s15
	s_or_b32 exec_lo, exec_lo, s14
	s_and_saveexec_b32 s14, s12
	s_cbranch_execnz .LBB167_1300
	s_branch .LBB167_1301
.LBB167_1318:
	s_mov_b32 s7, -1
                                        ; implicit-def: $vgpr3
	s_branch .LBB167_1323
.LBB167_1319:
	s_mov_b32 s7, -1
                                        ; implicit-def: $vgpr3
.LBB167_1320:
	s_delay_alu instid0(SALU_CYCLE_1)
	s_and_b32 vcc_lo, exec_lo, s7
	s_cbranch_vccz .LBB167_1322
; %bb.1321:
	global_load_u8 v0, v[6:7], off
	s_wait_loadcnt 0x0
	v_lshlrev_b32_e32 v0, 24, v0
	s_delay_alu instid0(VALU_DEP_1) | instskip(NEXT) | instid1(VALU_DEP_1)
	v_and_b32_e32 v1, 0x7f000000, v0
	v_clz_i32_u32_e32 v3, v1
	v_cmp_ne_u32_e32 vcc_lo, 0, v1
	v_add_nc_u32_e32 v8, 0x1000000, v1
	s_delay_alu instid0(VALU_DEP_3) | instskip(NEXT) | instid1(VALU_DEP_1)
	v_min_u32_e32 v3, 32, v3
	v_sub_nc_u32_e64 v3, v3, 4 clamp
	s_delay_alu instid0(VALU_DEP_1) | instskip(NEXT) | instid1(VALU_DEP_1)
	v_dual_lshlrev_b32 v5, v3, v1 :: v_dual_lshlrev_b32 v3, 23, v3
	v_lshrrev_b32_e32 v5, 4, v5
	s_delay_alu instid0(VALU_DEP_1) | instskip(NEXT) | instid1(VALU_DEP_1)
	v_dual_sub_nc_u32 v3, v5, v3 :: v_dual_ashrrev_i32 v5, 8, v8
	v_add_nc_u32_e32 v3, 0x3c000000, v3
	s_delay_alu instid0(VALU_DEP_1) | instskip(NEXT) | instid1(VALU_DEP_1)
	v_and_or_b32 v3, 0x7f800000, v5, v3
	v_cndmask_b32_e32 v1, 0, v3, vcc_lo
	s_delay_alu instid0(VALU_DEP_1) | instskip(SKIP_1) | instid1(VALU_DEP_2)
	v_and_or_b32 v0, 0x80000000, v0, v1
	v_bfe_u32 v1, v1, 16, 1
	v_cmp_o_f32_e32 vcc_lo, v0, v0
	s_delay_alu instid0(VALU_DEP_2) | instskip(NEXT) | instid1(VALU_DEP_1)
	v_add3_u32 v1, v0, v1, 0x7fff
	v_lshrrev_b32_e32 v1, 16, v1
	s_delay_alu instid0(VALU_DEP_1)
	v_cndmask_b32_e32 v3, 0x7fc0, v1, vcc_lo
.LBB167_1322:
	s_mov_b32 s7, 0
.LBB167_1323:
	s_delay_alu instid0(SALU_CYCLE_1)
	s_and_not1_b32 vcc_lo, exec_lo, s7
	s_cbranch_vccnz .LBB167_1325
; %bb.1324:
	global_load_u8 v0, v[6:7], off
	s_wait_loadcnt 0x0
	v_lshlrev_b32_e32 v1, 25, v0
	v_lshlrev_b16 v0, 8, v0
	s_delay_alu instid0(VALU_DEP_1) | instskip(SKIP_1) | instid1(VALU_DEP_2)
	v_and_or_b32 v5, 0x7f00, v0, 0.5
	v_bfe_i32 v0, v0, 0, 16
	v_add_f32_e32 v5, -0.5, v5
	v_lshrrev_b32_e32 v3, 4, v1
	v_cmp_gt_u32_e32 vcc_lo, 0x8000000, v1
	s_delay_alu instid0(VALU_DEP_2) | instskip(NEXT) | instid1(VALU_DEP_1)
	v_or_b32_e32 v3, 0x70000000, v3
	v_mul_f32_e32 v3, 0x7800000, v3
	s_delay_alu instid0(VALU_DEP_1) | instskip(NEXT) | instid1(VALU_DEP_1)
	v_cndmask_b32_e32 v1, v3, v5, vcc_lo
	v_and_or_b32 v0, 0x80000000, v0, v1
	v_bfe_u32 v1, v1, 16, 1
	s_delay_alu instid0(VALU_DEP_2) | instskip(NEXT) | instid1(VALU_DEP_2)
	v_cmp_o_f32_e32 vcc_lo, v0, v0
	v_add3_u32 v1, v0, v1, 0x7fff
	s_delay_alu instid0(VALU_DEP_1) | instskip(NEXT) | instid1(VALU_DEP_1)
	v_lshrrev_b32_e32 v1, 16, v1
	v_cndmask_b32_e32 v3, 0x7fc0, v1, vcc_lo
.LBB167_1325:
	s_mov_b32 s7, 0
	s_mov_b32 s12, -1
.LBB167_1326:
	s_and_not1_b32 vcc_lo, exec_lo, s7
	s_mov_b32 s7, 0
	s_cbranch_vccnz .LBB167_1337
; %bb.1327:
	s_cmp_gt_i32 s1, 14
	s_cbranch_scc0 .LBB167_1330
; %bb.1328:
	s_cmp_eq_u32 s1, 15
	s_cbranch_scc0 .LBB167_1333
; %bb.1329:
	global_load_u16 v3, v[6:7], off
	s_mov_b32 s6, 0
	s_mov_b32 s12, -1
	s_branch .LBB167_1335
.LBB167_1330:
	s_mov_b32 s7, -1
	s_branch .LBB167_1334
.LBB167_1331:
	s_or_saveexec_b32 s12, s12
	v_mov_b32_e32 v1, 0x7f800001
	s_xor_b32 exec_lo, exec_lo, s12
	s_cbranch_execz .LBB167_1312
.LBB167_1332:
	v_cmp_ne_u16_e32 vcc_lo, 0, v0
	v_mov_b32_e32 v1, 0
	s_and_not1_b32 s7, s7, exec_lo
	s_and_b32 s14, vcc_lo, exec_lo
	s_delay_alu instid0(SALU_CYCLE_1)
	s_or_b32 s7, s7, s14
	s_or_b32 exec_lo, exec_lo, s12
	s_and_saveexec_b32 s12, s7
	s_cbranch_execnz .LBB167_1313
	s_branch .LBB167_1314
.LBB167_1333:
	s_mov_b32 s6, -1
.LBB167_1334:
                                        ; implicit-def: $vgpr3
.LBB167_1335:
	s_and_b32 vcc_lo, exec_lo, s7
	s_mov_b32 s7, 0
	s_cbranch_vccz .LBB167_1337
; %bb.1336:
	s_cmp_lg_u32 s1, 11
	s_mov_b32 s7, -1
	s_cselect_b32 s1, -1, 0
	s_and_not1_b32 s6, s6, exec_lo
	s_and_b32 s1, s1, exec_lo
	s_delay_alu instid0(SALU_CYCLE_1)
	s_or_b32 s6, s6, s1
.LBB167_1337:
	v_mov_b32_e32 v8, 0
.LBB167_1338:
	s_mov_b32 s1, 0
.LBB167_1339:
	s_delay_alu instid0(SALU_CYCLE_1)
	s_and_b32 s27, s1, exec_lo
	s_and_not1_b32 s1, s48, exec_lo
	s_and_b32 s6, s6, exec_lo
	s_and_b32 s26, s12, exec_lo
	s_and_b32 s51, s7, exec_lo
	s_or_b32 s52, s1, s6
.LBB167_1340:
	s_wait_xcnt 0x0
	s_or_b32 exec_lo, exec_lo, s37
	s_delay_alu instid0(SALU_CYCLE_1)
	s_and_not1_b32 s1, s48, exec_lo
	s_and_b32 s6, s52, exec_lo
	s_and_b32 s26, s26, exec_lo
	s_and_b32 s27, s27, exec_lo
	s_and_b32 s51, s51, exec_lo
	s_or_b32 s48, s1, s6
.LBB167_1341:
	s_or_b32 exec_lo, exec_lo, s47
	s_delay_alu instid0(SALU_CYCLE_1)
	s_and_not1_b32 s1, s44, exec_lo
	s_and_b32 s6, s49, exec_lo
	s_and_not1_b32 s7, s45, exec_lo
	s_and_b32 s12, s50, exec_lo
	s_or_b32 s44, s1, s6
	s_and_not1_b32 s1, s43, exec_lo
	s_and_b32 s6, s48, exec_lo
	s_or_b32 s45, s7, s12
	s_and_b32 s26, s26, exec_lo
	s_and_b32 s27, s27, exec_lo
	;; [unrolled: 1-line block ×3, first 2 shown]
	s_or_b32 s43, s1, s6
.LBB167_1342:
	s_or_b32 exec_lo, exec_lo, s46
	s_delay_alu instid0(SALU_CYCLE_1)
	s_and_not1_b32 s1, s39, exec_lo
	s_and_b32 s6, s44, exec_lo
	s_and_not1_b32 s7, s40, exec_lo
	s_and_b32 s12, s45, exec_lo
	s_or_b32 s39, s1, s6
	s_and_not1_b32 s1, s41, exec_lo
	s_and_b32 s6, s43, exec_lo
	s_or_b32 s40, s7, s12
	s_and_b32 s26, s26, exec_lo
	s_and_b32 s27, s27, exec_lo
	;; [unrolled: 1-line block ×3, first 2 shown]
	s_or_b32 s41, s1, s6
	s_or_b32 exec_lo, exec_lo, s42
	s_mov_b32 s1, 0
	s_and_saveexec_b32 s6, s41
	s_cbranch_execz .LBB167_415
.LBB167_1343:
	s_mov_b32 s1, exec_lo
	s_and_not1_b32 s21, s21, exec_lo
	s_trap 2
	s_or_b32 exec_lo, exec_lo, s6
	s_and_saveexec_b32 s6, s21
	s_delay_alu instid0(SALU_CYCLE_1)
	s_xor_b32 s6, exec_lo, s6
	s_cbranch_execnz .LBB167_416
.LBB167_1344:
	s_or_b32 exec_lo, exec_lo, s6
	s_and_saveexec_b32 s6, s27
	s_cbranch_execz .LBB167_1392
.LBB167_1345:
	s_sext_i32_i16 s7, s0
	s_delay_alu instid0(SALU_CYCLE_1)
	s_cmp_lt_i32 s7, 5
	s_cbranch_scc1 .LBB167_1350
; %bb.1346:
	s_cmp_lt_i32 s7, 8
	s_cbranch_scc1 .LBB167_1351
; %bb.1347:
	;; [unrolled: 3-line block ×3, first 2 shown]
	s_cmp_gt_i32 s7, 9
	s_cbranch_scc0 .LBB167_1353
; %bb.1349:
	s_wait_loadcnt 0x0
	global_load_b128 v[8:11], v[6:7], off
	s_mov_b32 s7, 0
	s_wait_loadcnt 0x0
	v_cvt_f32_f64_e32 v0, v[8:9]
	v_cvt_f32_f64_e32 v1, v[10:11]
	s_delay_alu instid0(VALU_DEP_2) | instskip(NEXT) | instid1(VALU_DEP_2)
	v_bfe_u32 v3, v0, 16, 1
	v_bfe_u32 v5, v1, 16, 1
	v_cmp_o_f32_e32 vcc_lo, v0, v0
	s_delay_alu instid0(VALU_DEP_3) | instskip(NEXT) | instid1(VALU_DEP_3)
	v_add3_u32 v3, v0, v3, 0x7fff
	v_add3_u32 v5, v1, v5, 0x7fff
	s_delay_alu instid0(VALU_DEP_1) | instskip(NEXT) | instid1(VALU_DEP_3)
	v_and_b32_e32 v5, 0xffff0000, v5
	v_lshrrev_b32_e32 v3, 16, v3
	s_delay_alu instid0(VALU_DEP_1) | instskip(SKIP_1) | instid1(VALU_DEP_4)
	v_cndmask_b32_e32 v3, 0x7fc0, v3, vcc_lo
	v_cmp_o_f32_e32 vcc_lo, v1, v1
	v_cndmask_b32_e32 v8, 0x7fc00000, v5, vcc_lo
	s_branch .LBB167_1354
.LBB167_1350:
                                        ; implicit-def: $vgpr8
                                        ; implicit-def: $vgpr3
	s_branch .LBB167_1372
.LBB167_1351:
                                        ; implicit-def: $vgpr8
                                        ; implicit-def: $vgpr3
	s_branch .LBB167_1360
.LBB167_1352:
	s_mov_b32 s7, -1
                                        ; implicit-def: $vgpr8
                                        ; implicit-def: $vgpr3
	s_branch .LBB167_1357
.LBB167_1353:
	s_mov_b32 s7, -1
                                        ; implicit-def: $vgpr8
                                        ; implicit-def: $vgpr3
.LBB167_1354:
	s_delay_alu instid0(SALU_CYCLE_1)
	s_and_not1_b32 vcc_lo, exec_lo, s7
	s_cbranch_vccnz .LBB167_1356
; %bb.1355:
	s_wait_loadcnt 0x0
	global_load_b64 v[0:1], v[6:7], off
	s_wait_loadcnt 0x0
	v_bfe_u32 v3, v0, 16, 1
	v_bfe_u32 v5, v1, 16, 1
	v_cmp_o_f32_e32 vcc_lo, v0, v0
	s_delay_alu instid0(VALU_DEP_3) | instskip(NEXT) | instid1(VALU_DEP_3)
	v_add3_u32 v3, v0, v3, 0x7fff
	v_add3_u32 v5, v1, v5, 0x7fff
	s_delay_alu instid0(VALU_DEP_1) | instskip(NEXT) | instid1(VALU_DEP_3)
	v_and_b32_e32 v5, 0xffff0000, v5
	v_lshrrev_b32_e32 v3, 16, v3
	s_delay_alu instid0(VALU_DEP_1) | instskip(SKIP_1) | instid1(VALU_DEP_4)
	v_cndmask_b32_e32 v3, 0x7fc0, v3, vcc_lo
	v_cmp_o_f32_e32 vcc_lo, v1, v1
	v_cndmask_b32_e32 v8, 0x7fc00000, v5, vcc_lo
.LBB167_1356:
	s_mov_b32 s7, 0
.LBB167_1357:
	s_delay_alu instid0(SALU_CYCLE_1)
	s_and_not1_b32 vcc_lo, exec_lo, s7
	s_cbranch_vccnz .LBB167_1359
; %bb.1358:
	s_wait_loadcnt 0x0
	global_load_b32 v0, v[6:7], off
	s_wait_loadcnt 0x0
	v_cvt_f32_f16_e32 v3, v0
	v_cmp_o_f16_e32 vcc_lo, v0, v0
	s_delay_alu instid0(VALU_DEP_2) | instskip(NEXT) | instid1(VALU_DEP_1)
	v_bfe_u32 v8, v3, 16, 1
	v_add3_u32 v3, v3, v8, 0x7fff
	s_delay_alu instid0(VALU_DEP_1) | instskip(NEXT) | instid1(VALU_DEP_1)
	v_dual_lshrrev_b32 v1, 16, v0 :: v_dual_lshrrev_b32 v3, 16, v3
	v_cvt_f32_f16_e32 v5, v1
	s_delay_alu instid0(VALU_DEP_2) | instskip(NEXT) | instid1(VALU_DEP_2)
	v_cndmask_b32_e32 v3, 0x7fc0, v3, vcc_lo
	v_bfe_u32 v9, v5, 16, 1
	v_cmp_o_f16_e32 vcc_lo, v1, v1
	s_delay_alu instid0(VALU_DEP_2) | instskip(NEXT) | instid1(VALU_DEP_1)
	v_add3_u32 v5, v5, v9, 0x7fff
	v_and_b32_e32 v5, 0xffff0000, v5
	s_delay_alu instid0(VALU_DEP_1)
	v_cndmask_b32_e32 v8, 0x7fc00000, v5, vcc_lo
.LBB167_1359:
	s_cbranch_execnz .LBB167_1371
.LBB167_1360:
	s_sext_i32_i16 s7, s0
	s_delay_alu instid0(SALU_CYCLE_1)
	s_cmp_lt_i32 s7, 6
	s_cbranch_scc1 .LBB167_1363
; %bb.1361:
	s_cmp_gt_i32 s7, 6
	s_cbranch_scc0 .LBB167_1364
; %bb.1362:
	s_wait_loadcnt 0x0
	global_load_b64 v[0:1], v[6:7], off
	s_mov_b32 s7, 0
	s_wait_loadcnt 0x0
	v_cvt_f32_f64_e32 v0, v[0:1]
	s_delay_alu instid0(VALU_DEP_1) | instskip(SKIP_1) | instid1(VALU_DEP_2)
	v_bfe_u32 v1, v0, 16, 1
	v_cmp_o_f32_e32 vcc_lo, v0, v0
	v_add3_u32 v1, v0, v1, 0x7fff
	s_delay_alu instid0(VALU_DEP_1) | instskip(NEXT) | instid1(VALU_DEP_1)
	v_lshrrev_b32_e32 v1, 16, v1
	v_cndmask_b32_e32 v3, 0x7fc0, v1, vcc_lo
	s_branch .LBB167_1365
.LBB167_1363:
	s_mov_b32 s7, -1
                                        ; implicit-def: $vgpr3
	s_branch .LBB167_1368
.LBB167_1364:
	s_mov_b32 s7, -1
                                        ; implicit-def: $vgpr3
.LBB167_1365:
	s_delay_alu instid0(SALU_CYCLE_1)
	s_and_not1_b32 vcc_lo, exec_lo, s7
	s_cbranch_vccnz .LBB167_1367
; %bb.1366:
	s_wait_loadcnt 0x0
	global_load_b32 v0, v[6:7], off
	s_wait_loadcnt 0x0
	v_bfe_u32 v1, v0, 16, 1
	v_cmp_o_f32_e32 vcc_lo, v0, v0
	s_delay_alu instid0(VALU_DEP_2) | instskip(NEXT) | instid1(VALU_DEP_1)
	v_add3_u32 v1, v0, v1, 0x7fff
	v_lshrrev_b32_e32 v1, 16, v1
	s_delay_alu instid0(VALU_DEP_1)
	v_cndmask_b32_e32 v3, 0x7fc0, v1, vcc_lo
.LBB167_1367:
	s_mov_b32 s7, 0
.LBB167_1368:
	s_delay_alu instid0(SALU_CYCLE_1)
	s_and_not1_b32 vcc_lo, exec_lo, s7
	s_cbranch_vccnz .LBB167_1370
; %bb.1369:
	s_wait_loadcnt 0x0
	global_load_u16 v0, v[6:7], off
	s_wait_loadcnt 0x0
	v_cvt_f32_f16_e32 v1, v0
	v_cmp_o_f16_e32 vcc_lo, v0, v0
	s_delay_alu instid0(VALU_DEP_2) | instskip(NEXT) | instid1(VALU_DEP_1)
	v_bfe_u32 v3, v1, 16, 1
	v_add3_u32 v1, v1, v3, 0x7fff
	s_delay_alu instid0(VALU_DEP_1) | instskip(NEXT) | instid1(VALU_DEP_1)
	v_lshrrev_b32_e32 v1, 16, v1
	v_cndmask_b32_e32 v3, 0x7fc0, v1, vcc_lo
.LBB167_1370:
	v_mov_b32_e32 v8, 0
.LBB167_1371:
	s_cbranch_execnz .LBB167_1391
.LBB167_1372:
	s_sext_i32_i16 s7, s0
	s_delay_alu instid0(SALU_CYCLE_1)
	s_cmp_lt_i32 s7, 2
	s_cbranch_scc1 .LBB167_1376
; %bb.1373:
	s_cmp_lt_i32 s7, 3
	s_cbranch_scc1 .LBB167_1377
; %bb.1374:
	s_cmp_gt_i32 s7, 3
	s_cbranch_scc0 .LBB167_1378
; %bb.1375:
	s_wait_loadcnt 0x0
	global_load_b64 v[0:1], v[6:7], off
	s_mov_b32 s7, 0
	s_wait_loadcnt 0x0
	v_xor_b32_e32 v3, v0, v1
	v_cls_i32_e32 v5, v1
	s_delay_alu instid0(VALU_DEP_2) | instskip(NEXT) | instid1(VALU_DEP_1)
	v_ashrrev_i32_e32 v3, 31, v3
	v_add_nc_u32_e32 v3, 32, v3
	s_delay_alu instid0(VALU_DEP_1) | instskip(NEXT) | instid1(VALU_DEP_1)
	v_add_min_u32_e64 v3, v5, -1, v3
	v_lshlrev_b64_e32 v[0:1], v3, v[0:1]
	s_delay_alu instid0(VALU_DEP_1) | instskip(NEXT) | instid1(VALU_DEP_1)
	v_min_u32_e32 v0, 1, v0
	v_dual_sub_nc_u32 v1, 32, v3 :: v_dual_bitop2_b32 v0, v1, v0 bitop3:0x54
	s_delay_alu instid0(VALU_DEP_1) | instskip(NEXT) | instid1(VALU_DEP_1)
	v_cvt_f32_i32_e32 v0, v0
	v_ldexp_f32 v0, v0, v1
	s_delay_alu instid0(VALU_DEP_1) | instskip(NEXT) | instid1(VALU_DEP_1)
	v_bfe_u32 v1, v0, 16, 1
	v_add3_u32 v0, v0, v1, 0x7fff
	s_delay_alu instid0(VALU_DEP_1)
	v_lshrrev_b32_e32 v3, 16, v0
	s_branch .LBB167_1379
.LBB167_1376:
                                        ; implicit-def: $vgpr3
	s_branch .LBB167_1385
.LBB167_1377:
	s_mov_b32 s7, -1
                                        ; implicit-def: $vgpr3
	s_branch .LBB167_1382
.LBB167_1378:
	s_mov_b32 s7, -1
                                        ; implicit-def: $vgpr3
.LBB167_1379:
	s_delay_alu instid0(SALU_CYCLE_1)
	s_and_not1_b32 vcc_lo, exec_lo, s7
	s_cbranch_vccnz .LBB167_1381
; %bb.1380:
	s_wait_loadcnt 0x0
	global_load_b32 v0, v[6:7], off
	s_wait_loadcnt 0x0
	v_cvt_f32_i32_e32 v0, v0
	s_delay_alu instid0(VALU_DEP_1) | instskip(NEXT) | instid1(VALU_DEP_1)
	v_bfe_u32 v1, v0, 16, 1
	v_add3_u32 v0, v0, v1, 0x7fff
	s_delay_alu instid0(VALU_DEP_1)
	v_lshrrev_b32_e32 v3, 16, v0
.LBB167_1381:
	s_mov_b32 s7, 0
.LBB167_1382:
	s_delay_alu instid0(SALU_CYCLE_1)
	s_and_not1_b32 vcc_lo, exec_lo, s7
	s_cbranch_vccnz .LBB167_1384
; %bb.1383:
	s_wait_loadcnt 0x0
	global_load_i16 v0, v[6:7], off
	s_wait_loadcnt 0x0
	v_cvt_f32_i32_e32 v0, v0
	s_delay_alu instid0(VALU_DEP_1) | instskip(NEXT) | instid1(VALU_DEP_1)
	v_bfe_u32 v1, v0, 16, 1
	v_add3_u32 v0, v0, v1, 0x7fff
	s_delay_alu instid0(VALU_DEP_1)
	v_lshrrev_b32_e32 v3, 16, v0
.LBB167_1384:
	s_cbranch_execnz .LBB167_1390
.LBB167_1385:
	s_sext_i32_i16 s0, s0
	s_delay_alu instid0(SALU_CYCLE_1)
	s_cmp_gt_i32 s0, 0
	s_mov_b32 s0, 0
	s_cbranch_scc0 .LBB167_1387
; %bb.1386:
	s_wait_loadcnt 0x0
	global_load_i8 v0, v[6:7], off
	s_wait_loadcnt 0x0
	v_cvt_f32_i32_e32 v0, v0
	s_delay_alu instid0(VALU_DEP_1) | instskip(NEXT) | instid1(VALU_DEP_1)
	v_bfe_u32 v1, v0, 16, 1
	v_add3_u32 v0, v0, v1, 0x7fff
	s_delay_alu instid0(VALU_DEP_1)
	v_lshrrev_b32_e32 v3, 16, v0
	s_branch .LBB167_1388
.LBB167_1387:
	s_mov_b32 s0, -1
                                        ; implicit-def: $vgpr3
.LBB167_1388:
	s_delay_alu instid0(SALU_CYCLE_1)
	s_and_not1_b32 vcc_lo, exec_lo, s0
	s_cbranch_vccnz .LBB167_1390
; %bb.1389:
	s_wait_loadcnt 0x0
	global_load_u8 v0, v[6:7], off
	s_wait_loadcnt 0x0
	v_cvt_f32_ubyte0_e32 v0, v0
	s_delay_alu instid0(VALU_DEP_1) | instskip(NEXT) | instid1(VALU_DEP_1)
	v_bfe_u32 v1, v0, 16, 1
	v_add3_u32 v0, v0, v1, 0x7fff
	s_delay_alu instid0(VALU_DEP_1)
	v_lshrrev_b32_e32 v3, 16, v0
.LBB167_1390:
	v_mov_b32_e32 v8, 0
.LBB167_1391:
	s_or_b32 s26, s26, exec_lo
.LBB167_1392:
	s_wait_xcnt 0x0
	s_or_b32 exec_lo, exec_lo, s6
	s_mov_b32 s14, 0
	s_mov_b32 s7, 0
	;; [unrolled: 1-line block ×3, first 2 shown]
                                        ; implicit-def: $sgpr0
                                        ; implicit-def: $vgpr0_vgpr1
                                        ; implicit-def: $vgpr6
                                        ; implicit-def: $vgpr5
	s_and_saveexec_b32 s6, s26
	s_cbranch_execz .LBB167_1400
; %bb.1393:
	v_mov_b32_e32 v5, 0
	s_and_b32 s0, s13, 0xff
	s_delay_alu instid0(SALU_CYCLE_1) | instskip(SKIP_1) | instid1(VALU_DEP_1)
	s_cmp_lt_i32 s0, 11
	s_wait_loadcnt 0x0
	v_add_nc_u64_e32 v[0:1], s[8:9], v[4:5]
	s_cbranch_scc1 .LBB167_1403
; %bb.1394:
	s_and_b32 s7, 0xffff, s0
	s_mov_b32 s9, 0
	s_cmp_gt_i32 s7, 25
	s_cbranch_scc0 .LBB167_1404
; %bb.1395:
	s_cmp_gt_i32 s7, 28
	s_cbranch_scc0 .LBB167_1405
; %bb.1396:
	;; [unrolled: 3-line block ×4, first 2 shown]
	s_cmp_eq_u32 s7, 46
	s_mov_b32 s13, 0
	s_cbranch_scc0 .LBB167_1408
; %bb.1399:
	global_load_b32 v5, v[0:1], off
	s_mov_b32 s8, 0
	s_mov_b32 s12, -1
	s_wait_loadcnt 0x0
	v_and_b32_e32 v6, 0xffff0000, v5
	s_branch .LBB167_1410
.LBB167_1400:
	s_or_b32 exec_lo, exec_lo, s6
	s_and_saveexec_b32 s6, s40
	s_cbranch_execnz .LBB167_1476
.LBB167_1401:
	s_or_b32 exec_lo, exec_lo, s6
	s_and_saveexec_b32 s6, s14
	s_delay_alu instid0(SALU_CYCLE_1)
	s_xor_b32 s6, exec_lo, s6
	s_cbranch_execz .LBB167_1477
.LBB167_1402:
	s_wait_loadcnt 0x0
	global_load_u8 v4, v[0:1], off
	s_or_b32 s12, s12, exec_lo
	v_mov_b32_e32 v6, 0
	s_wait_loadcnt 0x0
	v_cmp_ne_u16_e32 vcc_lo, 0, v4
	v_cndmask_b32_e64 v4, 0, 1.0, vcc_lo
	s_delay_alu instid0(VALU_DEP_1)
	v_lshrrev_b32_e32 v5, 16, v4
	s_wait_xcnt 0x0
	s_or_b32 exec_lo, exec_lo, s6
	s_and_saveexec_b32 s6, s7
	s_cbranch_execz .LBB167_1525
	s_branch .LBB167_1478
.LBB167_1403:
	s_mov_b32 s7, -1
	s_mov_b32 s9, 0
	s_mov_b32 s8, s40
                                        ; implicit-def: $vgpr6
                                        ; implicit-def: $vgpr5
	s_branch .LBB167_1475
.LBB167_1404:
	s_mov_b32 s8, s40
                                        ; implicit-def: $vgpr6
                                        ; implicit-def: $vgpr5
	s_cbranch_execnz .LBB167_1441
	s_branch .LBB167_1474
.LBB167_1405:
	s_mov_b32 s13, -1
	s_mov_b32 s8, s40
                                        ; implicit-def: $vgpr6
                                        ; implicit-def: $vgpr5
	s_branch .LBB167_1422
.LBB167_1406:
	s_mov_b32 s13, -1
	s_mov_b32 s8, s40
                                        ; implicit-def: $vgpr6
                                        ; implicit-def: $vgpr5
	s_branch .LBB167_1416
.LBB167_1407:
	s_mov_b32 s13, -1
	s_mov_b32 s8, s40
	s_branch .LBB167_1409
.LBB167_1408:
	s_mov_b32 s8, -1
.LBB167_1409:
                                        ; implicit-def: $vgpr6
                                        ; implicit-def: $vgpr5
.LBB167_1410:
	s_and_b32 vcc_lo, exec_lo, s13
	s_cbranch_vccz .LBB167_1415
; %bb.1411:
	s_cmp_eq_u32 s7, 44
	s_cbranch_scc0 .LBB167_1413
; %bb.1412:
	global_load_u8 v4, v[0:1], off
	s_mov_b32 s8, 0
	s_mov_b32 s12, -1
	s_wait_loadcnt 0x0
	v_lshlrev_b32_e32 v5, 23, v4
	v_cmp_ne_u32_e32 vcc_lo, 0xff, v4
	s_delay_alu instid0(VALU_DEP_2) | instskip(SKIP_1) | instid1(VALU_DEP_2)
	v_cndmask_b32_e32 v5, 0x7f800001, v5, vcc_lo
	v_cmp_ne_u32_e32 vcc_lo, 0, v4
	v_cndmask_b32_e32 v4, 0x400000, v5, vcc_lo
	s_delay_alu instid0(VALU_DEP_1) | instskip(NEXT) | instid1(VALU_DEP_1)
	v_add_nc_u32_e32 v5, 0x7fff, v4
	v_lshrrev_b32_e32 v5, 16, v5
	v_cmp_o_f32_e32 vcc_lo, v4, v4
	s_delay_alu instid0(VALU_DEP_2)
	v_cndmask_b32_e32 v5, 0x7fc0, v5, vcc_lo
	s_branch .LBB167_1414
.LBB167_1413:
	s_mov_b32 s8, -1
                                        ; implicit-def: $vgpr5
.LBB167_1414:
	v_mov_b32_e32 v6, 0
.LBB167_1415:
	s_mov_b32 s13, 0
.LBB167_1416:
	s_delay_alu instid0(SALU_CYCLE_1)
	s_and_b32 vcc_lo, exec_lo, s13
	s_cbranch_vccz .LBB167_1421
; %bb.1417:
	s_cmp_eq_u32 s7, 29
	s_cbranch_scc0 .LBB167_1419
; %bb.1418:
	global_load_b64 v[4:5], v[0:1], off
	s_mov_b32 s8, 0
	s_mov_b32 s12, -1
	s_wait_loadcnt 0x0
	v_clz_i32_u32_e32 v6, v5
	s_delay_alu instid0(VALU_DEP_1) | instskip(NEXT) | instid1(VALU_DEP_1)
	v_min_u32_e32 v6, 32, v6
	v_lshlrev_b64_e32 v[4:5], v6, v[4:5]
	s_delay_alu instid0(VALU_DEP_1) | instskip(NEXT) | instid1(VALU_DEP_1)
	v_min_u32_e32 v4, 1, v4
	v_dual_sub_nc_u32 v5, 32, v6 :: v_dual_bitop2_b32 v4, v5, v4 bitop3:0x54
	s_delay_alu instid0(VALU_DEP_1) | instskip(NEXT) | instid1(VALU_DEP_1)
	v_cvt_f32_u32_e32 v4, v4
	v_ldexp_f32 v4, v4, v5
	s_delay_alu instid0(VALU_DEP_1) | instskip(NEXT) | instid1(VALU_DEP_1)
	v_bfe_u32 v5, v4, 16, 1
	v_add3_u32 v4, v4, v5, 0x7fff
	s_delay_alu instid0(VALU_DEP_1)
	v_lshrrev_b32_e32 v5, 16, v4
	s_branch .LBB167_1420
.LBB167_1419:
	s_mov_b32 s8, -1
                                        ; implicit-def: $vgpr5
.LBB167_1420:
	v_mov_b32_e32 v6, 0
.LBB167_1421:
	s_mov_b32 s13, 0
.LBB167_1422:
	s_delay_alu instid0(SALU_CYCLE_1)
	s_and_b32 vcc_lo, exec_lo, s13
	s_cbranch_vccz .LBB167_1440
; %bb.1423:
	s_cmp_lt_i32 s7, 27
	s_cbranch_scc1 .LBB167_1426
; %bb.1424:
	s_cmp_gt_i32 s7, 27
	s_cbranch_scc0 .LBB167_1427
; %bb.1425:
	global_load_b32 v4, v[0:1], off
	s_mov_b32 s12, 0
	s_wait_loadcnt 0x0
	v_cvt_f32_u32_e32 v4, v4
	s_delay_alu instid0(VALU_DEP_1) | instskip(NEXT) | instid1(VALU_DEP_1)
	v_bfe_u32 v5, v4, 16, 1
	v_add3_u32 v4, v4, v5, 0x7fff
	s_delay_alu instid0(VALU_DEP_1)
	v_lshrrev_b32_e32 v5, 16, v4
	s_branch .LBB167_1428
.LBB167_1426:
	s_mov_b32 s12, -1
                                        ; implicit-def: $vgpr5
	s_branch .LBB167_1431
.LBB167_1427:
	s_mov_b32 s12, -1
                                        ; implicit-def: $vgpr5
.LBB167_1428:
	s_delay_alu instid0(SALU_CYCLE_1)
	s_and_not1_b32 vcc_lo, exec_lo, s12
	s_cbranch_vccnz .LBB167_1430
; %bb.1429:
	global_load_u16 v4, v[0:1], off
	s_wait_loadcnt 0x0
	v_cvt_f32_u32_e32 v4, v4
	s_delay_alu instid0(VALU_DEP_1) | instskip(NEXT) | instid1(VALU_DEP_1)
	v_bfe_u32 v5, v4, 16, 1
	v_add3_u32 v4, v4, v5, 0x7fff
	s_delay_alu instid0(VALU_DEP_1)
	v_lshrrev_b32_e32 v5, 16, v4
.LBB167_1430:
	s_mov_b32 s12, 0
.LBB167_1431:
	s_delay_alu instid0(SALU_CYCLE_1)
	s_and_not1_b32 vcc_lo, exec_lo, s12
	s_cbranch_vccnz .LBB167_1439
; %bb.1432:
	global_load_u8 v4, v[0:1], off
	s_mov_b32 s12, 0
	s_mov_b32 s13, exec_lo
	s_wait_loadcnt 0x0
	v_cmpx_lt_i16_e32 0x7f, v4
	s_xor_b32 s13, exec_lo, s13
	s_cbranch_execz .LBB167_1452
; %bb.1433:
	s_mov_b32 s12, -1
	s_mov_b32 s14, exec_lo
	v_cmpx_eq_u16_e32 0x80, v4
; %bb.1434:
	s_xor_b32 s12, exec_lo, -1
; %bb.1435:
	s_or_b32 exec_lo, exec_lo, s14
	s_delay_alu instid0(SALU_CYCLE_1)
	s_and_b32 s12, s12, exec_lo
	s_or_saveexec_b32 s13, s13
	v_mov_b32_e32 v5, 0x7f800001
	s_xor_b32 exec_lo, exec_lo, s13
	s_cbranch_execnz .LBB167_1453
.LBB167_1436:
	s_or_b32 exec_lo, exec_lo, s13
	s_and_saveexec_b32 s13, s12
	s_cbranch_execz .LBB167_1438
.LBB167_1437:
	v_and_b32_e32 v5, 0xffff, v4
	s_delay_alu instid0(VALU_DEP_1) | instskip(SKIP_1) | instid1(VALU_DEP_2)
	v_and_b32_e32 v6, 7, v5
	v_bfe_u32 v10, v5, 3, 4
	v_clz_i32_u32_e32 v7, v6
	s_delay_alu instid0(VALU_DEP_2) | instskip(NEXT) | instid1(VALU_DEP_2)
	v_cmp_eq_u32_e32 vcc_lo, 0, v10
	v_min_u32_e32 v7, 32, v7
	s_delay_alu instid0(VALU_DEP_1) | instskip(NEXT) | instid1(VALU_DEP_1)
	v_subrev_nc_u32_e32 v9, 28, v7
	v_dual_lshlrev_b32 v5, v9, v5 :: v_dual_sub_nc_u32 v7, 29, v7
	s_delay_alu instid0(VALU_DEP_1) | instskip(NEXT) | instid1(VALU_DEP_2)
	v_dual_lshlrev_b32 v4, 24, v4 :: v_dual_bitop2_b32 v5, 7, v5 bitop3:0x40
	v_cndmask_b32_e32 v7, v10, v7, vcc_lo
	s_delay_alu instid0(VALU_DEP_2) | instskip(NEXT) | instid1(VALU_DEP_3)
	v_cndmask_b32_e32 v5, v6, v5, vcc_lo
	v_and_b32_e32 v4, 0x80000000, v4
	s_delay_alu instid0(VALU_DEP_3) | instskip(NEXT) | instid1(VALU_DEP_3)
	v_lshl_add_u32 v6, v7, 23, 0x3b800000
	v_lshlrev_b32_e32 v5, 20, v5
	s_delay_alu instid0(VALU_DEP_1)
	v_or3_b32 v5, v4, v6, v5
.LBB167_1438:
	s_or_b32 exec_lo, exec_lo, s13
	s_delay_alu instid0(VALU_DEP_1) | instskip(SKIP_1) | instid1(VALU_DEP_2)
	v_bfe_u32 v4, v5, 16, 1
	v_cmp_o_f32_e32 vcc_lo, v5, v5
	v_add3_u32 v4, v5, v4, 0x7fff
	s_delay_alu instid0(VALU_DEP_1) | instskip(NEXT) | instid1(VALU_DEP_1)
	v_lshrrev_b32_e32 v4, 16, v4
	v_cndmask_b32_e32 v5, 0x7fc0, v4, vcc_lo
.LBB167_1439:
	v_mov_b32_e32 v6, 0
	s_mov_b32 s12, -1
.LBB167_1440:
	s_branch .LBB167_1474
.LBB167_1441:
	s_cmp_gt_i32 s7, 22
	s_cbranch_scc0 .LBB167_1451
; %bb.1442:
	s_cmp_lt_i32 s7, 24
	s_cbranch_scc1 .LBB167_1454
; %bb.1443:
	s_cmp_gt_i32 s7, 24
	s_cbranch_scc0 .LBB167_1455
; %bb.1444:
	global_load_u8 v4, v[0:1], off
	s_mov_b32 s12, exec_lo
	s_wait_loadcnt 0x0
	v_cmpx_lt_i16_e32 0x7f, v4
	s_xor_b32 s12, exec_lo, s12
	s_cbranch_execz .LBB167_1467
; %bb.1445:
	s_mov_b32 s9, -1
	s_mov_b32 s13, exec_lo
	v_cmpx_eq_u16_e32 0x80, v4
; %bb.1446:
	s_xor_b32 s9, exec_lo, -1
; %bb.1447:
	s_or_b32 exec_lo, exec_lo, s13
	s_delay_alu instid0(SALU_CYCLE_1)
	s_and_b32 s9, s9, exec_lo
	s_or_saveexec_b32 s12, s12
	v_mov_b32_e32 v5, 0x7f800001
	s_xor_b32 exec_lo, exec_lo, s12
	s_cbranch_execnz .LBB167_1468
.LBB167_1448:
	s_or_b32 exec_lo, exec_lo, s12
	s_and_saveexec_b32 s12, s9
	s_cbranch_execz .LBB167_1450
.LBB167_1449:
	v_and_b32_e32 v5, 0xffff, v4
	s_delay_alu instid0(VALU_DEP_1) | instskip(SKIP_1) | instid1(VALU_DEP_2)
	v_and_b32_e32 v6, 3, v5
	v_bfe_u32 v10, v5, 2, 5
	v_clz_i32_u32_e32 v7, v6
	s_delay_alu instid0(VALU_DEP_2) | instskip(NEXT) | instid1(VALU_DEP_2)
	v_cmp_eq_u32_e32 vcc_lo, 0, v10
	v_min_u32_e32 v7, 32, v7
	s_delay_alu instid0(VALU_DEP_1) | instskip(NEXT) | instid1(VALU_DEP_1)
	v_subrev_nc_u32_e32 v9, 29, v7
	v_dual_lshlrev_b32 v5, v9, v5 :: v_dual_sub_nc_u32 v7, 30, v7
	s_delay_alu instid0(VALU_DEP_1) | instskip(NEXT) | instid1(VALU_DEP_2)
	v_dual_lshlrev_b32 v4, 24, v4 :: v_dual_bitop2_b32 v5, 3, v5 bitop3:0x40
	v_cndmask_b32_e32 v7, v10, v7, vcc_lo
	s_delay_alu instid0(VALU_DEP_2) | instskip(NEXT) | instid1(VALU_DEP_3)
	v_cndmask_b32_e32 v5, v6, v5, vcc_lo
	v_and_b32_e32 v4, 0x80000000, v4
	s_delay_alu instid0(VALU_DEP_3) | instskip(NEXT) | instid1(VALU_DEP_3)
	v_lshl_add_u32 v6, v7, 23, 0x37800000
	v_lshlrev_b32_e32 v5, 21, v5
	s_delay_alu instid0(VALU_DEP_1)
	v_or3_b32 v5, v4, v6, v5
.LBB167_1450:
	s_or_b32 exec_lo, exec_lo, s12
	s_delay_alu instid0(VALU_DEP_1) | instskip(SKIP_2) | instid1(VALU_DEP_2)
	v_bfe_u32 v4, v5, 16, 1
	v_cmp_o_f32_e32 vcc_lo, v5, v5
	s_mov_b32 s9, 0
	v_add3_u32 v4, v5, v4, 0x7fff
	s_delay_alu instid0(VALU_DEP_1) | instskip(NEXT) | instid1(VALU_DEP_1)
	v_lshrrev_b32_e32 v4, 16, v4
	v_cndmask_b32_e32 v5, 0x7fc0, v4, vcc_lo
	s_branch .LBB167_1456
.LBB167_1451:
	s_mov_b32 s9, -1
                                        ; implicit-def: $vgpr5
	s_branch .LBB167_1462
.LBB167_1452:
	s_or_saveexec_b32 s13, s13
	v_mov_b32_e32 v5, 0x7f800001
	s_xor_b32 exec_lo, exec_lo, s13
	s_cbranch_execz .LBB167_1436
.LBB167_1453:
	v_cmp_ne_u16_e32 vcc_lo, 0, v4
	v_mov_b32_e32 v5, 0
	s_and_not1_b32 s12, s12, exec_lo
	s_and_b32 s14, vcc_lo, exec_lo
	s_delay_alu instid0(SALU_CYCLE_1)
	s_or_b32 s12, s12, s14
	s_or_b32 exec_lo, exec_lo, s13
	s_and_saveexec_b32 s13, s12
	s_cbranch_execnz .LBB167_1437
	s_branch .LBB167_1438
.LBB167_1454:
	s_mov_b32 s9, -1
                                        ; implicit-def: $vgpr5
	s_branch .LBB167_1459
.LBB167_1455:
	s_mov_b32 s9, -1
                                        ; implicit-def: $vgpr5
.LBB167_1456:
	s_delay_alu instid0(SALU_CYCLE_1)
	s_and_b32 vcc_lo, exec_lo, s9
	s_cbranch_vccz .LBB167_1458
; %bb.1457:
	global_load_u8 v4, v[0:1], off
	s_wait_loadcnt 0x0
	v_lshlrev_b32_e32 v4, 24, v4
	s_delay_alu instid0(VALU_DEP_1) | instskip(NEXT) | instid1(VALU_DEP_1)
	v_and_b32_e32 v5, 0x7f000000, v4
	v_clz_i32_u32_e32 v6, v5
	v_add_nc_u32_e32 v9, 0x1000000, v5
	v_cmp_ne_u32_e32 vcc_lo, 0, v5
	s_delay_alu instid0(VALU_DEP_3) | instskip(NEXT) | instid1(VALU_DEP_1)
	v_min_u32_e32 v6, 32, v6
	v_sub_nc_u32_e64 v6, v6, 4 clamp
	s_delay_alu instid0(VALU_DEP_1) | instskip(NEXT) | instid1(VALU_DEP_1)
	v_dual_lshlrev_b32 v7, v6, v5 :: v_dual_lshlrev_b32 v6, 23, v6
	v_lshrrev_b32_e32 v7, 4, v7
	s_delay_alu instid0(VALU_DEP_1) | instskip(NEXT) | instid1(VALU_DEP_1)
	v_dual_sub_nc_u32 v6, v7, v6 :: v_dual_ashrrev_i32 v7, 8, v9
	v_add_nc_u32_e32 v6, 0x3c000000, v6
	s_delay_alu instid0(VALU_DEP_1) | instskip(NEXT) | instid1(VALU_DEP_1)
	v_and_or_b32 v6, 0x7f800000, v7, v6
	v_cndmask_b32_e32 v5, 0, v6, vcc_lo
	s_delay_alu instid0(VALU_DEP_1) | instskip(SKIP_1) | instid1(VALU_DEP_2)
	v_and_or_b32 v4, 0x80000000, v4, v5
	v_bfe_u32 v5, v5, 16, 1
	v_cmp_o_f32_e32 vcc_lo, v4, v4
	s_delay_alu instid0(VALU_DEP_2) | instskip(NEXT) | instid1(VALU_DEP_1)
	v_add3_u32 v5, v4, v5, 0x7fff
	v_lshrrev_b32_e32 v5, 16, v5
	s_delay_alu instid0(VALU_DEP_1)
	v_cndmask_b32_e32 v5, 0x7fc0, v5, vcc_lo
.LBB167_1458:
	s_mov_b32 s9, 0
.LBB167_1459:
	s_delay_alu instid0(SALU_CYCLE_1)
	s_and_not1_b32 vcc_lo, exec_lo, s9
	s_cbranch_vccnz .LBB167_1461
; %bb.1460:
	global_load_u8 v4, v[0:1], off
	s_wait_loadcnt 0x0
	v_lshlrev_b32_e32 v5, 25, v4
	v_lshlrev_b16 v4, 8, v4
	s_delay_alu instid0(VALU_DEP_1) | instskip(SKIP_1) | instid1(VALU_DEP_2)
	v_and_or_b32 v7, 0x7f00, v4, 0.5
	v_bfe_i32 v4, v4, 0, 16
	v_dual_add_f32 v7, -0.5, v7 :: v_dual_lshrrev_b32 v6, 4, v5
	v_cmp_gt_u32_e32 vcc_lo, 0x8000000, v5
	s_delay_alu instid0(VALU_DEP_2) | instskip(NEXT) | instid1(VALU_DEP_1)
	v_or_b32_e32 v6, 0x70000000, v6
	v_mul_f32_e32 v6, 0x7800000, v6
	s_delay_alu instid0(VALU_DEP_1) | instskip(NEXT) | instid1(VALU_DEP_1)
	v_cndmask_b32_e32 v5, v6, v7, vcc_lo
	v_and_or_b32 v4, 0x80000000, v4, v5
	v_bfe_u32 v5, v5, 16, 1
	s_delay_alu instid0(VALU_DEP_2) | instskip(NEXT) | instid1(VALU_DEP_2)
	v_cmp_o_f32_e32 vcc_lo, v4, v4
	v_add3_u32 v5, v4, v5, 0x7fff
	s_delay_alu instid0(VALU_DEP_1) | instskip(NEXT) | instid1(VALU_DEP_1)
	v_lshrrev_b32_e32 v5, 16, v5
	v_cndmask_b32_e32 v5, 0x7fc0, v5, vcc_lo
.LBB167_1461:
	s_mov_b32 s9, 0
	s_mov_b32 s12, -1
.LBB167_1462:
	s_and_not1_b32 vcc_lo, exec_lo, s9
	s_mov_b32 s9, 0
	s_cbranch_vccnz .LBB167_1473
; %bb.1463:
	s_cmp_gt_i32 s7, 14
	s_cbranch_scc0 .LBB167_1466
; %bb.1464:
	s_cmp_eq_u32 s7, 15
	s_cbranch_scc0 .LBB167_1469
; %bb.1465:
	global_load_u16 v5, v[0:1], off
	s_mov_b32 s8, 0
	s_mov_b32 s12, -1
	s_branch .LBB167_1471
.LBB167_1466:
	s_mov_b32 s9, -1
	s_branch .LBB167_1470
.LBB167_1467:
	s_or_saveexec_b32 s12, s12
	v_mov_b32_e32 v5, 0x7f800001
	s_xor_b32 exec_lo, exec_lo, s12
	s_cbranch_execz .LBB167_1448
.LBB167_1468:
	v_cmp_ne_u16_e32 vcc_lo, 0, v4
	v_mov_b32_e32 v5, 0
	s_and_not1_b32 s9, s9, exec_lo
	s_and_b32 s13, vcc_lo, exec_lo
	s_delay_alu instid0(SALU_CYCLE_1)
	s_or_b32 s9, s9, s13
	s_or_b32 exec_lo, exec_lo, s12
	s_and_saveexec_b32 s12, s9
	s_cbranch_execnz .LBB167_1449
	s_branch .LBB167_1450
.LBB167_1469:
	s_mov_b32 s8, -1
.LBB167_1470:
                                        ; implicit-def: $vgpr5
.LBB167_1471:
	s_and_b32 vcc_lo, exec_lo, s9
	s_mov_b32 s9, 0
	s_cbranch_vccz .LBB167_1473
; %bb.1472:
	s_cmp_lg_u32 s7, 11
	s_mov_b32 s9, -1
	s_cselect_b32 s7, -1, 0
	s_and_not1_b32 s8, s8, exec_lo
	s_and_b32 s7, s7, exec_lo
	s_delay_alu instid0(SALU_CYCLE_1)
	s_or_b32 s8, s8, s7
.LBB167_1473:
	v_mov_b32_e32 v6, 0
.LBB167_1474:
	s_mov_b32 s7, 0
.LBB167_1475:
	s_and_not1_b32 s13, s40, exec_lo
	s_and_b32 s8, s8, exec_lo
	s_and_b32 s12, s12, exec_lo
	;; [unrolled: 1-line block ×4, first 2 shown]
	s_or_b32 s40, s13, s8
	s_wait_xcnt 0x0
	s_or_b32 exec_lo, exec_lo, s6
	s_and_saveexec_b32 s6, s40
	s_cbranch_execz .LBB167_1401
.LBB167_1476:
	s_or_b32 s1, s1, exec_lo
	s_and_not1_b32 s14, s14, exec_lo
	s_trap 2
	s_or_b32 exec_lo, exec_lo, s6
	s_and_saveexec_b32 s6, s14
	s_delay_alu instid0(SALU_CYCLE_1)
	s_xor_b32 s6, exec_lo, s6
	s_cbranch_execnz .LBB167_1402
.LBB167_1477:
	s_or_b32 exec_lo, exec_lo, s6
	s_and_saveexec_b32 s6, s7
	s_cbranch_execz .LBB167_1525
.LBB167_1478:
	s_sext_i32_i16 s7, s0
	s_delay_alu instid0(SALU_CYCLE_1)
	s_cmp_lt_i32 s7, 5
	s_cbranch_scc1 .LBB167_1483
; %bb.1479:
	s_cmp_lt_i32 s7, 8
	s_cbranch_scc1 .LBB167_1484
; %bb.1480:
	;; [unrolled: 3-line block ×3, first 2 shown]
	s_cmp_gt_i32 s7, 9
	s_cbranch_scc0 .LBB167_1486
; %bb.1482:
	s_wait_loadcnt 0x0
	global_load_b128 v[4:7], v[0:1], off
	s_mov_b32 s7, 0
	s_wait_loadcnt 0x0
	v_cvt_f32_f64_e32 v4, v[4:5]
	v_cvt_f32_f64_e32 v6, v[6:7]
	s_delay_alu instid0(VALU_DEP_2) | instskip(NEXT) | instid1(VALU_DEP_2)
	v_bfe_u32 v5, v4, 16, 1
	v_bfe_u32 v7, v6, 16, 1
	v_cmp_o_f32_e32 vcc_lo, v4, v4
	s_delay_alu instid0(VALU_DEP_3) | instskip(NEXT) | instid1(VALU_DEP_3)
	v_add3_u32 v5, v4, v5, 0x7fff
	v_add3_u32 v7, v6, v7, 0x7fff
	s_delay_alu instid0(VALU_DEP_1) | instskip(NEXT) | instid1(VALU_DEP_3)
	v_and_b32_e32 v7, 0xffff0000, v7
	v_lshrrev_b32_e32 v5, 16, v5
	s_delay_alu instid0(VALU_DEP_1) | instskip(SKIP_1) | instid1(VALU_DEP_4)
	v_cndmask_b32_e32 v5, 0x7fc0, v5, vcc_lo
	v_cmp_o_f32_e32 vcc_lo, v6, v6
	v_cndmask_b32_e32 v6, 0x7fc00000, v7, vcc_lo
	s_branch .LBB167_1487
.LBB167_1483:
                                        ; implicit-def: $vgpr6
                                        ; implicit-def: $vgpr5
	s_branch .LBB167_1505
.LBB167_1484:
                                        ; implicit-def: $vgpr6
                                        ; implicit-def: $vgpr5
	s_branch .LBB167_1493
.LBB167_1485:
	s_mov_b32 s7, -1
                                        ; implicit-def: $vgpr6
                                        ; implicit-def: $vgpr5
	s_branch .LBB167_1490
.LBB167_1486:
	s_mov_b32 s7, -1
                                        ; implicit-def: $vgpr6
                                        ; implicit-def: $vgpr5
.LBB167_1487:
	s_delay_alu instid0(SALU_CYCLE_1)
	s_and_not1_b32 vcc_lo, exec_lo, s7
	s_cbranch_vccnz .LBB167_1489
; %bb.1488:
	s_wait_loadcnt 0x0
	global_load_b64 v[6:7], v[0:1], off
	s_wait_loadcnt 0x0
	v_bfe_u32 v4, v6, 16, 1
	v_bfe_u32 v5, v7, 16, 1
	v_cmp_o_f32_e32 vcc_lo, v6, v6
	s_delay_alu instid0(VALU_DEP_3) | instskip(NEXT) | instid1(VALU_DEP_3)
	v_add3_u32 v4, v6, v4, 0x7fff
	v_add3_u32 v5, v7, v5, 0x7fff
	s_delay_alu instid0(VALU_DEP_2) | instskip(NEXT) | instid1(VALU_DEP_2)
	v_lshrrev_b32_e32 v4, 16, v4
	v_and_b32_e32 v9, 0xffff0000, v5
	s_delay_alu instid0(VALU_DEP_2) | instskip(SKIP_1) | instid1(VALU_DEP_3)
	v_cndmask_b32_e32 v5, 0x7fc0, v4, vcc_lo
	v_cmp_o_f32_e32 vcc_lo, v7, v7
	v_cndmask_b32_e32 v6, 0x7fc00000, v9, vcc_lo
.LBB167_1489:
	s_mov_b32 s7, 0
.LBB167_1490:
	s_delay_alu instid0(SALU_CYCLE_1)
	s_and_not1_b32 vcc_lo, exec_lo, s7
	s_cbranch_vccnz .LBB167_1492
; %bb.1491:
	s_wait_loadcnt 0x0
	global_load_b32 v4, v[0:1], off
	s_wait_loadcnt 0x0
	v_cvt_f32_f16_e32 v5, v4
	v_cmp_o_f16_e32 vcc_lo, v4, v4
	s_delay_alu instid0(VALU_DEP_2) | instskip(NEXT) | instid1(VALU_DEP_1)
	v_bfe_u32 v9, v5, 16, 1
	v_add3_u32 v5, v5, v9, 0x7fff
	s_delay_alu instid0(VALU_DEP_1) | instskip(NEXT) | instid1(VALU_DEP_1)
	v_dual_lshrrev_b32 v6, 16, v4 :: v_dual_lshrrev_b32 v5, 16, v5
	v_cvt_f32_f16_e32 v7, v6
	s_delay_alu instid0(VALU_DEP_2) | instskip(NEXT) | instid1(VALU_DEP_2)
	v_cndmask_b32_e32 v5, 0x7fc0, v5, vcc_lo
	v_bfe_u32 v10, v7, 16, 1
	v_cmp_o_f16_e32 vcc_lo, v6, v6
	s_delay_alu instid0(VALU_DEP_2) | instskip(NEXT) | instid1(VALU_DEP_1)
	v_add3_u32 v7, v7, v10, 0x7fff
	v_and_b32_e32 v7, 0xffff0000, v7
	s_delay_alu instid0(VALU_DEP_1)
	v_cndmask_b32_e32 v6, 0x7fc00000, v7, vcc_lo
.LBB167_1492:
	s_cbranch_execnz .LBB167_1504
.LBB167_1493:
	s_sext_i32_i16 s7, s0
	s_delay_alu instid0(SALU_CYCLE_1)
	s_cmp_lt_i32 s7, 6
	s_cbranch_scc1 .LBB167_1496
; %bb.1494:
	s_cmp_gt_i32 s7, 6
	s_cbranch_scc0 .LBB167_1497
; %bb.1495:
	s_wait_loadcnt 0x0
	global_load_b64 v[4:5], v[0:1], off
	s_mov_b32 s7, 0
	s_wait_loadcnt 0x0
	v_cvt_f32_f64_e32 v4, v[4:5]
	s_delay_alu instid0(VALU_DEP_1) | instskip(SKIP_1) | instid1(VALU_DEP_2)
	v_bfe_u32 v5, v4, 16, 1
	v_cmp_o_f32_e32 vcc_lo, v4, v4
	v_add3_u32 v5, v4, v5, 0x7fff
	s_delay_alu instid0(VALU_DEP_1) | instskip(NEXT) | instid1(VALU_DEP_1)
	v_lshrrev_b32_e32 v5, 16, v5
	v_cndmask_b32_e32 v5, 0x7fc0, v5, vcc_lo
	s_branch .LBB167_1498
.LBB167_1496:
	s_mov_b32 s7, -1
                                        ; implicit-def: $vgpr5
	s_branch .LBB167_1501
.LBB167_1497:
	s_mov_b32 s7, -1
                                        ; implicit-def: $vgpr5
.LBB167_1498:
	s_delay_alu instid0(SALU_CYCLE_1)
	s_and_not1_b32 vcc_lo, exec_lo, s7
	s_cbranch_vccnz .LBB167_1500
; %bb.1499:
	s_wait_loadcnt 0x0
	global_load_b32 v4, v[0:1], off
	s_wait_loadcnt 0x0
	v_bfe_u32 v5, v4, 16, 1
	v_cmp_o_f32_e32 vcc_lo, v4, v4
	s_delay_alu instid0(VALU_DEP_2) | instskip(NEXT) | instid1(VALU_DEP_1)
	v_add3_u32 v5, v4, v5, 0x7fff
	v_lshrrev_b32_e32 v5, 16, v5
	s_delay_alu instid0(VALU_DEP_1)
	v_cndmask_b32_e32 v5, 0x7fc0, v5, vcc_lo
.LBB167_1500:
	s_mov_b32 s7, 0
.LBB167_1501:
	s_delay_alu instid0(SALU_CYCLE_1)
	s_and_not1_b32 vcc_lo, exec_lo, s7
	s_cbranch_vccnz .LBB167_1503
; %bb.1502:
	s_wait_loadcnt 0x0
	global_load_u16 v4, v[0:1], off
	s_wait_loadcnt 0x0
	v_cvt_f32_f16_e32 v5, v4
	v_cmp_o_f16_e32 vcc_lo, v4, v4
	s_delay_alu instid0(VALU_DEP_2) | instskip(NEXT) | instid1(VALU_DEP_1)
	v_bfe_u32 v6, v5, 16, 1
	v_add3_u32 v5, v5, v6, 0x7fff
	s_delay_alu instid0(VALU_DEP_1) | instskip(NEXT) | instid1(VALU_DEP_1)
	v_lshrrev_b32_e32 v5, 16, v5
	v_cndmask_b32_e32 v5, 0x7fc0, v5, vcc_lo
.LBB167_1503:
	s_wait_loadcnt 0x0
	v_mov_b32_e32 v6, 0
.LBB167_1504:
	s_cbranch_execnz .LBB167_1524
.LBB167_1505:
	s_sext_i32_i16 s7, s0
	s_delay_alu instid0(SALU_CYCLE_1)
	s_cmp_lt_i32 s7, 2
	s_cbranch_scc1 .LBB167_1509
; %bb.1506:
	s_cmp_lt_i32 s7, 3
	s_cbranch_scc1 .LBB167_1510
; %bb.1507:
	s_cmp_gt_i32 s7, 3
	s_cbranch_scc0 .LBB167_1511
; %bb.1508:
	s_wait_loadcnt 0x0
	global_load_b64 v[4:5], v[0:1], off
	s_mov_b32 s7, 0
	s_wait_loadcnt 0x0
	v_xor_b32_e32 v6, v4, v5
	v_cls_i32_e32 v7, v5
	s_delay_alu instid0(VALU_DEP_2) | instskip(NEXT) | instid1(VALU_DEP_1)
	v_ashrrev_i32_e32 v6, 31, v6
	v_add_nc_u32_e32 v6, 32, v6
	s_delay_alu instid0(VALU_DEP_1) | instskip(NEXT) | instid1(VALU_DEP_1)
	v_add_min_u32_e64 v6, v7, -1, v6
	v_lshlrev_b64_e32 v[4:5], v6, v[4:5]
	s_delay_alu instid0(VALU_DEP_1) | instskip(NEXT) | instid1(VALU_DEP_1)
	v_min_u32_e32 v4, 1, v4
	v_dual_sub_nc_u32 v5, 32, v6 :: v_dual_bitop2_b32 v4, v5, v4 bitop3:0x54
	s_delay_alu instid0(VALU_DEP_1) | instskip(NEXT) | instid1(VALU_DEP_1)
	v_cvt_f32_i32_e32 v4, v4
	v_ldexp_f32 v4, v4, v5
	s_delay_alu instid0(VALU_DEP_1) | instskip(NEXT) | instid1(VALU_DEP_1)
	v_bfe_u32 v5, v4, 16, 1
	v_add3_u32 v4, v4, v5, 0x7fff
	s_delay_alu instid0(VALU_DEP_1)
	v_lshrrev_b32_e32 v5, 16, v4
	s_branch .LBB167_1512
.LBB167_1509:
                                        ; implicit-def: $vgpr5
	s_branch .LBB167_1518
.LBB167_1510:
	s_mov_b32 s7, -1
                                        ; implicit-def: $vgpr5
	s_branch .LBB167_1515
.LBB167_1511:
	s_mov_b32 s7, -1
                                        ; implicit-def: $vgpr5
.LBB167_1512:
	s_delay_alu instid0(SALU_CYCLE_1)
	s_and_not1_b32 vcc_lo, exec_lo, s7
	s_cbranch_vccnz .LBB167_1514
; %bb.1513:
	s_wait_loadcnt 0x0
	global_load_b32 v4, v[0:1], off
	s_wait_loadcnt 0x0
	v_cvt_f32_i32_e32 v4, v4
	s_delay_alu instid0(VALU_DEP_1) | instskip(NEXT) | instid1(VALU_DEP_1)
	v_bfe_u32 v5, v4, 16, 1
	v_add3_u32 v4, v4, v5, 0x7fff
	s_delay_alu instid0(VALU_DEP_1)
	v_lshrrev_b32_e32 v5, 16, v4
.LBB167_1514:
	s_mov_b32 s7, 0
.LBB167_1515:
	s_delay_alu instid0(SALU_CYCLE_1)
	s_and_not1_b32 vcc_lo, exec_lo, s7
	s_cbranch_vccnz .LBB167_1517
; %bb.1516:
	s_wait_loadcnt 0x0
	global_load_i16 v4, v[0:1], off
	s_wait_loadcnt 0x0
	v_cvt_f32_i32_e32 v4, v4
	s_delay_alu instid0(VALU_DEP_1) | instskip(NEXT) | instid1(VALU_DEP_1)
	v_bfe_u32 v5, v4, 16, 1
	v_add3_u32 v4, v4, v5, 0x7fff
	s_delay_alu instid0(VALU_DEP_1)
	v_lshrrev_b32_e32 v5, 16, v4
.LBB167_1517:
	s_cbranch_execnz .LBB167_1523
.LBB167_1518:
	s_sext_i32_i16 s0, s0
	s_delay_alu instid0(SALU_CYCLE_1)
	s_cmp_gt_i32 s0, 0
	s_mov_b32 s0, 0
	s_cbranch_scc0 .LBB167_1520
; %bb.1519:
	s_wait_loadcnt 0x0
	global_load_i8 v4, v[0:1], off
	s_wait_loadcnt 0x0
	v_cvt_f32_i32_e32 v4, v4
	s_delay_alu instid0(VALU_DEP_1) | instskip(NEXT) | instid1(VALU_DEP_1)
	v_bfe_u32 v5, v4, 16, 1
	v_add3_u32 v4, v4, v5, 0x7fff
	s_delay_alu instid0(VALU_DEP_1)
	v_lshrrev_b32_e32 v5, 16, v4
	s_branch .LBB167_1521
.LBB167_1520:
	s_mov_b32 s0, -1
                                        ; implicit-def: $vgpr5
.LBB167_1521:
	s_delay_alu instid0(SALU_CYCLE_1)
	s_and_not1_b32 vcc_lo, exec_lo, s0
	s_cbranch_vccnz .LBB167_1523
; %bb.1522:
	s_wait_loadcnt 0x0
	global_load_u8 v0, v[0:1], off
	s_wait_loadcnt 0x0
	v_cvt_f32_ubyte0_e32 v0, v0
	s_delay_alu instid0(VALU_DEP_1) | instskip(NEXT) | instid1(VALU_DEP_1)
	v_bfe_u32 v1, v0, 16, 1
	v_add3_u32 v0, v0, v1, 0x7fff
	s_delay_alu instid0(VALU_DEP_1)
	v_lshrrev_b32_e32 v5, 16, v0
.LBB167_1523:
	s_wait_loadcnt 0x0
	v_mov_b32_e32 v6, 0
.LBB167_1524:
	s_or_b32 s12, s12, exec_lo
.LBB167_1525:
	s_wait_xcnt 0x0
	s_or_b32 exec_lo, exec_lo, s6
	s_mov_b32 s0, 0
	s_mov_b32 s9, 0
                                        ; implicit-def: $sgpr6
                                        ; implicit-def: $sgpr7
                                        ; implicit-def: $vgpr0_vgpr1
	s_and_saveexec_b32 s8, s12
	s_cbranch_execz .LBB167_1536
; %bb.1526:
	s_wait_loadcnt 0x0
	v_and_b32_e32 v0, 0xffff, v5
	v_and_b32_e32 v1, 0xffff, v3
	s_and_not1_b32 vcc_lo, exec_lo, s10
	s_delay_alu instid0(VALU_DEP_2) | instskip(NEXT) | instid1(VALU_DEP_2)
	v_or_b32_e32 v3, v6, v0
	v_or_b32_e32 v4, v8, v1
	v_and_b32_e32 v0, 0xffff0000, v6
	s_delay_alu instid0(VALU_DEP_2)
	v_dual_lshlrev_b32 v1, 16, v3 :: v_dual_lshlrev_b32 v3, 16, v4
	v_and_b32_e32 v4, 0xffff0000, v8
	s_cbranch_vccnz .LBB167_1540
; %bb.1527:
	s_delay_alu instid0(VALU_DEP_2) | instskip(NEXT) | instid1(VALU_DEP_2)
	v_cmp_neq_f32_e32 vcc_lo, v3, v1
	v_cmp_neq_f32_e64 s0, v4, v0
	s_or_b32 s6, vcc_lo, s0
	s_cbranch_execnz .LBB167_1529
.LBB167_1528:
	s_delay_alu instid0(VALU_DEP_2) | instskip(NEXT) | instid1(VALU_DEP_2)
	v_cmp_eq_f32_e32 vcc_lo, v3, v1
	v_cmp_eq_f32_e64 s0, v4, v0
	s_and_not1_b32 s6, s6, exec_lo
	s_and_b32 s0, vcc_lo, s0
	s_delay_alu instid0(SALU_CYCLE_1) | instskip(NEXT) | instid1(SALU_CYCLE_1)
	s_and_b32 s0, s0, exec_lo
	s_or_b32 s6, s6, s0
.LBB167_1529:
	v_mov_b32_e32 v3, 0
	s_and_b32 s7, s11, 0xff
	s_delay_alu instid0(SALU_CYCLE_1) | instskip(NEXT) | instid1(VALU_DEP_1)
	s_cmp_lt_i32 s7, 11
	v_add_nc_u64_e32 v[0:1], s[4:5], v[2:3]
	s_cbranch_scc1 .LBB167_1539
; %bb.1530:
	s_and_b32 s4, 0xffff, s7
	s_mov_b32 s5, -1
	s_cmp_gt_i32 s4, 25
	s_mov_b32 s0, s39
	s_cbranch_scc0 .LBB167_1568
; %bb.1531:
	s_cmp_gt_i32 s4, 28
	s_mov_b32 s0, s39
	s_cbranch_scc0 .LBB167_1552
; %bb.1532:
	;; [unrolled: 4-line block ×4, first 2 shown]
	s_cmp_eq_u32 s4, 46
	s_mov_b32 s0, -1
	s_cbranch_scc0 .LBB167_1541
; %bb.1535:
	v_cndmask_b32_e64 v2, 0, 1.0, s6
	s_mov_b32 s0, 0
	s_mov_b32 s5, 0
	s_delay_alu instid0(VALU_DEP_1) | instskip(NEXT) | instid1(VALU_DEP_1)
	v_bfe_u32 v3, v2, 16, 1
	v_add3_u32 v2, v2, v3, 0x7fff
	s_delay_alu instid0(VALU_DEP_1)
	v_lshrrev_b32_e32 v2, 16, v2
	global_store_b32 v[0:1], v2, off
	s_branch .LBB167_1542
.LBB167_1536:
	s_or_b32 exec_lo, exec_lo, s8
	s_and_saveexec_b32 s4, s39
	s_cbranch_execnz .LBB167_1610
.LBB167_1537:
	s_or_b32 exec_lo, exec_lo, s4
	s_and_saveexec_b32 s4, s0
	s_delay_alu instid0(SALU_CYCLE_1)
	s_xor_b32 s0, exec_lo, s4
	s_cbranch_execz .LBB167_1611
.LBB167_1538:
	v_cndmask_b32_e64 v2, 0, 1, s6
	s_wait_loadcnt 0x0
	global_store_b8 v[0:1], v2, off
	s_wait_xcnt 0x0
	s_or_b32 exec_lo, exec_lo, s0
	s_and_saveexec_b32 s0, s9
	s_delay_alu instid0(SALU_CYCLE_1)
	s_xor_b32 s0, exec_lo, s0
	s_cbranch_execz .LBB167_1649
	s_branch .LBB167_1612
.LBB167_1539:
	s_mov_b32 s10, 0
	s_mov_b32 s5, -1
	s_mov_b32 s0, s39
	s_branch .LBB167_1609
.LBB167_1540:
                                        ; implicit-def: $sgpr6
	s_branch .LBB167_1528
.LBB167_1541:
	s_mov_b32 s5, 0
.LBB167_1542:
	s_delay_alu instid0(SALU_CYCLE_1)
	s_and_b32 vcc_lo, exec_lo, s5
	s_cbranch_vccz .LBB167_1547
; %bb.1543:
	s_cmp_eq_u32 s4, 44
	s_mov_b32 s0, -1
	s_cbranch_scc0 .LBB167_1547
; %bb.1544:
	v_cndmask_b32_e64 v4, 0, 1.0, s6
	s_mov_b32 s5, exec_lo
	s_wait_xcnt 0x0
	s_delay_alu instid0(VALU_DEP_1) | instskip(NEXT) | instid1(VALU_DEP_1)
	v_dual_mov_b32 v3, 0xff :: v_dual_lshrrev_b32 v2, 23, v4
	v_cmpx_ne_u32_e32 0xff, v2
; %bb.1545:
	v_and_b32_e32 v3, 0x400000, v4
	v_and_or_b32 v4, 0x3fffff, v4, v2
	s_delay_alu instid0(VALU_DEP_2) | instskip(NEXT) | instid1(VALU_DEP_2)
	v_cmp_ne_u32_e32 vcc_lo, 0, v3
	v_cmp_ne_u32_e64 s0, 0, v4
	s_and_b32 s0, vcc_lo, s0
	s_delay_alu instid0(SALU_CYCLE_1) | instskip(NEXT) | instid1(VALU_DEP_1)
	v_cndmask_b32_e64 v3, 0, 1, s0
	v_add_nc_u32_e32 v3, v2, v3
; %bb.1546:
	s_or_b32 exec_lo, exec_lo, s5
	s_mov_b32 s0, 0
	global_store_b8 v[0:1], v3, off
.LBB167_1547:
	s_mov_b32 s5, 0
.LBB167_1548:
	s_delay_alu instid0(SALU_CYCLE_1)
	s_and_b32 vcc_lo, exec_lo, s5
	s_cbranch_vccz .LBB167_1551
; %bb.1549:
	s_cmp_eq_u32 s4, 29
	s_mov_b32 s0, -1
	s_cbranch_scc0 .LBB167_1551
; %bb.1550:
	s_mov_b32 s0, 0
	s_wait_xcnt 0x0
	v_cndmask_b32_e64 v2, 0, 1, s6
	v_mov_b32_e32 v3, s0
	s_mov_b32 s5, 0
	global_store_b64 v[0:1], v[2:3], off
	s_branch .LBB167_1552
.LBB167_1551:
	s_mov_b32 s5, 0
.LBB167_1552:
	s_delay_alu instid0(SALU_CYCLE_1)
	s_and_b32 vcc_lo, exec_lo, s5
	s_cbranch_vccz .LBB167_1567
; %bb.1553:
	s_cmp_lt_i32 s4, 27
	s_mov_b32 s5, -1
	s_cbranch_scc1 .LBB167_1559
; %bb.1554:
	s_cmp_gt_i32 s4, 27
	s_cbranch_scc0 .LBB167_1556
; %bb.1555:
	s_wait_xcnt 0x0
	v_cndmask_b32_e64 v2, 0, 1, s6
	s_mov_b32 s5, 0
	global_store_b32 v[0:1], v2, off
.LBB167_1556:
	s_and_not1_b32 vcc_lo, exec_lo, s5
	s_cbranch_vccnz .LBB167_1558
; %bb.1557:
	s_wait_xcnt 0x0
	v_cndmask_b32_e64 v2, 0, 1, s6
	global_store_b16 v[0:1], v2, off
.LBB167_1558:
	s_mov_b32 s5, 0
.LBB167_1559:
	s_delay_alu instid0(SALU_CYCLE_1)
	s_and_not1_b32 vcc_lo, exec_lo, s5
	s_cbranch_vccnz .LBB167_1567
; %bb.1560:
	s_wait_xcnt 0x0
	v_cndmask_b32_e64 v3, 0, 1.0, s6
	v_mov_b32_e32 v4, 0x80
	s_mov_b32 s5, exec_lo
	s_delay_alu instid0(VALU_DEP_2)
	v_cmpx_gt_u32_e32 0x43800000, v3
	s_cbranch_execz .LBB167_1566
; %bb.1561:
	s_mov_b32 s10, exec_lo
                                        ; implicit-def: $vgpr2
	v_cmpx_lt_u32_e32 0x3bffffff, v3
	s_xor_b32 s10, exec_lo, s10
	s_cbranch_execz .LBB167_1708
; %bb.1562:
	v_bfe_u32 v2, v3, 20, 1
	s_mov_b32 s9, exec_lo
	s_delay_alu instid0(VALU_DEP_1) | instskip(NEXT) | instid1(VALU_DEP_1)
	v_add3_u32 v2, v3, v2, 0x487ffff
                                        ; implicit-def: $vgpr3
	v_lshrrev_b32_e32 v2, 20, v2
	s_and_not1_saveexec_b32 s10, s10
	s_cbranch_execnz .LBB167_1709
.LBB167_1563:
	s_or_b32 exec_lo, exec_lo, s10
	v_mov_b32_e32 v4, 0
	s_and_saveexec_b32 s10, s9
.LBB167_1564:
	v_mov_b32_e32 v4, v2
.LBB167_1565:
	s_or_b32 exec_lo, exec_lo, s10
.LBB167_1566:
	s_delay_alu instid0(SALU_CYCLE_1)
	s_or_b32 exec_lo, exec_lo, s5
	global_store_b8 v[0:1], v4, off
.LBB167_1567:
	s_mov_b32 s5, 0
.LBB167_1568:
	s_delay_alu instid0(SALU_CYCLE_1)
	s_and_b32 vcc_lo, exec_lo, s5
	s_mov_b32 s5, 0
	s_cbranch_vccz .LBB167_1608
; %bb.1569:
	s_cmp_gt_i32 s4, 22
	s_mov_b32 s9, -1
	s_cbranch_scc0 .LBB167_1601
; %bb.1570:
	s_cmp_lt_i32 s4, 24
	s_cbranch_scc1 .LBB167_1590
; %bb.1571:
	s_cmp_gt_i32 s4, 24
	s_cbranch_scc0 .LBB167_1579
; %bb.1572:
	s_wait_xcnt 0x0
	v_cndmask_b32_e64 v3, 0, 1.0, s6
	v_mov_b32_e32 v4, 0x80
	s_mov_b32 s9, exec_lo
	s_delay_alu instid0(VALU_DEP_2)
	v_cmpx_gt_u32_e32 0x47800000, v3
	s_cbranch_execz .LBB167_1578
; %bb.1573:
	s_mov_b32 s10, 0
	s_mov_b32 s11, exec_lo
                                        ; implicit-def: $vgpr2
	v_cmpx_lt_u32_e32 0x37ffffff, v3
	s_xor_b32 s11, exec_lo, s11
	s_cbranch_execz .LBB167_1839
; %bb.1574:
	v_bfe_u32 v2, v3, 21, 1
	s_mov_b32 s10, exec_lo
	s_delay_alu instid0(VALU_DEP_1) | instskip(NEXT) | instid1(VALU_DEP_1)
	v_add3_u32 v2, v3, v2, 0x88fffff
                                        ; implicit-def: $vgpr3
	v_lshrrev_b32_e32 v2, 21, v2
	s_and_not1_saveexec_b32 s11, s11
	s_cbranch_execnz .LBB167_1840
.LBB167_1575:
	s_or_b32 exec_lo, exec_lo, s11
	v_mov_b32_e32 v4, 0
	s_and_saveexec_b32 s11, s10
.LBB167_1576:
	v_mov_b32_e32 v4, v2
.LBB167_1577:
	s_or_b32 exec_lo, exec_lo, s11
.LBB167_1578:
	s_delay_alu instid0(SALU_CYCLE_1)
	s_or_b32 exec_lo, exec_lo, s9
	s_mov_b32 s9, 0
	global_store_b8 v[0:1], v4, off
.LBB167_1579:
	s_and_b32 vcc_lo, exec_lo, s9
	s_cbranch_vccz .LBB167_1589
; %bb.1580:
	s_wait_xcnt 0x0
	v_cndmask_b32_e64 v3, 0, 1.0, s6
	s_mov_b32 s9, exec_lo
                                        ; implicit-def: $vgpr2
	s_delay_alu instid0(VALU_DEP_1)
	v_cmpx_gt_u32_e32 0x43f00000, v3
	s_xor_b32 s9, exec_lo, s9
	s_cbranch_execz .LBB167_1586
; %bb.1581:
	s_mov_b32 s10, exec_lo
                                        ; implicit-def: $vgpr2
	v_cmpx_lt_u32_e32 0x3c7fffff, v3
	s_xor_b32 s10, exec_lo, s10
; %bb.1582:
	v_bfe_u32 v2, v3, 20, 1
	s_delay_alu instid0(VALU_DEP_1) | instskip(NEXT) | instid1(VALU_DEP_1)
	v_add3_u32 v2, v3, v2, 0x407ffff
	v_and_b32_e32 v3, 0xff00000, v2
	v_lshrrev_b32_e32 v2, 20, v2
	s_delay_alu instid0(VALU_DEP_2) | instskip(NEXT) | instid1(VALU_DEP_2)
	v_cmp_ne_u32_e32 vcc_lo, 0x7f00000, v3
                                        ; implicit-def: $vgpr3
	v_cndmask_b32_e32 v2, 0x7e, v2, vcc_lo
; %bb.1583:
	s_and_not1_saveexec_b32 s10, s10
; %bb.1584:
	v_add_f32_e32 v2, 0x46800000, v3
; %bb.1585:
	s_or_b32 exec_lo, exec_lo, s10
                                        ; implicit-def: $vgpr3
.LBB167_1586:
	s_and_not1_saveexec_b32 s9, s9
; %bb.1587:
	v_mov_b32_e32 v2, 0x7f
	v_cmp_lt_u32_e32 vcc_lo, 0x7f800000, v3
	s_delay_alu instid0(VALU_DEP_2)
	v_cndmask_b32_e32 v2, 0x7e, v2, vcc_lo
; %bb.1588:
	s_or_b32 exec_lo, exec_lo, s9
	global_store_b8 v[0:1], v2, off
.LBB167_1589:
	s_mov_b32 s9, 0
.LBB167_1590:
	s_delay_alu instid0(SALU_CYCLE_1)
	s_and_not1_b32 vcc_lo, exec_lo, s9
	s_cbranch_vccnz .LBB167_1600
; %bb.1591:
	s_wait_xcnt 0x0
	v_cndmask_b32_e64 v3, 0, 1.0, s6
	s_mov_b32 s9, exec_lo
                                        ; implicit-def: $vgpr2
	s_delay_alu instid0(VALU_DEP_1)
	v_cmpx_gt_u32_e32 0x47800000, v3
	s_xor_b32 s9, exec_lo, s9
	s_cbranch_execz .LBB167_1597
; %bb.1592:
	s_mov_b32 s10, exec_lo
                                        ; implicit-def: $vgpr2
	v_cmpx_lt_u32_e32 0x387fffff, v3
	s_xor_b32 s10, exec_lo, s10
; %bb.1593:
	v_bfe_u32 v2, v3, 21, 1
	s_delay_alu instid0(VALU_DEP_1) | instskip(NEXT) | instid1(VALU_DEP_1)
	v_add3_u32 v2, v3, v2, 0x80fffff
                                        ; implicit-def: $vgpr3
	v_lshrrev_b32_e32 v2, 21, v2
; %bb.1594:
	s_and_not1_saveexec_b32 s10, s10
; %bb.1595:
	v_add_f32_e32 v2, 0x43000000, v3
; %bb.1596:
	s_or_b32 exec_lo, exec_lo, s10
                                        ; implicit-def: $vgpr3
.LBB167_1597:
	s_and_not1_saveexec_b32 s9, s9
; %bb.1598:
	v_mov_b32_e32 v2, 0x7f
	v_cmp_lt_u32_e32 vcc_lo, 0x7f800000, v3
	s_delay_alu instid0(VALU_DEP_2)
	v_cndmask_b32_e32 v2, 0x7c, v2, vcc_lo
; %bb.1599:
	s_or_b32 exec_lo, exec_lo, s9
	global_store_b8 v[0:1], v2, off
.LBB167_1600:
	s_mov_b32 s9, 0
.LBB167_1601:
	s_delay_alu instid0(SALU_CYCLE_1)
	s_and_not1_b32 vcc_lo, exec_lo, s9
	s_mov_b32 s10, 0
	s_cbranch_vccnz .LBB167_1609
; %bb.1602:
	s_cmp_gt_i32 s4, 14
	s_mov_b32 s9, -1
	s_cbranch_scc0 .LBB167_1606
; %bb.1603:
	s_cmp_eq_u32 s4, 15
	s_mov_b32 s0, -1
	s_cbranch_scc0 .LBB167_1605
; %bb.1604:
	s_wait_xcnt 0x0
	v_cndmask_b32_e64 v2, 0, 1.0, s6
	s_mov_b32 s0, 0
	s_delay_alu instid0(VALU_DEP_1) | instskip(NEXT) | instid1(VALU_DEP_1)
	v_bfe_u32 v3, v2, 16, 1
	v_add3_u32 v2, v2, v3, 0x7fff
	global_store_d16_hi_b16 v[0:1], v2, off
.LBB167_1605:
	s_mov_b32 s9, 0
.LBB167_1606:
	s_delay_alu instid0(SALU_CYCLE_1)
	s_and_b32 vcc_lo, exec_lo, s9
	s_cbranch_vccz .LBB167_1609
; %bb.1607:
	s_cmp_lg_u32 s4, 11
	s_mov_b32 s10, -1
	s_cselect_b32 s4, -1, 0
	s_and_not1_b32 s0, s0, exec_lo
	s_and_b32 s4, s4, exec_lo
	s_delay_alu instid0(SALU_CYCLE_1)
	s_or_b32 s0, s0, s4
	s_branch .LBB167_1609
.LBB167_1608:
	s_mov_b32 s10, 0
.LBB167_1609:
	s_and_b32 s9, s5, exec_lo
	s_and_not1_b32 s4, s39, exec_lo
	s_and_b32 s5, s0, exec_lo
	s_and_b32 s0, s10, exec_lo
	s_or_b32 s39, s4, s5
	s_wait_xcnt 0x0
	s_or_b32 exec_lo, exec_lo, s8
	s_and_saveexec_b32 s4, s39
	s_cbranch_execz .LBB167_1537
.LBB167_1610:
	s_or_b32 s1, s1, exec_lo
	s_and_not1_b32 s0, s0, exec_lo
	s_trap 2
	s_or_b32 exec_lo, exec_lo, s4
	s_and_saveexec_b32 s4, s0
	s_delay_alu instid0(SALU_CYCLE_1)
	s_xor_b32 s0, exec_lo, s4
	s_cbranch_execnz .LBB167_1538
.LBB167_1611:
	s_or_b32 exec_lo, exec_lo, s0
	s_and_saveexec_b32 s0, s9
	s_delay_alu instid0(SALU_CYCLE_1)
	s_xor_b32 s0, exec_lo, s0
	s_cbranch_execz .LBB167_1649
.LBB167_1612:
	s_sext_i32_i16 s5, s7
	s_mov_b32 s4, -1
	s_cmp_lt_i32 s5, 5
	s_cbranch_scc1 .LBB167_1633
; %bb.1613:
	s_cmp_lt_i32 s5, 8
	s_cbranch_scc1 .LBB167_1623
; %bb.1614:
	;; [unrolled: 3-line block ×3, first 2 shown]
	s_cmp_gt_i32 s5, 9
	s_cbranch_scc0 .LBB167_1617
; %bb.1616:
	v_cndmask_b32_e64 v2, 0, 1, s6
	v_mov_b32_e32 v4, 0
	s_mov_b32 s4, 0
	s_wait_loadcnt 0x0
	s_delay_alu instid0(VALU_DEP_2) | instskip(NEXT) | instid1(VALU_DEP_2)
	v_cvt_f64_u32_e32 v[2:3], v2
	v_mov_b32_e32 v5, v4
	global_store_b128 v[0:1], v[2:5], off
.LBB167_1617:
	s_and_not1_b32 vcc_lo, exec_lo, s4
	s_cbranch_vccnz .LBB167_1619
; %bb.1618:
	s_wait_xcnt 0x0
	v_cndmask_b32_e64 v2, 0, 1.0, s6
	s_wait_loadcnt 0x0
	v_mov_b32_e32 v3, 0
	global_store_b64 v[0:1], v[2:3], off
.LBB167_1619:
	s_mov_b32 s4, 0
.LBB167_1620:
	s_delay_alu instid0(SALU_CYCLE_1)
	s_and_not1_b32 vcc_lo, exec_lo, s4
	s_cbranch_vccnz .LBB167_1622
; %bb.1621:
	s_wait_xcnt 0x0
	v_cndmask_b32_e64 v2, 0, 1.0, s6
	s_delay_alu instid0(VALU_DEP_1) | instskip(NEXT) | instid1(VALU_DEP_1)
	v_cvt_f16_f32_e32 v2, v2
	v_and_b32_e32 v2, 0xffff, v2
	s_wait_loadcnt 0x0
	global_store_b32 v[0:1], v2, off
.LBB167_1622:
	s_mov_b32 s4, 0
.LBB167_1623:
	s_delay_alu instid0(SALU_CYCLE_1)
	s_and_not1_b32 vcc_lo, exec_lo, s4
	s_cbranch_vccnz .LBB167_1632
; %bb.1624:
	s_sext_i32_i16 s5, s7
	s_mov_b32 s4, -1
	s_cmp_lt_i32 s5, 6
	s_cbranch_scc1 .LBB167_1630
; %bb.1625:
	s_cmp_gt_i32 s5, 6
	s_cbranch_scc0 .LBB167_1627
; %bb.1626:
	s_wait_xcnt 0x0
	v_cndmask_b32_e64 v2, 0, 1, s6
	s_mov_b32 s4, 0
	s_wait_loadcnt 0x0
	s_delay_alu instid0(VALU_DEP_1)
	v_cvt_f64_u32_e32 v[2:3], v2
	global_store_b64 v[0:1], v[2:3], off
.LBB167_1627:
	s_and_not1_b32 vcc_lo, exec_lo, s4
	s_cbranch_vccnz .LBB167_1629
; %bb.1628:
	s_wait_xcnt 0x0
	v_cndmask_b32_e64 v2, 0, 1.0, s6
	s_wait_loadcnt 0x0
	global_store_b32 v[0:1], v2, off
.LBB167_1629:
	s_mov_b32 s4, 0
.LBB167_1630:
	s_delay_alu instid0(SALU_CYCLE_1)
	s_and_not1_b32 vcc_lo, exec_lo, s4
	s_cbranch_vccnz .LBB167_1632
; %bb.1631:
	s_wait_xcnt 0x0
	v_cndmask_b32_e64 v2, 0, 1.0, s6
	s_delay_alu instid0(VALU_DEP_1)
	v_cvt_f16_f32_e32 v2, v2
	s_wait_loadcnt 0x0
	global_store_b16 v[0:1], v2, off
.LBB167_1632:
	s_mov_b32 s4, 0
.LBB167_1633:
	s_delay_alu instid0(SALU_CYCLE_1)
	s_and_not1_b32 vcc_lo, exec_lo, s4
	s_cbranch_vccnz .LBB167_1649
; %bb.1634:
	s_sext_i32_i16 s5, s7
	s_mov_b32 s4, -1
	s_cmp_lt_i32 s5, 2
	s_cbranch_scc1 .LBB167_1644
; %bb.1635:
	s_cmp_lt_i32 s5, 3
	s_cbranch_scc1 .LBB167_1641
; %bb.1636:
	s_cmp_gt_i32 s5, 3
	s_cbranch_scc0 .LBB167_1638
; %bb.1637:
	s_mov_b32 s4, 0
	s_wait_xcnt 0x0
	v_cndmask_b32_e64 v2, 0, 1, s6
	s_wait_loadcnt 0x0
	v_mov_b32_e32 v3, s4
	global_store_b64 v[0:1], v[2:3], off
.LBB167_1638:
	s_and_not1_b32 vcc_lo, exec_lo, s4
	s_cbranch_vccnz .LBB167_1640
; %bb.1639:
	s_wait_xcnt 0x0
	v_cndmask_b32_e64 v2, 0, 1, s6
	s_wait_loadcnt 0x0
	global_store_b32 v[0:1], v2, off
.LBB167_1640:
	s_mov_b32 s4, 0
.LBB167_1641:
	s_delay_alu instid0(SALU_CYCLE_1)
	s_and_not1_b32 vcc_lo, exec_lo, s4
	s_cbranch_vccnz .LBB167_1643
; %bb.1642:
	s_wait_xcnt 0x0
	v_cndmask_b32_e64 v2, 0, 1, s6
	s_wait_loadcnt 0x0
	global_store_b16 v[0:1], v2, off
.LBB167_1643:
	s_mov_b32 s4, 0
.LBB167_1644:
	s_delay_alu instid0(SALU_CYCLE_1)
	s_and_not1_b32 vcc_lo, exec_lo, s4
	s_cbranch_vccnz .LBB167_1649
; %bb.1645:
	s_wait_xcnt 0x0
	v_cndmask_b32_e64 v2, 0, 1, s6
	s_sext_i32_i16 s4, s7
	s_delay_alu instid0(SALU_CYCLE_1)
	s_cmp_gt_i32 s4, 0
	s_mov_b32 s4, -1
	s_cbranch_scc0 .LBB167_1647
; %bb.1646:
	s_mov_b32 s4, 0
	s_wait_loadcnt 0x0
	global_store_b8 v[0:1], v2, off
.LBB167_1647:
	s_and_not1_b32 vcc_lo, exec_lo, s4
	s_cbranch_vccnz .LBB167_1649
; %bb.1648:
	s_wait_loadcnt 0x0
	global_store_b8 v[0:1], v2, off
.LBB167_1649:
	s_wait_xcnt 0x0
	s_or_b32 exec_lo, exec_lo, s0
	s_delay_alu instid0(SALU_CYCLE_1)
	s_and_b32 s10, s1, exec_lo
                                        ; implicit-def: $vgpr1
                                        ; implicit-def: $vgpr0
.LBB167_1650:
	s_or_saveexec_b32 s11, s33
	s_mov_b32 s0, 0
                                        ; implicit-def: $sgpr6
                                        ; implicit-def: $vgpr2_vgpr3
                                        ; implicit-def: $sgpr7
	s_xor_b32 exec_lo, exec_lo, s11
	s_cbranch_execz .LBB167_2796
; %bb.1651:
	s_wait_loadcnt 0x0
	v_cndmask_b32_e64 v3, 0, 1, s31
	s_and_not1_b32 vcc_lo, exec_lo, s31
	s_cbranch_vccnz .LBB167_1657
; %bb.1652:
	s_cmp_lg_u32 s28, 0
	s_mov_b32 s4, 0
	s_cbranch_scc0 .LBB167_1661
; %bb.1653:
	s_min_u32 s5, s29, 15
	v_dual_mov_b32 v6, 0 :: v_dual_mov_b32 v2, v0
	v_dual_mov_b32 v22, 0 :: v_dual_mov_b32 v20, 0
	s_add_co_i32 s6, s5, 1
	s_mov_b64 s[0:1], 0xffffffffffffffe8
	s_and_b32 s6, s6, 30
	s_add_nc_u64 s[0:1], s[2:3], s[0:1]
.LBB167_1654:                           ; =>This Inner Loop Header: Depth=1
	s_clause 0x1
	s_load_b128 s[12:15], s[0:1], 0x1c
	s_load_b64 s[8:9], s[0:1], 0x2c
	s_add_co_i32 s6, s6, -2
	s_delay_alu instid0(SALU_CYCLE_1) | instskip(SKIP_2) | instid1(VALU_DEP_1)
	s_cmp_lg_u32 s6, 0
	s_wait_kmcnt 0x0
	v_mul_hi_u32 v4, s13, v2
	v_add_nc_u32_e32 v4, v2, v4
	s_delay_alu instid0(VALU_DEP_1) | instskip(NEXT) | instid1(VALU_DEP_1)
	v_lshrrev_b32_e32 v4, s14, v4
	v_mul_hi_u32 v5, s8, v4
	v_mul_lo_u32 v7, v4, s12
	s_clause 0x1
	s_load_b128 s[16:19], s[0:1], 0xdc
	s_load_b64 s[12:13], s[0:1], 0xec
	s_wait_xcnt 0x0
	s_add_nc_u64 s[0:1], s[0:1], 24
	s_delay_alu instid0(VALU_DEP_1) | instskip(NEXT) | instid1(VALU_DEP_1)
	v_dual_add_nc_u32 v5, v4, v5 :: v_dual_sub_nc_u32 v7, v2, v7
	v_lshrrev_b32_e32 v2, s9, v5
	s_wait_kmcnt 0x0
	s_delay_alu instid0(VALU_DEP_2) | instskip(NEXT) | instid1(VALU_DEP_2)
	v_mad_u32 v6, v7, s16, v6
	v_mul_lo_u32 v5, v2, s15
	v_mad_u32 v8, v7, s18, v20
	v_mad_u32 v7, v7, s17, v22
	s_delay_alu instid0(VALU_DEP_3) | instskip(NEXT) | instid1(VALU_DEP_1)
	v_sub_nc_u32_e32 v4, v4, v5
	v_mad_u32 v6, v4, s19, v6
	s_delay_alu instid0(VALU_DEP_4) | instskip(NEXT) | instid1(VALU_DEP_4)
	v_mad_u32 v20, v4, s13, v8
	v_mad_u32 v22, v4, s12, v7
	s_cbranch_scc1 .LBB167_1654
; %bb.1655:
	s_bitcmp1_b32 s5, 0
	s_cselect_b32 s5, -1, 0
	s_delay_alu instid0(SALU_CYCLE_1)
	s_and_b32 vcc_lo, exec_lo, s5
	s_cbranch_vccnz .LBB167_1658
; %bb.1656:
	s_clause 0x1
	s_load_b96 s[12:14], s[0:1], 0x1c
	s_load_b96 s[16:18], s[0:1], 0xdc
	s_wait_kmcnt 0x0
	v_mul_hi_u32 v4, s13, v2
	s_delay_alu instid0(VALU_DEP_1) | instskip(NEXT) | instid1(VALU_DEP_1)
	v_add_nc_u32_e32 v4, v2, v4
	v_lshrrev_b32_e32 v4, s14, v4
	s_delay_alu instid0(VALU_DEP_1) | instskip(NEXT) | instid1(VALU_DEP_1)
	v_mul_lo_u32 v4, v4, s12
	v_sub_nc_u32_e32 v2, v2, v4
	s_delay_alu instid0(VALU_DEP_1)
	v_mad_u32 v6, v2, s16, v6
	v_mad_u32 v22, v2, s17, v22
	v_mad_u32 v20, v2, s18, v20
	s_and_not1_b32 vcc_lo, exec_lo, s4
	s_cbranch_vccz .LBB167_1659
	s_branch .LBB167_1662
.LBB167_1657:
	s_mov_b32 s4, -1
                                        ; implicit-def: $vgpr20
                                        ; implicit-def: $vgpr22
                                        ; implicit-def: $vgpr6
.LBB167_1658:
	s_delay_alu instid0(SALU_CYCLE_1)
	s_and_not1_b32 vcc_lo, exec_lo, s4
	s_cbranch_vccnz .LBB167_1662
.LBB167_1659:
	s_clause 0x1
	s_load_b96 s[4:6], s[2:3], 0x4
	s_load_b96 s[12:14], s[2:3], 0xc4
	s_cmp_lt_u32 s28, 2
	s_wait_kmcnt 0x0
	v_mul_hi_u32 v2, s5, v0
	s_delay_alu instid0(VALU_DEP_1) | instskip(NEXT) | instid1(VALU_DEP_1)
	v_add_nc_u32_e32 v2, v0, v2
	v_lshrrev_b32_e32 v2, s6, v2
	s_delay_alu instid0(VALU_DEP_1) | instskip(NEXT) | instid1(VALU_DEP_1)
	v_mul_lo_u32 v4, v2, s4
	v_sub_nc_u32_e32 v4, v0, v4
	s_delay_alu instid0(VALU_DEP_1)
	v_mul_lo_u32 v6, v4, s12
	v_mul_lo_u32 v20, v4, s14
	;; [unrolled: 1-line block ×3, first 2 shown]
	s_cbranch_scc1 .LBB167_1662
; %bb.1660:
	s_clause 0x1
	s_load_b96 s[4:6], s[2:3], 0x10
	s_load_b96 s[12:14], s[2:3], 0xd0
	s_wait_kmcnt 0x0
	v_mul_hi_u32 v4, s5, v2
	s_delay_alu instid0(VALU_DEP_1) | instskip(NEXT) | instid1(VALU_DEP_1)
	v_add_nc_u32_e32 v4, v2, v4
	v_lshrrev_b32_e32 v4, s6, v4
	s_delay_alu instid0(VALU_DEP_1) | instskip(NEXT) | instid1(VALU_DEP_1)
	v_mul_lo_u32 v4, v4, s4
	v_sub_nc_u32_e32 v2, v2, v4
	s_delay_alu instid0(VALU_DEP_1)
	v_mad_u32 v6, v2, s12, v6
	v_mad_u32 v22, v2, s13, v22
	;; [unrolled: 1-line block ×3, first 2 shown]
	s_branch .LBB167_1662
.LBB167_1661:
	v_dual_mov_b32 v20, 0 :: v_dual_mov_b32 v22, 0
	v_mov_b32_e32 v6, 0
	s_and_not1_b32 vcc_lo, exec_lo, s4
	s_cbranch_vccz .LBB167_1659
.LBB167_1662:
	v_cmp_ne_u32_e32 vcc_lo, 1, v3
	v_add_nc_u32_e32 v2, 0x80, v0
	s_cbranch_vccnz .LBB167_1668
; %bb.1663:
	s_cmp_lg_u32 s28, 0
	s_mov_b32 s4, 0
	s_cbranch_scc0 .LBB167_1672
; %bb.1664:
	s_min_u32 s5, s29, 15
	v_dual_mov_b32 v4, 0 :: v_dual_mov_b32 v5, v2
	v_dual_mov_b32 v18, 0 :: v_dual_mov_b32 v16, 0
	s_add_co_i32 s6, s5, 1
	s_mov_b64 s[0:1], 0xffffffffffffffe8
	s_and_b32 s6, s6, 30
	s_add_nc_u64 s[0:1], s[2:3], s[0:1]
.LBB167_1665:                           ; =>This Inner Loop Header: Depth=1
	s_clause 0x1
	s_load_b128 s[12:15], s[0:1], 0x1c
	s_load_b64 s[8:9], s[0:1], 0x2c
	s_add_co_i32 s6, s6, -2
	s_delay_alu instid0(SALU_CYCLE_1) | instskip(SKIP_2) | instid1(VALU_DEP_1)
	s_cmp_lg_u32 s6, 0
	s_wait_kmcnt 0x0
	v_mul_hi_u32 v7, s13, v5
	v_add_nc_u32_e32 v7, v5, v7
	s_delay_alu instid0(VALU_DEP_1) | instskip(NEXT) | instid1(VALU_DEP_1)
	v_lshrrev_b32_e32 v7, s14, v7
	v_mul_hi_u32 v8, s8, v7
	v_mul_lo_u32 v9, v7, s12
	s_clause 0x1
	s_load_b128 s[16:19], s[0:1], 0xdc
	s_load_b64 s[12:13], s[0:1], 0xec
	s_wait_xcnt 0x0
	s_add_nc_u64 s[0:1], s[0:1], 24
	s_delay_alu instid0(VALU_DEP_1) | instskip(NEXT) | instid1(VALU_DEP_1)
	v_dual_add_nc_u32 v8, v7, v8 :: v_dual_sub_nc_u32 v9, v5, v9
	v_lshrrev_b32_e32 v5, s9, v8
	s_wait_kmcnt 0x0
	s_delay_alu instid0(VALU_DEP_2) | instskip(NEXT) | instid1(VALU_DEP_2)
	v_mad_u32 v4, v9, s16, v4
	v_mul_lo_u32 v8, v5, s15
	v_mad_u32 v10, v9, s18, v16
	v_mad_u32 v9, v9, s17, v18
	s_delay_alu instid0(VALU_DEP_3) | instskip(NEXT) | instid1(VALU_DEP_1)
	v_sub_nc_u32_e32 v7, v7, v8
	v_mad_u32 v4, v7, s19, v4
	s_delay_alu instid0(VALU_DEP_4) | instskip(NEXT) | instid1(VALU_DEP_4)
	v_mad_u32 v16, v7, s13, v10
	v_mad_u32 v18, v7, s12, v9
	s_cbranch_scc1 .LBB167_1665
; %bb.1666:
	s_bitcmp1_b32 s5, 0
	s_cselect_b32 s5, -1, 0
	s_delay_alu instid0(SALU_CYCLE_1)
	s_and_b32 vcc_lo, exec_lo, s5
	s_cbranch_vccnz .LBB167_1669
; %bb.1667:
	s_clause 0x1
	s_load_b96 s[12:14], s[0:1], 0x1c
	s_load_b96 s[16:18], s[0:1], 0xdc
	s_wait_kmcnt 0x0
	v_mul_hi_u32 v7, s13, v5
	s_delay_alu instid0(VALU_DEP_1) | instskip(NEXT) | instid1(VALU_DEP_1)
	v_add_nc_u32_e32 v7, v5, v7
	v_lshrrev_b32_e32 v7, s14, v7
	s_delay_alu instid0(VALU_DEP_1) | instskip(NEXT) | instid1(VALU_DEP_1)
	v_mul_lo_u32 v7, v7, s12
	v_sub_nc_u32_e32 v5, v5, v7
	s_delay_alu instid0(VALU_DEP_1)
	v_mad_u32 v4, v5, s16, v4
	v_mad_u32 v18, v5, s17, v18
	;; [unrolled: 1-line block ×3, first 2 shown]
	s_and_not1_b32 vcc_lo, exec_lo, s4
	s_cbranch_vccz .LBB167_1670
	s_branch .LBB167_1673
.LBB167_1668:
	s_mov_b32 s4, -1
                                        ; implicit-def: $vgpr16
                                        ; implicit-def: $vgpr18
                                        ; implicit-def: $vgpr4
.LBB167_1669:
	s_delay_alu instid0(SALU_CYCLE_1)
	s_and_not1_b32 vcc_lo, exec_lo, s4
	s_cbranch_vccnz .LBB167_1673
.LBB167_1670:
	s_clause 0x1
	s_load_b96 s[4:6], s[2:3], 0x4
	s_load_b96 s[12:14], s[2:3], 0xc4
	s_cmp_lt_u32 s28, 2
	s_wait_kmcnt 0x0
	v_mul_hi_u32 v4, s5, v2
	s_delay_alu instid0(VALU_DEP_1) | instskip(NEXT) | instid1(VALU_DEP_1)
	v_add_nc_u32_e32 v4, v2, v4
	v_lshrrev_b32_e32 v5, s6, v4
	s_delay_alu instid0(VALU_DEP_1) | instskip(NEXT) | instid1(VALU_DEP_1)
	v_mul_lo_u32 v4, v5, s4
	v_sub_nc_u32_e32 v2, v2, v4
	s_delay_alu instid0(VALU_DEP_1)
	v_mul_lo_u32 v4, v2, s12
	v_mul_lo_u32 v16, v2, s14
	;; [unrolled: 1-line block ×3, first 2 shown]
	s_cbranch_scc1 .LBB167_1673
; %bb.1671:
	s_clause 0x1
	s_load_b96 s[4:6], s[2:3], 0x10
	s_load_b96 s[12:14], s[2:3], 0xd0
	s_wait_kmcnt 0x0
	v_mul_hi_u32 v2, s5, v5
	s_delay_alu instid0(VALU_DEP_1) | instskip(NEXT) | instid1(VALU_DEP_1)
	v_add_nc_u32_e32 v2, v5, v2
	v_lshrrev_b32_e32 v2, s6, v2
	s_delay_alu instid0(VALU_DEP_1) | instskip(NEXT) | instid1(VALU_DEP_1)
	v_mul_lo_u32 v2, v2, s4
	v_sub_nc_u32_e32 v2, v5, v2
	s_delay_alu instid0(VALU_DEP_1)
	v_mad_u32 v4, v2, s12, v4
	v_mad_u32 v18, v2, s13, v18
	;; [unrolled: 1-line block ×3, first 2 shown]
	s_branch .LBB167_1673
.LBB167_1672:
	v_dual_mov_b32 v16, 0 :: v_dual_mov_b32 v18, 0
	v_mov_b32_e32 v4, 0
	s_and_not1_b32 vcc_lo, exec_lo, s4
	s_cbranch_vccz .LBB167_1670
.LBB167_1673:
	v_cmp_ne_u32_e32 vcc_lo, 1, v3
	v_add_nc_u32_e32 v0, 0x100, v0
	s_cbranch_vccnz .LBB167_1679
; %bb.1674:
	s_cmp_lg_u32 s28, 0
	s_mov_b32 s4, 0
	s_cbranch_scc0 .LBB167_1683
; %bb.1675:
	s_min_u32 s5, s29, 15
	v_dual_mov_b32 v2, 0 :: v_dual_mov_b32 v5, v0
	v_dual_mov_b32 v14, 0 :: v_dual_mov_b32 v12, 0
	s_add_co_i32 s6, s5, 1
	s_mov_b64 s[0:1], 0xffffffffffffffe8
	s_and_b32 s6, s6, 30
	s_add_nc_u64 s[0:1], s[2:3], s[0:1]
.LBB167_1676:                           ; =>This Inner Loop Header: Depth=1
	s_clause 0x1
	s_load_b128 s[12:15], s[0:1], 0x1c
	s_load_b64 s[8:9], s[0:1], 0x2c
	s_add_co_i32 s6, s6, -2
	s_delay_alu instid0(SALU_CYCLE_1) | instskip(SKIP_2) | instid1(VALU_DEP_1)
	s_cmp_lg_u32 s6, 0
	s_wait_kmcnt 0x0
	v_mul_hi_u32 v7, s13, v5
	v_add_nc_u32_e32 v7, v5, v7
	s_delay_alu instid0(VALU_DEP_1) | instskip(NEXT) | instid1(VALU_DEP_1)
	v_lshrrev_b32_e32 v7, s14, v7
	v_mul_hi_u32 v8, s8, v7
	v_mul_lo_u32 v9, v7, s12
	s_clause 0x1
	s_load_b128 s[16:19], s[0:1], 0xdc
	s_load_b64 s[12:13], s[0:1], 0xec
	s_wait_xcnt 0x0
	s_add_nc_u64 s[0:1], s[0:1], 24
	s_delay_alu instid0(VALU_DEP_1) | instskip(NEXT) | instid1(VALU_DEP_1)
	v_dual_add_nc_u32 v8, v7, v8 :: v_dual_sub_nc_u32 v9, v5, v9
	v_lshrrev_b32_e32 v5, s9, v8
	s_wait_kmcnt 0x0
	s_delay_alu instid0(VALU_DEP_2) | instskip(NEXT) | instid1(VALU_DEP_2)
	v_mad_u32 v2, v9, s16, v2
	v_mul_lo_u32 v8, v5, s15
	v_mad_u32 v10, v9, s18, v12
	v_mad_u32 v9, v9, s17, v14
	s_delay_alu instid0(VALU_DEP_3) | instskip(NEXT) | instid1(VALU_DEP_1)
	v_sub_nc_u32_e32 v7, v7, v8
	v_mad_u32 v2, v7, s19, v2
	s_delay_alu instid0(VALU_DEP_4) | instskip(NEXT) | instid1(VALU_DEP_4)
	v_mad_u32 v12, v7, s13, v10
	v_mad_u32 v14, v7, s12, v9
	s_cbranch_scc1 .LBB167_1676
; %bb.1677:
	s_bitcmp1_b32 s5, 0
	s_cselect_b32 s5, -1, 0
	s_delay_alu instid0(SALU_CYCLE_1)
	s_and_b32 vcc_lo, exec_lo, s5
	s_cbranch_vccnz .LBB167_1680
; %bb.1678:
	s_clause 0x1
	s_load_b96 s[12:14], s[0:1], 0x1c
	s_load_b96 s[16:18], s[0:1], 0xdc
	s_wait_kmcnt 0x0
	v_mul_hi_u32 v7, s13, v5
	s_delay_alu instid0(VALU_DEP_1) | instskip(NEXT) | instid1(VALU_DEP_1)
	v_add_nc_u32_e32 v7, v5, v7
	v_lshrrev_b32_e32 v7, s14, v7
	s_delay_alu instid0(VALU_DEP_1) | instskip(NEXT) | instid1(VALU_DEP_1)
	v_mul_lo_u32 v7, v7, s12
	v_sub_nc_u32_e32 v5, v5, v7
	s_delay_alu instid0(VALU_DEP_1)
	v_mad_u32 v2, v5, s16, v2
	v_mad_u32 v14, v5, s17, v14
	;; [unrolled: 1-line block ×3, first 2 shown]
	s_and_not1_b32 vcc_lo, exec_lo, s4
	s_cbranch_vccz .LBB167_1681
	s_branch .LBB167_1684
.LBB167_1679:
	s_mov_b32 s4, -1
                                        ; implicit-def: $vgpr12
                                        ; implicit-def: $vgpr14
                                        ; implicit-def: $vgpr2
.LBB167_1680:
	s_delay_alu instid0(SALU_CYCLE_1)
	s_and_not1_b32 vcc_lo, exec_lo, s4
	s_cbranch_vccnz .LBB167_1684
.LBB167_1681:
	s_clause 0x1
	s_load_b96 s[4:6], s[2:3], 0x4
	s_load_b96 s[12:14], s[2:3], 0xc4
	s_cmp_lt_u32 s28, 2
	s_wait_kmcnt 0x0
	v_mul_hi_u32 v2, s5, v0
	s_delay_alu instid0(VALU_DEP_1) | instskip(NEXT) | instid1(VALU_DEP_1)
	v_add_nc_u32_e32 v2, v0, v2
	v_lshrrev_b32_e32 v5, s6, v2
	s_delay_alu instid0(VALU_DEP_1) | instskip(NEXT) | instid1(VALU_DEP_1)
	v_mul_lo_u32 v2, v5, s4
	v_sub_nc_u32_e32 v0, v0, v2
	s_delay_alu instid0(VALU_DEP_1)
	v_mul_lo_u32 v2, v0, s12
	v_mul_lo_u32 v12, v0, s14
	;; [unrolled: 1-line block ×3, first 2 shown]
	s_cbranch_scc1 .LBB167_1684
; %bb.1682:
	s_clause 0x1
	s_load_b96 s[4:6], s[2:3], 0x10
	s_load_b96 s[12:14], s[2:3], 0xd0
	s_wait_kmcnt 0x0
	v_mul_hi_u32 v0, s5, v5
	s_delay_alu instid0(VALU_DEP_1) | instskip(NEXT) | instid1(VALU_DEP_1)
	v_add_nc_u32_e32 v0, v5, v0
	v_lshrrev_b32_e32 v0, s6, v0
	s_delay_alu instid0(VALU_DEP_1) | instskip(NEXT) | instid1(VALU_DEP_1)
	v_mul_lo_u32 v0, v0, s4
	v_sub_nc_u32_e32 v0, v5, v0
	s_delay_alu instid0(VALU_DEP_1)
	v_mad_u32 v2, v0, s12, v2
	v_mad_u32 v14, v0, s13, v14
	;; [unrolled: 1-line block ×3, first 2 shown]
	s_branch .LBB167_1684
.LBB167_1683:
	v_dual_mov_b32 v12, 0 :: v_dual_mov_b32 v14, 0
	v_mov_b32_e32 v2, 0
	s_and_not1_b32 vcc_lo, exec_lo, s4
	s_cbranch_vccz .LBB167_1681
.LBB167_1684:
	v_cmp_ne_u32_e32 vcc_lo, 1, v3
	s_cbranch_vccnz .LBB167_1690
; %bb.1685:
	s_cmp_lg_u32 s28, 0
	s_mov_b32 s4, 0
	s_cbranch_scc0 .LBB167_1694
; %bb.1686:
	s_min_u32 s5, s29, 15
	v_dual_mov_b32 v0, 0 :: v_dual_mov_b32 v3, v1
	v_dual_mov_b32 v10, 0 :: v_dual_mov_b32 v8, 0
	s_add_co_i32 s6, s5, 1
	s_mov_b64 s[0:1], 0xffffffffffffffe8
	s_and_b32 s6, s6, 30
	s_add_nc_u64 s[0:1], s[2:3], s[0:1]
.LBB167_1687:                           ; =>This Inner Loop Header: Depth=1
	s_clause 0x1
	s_load_b128 s[12:15], s[0:1], 0x1c
	s_load_b64 s[8:9], s[0:1], 0x2c
	s_add_co_i32 s6, s6, -2
	s_delay_alu instid0(SALU_CYCLE_1) | instskip(SKIP_2) | instid1(VALU_DEP_1)
	s_cmp_lg_u32 s6, 0
	s_wait_kmcnt 0x0
	v_mul_hi_u32 v5, s13, v3
	v_add_nc_u32_e32 v5, v3, v5
	s_delay_alu instid0(VALU_DEP_1) | instskip(NEXT) | instid1(VALU_DEP_1)
	v_lshrrev_b32_e32 v5, s14, v5
	v_mul_hi_u32 v7, s8, v5
	v_mul_lo_u32 v9, v5, s12
	s_clause 0x1
	s_load_b128 s[16:19], s[0:1], 0xdc
	s_load_b64 s[12:13], s[0:1], 0xec
	s_wait_xcnt 0x0
	s_add_nc_u64 s[0:1], s[0:1], 24
	s_delay_alu instid0(VALU_DEP_1) | instskip(NEXT) | instid1(VALU_DEP_1)
	v_dual_add_nc_u32 v7, v5, v7 :: v_dual_sub_nc_u32 v9, v3, v9
	v_lshrrev_b32_e32 v3, s9, v7
	s_wait_kmcnt 0x0
	s_delay_alu instid0(VALU_DEP_2) | instskip(NEXT) | instid1(VALU_DEP_2)
	v_mad_u32 v0, v9, s16, v0
	v_mul_lo_u32 v7, v3, s15
	v_mad_u32 v8, v9, s18, v8
	v_mad_u32 v9, v9, s17, v10
	s_delay_alu instid0(VALU_DEP_3) | instskip(NEXT) | instid1(VALU_DEP_1)
	v_sub_nc_u32_e32 v5, v5, v7
	v_mad_u32 v0, v5, s19, v0
	s_delay_alu instid0(VALU_DEP_4) | instskip(NEXT) | instid1(VALU_DEP_4)
	v_mad_u32 v8, v5, s13, v8
	v_mad_u32 v10, v5, s12, v9
	s_cbranch_scc1 .LBB167_1687
; %bb.1688:
	s_bitcmp1_b32 s5, 0
	s_cselect_b32 s5, -1, 0
	s_delay_alu instid0(SALU_CYCLE_1)
	s_and_b32 vcc_lo, exec_lo, s5
	s_cbranch_vccnz .LBB167_1691
; %bb.1689:
	s_clause 0x1
	s_load_b96 s[12:14], s[0:1], 0x1c
	s_load_b96 s[16:18], s[0:1], 0xdc
	s_wait_kmcnt 0x0
	v_mul_hi_u32 v5, s13, v3
	s_delay_alu instid0(VALU_DEP_1) | instskip(NEXT) | instid1(VALU_DEP_1)
	v_add_nc_u32_e32 v5, v3, v5
	v_lshrrev_b32_e32 v5, s14, v5
	s_delay_alu instid0(VALU_DEP_1) | instskip(NEXT) | instid1(VALU_DEP_1)
	v_mul_lo_u32 v5, v5, s12
	v_sub_nc_u32_e32 v3, v3, v5
	s_delay_alu instid0(VALU_DEP_1)
	v_mad_u32 v0, v3, s16, v0
	v_mad_u32 v10, v3, s17, v10
	;; [unrolled: 1-line block ×3, first 2 shown]
	s_and_not1_b32 vcc_lo, exec_lo, s4
	s_cbranch_vccz .LBB167_1692
	s_branch .LBB167_1695
.LBB167_1690:
	s_mov_b32 s4, -1
                                        ; implicit-def: $vgpr8
                                        ; implicit-def: $vgpr10
                                        ; implicit-def: $vgpr0
.LBB167_1691:
	s_delay_alu instid0(SALU_CYCLE_1)
	s_and_not1_b32 vcc_lo, exec_lo, s4
	s_cbranch_vccnz .LBB167_1695
.LBB167_1692:
	s_clause 0x1
	s_load_b96 s[4:6], s[2:3], 0x4
	s_load_b96 s[12:14], s[2:3], 0xc4
	s_cmp_lt_u32 s28, 2
	s_wait_kmcnt 0x0
	v_mul_hi_u32 v0, s5, v1
	s_delay_alu instid0(VALU_DEP_1) | instskip(NEXT) | instid1(VALU_DEP_1)
	v_add_nc_u32_e32 v0, v1, v0
	v_lshrrev_b32_e32 v3, s6, v0
	s_delay_alu instid0(VALU_DEP_1) | instskip(NEXT) | instid1(VALU_DEP_1)
	v_mul_lo_u32 v0, v3, s4
	v_sub_nc_u32_e32 v1, v1, v0
	s_delay_alu instid0(VALU_DEP_1)
	v_mul_lo_u32 v0, v1, s12
	v_mul_lo_u32 v8, v1, s14
	;; [unrolled: 1-line block ×3, first 2 shown]
	s_cbranch_scc1 .LBB167_1695
; %bb.1693:
	s_clause 0x1
	s_load_b96 s[4:6], s[2:3], 0x10
	s_load_b96 s[12:14], s[2:3], 0xd0
	s_wait_kmcnt 0x0
	v_mul_hi_u32 v1, s5, v3
	s_delay_alu instid0(VALU_DEP_1) | instskip(NEXT) | instid1(VALU_DEP_1)
	v_add_nc_u32_e32 v1, v3, v1
	v_lshrrev_b32_e32 v1, s6, v1
	s_delay_alu instid0(VALU_DEP_1) | instskip(NEXT) | instid1(VALU_DEP_1)
	v_mul_lo_u32 v1, v1, s4
	v_sub_nc_u32_e32 v1, v3, v1
	s_delay_alu instid0(VALU_DEP_1)
	v_mad_u32 v0, v1, s12, v0
	v_mad_u32 v10, v1, s13, v10
	;; [unrolled: 1-line block ×3, first 2 shown]
	s_branch .LBB167_1695
.LBB167_1694:
	v_dual_mov_b32 v8, 0 :: v_dual_mov_b32 v10, 0
	v_mov_b32_e32 v0, 0
	s_and_not1_b32 vcc_lo, exec_lo, s4
	s_cbranch_vccz .LBB167_1692
.LBB167_1695:
	v_mov_b32_e32 v23, 0
	s_load_b128 s[4:7], s[2:3], 0x188
	global_load_u8 v1, v23, s[2:3] offset:421
	s_wait_kmcnt 0x0
	v_add_nc_u64_e32 v[22:23], s[6:7], v[22:23]
	s_wait_loadcnt 0x0
	v_and_b32_e32 v3, 0xffff, v1
	v_readfirstlane_b32 s14, v1
	s_delay_alu instid0(VALU_DEP_2)
	v_cmp_gt_i32_e32 vcc_lo, 11, v3
	s_cbranch_vccnz .LBB167_1702
; %bb.1696:
	s_and_b32 s0, 0xffff, s14
	s_mov_b32 s8, 0
	s_cmp_gt_i32 s0, 25
	s_cbranch_scc0 .LBB167_1704
; %bb.1697:
	s_cmp_gt_i32 s0, 28
	s_cbranch_scc0 .LBB167_1705
; %bb.1698:
	;; [unrolled: 3-line block ×4, first 2 shown]
	s_cmp_eq_u32 s0, 46
	s_mov_b32 s12, 0
	s_cbranch_scc0 .LBB167_1710
; %bb.1701:
	global_load_b32 v1, v[22:23], off
	s_mov_b32 s1, 0
	s_mov_b32 s9, -1
	s_wait_loadcnt 0x0
	v_and_b32_e32 v3, 0xffff0000, v1
	s_branch .LBB167_1712
.LBB167_1702:
	s_mov_b32 s9, 0
	s_mov_b32 s1, s10
                                        ; implicit-def: $vgpr3
                                        ; implicit-def: $vgpr1
	s_cbranch_execnz .LBB167_1778
.LBB167_1703:
	s_and_not1_b32 vcc_lo, exec_lo, s9
	s_cbranch_vccz .LBB167_1825
	s_branch .LBB167_2793
.LBB167_1704:
	s_mov_b32 s9, 0
	s_mov_b32 s1, 0
                                        ; implicit-def: $vgpr3
                                        ; implicit-def: $vgpr1
	s_cbranch_execnz .LBB167_1742
	s_branch .LBB167_1774
.LBB167_1705:
	s_mov_b32 s9, 0
	s_mov_b32 s1, 0
                                        ; implicit-def: $vgpr3
                                        ; implicit-def: $vgpr1
	s_cbranch_execnz .LBB167_1724
	s_branch .LBB167_1741
.LBB167_1706:
	s_mov_b32 s12, -1
	s_mov_b32 s9, 0
	s_mov_b32 s1, 0
                                        ; implicit-def: $vgpr3
                                        ; implicit-def: $vgpr1
	s_branch .LBB167_1718
.LBB167_1707:
	s_mov_b32 s12, -1
	s_mov_b32 s9, 0
	s_mov_b32 s1, 0
	s_branch .LBB167_1711
.LBB167_1708:
	s_and_not1_saveexec_b32 s10, s10
	s_cbranch_execz .LBB167_1563
.LBB167_1709:
	v_add_f32_e32 v2, 0x46000000, v3
	s_and_not1_b32 s9, s9, exec_lo
	s_delay_alu instid0(VALU_DEP_1) | instskip(NEXT) | instid1(VALU_DEP_1)
	v_and_b32_e32 v2, 0xff, v2
	v_cmp_ne_u32_e32 vcc_lo, 0, v2
	s_and_b32 s11, vcc_lo, exec_lo
	s_delay_alu instid0(SALU_CYCLE_1)
	s_or_b32 s9, s9, s11
	s_or_b32 exec_lo, exec_lo, s10
	v_mov_b32_e32 v4, 0
	s_and_saveexec_b32 s10, s9
	s_cbranch_execnz .LBB167_1564
	s_branch .LBB167_1565
.LBB167_1710:
	s_mov_b32 s1, -1
	s_mov_b32 s9, 0
.LBB167_1711:
                                        ; implicit-def: $vgpr3
                                        ; implicit-def: $vgpr1
.LBB167_1712:
	s_and_b32 vcc_lo, exec_lo, s12
	s_cbranch_vccz .LBB167_1717
; %bb.1713:
	s_cmp_eq_u32 s0, 44
	s_cbranch_scc0 .LBB167_1715
; %bb.1714:
	global_load_u8 v1, v[22:23], off
	s_mov_b32 s1, 0
	s_mov_b32 s9, -1
	s_wait_loadcnt 0x0
	v_lshlrev_b32_e32 v3, 23, v1
	v_cmp_ne_u32_e32 vcc_lo, 0xff, v1
	s_delay_alu instid0(VALU_DEP_2) | instskip(SKIP_1) | instid1(VALU_DEP_2)
	v_cndmask_b32_e32 v3, 0x7f800001, v3, vcc_lo
	v_cmp_ne_u32_e32 vcc_lo, 0, v1
	v_cndmask_b32_e32 v1, 0x400000, v3, vcc_lo
	s_delay_alu instid0(VALU_DEP_1) | instskip(SKIP_1) | instid1(VALU_DEP_2)
	v_add_nc_u32_e32 v3, 0x7fff, v1
	v_cmp_o_f32_e32 vcc_lo, v1, v1
	v_lshrrev_b32_e32 v3, 16, v3
	s_delay_alu instid0(VALU_DEP_1)
	v_cndmask_b32_e32 v1, 0x7fc0, v3, vcc_lo
	s_branch .LBB167_1716
.LBB167_1715:
	s_mov_b32 s1, -1
                                        ; implicit-def: $vgpr1
.LBB167_1716:
	v_mov_b32_e32 v3, 0
.LBB167_1717:
	s_mov_b32 s12, 0
.LBB167_1718:
	s_delay_alu instid0(SALU_CYCLE_1)
	s_and_b32 vcc_lo, exec_lo, s12
	s_cbranch_vccz .LBB167_1723
; %bb.1719:
	s_cmp_eq_u32 s0, 29
	s_cbranch_scc0 .LBB167_1721
; %bb.1720:
	global_load_b64 v[24:25], v[22:23], off
	s_mov_b32 s1, 0
	s_mov_b32 s9, -1
	s_wait_loadcnt 0x0
	v_clz_i32_u32_e32 v1, v25
	s_delay_alu instid0(VALU_DEP_1) | instskip(NEXT) | instid1(VALU_DEP_1)
	v_min_u32_e32 v1, 32, v1
	v_lshlrev_b64_e32 v[24:25], v1, v[24:25]
	v_sub_nc_u32_e32 v1, 32, v1
	s_delay_alu instid0(VALU_DEP_2) | instskip(NEXT) | instid1(VALU_DEP_1)
	v_min_u32_e32 v3, 1, v24
	v_or_b32_e32 v3, v25, v3
	s_delay_alu instid0(VALU_DEP_1) | instskip(NEXT) | instid1(VALU_DEP_1)
	v_cvt_f32_u32_e32 v3, v3
	v_ldexp_f32 v1, v3, v1
	s_delay_alu instid0(VALU_DEP_1) | instskip(NEXT) | instid1(VALU_DEP_1)
	v_bfe_u32 v3, v1, 16, 1
	v_add3_u32 v1, v1, v3, 0x7fff
	s_delay_alu instid0(VALU_DEP_1)
	v_lshrrev_b32_e32 v1, 16, v1
	s_branch .LBB167_1722
.LBB167_1721:
	s_mov_b32 s1, -1
                                        ; implicit-def: $vgpr1
.LBB167_1722:
	v_mov_b32_e32 v3, 0
.LBB167_1723:
	s_branch .LBB167_1741
.LBB167_1724:
	s_cmp_lt_i32 s0, 27
	s_cbranch_scc1 .LBB167_1727
; %bb.1725:
	s_cmp_gt_i32 s0, 27
	s_cbranch_scc0 .LBB167_1728
; %bb.1726:
	global_load_b32 v1, v[22:23], off
	s_mov_b32 s9, 0
	s_wait_loadcnt 0x0
	v_cvt_f32_u32_e32 v1, v1
	s_delay_alu instid0(VALU_DEP_1) | instskip(NEXT) | instid1(VALU_DEP_1)
	v_bfe_u32 v3, v1, 16, 1
	v_add3_u32 v1, v1, v3, 0x7fff
	s_delay_alu instid0(VALU_DEP_1)
	v_lshrrev_b32_e32 v1, 16, v1
	s_branch .LBB167_1729
.LBB167_1727:
	s_mov_b32 s9, -1
                                        ; implicit-def: $vgpr1
	s_branch .LBB167_1732
.LBB167_1728:
	s_mov_b32 s9, -1
                                        ; implicit-def: $vgpr1
.LBB167_1729:
	s_delay_alu instid0(SALU_CYCLE_1)
	s_and_not1_b32 vcc_lo, exec_lo, s9
	s_cbranch_vccnz .LBB167_1731
; %bb.1730:
	global_load_u16 v1, v[22:23], off
	s_wait_loadcnt 0x0
	v_cvt_f32_u32_e32 v1, v1
	s_delay_alu instid0(VALU_DEP_1) | instskip(NEXT) | instid1(VALU_DEP_1)
	v_bfe_u32 v3, v1, 16, 1
	v_add3_u32 v1, v1, v3, 0x7fff
	s_delay_alu instid0(VALU_DEP_1)
	v_lshrrev_b32_e32 v1, 16, v1
.LBB167_1731:
	s_mov_b32 s9, 0
.LBB167_1732:
	s_delay_alu instid0(SALU_CYCLE_1)
	s_and_not1_b32 vcc_lo, exec_lo, s9
	s_cbranch_vccnz .LBB167_1740
; %bb.1733:
	global_load_u8 v1, v[22:23], off
	s_mov_b32 s9, 0
	s_mov_b32 s12, exec_lo
	s_wait_loadcnt 0x0
	v_cmpx_lt_i16_e32 0x7f, v1
	s_xor_b32 s12, exec_lo, s12
	s_cbranch_execz .LBB167_1753
; %bb.1734:
	s_mov_b32 s9, -1
	s_mov_b32 s13, exec_lo
	v_cmpx_eq_u16_e32 0x80, v1
; %bb.1735:
	s_xor_b32 s9, exec_lo, -1
; %bb.1736:
	s_or_b32 exec_lo, exec_lo, s13
	s_delay_alu instid0(SALU_CYCLE_1)
	s_and_b32 s9, s9, exec_lo
	s_or_saveexec_b32 s12, s12
	v_mov_b32_e32 v3, 0x7f800001
	s_xor_b32 exec_lo, exec_lo, s12
	s_cbranch_execnz .LBB167_1754
.LBB167_1737:
	s_or_b32 exec_lo, exec_lo, s12
	s_and_saveexec_b32 s12, s9
	s_cbranch_execz .LBB167_1739
.LBB167_1738:
	v_and_b32_e32 v3, 0xffff, v1
	s_delay_alu instid0(VALU_DEP_1) | instskip(SKIP_1) | instid1(VALU_DEP_2)
	v_dual_lshlrev_b32 v1, 24, v1 :: v_dual_bitop2_b32 v5, 7, v3 bitop3:0x40
	v_bfe_u32 v11, v3, 3, 4
	v_and_b32_e32 v1, 0x80000000, v1
	s_delay_alu instid0(VALU_DEP_3) | instskip(NEXT) | instid1(VALU_DEP_3)
	v_clz_i32_u32_e32 v7, v5
	v_cmp_eq_u32_e32 vcc_lo, 0, v11
	s_delay_alu instid0(VALU_DEP_2) | instskip(NEXT) | instid1(VALU_DEP_1)
	v_min_u32_e32 v7, 32, v7
	v_subrev_nc_u32_e32 v9, 28, v7
	v_sub_nc_u32_e32 v7, 29, v7
	s_delay_alu instid0(VALU_DEP_2) | instskip(NEXT) | instid1(VALU_DEP_2)
	v_lshlrev_b32_e32 v3, v9, v3
	v_cndmask_b32_e32 v7, v11, v7, vcc_lo
	s_delay_alu instid0(VALU_DEP_2) | instskip(NEXT) | instid1(VALU_DEP_1)
	v_and_b32_e32 v3, 7, v3
	v_cndmask_b32_e32 v3, v5, v3, vcc_lo
	s_delay_alu instid0(VALU_DEP_3) | instskip(NEXT) | instid1(VALU_DEP_2)
	v_lshl_add_u32 v5, v7, 23, 0x3b800000
	v_lshlrev_b32_e32 v3, 20, v3
	s_delay_alu instid0(VALU_DEP_1)
	v_or3_b32 v3, v1, v5, v3
.LBB167_1739:
	s_or_b32 exec_lo, exec_lo, s12
	s_delay_alu instid0(VALU_DEP_1) | instskip(SKIP_1) | instid1(VALU_DEP_2)
	v_bfe_u32 v1, v3, 16, 1
	v_cmp_o_f32_e32 vcc_lo, v3, v3
	v_add3_u32 v1, v3, v1, 0x7fff
	s_delay_alu instid0(VALU_DEP_1) | instskip(NEXT) | instid1(VALU_DEP_1)
	v_lshrrev_b32_e32 v1, 16, v1
	v_cndmask_b32_e32 v1, 0x7fc0, v1, vcc_lo
.LBB167_1740:
	v_mov_b32_e32 v3, 0
	s_mov_b32 s9, -1
.LBB167_1741:
	s_branch .LBB167_1774
.LBB167_1742:
	s_cmp_gt_i32 s0, 22
	s_cbranch_scc0 .LBB167_1752
; %bb.1743:
	s_cmp_lt_i32 s0, 24
	s_cbranch_scc1 .LBB167_1755
; %bb.1744:
	s_cmp_gt_i32 s0, 24
	s_cbranch_scc0 .LBB167_1756
; %bb.1745:
	global_load_u8 v1, v[22:23], off
	s_mov_b32 s9, exec_lo
	s_wait_loadcnt 0x0
	v_cmpx_lt_i16_e32 0x7f, v1
	s_xor_b32 s9, exec_lo, s9
	s_cbranch_execz .LBB167_1767
; %bb.1746:
	s_mov_b32 s8, -1
	s_mov_b32 s12, exec_lo
	v_cmpx_eq_u16_e32 0x80, v1
; %bb.1747:
	s_xor_b32 s8, exec_lo, -1
; %bb.1748:
	s_or_b32 exec_lo, exec_lo, s12
	s_delay_alu instid0(SALU_CYCLE_1)
	s_and_b32 s8, s8, exec_lo
	s_or_saveexec_b32 s9, s9
	v_mov_b32_e32 v3, 0x7f800001
	s_xor_b32 exec_lo, exec_lo, s9
	s_cbranch_execnz .LBB167_1768
.LBB167_1749:
	s_or_b32 exec_lo, exec_lo, s9
	s_and_saveexec_b32 s9, s8
	s_cbranch_execz .LBB167_1751
.LBB167_1750:
	v_and_b32_e32 v3, 0xffff, v1
	s_delay_alu instid0(VALU_DEP_1) | instskip(SKIP_1) | instid1(VALU_DEP_2)
	v_dual_lshlrev_b32 v1, 24, v1 :: v_dual_bitop2_b32 v5, 3, v3 bitop3:0x40
	v_bfe_u32 v11, v3, 2, 5
	v_and_b32_e32 v1, 0x80000000, v1
	s_delay_alu instid0(VALU_DEP_3) | instskip(NEXT) | instid1(VALU_DEP_3)
	v_clz_i32_u32_e32 v7, v5
	v_cmp_eq_u32_e32 vcc_lo, 0, v11
	s_delay_alu instid0(VALU_DEP_2) | instskip(NEXT) | instid1(VALU_DEP_1)
	v_min_u32_e32 v7, 32, v7
	v_subrev_nc_u32_e32 v9, 29, v7
	v_sub_nc_u32_e32 v7, 30, v7
	s_delay_alu instid0(VALU_DEP_2) | instskip(NEXT) | instid1(VALU_DEP_2)
	v_lshlrev_b32_e32 v3, v9, v3
	v_cndmask_b32_e32 v7, v11, v7, vcc_lo
	s_delay_alu instid0(VALU_DEP_2) | instskip(NEXT) | instid1(VALU_DEP_1)
	v_and_b32_e32 v3, 3, v3
	v_cndmask_b32_e32 v3, v5, v3, vcc_lo
	s_delay_alu instid0(VALU_DEP_3) | instskip(NEXT) | instid1(VALU_DEP_2)
	v_lshl_add_u32 v5, v7, 23, 0x37800000
	v_lshlrev_b32_e32 v3, 21, v3
	s_delay_alu instid0(VALU_DEP_1)
	v_or3_b32 v3, v1, v5, v3
.LBB167_1751:
	s_or_b32 exec_lo, exec_lo, s9
	s_delay_alu instid0(VALU_DEP_1) | instskip(SKIP_2) | instid1(VALU_DEP_2)
	v_bfe_u32 v1, v3, 16, 1
	v_cmp_o_f32_e32 vcc_lo, v3, v3
	s_mov_b32 s8, 0
	v_add3_u32 v1, v3, v1, 0x7fff
	s_delay_alu instid0(VALU_DEP_1) | instskip(NEXT) | instid1(VALU_DEP_1)
	v_lshrrev_b32_e32 v1, 16, v1
	v_cndmask_b32_e32 v1, 0x7fc0, v1, vcc_lo
	s_branch .LBB167_1757
.LBB167_1752:
                                        ; implicit-def: $vgpr1
	s_mov_b32 s8, 0
	s_branch .LBB167_1763
.LBB167_1753:
	s_or_saveexec_b32 s12, s12
	v_mov_b32_e32 v3, 0x7f800001
	s_xor_b32 exec_lo, exec_lo, s12
	s_cbranch_execz .LBB167_1737
.LBB167_1754:
	v_cmp_ne_u16_e32 vcc_lo, 0, v1
	v_mov_b32_e32 v3, 0
	s_and_not1_b32 s9, s9, exec_lo
	s_and_b32 s13, vcc_lo, exec_lo
	s_delay_alu instid0(SALU_CYCLE_1)
	s_or_b32 s9, s9, s13
	s_or_b32 exec_lo, exec_lo, s12
	s_and_saveexec_b32 s12, s9
	s_cbranch_execnz .LBB167_1738
	s_branch .LBB167_1739
.LBB167_1755:
	s_mov_b32 s8, -1
                                        ; implicit-def: $vgpr1
	s_branch .LBB167_1760
.LBB167_1756:
	s_mov_b32 s8, -1
                                        ; implicit-def: $vgpr1
.LBB167_1757:
	s_delay_alu instid0(SALU_CYCLE_1)
	s_and_b32 vcc_lo, exec_lo, s8
	s_cbranch_vccz .LBB167_1759
; %bb.1758:
	global_load_u8 v1, v[22:23], off
	s_wait_loadcnt 0x0
	v_lshlrev_b32_e32 v1, 24, v1
	s_delay_alu instid0(VALU_DEP_1) | instskip(NEXT) | instid1(VALU_DEP_1)
	v_and_b32_e32 v3, 0x7f000000, v1
	v_clz_i32_u32_e32 v5, v3
	v_add_nc_u32_e32 v9, 0x1000000, v3
	v_cmp_ne_u32_e32 vcc_lo, 0, v3
	s_delay_alu instid0(VALU_DEP_3) | instskip(NEXT) | instid1(VALU_DEP_1)
	v_min_u32_e32 v5, 32, v5
	v_sub_nc_u32_e64 v5, v5, 4 clamp
	s_delay_alu instid0(VALU_DEP_1) | instskip(NEXT) | instid1(VALU_DEP_1)
	v_dual_lshlrev_b32 v7, v5, v3 :: v_dual_lshlrev_b32 v5, 23, v5
	v_lshrrev_b32_e32 v7, 4, v7
	s_delay_alu instid0(VALU_DEP_1) | instskip(SKIP_1) | instid1(VALU_DEP_2)
	v_sub_nc_u32_e32 v5, v7, v5
	v_ashrrev_i32_e32 v7, 8, v9
	v_add_nc_u32_e32 v5, 0x3c000000, v5
	s_delay_alu instid0(VALU_DEP_1) | instskip(NEXT) | instid1(VALU_DEP_1)
	v_and_or_b32 v5, 0x7f800000, v7, v5
	v_cndmask_b32_e32 v3, 0, v5, vcc_lo
	s_delay_alu instid0(VALU_DEP_1) | instskip(SKIP_1) | instid1(VALU_DEP_2)
	v_and_or_b32 v1, 0x80000000, v1, v3
	v_bfe_u32 v3, v3, 16, 1
	v_cmp_o_f32_e32 vcc_lo, v1, v1
	s_delay_alu instid0(VALU_DEP_2) | instskip(NEXT) | instid1(VALU_DEP_1)
	v_add3_u32 v3, v1, v3, 0x7fff
	v_lshrrev_b32_e32 v3, 16, v3
	s_delay_alu instid0(VALU_DEP_1)
	v_cndmask_b32_e32 v1, 0x7fc0, v3, vcc_lo
.LBB167_1759:
	s_mov_b32 s8, 0
.LBB167_1760:
	s_delay_alu instid0(SALU_CYCLE_1)
	s_and_not1_b32 vcc_lo, exec_lo, s8
	s_cbranch_vccnz .LBB167_1762
; %bb.1761:
	global_load_u8 v1, v[22:23], off
	s_wait_loadcnt 0x0
	v_lshlrev_b32_e32 v3, 25, v1
	v_lshlrev_b16 v1, 8, v1
	s_delay_alu instid0(VALU_DEP_1) | instskip(SKIP_1) | instid1(VALU_DEP_2)
	v_and_or_b32 v7, 0x7f00, v1, 0.5
	v_bfe_i32 v1, v1, 0, 16
	v_add_f32_e32 v7, -0.5, v7
	v_lshrrev_b32_e32 v5, 4, v3
	v_cmp_gt_u32_e32 vcc_lo, 0x8000000, v3
	s_delay_alu instid0(VALU_DEP_2) | instskip(NEXT) | instid1(VALU_DEP_1)
	v_or_b32_e32 v5, 0x70000000, v5
	v_mul_f32_e32 v5, 0x7800000, v5
	s_delay_alu instid0(VALU_DEP_1) | instskip(NEXT) | instid1(VALU_DEP_1)
	v_cndmask_b32_e32 v3, v5, v7, vcc_lo
	v_and_or_b32 v1, 0x80000000, v1, v3
	v_bfe_u32 v3, v3, 16, 1
	s_delay_alu instid0(VALU_DEP_2) | instskip(NEXT) | instid1(VALU_DEP_2)
	v_cmp_o_f32_e32 vcc_lo, v1, v1
	v_add3_u32 v3, v1, v3, 0x7fff
	s_delay_alu instid0(VALU_DEP_1) | instskip(NEXT) | instid1(VALU_DEP_1)
	v_lshrrev_b32_e32 v3, 16, v3
	v_cndmask_b32_e32 v1, 0x7fc0, v3, vcc_lo
.LBB167_1762:
	s_mov_b32 s9, -1
	s_mov_b32 s8, 0
	s_cbranch_execnz .LBB167_1773
.LBB167_1763:
	s_cmp_gt_i32 s0, 14
	s_cbranch_scc0 .LBB167_1766
; %bb.1764:
	s_cmp_eq_u32 s0, 15
	s_cbranch_scc0 .LBB167_1769
; %bb.1765:
	global_load_u16 v1, v[22:23], off
	s_mov_b32 s1, 0
	s_mov_b32 s9, -1
	s_branch .LBB167_1771
.LBB167_1766:
	s_mov_b32 s8, -1
	s_branch .LBB167_1770
.LBB167_1767:
	s_or_saveexec_b32 s9, s9
	v_mov_b32_e32 v3, 0x7f800001
	s_xor_b32 exec_lo, exec_lo, s9
	s_cbranch_execz .LBB167_1749
.LBB167_1768:
	v_cmp_ne_u16_e32 vcc_lo, 0, v1
	v_mov_b32_e32 v3, 0
	s_and_not1_b32 s8, s8, exec_lo
	s_and_b32 s12, vcc_lo, exec_lo
	s_delay_alu instid0(SALU_CYCLE_1)
	s_or_b32 s8, s8, s12
	s_or_b32 exec_lo, exec_lo, s9
	s_and_saveexec_b32 s9, s8
	s_cbranch_execnz .LBB167_1750
	s_branch .LBB167_1751
.LBB167_1769:
	s_mov_b32 s1, -1
.LBB167_1770:
                                        ; implicit-def: $vgpr1
.LBB167_1771:
	s_and_b32 vcc_lo, exec_lo, s8
	s_mov_b32 s8, 0
	s_cbranch_vccz .LBB167_1773
; %bb.1772:
	s_cmp_lg_u32 s0, 11
	s_mov_b32 s8, -1
	s_cselect_b32 s1, -1, 0
.LBB167_1773:
	v_mov_b32_e32 v3, 0
.LBB167_1774:
	s_and_b32 vcc_lo, exec_lo, s1
	s_mov_b32 s1, s10
	s_cbranch_vccnz .LBB167_1837
; %bb.1775:
	s_and_not1_b32 vcc_lo, exec_lo, s8
	s_cbranch_vccnz .LBB167_1777
.LBB167_1776:
	s_wait_loadcnt 0x0
	global_load_u8 v1, v[22:23], off
	s_mov_b32 s9, -1
	v_mov_b32_e32 v3, 0
	s_wait_loadcnt 0x0
	v_cmp_ne_u16_e32 vcc_lo, 0, v1
	v_cndmask_b32_e64 v1, 0, 1.0, vcc_lo
	s_delay_alu instid0(VALU_DEP_1)
	v_lshrrev_b32_e32 v1, 16, v1
.LBB167_1777:
	s_branch .LBB167_1703
.LBB167_1778:
	s_and_b32 s0, 0xffff, s14
	s_delay_alu instid0(SALU_CYCLE_1)
	s_cmp_lt_i32 s0, 5
	s_cbranch_scc1 .LBB167_1783
; %bb.1779:
	s_cmp_lt_i32 s0, 8
	s_cbranch_scc1 .LBB167_1785
; %bb.1780:
	;; [unrolled: 3-line block ×3, first 2 shown]
	s_cmp_gt_i32 s0, 9
	s_cbranch_scc0 .LBB167_1787
; %bb.1782:
	global_load_b128 v[24:27], v[22:23], off
	s_mov_b32 s8, 0
	s_wait_loadcnt 0x0
	v_cvt_f32_f64_e32 v1, v[24:25]
	v_cvt_f32_f64_e32 v3, v[26:27]
	s_delay_alu instid0(VALU_DEP_2) | instskip(NEXT) | instid1(VALU_DEP_2)
	v_bfe_u32 v5, v1, 16, 1
	v_bfe_u32 v7, v3, 16, 1
	v_cmp_o_f32_e32 vcc_lo, v1, v1
	s_delay_alu instid0(VALU_DEP_3) | instskip(NEXT) | instid1(VALU_DEP_3)
	v_add3_u32 v5, v1, v5, 0x7fff
	v_add3_u32 v7, v3, v7, 0x7fff
	s_delay_alu instid0(VALU_DEP_2) | instskip(NEXT) | instid1(VALU_DEP_2)
	v_lshrrev_b32_e32 v5, 16, v5
	v_and_b32_e32 v7, 0xffff0000, v7
	s_delay_alu instid0(VALU_DEP_2) | instskip(SKIP_1) | instid1(VALU_DEP_3)
	v_cndmask_b32_e32 v1, 0x7fc0, v5, vcc_lo
	v_cmp_o_f32_e32 vcc_lo, v3, v3
	v_cndmask_b32_e32 v3, 0x7fc00000, v7, vcc_lo
	s_branch .LBB167_1788
.LBB167_1783:
                                        ; implicit-def: $vgpr3
                                        ; implicit-def: $vgpr1
	s_branch .LBB167_1806
.LBB167_1784:
	s_branch .LBB167_1825
.LBB167_1785:
                                        ; implicit-def: $vgpr3
                                        ; implicit-def: $vgpr1
	s_branch .LBB167_1794
.LBB167_1786:
	s_mov_b32 s8, -1
                                        ; implicit-def: $vgpr3
                                        ; implicit-def: $vgpr1
	s_branch .LBB167_1791
.LBB167_1787:
	s_mov_b32 s8, -1
                                        ; implicit-def: $vgpr3
                                        ; implicit-def: $vgpr1
.LBB167_1788:
	s_delay_alu instid0(SALU_CYCLE_1)
	s_and_not1_b32 vcc_lo, exec_lo, s8
	s_cbranch_vccnz .LBB167_1790
; %bb.1789:
	global_load_b64 v[24:25], v[22:23], off
	s_wait_loadcnt 0x0
	v_bfe_u32 v1, v24, 16, 1
	v_bfe_u32 v3, v25, 16, 1
	v_cmp_o_f32_e32 vcc_lo, v24, v24
	s_delay_alu instid0(VALU_DEP_3) | instskip(NEXT) | instid1(VALU_DEP_3)
	v_add3_u32 v1, v24, v1, 0x7fff
	v_add3_u32 v3, v25, v3, 0x7fff
	s_delay_alu instid0(VALU_DEP_2) | instskip(NEXT) | instid1(VALU_DEP_2)
	v_lshrrev_b32_e32 v1, 16, v1
	v_and_b32_e32 v3, 0xffff0000, v3
	s_delay_alu instid0(VALU_DEP_2) | instskip(SKIP_1) | instid1(VALU_DEP_3)
	v_cndmask_b32_e32 v1, 0x7fc0, v1, vcc_lo
	v_cmp_o_f32_e32 vcc_lo, v25, v25
	v_cndmask_b32_e32 v3, 0x7fc00000, v3, vcc_lo
.LBB167_1790:
	s_mov_b32 s8, 0
.LBB167_1791:
	s_delay_alu instid0(SALU_CYCLE_1)
	s_and_not1_b32 vcc_lo, exec_lo, s8
	s_cbranch_vccnz .LBB167_1793
; %bb.1792:
	s_wait_loadcnt 0x0
	global_load_b32 v1, v[22:23], off
	s_wait_loadcnt 0x0
	v_lshrrev_b32_e32 v3, 16, v1
	v_cvt_f32_f16_e32 v5, v1
	v_cmp_o_f16_e32 vcc_lo, v1, v1
	s_delay_alu instid0(VALU_DEP_3) | instskip(NEXT) | instid1(VALU_DEP_3)
	v_cvt_f32_f16_e32 v7, v3
	v_bfe_u32 v9, v5, 16, 1
	s_delay_alu instid0(VALU_DEP_2) | instskip(NEXT) | instid1(VALU_DEP_2)
	v_bfe_u32 v11, v7, 16, 1
	v_add3_u32 v5, v5, v9, 0x7fff
	s_delay_alu instid0(VALU_DEP_2) | instskip(NEXT) | instid1(VALU_DEP_2)
	v_add3_u32 v7, v7, v11, 0x7fff
	v_lshrrev_b32_e32 v5, 16, v5
	s_delay_alu instid0(VALU_DEP_2) | instskip(NEXT) | instid1(VALU_DEP_2)
	v_and_b32_e32 v7, 0xffff0000, v7
	v_cndmask_b32_e32 v1, 0x7fc0, v5, vcc_lo
	v_cmp_o_f16_e32 vcc_lo, v3, v3
	s_delay_alu instid0(VALU_DEP_3)
	v_cndmask_b32_e32 v3, 0x7fc00000, v7, vcc_lo
.LBB167_1793:
	s_cbranch_execnz .LBB167_1805
.LBB167_1794:
	s_cmp_lt_i32 s0, 6
	s_cbranch_scc1 .LBB167_1797
; %bb.1795:
	s_cmp_gt_i32 s0, 6
	s_cbranch_scc0 .LBB167_1798
; %bb.1796:
	global_load_b64 v[24:25], v[22:23], off
	s_mov_b32 s8, 0
	s_wait_loadcnt 0x0
	v_cvt_f32_f64_e32 v1, v[24:25]
	s_delay_alu instid0(VALU_DEP_1) | instskip(SKIP_1) | instid1(VALU_DEP_2)
	v_bfe_u32 v3, v1, 16, 1
	v_cmp_o_f32_e32 vcc_lo, v1, v1
	v_add3_u32 v3, v1, v3, 0x7fff
	s_delay_alu instid0(VALU_DEP_1) | instskip(NEXT) | instid1(VALU_DEP_1)
	v_lshrrev_b32_e32 v3, 16, v3
	v_cndmask_b32_e32 v1, 0x7fc0, v3, vcc_lo
	s_branch .LBB167_1799
.LBB167_1797:
	s_mov_b32 s8, -1
                                        ; implicit-def: $vgpr1
	s_branch .LBB167_1802
.LBB167_1798:
	s_mov_b32 s8, -1
                                        ; implicit-def: $vgpr1
.LBB167_1799:
	s_delay_alu instid0(SALU_CYCLE_1)
	s_and_not1_b32 vcc_lo, exec_lo, s8
	s_cbranch_vccnz .LBB167_1801
; %bb.1800:
	s_wait_loadcnt 0x0
	global_load_b32 v1, v[22:23], off
	s_wait_loadcnt 0x0
	v_bfe_u32 v3, v1, 16, 1
	v_cmp_o_f32_e32 vcc_lo, v1, v1
	s_delay_alu instid0(VALU_DEP_2) | instskip(NEXT) | instid1(VALU_DEP_1)
	v_add3_u32 v3, v1, v3, 0x7fff
	v_lshrrev_b32_e32 v3, 16, v3
	s_delay_alu instid0(VALU_DEP_1)
	v_cndmask_b32_e32 v1, 0x7fc0, v3, vcc_lo
.LBB167_1801:
	s_mov_b32 s8, 0
.LBB167_1802:
	s_delay_alu instid0(SALU_CYCLE_1)
	s_and_not1_b32 vcc_lo, exec_lo, s8
	s_cbranch_vccnz .LBB167_1804
; %bb.1803:
	s_wait_loadcnt 0x0
	global_load_u16 v1, v[22:23], off
	s_wait_loadcnt 0x0
	v_cvt_f32_f16_e32 v3, v1
	v_cmp_o_f16_e32 vcc_lo, v1, v1
	s_delay_alu instid0(VALU_DEP_2) | instskip(NEXT) | instid1(VALU_DEP_1)
	v_bfe_u32 v5, v3, 16, 1
	v_add3_u32 v3, v3, v5, 0x7fff
	s_delay_alu instid0(VALU_DEP_1) | instskip(NEXT) | instid1(VALU_DEP_1)
	v_lshrrev_b32_e32 v3, 16, v3
	v_cndmask_b32_e32 v1, 0x7fc0, v3, vcc_lo
.LBB167_1804:
	v_mov_b32_e32 v3, 0
.LBB167_1805:
	s_cbranch_execnz .LBB167_1784
.LBB167_1806:
	s_cmp_lt_i32 s0, 2
	s_cbranch_scc1 .LBB167_1810
; %bb.1807:
	s_cmp_lt_i32 s0, 3
	s_cbranch_scc1 .LBB167_1811
; %bb.1808:
	s_cmp_gt_i32 s0, 3
	s_cbranch_scc0 .LBB167_1812
; %bb.1809:
	global_load_b64 v[24:25], v[22:23], off
	s_mov_b32 s8, 0
	s_wait_loadcnt 0x0
	v_xor_b32_e32 v1, v24, v25
	v_cls_i32_e32 v3, v25
	s_delay_alu instid0(VALU_DEP_2) | instskip(NEXT) | instid1(VALU_DEP_1)
	v_ashrrev_i32_e32 v1, 31, v1
	v_add_nc_u32_e32 v1, 32, v1
	s_delay_alu instid0(VALU_DEP_1) | instskip(NEXT) | instid1(VALU_DEP_1)
	v_add_min_u32_e64 v1, v3, -1, v1
	v_lshlrev_b64_e32 v[24:25], v1, v[24:25]
	v_sub_nc_u32_e32 v1, 32, v1
	s_delay_alu instid0(VALU_DEP_2) | instskip(NEXT) | instid1(VALU_DEP_1)
	v_min_u32_e32 v3, 1, v24
	v_or_b32_e32 v3, v25, v3
	s_delay_alu instid0(VALU_DEP_1) | instskip(NEXT) | instid1(VALU_DEP_1)
	v_cvt_f32_i32_e32 v3, v3
	v_ldexp_f32 v1, v3, v1
	s_delay_alu instid0(VALU_DEP_1) | instskip(NEXT) | instid1(VALU_DEP_1)
	v_bfe_u32 v3, v1, 16, 1
	v_add3_u32 v1, v1, v3, 0x7fff
	s_delay_alu instid0(VALU_DEP_1)
	v_lshrrev_b32_e32 v1, 16, v1
	s_branch .LBB167_1813
.LBB167_1810:
                                        ; implicit-def: $vgpr1
	s_branch .LBB167_1819
.LBB167_1811:
	s_mov_b32 s8, -1
                                        ; implicit-def: $vgpr1
	s_branch .LBB167_1816
.LBB167_1812:
	s_mov_b32 s8, -1
                                        ; implicit-def: $vgpr1
.LBB167_1813:
	s_delay_alu instid0(SALU_CYCLE_1)
	s_and_not1_b32 vcc_lo, exec_lo, s8
	s_cbranch_vccnz .LBB167_1815
; %bb.1814:
	s_wait_loadcnt 0x0
	global_load_b32 v1, v[22:23], off
	s_wait_loadcnt 0x0
	v_cvt_f32_i32_e32 v1, v1
	s_delay_alu instid0(VALU_DEP_1) | instskip(NEXT) | instid1(VALU_DEP_1)
	v_bfe_u32 v3, v1, 16, 1
	v_add3_u32 v1, v1, v3, 0x7fff
	s_delay_alu instid0(VALU_DEP_1)
	v_lshrrev_b32_e32 v1, 16, v1
.LBB167_1815:
	s_mov_b32 s8, 0
.LBB167_1816:
	s_delay_alu instid0(SALU_CYCLE_1)
	s_and_not1_b32 vcc_lo, exec_lo, s8
	s_cbranch_vccnz .LBB167_1818
; %bb.1817:
	s_wait_loadcnt 0x0
	global_load_i16 v1, v[22:23], off
	s_wait_loadcnt 0x0
	v_cvt_f32_i32_e32 v1, v1
	s_delay_alu instid0(VALU_DEP_1) | instskip(NEXT) | instid1(VALU_DEP_1)
	v_bfe_u32 v3, v1, 16, 1
	v_add3_u32 v1, v1, v3, 0x7fff
	s_delay_alu instid0(VALU_DEP_1)
	v_lshrrev_b32_e32 v1, 16, v1
.LBB167_1818:
	s_cbranch_execnz .LBB167_1824
.LBB167_1819:
	s_cmp_gt_i32 s0, 0
	s_mov_b32 s0, 0
	s_cbranch_scc0 .LBB167_1821
; %bb.1820:
	s_wait_loadcnt 0x0
	global_load_i8 v1, v[22:23], off
	s_wait_loadcnt 0x0
	v_cvt_f32_i32_e32 v1, v1
	s_delay_alu instid0(VALU_DEP_1) | instskip(NEXT) | instid1(VALU_DEP_1)
	v_bfe_u32 v3, v1, 16, 1
	v_add3_u32 v1, v1, v3, 0x7fff
	s_delay_alu instid0(VALU_DEP_1)
	v_lshrrev_b32_e32 v1, 16, v1
	s_branch .LBB167_1822
.LBB167_1821:
	s_mov_b32 s0, -1
                                        ; implicit-def: $vgpr1
.LBB167_1822:
	s_delay_alu instid0(SALU_CYCLE_1)
	s_and_not1_b32 vcc_lo, exec_lo, s0
	s_cbranch_vccnz .LBB167_1824
; %bb.1823:
	s_wait_loadcnt 0x0
	global_load_u8 v1, v[22:23], off
	s_wait_loadcnt 0x0
	v_cvt_f32_ubyte0_e32 v1, v1
	s_delay_alu instid0(VALU_DEP_1) | instskip(NEXT) | instid1(VALU_DEP_1)
	v_bfe_u32 v3, v1, 16, 1
	v_add3_u32 v1, v1, v3, 0x7fff
	s_delay_alu instid0(VALU_DEP_1)
	v_lshrrev_b32_e32 v1, 16, v1
.LBB167_1824:
	v_mov_b32_e32 v3, 0
.LBB167_1825:
	v_mov_b32_e32 v21, 0
	s_load_b64 s[8:9], s[2:3], 0x198
	global_load_u8 v5, v21, s[2:3] offset:422
	s_wait_kmcnt 0x0
	v_add_nc_u64_e32 v[20:21], s[8:9], v[20:21]
	s_wait_loadcnt 0x0
	v_and_b32_e32 v7, 0xffff, v5
	v_readfirstlane_b32 s16, v5
	s_delay_alu instid0(VALU_DEP_2)
	v_cmp_gt_i32_e32 vcc_lo, 11, v7
	s_cbranch_vccnz .LBB167_1832
; %bb.1826:
	s_and_b32 s0, 0xffff, s16
	s_mov_b32 s13, 0
	s_cmp_gt_i32 s0, 25
	s_cbranch_scc0 .LBB167_1834
; %bb.1827:
	s_cmp_gt_i32 s0, 28
	s_cbranch_scc0 .LBB167_1835
; %bb.1828:
	;; [unrolled: 3-line block ×4, first 2 shown]
	s_cmp_eq_u32 s0, 46
	s_mov_b32 s17, 0
	s_cbranch_scc0 .LBB167_1841
; %bb.1831:
	global_load_b32 v5, v[20:21], off
	s_mov_b32 s12, 0
	s_mov_b32 s15, -1
	s_wait_loadcnt 0x0
	v_and_b32_e32 v7, 0xffff0000, v5
	s_branch .LBB167_1843
.LBB167_1832:
	s_mov_b32 s15, 0
                                        ; implicit-def: $vgpr7
                                        ; implicit-def: $vgpr5
	s_cbranch_execnz .LBB167_1911
.LBB167_1833:
	s_and_not1_b32 vcc_lo, exec_lo, s15
	s_cbranch_vccnz .LBB167_2793
	s_branch .LBB167_1960
.LBB167_1834:
	s_mov_b32 s15, 0
	s_mov_b32 s12, 0
                                        ; implicit-def: $vgpr7
                                        ; implicit-def: $vgpr5
	s_cbranch_execnz .LBB167_1874
	s_branch .LBB167_1907
.LBB167_1835:
	s_mov_b32 s17, -1
	s_mov_b32 s15, 0
	s_mov_b32 s12, 0
                                        ; implicit-def: $vgpr7
                                        ; implicit-def: $vgpr5
	s_branch .LBB167_1855
.LBB167_1836:
	s_mov_b32 s17, -1
	s_mov_b32 s15, 0
	s_mov_b32 s12, 0
                                        ; implicit-def: $vgpr7
                                        ; implicit-def: $vgpr5
	s_branch .LBB167_1849
.LBB167_1837:
	s_or_b32 s1, s10, exec_lo
	s_trap 2
	s_cbranch_execz .LBB167_1776
	s_branch .LBB167_1777
.LBB167_1838:
	s_mov_b32 s17, -1
	s_mov_b32 s15, 0
	s_mov_b32 s12, 0
	s_branch .LBB167_1842
.LBB167_1839:
	s_and_not1_saveexec_b32 s11, s11
	s_cbranch_execz .LBB167_1575
.LBB167_1840:
	v_add_f32_e32 v2, 0x42800000, v3
	s_and_not1_b32 s10, s10, exec_lo
	s_delay_alu instid0(VALU_DEP_1) | instskip(NEXT) | instid1(VALU_DEP_1)
	v_and_b32_e32 v2, 0xff, v2
	v_cmp_ne_u32_e32 vcc_lo, 0, v2
	s_and_b32 s12, vcc_lo, exec_lo
	s_delay_alu instid0(SALU_CYCLE_1)
	s_or_b32 s10, s10, s12
	s_or_b32 exec_lo, exec_lo, s11
	v_mov_b32_e32 v4, 0
	s_and_saveexec_b32 s11, s10
	s_cbranch_execnz .LBB167_1576
	s_branch .LBB167_1577
.LBB167_1841:
	s_mov_b32 s12, -1
	s_mov_b32 s15, 0
.LBB167_1842:
                                        ; implicit-def: $vgpr7
                                        ; implicit-def: $vgpr5
.LBB167_1843:
	s_and_b32 vcc_lo, exec_lo, s17
	s_cbranch_vccz .LBB167_1848
; %bb.1844:
	s_cmp_eq_u32 s0, 44
	s_cbranch_scc0 .LBB167_1846
; %bb.1845:
	global_load_u8 v5, v[20:21], off
	s_mov_b32 s12, 0
	s_mov_b32 s15, -1
	s_wait_loadcnt 0x0
	v_lshlrev_b32_e32 v7, 23, v5
	v_cmp_ne_u32_e32 vcc_lo, 0xff, v5
	s_delay_alu instid0(VALU_DEP_2) | instskip(SKIP_1) | instid1(VALU_DEP_2)
	v_cndmask_b32_e32 v7, 0x7f800001, v7, vcc_lo
	v_cmp_ne_u32_e32 vcc_lo, 0, v5
	v_cndmask_b32_e32 v5, 0x400000, v7, vcc_lo
	s_delay_alu instid0(VALU_DEP_1) | instskip(SKIP_1) | instid1(VALU_DEP_2)
	v_add_nc_u32_e32 v7, 0x7fff, v5
	v_cmp_o_f32_e32 vcc_lo, v5, v5
	v_lshrrev_b32_e32 v7, 16, v7
	s_delay_alu instid0(VALU_DEP_1)
	v_cndmask_b32_e32 v5, 0x7fc0, v7, vcc_lo
	s_branch .LBB167_1847
.LBB167_1846:
	s_mov_b32 s12, -1
                                        ; implicit-def: $vgpr5
.LBB167_1847:
	v_mov_b32_e32 v7, 0
.LBB167_1848:
	s_mov_b32 s17, 0
.LBB167_1849:
	s_delay_alu instid0(SALU_CYCLE_1)
	s_and_b32 vcc_lo, exec_lo, s17
	s_cbranch_vccz .LBB167_1854
; %bb.1850:
	s_cmp_eq_u32 s0, 29
	s_cbranch_scc0 .LBB167_1852
; %bb.1851:
	global_load_b64 v[22:23], v[20:21], off
	s_mov_b32 s12, 0
	s_mov_b32 s15, -1
	s_wait_loadcnt 0x0
	v_clz_i32_u32_e32 v5, v23
	s_delay_alu instid0(VALU_DEP_1) | instskip(NEXT) | instid1(VALU_DEP_1)
	v_min_u32_e32 v5, 32, v5
	v_lshlrev_b64_e32 v[22:23], v5, v[22:23]
	v_sub_nc_u32_e32 v5, 32, v5
	s_delay_alu instid0(VALU_DEP_2) | instskip(NEXT) | instid1(VALU_DEP_1)
	v_min_u32_e32 v7, 1, v22
	v_or_b32_e32 v7, v23, v7
	s_delay_alu instid0(VALU_DEP_1) | instskip(NEXT) | instid1(VALU_DEP_1)
	v_cvt_f32_u32_e32 v7, v7
	v_ldexp_f32 v5, v7, v5
	s_delay_alu instid0(VALU_DEP_1) | instskip(NEXT) | instid1(VALU_DEP_1)
	v_bfe_u32 v7, v5, 16, 1
	v_add3_u32 v5, v5, v7, 0x7fff
	s_delay_alu instid0(VALU_DEP_1)
	v_lshrrev_b32_e32 v5, 16, v5
	s_branch .LBB167_1853
.LBB167_1852:
	s_mov_b32 s12, -1
                                        ; implicit-def: $vgpr5
.LBB167_1853:
	v_mov_b32_e32 v7, 0
.LBB167_1854:
	s_mov_b32 s17, 0
.LBB167_1855:
	s_delay_alu instid0(SALU_CYCLE_1)
	s_and_b32 vcc_lo, exec_lo, s17
	s_cbranch_vccz .LBB167_1873
; %bb.1856:
	s_cmp_lt_i32 s0, 27
	s_cbranch_scc1 .LBB167_1859
; %bb.1857:
	s_cmp_gt_i32 s0, 27
	s_cbranch_scc0 .LBB167_1860
; %bb.1858:
	global_load_b32 v5, v[20:21], off
	s_mov_b32 s15, 0
	s_wait_loadcnt 0x0
	v_cvt_f32_u32_e32 v5, v5
	s_delay_alu instid0(VALU_DEP_1) | instskip(NEXT) | instid1(VALU_DEP_1)
	v_bfe_u32 v7, v5, 16, 1
	v_add3_u32 v5, v5, v7, 0x7fff
	s_delay_alu instid0(VALU_DEP_1)
	v_lshrrev_b32_e32 v5, 16, v5
	s_branch .LBB167_1861
.LBB167_1859:
	s_mov_b32 s15, -1
                                        ; implicit-def: $vgpr5
	s_branch .LBB167_1864
.LBB167_1860:
	s_mov_b32 s15, -1
                                        ; implicit-def: $vgpr5
.LBB167_1861:
	s_delay_alu instid0(SALU_CYCLE_1)
	s_and_not1_b32 vcc_lo, exec_lo, s15
	s_cbranch_vccnz .LBB167_1863
; %bb.1862:
	global_load_u16 v5, v[20:21], off
	s_wait_loadcnt 0x0
	v_cvt_f32_u32_e32 v5, v5
	s_delay_alu instid0(VALU_DEP_1) | instskip(NEXT) | instid1(VALU_DEP_1)
	v_bfe_u32 v7, v5, 16, 1
	v_add3_u32 v5, v5, v7, 0x7fff
	s_delay_alu instid0(VALU_DEP_1)
	v_lshrrev_b32_e32 v5, 16, v5
.LBB167_1863:
	s_mov_b32 s15, 0
.LBB167_1864:
	s_delay_alu instid0(SALU_CYCLE_1)
	s_and_not1_b32 vcc_lo, exec_lo, s15
	s_cbranch_vccnz .LBB167_1872
; %bb.1865:
	global_load_u8 v5, v[20:21], off
	s_mov_b32 s15, 0
	s_mov_b32 s17, exec_lo
	s_wait_loadcnt 0x0
	v_cmpx_lt_i16_e32 0x7f, v5
	s_xor_b32 s17, exec_lo, s17
	s_cbranch_execz .LBB167_1885
; %bb.1866:
	s_mov_b32 s15, -1
	s_mov_b32 s18, exec_lo
	v_cmpx_eq_u16_e32 0x80, v5
; %bb.1867:
	s_xor_b32 s15, exec_lo, -1
; %bb.1868:
	s_or_b32 exec_lo, exec_lo, s18
	s_delay_alu instid0(SALU_CYCLE_1)
	s_and_b32 s15, s15, exec_lo
	s_or_saveexec_b32 s17, s17
	v_mov_b32_e32 v7, 0x7f800001
	s_xor_b32 exec_lo, exec_lo, s17
	s_cbranch_execnz .LBB167_1886
.LBB167_1869:
	s_or_b32 exec_lo, exec_lo, s17
	s_and_saveexec_b32 s17, s15
	s_cbranch_execz .LBB167_1871
.LBB167_1870:
	v_and_b32_e32 v7, 0xffff, v5
	s_delay_alu instid0(VALU_DEP_1) | instskip(SKIP_1) | instid1(VALU_DEP_2)
	v_dual_lshlrev_b32 v5, 24, v5 :: v_dual_bitop2_b32 v9, 7, v7 bitop3:0x40
	v_bfe_u32 v15, v7, 3, 4
	v_and_b32_e32 v5, 0x80000000, v5
	s_delay_alu instid0(VALU_DEP_3) | instskip(NEXT) | instid1(VALU_DEP_3)
	v_clz_i32_u32_e32 v11, v9
	v_cmp_eq_u32_e32 vcc_lo, 0, v15
	s_delay_alu instid0(VALU_DEP_2) | instskip(NEXT) | instid1(VALU_DEP_1)
	v_min_u32_e32 v11, 32, v11
	v_subrev_nc_u32_e32 v13, 28, v11
	v_sub_nc_u32_e32 v11, 29, v11
	s_delay_alu instid0(VALU_DEP_2) | instskip(NEXT) | instid1(VALU_DEP_2)
	v_lshlrev_b32_e32 v7, v13, v7
	v_cndmask_b32_e32 v11, v15, v11, vcc_lo
	s_delay_alu instid0(VALU_DEP_2) | instskip(NEXT) | instid1(VALU_DEP_1)
	v_and_b32_e32 v7, 7, v7
	v_cndmask_b32_e32 v7, v9, v7, vcc_lo
	s_delay_alu instid0(VALU_DEP_3) | instskip(NEXT) | instid1(VALU_DEP_2)
	v_lshl_add_u32 v9, v11, 23, 0x3b800000
	v_lshlrev_b32_e32 v7, 20, v7
	s_delay_alu instid0(VALU_DEP_1)
	v_or3_b32 v7, v5, v9, v7
.LBB167_1871:
	s_or_b32 exec_lo, exec_lo, s17
	s_delay_alu instid0(VALU_DEP_1) | instskip(SKIP_1) | instid1(VALU_DEP_2)
	v_bfe_u32 v5, v7, 16, 1
	v_cmp_o_f32_e32 vcc_lo, v7, v7
	v_add3_u32 v5, v7, v5, 0x7fff
	s_delay_alu instid0(VALU_DEP_1) | instskip(NEXT) | instid1(VALU_DEP_1)
	v_lshrrev_b32_e32 v5, 16, v5
	v_cndmask_b32_e32 v5, 0x7fc0, v5, vcc_lo
.LBB167_1872:
	v_mov_b32_e32 v7, 0
	s_mov_b32 s15, -1
.LBB167_1873:
	s_branch .LBB167_1907
.LBB167_1874:
	s_cmp_gt_i32 s0, 22
	s_cbranch_scc0 .LBB167_1884
; %bb.1875:
	s_cmp_lt_i32 s0, 24
	s_cbranch_scc1 .LBB167_1887
; %bb.1876:
	s_cmp_gt_i32 s0, 24
	s_cbranch_scc0 .LBB167_1888
; %bb.1877:
	global_load_u8 v5, v[20:21], off
	s_mov_b32 s15, exec_lo
	s_wait_loadcnt 0x0
	v_cmpx_lt_i16_e32 0x7f, v5
	s_xor_b32 s15, exec_lo, s15
	s_cbranch_execz .LBB167_1900
; %bb.1878:
	s_mov_b32 s13, -1
	s_mov_b32 s17, exec_lo
	v_cmpx_eq_u16_e32 0x80, v5
; %bb.1879:
	s_xor_b32 s13, exec_lo, -1
; %bb.1880:
	s_or_b32 exec_lo, exec_lo, s17
	s_delay_alu instid0(SALU_CYCLE_1)
	s_and_b32 s13, s13, exec_lo
	s_or_saveexec_b32 s15, s15
	v_mov_b32_e32 v7, 0x7f800001
	s_xor_b32 exec_lo, exec_lo, s15
	s_cbranch_execnz .LBB167_1901
.LBB167_1881:
	s_or_b32 exec_lo, exec_lo, s15
	s_and_saveexec_b32 s15, s13
	s_cbranch_execz .LBB167_1883
.LBB167_1882:
	v_and_b32_e32 v7, 0xffff, v5
	s_delay_alu instid0(VALU_DEP_1) | instskip(SKIP_1) | instid1(VALU_DEP_2)
	v_dual_lshlrev_b32 v5, 24, v5 :: v_dual_bitop2_b32 v9, 3, v7 bitop3:0x40
	v_bfe_u32 v15, v7, 2, 5
	v_and_b32_e32 v5, 0x80000000, v5
	s_delay_alu instid0(VALU_DEP_3) | instskip(NEXT) | instid1(VALU_DEP_3)
	v_clz_i32_u32_e32 v11, v9
	v_cmp_eq_u32_e32 vcc_lo, 0, v15
	s_delay_alu instid0(VALU_DEP_2) | instskip(NEXT) | instid1(VALU_DEP_1)
	v_min_u32_e32 v11, 32, v11
	v_subrev_nc_u32_e32 v13, 29, v11
	v_sub_nc_u32_e32 v11, 30, v11
	s_delay_alu instid0(VALU_DEP_2) | instskip(NEXT) | instid1(VALU_DEP_2)
	v_lshlrev_b32_e32 v7, v13, v7
	v_cndmask_b32_e32 v11, v15, v11, vcc_lo
	s_delay_alu instid0(VALU_DEP_2) | instskip(NEXT) | instid1(VALU_DEP_1)
	v_and_b32_e32 v7, 3, v7
	v_cndmask_b32_e32 v7, v9, v7, vcc_lo
	s_delay_alu instid0(VALU_DEP_3) | instskip(NEXT) | instid1(VALU_DEP_2)
	v_lshl_add_u32 v9, v11, 23, 0x37800000
	v_lshlrev_b32_e32 v7, 21, v7
	s_delay_alu instid0(VALU_DEP_1)
	v_or3_b32 v7, v5, v9, v7
.LBB167_1883:
	s_or_b32 exec_lo, exec_lo, s15
	s_delay_alu instid0(VALU_DEP_1) | instskip(SKIP_2) | instid1(VALU_DEP_2)
	v_bfe_u32 v5, v7, 16, 1
	v_cmp_o_f32_e32 vcc_lo, v7, v7
	s_mov_b32 s13, 0
	v_add3_u32 v5, v7, v5, 0x7fff
	s_delay_alu instid0(VALU_DEP_1) | instskip(NEXT) | instid1(VALU_DEP_1)
	v_lshrrev_b32_e32 v5, 16, v5
	v_cndmask_b32_e32 v5, 0x7fc0, v5, vcc_lo
	s_branch .LBB167_1889
.LBB167_1884:
	s_mov_b32 s13, -1
                                        ; implicit-def: $vgpr5
	s_branch .LBB167_1895
.LBB167_1885:
	s_or_saveexec_b32 s17, s17
	v_mov_b32_e32 v7, 0x7f800001
	s_xor_b32 exec_lo, exec_lo, s17
	s_cbranch_execz .LBB167_1869
.LBB167_1886:
	v_cmp_ne_u16_e32 vcc_lo, 0, v5
	v_mov_b32_e32 v7, 0
	s_and_not1_b32 s15, s15, exec_lo
	s_and_b32 s18, vcc_lo, exec_lo
	s_delay_alu instid0(SALU_CYCLE_1)
	s_or_b32 s15, s15, s18
	s_or_b32 exec_lo, exec_lo, s17
	s_and_saveexec_b32 s17, s15
	s_cbranch_execnz .LBB167_1870
	s_branch .LBB167_1871
.LBB167_1887:
	s_mov_b32 s13, -1
                                        ; implicit-def: $vgpr5
	s_branch .LBB167_1892
.LBB167_1888:
	s_mov_b32 s13, -1
                                        ; implicit-def: $vgpr5
.LBB167_1889:
	s_delay_alu instid0(SALU_CYCLE_1)
	s_and_b32 vcc_lo, exec_lo, s13
	s_cbranch_vccz .LBB167_1891
; %bb.1890:
	global_load_u8 v5, v[20:21], off
	s_wait_loadcnt 0x0
	v_lshlrev_b32_e32 v5, 24, v5
	s_delay_alu instid0(VALU_DEP_1) | instskip(NEXT) | instid1(VALU_DEP_1)
	v_and_b32_e32 v7, 0x7f000000, v5
	v_clz_i32_u32_e32 v9, v7
	v_add_nc_u32_e32 v13, 0x1000000, v7
	v_cmp_ne_u32_e32 vcc_lo, 0, v7
	s_delay_alu instid0(VALU_DEP_3) | instskip(NEXT) | instid1(VALU_DEP_1)
	v_min_u32_e32 v9, 32, v9
	v_sub_nc_u32_e64 v9, v9, 4 clamp
	s_delay_alu instid0(VALU_DEP_1) | instskip(NEXT) | instid1(VALU_DEP_1)
	v_dual_lshlrev_b32 v11, v9, v7 :: v_dual_lshlrev_b32 v9, 23, v9
	v_lshrrev_b32_e32 v11, 4, v11
	s_delay_alu instid0(VALU_DEP_1) | instskip(SKIP_1) | instid1(VALU_DEP_2)
	v_sub_nc_u32_e32 v9, v11, v9
	v_ashrrev_i32_e32 v11, 8, v13
	v_add_nc_u32_e32 v9, 0x3c000000, v9
	s_delay_alu instid0(VALU_DEP_1) | instskip(NEXT) | instid1(VALU_DEP_1)
	v_and_or_b32 v9, 0x7f800000, v11, v9
	v_cndmask_b32_e32 v7, 0, v9, vcc_lo
	s_delay_alu instid0(VALU_DEP_1) | instskip(SKIP_1) | instid1(VALU_DEP_2)
	v_and_or_b32 v5, 0x80000000, v5, v7
	v_bfe_u32 v7, v7, 16, 1
	v_cmp_o_f32_e32 vcc_lo, v5, v5
	s_delay_alu instid0(VALU_DEP_2) | instskip(NEXT) | instid1(VALU_DEP_1)
	v_add3_u32 v7, v5, v7, 0x7fff
	v_lshrrev_b32_e32 v7, 16, v7
	s_delay_alu instid0(VALU_DEP_1)
	v_cndmask_b32_e32 v5, 0x7fc0, v7, vcc_lo
.LBB167_1891:
	s_mov_b32 s13, 0
.LBB167_1892:
	s_delay_alu instid0(SALU_CYCLE_1)
	s_and_not1_b32 vcc_lo, exec_lo, s13
	s_cbranch_vccnz .LBB167_1894
; %bb.1893:
	global_load_u8 v5, v[20:21], off
	s_wait_loadcnt 0x0
	v_lshlrev_b32_e32 v7, 25, v5
	v_lshlrev_b16 v5, 8, v5
	s_delay_alu instid0(VALU_DEP_1) | instskip(SKIP_1) | instid1(VALU_DEP_2)
	v_and_or_b32 v11, 0x7f00, v5, 0.5
	v_bfe_i32 v5, v5, 0, 16
	v_add_f32_e32 v11, -0.5, v11
	v_lshrrev_b32_e32 v9, 4, v7
	v_cmp_gt_u32_e32 vcc_lo, 0x8000000, v7
	s_delay_alu instid0(VALU_DEP_2) | instskip(NEXT) | instid1(VALU_DEP_1)
	v_or_b32_e32 v9, 0x70000000, v9
	v_mul_f32_e32 v9, 0x7800000, v9
	s_delay_alu instid0(VALU_DEP_1) | instskip(NEXT) | instid1(VALU_DEP_1)
	v_cndmask_b32_e32 v7, v9, v11, vcc_lo
	v_and_or_b32 v5, 0x80000000, v5, v7
	v_bfe_u32 v7, v7, 16, 1
	s_delay_alu instid0(VALU_DEP_2) | instskip(NEXT) | instid1(VALU_DEP_2)
	v_cmp_o_f32_e32 vcc_lo, v5, v5
	v_add3_u32 v7, v5, v7, 0x7fff
	s_delay_alu instid0(VALU_DEP_1) | instskip(NEXT) | instid1(VALU_DEP_1)
	v_lshrrev_b32_e32 v7, 16, v7
	v_cndmask_b32_e32 v5, 0x7fc0, v7, vcc_lo
.LBB167_1894:
	s_mov_b32 s13, 0
	s_mov_b32 s15, -1
.LBB167_1895:
	s_and_not1_b32 vcc_lo, exec_lo, s13
	s_mov_b32 s13, 0
	s_cbranch_vccnz .LBB167_1906
; %bb.1896:
	s_cmp_gt_i32 s0, 14
	s_cbranch_scc0 .LBB167_1899
; %bb.1897:
	s_cmp_eq_u32 s0, 15
	s_cbranch_scc0 .LBB167_1902
; %bb.1898:
	global_load_u16 v5, v[20:21], off
	s_mov_b32 s12, 0
	s_mov_b32 s15, -1
	s_branch .LBB167_1904
.LBB167_1899:
	s_mov_b32 s13, -1
	s_branch .LBB167_1903
.LBB167_1900:
	s_or_saveexec_b32 s15, s15
	v_mov_b32_e32 v7, 0x7f800001
	s_xor_b32 exec_lo, exec_lo, s15
	s_cbranch_execz .LBB167_1881
.LBB167_1901:
	v_cmp_ne_u16_e32 vcc_lo, 0, v5
	v_mov_b32_e32 v7, 0
	s_and_not1_b32 s13, s13, exec_lo
	s_and_b32 s17, vcc_lo, exec_lo
	s_delay_alu instid0(SALU_CYCLE_1)
	s_or_b32 s13, s13, s17
	s_or_b32 exec_lo, exec_lo, s15
	s_and_saveexec_b32 s15, s13
	s_cbranch_execnz .LBB167_1882
	s_branch .LBB167_1883
.LBB167_1902:
	s_mov_b32 s12, -1
.LBB167_1903:
                                        ; implicit-def: $vgpr5
.LBB167_1904:
	s_and_b32 vcc_lo, exec_lo, s13
	s_mov_b32 s13, 0
	s_cbranch_vccz .LBB167_1906
; %bb.1905:
	s_cmp_lg_u32 s0, 11
	s_mov_b32 s13, -1
	s_cselect_b32 s12, -1, 0
.LBB167_1906:
	v_mov_b32_e32 v7, 0
.LBB167_1907:
	s_and_b32 vcc_lo, exec_lo, s12
	s_cbranch_vccnz .LBB167_1988
; %bb.1908:
	s_and_not1_b32 vcc_lo, exec_lo, s13
	s_cbranch_vccnz .LBB167_1910
.LBB167_1909:
	s_wait_loadcnt 0x0
	global_load_u8 v5, v[20:21], off
	s_mov_b32 s15, -1
	v_mov_b32_e32 v7, 0
	s_wait_loadcnt 0x0
	v_cmp_ne_u16_e32 vcc_lo, 0, v5
	v_cndmask_b32_e64 v5, 0, 1.0, vcc_lo
	s_delay_alu instid0(VALU_DEP_1)
	v_lshrrev_b32_e32 v5, 16, v5
.LBB167_1910:
	s_branch .LBB167_1833
.LBB167_1911:
	s_and_b32 s0, 0xffff, s16
	s_delay_alu instid0(SALU_CYCLE_1)
	s_cmp_lt_i32 s0, 5
	s_cbranch_scc1 .LBB167_1916
; %bb.1912:
	s_cmp_lt_i32 s0, 8
	s_cbranch_scc1 .LBB167_1918
; %bb.1913:
	;; [unrolled: 3-line block ×3, first 2 shown]
	s_cmp_gt_i32 s0, 9
	s_cbranch_scc0 .LBB167_1920
; %bb.1915:
	global_load_b128 v[22:25], v[20:21], off
	s_mov_b32 s12, 0
	s_wait_loadcnt 0x0
	v_cvt_f32_f64_e32 v5, v[22:23]
	v_cvt_f32_f64_e32 v7, v[24:25]
	s_delay_alu instid0(VALU_DEP_2) | instskip(NEXT) | instid1(VALU_DEP_2)
	v_bfe_u32 v9, v5, 16, 1
	v_bfe_u32 v11, v7, 16, 1
	v_cmp_o_f32_e32 vcc_lo, v5, v5
	s_delay_alu instid0(VALU_DEP_3) | instskip(NEXT) | instid1(VALU_DEP_3)
	v_add3_u32 v9, v5, v9, 0x7fff
	v_add3_u32 v11, v7, v11, 0x7fff
	s_delay_alu instid0(VALU_DEP_2) | instskip(NEXT) | instid1(VALU_DEP_2)
	v_lshrrev_b32_e32 v9, 16, v9
	v_and_b32_e32 v11, 0xffff0000, v11
	s_delay_alu instid0(VALU_DEP_2) | instskip(SKIP_1) | instid1(VALU_DEP_3)
	v_cndmask_b32_e32 v5, 0x7fc0, v9, vcc_lo
	v_cmp_o_f32_e32 vcc_lo, v7, v7
	v_cndmask_b32_e32 v7, 0x7fc00000, v11, vcc_lo
	s_branch .LBB167_1921
.LBB167_1916:
                                        ; implicit-def: $vgpr7
                                        ; implicit-def: $vgpr5
	s_branch .LBB167_1940
.LBB167_1917:
	s_branch .LBB167_1960
.LBB167_1918:
	s_mov_b32 s12, -1
                                        ; implicit-def: $vgpr7
                                        ; implicit-def: $vgpr5
	s_branch .LBB167_1927
.LBB167_1919:
	s_mov_b32 s12, -1
                                        ; implicit-def: $vgpr7
                                        ; implicit-def: $vgpr5
	s_branch .LBB167_1924
.LBB167_1920:
	s_mov_b32 s12, -1
                                        ; implicit-def: $vgpr7
                                        ; implicit-def: $vgpr5
.LBB167_1921:
	s_delay_alu instid0(SALU_CYCLE_1)
	s_and_not1_b32 vcc_lo, exec_lo, s12
	s_cbranch_vccnz .LBB167_1923
; %bb.1922:
	global_load_b64 v[22:23], v[20:21], off
	s_wait_loadcnt 0x0
	v_bfe_u32 v5, v22, 16, 1
	v_bfe_u32 v7, v23, 16, 1
	v_cmp_o_f32_e32 vcc_lo, v22, v22
	s_delay_alu instid0(VALU_DEP_3) | instskip(NEXT) | instid1(VALU_DEP_3)
	v_add3_u32 v5, v22, v5, 0x7fff
	v_add3_u32 v7, v23, v7, 0x7fff
	s_delay_alu instid0(VALU_DEP_2) | instskip(NEXT) | instid1(VALU_DEP_2)
	v_lshrrev_b32_e32 v5, 16, v5
	v_and_b32_e32 v7, 0xffff0000, v7
	s_delay_alu instid0(VALU_DEP_2) | instskip(SKIP_1) | instid1(VALU_DEP_3)
	v_cndmask_b32_e32 v5, 0x7fc0, v5, vcc_lo
	v_cmp_o_f32_e32 vcc_lo, v23, v23
	v_cndmask_b32_e32 v7, 0x7fc00000, v7, vcc_lo
.LBB167_1923:
	s_mov_b32 s12, 0
.LBB167_1924:
	s_delay_alu instid0(SALU_CYCLE_1)
	s_and_not1_b32 vcc_lo, exec_lo, s12
	s_cbranch_vccnz .LBB167_1926
; %bb.1925:
	s_wait_loadcnt 0x0
	global_load_b32 v5, v[20:21], off
	s_wait_loadcnt 0x0
	v_lshrrev_b32_e32 v7, 16, v5
	v_cvt_f32_f16_e32 v9, v5
	v_cmp_o_f16_e32 vcc_lo, v5, v5
	s_delay_alu instid0(VALU_DEP_3) | instskip(NEXT) | instid1(VALU_DEP_3)
	v_cvt_f32_f16_e32 v11, v7
	v_bfe_u32 v13, v9, 16, 1
	s_delay_alu instid0(VALU_DEP_2) | instskip(NEXT) | instid1(VALU_DEP_2)
	v_bfe_u32 v15, v11, 16, 1
	v_add3_u32 v9, v9, v13, 0x7fff
	s_delay_alu instid0(VALU_DEP_2) | instskip(NEXT) | instid1(VALU_DEP_2)
	v_add3_u32 v11, v11, v15, 0x7fff
	v_lshrrev_b32_e32 v9, 16, v9
	s_delay_alu instid0(VALU_DEP_2) | instskip(NEXT) | instid1(VALU_DEP_2)
	v_and_b32_e32 v11, 0xffff0000, v11
	v_cndmask_b32_e32 v5, 0x7fc0, v9, vcc_lo
	v_cmp_o_f16_e32 vcc_lo, v7, v7
	s_delay_alu instid0(VALU_DEP_3)
	v_cndmask_b32_e32 v7, 0x7fc00000, v11, vcc_lo
.LBB167_1926:
	s_mov_b32 s12, 0
.LBB167_1927:
	s_delay_alu instid0(SALU_CYCLE_1)
	s_and_not1_b32 vcc_lo, exec_lo, s12
	s_cbranch_vccnz .LBB167_1939
; %bb.1928:
	s_cmp_lt_i32 s0, 6
	s_cbranch_scc1 .LBB167_1931
; %bb.1929:
	s_cmp_gt_i32 s0, 6
	s_cbranch_scc0 .LBB167_1932
; %bb.1930:
	global_load_b64 v[22:23], v[20:21], off
	s_mov_b32 s12, 0
	s_wait_loadcnt 0x0
	v_cvt_f32_f64_e32 v5, v[22:23]
	s_delay_alu instid0(VALU_DEP_1) | instskip(SKIP_1) | instid1(VALU_DEP_2)
	v_bfe_u32 v7, v5, 16, 1
	v_cmp_o_f32_e32 vcc_lo, v5, v5
	v_add3_u32 v7, v5, v7, 0x7fff
	s_delay_alu instid0(VALU_DEP_1) | instskip(NEXT) | instid1(VALU_DEP_1)
	v_lshrrev_b32_e32 v7, 16, v7
	v_cndmask_b32_e32 v5, 0x7fc0, v7, vcc_lo
	s_branch .LBB167_1933
.LBB167_1931:
	s_mov_b32 s12, -1
                                        ; implicit-def: $vgpr5
	s_branch .LBB167_1936
.LBB167_1932:
	s_mov_b32 s12, -1
                                        ; implicit-def: $vgpr5
.LBB167_1933:
	s_delay_alu instid0(SALU_CYCLE_1)
	s_and_not1_b32 vcc_lo, exec_lo, s12
	s_cbranch_vccnz .LBB167_1935
; %bb.1934:
	s_wait_loadcnt 0x0
	global_load_b32 v5, v[20:21], off
	s_wait_loadcnt 0x0
	v_bfe_u32 v7, v5, 16, 1
	v_cmp_o_f32_e32 vcc_lo, v5, v5
	s_delay_alu instid0(VALU_DEP_2) | instskip(NEXT) | instid1(VALU_DEP_1)
	v_add3_u32 v7, v5, v7, 0x7fff
	v_lshrrev_b32_e32 v7, 16, v7
	s_delay_alu instid0(VALU_DEP_1)
	v_cndmask_b32_e32 v5, 0x7fc0, v7, vcc_lo
.LBB167_1935:
	s_mov_b32 s12, 0
.LBB167_1936:
	s_delay_alu instid0(SALU_CYCLE_1)
	s_and_not1_b32 vcc_lo, exec_lo, s12
	s_cbranch_vccnz .LBB167_1938
; %bb.1937:
	s_wait_loadcnt 0x0
	global_load_u16 v5, v[20:21], off
	s_wait_loadcnt 0x0
	v_cvt_f32_f16_e32 v7, v5
	v_cmp_o_f16_e32 vcc_lo, v5, v5
	s_delay_alu instid0(VALU_DEP_2) | instskip(NEXT) | instid1(VALU_DEP_1)
	v_bfe_u32 v9, v7, 16, 1
	v_add3_u32 v7, v7, v9, 0x7fff
	s_delay_alu instid0(VALU_DEP_1) | instskip(NEXT) | instid1(VALU_DEP_1)
	v_lshrrev_b32_e32 v7, 16, v7
	v_cndmask_b32_e32 v5, 0x7fc0, v7, vcc_lo
.LBB167_1938:
	v_mov_b32_e32 v7, 0
.LBB167_1939:
	s_cbranch_execnz .LBB167_1917
.LBB167_1940:
	s_cmp_lt_i32 s0, 2
	s_cbranch_scc1 .LBB167_1944
; %bb.1941:
	s_cmp_lt_i32 s0, 3
	s_cbranch_scc1 .LBB167_1945
; %bb.1942:
	s_cmp_gt_i32 s0, 3
	s_cbranch_scc0 .LBB167_1946
; %bb.1943:
	global_load_b64 v[22:23], v[20:21], off
	s_mov_b32 s12, 0
	s_wait_loadcnt 0x0
	v_xor_b32_e32 v5, v22, v23
	v_cls_i32_e32 v7, v23
	s_delay_alu instid0(VALU_DEP_2) | instskip(NEXT) | instid1(VALU_DEP_1)
	v_ashrrev_i32_e32 v5, 31, v5
	v_add_nc_u32_e32 v5, 32, v5
	s_delay_alu instid0(VALU_DEP_1) | instskip(NEXT) | instid1(VALU_DEP_1)
	v_add_min_u32_e64 v5, v7, -1, v5
	v_lshlrev_b64_e32 v[22:23], v5, v[22:23]
	v_sub_nc_u32_e32 v5, 32, v5
	s_delay_alu instid0(VALU_DEP_2) | instskip(NEXT) | instid1(VALU_DEP_1)
	v_min_u32_e32 v7, 1, v22
	v_or_b32_e32 v7, v23, v7
	s_delay_alu instid0(VALU_DEP_1) | instskip(NEXT) | instid1(VALU_DEP_1)
	v_cvt_f32_i32_e32 v7, v7
	v_ldexp_f32 v5, v7, v5
	s_delay_alu instid0(VALU_DEP_1) | instskip(NEXT) | instid1(VALU_DEP_1)
	v_bfe_u32 v7, v5, 16, 1
	v_add3_u32 v5, v5, v7, 0x7fff
	s_delay_alu instid0(VALU_DEP_1)
	v_lshrrev_b32_e32 v5, 16, v5
	s_branch .LBB167_1947
.LBB167_1944:
	s_mov_b32 s12, -1
                                        ; implicit-def: $vgpr5
	s_branch .LBB167_1953
.LBB167_1945:
	s_mov_b32 s12, -1
                                        ; implicit-def: $vgpr5
	s_branch .LBB167_1950
.LBB167_1946:
	s_mov_b32 s12, -1
                                        ; implicit-def: $vgpr5
.LBB167_1947:
	s_delay_alu instid0(SALU_CYCLE_1)
	s_and_not1_b32 vcc_lo, exec_lo, s12
	s_cbranch_vccnz .LBB167_1949
; %bb.1948:
	s_wait_loadcnt 0x0
	global_load_b32 v5, v[20:21], off
	s_wait_loadcnt 0x0
	v_cvt_f32_i32_e32 v5, v5
	s_delay_alu instid0(VALU_DEP_1) | instskip(NEXT) | instid1(VALU_DEP_1)
	v_bfe_u32 v7, v5, 16, 1
	v_add3_u32 v5, v5, v7, 0x7fff
	s_delay_alu instid0(VALU_DEP_1)
	v_lshrrev_b32_e32 v5, 16, v5
.LBB167_1949:
	s_mov_b32 s12, 0
.LBB167_1950:
	s_delay_alu instid0(SALU_CYCLE_1)
	s_and_not1_b32 vcc_lo, exec_lo, s12
	s_cbranch_vccnz .LBB167_1952
; %bb.1951:
	s_wait_loadcnt 0x0
	global_load_i16 v5, v[20:21], off
	s_wait_loadcnt 0x0
	v_cvt_f32_i32_e32 v5, v5
	s_delay_alu instid0(VALU_DEP_1) | instskip(NEXT) | instid1(VALU_DEP_1)
	v_bfe_u32 v7, v5, 16, 1
	v_add3_u32 v5, v5, v7, 0x7fff
	s_delay_alu instid0(VALU_DEP_1)
	v_lshrrev_b32_e32 v5, 16, v5
.LBB167_1952:
	s_mov_b32 s12, 0
.LBB167_1953:
	s_delay_alu instid0(SALU_CYCLE_1)
	s_and_not1_b32 vcc_lo, exec_lo, s12
	s_cbranch_vccnz .LBB167_1959
; %bb.1954:
	s_cmp_gt_i32 s0, 0
	s_mov_b32 s0, 0
	s_cbranch_scc0 .LBB167_1956
; %bb.1955:
	s_wait_loadcnt 0x0
	global_load_i8 v5, v[20:21], off
	s_wait_loadcnt 0x0
	v_cvt_f32_i32_e32 v5, v5
	s_delay_alu instid0(VALU_DEP_1) | instskip(NEXT) | instid1(VALU_DEP_1)
	v_bfe_u32 v7, v5, 16, 1
	v_add3_u32 v5, v5, v7, 0x7fff
	s_delay_alu instid0(VALU_DEP_1)
	v_lshrrev_b32_e32 v5, 16, v5
	s_branch .LBB167_1957
.LBB167_1956:
	s_mov_b32 s0, -1
                                        ; implicit-def: $vgpr5
.LBB167_1957:
	s_delay_alu instid0(SALU_CYCLE_1)
	s_and_not1_b32 vcc_lo, exec_lo, s0
	s_cbranch_vccnz .LBB167_1959
; %bb.1958:
	s_wait_loadcnt 0x0
	global_load_u8 v5, v[20:21], off
	s_wait_loadcnt 0x0
	v_cvt_f32_ubyte0_e32 v5, v5
	s_delay_alu instid0(VALU_DEP_1) | instskip(NEXT) | instid1(VALU_DEP_1)
	v_bfe_u32 v7, v5, 16, 1
	v_add3_u32 v5, v5, v7, 0x7fff
	s_delay_alu instid0(VALU_DEP_1)
	v_lshrrev_b32_e32 v5, 16, v5
.LBB167_1959:
	v_mov_b32_e32 v7, 0
.LBB167_1960:
	s_load_b32 s0, s[2:3], 0x1a0
	s_wait_loadcnt 0x0
	s_delay_alu instid0(VALU_DEP_2) | instskip(SKIP_2) | instid1(VALU_DEP_2)
	v_and_b32_e32 v5, 0xffff, v5
	v_and_b32_e32 v1, 0xffff, v1
	s_mov_b32 s15, 0
	v_or_b32_e32 v5, v7, v5
	s_delay_alu instid0(VALU_DEP_2) | instskip(SKIP_2) | instid1(VALU_DEP_4)
	v_or_b32_e32 v9, v3, v1
	v_and_b32_e32 v1, 0xffff0000, v7
	v_and_b32_e32 v3, 0xffff0000, v3
	v_lshlrev_b32_e32 v5, 16, v5
	s_delay_alu instid0(VALU_DEP_4) | instskip(SKIP_3) | instid1(SALU_CYCLE_1)
	v_lshlrev_b32_e32 v7, 16, v9
	s_wait_kmcnt 0x0
	s_cmp_lg_u32 s0, 0
	s_cselect_b32 s13, -1, 0
	s_and_b32 vcc_lo, exec_lo, s13
	s_cbranch_vccz .LBB167_1972
; %bb.1961:
	v_cmp_neq_f32_e32 vcc_lo, v7, v5
	v_cmp_neq_f32_e64 s0, v3, v1
	s_or_b32 s12, vcc_lo, s0
	s_and_not1_b32 vcc_lo, exec_lo, s15
	s_cbranch_vccnz .LBB167_1963
.LBB167_1962:
	v_cmp_eq_f32_e32 vcc_lo, v7, v5
	v_cmp_eq_f32_e64 s0, v3, v1
	s_and_not1_b32 s12, s12, exec_lo
	s_and_b32 s0, vcc_lo, s0
	s_delay_alu instid0(SALU_CYCLE_1) | instskip(NEXT) | instid1(SALU_CYCLE_1)
	s_and_b32 s0, s0, exec_lo
	s_or_b32 s12, s12, s0
.LBB167_1963:
	v_mov_b32_e32 v19, 0
	s_and_b32 s15, 0xffff, s14
	s_delay_alu instid0(SALU_CYCLE_1) | instskip(NEXT) | instid1(VALU_DEP_1)
	s_cmp_lt_i32 s15, 11
	v_add_nc_u64_e32 v[18:19], s[6:7], v[18:19]
	s_cbranch_scc1 .LBB167_1970
; %bb.1964:
	s_cmp_gt_i32 s15, 25
	s_mov_b32 s14, 0
	s_cbranch_scc0 .LBB167_1973
; %bb.1965:
	s_cmp_gt_i32 s15, 28
	s_cbranch_scc0 .LBB167_1984
; %bb.1966:
	s_cmp_gt_i32 s15, 43
	;; [unrolled: 3-line block ×3, first 2 shown]
	s_cbranch_scc0 .LBB167_1989
; %bb.1968:
	s_cmp_eq_u32 s15, 46
	s_mov_b32 s18, 0
	s_cbranch_scc0 .LBB167_2043
; %bb.1969:
	global_load_b32 v1, v[18:19], off
	s_mov_b32 s0, 0
	s_mov_b32 s17, -1
	s_wait_loadcnt 0x0
	v_and_b32_e32 v3, 0xffff0000, v1
	s_branch .LBB167_2045
.LBB167_1970:
	s_mov_b32 s17, 0
                                        ; implicit-def: $vgpr3
                                        ; implicit-def: $vgpr1
	s_cbranch_execnz .LBB167_1978
.LBB167_1971:
	s_and_not1_b32 vcc_lo, exec_lo, s17
	s_cbranch_vccnz .LBB167_2793
	s_branch .LBB167_2032
.LBB167_1972:
                                        ; implicit-def: $sgpr12
	s_branch .LBB167_1962
.LBB167_1973:
	s_mov_b32 s17, 0
	s_mov_b32 s0, 0
                                        ; implicit-def: $vgpr3
                                        ; implicit-def: $vgpr1
	s_cbranch_execnz .LBB167_2077
.LBB167_1974:
	s_and_b32 vcc_lo, exec_lo, s0
	s_cbranch_vccnz .LBB167_2110
.LBB167_1975:
	s_and_not1_b32 vcc_lo, exec_lo, s14
	s_cbranch_vccnz .LBB167_1977
.LBB167_1976:
	s_wait_loadcnt 0x0
	global_load_u8 v1, v[18:19], off
	s_mov_b32 s17, -1
	v_mov_b32_e32 v3, 0
	s_wait_loadcnt 0x0
	v_cmp_ne_u16_e32 vcc_lo, 0, v1
	v_cndmask_b32_e64 v1, 0, 1.0, vcc_lo
	s_delay_alu instid0(VALU_DEP_1)
	v_lshrrev_b32_e32 v1, 16, v1
.LBB167_1977:
	s_branch .LBB167_1971
.LBB167_1978:
	s_cmp_lt_i32 s15, 5
	s_cbranch_scc1 .LBB167_1983
; %bb.1979:
	s_cmp_lt_i32 s15, 8
	s_cbranch_scc1 .LBB167_1985
; %bb.1980:
	;; [unrolled: 3-line block ×3, first 2 shown]
	s_cmp_gt_i32 s15, 9
	s_cbranch_scc0 .LBB167_1990
; %bb.1982:
	global_load_b128 v[20:23], v[18:19], off
	s_mov_b32 s0, 0
	s_wait_loadcnt 0x0
	v_cvt_f32_f64_e32 v1, v[20:21]
	v_cvt_f32_f64_e32 v3, v[22:23]
	s_delay_alu instid0(VALU_DEP_2) | instskip(NEXT) | instid1(VALU_DEP_2)
	v_bfe_u32 v5, v1, 16, 1
	v_bfe_u32 v7, v3, 16, 1
	v_cmp_o_f32_e32 vcc_lo, v1, v1
	s_delay_alu instid0(VALU_DEP_3) | instskip(NEXT) | instid1(VALU_DEP_3)
	v_add3_u32 v5, v1, v5, 0x7fff
	v_add3_u32 v7, v3, v7, 0x7fff
	s_delay_alu instid0(VALU_DEP_2) | instskip(NEXT) | instid1(VALU_DEP_2)
	v_lshrrev_b32_e32 v5, 16, v5
	v_and_b32_e32 v7, 0xffff0000, v7
	s_delay_alu instid0(VALU_DEP_2) | instskip(SKIP_1) | instid1(VALU_DEP_3)
	v_cndmask_b32_e32 v1, 0x7fc0, v5, vcc_lo
	v_cmp_o_f32_e32 vcc_lo, v3, v3
	v_cndmask_b32_e32 v3, 0x7fc00000, v7, vcc_lo
	s_branch .LBB167_1991
.LBB167_1983:
	s_mov_b32 s0, -1
                                        ; implicit-def: $vgpr3
                                        ; implicit-def: $vgpr1
	s_branch .LBB167_2010
.LBB167_1984:
	s_mov_b32 s18, -1
	s_mov_b32 s17, 0
	s_mov_b32 s0, 0
                                        ; implicit-def: $vgpr3
                                        ; implicit-def: $vgpr1
	s_branch .LBB167_2058
.LBB167_1985:
	s_mov_b32 s0, -1
                                        ; implicit-def: $vgpr3
                                        ; implicit-def: $vgpr1
	s_branch .LBB167_1997
.LBB167_1986:
	s_mov_b32 s18, -1
	s_mov_b32 s17, 0
	s_mov_b32 s0, 0
                                        ; implicit-def: $vgpr3
                                        ; implicit-def: $vgpr1
	s_branch .LBB167_2052
.LBB167_1987:
	s_mov_b32 s0, -1
                                        ; implicit-def: $vgpr3
                                        ; implicit-def: $vgpr1
	s_branch .LBB167_1994
.LBB167_1988:
	s_or_b32 s1, s1, exec_lo
	s_trap 2
	s_cbranch_execz .LBB167_1909
	s_branch .LBB167_1910
.LBB167_1989:
	s_mov_b32 s18, -1
	s_mov_b32 s17, 0
	s_mov_b32 s0, 0
	s_branch .LBB167_2044
.LBB167_1990:
	s_mov_b32 s0, -1
                                        ; implicit-def: $vgpr3
                                        ; implicit-def: $vgpr1
.LBB167_1991:
	s_delay_alu instid0(SALU_CYCLE_1)
	s_and_not1_b32 vcc_lo, exec_lo, s0
	s_cbranch_vccnz .LBB167_1993
; %bb.1992:
	global_load_b64 v[20:21], v[18:19], off
	s_wait_loadcnt 0x0
	v_bfe_u32 v1, v20, 16, 1
	v_bfe_u32 v3, v21, 16, 1
	v_cmp_o_f32_e32 vcc_lo, v20, v20
	s_delay_alu instid0(VALU_DEP_3) | instskip(NEXT) | instid1(VALU_DEP_3)
	v_add3_u32 v1, v20, v1, 0x7fff
	v_add3_u32 v3, v21, v3, 0x7fff
	s_delay_alu instid0(VALU_DEP_2) | instskip(NEXT) | instid1(VALU_DEP_2)
	v_lshrrev_b32_e32 v1, 16, v1
	v_and_b32_e32 v3, 0xffff0000, v3
	s_delay_alu instid0(VALU_DEP_2) | instskip(SKIP_1) | instid1(VALU_DEP_3)
	v_cndmask_b32_e32 v1, 0x7fc0, v1, vcc_lo
	v_cmp_o_f32_e32 vcc_lo, v21, v21
	v_cndmask_b32_e32 v3, 0x7fc00000, v3, vcc_lo
.LBB167_1993:
	s_mov_b32 s0, 0
.LBB167_1994:
	s_delay_alu instid0(SALU_CYCLE_1)
	s_and_not1_b32 vcc_lo, exec_lo, s0
	s_cbranch_vccnz .LBB167_1996
; %bb.1995:
	s_wait_loadcnt 0x0
	global_load_b32 v1, v[18:19], off
	s_wait_loadcnt 0x0
	v_lshrrev_b32_e32 v3, 16, v1
	v_cvt_f32_f16_e32 v5, v1
	v_cmp_o_f16_e32 vcc_lo, v1, v1
	s_delay_alu instid0(VALU_DEP_3) | instskip(NEXT) | instid1(VALU_DEP_3)
	v_cvt_f32_f16_e32 v7, v3
	v_bfe_u32 v9, v5, 16, 1
	s_delay_alu instid0(VALU_DEP_2) | instskip(NEXT) | instid1(VALU_DEP_2)
	v_bfe_u32 v11, v7, 16, 1
	v_add3_u32 v5, v5, v9, 0x7fff
	s_delay_alu instid0(VALU_DEP_2) | instskip(NEXT) | instid1(VALU_DEP_2)
	v_add3_u32 v7, v7, v11, 0x7fff
	v_lshrrev_b32_e32 v5, 16, v5
	s_delay_alu instid0(VALU_DEP_2) | instskip(NEXT) | instid1(VALU_DEP_2)
	v_and_b32_e32 v7, 0xffff0000, v7
	v_cndmask_b32_e32 v1, 0x7fc0, v5, vcc_lo
	v_cmp_o_f16_e32 vcc_lo, v3, v3
	s_delay_alu instid0(VALU_DEP_3)
	v_cndmask_b32_e32 v3, 0x7fc00000, v7, vcc_lo
.LBB167_1996:
	s_mov_b32 s0, 0
.LBB167_1997:
	s_delay_alu instid0(SALU_CYCLE_1)
	s_and_not1_b32 vcc_lo, exec_lo, s0
	s_cbranch_vccnz .LBB167_2009
; %bb.1998:
	s_cmp_lt_i32 s15, 6
	s_cbranch_scc1 .LBB167_2001
; %bb.1999:
	s_cmp_gt_i32 s15, 6
	s_cbranch_scc0 .LBB167_2002
; %bb.2000:
	global_load_b64 v[20:21], v[18:19], off
	s_mov_b32 s0, 0
	s_wait_loadcnt 0x0
	v_cvt_f32_f64_e32 v1, v[20:21]
	s_delay_alu instid0(VALU_DEP_1) | instskip(SKIP_1) | instid1(VALU_DEP_2)
	v_bfe_u32 v3, v1, 16, 1
	v_cmp_o_f32_e32 vcc_lo, v1, v1
	v_add3_u32 v3, v1, v3, 0x7fff
	s_delay_alu instid0(VALU_DEP_1) | instskip(NEXT) | instid1(VALU_DEP_1)
	v_lshrrev_b32_e32 v3, 16, v3
	v_cndmask_b32_e32 v1, 0x7fc0, v3, vcc_lo
	s_branch .LBB167_2003
.LBB167_2001:
	s_mov_b32 s0, -1
                                        ; implicit-def: $vgpr1
	s_branch .LBB167_2006
.LBB167_2002:
	s_mov_b32 s0, -1
                                        ; implicit-def: $vgpr1
.LBB167_2003:
	s_delay_alu instid0(SALU_CYCLE_1)
	s_and_not1_b32 vcc_lo, exec_lo, s0
	s_cbranch_vccnz .LBB167_2005
; %bb.2004:
	s_wait_loadcnt 0x0
	global_load_b32 v1, v[18:19], off
	s_wait_loadcnt 0x0
	v_bfe_u32 v3, v1, 16, 1
	v_cmp_o_f32_e32 vcc_lo, v1, v1
	s_delay_alu instid0(VALU_DEP_2) | instskip(NEXT) | instid1(VALU_DEP_1)
	v_add3_u32 v3, v1, v3, 0x7fff
	v_lshrrev_b32_e32 v3, 16, v3
	s_delay_alu instid0(VALU_DEP_1)
	v_cndmask_b32_e32 v1, 0x7fc0, v3, vcc_lo
.LBB167_2005:
	s_mov_b32 s0, 0
.LBB167_2006:
	s_delay_alu instid0(SALU_CYCLE_1)
	s_and_not1_b32 vcc_lo, exec_lo, s0
	s_cbranch_vccnz .LBB167_2008
; %bb.2007:
	s_wait_loadcnt 0x0
	global_load_u16 v1, v[18:19], off
	s_wait_loadcnt 0x0
	v_cvt_f32_f16_e32 v3, v1
	v_cmp_o_f16_e32 vcc_lo, v1, v1
	s_delay_alu instid0(VALU_DEP_2) | instskip(NEXT) | instid1(VALU_DEP_1)
	v_bfe_u32 v5, v3, 16, 1
	v_add3_u32 v3, v3, v5, 0x7fff
	s_delay_alu instid0(VALU_DEP_1) | instskip(NEXT) | instid1(VALU_DEP_1)
	v_lshrrev_b32_e32 v3, 16, v3
	v_cndmask_b32_e32 v1, 0x7fc0, v3, vcc_lo
.LBB167_2008:
	v_mov_b32_e32 v3, 0
.LBB167_2009:
	s_mov_b32 s0, 0
.LBB167_2010:
	s_delay_alu instid0(SALU_CYCLE_1)
	s_and_not1_b32 vcc_lo, exec_lo, s0
	s_cbranch_vccnz .LBB167_2031
; %bb.2011:
	s_cmp_lt_i32 s15, 2
	s_cbranch_scc1 .LBB167_2015
; %bb.2012:
	s_cmp_lt_i32 s15, 3
	s_cbranch_scc1 .LBB167_2016
; %bb.2013:
	s_cmp_gt_i32 s15, 3
	s_cbranch_scc0 .LBB167_2017
; %bb.2014:
	global_load_b64 v[20:21], v[18:19], off
	s_mov_b32 s0, 0
	s_wait_loadcnt 0x0
	v_xor_b32_e32 v1, v20, v21
	v_cls_i32_e32 v3, v21
	s_delay_alu instid0(VALU_DEP_2) | instskip(NEXT) | instid1(VALU_DEP_1)
	v_ashrrev_i32_e32 v1, 31, v1
	v_add_nc_u32_e32 v1, 32, v1
	s_delay_alu instid0(VALU_DEP_1) | instskip(NEXT) | instid1(VALU_DEP_1)
	v_add_min_u32_e64 v1, v3, -1, v1
	v_lshlrev_b64_e32 v[20:21], v1, v[20:21]
	v_sub_nc_u32_e32 v1, 32, v1
	s_delay_alu instid0(VALU_DEP_2) | instskip(NEXT) | instid1(VALU_DEP_1)
	v_min_u32_e32 v3, 1, v20
	v_or_b32_e32 v3, v21, v3
	s_delay_alu instid0(VALU_DEP_1) | instskip(NEXT) | instid1(VALU_DEP_1)
	v_cvt_f32_i32_e32 v3, v3
	v_ldexp_f32 v1, v3, v1
	s_delay_alu instid0(VALU_DEP_1) | instskip(NEXT) | instid1(VALU_DEP_1)
	v_bfe_u32 v3, v1, 16, 1
	v_add3_u32 v1, v1, v3, 0x7fff
	s_delay_alu instid0(VALU_DEP_1)
	v_lshrrev_b32_e32 v1, 16, v1
	s_branch .LBB167_2018
.LBB167_2015:
	s_mov_b32 s0, -1
                                        ; implicit-def: $vgpr1
	s_branch .LBB167_2024
.LBB167_2016:
	s_mov_b32 s0, -1
                                        ; implicit-def: $vgpr1
	s_branch .LBB167_2021
.LBB167_2017:
	s_mov_b32 s0, -1
                                        ; implicit-def: $vgpr1
.LBB167_2018:
	s_delay_alu instid0(SALU_CYCLE_1)
	s_and_not1_b32 vcc_lo, exec_lo, s0
	s_cbranch_vccnz .LBB167_2020
; %bb.2019:
	s_wait_loadcnt 0x0
	global_load_b32 v1, v[18:19], off
	s_wait_loadcnt 0x0
	v_cvt_f32_i32_e32 v1, v1
	s_delay_alu instid0(VALU_DEP_1) | instskip(NEXT) | instid1(VALU_DEP_1)
	v_bfe_u32 v3, v1, 16, 1
	v_add3_u32 v1, v1, v3, 0x7fff
	s_delay_alu instid0(VALU_DEP_1)
	v_lshrrev_b32_e32 v1, 16, v1
.LBB167_2020:
	s_mov_b32 s0, 0
.LBB167_2021:
	s_delay_alu instid0(SALU_CYCLE_1)
	s_and_not1_b32 vcc_lo, exec_lo, s0
	s_cbranch_vccnz .LBB167_2023
; %bb.2022:
	s_wait_loadcnt 0x0
	global_load_i16 v1, v[18:19], off
	s_wait_loadcnt 0x0
	v_cvt_f32_i32_e32 v1, v1
	s_delay_alu instid0(VALU_DEP_1) | instskip(NEXT) | instid1(VALU_DEP_1)
	v_bfe_u32 v3, v1, 16, 1
	v_add3_u32 v1, v1, v3, 0x7fff
	s_delay_alu instid0(VALU_DEP_1)
	v_lshrrev_b32_e32 v1, 16, v1
.LBB167_2023:
	s_mov_b32 s0, 0
.LBB167_2024:
	s_delay_alu instid0(SALU_CYCLE_1)
	s_and_not1_b32 vcc_lo, exec_lo, s0
	s_cbranch_vccnz .LBB167_2030
; %bb.2025:
	s_cmp_gt_i32 s15, 0
	s_mov_b32 s0, 0
	s_cbranch_scc0 .LBB167_2027
; %bb.2026:
	s_wait_loadcnt 0x0
	global_load_i8 v1, v[18:19], off
	s_wait_loadcnt 0x0
	v_cvt_f32_i32_e32 v1, v1
	s_delay_alu instid0(VALU_DEP_1) | instskip(NEXT) | instid1(VALU_DEP_1)
	v_bfe_u32 v3, v1, 16, 1
	v_add3_u32 v1, v1, v3, 0x7fff
	s_delay_alu instid0(VALU_DEP_1)
	v_lshrrev_b32_e32 v1, 16, v1
	s_branch .LBB167_2028
.LBB167_2027:
	s_mov_b32 s0, -1
                                        ; implicit-def: $vgpr1
.LBB167_2028:
	s_delay_alu instid0(SALU_CYCLE_1)
	s_and_not1_b32 vcc_lo, exec_lo, s0
	s_cbranch_vccnz .LBB167_2030
; %bb.2029:
	s_wait_loadcnt 0x0
	global_load_u8 v1, v[18:19], off
	s_wait_loadcnt 0x0
	v_cvt_f32_ubyte0_e32 v1, v1
	s_delay_alu instid0(VALU_DEP_1) | instskip(NEXT) | instid1(VALU_DEP_1)
	v_bfe_u32 v3, v1, 16, 1
	v_add3_u32 v1, v1, v3, 0x7fff
	s_delay_alu instid0(VALU_DEP_1)
	v_lshrrev_b32_e32 v1, 16, v1
.LBB167_2030:
	v_mov_b32_e32 v3, 0
.LBB167_2031:
.LBB167_2032:
	v_mov_b32_e32 v17, 0
	s_and_b32 s16, 0xffff, s16
	s_delay_alu instid0(SALU_CYCLE_1) | instskip(NEXT) | instid1(VALU_DEP_1)
	s_cmp_lt_i32 s16, 11
	v_add_nc_u64_e32 v[16:17], s[8:9], v[16:17]
	s_cbranch_scc1 .LBB167_2039
; %bb.2033:
	s_cmp_gt_i32 s16, 25
	s_mov_b32 s14, 0
	s_cbranch_scc0 .LBB167_2040
; %bb.2034:
	s_cmp_gt_i32 s16, 28
	s_cbranch_scc0 .LBB167_2041
; %bb.2035:
	s_cmp_gt_i32 s16, 43
	;; [unrolled: 3-line block ×3, first 2 shown]
	s_cbranch_scc0 .LBB167_2048
; %bb.2037:
	s_cmp_eq_u32 s16, 46
	s_mov_b32 s18, 0
	s_cbranch_scc0 .LBB167_2111
; %bb.2038:
	global_load_b32 v5, v[16:17], off
	s_mov_b32 s0, 0
	s_mov_b32 s17, -1
	s_wait_loadcnt 0x0
	v_and_b32_e32 v7, 0xffff0000, v5
	s_branch .LBB167_2113
.LBB167_2039:
	s_mov_b32 s0, -1
	s_mov_b32 s17, 0
                                        ; implicit-def: $vgpr7
                                        ; implicit-def: $vgpr5
	s_branch .LBB167_2159
.LBB167_2040:
	s_mov_b32 s18, -1
	s_mov_b32 s17, 0
	s_mov_b32 s0, 0
                                        ; implicit-def: $vgpr7
                                        ; implicit-def: $vgpr5
	s_branch .LBB167_2144
.LBB167_2041:
	s_mov_b32 s18, -1
	s_mov_b32 s17, 0
	s_mov_b32 s0, 0
                                        ; implicit-def: $vgpr7
                                        ; implicit-def: $vgpr5
	s_branch .LBB167_2125
.LBB167_2042:
	s_mov_b32 s18, -1
	s_mov_b32 s17, 0
	s_mov_b32 s0, 0
                                        ; implicit-def: $vgpr7
                                        ; implicit-def: $vgpr5
	s_branch .LBB167_2119
.LBB167_2043:
	s_mov_b32 s0, -1
	s_mov_b32 s17, 0
.LBB167_2044:
                                        ; implicit-def: $vgpr3
                                        ; implicit-def: $vgpr1
.LBB167_2045:
	s_and_b32 vcc_lo, exec_lo, s18
	s_cbranch_vccz .LBB167_2051
; %bb.2046:
	s_cmp_eq_u32 s15, 44
	s_cbranch_scc0 .LBB167_2049
; %bb.2047:
	global_load_u8 v1, v[18:19], off
	s_mov_b32 s0, 0
	s_mov_b32 s17, -1
	s_wait_loadcnt 0x0
	v_lshlrev_b32_e32 v3, 23, v1
	v_cmp_ne_u32_e32 vcc_lo, 0xff, v1
	s_delay_alu instid0(VALU_DEP_2) | instskip(SKIP_1) | instid1(VALU_DEP_2)
	v_cndmask_b32_e32 v3, 0x7f800001, v3, vcc_lo
	v_cmp_ne_u32_e32 vcc_lo, 0, v1
	v_cndmask_b32_e32 v1, 0x400000, v3, vcc_lo
	s_delay_alu instid0(VALU_DEP_1) | instskip(SKIP_1) | instid1(VALU_DEP_2)
	v_add_nc_u32_e32 v3, 0x7fff, v1
	v_cmp_o_f32_e32 vcc_lo, v1, v1
	v_lshrrev_b32_e32 v3, 16, v3
	s_delay_alu instid0(VALU_DEP_1)
	v_cndmask_b32_e32 v1, 0x7fc0, v3, vcc_lo
	s_branch .LBB167_2050
.LBB167_2048:
	s_mov_b32 s18, -1
	s_mov_b32 s17, 0
	s_mov_b32 s0, 0
	s_branch .LBB167_2112
.LBB167_2049:
	s_mov_b32 s0, -1
                                        ; implicit-def: $vgpr1
.LBB167_2050:
	v_mov_b32_e32 v3, 0
.LBB167_2051:
	s_mov_b32 s18, 0
.LBB167_2052:
	s_delay_alu instid0(SALU_CYCLE_1)
	s_and_b32 vcc_lo, exec_lo, s18
	s_cbranch_vccz .LBB167_2057
; %bb.2053:
	s_cmp_eq_u32 s15, 29
	s_cbranch_scc0 .LBB167_2055
; %bb.2054:
	global_load_b64 v[20:21], v[18:19], off
	s_mov_b32 s0, 0
	s_mov_b32 s17, -1
	s_wait_loadcnt 0x0
	v_clz_i32_u32_e32 v1, v21
	s_delay_alu instid0(VALU_DEP_1) | instskip(NEXT) | instid1(VALU_DEP_1)
	v_min_u32_e32 v1, 32, v1
	v_lshlrev_b64_e32 v[20:21], v1, v[20:21]
	v_sub_nc_u32_e32 v1, 32, v1
	s_delay_alu instid0(VALU_DEP_2) | instskip(NEXT) | instid1(VALU_DEP_1)
	v_min_u32_e32 v3, 1, v20
	v_or_b32_e32 v3, v21, v3
	s_delay_alu instid0(VALU_DEP_1) | instskip(NEXT) | instid1(VALU_DEP_1)
	v_cvt_f32_u32_e32 v3, v3
	v_ldexp_f32 v1, v3, v1
	s_delay_alu instid0(VALU_DEP_1) | instskip(NEXT) | instid1(VALU_DEP_1)
	v_bfe_u32 v3, v1, 16, 1
	v_add3_u32 v1, v1, v3, 0x7fff
	s_delay_alu instid0(VALU_DEP_1)
	v_lshrrev_b32_e32 v1, 16, v1
	s_branch .LBB167_2056
.LBB167_2055:
	s_mov_b32 s0, -1
                                        ; implicit-def: $vgpr1
.LBB167_2056:
	v_mov_b32_e32 v3, 0
.LBB167_2057:
	s_mov_b32 s18, 0
.LBB167_2058:
	s_delay_alu instid0(SALU_CYCLE_1)
	s_and_b32 vcc_lo, exec_lo, s18
	s_cbranch_vccz .LBB167_2076
; %bb.2059:
	s_cmp_lt_i32 s15, 27
	s_cbranch_scc1 .LBB167_2062
; %bb.2060:
	s_cmp_gt_i32 s15, 27
	s_cbranch_scc0 .LBB167_2063
; %bb.2061:
	global_load_b32 v1, v[18:19], off
	s_mov_b32 s17, 0
	s_wait_loadcnt 0x0
	v_cvt_f32_u32_e32 v1, v1
	s_delay_alu instid0(VALU_DEP_1) | instskip(NEXT) | instid1(VALU_DEP_1)
	v_bfe_u32 v3, v1, 16, 1
	v_add3_u32 v1, v1, v3, 0x7fff
	s_delay_alu instid0(VALU_DEP_1)
	v_lshrrev_b32_e32 v1, 16, v1
	s_branch .LBB167_2064
.LBB167_2062:
	s_mov_b32 s17, -1
                                        ; implicit-def: $vgpr1
	s_branch .LBB167_2067
.LBB167_2063:
	s_mov_b32 s17, -1
                                        ; implicit-def: $vgpr1
.LBB167_2064:
	s_delay_alu instid0(SALU_CYCLE_1)
	s_and_not1_b32 vcc_lo, exec_lo, s17
	s_cbranch_vccnz .LBB167_2066
; %bb.2065:
	global_load_u16 v1, v[18:19], off
	s_wait_loadcnt 0x0
	v_cvt_f32_u32_e32 v1, v1
	s_delay_alu instid0(VALU_DEP_1) | instskip(NEXT) | instid1(VALU_DEP_1)
	v_bfe_u32 v3, v1, 16, 1
	v_add3_u32 v1, v1, v3, 0x7fff
	s_delay_alu instid0(VALU_DEP_1)
	v_lshrrev_b32_e32 v1, 16, v1
.LBB167_2066:
	s_mov_b32 s17, 0
.LBB167_2067:
	s_delay_alu instid0(SALU_CYCLE_1)
	s_and_not1_b32 vcc_lo, exec_lo, s17
	s_cbranch_vccnz .LBB167_2075
; %bb.2068:
	global_load_u8 v1, v[18:19], off
	s_mov_b32 s17, 0
	s_mov_b32 s18, exec_lo
	s_wait_loadcnt 0x0
	v_cmpx_lt_i16_e32 0x7f, v1
	s_xor_b32 s18, exec_lo, s18
	s_cbranch_execz .LBB167_2088
; %bb.2069:
	s_mov_b32 s17, -1
	s_mov_b32 s19, exec_lo
	v_cmpx_eq_u16_e32 0x80, v1
; %bb.2070:
	s_xor_b32 s17, exec_lo, -1
; %bb.2071:
	s_or_b32 exec_lo, exec_lo, s19
	s_delay_alu instid0(SALU_CYCLE_1)
	s_and_b32 s17, s17, exec_lo
	s_or_saveexec_b32 s18, s18
	v_mov_b32_e32 v3, 0x7f800001
	s_xor_b32 exec_lo, exec_lo, s18
	s_cbranch_execnz .LBB167_2089
.LBB167_2072:
	s_or_b32 exec_lo, exec_lo, s18
	s_and_saveexec_b32 s18, s17
	s_cbranch_execz .LBB167_2074
.LBB167_2073:
	v_and_b32_e32 v3, 0xffff, v1
	s_delay_alu instid0(VALU_DEP_1) | instskip(SKIP_1) | instid1(VALU_DEP_2)
	v_dual_lshlrev_b32 v1, 24, v1 :: v_dual_bitop2_b32 v5, 7, v3 bitop3:0x40
	v_bfe_u32 v11, v3, 3, 4
	v_and_b32_e32 v1, 0x80000000, v1
	s_delay_alu instid0(VALU_DEP_3) | instskip(NEXT) | instid1(VALU_DEP_3)
	v_clz_i32_u32_e32 v7, v5
	v_cmp_eq_u32_e32 vcc_lo, 0, v11
	s_delay_alu instid0(VALU_DEP_2) | instskip(NEXT) | instid1(VALU_DEP_1)
	v_min_u32_e32 v7, 32, v7
	v_subrev_nc_u32_e32 v9, 28, v7
	v_sub_nc_u32_e32 v7, 29, v7
	s_delay_alu instid0(VALU_DEP_2) | instskip(NEXT) | instid1(VALU_DEP_2)
	v_lshlrev_b32_e32 v3, v9, v3
	v_cndmask_b32_e32 v7, v11, v7, vcc_lo
	s_delay_alu instid0(VALU_DEP_2) | instskip(NEXT) | instid1(VALU_DEP_1)
	v_and_b32_e32 v3, 7, v3
	v_cndmask_b32_e32 v3, v5, v3, vcc_lo
	s_delay_alu instid0(VALU_DEP_3) | instskip(NEXT) | instid1(VALU_DEP_2)
	v_lshl_add_u32 v5, v7, 23, 0x3b800000
	v_lshlrev_b32_e32 v3, 20, v3
	s_delay_alu instid0(VALU_DEP_1)
	v_or3_b32 v3, v1, v5, v3
.LBB167_2074:
	s_or_b32 exec_lo, exec_lo, s18
	s_delay_alu instid0(VALU_DEP_1) | instskip(SKIP_1) | instid1(VALU_DEP_2)
	v_bfe_u32 v1, v3, 16, 1
	v_cmp_o_f32_e32 vcc_lo, v3, v3
	v_add3_u32 v1, v3, v1, 0x7fff
	s_delay_alu instid0(VALU_DEP_1) | instskip(NEXT) | instid1(VALU_DEP_1)
	v_lshrrev_b32_e32 v1, 16, v1
	v_cndmask_b32_e32 v1, 0x7fc0, v1, vcc_lo
.LBB167_2075:
	v_mov_b32_e32 v3, 0
	s_mov_b32 s17, -1
.LBB167_2076:
	s_branch .LBB167_1974
.LBB167_2077:
	s_cmp_gt_i32 s15, 22
	s_cbranch_scc0 .LBB167_2087
; %bb.2078:
	s_cmp_lt_i32 s15, 24
	s_cbranch_scc1 .LBB167_2090
; %bb.2079:
	s_cmp_gt_i32 s15, 24
	s_cbranch_scc0 .LBB167_2091
; %bb.2080:
	global_load_u8 v1, v[18:19], off
	s_mov_b32 s17, exec_lo
	s_wait_loadcnt 0x0
	v_cmpx_lt_i16_e32 0x7f, v1
	s_xor_b32 s17, exec_lo, s17
	s_cbranch_execz .LBB167_2103
; %bb.2081:
	s_mov_b32 s14, -1
	s_mov_b32 s18, exec_lo
	v_cmpx_eq_u16_e32 0x80, v1
; %bb.2082:
	s_xor_b32 s14, exec_lo, -1
; %bb.2083:
	s_or_b32 exec_lo, exec_lo, s18
	s_delay_alu instid0(SALU_CYCLE_1)
	s_and_b32 s14, s14, exec_lo
	s_or_saveexec_b32 s17, s17
	v_mov_b32_e32 v3, 0x7f800001
	s_xor_b32 exec_lo, exec_lo, s17
	s_cbranch_execnz .LBB167_2104
.LBB167_2084:
	s_or_b32 exec_lo, exec_lo, s17
	s_and_saveexec_b32 s17, s14
	s_cbranch_execz .LBB167_2086
.LBB167_2085:
	v_and_b32_e32 v3, 0xffff, v1
	s_delay_alu instid0(VALU_DEP_1) | instskip(SKIP_1) | instid1(VALU_DEP_2)
	v_dual_lshlrev_b32 v1, 24, v1 :: v_dual_bitop2_b32 v5, 3, v3 bitop3:0x40
	v_bfe_u32 v11, v3, 2, 5
	v_and_b32_e32 v1, 0x80000000, v1
	s_delay_alu instid0(VALU_DEP_3) | instskip(NEXT) | instid1(VALU_DEP_3)
	v_clz_i32_u32_e32 v7, v5
	v_cmp_eq_u32_e32 vcc_lo, 0, v11
	s_delay_alu instid0(VALU_DEP_2) | instskip(NEXT) | instid1(VALU_DEP_1)
	v_min_u32_e32 v7, 32, v7
	v_subrev_nc_u32_e32 v9, 29, v7
	v_sub_nc_u32_e32 v7, 30, v7
	s_delay_alu instid0(VALU_DEP_2) | instskip(NEXT) | instid1(VALU_DEP_2)
	v_lshlrev_b32_e32 v3, v9, v3
	v_cndmask_b32_e32 v7, v11, v7, vcc_lo
	s_delay_alu instid0(VALU_DEP_2) | instskip(NEXT) | instid1(VALU_DEP_1)
	v_and_b32_e32 v3, 3, v3
	v_cndmask_b32_e32 v3, v5, v3, vcc_lo
	s_delay_alu instid0(VALU_DEP_3) | instskip(NEXT) | instid1(VALU_DEP_2)
	v_lshl_add_u32 v5, v7, 23, 0x37800000
	v_lshlrev_b32_e32 v3, 21, v3
	s_delay_alu instid0(VALU_DEP_1)
	v_or3_b32 v3, v1, v5, v3
.LBB167_2086:
	s_or_b32 exec_lo, exec_lo, s17
	s_delay_alu instid0(VALU_DEP_1) | instskip(SKIP_2) | instid1(VALU_DEP_2)
	v_bfe_u32 v1, v3, 16, 1
	v_cmp_o_f32_e32 vcc_lo, v3, v3
	s_mov_b32 s14, 0
	v_add3_u32 v1, v3, v1, 0x7fff
	s_delay_alu instid0(VALU_DEP_1) | instskip(NEXT) | instid1(VALU_DEP_1)
	v_lshrrev_b32_e32 v1, 16, v1
	v_cndmask_b32_e32 v1, 0x7fc0, v1, vcc_lo
	s_branch .LBB167_2092
.LBB167_2087:
	s_mov_b32 s14, -1
                                        ; implicit-def: $vgpr1
	s_branch .LBB167_2098
.LBB167_2088:
	s_or_saveexec_b32 s18, s18
	v_mov_b32_e32 v3, 0x7f800001
	s_xor_b32 exec_lo, exec_lo, s18
	s_cbranch_execz .LBB167_2072
.LBB167_2089:
	v_cmp_ne_u16_e32 vcc_lo, 0, v1
	v_mov_b32_e32 v3, 0
	s_and_not1_b32 s17, s17, exec_lo
	s_and_b32 s19, vcc_lo, exec_lo
	s_delay_alu instid0(SALU_CYCLE_1)
	s_or_b32 s17, s17, s19
	s_or_b32 exec_lo, exec_lo, s18
	s_and_saveexec_b32 s18, s17
	s_cbranch_execnz .LBB167_2073
	s_branch .LBB167_2074
.LBB167_2090:
	s_mov_b32 s14, -1
                                        ; implicit-def: $vgpr1
	s_branch .LBB167_2095
.LBB167_2091:
	s_mov_b32 s14, -1
                                        ; implicit-def: $vgpr1
.LBB167_2092:
	s_delay_alu instid0(SALU_CYCLE_1)
	s_and_b32 vcc_lo, exec_lo, s14
	s_cbranch_vccz .LBB167_2094
; %bb.2093:
	global_load_u8 v1, v[18:19], off
	s_wait_loadcnt 0x0
	v_lshlrev_b32_e32 v1, 24, v1
	s_delay_alu instid0(VALU_DEP_1) | instskip(NEXT) | instid1(VALU_DEP_1)
	v_and_b32_e32 v3, 0x7f000000, v1
	v_clz_i32_u32_e32 v5, v3
	v_add_nc_u32_e32 v9, 0x1000000, v3
	v_cmp_ne_u32_e32 vcc_lo, 0, v3
	s_delay_alu instid0(VALU_DEP_3) | instskip(NEXT) | instid1(VALU_DEP_1)
	v_min_u32_e32 v5, 32, v5
	v_sub_nc_u32_e64 v5, v5, 4 clamp
	s_delay_alu instid0(VALU_DEP_1) | instskip(NEXT) | instid1(VALU_DEP_1)
	v_dual_lshlrev_b32 v7, v5, v3 :: v_dual_lshlrev_b32 v5, 23, v5
	v_lshrrev_b32_e32 v7, 4, v7
	s_delay_alu instid0(VALU_DEP_1) | instskip(SKIP_1) | instid1(VALU_DEP_2)
	v_sub_nc_u32_e32 v5, v7, v5
	v_ashrrev_i32_e32 v7, 8, v9
	v_add_nc_u32_e32 v5, 0x3c000000, v5
	s_delay_alu instid0(VALU_DEP_1) | instskip(NEXT) | instid1(VALU_DEP_1)
	v_and_or_b32 v5, 0x7f800000, v7, v5
	v_cndmask_b32_e32 v3, 0, v5, vcc_lo
	s_delay_alu instid0(VALU_DEP_1) | instskip(SKIP_1) | instid1(VALU_DEP_2)
	v_and_or_b32 v1, 0x80000000, v1, v3
	v_bfe_u32 v3, v3, 16, 1
	v_cmp_o_f32_e32 vcc_lo, v1, v1
	s_delay_alu instid0(VALU_DEP_2) | instskip(NEXT) | instid1(VALU_DEP_1)
	v_add3_u32 v3, v1, v3, 0x7fff
	v_lshrrev_b32_e32 v3, 16, v3
	s_delay_alu instid0(VALU_DEP_1)
	v_cndmask_b32_e32 v1, 0x7fc0, v3, vcc_lo
.LBB167_2094:
	s_mov_b32 s14, 0
.LBB167_2095:
	s_delay_alu instid0(SALU_CYCLE_1)
	s_and_not1_b32 vcc_lo, exec_lo, s14
	s_cbranch_vccnz .LBB167_2097
; %bb.2096:
	global_load_u8 v1, v[18:19], off
	s_wait_loadcnt 0x0
	v_lshlrev_b32_e32 v3, 25, v1
	v_lshlrev_b16 v1, 8, v1
	s_delay_alu instid0(VALU_DEP_1) | instskip(SKIP_1) | instid1(VALU_DEP_2)
	v_and_or_b32 v7, 0x7f00, v1, 0.5
	v_bfe_i32 v1, v1, 0, 16
	v_add_f32_e32 v7, -0.5, v7
	v_lshrrev_b32_e32 v5, 4, v3
	v_cmp_gt_u32_e32 vcc_lo, 0x8000000, v3
	s_delay_alu instid0(VALU_DEP_2) | instskip(NEXT) | instid1(VALU_DEP_1)
	v_or_b32_e32 v5, 0x70000000, v5
	v_mul_f32_e32 v5, 0x7800000, v5
	s_delay_alu instid0(VALU_DEP_1) | instskip(NEXT) | instid1(VALU_DEP_1)
	v_cndmask_b32_e32 v3, v5, v7, vcc_lo
	v_and_or_b32 v1, 0x80000000, v1, v3
	v_bfe_u32 v3, v3, 16, 1
	s_delay_alu instid0(VALU_DEP_2) | instskip(NEXT) | instid1(VALU_DEP_2)
	v_cmp_o_f32_e32 vcc_lo, v1, v1
	v_add3_u32 v3, v1, v3, 0x7fff
	s_delay_alu instid0(VALU_DEP_1) | instskip(NEXT) | instid1(VALU_DEP_1)
	v_lshrrev_b32_e32 v3, 16, v3
	v_cndmask_b32_e32 v1, 0x7fc0, v3, vcc_lo
.LBB167_2097:
	s_mov_b32 s14, 0
	s_mov_b32 s17, -1
.LBB167_2098:
	s_and_not1_b32 vcc_lo, exec_lo, s14
	s_mov_b32 s14, 0
	s_cbranch_vccnz .LBB167_2109
; %bb.2099:
	s_cmp_gt_i32 s15, 14
	s_cbranch_scc0 .LBB167_2102
; %bb.2100:
	s_cmp_eq_u32 s15, 15
	s_cbranch_scc0 .LBB167_2105
; %bb.2101:
	global_load_u16 v1, v[18:19], off
	s_mov_b32 s0, 0
	s_mov_b32 s17, -1
	s_branch .LBB167_2107
.LBB167_2102:
	s_mov_b32 s14, -1
	s_branch .LBB167_2106
.LBB167_2103:
	s_or_saveexec_b32 s17, s17
	v_mov_b32_e32 v3, 0x7f800001
	s_xor_b32 exec_lo, exec_lo, s17
	s_cbranch_execz .LBB167_2084
.LBB167_2104:
	v_cmp_ne_u16_e32 vcc_lo, 0, v1
	v_mov_b32_e32 v3, 0
	s_and_not1_b32 s14, s14, exec_lo
	s_and_b32 s18, vcc_lo, exec_lo
	s_delay_alu instid0(SALU_CYCLE_1)
	s_or_b32 s14, s14, s18
	s_or_b32 exec_lo, exec_lo, s17
	s_and_saveexec_b32 s17, s14
	s_cbranch_execnz .LBB167_2085
	s_branch .LBB167_2086
.LBB167_2105:
	s_mov_b32 s0, -1
.LBB167_2106:
                                        ; implicit-def: $vgpr1
.LBB167_2107:
	s_and_b32 vcc_lo, exec_lo, s14
	s_mov_b32 s14, 0
	s_cbranch_vccz .LBB167_2109
; %bb.2108:
	s_cmp_lg_u32 s15, 11
	s_mov_b32 s14, -1
	s_cselect_b32 s0, -1, 0
.LBB167_2109:
	v_mov_b32_e32 v3, 0
	s_and_b32 vcc_lo, exec_lo, s0
	s_cbranch_vccz .LBB167_1975
.LBB167_2110:
	s_or_b32 s1, s1, exec_lo
	s_trap 2
	s_cbranch_execz .LBB167_1976
	s_branch .LBB167_1977
.LBB167_2111:
	s_mov_b32 s0, -1
	s_mov_b32 s17, 0
.LBB167_2112:
                                        ; implicit-def: $vgpr7
                                        ; implicit-def: $vgpr5
.LBB167_2113:
	s_and_b32 vcc_lo, exec_lo, s18
	s_cbranch_vccz .LBB167_2118
; %bb.2114:
	s_cmp_eq_u32 s16, 44
	s_cbranch_scc0 .LBB167_2116
; %bb.2115:
	global_load_u8 v5, v[16:17], off
	s_mov_b32 s0, 0
	s_mov_b32 s17, -1
	s_wait_loadcnt 0x0
	v_lshlrev_b32_e32 v7, 23, v5
	v_cmp_ne_u32_e32 vcc_lo, 0xff, v5
	s_delay_alu instid0(VALU_DEP_2) | instskip(SKIP_1) | instid1(VALU_DEP_2)
	v_cndmask_b32_e32 v7, 0x7f800001, v7, vcc_lo
	v_cmp_ne_u32_e32 vcc_lo, 0, v5
	v_cndmask_b32_e32 v5, 0x400000, v7, vcc_lo
	s_delay_alu instid0(VALU_DEP_1) | instskip(SKIP_1) | instid1(VALU_DEP_2)
	v_add_nc_u32_e32 v7, 0x7fff, v5
	v_cmp_o_f32_e32 vcc_lo, v5, v5
	v_lshrrev_b32_e32 v7, 16, v7
	s_delay_alu instid0(VALU_DEP_1)
	v_cndmask_b32_e32 v5, 0x7fc0, v7, vcc_lo
	s_branch .LBB167_2117
.LBB167_2116:
	s_mov_b32 s0, -1
                                        ; implicit-def: $vgpr5
.LBB167_2117:
	v_mov_b32_e32 v7, 0
.LBB167_2118:
	s_mov_b32 s18, 0
.LBB167_2119:
	s_delay_alu instid0(SALU_CYCLE_1)
	s_and_b32 vcc_lo, exec_lo, s18
	s_cbranch_vccz .LBB167_2124
; %bb.2120:
	s_cmp_eq_u32 s16, 29
	s_cbranch_scc0 .LBB167_2122
; %bb.2121:
	global_load_b64 v[18:19], v[16:17], off
	s_mov_b32 s0, 0
	s_mov_b32 s17, -1
	s_wait_loadcnt 0x0
	v_clz_i32_u32_e32 v5, v19
	s_delay_alu instid0(VALU_DEP_1) | instskip(NEXT) | instid1(VALU_DEP_1)
	v_min_u32_e32 v5, 32, v5
	v_lshlrev_b64_e32 v[18:19], v5, v[18:19]
	v_sub_nc_u32_e32 v5, 32, v5
	s_delay_alu instid0(VALU_DEP_2) | instskip(NEXT) | instid1(VALU_DEP_1)
	v_min_u32_e32 v7, 1, v18
	v_or_b32_e32 v7, v19, v7
	s_delay_alu instid0(VALU_DEP_1) | instskip(NEXT) | instid1(VALU_DEP_1)
	v_cvt_f32_u32_e32 v7, v7
	v_ldexp_f32 v5, v7, v5
	s_delay_alu instid0(VALU_DEP_1) | instskip(NEXT) | instid1(VALU_DEP_1)
	v_bfe_u32 v7, v5, 16, 1
	v_add3_u32 v5, v5, v7, 0x7fff
	s_delay_alu instid0(VALU_DEP_1)
	v_lshrrev_b32_e32 v5, 16, v5
	s_branch .LBB167_2123
.LBB167_2122:
	s_mov_b32 s0, -1
                                        ; implicit-def: $vgpr5
.LBB167_2123:
	v_mov_b32_e32 v7, 0
.LBB167_2124:
	s_mov_b32 s18, 0
.LBB167_2125:
	s_delay_alu instid0(SALU_CYCLE_1)
	s_and_b32 vcc_lo, exec_lo, s18
	s_cbranch_vccz .LBB167_2143
; %bb.2126:
	s_cmp_lt_i32 s16, 27
	s_cbranch_scc1 .LBB167_2129
; %bb.2127:
	s_cmp_gt_i32 s16, 27
	s_cbranch_scc0 .LBB167_2130
; %bb.2128:
	global_load_b32 v5, v[16:17], off
	s_mov_b32 s17, 0
	s_wait_loadcnt 0x0
	v_cvt_f32_u32_e32 v5, v5
	s_delay_alu instid0(VALU_DEP_1) | instskip(NEXT) | instid1(VALU_DEP_1)
	v_bfe_u32 v7, v5, 16, 1
	v_add3_u32 v5, v5, v7, 0x7fff
	s_delay_alu instid0(VALU_DEP_1)
	v_lshrrev_b32_e32 v5, 16, v5
	s_branch .LBB167_2131
.LBB167_2129:
	s_mov_b32 s17, -1
                                        ; implicit-def: $vgpr5
	s_branch .LBB167_2134
.LBB167_2130:
	s_mov_b32 s17, -1
                                        ; implicit-def: $vgpr5
.LBB167_2131:
	s_delay_alu instid0(SALU_CYCLE_1)
	s_and_not1_b32 vcc_lo, exec_lo, s17
	s_cbranch_vccnz .LBB167_2133
; %bb.2132:
	global_load_u16 v5, v[16:17], off
	s_wait_loadcnt 0x0
	v_cvt_f32_u32_e32 v5, v5
	s_delay_alu instid0(VALU_DEP_1) | instskip(NEXT) | instid1(VALU_DEP_1)
	v_bfe_u32 v7, v5, 16, 1
	v_add3_u32 v5, v5, v7, 0x7fff
	s_delay_alu instid0(VALU_DEP_1)
	v_lshrrev_b32_e32 v5, 16, v5
.LBB167_2133:
	s_mov_b32 s17, 0
.LBB167_2134:
	s_delay_alu instid0(SALU_CYCLE_1)
	s_and_not1_b32 vcc_lo, exec_lo, s17
	s_cbranch_vccnz .LBB167_2142
; %bb.2135:
	global_load_u8 v5, v[16:17], off
	s_mov_b32 s17, 0
	s_mov_b32 s18, exec_lo
	s_wait_loadcnt 0x0
	v_cmpx_lt_i16_e32 0x7f, v5
	s_xor_b32 s18, exec_lo, s18
	s_cbranch_execz .LBB167_2168
; %bb.2136:
	s_mov_b32 s17, -1
	s_mov_b32 s19, exec_lo
	v_cmpx_eq_u16_e32 0x80, v5
; %bb.2137:
	s_xor_b32 s17, exec_lo, -1
; %bb.2138:
	s_or_b32 exec_lo, exec_lo, s19
	s_delay_alu instid0(SALU_CYCLE_1)
	s_and_b32 s17, s17, exec_lo
	s_or_saveexec_b32 s18, s18
	v_mov_b32_e32 v7, 0x7f800001
	s_xor_b32 exec_lo, exec_lo, s18
	s_cbranch_execnz .LBB167_2169
.LBB167_2139:
	s_or_b32 exec_lo, exec_lo, s18
	s_and_saveexec_b32 s18, s17
	s_cbranch_execz .LBB167_2141
.LBB167_2140:
	v_and_b32_e32 v7, 0xffff, v5
	s_delay_alu instid0(VALU_DEP_1) | instskip(SKIP_1) | instid1(VALU_DEP_2)
	v_dual_lshlrev_b32 v5, 24, v5 :: v_dual_bitop2_b32 v9, 7, v7 bitop3:0x40
	v_bfe_u32 v15, v7, 3, 4
	v_and_b32_e32 v5, 0x80000000, v5
	s_delay_alu instid0(VALU_DEP_3) | instskip(NEXT) | instid1(VALU_DEP_3)
	v_clz_i32_u32_e32 v11, v9
	v_cmp_eq_u32_e32 vcc_lo, 0, v15
	s_delay_alu instid0(VALU_DEP_2) | instskip(NEXT) | instid1(VALU_DEP_1)
	v_min_u32_e32 v11, 32, v11
	v_subrev_nc_u32_e32 v13, 28, v11
	v_sub_nc_u32_e32 v11, 29, v11
	s_delay_alu instid0(VALU_DEP_2) | instskip(NEXT) | instid1(VALU_DEP_2)
	v_lshlrev_b32_e32 v7, v13, v7
	v_cndmask_b32_e32 v11, v15, v11, vcc_lo
	s_delay_alu instid0(VALU_DEP_2) | instskip(NEXT) | instid1(VALU_DEP_1)
	v_and_b32_e32 v7, 7, v7
	v_cndmask_b32_e32 v7, v9, v7, vcc_lo
	s_delay_alu instid0(VALU_DEP_3) | instskip(NEXT) | instid1(VALU_DEP_2)
	v_lshl_add_u32 v9, v11, 23, 0x3b800000
	v_lshlrev_b32_e32 v7, 20, v7
	s_delay_alu instid0(VALU_DEP_1)
	v_or3_b32 v7, v5, v9, v7
.LBB167_2141:
	s_or_b32 exec_lo, exec_lo, s18
	s_delay_alu instid0(VALU_DEP_1) | instskip(SKIP_1) | instid1(VALU_DEP_2)
	v_bfe_u32 v5, v7, 16, 1
	v_cmp_o_f32_e32 vcc_lo, v7, v7
	v_add3_u32 v5, v7, v5, 0x7fff
	s_delay_alu instid0(VALU_DEP_1) | instskip(NEXT) | instid1(VALU_DEP_1)
	v_lshrrev_b32_e32 v5, 16, v5
	v_cndmask_b32_e32 v5, 0x7fc0, v5, vcc_lo
.LBB167_2142:
	v_mov_b32_e32 v7, 0
	s_mov_b32 s17, -1
.LBB167_2143:
	s_mov_b32 s18, 0
.LBB167_2144:
	s_delay_alu instid0(SALU_CYCLE_1)
	s_and_b32 vcc_lo, exec_lo, s18
	s_cbranch_vccz .LBB167_2155
; %bb.2145:
	s_cmp_gt_i32 s16, 22
	s_cbranch_scc0 .LBB167_2166
; %bb.2146:
	s_cmp_lt_i32 s16, 24
	s_cbranch_scc1 .LBB167_2170
; %bb.2147:
	s_cmp_gt_i32 s16, 24
	s_cbranch_scc0 .LBB167_2172
; %bb.2148:
	global_load_u8 v5, v[16:17], off
	s_mov_b32 s17, exec_lo
	s_wait_loadcnt 0x0
	v_cmpx_lt_i16_e32 0x7f, v5
	s_xor_b32 s17, exec_lo, s17
	s_cbranch_execz .LBB167_2184
; %bb.2149:
	s_mov_b32 s14, -1
	s_mov_b32 s18, exec_lo
	v_cmpx_eq_u16_e32 0x80, v5
; %bb.2150:
	s_xor_b32 s14, exec_lo, -1
; %bb.2151:
	s_or_b32 exec_lo, exec_lo, s18
	s_delay_alu instid0(SALU_CYCLE_1)
	s_and_b32 s14, s14, exec_lo
	s_or_saveexec_b32 s17, s17
	v_mov_b32_e32 v7, 0x7f800001
	s_xor_b32 exec_lo, exec_lo, s17
	s_cbranch_execnz .LBB167_2185
.LBB167_2152:
	s_or_b32 exec_lo, exec_lo, s17
	s_and_saveexec_b32 s17, s14
	s_cbranch_execz .LBB167_2154
.LBB167_2153:
	v_and_b32_e32 v7, 0xffff, v5
	s_delay_alu instid0(VALU_DEP_1) | instskip(SKIP_1) | instid1(VALU_DEP_2)
	v_dual_lshlrev_b32 v5, 24, v5 :: v_dual_bitop2_b32 v9, 3, v7 bitop3:0x40
	v_bfe_u32 v15, v7, 2, 5
	v_and_b32_e32 v5, 0x80000000, v5
	s_delay_alu instid0(VALU_DEP_3) | instskip(NEXT) | instid1(VALU_DEP_3)
	v_clz_i32_u32_e32 v11, v9
	v_cmp_eq_u32_e32 vcc_lo, 0, v15
	s_delay_alu instid0(VALU_DEP_2) | instskip(NEXT) | instid1(VALU_DEP_1)
	v_min_u32_e32 v11, 32, v11
	v_subrev_nc_u32_e32 v13, 29, v11
	v_sub_nc_u32_e32 v11, 30, v11
	s_delay_alu instid0(VALU_DEP_2) | instskip(NEXT) | instid1(VALU_DEP_2)
	v_lshlrev_b32_e32 v7, v13, v7
	v_cndmask_b32_e32 v11, v15, v11, vcc_lo
	s_delay_alu instid0(VALU_DEP_2) | instskip(NEXT) | instid1(VALU_DEP_1)
	v_and_b32_e32 v7, 3, v7
	v_cndmask_b32_e32 v7, v9, v7, vcc_lo
	s_delay_alu instid0(VALU_DEP_3) | instskip(NEXT) | instid1(VALU_DEP_2)
	v_lshl_add_u32 v9, v11, 23, 0x37800000
	v_lshlrev_b32_e32 v7, 21, v7
	s_delay_alu instid0(VALU_DEP_1)
	v_or3_b32 v7, v5, v9, v7
.LBB167_2154:
	s_or_b32 exec_lo, exec_lo, s17
	s_delay_alu instid0(VALU_DEP_1) | instskip(SKIP_2) | instid1(VALU_DEP_2)
	v_bfe_u32 v5, v7, 16, 1
	v_cmp_o_f32_e32 vcc_lo, v7, v7
	s_mov_b32 s14, 0
	v_add3_u32 v5, v7, v5, 0x7fff
	s_delay_alu instid0(VALU_DEP_1) | instskip(NEXT) | instid1(VALU_DEP_1)
	v_lshrrev_b32_e32 v5, 16, v5
	v_cndmask_b32_e32 v5, 0x7fc0, v5, vcc_lo
	s_branch .LBB167_2173
.LBB167_2155:
	s_and_b32 vcc_lo, exec_lo, s0
	s_cbranch_vccnz .LBB167_2203
.LBB167_2156:
	s_and_not1_b32 vcc_lo, exec_lo, s14
	s_cbranch_vccnz .LBB167_2158
.LBB167_2157:
	s_wait_loadcnt 0x0
	global_load_u8 v5, v[16:17], off
	s_mov_b32 s17, -1
	v_mov_b32_e32 v7, 0
	s_wait_loadcnt 0x0
	v_cmp_ne_u16_e32 vcc_lo, 0, v5
	v_cndmask_b32_e64 v5, 0, 1.0, vcc_lo
	s_delay_alu instid0(VALU_DEP_1)
	v_lshrrev_b32_e32 v5, 16, v5
.LBB167_2158:
	s_mov_b32 s0, 0
.LBB167_2159:
	s_delay_alu instid0(SALU_CYCLE_1)
	s_and_b32 vcc_lo, exec_lo, s0
	s_cbranch_vccz .LBB167_2234
; %bb.2160:
	s_cmp_lt_i32 s16, 5
	s_cbranch_scc1 .LBB167_2165
; %bb.2161:
	s_cmp_lt_i32 s16, 8
	s_cbranch_scc1 .LBB167_2167
	;; [unrolled: 3-line block ×3, first 2 shown]
; %bb.2163:
	s_cmp_gt_i32 s16, 9
	s_cbranch_scc0 .LBB167_2186
; %bb.2164:
	global_load_b128 v[18:21], v[16:17], off
	s_mov_b32 s0, 0
	s_wait_loadcnt 0x0
	v_cvt_f32_f64_e32 v5, v[18:19]
	v_cvt_f32_f64_e32 v7, v[20:21]
	s_delay_alu instid0(VALU_DEP_2) | instskip(NEXT) | instid1(VALU_DEP_2)
	v_bfe_u32 v9, v5, 16, 1
	v_bfe_u32 v11, v7, 16, 1
	v_cmp_o_f32_e32 vcc_lo, v5, v5
	s_delay_alu instid0(VALU_DEP_3) | instskip(NEXT) | instid1(VALU_DEP_3)
	v_add3_u32 v9, v5, v9, 0x7fff
	v_add3_u32 v11, v7, v11, 0x7fff
	s_delay_alu instid0(VALU_DEP_2) | instskip(NEXT) | instid1(VALU_DEP_2)
	v_lshrrev_b32_e32 v9, 16, v9
	v_and_b32_e32 v11, 0xffff0000, v11
	s_delay_alu instid0(VALU_DEP_2) | instskip(SKIP_1) | instid1(VALU_DEP_3)
	v_cndmask_b32_e32 v5, 0x7fc0, v9, vcc_lo
	v_cmp_o_f32_e32 vcc_lo, v7, v7
	v_cndmask_b32_e32 v7, 0x7fc00000, v11, vcc_lo
	s_branch .LBB167_2187
.LBB167_2165:
	s_mov_b32 s0, -1
                                        ; implicit-def: $vgpr7
                                        ; implicit-def: $vgpr5
	s_branch .LBB167_2212
.LBB167_2166:
	s_mov_b32 s14, -1
                                        ; implicit-def: $vgpr5
	s_branch .LBB167_2179
.LBB167_2167:
	s_mov_b32 s0, -1
                                        ; implicit-def: $vgpr7
                                        ; implicit-def: $vgpr5
	s_branch .LBB167_2193
.LBB167_2168:
	s_or_saveexec_b32 s18, s18
	v_mov_b32_e32 v7, 0x7f800001
	s_xor_b32 exec_lo, exec_lo, s18
	s_cbranch_execz .LBB167_2139
.LBB167_2169:
	v_cmp_ne_u16_e32 vcc_lo, 0, v5
	v_mov_b32_e32 v7, 0
	s_and_not1_b32 s17, s17, exec_lo
	s_and_b32 s19, vcc_lo, exec_lo
	s_delay_alu instid0(SALU_CYCLE_1)
	s_or_b32 s17, s17, s19
	s_or_b32 exec_lo, exec_lo, s18
	s_and_saveexec_b32 s18, s17
	s_cbranch_execnz .LBB167_2140
	s_branch .LBB167_2141
.LBB167_2170:
	s_mov_b32 s14, -1
                                        ; implicit-def: $vgpr5
	s_branch .LBB167_2176
.LBB167_2171:
	s_mov_b32 s0, -1
                                        ; implicit-def: $vgpr7
                                        ; implicit-def: $vgpr5
	s_branch .LBB167_2190
.LBB167_2172:
	s_mov_b32 s14, -1
                                        ; implicit-def: $vgpr5
.LBB167_2173:
	s_delay_alu instid0(SALU_CYCLE_1)
	s_and_b32 vcc_lo, exec_lo, s14
	s_cbranch_vccz .LBB167_2175
; %bb.2174:
	global_load_u8 v5, v[16:17], off
	s_wait_loadcnt 0x0
	v_lshlrev_b32_e32 v5, 24, v5
	s_delay_alu instid0(VALU_DEP_1) | instskip(NEXT) | instid1(VALU_DEP_1)
	v_and_b32_e32 v7, 0x7f000000, v5
	v_clz_i32_u32_e32 v9, v7
	v_add_nc_u32_e32 v13, 0x1000000, v7
	v_cmp_ne_u32_e32 vcc_lo, 0, v7
	s_delay_alu instid0(VALU_DEP_3) | instskip(NEXT) | instid1(VALU_DEP_1)
	v_min_u32_e32 v9, 32, v9
	v_sub_nc_u32_e64 v9, v9, 4 clamp
	s_delay_alu instid0(VALU_DEP_1) | instskip(NEXT) | instid1(VALU_DEP_1)
	v_dual_lshlrev_b32 v11, v9, v7 :: v_dual_lshlrev_b32 v9, 23, v9
	v_lshrrev_b32_e32 v11, 4, v11
	s_delay_alu instid0(VALU_DEP_1) | instskip(SKIP_1) | instid1(VALU_DEP_2)
	v_sub_nc_u32_e32 v9, v11, v9
	v_ashrrev_i32_e32 v11, 8, v13
	v_add_nc_u32_e32 v9, 0x3c000000, v9
	s_delay_alu instid0(VALU_DEP_1) | instskip(NEXT) | instid1(VALU_DEP_1)
	v_and_or_b32 v9, 0x7f800000, v11, v9
	v_cndmask_b32_e32 v7, 0, v9, vcc_lo
	s_delay_alu instid0(VALU_DEP_1) | instskip(SKIP_1) | instid1(VALU_DEP_2)
	v_and_or_b32 v5, 0x80000000, v5, v7
	v_bfe_u32 v7, v7, 16, 1
	v_cmp_o_f32_e32 vcc_lo, v5, v5
	s_delay_alu instid0(VALU_DEP_2) | instskip(NEXT) | instid1(VALU_DEP_1)
	v_add3_u32 v7, v5, v7, 0x7fff
	v_lshrrev_b32_e32 v7, 16, v7
	s_delay_alu instid0(VALU_DEP_1)
	v_cndmask_b32_e32 v5, 0x7fc0, v7, vcc_lo
.LBB167_2175:
	s_mov_b32 s14, 0
.LBB167_2176:
	s_delay_alu instid0(SALU_CYCLE_1)
	s_and_not1_b32 vcc_lo, exec_lo, s14
	s_cbranch_vccnz .LBB167_2178
; %bb.2177:
	global_load_u8 v5, v[16:17], off
	s_wait_loadcnt 0x0
	v_lshlrev_b32_e32 v7, 25, v5
	v_lshlrev_b16 v5, 8, v5
	s_delay_alu instid0(VALU_DEP_1) | instskip(SKIP_1) | instid1(VALU_DEP_2)
	v_and_or_b32 v11, 0x7f00, v5, 0.5
	v_bfe_i32 v5, v5, 0, 16
	v_add_f32_e32 v11, -0.5, v11
	v_lshrrev_b32_e32 v9, 4, v7
	v_cmp_gt_u32_e32 vcc_lo, 0x8000000, v7
	s_delay_alu instid0(VALU_DEP_2) | instskip(NEXT) | instid1(VALU_DEP_1)
	v_or_b32_e32 v9, 0x70000000, v9
	v_mul_f32_e32 v9, 0x7800000, v9
	s_delay_alu instid0(VALU_DEP_1) | instskip(NEXT) | instid1(VALU_DEP_1)
	v_cndmask_b32_e32 v7, v9, v11, vcc_lo
	v_and_or_b32 v5, 0x80000000, v5, v7
	v_bfe_u32 v7, v7, 16, 1
	s_delay_alu instid0(VALU_DEP_2) | instskip(NEXT) | instid1(VALU_DEP_2)
	v_cmp_o_f32_e32 vcc_lo, v5, v5
	v_add3_u32 v7, v5, v7, 0x7fff
	s_delay_alu instid0(VALU_DEP_1) | instskip(NEXT) | instid1(VALU_DEP_1)
	v_lshrrev_b32_e32 v7, 16, v7
	v_cndmask_b32_e32 v5, 0x7fc0, v7, vcc_lo
.LBB167_2178:
	s_mov_b32 s14, 0
	s_mov_b32 s17, -1
.LBB167_2179:
	s_and_not1_b32 vcc_lo, exec_lo, s14
	s_mov_b32 s14, 0
	s_cbranch_vccnz .LBB167_2202
; %bb.2180:
	s_cmp_gt_i32 s16, 14
	s_cbranch_scc0 .LBB167_2183
; %bb.2181:
	s_cmp_eq_u32 s16, 15
	s_cbranch_scc0 .LBB167_2198
; %bb.2182:
	global_load_u16 v5, v[16:17], off
	s_mov_b32 s0, 0
	s_mov_b32 s17, -1
	s_branch .LBB167_2200
.LBB167_2183:
	s_mov_b32 s14, -1
	s_branch .LBB167_2199
.LBB167_2184:
	s_or_saveexec_b32 s17, s17
	v_mov_b32_e32 v7, 0x7f800001
	s_xor_b32 exec_lo, exec_lo, s17
	s_cbranch_execz .LBB167_2152
.LBB167_2185:
	v_cmp_ne_u16_e32 vcc_lo, 0, v5
	v_mov_b32_e32 v7, 0
	s_and_not1_b32 s14, s14, exec_lo
	s_and_b32 s18, vcc_lo, exec_lo
	s_delay_alu instid0(SALU_CYCLE_1)
	s_or_b32 s14, s14, s18
	s_or_b32 exec_lo, exec_lo, s17
	s_and_saveexec_b32 s17, s14
	s_cbranch_execnz .LBB167_2153
	s_branch .LBB167_2154
.LBB167_2186:
	s_mov_b32 s0, -1
                                        ; implicit-def: $vgpr7
                                        ; implicit-def: $vgpr5
.LBB167_2187:
	s_delay_alu instid0(SALU_CYCLE_1)
	s_and_not1_b32 vcc_lo, exec_lo, s0
	s_cbranch_vccnz .LBB167_2189
; %bb.2188:
	global_load_b64 v[18:19], v[16:17], off
	s_wait_loadcnt 0x0
	v_bfe_u32 v5, v18, 16, 1
	v_bfe_u32 v7, v19, 16, 1
	v_cmp_o_f32_e32 vcc_lo, v18, v18
	s_delay_alu instid0(VALU_DEP_3) | instskip(NEXT) | instid1(VALU_DEP_3)
	v_add3_u32 v5, v18, v5, 0x7fff
	v_add3_u32 v7, v19, v7, 0x7fff
	s_delay_alu instid0(VALU_DEP_2) | instskip(NEXT) | instid1(VALU_DEP_2)
	v_lshrrev_b32_e32 v5, 16, v5
	v_and_b32_e32 v7, 0xffff0000, v7
	s_delay_alu instid0(VALU_DEP_2) | instskip(SKIP_1) | instid1(VALU_DEP_3)
	v_cndmask_b32_e32 v5, 0x7fc0, v5, vcc_lo
	v_cmp_o_f32_e32 vcc_lo, v19, v19
	v_cndmask_b32_e32 v7, 0x7fc00000, v7, vcc_lo
.LBB167_2189:
	s_mov_b32 s0, 0
.LBB167_2190:
	s_delay_alu instid0(SALU_CYCLE_1)
	s_and_not1_b32 vcc_lo, exec_lo, s0
	s_cbranch_vccnz .LBB167_2192
; %bb.2191:
	s_wait_loadcnt 0x0
	global_load_b32 v5, v[16:17], off
	s_wait_loadcnt 0x0
	v_lshrrev_b32_e32 v7, 16, v5
	v_cvt_f32_f16_e32 v9, v5
	v_cmp_o_f16_e32 vcc_lo, v5, v5
	s_delay_alu instid0(VALU_DEP_3) | instskip(NEXT) | instid1(VALU_DEP_3)
	v_cvt_f32_f16_e32 v11, v7
	v_bfe_u32 v13, v9, 16, 1
	s_delay_alu instid0(VALU_DEP_2) | instskip(NEXT) | instid1(VALU_DEP_2)
	v_bfe_u32 v15, v11, 16, 1
	v_add3_u32 v9, v9, v13, 0x7fff
	s_delay_alu instid0(VALU_DEP_2) | instskip(NEXT) | instid1(VALU_DEP_2)
	v_add3_u32 v11, v11, v15, 0x7fff
	v_lshrrev_b32_e32 v9, 16, v9
	s_delay_alu instid0(VALU_DEP_2) | instskip(NEXT) | instid1(VALU_DEP_2)
	v_and_b32_e32 v11, 0xffff0000, v11
	v_cndmask_b32_e32 v5, 0x7fc0, v9, vcc_lo
	v_cmp_o_f16_e32 vcc_lo, v7, v7
	s_delay_alu instid0(VALU_DEP_3)
	v_cndmask_b32_e32 v7, 0x7fc00000, v11, vcc_lo
.LBB167_2192:
	s_mov_b32 s0, 0
.LBB167_2193:
	s_delay_alu instid0(SALU_CYCLE_1)
	s_and_not1_b32 vcc_lo, exec_lo, s0
	s_cbranch_vccnz .LBB167_2211
; %bb.2194:
	s_cmp_lt_i32 s16, 6
	s_cbranch_scc1 .LBB167_2197
; %bb.2195:
	s_cmp_gt_i32 s16, 6
	s_cbranch_scc0 .LBB167_2204
; %bb.2196:
	global_load_b64 v[18:19], v[16:17], off
	s_mov_b32 s0, 0
	s_wait_loadcnt 0x0
	v_cvt_f32_f64_e32 v5, v[18:19]
	s_delay_alu instid0(VALU_DEP_1) | instskip(SKIP_1) | instid1(VALU_DEP_2)
	v_bfe_u32 v7, v5, 16, 1
	v_cmp_o_f32_e32 vcc_lo, v5, v5
	v_add3_u32 v7, v5, v7, 0x7fff
	s_delay_alu instid0(VALU_DEP_1) | instskip(NEXT) | instid1(VALU_DEP_1)
	v_lshrrev_b32_e32 v7, 16, v7
	v_cndmask_b32_e32 v5, 0x7fc0, v7, vcc_lo
	s_branch .LBB167_2205
.LBB167_2197:
	s_mov_b32 s0, -1
                                        ; implicit-def: $vgpr5
	s_branch .LBB167_2208
.LBB167_2198:
	s_mov_b32 s0, -1
.LBB167_2199:
                                        ; implicit-def: $vgpr5
.LBB167_2200:
	s_and_b32 vcc_lo, exec_lo, s14
	s_mov_b32 s14, 0
	s_cbranch_vccz .LBB167_2202
; %bb.2201:
	s_cmp_lg_u32 s16, 11
	s_mov_b32 s14, -1
	s_cselect_b32 s0, -1, 0
.LBB167_2202:
	v_mov_b32_e32 v7, 0
	s_and_b32 vcc_lo, exec_lo, s0
	s_cbranch_vccz .LBB167_2156
.LBB167_2203:
	s_or_b32 s1, s1, exec_lo
	s_trap 2
	s_cbranch_execz .LBB167_2157
	s_branch .LBB167_2158
.LBB167_2204:
	s_mov_b32 s0, -1
                                        ; implicit-def: $vgpr5
.LBB167_2205:
	s_delay_alu instid0(SALU_CYCLE_1)
	s_and_not1_b32 vcc_lo, exec_lo, s0
	s_cbranch_vccnz .LBB167_2207
; %bb.2206:
	s_wait_loadcnt 0x0
	global_load_b32 v5, v[16:17], off
	s_wait_loadcnt 0x0
	v_bfe_u32 v7, v5, 16, 1
	v_cmp_o_f32_e32 vcc_lo, v5, v5
	s_delay_alu instid0(VALU_DEP_2) | instskip(NEXT) | instid1(VALU_DEP_1)
	v_add3_u32 v7, v5, v7, 0x7fff
	v_lshrrev_b32_e32 v7, 16, v7
	s_delay_alu instid0(VALU_DEP_1)
	v_cndmask_b32_e32 v5, 0x7fc0, v7, vcc_lo
.LBB167_2207:
	s_mov_b32 s0, 0
.LBB167_2208:
	s_delay_alu instid0(SALU_CYCLE_1)
	s_and_not1_b32 vcc_lo, exec_lo, s0
	s_cbranch_vccnz .LBB167_2210
; %bb.2209:
	s_wait_loadcnt 0x0
	global_load_u16 v5, v[16:17], off
	s_wait_loadcnt 0x0
	v_cvt_f32_f16_e32 v7, v5
	v_cmp_o_f16_e32 vcc_lo, v5, v5
	s_delay_alu instid0(VALU_DEP_2) | instskip(NEXT) | instid1(VALU_DEP_1)
	v_bfe_u32 v9, v7, 16, 1
	v_add3_u32 v7, v7, v9, 0x7fff
	s_delay_alu instid0(VALU_DEP_1) | instskip(NEXT) | instid1(VALU_DEP_1)
	v_lshrrev_b32_e32 v7, 16, v7
	v_cndmask_b32_e32 v5, 0x7fc0, v7, vcc_lo
.LBB167_2210:
	v_mov_b32_e32 v7, 0
.LBB167_2211:
	s_mov_b32 s0, 0
.LBB167_2212:
	s_delay_alu instid0(SALU_CYCLE_1)
	s_and_not1_b32 vcc_lo, exec_lo, s0
	s_cbranch_vccnz .LBB167_2233
; %bb.2213:
	s_cmp_lt_i32 s16, 2
	s_cbranch_scc1 .LBB167_2217
; %bb.2214:
	s_cmp_lt_i32 s16, 3
	s_cbranch_scc1 .LBB167_2218
; %bb.2215:
	s_cmp_gt_i32 s16, 3
	s_cbranch_scc0 .LBB167_2219
; %bb.2216:
	global_load_b64 v[18:19], v[16:17], off
	s_mov_b32 s0, 0
	s_wait_loadcnt 0x0
	v_xor_b32_e32 v5, v18, v19
	v_cls_i32_e32 v7, v19
	s_delay_alu instid0(VALU_DEP_2) | instskip(NEXT) | instid1(VALU_DEP_1)
	v_ashrrev_i32_e32 v5, 31, v5
	v_add_nc_u32_e32 v5, 32, v5
	s_delay_alu instid0(VALU_DEP_1) | instskip(NEXT) | instid1(VALU_DEP_1)
	v_add_min_u32_e64 v5, v7, -1, v5
	v_lshlrev_b64_e32 v[18:19], v5, v[18:19]
	v_sub_nc_u32_e32 v5, 32, v5
	s_delay_alu instid0(VALU_DEP_2) | instskip(NEXT) | instid1(VALU_DEP_1)
	v_min_u32_e32 v7, 1, v18
	v_or_b32_e32 v7, v19, v7
	s_delay_alu instid0(VALU_DEP_1) | instskip(NEXT) | instid1(VALU_DEP_1)
	v_cvt_f32_i32_e32 v7, v7
	v_ldexp_f32 v5, v7, v5
	s_delay_alu instid0(VALU_DEP_1) | instskip(NEXT) | instid1(VALU_DEP_1)
	v_bfe_u32 v7, v5, 16, 1
	v_add3_u32 v5, v5, v7, 0x7fff
	s_delay_alu instid0(VALU_DEP_1)
	v_lshrrev_b32_e32 v5, 16, v5
	s_branch .LBB167_2220
.LBB167_2217:
	s_mov_b32 s0, -1
                                        ; implicit-def: $vgpr5
	s_branch .LBB167_2226
.LBB167_2218:
	s_mov_b32 s0, -1
                                        ; implicit-def: $vgpr5
	s_branch .LBB167_2223
.LBB167_2219:
	s_mov_b32 s0, -1
                                        ; implicit-def: $vgpr5
.LBB167_2220:
	s_delay_alu instid0(SALU_CYCLE_1)
	s_and_not1_b32 vcc_lo, exec_lo, s0
	s_cbranch_vccnz .LBB167_2222
; %bb.2221:
	s_wait_loadcnt 0x0
	global_load_b32 v5, v[16:17], off
	s_wait_loadcnt 0x0
	v_cvt_f32_i32_e32 v5, v5
	s_delay_alu instid0(VALU_DEP_1) | instskip(NEXT) | instid1(VALU_DEP_1)
	v_bfe_u32 v7, v5, 16, 1
	v_add3_u32 v5, v5, v7, 0x7fff
	s_delay_alu instid0(VALU_DEP_1)
	v_lshrrev_b32_e32 v5, 16, v5
.LBB167_2222:
	s_mov_b32 s0, 0
.LBB167_2223:
	s_delay_alu instid0(SALU_CYCLE_1)
	s_and_not1_b32 vcc_lo, exec_lo, s0
	s_cbranch_vccnz .LBB167_2225
; %bb.2224:
	s_wait_loadcnt 0x0
	global_load_i16 v5, v[16:17], off
	s_wait_loadcnt 0x0
	v_cvt_f32_i32_e32 v5, v5
	s_delay_alu instid0(VALU_DEP_1) | instskip(NEXT) | instid1(VALU_DEP_1)
	v_bfe_u32 v7, v5, 16, 1
	v_add3_u32 v5, v5, v7, 0x7fff
	s_delay_alu instid0(VALU_DEP_1)
	v_lshrrev_b32_e32 v5, 16, v5
.LBB167_2225:
	s_mov_b32 s0, 0
.LBB167_2226:
	s_delay_alu instid0(SALU_CYCLE_1)
	s_and_not1_b32 vcc_lo, exec_lo, s0
	s_cbranch_vccnz .LBB167_2232
; %bb.2227:
	s_cmp_gt_i32 s16, 0
	s_mov_b32 s0, 0
	s_cbranch_scc0 .LBB167_2229
; %bb.2228:
	s_wait_loadcnt 0x0
	global_load_i8 v5, v[16:17], off
	s_wait_loadcnt 0x0
	v_cvt_f32_i32_e32 v5, v5
	s_delay_alu instid0(VALU_DEP_1) | instskip(NEXT) | instid1(VALU_DEP_1)
	v_bfe_u32 v7, v5, 16, 1
	v_add3_u32 v5, v5, v7, 0x7fff
	s_delay_alu instid0(VALU_DEP_1)
	v_lshrrev_b32_e32 v5, 16, v5
	s_branch .LBB167_2230
.LBB167_2229:
	s_mov_b32 s0, -1
                                        ; implicit-def: $vgpr5
.LBB167_2230:
	s_delay_alu instid0(SALU_CYCLE_1)
	s_and_not1_b32 vcc_lo, exec_lo, s0
	s_cbranch_vccnz .LBB167_2232
; %bb.2231:
	s_wait_loadcnt 0x0
	global_load_u8 v5, v[16:17], off
	s_wait_loadcnt 0x0
	v_cvt_f32_ubyte0_e32 v5, v5
	s_delay_alu instid0(VALU_DEP_1) | instskip(NEXT) | instid1(VALU_DEP_1)
	v_bfe_u32 v7, v5, 16, 1
	v_add3_u32 v5, v5, v7, 0x7fff
	s_delay_alu instid0(VALU_DEP_1)
	v_lshrrev_b32_e32 v5, 16, v5
.LBB167_2232:
	v_mov_b32_e32 v7, 0
.LBB167_2233:
	s_mov_b32 s17, -1
.LBB167_2234:
	s_delay_alu instid0(SALU_CYCLE_1)
	s_and_not1_b32 vcc_lo, exec_lo, s17
	s_cbranch_vccnz .LBB167_2793
; %bb.2235:
	s_wait_loadcnt 0x0
	v_and_b32_e32 v5, 0xffff, v5
	v_and_b32_e32 v1, 0xffff, v1
	s_and_b32 vcc_lo, exec_lo, s13
	s_delay_alu instid0(VALU_DEP_2) | instskip(NEXT) | instid1(VALU_DEP_2)
	v_or_b32_e32 v5, v7, v5
	v_or_b32_e32 v9, v3, v1
	v_and_b32_e32 v1, 0xffff0000, v7
	v_and_b32_e32 v3, 0xffff0000, v3
	s_delay_alu instid0(VALU_DEP_4) | instskip(NEXT) | instid1(VALU_DEP_4)
	v_lshlrev_b32_e32 v5, 16, v5
	v_lshlrev_b32_e32 v7, 16, v9
	s_cbranch_vccz .LBB167_2237
; %bb.2236:
	s_delay_alu instid0(VALU_DEP_1)
	v_cmp_neq_f32_e32 vcc_lo, v7, v5
	v_cmp_neq_f32_e64 s0, v3, v1
	s_or_b32 s14, vcc_lo, s0
	s_mov_b32 s0, 0
	s_branch .LBB167_2238
.LBB167_2237:
	s_mov_b32 s0, -1
                                        ; implicit-def: $sgpr14
.LBB167_2238:
	s_delay_alu instid0(SALU_CYCLE_1)
	s_and_not1_b32 vcc_lo, exec_lo, s0
	s_cbranch_vccnz .LBB167_2240
; %bb.2239:
	v_cmp_eq_f32_e32 vcc_lo, v7, v5
	v_cmp_eq_f32_e64 s0, v3, v1
	s_and_not1_b32 s14, s14, exec_lo
	s_and_b32 s0, vcc_lo, s0
	s_delay_alu instid0(SALU_CYCLE_1) | instskip(NEXT) | instid1(SALU_CYCLE_1)
	s_and_b32 s0, s0, exec_lo
	s_or_b32 s14, s14, s0
.LBB167_2240:
	v_mov_b32_e32 v15, 0
	s_cmp_lt_i32 s15, 11
	s_delay_alu instid0(VALU_DEP_1)
	v_add_nc_u64_e32 v[14:15], s[6:7], v[14:15]
	s_cbranch_scc1 .LBB167_2247
; %bb.2241:
	s_cmp_gt_i32 s15, 25
	s_mov_b32 s17, 0
	s_cbranch_scc0 .LBB167_2248
; %bb.2242:
	s_cmp_gt_i32 s15, 28
	s_cbranch_scc0 .LBB167_2249
; %bb.2243:
	s_cmp_gt_i32 s15, 43
	;; [unrolled: 3-line block ×3, first 2 shown]
	s_cbranch_scc0 .LBB167_2251
; %bb.2245:
	s_cmp_eq_u32 s15, 46
	s_mov_b32 s19, 0
	s_cbranch_scc0 .LBB167_2252
; %bb.2246:
	global_load_b32 v1, v[14:15], off
	s_mov_b32 s0, 0
	s_mov_b32 s18, -1
	s_wait_loadcnt 0x0
	v_and_b32_e32 v3, 0xffff0000, v1
	s_branch .LBB167_2254
.LBB167_2247:
	s_mov_b32 s0, -1
	s_mov_b32 s18, 0
                                        ; implicit-def: $vgpr3
                                        ; implicit-def: $vgpr1
	s_branch .LBB167_2300
.LBB167_2248:
	s_mov_b32 s19, -1
	s_mov_b32 s18, 0
	s_mov_b32 s0, 0
                                        ; implicit-def: $vgpr3
                                        ; implicit-def: $vgpr1
	s_branch .LBB167_2285
.LBB167_2249:
	s_mov_b32 s19, -1
	s_mov_b32 s18, 0
	s_mov_b32 s0, 0
                                        ; implicit-def: $vgpr3
                                        ; implicit-def: $vgpr1
	s_branch .LBB167_2266
.LBB167_2250:
	s_mov_b32 s19, -1
	s_mov_b32 s18, 0
	s_mov_b32 s0, 0
                                        ; implicit-def: $vgpr3
                                        ; implicit-def: $vgpr1
	s_branch .LBB167_2260
.LBB167_2251:
	s_mov_b32 s19, -1
	s_mov_b32 s18, 0
	s_mov_b32 s0, 0
	s_branch .LBB167_2253
.LBB167_2252:
	s_mov_b32 s0, -1
	s_mov_b32 s18, 0
.LBB167_2253:
                                        ; implicit-def: $vgpr3
                                        ; implicit-def: $vgpr1
.LBB167_2254:
	s_and_b32 vcc_lo, exec_lo, s19
	s_cbranch_vccz .LBB167_2259
; %bb.2255:
	s_cmp_eq_u32 s15, 44
	s_cbranch_scc0 .LBB167_2257
; %bb.2256:
	global_load_u8 v1, v[14:15], off
	s_mov_b32 s0, 0
	s_mov_b32 s18, -1
	s_wait_loadcnt 0x0
	v_lshlrev_b32_e32 v3, 23, v1
	v_cmp_ne_u32_e32 vcc_lo, 0xff, v1
	s_delay_alu instid0(VALU_DEP_2) | instskip(SKIP_1) | instid1(VALU_DEP_2)
	v_cndmask_b32_e32 v3, 0x7f800001, v3, vcc_lo
	v_cmp_ne_u32_e32 vcc_lo, 0, v1
	v_cndmask_b32_e32 v1, 0x400000, v3, vcc_lo
	s_delay_alu instid0(VALU_DEP_1) | instskip(SKIP_1) | instid1(VALU_DEP_2)
	v_add_nc_u32_e32 v3, 0x7fff, v1
	v_cmp_o_f32_e32 vcc_lo, v1, v1
	v_lshrrev_b32_e32 v3, 16, v3
	s_delay_alu instid0(VALU_DEP_1)
	v_cndmask_b32_e32 v1, 0x7fc0, v3, vcc_lo
	s_branch .LBB167_2258
.LBB167_2257:
	s_mov_b32 s0, -1
                                        ; implicit-def: $vgpr1
.LBB167_2258:
	v_mov_b32_e32 v3, 0
.LBB167_2259:
	s_mov_b32 s19, 0
.LBB167_2260:
	s_delay_alu instid0(SALU_CYCLE_1)
	s_and_b32 vcc_lo, exec_lo, s19
	s_cbranch_vccz .LBB167_2265
; %bb.2261:
	s_cmp_eq_u32 s15, 29
	s_cbranch_scc0 .LBB167_2263
; %bb.2262:
	global_load_b64 v[16:17], v[14:15], off
	s_mov_b32 s0, 0
	s_mov_b32 s18, -1
	s_wait_loadcnt 0x0
	v_clz_i32_u32_e32 v1, v17
	s_delay_alu instid0(VALU_DEP_1) | instskip(NEXT) | instid1(VALU_DEP_1)
	v_min_u32_e32 v1, 32, v1
	v_lshlrev_b64_e32 v[16:17], v1, v[16:17]
	v_sub_nc_u32_e32 v1, 32, v1
	s_delay_alu instid0(VALU_DEP_2) | instskip(NEXT) | instid1(VALU_DEP_1)
	v_min_u32_e32 v3, 1, v16
	v_or_b32_e32 v3, v17, v3
	s_delay_alu instid0(VALU_DEP_1) | instskip(NEXT) | instid1(VALU_DEP_1)
	v_cvt_f32_u32_e32 v3, v3
	v_ldexp_f32 v1, v3, v1
	s_delay_alu instid0(VALU_DEP_1) | instskip(NEXT) | instid1(VALU_DEP_1)
	v_bfe_u32 v3, v1, 16, 1
	v_add3_u32 v1, v1, v3, 0x7fff
	s_delay_alu instid0(VALU_DEP_1)
	v_lshrrev_b32_e32 v1, 16, v1
	s_branch .LBB167_2264
.LBB167_2263:
	s_mov_b32 s0, -1
                                        ; implicit-def: $vgpr1
.LBB167_2264:
	v_mov_b32_e32 v3, 0
.LBB167_2265:
	s_mov_b32 s19, 0
.LBB167_2266:
	s_delay_alu instid0(SALU_CYCLE_1)
	s_and_b32 vcc_lo, exec_lo, s19
	s_cbranch_vccz .LBB167_2284
; %bb.2267:
	s_cmp_lt_i32 s15, 27
	s_cbranch_scc1 .LBB167_2270
; %bb.2268:
	s_cmp_gt_i32 s15, 27
	s_cbranch_scc0 .LBB167_2271
; %bb.2269:
	global_load_b32 v1, v[14:15], off
	s_mov_b32 s18, 0
	s_wait_loadcnt 0x0
	v_cvt_f32_u32_e32 v1, v1
	s_delay_alu instid0(VALU_DEP_1) | instskip(NEXT) | instid1(VALU_DEP_1)
	v_bfe_u32 v3, v1, 16, 1
	v_add3_u32 v1, v1, v3, 0x7fff
	s_delay_alu instid0(VALU_DEP_1)
	v_lshrrev_b32_e32 v1, 16, v1
	s_branch .LBB167_2272
.LBB167_2270:
	s_mov_b32 s18, -1
                                        ; implicit-def: $vgpr1
	s_branch .LBB167_2275
.LBB167_2271:
	s_mov_b32 s18, -1
                                        ; implicit-def: $vgpr1
.LBB167_2272:
	s_delay_alu instid0(SALU_CYCLE_1)
	s_and_not1_b32 vcc_lo, exec_lo, s18
	s_cbranch_vccnz .LBB167_2274
; %bb.2273:
	global_load_u16 v1, v[14:15], off
	s_wait_loadcnt 0x0
	v_cvt_f32_u32_e32 v1, v1
	s_delay_alu instid0(VALU_DEP_1) | instskip(NEXT) | instid1(VALU_DEP_1)
	v_bfe_u32 v3, v1, 16, 1
	v_add3_u32 v1, v1, v3, 0x7fff
	s_delay_alu instid0(VALU_DEP_1)
	v_lshrrev_b32_e32 v1, 16, v1
.LBB167_2274:
	s_mov_b32 s18, 0
.LBB167_2275:
	s_delay_alu instid0(SALU_CYCLE_1)
	s_and_not1_b32 vcc_lo, exec_lo, s18
	s_cbranch_vccnz .LBB167_2283
; %bb.2276:
	global_load_u8 v1, v[14:15], off
	s_mov_b32 s18, 0
	s_mov_b32 s19, exec_lo
	s_wait_loadcnt 0x0
	v_cmpx_lt_i16_e32 0x7f, v1
	s_xor_b32 s19, exec_lo, s19
	s_cbranch_execz .LBB167_2309
; %bb.2277:
	s_mov_b32 s18, -1
	s_mov_b32 s20, exec_lo
	v_cmpx_eq_u16_e32 0x80, v1
; %bb.2278:
	s_xor_b32 s18, exec_lo, -1
; %bb.2279:
	s_or_b32 exec_lo, exec_lo, s20
	s_delay_alu instid0(SALU_CYCLE_1)
	s_and_b32 s18, s18, exec_lo
	s_or_saveexec_b32 s19, s19
	v_mov_b32_e32 v3, 0x7f800001
	s_xor_b32 exec_lo, exec_lo, s19
	s_cbranch_execnz .LBB167_2310
.LBB167_2280:
	s_or_b32 exec_lo, exec_lo, s19
	s_and_saveexec_b32 s19, s18
	s_cbranch_execz .LBB167_2282
.LBB167_2281:
	v_and_b32_e32 v3, 0xffff, v1
	s_delay_alu instid0(VALU_DEP_1) | instskip(SKIP_1) | instid1(VALU_DEP_2)
	v_dual_lshlrev_b32 v1, 24, v1 :: v_dual_bitop2_b32 v5, 7, v3 bitop3:0x40
	v_bfe_u32 v11, v3, 3, 4
	v_and_b32_e32 v1, 0x80000000, v1
	s_delay_alu instid0(VALU_DEP_3) | instskip(NEXT) | instid1(VALU_DEP_3)
	v_clz_i32_u32_e32 v7, v5
	v_cmp_eq_u32_e32 vcc_lo, 0, v11
	s_delay_alu instid0(VALU_DEP_2) | instskip(NEXT) | instid1(VALU_DEP_1)
	v_min_u32_e32 v7, 32, v7
	v_subrev_nc_u32_e32 v9, 28, v7
	v_sub_nc_u32_e32 v7, 29, v7
	s_delay_alu instid0(VALU_DEP_2) | instskip(NEXT) | instid1(VALU_DEP_2)
	v_lshlrev_b32_e32 v3, v9, v3
	v_cndmask_b32_e32 v7, v11, v7, vcc_lo
	s_delay_alu instid0(VALU_DEP_2) | instskip(NEXT) | instid1(VALU_DEP_1)
	v_and_b32_e32 v3, 7, v3
	v_cndmask_b32_e32 v3, v5, v3, vcc_lo
	s_delay_alu instid0(VALU_DEP_3) | instskip(NEXT) | instid1(VALU_DEP_2)
	v_lshl_add_u32 v5, v7, 23, 0x3b800000
	v_lshlrev_b32_e32 v3, 20, v3
	s_delay_alu instid0(VALU_DEP_1)
	v_or3_b32 v3, v1, v5, v3
.LBB167_2282:
	s_or_b32 exec_lo, exec_lo, s19
	s_delay_alu instid0(VALU_DEP_1) | instskip(SKIP_1) | instid1(VALU_DEP_2)
	v_bfe_u32 v1, v3, 16, 1
	v_cmp_o_f32_e32 vcc_lo, v3, v3
	v_add3_u32 v1, v3, v1, 0x7fff
	s_delay_alu instid0(VALU_DEP_1) | instskip(NEXT) | instid1(VALU_DEP_1)
	v_lshrrev_b32_e32 v1, 16, v1
	v_cndmask_b32_e32 v1, 0x7fc0, v1, vcc_lo
.LBB167_2283:
	v_mov_b32_e32 v3, 0
	s_mov_b32 s18, -1
.LBB167_2284:
	s_mov_b32 s19, 0
.LBB167_2285:
	s_delay_alu instid0(SALU_CYCLE_1)
	s_and_b32 vcc_lo, exec_lo, s19
	s_cbranch_vccz .LBB167_2296
; %bb.2286:
	s_cmp_gt_i32 s15, 22
	s_cbranch_scc0 .LBB167_2307
; %bb.2287:
	s_cmp_lt_i32 s15, 24
	s_cbranch_scc1 .LBB167_2311
; %bb.2288:
	s_cmp_gt_i32 s15, 24
	s_cbranch_scc0 .LBB167_2313
; %bb.2289:
	global_load_u8 v1, v[14:15], off
	s_mov_b32 s18, exec_lo
	s_wait_loadcnt 0x0
	v_cmpx_lt_i16_e32 0x7f, v1
	s_xor_b32 s18, exec_lo, s18
	s_cbranch_execz .LBB167_2325
; %bb.2290:
	s_mov_b32 s17, -1
	s_mov_b32 s19, exec_lo
	v_cmpx_eq_u16_e32 0x80, v1
; %bb.2291:
	s_xor_b32 s17, exec_lo, -1
; %bb.2292:
	s_or_b32 exec_lo, exec_lo, s19
	s_delay_alu instid0(SALU_CYCLE_1)
	s_and_b32 s17, s17, exec_lo
	s_or_saveexec_b32 s18, s18
	v_mov_b32_e32 v3, 0x7f800001
	s_xor_b32 exec_lo, exec_lo, s18
	s_cbranch_execnz .LBB167_2326
.LBB167_2293:
	s_or_b32 exec_lo, exec_lo, s18
	s_and_saveexec_b32 s18, s17
	s_cbranch_execz .LBB167_2295
.LBB167_2294:
	v_and_b32_e32 v3, 0xffff, v1
	s_delay_alu instid0(VALU_DEP_1) | instskip(SKIP_1) | instid1(VALU_DEP_2)
	v_dual_lshlrev_b32 v1, 24, v1 :: v_dual_bitop2_b32 v5, 3, v3 bitop3:0x40
	v_bfe_u32 v11, v3, 2, 5
	v_and_b32_e32 v1, 0x80000000, v1
	s_delay_alu instid0(VALU_DEP_3) | instskip(NEXT) | instid1(VALU_DEP_3)
	v_clz_i32_u32_e32 v7, v5
	v_cmp_eq_u32_e32 vcc_lo, 0, v11
	s_delay_alu instid0(VALU_DEP_2) | instskip(NEXT) | instid1(VALU_DEP_1)
	v_min_u32_e32 v7, 32, v7
	v_subrev_nc_u32_e32 v9, 29, v7
	v_sub_nc_u32_e32 v7, 30, v7
	s_delay_alu instid0(VALU_DEP_2) | instskip(NEXT) | instid1(VALU_DEP_2)
	v_lshlrev_b32_e32 v3, v9, v3
	v_cndmask_b32_e32 v7, v11, v7, vcc_lo
	s_delay_alu instid0(VALU_DEP_2) | instskip(NEXT) | instid1(VALU_DEP_1)
	v_and_b32_e32 v3, 3, v3
	v_cndmask_b32_e32 v3, v5, v3, vcc_lo
	s_delay_alu instid0(VALU_DEP_3) | instskip(NEXT) | instid1(VALU_DEP_2)
	v_lshl_add_u32 v5, v7, 23, 0x37800000
	v_lshlrev_b32_e32 v3, 21, v3
	s_delay_alu instid0(VALU_DEP_1)
	v_or3_b32 v3, v1, v5, v3
.LBB167_2295:
	s_or_b32 exec_lo, exec_lo, s18
	s_delay_alu instid0(VALU_DEP_1) | instskip(SKIP_2) | instid1(VALU_DEP_2)
	v_bfe_u32 v1, v3, 16, 1
	v_cmp_o_f32_e32 vcc_lo, v3, v3
	s_mov_b32 s17, 0
	v_add3_u32 v1, v3, v1, 0x7fff
	s_delay_alu instid0(VALU_DEP_1) | instskip(NEXT) | instid1(VALU_DEP_1)
	v_lshrrev_b32_e32 v1, 16, v1
	v_cndmask_b32_e32 v1, 0x7fc0, v1, vcc_lo
	s_branch .LBB167_2314
.LBB167_2296:
	s_and_b32 vcc_lo, exec_lo, s0
	s_cbranch_vccnz .LBB167_2344
.LBB167_2297:
	s_and_not1_b32 vcc_lo, exec_lo, s17
	s_cbranch_vccnz .LBB167_2299
.LBB167_2298:
	s_wait_loadcnt 0x0
	global_load_u8 v1, v[14:15], off
	s_mov_b32 s18, -1
	v_mov_b32_e32 v3, 0
	s_wait_loadcnt 0x0
	v_cmp_ne_u16_e32 vcc_lo, 0, v1
	v_cndmask_b32_e64 v1, 0, 1.0, vcc_lo
	s_delay_alu instid0(VALU_DEP_1)
	v_lshrrev_b32_e32 v1, 16, v1
.LBB167_2299:
	s_mov_b32 s0, 0
.LBB167_2300:
	s_delay_alu instid0(SALU_CYCLE_1)
	s_and_b32 vcc_lo, exec_lo, s0
	s_cbranch_vccz .LBB167_2375
; %bb.2301:
	s_cmp_lt_i32 s15, 5
	s_cbranch_scc1 .LBB167_2306
; %bb.2302:
	s_cmp_lt_i32 s15, 8
	s_cbranch_scc1 .LBB167_2308
	;; [unrolled: 3-line block ×3, first 2 shown]
; %bb.2304:
	s_cmp_gt_i32 s15, 9
	s_cbranch_scc0 .LBB167_2327
; %bb.2305:
	global_load_b128 v[16:19], v[14:15], off
	s_mov_b32 s0, 0
	s_wait_loadcnt 0x0
	v_cvt_f32_f64_e32 v1, v[16:17]
	v_cvt_f32_f64_e32 v3, v[18:19]
	s_delay_alu instid0(VALU_DEP_2) | instskip(NEXT) | instid1(VALU_DEP_2)
	v_bfe_u32 v5, v1, 16, 1
	v_bfe_u32 v7, v3, 16, 1
	v_cmp_o_f32_e32 vcc_lo, v1, v1
	s_delay_alu instid0(VALU_DEP_3) | instskip(NEXT) | instid1(VALU_DEP_3)
	v_add3_u32 v5, v1, v5, 0x7fff
	v_add3_u32 v7, v3, v7, 0x7fff
	s_delay_alu instid0(VALU_DEP_2) | instskip(NEXT) | instid1(VALU_DEP_2)
	v_lshrrev_b32_e32 v5, 16, v5
	v_and_b32_e32 v7, 0xffff0000, v7
	s_delay_alu instid0(VALU_DEP_2) | instskip(SKIP_1) | instid1(VALU_DEP_3)
	v_cndmask_b32_e32 v1, 0x7fc0, v5, vcc_lo
	v_cmp_o_f32_e32 vcc_lo, v3, v3
	v_cndmask_b32_e32 v3, 0x7fc00000, v7, vcc_lo
	s_branch .LBB167_2328
.LBB167_2306:
	s_mov_b32 s0, -1
                                        ; implicit-def: $vgpr3
                                        ; implicit-def: $vgpr1
	s_branch .LBB167_2353
.LBB167_2307:
	s_mov_b32 s17, -1
                                        ; implicit-def: $vgpr1
	s_branch .LBB167_2320
.LBB167_2308:
	s_mov_b32 s0, -1
                                        ; implicit-def: $vgpr3
                                        ; implicit-def: $vgpr1
	s_branch .LBB167_2334
.LBB167_2309:
	s_or_saveexec_b32 s19, s19
	v_mov_b32_e32 v3, 0x7f800001
	s_xor_b32 exec_lo, exec_lo, s19
	s_cbranch_execz .LBB167_2280
.LBB167_2310:
	v_cmp_ne_u16_e32 vcc_lo, 0, v1
	v_mov_b32_e32 v3, 0
	s_and_not1_b32 s18, s18, exec_lo
	s_and_b32 s20, vcc_lo, exec_lo
	s_delay_alu instid0(SALU_CYCLE_1)
	s_or_b32 s18, s18, s20
	s_or_b32 exec_lo, exec_lo, s19
	s_and_saveexec_b32 s19, s18
	s_cbranch_execnz .LBB167_2281
	s_branch .LBB167_2282
.LBB167_2311:
	s_mov_b32 s17, -1
                                        ; implicit-def: $vgpr1
	s_branch .LBB167_2317
.LBB167_2312:
	s_mov_b32 s0, -1
                                        ; implicit-def: $vgpr3
                                        ; implicit-def: $vgpr1
	s_branch .LBB167_2331
.LBB167_2313:
	s_mov_b32 s17, -1
                                        ; implicit-def: $vgpr1
.LBB167_2314:
	s_delay_alu instid0(SALU_CYCLE_1)
	s_and_b32 vcc_lo, exec_lo, s17
	s_cbranch_vccz .LBB167_2316
; %bb.2315:
	global_load_u8 v1, v[14:15], off
	s_wait_loadcnt 0x0
	v_lshlrev_b32_e32 v1, 24, v1
	s_delay_alu instid0(VALU_DEP_1) | instskip(NEXT) | instid1(VALU_DEP_1)
	v_and_b32_e32 v3, 0x7f000000, v1
	v_clz_i32_u32_e32 v5, v3
	v_add_nc_u32_e32 v9, 0x1000000, v3
	v_cmp_ne_u32_e32 vcc_lo, 0, v3
	s_delay_alu instid0(VALU_DEP_3) | instskip(NEXT) | instid1(VALU_DEP_1)
	v_min_u32_e32 v5, 32, v5
	v_sub_nc_u32_e64 v5, v5, 4 clamp
	s_delay_alu instid0(VALU_DEP_1) | instskip(NEXT) | instid1(VALU_DEP_1)
	v_dual_lshlrev_b32 v7, v5, v3 :: v_dual_lshlrev_b32 v5, 23, v5
	v_lshrrev_b32_e32 v7, 4, v7
	s_delay_alu instid0(VALU_DEP_1) | instskip(SKIP_1) | instid1(VALU_DEP_2)
	v_sub_nc_u32_e32 v5, v7, v5
	v_ashrrev_i32_e32 v7, 8, v9
	v_add_nc_u32_e32 v5, 0x3c000000, v5
	s_delay_alu instid0(VALU_DEP_1) | instskip(NEXT) | instid1(VALU_DEP_1)
	v_and_or_b32 v5, 0x7f800000, v7, v5
	v_cndmask_b32_e32 v3, 0, v5, vcc_lo
	s_delay_alu instid0(VALU_DEP_1) | instskip(SKIP_1) | instid1(VALU_DEP_2)
	v_and_or_b32 v1, 0x80000000, v1, v3
	v_bfe_u32 v3, v3, 16, 1
	v_cmp_o_f32_e32 vcc_lo, v1, v1
	s_delay_alu instid0(VALU_DEP_2) | instskip(NEXT) | instid1(VALU_DEP_1)
	v_add3_u32 v3, v1, v3, 0x7fff
	v_lshrrev_b32_e32 v3, 16, v3
	s_delay_alu instid0(VALU_DEP_1)
	v_cndmask_b32_e32 v1, 0x7fc0, v3, vcc_lo
.LBB167_2316:
	s_mov_b32 s17, 0
.LBB167_2317:
	s_delay_alu instid0(SALU_CYCLE_1)
	s_and_not1_b32 vcc_lo, exec_lo, s17
	s_cbranch_vccnz .LBB167_2319
; %bb.2318:
	global_load_u8 v1, v[14:15], off
	s_wait_loadcnt 0x0
	v_lshlrev_b32_e32 v3, 25, v1
	v_lshlrev_b16 v1, 8, v1
	s_delay_alu instid0(VALU_DEP_1) | instskip(SKIP_1) | instid1(VALU_DEP_2)
	v_and_or_b32 v7, 0x7f00, v1, 0.5
	v_bfe_i32 v1, v1, 0, 16
	v_add_f32_e32 v7, -0.5, v7
	v_lshrrev_b32_e32 v5, 4, v3
	v_cmp_gt_u32_e32 vcc_lo, 0x8000000, v3
	s_delay_alu instid0(VALU_DEP_2) | instskip(NEXT) | instid1(VALU_DEP_1)
	v_or_b32_e32 v5, 0x70000000, v5
	v_mul_f32_e32 v5, 0x7800000, v5
	s_delay_alu instid0(VALU_DEP_1) | instskip(NEXT) | instid1(VALU_DEP_1)
	v_cndmask_b32_e32 v3, v5, v7, vcc_lo
	v_and_or_b32 v1, 0x80000000, v1, v3
	v_bfe_u32 v3, v3, 16, 1
	s_delay_alu instid0(VALU_DEP_2) | instskip(NEXT) | instid1(VALU_DEP_2)
	v_cmp_o_f32_e32 vcc_lo, v1, v1
	v_add3_u32 v3, v1, v3, 0x7fff
	s_delay_alu instid0(VALU_DEP_1) | instskip(NEXT) | instid1(VALU_DEP_1)
	v_lshrrev_b32_e32 v3, 16, v3
	v_cndmask_b32_e32 v1, 0x7fc0, v3, vcc_lo
.LBB167_2319:
	s_mov_b32 s17, 0
	s_mov_b32 s18, -1
.LBB167_2320:
	s_and_not1_b32 vcc_lo, exec_lo, s17
	s_mov_b32 s17, 0
	s_cbranch_vccnz .LBB167_2343
; %bb.2321:
	s_cmp_gt_i32 s15, 14
	s_cbranch_scc0 .LBB167_2324
; %bb.2322:
	s_cmp_eq_u32 s15, 15
	s_cbranch_scc0 .LBB167_2339
; %bb.2323:
	global_load_u16 v1, v[14:15], off
	s_mov_b32 s0, 0
	s_mov_b32 s18, -1
	s_branch .LBB167_2341
.LBB167_2324:
	s_mov_b32 s17, -1
	s_branch .LBB167_2340
.LBB167_2325:
	s_or_saveexec_b32 s18, s18
	v_mov_b32_e32 v3, 0x7f800001
	s_xor_b32 exec_lo, exec_lo, s18
	s_cbranch_execz .LBB167_2293
.LBB167_2326:
	v_cmp_ne_u16_e32 vcc_lo, 0, v1
	v_mov_b32_e32 v3, 0
	s_and_not1_b32 s17, s17, exec_lo
	s_and_b32 s19, vcc_lo, exec_lo
	s_delay_alu instid0(SALU_CYCLE_1)
	s_or_b32 s17, s17, s19
	s_or_b32 exec_lo, exec_lo, s18
	s_and_saveexec_b32 s18, s17
	s_cbranch_execnz .LBB167_2294
	s_branch .LBB167_2295
.LBB167_2327:
	s_mov_b32 s0, -1
                                        ; implicit-def: $vgpr3
                                        ; implicit-def: $vgpr1
.LBB167_2328:
	s_delay_alu instid0(SALU_CYCLE_1)
	s_and_not1_b32 vcc_lo, exec_lo, s0
	s_cbranch_vccnz .LBB167_2330
; %bb.2329:
	global_load_b64 v[16:17], v[14:15], off
	s_wait_loadcnt 0x0
	v_bfe_u32 v1, v16, 16, 1
	v_bfe_u32 v3, v17, 16, 1
	v_cmp_o_f32_e32 vcc_lo, v16, v16
	s_delay_alu instid0(VALU_DEP_3) | instskip(NEXT) | instid1(VALU_DEP_3)
	v_add3_u32 v1, v16, v1, 0x7fff
	v_add3_u32 v3, v17, v3, 0x7fff
	s_delay_alu instid0(VALU_DEP_2) | instskip(NEXT) | instid1(VALU_DEP_2)
	v_lshrrev_b32_e32 v1, 16, v1
	v_and_b32_e32 v3, 0xffff0000, v3
	s_delay_alu instid0(VALU_DEP_2) | instskip(SKIP_1) | instid1(VALU_DEP_3)
	v_cndmask_b32_e32 v1, 0x7fc0, v1, vcc_lo
	v_cmp_o_f32_e32 vcc_lo, v17, v17
	v_cndmask_b32_e32 v3, 0x7fc00000, v3, vcc_lo
.LBB167_2330:
	s_mov_b32 s0, 0
.LBB167_2331:
	s_delay_alu instid0(SALU_CYCLE_1)
	s_and_not1_b32 vcc_lo, exec_lo, s0
	s_cbranch_vccnz .LBB167_2333
; %bb.2332:
	s_wait_loadcnt 0x0
	global_load_b32 v1, v[14:15], off
	s_wait_loadcnt 0x0
	v_lshrrev_b32_e32 v3, 16, v1
	v_cvt_f32_f16_e32 v5, v1
	v_cmp_o_f16_e32 vcc_lo, v1, v1
	s_delay_alu instid0(VALU_DEP_3) | instskip(NEXT) | instid1(VALU_DEP_3)
	v_cvt_f32_f16_e32 v7, v3
	v_bfe_u32 v9, v5, 16, 1
	s_delay_alu instid0(VALU_DEP_2) | instskip(NEXT) | instid1(VALU_DEP_2)
	v_bfe_u32 v11, v7, 16, 1
	v_add3_u32 v5, v5, v9, 0x7fff
	s_delay_alu instid0(VALU_DEP_2) | instskip(NEXT) | instid1(VALU_DEP_2)
	v_add3_u32 v7, v7, v11, 0x7fff
	v_lshrrev_b32_e32 v5, 16, v5
	s_delay_alu instid0(VALU_DEP_2) | instskip(NEXT) | instid1(VALU_DEP_2)
	v_and_b32_e32 v7, 0xffff0000, v7
	v_cndmask_b32_e32 v1, 0x7fc0, v5, vcc_lo
	v_cmp_o_f16_e32 vcc_lo, v3, v3
	s_delay_alu instid0(VALU_DEP_3)
	v_cndmask_b32_e32 v3, 0x7fc00000, v7, vcc_lo
.LBB167_2333:
	s_mov_b32 s0, 0
.LBB167_2334:
	s_delay_alu instid0(SALU_CYCLE_1)
	s_and_not1_b32 vcc_lo, exec_lo, s0
	s_cbranch_vccnz .LBB167_2352
; %bb.2335:
	s_cmp_lt_i32 s15, 6
	s_cbranch_scc1 .LBB167_2338
; %bb.2336:
	s_cmp_gt_i32 s15, 6
	s_cbranch_scc0 .LBB167_2345
; %bb.2337:
	global_load_b64 v[16:17], v[14:15], off
	s_mov_b32 s0, 0
	s_wait_loadcnt 0x0
	v_cvt_f32_f64_e32 v1, v[16:17]
	s_delay_alu instid0(VALU_DEP_1) | instskip(SKIP_1) | instid1(VALU_DEP_2)
	v_bfe_u32 v3, v1, 16, 1
	v_cmp_o_f32_e32 vcc_lo, v1, v1
	v_add3_u32 v3, v1, v3, 0x7fff
	s_delay_alu instid0(VALU_DEP_1) | instskip(NEXT) | instid1(VALU_DEP_1)
	v_lshrrev_b32_e32 v3, 16, v3
	v_cndmask_b32_e32 v1, 0x7fc0, v3, vcc_lo
	s_branch .LBB167_2346
.LBB167_2338:
	s_mov_b32 s0, -1
                                        ; implicit-def: $vgpr1
	s_branch .LBB167_2349
.LBB167_2339:
	s_mov_b32 s0, -1
.LBB167_2340:
                                        ; implicit-def: $vgpr1
.LBB167_2341:
	s_and_b32 vcc_lo, exec_lo, s17
	s_mov_b32 s17, 0
	s_cbranch_vccz .LBB167_2343
; %bb.2342:
	s_cmp_lg_u32 s15, 11
	s_mov_b32 s17, -1
	s_cselect_b32 s0, -1, 0
.LBB167_2343:
	v_mov_b32_e32 v3, 0
	s_and_b32 vcc_lo, exec_lo, s0
	s_cbranch_vccz .LBB167_2297
.LBB167_2344:
	s_or_b32 s1, s1, exec_lo
	s_trap 2
	s_cbranch_execz .LBB167_2298
	s_branch .LBB167_2299
.LBB167_2345:
	s_mov_b32 s0, -1
                                        ; implicit-def: $vgpr1
.LBB167_2346:
	s_delay_alu instid0(SALU_CYCLE_1)
	s_and_not1_b32 vcc_lo, exec_lo, s0
	s_cbranch_vccnz .LBB167_2348
; %bb.2347:
	s_wait_loadcnt 0x0
	global_load_b32 v1, v[14:15], off
	s_wait_loadcnt 0x0
	v_bfe_u32 v3, v1, 16, 1
	v_cmp_o_f32_e32 vcc_lo, v1, v1
	s_delay_alu instid0(VALU_DEP_2) | instskip(NEXT) | instid1(VALU_DEP_1)
	v_add3_u32 v3, v1, v3, 0x7fff
	v_lshrrev_b32_e32 v3, 16, v3
	s_delay_alu instid0(VALU_DEP_1)
	v_cndmask_b32_e32 v1, 0x7fc0, v3, vcc_lo
.LBB167_2348:
	s_mov_b32 s0, 0
.LBB167_2349:
	s_delay_alu instid0(SALU_CYCLE_1)
	s_and_not1_b32 vcc_lo, exec_lo, s0
	s_cbranch_vccnz .LBB167_2351
; %bb.2350:
	s_wait_loadcnt 0x0
	global_load_u16 v1, v[14:15], off
	s_wait_loadcnt 0x0
	v_cvt_f32_f16_e32 v3, v1
	v_cmp_o_f16_e32 vcc_lo, v1, v1
	s_delay_alu instid0(VALU_DEP_2) | instskip(NEXT) | instid1(VALU_DEP_1)
	v_bfe_u32 v5, v3, 16, 1
	v_add3_u32 v3, v3, v5, 0x7fff
	s_delay_alu instid0(VALU_DEP_1) | instskip(NEXT) | instid1(VALU_DEP_1)
	v_lshrrev_b32_e32 v3, 16, v3
	v_cndmask_b32_e32 v1, 0x7fc0, v3, vcc_lo
.LBB167_2351:
	v_mov_b32_e32 v3, 0
.LBB167_2352:
	s_mov_b32 s0, 0
.LBB167_2353:
	s_delay_alu instid0(SALU_CYCLE_1)
	s_and_not1_b32 vcc_lo, exec_lo, s0
	s_cbranch_vccnz .LBB167_2374
; %bb.2354:
	s_cmp_lt_i32 s15, 2
	s_cbranch_scc1 .LBB167_2358
; %bb.2355:
	s_cmp_lt_i32 s15, 3
	s_cbranch_scc1 .LBB167_2359
; %bb.2356:
	s_cmp_gt_i32 s15, 3
	s_cbranch_scc0 .LBB167_2360
; %bb.2357:
	global_load_b64 v[16:17], v[14:15], off
	s_mov_b32 s0, 0
	s_wait_loadcnt 0x0
	v_xor_b32_e32 v1, v16, v17
	v_cls_i32_e32 v3, v17
	s_delay_alu instid0(VALU_DEP_2) | instskip(NEXT) | instid1(VALU_DEP_1)
	v_ashrrev_i32_e32 v1, 31, v1
	v_add_nc_u32_e32 v1, 32, v1
	s_delay_alu instid0(VALU_DEP_1) | instskip(NEXT) | instid1(VALU_DEP_1)
	v_add_min_u32_e64 v1, v3, -1, v1
	v_lshlrev_b64_e32 v[16:17], v1, v[16:17]
	v_sub_nc_u32_e32 v1, 32, v1
	s_delay_alu instid0(VALU_DEP_2) | instskip(NEXT) | instid1(VALU_DEP_1)
	v_min_u32_e32 v3, 1, v16
	v_or_b32_e32 v3, v17, v3
	s_delay_alu instid0(VALU_DEP_1) | instskip(NEXT) | instid1(VALU_DEP_1)
	v_cvt_f32_i32_e32 v3, v3
	v_ldexp_f32 v1, v3, v1
	s_delay_alu instid0(VALU_DEP_1) | instskip(NEXT) | instid1(VALU_DEP_1)
	v_bfe_u32 v3, v1, 16, 1
	v_add3_u32 v1, v1, v3, 0x7fff
	s_delay_alu instid0(VALU_DEP_1)
	v_lshrrev_b32_e32 v1, 16, v1
	s_branch .LBB167_2361
.LBB167_2358:
	s_mov_b32 s0, -1
                                        ; implicit-def: $vgpr1
	s_branch .LBB167_2367
.LBB167_2359:
	s_mov_b32 s0, -1
                                        ; implicit-def: $vgpr1
	s_branch .LBB167_2364
.LBB167_2360:
	s_mov_b32 s0, -1
                                        ; implicit-def: $vgpr1
.LBB167_2361:
	s_delay_alu instid0(SALU_CYCLE_1)
	s_and_not1_b32 vcc_lo, exec_lo, s0
	s_cbranch_vccnz .LBB167_2363
; %bb.2362:
	s_wait_loadcnt 0x0
	global_load_b32 v1, v[14:15], off
	s_wait_loadcnt 0x0
	v_cvt_f32_i32_e32 v1, v1
	s_delay_alu instid0(VALU_DEP_1) | instskip(NEXT) | instid1(VALU_DEP_1)
	v_bfe_u32 v3, v1, 16, 1
	v_add3_u32 v1, v1, v3, 0x7fff
	s_delay_alu instid0(VALU_DEP_1)
	v_lshrrev_b32_e32 v1, 16, v1
.LBB167_2363:
	s_mov_b32 s0, 0
.LBB167_2364:
	s_delay_alu instid0(SALU_CYCLE_1)
	s_and_not1_b32 vcc_lo, exec_lo, s0
	s_cbranch_vccnz .LBB167_2366
; %bb.2365:
	s_wait_loadcnt 0x0
	global_load_i16 v1, v[14:15], off
	s_wait_loadcnt 0x0
	v_cvt_f32_i32_e32 v1, v1
	s_delay_alu instid0(VALU_DEP_1) | instskip(NEXT) | instid1(VALU_DEP_1)
	v_bfe_u32 v3, v1, 16, 1
	v_add3_u32 v1, v1, v3, 0x7fff
	s_delay_alu instid0(VALU_DEP_1)
	v_lshrrev_b32_e32 v1, 16, v1
.LBB167_2366:
	s_mov_b32 s0, 0
.LBB167_2367:
	s_delay_alu instid0(SALU_CYCLE_1)
	s_and_not1_b32 vcc_lo, exec_lo, s0
	s_cbranch_vccnz .LBB167_2373
; %bb.2368:
	s_cmp_gt_i32 s15, 0
	s_mov_b32 s0, 0
	s_cbranch_scc0 .LBB167_2370
; %bb.2369:
	s_wait_loadcnt 0x0
	global_load_i8 v1, v[14:15], off
	s_wait_loadcnt 0x0
	v_cvt_f32_i32_e32 v1, v1
	s_delay_alu instid0(VALU_DEP_1) | instskip(NEXT) | instid1(VALU_DEP_1)
	v_bfe_u32 v3, v1, 16, 1
	v_add3_u32 v1, v1, v3, 0x7fff
	s_delay_alu instid0(VALU_DEP_1)
	v_lshrrev_b32_e32 v1, 16, v1
	s_branch .LBB167_2371
.LBB167_2370:
	s_mov_b32 s0, -1
                                        ; implicit-def: $vgpr1
.LBB167_2371:
	s_delay_alu instid0(SALU_CYCLE_1)
	s_and_not1_b32 vcc_lo, exec_lo, s0
	s_cbranch_vccnz .LBB167_2373
; %bb.2372:
	s_wait_loadcnt 0x0
	global_load_u8 v1, v[14:15], off
	s_wait_loadcnt 0x0
	v_cvt_f32_ubyte0_e32 v1, v1
	s_delay_alu instid0(VALU_DEP_1) | instskip(NEXT) | instid1(VALU_DEP_1)
	v_bfe_u32 v3, v1, 16, 1
	v_add3_u32 v1, v1, v3, 0x7fff
	s_delay_alu instid0(VALU_DEP_1)
	v_lshrrev_b32_e32 v1, 16, v1
.LBB167_2373:
	v_mov_b32_e32 v3, 0
.LBB167_2374:
	s_mov_b32 s18, -1
.LBB167_2375:
	s_delay_alu instid0(SALU_CYCLE_1)
	s_and_not1_b32 vcc_lo, exec_lo, s18
	s_cbranch_vccnz .LBB167_2793
; %bb.2376:
	v_mov_b32_e32 v13, 0
	s_cmp_lt_i32 s16, 11
	s_delay_alu instid0(VALU_DEP_1)
	v_add_nc_u64_e32 v[12:13], s[8:9], v[12:13]
	s_cbranch_scc1 .LBB167_2383
; %bb.2377:
	s_cmp_gt_i32 s16, 25
	s_mov_b32 s17, 0
	s_cbranch_scc0 .LBB167_2384
; %bb.2378:
	s_cmp_gt_i32 s16, 28
	s_cbranch_scc0 .LBB167_2385
; %bb.2379:
	s_cmp_gt_i32 s16, 43
	;; [unrolled: 3-line block ×3, first 2 shown]
	s_cbranch_scc0 .LBB167_2387
; %bb.2381:
	s_cmp_eq_u32 s16, 46
	s_mov_b32 s19, 0
	s_cbranch_scc0 .LBB167_2390
; %bb.2382:
	global_load_b32 v5, v[12:13], off
	s_mov_b32 s0, 0
	s_mov_b32 s18, -1
	s_wait_loadcnt 0x0
	v_and_b32_e32 v7, 0xffff0000, v5
	s_branch .LBB167_2392
.LBB167_2383:
	s_mov_b32 s0, -1
	s_mov_b32 s18, 0
                                        ; implicit-def: $vgpr7
                                        ; implicit-def: $vgpr5
	s_branch .LBB167_2438
.LBB167_2384:
	s_mov_b32 s19, -1
	s_mov_b32 s18, 0
	s_mov_b32 s0, 0
                                        ; implicit-def: $vgpr7
                                        ; implicit-def: $vgpr5
	s_branch .LBB167_2423
.LBB167_2385:
	s_mov_b32 s19, -1
	s_mov_b32 s18, 0
	s_mov_b32 s0, 0
                                        ; implicit-def: $vgpr7
                                        ; implicit-def: $vgpr5
	s_branch .LBB167_2404
.LBB167_2386:
	s_mov_b32 s19, -1
	s_mov_b32 s18, 0
	s_mov_b32 s0, 0
                                        ; implicit-def: $vgpr7
                                        ; implicit-def: $vgpr5
	s_branch .LBB167_2398
.LBB167_2387:
	s_mov_b32 s19, -1
	s_mov_b32 s18, 0
	s_mov_b32 s0, 0
	s_branch .LBB167_2391
.LBB167_2388:
	s_and_not1_saveexec_b32 s53, s53
	s_cbranch_execz .LBB167_1164
.LBB167_2389:
	v_add_f32_e32 v1, 0x42800000, v4
	s_and_not1_b32 s52, s52, exec_lo
	s_delay_alu instid0(VALU_DEP_1) | instskip(NEXT) | instid1(VALU_DEP_1)
	v_and_b32_e32 v1, 0xff, v1
	v_cmp_ne_u32_e32 vcc_lo, 0, v1
	s_and_b32 s54, vcc_lo, exec_lo
	s_delay_alu instid0(SALU_CYCLE_1)
	s_or_b32 s52, s52, s54
	s_or_b32 exec_lo, exec_lo, s53
	v_mov_b32_e32 v5, 0
	s_and_saveexec_b32 s53, s52
	s_cbranch_execnz .LBB167_1165
	s_branch .LBB167_1166
.LBB167_2390:
	s_mov_b32 s0, -1
	s_mov_b32 s18, 0
.LBB167_2391:
                                        ; implicit-def: $vgpr7
                                        ; implicit-def: $vgpr5
.LBB167_2392:
	s_and_b32 vcc_lo, exec_lo, s19
	s_cbranch_vccz .LBB167_2397
; %bb.2393:
	s_cmp_eq_u32 s16, 44
	s_cbranch_scc0 .LBB167_2395
; %bb.2394:
	global_load_u8 v5, v[12:13], off
	s_mov_b32 s0, 0
	s_mov_b32 s18, -1
	s_wait_loadcnt 0x0
	v_lshlrev_b32_e32 v7, 23, v5
	v_cmp_ne_u32_e32 vcc_lo, 0xff, v5
	s_delay_alu instid0(VALU_DEP_2) | instskip(SKIP_1) | instid1(VALU_DEP_2)
	v_cndmask_b32_e32 v7, 0x7f800001, v7, vcc_lo
	v_cmp_ne_u32_e32 vcc_lo, 0, v5
	v_cndmask_b32_e32 v5, 0x400000, v7, vcc_lo
	s_delay_alu instid0(VALU_DEP_1) | instskip(SKIP_1) | instid1(VALU_DEP_2)
	v_add_nc_u32_e32 v7, 0x7fff, v5
	v_cmp_o_f32_e32 vcc_lo, v5, v5
	v_lshrrev_b32_e32 v7, 16, v7
	s_delay_alu instid0(VALU_DEP_1)
	v_cndmask_b32_e32 v5, 0x7fc0, v7, vcc_lo
	s_branch .LBB167_2396
.LBB167_2395:
	s_mov_b32 s0, -1
                                        ; implicit-def: $vgpr5
.LBB167_2396:
	v_mov_b32_e32 v7, 0
.LBB167_2397:
	s_mov_b32 s19, 0
.LBB167_2398:
	s_delay_alu instid0(SALU_CYCLE_1)
	s_and_b32 vcc_lo, exec_lo, s19
	s_cbranch_vccz .LBB167_2403
; %bb.2399:
	s_cmp_eq_u32 s16, 29
	s_cbranch_scc0 .LBB167_2401
; %bb.2400:
	global_load_b64 v[14:15], v[12:13], off
	s_mov_b32 s0, 0
	s_mov_b32 s18, -1
	s_wait_loadcnt 0x0
	v_clz_i32_u32_e32 v5, v15
	s_delay_alu instid0(VALU_DEP_1) | instskip(NEXT) | instid1(VALU_DEP_1)
	v_min_u32_e32 v5, 32, v5
	v_lshlrev_b64_e32 v[14:15], v5, v[14:15]
	v_sub_nc_u32_e32 v5, 32, v5
	s_delay_alu instid0(VALU_DEP_2) | instskip(NEXT) | instid1(VALU_DEP_1)
	v_min_u32_e32 v7, 1, v14
	v_or_b32_e32 v7, v15, v7
	s_delay_alu instid0(VALU_DEP_1) | instskip(NEXT) | instid1(VALU_DEP_1)
	v_cvt_f32_u32_e32 v7, v7
	v_ldexp_f32 v5, v7, v5
	s_delay_alu instid0(VALU_DEP_1) | instskip(NEXT) | instid1(VALU_DEP_1)
	v_bfe_u32 v7, v5, 16, 1
	v_add3_u32 v5, v5, v7, 0x7fff
	s_delay_alu instid0(VALU_DEP_1)
	v_lshrrev_b32_e32 v5, 16, v5
	s_branch .LBB167_2402
.LBB167_2401:
	s_mov_b32 s0, -1
                                        ; implicit-def: $vgpr5
.LBB167_2402:
	v_mov_b32_e32 v7, 0
.LBB167_2403:
	s_mov_b32 s19, 0
.LBB167_2404:
	s_delay_alu instid0(SALU_CYCLE_1)
	s_and_b32 vcc_lo, exec_lo, s19
	s_cbranch_vccz .LBB167_2422
; %bb.2405:
	s_cmp_lt_i32 s16, 27
	s_cbranch_scc1 .LBB167_2408
; %bb.2406:
	s_cmp_gt_i32 s16, 27
	s_cbranch_scc0 .LBB167_2409
; %bb.2407:
	global_load_b32 v5, v[12:13], off
	s_mov_b32 s18, 0
	s_wait_loadcnt 0x0
	v_cvt_f32_u32_e32 v5, v5
	s_delay_alu instid0(VALU_DEP_1) | instskip(NEXT) | instid1(VALU_DEP_1)
	v_bfe_u32 v7, v5, 16, 1
	v_add3_u32 v5, v5, v7, 0x7fff
	s_delay_alu instid0(VALU_DEP_1)
	v_lshrrev_b32_e32 v5, 16, v5
	s_branch .LBB167_2410
.LBB167_2408:
	s_mov_b32 s18, -1
                                        ; implicit-def: $vgpr5
	s_branch .LBB167_2413
.LBB167_2409:
	s_mov_b32 s18, -1
                                        ; implicit-def: $vgpr5
.LBB167_2410:
	s_delay_alu instid0(SALU_CYCLE_1)
	s_and_not1_b32 vcc_lo, exec_lo, s18
	s_cbranch_vccnz .LBB167_2412
; %bb.2411:
	global_load_u16 v5, v[12:13], off
	s_wait_loadcnt 0x0
	v_cvt_f32_u32_e32 v5, v5
	s_delay_alu instid0(VALU_DEP_1) | instskip(NEXT) | instid1(VALU_DEP_1)
	v_bfe_u32 v7, v5, 16, 1
	v_add3_u32 v5, v5, v7, 0x7fff
	s_delay_alu instid0(VALU_DEP_1)
	v_lshrrev_b32_e32 v5, 16, v5
.LBB167_2412:
	s_mov_b32 s18, 0
.LBB167_2413:
	s_delay_alu instid0(SALU_CYCLE_1)
	s_and_not1_b32 vcc_lo, exec_lo, s18
	s_cbranch_vccnz .LBB167_2421
; %bb.2414:
	global_load_u8 v5, v[12:13], off
	s_mov_b32 s18, 0
	s_mov_b32 s19, exec_lo
	s_wait_loadcnt 0x0
	v_cmpx_lt_i16_e32 0x7f, v5
	s_xor_b32 s19, exec_lo, s19
	s_cbranch_execz .LBB167_2447
; %bb.2415:
	s_mov_b32 s18, -1
	s_mov_b32 s20, exec_lo
	v_cmpx_eq_u16_e32 0x80, v5
; %bb.2416:
	s_xor_b32 s18, exec_lo, -1
; %bb.2417:
	s_or_b32 exec_lo, exec_lo, s20
	s_delay_alu instid0(SALU_CYCLE_1)
	s_and_b32 s18, s18, exec_lo
	s_or_saveexec_b32 s19, s19
	v_mov_b32_e32 v7, 0x7f800001
	s_xor_b32 exec_lo, exec_lo, s19
	s_cbranch_execnz .LBB167_2448
.LBB167_2418:
	s_or_b32 exec_lo, exec_lo, s19
	s_and_saveexec_b32 s19, s18
	s_cbranch_execz .LBB167_2420
.LBB167_2419:
	v_and_b32_e32 v7, 0xffff, v5
	s_delay_alu instid0(VALU_DEP_1) | instskip(SKIP_1) | instid1(VALU_DEP_2)
	v_dual_lshlrev_b32 v5, 24, v5 :: v_dual_bitop2_b32 v9, 7, v7 bitop3:0x40
	v_bfe_u32 v15, v7, 3, 4
	v_and_b32_e32 v5, 0x80000000, v5
	s_delay_alu instid0(VALU_DEP_3) | instskip(NEXT) | instid1(VALU_DEP_3)
	v_clz_i32_u32_e32 v11, v9
	v_cmp_eq_u32_e32 vcc_lo, 0, v15
	s_delay_alu instid0(VALU_DEP_2) | instskip(NEXT) | instid1(VALU_DEP_1)
	v_min_u32_e32 v11, 32, v11
	v_subrev_nc_u32_e32 v14, 28, v11
	v_sub_nc_u32_e32 v11, 29, v11
	s_delay_alu instid0(VALU_DEP_2) | instskip(NEXT) | instid1(VALU_DEP_2)
	v_lshlrev_b32_e32 v7, v14, v7
	v_cndmask_b32_e32 v11, v15, v11, vcc_lo
	s_delay_alu instid0(VALU_DEP_2) | instskip(NEXT) | instid1(VALU_DEP_1)
	v_and_b32_e32 v7, 7, v7
	v_cndmask_b32_e32 v7, v9, v7, vcc_lo
	s_delay_alu instid0(VALU_DEP_3) | instskip(NEXT) | instid1(VALU_DEP_2)
	v_lshl_add_u32 v9, v11, 23, 0x3b800000
	v_lshlrev_b32_e32 v7, 20, v7
	s_delay_alu instid0(VALU_DEP_1)
	v_or3_b32 v7, v5, v9, v7
.LBB167_2420:
	s_or_b32 exec_lo, exec_lo, s19
	s_delay_alu instid0(VALU_DEP_1) | instskip(SKIP_1) | instid1(VALU_DEP_2)
	v_bfe_u32 v5, v7, 16, 1
	v_cmp_o_f32_e32 vcc_lo, v7, v7
	v_add3_u32 v5, v7, v5, 0x7fff
	s_delay_alu instid0(VALU_DEP_1) | instskip(NEXT) | instid1(VALU_DEP_1)
	v_lshrrev_b32_e32 v5, 16, v5
	v_cndmask_b32_e32 v5, 0x7fc0, v5, vcc_lo
.LBB167_2421:
	v_mov_b32_e32 v7, 0
	s_mov_b32 s18, -1
.LBB167_2422:
	s_mov_b32 s19, 0
.LBB167_2423:
	s_delay_alu instid0(SALU_CYCLE_1)
	s_and_b32 vcc_lo, exec_lo, s19
	s_cbranch_vccz .LBB167_2434
; %bb.2424:
	s_cmp_gt_i32 s16, 22
	s_cbranch_scc0 .LBB167_2445
; %bb.2425:
	s_cmp_lt_i32 s16, 24
	s_cbranch_scc1 .LBB167_2449
; %bb.2426:
	s_cmp_gt_i32 s16, 24
	s_cbranch_scc0 .LBB167_2451
; %bb.2427:
	global_load_u8 v5, v[12:13], off
	s_mov_b32 s18, exec_lo
	s_wait_loadcnt 0x0
	v_cmpx_lt_i16_e32 0x7f, v5
	s_xor_b32 s18, exec_lo, s18
	s_cbranch_execz .LBB167_2463
; %bb.2428:
	s_mov_b32 s17, -1
	s_mov_b32 s19, exec_lo
	v_cmpx_eq_u16_e32 0x80, v5
; %bb.2429:
	s_xor_b32 s17, exec_lo, -1
; %bb.2430:
	s_or_b32 exec_lo, exec_lo, s19
	s_delay_alu instid0(SALU_CYCLE_1)
	s_and_b32 s17, s17, exec_lo
	s_or_saveexec_b32 s18, s18
	v_mov_b32_e32 v7, 0x7f800001
	s_xor_b32 exec_lo, exec_lo, s18
	s_cbranch_execnz .LBB167_2464
.LBB167_2431:
	s_or_b32 exec_lo, exec_lo, s18
	s_and_saveexec_b32 s18, s17
	s_cbranch_execz .LBB167_2433
.LBB167_2432:
	v_and_b32_e32 v7, 0xffff, v5
	s_delay_alu instid0(VALU_DEP_1) | instskip(SKIP_1) | instid1(VALU_DEP_2)
	v_dual_lshlrev_b32 v5, 24, v5 :: v_dual_bitop2_b32 v9, 3, v7 bitop3:0x40
	v_bfe_u32 v15, v7, 2, 5
	v_and_b32_e32 v5, 0x80000000, v5
	s_delay_alu instid0(VALU_DEP_3) | instskip(NEXT) | instid1(VALU_DEP_3)
	v_clz_i32_u32_e32 v11, v9
	v_cmp_eq_u32_e32 vcc_lo, 0, v15
	s_delay_alu instid0(VALU_DEP_2) | instskip(NEXT) | instid1(VALU_DEP_1)
	v_min_u32_e32 v11, 32, v11
	v_subrev_nc_u32_e32 v14, 29, v11
	v_sub_nc_u32_e32 v11, 30, v11
	s_delay_alu instid0(VALU_DEP_2) | instskip(NEXT) | instid1(VALU_DEP_2)
	v_lshlrev_b32_e32 v7, v14, v7
	v_cndmask_b32_e32 v11, v15, v11, vcc_lo
	s_delay_alu instid0(VALU_DEP_2) | instskip(NEXT) | instid1(VALU_DEP_1)
	v_and_b32_e32 v7, 3, v7
	v_cndmask_b32_e32 v7, v9, v7, vcc_lo
	s_delay_alu instid0(VALU_DEP_3) | instskip(NEXT) | instid1(VALU_DEP_2)
	v_lshl_add_u32 v9, v11, 23, 0x37800000
	v_lshlrev_b32_e32 v7, 21, v7
	s_delay_alu instid0(VALU_DEP_1)
	v_or3_b32 v7, v5, v9, v7
.LBB167_2433:
	s_or_b32 exec_lo, exec_lo, s18
	s_delay_alu instid0(VALU_DEP_1) | instskip(SKIP_2) | instid1(VALU_DEP_2)
	v_bfe_u32 v5, v7, 16, 1
	v_cmp_o_f32_e32 vcc_lo, v7, v7
	s_mov_b32 s17, 0
	v_add3_u32 v5, v7, v5, 0x7fff
	s_delay_alu instid0(VALU_DEP_1) | instskip(NEXT) | instid1(VALU_DEP_1)
	v_lshrrev_b32_e32 v5, 16, v5
	v_cndmask_b32_e32 v5, 0x7fc0, v5, vcc_lo
	s_branch .LBB167_2452
.LBB167_2434:
	s_and_b32 vcc_lo, exec_lo, s0
	s_cbranch_vccnz .LBB167_2482
.LBB167_2435:
	s_and_not1_b32 vcc_lo, exec_lo, s17
	s_cbranch_vccnz .LBB167_2437
.LBB167_2436:
	s_wait_loadcnt 0x0
	global_load_u8 v5, v[12:13], off
	s_mov_b32 s18, -1
	v_mov_b32_e32 v7, 0
	s_wait_loadcnt 0x0
	v_cmp_ne_u16_e32 vcc_lo, 0, v5
	v_cndmask_b32_e64 v5, 0, 1.0, vcc_lo
	s_delay_alu instid0(VALU_DEP_1)
	v_lshrrev_b32_e32 v5, 16, v5
.LBB167_2437:
	s_mov_b32 s0, 0
.LBB167_2438:
	s_delay_alu instid0(SALU_CYCLE_1)
	s_and_b32 vcc_lo, exec_lo, s0
	s_cbranch_vccz .LBB167_2513
; %bb.2439:
	s_cmp_lt_i32 s16, 5
	s_cbranch_scc1 .LBB167_2444
; %bb.2440:
	s_cmp_lt_i32 s16, 8
	s_cbranch_scc1 .LBB167_2446
	;; [unrolled: 3-line block ×3, first 2 shown]
; %bb.2442:
	s_cmp_gt_i32 s16, 9
	s_cbranch_scc0 .LBB167_2465
; %bb.2443:
	global_load_b128 v[14:17], v[12:13], off
	s_mov_b32 s0, 0
	s_wait_loadcnt 0x0
	v_cvt_f32_f64_e32 v5, v[14:15]
	v_cvt_f32_f64_e32 v7, v[16:17]
	s_delay_alu instid0(VALU_DEP_2) | instskip(NEXT) | instid1(VALU_DEP_2)
	v_bfe_u32 v9, v5, 16, 1
	v_bfe_u32 v11, v7, 16, 1
	v_cmp_o_f32_e32 vcc_lo, v5, v5
	s_delay_alu instid0(VALU_DEP_3) | instskip(NEXT) | instid1(VALU_DEP_3)
	v_add3_u32 v9, v5, v9, 0x7fff
	v_add3_u32 v11, v7, v11, 0x7fff
	s_delay_alu instid0(VALU_DEP_2) | instskip(NEXT) | instid1(VALU_DEP_2)
	v_lshrrev_b32_e32 v9, 16, v9
	v_and_b32_e32 v11, 0xffff0000, v11
	s_delay_alu instid0(VALU_DEP_2) | instskip(SKIP_1) | instid1(VALU_DEP_3)
	v_cndmask_b32_e32 v5, 0x7fc0, v9, vcc_lo
	v_cmp_o_f32_e32 vcc_lo, v7, v7
	v_cndmask_b32_e32 v7, 0x7fc00000, v11, vcc_lo
	s_branch .LBB167_2466
.LBB167_2444:
	s_mov_b32 s0, -1
                                        ; implicit-def: $vgpr7
                                        ; implicit-def: $vgpr5
	s_branch .LBB167_2491
.LBB167_2445:
	s_mov_b32 s17, -1
                                        ; implicit-def: $vgpr5
	s_branch .LBB167_2458
.LBB167_2446:
	s_mov_b32 s0, -1
                                        ; implicit-def: $vgpr7
                                        ; implicit-def: $vgpr5
	s_branch .LBB167_2472
.LBB167_2447:
	s_or_saveexec_b32 s19, s19
	v_mov_b32_e32 v7, 0x7f800001
	s_xor_b32 exec_lo, exec_lo, s19
	s_cbranch_execz .LBB167_2418
.LBB167_2448:
	v_cmp_ne_u16_e32 vcc_lo, 0, v5
	v_mov_b32_e32 v7, 0
	s_and_not1_b32 s18, s18, exec_lo
	s_and_b32 s20, vcc_lo, exec_lo
	s_delay_alu instid0(SALU_CYCLE_1)
	s_or_b32 s18, s18, s20
	s_or_b32 exec_lo, exec_lo, s19
	s_and_saveexec_b32 s19, s18
	s_cbranch_execnz .LBB167_2419
	s_branch .LBB167_2420
.LBB167_2449:
	s_mov_b32 s17, -1
                                        ; implicit-def: $vgpr5
	s_branch .LBB167_2455
.LBB167_2450:
	s_mov_b32 s0, -1
                                        ; implicit-def: $vgpr7
                                        ; implicit-def: $vgpr5
	s_branch .LBB167_2469
.LBB167_2451:
	s_mov_b32 s17, -1
                                        ; implicit-def: $vgpr5
.LBB167_2452:
	s_delay_alu instid0(SALU_CYCLE_1)
	s_and_b32 vcc_lo, exec_lo, s17
	s_cbranch_vccz .LBB167_2454
; %bb.2453:
	global_load_u8 v5, v[12:13], off
	s_wait_loadcnt 0x0
	v_lshlrev_b32_e32 v5, 24, v5
	s_delay_alu instid0(VALU_DEP_1) | instskip(NEXT) | instid1(VALU_DEP_1)
	v_and_b32_e32 v7, 0x7f000000, v5
	v_clz_i32_u32_e32 v9, v7
	v_cmp_ne_u32_e32 vcc_lo, 0, v7
	s_wait_xcnt 0x1
	v_add_nc_u32_e32 v14, 0x1000000, v7
	s_delay_alu instid0(VALU_DEP_3) | instskip(NEXT) | instid1(VALU_DEP_1)
	v_min_u32_e32 v9, 32, v9
	v_sub_nc_u32_e64 v9, v9, 4 clamp
	s_delay_alu instid0(VALU_DEP_1) | instskip(NEXT) | instid1(VALU_DEP_1)
	v_dual_lshlrev_b32 v11, v9, v7 :: v_dual_lshlrev_b32 v9, 23, v9
	v_lshrrev_b32_e32 v11, 4, v11
	s_delay_alu instid0(VALU_DEP_1) | instskip(NEXT) | instid1(VALU_DEP_1)
	v_dual_sub_nc_u32 v9, v11, v9 :: v_dual_ashrrev_i32 v11, 8, v14
	v_add_nc_u32_e32 v9, 0x3c000000, v9
	s_delay_alu instid0(VALU_DEP_1) | instskip(NEXT) | instid1(VALU_DEP_1)
	v_and_or_b32 v9, 0x7f800000, v11, v9
	v_cndmask_b32_e32 v7, 0, v9, vcc_lo
	s_delay_alu instid0(VALU_DEP_1) | instskip(SKIP_1) | instid1(VALU_DEP_2)
	v_and_or_b32 v5, 0x80000000, v5, v7
	v_bfe_u32 v7, v7, 16, 1
	v_cmp_o_f32_e32 vcc_lo, v5, v5
	s_delay_alu instid0(VALU_DEP_2) | instskip(NEXT) | instid1(VALU_DEP_1)
	v_add3_u32 v7, v5, v7, 0x7fff
	v_lshrrev_b32_e32 v7, 16, v7
	s_delay_alu instid0(VALU_DEP_1)
	v_cndmask_b32_e32 v5, 0x7fc0, v7, vcc_lo
.LBB167_2454:
	s_mov_b32 s17, 0
.LBB167_2455:
	s_delay_alu instid0(SALU_CYCLE_1)
	s_and_not1_b32 vcc_lo, exec_lo, s17
	s_cbranch_vccnz .LBB167_2457
; %bb.2456:
	global_load_u8 v5, v[12:13], off
	s_wait_loadcnt 0x0
	v_lshlrev_b32_e32 v7, 25, v5
	v_lshlrev_b16 v5, 8, v5
	s_delay_alu instid0(VALU_DEP_1) | instskip(SKIP_1) | instid1(VALU_DEP_2)
	v_and_or_b32 v11, 0x7f00, v5, 0.5
	v_bfe_i32 v5, v5, 0, 16
	v_add_f32_e32 v11, -0.5, v11
	v_lshrrev_b32_e32 v9, 4, v7
	v_cmp_gt_u32_e32 vcc_lo, 0x8000000, v7
	s_delay_alu instid0(VALU_DEP_2) | instskip(NEXT) | instid1(VALU_DEP_1)
	v_or_b32_e32 v9, 0x70000000, v9
	v_mul_f32_e32 v9, 0x7800000, v9
	s_delay_alu instid0(VALU_DEP_1) | instskip(NEXT) | instid1(VALU_DEP_1)
	v_cndmask_b32_e32 v7, v9, v11, vcc_lo
	v_and_or_b32 v5, 0x80000000, v5, v7
	v_bfe_u32 v7, v7, 16, 1
	s_delay_alu instid0(VALU_DEP_2) | instskip(NEXT) | instid1(VALU_DEP_2)
	v_cmp_o_f32_e32 vcc_lo, v5, v5
	v_add3_u32 v7, v5, v7, 0x7fff
	s_delay_alu instid0(VALU_DEP_1) | instskip(NEXT) | instid1(VALU_DEP_1)
	v_lshrrev_b32_e32 v7, 16, v7
	v_cndmask_b32_e32 v5, 0x7fc0, v7, vcc_lo
.LBB167_2457:
	s_mov_b32 s17, 0
	s_mov_b32 s18, -1
.LBB167_2458:
	s_and_not1_b32 vcc_lo, exec_lo, s17
	s_mov_b32 s17, 0
	s_cbranch_vccnz .LBB167_2481
; %bb.2459:
	s_cmp_gt_i32 s16, 14
	s_cbranch_scc0 .LBB167_2462
; %bb.2460:
	s_cmp_eq_u32 s16, 15
	s_cbranch_scc0 .LBB167_2477
; %bb.2461:
	global_load_u16 v5, v[12:13], off
	s_mov_b32 s0, 0
	s_mov_b32 s18, -1
	s_branch .LBB167_2479
.LBB167_2462:
	s_mov_b32 s17, -1
	s_branch .LBB167_2478
.LBB167_2463:
	s_or_saveexec_b32 s18, s18
	v_mov_b32_e32 v7, 0x7f800001
	s_xor_b32 exec_lo, exec_lo, s18
	s_cbranch_execz .LBB167_2431
.LBB167_2464:
	v_cmp_ne_u16_e32 vcc_lo, 0, v5
	v_mov_b32_e32 v7, 0
	s_and_not1_b32 s17, s17, exec_lo
	s_and_b32 s19, vcc_lo, exec_lo
	s_delay_alu instid0(SALU_CYCLE_1)
	s_or_b32 s17, s17, s19
	s_or_b32 exec_lo, exec_lo, s18
	s_and_saveexec_b32 s18, s17
	s_cbranch_execnz .LBB167_2432
	s_branch .LBB167_2433
.LBB167_2465:
	s_mov_b32 s0, -1
                                        ; implicit-def: $vgpr7
                                        ; implicit-def: $vgpr5
.LBB167_2466:
	s_delay_alu instid0(SALU_CYCLE_1)
	s_and_not1_b32 vcc_lo, exec_lo, s0
	s_cbranch_vccnz .LBB167_2468
; %bb.2467:
	global_load_b64 v[14:15], v[12:13], off
	s_wait_loadcnt 0x0
	v_bfe_u32 v5, v14, 16, 1
	v_bfe_u32 v7, v15, 16, 1
	v_cmp_o_f32_e32 vcc_lo, v14, v14
	s_delay_alu instid0(VALU_DEP_3) | instskip(NEXT) | instid1(VALU_DEP_3)
	v_add3_u32 v5, v14, v5, 0x7fff
	v_add3_u32 v7, v15, v7, 0x7fff
	s_delay_alu instid0(VALU_DEP_2) | instskip(NEXT) | instid1(VALU_DEP_2)
	v_lshrrev_b32_e32 v5, 16, v5
	v_and_b32_e32 v7, 0xffff0000, v7
	s_delay_alu instid0(VALU_DEP_2) | instskip(SKIP_1) | instid1(VALU_DEP_3)
	v_cndmask_b32_e32 v5, 0x7fc0, v5, vcc_lo
	v_cmp_o_f32_e32 vcc_lo, v15, v15
	v_cndmask_b32_e32 v7, 0x7fc00000, v7, vcc_lo
.LBB167_2468:
	s_mov_b32 s0, 0
.LBB167_2469:
	s_delay_alu instid0(SALU_CYCLE_1)
	s_and_not1_b32 vcc_lo, exec_lo, s0
	s_cbranch_vccnz .LBB167_2471
; %bb.2470:
	s_wait_loadcnt 0x0
	global_load_b32 v5, v[12:13], off
	s_wait_loadcnt 0x0
	v_lshrrev_b32_e32 v7, 16, v5
	v_cvt_f32_f16_e32 v9, v5
	v_cmp_o_f16_e32 vcc_lo, v5, v5
	s_delay_alu instid0(VALU_DEP_3) | instskip(SKIP_1) | instid1(VALU_DEP_3)
	v_cvt_f32_f16_e32 v11, v7
	s_wait_xcnt 0x1
	v_bfe_u32 v14, v9, 16, 1
	s_delay_alu instid0(VALU_DEP_2) | instskip(NEXT) | instid1(VALU_DEP_2)
	v_bfe_u32 v15, v11, 16, 1
	v_add3_u32 v9, v9, v14, 0x7fff
	s_delay_alu instid0(VALU_DEP_2) | instskip(NEXT) | instid1(VALU_DEP_2)
	v_add3_u32 v11, v11, v15, 0x7fff
	v_lshrrev_b32_e32 v9, 16, v9
	s_delay_alu instid0(VALU_DEP_2) | instskip(NEXT) | instid1(VALU_DEP_2)
	v_and_b32_e32 v11, 0xffff0000, v11
	v_cndmask_b32_e32 v5, 0x7fc0, v9, vcc_lo
	v_cmp_o_f16_e32 vcc_lo, v7, v7
	s_delay_alu instid0(VALU_DEP_3)
	v_cndmask_b32_e32 v7, 0x7fc00000, v11, vcc_lo
.LBB167_2471:
	s_mov_b32 s0, 0
.LBB167_2472:
	s_delay_alu instid0(SALU_CYCLE_1)
	s_and_not1_b32 vcc_lo, exec_lo, s0
	s_cbranch_vccnz .LBB167_2490
; %bb.2473:
	s_cmp_lt_i32 s16, 6
	s_cbranch_scc1 .LBB167_2476
; %bb.2474:
	s_cmp_gt_i32 s16, 6
	s_cbranch_scc0 .LBB167_2483
; %bb.2475:
	global_load_b64 v[14:15], v[12:13], off
	s_mov_b32 s0, 0
	s_wait_loadcnt 0x0
	v_cvt_f32_f64_e32 v5, v[14:15]
	s_delay_alu instid0(VALU_DEP_1) | instskip(SKIP_1) | instid1(VALU_DEP_2)
	v_bfe_u32 v7, v5, 16, 1
	v_cmp_o_f32_e32 vcc_lo, v5, v5
	v_add3_u32 v7, v5, v7, 0x7fff
	s_delay_alu instid0(VALU_DEP_1) | instskip(NEXT) | instid1(VALU_DEP_1)
	v_lshrrev_b32_e32 v7, 16, v7
	v_cndmask_b32_e32 v5, 0x7fc0, v7, vcc_lo
	s_branch .LBB167_2484
.LBB167_2476:
	s_mov_b32 s0, -1
                                        ; implicit-def: $vgpr5
	s_branch .LBB167_2487
.LBB167_2477:
	s_mov_b32 s0, -1
.LBB167_2478:
                                        ; implicit-def: $vgpr5
.LBB167_2479:
	s_and_b32 vcc_lo, exec_lo, s17
	s_mov_b32 s17, 0
	s_cbranch_vccz .LBB167_2481
; %bb.2480:
	s_cmp_lg_u32 s16, 11
	s_mov_b32 s17, -1
	s_cselect_b32 s0, -1, 0
.LBB167_2481:
	v_mov_b32_e32 v7, 0
	s_and_b32 vcc_lo, exec_lo, s0
	s_cbranch_vccz .LBB167_2435
.LBB167_2482:
	s_or_b32 s1, s1, exec_lo
	s_trap 2
	s_cbranch_execz .LBB167_2436
	s_branch .LBB167_2437
.LBB167_2483:
	s_mov_b32 s0, -1
                                        ; implicit-def: $vgpr5
.LBB167_2484:
	s_delay_alu instid0(SALU_CYCLE_1)
	s_and_not1_b32 vcc_lo, exec_lo, s0
	s_cbranch_vccnz .LBB167_2486
; %bb.2485:
	s_wait_loadcnt 0x0
	global_load_b32 v5, v[12:13], off
	s_wait_loadcnt 0x0
	v_bfe_u32 v7, v5, 16, 1
	v_cmp_o_f32_e32 vcc_lo, v5, v5
	s_delay_alu instid0(VALU_DEP_2) | instskip(NEXT) | instid1(VALU_DEP_1)
	v_add3_u32 v7, v5, v7, 0x7fff
	v_lshrrev_b32_e32 v7, 16, v7
	s_delay_alu instid0(VALU_DEP_1)
	v_cndmask_b32_e32 v5, 0x7fc0, v7, vcc_lo
.LBB167_2486:
	s_mov_b32 s0, 0
.LBB167_2487:
	s_delay_alu instid0(SALU_CYCLE_1)
	s_and_not1_b32 vcc_lo, exec_lo, s0
	s_cbranch_vccnz .LBB167_2489
; %bb.2488:
	s_wait_loadcnt 0x0
	global_load_u16 v5, v[12:13], off
	s_wait_loadcnt 0x0
	v_cvt_f32_f16_e32 v7, v5
	v_cmp_o_f16_e32 vcc_lo, v5, v5
	s_delay_alu instid0(VALU_DEP_2) | instskip(NEXT) | instid1(VALU_DEP_1)
	v_bfe_u32 v9, v7, 16, 1
	v_add3_u32 v7, v7, v9, 0x7fff
	s_delay_alu instid0(VALU_DEP_1) | instskip(NEXT) | instid1(VALU_DEP_1)
	v_lshrrev_b32_e32 v7, 16, v7
	v_cndmask_b32_e32 v5, 0x7fc0, v7, vcc_lo
.LBB167_2489:
	v_mov_b32_e32 v7, 0
.LBB167_2490:
	s_mov_b32 s0, 0
.LBB167_2491:
	s_delay_alu instid0(SALU_CYCLE_1)
	s_and_not1_b32 vcc_lo, exec_lo, s0
	s_cbranch_vccnz .LBB167_2512
; %bb.2492:
	s_cmp_lt_i32 s16, 2
	s_cbranch_scc1 .LBB167_2496
; %bb.2493:
	s_cmp_lt_i32 s16, 3
	s_cbranch_scc1 .LBB167_2497
; %bb.2494:
	s_cmp_gt_i32 s16, 3
	s_cbranch_scc0 .LBB167_2498
; %bb.2495:
	global_load_b64 v[14:15], v[12:13], off
	s_mov_b32 s0, 0
	s_wait_loadcnt 0x0
	v_xor_b32_e32 v5, v14, v15
	v_cls_i32_e32 v7, v15
	s_delay_alu instid0(VALU_DEP_2) | instskip(NEXT) | instid1(VALU_DEP_1)
	v_ashrrev_i32_e32 v5, 31, v5
	v_add_nc_u32_e32 v5, 32, v5
	s_delay_alu instid0(VALU_DEP_1) | instskip(NEXT) | instid1(VALU_DEP_1)
	v_add_min_u32_e64 v5, v7, -1, v5
	v_lshlrev_b64_e32 v[14:15], v5, v[14:15]
	v_sub_nc_u32_e32 v5, 32, v5
	s_delay_alu instid0(VALU_DEP_2) | instskip(NEXT) | instid1(VALU_DEP_1)
	v_min_u32_e32 v7, 1, v14
	v_or_b32_e32 v7, v15, v7
	s_delay_alu instid0(VALU_DEP_1) | instskip(NEXT) | instid1(VALU_DEP_1)
	v_cvt_f32_i32_e32 v7, v7
	v_ldexp_f32 v5, v7, v5
	s_delay_alu instid0(VALU_DEP_1) | instskip(NEXT) | instid1(VALU_DEP_1)
	v_bfe_u32 v7, v5, 16, 1
	v_add3_u32 v5, v5, v7, 0x7fff
	s_delay_alu instid0(VALU_DEP_1)
	v_lshrrev_b32_e32 v5, 16, v5
	s_branch .LBB167_2499
.LBB167_2496:
	s_mov_b32 s0, -1
                                        ; implicit-def: $vgpr5
	s_branch .LBB167_2505
.LBB167_2497:
	s_mov_b32 s0, -1
                                        ; implicit-def: $vgpr5
	s_branch .LBB167_2502
.LBB167_2498:
	s_mov_b32 s0, -1
                                        ; implicit-def: $vgpr5
.LBB167_2499:
	s_delay_alu instid0(SALU_CYCLE_1)
	s_and_not1_b32 vcc_lo, exec_lo, s0
	s_cbranch_vccnz .LBB167_2501
; %bb.2500:
	s_wait_loadcnt 0x0
	global_load_b32 v5, v[12:13], off
	s_wait_loadcnt 0x0
	v_cvt_f32_i32_e32 v5, v5
	s_delay_alu instid0(VALU_DEP_1) | instskip(NEXT) | instid1(VALU_DEP_1)
	v_bfe_u32 v7, v5, 16, 1
	v_add3_u32 v5, v5, v7, 0x7fff
	s_delay_alu instid0(VALU_DEP_1)
	v_lshrrev_b32_e32 v5, 16, v5
.LBB167_2501:
	s_mov_b32 s0, 0
.LBB167_2502:
	s_delay_alu instid0(SALU_CYCLE_1)
	s_and_not1_b32 vcc_lo, exec_lo, s0
	s_cbranch_vccnz .LBB167_2504
; %bb.2503:
	s_wait_loadcnt 0x0
	global_load_i16 v5, v[12:13], off
	s_wait_loadcnt 0x0
	v_cvt_f32_i32_e32 v5, v5
	s_delay_alu instid0(VALU_DEP_1) | instskip(NEXT) | instid1(VALU_DEP_1)
	v_bfe_u32 v7, v5, 16, 1
	v_add3_u32 v5, v5, v7, 0x7fff
	s_delay_alu instid0(VALU_DEP_1)
	v_lshrrev_b32_e32 v5, 16, v5
.LBB167_2504:
	s_mov_b32 s0, 0
.LBB167_2505:
	s_delay_alu instid0(SALU_CYCLE_1)
	s_and_not1_b32 vcc_lo, exec_lo, s0
	s_cbranch_vccnz .LBB167_2511
; %bb.2506:
	s_cmp_gt_i32 s16, 0
	s_mov_b32 s0, 0
	s_cbranch_scc0 .LBB167_2508
; %bb.2507:
	s_wait_loadcnt 0x0
	global_load_i8 v5, v[12:13], off
	s_wait_loadcnt 0x0
	v_cvt_f32_i32_e32 v5, v5
	s_delay_alu instid0(VALU_DEP_1) | instskip(NEXT) | instid1(VALU_DEP_1)
	v_bfe_u32 v7, v5, 16, 1
	v_add3_u32 v5, v5, v7, 0x7fff
	s_delay_alu instid0(VALU_DEP_1)
	v_lshrrev_b32_e32 v5, 16, v5
	s_branch .LBB167_2509
.LBB167_2508:
	s_mov_b32 s0, -1
                                        ; implicit-def: $vgpr5
.LBB167_2509:
	s_delay_alu instid0(SALU_CYCLE_1)
	s_and_not1_b32 vcc_lo, exec_lo, s0
	s_cbranch_vccnz .LBB167_2511
; %bb.2510:
	s_wait_loadcnt 0x0
	global_load_u8 v5, v[12:13], off
	s_wait_loadcnt 0x0
	v_cvt_f32_ubyte0_e32 v5, v5
	s_delay_alu instid0(VALU_DEP_1) | instskip(NEXT) | instid1(VALU_DEP_1)
	v_bfe_u32 v7, v5, 16, 1
	v_add3_u32 v5, v5, v7, 0x7fff
	s_delay_alu instid0(VALU_DEP_1)
	v_lshrrev_b32_e32 v5, 16, v5
.LBB167_2511:
	v_mov_b32_e32 v7, 0
.LBB167_2512:
	s_mov_b32 s18, -1
.LBB167_2513:
	s_delay_alu instid0(SALU_CYCLE_1)
	s_and_not1_b32 vcc_lo, exec_lo, s18
	s_cbranch_vccnz .LBB167_2793
; %bb.2514:
	s_wait_loadcnt 0x0
	v_and_b32_e32 v5, 0xffff, v5
	v_and_b32_e32 v1, 0xffff, v1
	s_and_b32 vcc_lo, exec_lo, s13
	s_delay_alu instid0(VALU_DEP_2) | instskip(NEXT) | instid1(VALU_DEP_2)
	v_or_b32_e32 v5, v7, v5
	v_or_b32_e32 v9, v3, v1
	v_and_b32_e32 v1, 0xffff0000, v7
	v_and_b32_e32 v3, 0xffff0000, v3
	s_delay_alu instid0(VALU_DEP_4) | instskip(NEXT) | instid1(VALU_DEP_4)
	v_lshlrev_b32_e32 v5, 16, v5
	v_lshlrev_b32_e32 v7, 16, v9
	s_cbranch_vccz .LBB167_2516
; %bb.2515:
	s_delay_alu instid0(VALU_DEP_1)
	v_cmp_neq_f32_e32 vcc_lo, v7, v5
	v_cmp_neq_f32_e64 s0, v3, v1
	s_or_b32 s17, vcc_lo, s0
	s_mov_b32 s0, 0
	s_branch .LBB167_2517
.LBB167_2516:
	s_mov_b32 s0, -1
                                        ; implicit-def: $sgpr17
.LBB167_2517:
	s_delay_alu instid0(SALU_CYCLE_1)
	s_and_not1_b32 vcc_lo, exec_lo, s0
	s_cbranch_vccnz .LBB167_2519
; %bb.2518:
	v_cmp_eq_f32_e32 vcc_lo, v7, v5
	v_cmp_eq_f32_e64 s0, v3, v1
	s_and_not1_b32 s17, s17, exec_lo
	s_and_b32 s0, vcc_lo, s0
	s_delay_alu instid0(SALU_CYCLE_1) | instskip(NEXT) | instid1(SALU_CYCLE_1)
	s_and_b32 s0, s0, exec_lo
	s_or_b32 s17, s17, s0
.LBB167_2519:
	v_mov_b32_e32 v11, 0
	s_cmp_lt_i32 s15, 11
	s_delay_alu instid0(VALU_DEP_1)
	v_add_nc_u64_e32 v[10:11], s[6:7], v[10:11]
	s_cbranch_scc1 .LBB167_2526
; %bb.2520:
	s_cmp_gt_i32 s15, 25
	s_mov_b32 s6, 0
	s_cbranch_scc0 .LBB167_2527
; %bb.2521:
	s_cmp_gt_i32 s15, 28
	s_cbranch_scc0 .LBB167_2528
; %bb.2522:
	s_cmp_gt_i32 s15, 43
	;; [unrolled: 3-line block ×3, first 2 shown]
	s_cbranch_scc0 .LBB167_2530
; %bb.2524:
	s_cmp_eq_u32 s15, 46
	s_mov_b32 s18, 0
	s_cbranch_scc0 .LBB167_2531
; %bb.2525:
	global_load_b32 v1, v[10:11], off
	s_mov_b32 s0, 0
	s_mov_b32 s7, -1
	s_wait_loadcnt 0x0
	v_and_b32_e32 v3, 0xffff0000, v1
	s_branch .LBB167_2533
.LBB167_2526:
	s_mov_b32 s0, -1
	s_mov_b32 s7, 0
                                        ; implicit-def: $vgpr3
                                        ; implicit-def: $vgpr1
	s_branch .LBB167_2579
.LBB167_2527:
	s_mov_b32 s18, -1
	s_mov_b32 s7, 0
	s_mov_b32 s0, 0
                                        ; implicit-def: $vgpr3
                                        ; implicit-def: $vgpr1
	s_branch .LBB167_2564
.LBB167_2528:
	s_mov_b32 s18, -1
	s_mov_b32 s7, 0
	s_mov_b32 s0, 0
                                        ; implicit-def: $vgpr3
                                        ; implicit-def: $vgpr1
	s_branch .LBB167_2545
.LBB167_2529:
	s_mov_b32 s18, -1
	s_mov_b32 s7, 0
	s_mov_b32 s0, 0
                                        ; implicit-def: $vgpr3
                                        ; implicit-def: $vgpr1
	s_branch .LBB167_2539
.LBB167_2530:
	s_mov_b32 s18, -1
	s_mov_b32 s7, 0
	s_mov_b32 s0, 0
	s_branch .LBB167_2532
.LBB167_2531:
	s_mov_b32 s0, -1
	s_mov_b32 s7, 0
.LBB167_2532:
                                        ; implicit-def: $vgpr3
                                        ; implicit-def: $vgpr1
.LBB167_2533:
	s_and_b32 vcc_lo, exec_lo, s18
	s_cbranch_vccz .LBB167_2538
; %bb.2534:
	s_cmp_eq_u32 s15, 44
	s_cbranch_scc0 .LBB167_2536
; %bb.2535:
	global_load_u8 v1, v[10:11], off
	s_mov_b32 s0, 0
	s_mov_b32 s7, -1
	s_wait_loadcnt 0x0
	v_lshlrev_b32_e32 v3, 23, v1
	v_cmp_ne_u32_e32 vcc_lo, 0xff, v1
	s_delay_alu instid0(VALU_DEP_2) | instskip(SKIP_1) | instid1(VALU_DEP_2)
	v_cndmask_b32_e32 v3, 0x7f800001, v3, vcc_lo
	v_cmp_ne_u32_e32 vcc_lo, 0, v1
	v_cndmask_b32_e32 v1, 0x400000, v3, vcc_lo
	s_delay_alu instid0(VALU_DEP_1) | instskip(SKIP_1) | instid1(VALU_DEP_2)
	v_add_nc_u32_e32 v3, 0x7fff, v1
	v_cmp_o_f32_e32 vcc_lo, v1, v1
	v_lshrrev_b32_e32 v3, 16, v3
	s_delay_alu instid0(VALU_DEP_1)
	v_cndmask_b32_e32 v1, 0x7fc0, v3, vcc_lo
	s_branch .LBB167_2537
.LBB167_2536:
	s_mov_b32 s0, -1
                                        ; implicit-def: $vgpr1
.LBB167_2537:
	v_mov_b32_e32 v3, 0
.LBB167_2538:
	s_mov_b32 s18, 0
.LBB167_2539:
	s_delay_alu instid0(SALU_CYCLE_1)
	s_and_b32 vcc_lo, exec_lo, s18
	s_cbranch_vccz .LBB167_2544
; %bb.2540:
	s_cmp_eq_u32 s15, 29
	s_cbranch_scc0 .LBB167_2542
; %bb.2541:
	global_load_b64 v[12:13], v[10:11], off
	s_mov_b32 s0, 0
	s_mov_b32 s7, -1
	s_wait_loadcnt 0x0
	v_clz_i32_u32_e32 v1, v13
	s_delay_alu instid0(VALU_DEP_1) | instskip(NEXT) | instid1(VALU_DEP_1)
	v_min_u32_e32 v1, 32, v1
	v_lshlrev_b64_e32 v[12:13], v1, v[12:13]
	v_sub_nc_u32_e32 v1, 32, v1
	s_delay_alu instid0(VALU_DEP_2) | instskip(NEXT) | instid1(VALU_DEP_1)
	v_min_u32_e32 v3, 1, v12
	v_or_b32_e32 v3, v13, v3
	s_delay_alu instid0(VALU_DEP_1) | instskip(NEXT) | instid1(VALU_DEP_1)
	v_cvt_f32_u32_e32 v3, v3
	v_ldexp_f32 v1, v3, v1
	s_delay_alu instid0(VALU_DEP_1) | instskip(NEXT) | instid1(VALU_DEP_1)
	v_bfe_u32 v3, v1, 16, 1
	v_add3_u32 v1, v1, v3, 0x7fff
	s_delay_alu instid0(VALU_DEP_1)
	v_lshrrev_b32_e32 v1, 16, v1
	s_branch .LBB167_2543
.LBB167_2542:
	s_mov_b32 s0, -1
                                        ; implicit-def: $vgpr1
.LBB167_2543:
	v_mov_b32_e32 v3, 0
.LBB167_2544:
	s_mov_b32 s18, 0
.LBB167_2545:
	s_delay_alu instid0(SALU_CYCLE_1)
	s_and_b32 vcc_lo, exec_lo, s18
	s_cbranch_vccz .LBB167_2563
; %bb.2546:
	s_cmp_lt_i32 s15, 27
	s_cbranch_scc1 .LBB167_2549
; %bb.2547:
	s_cmp_gt_i32 s15, 27
	s_cbranch_scc0 .LBB167_2550
; %bb.2548:
	global_load_b32 v1, v[10:11], off
	s_mov_b32 s7, 0
	s_wait_loadcnt 0x0
	v_cvt_f32_u32_e32 v1, v1
	s_delay_alu instid0(VALU_DEP_1) | instskip(NEXT) | instid1(VALU_DEP_1)
	v_bfe_u32 v3, v1, 16, 1
	v_add3_u32 v1, v1, v3, 0x7fff
	s_delay_alu instid0(VALU_DEP_1)
	v_lshrrev_b32_e32 v1, 16, v1
	s_branch .LBB167_2551
.LBB167_2549:
	s_mov_b32 s7, -1
                                        ; implicit-def: $vgpr1
	s_branch .LBB167_2554
.LBB167_2550:
	s_mov_b32 s7, -1
                                        ; implicit-def: $vgpr1
.LBB167_2551:
	s_delay_alu instid0(SALU_CYCLE_1)
	s_and_not1_b32 vcc_lo, exec_lo, s7
	s_cbranch_vccnz .LBB167_2553
; %bb.2552:
	global_load_u16 v1, v[10:11], off
	s_wait_loadcnt 0x0
	v_cvt_f32_u32_e32 v1, v1
	s_delay_alu instid0(VALU_DEP_1) | instskip(NEXT) | instid1(VALU_DEP_1)
	v_bfe_u32 v3, v1, 16, 1
	v_add3_u32 v1, v1, v3, 0x7fff
	s_delay_alu instid0(VALU_DEP_1)
	v_lshrrev_b32_e32 v1, 16, v1
.LBB167_2553:
	s_mov_b32 s7, 0
.LBB167_2554:
	s_delay_alu instid0(SALU_CYCLE_1)
	s_and_not1_b32 vcc_lo, exec_lo, s7
	s_cbranch_vccnz .LBB167_2562
; %bb.2555:
	global_load_u8 v1, v[10:11], off
	s_mov_b32 s7, 0
	s_mov_b32 s18, exec_lo
	s_wait_loadcnt 0x0
	v_cmpx_lt_i16_e32 0x7f, v1
	s_xor_b32 s18, exec_lo, s18
	s_cbranch_execz .LBB167_2588
; %bb.2556:
	s_mov_b32 s7, -1
	s_mov_b32 s19, exec_lo
	v_cmpx_eq_u16_e32 0x80, v1
; %bb.2557:
	s_xor_b32 s7, exec_lo, -1
; %bb.2558:
	s_or_b32 exec_lo, exec_lo, s19
	s_delay_alu instid0(SALU_CYCLE_1)
	s_and_b32 s7, s7, exec_lo
	s_or_saveexec_b32 s18, s18
	v_mov_b32_e32 v3, 0x7f800001
	s_xor_b32 exec_lo, exec_lo, s18
	s_cbranch_execnz .LBB167_2589
.LBB167_2559:
	s_or_b32 exec_lo, exec_lo, s18
	s_and_saveexec_b32 s18, s7
	s_cbranch_execz .LBB167_2561
.LBB167_2560:
	v_and_b32_e32 v3, 0xffff, v1
	s_delay_alu instid0(VALU_DEP_1) | instskip(SKIP_1) | instid1(VALU_DEP_2)
	v_dual_lshlrev_b32 v1, 24, v1 :: v_dual_bitop2_b32 v5, 7, v3 bitop3:0x40
	v_bfe_u32 v12, v3, 3, 4
	v_and_b32_e32 v1, 0x80000000, v1
	s_delay_alu instid0(VALU_DEP_3) | instskip(NEXT) | instid1(VALU_DEP_3)
	v_clz_i32_u32_e32 v7, v5
	v_cmp_eq_u32_e32 vcc_lo, 0, v12
	s_delay_alu instid0(VALU_DEP_2) | instskip(NEXT) | instid1(VALU_DEP_1)
	v_min_u32_e32 v7, 32, v7
	v_subrev_nc_u32_e32 v9, 28, v7
	v_sub_nc_u32_e32 v7, 29, v7
	s_delay_alu instid0(VALU_DEP_2) | instskip(NEXT) | instid1(VALU_DEP_2)
	v_lshlrev_b32_e32 v3, v9, v3
	v_cndmask_b32_e32 v7, v12, v7, vcc_lo
	s_delay_alu instid0(VALU_DEP_2) | instskip(NEXT) | instid1(VALU_DEP_1)
	v_and_b32_e32 v3, 7, v3
	v_cndmask_b32_e32 v3, v5, v3, vcc_lo
	s_delay_alu instid0(VALU_DEP_3) | instskip(NEXT) | instid1(VALU_DEP_2)
	v_lshl_add_u32 v5, v7, 23, 0x3b800000
	v_lshlrev_b32_e32 v3, 20, v3
	s_delay_alu instid0(VALU_DEP_1)
	v_or3_b32 v3, v1, v5, v3
.LBB167_2561:
	s_or_b32 exec_lo, exec_lo, s18
	s_delay_alu instid0(VALU_DEP_1) | instskip(SKIP_1) | instid1(VALU_DEP_2)
	v_bfe_u32 v1, v3, 16, 1
	v_cmp_o_f32_e32 vcc_lo, v3, v3
	v_add3_u32 v1, v3, v1, 0x7fff
	s_delay_alu instid0(VALU_DEP_1) | instskip(NEXT) | instid1(VALU_DEP_1)
	v_lshrrev_b32_e32 v1, 16, v1
	v_cndmask_b32_e32 v1, 0x7fc0, v1, vcc_lo
.LBB167_2562:
	v_mov_b32_e32 v3, 0
	s_mov_b32 s7, -1
.LBB167_2563:
	s_mov_b32 s18, 0
.LBB167_2564:
	s_delay_alu instid0(SALU_CYCLE_1)
	s_and_b32 vcc_lo, exec_lo, s18
	s_cbranch_vccz .LBB167_2575
; %bb.2565:
	s_cmp_gt_i32 s15, 22
	s_cbranch_scc0 .LBB167_2586
; %bb.2566:
	s_cmp_lt_i32 s15, 24
	s_cbranch_scc1 .LBB167_2590
; %bb.2567:
	s_cmp_gt_i32 s15, 24
	s_cbranch_scc0 .LBB167_2592
; %bb.2568:
	global_load_u8 v1, v[10:11], off
	s_mov_b32 s7, exec_lo
	s_wait_loadcnt 0x0
	v_cmpx_lt_i16_e32 0x7f, v1
	s_xor_b32 s7, exec_lo, s7
	s_cbranch_execz .LBB167_2604
; %bb.2569:
	s_mov_b32 s6, -1
	s_mov_b32 s18, exec_lo
	v_cmpx_eq_u16_e32 0x80, v1
; %bb.2570:
	s_xor_b32 s6, exec_lo, -1
; %bb.2571:
	s_or_b32 exec_lo, exec_lo, s18
	s_delay_alu instid0(SALU_CYCLE_1)
	s_and_b32 s6, s6, exec_lo
	s_or_saveexec_b32 s7, s7
	v_mov_b32_e32 v3, 0x7f800001
	s_xor_b32 exec_lo, exec_lo, s7
	s_cbranch_execnz .LBB167_2605
.LBB167_2572:
	s_or_b32 exec_lo, exec_lo, s7
	s_and_saveexec_b32 s7, s6
	s_cbranch_execz .LBB167_2574
.LBB167_2573:
	v_and_b32_e32 v3, 0xffff, v1
	s_delay_alu instid0(VALU_DEP_1) | instskip(SKIP_1) | instid1(VALU_DEP_2)
	v_dual_lshlrev_b32 v1, 24, v1 :: v_dual_bitop2_b32 v5, 3, v3 bitop3:0x40
	v_bfe_u32 v12, v3, 2, 5
	v_and_b32_e32 v1, 0x80000000, v1
	s_delay_alu instid0(VALU_DEP_3) | instskip(NEXT) | instid1(VALU_DEP_3)
	v_clz_i32_u32_e32 v7, v5
	v_cmp_eq_u32_e32 vcc_lo, 0, v12
	s_delay_alu instid0(VALU_DEP_2) | instskip(NEXT) | instid1(VALU_DEP_1)
	v_min_u32_e32 v7, 32, v7
	v_subrev_nc_u32_e32 v9, 29, v7
	v_sub_nc_u32_e32 v7, 30, v7
	s_delay_alu instid0(VALU_DEP_2) | instskip(NEXT) | instid1(VALU_DEP_2)
	v_lshlrev_b32_e32 v3, v9, v3
	v_cndmask_b32_e32 v7, v12, v7, vcc_lo
	s_delay_alu instid0(VALU_DEP_2) | instskip(NEXT) | instid1(VALU_DEP_1)
	v_and_b32_e32 v3, 3, v3
	v_cndmask_b32_e32 v3, v5, v3, vcc_lo
	s_delay_alu instid0(VALU_DEP_3) | instskip(NEXT) | instid1(VALU_DEP_2)
	v_lshl_add_u32 v5, v7, 23, 0x37800000
	v_lshlrev_b32_e32 v3, 21, v3
	s_delay_alu instid0(VALU_DEP_1)
	v_or3_b32 v3, v1, v5, v3
.LBB167_2574:
	s_or_b32 exec_lo, exec_lo, s7
	s_delay_alu instid0(VALU_DEP_1) | instskip(SKIP_2) | instid1(VALU_DEP_2)
	v_bfe_u32 v1, v3, 16, 1
	v_cmp_o_f32_e32 vcc_lo, v3, v3
	s_mov_b32 s6, 0
	v_add3_u32 v1, v3, v1, 0x7fff
	s_delay_alu instid0(VALU_DEP_1) | instskip(NEXT) | instid1(VALU_DEP_1)
	v_lshrrev_b32_e32 v1, 16, v1
	v_cndmask_b32_e32 v1, 0x7fc0, v1, vcc_lo
	s_branch .LBB167_2593
.LBB167_2575:
	s_and_b32 vcc_lo, exec_lo, s0
	s_cbranch_vccnz .LBB167_2623
.LBB167_2576:
	s_and_not1_b32 vcc_lo, exec_lo, s6
	s_cbranch_vccnz .LBB167_2578
.LBB167_2577:
	s_wait_loadcnt 0x0
	global_load_u8 v1, v[10:11], off
	s_mov_b32 s7, -1
	v_mov_b32_e32 v3, 0
	s_wait_loadcnt 0x0
	v_cmp_ne_u16_e32 vcc_lo, 0, v1
	v_cndmask_b32_e64 v1, 0, 1.0, vcc_lo
	s_delay_alu instid0(VALU_DEP_1)
	v_lshrrev_b32_e32 v1, 16, v1
.LBB167_2578:
	s_mov_b32 s0, 0
.LBB167_2579:
	s_delay_alu instid0(SALU_CYCLE_1)
	s_and_b32 vcc_lo, exec_lo, s0
	s_cbranch_vccz .LBB167_2654
; %bb.2580:
	s_cmp_lt_i32 s15, 5
	s_cbranch_scc1 .LBB167_2585
; %bb.2581:
	s_cmp_lt_i32 s15, 8
	s_cbranch_scc1 .LBB167_2587
	;; [unrolled: 3-line block ×3, first 2 shown]
; %bb.2583:
	s_cmp_gt_i32 s15, 9
	s_cbranch_scc0 .LBB167_2606
; %bb.2584:
	global_load_b128 v[12:15], v[10:11], off
	s_mov_b32 s0, 0
	s_wait_loadcnt 0x0
	v_cvt_f32_f64_e32 v1, v[12:13]
	v_cvt_f32_f64_e32 v3, v[14:15]
	s_delay_alu instid0(VALU_DEP_2) | instskip(NEXT) | instid1(VALU_DEP_2)
	v_bfe_u32 v5, v1, 16, 1
	v_bfe_u32 v7, v3, 16, 1
	v_cmp_o_f32_e32 vcc_lo, v1, v1
	s_delay_alu instid0(VALU_DEP_3) | instskip(NEXT) | instid1(VALU_DEP_3)
	v_add3_u32 v5, v1, v5, 0x7fff
	v_add3_u32 v7, v3, v7, 0x7fff
	s_delay_alu instid0(VALU_DEP_2) | instskip(NEXT) | instid1(VALU_DEP_2)
	v_lshrrev_b32_e32 v5, 16, v5
	v_and_b32_e32 v7, 0xffff0000, v7
	s_delay_alu instid0(VALU_DEP_2) | instskip(SKIP_1) | instid1(VALU_DEP_3)
	v_cndmask_b32_e32 v1, 0x7fc0, v5, vcc_lo
	v_cmp_o_f32_e32 vcc_lo, v3, v3
	v_cndmask_b32_e32 v3, 0x7fc00000, v7, vcc_lo
	s_branch .LBB167_2607
.LBB167_2585:
	s_mov_b32 s0, -1
                                        ; implicit-def: $vgpr3
                                        ; implicit-def: $vgpr1
	s_branch .LBB167_2632
.LBB167_2586:
	s_mov_b32 s6, -1
                                        ; implicit-def: $vgpr1
	s_branch .LBB167_2599
.LBB167_2587:
	s_mov_b32 s0, -1
                                        ; implicit-def: $vgpr3
                                        ; implicit-def: $vgpr1
	s_branch .LBB167_2613
.LBB167_2588:
	s_or_saveexec_b32 s18, s18
	v_mov_b32_e32 v3, 0x7f800001
	s_xor_b32 exec_lo, exec_lo, s18
	s_cbranch_execz .LBB167_2559
.LBB167_2589:
	v_cmp_ne_u16_e32 vcc_lo, 0, v1
	v_mov_b32_e32 v3, 0
	s_and_not1_b32 s7, s7, exec_lo
	s_and_b32 s19, vcc_lo, exec_lo
	s_delay_alu instid0(SALU_CYCLE_1)
	s_or_b32 s7, s7, s19
	s_or_b32 exec_lo, exec_lo, s18
	s_and_saveexec_b32 s18, s7
	s_cbranch_execnz .LBB167_2560
	s_branch .LBB167_2561
.LBB167_2590:
	s_mov_b32 s6, -1
                                        ; implicit-def: $vgpr1
	s_branch .LBB167_2596
.LBB167_2591:
	s_mov_b32 s0, -1
                                        ; implicit-def: $vgpr3
                                        ; implicit-def: $vgpr1
	s_branch .LBB167_2610
.LBB167_2592:
	s_mov_b32 s6, -1
                                        ; implicit-def: $vgpr1
.LBB167_2593:
	s_delay_alu instid0(SALU_CYCLE_1)
	s_and_b32 vcc_lo, exec_lo, s6
	s_cbranch_vccz .LBB167_2595
; %bb.2594:
	global_load_u8 v1, v[10:11], off
	s_wait_loadcnt 0x0
	v_lshlrev_b32_e32 v1, 24, v1
	s_delay_alu instid0(VALU_DEP_1) | instskip(NEXT) | instid1(VALU_DEP_1)
	v_and_b32_e32 v3, 0x7f000000, v1
	v_clz_i32_u32_e32 v5, v3
	v_add_nc_u32_e32 v9, 0x1000000, v3
	v_cmp_ne_u32_e32 vcc_lo, 0, v3
	s_delay_alu instid0(VALU_DEP_3) | instskip(NEXT) | instid1(VALU_DEP_1)
	v_min_u32_e32 v5, 32, v5
	v_sub_nc_u32_e64 v5, v5, 4 clamp
	s_delay_alu instid0(VALU_DEP_1) | instskip(NEXT) | instid1(VALU_DEP_1)
	v_dual_lshlrev_b32 v7, v5, v3 :: v_dual_lshlrev_b32 v5, 23, v5
	v_lshrrev_b32_e32 v7, 4, v7
	s_delay_alu instid0(VALU_DEP_1) | instskip(SKIP_1) | instid1(VALU_DEP_2)
	v_sub_nc_u32_e32 v5, v7, v5
	v_ashrrev_i32_e32 v7, 8, v9
	v_add_nc_u32_e32 v5, 0x3c000000, v5
	s_delay_alu instid0(VALU_DEP_1) | instskip(NEXT) | instid1(VALU_DEP_1)
	v_and_or_b32 v5, 0x7f800000, v7, v5
	v_cndmask_b32_e32 v3, 0, v5, vcc_lo
	s_delay_alu instid0(VALU_DEP_1) | instskip(SKIP_1) | instid1(VALU_DEP_2)
	v_and_or_b32 v1, 0x80000000, v1, v3
	v_bfe_u32 v3, v3, 16, 1
	v_cmp_o_f32_e32 vcc_lo, v1, v1
	s_delay_alu instid0(VALU_DEP_2) | instskip(NEXT) | instid1(VALU_DEP_1)
	v_add3_u32 v3, v1, v3, 0x7fff
	v_lshrrev_b32_e32 v3, 16, v3
	s_delay_alu instid0(VALU_DEP_1)
	v_cndmask_b32_e32 v1, 0x7fc0, v3, vcc_lo
.LBB167_2595:
	s_mov_b32 s6, 0
.LBB167_2596:
	s_delay_alu instid0(SALU_CYCLE_1)
	s_and_not1_b32 vcc_lo, exec_lo, s6
	s_cbranch_vccnz .LBB167_2598
; %bb.2597:
	global_load_u8 v1, v[10:11], off
	s_wait_loadcnt 0x0
	v_lshlrev_b32_e32 v3, 25, v1
	v_lshlrev_b16 v1, 8, v1
	s_delay_alu instid0(VALU_DEP_1) | instskip(SKIP_1) | instid1(VALU_DEP_2)
	v_and_or_b32 v7, 0x7f00, v1, 0.5
	v_bfe_i32 v1, v1, 0, 16
	v_add_f32_e32 v7, -0.5, v7
	v_lshrrev_b32_e32 v5, 4, v3
	v_cmp_gt_u32_e32 vcc_lo, 0x8000000, v3
	s_delay_alu instid0(VALU_DEP_2) | instskip(NEXT) | instid1(VALU_DEP_1)
	v_or_b32_e32 v5, 0x70000000, v5
	v_mul_f32_e32 v5, 0x7800000, v5
	s_delay_alu instid0(VALU_DEP_1) | instskip(NEXT) | instid1(VALU_DEP_1)
	v_cndmask_b32_e32 v3, v5, v7, vcc_lo
	v_and_or_b32 v1, 0x80000000, v1, v3
	v_bfe_u32 v3, v3, 16, 1
	s_delay_alu instid0(VALU_DEP_2) | instskip(NEXT) | instid1(VALU_DEP_2)
	v_cmp_o_f32_e32 vcc_lo, v1, v1
	v_add3_u32 v3, v1, v3, 0x7fff
	s_delay_alu instid0(VALU_DEP_1) | instskip(NEXT) | instid1(VALU_DEP_1)
	v_lshrrev_b32_e32 v3, 16, v3
	v_cndmask_b32_e32 v1, 0x7fc0, v3, vcc_lo
.LBB167_2598:
	s_mov_b32 s6, 0
	s_mov_b32 s7, -1
.LBB167_2599:
	s_and_not1_b32 vcc_lo, exec_lo, s6
	s_mov_b32 s6, 0
	s_cbranch_vccnz .LBB167_2622
; %bb.2600:
	s_cmp_gt_i32 s15, 14
	s_cbranch_scc0 .LBB167_2603
; %bb.2601:
	s_cmp_eq_u32 s15, 15
	s_cbranch_scc0 .LBB167_2618
; %bb.2602:
	global_load_u16 v1, v[10:11], off
	s_mov_b32 s0, 0
	s_mov_b32 s7, -1
	s_branch .LBB167_2620
.LBB167_2603:
	s_mov_b32 s6, -1
	s_branch .LBB167_2619
.LBB167_2604:
	s_or_saveexec_b32 s7, s7
	v_mov_b32_e32 v3, 0x7f800001
	s_xor_b32 exec_lo, exec_lo, s7
	s_cbranch_execz .LBB167_2572
.LBB167_2605:
	v_cmp_ne_u16_e32 vcc_lo, 0, v1
	v_mov_b32_e32 v3, 0
	s_and_not1_b32 s6, s6, exec_lo
	s_and_b32 s18, vcc_lo, exec_lo
	s_delay_alu instid0(SALU_CYCLE_1)
	s_or_b32 s6, s6, s18
	s_or_b32 exec_lo, exec_lo, s7
	s_and_saveexec_b32 s7, s6
	s_cbranch_execnz .LBB167_2573
	s_branch .LBB167_2574
.LBB167_2606:
	s_mov_b32 s0, -1
                                        ; implicit-def: $vgpr3
                                        ; implicit-def: $vgpr1
.LBB167_2607:
	s_delay_alu instid0(SALU_CYCLE_1)
	s_and_not1_b32 vcc_lo, exec_lo, s0
	s_cbranch_vccnz .LBB167_2609
; %bb.2608:
	global_load_b64 v[12:13], v[10:11], off
	s_wait_loadcnt 0x0
	v_bfe_u32 v1, v12, 16, 1
	v_bfe_u32 v3, v13, 16, 1
	v_cmp_o_f32_e32 vcc_lo, v12, v12
	s_delay_alu instid0(VALU_DEP_3) | instskip(NEXT) | instid1(VALU_DEP_3)
	v_add3_u32 v1, v12, v1, 0x7fff
	v_add3_u32 v3, v13, v3, 0x7fff
	s_delay_alu instid0(VALU_DEP_2) | instskip(NEXT) | instid1(VALU_DEP_2)
	v_lshrrev_b32_e32 v1, 16, v1
	v_and_b32_e32 v3, 0xffff0000, v3
	s_delay_alu instid0(VALU_DEP_2) | instskip(SKIP_1) | instid1(VALU_DEP_3)
	v_cndmask_b32_e32 v1, 0x7fc0, v1, vcc_lo
	v_cmp_o_f32_e32 vcc_lo, v13, v13
	v_cndmask_b32_e32 v3, 0x7fc00000, v3, vcc_lo
.LBB167_2609:
	s_mov_b32 s0, 0
.LBB167_2610:
	s_delay_alu instid0(SALU_CYCLE_1)
	s_and_not1_b32 vcc_lo, exec_lo, s0
	s_cbranch_vccnz .LBB167_2612
; %bb.2611:
	s_wait_loadcnt 0x0
	global_load_b32 v1, v[10:11], off
	s_wait_loadcnt 0x0
	v_lshrrev_b32_e32 v3, 16, v1
	v_cvt_f32_f16_e32 v5, v1
	v_cmp_o_f16_e32 vcc_lo, v1, v1
	s_delay_alu instid0(VALU_DEP_3) | instskip(NEXT) | instid1(VALU_DEP_3)
	v_cvt_f32_f16_e32 v7, v3
	v_bfe_u32 v9, v5, 16, 1
	s_wait_xcnt 0x1
	s_delay_alu instid0(VALU_DEP_2) | instskip(NEXT) | instid1(VALU_DEP_2)
	v_bfe_u32 v12, v7, 16, 1
	v_add3_u32 v5, v5, v9, 0x7fff
	s_delay_alu instid0(VALU_DEP_2) | instskip(NEXT) | instid1(VALU_DEP_2)
	v_add3_u32 v7, v7, v12, 0x7fff
	v_lshrrev_b32_e32 v5, 16, v5
	s_delay_alu instid0(VALU_DEP_2) | instskip(NEXT) | instid1(VALU_DEP_2)
	v_and_b32_e32 v7, 0xffff0000, v7
	v_cndmask_b32_e32 v1, 0x7fc0, v5, vcc_lo
	v_cmp_o_f16_e32 vcc_lo, v3, v3
	s_delay_alu instid0(VALU_DEP_3)
	v_cndmask_b32_e32 v3, 0x7fc00000, v7, vcc_lo
.LBB167_2612:
	s_mov_b32 s0, 0
.LBB167_2613:
	s_delay_alu instid0(SALU_CYCLE_1)
	s_and_not1_b32 vcc_lo, exec_lo, s0
	s_cbranch_vccnz .LBB167_2631
; %bb.2614:
	s_cmp_lt_i32 s15, 6
	s_cbranch_scc1 .LBB167_2617
; %bb.2615:
	s_cmp_gt_i32 s15, 6
	s_cbranch_scc0 .LBB167_2624
; %bb.2616:
	global_load_b64 v[12:13], v[10:11], off
	s_mov_b32 s0, 0
	s_wait_loadcnt 0x0
	v_cvt_f32_f64_e32 v1, v[12:13]
	s_delay_alu instid0(VALU_DEP_1) | instskip(SKIP_1) | instid1(VALU_DEP_2)
	v_bfe_u32 v3, v1, 16, 1
	v_cmp_o_f32_e32 vcc_lo, v1, v1
	v_add3_u32 v3, v1, v3, 0x7fff
	s_delay_alu instid0(VALU_DEP_1) | instskip(NEXT) | instid1(VALU_DEP_1)
	v_lshrrev_b32_e32 v3, 16, v3
	v_cndmask_b32_e32 v1, 0x7fc0, v3, vcc_lo
	s_branch .LBB167_2625
.LBB167_2617:
	s_mov_b32 s0, -1
                                        ; implicit-def: $vgpr1
	s_branch .LBB167_2628
.LBB167_2618:
	s_mov_b32 s0, -1
.LBB167_2619:
                                        ; implicit-def: $vgpr1
.LBB167_2620:
	s_and_b32 vcc_lo, exec_lo, s6
	s_mov_b32 s6, 0
	s_cbranch_vccz .LBB167_2622
; %bb.2621:
	s_cmp_lg_u32 s15, 11
	s_mov_b32 s6, -1
	s_cselect_b32 s0, -1, 0
.LBB167_2622:
	v_mov_b32_e32 v3, 0
	s_and_b32 vcc_lo, exec_lo, s0
	s_cbranch_vccz .LBB167_2576
.LBB167_2623:
	s_or_b32 s1, s1, exec_lo
	s_trap 2
	s_cbranch_execz .LBB167_2577
	s_branch .LBB167_2578
.LBB167_2624:
	s_mov_b32 s0, -1
                                        ; implicit-def: $vgpr1
.LBB167_2625:
	s_delay_alu instid0(SALU_CYCLE_1)
	s_and_not1_b32 vcc_lo, exec_lo, s0
	s_cbranch_vccnz .LBB167_2627
; %bb.2626:
	s_wait_loadcnt 0x0
	global_load_b32 v1, v[10:11], off
	s_wait_loadcnt 0x0
	v_bfe_u32 v3, v1, 16, 1
	v_cmp_o_f32_e32 vcc_lo, v1, v1
	s_delay_alu instid0(VALU_DEP_2) | instskip(NEXT) | instid1(VALU_DEP_1)
	v_add3_u32 v3, v1, v3, 0x7fff
	v_lshrrev_b32_e32 v3, 16, v3
	s_delay_alu instid0(VALU_DEP_1)
	v_cndmask_b32_e32 v1, 0x7fc0, v3, vcc_lo
.LBB167_2627:
	s_mov_b32 s0, 0
.LBB167_2628:
	s_delay_alu instid0(SALU_CYCLE_1)
	s_and_not1_b32 vcc_lo, exec_lo, s0
	s_cbranch_vccnz .LBB167_2630
; %bb.2629:
	s_wait_loadcnt 0x0
	global_load_u16 v1, v[10:11], off
	s_wait_loadcnt 0x0
	v_cvt_f32_f16_e32 v3, v1
	v_cmp_o_f16_e32 vcc_lo, v1, v1
	s_delay_alu instid0(VALU_DEP_2) | instskip(NEXT) | instid1(VALU_DEP_1)
	v_bfe_u32 v5, v3, 16, 1
	v_add3_u32 v3, v3, v5, 0x7fff
	s_delay_alu instid0(VALU_DEP_1) | instskip(NEXT) | instid1(VALU_DEP_1)
	v_lshrrev_b32_e32 v3, 16, v3
	v_cndmask_b32_e32 v1, 0x7fc0, v3, vcc_lo
.LBB167_2630:
	v_mov_b32_e32 v3, 0
.LBB167_2631:
	s_mov_b32 s0, 0
.LBB167_2632:
	s_delay_alu instid0(SALU_CYCLE_1)
	s_and_not1_b32 vcc_lo, exec_lo, s0
	s_cbranch_vccnz .LBB167_2653
; %bb.2633:
	s_cmp_lt_i32 s15, 2
	s_cbranch_scc1 .LBB167_2637
; %bb.2634:
	s_cmp_lt_i32 s15, 3
	s_cbranch_scc1 .LBB167_2638
; %bb.2635:
	s_cmp_gt_i32 s15, 3
	s_cbranch_scc0 .LBB167_2639
; %bb.2636:
	global_load_b64 v[12:13], v[10:11], off
	s_mov_b32 s0, 0
	s_wait_loadcnt 0x0
	v_xor_b32_e32 v1, v12, v13
	v_cls_i32_e32 v3, v13
	s_delay_alu instid0(VALU_DEP_2) | instskip(NEXT) | instid1(VALU_DEP_1)
	v_ashrrev_i32_e32 v1, 31, v1
	v_add_nc_u32_e32 v1, 32, v1
	s_delay_alu instid0(VALU_DEP_1) | instskip(NEXT) | instid1(VALU_DEP_1)
	v_add_min_u32_e64 v1, v3, -1, v1
	v_lshlrev_b64_e32 v[12:13], v1, v[12:13]
	v_sub_nc_u32_e32 v1, 32, v1
	s_delay_alu instid0(VALU_DEP_2) | instskip(NEXT) | instid1(VALU_DEP_1)
	v_min_u32_e32 v3, 1, v12
	v_or_b32_e32 v3, v13, v3
	s_delay_alu instid0(VALU_DEP_1) | instskip(NEXT) | instid1(VALU_DEP_1)
	v_cvt_f32_i32_e32 v3, v3
	v_ldexp_f32 v1, v3, v1
	s_delay_alu instid0(VALU_DEP_1) | instskip(NEXT) | instid1(VALU_DEP_1)
	v_bfe_u32 v3, v1, 16, 1
	v_add3_u32 v1, v1, v3, 0x7fff
	s_delay_alu instid0(VALU_DEP_1)
	v_lshrrev_b32_e32 v1, 16, v1
	s_branch .LBB167_2640
.LBB167_2637:
	s_mov_b32 s0, -1
                                        ; implicit-def: $vgpr1
	s_branch .LBB167_2646
.LBB167_2638:
	s_mov_b32 s0, -1
                                        ; implicit-def: $vgpr1
	s_branch .LBB167_2643
.LBB167_2639:
	s_mov_b32 s0, -1
                                        ; implicit-def: $vgpr1
.LBB167_2640:
	s_delay_alu instid0(SALU_CYCLE_1)
	s_and_not1_b32 vcc_lo, exec_lo, s0
	s_cbranch_vccnz .LBB167_2642
; %bb.2641:
	s_wait_loadcnt 0x0
	global_load_b32 v1, v[10:11], off
	s_wait_loadcnt 0x0
	v_cvt_f32_i32_e32 v1, v1
	s_delay_alu instid0(VALU_DEP_1) | instskip(NEXT) | instid1(VALU_DEP_1)
	v_bfe_u32 v3, v1, 16, 1
	v_add3_u32 v1, v1, v3, 0x7fff
	s_delay_alu instid0(VALU_DEP_1)
	v_lshrrev_b32_e32 v1, 16, v1
.LBB167_2642:
	s_mov_b32 s0, 0
.LBB167_2643:
	s_delay_alu instid0(SALU_CYCLE_1)
	s_and_not1_b32 vcc_lo, exec_lo, s0
	s_cbranch_vccnz .LBB167_2645
; %bb.2644:
	s_wait_loadcnt 0x0
	global_load_i16 v1, v[10:11], off
	s_wait_loadcnt 0x0
	v_cvt_f32_i32_e32 v1, v1
	s_delay_alu instid0(VALU_DEP_1) | instskip(NEXT) | instid1(VALU_DEP_1)
	v_bfe_u32 v3, v1, 16, 1
	v_add3_u32 v1, v1, v3, 0x7fff
	s_delay_alu instid0(VALU_DEP_1)
	v_lshrrev_b32_e32 v1, 16, v1
.LBB167_2645:
	s_mov_b32 s0, 0
.LBB167_2646:
	s_delay_alu instid0(SALU_CYCLE_1)
	s_and_not1_b32 vcc_lo, exec_lo, s0
	s_cbranch_vccnz .LBB167_2652
; %bb.2647:
	s_cmp_gt_i32 s15, 0
	s_mov_b32 s0, 0
	s_cbranch_scc0 .LBB167_2649
; %bb.2648:
	s_wait_loadcnt 0x0
	global_load_i8 v1, v[10:11], off
	s_wait_loadcnt 0x0
	v_cvt_f32_i32_e32 v1, v1
	s_delay_alu instid0(VALU_DEP_1) | instskip(NEXT) | instid1(VALU_DEP_1)
	v_bfe_u32 v3, v1, 16, 1
	v_add3_u32 v1, v1, v3, 0x7fff
	s_delay_alu instid0(VALU_DEP_1)
	v_lshrrev_b32_e32 v1, 16, v1
	s_branch .LBB167_2650
.LBB167_2649:
	s_mov_b32 s0, -1
                                        ; implicit-def: $vgpr1
.LBB167_2650:
	s_delay_alu instid0(SALU_CYCLE_1)
	s_and_not1_b32 vcc_lo, exec_lo, s0
	s_cbranch_vccnz .LBB167_2652
; %bb.2651:
	s_wait_loadcnt 0x0
	global_load_u8 v1, v[10:11], off
	s_wait_loadcnt 0x0
	v_cvt_f32_ubyte0_e32 v1, v1
	s_delay_alu instid0(VALU_DEP_1) | instskip(NEXT) | instid1(VALU_DEP_1)
	v_bfe_u32 v3, v1, 16, 1
	v_add3_u32 v1, v1, v3, 0x7fff
	s_delay_alu instid0(VALU_DEP_1)
	v_lshrrev_b32_e32 v1, 16, v1
.LBB167_2652:
	v_mov_b32_e32 v3, 0
.LBB167_2653:
	s_mov_b32 s7, -1
.LBB167_2654:
	s_delay_alu instid0(SALU_CYCLE_1)
	s_and_not1_b32 vcc_lo, exec_lo, s7
	s_cbranch_vccnz .LBB167_2793
; %bb.2655:
	v_mov_b32_e32 v9, 0
	s_cmp_lt_i32 s16, 11
	s_delay_alu instid0(VALU_DEP_1)
	v_add_nc_u64_e32 v[8:9], s[8:9], v[8:9]
	s_cbranch_scc1 .LBB167_2662
; %bb.2656:
	s_cmp_gt_i32 s16, 25
	s_mov_b32 s6, 0
	s_cbranch_scc0 .LBB167_2663
; %bb.2657:
	s_cmp_gt_i32 s16, 28
	s_cbranch_scc0 .LBB167_2664
; %bb.2658:
	s_cmp_gt_i32 s16, 43
	;; [unrolled: 3-line block ×3, first 2 shown]
	s_cbranch_scc0 .LBB167_2666
; %bb.2660:
	s_cmp_eq_u32 s16, 46
	s_mov_b32 s8, 0
	s_cbranch_scc0 .LBB167_2667
; %bb.2661:
	global_load_b32 v5, v[8:9], off
	s_mov_b32 s0, 0
	s_mov_b32 s7, -1
	s_wait_loadcnt 0x0
	v_and_b32_e32 v7, 0xffff0000, v5
	s_branch .LBB167_2669
.LBB167_2662:
	s_mov_b32 s0, -1
	s_mov_b32 s7, 0
                                        ; implicit-def: $vgpr7
                                        ; implicit-def: $vgpr5
	s_branch .LBB167_2715
.LBB167_2663:
	s_mov_b32 s8, -1
	s_mov_b32 s7, 0
	s_mov_b32 s0, 0
                                        ; implicit-def: $vgpr7
                                        ; implicit-def: $vgpr5
	s_branch .LBB167_2700
.LBB167_2664:
	s_mov_b32 s8, -1
	s_mov_b32 s7, 0
	s_mov_b32 s0, 0
                                        ; implicit-def: $vgpr7
                                        ; implicit-def: $vgpr5
	s_branch .LBB167_2681
.LBB167_2665:
	s_mov_b32 s8, -1
	s_mov_b32 s7, 0
	s_mov_b32 s0, 0
                                        ; implicit-def: $vgpr7
                                        ; implicit-def: $vgpr5
	s_branch .LBB167_2675
.LBB167_2666:
	s_mov_b32 s8, -1
	s_mov_b32 s7, 0
	s_mov_b32 s0, 0
	s_branch .LBB167_2668
.LBB167_2667:
	s_mov_b32 s0, -1
	s_mov_b32 s7, 0
.LBB167_2668:
                                        ; implicit-def: $vgpr7
                                        ; implicit-def: $vgpr5
.LBB167_2669:
	s_and_b32 vcc_lo, exec_lo, s8
	s_cbranch_vccz .LBB167_2674
; %bb.2670:
	s_cmp_eq_u32 s16, 44
	s_cbranch_scc0 .LBB167_2672
; %bb.2671:
	global_load_u8 v5, v[8:9], off
	s_mov_b32 s0, 0
	s_mov_b32 s7, -1
	s_wait_loadcnt 0x0
	v_lshlrev_b32_e32 v7, 23, v5
	v_cmp_ne_u32_e32 vcc_lo, 0xff, v5
	s_delay_alu instid0(VALU_DEP_2) | instskip(SKIP_1) | instid1(VALU_DEP_2)
	v_cndmask_b32_e32 v7, 0x7f800001, v7, vcc_lo
	v_cmp_ne_u32_e32 vcc_lo, 0, v5
	v_cndmask_b32_e32 v5, 0x400000, v7, vcc_lo
	s_delay_alu instid0(VALU_DEP_1) | instskip(SKIP_1) | instid1(VALU_DEP_2)
	v_add_nc_u32_e32 v7, 0x7fff, v5
	v_cmp_o_f32_e32 vcc_lo, v5, v5
	v_lshrrev_b32_e32 v7, 16, v7
	s_delay_alu instid0(VALU_DEP_1)
	v_cndmask_b32_e32 v5, 0x7fc0, v7, vcc_lo
	s_branch .LBB167_2673
.LBB167_2672:
	s_mov_b32 s0, -1
                                        ; implicit-def: $vgpr5
.LBB167_2673:
	v_mov_b32_e32 v7, 0
.LBB167_2674:
	s_mov_b32 s8, 0
.LBB167_2675:
	s_delay_alu instid0(SALU_CYCLE_1)
	s_and_b32 vcc_lo, exec_lo, s8
	s_cbranch_vccz .LBB167_2680
; %bb.2676:
	s_cmp_eq_u32 s16, 29
	s_cbranch_scc0 .LBB167_2678
; %bb.2677:
	global_load_b64 v[10:11], v[8:9], off
	s_mov_b32 s0, 0
	s_mov_b32 s7, -1
	s_wait_loadcnt 0x0
	v_clz_i32_u32_e32 v5, v11
	s_delay_alu instid0(VALU_DEP_1) | instskip(NEXT) | instid1(VALU_DEP_1)
	v_min_u32_e32 v5, 32, v5
	v_lshlrev_b64_e32 v[10:11], v5, v[10:11]
	v_sub_nc_u32_e32 v5, 32, v5
	s_delay_alu instid0(VALU_DEP_2) | instskip(NEXT) | instid1(VALU_DEP_1)
	v_min_u32_e32 v7, 1, v10
	v_or_b32_e32 v7, v11, v7
	s_delay_alu instid0(VALU_DEP_1) | instskip(NEXT) | instid1(VALU_DEP_1)
	v_cvt_f32_u32_e32 v7, v7
	v_ldexp_f32 v5, v7, v5
	s_delay_alu instid0(VALU_DEP_1) | instskip(NEXT) | instid1(VALU_DEP_1)
	v_bfe_u32 v7, v5, 16, 1
	v_add3_u32 v5, v5, v7, 0x7fff
	s_delay_alu instid0(VALU_DEP_1)
	v_lshrrev_b32_e32 v5, 16, v5
	s_branch .LBB167_2679
.LBB167_2678:
	s_mov_b32 s0, -1
                                        ; implicit-def: $vgpr5
.LBB167_2679:
	v_mov_b32_e32 v7, 0
.LBB167_2680:
	s_mov_b32 s8, 0
.LBB167_2681:
	s_delay_alu instid0(SALU_CYCLE_1)
	s_and_b32 vcc_lo, exec_lo, s8
	s_cbranch_vccz .LBB167_2699
; %bb.2682:
	s_cmp_lt_i32 s16, 27
	s_cbranch_scc1 .LBB167_2685
; %bb.2683:
	s_cmp_gt_i32 s16, 27
	s_cbranch_scc0 .LBB167_2686
; %bb.2684:
	global_load_b32 v5, v[8:9], off
	s_mov_b32 s7, 0
	s_wait_loadcnt 0x0
	v_cvt_f32_u32_e32 v5, v5
	s_delay_alu instid0(VALU_DEP_1) | instskip(NEXT) | instid1(VALU_DEP_1)
	v_bfe_u32 v7, v5, 16, 1
	v_add3_u32 v5, v5, v7, 0x7fff
	s_delay_alu instid0(VALU_DEP_1)
	v_lshrrev_b32_e32 v5, 16, v5
	s_branch .LBB167_2687
.LBB167_2685:
	s_mov_b32 s7, -1
                                        ; implicit-def: $vgpr5
	s_branch .LBB167_2690
.LBB167_2686:
	s_mov_b32 s7, -1
                                        ; implicit-def: $vgpr5
.LBB167_2687:
	s_delay_alu instid0(SALU_CYCLE_1)
	s_and_not1_b32 vcc_lo, exec_lo, s7
	s_cbranch_vccnz .LBB167_2689
; %bb.2688:
	global_load_u16 v5, v[8:9], off
	s_wait_loadcnt 0x0
	v_cvt_f32_u32_e32 v5, v5
	s_delay_alu instid0(VALU_DEP_1) | instskip(NEXT) | instid1(VALU_DEP_1)
	v_bfe_u32 v7, v5, 16, 1
	v_add3_u32 v5, v5, v7, 0x7fff
	s_delay_alu instid0(VALU_DEP_1)
	v_lshrrev_b32_e32 v5, 16, v5
.LBB167_2689:
	s_mov_b32 s7, 0
.LBB167_2690:
	s_delay_alu instid0(SALU_CYCLE_1)
	s_and_not1_b32 vcc_lo, exec_lo, s7
	s_cbranch_vccnz .LBB167_2698
; %bb.2691:
	global_load_u8 v5, v[8:9], off
	s_mov_b32 s7, 0
	s_mov_b32 s8, exec_lo
	s_wait_loadcnt 0x0
	v_cmpx_lt_i16_e32 0x7f, v5
	s_xor_b32 s8, exec_lo, s8
	s_cbranch_execz .LBB167_2724
; %bb.2692:
	s_mov_b32 s7, -1
	s_mov_b32 s9, exec_lo
	v_cmpx_eq_u16_e32 0x80, v5
; %bb.2693:
	s_xor_b32 s7, exec_lo, -1
; %bb.2694:
	s_or_b32 exec_lo, exec_lo, s9
	s_delay_alu instid0(SALU_CYCLE_1)
	s_and_b32 s7, s7, exec_lo
	s_or_saveexec_b32 s8, s8
	v_mov_b32_e32 v7, 0x7f800001
	s_xor_b32 exec_lo, exec_lo, s8
	s_cbranch_execnz .LBB167_2725
.LBB167_2695:
	s_or_b32 exec_lo, exec_lo, s8
	s_and_saveexec_b32 s8, s7
	s_cbranch_execz .LBB167_2697
.LBB167_2696:
	v_and_b32_e32 v7, 0xffff, v5
	s_delay_alu instid0(VALU_DEP_1) | instskip(SKIP_1) | instid1(VALU_DEP_2)
	v_dual_lshlrev_b32 v5, 24, v5 :: v_dual_bitop2_b32 v10, 7, v7 bitop3:0x40
	v_bfe_u32 v13, v7, 3, 4
	v_and_b32_e32 v5, 0x80000000, v5
	s_delay_alu instid0(VALU_DEP_3) | instskip(NEXT) | instid1(VALU_DEP_3)
	v_clz_i32_u32_e32 v11, v10
	v_cmp_eq_u32_e32 vcc_lo, 0, v13
	s_delay_alu instid0(VALU_DEP_2) | instskip(NEXT) | instid1(VALU_DEP_1)
	v_min_u32_e32 v11, 32, v11
	v_subrev_nc_u32_e32 v12, 28, v11
	v_sub_nc_u32_e32 v11, 29, v11
	s_delay_alu instid0(VALU_DEP_2) | instskip(NEXT) | instid1(VALU_DEP_2)
	v_lshlrev_b32_e32 v7, v12, v7
	v_cndmask_b32_e32 v11, v13, v11, vcc_lo
	s_delay_alu instid0(VALU_DEP_2) | instskip(NEXT) | instid1(VALU_DEP_1)
	v_and_b32_e32 v7, 7, v7
	v_cndmask_b32_e32 v7, v10, v7, vcc_lo
	s_delay_alu instid0(VALU_DEP_3) | instskip(NEXT) | instid1(VALU_DEP_2)
	v_lshl_add_u32 v10, v11, 23, 0x3b800000
	v_lshlrev_b32_e32 v7, 20, v7
	s_delay_alu instid0(VALU_DEP_1)
	v_or3_b32 v7, v5, v10, v7
.LBB167_2697:
	s_or_b32 exec_lo, exec_lo, s8
	s_delay_alu instid0(VALU_DEP_1) | instskip(SKIP_1) | instid1(VALU_DEP_2)
	v_bfe_u32 v5, v7, 16, 1
	v_cmp_o_f32_e32 vcc_lo, v7, v7
	v_add3_u32 v5, v7, v5, 0x7fff
	s_delay_alu instid0(VALU_DEP_1) | instskip(NEXT) | instid1(VALU_DEP_1)
	v_lshrrev_b32_e32 v5, 16, v5
	v_cndmask_b32_e32 v5, 0x7fc0, v5, vcc_lo
.LBB167_2698:
	v_mov_b32_e32 v7, 0
	s_mov_b32 s7, -1
.LBB167_2699:
	s_mov_b32 s8, 0
.LBB167_2700:
	s_delay_alu instid0(SALU_CYCLE_1)
	s_and_b32 vcc_lo, exec_lo, s8
	s_cbranch_vccz .LBB167_2711
; %bb.2701:
	s_cmp_gt_i32 s16, 22
	s_cbranch_scc0 .LBB167_2722
; %bb.2702:
	s_cmp_lt_i32 s16, 24
	s_cbranch_scc1 .LBB167_2726
; %bb.2703:
	s_cmp_gt_i32 s16, 24
	s_cbranch_scc0 .LBB167_2728
; %bb.2704:
	global_load_u8 v5, v[8:9], off
	s_mov_b32 s7, exec_lo
	s_wait_loadcnt 0x0
	v_cmpx_lt_i16_e32 0x7f, v5
	s_xor_b32 s7, exec_lo, s7
	s_cbranch_execz .LBB167_2740
; %bb.2705:
	s_mov_b32 s6, -1
	s_mov_b32 s8, exec_lo
	v_cmpx_eq_u16_e32 0x80, v5
; %bb.2706:
	s_xor_b32 s6, exec_lo, -1
; %bb.2707:
	s_or_b32 exec_lo, exec_lo, s8
	s_delay_alu instid0(SALU_CYCLE_1)
	s_and_b32 s6, s6, exec_lo
	s_or_saveexec_b32 s7, s7
	v_mov_b32_e32 v7, 0x7f800001
	s_xor_b32 exec_lo, exec_lo, s7
	s_cbranch_execnz .LBB167_2741
.LBB167_2708:
	s_or_b32 exec_lo, exec_lo, s7
	s_and_saveexec_b32 s7, s6
	s_cbranch_execz .LBB167_2710
.LBB167_2709:
	v_and_b32_e32 v7, 0xffff, v5
	s_delay_alu instid0(VALU_DEP_1) | instskip(SKIP_1) | instid1(VALU_DEP_2)
	v_dual_lshlrev_b32 v5, 24, v5 :: v_dual_bitop2_b32 v10, 3, v7 bitop3:0x40
	v_bfe_u32 v13, v7, 2, 5
	v_and_b32_e32 v5, 0x80000000, v5
	s_delay_alu instid0(VALU_DEP_3) | instskip(NEXT) | instid1(VALU_DEP_3)
	v_clz_i32_u32_e32 v11, v10
	v_cmp_eq_u32_e32 vcc_lo, 0, v13
	s_delay_alu instid0(VALU_DEP_2) | instskip(NEXT) | instid1(VALU_DEP_1)
	v_min_u32_e32 v11, 32, v11
	v_subrev_nc_u32_e32 v12, 29, v11
	v_sub_nc_u32_e32 v11, 30, v11
	s_delay_alu instid0(VALU_DEP_2) | instskip(NEXT) | instid1(VALU_DEP_2)
	v_lshlrev_b32_e32 v7, v12, v7
	v_cndmask_b32_e32 v11, v13, v11, vcc_lo
	s_delay_alu instid0(VALU_DEP_2) | instskip(NEXT) | instid1(VALU_DEP_1)
	v_and_b32_e32 v7, 3, v7
	v_cndmask_b32_e32 v7, v10, v7, vcc_lo
	s_delay_alu instid0(VALU_DEP_3) | instskip(NEXT) | instid1(VALU_DEP_2)
	v_lshl_add_u32 v10, v11, 23, 0x37800000
	v_lshlrev_b32_e32 v7, 21, v7
	s_delay_alu instid0(VALU_DEP_1)
	v_or3_b32 v7, v5, v10, v7
.LBB167_2710:
	s_or_b32 exec_lo, exec_lo, s7
	s_delay_alu instid0(VALU_DEP_1) | instskip(SKIP_2) | instid1(VALU_DEP_2)
	v_bfe_u32 v5, v7, 16, 1
	v_cmp_o_f32_e32 vcc_lo, v7, v7
	s_mov_b32 s6, 0
	v_add3_u32 v5, v7, v5, 0x7fff
	s_delay_alu instid0(VALU_DEP_1) | instskip(NEXT) | instid1(VALU_DEP_1)
	v_lshrrev_b32_e32 v5, 16, v5
	v_cndmask_b32_e32 v5, 0x7fc0, v5, vcc_lo
	s_branch .LBB167_2729
.LBB167_2711:
	s_and_b32 vcc_lo, exec_lo, s0
	s_cbranch_vccnz .LBB167_2759
.LBB167_2712:
	s_and_not1_b32 vcc_lo, exec_lo, s6
	s_cbranch_vccnz .LBB167_2714
.LBB167_2713:
	s_wait_loadcnt 0x0
	global_load_u8 v5, v[8:9], off
	s_mov_b32 s7, -1
	v_mov_b32_e32 v7, 0
	s_wait_loadcnt 0x0
	v_cmp_ne_u16_e32 vcc_lo, 0, v5
	v_cndmask_b32_e64 v5, 0, 1.0, vcc_lo
	s_delay_alu instid0(VALU_DEP_1)
	v_lshrrev_b32_e32 v5, 16, v5
.LBB167_2714:
	s_mov_b32 s0, 0
.LBB167_2715:
	s_delay_alu instid0(SALU_CYCLE_1)
	s_and_b32 vcc_lo, exec_lo, s0
	s_cbranch_vccz .LBB167_2790
; %bb.2716:
	s_cmp_lt_i32 s16, 5
	s_cbranch_scc1 .LBB167_2721
; %bb.2717:
	s_cmp_lt_i32 s16, 8
	s_cbranch_scc1 .LBB167_2723
	;; [unrolled: 3-line block ×3, first 2 shown]
; %bb.2719:
	s_cmp_gt_i32 s16, 9
	s_cbranch_scc0 .LBB167_2742
; %bb.2720:
	global_load_b128 v[10:13], v[8:9], off
	s_mov_b32 s0, 0
	s_wait_loadcnt 0x0
	v_cvt_f32_f64_e32 v5, v[10:11]
	v_cvt_f32_f64_e32 v7, v[12:13]
	s_delay_alu instid0(VALU_DEP_2) | instskip(NEXT) | instid1(VALU_DEP_2)
	v_bfe_u32 v10, v5, 16, 1
	v_bfe_u32 v11, v7, 16, 1
	v_cmp_o_f32_e32 vcc_lo, v5, v5
	s_delay_alu instid0(VALU_DEP_3) | instskip(NEXT) | instid1(VALU_DEP_3)
	v_add3_u32 v10, v5, v10, 0x7fff
	v_add3_u32 v11, v7, v11, 0x7fff
	s_delay_alu instid0(VALU_DEP_1) | instskip(NEXT) | instid1(VALU_DEP_3)
	v_and_b32_e32 v11, 0xffff0000, v11
	v_lshrrev_b32_e32 v10, 16, v10
	s_delay_alu instid0(VALU_DEP_1) | instskip(SKIP_1) | instid1(VALU_DEP_4)
	v_cndmask_b32_e32 v5, 0x7fc0, v10, vcc_lo
	v_cmp_o_f32_e32 vcc_lo, v7, v7
	v_cndmask_b32_e32 v7, 0x7fc00000, v11, vcc_lo
	s_branch .LBB167_2743
.LBB167_2721:
	s_mov_b32 s0, -1
                                        ; implicit-def: $vgpr7
                                        ; implicit-def: $vgpr5
	s_branch .LBB167_2768
.LBB167_2722:
	s_mov_b32 s6, -1
                                        ; implicit-def: $vgpr5
	s_branch .LBB167_2735
.LBB167_2723:
	s_mov_b32 s0, -1
                                        ; implicit-def: $vgpr7
                                        ; implicit-def: $vgpr5
	s_branch .LBB167_2749
.LBB167_2724:
	s_or_saveexec_b32 s8, s8
	v_mov_b32_e32 v7, 0x7f800001
	s_xor_b32 exec_lo, exec_lo, s8
	s_cbranch_execz .LBB167_2695
.LBB167_2725:
	v_cmp_ne_u16_e32 vcc_lo, 0, v5
	v_mov_b32_e32 v7, 0
	s_and_not1_b32 s7, s7, exec_lo
	s_and_b32 s9, vcc_lo, exec_lo
	s_delay_alu instid0(SALU_CYCLE_1)
	s_or_b32 s7, s7, s9
	s_or_b32 exec_lo, exec_lo, s8
	s_and_saveexec_b32 s8, s7
	s_cbranch_execnz .LBB167_2696
	s_branch .LBB167_2697
.LBB167_2726:
	s_mov_b32 s6, -1
                                        ; implicit-def: $vgpr5
	s_branch .LBB167_2732
.LBB167_2727:
	s_mov_b32 s0, -1
                                        ; implicit-def: $vgpr7
                                        ; implicit-def: $vgpr5
	s_branch .LBB167_2746
.LBB167_2728:
	s_mov_b32 s6, -1
                                        ; implicit-def: $vgpr5
.LBB167_2729:
	s_delay_alu instid0(SALU_CYCLE_1)
	s_and_b32 vcc_lo, exec_lo, s6
	s_cbranch_vccz .LBB167_2731
; %bb.2730:
	global_load_u8 v5, v[8:9], off
	s_wait_loadcnt 0x0
	v_lshlrev_b32_e32 v5, 24, v5
	s_delay_alu instid0(VALU_DEP_1) | instskip(SKIP_1) | instid1(VALU_DEP_1)
	v_and_b32_e32 v7, 0x7f000000, v5
	s_wait_xcnt 0x1
	v_clz_i32_u32_e32 v10, v7
	v_cmp_ne_u32_e32 vcc_lo, 0, v7
	v_add_nc_u32_e32 v12, 0x1000000, v7
	s_delay_alu instid0(VALU_DEP_3) | instskip(NEXT) | instid1(VALU_DEP_1)
	v_min_u32_e32 v10, 32, v10
	v_sub_nc_u32_e64 v10, v10, 4 clamp
	s_delay_alu instid0(VALU_DEP_1) | instskip(NEXT) | instid1(VALU_DEP_1)
	v_dual_lshlrev_b32 v11, v10, v7 :: v_dual_lshlrev_b32 v10, 23, v10
	v_lshrrev_b32_e32 v11, 4, v11
	s_delay_alu instid0(VALU_DEP_1) | instskip(NEXT) | instid1(VALU_DEP_1)
	v_dual_sub_nc_u32 v10, v11, v10 :: v_dual_ashrrev_i32 v11, 8, v12
	v_add_nc_u32_e32 v10, 0x3c000000, v10
	s_delay_alu instid0(VALU_DEP_1) | instskip(NEXT) | instid1(VALU_DEP_1)
	v_and_or_b32 v10, 0x7f800000, v11, v10
	v_cndmask_b32_e32 v7, 0, v10, vcc_lo
	s_delay_alu instid0(VALU_DEP_1) | instskip(SKIP_1) | instid1(VALU_DEP_2)
	v_and_or_b32 v5, 0x80000000, v5, v7
	v_bfe_u32 v7, v7, 16, 1
	v_cmp_o_f32_e32 vcc_lo, v5, v5
	s_delay_alu instid0(VALU_DEP_2) | instskip(NEXT) | instid1(VALU_DEP_1)
	v_add3_u32 v7, v5, v7, 0x7fff
	v_lshrrev_b32_e32 v7, 16, v7
	s_delay_alu instid0(VALU_DEP_1)
	v_cndmask_b32_e32 v5, 0x7fc0, v7, vcc_lo
.LBB167_2731:
	s_mov_b32 s6, 0
.LBB167_2732:
	s_delay_alu instid0(SALU_CYCLE_1)
	s_and_not1_b32 vcc_lo, exec_lo, s6
	s_cbranch_vccnz .LBB167_2734
; %bb.2733:
	global_load_u8 v5, v[8:9], off
	s_wait_loadcnt 0x0
	v_lshlrev_b32_e32 v7, 25, v5
	v_lshlrev_b16 v5, 8, v5
	s_wait_xcnt 0x1
	s_delay_alu instid0(VALU_DEP_1) | instskip(SKIP_1) | instid1(VALU_DEP_2)
	v_and_or_b32 v11, 0x7f00, v5, 0.5
	v_bfe_i32 v5, v5, 0, 16
	v_add_f32_e32 v11, -0.5, v11
	v_lshrrev_b32_e32 v10, 4, v7
	v_cmp_gt_u32_e32 vcc_lo, 0x8000000, v7
	s_delay_alu instid0(VALU_DEP_2) | instskip(NEXT) | instid1(VALU_DEP_1)
	v_or_b32_e32 v10, 0x70000000, v10
	v_mul_f32_e32 v10, 0x7800000, v10
	s_delay_alu instid0(VALU_DEP_1) | instskip(NEXT) | instid1(VALU_DEP_1)
	v_cndmask_b32_e32 v7, v10, v11, vcc_lo
	v_and_or_b32 v5, 0x80000000, v5, v7
	v_bfe_u32 v7, v7, 16, 1
	s_delay_alu instid0(VALU_DEP_2) | instskip(NEXT) | instid1(VALU_DEP_2)
	v_cmp_o_f32_e32 vcc_lo, v5, v5
	v_add3_u32 v7, v5, v7, 0x7fff
	s_delay_alu instid0(VALU_DEP_1) | instskip(NEXT) | instid1(VALU_DEP_1)
	v_lshrrev_b32_e32 v7, 16, v7
	v_cndmask_b32_e32 v5, 0x7fc0, v7, vcc_lo
.LBB167_2734:
	s_mov_b32 s6, 0
	s_mov_b32 s7, -1
.LBB167_2735:
	s_and_not1_b32 vcc_lo, exec_lo, s6
	s_mov_b32 s6, 0
	s_cbranch_vccnz .LBB167_2758
; %bb.2736:
	s_cmp_gt_i32 s16, 14
	s_cbranch_scc0 .LBB167_2739
; %bb.2737:
	s_cmp_eq_u32 s16, 15
	s_cbranch_scc0 .LBB167_2754
; %bb.2738:
	global_load_u16 v5, v[8:9], off
	s_mov_b32 s0, 0
	s_mov_b32 s7, -1
	s_branch .LBB167_2756
.LBB167_2739:
	s_mov_b32 s6, -1
	s_branch .LBB167_2755
.LBB167_2740:
	s_or_saveexec_b32 s7, s7
	v_mov_b32_e32 v7, 0x7f800001
	s_xor_b32 exec_lo, exec_lo, s7
	s_cbranch_execz .LBB167_2708
.LBB167_2741:
	v_cmp_ne_u16_e32 vcc_lo, 0, v5
	v_mov_b32_e32 v7, 0
	s_and_not1_b32 s6, s6, exec_lo
	s_and_b32 s8, vcc_lo, exec_lo
	s_delay_alu instid0(SALU_CYCLE_1)
	s_or_b32 s6, s6, s8
	s_or_b32 exec_lo, exec_lo, s7
	s_and_saveexec_b32 s7, s6
	s_cbranch_execnz .LBB167_2709
	s_branch .LBB167_2710
.LBB167_2742:
	s_mov_b32 s0, -1
                                        ; implicit-def: $vgpr7
                                        ; implicit-def: $vgpr5
.LBB167_2743:
	s_delay_alu instid0(SALU_CYCLE_1)
	s_and_not1_b32 vcc_lo, exec_lo, s0
	s_cbranch_vccnz .LBB167_2745
; %bb.2744:
	global_load_b64 v[10:11], v[8:9], off
	s_wait_loadcnt 0x0
	v_bfe_u32 v5, v10, 16, 1
	v_bfe_u32 v7, v11, 16, 1
	v_cmp_o_f32_e32 vcc_lo, v10, v10
	s_delay_alu instid0(VALU_DEP_3) | instskip(NEXT) | instid1(VALU_DEP_3)
	v_add3_u32 v5, v10, v5, 0x7fff
	v_add3_u32 v7, v11, v7, 0x7fff
	s_delay_alu instid0(VALU_DEP_2) | instskip(NEXT) | instid1(VALU_DEP_2)
	v_lshrrev_b32_e32 v5, 16, v5
	v_and_b32_e32 v7, 0xffff0000, v7
	s_delay_alu instid0(VALU_DEP_2) | instskip(SKIP_1) | instid1(VALU_DEP_3)
	v_cndmask_b32_e32 v5, 0x7fc0, v5, vcc_lo
	v_cmp_o_f32_e32 vcc_lo, v11, v11
	v_cndmask_b32_e32 v7, 0x7fc00000, v7, vcc_lo
.LBB167_2745:
	s_mov_b32 s0, 0
.LBB167_2746:
	s_delay_alu instid0(SALU_CYCLE_1)
	s_and_not1_b32 vcc_lo, exec_lo, s0
	s_cbranch_vccnz .LBB167_2748
; %bb.2747:
	s_wait_loadcnt 0x0
	global_load_b32 v5, v[8:9], off
	s_wait_loadcnt 0x0
	s_wait_xcnt 0x1
	v_cvt_f32_f16_e32 v10, v5
	v_cmp_o_f16_e32 vcc_lo, v5, v5
	s_delay_alu instid0(VALU_DEP_2) | instskip(NEXT) | instid1(VALU_DEP_1)
	v_bfe_u32 v12, v10, 16, 1
	v_add3_u32 v10, v10, v12, 0x7fff
	s_delay_alu instid0(VALU_DEP_1) | instskip(NEXT) | instid1(VALU_DEP_1)
	v_dual_lshrrev_b32 v7, 16, v5 :: v_dual_lshrrev_b32 v10, 16, v10
	v_cvt_f32_f16_e32 v11, v7
	s_delay_alu instid0(VALU_DEP_2) | instskip(NEXT) | instid1(VALU_DEP_2)
	v_cndmask_b32_e32 v5, 0x7fc0, v10, vcc_lo
	v_bfe_u32 v13, v11, 16, 1
	v_cmp_o_f16_e32 vcc_lo, v7, v7
	s_delay_alu instid0(VALU_DEP_2) | instskip(NEXT) | instid1(VALU_DEP_1)
	v_add3_u32 v11, v11, v13, 0x7fff
	v_and_b32_e32 v11, 0xffff0000, v11
	s_delay_alu instid0(VALU_DEP_1)
	v_cndmask_b32_e32 v7, 0x7fc00000, v11, vcc_lo
.LBB167_2748:
	s_mov_b32 s0, 0
.LBB167_2749:
	s_delay_alu instid0(SALU_CYCLE_1)
	s_and_not1_b32 vcc_lo, exec_lo, s0
	s_cbranch_vccnz .LBB167_2767
; %bb.2750:
	s_cmp_lt_i32 s16, 6
	s_cbranch_scc1 .LBB167_2753
; %bb.2751:
	s_cmp_gt_i32 s16, 6
	s_cbranch_scc0 .LBB167_2760
; %bb.2752:
	global_load_b64 v[10:11], v[8:9], off
	s_mov_b32 s0, 0
	s_wait_loadcnt 0x0
	v_cvt_f32_f64_e32 v5, v[10:11]
	s_delay_alu instid0(VALU_DEP_1) | instskip(SKIP_1) | instid1(VALU_DEP_2)
	v_bfe_u32 v7, v5, 16, 1
	v_cmp_o_f32_e32 vcc_lo, v5, v5
	v_add3_u32 v7, v5, v7, 0x7fff
	s_delay_alu instid0(VALU_DEP_1) | instskip(NEXT) | instid1(VALU_DEP_1)
	v_lshrrev_b32_e32 v7, 16, v7
	v_cndmask_b32_e32 v5, 0x7fc0, v7, vcc_lo
	s_branch .LBB167_2761
.LBB167_2753:
	s_mov_b32 s0, -1
                                        ; implicit-def: $vgpr5
	s_branch .LBB167_2764
.LBB167_2754:
	s_mov_b32 s0, -1
.LBB167_2755:
                                        ; implicit-def: $vgpr5
.LBB167_2756:
	s_and_b32 vcc_lo, exec_lo, s6
	s_mov_b32 s6, 0
	s_cbranch_vccz .LBB167_2758
; %bb.2757:
	s_cmp_lg_u32 s16, 11
	s_mov_b32 s6, -1
	s_cselect_b32 s0, -1, 0
.LBB167_2758:
	v_mov_b32_e32 v7, 0
	s_and_b32 vcc_lo, exec_lo, s0
	s_cbranch_vccz .LBB167_2712
.LBB167_2759:
	s_or_b32 s1, s1, exec_lo
	s_trap 2
	s_cbranch_execz .LBB167_2713
	s_branch .LBB167_2714
.LBB167_2760:
	s_mov_b32 s0, -1
                                        ; implicit-def: $vgpr5
.LBB167_2761:
	s_delay_alu instid0(SALU_CYCLE_1)
	s_and_not1_b32 vcc_lo, exec_lo, s0
	s_cbranch_vccnz .LBB167_2763
; %bb.2762:
	s_wait_loadcnt 0x0
	global_load_b32 v5, v[8:9], off
	s_wait_loadcnt 0x0
	v_bfe_u32 v7, v5, 16, 1
	v_cmp_o_f32_e32 vcc_lo, v5, v5
	s_delay_alu instid0(VALU_DEP_2) | instskip(NEXT) | instid1(VALU_DEP_1)
	v_add3_u32 v7, v5, v7, 0x7fff
	v_lshrrev_b32_e32 v7, 16, v7
	s_delay_alu instid0(VALU_DEP_1)
	v_cndmask_b32_e32 v5, 0x7fc0, v7, vcc_lo
.LBB167_2763:
	s_mov_b32 s0, 0
.LBB167_2764:
	s_delay_alu instid0(SALU_CYCLE_1)
	s_and_not1_b32 vcc_lo, exec_lo, s0
	s_cbranch_vccnz .LBB167_2766
; %bb.2765:
	s_wait_loadcnt 0x0
	global_load_u16 v5, v[8:9], off
	s_wait_loadcnt 0x0
	v_cvt_f32_f16_e32 v7, v5
	v_cmp_o_f16_e32 vcc_lo, v5, v5
	s_wait_xcnt 0x1
	s_delay_alu instid0(VALU_DEP_2) | instskip(NEXT) | instid1(VALU_DEP_1)
	v_bfe_u32 v10, v7, 16, 1
	v_add3_u32 v7, v7, v10, 0x7fff
	s_delay_alu instid0(VALU_DEP_1) | instskip(NEXT) | instid1(VALU_DEP_1)
	v_lshrrev_b32_e32 v7, 16, v7
	v_cndmask_b32_e32 v5, 0x7fc0, v7, vcc_lo
.LBB167_2766:
	v_mov_b32_e32 v7, 0
.LBB167_2767:
	s_mov_b32 s0, 0
.LBB167_2768:
	s_delay_alu instid0(SALU_CYCLE_1)
	s_and_not1_b32 vcc_lo, exec_lo, s0
	s_cbranch_vccnz .LBB167_2789
; %bb.2769:
	s_cmp_lt_i32 s16, 2
	s_cbranch_scc1 .LBB167_2773
; %bb.2770:
	s_cmp_lt_i32 s16, 3
	s_cbranch_scc1 .LBB167_2774
; %bb.2771:
	s_cmp_gt_i32 s16, 3
	s_cbranch_scc0 .LBB167_2775
; %bb.2772:
	global_load_b64 v[10:11], v[8:9], off
	s_mov_b32 s0, 0
	s_wait_loadcnt 0x0
	v_xor_b32_e32 v5, v10, v11
	v_cls_i32_e32 v7, v11
	s_delay_alu instid0(VALU_DEP_2) | instskip(NEXT) | instid1(VALU_DEP_1)
	v_ashrrev_i32_e32 v5, 31, v5
	v_add_nc_u32_e32 v5, 32, v5
	s_delay_alu instid0(VALU_DEP_1) | instskip(NEXT) | instid1(VALU_DEP_1)
	v_add_min_u32_e64 v5, v7, -1, v5
	v_lshlrev_b64_e32 v[10:11], v5, v[10:11]
	v_sub_nc_u32_e32 v5, 32, v5
	s_delay_alu instid0(VALU_DEP_2) | instskip(NEXT) | instid1(VALU_DEP_1)
	v_min_u32_e32 v7, 1, v10
	v_or_b32_e32 v7, v11, v7
	s_delay_alu instid0(VALU_DEP_1) | instskip(NEXT) | instid1(VALU_DEP_1)
	v_cvt_f32_i32_e32 v7, v7
	v_ldexp_f32 v5, v7, v5
	s_delay_alu instid0(VALU_DEP_1) | instskip(NEXT) | instid1(VALU_DEP_1)
	v_bfe_u32 v7, v5, 16, 1
	v_add3_u32 v5, v5, v7, 0x7fff
	s_delay_alu instid0(VALU_DEP_1)
	v_lshrrev_b32_e32 v5, 16, v5
	s_branch .LBB167_2776
.LBB167_2773:
	s_mov_b32 s0, -1
                                        ; implicit-def: $vgpr5
	s_branch .LBB167_2782
.LBB167_2774:
	s_mov_b32 s0, -1
                                        ; implicit-def: $vgpr5
	s_branch .LBB167_2779
.LBB167_2775:
	s_mov_b32 s0, -1
                                        ; implicit-def: $vgpr5
.LBB167_2776:
	s_delay_alu instid0(SALU_CYCLE_1)
	s_and_not1_b32 vcc_lo, exec_lo, s0
	s_cbranch_vccnz .LBB167_2778
; %bb.2777:
	s_wait_loadcnt 0x0
	global_load_b32 v5, v[8:9], off
	s_wait_loadcnt 0x0
	v_cvt_f32_i32_e32 v5, v5
	s_delay_alu instid0(VALU_DEP_1) | instskip(NEXT) | instid1(VALU_DEP_1)
	v_bfe_u32 v7, v5, 16, 1
	v_add3_u32 v5, v5, v7, 0x7fff
	s_delay_alu instid0(VALU_DEP_1)
	v_lshrrev_b32_e32 v5, 16, v5
.LBB167_2778:
	s_mov_b32 s0, 0
.LBB167_2779:
	s_delay_alu instid0(SALU_CYCLE_1)
	s_and_not1_b32 vcc_lo, exec_lo, s0
	s_cbranch_vccnz .LBB167_2781
; %bb.2780:
	s_wait_loadcnt 0x0
	global_load_i16 v5, v[8:9], off
	s_wait_loadcnt 0x0
	v_cvt_f32_i32_e32 v5, v5
	s_delay_alu instid0(VALU_DEP_1) | instskip(NEXT) | instid1(VALU_DEP_1)
	v_bfe_u32 v7, v5, 16, 1
	v_add3_u32 v5, v5, v7, 0x7fff
	s_delay_alu instid0(VALU_DEP_1)
	v_lshrrev_b32_e32 v5, 16, v5
.LBB167_2781:
	s_mov_b32 s0, 0
.LBB167_2782:
	s_delay_alu instid0(SALU_CYCLE_1)
	s_and_not1_b32 vcc_lo, exec_lo, s0
	s_cbranch_vccnz .LBB167_2788
; %bb.2783:
	s_cmp_gt_i32 s16, 0
	s_mov_b32 s0, 0
	s_cbranch_scc0 .LBB167_2785
; %bb.2784:
	s_wait_loadcnt 0x0
	global_load_i8 v5, v[8:9], off
	s_wait_loadcnt 0x0
	v_cvt_f32_i32_e32 v5, v5
	s_delay_alu instid0(VALU_DEP_1) | instskip(NEXT) | instid1(VALU_DEP_1)
	v_bfe_u32 v7, v5, 16, 1
	v_add3_u32 v5, v5, v7, 0x7fff
	s_delay_alu instid0(VALU_DEP_1)
	v_lshrrev_b32_e32 v5, 16, v5
	s_branch .LBB167_2786
.LBB167_2785:
	s_mov_b32 s0, -1
                                        ; implicit-def: $vgpr5
.LBB167_2786:
	s_delay_alu instid0(SALU_CYCLE_1)
	s_and_not1_b32 vcc_lo, exec_lo, s0
	s_cbranch_vccnz .LBB167_2788
; %bb.2787:
	s_wait_loadcnt 0x0
	global_load_u8 v5, v[8:9], off
	s_wait_loadcnt 0x0
	v_cvt_f32_ubyte0_e32 v5, v5
	s_delay_alu instid0(VALU_DEP_1) | instskip(NEXT) | instid1(VALU_DEP_1)
	v_bfe_u32 v7, v5, 16, 1
	v_add3_u32 v5, v5, v7, 0x7fff
	s_delay_alu instid0(VALU_DEP_1)
	v_lshrrev_b32_e32 v5, 16, v5
.LBB167_2788:
	v_mov_b32_e32 v7, 0
.LBB167_2789:
	s_mov_b32 s7, -1
.LBB167_2790:
	s_delay_alu instid0(SALU_CYCLE_1)
	s_and_not1_b32 vcc_lo, exec_lo, s7
	s_cbranch_vccnz .LBB167_2793
; %bb.2791:
	s_wait_loadcnt 0x0
	v_and_b32_e32 v5, 0xffff, v5
	v_and_b32_e32 v1, 0xffff, v1
	s_and_b32 vcc_lo, exec_lo, s13
	s_wait_xcnt 0x0
	s_delay_alu instid0(VALU_DEP_1) | instskip(SKIP_3) | instid1(VALU_DEP_3)
	v_or_b32_e32 v8, v3, v1
	v_or_b32_e32 v5, v7, v5
	v_and_b32_e32 v1, 0xffff0000, v7
	v_and_b32_e32 v3, 0xffff0000, v3
	v_dual_lshlrev_b32 v7, 16, v8 :: v_dual_lshlrev_b32 v5, 16, v5
	s_cbranch_vccz .LBB167_2839
; %bb.2792:
	s_delay_alu instid0(VALU_DEP_1) | instskip(NEXT) | instid1(VALU_DEP_3)
	v_cmp_neq_f32_e32 vcc_lo, v7, v5
	v_cmp_neq_f32_e64 s0, v3, v1
	s_or_b32 s6, vcc_lo, s0
	s_mov_b32 s0, 0
	s_branch .LBB167_2840
.LBB167_2793:
	s_mov_b32 s0, 0
	s_mov_b32 s3, 0
                                        ; implicit-def: $sgpr6
.LBB167_2794:
                                        ; implicit-def: $vgpr2_vgpr3
                                        ; implicit-def: $sgpr7
.LBB167_2795:
	s_and_not1_b32 s2, s10, exec_lo
	s_and_b32 s1, s1, exec_lo
	s_and_b32 s0, s0, exec_lo
	;; [unrolled: 1-line block ×3, first 2 shown]
	s_or_b32 s10, s2, s1
.LBB167_2796:
	s_wait_xcnt 0x0
	s_or_b32 exec_lo, exec_lo, s11
	s_and_saveexec_b32 s1, s10
	s_cbranch_execz .LBB167_2799
; %bb.2797:
	; divergent unreachable
	s_or_b32 exec_lo, exec_lo, s1
	s_and_saveexec_b32 s1, s30
	s_delay_alu instid0(SALU_CYCLE_1)
	s_xor_b32 s1, exec_lo, s1
	s_cbranch_execnz .LBB167_2800
.LBB167_2798:
	s_or_b32 exec_lo, exec_lo, s1
	s_and_saveexec_b32 s1, s0
	s_cbranch_execnz .LBB167_2801
	s_branch .LBB167_2838
.LBB167_2799:
	s_or_b32 exec_lo, exec_lo, s1
	s_and_saveexec_b32 s1, s30
	s_delay_alu instid0(SALU_CYCLE_1)
	s_xor_b32 s1, exec_lo, s1
	s_cbranch_execz .LBB167_2798
.LBB167_2800:
	v_cndmask_b32_e64 v0, 0, 1, s6
	s_wait_loadcnt 0x0
	global_store_b8 v[2:3], v0, off
	s_wait_xcnt 0x0
	s_or_b32 exec_lo, exec_lo, s1
	s_and_saveexec_b32 s1, s0
	s_cbranch_execz .LBB167_2838
.LBB167_2801:
	s_sext_i32_i16 s1, s7
	s_mov_b32 s0, -1
	s_cmp_lt_i32 s1, 5
	s_cbranch_scc1 .LBB167_2822
; %bb.2802:
	s_cmp_lt_i32 s1, 8
	s_cbranch_scc1 .LBB167_2812
; %bb.2803:
	;; [unrolled: 3-line block ×3, first 2 shown]
	s_cmp_gt_i32 s1, 9
	s_cbranch_scc0 .LBB167_2806
; %bb.2805:
	v_cndmask_b32_e64 v0, 0, 1, s6
	s_wait_loadcnt 0x0
	v_mov_b32_e32 v6, 0
	s_mov_b32 s0, 0
	s_delay_alu instid0(VALU_DEP_2) | instskip(NEXT) | instid1(VALU_DEP_2)
	v_cvt_f64_u32_e32 v[4:5], v0
	v_mov_b32_e32 v7, v6
	global_store_b128 v[2:3], v[4:7], off
.LBB167_2806:
	s_and_not1_b32 vcc_lo, exec_lo, s0
	s_cbranch_vccnz .LBB167_2808
; %bb.2807:
	v_cndmask_b32_e64 v0, 0, 1.0, s6
	s_wait_loadcnt 0x0
	v_mov_b32_e32 v1, 0
	global_store_b64 v[2:3], v[0:1], off
.LBB167_2808:
	s_mov_b32 s0, 0
.LBB167_2809:
	s_delay_alu instid0(SALU_CYCLE_1)
	s_and_not1_b32 vcc_lo, exec_lo, s0
	s_cbranch_vccnz .LBB167_2811
; %bb.2810:
	s_wait_xcnt 0x0
	v_cndmask_b32_e64 v0, 0, 1.0, s6
	s_delay_alu instid0(VALU_DEP_1) | instskip(NEXT) | instid1(VALU_DEP_1)
	v_cvt_f16_f32_e32 v0, v0
	v_and_b32_e32 v0, 0xffff, v0
	s_wait_loadcnt 0x0
	global_store_b32 v[2:3], v0, off
.LBB167_2811:
	s_mov_b32 s0, 0
.LBB167_2812:
	s_delay_alu instid0(SALU_CYCLE_1)
	s_and_not1_b32 vcc_lo, exec_lo, s0
	s_cbranch_vccnz .LBB167_2821
; %bb.2813:
	s_sext_i32_i16 s1, s7
	s_mov_b32 s0, -1
	s_cmp_lt_i32 s1, 6
	s_cbranch_scc1 .LBB167_2819
; %bb.2814:
	s_cmp_gt_i32 s1, 6
	s_cbranch_scc0 .LBB167_2816
; %bb.2815:
	s_wait_xcnt 0x0
	v_cndmask_b32_e64 v0, 0, 1, s6
	s_mov_b32 s0, 0
	s_wait_loadcnt 0x0
	s_delay_alu instid0(VALU_DEP_1)
	v_cvt_f64_u32_e32 v[0:1], v0
	global_store_b64 v[2:3], v[0:1], off
.LBB167_2816:
	s_and_not1_b32 vcc_lo, exec_lo, s0
	s_cbranch_vccnz .LBB167_2818
; %bb.2817:
	s_wait_xcnt 0x0
	v_cndmask_b32_e64 v0, 0, 1.0, s6
	s_wait_loadcnt 0x0
	global_store_b32 v[2:3], v0, off
.LBB167_2818:
	s_mov_b32 s0, 0
.LBB167_2819:
	s_delay_alu instid0(SALU_CYCLE_1)
	s_and_not1_b32 vcc_lo, exec_lo, s0
	s_cbranch_vccnz .LBB167_2821
; %bb.2820:
	s_wait_xcnt 0x0
	v_cndmask_b32_e64 v0, 0, 1.0, s6
	s_delay_alu instid0(VALU_DEP_1)
	v_cvt_f16_f32_e32 v0, v0
	s_wait_loadcnt 0x0
	global_store_b16 v[2:3], v0, off
.LBB167_2821:
	s_mov_b32 s0, 0
.LBB167_2822:
	s_delay_alu instid0(SALU_CYCLE_1)
	s_and_not1_b32 vcc_lo, exec_lo, s0
	s_cbranch_vccnz .LBB167_2838
; %bb.2823:
	s_sext_i32_i16 s1, s7
	s_mov_b32 s0, -1
	s_cmp_lt_i32 s1, 2
	s_cbranch_scc1 .LBB167_2833
; %bb.2824:
	s_cmp_lt_i32 s1, 3
	s_cbranch_scc1 .LBB167_2830
; %bb.2825:
	s_cmp_gt_i32 s1, 3
	s_cbranch_scc0 .LBB167_2827
; %bb.2826:
	s_mov_b32 s0, 0
	s_wait_xcnt 0x0
	v_cndmask_b32_e64 v0, 0, 1, s6
	s_wait_loadcnt 0x0
	v_mov_b32_e32 v1, s0
	global_store_b64 v[2:3], v[0:1], off
.LBB167_2827:
	s_and_not1_b32 vcc_lo, exec_lo, s0
	s_cbranch_vccnz .LBB167_2829
; %bb.2828:
	s_wait_xcnt 0x0
	v_cndmask_b32_e64 v0, 0, 1, s6
	s_wait_loadcnt 0x0
	global_store_b32 v[2:3], v0, off
.LBB167_2829:
	s_mov_b32 s0, 0
.LBB167_2830:
	s_delay_alu instid0(SALU_CYCLE_1)
	s_and_not1_b32 vcc_lo, exec_lo, s0
	s_cbranch_vccnz .LBB167_2832
; %bb.2831:
	s_wait_xcnt 0x0
	v_cndmask_b32_e64 v0, 0, 1, s6
	s_wait_loadcnt 0x0
	global_store_b16 v[2:3], v0, off
.LBB167_2832:
	s_mov_b32 s0, 0
.LBB167_2833:
	s_delay_alu instid0(SALU_CYCLE_1)
	s_and_not1_b32 vcc_lo, exec_lo, s0
	s_cbranch_vccnz .LBB167_2838
; %bb.2834:
	s_sext_i32_i16 s0, s7
	s_delay_alu instid0(SALU_CYCLE_1)
	s_cmp_gt_i32 s0, 0
	s_mov_b32 s0, -1
	s_cbranch_scc0 .LBB167_2836
; %bb.2835:
	s_wait_xcnt 0x0
	v_cndmask_b32_e64 v0, 0, 1, s6
	s_mov_b32 s0, 0
	s_wait_loadcnt 0x0
	global_store_b8 v[2:3], v0, off
.LBB167_2836:
	s_and_not1_b32 vcc_lo, exec_lo, s0
	s_cbranch_vccnz .LBB167_2838
; %bb.2837:
	s_wait_xcnt 0x0
	v_cndmask_b32_e64 v0, 0, 1, s6
	s_wait_loadcnt 0x0
	global_store_b8 v[2:3], v0, off
	s_endpgm
.LBB167_2838:
	s_endpgm
.LBB167_2839:
	s_mov_b32 s0, -1
                                        ; implicit-def: $sgpr6
.LBB167_2840:
	s_delay_alu instid0(SALU_CYCLE_1)
	s_and_not1_b32 vcc_lo, exec_lo, s0
	s_cbranch_vccnz .LBB167_2842
; %bb.2841:
	v_cmp_eq_f32_e32 vcc_lo, v7, v5
	v_cmp_eq_f32_e64 s0, v3, v1
	s_and_not1_b32 s6, s6, exec_lo
	s_and_b32 s0, vcc_lo, s0
	s_delay_alu instid0(SALU_CYCLE_1) | instskip(NEXT) | instid1(SALU_CYCLE_1)
	s_and_b32 s0, s0, exec_lo
	s_or_b32 s6, s6, s0
.LBB167_2842:
	s_load_b32 s0, s[2:3], 0x1a4
	v_mov_b32_e32 v7, 0
	s_delay_alu instid0(VALU_DEP_1) | instskip(SKIP_2) | instid1(SALU_CYCLE_1)
	v_add_nc_u64_e32 v[6:7], s[4:5], v[6:7]
	s_wait_kmcnt 0x0
	s_and_b32 s7, s0, 0xff
	s_cmp_lt_i32 s7, 11
	s_cbranch_scc1 .LBB167_2920
; %bb.2843:
	s_and_b32 s2, 0xffff, s7
	s_mov_b32 s9, -1
	s_mov_b32 s3, 0
	s_cmp_gt_i32 s2, 25
	s_mov_b32 s8, 0
	s_mov_b32 s0, 0
	s_cbranch_scc0 .LBB167_2876
; %bb.2844:
	s_cmp_gt_i32 s2, 28
	s_cbranch_scc0 .LBB167_2859
; %bb.2845:
	s_cmp_gt_i32 s2, 43
	;; [unrolled: 3-line block ×3, first 2 shown]
	s_cbranch_scc0 .LBB167_2849
; %bb.2847:
	s_mov_b32 s0, -1
	s_mov_b32 s9, 0
	s_cmp_eq_u32 s2, 46
	s_cbranch_scc0 .LBB167_2849
; %bb.2848:
	v_cndmask_b32_e64 v1, 0, 1.0, s12
	s_mov_b32 s0, 0
	s_mov_b32 s8, -1
	s_delay_alu instid0(VALU_DEP_1) | instskip(NEXT) | instid1(VALU_DEP_1)
	v_bfe_u32 v3, v1, 16, 1
	v_add3_u32 v1, v1, v3, 0x7fff
	s_delay_alu instid0(VALU_DEP_1)
	v_lshrrev_b32_e32 v1, 16, v1
	global_store_b32 v[6:7], v1, off
.LBB167_2849:
	s_and_b32 vcc_lo, exec_lo, s9
	s_cbranch_vccz .LBB167_2854
; %bb.2850:
	s_cmp_eq_u32 s2, 44
	s_mov_b32 s0, -1
	s_cbranch_scc0 .LBB167_2854
; %bb.2851:
	v_cndmask_b32_e64 v5, 0, 1.0, s12
	v_mov_b32_e32 v3, 0xff
	s_mov_b32 s8, exec_lo
	s_wait_xcnt 0x0
	s_delay_alu instid0(VALU_DEP_2) | instskip(NEXT) | instid1(VALU_DEP_1)
	v_lshrrev_b32_e32 v1, 23, v5
	v_cmpx_ne_u32_e32 0xff, v1
; %bb.2852:
	v_and_b32_e32 v3, 0x400000, v5
	v_and_or_b32 v5, 0x3fffff, v5, v1
	s_delay_alu instid0(VALU_DEP_2) | instskip(NEXT) | instid1(VALU_DEP_2)
	v_cmp_ne_u32_e32 vcc_lo, 0, v3
	v_cmp_ne_u32_e64 s0, 0, v5
	s_and_b32 s0, vcc_lo, s0
	s_delay_alu instid0(SALU_CYCLE_1) | instskip(NEXT) | instid1(VALU_DEP_1)
	v_cndmask_b32_e64 v3, 0, 1, s0
	v_add_nc_u32_e32 v3, v1, v3
; %bb.2853:
	s_or_b32 exec_lo, exec_lo, s8
	s_mov_b32 s0, 0
	s_mov_b32 s8, -1
	global_store_b8 v[6:7], v3, off
.LBB167_2854:
	s_mov_b32 s9, 0
.LBB167_2855:
	s_delay_alu instid0(SALU_CYCLE_1)
	s_and_b32 vcc_lo, exec_lo, s9
	s_cbranch_vccz .LBB167_2858
; %bb.2856:
	s_cmp_eq_u32 s2, 29
	s_mov_b32 s0, -1
	s_cbranch_scc0 .LBB167_2858
; %bb.2857:
	s_mov_b32 s0, 0
	v_cndmask_b32_e64 v8, 0, 1, s12
	v_mov_b32_e32 v9, s0
	s_mov_b32 s8, -1
	global_store_b64 v[6:7], v[8:9], off
.LBB167_2858:
	s_mov_b32 s9, 0
.LBB167_2859:
	s_delay_alu instid0(SALU_CYCLE_1)
	s_and_b32 vcc_lo, exec_lo, s9
	s_cbranch_vccz .LBB167_2875
; %bb.2860:
	s_cmp_lt_i32 s2, 27
	s_mov_b32 s8, -1
	s_cbranch_scc1 .LBB167_2866
; %bb.2861:
	s_cmp_gt_i32 s2, 27
	s_cbranch_scc0 .LBB167_2863
; %bb.2862:
	s_wait_xcnt 0x0
	v_cndmask_b32_e64 v1, 0, 1, s12
	s_mov_b32 s8, 0
	global_store_b32 v[6:7], v1, off
.LBB167_2863:
	s_and_not1_b32 vcc_lo, exec_lo, s8
	s_cbranch_vccnz .LBB167_2865
; %bb.2864:
	s_wait_xcnt 0x0
	v_cndmask_b32_e64 v1, 0, 1, s12
	global_store_b16 v[6:7], v1, off
.LBB167_2865:
	s_mov_b32 s8, 0
.LBB167_2866:
	s_delay_alu instid0(SALU_CYCLE_1)
	s_and_not1_b32 vcc_lo, exec_lo, s8
	s_cbranch_vccnz .LBB167_2874
; %bb.2867:
	s_wait_xcnt 0x0
	v_cndmask_b32_e64 v3, 0, 1.0, s12
	v_mov_b32_e32 v5, 0x80
	s_mov_b32 s8, exec_lo
	s_delay_alu instid0(VALU_DEP_2)
	v_cmpx_gt_u32_e32 0x43800000, v3
	s_cbranch_execz .LBB167_2873
; %bb.2868:
	s_mov_b32 s9, 0
	s_mov_b32 s13, exec_lo
                                        ; implicit-def: $vgpr1
	v_cmpx_lt_u32_e32 0x3bffffff, v3
	s_xor_b32 s13, exec_lo, s13
	s_cbranch_execz .LBB167_3277
; %bb.2869:
	v_bfe_u32 v1, v3, 20, 1
	s_mov_b32 s9, exec_lo
	s_delay_alu instid0(VALU_DEP_1) | instskip(NEXT) | instid1(VALU_DEP_1)
	v_add3_u32 v1, v3, v1, 0x487ffff
                                        ; implicit-def: $vgpr3
	v_lshrrev_b32_e32 v1, 20, v1
	s_and_not1_saveexec_b32 s13, s13
	s_cbranch_execnz .LBB167_3278
.LBB167_2870:
	s_or_b32 exec_lo, exec_lo, s13
	v_mov_b32_e32 v5, 0
	s_and_saveexec_b32 s13, s9
.LBB167_2871:
	v_mov_b32_e32 v5, v1
.LBB167_2872:
	s_or_b32 exec_lo, exec_lo, s13
.LBB167_2873:
	s_delay_alu instid0(SALU_CYCLE_1)
	s_or_b32 exec_lo, exec_lo, s8
	global_store_b8 v[6:7], v5, off
.LBB167_2874:
	s_mov_b32 s8, -1
.LBB167_2875:
	s_mov_b32 s9, 0
.LBB167_2876:
	s_delay_alu instid0(SALU_CYCLE_1)
	s_and_b32 vcc_lo, exec_lo, s9
	s_cbranch_vccz .LBB167_2916
; %bb.2877:
	s_cmp_gt_i32 s2, 22
	s_mov_b32 s3, -1
	s_cbranch_scc0 .LBB167_2909
; %bb.2878:
	s_cmp_lt_i32 s2, 24
	s_cbranch_scc1 .LBB167_2898
; %bb.2879:
	s_cmp_gt_i32 s2, 24
	s_cbranch_scc0 .LBB167_2887
; %bb.2880:
	s_wait_xcnt 0x0
	v_cndmask_b32_e64 v3, 0, 1.0, s12
	v_mov_b32_e32 v5, 0x80
	s_mov_b32 s3, exec_lo
	s_delay_alu instid0(VALU_DEP_2)
	v_cmpx_gt_u32_e32 0x47800000, v3
	s_cbranch_execz .LBB167_2886
; %bb.2881:
	s_mov_b32 s8, 0
	s_mov_b32 s9, exec_lo
                                        ; implicit-def: $vgpr1
	v_cmpx_lt_u32_e32 0x37ffffff, v3
	s_xor_b32 s9, exec_lo, s9
	s_cbranch_execz .LBB167_3280
; %bb.2882:
	v_bfe_u32 v1, v3, 21, 1
	s_mov_b32 s8, exec_lo
	s_delay_alu instid0(VALU_DEP_1) | instskip(NEXT) | instid1(VALU_DEP_1)
	v_add3_u32 v1, v3, v1, 0x88fffff
                                        ; implicit-def: $vgpr3
	v_lshrrev_b32_e32 v1, 21, v1
	s_and_not1_saveexec_b32 s9, s9
	s_cbranch_execnz .LBB167_3281
.LBB167_2883:
	s_or_b32 exec_lo, exec_lo, s9
	v_mov_b32_e32 v5, 0
	s_and_saveexec_b32 s9, s8
.LBB167_2884:
	v_mov_b32_e32 v5, v1
.LBB167_2885:
	s_or_b32 exec_lo, exec_lo, s9
.LBB167_2886:
	s_delay_alu instid0(SALU_CYCLE_1)
	s_or_b32 exec_lo, exec_lo, s3
	s_mov_b32 s3, 0
	global_store_b8 v[6:7], v5, off
.LBB167_2887:
	s_and_b32 vcc_lo, exec_lo, s3
	s_cbranch_vccz .LBB167_2897
; %bb.2888:
	s_wait_xcnt 0x0
	v_cndmask_b32_e64 v3, 0, 1.0, s12
	s_mov_b32 s3, exec_lo
                                        ; implicit-def: $vgpr1
	s_delay_alu instid0(VALU_DEP_1)
	v_cmpx_gt_u32_e32 0x43f00000, v3
	s_xor_b32 s3, exec_lo, s3
	s_cbranch_execz .LBB167_2894
; %bb.2889:
	s_mov_b32 s8, exec_lo
                                        ; implicit-def: $vgpr1
	v_cmpx_lt_u32_e32 0x3c7fffff, v3
	s_xor_b32 s8, exec_lo, s8
; %bb.2890:
	v_bfe_u32 v1, v3, 20, 1
	s_delay_alu instid0(VALU_DEP_1) | instskip(NEXT) | instid1(VALU_DEP_1)
	v_add3_u32 v1, v3, v1, 0x407ffff
	v_and_b32_e32 v3, 0xff00000, v1
	v_lshrrev_b32_e32 v1, 20, v1
	s_delay_alu instid0(VALU_DEP_2) | instskip(NEXT) | instid1(VALU_DEP_2)
	v_cmp_ne_u32_e32 vcc_lo, 0x7f00000, v3
                                        ; implicit-def: $vgpr3
	v_cndmask_b32_e32 v1, 0x7e, v1, vcc_lo
; %bb.2891:
	s_and_not1_saveexec_b32 s8, s8
; %bb.2892:
	v_add_f32_e32 v1, 0x46800000, v3
; %bb.2893:
	s_or_b32 exec_lo, exec_lo, s8
                                        ; implicit-def: $vgpr3
.LBB167_2894:
	s_and_not1_saveexec_b32 s3, s3
; %bb.2895:
	v_mov_b32_e32 v1, 0x7f
	v_cmp_lt_u32_e32 vcc_lo, 0x7f800000, v3
	s_delay_alu instid0(VALU_DEP_2)
	v_cndmask_b32_e32 v1, 0x7e, v1, vcc_lo
; %bb.2896:
	s_or_b32 exec_lo, exec_lo, s3
	global_store_b8 v[6:7], v1, off
.LBB167_2897:
	s_mov_b32 s3, 0
.LBB167_2898:
	s_delay_alu instid0(SALU_CYCLE_1)
	s_and_not1_b32 vcc_lo, exec_lo, s3
	s_cbranch_vccnz .LBB167_2908
; %bb.2899:
	s_wait_xcnt 0x0
	v_cndmask_b32_e64 v3, 0, 1.0, s12
	s_mov_b32 s3, exec_lo
                                        ; implicit-def: $vgpr1
	s_delay_alu instid0(VALU_DEP_1)
	v_cmpx_gt_u32_e32 0x47800000, v3
	s_xor_b32 s3, exec_lo, s3
	s_cbranch_execz .LBB167_2905
; %bb.2900:
	s_mov_b32 s8, exec_lo
                                        ; implicit-def: $vgpr1
	v_cmpx_lt_u32_e32 0x387fffff, v3
	s_xor_b32 s8, exec_lo, s8
; %bb.2901:
	v_bfe_u32 v1, v3, 21, 1
	s_delay_alu instid0(VALU_DEP_1) | instskip(NEXT) | instid1(VALU_DEP_1)
	v_add3_u32 v1, v3, v1, 0x80fffff
                                        ; implicit-def: $vgpr3
	v_lshrrev_b32_e32 v1, 21, v1
; %bb.2902:
	s_and_not1_saveexec_b32 s8, s8
; %bb.2903:
	v_add_f32_e32 v1, 0x43000000, v3
; %bb.2904:
	s_or_b32 exec_lo, exec_lo, s8
                                        ; implicit-def: $vgpr3
.LBB167_2905:
	s_and_not1_saveexec_b32 s3, s3
; %bb.2906:
	v_mov_b32_e32 v1, 0x7f
	v_cmp_lt_u32_e32 vcc_lo, 0x7f800000, v3
	s_delay_alu instid0(VALU_DEP_2)
	v_cndmask_b32_e32 v1, 0x7c, v1, vcc_lo
; %bb.2907:
	s_or_b32 exec_lo, exec_lo, s3
	global_store_b8 v[6:7], v1, off
.LBB167_2908:
	s_mov_b32 s3, 0
	s_mov_b32 s8, -1
.LBB167_2909:
	s_and_not1_b32 vcc_lo, exec_lo, s3
	s_mov_b32 s3, 0
	s_cbranch_vccnz .LBB167_2916
; %bb.2910:
	s_cmp_gt_i32 s2, 14
	s_mov_b32 s3, -1
	s_cbranch_scc0 .LBB167_2914
; %bb.2911:
	s_cmp_eq_u32 s2, 15
	s_mov_b32 s0, -1
	s_cbranch_scc0 .LBB167_2913
; %bb.2912:
	s_wait_xcnt 0x0
	v_cndmask_b32_e64 v1, 0, 1.0, s12
	s_mov_b32 s0, 0
	s_mov_b32 s8, -1
	s_delay_alu instid0(VALU_DEP_1) | instskip(NEXT) | instid1(VALU_DEP_1)
	v_bfe_u32 v3, v1, 16, 1
	v_add3_u32 v1, v1, v3, 0x7fff
	global_store_d16_hi_b16 v[6:7], v1, off
.LBB167_2913:
	s_mov_b32 s3, 0
.LBB167_2914:
	s_delay_alu instid0(SALU_CYCLE_1)
	s_and_b32 vcc_lo, exec_lo, s3
	s_mov_b32 s3, 0
	s_cbranch_vccz .LBB167_2916
; %bb.2915:
	s_cmp_lg_u32 s2, 11
	s_mov_b32 s3, -1
	s_cselect_b32 s0, -1, 0
.LBB167_2916:
	s_delay_alu instid0(SALU_CYCLE_1)
	s_and_b32 vcc_lo, exec_lo, s0
	s_cbranch_vccnz .LBB167_3279
; %bb.2917:
	s_and_not1_b32 vcc_lo, exec_lo, s3
	s_cbranch_vccnz .LBB167_2919
.LBB167_2918:
	s_wait_xcnt 0x0
	v_cndmask_b32_e64 v1, 0, 1, s12
	s_mov_b32 s8, -1
	global_store_b8 v[6:7], v1, off
.LBB167_2919:
	s_mov_b32 s0, 0
	s_branch .LBB167_2921
.LBB167_2920:
	s_mov_b32 s0, -1
	s_mov_b32 s8, 0
.LBB167_2921:
	s_and_b32 vcc_lo, exec_lo, s0
	s_cbranch_vccz .LBB167_2960
; %bb.2922:
	s_and_b32 s0, 0xffff, s7
	s_mov_b32 s2, -1
	s_cmp_lt_i32 s0, 5
	s_cbranch_scc1 .LBB167_2943
; %bb.2923:
	s_cmp_lt_i32 s0, 8
	s_cbranch_scc1 .LBB167_2933
; %bb.2924:
	;; [unrolled: 3-line block ×3, first 2 shown]
	s_cmp_gt_i32 s0, 9
	s_cbranch_scc0 .LBB167_2927
; %bb.2926:
	s_wait_xcnt 0x0
	v_cndmask_b32_e64 v1, 0, 1, s12
	v_mov_b32_e32 v10, 0
	s_mov_b32 s2, 0
	s_delay_alu instid0(VALU_DEP_2) | instskip(NEXT) | instid1(VALU_DEP_2)
	v_cvt_f64_u32_e32 v[8:9], v1
	v_mov_b32_e32 v11, v10
	global_store_b128 v[6:7], v[8:11], off
.LBB167_2927:
	s_and_not1_b32 vcc_lo, exec_lo, s2
	s_cbranch_vccnz .LBB167_2929
; %bb.2928:
	s_wait_xcnt 0x0
	v_cndmask_b32_e64 v8, 0, 1.0, s12
	v_mov_b32_e32 v9, 0
	global_store_b64 v[6:7], v[8:9], off
.LBB167_2929:
	s_mov_b32 s2, 0
.LBB167_2930:
	s_delay_alu instid0(SALU_CYCLE_1)
	s_and_not1_b32 vcc_lo, exec_lo, s2
	s_cbranch_vccnz .LBB167_2932
; %bb.2931:
	s_wait_xcnt 0x0
	v_cndmask_b32_e64 v1, 0, 1.0, s12
	s_delay_alu instid0(VALU_DEP_1) | instskip(NEXT) | instid1(VALU_DEP_1)
	v_cvt_f16_f32_e32 v1, v1
	v_and_b32_e32 v1, 0xffff, v1
	global_store_b32 v[6:7], v1, off
.LBB167_2932:
	s_mov_b32 s2, 0
.LBB167_2933:
	s_delay_alu instid0(SALU_CYCLE_1)
	s_and_not1_b32 vcc_lo, exec_lo, s2
	s_cbranch_vccnz .LBB167_2942
; %bb.2934:
	s_cmp_lt_i32 s0, 6
	s_mov_b32 s2, -1
	s_cbranch_scc1 .LBB167_2940
; %bb.2935:
	s_cmp_gt_i32 s0, 6
	s_cbranch_scc0 .LBB167_2937
; %bb.2936:
	s_wait_xcnt 0x0
	v_cndmask_b32_e64 v1, 0, 1, s12
	s_mov_b32 s2, 0
	s_delay_alu instid0(VALU_DEP_1)
	v_cvt_f64_u32_e32 v[8:9], v1
	global_store_b64 v[6:7], v[8:9], off
.LBB167_2937:
	s_and_not1_b32 vcc_lo, exec_lo, s2
	s_cbranch_vccnz .LBB167_2939
; %bb.2938:
	s_wait_xcnt 0x0
	v_cndmask_b32_e64 v1, 0, 1.0, s12
	global_store_b32 v[6:7], v1, off
.LBB167_2939:
	s_mov_b32 s2, 0
.LBB167_2940:
	s_delay_alu instid0(SALU_CYCLE_1)
	s_and_not1_b32 vcc_lo, exec_lo, s2
	s_cbranch_vccnz .LBB167_2942
; %bb.2941:
	s_wait_xcnt 0x0
	v_cndmask_b32_e64 v1, 0, 1.0, s12
	s_delay_alu instid0(VALU_DEP_1)
	v_cvt_f16_f32_e32 v1, v1
	global_store_b16 v[6:7], v1, off
.LBB167_2942:
	s_mov_b32 s2, 0
.LBB167_2943:
	s_delay_alu instid0(SALU_CYCLE_1)
	s_and_not1_b32 vcc_lo, exec_lo, s2
	s_cbranch_vccnz .LBB167_2959
; %bb.2944:
	s_cmp_lt_i32 s0, 2
	s_mov_b32 s2, -1
	s_cbranch_scc1 .LBB167_2954
; %bb.2945:
	s_cmp_lt_i32 s0, 3
	s_cbranch_scc1 .LBB167_2951
; %bb.2946:
	s_cmp_gt_i32 s0, 3
	s_cbranch_scc0 .LBB167_2948
; %bb.2947:
	s_mov_b32 s2, 0
	s_wait_xcnt 0x0
	v_cndmask_b32_e64 v8, 0, 1, s12
	v_mov_b32_e32 v9, s2
	global_store_b64 v[6:7], v[8:9], off
.LBB167_2948:
	s_and_not1_b32 vcc_lo, exec_lo, s2
	s_cbranch_vccnz .LBB167_2950
; %bb.2949:
	s_wait_xcnt 0x0
	v_cndmask_b32_e64 v1, 0, 1, s12
	global_store_b32 v[6:7], v1, off
.LBB167_2950:
	s_mov_b32 s2, 0
.LBB167_2951:
	s_delay_alu instid0(SALU_CYCLE_1)
	s_and_not1_b32 vcc_lo, exec_lo, s2
	s_cbranch_vccnz .LBB167_2953
; %bb.2952:
	s_wait_xcnt 0x0
	v_cndmask_b32_e64 v1, 0, 1, s12
	global_store_b16 v[6:7], v1, off
.LBB167_2953:
	s_mov_b32 s2, 0
.LBB167_2954:
	s_delay_alu instid0(SALU_CYCLE_1)
	s_and_not1_b32 vcc_lo, exec_lo, s2
	s_cbranch_vccnz .LBB167_2959
; %bb.2955:
	s_wait_xcnt 0x0
	v_cndmask_b32_e64 v1, 0, 1, s12
	s_cmp_gt_i32 s0, 0
	s_mov_b32 s0, -1
	s_cbranch_scc0 .LBB167_2957
; %bb.2956:
	s_mov_b32 s0, 0
	global_store_b8 v[6:7], v1, off
.LBB167_2957:
	s_and_not1_b32 vcc_lo, exec_lo, s0
	s_cbranch_vccnz .LBB167_2959
; %bb.2958:
	global_store_b8 v[6:7], v1, off
.LBB167_2959:
	s_mov_b32 s8, -1
.LBB167_2960:
	s_delay_alu instid0(SALU_CYCLE_1)
	s_and_not1_b32 vcc_lo, exec_lo, s8
	s_cbranch_vccnz .LBB167_3275
; %bb.2961:
	s_wait_xcnt 0x0
	v_mov_b32_e32 v5, 0
	s_and_b32 s2, 0xffff, s7
	s_delay_alu instid0(SALU_CYCLE_1) | instskip(NEXT) | instid1(VALU_DEP_1)
	s_cmp_lt_i32 s2, 11
	v_add_nc_u64_e32 v[4:5], s[4:5], v[4:5]
	s_cbranch_scc1 .LBB167_3039
; %bb.2962:
	s_mov_b32 s9, -1
	s_mov_b32 s3, 0
	s_cmp_gt_i32 s2, 25
	s_mov_b32 s8, 0
	s_mov_b32 s0, 0
	s_cbranch_scc0 .LBB167_2995
; %bb.2963:
	s_cmp_gt_i32 s2, 28
	s_cbranch_scc0 .LBB167_2978
; %bb.2964:
	s_cmp_gt_i32 s2, 43
	;; [unrolled: 3-line block ×3, first 2 shown]
	s_cbranch_scc0 .LBB167_2968
; %bb.2966:
	s_mov_b32 s0, -1
	s_mov_b32 s9, 0
	s_cmp_eq_u32 s2, 46
	s_cbranch_scc0 .LBB167_2968
; %bb.2967:
	v_cndmask_b32_e64 v1, 0, 1.0, s14
	s_mov_b32 s0, 0
	s_mov_b32 s8, -1
	s_delay_alu instid0(VALU_DEP_1) | instskip(NEXT) | instid1(VALU_DEP_1)
	v_bfe_u32 v3, v1, 16, 1
	v_add3_u32 v1, v1, v3, 0x7fff
	s_delay_alu instid0(VALU_DEP_1)
	v_lshrrev_b32_e32 v1, 16, v1
	global_store_b32 v[4:5], v1, off
.LBB167_2968:
	s_and_b32 vcc_lo, exec_lo, s9
	s_cbranch_vccz .LBB167_2973
; %bb.2969:
	s_cmp_eq_u32 s2, 44
	s_mov_b32 s0, -1
	s_cbranch_scc0 .LBB167_2973
; %bb.2970:
	v_cndmask_b32_e64 v6, 0, 1.0, s14
	v_mov_b32_e32 v3, 0xff
	s_mov_b32 s8, exec_lo
	s_wait_xcnt 0x0
	s_delay_alu instid0(VALU_DEP_2) | instskip(NEXT) | instid1(VALU_DEP_1)
	v_lshrrev_b32_e32 v1, 23, v6
	v_cmpx_ne_u32_e32 0xff, v1
; %bb.2971:
	v_and_b32_e32 v3, 0x400000, v6
	v_and_or_b32 v6, 0x3fffff, v6, v1
	s_delay_alu instid0(VALU_DEP_2) | instskip(NEXT) | instid1(VALU_DEP_2)
	v_cmp_ne_u32_e32 vcc_lo, 0, v3
	v_cmp_ne_u32_e64 s0, 0, v6
	s_and_b32 s0, vcc_lo, s0
	s_delay_alu instid0(SALU_CYCLE_1) | instskip(NEXT) | instid1(VALU_DEP_1)
	v_cndmask_b32_e64 v3, 0, 1, s0
	v_add_nc_u32_e32 v3, v1, v3
; %bb.2972:
	s_or_b32 exec_lo, exec_lo, s8
	s_mov_b32 s0, 0
	s_mov_b32 s8, -1
	global_store_b8 v[4:5], v3, off
.LBB167_2973:
	s_mov_b32 s9, 0
.LBB167_2974:
	s_delay_alu instid0(SALU_CYCLE_1)
	s_and_b32 vcc_lo, exec_lo, s9
	s_cbranch_vccz .LBB167_2977
; %bb.2975:
	s_cmp_eq_u32 s2, 29
	s_mov_b32 s0, -1
	s_cbranch_scc0 .LBB167_2977
; %bb.2976:
	s_mov_b32 s0, 0
	v_cndmask_b32_e64 v6, 0, 1, s14
	v_mov_b32_e32 v7, s0
	s_mov_b32 s8, -1
	global_store_b64 v[4:5], v[6:7], off
.LBB167_2977:
	s_mov_b32 s9, 0
.LBB167_2978:
	s_delay_alu instid0(SALU_CYCLE_1)
	s_and_b32 vcc_lo, exec_lo, s9
	s_cbranch_vccz .LBB167_2994
; %bb.2979:
	s_cmp_lt_i32 s2, 27
	s_mov_b32 s8, -1
	s_cbranch_scc1 .LBB167_2985
; %bb.2980:
	s_cmp_gt_i32 s2, 27
	s_cbranch_scc0 .LBB167_2982
; %bb.2981:
	s_wait_xcnt 0x0
	v_cndmask_b32_e64 v1, 0, 1, s14
	s_mov_b32 s8, 0
	global_store_b32 v[4:5], v1, off
.LBB167_2982:
	s_and_not1_b32 vcc_lo, exec_lo, s8
	s_cbranch_vccnz .LBB167_2984
; %bb.2983:
	s_wait_xcnt 0x0
	v_cndmask_b32_e64 v1, 0, 1, s14
	global_store_b16 v[4:5], v1, off
.LBB167_2984:
	s_mov_b32 s8, 0
.LBB167_2985:
	s_delay_alu instid0(SALU_CYCLE_1)
	s_and_not1_b32 vcc_lo, exec_lo, s8
	s_cbranch_vccnz .LBB167_2993
; %bb.2986:
	s_wait_xcnt 0x0
	v_cndmask_b32_e64 v3, 0, 1.0, s14
	v_mov_b32_e32 v6, 0x80
	s_mov_b32 s8, exec_lo
	s_delay_alu instid0(VALU_DEP_2)
	v_cmpx_gt_u32_e32 0x43800000, v3
	s_cbranch_execz .LBB167_2992
; %bb.2987:
	s_mov_b32 s9, 0
	s_mov_b32 s12, exec_lo
                                        ; implicit-def: $vgpr1
	v_cmpx_lt_u32_e32 0x3bffffff, v3
	s_xor_b32 s12, exec_lo, s12
	s_cbranch_execz .LBB167_3282
; %bb.2988:
	v_bfe_u32 v1, v3, 20, 1
	s_mov_b32 s9, exec_lo
	s_delay_alu instid0(VALU_DEP_1) | instskip(NEXT) | instid1(VALU_DEP_1)
	v_add3_u32 v1, v3, v1, 0x487ffff
                                        ; implicit-def: $vgpr3
	v_lshrrev_b32_e32 v1, 20, v1
	s_and_not1_saveexec_b32 s12, s12
	s_cbranch_execnz .LBB167_3283
.LBB167_2989:
	s_or_b32 exec_lo, exec_lo, s12
	v_mov_b32_e32 v6, 0
	s_and_saveexec_b32 s12, s9
.LBB167_2990:
	v_mov_b32_e32 v6, v1
.LBB167_2991:
	s_or_b32 exec_lo, exec_lo, s12
.LBB167_2992:
	s_delay_alu instid0(SALU_CYCLE_1)
	s_or_b32 exec_lo, exec_lo, s8
	global_store_b8 v[4:5], v6, off
.LBB167_2993:
	s_mov_b32 s8, -1
.LBB167_2994:
	s_mov_b32 s9, 0
.LBB167_2995:
	s_delay_alu instid0(SALU_CYCLE_1)
	s_and_b32 vcc_lo, exec_lo, s9
	s_cbranch_vccz .LBB167_3035
; %bb.2996:
	s_cmp_gt_i32 s2, 22
	s_mov_b32 s3, -1
	s_cbranch_scc0 .LBB167_3028
; %bb.2997:
	s_cmp_lt_i32 s2, 24
	s_cbranch_scc1 .LBB167_3017
; %bb.2998:
	s_cmp_gt_i32 s2, 24
	s_cbranch_scc0 .LBB167_3006
; %bb.2999:
	s_wait_xcnt 0x0
	v_cndmask_b32_e64 v3, 0, 1.0, s14
	v_mov_b32_e32 v6, 0x80
	s_mov_b32 s3, exec_lo
	s_delay_alu instid0(VALU_DEP_2)
	v_cmpx_gt_u32_e32 0x47800000, v3
	s_cbranch_execz .LBB167_3005
; %bb.3000:
	s_mov_b32 s8, 0
	s_mov_b32 s9, exec_lo
                                        ; implicit-def: $vgpr1
	v_cmpx_lt_u32_e32 0x37ffffff, v3
	s_xor_b32 s9, exec_lo, s9
	s_cbranch_execz .LBB167_3285
; %bb.3001:
	v_bfe_u32 v1, v3, 21, 1
	s_mov_b32 s8, exec_lo
	s_delay_alu instid0(VALU_DEP_1) | instskip(NEXT) | instid1(VALU_DEP_1)
	v_add3_u32 v1, v3, v1, 0x88fffff
                                        ; implicit-def: $vgpr3
	v_lshrrev_b32_e32 v1, 21, v1
	s_and_not1_saveexec_b32 s9, s9
	s_cbranch_execnz .LBB167_3286
.LBB167_3002:
	s_or_b32 exec_lo, exec_lo, s9
	v_mov_b32_e32 v6, 0
	s_and_saveexec_b32 s9, s8
.LBB167_3003:
	v_mov_b32_e32 v6, v1
.LBB167_3004:
	s_or_b32 exec_lo, exec_lo, s9
.LBB167_3005:
	s_delay_alu instid0(SALU_CYCLE_1)
	s_or_b32 exec_lo, exec_lo, s3
	s_mov_b32 s3, 0
	global_store_b8 v[4:5], v6, off
.LBB167_3006:
	s_and_b32 vcc_lo, exec_lo, s3
	s_cbranch_vccz .LBB167_3016
; %bb.3007:
	s_wait_xcnt 0x0
	v_cndmask_b32_e64 v3, 0, 1.0, s14
	s_mov_b32 s3, exec_lo
                                        ; implicit-def: $vgpr1
	s_delay_alu instid0(VALU_DEP_1)
	v_cmpx_gt_u32_e32 0x43f00000, v3
	s_xor_b32 s3, exec_lo, s3
	s_cbranch_execz .LBB167_3013
; %bb.3008:
	s_mov_b32 s8, exec_lo
                                        ; implicit-def: $vgpr1
	v_cmpx_lt_u32_e32 0x3c7fffff, v3
	s_xor_b32 s8, exec_lo, s8
; %bb.3009:
	v_bfe_u32 v1, v3, 20, 1
	s_delay_alu instid0(VALU_DEP_1) | instskip(NEXT) | instid1(VALU_DEP_1)
	v_add3_u32 v1, v3, v1, 0x407ffff
	v_and_b32_e32 v3, 0xff00000, v1
	v_lshrrev_b32_e32 v1, 20, v1
	s_delay_alu instid0(VALU_DEP_2) | instskip(NEXT) | instid1(VALU_DEP_2)
	v_cmp_ne_u32_e32 vcc_lo, 0x7f00000, v3
                                        ; implicit-def: $vgpr3
	v_cndmask_b32_e32 v1, 0x7e, v1, vcc_lo
; %bb.3010:
	s_and_not1_saveexec_b32 s8, s8
; %bb.3011:
	v_add_f32_e32 v1, 0x46800000, v3
; %bb.3012:
	s_or_b32 exec_lo, exec_lo, s8
                                        ; implicit-def: $vgpr3
.LBB167_3013:
	s_and_not1_saveexec_b32 s3, s3
; %bb.3014:
	v_mov_b32_e32 v1, 0x7f
	v_cmp_lt_u32_e32 vcc_lo, 0x7f800000, v3
	s_delay_alu instid0(VALU_DEP_2)
	v_cndmask_b32_e32 v1, 0x7e, v1, vcc_lo
; %bb.3015:
	s_or_b32 exec_lo, exec_lo, s3
	global_store_b8 v[4:5], v1, off
.LBB167_3016:
	s_mov_b32 s3, 0
.LBB167_3017:
	s_delay_alu instid0(SALU_CYCLE_1)
	s_and_not1_b32 vcc_lo, exec_lo, s3
	s_cbranch_vccnz .LBB167_3027
; %bb.3018:
	s_wait_xcnt 0x0
	v_cndmask_b32_e64 v3, 0, 1.0, s14
	s_mov_b32 s3, exec_lo
                                        ; implicit-def: $vgpr1
	s_delay_alu instid0(VALU_DEP_1)
	v_cmpx_gt_u32_e32 0x47800000, v3
	s_xor_b32 s3, exec_lo, s3
	s_cbranch_execz .LBB167_3024
; %bb.3019:
	s_mov_b32 s8, exec_lo
                                        ; implicit-def: $vgpr1
	v_cmpx_lt_u32_e32 0x387fffff, v3
	s_xor_b32 s8, exec_lo, s8
; %bb.3020:
	v_bfe_u32 v1, v3, 21, 1
	s_delay_alu instid0(VALU_DEP_1) | instskip(NEXT) | instid1(VALU_DEP_1)
	v_add3_u32 v1, v3, v1, 0x80fffff
                                        ; implicit-def: $vgpr3
	v_lshrrev_b32_e32 v1, 21, v1
; %bb.3021:
	s_and_not1_saveexec_b32 s8, s8
; %bb.3022:
	v_add_f32_e32 v1, 0x43000000, v3
; %bb.3023:
	s_or_b32 exec_lo, exec_lo, s8
                                        ; implicit-def: $vgpr3
.LBB167_3024:
	s_and_not1_saveexec_b32 s3, s3
; %bb.3025:
	v_mov_b32_e32 v1, 0x7f
	v_cmp_lt_u32_e32 vcc_lo, 0x7f800000, v3
	s_delay_alu instid0(VALU_DEP_2)
	v_cndmask_b32_e32 v1, 0x7c, v1, vcc_lo
; %bb.3026:
	s_or_b32 exec_lo, exec_lo, s3
	global_store_b8 v[4:5], v1, off
.LBB167_3027:
	s_mov_b32 s3, 0
	s_mov_b32 s8, -1
.LBB167_3028:
	s_and_not1_b32 vcc_lo, exec_lo, s3
	s_mov_b32 s3, 0
	s_cbranch_vccnz .LBB167_3035
; %bb.3029:
	s_cmp_gt_i32 s2, 14
	s_mov_b32 s3, -1
	s_cbranch_scc0 .LBB167_3033
; %bb.3030:
	s_cmp_eq_u32 s2, 15
	s_mov_b32 s0, -1
	s_cbranch_scc0 .LBB167_3032
; %bb.3031:
	s_wait_xcnt 0x0
	v_cndmask_b32_e64 v1, 0, 1.0, s14
	s_mov_b32 s0, 0
	s_mov_b32 s8, -1
	s_delay_alu instid0(VALU_DEP_1) | instskip(NEXT) | instid1(VALU_DEP_1)
	v_bfe_u32 v3, v1, 16, 1
	v_add3_u32 v1, v1, v3, 0x7fff
	global_store_d16_hi_b16 v[4:5], v1, off
.LBB167_3032:
	s_mov_b32 s3, 0
.LBB167_3033:
	s_delay_alu instid0(SALU_CYCLE_1)
	s_and_b32 vcc_lo, exec_lo, s3
	s_mov_b32 s3, 0
	s_cbranch_vccz .LBB167_3035
; %bb.3034:
	s_cmp_lg_u32 s2, 11
	s_mov_b32 s3, -1
	s_cselect_b32 s0, -1, 0
.LBB167_3035:
	s_delay_alu instid0(SALU_CYCLE_1)
	s_and_b32 vcc_lo, exec_lo, s0
	s_cbranch_vccnz .LBB167_3284
; %bb.3036:
	s_and_not1_b32 vcc_lo, exec_lo, s3
	s_cbranch_vccnz .LBB167_3038
.LBB167_3037:
	s_wait_xcnt 0x0
	v_cndmask_b32_e64 v1, 0, 1, s14
	s_mov_b32 s8, -1
	global_store_b8 v[4:5], v1, off
.LBB167_3038:
	s_mov_b32 s0, 0
	s_branch .LBB167_3040
.LBB167_3039:
	s_mov_b32 s0, -1
	s_mov_b32 s8, 0
.LBB167_3040:
	s_and_b32 vcc_lo, exec_lo, s0
	s_cbranch_vccz .LBB167_3079
; %bb.3041:
	s_cmp_lt_i32 s2, 5
	s_mov_b32 s0, -1
	s_cbranch_scc1 .LBB167_3062
; %bb.3042:
	s_cmp_lt_i32 s2, 8
	s_cbranch_scc1 .LBB167_3052
; %bb.3043:
	s_cmp_lt_i32 s2, 9
	s_cbranch_scc1 .LBB167_3049
; %bb.3044:
	s_cmp_gt_i32 s2, 9
	s_cbranch_scc0 .LBB167_3046
; %bb.3045:
	s_wait_xcnt 0x0
	v_cndmask_b32_e64 v1, 0, 1, s14
	v_mov_b32_e32 v8, 0
	s_mov_b32 s0, 0
	s_delay_alu instid0(VALU_DEP_2) | instskip(NEXT) | instid1(VALU_DEP_2)
	v_cvt_f64_u32_e32 v[6:7], v1
	v_mov_b32_e32 v9, v8
	global_store_b128 v[4:5], v[6:9], off
.LBB167_3046:
	s_and_not1_b32 vcc_lo, exec_lo, s0
	s_cbranch_vccnz .LBB167_3048
; %bb.3047:
	s_wait_xcnt 0x0
	v_cndmask_b32_e64 v6, 0, 1.0, s14
	v_mov_b32_e32 v7, 0
	global_store_b64 v[4:5], v[6:7], off
.LBB167_3048:
	s_mov_b32 s0, 0
.LBB167_3049:
	s_delay_alu instid0(SALU_CYCLE_1)
	s_and_not1_b32 vcc_lo, exec_lo, s0
	s_cbranch_vccnz .LBB167_3051
; %bb.3050:
	s_wait_xcnt 0x0
	v_cndmask_b32_e64 v1, 0, 1.0, s14
	s_delay_alu instid0(VALU_DEP_1) | instskip(NEXT) | instid1(VALU_DEP_1)
	v_cvt_f16_f32_e32 v1, v1
	v_and_b32_e32 v1, 0xffff, v1
	global_store_b32 v[4:5], v1, off
.LBB167_3051:
	s_mov_b32 s0, 0
.LBB167_3052:
	s_delay_alu instid0(SALU_CYCLE_1)
	s_and_not1_b32 vcc_lo, exec_lo, s0
	s_cbranch_vccnz .LBB167_3061
; %bb.3053:
	s_cmp_lt_i32 s2, 6
	s_mov_b32 s0, -1
	s_cbranch_scc1 .LBB167_3059
; %bb.3054:
	s_cmp_gt_i32 s2, 6
	s_cbranch_scc0 .LBB167_3056
; %bb.3055:
	s_wait_xcnt 0x0
	v_cndmask_b32_e64 v1, 0, 1, s14
	s_mov_b32 s0, 0
	s_delay_alu instid0(VALU_DEP_1)
	v_cvt_f64_u32_e32 v[6:7], v1
	global_store_b64 v[4:5], v[6:7], off
.LBB167_3056:
	s_and_not1_b32 vcc_lo, exec_lo, s0
	s_cbranch_vccnz .LBB167_3058
; %bb.3057:
	s_wait_xcnt 0x0
	v_cndmask_b32_e64 v1, 0, 1.0, s14
	global_store_b32 v[4:5], v1, off
.LBB167_3058:
	s_mov_b32 s0, 0
.LBB167_3059:
	s_delay_alu instid0(SALU_CYCLE_1)
	s_and_not1_b32 vcc_lo, exec_lo, s0
	s_cbranch_vccnz .LBB167_3061
; %bb.3060:
	s_wait_xcnt 0x0
	v_cndmask_b32_e64 v1, 0, 1.0, s14
	s_delay_alu instid0(VALU_DEP_1)
	v_cvt_f16_f32_e32 v1, v1
	global_store_b16 v[4:5], v1, off
.LBB167_3061:
	s_mov_b32 s0, 0
.LBB167_3062:
	s_delay_alu instid0(SALU_CYCLE_1)
	s_and_not1_b32 vcc_lo, exec_lo, s0
	s_cbranch_vccnz .LBB167_3078
; %bb.3063:
	s_cmp_lt_i32 s2, 2
	s_mov_b32 s0, -1
	s_cbranch_scc1 .LBB167_3073
; %bb.3064:
	s_cmp_lt_i32 s2, 3
	s_cbranch_scc1 .LBB167_3070
; %bb.3065:
	s_cmp_gt_i32 s2, 3
	s_cbranch_scc0 .LBB167_3067
; %bb.3066:
	s_mov_b32 s0, 0
	s_wait_xcnt 0x0
	v_cndmask_b32_e64 v6, 0, 1, s14
	v_mov_b32_e32 v7, s0
	global_store_b64 v[4:5], v[6:7], off
.LBB167_3067:
	s_and_not1_b32 vcc_lo, exec_lo, s0
	s_cbranch_vccnz .LBB167_3069
; %bb.3068:
	s_wait_xcnt 0x0
	v_cndmask_b32_e64 v1, 0, 1, s14
	global_store_b32 v[4:5], v1, off
.LBB167_3069:
	s_mov_b32 s0, 0
.LBB167_3070:
	s_delay_alu instid0(SALU_CYCLE_1)
	s_and_not1_b32 vcc_lo, exec_lo, s0
	s_cbranch_vccnz .LBB167_3072
; %bb.3071:
	s_wait_xcnt 0x0
	v_cndmask_b32_e64 v1, 0, 1, s14
	global_store_b16 v[4:5], v1, off
.LBB167_3072:
	s_mov_b32 s0, 0
.LBB167_3073:
	s_delay_alu instid0(SALU_CYCLE_1)
	s_and_not1_b32 vcc_lo, exec_lo, s0
	s_cbranch_vccnz .LBB167_3078
; %bb.3074:
	s_wait_xcnt 0x0
	v_cndmask_b32_e64 v1, 0, 1, s14
	s_cmp_gt_i32 s2, 0
	s_mov_b32 s0, -1
	s_cbranch_scc0 .LBB167_3076
; %bb.3075:
	s_mov_b32 s0, 0
	global_store_b8 v[4:5], v1, off
.LBB167_3076:
	s_and_not1_b32 vcc_lo, exec_lo, s0
	s_cbranch_vccnz .LBB167_3078
; %bb.3077:
	global_store_b8 v[4:5], v1, off
.LBB167_3078:
	s_mov_b32 s8, -1
.LBB167_3079:
	s_delay_alu instid0(SALU_CYCLE_1)
	s_and_not1_b32 vcc_lo, exec_lo, s8
	s_cbranch_vccnz .LBB167_3275
; %bb.3080:
	s_wait_xcnt 0x0
	v_mov_b32_e32 v3, 0
	s_cmp_lt_i32 s2, 11
	s_delay_alu instid0(VALU_DEP_1)
	v_add_nc_u64_e32 v[2:3], s[4:5], v[2:3]
	s_cbranch_scc1 .LBB167_3158
; %bb.3081:
	s_mov_b32 s9, -1
	s_mov_b32 s3, 0
	s_cmp_gt_i32 s2, 25
	s_mov_b32 s8, 0
	s_mov_b32 s0, 0
	s_cbranch_scc0 .LBB167_3114
; %bb.3082:
	s_cmp_gt_i32 s2, 28
	s_cbranch_scc0 .LBB167_3097
; %bb.3083:
	s_cmp_gt_i32 s2, 43
	s_cbranch_scc0 .LBB167_3093
; %bb.3084:
	s_cmp_gt_i32 s2, 45
	s_cbranch_scc0 .LBB167_3087
; %bb.3085:
	s_mov_b32 s0, -1
	s_mov_b32 s9, 0
	s_cmp_eq_u32 s2, 46
	s_cbranch_scc0 .LBB167_3087
; %bb.3086:
	v_cndmask_b32_e64 v1, 0, 1.0, s17
	s_mov_b32 s0, 0
	s_mov_b32 s8, -1
	s_delay_alu instid0(VALU_DEP_1) | instskip(NEXT) | instid1(VALU_DEP_1)
	v_bfe_u32 v4, v1, 16, 1
	v_add3_u32 v1, v1, v4, 0x7fff
	s_delay_alu instid0(VALU_DEP_1)
	v_lshrrev_b32_e32 v1, 16, v1
	global_store_b32 v[2:3], v1, off
.LBB167_3087:
	s_and_b32 vcc_lo, exec_lo, s9
	s_cbranch_vccz .LBB167_3092
; %bb.3088:
	s_cmp_eq_u32 s2, 44
	s_mov_b32 s0, -1
	s_cbranch_scc0 .LBB167_3092
; %bb.3089:
	v_cndmask_b32_e64 v5, 0, 1.0, s17
	s_mov_b32 s8, exec_lo
	s_wait_xcnt 0x0
	s_delay_alu instid0(VALU_DEP_1) | instskip(NEXT) | instid1(VALU_DEP_1)
	v_dual_mov_b32 v4, 0xff :: v_dual_lshrrev_b32 v1, 23, v5
	v_cmpx_ne_u32_e32 0xff, v1
; %bb.3090:
	v_and_b32_e32 v4, 0x400000, v5
	v_and_or_b32 v5, 0x3fffff, v5, v1
	s_delay_alu instid0(VALU_DEP_2) | instskip(NEXT) | instid1(VALU_DEP_2)
	v_cmp_ne_u32_e32 vcc_lo, 0, v4
	v_cmp_ne_u32_e64 s0, 0, v5
	s_and_b32 s0, vcc_lo, s0
	s_delay_alu instid0(SALU_CYCLE_1) | instskip(NEXT) | instid1(VALU_DEP_1)
	v_cndmask_b32_e64 v4, 0, 1, s0
	v_add_nc_u32_e32 v4, v1, v4
; %bb.3091:
	s_or_b32 exec_lo, exec_lo, s8
	s_mov_b32 s0, 0
	s_mov_b32 s8, -1
	global_store_b8 v[2:3], v4, off
.LBB167_3092:
	s_mov_b32 s9, 0
.LBB167_3093:
	s_delay_alu instid0(SALU_CYCLE_1)
	s_and_b32 vcc_lo, exec_lo, s9
	s_cbranch_vccz .LBB167_3096
; %bb.3094:
	s_cmp_eq_u32 s2, 29
	s_mov_b32 s0, -1
	s_cbranch_scc0 .LBB167_3096
; %bb.3095:
	s_mov_b32 s0, 0
	s_wait_xcnt 0x0
	v_cndmask_b32_e64 v4, 0, 1, s17
	v_mov_b32_e32 v5, s0
	s_mov_b32 s8, -1
	global_store_b64 v[2:3], v[4:5], off
.LBB167_3096:
	s_mov_b32 s9, 0
.LBB167_3097:
	s_delay_alu instid0(SALU_CYCLE_1)
	s_and_b32 vcc_lo, exec_lo, s9
	s_cbranch_vccz .LBB167_3113
; %bb.3098:
	s_cmp_lt_i32 s2, 27
	s_mov_b32 s8, -1
	s_cbranch_scc1 .LBB167_3104
; %bb.3099:
	s_cmp_gt_i32 s2, 27
	s_cbranch_scc0 .LBB167_3101
; %bb.3100:
	s_wait_xcnt 0x0
	v_cndmask_b32_e64 v1, 0, 1, s17
	s_mov_b32 s8, 0
	global_store_b32 v[2:3], v1, off
.LBB167_3101:
	s_and_not1_b32 vcc_lo, exec_lo, s8
	s_cbranch_vccnz .LBB167_3103
; %bb.3102:
	s_wait_xcnt 0x0
	v_cndmask_b32_e64 v1, 0, 1, s17
	global_store_b16 v[2:3], v1, off
.LBB167_3103:
	s_mov_b32 s8, 0
.LBB167_3104:
	s_delay_alu instid0(SALU_CYCLE_1)
	s_and_not1_b32 vcc_lo, exec_lo, s8
	s_cbranch_vccnz .LBB167_3112
; %bb.3105:
	s_wait_xcnt 0x0
	v_cndmask_b32_e64 v4, 0, 1.0, s17
	v_mov_b32_e32 v5, 0x80
	s_mov_b32 s8, exec_lo
	s_delay_alu instid0(VALU_DEP_2)
	v_cmpx_gt_u32_e32 0x43800000, v4
	s_cbranch_execz .LBB167_3111
; %bb.3106:
	s_mov_b32 s9, 0
	s_mov_b32 s12, exec_lo
                                        ; implicit-def: $vgpr1
	v_cmpx_lt_u32_e32 0x3bffffff, v4
	s_xor_b32 s12, exec_lo, s12
	s_cbranch_execz .LBB167_3287
; %bb.3107:
	v_bfe_u32 v1, v4, 20, 1
	s_mov_b32 s9, exec_lo
	s_delay_alu instid0(VALU_DEP_1) | instskip(NEXT) | instid1(VALU_DEP_1)
	v_add3_u32 v1, v4, v1, 0x487ffff
                                        ; implicit-def: $vgpr4
	v_lshrrev_b32_e32 v1, 20, v1
	s_and_not1_saveexec_b32 s12, s12
	s_cbranch_execnz .LBB167_3288
.LBB167_3108:
	s_or_b32 exec_lo, exec_lo, s12
	v_mov_b32_e32 v5, 0
	s_and_saveexec_b32 s12, s9
.LBB167_3109:
	v_mov_b32_e32 v5, v1
.LBB167_3110:
	s_or_b32 exec_lo, exec_lo, s12
.LBB167_3111:
	s_delay_alu instid0(SALU_CYCLE_1)
	s_or_b32 exec_lo, exec_lo, s8
	global_store_b8 v[2:3], v5, off
.LBB167_3112:
	s_mov_b32 s8, -1
.LBB167_3113:
	s_mov_b32 s9, 0
.LBB167_3114:
	s_delay_alu instid0(SALU_CYCLE_1)
	s_and_b32 vcc_lo, exec_lo, s9
	s_cbranch_vccz .LBB167_3154
; %bb.3115:
	s_cmp_gt_i32 s2, 22
	s_mov_b32 s3, -1
	s_cbranch_scc0 .LBB167_3147
; %bb.3116:
	s_cmp_lt_i32 s2, 24
	s_cbranch_scc1 .LBB167_3136
; %bb.3117:
	s_cmp_gt_i32 s2, 24
	s_cbranch_scc0 .LBB167_3125
; %bb.3118:
	s_wait_xcnt 0x0
	v_cndmask_b32_e64 v4, 0, 1.0, s17
	v_mov_b32_e32 v5, 0x80
	s_mov_b32 s3, exec_lo
	s_delay_alu instid0(VALU_DEP_2)
	v_cmpx_gt_u32_e32 0x47800000, v4
	s_cbranch_execz .LBB167_3124
; %bb.3119:
	s_mov_b32 s8, 0
	s_mov_b32 s9, exec_lo
                                        ; implicit-def: $vgpr1
	v_cmpx_lt_u32_e32 0x37ffffff, v4
	s_xor_b32 s9, exec_lo, s9
	s_cbranch_execz .LBB167_3290
; %bb.3120:
	v_bfe_u32 v1, v4, 21, 1
	s_mov_b32 s8, exec_lo
	s_delay_alu instid0(VALU_DEP_1) | instskip(NEXT) | instid1(VALU_DEP_1)
	v_add3_u32 v1, v4, v1, 0x88fffff
                                        ; implicit-def: $vgpr4
	v_lshrrev_b32_e32 v1, 21, v1
	s_and_not1_saveexec_b32 s9, s9
	s_cbranch_execnz .LBB167_3291
.LBB167_3121:
	s_or_b32 exec_lo, exec_lo, s9
	v_mov_b32_e32 v5, 0
	s_and_saveexec_b32 s9, s8
.LBB167_3122:
	v_mov_b32_e32 v5, v1
.LBB167_3123:
	s_or_b32 exec_lo, exec_lo, s9
.LBB167_3124:
	s_delay_alu instid0(SALU_CYCLE_1)
	s_or_b32 exec_lo, exec_lo, s3
	s_mov_b32 s3, 0
	global_store_b8 v[2:3], v5, off
.LBB167_3125:
	s_and_b32 vcc_lo, exec_lo, s3
	s_cbranch_vccz .LBB167_3135
; %bb.3126:
	s_wait_xcnt 0x0
	v_cndmask_b32_e64 v4, 0, 1.0, s17
	s_mov_b32 s3, exec_lo
                                        ; implicit-def: $vgpr1
	s_delay_alu instid0(VALU_DEP_1)
	v_cmpx_gt_u32_e32 0x43f00000, v4
	s_xor_b32 s3, exec_lo, s3
	s_cbranch_execz .LBB167_3132
; %bb.3127:
	s_mov_b32 s8, exec_lo
                                        ; implicit-def: $vgpr1
	v_cmpx_lt_u32_e32 0x3c7fffff, v4
	s_xor_b32 s8, exec_lo, s8
; %bb.3128:
	v_bfe_u32 v1, v4, 20, 1
	s_delay_alu instid0(VALU_DEP_1) | instskip(NEXT) | instid1(VALU_DEP_1)
	v_add3_u32 v1, v4, v1, 0x407ffff
	v_and_b32_e32 v4, 0xff00000, v1
	v_lshrrev_b32_e32 v1, 20, v1
	s_delay_alu instid0(VALU_DEP_2) | instskip(NEXT) | instid1(VALU_DEP_2)
	v_cmp_ne_u32_e32 vcc_lo, 0x7f00000, v4
                                        ; implicit-def: $vgpr4
	v_cndmask_b32_e32 v1, 0x7e, v1, vcc_lo
; %bb.3129:
	s_and_not1_saveexec_b32 s8, s8
; %bb.3130:
	v_add_f32_e32 v1, 0x46800000, v4
; %bb.3131:
	s_or_b32 exec_lo, exec_lo, s8
                                        ; implicit-def: $vgpr4
.LBB167_3132:
	s_and_not1_saveexec_b32 s3, s3
; %bb.3133:
	v_mov_b32_e32 v1, 0x7f
	v_cmp_lt_u32_e32 vcc_lo, 0x7f800000, v4
	s_delay_alu instid0(VALU_DEP_2)
	v_cndmask_b32_e32 v1, 0x7e, v1, vcc_lo
; %bb.3134:
	s_or_b32 exec_lo, exec_lo, s3
	global_store_b8 v[2:3], v1, off
.LBB167_3135:
	s_mov_b32 s3, 0
.LBB167_3136:
	s_delay_alu instid0(SALU_CYCLE_1)
	s_and_not1_b32 vcc_lo, exec_lo, s3
	s_cbranch_vccnz .LBB167_3146
; %bb.3137:
	s_wait_xcnt 0x0
	v_cndmask_b32_e64 v4, 0, 1.0, s17
	s_mov_b32 s3, exec_lo
                                        ; implicit-def: $vgpr1
	s_delay_alu instid0(VALU_DEP_1)
	v_cmpx_gt_u32_e32 0x47800000, v4
	s_xor_b32 s3, exec_lo, s3
	s_cbranch_execz .LBB167_3143
; %bb.3138:
	s_mov_b32 s8, exec_lo
                                        ; implicit-def: $vgpr1
	v_cmpx_lt_u32_e32 0x387fffff, v4
	s_xor_b32 s8, exec_lo, s8
; %bb.3139:
	v_bfe_u32 v1, v4, 21, 1
	s_delay_alu instid0(VALU_DEP_1) | instskip(NEXT) | instid1(VALU_DEP_1)
	v_add3_u32 v1, v4, v1, 0x80fffff
                                        ; implicit-def: $vgpr4
	v_lshrrev_b32_e32 v1, 21, v1
; %bb.3140:
	s_and_not1_saveexec_b32 s8, s8
; %bb.3141:
	v_add_f32_e32 v1, 0x43000000, v4
; %bb.3142:
	s_or_b32 exec_lo, exec_lo, s8
                                        ; implicit-def: $vgpr4
.LBB167_3143:
	s_and_not1_saveexec_b32 s3, s3
; %bb.3144:
	v_mov_b32_e32 v1, 0x7f
	v_cmp_lt_u32_e32 vcc_lo, 0x7f800000, v4
	s_delay_alu instid0(VALU_DEP_2)
	v_cndmask_b32_e32 v1, 0x7c, v1, vcc_lo
; %bb.3145:
	s_or_b32 exec_lo, exec_lo, s3
	global_store_b8 v[2:3], v1, off
.LBB167_3146:
	s_mov_b32 s3, 0
	s_mov_b32 s8, -1
.LBB167_3147:
	s_and_not1_b32 vcc_lo, exec_lo, s3
	s_mov_b32 s3, 0
	s_cbranch_vccnz .LBB167_3154
; %bb.3148:
	s_cmp_gt_i32 s2, 14
	s_mov_b32 s3, -1
	s_cbranch_scc0 .LBB167_3152
; %bb.3149:
	s_cmp_eq_u32 s2, 15
	s_mov_b32 s0, -1
	s_cbranch_scc0 .LBB167_3151
; %bb.3150:
	s_wait_xcnt 0x0
	v_cndmask_b32_e64 v1, 0, 1.0, s17
	s_mov_b32 s0, 0
	s_mov_b32 s8, -1
	s_delay_alu instid0(VALU_DEP_1) | instskip(NEXT) | instid1(VALU_DEP_1)
	v_bfe_u32 v4, v1, 16, 1
	v_add3_u32 v1, v1, v4, 0x7fff
	global_store_d16_hi_b16 v[2:3], v1, off
.LBB167_3151:
	s_mov_b32 s3, 0
.LBB167_3152:
	s_delay_alu instid0(SALU_CYCLE_1)
	s_and_b32 vcc_lo, exec_lo, s3
	s_mov_b32 s3, 0
	s_cbranch_vccz .LBB167_3154
; %bb.3153:
	s_cmp_lg_u32 s2, 11
	s_mov_b32 s3, -1
	s_cselect_b32 s0, -1, 0
.LBB167_3154:
	s_delay_alu instid0(SALU_CYCLE_1)
	s_and_b32 vcc_lo, exec_lo, s0
	s_cbranch_vccnz .LBB167_3289
; %bb.3155:
	s_and_not1_b32 vcc_lo, exec_lo, s3
	s_cbranch_vccnz .LBB167_3157
.LBB167_3156:
	s_wait_xcnt 0x0
	v_cndmask_b32_e64 v1, 0, 1, s17
	s_mov_b32 s8, -1
	global_store_b8 v[2:3], v1, off
.LBB167_3157:
	s_mov_b32 s0, 0
	s_branch .LBB167_3159
.LBB167_3158:
	s_mov_b32 s0, -1
	s_mov_b32 s8, 0
.LBB167_3159:
	s_and_b32 vcc_lo, exec_lo, s0
	s_cbranch_vccz .LBB167_3198
; %bb.3160:
	s_cmp_lt_i32 s2, 5
	s_mov_b32 s0, -1
	s_cbranch_scc1 .LBB167_3181
; %bb.3161:
	s_cmp_lt_i32 s2, 8
	s_cbranch_scc1 .LBB167_3171
; %bb.3162:
	s_cmp_lt_i32 s2, 9
	s_cbranch_scc1 .LBB167_3168
; %bb.3163:
	s_cmp_gt_i32 s2, 9
	s_cbranch_scc0 .LBB167_3165
; %bb.3164:
	s_wait_xcnt 0x0
	v_cndmask_b32_e64 v1, 0, 1, s17
	v_mov_b32_e32 v6, 0
	s_mov_b32 s0, 0
	s_delay_alu instid0(VALU_DEP_2) | instskip(NEXT) | instid1(VALU_DEP_2)
	v_cvt_f64_u32_e32 v[4:5], v1
	v_mov_b32_e32 v7, v6
	global_store_b128 v[2:3], v[4:7], off
.LBB167_3165:
	s_and_not1_b32 vcc_lo, exec_lo, s0
	s_cbranch_vccnz .LBB167_3167
; %bb.3166:
	s_wait_xcnt 0x0
	v_cndmask_b32_e64 v4, 0, 1.0, s17
	v_mov_b32_e32 v5, 0
	global_store_b64 v[2:3], v[4:5], off
.LBB167_3167:
	s_mov_b32 s0, 0
.LBB167_3168:
	s_delay_alu instid0(SALU_CYCLE_1)
	s_and_not1_b32 vcc_lo, exec_lo, s0
	s_cbranch_vccnz .LBB167_3170
; %bb.3169:
	s_wait_xcnt 0x0
	v_cndmask_b32_e64 v1, 0, 1.0, s17
	s_delay_alu instid0(VALU_DEP_1) | instskip(NEXT) | instid1(VALU_DEP_1)
	v_cvt_f16_f32_e32 v1, v1
	v_and_b32_e32 v1, 0xffff, v1
	global_store_b32 v[2:3], v1, off
.LBB167_3170:
	s_mov_b32 s0, 0
.LBB167_3171:
	s_delay_alu instid0(SALU_CYCLE_1)
	s_and_not1_b32 vcc_lo, exec_lo, s0
	s_cbranch_vccnz .LBB167_3180
; %bb.3172:
	s_cmp_lt_i32 s2, 6
	s_mov_b32 s0, -1
	s_cbranch_scc1 .LBB167_3178
; %bb.3173:
	s_cmp_gt_i32 s2, 6
	s_cbranch_scc0 .LBB167_3175
; %bb.3174:
	s_wait_xcnt 0x0
	v_cndmask_b32_e64 v1, 0, 1, s17
	s_mov_b32 s0, 0
	s_delay_alu instid0(VALU_DEP_1)
	v_cvt_f64_u32_e32 v[4:5], v1
	global_store_b64 v[2:3], v[4:5], off
.LBB167_3175:
	s_and_not1_b32 vcc_lo, exec_lo, s0
	s_cbranch_vccnz .LBB167_3177
; %bb.3176:
	s_wait_xcnt 0x0
	v_cndmask_b32_e64 v1, 0, 1.0, s17
	global_store_b32 v[2:3], v1, off
.LBB167_3177:
	s_mov_b32 s0, 0
.LBB167_3178:
	s_delay_alu instid0(SALU_CYCLE_1)
	s_and_not1_b32 vcc_lo, exec_lo, s0
	s_cbranch_vccnz .LBB167_3180
; %bb.3179:
	s_wait_xcnt 0x0
	v_cndmask_b32_e64 v1, 0, 1.0, s17
	s_delay_alu instid0(VALU_DEP_1)
	v_cvt_f16_f32_e32 v1, v1
	global_store_b16 v[2:3], v1, off
.LBB167_3180:
	s_mov_b32 s0, 0
.LBB167_3181:
	s_delay_alu instid0(SALU_CYCLE_1)
	s_and_not1_b32 vcc_lo, exec_lo, s0
	s_cbranch_vccnz .LBB167_3197
; %bb.3182:
	s_cmp_lt_i32 s2, 2
	s_mov_b32 s0, -1
	s_cbranch_scc1 .LBB167_3192
; %bb.3183:
	s_cmp_lt_i32 s2, 3
	s_cbranch_scc1 .LBB167_3189
; %bb.3184:
	s_cmp_gt_i32 s2, 3
	s_cbranch_scc0 .LBB167_3186
; %bb.3185:
	s_mov_b32 s0, 0
	s_wait_xcnt 0x0
	v_cndmask_b32_e64 v4, 0, 1, s17
	v_mov_b32_e32 v5, s0
	global_store_b64 v[2:3], v[4:5], off
.LBB167_3186:
	s_and_not1_b32 vcc_lo, exec_lo, s0
	s_cbranch_vccnz .LBB167_3188
; %bb.3187:
	s_wait_xcnt 0x0
	v_cndmask_b32_e64 v1, 0, 1, s17
	global_store_b32 v[2:3], v1, off
.LBB167_3188:
	s_mov_b32 s0, 0
.LBB167_3189:
	s_delay_alu instid0(SALU_CYCLE_1)
	s_and_not1_b32 vcc_lo, exec_lo, s0
	s_cbranch_vccnz .LBB167_3191
; %bb.3190:
	s_wait_xcnt 0x0
	v_cndmask_b32_e64 v1, 0, 1, s17
	global_store_b16 v[2:3], v1, off
.LBB167_3191:
	s_mov_b32 s0, 0
.LBB167_3192:
	s_delay_alu instid0(SALU_CYCLE_1)
	s_and_not1_b32 vcc_lo, exec_lo, s0
	s_cbranch_vccnz .LBB167_3197
; %bb.3193:
	s_cmp_gt_i32 s2, 0
	s_mov_b32 s0, -1
	s_cbranch_scc0 .LBB167_3195
; %bb.3194:
	s_wait_xcnt 0x0
	v_cndmask_b32_e64 v1, 0, 1, s17
	s_mov_b32 s0, 0
	global_store_b8 v[2:3], v1, off
.LBB167_3195:
	s_and_not1_b32 vcc_lo, exec_lo, s0
	s_cbranch_vccnz .LBB167_3197
; %bb.3196:
	s_wait_xcnt 0x0
	v_cndmask_b32_e64 v1, 0, 1, s17
	global_store_b8 v[2:3], v1, off
.LBB167_3197:
	s_mov_b32 s8, -1
.LBB167_3198:
	s_delay_alu instid0(SALU_CYCLE_1)
	s_and_not1_b32 vcc_lo, exec_lo, s8
	s_cbranch_vccnz .LBB167_3275
; %bb.3199:
	s_wait_xcnt 0x0
	v_mov_b32_e32 v1, 0
	s_cmp_lt_i32 s2, 11
	s_delay_alu instid0(VALU_DEP_1)
	v_add_nc_u64_e32 v[2:3], s[4:5], v[0:1]
	s_cbranch_scc1 .LBB167_3276
; %bb.3200:
	s_mov_b32 s4, -1
	s_mov_b32 s3, 0
	s_cmp_gt_i32 s2, 25
	s_mov_b32 s0, 0
	s_cbranch_scc0 .LBB167_3233
; %bb.3201:
	s_cmp_gt_i32 s2, 28
	s_cbranch_scc0 .LBB167_3217
; %bb.3202:
	s_cmp_gt_i32 s2, 43
	;; [unrolled: 3-line block ×3, first 2 shown]
	s_cbranch_scc0 .LBB167_3207
; %bb.3204:
	s_cmp_eq_u32 s2, 46
	s_mov_b32 s0, -1
	s_cbranch_scc0 .LBB167_3206
; %bb.3205:
	v_cndmask_b32_e64 v0, 0, 1.0, s6
	s_mov_b32 s0, 0
	s_delay_alu instid0(VALU_DEP_1) | instskip(NEXT) | instid1(VALU_DEP_1)
	v_bfe_u32 v1, v0, 16, 1
	v_add3_u32 v0, v0, v1, 0x7fff
	s_delay_alu instid0(VALU_DEP_1)
	v_lshrrev_b32_e32 v0, 16, v0
	global_store_b32 v[2:3], v0, off
.LBB167_3206:
	s_mov_b32 s4, 0
.LBB167_3207:
	s_delay_alu instid0(SALU_CYCLE_1)
	s_and_b32 vcc_lo, exec_lo, s4
	s_cbranch_vccz .LBB167_3212
; %bb.3208:
	s_cmp_eq_u32 s2, 44
	s_mov_b32 s0, -1
	s_cbranch_scc0 .LBB167_3212
; %bb.3209:
	v_cndmask_b32_e64 v4, 0, 1.0, s6
	s_mov_b32 s4, exec_lo
	s_wait_xcnt 0x0
	s_delay_alu instid0(VALU_DEP_1) | instskip(NEXT) | instid1(VALU_DEP_1)
	v_dual_mov_b32 v1, 0xff :: v_dual_lshrrev_b32 v0, 23, v4
	v_cmpx_ne_u32_e32 0xff, v0
; %bb.3210:
	v_and_b32_e32 v1, 0x400000, v4
	v_and_or_b32 v4, 0x3fffff, v4, v0
	s_delay_alu instid0(VALU_DEP_2) | instskip(NEXT) | instid1(VALU_DEP_2)
	v_cmp_ne_u32_e32 vcc_lo, 0, v1
	v_cmp_ne_u32_e64 s0, 0, v4
	s_and_b32 s0, vcc_lo, s0
	s_delay_alu instid0(SALU_CYCLE_1) | instskip(NEXT) | instid1(VALU_DEP_1)
	v_cndmask_b32_e64 v1, 0, 1, s0
	v_add_nc_u32_e32 v1, v0, v1
; %bb.3211:
	s_or_b32 exec_lo, exec_lo, s4
	s_mov_b32 s0, 0
	global_store_b8 v[2:3], v1, off
.LBB167_3212:
	s_mov_b32 s4, 0
.LBB167_3213:
	s_delay_alu instid0(SALU_CYCLE_1)
	s_and_b32 vcc_lo, exec_lo, s4
	s_cbranch_vccz .LBB167_3216
; %bb.3214:
	s_cmp_eq_u32 s2, 29
	s_mov_b32 s0, -1
	s_cbranch_scc0 .LBB167_3216
; %bb.3215:
	s_mov_b32 s0, 0
	s_wait_xcnt 0x0
	v_cndmask_b32_e64 v0, 0, 1, s6
	v_mov_b32_e32 v1, s0
	global_store_b64 v[2:3], v[0:1], off
.LBB167_3216:
	s_mov_b32 s4, 0
.LBB167_3217:
	s_delay_alu instid0(SALU_CYCLE_1)
	s_and_b32 vcc_lo, exec_lo, s4
	s_cbranch_vccz .LBB167_3232
; %bb.3218:
	s_cmp_lt_i32 s2, 27
	s_mov_b32 s4, -1
	s_cbranch_scc1 .LBB167_3224
; %bb.3219:
	s_wait_xcnt 0x0
	v_cndmask_b32_e64 v0, 0, 1, s6
	s_cmp_gt_i32 s2, 27
	s_cbranch_scc0 .LBB167_3221
; %bb.3220:
	s_mov_b32 s4, 0
	global_store_b32 v[2:3], v0, off
.LBB167_3221:
	s_and_not1_b32 vcc_lo, exec_lo, s4
	s_cbranch_vccnz .LBB167_3223
; %bb.3222:
	global_store_b16 v[2:3], v0, off
.LBB167_3223:
	s_mov_b32 s4, 0
.LBB167_3224:
	s_delay_alu instid0(SALU_CYCLE_1)
	s_and_not1_b32 vcc_lo, exec_lo, s4
	s_cbranch_vccnz .LBB167_3232
; %bb.3225:
	s_wait_xcnt 0x0
	v_cndmask_b32_e64 v1, 0, 1.0, s6
	v_mov_b32_e32 v4, 0x80
	s_mov_b32 s4, exec_lo
	s_delay_alu instid0(VALU_DEP_2)
	v_cmpx_gt_u32_e32 0x43800000, v1
	s_cbranch_execz .LBB167_3231
; %bb.3226:
	s_mov_b32 s5, 0
	s_mov_b32 s8, exec_lo
                                        ; implicit-def: $vgpr0
	v_cmpx_lt_u32_e32 0x3bffffff, v1
	s_xor_b32 s8, exec_lo, s8
	s_cbranch_execz .LBB167_3292
; %bb.3227:
	v_bfe_u32 v0, v1, 20, 1
	s_mov_b32 s5, exec_lo
	s_delay_alu instid0(VALU_DEP_1) | instskip(NEXT) | instid1(VALU_DEP_1)
	v_add3_u32 v0, v1, v0, 0x487ffff
                                        ; implicit-def: $vgpr1
	v_lshrrev_b32_e32 v0, 20, v0
	s_and_not1_saveexec_b32 s8, s8
	s_cbranch_execnz .LBB167_3293
.LBB167_3228:
	s_or_b32 exec_lo, exec_lo, s8
	v_mov_b32_e32 v4, 0
	s_and_saveexec_b32 s8, s5
.LBB167_3229:
	v_mov_b32_e32 v4, v0
.LBB167_3230:
	s_or_b32 exec_lo, exec_lo, s8
.LBB167_3231:
	s_delay_alu instid0(SALU_CYCLE_1)
	s_or_b32 exec_lo, exec_lo, s4
	global_store_b8 v[2:3], v4, off
.LBB167_3232:
	s_mov_b32 s4, 0
.LBB167_3233:
	s_delay_alu instid0(SALU_CYCLE_1)
	s_and_b32 vcc_lo, exec_lo, s4
	s_cbranch_vccz .LBB167_3273
; %bb.3234:
	s_cmp_gt_i32 s2, 22
	s_mov_b32 s3, -1
	s_cbranch_scc0 .LBB167_3266
; %bb.3235:
	s_cmp_lt_i32 s2, 24
	s_cbranch_scc1 .LBB167_3255
; %bb.3236:
	s_cmp_gt_i32 s2, 24
	s_cbranch_scc0 .LBB167_3244
; %bb.3237:
	s_wait_xcnt 0x0
	v_cndmask_b32_e64 v1, 0, 1.0, s6
	v_mov_b32_e32 v4, 0x80
	s_mov_b32 s3, exec_lo
	s_delay_alu instid0(VALU_DEP_2)
	v_cmpx_gt_u32_e32 0x47800000, v1
	s_cbranch_execz .LBB167_3243
; %bb.3238:
	s_mov_b32 s4, 0
	s_mov_b32 s5, exec_lo
                                        ; implicit-def: $vgpr0
	v_cmpx_lt_u32_e32 0x37ffffff, v1
	s_xor_b32 s5, exec_lo, s5
	s_cbranch_execz .LBB167_3295
; %bb.3239:
	v_bfe_u32 v0, v1, 21, 1
	s_mov_b32 s4, exec_lo
	s_delay_alu instid0(VALU_DEP_1) | instskip(NEXT) | instid1(VALU_DEP_1)
	v_add3_u32 v0, v1, v0, 0x88fffff
                                        ; implicit-def: $vgpr1
	v_lshrrev_b32_e32 v0, 21, v0
	s_and_not1_saveexec_b32 s5, s5
	s_cbranch_execnz .LBB167_3296
.LBB167_3240:
	s_or_b32 exec_lo, exec_lo, s5
	v_mov_b32_e32 v4, 0
	s_and_saveexec_b32 s5, s4
.LBB167_3241:
	v_mov_b32_e32 v4, v0
.LBB167_3242:
	s_or_b32 exec_lo, exec_lo, s5
.LBB167_3243:
	s_delay_alu instid0(SALU_CYCLE_1)
	s_or_b32 exec_lo, exec_lo, s3
	s_mov_b32 s3, 0
	global_store_b8 v[2:3], v4, off
.LBB167_3244:
	s_and_b32 vcc_lo, exec_lo, s3
	s_cbranch_vccz .LBB167_3254
; %bb.3245:
	s_wait_xcnt 0x0
	v_cndmask_b32_e64 v1, 0, 1.0, s6
	s_mov_b32 s3, exec_lo
                                        ; implicit-def: $vgpr0
	s_delay_alu instid0(VALU_DEP_1)
	v_cmpx_gt_u32_e32 0x43f00000, v1
	s_xor_b32 s3, exec_lo, s3
	s_cbranch_execz .LBB167_3251
; %bb.3246:
	s_mov_b32 s4, exec_lo
                                        ; implicit-def: $vgpr0
	v_cmpx_lt_u32_e32 0x3c7fffff, v1
	s_xor_b32 s4, exec_lo, s4
; %bb.3247:
	v_bfe_u32 v0, v1, 20, 1
	s_delay_alu instid0(VALU_DEP_1) | instskip(NEXT) | instid1(VALU_DEP_1)
	v_add3_u32 v0, v1, v0, 0x407ffff
	v_and_b32_e32 v1, 0xff00000, v0
	v_lshrrev_b32_e32 v0, 20, v0
	s_delay_alu instid0(VALU_DEP_2) | instskip(NEXT) | instid1(VALU_DEP_2)
	v_cmp_ne_u32_e32 vcc_lo, 0x7f00000, v1
                                        ; implicit-def: $vgpr1
	v_cndmask_b32_e32 v0, 0x7e, v0, vcc_lo
; %bb.3248:
	s_and_not1_saveexec_b32 s4, s4
; %bb.3249:
	v_add_f32_e32 v0, 0x46800000, v1
; %bb.3250:
	s_or_b32 exec_lo, exec_lo, s4
                                        ; implicit-def: $vgpr1
.LBB167_3251:
	s_and_not1_saveexec_b32 s3, s3
; %bb.3252:
	v_mov_b32_e32 v0, 0x7f
	v_cmp_lt_u32_e32 vcc_lo, 0x7f800000, v1
	s_delay_alu instid0(VALU_DEP_2)
	v_cndmask_b32_e32 v0, 0x7e, v0, vcc_lo
; %bb.3253:
	s_or_b32 exec_lo, exec_lo, s3
	global_store_b8 v[2:3], v0, off
.LBB167_3254:
	s_mov_b32 s3, 0
.LBB167_3255:
	s_delay_alu instid0(SALU_CYCLE_1)
	s_and_not1_b32 vcc_lo, exec_lo, s3
	s_cbranch_vccnz .LBB167_3265
; %bb.3256:
	s_wait_xcnt 0x0
	v_cndmask_b32_e64 v1, 0, 1.0, s6
	s_mov_b32 s3, exec_lo
                                        ; implicit-def: $vgpr0
	s_delay_alu instid0(VALU_DEP_1)
	v_cmpx_gt_u32_e32 0x47800000, v1
	s_xor_b32 s3, exec_lo, s3
	s_cbranch_execz .LBB167_3262
; %bb.3257:
	s_mov_b32 s4, exec_lo
                                        ; implicit-def: $vgpr0
	v_cmpx_lt_u32_e32 0x387fffff, v1
	s_xor_b32 s4, exec_lo, s4
; %bb.3258:
	v_bfe_u32 v0, v1, 21, 1
	s_delay_alu instid0(VALU_DEP_1) | instskip(NEXT) | instid1(VALU_DEP_1)
	v_add3_u32 v0, v1, v0, 0x80fffff
                                        ; implicit-def: $vgpr1
	v_lshrrev_b32_e32 v0, 21, v0
; %bb.3259:
	s_and_not1_saveexec_b32 s4, s4
; %bb.3260:
	v_add_f32_e32 v0, 0x43000000, v1
; %bb.3261:
	s_or_b32 exec_lo, exec_lo, s4
                                        ; implicit-def: $vgpr1
.LBB167_3262:
	s_and_not1_saveexec_b32 s3, s3
; %bb.3263:
	v_mov_b32_e32 v0, 0x7f
	v_cmp_lt_u32_e32 vcc_lo, 0x7f800000, v1
	s_delay_alu instid0(VALU_DEP_2)
	v_cndmask_b32_e32 v0, 0x7c, v0, vcc_lo
; %bb.3264:
	s_or_b32 exec_lo, exec_lo, s3
	global_store_b8 v[2:3], v0, off
.LBB167_3265:
	s_mov_b32 s3, 0
.LBB167_3266:
	s_delay_alu instid0(SALU_CYCLE_1)
	s_and_not1_b32 vcc_lo, exec_lo, s3
	s_mov_b32 s3, 0
	s_cbranch_vccnz .LBB167_3273
; %bb.3267:
	s_cmp_gt_i32 s2, 14
	s_mov_b32 s3, -1
	s_cbranch_scc0 .LBB167_3271
; %bb.3268:
	s_cmp_eq_u32 s2, 15
	s_mov_b32 s0, -1
	s_cbranch_scc0 .LBB167_3270
; %bb.3269:
	s_wait_xcnt 0x0
	v_cndmask_b32_e64 v0, 0, 1.0, s6
	s_mov_b32 s0, 0
	s_delay_alu instid0(VALU_DEP_1) | instskip(NEXT) | instid1(VALU_DEP_1)
	v_bfe_u32 v1, v0, 16, 1
	v_add3_u32 v0, v0, v1, 0x7fff
	global_store_d16_hi_b16 v[2:3], v0, off
.LBB167_3270:
	s_mov_b32 s3, 0
.LBB167_3271:
	s_delay_alu instid0(SALU_CYCLE_1)
	s_and_b32 vcc_lo, exec_lo, s3
	s_mov_b32 s3, 0
	s_cbranch_vccz .LBB167_3273
; %bb.3272:
	s_cmp_lg_u32 s2, 11
	s_mov_b32 s3, -1
	s_cselect_b32 s0, -1, 0
.LBB167_3273:
	s_delay_alu instid0(SALU_CYCLE_1)
	s_and_b32 vcc_lo, exec_lo, s0
	s_cbranch_vccnz .LBB167_3294
.LBB167_3274:
	s_mov_b32 s0, 0
	s_branch .LBB167_2795
.LBB167_3275:
	s_mov_b32 s0, 0
	s_mov_b32 s3, 0
	s_branch .LBB167_2794
.LBB167_3276:
	s_mov_b32 s3, 0
	s_mov_b32 s0, -1
	s_branch .LBB167_2795
.LBB167_3277:
	s_and_not1_saveexec_b32 s13, s13
	s_cbranch_execz .LBB167_2870
.LBB167_3278:
	v_add_f32_e32 v1, 0x46000000, v3
	s_and_not1_b32 s9, s9, exec_lo
	s_delay_alu instid0(VALU_DEP_1) | instskip(NEXT) | instid1(VALU_DEP_1)
	v_and_b32_e32 v1, 0xff, v1
	v_cmp_ne_u32_e32 vcc_lo, 0, v1
	s_and_b32 s15, vcc_lo, exec_lo
	s_delay_alu instid0(SALU_CYCLE_1)
	s_or_b32 s9, s9, s15
	s_or_b32 exec_lo, exec_lo, s13
	v_mov_b32_e32 v5, 0
	s_and_saveexec_b32 s13, s9
	s_cbranch_execnz .LBB167_2871
	s_branch .LBB167_2872
.LBB167_3279:
	s_or_b32 s1, s1, exec_lo
	s_trap 2
	s_cbranch_execz .LBB167_2918
	s_branch .LBB167_2919
.LBB167_3280:
	s_and_not1_saveexec_b32 s9, s9
	s_cbranch_execz .LBB167_2883
.LBB167_3281:
	v_add_f32_e32 v1, 0x42800000, v3
	s_and_not1_b32 s8, s8, exec_lo
	s_delay_alu instid0(VALU_DEP_1) | instskip(NEXT) | instid1(VALU_DEP_1)
	v_and_b32_e32 v1, 0xff, v1
	v_cmp_ne_u32_e32 vcc_lo, 0, v1
	s_and_b32 s13, vcc_lo, exec_lo
	s_delay_alu instid0(SALU_CYCLE_1)
	s_or_b32 s8, s8, s13
	s_or_b32 exec_lo, exec_lo, s9
	v_mov_b32_e32 v5, 0
	s_and_saveexec_b32 s9, s8
	s_cbranch_execnz .LBB167_2884
	s_branch .LBB167_2885
.LBB167_3282:
	s_and_not1_saveexec_b32 s12, s12
	s_cbranch_execz .LBB167_2989
.LBB167_3283:
	v_add_f32_e32 v1, 0x46000000, v3
	s_and_not1_b32 s9, s9, exec_lo
	s_delay_alu instid0(VALU_DEP_1) | instskip(NEXT) | instid1(VALU_DEP_1)
	v_and_b32_e32 v1, 0xff, v1
	v_cmp_ne_u32_e32 vcc_lo, 0, v1
	s_and_b32 s13, vcc_lo, exec_lo
	s_delay_alu instid0(SALU_CYCLE_1)
	s_or_b32 s9, s9, s13
	s_or_b32 exec_lo, exec_lo, s12
	v_mov_b32_e32 v6, 0
	s_and_saveexec_b32 s12, s9
	s_cbranch_execnz .LBB167_2990
	s_branch .LBB167_2991
.LBB167_3284:
	s_or_b32 s1, s1, exec_lo
	s_trap 2
	s_cbranch_execz .LBB167_3037
	s_branch .LBB167_3038
.LBB167_3285:
	s_and_not1_saveexec_b32 s9, s9
	s_cbranch_execz .LBB167_3002
.LBB167_3286:
	v_add_f32_e32 v1, 0x42800000, v3
	s_and_not1_b32 s8, s8, exec_lo
	s_delay_alu instid0(VALU_DEP_1) | instskip(NEXT) | instid1(VALU_DEP_1)
	v_and_b32_e32 v1, 0xff, v1
	v_cmp_ne_u32_e32 vcc_lo, 0, v1
	s_and_b32 s12, vcc_lo, exec_lo
	s_delay_alu instid0(SALU_CYCLE_1)
	s_or_b32 s8, s8, s12
	s_or_b32 exec_lo, exec_lo, s9
	v_mov_b32_e32 v6, 0
	s_and_saveexec_b32 s9, s8
	s_cbranch_execnz .LBB167_3003
	s_branch .LBB167_3004
.LBB167_3287:
	s_and_not1_saveexec_b32 s12, s12
	s_cbranch_execz .LBB167_3108
.LBB167_3288:
	v_add_f32_e32 v1, 0x46000000, v4
	s_and_not1_b32 s9, s9, exec_lo
	s_delay_alu instid0(VALU_DEP_1) | instskip(NEXT) | instid1(VALU_DEP_1)
	v_and_b32_e32 v1, 0xff, v1
	v_cmp_ne_u32_e32 vcc_lo, 0, v1
	s_and_b32 s13, vcc_lo, exec_lo
	s_delay_alu instid0(SALU_CYCLE_1)
	s_or_b32 s9, s9, s13
	s_or_b32 exec_lo, exec_lo, s12
	v_mov_b32_e32 v5, 0
	s_and_saveexec_b32 s12, s9
	s_cbranch_execnz .LBB167_3109
	s_branch .LBB167_3110
.LBB167_3289:
	s_or_b32 s1, s1, exec_lo
	s_trap 2
	s_cbranch_execz .LBB167_3156
	s_branch .LBB167_3157
.LBB167_3290:
	s_and_not1_saveexec_b32 s9, s9
	s_cbranch_execz .LBB167_3121
.LBB167_3291:
	v_add_f32_e32 v1, 0x42800000, v4
	s_and_not1_b32 s8, s8, exec_lo
	s_delay_alu instid0(VALU_DEP_1) | instskip(NEXT) | instid1(VALU_DEP_1)
	v_and_b32_e32 v1, 0xff, v1
	v_cmp_ne_u32_e32 vcc_lo, 0, v1
	s_and_b32 s12, vcc_lo, exec_lo
	s_delay_alu instid0(SALU_CYCLE_1)
	s_or_b32 s8, s8, s12
	s_or_b32 exec_lo, exec_lo, s9
	v_mov_b32_e32 v5, 0
	s_and_saveexec_b32 s9, s8
	s_cbranch_execnz .LBB167_3122
	s_branch .LBB167_3123
.LBB167_3292:
	s_and_not1_saveexec_b32 s8, s8
	s_cbranch_execz .LBB167_3228
.LBB167_3293:
	v_add_f32_e32 v0, 0x46000000, v1
	s_and_not1_b32 s5, s5, exec_lo
	s_delay_alu instid0(VALU_DEP_1) | instskip(NEXT) | instid1(VALU_DEP_1)
	v_and_b32_e32 v0, 0xff, v0
	v_cmp_ne_u32_e32 vcc_lo, 0, v0
	s_and_b32 s9, vcc_lo, exec_lo
	s_delay_alu instid0(SALU_CYCLE_1)
	s_or_b32 s5, s5, s9
	s_or_b32 exec_lo, exec_lo, s8
	v_mov_b32_e32 v4, 0
	s_and_saveexec_b32 s8, s5
	s_cbranch_execnz .LBB167_3229
	s_branch .LBB167_3230
.LBB167_3294:
	s_mov_b32 s3, 0
	s_or_b32 s1, s1, exec_lo
	s_trap 2
	s_branch .LBB167_3274
.LBB167_3295:
	s_and_not1_saveexec_b32 s5, s5
	s_cbranch_execz .LBB167_3240
.LBB167_3296:
	v_add_f32_e32 v0, 0x42800000, v1
	s_and_not1_b32 s4, s4, exec_lo
	s_delay_alu instid0(VALU_DEP_1) | instskip(NEXT) | instid1(VALU_DEP_1)
	v_and_b32_e32 v0, 0xff, v0
	v_cmp_ne_u32_e32 vcc_lo, 0, v0
	s_and_b32 s8, vcc_lo, exec_lo
	s_delay_alu instid0(SALU_CYCLE_1)
	s_or_b32 s4, s4, s8
	s_or_b32 exec_lo, exec_lo, s5
	v_mov_b32_e32 v4, 0
	s_and_saveexec_b32 s5, s4
	s_cbranch_execnz .LBB167_3241
	s_branch .LBB167_3242
	.section	.rodata,"a",@progbits
	.p2align	6, 0x0
	.amdhsa_kernel _ZN2at6native32elementwise_kernel_manual_unrollILi128ELi4EZNS0_15gpu_kernel_implINS0_13BinaryFunctorIN3c107complexINS4_8BFloat16EEES7_bNS0_12_GLOBAL__N_116CompareEqFunctorIS7_EEEEEEvRNS_18TensorIteratorBaseERKT_EUlibE0_EEviT1_
		.amdhsa_group_segment_fixed_size 0
		.amdhsa_private_segment_fixed_size 0
		.amdhsa_kernarg_size 432
		.amdhsa_user_sgpr_count 2
		.amdhsa_user_sgpr_dispatch_ptr 0
		.amdhsa_user_sgpr_queue_ptr 0
		.amdhsa_user_sgpr_kernarg_segment_ptr 1
		.amdhsa_user_sgpr_dispatch_id 0
		.amdhsa_user_sgpr_kernarg_preload_length 0
		.amdhsa_user_sgpr_kernarg_preload_offset 0
		.amdhsa_user_sgpr_private_segment_size 0
		.amdhsa_wavefront_size32 1
		.amdhsa_uses_dynamic_stack 0
		.amdhsa_enable_private_segment 0
		.amdhsa_system_sgpr_workgroup_id_x 1
		.amdhsa_system_sgpr_workgroup_id_y 0
		.amdhsa_system_sgpr_workgroup_id_z 0
		.amdhsa_system_sgpr_workgroup_info 0
		.amdhsa_system_vgpr_workitem_id 0
		.amdhsa_next_free_vgpr 28
		.amdhsa_next_free_sgpr 62
		.amdhsa_named_barrier_count 0
		.amdhsa_reserve_vcc 1
		.amdhsa_float_round_mode_32 0
		.amdhsa_float_round_mode_16_64 0
		.amdhsa_float_denorm_mode_32 3
		.amdhsa_float_denorm_mode_16_64 3
		.amdhsa_fp16_overflow 0
		.amdhsa_memory_ordered 1
		.amdhsa_forward_progress 1
		.amdhsa_inst_pref_size 255
		.amdhsa_round_robin_scheduling 0
		.amdhsa_exception_fp_ieee_invalid_op 0
		.amdhsa_exception_fp_denorm_src 0
		.amdhsa_exception_fp_ieee_div_zero 0
		.amdhsa_exception_fp_ieee_overflow 0
		.amdhsa_exception_fp_ieee_underflow 0
		.amdhsa_exception_fp_ieee_inexact 0
		.amdhsa_exception_int_div_zero 0
	.end_amdhsa_kernel
	.section	.text._ZN2at6native32elementwise_kernel_manual_unrollILi128ELi4EZNS0_15gpu_kernel_implINS0_13BinaryFunctorIN3c107complexINS4_8BFloat16EEES7_bNS0_12_GLOBAL__N_116CompareEqFunctorIS7_EEEEEEvRNS_18TensorIteratorBaseERKT_EUlibE0_EEviT1_,"axG",@progbits,_ZN2at6native32elementwise_kernel_manual_unrollILi128ELi4EZNS0_15gpu_kernel_implINS0_13BinaryFunctorIN3c107complexINS4_8BFloat16EEES7_bNS0_12_GLOBAL__N_116CompareEqFunctorIS7_EEEEEEvRNS_18TensorIteratorBaseERKT_EUlibE0_EEviT1_,comdat
.Lfunc_end167:
	.size	_ZN2at6native32elementwise_kernel_manual_unrollILi128ELi4EZNS0_15gpu_kernel_implINS0_13BinaryFunctorIN3c107complexINS4_8BFloat16EEES7_bNS0_12_GLOBAL__N_116CompareEqFunctorIS7_EEEEEEvRNS_18TensorIteratorBaseERKT_EUlibE0_EEviT1_, .Lfunc_end167-_ZN2at6native32elementwise_kernel_manual_unrollILi128ELi4EZNS0_15gpu_kernel_implINS0_13BinaryFunctorIN3c107complexINS4_8BFloat16EEES7_bNS0_12_GLOBAL__N_116CompareEqFunctorIS7_EEEEEEvRNS_18TensorIteratorBaseERKT_EUlibE0_EEviT1_
                                        ; -- End function
	.set _ZN2at6native32elementwise_kernel_manual_unrollILi128ELi4EZNS0_15gpu_kernel_implINS0_13BinaryFunctorIN3c107complexINS4_8BFloat16EEES7_bNS0_12_GLOBAL__N_116CompareEqFunctorIS7_EEEEEEvRNS_18TensorIteratorBaseERKT_EUlibE0_EEviT1_.num_vgpr, 28
	.set _ZN2at6native32elementwise_kernel_manual_unrollILi128ELi4EZNS0_15gpu_kernel_implINS0_13BinaryFunctorIN3c107complexINS4_8BFloat16EEES7_bNS0_12_GLOBAL__N_116CompareEqFunctorIS7_EEEEEEvRNS_18TensorIteratorBaseERKT_EUlibE0_EEviT1_.num_agpr, 0
	.set _ZN2at6native32elementwise_kernel_manual_unrollILi128ELi4EZNS0_15gpu_kernel_implINS0_13BinaryFunctorIN3c107complexINS4_8BFloat16EEES7_bNS0_12_GLOBAL__N_116CompareEqFunctorIS7_EEEEEEvRNS_18TensorIteratorBaseERKT_EUlibE0_EEviT1_.numbered_sgpr, 62
	.set _ZN2at6native32elementwise_kernel_manual_unrollILi128ELi4EZNS0_15gpu_kernel_implINS0_13BinaryFunctorIN3c107complexINS4_8BFloat16EEES7_bNS0_12_GLOBAL__N_116CompareEqFunctorIS7_EEEEEEvRNS_18TensorIteratorBaseERKT_EUlibE0_EEviT1_.num_named_barrier, 0
	.set _ZN2at6native32elementwise_kernel_manual_unrollILi128ELi4EZNS0_15gpu_kernel_implINS0_13BinaryFunctorIN3c107complexINS4_8BFloat16EEES7_bNS0_12_GLOBAL__N_116CompareEqFunctorIS7_EEEEEEvRNS_18TensorIteratorBaseERKT_EUlibE0_EEviT1_.private_seg_size, 0
	.set _ZN2at6native32elementwise_kernel_manual_unrollILi128ELi4EZNS0_15gpu_kernel_implINS0_13BinaryFunctorIN3c107complexINS4_8BFloat16EEES7_bNS0_12_GLOBAL__N_116CompareEqFunctorIS7_EEEEEEvRNS_18TensorIteratorBaseERKT_EUlibE0_EEviT1_.uses_vcc, 1
	.set _ZN2at6native32elementwise_kernel_manual_unrollILi128ELi4EZNS0_15gpu_kernel_implINS0_13BinaryFunctorIN3c107complexINS4_8BFloat16EEES7_bNS0_12_GLOBAL__N_116CompareEqFunctorIS7_EEEEEEvRNS_18TensorIteratorBaseERKT_EUlibE0_EEviT1_.uses_flat_scratch, 0
	.set _ZN2at6native32elementwise_kernel_manual_unrollILi128ELi4EZNS0_15gpu_kernel_implINS0_13BinaryFunctorIN3c107complexINS4_8BFloat16EEES7_bNS0_12_GLOBAL__N_116CompareEqFunctorIS7_EEEEEEvRNS_18TensorIteratorBaseERKT_EUlibE0_EEviT1_.has_dyn_sized_stack, 0
	.set _ZN2at6native32elementwise_kernel_manual_unrollILi128ELi4EZNS0_15gpu_kernel_implINS0_13BinaryFunctorIN3c107complexINS4_8BFloat16EEES7_bNS0_12_GLOBAL__N_116CompareEqFunctorIS7_EEEEEEvRNS_18TensorIteratorBaseERKT_EUlibE0_EEviT1_.has_recursion, 0
	.set _ZN2at6native32elementwise_kernel_manual_unrollILi128ELi4EZNS0_15gpu_kernel_implINS0_13BinaryFunctorIN3c107complexINS4_8BFloat16EEES7_bNS0_12_GLOBAL__N_116CompareEqFunctorIS7_EEEEEEvRNS_18TensorIteratorBaseERKT_EUlibE0_EEviT1_.has_indirect_call, 0
	.section	.AMDGPU.csdata,"",@progbits
; Kernel info:
; codeLenInByte = 74860
; TotalNumSgprs: 64
; NumVgprs: 28
; ScratchSize: 0
; MemoryBound: 0
; FloatMode: 240
; IeeeMode: 1
; LDSByteSize: 0 bytes/workgroup (compile time only)
; SGPRBlocks: 0
; VGPRBlocks: 1
; NumSGPRsForWavesPerEU: 64
; NumVGPRsForWavesPerEU: 28
; NamedBarCnt: 0
; Occupancy: 16
; WaveLimiterHint : 1
; COMPUTE_PGM_RSRC2:SCRATCH_EN: 0
; COMPUTE_PGM_RSRC2:USER_SGPR: 2
; COMPUTE_PGM_RSRC2:TRAP_HANDLER: 0
; COMPUTE_PGM_RSRC2:TGID_X_EN: 1
; COMPUTE_PGM_RSRC2:TGID_Y_EN: 0
; COMPUTE_PGM_RSRC2:TGID_Z_EN: 0
; COMPUTE_PGM_RSRC2:TIDIG_COMP_CNT: 0
	.section	.text._ZN2at6native29vectorized_elementwise_kernelILi16ENS0_13AUnaryFunctorIN3c107complexINS3_8BFloat16EEES6_bNS0_12_GLOBAL__N_116CompareEqFunctorIS6_EEEESt5arrayIPcLm2EEEEviT0_T1_,"axG",@progbits,_ZN2at6native29vectorized_elementwise_kernelILi16ENS0_13AUnaryFunctorIN3c107complexINS3_8BFloat16EEES6_bNS0_12_GLOBAL__N_116CompareEqFunctorIS6_EEEESt5arrayIPcLm2EEEEviT0_T1_,comdat
	.globl	_ZN2at6native29vectorized_elementwise_kernelILi16ENS0_13AUnaryFunctorIN3c107complexINS3_8BFloat16EEES6_bNS0_12_GLOBAL__N_116CompareEqFunctorIS6_EEEESt5arrayIPcLm2EEEEviT0_T1_ ; -- Begin function _ZN2at6native29vectorized_elementwise_kernelILi16ENS0_13AUnaryFunctorIN3c107complexINS3_8BFloat16EEES6_bNS0_12_GLOBAL__N_116CompareEqFunctorIS6_EEEESt5arrayIPcLm2EEEEviT0_T1_
	.p2align	8
	.type	_ZN2at6native29vectorized_elementwise_kernelILi16ENS0_13AUnaryFunctorIN3c107complexINS3_8BFloat16EEES6_bNS0_12_GLOBAL__N_116CompareEqFunctorIS6_EEEESt5arrayIPcLm2EEEEviT0_T1_,@function
_ZN2at6native29vectorized_elementwise_kernelILi16ENS0_13AUnaryFunctorIN3c107complexINS3_8BFloat16EEES6_bNS0_12_GLOBAL__N_116CompareEqFunctorIS6_EEEESt5arrayIPcLm2EEEEviT0_T1_: ; @_ZN2at6native29vectorized_elementwise_kernelILi16ENS0_13AUnaryFunctorIN3c107complexINS3_8BFloat16EEES6_bNS0_12_GLOBAL__N_116CompareEqFunctorIS6_EEEESt5arrayIPcLm2EEEEviT0_T1_
; %bb.0:
	s_clause 0x1
	s_load_b96 s[8:10], s[0:1], 0x0
	s_load_b128 s[4:7], s[0:1], 0x10
	s_wait_xcnt 0x0
	s_bfe_u32 s0, ttmp6, 0x4000c
	s_and_b32 s1, ttmp6, 15
	s_add_co_i32 s0, s0, 1
	s_getreg_b32 s2, hwreg(HW_REG_IB_STS2, 6, 4)
	s_mul_i32 s0, ttmp9, s0
	s_delay_alu instid0(SALU_CYCLE_1) | instskip(SKIP_2) | instid1(SALU_CYCLE_1)
	s_add_co_i32 s1, s1, s0
	s_cmp_eq_u32 s2, 0
	s_cselect_b32 s0, ttmp9, s1
	s_lshl_b32 s2, s0, 12
	s_mov_b32 s0, -1
	s_wait_kmcnt 0x0
	s_sub_co_i32 s8, s8, s2
	s_delay_alu instid0(SALU_CYCLE_1)
	s_cmp_gt_i32 s8, 0xfff
	s_cbranch_scc0 .LBB168_50
; %bb.1:
	s_ashr_i32 s3, s2, 31
	v_lshlrev_b32_e32 v1, 6, v0
	s_lshl_b64 s[0:1], s[2:3], 2
	s_cmp_lg_u32 s9, 0
	s_add_nc_u64 s[0:1], s[6:7], s[0:1]
	s_cselect_b32 s13, -1, 0
	s_clause 0x3
	global_load_b128 v[14:17], v1, s[0:1]
	global_load_b128 v[10:13], v1, s[0:1] offset:16
	global_load_b128 v[2:5], v1, s[0:1] offset:48
	;; [unrolled: 1-line block ×3, first 2 shown]
	s_lshl_b32 s11, s10, 16
	s_and_b32 vcc_lo, exec_lo, s13
	s_and_b32 s12, s10, 0xffff0000
	s_wait_loadcnt 0x3
	s_wait_xcnt 0x0
	v_lshlrev_b32_e32 v1, 16, v14
	v_and_b32_e32 v14, 0xffff0000, v14
	s_cbranch_vccz .LBB168_196
; %bb.2:
	s_delay_alu instid0(VALU_DEP_2) | instskip(NEXT) | instid1(VALU_DEP_2)
	v_cmp_neq_f32_e32 vcc_lo, s11, v1
	v_cmp_neq_f32_e64 s0, s12, v14
	s_or_b32 s1, vcc_lo, s0
	s_cbranch_execnz .LBB168_4
.LBB168_3:
	s_delay_alu instid0(VALU_DEP_2) | instskip(NEXT) | instid1(VALU_DEP_2)
	v_cmp_eq_f32_e32 vcc_lo, s11, v1
	v_cmp_eq_f32_e64 s0, s12, v14
	s_and_not1_b32 s1, s1, exec_lo
	s_and_b32 s0, vcc_lo, s0
	s_delay_alu instid0(SALU_CYCLE_1) | instskip(NEXT) | instid1(SALU_CYCLE_1)
	s_and_b32 s0, s0, exec_lo
	s_or_b32 s1, s1, s0
.LBB168_4:
	v_cndmask_b32_e64 v1, 0, 1, s13
	v_lshlrev_b32_e32 v14, 16, v15
	v_and_b32_e32 v15, 0xffff0000, v15
	s_and_not1_b32 vcc_lo, exec_lo, s13
	s_cbranch_vccnz .LBB168_197
; %bb.5:
	s_delay_alu instid0(VALU_DEP_2) | instskip(NEXT) | instid1(VALU_DEP_2)
	v_cmp_neq_f32_e32 vcc_lo, s11, v14
	v_cmp_neq_f32_e64 s0, s12, v15
	s_or_b32 s13, vcc_lo, s0
	s_cbranch_execnz .LBB168_7
.LBB168_6:
	v_cmp_eq_f32_e32 vcc_lo, s11, v14
	v_cmp_eq_f32_e64 s0, s12, v15
	s_and_not1_b32 s13, s13, exec_lo
	s_and_b32 s0, vcc_lo, s0
	s_delay_alu instid0(SALU_CYCLE_1) | instskip(NEXT) | instid1(SALU_CYCLE_1)
	s_and_b32 s0, s0, exec_lo
	s_or_b32 s13, s13, s0
.LBB168_7:
	v_cmp_ne_u32_e32 vcc_lo, 1, v1
	v_lshlrev_b32_e32 v14, 16, v16
	v_and_b32_e32 v15, 0xffff0000, v16
	s_cbranch_vccnz .LBB168_198
; %bb.8:
	s_delay_alu instid0(VALU_DEP_2) | instskip(NEXT) | instid1(VALU_DEP_2)
	v_cmp_neq_f32_e32 vcc_lo, s11, v14
	v_cmp_neq_f32_e64 s0, s12, v15
	s_or_b32 s14, vcc_lo, s0
	s_cbranch_execnz .LBB168_10
.LBB168_9:
	s_delay_alu instid0(VALU_DEP_2) | instskip(NEXT) | instid1(VALU_DEP_2)
	v_cmp_eq_f32_e32 vcc_lo, s11, v14
	v_cmp_eq_f32_e64 s0, s12, v15
	s_and_not1_b32 s14, s14, exec_lo
	s_and_b32 s0, vcc_lo, s0
	s_delay_alu instid0(SALU_CYCLE_1) | instskip(NEXT) | instid1(SALU_CYCLE_1)
	s_and_b32 s0, s0, exec_lo
	s_or_b32 s14, s14, s0
.LBB168_10:
	v_cmp_ne_u32_e32 vcc_lo, 1, v1
	v_lshlrev_b32_e32 v14, 16, v17
	v_and_b32_e32 v15, 0xffff0000, v17
	s_cbranch_vccnz .LBB168_199
; %bb.11:
	s_delay_alu instid0(VALU_DEP_2) | instskip(NEXT) | instid1(VALU_DEP_2)
	v_cmp_neq_f32_e32 vcc_lo, s11, v14
	v_cmp_neq_f32_e64 s0, s12, v15
	s_or_b32 s15, vcc_lo, s0
	s_cbranch_execnz .LBB168_13
.LBB168_12:
	s_delay_alu instid0(VALU_DEP_2) | instskip(NEXT) | instid1(VALU_DEP_2)
	v_cmp_eq_f32_e32 vcc_lo, s11, v14
	v_cmp_eq_f32_e64 s0, s12, v15
	s_and_not1_b32 s15, s15, exec_lo
	s_and_b32 s0, vcc_lo, s0
	s_delay_alu instid0(SALU_CYCLE_1) | instskip(NEXT) | instid1(SALU_CYCLE_1)
	s_and_b32 s0, s0, exec_lo
	s_or_b32 s15, s15, s0
.LBB168_13:
	v_cmp_ne_u32_e32 vcc_lo, 1, v1
	s_wait_loadcnt 0x2
	v_lshlrev_b32_e32 v14, 16, v10
	v_and_b32_e32 v10, 0xffff0000, v10
	s_cbranch_vccnz .LBB168_200
; %bb.14:
	s_delay_alu instid0(VALU_DEP_2) | instskip(NEXT) | instid1(VALU_DEP_2)
	v_cmp_neq_f32_e32 vcc_lo, s11, v14
	v_cmp_neq_f32_e64 s0, s12, v10
	s_or_b32 s16, vcc_lo, s0
	s_cbranch_execnz .LBB168_16
.LBB168_15:
	s_delay_alu instid0(VALU_DEP_2) | instskip(NEXT) | instid1(VALU_DEP_2)
	v_cmp_eq_f32_e32 vcc_lo, s11, v14
	v_cmp_eq_f32_e64 s0, s12, v10
	s_and_not1_b32 s16, s16, exec_lo
	s_and_b32 s0, vcc_lo, s0
	s_delay_alu instid0(SALU_CYCLE_1) | instskip(NEXT) | instid1(SALU_CYCLE_1)
	s_and_b32 s0, s0, exec_lo
	s_or_b32 s16, s16, s0
.LBB168_16:
	v_cmp_ne_u32_e32 vcc_lo, 1, v1
	v_lshlrev_b32_e32 v10, 16, v11
	v_and_b32_e32 v11, 0xffff0000, v11
	s_cbranch_vccnz .LBB168_201
; %bb.17:
	s_delay_alu instid0(VALU_DEP_2) | instskip(NEXT) | instid1(VALU_DEP_2)
	v_cmp_neq_f32_e32 vcc_lo, s11, v10
	v_cmp_neq_f32_e64 s0, s12, v11
	s_or_b32 s17, vcc_lo, s0
	s_cbranch_execnz .LBB168_19
.LBB168_18:
	s_delay_alu instid0(VALU_DEP_2) | instskip(NEXT) | instid1(VALU_DEP_2)
	v_cmp_eq_f32_e32 vcc_lo, s11, v10
	v_cmp_eq_f32_e64 s0, s12, v11
	s_and_not1_b32 s17, s17, exec_lo
	s_and_b32 s0, vcc_lo, s0
	s_delay_alu instid0(SALU_CYCLE_1) | instskip(NEXT) | instid1(SALU_CYCLE_1)
	s_and_b32 s0, s0, exec_lo
	s_or_b32 s17, s17, s0
.LBB168_19:
	v_cmp_ne_u32_e32 vcc_lo, 1, v1
	v_lshlrev_b32_e32 v10, 16, v12
	v_and_b32_e32 v11, 0xffff0000, v12
	s_cbranch_vccnz .LBB168_202
; %bb.20:
	s_delay_alu instid0(VALU_DEP_2) | instskip(NEXT) | instid1(VALU_DEP_2)
	v_cmp_neq_f32_e32 vcc_lo, s11, v10
	v_cmp_neq_f32_e64 s0, s12, v11
	s_or_b32 s18, vcc_lo, s0
	s_cbranch_execnz .LBB168_22
.LBB168_21:
	s_delay_alu instid0(VALU_DEP_2) | instskip(NEXT) | instid1(VALU_DEP_2)
	v_cmp_eq_f32_e32 vcc_lo, s11, v10
	v_cmp_eq_f32_e64 s0, s12, v11
	s_and_not1_b32 s18, s18, exec_lo
	s_and_b32 s0, vcc_lo, s0
	s_delay_alu instid0(SALU_CYCLE_1) | instskip(NEXT) | instid1(SALU_CYCLE_1)
	s_and_b32 s0, s0, exec_lo
	s_or_b32 s18, s18, s0
.LBB168_22:
	v_cmp_ne_u32_e32 vcc_lo, 1, v1
	v_lshlrev_b32_e32 v10, 16, v13
	v_and_b32_e32 v11, 0xffff0000, v13
	s_cbranch_vccnz .LBB168_203
; %bb.23:
	s_delay_alu instid0(VALU_DEP_2) | instskip(NEXT) | instid1(VALU_DEP_2)
	v_cmp_neq_f32_e32 vcc_lo, s11, v10
	v_cmp_neq_f32_e64 s0, s12, v11
	s_or_b32 s20, vcc_lo, s0
	s_cbranch_execnz .LBB168_25
.LBB168_24:
	s_delay_alu instid0(VALU_DEP_2) | instskip(NEXT) | instid1(VALU_DEP_2)
	v_cmp_eq_f32_e32 vcc_lo, s11, v10
	v_cmp_eq_f32_e64 s0, s12, v11
	s_and_not1_b32 s19, s20, exec_lo
	s_and_b32 s0, vcc_lo, s0
	s_delay_alu instid0(SALU_CYCLE_1) | instskip(NEXT) | instid1(SALU_CYCLE_1)
	s_and_b32 s0, s0, exec_lo
	s_or_b32 s20, s19, s0
.LBB168_25:
	v_cmp_ne_u32_e32 vcc_lo, 1, v1
	s_wait_loadcnt 0x0
	v_lshlrev_b32_e32 v10, 16, v6
	v_and_b32_e32 v6, 0xffff0000, v6
	s_cbranch_vccnz .LBB168_204
; %bb.26:
	s_delay_alu instid0(VALU_DEP_2) | instskip(NEXT) | instid1(VALU_DEP_2)
	v_cmp_neq_f32_e32 vcc_lo, s11, v10
	v_cmp_neq_f32_e64 s0, s12, v6
	s_or_b32 s19, vcc_lo, s0
	s_cbranch_execnz .LBB168_28
.LBB168_27:
	s_delay_alu instid0(VALU_DEP_2) | instskip(NEXT) | instid1(VALU_DEP_2)
	v_cmp_eq_f32_e32 vcc_lo, s11, v10
	v_cmp_eq_f32_e64 s0, s12, v6
	s_and_not1_b32 s19, s19, exec_lo
	s_and_b32 s0, vcc_lo, s0
	s_delay_alu instid0(SALU_CYCLE_1) | instskip(NEXT) | instid1(SALU_CYCLE_1)
	s_and_b32 s0, s0, exec_lo
	s_or_b32 s19, s19, s0
.LBB168_28:
	v_cmp_ne_u32_e32 vcc_lo, 1, v1
	v_lshlrev_b32_e32 v6, 16, v7
	v_and_b32_e32 v7, 0xffff0000, v7
	s_cbranch_vccnz .LBB168_205
; %bb.29:
	s_delay_alu instid0(VALU_DEP_2) | instskip(NEXT) | instid1(VALU_DEP_2)
	v_cmp_neq_f32_e32 vcc_lo, s11, v6
	v_cmp_neq_f32_e64 s0, s12, v7
	s_or_b32 s21, vcc_lo, s0
	s_cbranch_execnz .LBB168_31
.LBB168_30:
	s_delay_alu instid0(VALU_DEP_2) | instskip(NEXT) | instid1(VALU_DEP_2)
	v_cmp_eq_f32_e32 vcc_lo, s11, v6
	v_cmp_eq_f32_e64 s0, s12, v7
	s_and_not1_b32 s21, s21, exec_lo
	s_and_b32 s0, vcc_lo, s0
	s_delay_alu instid0(SALU_CYCLE_1) | instskip(NEXT) | instid1(SALU_CYCLE_1)
	s_and_b32 s0, s0, exec_lo
	s_or_b32 s21, s21, s0
.LBB168_31:
	v_cmp_ne_u32_e32 vcc_lo, 1, v1
	v_lshlrev_b32_e32 v6, 16, v8
	v_and_b32_e32 v7, 0xffff0000, v8
	s_cbranch_vccnz .LBB168_206
; %bb.32:
	s_delay_alu instid0(VALU_DEP_2) | instskip(NEXT) | instid1(VALU_DEP_2)
	v_cmp_neq_f32_e32 vcc_lo, s11, v6
	v_cmp_neq_f32_e64 s0, s12, v7
	s_or_b32 s22, vcc_lo, s0
	s_cbranch_execnz .LBB168_34
.LBB168_33:
	s_delay_alu instid0(VALU_DEP_2) | instskip(NEXT) | instid1(VALU_DEP_2)
	v_cmp_eq_f32_e32 vcc_lo, s11, v6
	v_cmp_eq_f32_e64 s0, s12, v7
	s_and_not1_b32 s22, s22, exec_lo
	s_and_b32 s0, vcc_lo, s0
	s_delay_alu instid0(SALU_CYCLE_1) | instskip(NEXT) | instid1(SALU_CYCLE_1)
	s_and_b32 s0, s0, exec_lo
	s_or_b32 s22, s22, s0
.LBB168_34:
	v_cmp_ne_u32_e32 vcc_lo, 1, v1
	v_lshlrev_b32_e32 v6, 16, v9
	v_and_b32_e32 v7, 0xffff0000, v9
	s_cbranch_vccnz .LBB168_207
; %bb.35:
	s_delay_alu instid0(VALU_DEP_2) | instskip(NEXT) | instid1(VALU_DEP_2)
	v_cmp_neq_f32_e32 vcc_lo, s11, v6
	v_cmp_neq_f32_e64 s0, s12, v7
	s_or_b32 s23, vcc_lo, s0
	s_cbranch_execnz .LBB168_37
.LBB168_36:
	s_delay_alu instid0(VALU_DEP_2) | instskip(NEXT) | instid1(VALU_DEP_2)
	v_cmp_eq_f32_e32 vcc_lo, s11, v6
	v_cmp_eq_f32_e64 s0, s12, v7
	s_and_not1_b32 s23, s23, exec_lo
	s_and_b32 s0, vcc_lo, s0
	s_delay_alu instid0(SALU_CYCLE_1) | instskip(NEXT) | instid1(SALU_CYCLE_1)
	s_and_b32 s0, s0, exec_lo
	s_or_b32 s23, s23, s0
.LBB168_37:
	v_cmp_ne_u32_e32 vcc_lo, 1, v1
	v_lshlrev_b32_e32 v6, 16, v2
	v_and_b32_e32 v2, 0xffff0000, v2
	s_cbranch_vccnz .LBB168_208
; %bb.38:
	s_delay_alu instid0(VALU_DEP_2) | instskip(NEXT) | instid1(VALU_DEP_2)
	v_cmp_neq_f32_e32 vcc_lo, s11, v6
	v_cmp_neq_f32_e64 s0, s12, v2
	s_or_b32 s24, vcc_lo, s0
	s_cbranch_execnz .LBB168_40
.LBB168_39:
	s_delay_alu instid0(VALU_DEP_2) | instskip(NEXT) | instid1(VALU_DEP_2)
	v_cmp_eq_f32_e32 vcc_lo, s11, v6
	v_cmp_eq_f32_e64 s0, s12, v2
	s_and_not1_b32 s24, s24, exec_lo
	s_and_b32 s0, vcc_lo, s0
	s_delay_alu instid0(SALU_CYCLE_1) | instskip(NEXT) | instid1(SALU_CYCLE_1)
	s_and_b32 s0, s0, exec_lo
	s_or_b32 s24, s24, s0
.LBB168_40:
	v_cmp_ne_u32_e32 vcc_lo, 1, v1
	v_lshlrev_b32_e32 v2, 16, v3
	v_and_b32_e32 v3, 0xffff0000, v3
	s_cbranch_vccnz .LBB168_209
; %bb.41:
	s_delay_alu instid0(VALU_DEP_2) | instskip(NEXT) | instid1(VALU_DEP_2)
	v_cmp_neq_f32_e32 vcc_lo, s11, v2
	v_cmp_neq_f32_e64 s0, s12, v3
	s_or_b32 s25, vcc_lo, s0
	s_cbranch_execnz .LBB168_43
.LBB168_42:
	s_delay_alu instid0(VALU_DEP_2) | instskip(NEXT) | instid1(VALU_DEP_2)
	v_cmp_eq_f32_e32 vcc_lo, s11, v2
	v_cmp_eq_f32_e64 s0, s12, v3
	s_and_not1_b32 s25, s25, exec_lo
	s_and_b32 s0, vcc_lo, s0
	s_delay_alu instid0(SALU_CYCLE_1) | instskip(NEXT) | instid1(SALU_CYCLE_1)
	s_and_b32 s0, s0, exec_lo
	s_or_b32 s25, s25, s0
.LBB168_43:
	v_cmp_ne_u32_e32 vcc_lo, 1, v1
	v_lshlrev_b32_e32 v2, 16, v4
	v_and_b32_e32 v3, 0xffff0000, v4
	s_cbranch_vccnz .LBB168_210
; %bb.44:
	s_delay_alu instid0(VALU_DEP_2) | instskip(NEXT) | instid1(VALU_DEP_2)
	v_cmp_neq_f32_e32 vcc_lo, s11, v2
	v_cmp_neq_f32_e64 s0, s12, v3
	s_or_b32 s26, vcc_lo, s0
	s_cbranch_execnz .LBB168_46
.LBB168_45:
	s_delay_alu instid0(VALU_DEP_2) | instskip(NEXT) | instid1(VALU_DEP_2)
	v_cmp_eq_f32_e32 vcc_lo, s11, v2
	v_cmp_eq_f32_e64 s0, s12, v3
	s_and_not1_b32 s26, s26, exec_lo
	s_and_b32 s0, vcc_lo, s0
	s_delay_alu instid0(SALU_CYCLE_1) | instskip(NEXT) | instid1(SALU_CYCLE_1)
	s_and_b32 s0, s0, exec_lo
	s_or_b32 s26, s26, s0
.LBB168_46:
	v_cmp_ne_u32_e32 vcc_lo, 1, v1
	v_lshlrev_b32_e32 v1, 16, v5
	v_and_b32_e32 v2, 0xffff0000, v5
	s_cbranch_vccnz .LBB168_211
; %bb.47:
	s_delay_alu instid0(VALU_DEP_2) | instskip(NEXT) | instid1(VALU_DEP_2)
	v_cmp_neq_f32_e32 vcc_lo, s11, v1
	v_cmp_neq_f32_e64 s0, s12, v2
	s_or_b32 s27, vcc_lo, s0
	s_cbranch_execnz .LBB168_49
.LBB168_48:
	s_delay_alu instid0(VALU_DEP_2) | instskip(NEXT) | instid1(VALU_DEP_2)
	v_cmp_eq_f32_e32 vcc_lo, s11, v1
	v_cmp_eq_f32_e64 s0, s12, v2
	s_and_not1_b32 s11, s27, exec_lo
	s_and_b32 s0, vcc_lo, s0
	s_delay_alu instid0(SALU_CYCLE_1) | instskip(NEXT) | instid1(SALU_CYCLE_1)
	s_and_b32 s0, s0, exec_lo
	s_or_b32 s27, s11, s0
.LBB168_49:
	v_cndmask_b32_e64 v1, 0, 1, s17
	v_cndmask_b32_e64 v2, 0, 1, s20
	;; [unrolled: 1-line block ×5, first 2 shown]
	v_lshlrev_b16 v1, 8, v1
	v_lshlrev_b16 v2, 8, v2
	v_cndmask_b32_e64 v6, 0, 1, s1
	v_lshlrev_b16 v4, 8, v4
	v_cndmask_b32_e64 v7, 0, 1, s27
	v_cndmask_b32_e64 v8, 0, 1, s21
	v_or_b32_e32 v2, v5, v2
	v_or_b32_e32 v1, v3, v1
	;; [unrolled: 1-line block ×3, first 2 shown]
	v_cndmask_b32_e64 v4, 0, 1, s15
	v_cndmask_b32_e64 v5, 0, 1, s25
	v_cndmask_b32_e64 v10, 0, 1, s23
	v_cndmask_b32_e64 v9, 0, 1, s24
	v_and_b32_e32 v6, 0xffff, v3
	v_lshlrev_b16 v3, 8, v4
	v_cndmask_b32_e64 v4, 0, 1, s14
	v_lshlrev_b16 v5, 8, v5
	v_lshlrev_b16 v7, 8, v7
	v_cndmask_b32_e64 v11, 0, 1, s26
	v_lshlrev_b16 v8, 8, v8
	v_cndmask_b32_e64 v12, 0, 1, s19
	;; [unrolled: 2-line block ×3, first 2 shown]
	v_or_b32_e32 v3, v4, v3
	v_or_b32_e32 v4, v9, v5
	;; [unrolled: 1-line block ×5, first 2 shown]
	s_add_nc_u64 s[12:13], s[4:5], s[2:3]
	v_and_b32_e32 v4, 0xffff, v4
	v_lshlrev_b32_e32 v5, 16, v5
	v_and_b32_e32 v7, 0xffff, v7
	v_dual_lshlrev_b32 v8, 16, v8 :: v_dual_lshlrev_b32 v9, 16, v3
	v_lshlrev_b32_e32 v2, 16, v2
	v_and_b32_e32 v1, 0xffff, v1
	v_or_b32_e32 v5, v4, v5
	s_delay_alu instid0(VALU_DEP_4) | instskip(SKIP_1) | instid1(VALU_DEP_3)
	v_or_b32_e32 v4, v7, v8
	s_mov_b32 s0, 0
	v_or_b32_e32 v3, v1, v2
	v_or_b32_e32 v2, v6, v9
	global_store_b128 v0, v[2:5], s[12:13] scale_offset
.LBB168_50:
	s_and_b32 vcc_lo, exec_lo, s0
	s_cbranch_vccz .LBB168_195
; %bb.51:
	v_cmp_gt_i32_e64 s0, s8, v0
	v_dual_mov_b32 v7, 0 :: v_dual_bitop2_b32 v1, s2, v0 bitop3:0x54
	v_or_b32_e32 v6, 0x100, v0
	v_dual_mov_b32 v8, 0 :: v_dual_mov_b32 v9, 0
	v_dual_mov_b32 v10, 0 :: v_dual_mov_b32 v11, 0
	;; [unrolled: 1-line block ×6, first 2 shown]
	s_wait_xcnt 0x0
	v_dual_mov_b32 v3, 0 :: v_dual_mov_b32 v19, 0
	v_mov_b32_e32 v20, 0
	s_and_saveexec_b32 s1, s0
	s_cbranch_execz .LBB168_83
; %bb.52:
	global_load_b32 v20, v1, s[6:7] scale_offset
	v_or_b32_e32 v2, 0x100, v0
	v_dual_mov_b32 v19, 0 :: v_dual_mov_b32 v3, 0
	v_dual_mov_b32 v21, 0 :: v_dual_mov_b32 v18, 0
	;; [unrolled: 1-line block ×7, first 2 shown]
	v_mov_b32_e32 v7, 0
	s_mov_b32 s3, exec_lo
	s_wait_xcnt 0x0
	v_cmpx_gt_u32_e64 s8, v2
	s_cbranch_execz .LBB168_82
; %bb.53:
	v_dual_mov_b32 v3, 0 :: v_dual_add_nc_u32 v2, s2, v0
	v_or_b32_e32 v4, 0x200, v0
	v_dual_mov_b32 v21, 0 :: v_dual_mov_b32 v18, 0
	global_load_b32 v19, v2, s[6:7] offset:1024 scale_offset
	v_dual_mov_b32 v17, 0 :: v_dual_mov_b32 v16, 0
	v_dual_mov_b32 v15, 0 :: v_dual_mov_b32 v14, 0
	v_dual_mov_b32 v13, 0 :: v_dual_mov_b32 v12, 0
	v_dual_mov_b32 v11, 0 :: v_dual_mov_b32 v10, 0
	v_dual_mov_b32 v9, 0 :: v_dual_mov_b32 v8, 0
	v_mov_b32_e32 v7, 0
	s_mov_b32 s11, exec_lo
	s_wait_xcnt 0x0
	v_cmpx_gt_u32_e64 s8, v4
	s_cbranch_execz .LBB168_81
; %bb.54:
	v_lshl_add_u64 v[4:5], v[2:3], 2, s[6:7]
	v_or_b32_e32 v7, 0x300, v0
	v_dual_mov_b32 v18, 0 :: v_dual_mov_b32 v17, 0
	v_dual_mov_b32 v16, 0 :: v_dual_mov_b32 v15, 0
	global_load_b32 v2, v[4:5], off offset:2048
	v_cmp_gt_u32_e32 vcc_lo, s8, v7
	v_dual_mov_b32 v14, 0 :: v_dual_mov_b32 v13, 0
	v_dual_mov_b32 v12, 0 :: v_dual_mov_b32 v11, 0
	;; [unrolled: 1-line block ×4, first 2 shown]
	s_wait_xcnt 0x0
	s_and_saveexec_b32 s6, vcc_lo
	s_cbranch_execz .LBB168_80
; %bb.55:
	global_load_b32 v3, v[4:5], off offset:3072
	v_or_b32_e32 v7, 0x400, v0
	v_dual_mov_b32 v18, 0 :: v_dual_mov_b32 v17, 0
	v_dual_mov_b32 v16, 0 :: v_dual_mov_b32 v15, 0
	s_delay_alu instid0(VALU_DEP_3)
	v_cmp_gt_u32_e32 vcc_lo, s8, v7
	v_dual_mov_b32 v14, 0 :: v_dual_mov_b32 v13, 0
	v_dual_mov_b32 v12, 0 :: v_dual_mov_b32 v11, 0
	;; [unrolled: 1-line block ×4, first 2 shown]
	s_wait_xcnt 0x0
	s_and_saveexec_b32 s7, vcc_lo
	s_cbranch_execz .LBB168_79
; %bb.56:
	global_load_b32 v18, v[4:5], off offset:4096
	v_or_b32_e32 v7, 0x500, v0
	v_dual_mov_b32 v17, 0 :: v_dual_mov_b32 v16, 0
	v_dual_mov_b32 v15, 0 :: v_dual_mov_b32 v14, 0
	s_delay_alu instid0(VALU_DEP_3)
	v_cmp_gt_u32_e32 vcc_lo, s8, v7
	v_dual_mov_b32 v13, 0 :: v_dual_mov_b32 v12, 0
	v_dual_mov_b32 v11, 0 :: v_dual_mov_b32 v10, 0
	v_dual_mov_b32 v9, 0 :: v_dual_mov_b32 v8, 0
	v_mov_b32_e32 v7, 0
	s_wait_xcnt 0x0
	s_and_saveexec_b32 s12, vcc_lo
	s_cbranch_execz .LBB168_78
; %bb.57:
	global_load_b32 v17, v[4:5], off offset:5120
	v_or_b32_e32 v7, 0x600, v0
	v_dual_mov_b32 v16, 0 :: v_dual_mov_b32 v15, 0
	v_dual_mov_b32 v14, 0 :: v_dual_mov_b32 v13, 0
	s_delay_alu instid0(VALU_DEP_3)
	v_cmp_gt_u32_e32 vcc_lo, s8, v7
	v_dual_mov_b32 v12, 0 :: v_dual_mov_b32 v11, 0
	v_dual_mov_b32 v10, 0 :: v_dual_mov_b32 v9, 0
	;; [unrolled: 1-line block ×3, first 2 shown]
	s_wait_xcnt 0x0
	s_and_saveexec_b32 s13, vcc_lo
	s_cbranch_execz .LBB168_77
; %bb.58:
	global_load_b32 v16, v[4:5], off offset:6144
	v_or_b32_e32 v7, 0x700, v0
	v_dual_mov_b32 v15, 0 :: v_dual_mov_b32 v14, 0
	v_dual_mov_b32 v13, 0 :: v_dual_mov_b32 v12, 0
	s_delay_alu instid0(VALU_DEP_3)
	v_cmp_gt_u32_e32 vcc_lo, s8, v7
	v_dual_mov_b32 v11, 0 :: v_dual_mov_b32 v10, 0
	v_dual_mov_b32 v9, 0 :: v_dual_mov_b32 v8, 0
	v_mov_b32_e32 v7, 0
	s_wait_xcnt 0x0
	s_and_saveexec_b32 s14, vcc_lo
	s_cbranch_execz .LBB168_76
; %bb.59:
	global_load_b32 v15, v[4:5], off offset:7168
	v_or_b32_e32 v7, 0x800, v0
	v_dual_mov_b32 v14, 0 :: v_dual_mov_b32 v13, 0
	v_dual_mov_b32 v12, 0 :: v_dual_mov_b32 v11, 0
	s_delay_alu instid0(VALU_DEP_3)
	v_cmp_gt_u32_e32 vcc_lo, s8, v7
	v_dual_mov_b32 v10, 0 :: v_dual_mov_b32 v9, 0
	v_dual_mov_b32 v8, 0 :: v_dual_mov_b32 v7, 0
	s_wait_xcnt 0x0
	s_and_saveexec_b32 s15, vcc_lo
	s_cbranch_execz .LBB168_75
; %bb.60:
	global_load_b32 v14, v[4:5], off offset:8192
	v_or_b32_e32 v7, 0x900, v0
	v_dual_mov_b32 v13, 0 :: v_dual_mov_b32 v12, 0
	v_dual_mov_b32 v11, 0 :: v_dual_mov_b32 v10, 0
	s_delay_alu instid0(VALU_DEP_3)
	v_cmp_gt_u32_e32 vcc_lo, s8, v7
	v_dual_mov_b32 v9, 0 :: v_dual_mov_b32 v8, 0
	v_mov_b32_e32 v7, 0
	s_wait_xcnt 0x0
	s_and_saveexec_b32 s16, vcc_lo
	s_cbranch_execz .LBB168_74
; %bb.61:
	global_load_b32 v13, v[4:5], off offset:9216
	v_or_b32_e32 v7, 0xa00, v0
	v_dual_mov_b32 v12, 0 :: v_dual_mov_b32 v11, 0
	v_dual_mov_b32 v10, 0 :: v_dual_mov_b32 v9, 0
	s_delay_alu instid0(VALU_DEP_3)
	v_cmp_gt_u32_e32 vcc_lo, s8, v7
	v_dual_mov_b32 v8, 0 :: v_dual_mov_b32 v7, 0
	s_wait_xcnt 0x0
	s_and_saveexec_b32 s17, vcc_lo
	s_cbranch_execz .LBB168_73
; %bb.62:
	global_load_b32 v12, v[4:5], off offset:10240
	v_or_b32_e32 v7, 0xb00, v0
	v_dual_mov_b32 v11, 0 :: v_dual_mov_b32 v10, 0
	v_dual_mov_b32 v9, 0 :: v_dual_mov_b32 v8, 0
	s_delay_alu instid0(VALU_DEP_3)
	v_cmp_gt_u32_e32 vcc_lo, s8, v7
	v_mov_b32_e32 v7, 0
	s_wait_xcnt 0x0
	s_and_saveexec_b32 s18, vcc_lo
	s_cbranch_execz .LBB168_72
; %bb.63:
	global_load_b32 v11, v[4:5], off offset:11264
	v_or_b32_e32 v7, 0xc00, v0
	v_dual_mov_b32 v10, 0 :: v_dual_mov_b32 v9, 0
	v_mov_b32_e32 v8, 0
	s_delay_alu instid0(VALU_DEP_3)
	v_cmp_gt_u32_e32 vcc_lo, s8, v7
	v_mov_b32_e32 v7, 0
	s_wait_xcnt 0x0
	s_and_saveexec_b32 s19, vcc_lo
	s_cbranch_execz .LBB168_71
; %bb.64:
	global_load_b32 v10, v[4:5], off offset:12288
	v_or_b32_e32 v7, 0xd00, v0
	v_dual_mov_b32 v9, 0 :: v_dual_mov_b32 v8, 0
	s_delay_alu instid0(VALU_DEP_2)
	v_cmp_gt_u32_e32 vcc_lo, s8, v7
	v_mov_b32_e32 v7, 0
	s_wait_xcnt 0x0
	s_and_saveexec_b32 s20, vcc_lo
	s_cbranch_execz .LBB168_70
; %bb.65:
	global_load_b32 v9, v[4:5], off offset:13312
	v_or_b32_e32 v7, 0xe00, v0
	v_mov_b32_e32 v8, 0
	s_delay_alu instid0(VALU_DEP_2)
	v_cmp_gt_u32_e32 vcc_lo, s8, v7
	v_mov_b32_e32 v7, 0
	s_wait_xcnt 0x0
	s_and_saveexec_b32 s21, vcc_lo
	s_cbranch_execz .LBB168_69
; %bb.66:
	global_load_b32 v8, v[4:5], off offset:14336
	v_or_b32_e32 v7, 0xf00, v0
	s_delay_alu instid0(VALU_DEP_1)
	v_cmp_gt_u32_e32 vcc_lo, s8, v7
	v_mov_b32_e32 v7, 0
	s_wait_xcnt 0x0
	s_and_saveexec_b32 s22, vcc_lo
	s_cbranch_execz .LBB168_68
; %bb.67:
	global_load_b32 v7, v[4:5], off offset:15360
.LBB168_68:
	s_wait_xcnt 0x0
	s_or_b32 exec_lo, exec_lo, s22
.LBB168_69:
	s_delay_alu instid0(SALU_CYCLE_1)
	s_or_b32 exec_lo, exec_lo, s21
.LBB168_70:
	s_delay_alu instid0(SALU_CYCLE_1)
	s_or_b32 exec_lo, exec_lo, s20
.LBB168_71:
	s_delay_alu instid0(SALU_CYCLE_1)
	s_or_b32 exec_lo, exec_lo, s19
.LBB168_72:
	s_delay_alu instid0(SALU_CYCLE_1)
	s_or_b32 exec_lo, exec_lo, s18
.LBB168_73:
	s_delay_alu instid0(SALU_CYCLE_1)
	s_or_b32 exec_lo, exec_lo, s17
.LBB168_74:
	s_delay_alu instid0(SALU_CYCLE_1)
	s_or_b32 exec_lo, exec_lo, s16
.LBB168_75:
	s_delay_alu instid0(SALU_CYCLE_1)
	s_or_b32 exec_lo, exec_lo, s15
.LBB168_76:
	s_delay_alu instid0(SALU_CYCLE_1)
	s_or_b32 exec_lo, exec_lo, s14
.LBB168_77:
	s_delay_alu instid0(SALU_CYCLE_1)
	s_or_b32 exec_lo, exec_lo, s13
.LBB168_78:
	s_delay_alu instid0(SALU_CYCLE_1)
	s_or_b32 exec_lo, exec_lo, s12
.LBB168_79:
	s_delay_alu instid0(SALU_CYCLE_1)
	s_or_b32 exec_lo, exec_lo, s7
.LBB168_80:
	s_delay_alu instid0(SALU_CYCLE_1)
	s_or_b32 exec_lo, exec_lo, s6
	s_wait_loadcnt 0x0
	v_dual_mov_b32 v21, v3 :: v_dual_mov_b32 v3, v2
.LBB168_81:
	s_or_b32 exec_lo, exec_lo, s11
.LBB168_82:
	s_delay_alu instid0(SALU_CYCLE_1)
	s_or_b32 exec_lo, exec_lo, s3
.LBB168_83:
	s_delay_alu instid0(SALU_CYCLE_1)
	s_or_b32 exec_lo, exec_lo, s1
	s_cmp_lg_u32 s9, 0
                                        ; implicit-def: $vgpr2
	s_cselect_b32 s7, -1, 0
	s_lshl_b32 s3, s10, 16
	s_and_b32 s6, s10, 0xffff0000
	s_and_saveexec_b32 s9, s0
	s_cbranch_execz .LBB168_88
; %bb.84:
	s_wait_loadcnt 0x0
	v_lshlrev_b32_e32 v2, 16, v20
	v_and_b32_e32 v4, 0xffff0000, v20
	s_and_b32 vcc_lo, exec_lo, s7
	s_cbranch_vccz .LBB168_212
; %bb.85:
	s_delay_alu instid0(VALU_DEP_2) | instskip(NEXT) | instid1(VALU_DEP_2)
	v_cmp_neq_f32_e32 vcc_lo, s3, v2
	v_cmp_neq_f32_e64 s1, s6, v4
	s_or_b32 s10, vcc_lo, s1
	s_cbranch_execnz .LBB168_87
.LBB168_86:
	v_cmp_eq_f32_e32 vcc_lo, s3, v2
	v_cmp_eq_f32_e64 s1, s6, v4
	s_and_not1_b32 s10, s10, exec_lo
	s_and_b32 s1, vcc_lo, s1
	s_delay_alu instid0(SALU_CYCLE_1) | instskip(NEXT) | instid1(SALU_CYCLE_1)
	s_and_b32 s1, s1, exec_lo
	s_or_b32 s10, s10, s1
.LBB168_87:
	s_delay_alu instid0(SALU_CYCLE_1)
	v_cndmask_b32_e64 v2, 0, 1, s10
.LBB168_88:
	s_or_b32 exec_lo, exec_lo, s9
	v_cndmask_b32_e64 v5, 0, 1, s7
	s_mov_b32 s9, exec_lo
                                        ; implicit-def: $vgpr4
	v_cmpx_gt_i32_e64 s8, v6
	s_cbranch_execz .LBB168_93
; %bb.89:
	s_wait_loadcnt 0x0
	v_lshlrev_b32_e32 v4, 16, v19
	v_and_b32_e32 v19, 0xffff0000, v19
	s_and_not1_b32 vcc_lo, exec_lo, s7
	s_cbranch_vccnz .LBB168_213
; %bb.90:
	s_delay_alu instid0(VALU_DEP_2) | instskip(NEXT) | instid1(VALU_DEP_2)
	v_cmp_neq_f32_e32 vcc_lo, s3, v4
	v_cmp_neq_f32_e64 s1, s6, v19
	s_or_b32 s7, vcc_lo, s1
	s_cbranch_execnz .LBB168_92
.LBB168_91:
	v_cmp_eq_f32_e32 vcc_lo, s3, v4
	v_cmp_eq_f32_e64 s1, s6, v19
	s_and_not1_b32 s7, s7, exec_lo
	s_and_b32 s1, vcc_lo, s1
	s_delay_alu instid0(SALU_CYCLE_1) | instskip(NEXT) | instid1(SALU_CYCLE_1)
	s_and_b32 s1, s1, exec_lo
	s_or_b32 s7, s7, s1
.LBB168_92:
	s_delay_alu instid0(SALU_CYCLE_1)
	v_cndmask_b32_e64 v4, 0, 1, s7
.LBB168_93:
	s_or_b32 exec_lo, exec_lo, s9
	s_wait_loadcnt 0x0
	v_or_b32_e32 v19, 0x200, v0
	s_delay_alu instid0(VALU_DEP_1)
	v_cmp_gt_i32_e32 vcc_lo, s8, v19
                                        ; implicit-def: $vgpr19
	s_and_saveexec_b32 s7, vcc_lo
	s_cbranch_execz .LBB168_98
; %bb.94:
	v_cmp_ne_u32_e32 vcc_lo, 1, v5
	v_lshlrev_b32_e32 v19, 16, v3
	v_and_b32_e32 v3, 0xffff0000, v3
	s_cbranch_vccnz .LBB168_214
; %bb.95:
	s_delay_alu instid0(VALU_DEP_2) | instskip(NEXT) | instid1(VALU_DEP_2)
	v_cmp_neq_f32_e32 vcc_lo, s3, v19
	v_cmp_neq_f32_e64 s1, s6, v3
	s_or_b32 s9, vcc_lo, s1
	s_cbranch_execnz .LBB168_97
.LBB168_96:
	s_delay_alu instid0(VALU_DEP_2) | instskip(NEXT) | instid1(VALU_DEP_2)
	v_cmp_eq_f32_e32 vcc_lo, s3, v19
	v_cmp_eq_f32_e64 s1, s6, v3
	s_and_not1_b32 s9, s9, exec_lo
	s_and_b32 s1, vcc_lo, s1
	s_delay_alu instid0(SALU_CYCLE_1) | instskip(NEXT) | instid1(SALU_CYCLE_1)
	s_and_b32 s1, s1, exec_lo
	s_or_b32 s9, s9, s1
.LBB168_97:
	s_delay_alu instid0(SALU_CYCLE_1)
	v_cndmask_b32_e64 v19, 0, 1, s9
.LBB168_98:
	s_or_b32 exec_lo, exec_lo, s7
	v_or_b32_e32 v3, 0x300, v0
	s_delay_alu instid0(VALU_DEP_1)
	v_cmp_gt_i32_e32 vcc_lo, s8, v3
                                        ; implicit-def: $vgpr3
	s_and_saveexec_b32 s7, vcc_lo
	s_cbranch_execz .LBB168_103
; %bb.99:
	v_cmp_ne_u32_e32 vcc_lo, 1, v5
	v_lshlrev_b32_e32 v3, 16, v21
	v_and_b32_e32 v20, 0xffff0000, v21
	s_cbranch_vccnz .LBB168_215
; %bb.100:
	s_delay_alu instid0(VALU_DEP_2) | instskip(NEXT) | instid1(VALU_DEP_2)
	v_cmp_neq_f32_e32 vcc_lo, s3, v3
	v_cmp_neq_f32_e64 s1, s6, v20
	s_or_b32 s9, vcc_lo, s1
	s_cbranch_execnz .LBB168_102
.LBB168_101:
	s_delay_alu instid0(VALU_DEP_2) | instskip(NEXT) | instid1(VALU_DEP_2)
	v_cmp_eq_f32_e32 vcc_lo, s3, v3
	v_cmp_eq_f32_e64 s1, s6, v20
	s_and_not1_b32 s9, s9, exec_lo
	s_and_b32 s1, vcc_lo, s1
	s_delay_alu instid0(SALU_CYCLE_1) | instskip(NEXT) | instid1(SALU_CYCLE_1)
	s_and_b32 s1, s1, exec_lo
	s_or_b32 s9, s9, s1
.LBB168_102:
	s_delay_alu instid0(SALU_CYCLE_1)
	v_cndmask_b32_e64 v3, 0, 1, s9
.LBB168_103:
	s_or_b32 exec_lo, exec_lo, s7
	v_or_b32_e32 v20, 0x400, v0
	s_delay_alu instid0(VALU_DEP_1)
	v_cmp_gt_i32_e32 vcc_lo, s8, v20
                                        ; implicit-def: $vgpr20
	s_and_saveexec_b32 s7, vcc_lo
	s_cbranch_execz .LBB168_108
; %bb.104:
	v_cmp_ne_u32_e32 vcc_lo, 1, v5
	v_lshlrev_b32_e32 v20, 16, v18
	v_and_b32_e32 v18, 0xffff0000, v18
	s_cbranch_vccnz .LBB168_216
; %bb.105:
	s_delay_alu instid0(VALU_DEP_2) | instskip(NEXT) | instid1(VALU_DEP_2)
	v_cmp_neq_f32_e32 vcc_lo, s3, v20
	v_cmp_neq_f32_e64 s1, s6, v18
	s_or_b32 s9, vcc_lo, s1
	s_cbranch_execnz .LBB168_107
.LBB168_106:
	s_delay_alu instid0(VALU_DEP_2) | instskip(NEXT) | instid1(VALU_DEP_2)
	v_cmp_eq_f32_e32 vcc_lo, s3, v20
	v_cmp_eq_f32_e64 s1, s6, v18
	s_and_not1_b32 s9, s9, exec_lo
	s_and_b32 s1, vcc_lo, s1
	s_delay_alu instid0(SALU_CYCLE_1) | instskip(NEXT) | instid1(SALU_CYCLE_1)
	s_and_b32 s1, s1, exec_lo
	s_or_b32 s9, s9, s1
.LBB168_107:
	s_delay_alu instid0(SALU_CYCLE_1)
	v_cndmask_b32_e64 v20, 0, 1, s9
.LBB168_108:
	s_or_b32 exec_lo, exec_lo, s7
	v_or_b32_e32 v18, 0x500, v0
	s_delay_alu instid0(VALU_DEP_1)
	v_cmp_gt_i32_e32 vcc_lo, s8, v18
                                        ; implicit-def: $vgpr18
	s_and_saveexec_b32 s7, vcc_lo
	s_cbranch_execz .LBB168_113
; %bb.109:
	v_cmp_ne_u32_e32 vcc_lo, 1, v5
	v_lshlrev_b32_e32 v18, 16, v17
	v_and_b32_e32 v17, 0xffff0000, v17
	s_cbranch_vccnz .LBB168_217
; %bb.110:
	s_delay_alu instid0(VALU_DEP_2) | instskip(NEXT) | instid1(VALU_DEP_2)
	v_cmp_neq_f32_e32 vcc_lo, s3, v18
	v_cmp_neq_f32_e64 s1, s6, v17
	s_or_b32 s9, vcc_lo, s1
	s_cbranch_execnz .LBB168_112
.LBB168_111:
	s_delay_alu instid0(VALU_DEP_2) | instskip(NEXT) | instid1(VALU_DEP_2)
	v_cmp_eq_f32_e32 vcc_lo, s3, v18
	v_cmp_eq_f32_e64 s1, s6, v17
	s_and_not1_b32 s9, s9, exec_lo
	s_and_b32 s1, vcc_lo, s1
	s_delay_alu instid0(SALU_CYCLE_1) | instskip(NEXT) | instid1(SALU_CYCLE_1)
	s_and_b32 s1, s1, exec_lo
	s_or_b32 s9, s9, s1
.LBB168_112:
	s_delay_alu instid0(SALU_CYCLE_1)
	v_cndmask_b32_e64 v18, 0, 1, s9
.LBB168_113:
	s_or_b32 exec_lo, exec_lo, s7
	v_or_b32_e32 v17, 0x600, v0
	s_delay_alu instid0(VALU_DEP_1)
	v_cmp_gt_i32_e32 vcc_lo, s8, v17
                                        ; implicit-def: $vgpr17
	s_and_saveexec_b32 s7, vcc_lo
	s_cbranch_execz .LBB168_118
; %bb.114:
	v_cmp_ne_u32_e32 vcc_lo, 1, v5
	v_lshlrev_b32_e32 v17, 16, v16
	v_and_b32_e32 v16, 0xffff0000, v16
	s_cbranch_vccnz .LBB168_218
; %bb.115:
	s_delay_alu instid0(VALU_DEP_2) | instskip(NEXT) | instid1(VALU_DEP_2)
	v_cmp_neq_f32_e32 vcc_lo, s3, v17
	v_cmp_neq_f32_e64 s1, s6, v16
	s_or_b32 s9, vcc_lo, s1
	s_cbranch_execnz .LBB168_117
.LBB168_116:
	s_delay_alu instid0(VALU_DEP_2) | instskip(NEXT) | instid1(VALU_DEP_2)
	v_cmp_eq_f32_e32 vcc_lo, s3, v17
	v_cmp_eq_f32_e64 s1, s6, v16
	s_and_not1_b32 s9, s9, exec_lo
	s_and_b32 s1, vcc_lo, s1
	s_delay_alu instid0(SALU_CYCLE_1) | instskip(NEXT) | instid1(SALU_CYCLE_1)
	s_and_b32 s1, s1, exec_lo
	s_or_b32 s9, s9, s1
.LBB168_117:
	s_delay_alu instid0(SALU_CYCLE_1)
	v_cndmask_b32_e64 v17, 0, 1, s9
.LBB168_118:
	s_or_b32 exec_lo, exec_lo, s7
	v_or_b32_e32 v16, 0x700, v0
	s_delay_alu instid0(VALU_DEP_1)
	v_cmp_gt_i32_e32 vcc_lo, s8, v16
                                        ; implicit-def: $vgpr16
	s_and_saveexec_b32 s7, vcc_lo
	s_cbranch_execz .LBB168_123
; %bb.119:
	v_cmp_ne_u32_e32 vcc_lo, 1, v5
	v_lshlrev_b32_e32 v16, 16, v15
	v_and_b32_e32 v15, 0xffff0000, v15
	s_cbranch_vccnz .LBB168_219
; %bb.120:
	s_delay_alu instid0(VALU_DEP_2) | instskip(NEXT) | instid1(VALU_DEP_2)
	v_cmp_neq_f32_e32 vcc_lo, s3, v16
	v_cmp_neq_f32_e64 s1, s6, v15
	s_or_b32 s9, vcc_lo, s1
	s_cbranch_execnz .LBB168_122
.LBB168_121:
	s_delay_alu instid0(VALU_DEP_2) | instskip(NEXT) | instid1(VALU_DEP_2)
	v_cmp_eq_f32_e32 vcc_lo, s3, v16
	v_cmp_eq_f32_e64 s1, s6, v15
	s_and_not1_b32 s9, s9, exec_lo
	s_and_b32 s1, vcc_lo, s1
	s_delay_alu instid0(SALU_CYCLE_1) | instskip(NEXT) | instid1(SALU_CYCLE_1)
	s_and_b32 s1, s1, exec_lo
	s_or_b32 s9, s9, s1
.LBB168_122:
	s_delay_alu instid0(SALU_CYCLE_1)
	v_cndmask_b32_e64 v16, 0, 1, s9
.LBB168_123:
	s_or_b32 exec_lo, exec_lo, s7
	v_or_b32_e32 v15, 0x800, v0
	s_delay_alu instid0(VALU_DEP_1)
	v_cmp_gt_i32_e32 vcc_lo, s8, v15
                                        ; implicit-def: $vgpr15
	s_and_saveexec_b32 s7, vcc_lo
	s_cbranch_execz .LBB168_128
; %bb.124:
	v_cmp_ne_u32_e32 vcc_lo, 1, v5
	v_lshlrev_b32_e32 v15, 16, v14
	v_and_b32_e32 v14, 0xffff0000, v14
	s_cbranch_vccnz .LBB168_220
; %bb.125:
	s_delay_alu instid0(VALU_DEP_2) | instskip(NEXT) | instid1(VALU_DEP_2)
	v_cmp_neq_f32_e32 vcc_lo, s3, v15
	v_cmp_neq_f32_e64 s1, s6, v14
	s_or_b32 s9, vcc_lo, s1
	s_cbranch_execnz .LBB168_127
.LBB168_126:
	s_delay_alu instid0(VALU_DEP_2) | instskip(NEXT) | instid1(VALU_DEP_2)
	v_cmp_eq_f32_e32 vcc_lo, s3, v15
	v_cmp_eq_f32_e64 s1, s6, v14
	s_and_not1_b32 s9, s9, exec_lo
	s_and_b32 s1, vcc_lo, s1
	s_delay_alu instid0(SALU_CYCLE_1) | instskip(NEXT) | instid1(SALU_CYCLE_1)
	s_and_b32 s1, s1, exec_lo
	s_or_b32 s9, s9, s1
.LBB168_127:
	s_delay_alu instid0(SALU_CYCLE_1)
	v_cndmask_b32_e64 v15, 0, 1, s9
.LBB168_128:
	s_or_b32 exec_lo, exec_lo, s7
	v_or_b32_e32 v14, 0x900, v0
	s_delay_alu instid0(VALU_DEP_1)
	v_cmp_gt_i32_e32 vcc_lo, s8, v14
                                        ; implicit-def: $vgpr14
	s_and_saveexec_b32 s7, vcc_lo
	s_cbranch_execz .LBB168_133
; %bb.129:
	v_cmp_ne_u32_e32 vcc_lo, 1, v5
	v_lshlrev_b32_e32 v14, 16, v13
	v_and_b32_e32 v13, 0xffff0000, v13
	s_cbranch_vccnz .LBB168_221
; %bb.130:
	s_delay_alu instid0(VALU_DEP_2) | instskip(NEXT) | instid1(VALU_DEP_2)
	v_cmp_neq_f32_e32 vcc_lo, s3, v14
	v_cmp_neq_f32_e64 s1, s6, v13
	s_or_b32 s9, vcc_lo, s1
	s_cbranch_execnz .LBB168_132
.LBB168_131:
	s_delay_alu instid0(VALU_DEP_2) | instskip(NEXT) | instid1(VALU_DEP_2)
	v_cmp_eq_f32_e32 vcc_lo, s3, v14
	v_cmp_eq_f32_e64 s1, s6, v13
	s_and_not1_b32 s9, s9, exec_lo
	s_and_b32 s1, vcc_lo, s1
	s_delay_alu instid0(SALU_CYCLE_1) | instskip(NEXT) | instid1(SALU_CYCLE_1)
	s_and_b32 s1, s1, exec_lo
	s_or_b32 s9, s9, s1
.LBB168_132:
	s_delay_alu instid0(SALU_CYCLE_1)
	v_cndmask_b32_e64 v14, 0, 1, s9
.LBB168_133:
	s_or_b32 exec_lo, exec_lo, s7
	v_or_b32_e32 v13, 0xa00, v0
	s_delay_alu instid0(VALU_DEP_1)
	v_cmp_gt_i32_e32 vcc_lo, s8, v13
                                        ; implicit-def: $vgpr13
	s_and_saveexec_b32 s7, vcc_lo
	s_cbranch_execz .LBB168_138
; %bb.134:
	v_cmp_ne_u32_e32 vcc_lo, 1, v5
	v_lshlrev_b32_e32 v13, 16, v12
	v_and_b32_e32 v12, 0xffff0000, v12
	s_cbranch_vccnz .LBB168_222
; %bb.135:
	s_delay_alu instid0(VALU_DEP_2) | instskip(NEXT) | instid1(VALU_DEP_2)
	v_cmp_neq_f32_e32 vcc_lo, s3, v13
	v_cmp_neq_f32_e64 s1, s6, v12
	s_or_b32 s9, vcc_lo, s1
	s_cbranch_execnz .LBB168_137
.LBB168_136:
	s_delay_alu instid0(VALU_DEP_2) | instskip(NEXT) | instid1(VALU_DEP_2)
	v_cmp_eq_f32_e32 vcc_lo, s3, v13
	v_cmp_eq_f32_e64 s1, s6, v12
	s_and_not1_b32 s9, s9, exec_lo
	s_and_b32 s1, vcc_lo, s1
	s_delay_alu instid0(SALU_CYCLE_1) | instskip(NEXT) | instid1(SALU_CYCLE_1)
	s_and_b32 s1, s1, exec_lo
	s_or_b32 s9, s9, s1
.LBB168_137:
	s_delay_alu instid0(SALU_CYCLE_1)
	v_cndmask_b32_e64 v13, 0, 1, s9
.LBB168_138:
	s_or_b32 exec_lo, exec_lo, s7
	v_or_b32_e32 v12, 0xb00, v0
	s_delay_alu instid0(VALU_DEP_1)
	v_cmp_gt_i32_e32 vcc_lo, s8, v12
                                        ; implicit-def: $vgpr12
	s_and_saveexec_b32 s7, vcc_lo
	s_cbranch_execz .LBB168_143
; %bb.139:
	v_cmp_ne_u32_e32 vcc_lo, 1, v5
	v_lshlrev_b32_e32 v12, 16, v11
	v_and_b32_e32 v11, 0xffff0000, v11
	s_cbranch_vccnz .LBB168_223
; %bb.140:
	s_delay_alu instid0(VALU_DEP_2) | instskip(NEXT) | instid1(VALU_DEP_2)
	v_cmp_neq_f32_e32 vcc_lo, s3, v12
	v_cmp_neq_f32_e64 s1, s6, v11
	s_or_b32 s9, vcc_lo, s1
	s_cbranch_execnz .LBB168_142
.LBB168_141:
	s_delay_alu instid0(VALU_DEP_2) | instskip(NEXT) | instid1(VALU_DEP_2)
	v_cmp_eq_f32_e32 vcc_lo, s3, v12
	v_cmp_eq_f32_e64 s1, s6, v11
	s_and_not1_b32 s9, s9, exec_lo
	s_and_b32 s1, vcc_lo, s1
	s_delay_alu instid0(SALU_CYCLE_1) | instskip(NEXT) | instid1(SALU_CYCLE_1)
	s_and_b32 s1, s1, exec_lo
	s_or_b32 s9, s9, s1
.LBB168_142:
	s_delay_alu instid0(SALU_CYCLE_1)
	v_cndmask_b32_e64 v12, 0, 1, s9
.LBB168_143:
	s_or_b32 exec_lo, exec_lo, s7
	v_or_b32_e32 v11, 0xc00, v0
	s_delay_alu instid0(VALU_DEP_1)
	v_cmp_gt_i32_e32 vcc_lo, s8, v11
                                        ; implicit-def: $vgpr11
	s_and_saveexec_b32 s7, vcc_lo
	s_cbranch_execz .LBB168_148
; %bb.144:
	v_cmp_ne_u32_e32 vcc_lo, 1, v5
	v_lshlrev_b32_e32 v11, 16, v10
	v_and_b32_e32 v10, 0xffff0000, v10
	s_cbranch_vccnz .LBB168_224
; %bb.145:
	s_delay_alu instid0(VALU_DEP_2) | instskip(NEXT) | instid1(VALU_DEP_2)
	v_cmp_neq_f32_e32 vcc_lo, s3, v11
	v_cmp_neq_f32_e64 s1, s6, v10
	s_or_b32 s9, vcc_lo, s1
	s_cbranch_execnz .LBB168_147
.LBB168_146:
	s_delay_alu instid0(VALU_DEP_2) | instskip(NEXT) | instid1(VALU_DEP_2)
	v_cmp_eq_f32_e32 vcc_lo, s3, v11
	v_cmp_eq_f32_e64 s1, s6, v10
	s_and_not1_b32 s9, s9, exec_lo
	s_and_b32 s1, vcc_lo, s1
	s_delay_alu instid0(SALU_CYCLE_1) | instskip(NEXT) | instid1(SALU_CYCLE_1)
	s_and_b32 s1, s1, exec_lo
	s_or_b32 s9, s9, s1
.LBB168_147:
	s_delay_alu instid0(SALU_CYCLE_1)
	v_cndmask_b32_e64 v11, 0, 1, s9
.LBB168_148:
	s_or_b32 exec_lo, exec_lo, s7
	v_or_b32_e32 v10, 0xd00, v0
	s_delay_alu instid0(VALU_DEP_1)
	v_cmp_gt_i32_e32 vcc_lo, s8, v10
                                        ; implicit-def: $vgpr10
	s_and_saveexec_b32 s7, vcc_lo
	s_cbranch_execz .LBB168_153
; %bb.149:
	v_cmp_ne_u32_e32 vcc_lo, 1, v5
	v_lshlrev_b32_e32 v10, 16, v9
	v_and_b32_e32 v9, 0xffff0000, v9
	s_cbranch_vccnz .LBB168_225
; %bb.150:
	s_delay_alu instid0(VALU_DEP_2) | instskip(NEXT) | instid1(VALU_DEP_2)
	v_cmp_neq_f32_e32 vcc_lo, s3, v10
	v_cmp_neq_f32_e64 s1, s6, v9
	s_or_b32 s9, vcc_lo, s1
	s_cbranch_execnz .LBB168_152
.LBB168_151:
	s_delay_alu instid0(VALU_DEP_2) | instskip(NEXT) | instid1(VALU_DEP_2)
	v_cmp_eq_f32_e32 vcc_lo, s3, v10
	v_cmp_eq_f32_e64 s1, s6, v9
	s_and_not1_b32 s9, s9, exec_lo
	s_and_b32 s1, vcc_lo, s1
	s_delay_alu instid0(SALU_CYCLE_1) | instskip(NEXT) | instid1(SALU_CYCLE_1)
	s_and_b32 s1, s1, exec_lo
	s_or_b32 s9, s9, s1
.LBB168_152:
	s_delay_alu instid0(SALU_CYCLE_1)
	v_cndmask_b32_e64 v10, 0, 1, s9
.LBB168_153:
	s_or_b32 exec_lo, exec_lo, s7
	v_or_b32_e32 v9, 0xe00, v0
	s_delay_alu instid0(VALU_DEP_1)
	v_cmp_gt_i32_e32 vcc_lo, s8, v9
                                        ; implicit-def: $vgpr9
	s_and_saveexec_b32 s7, vcc_lo
	s_cbranch_execz .LBB168_158
; %bb.154:
	v_cmp_ne_u32_e32 vcc_lo, 1, v5
	v_lshlrev_b32_e32 v9, 16, v8
	v_and_b32_e32 v8, 0xffff0000, v8
	s_cbranch_vccnz .LBB168_226
; %bb.155:
	s_delay_alu instid0(VALU_DEP_2) | instskip(NEXT) | instid1(VALU_DEP_2)
	v_cmp_neq_f32_e32 vcc_lo, s3, v9
	v_cmp_neq_f32_e64 s1, s6, v8
	s_or_b32 s9, vcc_lo, s1
	s_cbranch_execnz .LBB168_157
.LBB168_156:
	s_delay_alu instid0(VALU_DEP_2) | instskip(NEXT) | instid1(VALU_DEP_2)
	v_cmp_eq_f32_e32 vcc_lo, s3, v9
	v_cmp_eq_f32_e64 s1, s6, v8
	s_and_not1_b32 s9, s9, exec_lo
	s_and_b32 s1, vcc_lo, s1
	s_delay_alu instid0(SALU_CYCLE_1) | instskip(NEXT) | instid1(SALU_CYCLE_1)
	s_and_b32 s1, s1, exec_lo
	s_or_b32 s9, s9, s1
.LBB168_157:
	s_delay_alu instid0(SALU_CYCLE_1)
	v_cndmask_b32_e64 v9, 0, 1, s9
.LBB168_158:
	s_or_b32 exec_lo, exec_lo, s7
	v_or_b32_e32 v8, 0xf00, v0
	s_delay_alu instid0(VALU_DEP_1)
	v_cmp_gt_i32_e32 vcc_lo, s8, v8
                                        ; implicit-def: $vgpr8
	s_and_saveexec_b32 s7, vcc_lo
	s_cbranch_execz .LBB168_163
; %bb.159:
	v_cmp_ne_u32_e32 vcc_lo, 1, v5
	v_lshlrev_b32_e32 v5, 16, v7
	v_and_b32_e32 v7, 0xffff0000, v7
	s_cbranch_vccnz .LBB168_227
; %bb.160:
	s_delay_alu instid0(VALU_DEP_2) | instskip(NEXT) | instid1(VALU_DEP_2)
	v_cmp_neq_f32_e32 vcc_lo, s3, v5
	v_cmp_neq_f32_e64 s1, s6, v7
	s_or_b32 s9, vcc_lo, s1
	s_cbranch_execnz .LBB168_162
.LBB168_161:
	s_delay_alu instid0(VALU_DEP_2) | instskip(NEXT) | instid1(VALU_DEP_2)
	v_cmp_eq_f32_e32 vcc_lo, s3, v5
	v_cmp_eq_f32_e64 s1, s6, v7
	s_and_not1_b32 s3, s9, exec_lo
	s_and_b32 s1, vcc_lo, s1
	s_delay_alu instid0(SALU_CYCLE_1) | instskip(NEXT) | instid1(SALU_CYCLE_1)
	s_and_b32 s1, s1, exec_lo
	s_or_b32 s9, s3, s1
.LBB168_162:
	s_delay_alu instid0(SALU_CYCLE_1)
	v_cndmask_b32_e64 v8, 0, 1, s9
.LBB168_163:
	s_or_b32 exec_lo, exec_lo, s7
	s_and_saveexec_b32 s1, s0
	s_delay_alu instid0(SALU_CYCLE_1)
	s_xor_b32 s0, exec_lo, s1
	s_cbranch_execz .LBB168_165
; %bb.164:
	v_mov_b32_e32 v0, v6
	global_store_b8 v1, v2, s[4:5]
.LBB168_165:
	s_wait_xcnt 0x0
	s_or_b32 exec_lo, exec_lo, s0
	s_delay_alu instid0(SALU_CYCLE_1)
	s_mov_b32 s0, exec_lo
	v_cmpx_gt_i32_e64 s8, v0
	s_cbranch_execnz .LBB168_181
; %bb.166:
	s_or_b32 exec_lo, exec_lo, s0
	s_delay_alu instid0(SALU_CYCLE_1)
	s_mov_b32 s0, exec_lo
	v_cmpx_gt_i32_e64 s8, v0
	s_cbranch_execnz .LBB168_182
.LBB168_167:
	s_or_b32 exec_lo, exec_lo, s0
	s_delay_alu instid0(SALU_CYCLE_1)
	s_mov_b32 s0, exec_lo
	v_cmpx_gt_i32_e64 s8, v0
	s_cbranch_execnz .LBB168_183
.LBB168_168:
	s_or_b32 exec_lo, exec_lo, s0
	s_delay_alu instid0(SALU_CYCLE_1)
	s_mov_b32 s0, exec_lo
	v_cmpx_gt_i32_e64 s8, v0
	s_cbranch_execnz .LBB168_184
.LBB168_169:
	s_or_b32 exec_lo, exec_lo, s0
	s_delay_alu instid0(SALU_CYCLE_1)
	s_mov_b32 s0, exec_lo
	v_cmpx_gt_i32_e64 s8, v0
	s_cbranch_execnz .LBB168_185
.LBB168_170:
	s_or_b32 exec_lo, exec_lo, s0
	s_delay_alu instid0(SALU_CYCLE_1)
	s_mov_b32 s0, exec_lo
	v_cmpx_gt_i32_e64 s8, v0
	s_cbranch_execnz .LBB168_186
.LBB168_171:
	s_or_b32 exec_lo, exec_lo, s0
	s_delay_alu instid0(SALU_CYCLE_1)
	s_mov_b32 s0, exec_lo
	v_cmpx_gt_i32_e64 s8, v0
	s_cbranch_execnz .LBB168_187
.LBB168_172:
	s_or_b32 exec_lo, exec_lo, s0
	s_delay_alu instid0(SALU_CYCLE_1)
	s_mov_b32 s0, exec_lo
	v_cmpx_gt_i32_e64 s8, v0
	s_cbranch_execnz .LBB168_188
.LBB168_173:
	s_or_b32 exec_lo, exec_lo, s0
	s_delay_alu instid0(SALU_CYCLE_1)
	s_mov_b32 s0, exec_lo
	v_cmpx_gt_i32_e64 s8, v0
	s_cbranch_execnz .LBB168_189
.LBB168_174:
	s_or_b32 exec_lo, exec_lo, s0
	s_delay_alu instid0(SALU_CYCLE_1)
	s_mov_b32 s0, exec_lo
	v_cmpx_gt_i32_e64 s8, v0
	s_cbranch_execnz .LBB168_190
.LBB168_175:
	s_or_b32 exec_lo, exec_lo, s0
	s_delay_alu instid0(SALU_CYCLE_1)
	s_mov_b32 s0, exec_lo
	v_cmpx_gt_i32_e64 s8, v0
	s_cbranch_execnz .LBB168_191
.LBB168_176:
	s_or_b32 exec_lo, exec_lo, s0
	s_delay_alu instid0(SALU_CYCLE_1)
	s_mov_b32 s0, exec_lo
	v_cmpx_gt_i32_e64 s8, v0
	s_cbranch_execnz .LBB168_192
.LBB168_177:
	s_or_b32 exec_lo, exec_lo, s0
	s_delay_alu instid0(SALU_CYCLE_1)
	s_mov_b32 s0, exec_lo
	v_cmpx_gt_i32_e64 s8, v0
	s_cbranch_execnz .LBB168_193
.LBB168_178:
	s_or_b32 exec_lo, exec_lo, s0
	s_delay_alu instid0(SALU_CYCLE_1)
	s_mov_b32 s0, exec_lo
	v_cmpx_gt_i32_e64 s8, v0
	s_cbranch_execnz .LBB168_194
.LBB168_179:
	s_or_b32 exec_lo, exec_lo, s0
	s_delay_alu instid0(SALU_CYCLE_1)
	s_mov_b32 s0, exec_lo
	v_cmpx_gt_i32_e64 s8, v0
	s_cbranch_execz .LBB168_195
.LBB168_180:
	v_add_nc_u32_e32 v0, s2, v0
	global_store_b8 v0, v8, s[4:5]
	s_endpgm
.LBB168_181:
	v_add_nc_u32_e32 v1, s2, v0
	v_add_nc_u32_e32 v0, 0x100, v0
	global_store_b8 v1, v4, s[4:5]
	s_wait_xcnt 0x0
	s_or_b32 exec_lo, exec_lo, s0
	s_delay_alu instid0(SALU_CYCLE_1)
	s_mov_b32 s0, exec_lo
	v_cmpx_gt_i32_e64 s8, v0
	s_cbranch_execz .LBB168_167
.LBB168_182:
	v_add_nc_u32_e32 v1, s2, v0
	v_add_nc_u32_e32 v0, 0x100, v0
	global_store_b8 v1, v19, s[4:5]
	s_wait_xcnt 0x0
	s_or_b32 exec_lo, exec_lo, s0
	s_delay_alu instid0(SALU_CYCLE_1)
	s_mov_b32 s0, exec_lo
	v_cmpx_gt_i32_e64 s8, v0
	s_cbranch_execz .LBB168_168
.LBB168_183:
	v_add_nc_u32_e32 v1, s2, v0
	v_add_nc_u32_e32 v0, 0x100, v0
	global_store_b8 v1, v3, s[4:5]
	s_wait_xcnt 0x0
	s_or_b32 exec_lo, exec_lo, s0
	s_delay_alu instid0(SALU_CYCLE_1)
	s_mov_b32 s0, exec_lo
	v_cmpx_gt_i32_e64 s8, v0
	s_cbranch_execz .LBB168_169
.LBB168_184:
	v_add_nc_u32_e32 v1, s2, v0
	v_add_nc_u32_e32 v0, 0x100, v0
	global_store_b8 v1, v20, s[4:5]
	s_wait_xcnt 0x0
	s_or_b32 exec_lo, exec_lo, s0
	s_delay_alu instid0(SALU_CYCLE_1)
	s_mov_b32 s0, exec_lo
	v_cmpx_gt_i32_e64 s8, v0
	s_cbranch_execz .LBB168_170
.LBB168_185:
	v_add_nc_u32_e32 v1, s2, v0
	v_add_nc_u32_e32 v0, 0x100, v0
	global_store_b8 v1, v18, s[4:5]
	s_wait_xcnt 0x0
	s_or_b32 exec_lo, exec_lo, s0
	s_delay_alu instid0(SALU_CYCLE_1)
	s_mov_b32 s0, exec_lo
	v_cmpx_gt_i32_e64 s8, v0
	s_cbranch_execz .LBB168_171
.LBB168_186:
	v_add_nc_u32_e32 v1, s2, v0
	v_add_nc_u32_e32 v0, 0x100, v0
	global_store_b8 v1, v17, s[4:5]
	s_wait_xcnt 0x0
	s_or_b32 exec_lo, exec_lo, s0
	s_delay_alu instid0(SALU_CYCLE_1)
	s_mov_b32 s0, exec_lo
	v_cmpx_gt_i32_e64 s8, v0
	s_cbranch_execz .LBB168_172
.LBB168_187:
	v_add_nc_u32_e32 v1, s2, v0
	v_add_nc_u32_e32 v0, 0x100, v0
	global_store_b8 v1, v16, s[4:5]
	s_wait_xcnt 0x0
	s_or_b32 exec_lo, exec_lo, s0
	s_delay_alu instid0(SALU_CYCLE_1)
	s_mov_b32 s0, exec_lo
	v_cmpx_gt_i32_e64 s8, v0
	s_cbranch_execz .LBB168_173
.LBB168_188:
	v_add_nc_u32_e32 v1, s2, v0
	v_add_nc_u32_e32 v0, 0x100, v0
	global_store_b8 v1, v15, s[4:5]
	s_wait_xcnt 0x0
	s_or_b32 exec_lo, exec_lo, s0
	s_delay_alu instid0(SALU_CYCLE_1)
	s_mov_b32 s0, exec_lo
	v_cmpx_gt_i32_e64 s8, v0
	s_cbranch_execz .LBB168_174
.LBB168_189:
	v_add_nc_u32_e32 v1, s2, v0
	v_add_nc_u32_e32 v0, 0x100, v0
	global_store_b8 v1, v14, s[4:5]
	s_wait_xcnt 0x0
	s_or_b32 exec_lo, exec_lo, s0
	s_delay_alu instid0(SALU_CYCLE_1)
	s_mov_b32 s0, exec_lo
	v_cmpx_gt_i32_e64 s8, v0
	s_cbranch_execz .LBB168_175
.LBB168_190:
	v_add_nc_u32_e32 v1, s2, v0
	v_add_nc_u32_e32 v0, 0x100, v0
	global_store_b8 v1, v13, s[4:5]
	s_wait_xcnt 0x0
	s_or_b32 exec_lo, exec_lo, s0
	s_delay_alu instid0(SALU_CYCLE_1)
	s_mov_b32 s0, exec_lo
	v_cmpx_gt_i32_e64 s8, v0
	s_cbranch_execz .LBB168_176
.LBB168_191:
	v_add_nc_u32_e32 v1, s2, v0
	v_add_nc_u32_e32 v0, 0x100, v0
	global_store_b8 v1, v12, s[4:5]
	s_wait_xcnt 0x0
	s_or_b32 exec_lo, exec_lo, s0
	s_delay_alu instid0(SALU_CYCLE_1)
	s_mov_b32 s0, exec_lo
	v_cmpx_gt_i32_e64 s8, v0
	s_cbranch_execz .LBB168_177
.LBB168_192:
	v_add_nc_u32_e32 v1, s2, v0
	v_add_nc_u32_e32 v0, 0x100, v0
	global_store_b8 v1, v11, s[4:5]
	s_wait_xcnt 0x0
	s_or_b32 exec_lo, exec_lo, s0
	s_delay_alu instid0(SALU_CYCLE_1)
	s_mov_b32 s0, exec_lo
	v_cmpx_gt_i32_e64 s8, v0
	s_cbranch_execz .LBB168_178
.LBB168_193:
	v_add_nc_u32_e32 v1, s2, v0
	v_add_nc_u32_e32 v0, 0x100, v0
	global_store_b8 v1, v10, s[4:5]
	s_wait_xcnt 0x0
	s_or_b32 exec_lo, exec_lo, s0
	s_delay_alu instid0(SALU_CYCLE_1)
	s_mov_b32 s0, exec_lo
	v_cmpx_gt_i32_e64 s8, v0
	s_cbranch_execz .LBB168_179
.LBB168_194:
	v_add_nc_u32_e32 v1, s2, v0
	v_add_nc_u32_e32 v0, 0x100, v0
	global_store_b8 v1, v9, s[4:5]
	s_wait_xcnt 0x0
	s_or_b32 exec_lo, exec_lo, s0
	s_delay_alu instid0(SALU_CYCLE_1)
	s_mov_b32 s0, exec_lo
	v_cmpx_gt_i32_e64 s8, v0
	s_cbranch_execnz .LBB168_180
.LBB168_195:
	s_endpgm
.LBB168_196:
                                        ; implicit-def: $sgpr1
	s_branch .LBB168_3
.LBB168_197:
                                        ; implicit-def: $sgpr13
	s_branch .LBB168_6
.LBB168_198:
                                        ; implicit-def: $sgpr14
	s_branch .LBB168_9
.LBB168_199:
                                        ; implicit-def: $sgpr15
	s_branch .LBB168_12
.LBB168_200:
                                        ; implicit-def: $sgpr16
	s_branch .LBB168_15
.LBB168_201:
                                        ; implicit-def: $sgpr17
	s_branch .LBB168_18
.LBB168_202:
                                        ; implicit-def: $sgpr18
	s_branch .LBB168_21
.LBB168_203:
                                        ; implicit-def: $sgpr20
	s_branch .LBB168_24
.LBB168_204:
                                        ; implicit-def: $sgpr19
	s_branch .LBB168_27
.LBB168_205:
                                        ; implicit-def: $sgpr21
	s_branch .LBB168_30
.LBB168_206:
                                        ; implicit-def: $sgpr22
	s_branch .LBB168_33
.LBB168_207:
                                        ; implicit-def: $sgpr23
	s_branch .LBB168_36
.LBB168_208:
                                        ; implicit-def: $sgpr24
	s_branch .LBB168_39
.LBB168_209:
                                        ; implicit-def: $sgpr25
	s_branch .LBB168_42
.LBB168_210:
                                        ; implicit-def: $sgpr26
	s_branch .LBB168_45
.LBB168_211:
                                        ; implicit-def: $sgpr27
	s_branch .LBB168_48
.LBB168_212:
                                        ; implicit-def: $sgpr10
	s_branch .LBB168_86
.LBB168_213:
                                        ; implicit-def: $sgpr7
	s_branch .LBB168_91
.LBB168_214:
                                        ; implicit-def: $sgpr9
	s_branch .LBB168_96
.LBB168_215:
                                        ; implicit-def: $sgpr9
	s_branch .LBB168_101
.LBB168_216:
                                        ; implicit-def: $sgpr9
	s_branch .LBB168_106
.LBB168_217:
                                        ; implicit-def: $sgpr9
	s_branch .LBB168_111
.LBB168_218:
                                        ; implicit-def: $sgpr9
	s_branch .LBB168_116
.LBB168_219:
                                        ; implicit-def: $sgpr9
	s_branch .LBB168_121
.LBB168_220:
                                        ; implicit-def: $sgpr9
	s_branch .LBB168_126
.LBB168_221:
                                        ; implicit-def: $sgpr9
	s_branch .LBB168_131
.LBB168_222:
                                        ; implicit-def: $sgpr9
	s_branch .LBB168_136
.LBB168_223:
                                        ; implicit-def: $sgpr9
	s_branch .LBB168_141
.LBB168_224:
                                        ; implicit-def: $sgpr9
	s_branch .LBB168_146
.LBB168_225:
                                        ; implicit-def: $sgpr9
	s_branch .LBB168_151
.LBB168_226:
                                        ; implicit-def: $sgpr9
	s_branch .LBB168_156
.LBB168_227:
                                        ; implicit-def: $sgpr9
	s_branch .LBB168_161
	.section	.rodata,"a",@progbits
	.p2align	6, 0x0
	.amdhsa_kernel _ZN2at6native29vectorized_elementwise_kernelILi16ENS0_13AUnaryFunctorIN3c107complexINS3_8BFloat16EEES6_bNS0_12_GLOBAL__N_116CompareEqFunctorIS6_EEEESt5arrayIPcLm2EEEEviT0_T1_
		.amdhsa_group_segment_fixed_size 0
		.amdhsa_private_segment_fixed_size 0
		.amdhsa_kernarg_size 32
		.amdhsa_user_sgpr_count 2
		.amdhsa_user_sgpr_dispatch_ptr 0
		.amdhsa_user_sgpr_queue_ptr 0
		.amdhsa_user_sgpr_kernarg_segment_ptr 1
		.amdhsa_user_sgpr_dispatch_id 0
		.amdhsa_user_sgpr_kernarg_preload_length 0
		.amdhsa_user_sgpr_kernarg_preload_offset 0
		.amdhsa_user_sgpr_private_segment_size 0
		.amdhsa_wavefront_size32 1
		.amdhsa_uses_dynamic_stack 0
		.amdhsa_enable_private_segment 0
		.amdhsa_system_sgpr_workgroup_id_x 1
		.amdhsa_system_sgpr_workgroup_id_y 0
		.amdhsa_system_sgpr_workgroup_id_z 0
		.amdhsa_system_sgpr_workgroup_info 0
		.amdhsa_system_vgpr_workitem_id 0
		.amdhsa_next_free_vgpr 22
		.amdhsa_next_free_sgpr 28
		.amdhsa_named_barrier_count 0
		.amdhsa_reserve_vcc 1
		.amdhsa_float_round_mode_32 0
		.amdhsa_float_round_mode_16_64 0
		.amdhsa_float_denorm_mode_32 3
		.amdhsa_float_denorm_mode_16_64 3
		.amdhsa_fp16_overflow 0
		.amdhsa_memory_ordered 1
		.amdhsa_forward_progress 1
		.amdhsa_inst_pref_size 50
		.amdhsa_round_robin_scheduling 0
		.amdhsa_exception_fp_ieee_invalid_op 0
		.amdhsa_exception_fp_denorm_src 0
		.amdhsa_exception_fp_ieee_div_zero 0
		.amdhsa_exception_fp_ieee_overflow 0
		.amdhsa_exception_fp_ieee_underflow 0
		.amdhsa_exception_fp_ieee_inexact 0
		.amdhsa_exception_int_div_zero 0
	.end_amdhsa_kernel
	.section	.text._ZN2at6native29vectorized_elementwise_kernelILi16ENS0_13AUnaryFunctorIN3c107complexINS3_8BFloat16EEES6_bNS0_12_GLOBAL__N_116CompareEqFunctorIS6_EEEESt5arrayIPcLm2EEEEviT0_T1_,"axG",@progbits,_ZN2at6native29vectorized_elementwise_kernelILi16ENS0_13AUnaryFunctorIN3c107complexINS3_8BFloat16EEES6_bNS0_12_GLOBAL__N_116CompareEqFunctorIS6_EEEESt5arrayIPcLm2EEEEviT0_T1_,comdat
.Lfunc_end168:
	.size	_ZN2at6native29vectorized_elementwise_kernelILi16ENS0_13AUnaryFunctorIN3c107complexINS3_8BFloat16EEES6_bNS0_12_GLOBAL__N_116CompareEqFunctorIS6_EEEESt5arrayIPcLm2EEEEviT0_T1_, .Lfunc_end168-_ZN2at6native29vectorized_elementwise_kernelILi16ENS0_13AUnaryFunctorIN3c107complexINS3_8BFloat16EEES6_bNS0_12_GLOBAL__N_116CompareEqFunctorIS6_EEEESt5arrayIPcLm2EEEEviT0_T1_
                                        ; -- End function
	.set _ZN2at6native29vectorized_elementwise_kernelILi16ENS0_13AUnaryFunctorIN3c107complexINS3_8BFloat16EEES6_bNS0_12_GLOBAL__N_116CompareEqFunctorIS6_EEEESt5arrayIPcLm2EEEEviT0_T1_.num_vgpr, 22
	.set _ZN2at6native29vectorized_elementwise_kernelILi16ENS0_13AUnaryFunctorIN3c107complexINS3_8BFloat16EEES6_bNS0_12_GLOBAL__N_116CompareEqFunctorIS6_EEEESt5arrayIPcLm2EEEEviT0_T1_.num_agpr, 0
	.set _ZN2at6native29vectorized_elementwise_kernelILi16ENS0_13AUnaryFunctorIN3c107complexINS3_8BFloat16EEES6_bNS0_12_GLOBAL__N_116CompareEqFunctorIS6_EEEESt5arrayIPcLm2EEEEviT0_T1_.numbered_sgpr, 28
	.set _ZN2at6native29vectorized_elementwise_kernelILi16ENS0_13AUnaryFunctorIN3c107complexINS3_8BFloat16EEES6_bNS0_12_GLOBAL__N_116CompareEqFunctorIS6_EEEESt5arrayIPcLm2EEEEviT0_T1_.num_named_barrier, 0
	.set _ZN2at6native29vectorized_elementwise_kernelILi16ENS0_13AUnaryFunctorIN3c107complexINS3_8BFloat16EEES6_bNS0_12_GLOBAL__N_116CompareEqFunctorIS6_EEEESt5arrayIPcLm2EEEEviT0_T1_.private_seg_size, 0
	.set _ZN2at6native29vectorized_elementwise_kernelILi16ENS0_13AUnaryFunctorIN3c107complexINS3_8BFloat16EEES6_bNS0_12_GLOBAL__N_116CompareEqFunctorIS6_EEEESt5arrayIPcLm2EEEEviT0_T1_.uses_vcc, 1
	.set _ZN2at6native29vectorized_elementwise_kernelILi16ENS0_13AUnaryFunctorIN3c107complexINS3_8BFloat16EEES6_bNS0_12_GLOBAL__N_116CompareEqFunctorIS6_EEEESt5arrayIPcLm2EEEEviT0_T1_.uses_flat_scratch, 0
	.set _ZN2at6native29vectorized_elementwise_kernelILi16ENS0_13AUnaryFunctorIN3c107complexINS3_8BFloat16EEES6_bNS0_12_GLOBAL__N_116CompareEqFunctorIS6_EEEESt5arrayIPcLm2EEEEviT0_T1_.has_dyn_sized_stack, 0
	.set _ZN2at6native29vectorized_elementwise_kernelILi16ENS0_13AUnaryFunctorIN3c107complexINS3_8BFloat16EEES6_bNS0_12_GLOBAL__N_116CompareEqFunctorIS6_EEEESt5arrayIPcLm2EEEEviT0_T1_.has_recursion, 0
	.set _ZN2at6native29vectorized_elementwise_kernelILi16ENS0_13AUnaryFunctorIN3c107complexINS3_8BFloat16EEES6_bNS0_12_GLOBAL__N_116CompareEqFunctorIS6_EEEESt5arrayIPcLm2EEEEviT0_T1_.has_indirect_call, 0
	.section	.AMDGPU.csdata,"",@progbits
; Kernel info:
; codeLenInByte = 6356
; TotalNumSgprs: 30
; NumVgprs: 22
; ScratchSize: 0
; MemoryBound: 1
; FloatMode: 240
; IeeeMode: 1
; LDSByteSize: 0 bytes/workgroup (compile time only)
; SGPRBlocks: 0
; VGPRBlocks: 1
; NumSGPRsForWavesPerEU: 30
; NumVGPRsForWavesPerEU: 22
; NamedBarCnt: 0
; Occupancy: 16
; WaveLimiterHint : 0
; COMPUTE_PGM_RSRC2:SCRATCH_EN: 0
; COMPUTE_PGM_RSRC2:USER_SGPR: 2
; COMPUTE_PGM_RSRC2:TRAP_HANDLER: 0
; COMPUTE_PGM_RSRC2:TGID_X_EN: 1
; COMPUTE_PGM_RSRC2:TGID_Y_EN: 0
; COMPUTE_PGM_RSRC2:TGID_Z_EN: 0
; COMPUTE_PGM_RSRC2:TIDIG_COMP_CNT: 0
	.section	.text._ZN2at6native29vectorized_elementwise_kernelILi8ENS0_13AUnaryFunctorIN3c107complexINS3_8BFloat16EEES6_bNS0_12_GLOBAL__N_116CompareEqFunctorIS6_EEEESt5arrayIPcLm2EEEEviT0_T1_,"axG",@progbits,_ZN2at6native29vectorized_elementwise_kernelILi8ENS0_13AUnaryFunctorIN3c107complexINS3_8BFloat16EEES6_bNS0_12_GLOBAL__N_116CompareEqFunctorIS6_EEEESt5arrayIPcLm2EEEEviT0_T1_,comdat
	.globl	_ZN2at6native29vectorized_elementwise_kernelILi8ENS0_13AUnaryFunctorIN3c107complexINS3_8BFloat16EEES6_bNS0_12_GLOBAL__N_116CompareEqFunctorIS6_EEEESt5arrayIPcLm2EEEEviT0_T1_ ; -- Begin function _ZN2at6native29vectorized_elementwise_kernelILi8ENS0_13AUnaryFunctorIN3c107complexINS3_8BFloat16EEES6_bNS0_12_GLOBAL__N_116CompareEqFunctorIS6_EEEESt5arrayIPcLm2EEEEviT0_T1_
	.p2align	8
	.type	_ZN2at6native29vectorized_elementwise_kernelILi8ENS0_13AUnaryFunctorIN3c107complexINS3_8BFloat16EEES6_bNS0_12_GLOBAL__N_116CompareEqFunctorIS6_EEEESt5arrayIPcLm2EEEEviT0_T1_,@function
_ZN2at6native29vectorized_elementwise_kernelILi8ENS0_13AUnaryFunctorIN3c107complexINS3_8BFloat16EEES6_bNS0_12_GLOBAL__N_116CompareEqFunctorIS6_EEEESt5arrayIPcLm2EEEEviT0_T1_: ; @_ZN2at6native29vectorized_elementwise_kernelILi8ENS0_13AUnaryFunctorIN3c107complexINS3_8BFloat16EEES6_bNS0_12_GLOBAL__N_116CompareEqFunctorIS6_EEEESt5arrayIPcLm2EEEEviT0_T1_
; %bb.0:
	s_clause 0x1
	s_load_b96 s[8:10], s[0:1], 0x0
	s_load_b128 s[4:7], s[0:1], 0x10
	s_wait_xcnt 0x0
	s_bfe_u32 s0, ttmp6, 0x4000c
	s_and_b32 s1, ttmp6, 15
	s_add_co_i32 s0, s0, 1
	s_getreg_b32 s2, hwreg(HW_REG_IB_STS2, 6, 4)
	s_mul_i32 s0, ttmp9, s0
	s_delay_alu instid0(SALU_CYCLE_1) | instskip(SKIP_2) | instid1(SALU_CYCLE_1)
	s_add_co_i32 s1, s1, s0
	s_cmp_eq_u32 s2, 0
	s_cselect_b32 s0, ttmp9, s1
	s_lshl_b32 s2, s0, 12
	s_mov_b32 s0, -1
	s_wait_kmcnt 0x0
	s_sub_co_i32 s8, s8, s2
	s_delay_alu instid0(SALU_CYCLE_1)
	s_cmp_gt_i32 s8, 0xfff
	s_cbranch_scc0 .LBB169_50
; %bb.1:
	s_ashr_i32 s3, s2, 31
	v_lshlrev_b32_e32 v1, 5, v0
	s_lshl_b64 s[0:1], s[2:3], 2
	s_cmp_lg_u32 s9, 0
	s_add_nc_u64 s[0:1], s[6:7], s[0:1]
	s_cselect_b32 s13, -1, 0
	s_clause 0x3
	global_load_b128 v[14:17], v1, s[0:1]
	global_load_b128 v[10:13], v1, s[0:1] offset:16
	global_load_b128 v[2:5], v1, s[0:1] offset:8208
	;; [unrolled: 1-line block ×3, first 2 shown]
	s_lshl_b32 s11, s10, 16
	s_and_b32 vcc_lo, exec_lo, s13
	s_and_b32 s12, s10, 0xffff0000
	s_wait_loadcnt 0x3
	s_wait_xcnt 0x0
	v_lshlrev_b32_e32 v1, 16, v14
	v_and_b32_e32 v14, 0xffff0000, v14
	s_cbranch_vccz .LBB169_196
; %bb.2:
	s_delay_alu instid0(VALU_DEP_2) | instskip(NEXT) | instid1(VALU_DEP_2)
	v_cmp_neq_f32_e32 vcc_lo, s11, v1
	v_cmp_neq_f32_e64 s0, s12, v14
	s_or_b32 s1, vcc_lo, s0
	s_cbranch_execnz .LBB169_4
.LBB169_3:
	s_delay_alu instid0(VALU_DEP_2) | instskip(NEXT) | instid1(VALU_DEP_2)
	v_cmp_eq_f32_e32 vcc_lo, s11, v1
	v_cmp_eq_f32_e64 s0, s12, v14
	s_and_not1_b32 s1, s1, exec_lo
	s_and_b32 s0, vcc_lo, s0
	s_delay_alu instid0(SALU_CYCLE_1) | instskip(NEXT) | instid1(SALU_CYCLE_1)
	s_and_b32 s0, s0, exec_lo
	s_or_b32 s1, s1, s0
.LBB169_4:
	v_cndmask_b32_e64 v1, 0, 1, s13
	v_lshlrev_b32_e32 v14, 16, v15
	v_and_b32_e32 v15, 0xffff0000, v15
	s_and_not1_b32 vcc_lo, exec_lo, s13
	s_cbranch_vccnz .LBB169_197
; %bb.5:
	s_delay_alu instid0(VALU_DEP_2) | instskip(NEXT) | instid1(VALU_DEP_2)
	v_cmp_neq_f32_e32 vcc_lo, s11, v14
	v_cmp_neq_f32_e64 s0, s12, v15
	s_or_b32 s13, vcc_lo, s0
	s_cbranch_execnz .LBB169_7
.LBB169_6:
	v_cmp_eq_f32_e32 vcc_lo, s11, v14
	v_cmp_eq_f32_e64 s0, s12, v15
	s_and_not1_b32 s13, s13, exec_lo
	s_and_b32 s0, vcc_lo, s0
	s_delay_alu instid0(SALU_CYCLE_1) | instskip(NEXT) | instid1(SALU_CYCLE_1)
	s_and_b32 s0, s0, exec_lo
	s_or_b32 s13, s13, s0
.LBB169_7:
	v_cmp_ne_u32_e32 vcc_lo, 1, v1
	v_lshlrev_b32_e32 v14, 16, v16
	v_and_b32_e32 v15, 0xffff0000, v16
	s_cbranch_vccnz .LBB169_198
; %bb.8:
	s_delay_alu instid0(VALU_DEP_2) | instskip(NEXT) | instid1(VALU_DEP_2)
	v_cmp_neq_f32_e32 vcc_lo, s11, v14
	v_cmp_neq_f32_e64 s0, s12, v15
	s_or_b32 s14, vcc_lo, s0
	s_cbranch_execnz .LBB169_10
.LBB169_9:
	s_delay_alu instid0(VALU_DEP_2) | instskip(NEXT) | instid1(VALU_DEP_2)
	v_cmp_eq_f32_e32 vcc_lo, s11, v14
	v_cmp_eq_f32_e64 s0, s12, v15
	s_and_not1_b32 s14, s14, exec_lo
	s_and_b32 s0, vcc_lo, s0
	s_delay_alu instid0(SALU_CYCLE_1) | instskip(NEXT) | instid1(SALU_CYCLE_1)
	s_and_b32 s0, s0, exec_lo
	s_or_b32 s14, s14, s0
.LBB169_10:
	v_cmp_ne_u32_e32 vcc_lo, 1, v1
	v_lshlrev_b32_e32 v14, 16, v17
	v_and_b32_e32 v15, 0xffff0000, v17
	s_cbranch_vccnz .LBB169_199
; %bb.11:
	s_delay_alu instid0(VALU_DEP_2) | instskip(NEXT) | instid1(VALU_DEP_2)
	v_cmp_neq_f32_e32 vcc_lo, s11, v14
	v_cmp_neq_f32_e64 s0, s12, v15
	s_or_b32 s15, vcc_lo, s0
	s_cbranch_execnz .LBB169_13
.LBB169_12:
	s_delay_alu instid0(VALU_DEP_2) | instskip(NEXT) | instid1(VALU_DEP_2)
	v_cmp_eq_f32_e32 vcc_lo, s11, v14
	v_cmp_eq_f32_e64 s0, s12, v15
	s_and_not1_b32 s15, s15, exec_lo
	s_and_b32 s0, vcc_lo, s0
	s_delay_alu instid0(SALU_CYCLE_1) | instskip(NEXT) | instid1(SALU_CYCLE_1)
	s_and_b32 s0, s0, exec_lo
	s_or_b32 s15, s15, s0
.LBB169_13:
	v_cmp_ne_u32_e32 vcc_lo, 1, v1
	s_wait_loadcnt 0x2
	v_lshlrev_b32_e32 v14, 16, v10
	v_and_b32_e32 v10, 0xffff0000, v10
	s_cbranch_vccnz .LBB169_200
; %bb.14:
	s_delay_alu instid0(VALU_DEP_2) | instskip(NEXT) | instid1(VALU_DEP_2)
	v_cmp_neq_f32_e32 vcc_lo, s11, v14
	v_cmp_neq_f32_e64 s0, s12, v10
	s_or_b32 s16, vcc_lo, s0
	s_cbranch_execnz .LBB169_16
.LBB169_15:
	s_delay_alu instid0(VALU_DEP_2) | instskip(NEXT) | instid1(VALU_DEP_2)
	v_cmp_eq_f32_e32 vcc_lo, s11, v14
	v_cmp_eq_f32_e64 s0, s12, v10
	s_and_not1_b32 s16, s16, exec_lo
	s_and_b32 s0, vcc_lo, s0
	s_delay_alu instid0(SALU_CYCLE_1) | instskip(NEXT) | instid1(SALU_CYCLE_1)
	s_and_b32 s0, s0, exec_lo
	s_or_b32 s16, s16, s0
.LBB169_16:
	v_cmp_ne_u32_e32 vcc_lo, 1, v1
	v_lshlrev_b32_e32 v10, 16, v11
	v_and_b32_e32 v11, 0xffff0000, v11
	s_cbranch_vccnz .LBB169_201
; %bb.17:
	s_delay_alu instid0(VALU_DEP_2) | instskip(NEXT) | instid1(VALU_DEP_2)
	v_cmp_neq_f32_e32 vcc_lo, s11, v10
	v_cmp_neq_f32_e64 s0, s12, v11
	s_or_b32 s17, vcc_lo, s0
	s_cbranch_execnz .LBB169_19
.LBB169_18:
	s_delay_alu instid0(VALU_DEP_2) | instskip(NEXT) | instid1(VALU_DEP_2)
	v_cmp_eq_f32_e32 vcc_lo, s11, v10
	v_cmp_eq_f32_e64 s0, s12, v11
	s_and_not1_b32 s17, s17, exec_lo
	s_and_b32 s0, vcc_lo, s0
	s_delay_alu instid0(SALU_CYCLE_1) | instskip(NEXT) | instid1(SALU_CYCLE_1)
	s_and_b32 s0, s0, exec_lo
	s_or_b32 s17, s17, s0
.LBB169_19:
	v_cmp_ne_u32_e32 vcc_lo, 1, v1
	v_lshlrev_b32_e32 v10, 16, v12
	v_and_b32_e32 v11, 0xffff0000, v12
	s_cbranch_vccnz .LBB169_202
; %bb.20:
	s_delay_alu instid0(VALU_DEP_2) | instskip(NEXT) | instid1(VALU_DEP_2)
	v_cmp_neq_f32_e32 vcc_lo, s11, v10
	v_cmp_neq_f32_e64 s0, s12, v11
	s_or_b32 s18, vcc_lo, s0
	s_cbranch_execnz .LBB169_22
.LBB169_21:
	s_delay_alu instid0(VALU_DEP_2) | instskip(NEXT) | instid1(VALU_DEP_2)
	v_cmp_eq_f32_e32 vcc_lo, s11, v10
	v_cmp_eq_f32_e64 s0, s12, v11
	s_and_not1_b32 s18, s18, exec_lo
	s_and_b32 s0, vcc_lo, s0
	s_delay_alu instid0(SALU_CYCLE_1) | instskip(NEXT) | instid1(SALU_CYCLE_1)
	s_and_b32 s0, s0, exec_lo
	s_or_b32 s18, s18, s0
.LBB169_22:
	v_cmp_ne_u32_e32 vcc_lo, 1, v1
	v_lshlrev_b32_e32 v10, 16, v13
	v_and_b32_e32 v11, 0xffff0000, v13
	s_cbranch_vccnz .LBB169_203
; %bb.23:
	s_delay_alu instid0(VALU_DEP_2) | instskip(NEXT) | instid1(VALU_DEP_2)
	v_cmp_neq_f32_e32 vcc_lo, s11, v10
	v_cmp_neq_f32_e64 s0, s12, v11
	s_or_b32 s19, vcc_lo, s0
	s_cbranch_execnz .LBB169_25
.LBB169_24:
	s_delay_alu instid0(VALU_DEP_2) | instskip(NEXT) | instid1(VALU_DEP_2)
	v_cmp_eq_f32_e32 vcc_lo, s11, v10
	v_cmp_eq_f32_e64 s0, s12, v11
	s_and_not1_b32 s19, s19, exec_lo
	s_and_b32 s0, vcc_lo, s0
	s_delay_alu instid0(SALU_CYCLE_1) | instskip(NEXT) | instid1(SALU_CYCLE_1)
	s_and_b32 s0, s0, exec_lo
	s_or_b32 s19, s19, s0
.LBB169_25:
	v_cmp_ne_u32_e32 vcc_lo, 1, v1
	s_wait_loadcnt 0x0
	v_lshlrev_b32_e32 v10, 16, v6
	v_and_b32_e32 v6, 0xffff0000, v6
	s_cbranch_vccnz .LBB169_204
; %bb.26:
	s_delay_alu instid0(VALU_DEP_2) | instskip(NEXT) | instid1(VALU_DEP_2)
	v_cmp_neq_f32_e32 vcc_lo, s11, v10
	v_cmp_neq_f32_e64 s0, s12, v6
	s_or_b32 s20, vcc_lo, s0
	s_cbranch_execnz .LBB169_28
.LBB169_27:
	s_delay_alu instid0(VALU_DEP_2) | instskip(NEXT) | instid1(VALU_DEP_2)
	v_cmp_eq_f32_e32 vcc_lo, s11, v10
	v_cmp_eq_f32_e64 s0, s12, v6
	s_and_not1_b32 s20, s20, exec_lo
	s_and_b32 s0, vcc_lo, s0
	s_delay_alu instid0(SALU_CYCLE_1) | instskip(NEXT) | instid1(SALU_CYCLE_1)
	s_and_b32 s0, s0, exec_lo
	s_or_b32 s20, s20, s0
.LBB169_28:
	v_cmp_ne_u32_e32 vcc_lo, 1, v1
	v_lshlrev_b32_e32 v6, 16, v7
	v_and_b32_e32 v7, 0xffff0000, v7
	s_cbranch_vccnz .LBB169_205
; %bb.29:
	s_delay_alu instid0(VALU_DEP_2) | instskip(NEXT) | instid1(VALU_DEP_2)
	v_cmp_neq_f32_e32 vcc_lo, s11, v6
	v_cmp_neq_f32_e64 s0, s12, v7
	s_or_b32 s21, vcc_lo, s0
	s_cbranch_execnz .LBB169_31
.LBB169_30:
	s_delay_alu instid0(VALU_DEP_2) | instskip(NEXT) | instid1(VALU_DEP_2)
	v_cmp_eq_f32_e32 vcc_lo, s11, v6
	v_cmp_eq_f32_e64 s0, s12, v7
	s_and_not1_b32 s21, s21, exec_lo
	s_and_b32 s0, vcc_lo, s0
	s_delay_alu instid0(SALU_CYCLE_1) | instskip(NEXT) | instid1(SALU_CYCLE_1)
	s_and_b32 s0, s0, exec_lo
	s_or_b32 s21, s21, s0
.LBB169_31:
	v_cmp_ne_u32_e32 vcc_lo, 1, v1
	v_lshlrev_b32_e32 v6, 16, v8
	v_and_b32_e32 v7, 0xffff0000, v8
	s_cbranch_vccnz .LBB169_206
; %bb.32:
	s_delay_alu instid0(VALU_DEP_2) | instskip(NEXT) | instid1(VALU_DEP_2)
	v_cmp_neq_f32_e32 vcc_lo, s11, v6
	v_cmp_neq_f32_e64 s0, s12, v7
	s_or_b32 s22, vcc_lo, s0
	s_cbranch_execnz .LBB169_34
.LBB169_33:
	s_delay_alu instid0(VALU_DEP_2) | instskip(NEXT) | instid1(VALU_DEP_2)
	v_cmp_eq_f32_e32 vcc_lo, s11, v6
	v_cmp_eq_f32_e64 s0, s12, v7
	s_and_not1_b32 s22, s22, exec_lo
	s_and_b32 s0, vcc_lo, s0
	s_delay_alu instid0(SALU_CYCLE_1) | instskip(NEXT) | instid1(SALU_CYCLE_1)
	s_and_b32 s0, s0, exec_lo
	s_or_b32 s22, s22, s0
.LBB169_34:
	v_cmp_ne_u32_e32 vcc_lo, 1, v1
	v_lshlrev_b32_e32 v6, 16, v9
	v_and_b32_e32 v7, 0xffff0000, v9
	s_cbranch_vccnz .LBB169_207
; %bb.35:
	s_delay_alu instid0(VALU_DEP_2) | instskip(NEXT) | instid1(VALU_DEP_2)
	v_cmp_neq_f32_e32 vcc_lo, s11, v6
	v_cmp_neq_f32_e64 s0, s12, v7
	s_or_b32 s23, vcc_lo, s0
	s_cbranch_execnz .LBB169_37
.LBB169_36:
	s_delay_alu instid0(VALU_DEP_2) | instskip(NEXT) | instid1(VALU_DEP_2)
	v_cmp_eq_f32_e32 vcc_lo, s11, v6
	v_cmp_eq_f32_e64 s0, s12, v7
	s_and_not1_b32 s23, s23, exec_lo
	s_and_b32 s0, vcc_lo, s0
	s_delay_alu instid0(SALU_CYCLE_1) | instskip(NEXT) | instid1(SALU_CYCLE_1)
	s_and_b32 s0, s0, exec_lo
	s_or_b32 s23, s23, s0
.LBB169_37:
	v_cmp_ne_u32_e32 vcc_lo, 1, v1
	v_lshlrev_b32_e32 v6, 16, v2
	v_and_b32_e32 v2, 0xffff0000, v2
	s_cbranch_vccnz .LBB169_208
; %bb.38:
	s_delay_alu instid0(VALU_DEP_2) | instskip(NEXT) | instid1(VALU_DEP_2)
	v_cmp_neq_f32_e32 vcc_lo, s11, v6
	v_cmp_neq_f32_e64 s0, s12, v2
	s_or_b32 s24, vcc_lo, s0
	s_cbranch_execnz .LBB169_40
.LBB169_39:
	s_delay_alu instid0(VALU_DEP_2) | instskip(NEXT) | instid1(VALU_DEP_2)
	v_cmp_eq_f32_e32 vcc_lo, s11, v6
	v_cmp_eq_f32_e64 s0, s12, v2
	s_and_not1_b32 s24, s24, exec_lo
	s_and_b32 s0, vcc_lo, s0
	s_delay_alu instid0(SALU_CYCLE_1) | instskip(NEXT) | instid1(SALU_CYCLE_1)
	s_and_b32 s0, s0, exec_lo
	s_or_b32 s24, s24, s0
.LBB169_40:
	v_cmp_ne_u32_e32 vcc_lo, 1, v1
	v_lshlrev_b32_e32 v2, 16, v3
	v_and_b32_e32 v3, 0xffff0000, v3
	s_cbranch_vccnz .LBB169_209
; %bb.41:
	s_delay_alu instid0(VALU_DEP_2) | instskip(NEXT) | instid1(VALU_DEP_2)
	v_cmp_neq_f32_e32 vcc_lo, s11, v2
	v_cmp_neq_f32_e64 s0, s12, v3
	s_or_b32 s25, vcc_lo, s0
	s_cbranch_execnz .LBB169_43
.LBB169_42:
	s_delay_alu instid0(VALU_DEP_2) | instskip(NEXT) | instid1(VALU_DEP_2)
	v_cmp_eq_f32_e32 vcc_lo, s11, v2
	v_cmp_eq_f32_e64 s0, s12, v3
	s_and_not1_b32 s25, s25, exec_lo
	s_and_b32 s0, vcc_lo, s0
	s_delay_alu instid0(SALU_CYCLE_1) | instskip(NEXT) | instid1(SALU_CYCLE_1)
	s_and_b32 s0, s0, exec_lo
	s_or_b32 s25, s25, s0
.LBB169_43:
	v_cmp_ne_u32_e32 vcc_lo, 1, v1
	v_lshlrev_b32_e32 v2, 16, v4
	v_and_b32_e32 v3, 0xffff0000, v4
	s_cbranch_vccnz .LBB169_210
; %bb.44:
	s_delay_alu instid0(VALU_DEP_2) | instskip(NEXT) | instid1(VALU_DEP_2)
	v_cmp_neq_f32_e32 vcc_lo, s11, v2
	v_cmp_neq_f32_e64 s0, s12, v3
	s_or_b32 s26, vcc_lo, s0
	s_cbranch_execnz .LBB169_46
.LBB169_45:
	s_delay_alu instid0(VALU_DEP_2) | instskip(NEXT) | instid1(VALU_DEP_2)
	v_cmp_eq_f32_e32 vcc_lo, s11, v2
	v_cmp_eq_f32_e64 s0, s12, v3
	s_and_not1_b32 s26, s26, exec_lo
	s_and_b32 s0, vcc_lo, s0
	s_delay_alu instid0(SALU_CYCLE_1) | instskip(NEXT) | instid1(SALU_CYCLE_1)
	s_and_b32 s0, s0, exec_lo
	s_or_b32 s26, s26, s0
.LBB169_46:
	v_cmp_ne_u32_e32 vcc_lo, 1, v1
	v_lshlrev_b32_e32 v1, 16, v5
	v_and_b32_e32 v2, 0xffff0000, v5
	s_cbranch_vccnz .LBB169_211
; %bb.47:
	s_delay_alu instid0(VALU_DEP_2) | instskip(NEXT) | instid1(VALU_DEP_2)
	v_cmp_neq_f32_e32 vcc_lo, s11, v1
	v_cmp_neq_f32_e64 s0, s12, v2
	s_or_b32 s27, vcc_lo, s0
	s_cbranch_execnz .LBB169_49
.LBB169_48:
	s_delay_alu instid0(VALU_DEP_2) | instskip(NEXT) | instid1(VALU_DEP_2)
	v_cmp_eq_f32_e32 vcc_lo, s11, v1
	v_cmp_eq_f32_e64 s0, s12, v2
	s_and_not1_b32 s11, s27, exec_lo
	s_and_b32 s0, vcc_lo, s0
	s_delay_alu instid0(SALU_CYCLE_1) | instskip(NEXT) | instid1(SALU_CYCLE_1)
	s_and_b32 s0, s0, exec_lo
	s_or_b32 s27, s11, s0
.LBB169_49:
	v_cndmask_b32_e64 v1, 0, 0x100, s21
	v_cndmask_b32_e64 v2, 0, 1, s20
	;; [unrolled: 1-line block ×6, first 2 shown]
	v_or_b32_e32 v1, v1, v2
	v_cndmask_b32_e64 v2, 0, 0x1000000, s23
	v_or_b32_e32 v4, v4, v5
	v_cndmask_b32_e64 v5, 0, 0x10000, s14
	v_or3_b32 v6, 0, 0, 0
	v_cndmask_b32_e64 v7, 0, 1, s24
	v_cndmask_b32_e64 v8, 0, 0x100, s25
	;; [unrolled: 1-line block ×4, first 2 shown]
	v_or3_b32 v1, v1, v3, v2
	v_or3_b32 v2, v4, v5, v9
	;; [unrolled: 1-line block ×3, first 2 shown]
	v_cndmask_b32_e64 v5, 0, 0x10000, s18
	v_or3_b32 v3, v6, v10, v11
	v_cndmask_b32_e64 v6, 0, 0x1000000, s19
	v_or3_b32 v2, v2, 0, 0
	v_cndmask_b32_e64 v4, 0, 0x10000, s26
	v_cndmask_b32_e64 v8, 0, 0x1000000, s27
	v_or3_b32 v1, v1, 0, 0
	v_or3_b32 v3, v3, v5, v6
	;; [unrolled: 1-line block ×3, first 2 shown]
	s_add_nc_u64 s[12:13], s[4:5], s[2:3]
	v_or3_b32 v5, v7, v4, v8
	v_or3_b32 v4, v1, 0, 0
	s_mov_b32 s0, 0
	s_clause 0x1
	global_store_b64 v0, v[2:3], s[12:13] scale_offset
	global_store_b64 v0, v[4:5], s[12:13] offset:2048 scale_offset
.LBB169_50:
	s_and_b32 vcc_lo, exec_lo, s0
	s_cbranch_vccz .LBB169_195
; %bb.51:
	v_cmp_gt_i32_e64 s0, s8, v0
	v_dual_mov_b32 v7, 0 :: v_dual_bitop2_b32 v1, s2, v0 bitop3:0x54
	v_or_b32_e32 v6, 0x100, v0
	v_dual_mov_b32 v8, 0 :: v_dual_mov_b32 v9, 0
	v_dual_mov_b32 v10, 0 :: v_dual_mov_b32 v11, 0
	;; [unrolled: 1-line block ×6, first 2 shown]
	s_wait_xcnt 0x1
	v_dual_mov_b32 v3, 0 :: v_dual_mov_b32 v19, 0
	v_mov_b32_e32 v20, 0
	s_wait_xcnt 0x0
	s_and_saveexec_b32 s1, s0
	s_cbranch_execz .LBB169_83
; %bb.52:
	global_load_b32 v20, v1, s[6:7] scale_offset
	v_or_b32_e32 v2, 0x100, v0
	v_dual_mov_b32 v19, 0 :: v_dual_mov_b32 v3, 0
	v_dual_mov_b32 v21, 0 :: v_dual_mov_b32 v18, 0
	;; [unrolled: 1-line block ×7, first 2 shown]
	v_mov_b32_e32 v7, 0
	s_mov_b32 s3, exec_lo
	s_wait_xcnt 0x0
	v_cmpx_gt_u32_e64 s8, v2
	s_cbranch_execz .LBB169_82
; %bb.53:
	v_dual_mov_b32 v3, 0 :: v_dual_add_nc_u32 v2, s2, v0
	v_or_b32_e32 v4, 0x200, v0
	v_dual_mov_b32 v21, 0 :: v_dual_mov_b32 v18, 0
	global_load_b32 v19, v2, s[6:7] offset:1024 scale_offset
	v_dual_mov_b32 v17, 0 :: v_dual_mov_b32 v16, 0
	v_dual_mov_b32 v15, 0 :: v_dual_mov_b32 v14, 0
	;; [unrolled: 1-line block ×5, first 2 shown]
	v_mov_b32_e32 v7, 0
	s_mov_b32 s11, exec_lo
	s_wait_xcnt 0x0
	v_cmpx_gt_u32_e64 s8, v4
	s_cbranch_execz .LBB169_81
; %bb.54:
	v_lshl_add_u64 v[4:5], v[2:3], 2, s[6:7]
	v_or_b32_e32 v7, 0x300, v0
	v_dual_mov_b32 v18, 0 :: v_dual_mov_b32 v17, 0
	v_dual_mov_b32 v16, 0 :: v_dual_mov_b32 v15, 0
	global_load_b32 v2, v[4:5], off offset:2048
	v_cmp_gt_u32_e32 vcc_lo, s8, v7
	v_dual_mov_b32 v14, 0 :: v_dual_mov_b32 v13, 0
	v_dual_mov_b32 v12, 0 :: v_dual_mov_b32 v11, 0
	v_dual_mov_b32 v10, 0 :: v_dual_mov_b32 v9, 0
	v_dual_mov_b32 v8, 0 :: v_dual_mov_b32 v7, 0
	s_wait_xcnt 0x0
	s_and_saveexec_b32 s6, vcc_lo
	s_cbranch_execz .LBB169_80
; %bb.55:
	global_load_b32 v3, v[4:5], off offset:3072
	v_or_b32_e32 v7, 0x400, v0
	v_dual_mov_b32 v18, 0 :: v_dual_mov_b32 v17, 0
	v_dual_mov_b32 v16, 0 :: v_dual_mov_b32 v15, 0
	s_delay_alu instid0(VALU_DEP_3)
	v_cmp_gt_u32_e32 vcc_lo, s8, v7
	v_dual_mov_b32 v14, 0 :: v_dual_mov_b32 v13, 0
	v_dual_mov_b32 v12, 0 :: v_dual_mov_b32 v11, 0
	;; [unrolled: 1-line block ×4, first 2 shown]
	s_wait_xcnt 0x0
	s_and_saveexec_b32 s7, vcc_lo
	s_cbranch_execz .LBB169_79
; %bb.56:
	global_load_b32 v18, v[4:5], off offset:4096
	v_or_b32_e32 v7, 0x500, v0
	v_dual_mov_b32 v17, 0 :: v_dual_mov_b32 v16, 0
	v_dual_mov_b32 v15, 0 :: v_dual_mov_b32 v14, 0
	s_delay_alu instid0(VALU_DEP_3)
	v_cmp_gt_u32_e32 vcc_lo, s8, v7
	v_dual_mov_b32 v13, 0 :: v_dual_mov_b32 v12, 0
	v_dual_mov_b32 v11, 0 :: v_dual_mov_b32 v10, 0
	;; [unrolled: 1-line block ×3, first 2 shown]
	v_mov_b32_e32 v7, 0
	s_wait_xcnt 0x0
	s_and_saveexec_b32 s12, vcc_lo
	s_cbranch_execz .LBB169_78
; %bb.57:
	global_load_b32 v17, v[4:5], off offset:5120
	v_or_b32_e32 v7, 0x600, v0
	v_dual_mov_b32 v16, 0 :: v_dual_mov_b32 v15, 0
	v_dual_mov_b32 v14, 0 :: v_dual_mov_b32 v13, 0
	s_delay_alu instid0(VALU_DEP_3)
	v_cmp_gt_u32_e32 vcc_lo, s8, v7
	v_dual_mov_b32 v12, 0 :: v_dual_mov_b32 v11, 0
	v_dual_mov_b32 v10, 0 :: v_dual_mov_b32 v9, 0
	;; [unrolled: 1-line block ×3, first 2 shown]
	s_wait_xcnt 0x0
	s_and_saveexec_b32 s13, vcc_lo
	s_cbranch_execz .LBB169_77
; %bb.58:
	global_load_b32 v16, v[4:5], off offset:6144
	v_or_b32_e32 v7, 0x700, v0
	v_dual_mov_b32 v15, 0 :: v_dual_mov_b32 v14, 0
	v_dual_mov_b32 v13, 0 :: v_dual_mov_b32 v12, 0
	s_delay_alu instid0(VALU_DEP_3)
	v_cmp_gt_u32_e32 vcc_lo, s8, v7
	v_dual_mov_b32 v11, 0 :: v_dual_mov_b32 v10, 0
	v_dual_mov_b32 v9, 0 :: v_dual_mov_b32 v8, 0
	v_mov_b32_e32 v7, 0
	s_wait_xcnt 0x0
	s_and_saveexec_b32 s14, vcc_lo
	s_cbranch_execz .LBB169_76
; %bb.59:
	global_load_b32 v15, v[4:5], off offset:7168
	v_or_b32_e32 v7, 0x800, v0
	v_dual_mov_b32 v14, 0 :: v_dual_mov_b32 v13, 0
	v_dual_mov_b32 v12, 0 :: v_dual_mov_b32 v11, 0
	s_delay_alu instid0(VALU_DEP_3)
	v_cmp_gt_u32_e32 vcc_lo, s8, v7
	v_dual_mov_b32 v10, 0 :: v_dual_mov_b32 v9, 0
	v_dual_mov_b32 v8, 0 :: v_dual_mov_b32 v7, 0
	s_wait_xcnt 0x0
	s_and_saveexec_b32 s15, vcc_lo
	s_cbranch_execz .LBB169_75
; %bb.60:
	global_load_b32 v14, v[4:5], off offset:8192
	v_or_b32_e32 v7, 0x900, v0
	v_dual_mov_b32 v13, 0 :: v_dual_mov_b32 v12, 0
	v_dual_mov_b32 v11, 0 :: v_dual_mov_b32 v10, 0
	s_delay_alu instid0(VALU_DEP_3)
	v_cmp_gt_u32_e32 vcc_lo, s8, v7
	v_dual_mov_b32 v9, 0 :: v_dual_mov_b32 v8, 0
	v_mov_b32_e32 v7, 0
	s_wait_xcnt 0x0
	s_and_saveexec_b32 s16, vcc_lo
	s_cbranch_execz .LBB169_74
; %bb.61:
	global_load_b32 v13, v[4:5], off offset:9216
	v_or_b32_e32 v7, 0xa00, v0
	v_dual_mov_b32 v12, 0 :: v_dual_mov_b32 v11, 0
	v_dual_mov_b32 v10, 0 :: v_dual_mov_b32 v9, 0
	s_delay_alu instid0(VALU_DEP_3)
	v_cmp_gt_u32_e32 vcc_lo, s8, v7
	v_dual_mov_b32 v8, 0 :: v_dual_mov_b32 v7, 0
	s_wait_xcnt 0x0
	s_and_saveexec_b32 s17, vcc_lo
	s_cbranch_execz .LBB169_73
; %bb.62:
	global_load_b32 v12, v[4:5], off offset:10240
	v_or_b32_e32 v7, 0xb00, v0
	v_dual_mov_b32 v11, 0 :: v_dual_mov_b32 v10, 0
	v_dual_mov_b32 v9, 0 :: v_dual_mov_b32 v8, 0
	s_delay_alu instid0(VALU_DEP_3)
	v_cmp_gt_u32_e32 vcc_lo, s8, v7
	v_mov_b32_e32 v7, 0
	s_wait_xcnt 0x0
	s_and_saveexec_b32 s18, vcc_lo
	s_cbranch_execz .LBB169_72
; %bb.63:
	global_load_b32 v11, v[4:5], off offset:11264
	v_or_b32_e32 v7, 0xc00, v0
	v_dual_mov_b32 v10, 0 :: v_dual_mov_b32 v9, 0
	v_mov_b32_e32 v8, 0
	s_delay_alu instid0(VALU_DEP_3)
	v_cmp_gt_u32_e32 vcc_lo, s8, v7
	v_mov_b32_e32 v7, 0
	s_wait_xcnt 0x0
	s_and_saveexec_b32 s19, vcc_lo
	s_cbranch_execz .LBB169_71
; %bb.64:
	global_load_b32 v10, v[4:5], off offset:12288
	v_or_b32_e32 v7, 0xd00, v0
	v_dual_mov_b32 v9, 0 :: v_dual_mov_b32 v8, 0
	s_delay_alu instid0(VALU_DEP_2)
	v_cmp_gt_u32_e32 vcc_lo, s8, v7
	v_mov_b32_e32 v7, 0
	s_wait_xcnt 0x0
	s_and_saveexec_b32 s20, vcc_lo
	s_cbranch_execz .LBB169_70
; %bb.65:
	global_load_b32 v9, v[4:5], off offset:13312
	v_or_b32_e32 v7, 0xe00, v0
	v_mov_b32_e32 v8, 0
	s_delay_alu instid0(VALU_DEP_2)
	v_cmp_gt_u32_e32 vcc_lo, s8, v7
	v_mov_b32_e32 v7, 0
	s_wait_xcnt 0x0
	s_and_saveexec_b32 s21, vcc_lo
	s_cbranch_execz .LBB169_69
; %bb.66:
	global_load_b32 v8, v[4:5], off offset:14336
	v_or_b32_e32 v7, 0xf00, v0
	s_delay_alu instid0(VALU_DEP_1)
	v_cmp_gt_u32_e32 vcc_lo, s8, v7
	v_mov_b32_e32 v7, 0
	s_wait_xcnt 0x0
	s_and_saveexec_b32 s22, vcc_lo
	s_cbranch_execz .LBB169_68
; %bb.67:
	global_load_b32 v7, v[4:5], off offset:15360
.LBB169_68:
	s_wait_xcnt 0x0
	s_or_b32 exec_lo, exec_lo, s22
.LBB169_69:
	s_delay_alu instid0(SALU_CYCLE_1)
	s_or_b32 exec_lo, exec_lo, s21
.LBB169_70:
	s_delay_alu instid0(SALU_CYCLE_1)
	s_or_b32 exec_lo, exec_lo, s20
.LBB169_71:
	s_delay_alu instid0(SALU_CYCLE_1)
	s_or_b32 exec_lo, exec_lo, s19
.LBB169_72:
	s_delay_alu instid0(SALU_CYCLE_1)
	s_or_b32 exec_lo, exec_lo, s18
.LBB169_73:
	s_delay_alu instid0(SALU_CYCLE_1)
	s_or_b32 exec_lo, exec_lo, s17
.LBB169_74:
	s_delay_alu instid0(SALU_CYCLE_1)
	s_or_b32 exec_lo, exec_lo, s16
.LBB169_75:
	s_delay_alu instid0(SALU_CYCLE_1)
	s_or_b32 exec_lo, exec_lo, s15
.LBB169_76:
	s_delay_alu instid0(SALU_CYCLE_1)
	s_or_b32 exec_lo, exec_lo, s14
.LBB169_77:
	s_delay_alu instid0(SALU_CYCLE_1)
	s_or_b32 exec_lo, exec_lo, s13
.LBB169_78:
	s_delay_alu instid0(SALU_CYCLE_1)
	s_or_b32 exec_lo, exec_lo, s12
.LBB169_79:
	s_delay_alu instid0(SALU_CYCLE_1)
	s_or_b32 exec_lo, exec_lo, s7
.LBB169_80:
	s_delay_alu instid0(SALU_CYCLE_1)
	s_or_b32 exec_lo, exec_lo, s6
	s_wait_loadcnt 0x0
	v_dual_mov_b32 v21, v3 :: v_dual_mov_b32 v3, v2
.LBB169_81:
	s_or_b32 exec_lo, exec_lo, s11
.LBB169_82:
	s_delay_alu instid0(SALU_CYCLE_1)
	s_or_b32 exec_lo, exec_lo, s3
.LBB169_83:
	s_delay_alu instid0(SALU_CYCLE_1)
	s_or_b32 exec_lo, exec_lo, s1
	s_cmp_lg_u32 s9, 0
                                        ; implicit-def: $vgpr2
	s_cselect_b32 s7, -1, 0
	s_lshl_b32 s3, s10, 16
	s_and_b32 s6, s10, 0xffff0000
	s_and_saveexec_b32 s9, s0
	s_cbranch_execz .LBB169_88
; %bb.84:
	s_wait_loadcnt 0x0
	v_lshlrev_b32_e32 v2, 16, v20
	v_and_b32_e32 v4, 0xffff0000, v20
	s_and_b32 vcc_lo, exec_lo, s7
	s_cbranch_vccz .LBB169_212
; %bb.85:
	s_delay_alu instid0(VALU_DEP_2) | instskip(NEXT) | instid1(VALU_DEP_2)
	v_cmp_neq_f32_e32 vcc_lo, s3, v2
	v_cmp_neq_f32_e64 s1, s6, v4
	s_or_b32 s10, vcc_lo, s1
	s_cbranch_execnz .LBB169_87
.LBB169_86:
	v_cmp_eq_f32_e32 vcc_lo, s3, v2
	v_cmp_eq_f32_e64 s1, s6, v4
	s_and_not1_b32 s10, s10, exec_lo
	s_and_b32 s1, vcc_lo, s1
	s_delay_alu instid0(SALU_CYCLE_1) | instskip(NEXT) | instid1(SALU_CYCLE_1)
	s_and_b32 s1, s1, exec_lo
	s_or_b32 s10, s10, s1
.LBB169_87:
	s_delay_alu instid0(SALU_CYCLE_1)
	v_cndmask_b32_e64 v2, 0, 1, s10
.LBB169_88:
	s_or_b32 exec_lo, exec_lo, s9
	v_cndmask_b32_e64 v5, 0, 1, s7
	s_mov_b32 s9, exec_lo
                                        ; implicit-def: $vgpr4
	v_cmpx_gt_i32_e64 s8, v6
	s_cbranch_execz .LBB169_93
; %bb.89:
	s_wait_loadcnt 0x0
	v_lshlrev_b32_e32 v4, 16, v19
	v_and_b32_e32 v19, 0xffff0000, v19
	s_and_not1_b32 vcc_lo, exec_lo, s7
	s_cbranch_vccnz .LBB169_213
; %bb.90:
	s_delay_alu instid0(VALU_DEP_2) | instskip(NEXT) | instid1(VALU_DEP_2)
	v_cmp_neq_f32_e32 vcc_lo, s3, v4
	v_cmp_neq_f32_e64 s1, s6, v19
	s_or_b32 s7, vcc_lo, s1
	s_cbranch_execnz .LBB169_92
.LBB169_91:
	v_cmp_eq_f32_e32 vcc_lo, s3, v4
	v_cmp_eq_f32_e64 s1, s6, v19
	s_and_not1_b32 s7, s7, exec_lo
	s_and_b32 s1, vcc_lo, s1
	s_delay_alu instid0(SALU_CYCLE_1) | instskip(NEXT) | instid1(SALU_CYCLE_1)
	s_and_b32 s1, s1, exec_lo
	s_or_b32 s7, s7, s1
.LBB169_92:
	s_delay_alu instid0(SALU_CYCLE_1)
	v_cndmask_b32_e64 v4, 0, 1, s7
.LBB169_93:
	s_or_b32 exec_lo, exec_lo, s9
	s_wait_loadcnt 0x0
	v_or_b32_e32 v19, 0x200, v0
	s_delay_alu instid0(VALU_DEP_1)
	v_cmp_gt_i32_e32 vcc_lo, s8, v19
                                        ; implicit-def: $vgpr19
	s_and_saveexec_b32 s7, vcc_lo
	s_cbranch_execz .LBB169_98
; %bb.94:
	v_cmp_ne_u32_e32 vcc_lo, 1, v5
	v_lshlrev_b32_e32 v19, 16, v3
	v_and_b32_e32 v3, 0xffff0000, v3
	s_cbranch_vccnz .LBB169_214
; %bb.95:
	s_delay_alu instid0(VALU_DEP_2) | instskip(NEXT) | instid1(VALU_DEP_2)
	v_cmp_neq_f32_e32 vcc_lo, s3, v19
	v_cmp_neq_f32_e64 s1, s6, v3
	s_or_b32 s9, vcc_lo, s1
	s_cbranch_execnz .LBB169_97
.LBB169_96:
	s_delay_alu instid0(VALU_DEP_2) | instskip(NEXT) | instid1(VALU_DEP_2)
	v_cmp_eq_f32_e32 vcc_lo, s3, v19
	v_cmp_eq_f32_e64 s1, s6, v3
	s_and_not1_b32 s9, s9, exec_lo
	s_and_b32 s1, vcc_lo, s1
	s_delay_alu instid0(SALU_CYCLE_1) | instskip(NEXT) | instid1(SALU_CYCLE_1)
	s_and_b32 s1, s1, exec_lo
	s_or_b32 s9, s9, s1
.LBB169_97:
	s_delay_alu instid0(SALU_CYCLE_1)
	v_cndmask_b32_e64 v19, 0, 1, s9
.LBB169_98:
	s_or_b32 exec_lo, exec_lo, s7
	v_or_b32_e32 v3, 0x300, v0
	s_delay_alu instid0(VALU_DEP_1)
	v_cmp_gt_i32_e32 vcc_lo, s8, v3
                                        ; implicit-def: $vgpr3
	s_and_saveexec_b32 s7, vcc_lo
	s_cbranch_execz .LBB169_103
; %bb.99:
	v_cmp_ne_u32_e32 vcc_lo, 1, v5
	v_lshlrev_b32_e32 v3, 16, v21
	v_and_b32_e32 v20, 0xffff0000, v21
	s_cbranch_vccnz .LBB169_215
; %bb.100:
	s_delay_alu instid0(VALU_DEP_2) | instskip(NEXT) | instid1(VALU_DEP_2)
	v_cmp_neq_f32_e32 vcc_lo, s3, v3
	v_cmp_neq_f32_e64 s1, s6, v20
	s_or_b32 s9, vcc_lo, s1
	s_cbranch_execnz .LBB169_102
.LBB169_101:
	s_delay_alu instid0(VALU_DEP_2) | instskip(NEXT) | instid1(VALU_DEP_2)
	v_cmp_eq_f32_e32 vcc_lo, s3, v3
	v_cmp_eq_f32_e64 s1, s6, v20
	s_and_not1_b32 s9, s9, exec_lo
	s_and_b32 s1, vcc_lo, s1
	s_delay_alu instid0(SALU_CYCLE_1) | instskip(NEXT) | instid1(SALU_CYCLE_1)
	s_and_b32 s1, s1, exec_lo
	s_or_b32 s9, s9, s1
.LBB169_102:
	s_delay_alu instid0(SALU_CYCLE_1)
	v_cndmask_b32_e64 v3, 0, 1, s9
.LBB169_103:
	s_or_b32 exec_lo, exec_lo, s7
	v_or_b32_e32 v20, 0x400, v0
	s_delay_alu instid0(VALU_DEP_1)
	v_cmp_gt_i32_e32 vcc_lo, s8, v20
                                        ; implicit-def: $vgpr20
	s_and_saveexec_b32 s7, vcc_lo
	s_cbranch_execz .LBB169_108
; %bb.104:
	v_cmp_ne_u32_e32 vcc_lo, 1, v5
	v_lshlrev_b32_e32 v20, 16, v18
	v_and_b32_e32 v18, 0xffff0000, v18
	s_cbranch_vccnz .LBB169_216
; %bb.105:
	s_delay_alu instid0(VALU_DEP_2) | instskip(NEXT) | instid1(VALU_DEP_2)
	v_cmp_neq_f32_e32 vcc_lo, s3, v20
	v_cmp_neq_f32_e64 s1, s6, v18
	s_or_b32 s9, vcc_lo, s1
	s_cbranch_execnz .LBB169_107
.LBB169_106:
	s_delay_alu instid0(VALU_DEP_2) | instskip(NEXT) | instid1(VALU_DEP_2)
	v_cmp_eq_f32_e32 vcc_lo, s3, v20
	v_cmp_eq_f32_e64 s1, s6, v18
	s_and_not1_b32 s9, s9, exec_lo
	s_and_b32 s1, vcc_lo, s1
	s_delay_alu instid0(SALU_CYCLE_1) | instskip(NEXT) | instid1(SALU_CYCLE_1)
	s_and_b32 s1, s1, exec_lo
	s_or_b32 s9, s9, s1
.LBB169_107:
	s_delay_alu instid0(SALU_CYCLE_1)
	v_cndmask_b32_e64 v20, 0, 1, s9
.LBB169_108:
	s_or_b32 exec_lo, exec_lo, s7
	v_or_b32_e32 v18, 0x500, v0
	s_delay_alu instid0(VALU_DEP_1)
	v_cmp_gt_i32_e32 vcc_lo, s8, v18
                                        ; implicit-def: $vgpr18
	s_and_saveexec_b32 s7, vcc_lo
	s_cbranch_execz .LBB169_113
; %bb.109:
	v_cmp_ne_u32_e32 vcc_lo, 1, v5
	v_lshlrev_b32_e32 v18, 16, v17
	v_and_b32_e32 v17, 0xffff0000, v17
	s_cbranch_vccnz .LBB169_217
; %bb.110:
	s_delay_alu instid0(VALU_DEP_2) | instskip(NEXT) | instid1(VALU_DEP_2)
	v_cmp_neq_f32_e32 vcc_lo, s3, v18
	v_cmp_neq_f32_e64 s1, s6, v17
	s_or_b32 s9, vcc_lo, s1
	s_cbranch_execnz .LBB169_112
.LBB169_111:
	s_delay_alu instid0(VALU_DEP_2) | instskip(NEXT) | instid1(VALU_DEP_2)
	v_cmp_eq_f32_e32 vcc_lo, s3, v18
	v_cmp_eq_f32_e64 s1, s6, v17
	s_and_not1_b32 s9, s9, exec_lo
	s_and_b32 s1, vcc_lo, s1
	s_delay_alu instid0(SALU_CYCLE_1) | instskip(NEXT) | instid1(SALU_CYCLE_1)
	s_and_b32 s1, s1, exec_lo
	s_or_b32 s9, s9, s1
.LBB169_112:
	s_delay_alu instid0(SALU_CYCLE_1)
	v_cndmask_b32_e64 v18, 0, 1, s9
.LBB169_113:
	s_or_b32 exec_lo, exec_lo, s7
	v_or_b32_e32 v17, 0x600, v0
	s_delay_alu instid0(VALU_DEP_1)
	v_cmp_gt_i32_e32 vcc_lo, s8, v17
                                        ; implicit-def: $vgpr17
	s_and_saveexec_b32 s7, vcc_lo
	s_cbranch_execz .LBB169_118
; %bb.114:
	v_cmp_ne_u32_e32 vcc_lo, 1, v5
	v_lshlrev_b32_e32 v17, 16, v16
	v_and_b32_e32 v16, 0xffff0000, v16
	s_cbranch_vccnz .LBB169_218
; %bb.115:
	s_delay_alu instid0(VALU_DEP_2) | instskip(NEXT) | instid1(VALU_DEP_2)
	v_cmp_neq_f32_e32 vcc_lo, s3, v17
	v_cmp_neq_f32_e64 s1, s6, v16
	s_or_b32 s9, vcc_lo, s1
	s_cbranch_execnz .LBB169_117
.LBB169_116:
	s_delay_alu instid0(VALU_DEP_2) | instskip(NEXT) | instid1(VALU_DEP_2)
	v_cmp_eq_f32_e32 vcc_lo, s3, v17
	v_cmp_eq_f32_e64 s1, s6, v16
	s_and_not1_b32 s9, s9, exec_lo
	s_and_b32 s1, vcc_lo, s1
	s_delay_alu instid0(SALU_CYCLE_1) | instskip(NEXT) | instid1(SALU_CYCLE_1)
	s_and_b32 s1, s1, exec_lo
	s_or_b32 s9, s9, s1
.LBB169_117:
	s_delay_alu instid0(SALU_CYCLE_1)
	v_cndmask_b32_e64 v17, 0, 1, s9
.LBB169_118:
	s_or_b32 exec_lo, exec_lo, s7
	v_or_b32_e32 v16, 0x700, v0
	s_delay_alu instid0(VALU_DEP_1)
	v_cmp_gt_i32_e32 vcc_lo, s8, v16
                                        ; implicit-def: $vgpr16
	s_and_saveexec_b32 s7, vcc_lo
	s_cbranch_execz .LBB169_123
; %bb.119:
	v_cmp_ne_u32_e32 vcc_lo, 1, v5
	v_lshlrev_b32_e32 v16, 16, v15
	v_and_b32_e32 v15, 0xffff0000, v15
	s_cbranch_vccnz .LBB169_219
; %bb.120:
	s_delay_alu instid0(VALU_DEP_2) | instskip(NEXT) | instid1(VALU_DEP_2)
	v_cmp_neq_f32_e32 vcc_lo, s3, v16
	v_cmp_neq_f32_e64 s1, s6, v15
	s_or_b32 s9, vcc_lo, s1
	s_cbranch_execnz .LBB169_122
.LBB169_121:
	s_delay_alu instid0(VALU_DEP_2) | instskip(NEXT) | instid1(VALU_DEP_2)
	v_cmp_eq_f32_e32 vcc_lo, s3, v16
	v_cmp_eq_f32_e64 s1, s6, v15
	s_and_not1_b32 s9, s9, exec_lo
	s_and_b32 s1, vcc_lo, s1
	s_delay_alu instid0(SALU_CYCLE_1) | instskip(NEXT) | instid1(SALU_CYCLE_1)
	s_and_b32 s1, s1, exec_lo
	s_or_b32 s9, s9, s1
.LBB169_122:
	s_delay_alu instid0(SALU_CYCLE_1)
	v_cndmask_b32_e64 v16, 0, 1, s9
.LBB169_123:
	s_or_b32 exec_lo, exec_lo, s7
	v_or_b32_e32 v15, 0x800, v0
	s_delay_alu instid0(VALU_DEP_1)
	v_cmp_gt_i32_e32 vcc_lo, s8, v15
                                        ; implicit-def: $vgpr15
	s_and_saveexec_b32 s7, vcc_lo
	s_cbranch_execz .LBB169_128
; %bb.124:
	v_cmp_ne_u32_e32 vcc_lo, 1, v5
	v_lshlrev_b32_e32 v15, 16, v14
	v_and_b32_e32 v14, 0xffff0000, v14
	s_cbranch_vccnz .LBB169_220
; %bb.125:
	s_delay_alu instid0(VALU_DEP_2) | instskip(NEXT) | instid1(VALU_DEP_2)
	v_cmp_neq_f32_e32 vcc_lo, s3, v15
	v_cmp_neq_f32_e64 s1, s6, v14
	s_or_b32 s9, vcc_lo, s1
	s_cbranch_execnz .LBB169_127
.LBB169_126:
	s_delay_alu instid0(VALU_DEP_2) | instskip(NEXT) | instid1(VALU_DEP_2)
	v_cmp_eq_f32_e32 vcc_lo, s3, v15
	v_cmp_eq_f32_e64 s1, s6, v14
	s_and_not1_b32 s9, s9, exec_lo
	s_and_b32 s1, vcc_lo, s1
	s_delay_alu instid0(SALU_CYCLE_1) | instskip(NEXT) | instid1(SALU_CYCLE_1)
	s_and_b32 s1, s1, exec_lo
	s_or_b32 s9, s9, s1
.LBB169_127:
	s_delay_alu instid0(SALU_CYCLE_1)
	v_cndmask_b32_e64 v15, 0, 1, s9
.LBB169_128:
	s_or_b32 exec_lo, exec_lo, s7
	v_or_b32_e32 v14, 0x900, v0
	s_delay_alu instid0(VALU_DEP_1)
	v_cmp_gt_i32_e32 vcc_lo, s8, v14
                                        ; implicit-def: $vgpr14
	s_and_saveexec_b32 s7, vcc_lo
	s_cbranch_execz .LBB169_133
; %bb.129:
	v_cmp_ne_u32_e32 vcc_lo, 1, v5
	v_lshlrev_b32_e32 v14, 16, v13
	v_and_b32_e32 v13, 0xffff0000, v13
	s_cbranch_vccnz .LBB169_221
; %bb.130:
	s_delay_alu instid0(VALU_DEP_2) | instskip(NEXT) | instid1(VALU_DEP_2)
	v_cmp_neq_f32_e32 vcc_lo, s3, v14
	v_cmp_neq_f32_e64 s1, s6, v13
	s_or_b32 s9, vcc_lo, s1
	s_cbranch_execnz .LBB169_132
.LBB169_131:
	s_delay_alu instid0(VALU_DEP_2) | instskip(NEXT) | instid1(VALU_DEP_2)
	v_cmp_eq_f32_e32 vcc_lo, s3, v14
	v_cmp_eq_f32_e64 s1, s6, v13
	s_and_not1_b32 s9, s9, exec_lo
	s_and_b32 s1, vcc_lo, s1
	s_delay_alu instid0(SALU_CYCLE_1) | instskip(NEXT) | instid1(SALU_CYCLE_1)
	s_and_b32 s1, s1, exec_lo
	s_or_b32 s9, s9, s1
.LBB169_132:
	s_delay_alu instid0(SALU_CYCLE_1)
	v_cndmask_b32_e64 v14, 0, 1, s9
.LBB169_133:
	s_or_b32 exec_lo, exec_lo, s7
	v_or_b32_e32 v13, 0xa00, v0
	s_delay_alu instid0(VALU_DEP_1)
	v_cmp_gt_i32_e32 vcc_lo, s8, v13
                                        ; implicit-def: $vgpr13
	s_and_saveexec_b32 s7, vcc_lo
	s_cbranch_execz .LBB169_138
; %bb.134:
	v_cmp_ne_u32_e32 vcc_lo, 1, v5
	v_lshlrev_b32_e32 v13, 16, v12
	v_and_b32_e32 v12, 0xffff0000, v12
	s_cbranch_vccnz .LBB169_222
; %bb.135:
	s_delay_alu instid0(VALU_DEP_2) | instskip(NEXT) | instid1(VALU_DEP_2)
	v_cmp_neq_f32_e32 vcc_lo, s3, v13
	v_cmp_neq_f32_e64 s1, s6, v12
	s_or_b32 s9, vcc_lo, s1
	s_cbranch_execnz .LBB169_137
.LBB169_136:
	s_delay_alu instid0(VALU_DEP_2) | instskip(NEXT) | instid1(VALU_DEP_2)
	v_cmp_eq_f32_e32 vcc_lo, s3, v13
	v_cmp_eq_f32_e64 s1, s6, v12
	s_and_not1_b32 s9, s9, exec_lo
	s_and_b32 s1, vcc_lo, s1
	s_delay_alu instid0(SALU_CYCLE_1) | instskip(NEXT) | instid1(SALU_CYCLE_1)
	s_and_b32 s1, s1, exec_lo
	s_or_b32 s9, s9, s1
.LBB169_137:
	s_delay_alu instid0(SALU_CYCLE_1)
	v_cndmask_b32_e64 v13, 0, 1, s9
.LBB169_138:
	s_or_b32 exec_lo, exec_lo, s7
	v_or_b32_e32 v12, 0xb00, v0
	s_delay_alu instid0(VALU_DEP_1)
	v_cmp_gt_i32_e32 vcc_lo, s8, v12
                                        ; implicit-def: $vgpr12
	s_and_saveexec_b32 s7, vcc_lo
	s_cbranch_execz .LBB169_143
; %bb.139:
	v_cmp_ne_u32_e32 vcc_lo, 1, v5
	v_lshlrev_b32_e32 v12, 16, v11
	v_and_b32_e32 v11, 0xffff0000, v11
	s_cbranch_vccnz .LBB169_223
; %bb.140:
	s_delay_alu instid0(VALU_DEP_2) | instskip(NEXT) | instid1(VALU_DEP_2)
	v_cmp_neq_f32_e32 vcc_lo, s3, v12
	v_cmp_neq_f32_e64 s1, s6, v11
	s_or_b32 s9, vcc_lo, s1
	s_cbranch_execnz .LBB169_142
.LBB169_141:
	s_delay_alu instid0(VALU_DEP_2) | instskip(NEXT) | instid1(VALU_DEP_2)
	v_cmp_eq_f32_e32 vcc_lo, s3, v12
	v_cmp_eq_f32_e64 s1, s6, v11
	s_and_not1_b32 s9, s9, exec_lo
	s_and_b32 s1, vcc_lo, s1
	s_delay_alu instid0(SALU_CYCLE_1) | instskip(NEXT) | instid1(SALU_CYCLE_1)
	s_and_b32 s1, s1, exec_lo
	s_or_b32 s9, s9, s1
.LBB169_142:
	s_delay_alu instid0(SALU_CYCLE_1)
	v_cndmask_b32_e64 v12, 0, 1, s9
.LBB169_143:
	s_or_b32 exec_lo, exec_lo, s7
	v_or_b32_e32 v11, 0xc00, v0
	s_delay_alu instid0(VALU_DEP_1)
	v_cmp_gt_i32_e32 vcc_lo, s8, v11
                                        ; implicit-def: $vgpr11
	s_and_saveexec_b32 s7, vcc_lo
	s_cbranch_execz .LBB169_148
; %bb.144:
	v_cmp_ne_u32_e32 vcc_lo, 1, v5
	v_lshlrev_b32_e32 v11, 16, v10
	v_and_b32_e32 v10, 0xffff0000, v10
	s_cbranch_vccnz .LBB169_224
; %bb.145:
	s_delay_alu instid0(VALU_DEP_2) | instskip(NEXT) | instid1(VALU_DEP_2)
	v_cmp_neq_f32_e32 vcc_lo, s3, v11
	v_cmp_neq_f32_e64 s1, s6, v10
	s_or_b32 s9, vcc_lo, s1
	s_cbranch_execnz .LBB169_147
.LBB169_146:
	s_delay_alu instid0(VALU_DEP_2) | instskip(NEXT) | instid1(VALU_DEP_2)
	v_cmp_eq_f32_e32 vcc_lo, s3, v11
	v_cmp_eq_f32_e64 s1, s6, v10
	s_and_not1_b32 s9, s9, exec_lo
	s_and_b32 s1, vcc_lo, s1
	s_delay_alu instid0(SALU_CYCLE_1) | instskip(NEXT) | instid1(SALU_CYCLE_1)
	s_and_b32 s1, s1, exec_lo
	s_or_b32 s9, s9, s1
.LBB169_147:
	s_delay_alu instid0(SALU_CYCLE_1)
	v_cndmask_b32_e64 v11, 0, 1, s9
.LBB169_148:
	s_or_b32 exec_lo, exec_lo, s7
	v_or_b32_e32 v10, 0xd00, v0
	s_delay_alu instid0(VALU_DEP_1)
	v_cmp_gt_i32_e32 vcc_lo, s8, v10
                                        ; implicit-def: $vgpr10
	s_and_saveexec_b32 s7, vcc_lo
	s_cbranch_execz .LBB169_153
; %bb.149:
	v_cmp_ne_u32_e32 vcc_lo, 1, v5
	v_lshlrev_b32_e32 v10, 16, v9
	v_and_b32_e32 v9, 0xffff0000, v9
	s_cbranch_vccnz .LBB169_225
; %bb.150:
	s_delay_alu instid0(VALU_DEP_2) | instskip(NEXT) | instid1(VALU_DEP_2)
	v_cmp_neq_f32_e32 vcc_lo, s3, v10
	v_cmp_neq_f32_e64 s1, s6, v9
	s_or_b32 s9, vcc_lo, s1
	s_cbranch_execnz .LBB169_152
.LBB169_151:
	s_delay_alu instid0(VALU_DEP_2) | instskip(NEXT) | instid1(VALU_DEP_2)
	v_cmp_eq_f32_e32 vcc_lo, s3, v10
	v_cmp_eq_f32_e64 s1, s6, v9
	s_and_not1_b32 s9, s9, exec_lo
	s_and_b32 s1, vcc_lo, s1
	s_delay_alu instid0(SALU_CYCLE_1) | instskip(NEXT) | instid1(SALU_CYCLE_1)
	s_and_b32 s1, s1, exec_lo
	s_or_b32 s9, s9, s1
.LBB169_152:
	s_delay_alu instid0(SALU_CYCLE_1)
	v_cndmask_b32_e64 v10, 0, 1, s9
.LBB169_153:
	s_or_b32 exec_lo, exec_lo, s7
	v_or_b32_e32 v9, 0xe00, v0
	s_delay_alu instid0(VALU_DEP_1)
	v_cmp_gt_i32_e32 vcc_lo, s8, v9
                                        ; implicit-def: $vgpr9
	s_and_saveexec_b32 s7, vcc_lo
	s_cbranch_execz .LBB169_158
; %bb.154:
	v_cmp_ne_u32_e32 vcc_lo, 1, v5
	v_lshlrev_b32_e32 v9, 16, v8
	v_and_b32_e32 v8, 0xffff0000, v8
	s_cbranch_vccnz .LBB169_226
; %bb.155:
	s_delay_alu instid0(VALU_DEP_2) | instskip(NEXT) | instid1(VALU_DEP_2)
	v_cmp_neq_f32_e32 vcc_lo, s3, v9
	v_cmp_neq_f32_e64 s1, s6, v8
	s_or_b32 s9, vcc_lo, s1
	s_cbranch_execnz .LBB169_157
.LBB169_156:
	s_delay_alu instid0(VALU_DEP_2) | instskip(NEXT) | instid1(VALU_DEP_2)
	v_cmp_eq_f32_e32 vcc_lo, s3, v9
	v_cmp_eq_f32_e64 s1, s6, v8
	s_and_not1_b32 s9, s9, exec_lo
	s_and_b32 s1, vcc_lo, s1
	s_delay_alu instid0(SALU_CYCLE_1) | instskip(NEXT) | instid1(SALU_CYCLE_1)
	s_and_b32 s1, s1, exec_lo
	s_or_b32 s9, s9, s1
.LBB169_157:
	s_delay_alu instid0(SALU_CYCLE_1)
	v_cndmask_b32_e64 v9, 0, 1, s9
.LBB169_158:
	s_or_b32 exec_lo, exec_lo, s7
	v_or_b32_e32 v8, 0xf00, v0
	s_delay_alu instid0(VALU_DEP_1)
	v_cmp_gt_i32_e32 vcc_lo, s8, v8
                                        ; implicit-def: $vgpr8
	s_and_saveexec_b32 s7, vcc_lo
	s_cbranch_execz .LBB169_163
; %bb.159:
	v_cmp_ne_u32_e32 vcc_lo, 1, v5
	v_lshlrev_b32_e32 v5, 16, v7
	v_and_b32_e32 v7, 0xffff0000, v7
	s_cbranch_vccnz .LBB169_227
; %bb.160:
	s_delay_alu instid0(VALU_DEP_2) | instskip(NEXT) | instid1(VALU_DEP_2)
	v_cmp_neq_f32_e32 vcc_lo, s3, v5
	v_cmp_neq_f32_e64 s1, s6, v7
	s_or_b32 s9, vcc_lo, s1
	s_cbranch_execnz .LBB169_162
.LBB169_161:
	s_delay_alu instid0(VALU_DEP_2) | instskip(NEXT) | instid1(VALU_DEP_2)
	v_cmp_eq_f32_e32 vcc_lo, s3, v5
	v_cmp_eq_f32_e64 s1, s6, v7
	s_and_not1_b32 s3, s9, exec_lo
	s_and_b32 s1, vcc_lo, s1
	s_delay_alu instid0(SALU_CYCLE_1) | instskip(NEXT) | instid1(SALU_CYCLE_1)
	s_and_b32 s1, s1, exec_lo
	s_or_b32 s9, s3, s1
.LBB169_162:
	s_delay_alu instid0(SALU_CYCLE_1)
	v_cndmask_b32_e64 v8, 0, 1, s9
.LBB169_163:
	s_or_b32 exec_lo, exec_lo, s7
	s_and_saveexec_b32 s1, s0
	s_delay_alu instid0(SALU_CYCLE_1)
	s_xor_b32 s0, exec_lo, s1
	s_cbranch_execz .LBB169_165
; %bb.164:
	v_mov_b32_e32 v0, v6
	global_store_b8 v1, v2, s[4:5]
.LBB169_165:
	s_wait_xcnt 0x0
	s_or_b32 exec_lo, exec_lo, s0
	s_delay_alu instid0(SALU_CYCLE_1)
	s_mov_b32 s0, exec_lo
	v_cmpx_gt_i32_e64 s8, v0
	s_cbranch_execnz .LBB169_181
; %bb.166:
	s_or_b32 exec_lo, exec_lo, s0
	s_delay_alu instid0(SALU_CYCLE_1)
	s_mov_b32 s0, exec_lo
	v_cmpx_gt_i32_e64 s8, v0
	s_cbranch_execnz .LBB169_182
.LBB169_167:
	s_or_b32 exec_lo, exec_lo, s0
	s_delay_alu instid0(SALU_CYCLE_1)
	s_mov_b32 s0, exec_lo
	v_cmpx_gt_i32_e64 s8, v0
	s_cbranch_execnz .LBB169_183
.LBB169_168:
	s_or_b32 exec_lo, exec_lo, s0
	s_delay_alu instid0(SALU_CYCLE_1)
	s_mov_b32 s0, exec_lo
	v_cmpx_gt_i32_e64 s8, v0
	s_cbranch_execnz .LBB169_184
.LBB169_169:
	s_or_b32 exec_lo, exec_lo, s0
	s_delay_alu instid0(SALU_CYCLE_1)
	s_mov_b32 s0, exec_lo
	v_cmpx_gt_i32_e64 s8, v0
	s_cbranch_execnz .LBB169_185
.LBB169_170:
	s_or_b32 exec_lo, exec_lo, s0
	s_delay_alu instid0(SALU_CYCLE_1)
	s_mov_b32 s0, exec_lo
	v_cmpx_gt_i32_e64 s8, v0
	s_cbranch_execnz .LBB169_186
.LBB169_171:
	s_or_b32 exec_lo, exec_lo, s0
	s_delay_alu instid0(SALU_CYCLE_1)
	s_mov_b32 s0, exec_lo
	v_cmpx_gt_i32_e64 s8, v0
	s_cbranch_execnz .LBB169_187
.LBB169_172:
	s_or_b32 exec_lo, exec_lo, s0
	s_delay_alu instid0(SALU_CYCLE_1)
	s_mov_b32 s0, exec_lo
	v_cmpx_gt_i32_e64 s8, v0
	s_cbranch_execnz .LBB169_188
.LBB169_173:
	s_or_b32 exec_lo, exec_lo, s0
	s_delay_alu instid0(SALU_CYCLE_1)
	s_mov_b32 s0, exec_lo
	v_cmpx_gt_i32_e64 s8, v0
	s_cbranch_execnz .LBB169_189
.LBB169_174:
	s_or_b32 exec_lo, exec_lo, s0
	s_delay_alu instid0(SALU_CYCLE_1)
	s_mov_b32 s0, exec_lo
	v_cmpx_gt_i32_e64 s8, v0
	s_cbranch_execnz .LBB169_190
.LBB169_175:
	s_or_b32 exec_lo, exec_lo, s0
	s_delay_alu instid0(SALU_CYCLE_1)
	s_mov_b32 s0, exec_lo
	v_cmpx_gt_i32_e64 s8, v0
	s_cbranch_execnz .LBB169_191
.LBB169_176:
	s_or_b32 exec_lo, exec_lo, s0
	s_delay_alu instid0(SALU_CYCLE_1)
	s_mov_b32 s0, exec_lo
	v_cmpx_gt_i32_e64 s8, v0
	s_cbranch_execnz .LBB169_192
.LBB169_177:
	s_or_b32 exec_lo, exec_lo, s0
	s_delay_alu instid0(SALU_CYCLE_1)
	s_mov_b32 s0, exec_lo
	v_cmpx_gt_i32_e64 s8, v0
	s_cbranch_execnz .LBB169_193
.LBB169_178:
	s_or_b32 exec_lo, exec_lo, s0
	s_delay_alu instid0(SALU_CYCLE_1)
	s_mov_b32 s0, exec_lo
	v_cmpx_gt_i32_e64 s8, v0
	s_cbranch_execnz .LBB169_194
.LBB169_179:
	s_or_b32 exec_lo, exec_lo, s0
	s_delay_alu instid0(SALU_CYCLE_1)
	s_mov_b32 s0, exec_lo
	v_cmpx_gt_i32_e64 s8, v0
	s_cbranch_execz .LBB169_195
.LBB169_180:
	v_add_nc_u32_e32 v0, s2, v0
	global_store_b8 v0, v8, s[4:5]
	s_endpgm
.LBB169_181:
	v_add_nc_u32_e32 v1, s2, v0
	v_add_nc_u32_e32 v0, 0x100, v0
	global_store_b8 v1, v4, s[4:5]
	s_wait_xcnt 0x0
	s_or_b32 exec_lo, exec_lo, s0
	s_delay_alu instid0(SALU_CYCLE_1)
	s_mov_b32 s0, exec_lo
	v_cmpx_gt_i32_e64 s8, v0
	s_cbranch_execz .LBB169_167
.LBB169_182:
	v_add_nc_u32_e32 v1, s2, v0
	v_add_nc_u32_e32 v0, 0x100, v0
	global_store_b8 v1, v19, s[4:5]
	s_wait_xcnt 0x0
	s_or_b32 exec_lo, exec_lo, s0
	s_delay_alu instid0(SALU_CYCLE_1)
	s_mov_b32 s0, exec_lo
	v_cmpx_gt_i32_e64 s8, v0
	s_cbranch_execz .LBB169_168
.LBB169_183:
	v_add_nc_u32_e32 v1, s2, v0
	v_add_nc_u32_e32 v0, 0x100, v0
	global_store_b8 v1, v3, s[4:5]
	s_wait_xcnt 0x0
	s_or_b32 exec_lo, exec_lo, s0
	s_delay_alu instid0(SALU_CYCLE_1)
	s_mov_b32 s0, exec_lo
	v_cmpx_gt_i32_e64 s8, v0
	s_cbranch_execz .LBB169_169
.LBB169_184:
	v_add_nc_u32_e32 v1, s2, v0
	v_add_nc_u32_e32 v0, 0x100, v0
	global_store_b8 v1, v20, s[4:5]
	s_wait_xcnt 0x0
	s_or_b32 exec_lo, exec_lo, s0
	s_delay_alu instid0(SALU_CYCLE_1)
	s_mov_b32 s0, exec_lo
	v_cmpx_gt_i32_e64 s8, v0
	s_cbranch_execz .LBB169_170
.LBB169_185:
	v_add_nc_u32_e32 v1, s2, v0
	v_add_nc_u32_e32 v0, 0x100, v0
	global_store_b8 v1, v18, s[4:5]
	s_wait_xcnt 0x0
	s_or_b32 exec_lo, exec_lo, s0
	s_delay_alu instid0(SALU_CYCLE_1)
	s_mov_b32 s0, exec_lo
	v_cmpx_gt_i32_e64 s8, v0
	s_cbranch_execz .LBB169_171
.LBB169_186:
	v_add_nc_u32_e32 v1, s2, v0
	v_add_nc_u32_e32 v0, 0x100, v0
	global_store_b8 v1, v17, s[4:5]
	s_wait_xcnt 0x0
	s_or_b32 exec_lo, exec_lo, s0
	s_delay_alu instid0(SALU_CYCLE_1)
	s_mov_b32 s0, exec_lo
	v_cmpx_gt_i32_e64 s8, v0
	s_cbranch_execz .LBB169_172
.LBB169_187:
	v_add_nc_u32_e32 v1, s2, v0
	v_add_nc_u32_e32 v0, 0x100, v0
	global_store_b8 v1, v16, s[4:5]
	s_wait_xcnt 0x0
	s_or_b32 exec_lo, exec_lo, s0
	s_delay_alu instid0(SALU_CYCLE_1)
	s_mov_b32 s0, exec_lo
	v_cmpx_gt_i32_e64 s8, v0
	s_cbranch_execz .LBB169_173
.LBB169_188:
	v_add_nc_u32_e32 v1, s2, v0
	v_add_nc_u32_e32 v0, 0x100, v0
	global_store_b8 v1, v15, s[4:5]
	s_wait_xcnt 0x0
	s_or_b32 exec_lo, exec_lo, s0
	s_delay_alu instid0(SALU_CYCLE_1)
	s_mov_b32 s0, exec_lo
	v_cmpx_gt_i32_e64 s8, v0
	s_cbranch_execz .LBB169_174
.LBB169_189:
	v_add_nc_u32_e32 v1, s2, v0
	v_add_nc_u32_e32 v0, 0x100, v0
	global_store_b8 v1, v14, s[4:5]
	s_wait_xcnt 0x0
	s_or_b32 exec_lo, exec_lo, s0
	s_delay_alu instid0(SALU_CYCLE_1)
	s_mov_b32 s0, exec_lo
	v_cmpx_gt_i32_e64 s8, v0
	s_cbranch_execz .LBB169_175
.LBB169_190:
	v_add_nc_u32_e32 v1, s2, v0
	v_add_nc_u32_e32 v0, 0x100, v0
	global_store_b8 v1, v13, s[4:5]
	s_wait_xcnt 0x0
	s_or_b32 exec_lo, exec_lo, s0
	s_delay_alu instid0(SALU_CYCLE_1)
	s_mov_b32 s0, exec_lo
	v_cmpx_gt_i32_e64 s8, v0
	s_cbranch_execz .LBB169_176
.LBB169_191:
	v_add_nc_u32_e32 v1, s2, v0
	v_add_nc_u32_e32 v0, 0x100, v0
	global_store_b8 v1, v12, s[4:5]
	s_wait_xcnt 0x0
	s_or_b32 exec_lo, exec_lo, s0
	s_delay_alu instid0(SALU_CYCLE_1)
	s_mov_b32 s0, exec_lo
	v_cmpx_gt_i32_e64 s8, v0
	s_cbranch_execz .LBB169_177
.LBB169_192:
	v_add_nc_u32_e32 v1, s2, v0
	v_add_nc_u32_e32 v0, 0x100, v0
	global_store_b8 v1, v11, s[4:5]
	s_wait_xcnt 0x0
	s_or_b32 exec_lo, exec_lo, s0
	s_delay_alu instid0(SALU_CYCLE_1)
	s_mov_b32 s0, exec_lo
	v_cmpx_gt_i32_e64 s8, v0
	s_cbranch_execz .LBB169_178
.LBB169_193:
	v_add_nc_u32_e32 v1, s2, v0
	v_add_nc_u32_e32 v0, 0x100, v0
	global_store_b8 v1, v10, s[4:5]
	s_wait_xcnt 0x0
	s_or_b32 exec_lo, exec_lo, s0
	s_delay_alu instid0(SALU_CYCLE_1)
	s_mov_b32 s0, exec_lo
	v_cmpx_gt_i32_e64 s8, v0
	s_cbranch_execz .LBB169_179
.LBB169_194:
	v_add_nc_u32_e32 v1, s2, v0
	v_add_nc_u32_e32 v0, 0x100, v0
	global_store_b8 v1, v9, s[4:5]
	s_wait_xcnt 0x0
	s_or_b32 exec_lo, exec_lo, s0
	s_delay_alu instid0(SALU_CYCLE_1)
	s_mov_b32 s0, exec_lo
	v_cmpx_gt_i32_e64 s8, v0
	s_cbranch_execnz .LBB169_180
.LBB169_195:
	s_endpgm
.LBB169_196:
                                        ; implicit-def: $sgpr1
	s_branch .LBB169_3
.LBB169_197:
                                        ; implicit-def: $sgpr13
	s_branch .LBB169_6
.LBB169_198:
                                        ; implicit-def: $sgpr14
	s_branch .LBB169_9
.LBB169_199:
                                        ; implicit-def: $sgpr15
	s_branch .LBB169_12
.LBB169_200:
                                        ; implicit-def: $sgpr16
	s_branch .LBB169_15
.LBB169_201:
                                        ; implicit-def: $sgpr17
	s_branch .LBB169_18
.LBB169_202:
                                        ; implicit-def: $sgpr18
	s_branch .LBB169_21
.LBB169_203:
                                        ; implicit-def: $sgpr19
	s_branch .LBB169_24
.LBB169_204:
                                        ; implicit-def: $sgpr20
	s_branch .LBB169_27
.LBB169_205:
                                        ; implicit-def: $sgpr21
	s_branch .LBB169_30
.LBB169_206:
                                        ; implicit-def: $sgpr22
	s_branch .LBB169_33
.LBB169_207:
                                        ; implicit-def: $sgpr23
	s_branch .LBB169_36
.LBB169_208:
                                        ; implicit-def: $sgpr24
	s_branch .LBB169_39
.LBB169_209:
                                        ; implicit-def: $sgpr25
	s_branch .LBB169_42
.LBB169_210:
                                        ; implicit-def: $sgpr26
	s_branch .LBB169_45
.LBB169_211:
                                        ; implicit-def: $sgpr27
	s_branch .LBB169_48
.LBB169_212:
                                        ; implicit-def: $sgpr10
	s_branch .LBB169_86
.LBB169_213:
                                        ; implicit-def: $sgpr7
	s_branch .LBB169_91
.LBB169_214:
                                        ; implicit-def: $sgpr9
	s_branch .LBB169_96
.LBB169_215:
                                        ; implicit-def: $sgpr9
	s_branch .LBB169_101
.LBB169_216:
                                        ; implicit-def: $sgpr9
	s_branch .LBB169_106
.LBB169_217:
                                        ; implicit-def: $sgpr9
	s_branch .LBB169_111
.LBB169_218:
                                        ; implicit-def: $sgpr9
	s_branch .LBB169_116
.LBB169_219:
                                        ; implicit-def: $sgpr9
	s_branch .LBB169_121
.LBB169_220:
                                        ; implicit-def: $sgpr9
	s_branch .LBB169_126
.LBB169_221:
                                        ; implicit-def: $sgpr9
	s_branch .LBB169_131
.LBB169_222:
                                        ; implicit-def: $sgpr9
	s_branch .LBB169_136
.LBB169_223:
                                        ; implicit-def: $sgpr9
	s_branch .LBB169_141
.LBB169_224:
                                        ; implicit-def: $sgpr9
	s_branch .LBB169_146
.LBB169_225:
                                        ; implicit-def: $sgpr9
	s_branch .LBB169_151
.LBB169_226:
                                        ; implicit-def: $sgpr9
	s_branch .LBB169_156
.LBB169_227:
                                        ; implicit-def: $sgpr9
	s_branch .LBB169_161
	.section	.rodata,"a",@progbits
	.p2align	6, 0x0
	.amdhsa_kernel _ZN2at6native29vectorized_elementwise_kernelILi8ENS0_13AUnaryFunctorIN3c107complexINS3_8BFloat16EEES6_bNS0_12_GLOBAL__N_116CompareEqFunctorIS6_EEEESt5arrayIPcLm2EEEEviT0_T1_
		.amdhsa_group_segment_fixed_size 0
		.amdhsa_private_segment_fixed_size 0
		.amdhsa_kernarg_size 32
		.amdhsa_user_sgpr_count 2
		.amdhsa_user_sgpr_dispatch_ptr 0
		.amdhsa_user_sgpr_queue_ptr 0
		.amdhsa_user_sgpr_kernarg_segment_ptr 1
		.amdhsa_user_sgpr_dispatch_id 0
		.amdhsa_user_sgpr_kernarg_preload_length 0
		.amdhsa_user_sgpr_kernarg_preload_offset 0
		.amdhsa_user_sgpr_private_segment_size 0
		.amdhsa_wavefront_size32 1
		.amdhsa_uses_dynamic_stack 0
		.amdhsa_enable_private_segment 0
		.amdhsa_system_sgpr_workgroup_id_x 1
		.amdhsa_system_sgpr_workgroup_id_y 0
		.amdhsa_system_sgpr_workgroup_id_z 0
		.amdhsa_system_sgpr_workgroup_info 0
		.amdhsa_system_vgpr_workitem_id 0
		.amdhsa_next_free_vgpr 22
		.amdhsa_next_free_sgpr 28
		.amdhsa_named_barrier_count 0
		.amdhsa_reserve_vcc 1
		.amdhsa_float_round_mode_32 0
		.amdhsa_float_round_mode_16_64 0
		.amdhsa_float_denorm_mode_32 3
		.amdhsa_float_denorm_mode_16_64 3
		.amdhsa_fp16_overflow 0
		.amdhsa_memory_ordered 1
		.amdhsa_forward_progress 1
		.amdhsa_inst_pref_size 50
		.amdhsa_round_robin_scheduling 0
		.amdhsa_exception_fp_ieee_invalid_op 0
		.amdhsa_exception_fp_denorm_src 0
		.amdhsa_exception_fp_ieee_div_zero 0
		.amdhsa_exception_fp_ieee_overflow 0
		.amdhsa_exception_fp_ieee_underflow 0
		.amdhsa_exception_fp_ieee_inexact 0
		.amdhsa_exception_int_div_zero 0
	.end_amdhsa_kernel
	.section	.text._ZN2at6native29vectorized_elementwise_kernelILi8ENS0_13AUnaryFunctorIN3c107complexINS3_8BFloat16EEES6_bNS0_12_GLOBAL__N_116CompareEqFunctorIS6_EEEESt5arrayIPcLm2EEEEviT0_T1_,"axG",@progbits,_ZN2at6native29vectorized_elementwise_kernelILi8ENS0_13AUnaryFunctorIN3c107complexINS3_8BFloat16EEES6_bNS0_12_GLOBAL__N_116CompareEqFunctorIS6_EEEESt5arrayIPcLm2EEEEviT0_T1_,comdat
.Lfunc_end169:
	.size	_ZN2at6native29vectorized_elementwise_kernelILi8ENS0_13AUnaryFunctorIN3c107complexINS3_8BFloat16EEES6_bNS0_12_GLOBAL__N_116CompareEqFunctorIS6_EEEESt5arrayIPcLm2EEEEviT0_T1_, .Lfunc_end169-_ZN2at6native29vectorized_elementwise_kernelILi8ENS0_13AUnaryFunctorIN3c107complexINS3_8BFloat16EEES6_bNS0_12_GLOBAL__N_116CompareEqFunctorIS6_EEEESt5arrayIPcLm2EEEEviT0_T1_
                                        ; -- End function
	.set _ZN2at6native29vectorized_elementwise_kernelILi8ENS0_13AUnaryFunctorIN3c107complexINS3_8BFloat16EEES6_bNS0_12_GLOBAL__N_116CompareEqFunctorIS6_EEEESt5arrayIPcLm2EEEEviT0_T1_.num_vgpr, 22
	.set _ZN2at6native29vectorized_elementwise_kernelILi8ENS0_13AUnaryFunctorIN3c107complexINS3_8BFloat16EEES6_bNS0_12_GLOBAL__N_116CompareEqFunctorIS6_EEEESt5arrayIPcLm2EEEEviT0_T1_.num_agpr, 0
	.set _ZN2at6native29vectorized_elementwise_kernelILi8ENS0_13AUnaryFunctorIN3c107complexINS3_8BFloat16EEES6_bNS0_12_GLOBAL__N_116CompareEqFunctorIS6_EEEESt5arrayIPcLm2EEEEviT0_T1_.numbered_sgpr, 28
	.set _ZN2at6native29vectorized_elementwise_kernelILi8ENS0_13AUnaryFunctorIN3c107complexINS3_8BFloat16EEES6_bNS0_12_GLOBAL__N_116CompareEqFunctorIS6_EEEESt5arrayIPcLm2EEEEviT0_T1_.num_named_barrier, 0
	.set _ZN2at6native29vectorized_elementwise_kernelILi8ENS0_13AUnaryFunctorIN3c107complexINS3_8BFloat16EEES6_bNS0_12_GLOBAL__N_116CompareEqFunctorIS6_EEEESt5arrayIPcLm2EEEEviT0_T1_.private_seg_size, 0
	.set _ZN2at6native29vectorized_elementwise_kernelILi8ENS0_13AUnaryFunctorIN3c107complexINS3_8BFloat16EEES6_bNS0_12_GLOBAL__N_116CompareEqFunctorIS6_EEEESt5arrayIPcLm2EEEEviT0_T1_.uses_vcc, 1
	.set _ZN2at6native29vectorized_elementwise_kernelILi8ENS0_13AUnaryFunctorIN3c107complexINS3_8BFloat16EEES6_bNS0_12_GLOBAL__N_116CompareEqFunctorIS6_EEEESt5arrayIPcLm2EEEEviT0_T1_.uses_flat_scratch, 0
	.set _ZN2at6native29vectorized_elementwise_kernelILi8ENS0_13AUnaryFunctorIN3c107complexINS3_8BFloat16EEES6_bNS0_12_GLOBAL__N_116CompareEqFunctorIS6_EEEESt5arrayIPcLm2EEEEviT0_T1_.has_dyn_sized_stack, 0
	.set _ZN2at6native29vectorized_elementwise_kernelILi8ENS0_13AUnaryFunctorIN3c107complexINS3_8BFloat16EEES6_bNS0_12_GLOBAL__N_116CompareEqFunctorIS6_EEEESt5arrayIPcLm2EEEEviT0_T1_.has_recursion, 0
	.set _ZN2at6native29vectorized_elementwise_kernelILi8ENS0_13AUnaryFunctorIN3c107complexINS3_8BFloat16EEES6_bNS0_12_GLOBAL__N_116CompareEqFunctorIS6_EEEESt5arrayIPcLm2EEEEviT0_T1_.has_indirect_call, 0
	.section	.AMDGPU.csdata,"",@progbits
; Kernel info:
; codeLenInByte = 6352
; TotalNumSgprs: 30
; NumVgprs: 22
; ScratchSize: 0
; MemoryBound: 0
; FloatMode: 240
; IeeeMode: 1
; LDSByteSize: 0 bytes/workgroup (compile time only)
; SGPRBlocks: 0
; VGPRBlocks: 1
; NumSGPRsForWavesPerEU: 30
; NumVGPRsForWavesPerEU: 22
; NamedBarCnt: 0
; Occupancy: 16
; WaveLimiterHint : 1
; COMPUTE_PGM_RSRC2:SCRATCH_EN: 0
; COMPUTE_PGM_RSRC2:USER_SGPR: 2
; COMPUTE_PGM_RSRC2:TRAP_HANDLER: 0
; COMPUTE_PGM_RSRC2:TGID_X_EN: 1
; COMPUTE_PGM_RSRC2:TGID_Y_EN: 0
; COMPUTE_PGM_RSRC2:TGID_Z_EN: 0
; COMPUTE_PGM_RSRC2:TIDIG_COMP_CNT: 0
	.section	.text._ZN2at6native29vectorized_elementwise_kernelILi4ENS0_13AUnaryFunctorIN3c107complexINS3_8BFloat16EEES6_bNS0_12_GLOBAL__N_116CompareEqFunctorIS6_EEEESt5arrayIPcLm2EEEEviT0_T1_,"axG",@progbits,_ZN2at6native29vectorized_elementwise_kernelILi4ENS0_13AUnaryFunctorIN3c107complexINS3_8BFloat16EEES6_bNS0_12_GLOBAL__N_116CompareEqFunctorIS6_EEEESt5arrayIPcLm2EEEEviT0_T1_,comdat
	.globl	_ZN2at6native29vectorized_elementwise_kernelILi4ENS0_13AUnaryFunctorIN3c107complexINS3_8BFloat16EEES6_bNS0_12_GLOBAL__N_116CompareEqFunctorIS6_EEEESt5arrayIPcLm2EEEEviT0_T1_ ; -- Begin function _ZN2at6native29vectorized_elementwise_kernelILi4ENS0_13AUnaryFunctorIN3c107complexINS3_8BFloat16EEES6_bNS0_12_GLOBAL__N_116CompareEqFunctorIS6_EEEESt5arrayIPcLm2EEEEviT0_T1_
	.p2align	8
	.type	_ZN2at6native29vectorized_elementwise_kernelILi4ENS0_13AUnaryFunctorIN3c107complexINS3_8BFloat16EEES6_bNS0_12_GLOBAL__N_116CompareEqFunctorIS6_EEEESt5arrayIPcLm2EEEEviT0_T1_,@function
_ZN2at6native29vectorized_elementwise_kernelILi4ENS0_13AUnaryFunctorIN3c107complexINS3_8BFloat16EEES6_bNS0_12_GLOBAL__N_116CompareEqFunctorIS6_EEEESt5arrayIPcLm2EEEEviT0_T1_: ; @_ZN2at6native29vectorized_elementwise_kernelILi4ENS0_13AUnaryFunctorIN3c107complexINS3_8BFloat16EEES6_bNS0_12_GLOBAL__N_116CompareEqFunctorIS6_EEEESt5arrayIPcLm2EEEEviT0_T1_
; %bb.0:
	s_clause 0x1
	s_load_b96 s[8:10], s[0:1], 0x0
	s_load_b128 s[4:7], s[0:1], 0x10
	s_wait_xcnt 0x0
	s_bfe_u32 s0, ttmp6, 0x4000c
	s_and_b32 s1, ttmp6, 15
	s_add_co_i32 s0, s0, 1
	s_getreg_b32 s2, hwreg(HW_REG_IB_STS2, 6, 4)
	s_mul_i32 s0, ttmp9, s0
	s_delay_alu instid0(SALU_CYCLE_1) | instskip(SKIP_2) | instid1(SALU_CYCLE_1)
	s_add_co_i32 s1, s1, s0
	s_cmp_eq_u32 s2, 0
	s_cselect_b32 s0, ttmp9, s1
	s_lshl_b32 s2, s0, 12
	s_mov_b32 s0, -1
	s_wait_kmcnt 0x0
	s_sub_co_i32 s8, s8, s2
	s_delay_alu instid0(SALU_CYCLE_1)
	s_cmp_gt_i32 s8, 0xfff
	s_cbranch_scc0 .LBB170_50
; %bb.1:
	s_ashr_i32 s3, s2, 31
	s_delay_alu instid0(SALU_CYCLE_1)
	s_lshl_b64 s[0:1], s[2:3], 2
	s_cmp_lg_u32 s9, 0
	s_add_nc_u64 s[0:1], s[6:7], s[0:1]
	s_cselect_b32 s13, -1, 0
	s_clause 0x3
	global_load_b128 v[14:17], v0, s[0:1] scale_offset
	global_load_b128 v[10:13], v0, s[0:1] offset:4096 scale_offset
	global_load_b128 v[6:9], v0, s[0:1] offset:8192 scale_offset
	;; [unrolled: 1-line block ×3, first 2 shown]
	s_lshl_b32 s11, s10, 16
	s_and_b32 vcc_lo, exec_lo, s13
	s_and_b32 s12, s10, 0xffff0000
	s_wait_loadcnt 0x3
	v_lshlrev_b32_e32 v1, 16, v14
	v_and_b32_e32 v14, 0xffff0000, v14
	s_cbranch_vccz .LBB170_196
; %bb.2:
	s_delay_alu instid0(VALU_DEP_2) | instskip(SKIP_1) | instid1(VALU_DEP_2)
	v_cmp_neq_f32_e32 vcc_lo, s11, v1
	s_wait_xcnt 0x0
	v_cmp_neq_f32_e64 s0, s12, v14
	s_or_b32 s1, vcc_lo, s0
	s_cbranch_execnz .LBB170_4
.LBB170_3:
	v_cmp_eq_f32_e32 vcc_lo, s11, v1
	v_cmp_eq_f32_e64 s0, s12, v14
	s_and_not1_b32 s1, s1, exec_lo
	s_and_b32 s0, vcc_lo, s0
	s_delay_alu instid0(SALU_CYCLE_1) | instskip(NEXT) | instid1(SALU_CYCLE_1)
	s_and_b32 s0, s0, exec_lo
	s_or_b32 s1, s1, s0
.LBB170_4:
	v_cndmask_b32_e64 v1, 0, 1, s13
	v_lshlrev_b32_e32 v14, 16, v15
	v_and_b32_e32 v15, 0xffff0000, v15
	s_and_not1_b32 vcc_lo, exec_lo, s13
	s_cbranch_vccnz .LBB170_197
; %bb.5:
	s_delay_alu instid0(VALU_DEP_2) | instskip(NEXT) | instid1(VALU_DEP_2)
	v_cmp_neq_f32_e32 vcc_lo, s11, v14
	v_cmp_neq_f32_e64 s0, s12, v15
	s_or_b32 s13, vcc_lo, s0
	s_cbranch_execnz .LBB170_7
.LBB170_6:
	v_cmp_eq_f32_e32 vcc_lo, s11, v14
	v_cmp_eq_f32_e64 s0, s12, v15
	s_and_not1_b32 s13, s13, exec_lo
	s_and_b32 s0, vcc_lo, s0
	s_delay_alu instid0(SALU_CYCLE_1) | instskip(NEXT) | instid1(SALU_CYCLE_1)
	s_and_b32 s0, s0, exec_lo
	s_or_b32 s13, s13, s0
.LBB170_7:
	v_cmp_ne_u32_e32 vcc_lo, 1, v1
	v_lshlrev_b32_e32 v14, 16, v16
	v_and_b32_e32 v15, 0xffff0000, v16
	s_cbranch_vccnz .LBB170_198
; %bb.8:
	s_delay_alu instid0(VALU_DEP_2) | instskip(NEXT) | instid1(VALU_DEP_2)
	v_cmp_neq_f32_e32 vcc_lo, s11, v14
	v_cmp_neq_f32_e64 s0, s12, v15
	s_or_b32 s14, vcc_lo, s0
	s_cbranch_execnz .LBB170_10
.LBB170_9:
	s_delay_alu instid0(VALU_DEP_2) | instskip(NEXT) | instid1(VALU_DEP_2)
	v_cmp_eq_f32_e32 vcc_lo, s11, v14
	v_cmp_eq_f32_e64 s0, s12, v15
	s_and_not1_b32 s14, s14, exec_lo
	s_and_b32 s0, vcc_lo, s0
	s_delay_alu instid0(SALU_CYCLE_1) | instskip(NEXT) | instid1(SALU_CYCLE_1)
	s_and_b32 s0, s0, exec_lo
	s_or_b32 s14, s14, s0
.LBB170_10:
	v_cmp_ne_u32_e32 vcc_lo, 1, v1
	v_lshlrev_b32_e32 v14, 16, v17
	v_and_b32_e32 v15, 0xffff0000, v17
	s_cbranch_vccnz .LBB170_199
; %bb.11:
	s_delay_alu instid0(VALU_DEP_2) | instskip(NEXT) | instid1(VALU_DEP_2)
	v_cmp_neq_f32_e32 vcc_lo, s11, v14
	v_cmp_neq_f32_e64 s0, s12, v15
	s_or_b32 s15, vcc_lo, s0
	s_cbranch_execnz .LBB170_13
.LBB170_12:
	s_delay_alu instid0(VALU_DEP_2) | instskip(NEXT) | instid1(VALU_DEP_2)
	v_cmp_eq_f32_e32 vcc_lo, s11, v14
	v_cmp_eq_f32_e64 s0, s12, v15
	s_and_not1_b32 s15, s15, exec_lo
	s_and_b32 s0, vcc_lo, s0
	s_delay_alu instid0(SALU_CYCLE_1) | instskip(NEXT) | instid1(SALU_CYCLE_1)
	s_and_b32 s0, s0, exec_lo
	s_or_b32 s15, s15, s0
.LBB170_13:
	v_cmp_ne_u32_e32 vcc_lo, 1, v1
	s_wait_loadcnt 0x2
	v_lshlrev_b32_e32 v14, 16, v10
	v_and_b32_e32 v10, 0xffff0000, v10
	s_cbranch_vccnz .LBB170_200
; %bb.14:
	s_delay_alu instid0(VALU_DEP_2) | instskip(NEXT) | instid1(VALU_DEP_2)
	v_cmp_neq_f32_e32 vcc_lo, s11, v14
	v_cmp_neq_f32_e64 s0, s12, v10
	s_or_b32 s16, vcc_lo, s0
	s_cbranch_execnz .LBB170_16
.LBB170_15:
	s_delay_alu instid0(VALU_DEP_2) | instskip(NEXT) | instid1(VALU_DEP_2)
	v_cmp_eq_f32_e32 vcc_lo, s11, v14
	v_cmp_eq_f32_e64 s0, s12, v10
	s_and_not1_b32 s16, s16, exec_lo
	s_and_b32 s0, vcc_lo, s0
	s_delay_alu instid0(SALU_CYCLE_1) | instskip(NEXT) | instid1(SALU_CYCLE_1)
	s_and_b32 s0, s0, exec_lo
	s_or_b32 s16, s16, s0
.LBB170_16:
	v_cmp_ne_u32_e32 vcc_lo, 1, v1
	v_lshlrev_b32_e32 v10, 16, v11
	v_and_b32_e32 v11, 0xffff0000, v11
	s_cbranch_vccnz .LBB170_201
; %bb.17:
	s_delay_alu instid0(VALU_DEP_2) | instskip(NEXT) | instid1(VALU_DEP_2)
	v_cmp_neq_f32_e32 vcc_lo, s11, v10
	v_cmp_neq_f32_e64 s0, s12, v11
	s_or_b32 s17, vcc_lo, s0
	s_cbranch_execnz .LBB170_19
.LBB170_18:
	s_delay_alu instid0(VALU_DEP_2) | instskip(NEXT) | instid1(VALU_DEP_2)
	v_cmp_eq_f32_e32 vcc_lo, s11, v10
	v_cmp_eq_f32_e64 s0, s12, v11
	s_and_not1_b32 s17, s17, exec_lo
	s_and_b32 s0, vcc_lo, s0
	s_delay_alu instid0(SALU_CYCLE_1) | instskip(NEXT) | instid1(SALU_CYCLE_1)
	s_and_b32 s0, s0, exec_lo
	s_or_b32 s17, s17, s0
.LBB170_19:
	v_cmp_ne_u32_e32 vcc_lo, 1, v1
	v_lshlrev_b32_e32 v10, 16, v12
	v_and_b32_e32 v11, 0xffff0000, v12
	s_cbranch_vccnz .LBB170_202
; %bb.20:
	s_delay_alu instid0(VALU_DEP_2) | instskip(NEXT) | instid1(VALU_DEP_2)
	v_cmp_neq_f32_e32 vcc_lo, s11, v10
	v_cmp_neq_f32_e64 s0, s12, v11
	s_or_b32 s18, vcc_lo, s0
	s_cbranch_execnz .LBB170_22
.LBB170_21:
	s_delay_alu instid0(VALU_DEP_2) | instskip(NEXT) | instid1(VALU_DEP_2)
	v_cmp_eq_f32_e32 vcc_lo, s11, v10
	v_cmp_eq_f32_e64 s0, s12, v11
	s_and_not1_b32 s18, s18, exec_lo
	s_and_b32 s0, vcc_lo, s0
	s_delay_alu instid0(SALU_CYCLE_1) | instskip(NEXT) | instid1(SALU_CYCLE_1)
	s_and_b32 s0, s0, exec_lo
	s_or_b32 s18, s18, s0
.LBB170_22:
	v_cmp_ne_u32_e32 vcc_lo, 1, v1
	v_lshlrev_b32_e32 v10, 16, v13
	v_and_b32_e32 v11, 0xffff0000, v13
	s_cbranch_vccnz .LBB170_203
; %bb.23:
	s_delay_alu instid0(VALU_DEP_2) | instskip(NEXT) | instid1(VALU_DEP_2)
	v_cmp_neq_f32_e32 vcc_lo, s11, v10
	v_cmp_neq_f32_e64 s0, s12, v11
	s_or_b32 s19, vcc_lo, s0
	s_cbranch_execnz .LBB170_25
.LBB170_24:
	s_delay_alu instid0(VALU_DEP_2) | instskip(NEXT) | instid1(VALU_DEP_2)
	v_cmp_eq_f32_e32 vcc_lo, s11, v10
	v_cmp_eq_f32_e64 s0, s12, v11
	s_and_not1_b32 s19, s19, exec_lo
	s_and_b32 s0, vcc_lo, s0
	s_delay_alu instid0(SALU_CYCLE_1) | instskip(NEXT) | instid1(SALU_CYCLE_1)
	s_and_b32 s0, s0, exec_lo
	s_or_b32 s19, s19, s0
.LBB170_25:
	v_cmp_ne_u32_e32 vcc_lo, 1, v1
	s_wait_loadcnt 0x1
	v_lshlrev_b32_e32 v10, 16, v6
	v_and_b32_e32 v6, 0xffff0000, v6
	s_cbranch_vccnz .LBB170_204
; %bb.26:
	s_delay_alu instid0(VALU_DEP_2) | instskip(NEXT) | instid1(VALU_DEP_2)
	v_cmp_neq_f32_e32 vcc_lo, s11, v10
	v_cmp_neq_f32_e64 s0, s12, v6
	s_or_b32 s20, vcc_lo, s0
	s_cbranch_execnz .LBB170_28
.LBB170_27:
	s_delay_alu instid0(VALU_DEP_2) | instskip(NEXT) | instid1(VALU_DEP_2)
	v_cmp_eq_f32_e32 vcc_lo, s11, v10
	v_cmp_eq_f32_e64 s0, s12, v6
	s_and_not1_b32 s20, s20, exec_lo
	s_and_b32 s0, vcc_lo, s0
	s_delay_alu instid0(SALU_CYCLE_1) | instskip(NEXT) | instid1(SALU_CYCLE_1)
	s_and_b32 s0, s0, exec_lo
	s_or_b32 s20, s20, s0
.LBB170_28:
	v_cmp_ne_u32_e32 vcc_lo, 1, v1
	v_lshlrev_b32_e32 v6, 16, v7
	v_and_b32_e32 v7, 0xffff0000, v7
	s_cbranch_vccnz .LBB170_205
; %bb.29:
	s_delay_alu instid0(VALU_DEP_2) | instskip(NEXT) | instid1(VALU_DEP_2)
	v_cmp_neq_f32_e32 vcc_lo, s11, v6
	v_cmp_neq_f32_e64 s0, s12, v7
	s_or_b32 s21, vcc_lo, s0
	s_cbranch_execnz .LBB170_31
.LBB170_30:
	s_delay_alu instid0(VALU_DEP_2) | instskip(NEXT) | instid1(VALU_DEP_2)
	v_cmp_eq_f32_e32 vcc_lo, s11, v6
	v_cmp_eq_f32_e64 s0, s12, v7
	s_and_not1_b32 s21, s21, exec_lo
	s_and_b32 s0, vcc_lo, s0
	s_delay_alu instid0(SALU_CYCLE_1) | instskip(NEXT) | instid1(SALU_CYCLE_1)
	s_and_b32 s0, s0, exec_lo
	s_or_b32 s21, s21, s0
.LBB170_31:
	v_cmp_ne_u32_e32 vcc_lo, 1, v1
	v_lshlrev_b32_e32 v6, 16, v8
	v_and_b32_e32 v7, 0xffff0000, v8
	s_cbranch_vccnz .LBB170_206
; %bb.32:
	s_delay_alu instid0(VALU_DEP_2) | instskip(NEXT) | instid1(VALU_DEP_2)
	v_cmp_neq_f32_e32 vcc_lo, s11, v6
	v_cmp_neq_f32_e64 s0, s12, v7
	s_or_b32 s22, vcc_lo, s0
	s_cbranch_execnz .LBB170_34
.LBB170_33:
	s_delay_alu instid0(VALU_DEP_2) | instskip(NEXT) | instid1(VALU_DEP_2)
	v_cmp_eq_f32_e32 vcc_lo, s11, v6
	v_cmp_eq_f32_e64 s0, s12, v7
	s_and_not1_b32 s22, s22, exec_lo
	s_and_b32 s0, vcc_lo, s0
	s_delay_alu instid0(SALU_CYCLE_1) | instskip(NEXT) | instid1(SALU_CYCLE_1)
	s_and_b32 s0, s0, exec_lo
	s_or_b32 s22, s22, s0
.LBB170_34:
	v_cmp_ne_u32_e32 vcc_lo, 1, v1
	v_lshlrev_b32_e32 v6, 16, v9
	v_and_b32_e32 v7, 0xffff0000, v9
	s_cbranch_vccnz .LBB170_207
; %bb.35:
	s_delay_alu instid0(VALU_DEP_2) | instskip(NEXT) | instid1(VALU_DEP_2)
	v_cmp_neq_f32_e32 vcc_lo, s11, v6
	v_cmp_neq_f32_e64 s0, s12, v7
	s_or_b32 s23, vcc_lo, s0
	s_cbranch_execnz .LBB170_37
.LBB170_36:
	s_delay_alu instid0(VALU_DEP_2) | instskip(NEXT) | instid1(VALU_DEP_2)
	v_cmp_eq_f32_e32 vcc_lo, s11, v6
	v_cmp_eq_f32_e64 s0, s12, v7
	s_and_not1_b32 s23, s23, exec_lo
	s_and_b32 s0, vcc_lo, s0
	s_delay_alu instid0(SALU_CYCLE_1) | instskip(NEXT) | instid1(SALU_CYCLE_1)
	s_and_b32 s0, s0, exec_lo
	s_or_b32 s23, s23, s0
.LBB170_37:
	v_cmp_ne_u32_e32 vcc_lo, 1, v1
	s_wait_loadcnt 0x0
	v_lshlrev_b32_e32 v6, 16, v2
	v_and_b32_e32 v2, 0xffff0000, v2
	s_cbranch_vccnz .LBB170_208
; %bb.38:
	s_delay_alu instid0(VALU_DEP_2) | instskip(NEXT) | instid1(VALU_DEP_2)
	v_cmp_neq_f32_e32 vcc_lo, s11, v6
	v_cmp_neq_f32_e64 s0, s12, v2
	s_or_b32 s24, vcc_lo, s0
	s_cbranch_execnz .LBB170_40
.LBB170_39:
	s_delay_alu instid0(VALU_DEP_2) | instskip(NEXT) | instid1(VALU_DEP_2)
	v_cmp_eq_f32_e32 vcc_lo, s11, v6
	v_cmp_eq_f32_e64 s0, s12, v2
	s_and_not1_b32 s24, s24, exec_lo
	s_and_b32 s0, vcc_lo, s0
	s_delay_alu instid0(SALU_CYCLE_1) | instskip(NEXT) | instid1(SALU_CYCLE_1)
	s_and_b32 s0, s0, exec_lo
	s_or_b32 s24, s24, s0
.LBB170_40:
	v_cmp_ne_u32_e32 vcc_lo, 1, v1
	v_lshlrev_b32_e32 v2, 16, v3
	v_and_b32_e32 v3, 0xffff0000, v3
	s_cbranch_vccnz .LBB170_209
; %bb.41:
	s_delay_alu instid0(VALU_DEP_2) | instskip(NEXT) | instid1(VALU_DEP_2)
	v_cmp_neq_f32_e32 vcc_lo, s11, v2
	v_cmp_neq_f32_e64 s0, s12, v3
	s_or_b32 s25, vcc_lo, s0
	s_cbranch_execnz .LBB170_43
.LBB170_42:
	s_delay_alu instid0(VALU_DEP_2) | instskip(NEXT) | instid1(VALU_DEP_2)
	v_cmp_eq_f32_e32 vcc_lo, s11, v2
	v_cmp_eq_f32_e64 s0, s12, v3
	s_and_not1_b32 s25, s25, exec_lo
	s_and_b32 s0, vcc_lo, s0
	s_delay_alu instid0(SALU_CYCLE_1) | instskip(NEXT) | instid1(SALU_CYCLE_1)
	s_and_b32 s0, s0, exec_lo
	s_or_b32 s25, s25, s0
.LBB170_43:
	v_cmp_ne_u32_e32 vcc_lo, 1, v1
	v_lshlrev_b32_e32 v2, 16, v4
	v_and_b32_e32 v3, 0xffff0000, v4
	s_cbranch_vccnz .LBB170_210
; %bb.44:
	s_delay_alu instid0(VALU_DEP_2) | instskip(NEXT) | instid1(VALU_DEP_2)
	v_cmp_neq_f32_e32 vcc_lo, s11, v2
	v_cmp_neq_f32_e64 s0, s12, v3
	s_or_b32 s26, vcc_lo, s0
	s_cbranch_execnz .LBB170_46
.LBB170_45:
	s_delay_alu instid0(VALU_DEP_2) | instskip(NEXT) | instid1(VALU_DEP_2)
	v_cmp_eq_f32_e32 vcc_lo, s11, v2
	v_cmp_eq_f32_e64 s0, s12, v3
	s_and_not1_b32 s26, s26, exec_lo
	s_and_b32 s0, vcc_lo, s0
	s_delay_alu instid0(SALU_CYCLE_1) | instskip(NEXT) | instid1(SALU_CYCLE_1)
	s_and_b32 s0, s0, exec_lo
	s_or_b32 s26, s26, s0
.LBB170_46:
	v_cmp_ne_u32_e32 vcc_lo, 1, v1
	v_lshlrev_b32_e32 v1, 16, v5
	v_and_b32_e32 v2, 0xffff0000, v5
	s_cbranch_vccnz .LBB170_211
; %bb.47:
	s_delay_alu instid0(VALU_DEP_2) | instskip(NEXT) | instid1(VALU_DEP_2)
	v_cmp_neq_f32_e32 vcc_lo, s11, v1
	v_cmp_neq_f32_e64 s0, s12, v2
	s_or_b32 s27, vcc_lo, s0
	s_cbranch_execnz .LBB170_49
.LBB170_48:
	s_delay_alu instid0(VALU_DEP_2) | instskip(NEXT) | instid1(VALU_DEP_2)
	v_cmp_eq_f32_e32 vcc_lo, s11, v1
	v_cmp_eq_f32_e64 s0, s12, v2
	s_and_not1_b32 s11, s27, exec_lo
	s_and_b32 s0, vcc_lo, s0
	s_delay_alu instid0(SALU_CYCLE_1) | instskip(NEXT) | instid1(SALU_CYCLE_1)
	s_and_b32 s0, s0, exec_lo
	s_or_b32 s27, s11, s0
.LBB170_49:
	v_cndmask_b32_e64 v1, 0, 0x100, s25
	v_cndmask_b32_e64 v2, 0, 1, s24
	;; [unrolled: 1-line block ×6, first 2 shown]
	v_or_b32_e32 v1, v1, v2
	v_cndmask_b32_e64 v10, 0, 0x1000000, s15
	v_or_b32_e32 v2, v3, v4
	v_cndmask_b32_e64 v3, 0, 0x100, s17
	v_cndmask_b32_e64 v4, 0, 1, s16
	v_or_b32_e32 v6, v6, v7
	v_cndmask_b32_e64 v7, 0, 0x10000, s14
	v_cndmask_b32_e64 v11, 0, 0x1000000, s19
	;; [unrolled: 1-line block ×3, first 2 shown]
	v_or_b32_e32 v3, v3, v4
	v_cndmask_b32_e64 v4, 0, 0x10000, s18
	v_cndmask_b32_e64 v9, 0, 0x1000000, s23
	;; [unrolled: 1-line block ×4, first 2 shown]
	v_or3_b32 v6, v6, v7, v10
	v_or3_b32 v3, v3, v4, v11
	;; [unrolled: 1-line block ×3, first 2 shown]
	s_add_nc_u64 s[12:13], s[4:5], s[2:3]
	v_or3_b32 v1, v1, v5, v12
	s_mov_b32 s0, 0
	s_clause 0x3
	global_store_b32 v0, v6, s[12:13] scale_offset
	global_store_b32 v0, v3, s[12:13] offset:1024 scale_offset
	global_store_b32 v0, v2, s[12:13] offset:2048 scale_offset
	global_store_b32 v0, v1, s[12:13] offset:3072 scale_offset
.LBB170_50:
	s_and_b32 vcc_lo, exec_lo, s0
	s_cbranch_vccz .LBB170_195
; %bb.51:
	v_cmp_gt_i32_e64 s0, s8, v0
	s_wait_xcnt 0x0
	v_dual_mov_b32 v7, 0 :: v_dual_bitop2_b32 v1, s2, v0 bitop3:0x54
	v_or_b32_e32 v6, 0x100, v0
	v_dual_mov_b32 v8, 0 :: v_dual_mov_b32 v9, 0
	v_dual_mov_b32 v10, 0 :: v_dual_mov_b32 v11, 0
	;; [unrolled: 1-line block ×7, first 2 shown]
	v_mov_b32_e32 v20, 0
	s_and_saveexec_b32 s1, s0
	s_cbranch_execz .LBB170_83
; %bb.52:
	global_load_b32 v20, v1, s[6:7] scale_offset
	v_or_b32_e32 v2, 0x100, v0
	v_dual_mov_b32 v19, 0 :: v_dual_mov_b32 v3, 0
	v_dual_mov_b32 v21, 0 :: v_dual_mov_b32 v18, 0
	;; [unrolled: 1-line block ×7, first 2 shown]
	v_mov_b32_e32 v7, 0
	s_mov_b32 s3, exec_lo
	s_wait_xcnt 0x0
	v_cmpx_gt_u32_e64 s8, v2
	s_cbranch_execz .LBB170_82
; %bb.53:
	v_dual_mov_b32 v3, 0 :: v_dual_add_nc_u32 v2, s2, v0
	v_or_b32_e32 v4, 0x200, v0
	v_dual_mov_b32 v21, 0 :: v_dual_mov_b32 v18, 0
	global_load_b32 v19, v2, s[6:7] offset:1024 scale_offset
	v_dual_mov_b32 v17, 0 :: v_dual_mov_b32 v16, 0
	v_dual_mov_b32 v15, 0 :: v_dual_mov_b32 v14, 0
	;; [unrolled: 1-line block ×5, first 2 shown]
	v_mov_b32_e32 v7, 0
	s_mov_b32 s11, exec_lo
	s_wait_xcnt 0x0
	v_cmpx_gt_u32_e64 s8, v4
	s_cbranch_execz .LBB170_81
; %bb.54:
	v_lshl_add_u64 v[4:5], v[2:3], 2, s[6:7]
	v_or_b32_e32 v7, 0x300, v0
	v_dual_mov_b32 v18, 0 :: v_dual_mov_b32 v17, 0
	v_dual_mov_b32 v16, 0 :: v_dual_mov_b32 v15, 0
	global_load_b32 v2, v[4:5], off offset:2048
	v_cmp_gt_u32_e32 vcc_lo, s8, v7
	v_dual_mov_b32 v14, 0 :: v_dual_mov_b32 v13, 0
	v_dual_mov_b32 v12, 0 :: v_dual_mov_b32 v11, 0
	;; [unrolled: 1-line block ×4, first 2 shown]
	s_wait_xcnt 0x0
	s_and_saveexec_b32 s6, vcc_lo
	s_cbranch_execz .LBB170_80
; %bb.55:
	global_load_b32 v3, v[4:5], off offset:3072
	v_or_b32_e32 v7, 0x400, v0
	v_dual_mov_b32 v18, 0 :: v_dual_mov_b32 v17, 0
	v_dual_mov_b32 v16, 0 :: v_dual_mov_b32 v15, 0
	s_delay_alu instid0(VALU_DEP_3)
	v_cmp_gt_u32_e32 vcc_lo, s8, v7
	v_dual_mov_b32 v14, 0 :: v_dual_mov_b32 v13, 0
	v_dual_mov_b32 v12, 0 :: v_dual_mov_b32 v11, 0
	;; [unrolled: 1-line block ×4, first 2 shown]
	s_wait_xcnt 0x0
	s_and_saveexec_b32 s7, vcc_lo
	s_cbranch_execz .LBB170_79
; %bb.56:
	global_load_b32 v18, v[4:5], off offset:4096
	v_or_b32_e32 v7, 0x500, v0
	v_dual_mov_b32 v17, 0 :: v_dual_mov_b32 v16, 0
	v_dual_mov_b32 v15, 0 :: v_dual_mov_b32 v14, 0
	s_delay_alu instid0(VALU_DEP_3)
	v_cmp_gt_u32_e32 vcc_lo, s8, v7
	v_dual_mov_b32 v13, 0 :: v_dual_mov_b32 v12, 0
	v_dual_mov_b32 v11, 0 :: v_dual_mov_b32 v10, 0
	;; [unrolled: 1-line block ×3, first 2 shown]
	v_mov_b32_e32 v7, 0
	s_wait_xcnt 0x0
	s_and_saveexec_b32 s12, vcc_lo
	s_cbranch_execz .LBB170_78
; %bb.57:
	global_load_b32 v17, v[4:5], off offset:5120
	v_or_b32_e32 v7, 0x600, v0
	v_dual_mov_b32 v16, 0 :: v_dual_mov_b32 v15, 0
	v_dual_mov_b32 v14, 0 :: v_dual_mov_b32 v13, 0
	s_delay_alu instid0(VALU_DEP_3)
	v_cmp_gt_u32_e32 vcc_lo, s8, v7
	v_dual_mov_b32 v12, 0 :: v_dual_mov_b32 v11, 0
	v_dual_mov_b32 v10, 0 :: v_dual_mov_b32 v9, 0
	;; [unrolled: 1-line block ×3, first 2 shown]
	s_wait_xcnt 0x0
	s_and_saveexec_b32 s13, vcc_lo
	s_cbranch_execz .LBB170_77
; %bb.58:
	global_load_b32 v16, v[4:5], off offset:6144
	v_or_b32_e32 v7, 0x700, v0
	v_dual_mov_b32 v15, 0 :: v_dual_mov_b32 v14, 0
	v_dual_mov_b32 v13, 0 :: v_dual_mov_b32 v12, 0
	s_delay_alu instid0(VALU_DEP_3)
	v_cmp_gt_u32_e32 vcc_lo, s8, v7
	v_dual_mov_b32 v11, 0 :: v_dual_mov_b32 v10, 0
	v_dual_mov_b32 v9, 0 :: v_dual_mov_b32 v8, 0
	v_mov_b32_e32 v7, 0
	s_wait_xcnt 0x0
	s_and_saveexec_b32 s14, vcc_lo
	s_cbranch_execz .LBB170_76
; %bb.59:
	global_load_b32 v15, v[4:5], off offset:7168
	v_or_b32_e32 v7, 0x800, v0
	v_dual_mov_b32 v14, 0 :: v_dual_mov_b32 v13, 0
	v_dual_mov_b32 v12, 0 :: v_dual_mov_b32 v11, 0
	s_delay_alu instid0(VALU_DEP_3)
	v_cmp_gt_u32_e32 vcc_lo, s8, v7
	v_dual_mov_b32 v10, 0 :: v_dual_mov_b32 v9, 0
	v_dual_mov_b32 v8, 0 :: v_dual_mov_b32 v7, 0
	s_wait_xcnt 0x0
	s_and_saveexec_b32 s15, vcc_lo
	s_cbranch_execz .LBB170_75
; %bb.60:
	global_load_b32 v14, v[4:5], off offset:8192
	v_or_b32_e32 v7, 0x900, v0
	v_dual_mov_b32 v13, 0 :: v_dual_mov_b32 v12, 0
	v_dual_mov_b32 v11, 0 :: v_dual_mov_b32 v10, 0
	s_delay_alu instid0(VALU_DEP_3)
	v_cmp_gt_u32_e32 vcc_lo, s8, v7
	v_dual_mov_b32 v9, 0 :: v_dual_mov_b32 v8, 0
	v_mov_b32_e32 v7, 0
	s_wait_xcnt 0x0
	s_and_saveexec_b32 s16, vcc_lo
	s_cbranch_execz .LBB170_74
; %bb.61:
	global_load_b32 v13, v[4:5], off offset:9216
	v_or_b32_e32 v7, 0xa00, v0
	v_dual_mov_b32 v12, 0 :: v_dual_mov_b32 v11, 0
	v_dual_mov_b32 v10, 0 :: v_dual_mov_b32 v9, 0
	s_delay_alu instid0(VALU_DEP_3)
	v_cmp_gt_u32_e32 vcc_lo, s8, v7
	v_dual_mov_b32 v8, 0 :: v_dual_mov_b32 v7, 0
	s_wait_xcnt 0x0
	s_and_saveexec_b32 s17, vcc_lo
	s_cbranch_execz .LBB170_73
; %bb.62:
	global_load_b32 v12, v[4:5], off offset:10240
	v_or_b32_e32 v7, 0xb00, v0
	v_dual_mov_b32 v11, 0 :: v_dual_mov_b32 v10, 0
	v_dual_mov_b32 v9, 0 :: v_dual_mov_b32 v8, 0
	s_delay_alu instid0(VALU_DEP_3)
	v_cmp_gt_u32_e32 vcc_lo, s8, v7
	v_mov_b32_e32 v7, 0
	s_wait_xcnt 0x0
	s_and_saveexec_b32 s18, vcc_lo
	s_cbranch_execz .LBB170_72
; %bb.63:
	global_load_b32 v11, v[4:5], off offset:11264
	v_or_b32_e32 v7, 0xc00, v0
	v_dual_mov_b32 v10, 0 :: v_dual_mov_b32 v9, 0
	v_mov_b32_e32 v8, 0
	s_delay_alu instid0(VALU_DEP_3)
	v_cmp_gt_u32_e32 vcc_lo, s8, v7
	v_mov_b32_e32 v7, 0
	s_wait_xcnt 0x0
	s_and_saveexec_b32 s19, vcc_lo
	s_cbranch_execz .LBB170_71
; %bb.64:
	global_load_b32 v10, v[4:5], off offset:12288
	v_or_b32_e32 v7, 0xd00, v0
	v_dual_mov_b32 v9, 0 :: v_dual_mov_b32 v8, 0
	s_delay_alu instid0(VALU_DEP_2)
	v_cmp_gt_u32_e32 vcc_lo, s8, v7
	v_mov_b32_e32 v7, 0
	s_wait_xcnt 0x0
	s_and_saveexec_b32 s20, vcc_lo
	s_cbranch_execz .LBB170_70
; %bb.65:
	global_load_b32 v9, v[4:5], off offset:13312
	v_or_b32_e32 v7, 0xe00, v0
	v_mov_b32_e32 v8, 0
	s_delay_alu instid0(VALU_DEP_2)
	v_cmp_gt_u32_e32 vcc_lo, s8, v7
	v_mov_b32_e32 v7, 0
	s_wait_xcnt 0x0
	s_and_saveexec_b32 s21, vcc_lo
	s_cbranch_execz .LBB170_69
; %bb.66:
	global_load_b32 v8, v[4:5], off offset:14336
	v_or_b32_e32 v7, 0xf00, v0
	s_delay_alu instid0(VALU_DEP_1)
	v_cmp_gt_u32_e32 vcc_lo, s8, v7
	v_mov_b32_e32 v7, 0
	s_wait_xcnt 0x0
	s_and_saveexec_b32 s22, vcc_lo
	s_cbranch_execz .LBB170_68
; %bb.67:
	global_load_b32 v7, v[4:5], off offset:15360
.LBB170_68:
	s_wait_xcnt 0x0
	s_or_b32 exec_lo, exec_lo, s22
.LBB170_69:
	s_delay_alu instid0(SALU_CYCLE_1)
	s_or_b32 exec_lo, exec_lo, s21
.LBB170_70:
	s_delay_alu instid0(SALU_CYCLE_1)
	s_or_b32 exec_lo, exec_lo, s20
.LBB170_71:
	s_delay_alu instid0(SALU_CYCLE_1)
	s_or_b32 exec_lo, exec_lo, s19
.LBB170_72:
	s_delay_alu instid0(SALU_CYCLE_1)
	s_or_b32 exec_lo, exec_lo, s18
.LBB170_73:
	s_delay_alu instid0(SALU_CYCLE_1)
	s_or_b32 exec_lo, exec_lo, s17
.LBB170_74:
	s_delay_alu instid0(SALU_CYCLE_1)
	s_or_b32 exec_lo, exec_lo, s16
.LBB170_75:
	s_delay_alu instid0(SALU_CYCLE_1)
	s_or_b32 exec_lo, exec_lo, s15
.LBB170_76:
	s_delay_alu instid0(SALU_CYCLE_1)
	s_or_b32 exec_lo, exec_lo, s14
.LBB170_77:
	s_delay_alu instid0(SALU_CYCLE_1)
	s_or_b32 exec_lo, exec_lo, s13
.LBB170_78:
	s_delay_alu instid0(SALU_CYCLE_1)
	s_or_b32 exec_lo, exec_lo, s12
.LBB170_79:
	s_delay_alu instid0(SALU_CYCLE_1)
	s_or_b32 exec_lo, exec_lo, s7
.LBB170_80:
	s_delay_alu instid0(SALU_CYCLE_1)
	s_or_b32 exec_lo, exec_lo, s6
	s_wait_loadcnt 0x0
	v_dual_mov_b32 v21, v3 :: v_dual_mov_b32 v3, v2
.LBB170_81:
	s_or_b32 exec_lo, exec_lo, s11
.LBB170_82:
	s_delay_alu instid0(SALU_CYCLE_1)
	s_or_b32 exec_lo, exec_lo, s3
.LBB170_83:
	s_delay_alu instid0(SALU_CYCLE_1)
	s_or_b32 exec_lo, exec_lo, s1
	s_cmp_lg_u32 s9, 0
                                        ; implicit-def: $vgpr2
	s_cselect_b32 s7, -1, 0
	s_lshl_b32 s3, s10, 16
	s_and_b32 s6, s10, 0xffff0000
	s_and_saveexec_b32 s9, s0
	s_cbranch_execz .LBB170_88
; %bb.84:
	s_wait_loadcnt 0x0
	v_lshlrev_b32_e32 v2, 16, v20
	v_and_b32_e32 v4, 0xffff0000, v20
	s_and_b32 vcc_lo, exec_lo, s7
	s_cbranch_vccz .LBB170_212
; %bb.85:
	s_delay_alu instid0(VALU_DEP_2) | instskip(NEXT) | instid1(VALU_DEP_2)
	v_cmp_neq_f32_e32 vcc_lo, s3, v2
	v_cmp_neq_f32_e64 s1, s6, v4
	s_or_b32 s10, vcc_lo, s1
	s_cbranch_execnz .LBB170_87
.LBB170_86:
	v_cmp_eq_f32_e32 vcc_lo, s3, v2
	v_cmp_eq_f32_e64 s1, s6, v4
	s_and_not1_b32 s10, s10, exec_lo
	s_and_b32 s1, vcc_lo, s1
	s_delay_alu instid0(SALU_CYCLE_1) | instskip(NEXT) | instid1(SALU_CYCLE_1)
	s_and_b32 s1, s1, exec_lo
	s_or_b32 s10, s10, s1
.LBB170_87:
	s_delay_alu instid0(SALU_CYCLE_1)
	v_cndmask_b32_e64 v2, 0, 1, s10
.LBB170_88:
	s_or_b32 exec_lo, exec_lo, s9
	v_cndmask_b32_e64 v5, 0, 1, s7
	s_mov_b32 s9, exec_lo
                                        ; implicit-def: $vgpr4
	v_cmpx_gt_i32_e64 s8, v6
	s_cbranch_execz .LBB170_93
; %bb.89:
	s_wait_loadcnt 0x0
	v_lshlrev_b32_e32 v4, 16, v19
	v_and_b32_e32 v19, 0xffff0000, v19
	s_and_not1_b32 vcc_lo, exec_lo, s7
	s_cbranch_vccnz .LBB170_213
; %bb.90:
	s_delay_alu instid0(VALU_DEP_2) | instskip(NEXT) | instid1(VALU_DEP_2)
	v_cmp_neq_f32_e32 vcc_lo, s3, v4
	v_cmp_neq_f32_e64 s1, s6, v19
	s_or_b32 s7, vcc_lo, s1
	s_cbranch_execnz .LBB170_92
.LBB170_91:
	v_cmp_eq_f32_e32 vcc_lo, s3, v4
	v_cmp_eq_f32_e64 s1, s6, v19
	s_and_not1_b32 s7, s7, exec_lo
	s_and_b32 s1, vcc_lo, s1
	s_delay_alu instid0(SALU_CYCLE_1) | instskip(NEXT) | instid1(SALU_CYCLE_1)
	s_and_b32 s1, s1, exec_lo
	s_or_b32 s7, s7, s1
.LBB170_92:
	s_delay_alu instid0(SALU_CYCLE_1)
	v_cndmask_b32_e64 v4, 0, 1, s7
.LBB170_93:
	s_or_b32 exec_lo, exec_lo, s9
	s_wait_loadcnt 0x0
	v_or_b32_e32 v19, 0x200, v0
	s_delay_alu instid0(VALU_DEP_1)
	v_cmp_gt_i32_e32 vcc_lo, s8, v19
                                        ; implicit-def: $vgpr19
	s_and_saveexec_b32 s7, vcc_lo
	s_cbranch_execz .LBB170_98
; %bb.94:
	v_cmp_ne_u32_e32 vcc_lo, 1, v5
	v_lshlrev_b32_e32 v19, 16, v3
	v_and_b32_e32 v3, 0xffff0000, v3
	s_cbranch_vccnz .LBB170_214
; %bb.95:
	s_delay_alu instid0(VALU_DEP_2) | instskip(NEXT) | instid1(VALU_DEP_2)
	v_cmp_neq_f32_e32 vcc_lo, s3, v19
	v_cmp_neq_f32_e64 s1, s6, v3
	s_or_b32 s9, vcc_lo, s1
	s_cbranch_execnz .LBB170_97
.LBB170_96:
	s_delay_alu instid0(VALU_DEP_2) | instskip(NEXT) | instid1(VALU_DEP_2)
	v_cmp_eq_f32_e32 vcc_lo, s3, v19
	v_cmp_eq_f32_e64 s1, s6, v3
	s_and_not1_b32 s9, s9, exec_lo
	s_and_b32 s1, vcc_lo, s1
	s_delay_alu instid0(SALU_CYCLE_1) | instskip(NEXT) | instid1(SALU_CYCLE_1)
	s_and_b32 s1, s1, exec_lo
	s_or_b32 s9, s9, s1
.LBB170_97:
	s_delay_alu instid0(SALU_CYCLE_1)
	v_cndmask_b32_e64 v19, 0, 1, s9
.LBB170_98:
	s_or_b32 exec_lo, exec_lo, s7
	v_or_b32_e32 v3, 0x300, v0
	s_delay_alu instid0(VALU_DEP_1)
	v_cmp_gt_i32_e32 vcc_lo, s8, v3
                                        ; implicit-def: $vgpr3
	s_and_saveexec_b32 s7, vcc_lo
	s_cbranch_execz .LBB170_103
; %bb.99:
	v_cmp_ne_u32_e32 vcc_lo, 1, v5
	v_lshlrev_b32_e32 v3, 16, v21
	v_and_b32_e32 v20, 0xffff0000, v21
	s_cbranch_vccnz .LBB170_215
; %bb.100:
	s_delay_alu instid0(VALU_DEP_2) | instskip(NEXT) | instid1(VALU_DEP_2)
	v_cmp_neq_f32_e32 vcc_lo, s3, v3
	v_cmp_neq_f32_e64 s1, s6, v20
	s_or_b32 s9, vcc_lo, s1
	s_cbranch_execnz .LBB170_102
.LBB170_101:
	s_delay_alu instid0(VALU_DEP_2) | instskip(NEXT) | instid1(VALU_DEP_2)
	v_cmp_eq_f32_e32 vcc_lo, s3, v3
	v_cmp_eq_f32_e64 s1, s6, v20
	s_and_not1_b32 s9, s9, exec_lo
	s_and_b32 s1, vcc_lo, s1
	s_delay_alu instid0(SALU_CYCLE_1) | instskip(NEXT) | instid1(SALU_CYCLE_1)
	s_and_b32 s1, s1, exec_lo
	s_or_b32 s9, s9, s1
.LBB170_102:
	s_delay_alu instid0(SALU_CYCLE_1)
	v_cndmask_b32_e64 v3, 0, 1, s9
.LBB170_103:
	s_or_b32 exec_lo, exec_lo, s7
	v_or_b32_e32 v20, 0x400, v0
	s_delay_alu instid0(VALU_DEP_1)
	v_cmp_gt_i32_e32 vcc_lo, s8, v20
                                        ; implicit-def: $vgpr20
	s_and_saveexec_b32 s7, vcc_lo
	s_cbranch_execz .LBB170_108
; %bb.104:
	v_cmp_ne_u32_e32 vcc_lo, 1, v5
	v_lshlrev_b32_e32 v20, 16, v18
	v_and_b32_e32 v18, 0xffff0000, v18
	s_cbranch_vccnz .LBB170_216
; %bb.105:
	s_delay_alu instid0(VALU_DEP_2) | instskip(NEXT) | instid1(VALU_DEP_2)
	v_cmp_neq_f32_e32 vcc_lo, s3, v20
	v_cmp_neq_f32_e64 s1, s6, v18
	s_or_b32 s9, vcc_lo, s1
	s_cbranch_execnz .LBB170_107
.LBB170_106:
	s_delay_alu instid0(VALU_DEP_2) | instskip(NEXT) | instid1(VALU_DEP_2)
	v_cmp_eq_f32_e32 vcc_lo, s3, v20
	v_cmp_eq_f32_e64 s1, s6, v18
	s_and_not1_b32 s9, s9, exec_lo
	s_and_b32 s1, vcc_lo, s1
	s_delay_alu instid0(SALU_CYCLE_1) | instskip(NEXT) | instid1(SALU_CYCLE_1)
	s_and_b32 s1, s1, exec_lo
	s_or_b32 s9, s9, s1
.LBB170_107:
	s_delay_alu instid0(SALU_CYCLE_1)
	v_cndmask_b32_e64 v20, 0, 1, s9
.LBB170_108:
	s_or_b32 exec_lo, exec_lo, s7
	v_or_b32_e32 v18, 0x500, v0
	s_delay_alu instid0(VALU_DEP_1)
	v_cmp_gt_i32_e32 vcc_lo, s8, v18
                                        ; implicit-def: $vgpr18
	s_and_saveexec_b32 s7, vcc_lo
	s_cbranch_execz .LBB170_113
; %bb.109:
	v_cmp_ne_u32_e32 vcc_lo, 1, v5
	v_lshlrev_b32_e32 v18, 16, v17
	v_and_b32_e32 v17, 0xffff0000, v17
	s_cbranch_vccnz .LBB170_217
; %bb.110:
	s_delay_alu instid0(VALU_DEP_2) | instskip(NEXT) | instid1(VALU_DEP_2)
	v_cmp_neq_f32_e32 vcc_lo, s3, v18
	v_cmp_neq_f32_e64 s1, s6, v17
	s_or_b32 s9, vcc_lo, s1
	s_cbranch_execnz .LBB170_112
.LBB170_111:
	s_delay_alu instid0(VALU_DEP_2) | instskip(NEXT) | instid1(VALU_DEP_2)
	v_cmp_eq_f32_e32 vcc_lo, s3, v18
	v_cmp_eq_f32_e64 s1, s6, v17
	s_and_not1_b32 s9, s9, exec_lo
	s_and_b32 s1, vcc_lo, s1
	s_delay_alu instid0(SALU_CYCLE_1) | instskip(NEXT) | instid1(SALU_CYCLE_1)
	s_and_b32 s1, s1, exec_lo
	s_or_b32 s9, s9, s1
.LBB170_112:
	s_delay_alu instid0(SALU_CYCLE_1)
	v_cndmask_b32_e64 v18, 0, 1, s9
.LBB170_113:
	s_or_b32 exec_lo, exec_lo, s7
	v_or_b32_e32 v17, 0x600, v0
	s_delay_alu instid0(VALU_DEP_1)
	v_cmp_gt_i32_e32 vcc_lo, s8, v17
                                        ; implicit-def: $vgpr17
	s_and_saveexec_b32 s7, vcc_lo
	s_cbranch_execz .LBB170_118
; %bb.114:
	v_cmp_ne_u32_e32 vcc_lo, 1, v5
	v_lshlrev_b32_e32 v17, 16, v16
	v_and_b32_e32 v16, 0xffff0000, v16
	s_cbranch_vccnz .LBB170_218
; %bb.115:
	s_delay_alu instid0(VALU_DEP_2) | instskip(NEXT) | instid1(VALU_DEP_2)
	v_cmp_neq_f32_e32 vcc_lo, s3, v17
	v_cmp_neq_f32_e64 s1, s6, v16
	s_or_b32 s9, vcc_lo, s1
	s_cbranch_execnz .LBB170_117
.LBB170_116:
	s_delay_alu instid0(VALU_DEP_2) | instskip(NEXT) | instid1(VALU_DEP_2)
	v_cmp_eq_f32_e32 vcc_lo, s3, v17
	v_cmp_eq_f32_e64 s1, s6, v16
	s_and_not1_b32 s9, s9, exec_lo
	s_and_b32 s1, vcc_lo, s1
	s_delay_alu instid0(SALU_CYCLE_1) | instskip(NEXT) | instid1(SALU_CYCLE_1)
	s_and_b32 s1, s1, exec_lo
	s_or_b32 s9, s9, s1
.LBB170_117:
	s_delay_alu instid0(SALU_CYCLE_1)
	v_cndmask_b32_e64 v17, 0, 1, s9
.LBB170_118:
	s_or_b32 exec_lo, exec_lo, s7
	v_or_b32_e32 v16, 0x700, v0
	s_delay_alu instid0(VALU_DEP_1)
	v_cmp_gt_i32_e32 vcc_lo, s8, v16
                                        ; implicit-def: $vgpr16
	s_and_saveexec_b32 s7, vcc_lo
	s_cbranch_execz .LBB170_123
; %bb.119:
	v_cmp_ne_u32_e32 vcc_lo, 1, v5
	v_lshlrev_b32_e32 v16, 16, v15
	v_and_b32_e32 v15, 0xffff0000, v15
	s_cbranch_vccnz .LBB170_219
; %bb.120:
	s_delay_alu instid0(VALU_DEP_2) | instskip(NEXT) | instid1(VALU_DEP_2)
	v_cmp_neq_f32_e32 vcc_lo, s3, v16
	v_cmp_neq_f32_e64 s1, s6, v15
	s_or_b32 s9, vcc_lo, s1
	s_cbranch_execnz .LBB170_122
.LBB170_121:
	s_delay_alu instid0(VALU_DEP_2) | instskip(NEXT) | instid1(VALU_DEP_2)
	v_cmp_eq_f32_e32 vcc_lo, s3, v16
	v_cmp_eq_f32_e64 s1, s6, v15
	s_and_not1_b32 s9, s9, exec_lo
	s_and_b32 s1, vcc_lo, s1
	s_delay_alu instid0(SALU_CYCLE_1) | instskip(NEXT) | instid1(SALU_CYCLE_1)
	s_and_b32 s1, s1, exec_lo
	s_or_b32 s9, s9, s1
.LBB170_122:
	s_delay_alu instid0(SALU_CYCLE_1)
	v_cndmask_b32_e64 v16, 0, 1, s9
.LBB170_123:
	s_or_b32 exec_lo, exec_lo, s7
	v_or_b32_e32 v15, 0x800, v0
	s_delay_alu instid0(VALU_DEP_1)
	v_cmp_gt_i32_e32 vcc_lo, s8, v15
                                        ; implicit-def: $vgpr15
	s_and_saveexec_b32 s7, vcc_lo
	s_cbranch_execz .LBB170_128
; %bb.124:
	v_cmp_ne_u32_e32 vcc_lo, 1, v5
	v_lshlrev_b32_e32 v15, 16, v14
	v_and_b32_e32 v14, 0xffff0000, v14
	s_cbranch_vccnz .LBB170_220
; %bb.125:
	s_delay_alu instid0(VALU_DEP_2) | instskip(NEXT) | instid1(VALU_DEP_2)
	v_cmp_neq_f32_e32 vcc_lo, s3, v15
	v_cmp_neq_f32_e64 s1, s6, v14
	s_or_b32 s9, vcc_lo, s1
	s_cbranch_execnz .LBB170_127
.LBB170_126:
	s_delay_alu instid0(VALU_DEP_2) | instskip(NEXT) | instid1(VALU_DEP_2)
	v_cmp_eq_f32_e32 vcc_lo, s3, v15
	v_cmp_eq_f32_e64 s1, s6, v14
	s_and_not1_b32 s9, s9, exec_lo
	s_and_b32 s1, vcc_lo, s1
	s_delay_alu instid0(SALU_CYCLE_1) | instskip(NEXT) | instid1(SALU_CYCLE_1)
	s_and_b32 s1, s1, exec_lo
	s_or_b32 s9, s9, s1
.LBB170_127:
	s_delay_alu instid0(SALU_CYCLE_1)
	v_cndmask_b32_e64 v15, 0, 1, s9
.LBB170_128:
	s_or_b32 exec_lo, exec_lo, s7
	v_or_b32_e32 v14, 0x900, v0
	s_delay_alu instid0(VALU_DEP_1)
	v_cmp_gt_i32_e32 vcc_lo, s8, v14
                                        ; implicit-def: $vgpr14
	s_and_saveexec_b32 s7, vcc_lo
	s_cbranch_execz .LBB170_133
; %bb.129:
	v_cmp_ne_u32_e32 vcc_lo, 1, v5
	v_lshlrev_b32_e32 v14, 16, v13
	v_and_b32_e32 v13, 0xffff0000, v13
	s_cbranch_vccnz .LBB170_221
; %bb.130:
	s_delay_alu instid0(VALU_DEP_2) | instskip(NEXT) | instid1(VALU_DEP_2)
	v_cmp_neq_f32_e32 vcc_lo, s3, v14
	v_cmp_neq_f32_e64 s1, s6, v13
	s_or_b32 s9, vcc_lo, s1
	s_cbranch_execnz .LBB170_132
.LBB170_131:
	s_delay_alu instid0(VALU_DEP_2) | instskip(NEXT) | instid1(VALU_DEP_2)
	v_cmp_eq_f32_e32 vcc_lo, s3, v14
	v_cmp_eq_f32_e64 s1, s6, v13
	s_and_not1_b32 s9, s9, exec_lo
	s_and_b32 s1, vcc_lo, s1
	s_delay_alu instid0(SALU_CYCLE_1) | instskip(NEXT) | instid1(SALU_CYCLE_1)
	s_and_b32 s1, s1, exec_lo
	s_or_b32 s9, s9, s1
.LBB170_132:
	s_delay_alu instid0(SALU_CYCLE_1)
	v_cndmask_b32_e64 v14, 0, 1, s9
.LBB170_133:
	s_or_b32 exec_lo, exec_lo, s7
	v_or_b32_e32 v13, 0xa00, v0
	s_delay_alu instid0(VALU_DEP_1)
	v_cmp_gt_i32_e32 vcc_lo, s8, v13
                                        ; implicit-def: $vgpr13
	s_and_saveexec_b32 s7, vcc_lo
	s_cbranch_execz .LBB170_138
; %bb.134:
	v_cmp_ne_u32_e32 vcc_lo, 1, v5
	v_lshlrev_b32_e32 v13, 16, v12
	v_and_b32_e32 v12, 0xffff0000, v12
	s_cbranch_vccnz .LBB170_222
; %bb.135:
	s_delay_alu instid0(VALU_DEP_2) | instskip(NEXT) | instid1(VALU_DEP_2)
	v_cmp_neq_f32_e32 vcc_lo, s3, v13
	v_cmp_neq_f32_e64 s1, s6, v12
	s_or_b32 s9, vcc_lo, s1
	s_cbranch_execnz .LBB170_137
.LBB170_136:
	s_delay_alu instid0(VALU_DEP_2) | instskip(NEXT) | instid1(VALU_DEP_2)
	v_cmp_eq_f32_e32 vcc_lo, s3, v13
	v_cmp_eq_f32_e64 s1, s6, v12
	s_and_not1_b32 s9, s9, exec_lo
	s_and_b32 s1, vcc_lo, s1
	s_delay_alu instid0(SALU_CYCLE_1) | instskip(NEXT) | instid1(SALU_CYCLE_1)
	s_and_b32 s1, s1, exec_lo
	s_or_b32 s9, s9, s1
.LBB170_137:
	s_delay_alu instid0(SALU_CYCLE_1)
	v_cndmask_b32_e64 v13, 0, 1, s9
.LBB170_138:
	s_or_b32 exec_lo, exec_lo, s7
	v_or_b32_e32 v12, 0xb00, v0
	s_delay_alu instid0(VALU_DEP_1)
	v_cmp_gt_i32_e32 vcc_lo, s8, v12
                                        ; implicit-def: $vgpr12
	s_and_saveexec_b32 s7, vcc_lo
	s_cbranch_execz .LBB170_143
; %bb.139:
	v_cmp_ne_u32_e32 vcc_lo, 1, v5
	v_lshlrev_b32_e32 v12, 16, v11
	v_and_b32_e32 v11, 0xffff0000, v11
	s_cbranch_vccnz .LBB170_223
; %bb.140:
	s_delay_alu instid0(VALU_DEP_2) | instskip(NEXT) | instid1(VALU_DEP_2)
	v_cmp_neq_f32_e32 vcc_lo, s3, v12
	v_cmp_neq_f32_e64 s1, s6, v11
	s_or_b32 s9, vcc_lo, s1
	s_cbranch_execnz .LBB170_142
.LBB170_141:
	s_delay_alu instid0(VALU_DEP_2) | instskip(NEXT) | instid1(VALU_DEP_2)
	v_cmp_eq_f32_e32 vcc_lo, s3, v12
	v_cmp_eq_f32_e64 s1, s6, v11
	s_and_not1_b32 s9, s9, exec_lo
	s_and_b32 s1, vcc_lo, s1
	s_delay_alu instid0(SALU_CYCLE_1) | instskip(NEXT) | instid1(SALU_CYCLE_1)
	s_and_b32 s1, s1, exec_lo
	s_or_b32 s9, s9, s1
.LBB170_142:
	s_delay_alu instid0(SALU_CYCLE_1)
	v_cndmask_b32_e64 v12, 0, 1, s9
.LBB170_143:
	s_or_b32 exec_lo, exec_lo, s7
	v_or_b32_e32 v11, 0xc00, v0
	s_delay_alu instid0(VALU_DEP_1)
	v_cmp_gt_i32_e32 vcc_lo, s8, v11
                                        ; implicit-def: $vgpr11
	s_and_saveexec_b32 s7, vcc_lo
	s_cbranch_execz .LBB170_148
; %bb.144:
	v_cmp_ne_u32_e32 vcc_lo, 1, v5
	v_lshlrev_b32_e32 v11, 16, v10
	v_and_b32_e32 v10, 0xffff0000, v10
	s_cbranch_vccnz .LBB170_224
; %bb.145:
	s_delay_alu instid0(VALU_DEP_2) | instskip(NEXT) | instid1(VALU_DEP_2)
	v_cmp_neq_f32_e32 vcc_lo, s3, v11
	v_cmp_neq_f32_e64 s1, s6, v10
	s_or_b32 s9, vcc_lo, s1
	s_cbranch_execnz .LBB170_147
.LBB170_146:
	s_delay_alu instid0(VALU_DEP_2) | instskip(NEXT) | instid1(VALU_DEP_2)
	v_cmp_eq_f32_e32 vcc_lo, s3, v11
	v_cmp_eq_f32_e64 s1, s6, v10
	s_and_not1_b32 s9, s9, exec_lo
	s_and_b32 s1, vcc_lo, s1
	s_delay_alu instid0(SALU_CYCLE_1) | instskip(NEXT) | instid1(SALU_CYCLE_1)
	s_and_b32 s1, s1, exec_lo
	s_or_b32 s9, s9, s1
.LBB170_147:
	s_delay_alu instid0(SALU_CYCLE_1)
	v_cndmask_b32_e64 v11, 0, 1, s9
.LBB170_148:
	s_or_b32 exec_lo, exec_lo, s7
	v_or_b32_e32 v10, 0xd00, v0
	s_delay_alu instid0(VALU_DEP_1)
	v_cmp_gt_i32_e32 vcc_lo, s8, v10
                                        ; implicit-def: $vgpr10
	s_and_saveexec_b32 s7, vcc_lo
	s_cbranch_execz .LBB170_153
; %bb.149:
	v_cmp_ne_u32_e32 vcc_lo, 1, v5
	v_lshlrev_b32_e32 v10, 16, v9
	v_and_b32_e32 v9, 0xffff0000, v9
	s_cbranch_vccnz .LBB170_225
; %bb.150:
	s_delay_alu instid0(VALU_DEP_2) | instskip(NEXT) | instid1(VALU_DEP_2)
	v_cmp_neq_f32_e32 vcc_lo, s3, v10
	v_cmp_neq_f32_e64 s1, s6, v9
	s_or_b32 s9, vcc_lo, s1
	s_cbranch_execnz .LBB170_152
.LBB170_151:
	s_delay_alu instid0(VALU_DEP_2) | instskip(NEXT) | instid1(VALU_DEP_2)
	v_cmp_eq_f32_e32 vcc_lo, s3, v10
	v_cmp_eq_f32_e64 s1, s6, v9
	s_and_not1_b32 s9, s9, exec_lo
	s_and_b32 s1, vcc_lo, s1
	s_delay_alu instid0(SALU_CYCLE_1) | instskip(NEXT) | instid1(SALU_CYCLE_1)
	s_and_b32 s1, s1, exec_lo
	s_or_b32 s9, s9, s1
.LBB170_152:
	s_delay_alu instid0(SALU_CYCLE_1)
	v_cndmask_b32_e64 v10, 0, 1, s9
.LBB170_153:
	s_or_b32 exec_lo, exec_lo, s7
	v_or_b32_e32 v9, 0xe00, v0
	s_delay_alu instid0(VALU_DEP_1)
	v_cmp_gt_i32_e32 vcc_lo, s8, v9
                                        ; implicit-def: $vgpr9
	s_and_saveexec_b32 s7, vcc_lo
	s_cbranch_execz .LBB170_158
; %bb.154:
	v_cmp_ne_u32_e32 vcc_lo, 1, v5
	v_lshlrev_b32_e32 v9, 16, v8
	v_and_b32_e32 v8, 0xffff0000, v8
	s_cbranch_vccnz .LBB170_226
; %bb.155:
	s_delay_alu instid0(VALU_DEP_2) | instskip(NEXT) | instid1(VALU_DEP_2)
	v_cmp_neq_f32_e32 vcc_lo, s3, v9
	v_cmp_neq_f32_e64 s1, s6, v8
	s_or_b32 s9, vcc_lo, s1
	s_cbranch_execnz .LBB170_157
.LBB170_156:
	s_delay_alu instid0(VALU_DEP_2) | instskip(NEXT) | instid1(VALU_DEP_2)
	v_cmp_eq_f32_e32 vcc_lo, s3, v9
	v_cmp_eq_f32_e64 s1, s6, v8
	s_and_not1_b32 s9, s9, exec_lo
	s_and_b32 s1, vcc_lo, s1
	s_delay_alu instid0(SALU_CYCLE_1) | instskip(NEXT) | instid1(SALU_CYCLE_1)
	s_and_b32 s1, s1, exec_lo
	s_or_b32 s9, s9, s1
.LBB170_157:
	s_delay_alu instid0(SALU_CYCLE_1)
	v_cndmask_b32_e64 v9, 0, 1, s9
.LBB170_158:
	s_or_b32 exec_lo, exec_lo, s7
	v_or_b32_e32 v8, 0xf00, v0
	s_delay_alu instid0(VALU_DEP_1)
	v_cmp_gt_i32_e32 vcc_lo, s8, v8
                                        ; implicit-def: $vgpr8
	s_and_saveexec_b32 s7, vcc_lo
	s_cbranch_execz .LBB170_163
; %bb.159:
	v_cmp_ne_u32_e32 vcc_lo, 1, v5
	v_lshlrev_b32_e32 v5, 16, v7
	v_and_b32_e32 v7, 0xffff0000, v7
	s_cbranch_vccnz .LBB170_227
; %bb.160:
	s_delay_alu instid0(VALU_DEP_2) | instskip(NEXT) | instid1(VALU_DEP_2)
	v_cmp_neq_f32_e32 vcc_lo, s3, v5
	v_cmp_neq_f32_e64 s1, s6, v7
	s_or_b32 s9, vcc_lo, s1
	s_cbranch_execnz .LBB170_162
.LBB170_161:
	s_delay_alu instid0(VALU_DEP_2) | instskip(NEXT) | instid1(VALU_DEP_2)
	v_cmp_eq_f32_e32 vcc_lo, s3, v5
	v_cmp_eq_f32_e64 s1, s6, v7
	s_and_not1_b32 s3, s9, exec_lo
	s_and_b32 s1, vcc_lo, s1
	s_delay_alu instid0(SALU_CYCLE_1) | instskip(NEXT) | instid1(SALU_CYCLE_1)
	s_and_b32 s1, s1, exec_lo
	s_or_b32 s9, s3, s1
.LBB170_162:
	s_delay_alu instid0(SALU_CYCLE_1)
	v_cndmask_b32_e64 v8, 0, 1, s9
.LBB170_163:
	s_or_b32 exec_lo, exec_lo, s7
	s_and_saveexec_b32 s1, s0
	s_delay_alu instid0(SALU_CYCLE_1)
	s_xor_b32 s0, exec_lo, s1
	s_cbranch_execz .LBB170_165
; %bb.164:
	v_mov_b32_e32 v0, v6
	global_store_b8 v1, v2, s[4:5]
.LBB170_165:
	s_wait_xcnt 0x0
	s_or_b32 exec_lo, exec_lo, s0
	s_delay_alu instid0(SALU_CYCLE_1)
	s_mov_b32 s0, exec_lo
	v_cmpx_gt_i32_e64 s8, v0
	s_cbranch_execnz .LBB170_181
; %bb.166:
	s_or_b32 exec_lo, exec_lo, s0
	s_delay_alu instid0(SALU_CYCLE_1)
	s_mov_b32 s0, exec_lo
	v_cmpx_gt_i32_e64 s8, v0
	s_cbranch_execnz .LBB170_182
.LBB170_167:
	s_or_b32 exec_lo, exec_lo, s0
	s_delay_alu instid0(SALU_CYCLE_1)
	s_mov_b32 s0, exec_lo
	v_cmpx_gt_i32_e64 s8, v0
	s_cbranch_execnz .LBB170_183
.LBB170_168:
	s_or_b32 exec_lo, exec_lo, s0
	s_delay_alu instid0(SALU_CYCLE_1)
	s_mov_b32 s0, exec_lo
	v_cmpx_gt_i32_e64 s8, v0
	s_cbranch_execnz .LBB170_184
.LBB170_169:
	s_or_b32 exec_lo, exec_lo, s0
	s_delay_alu instid0(SALU_CYCLE_1)
	s_mov_b32 s0, exec_lo
	v_cmpx_gt_i32_e64 s8, v0
	s_cbranch_execnz .LBB170_185
.LBB170_170:
	s_or_b32 exec_lo, exec_lo, s0
	s_delay_alu instid0(SALU_CYCLE_1)
	s_mov_b32 s0, exec_lo
	v_cmpx_gt_i32_e64 s8, v0
	s_cbranch_execnz .LBB170_186
.LBB170_171:
	s_or_b32 exec_lo, exec_lo, s0
	s_delay_alu instid0(SALU_CYCLE_1)
	s_mov_b32 s0, exec_lo
	v_cmpx_gt_i32_e64 s8, v0
	s_cbranch_execnz .LBB170_187
.LBB170_172:
	s_or_b32 exec_lo, exec_lo, s0
	s_delay_alu instid0(SALU_CYCLE_1)
	s_mov_b32 s0, exec_lo
	v_cmpx_gt_i32_e64 s8, v0
	s_cbranch_execnz .LBB170_188
.LBB170_173:
	s_or_b32 exec_lo, exec_lo, s0
	s_delay_alu instid0(SALU_CYCLE_1)
	s_mov_b32 s0, exec_lo
	v_cmpx_gt_i32_e64 s8, v0
	s_cbranch_execnz .LBB170_189
.LBB170_174:
	s_or_b32 exec_lo, exec_lo, s0
	s_delay_alu instid0(SALU_CYCLE_1)
	s_mov_b32 s0, exec_lo
	v_cmpx_gt_i32_e64 s8, v0
	s_cbranch_execnz .LBB170_190
.LBB170_175:
	s_or_b32 exec_lo, exec_lo, s0
	s_delay_alu instid0(SALU_CYCLE_1)
	s_mov_b32 s0, exec_lo
	v_cmpx_gt_i32_e64 s8, v0
	s_cbranch_execnz .LBB170_191
.LBB170_176:
	s_or_b32 exec_lo, exec_lo, s0
	s_delay_alu instid0(SALU_CYCLE_1)
	s_mov_b32 s0, exec_lo
	v_cmpx_gt_i32_e64 s8, v0
	s_cbranch_execnz .LBB170_192
.LBB170_177:
	s_or_b32 exec_lo, exec_lo, s0
	s_delay_alu instid0(SALU_CYCLE_1)
	s_mov_b32 s0, exec_lo
	v_cmpx_gt_i32_e64 s8, v0
	s_cbranch_execnz .LBB170_193
.LBB170_178:
	s_or_b32 exec_lo, exec_lo, s0
	s_delay_alu instid0(SALU_CYCLE_1)
	s_mov_b32 s0, exec_lo
	v_cmpx_gt_i32_e64 s8, v0
	s_cbranch_execnz .LBB170_194
.LBB170_179:
	s_or_b32 exec_lo, exec_lo, s0
	s_delay_alu instid0(SALU_CYCLE_1)
	s_mov_b32 s0, exec_lo
	v_cmpx_gt_i32_e64 s8, v0
	s_cbranch_execz .LBB170_195
.LBB170_180:
	v_add_nc_u32_e32 v0, s2, v0
	global_store_b8 v0, v8, s[4:5]
	s_endpgm
.LBB170_181:
	v_add_nc_u32_e32 v1, s2, v0
	v_add_nc_u32_e32 v0, 0x100, v0
	global_store_b8 v1, v4, s[4:5]
	s_wait_xcnt 0x0
	s_or_b32 exec_lo, exec_lo, s0
	s_delay_alu instid0(SALU_CYCLE_1)
	s_mov_b32 s0, exec_lo
	v_cmpx_gt_i32_e64 s8, v0
	s_cbranch_execz .LBB170_167
.LBB170_182:
	v_add_nc_u32_e32 v1, s2, v0
	v_add_nc_u32_e32 v0, 0x100, v0
	global_store_b8 v1, v19, s[4:5]
	s_wait_xcnt 0x0
	s_or_b32 exec_lo, exec_lo, s0
	s_delay_alu instid0(SALU_CYCLE_1)
	s_mov_b32 s0, exec_lo
	v_cmpx_gt_i32_e64 s8, v0
	s_cbranch_execz .LBB170_168
.LBB170_183:
	v_add_nc_u32_e32 v1, s2, v0
	v_add_nc_u32_e32 v0, 0x100, v0
	global_store_b8 v1, v3, s[4:5]
	s_wait_xcnt 0x0
	s_or_b32 exec_lo, exec_lo, s0
	s_delay_alu instid0(SALU_CYCLE_1)
	s_mov_b32 s0, exec_lo
	v_cmpx_gt_i32_e64 s8, v0
	s_cbranch_execz .LBB170_169
.LBB170_184:
	v_add_nc_u32_e32 v1, s2, v0
	v_add_nc_u32_e32 v0, 0x100, v0
	global_store_b8 v1, v20, s[4:5]
	s_wait_xcnt 0x0
	s_or_b32 exec_lo, exec_lo, s0
	s_delay_alu instid0(SALU_CYCLE_1)
	s_mov_b32 s0, exec_lo
	v_cmpx_gt_i32_e64 s8, v0
	s_cbranch_execz .LBB170_170
.LBB170_185:
	v_add_nc_u32_e32 v1, s2, v0
	v_add_nc_u32_e32 v0, 0x100, v0
	global_store_b8 v1, v18, s[4:5]
	s_wait_xcnt 0x0
	s_or_b32 exec_lo, exec_lo, s0
	s_delay_alu instid0(SALU_CYCLE_1)
	s_mov_b32 s0, exec_lo
	v_cmpx_gt_i32_e64 s8, v0
	s_cbranch_execz .LBB170_171
.LBB170_186:
	v_add_nc_u32_e32 v1, s2, v0
	v_add_nc_u32_e32 v0, 0x100, v0
	global_store_b8 v1, v17, s[4:5]
	s_wait_xcnt 0x0
	s_or_b32 exec_lo, exec_lo, s0
	s_delay_alu instid0(SALU_CYCLE_1)
	s_mov_b32 s0, exec_lo
	v_cmpx_gt_i32_e64 s8, v0
	s_cbranch_execz .LBB170_172
.LBB170_187:
	v_add_nc_u32_e32 v1, s2, v0
	v_add_nc_u32_e32 v0, 0x100, v0
	global_store_b8 v1, v16, s[4:5]
	s_wait_xcnt 0x0
	s_or_b32 exec_lo, exec_lo, s0
	s_delay_alu instid0(SALU_CYCLE_1)
	s_mov_b32 s0, exec_lo
	v_cmpx_gt_i32_e64 s8, v0
	s_cbranch_execz .LBB170_173
.LBB170_188:
	v_add_nc_u32_e32 v1, s2, v0
	v_add_nc_u32_e32 v0, 0x100, v0
	global_store_b8 v1, v15, s[4:5]
	s_wait_xcnt 0x0
	s_or_b32 exec_lo, exec_lo, s0
	s_delay_alu instid0(SALU_CYCLE_1)
	s_mov_b32 s0, exec_lo
	v_cmpx_gt_i32_e64 s8, v0
	s_cbranch_execz .LBB170_174
.LBB170_189:
	v_add_nc_u32_e32 v1, s2, v0
	v_add_nc_u32_e32 v0, 0x100, v0
	global_store_b8 v1, v14, s[4:5]
	s_wait_xcnt 0x0
	s_or_b32 exec_lo, exec_lo, s0
	s_delay_alu instid0(SALU_CYCLE_1)
	s_mov_b32 s0, exec_lo
	v_cmpx_gt_i32_e64 s8, v0
	s_cbranch_execz .LBB170_175
.LBB170_190:
	v_add_nc_u32_e32 v1, s2, v0
	v_add_nc_u32_e32 v0, 0x100, v0
	global_store_b8 v1, v13, s[4:5]
	s_wait_xcnt 0x0
	s_or_b32 exec_lo, exec_lo, s0
	s_delay_alu instid0(SALU_CYCLE_1)
	s_mov_b32 s0, exec_lo
	v_cmpx_gt_i32_e64 s8, v0
	s_cbranch_execz .LBB170_176
.LBB170_191:
	v_add_nc_u32_e32 v1, s2, v0
	v_add_nc_u32_e32 v0, 0x100, v0
	global_store_b8 v1, v12, s[4:5]
	s_wait_xcnt 0x0
	s_or_b32 exec_lo, exec_lo, s0
	s_delay_alu instid0(SALU_CYCLE_1)
	s_mov_b32 s0, exec_lo
	v_cmpx_gt_i32_e64 s8, v0
	s_cbranch_execz .LBB170_177
.LBB170_192:
	v_add_nc_u32_e32 v1, s2, v0
	v_add_nc_u32_e32 v0, 0x100, v0
	global_store_b8 v1, v11, s[4:5]
	s_wait_xcnt 0x0
	s_or_b32 exec_lo, exec_lo, s0
	s_delay_alu instid0(SALU_CYCLE_1)
	s_mov_b32 s0, exec_lo
	v_cmpx_gt_i32_e64 s8, v0
	s_cbranch_execz .LBB170_178
.LBB170_193:
	v_add_nc_u32_e32 v1, s2, v0
	v_add_nc_u32_e32 v0, 0x100, v0
	global_store_b8 v1, v10, s[4:5]
	s_wait_xcnt 0x0
	s_or_b32 exec_lo, exec_lo, s0
	s_delay_alu instid0(SALU_CYCLE_1)
	s_mov_b32 s0, exec_lo
	v_cmpx_gt_i32_e64 s8, v0
	s_cbranch_execz .LBB170_179
.LBB170_194:
	v_add_nc_u32_e32 v1, s2, v0
	v_add_nc_u32_e32 v0, 0x100, v0
	global_store_b8 v1, v9, s[4:5]
	s_wait_xcnt 0x0
	s_or_b32 exec_lo, exec_lo, s0
	s_delay_alu instid0(SALU_CYCLE_1)
	s_mov_b32 s0, exec_lo
	v_cmpx_gt_i32_e64 s8, v0
	s_cbranch_execnz .LBB170_180
.LBB170_195:
	s_endpgm
.LBB170_196:
	s_wait_xcnt 0x0
                                        ; implicit-def: $sgpr1
	s_branch .LBB170_3
.LBB170_197:
                                        ; implicit-def: $sgpr13
	s_branch .LBB170_6
.LBB170_198:
                                        ; implicit-def: $sgpr14
	s_branch .LBB170_9
.LBB170_199:
                                        ; implicit-def: $sgpr15
	s_branch .LBB170_12
.LBB170_200:
                                        ; implicit-def: $sgpr16
	s_branch .LBB170_15
.LBB170_201:
                                        ; implicit-def: $sgpr17
	s_branch .LBB170_18
.LBB170_202:
                                        ; implicit-def: $sgpr18
	s_branch .LBB170_21
.LBB170_203:
                                        ; implicit-def: $sgpr19
	s_branch .LBB170_24
.LBB170_204:
                                        ; implicit-def: $sgpr20
	s_branch .LBB170_27
.LBB170_205:
                                        ; implicit-def: $sgpr21
	s_branch .LBB170_30
.LBB170_206:
                                        ; implicit-def: $sgpr22
	s_branch .LBB170_33
.LBB170_207:
                                        ; implicit-def: $sgpr23
	s_branch .LBB170_36
.LBB170_208:
                                        ; implicit-def: $sgpr24
	s_branch .LBB170_39
.LBB170_209:
                                        ; implicit-def: $sgpr25
	s_branch .LBB170_42
.LBB170_210:
                                        ; implicit-def: $sgpr26
	s_branch .LBB170_45
.LBB170_211:
                                        ; implicit-def: $sgpr27
	s_branch .LBB170_48
.LBB170_212:
                                        ; implicit-def: $sgpr10
	s_branch .LBB170_86
.LBB170_213:
                                        ; implicit-def: $sgpr7
	s_branch .LBB170_91
.LBB170_214:
                                        ; implicit-def: $sgpr9
	s_branch .LBB170_96
.LBB170_215:
                                        ; implicit-def: $sgpr9
	s_branch .LBB170_101
.LBB170_216:
                                        ; implicit-def: $sgpr9
	s_branch .LBB170_106
.LBB170_217:
                                        ; implicit-def: $sgpr9
	s_branch .LBB170_111
.LBB170_218:
                                        ; implicit-def: $sgpr9
	s_branch .LBB170_116
.LBB170_219:
                                        ; implicit-def: $sgpr9
	s_branch .LBB170_121
.LBB170_220:
                                        ; implicit-def: $sgpr9
	s_branch .LBB170_126
.LBB170_221:
                                        ; implicit-def: $sgpr9
	s_branch .LBB170_131
.LBB170_222:
                                        ; implicit-def: $sgpr9
	s_branch .LBB170_136
.LBB170_223:
                                        ; implicit-def: $sgpr9
	s_branch .LBB170_141
.LBB170_224:
                                        ; implicit-def: $sgpr9
	s_branch .LBB170_146
.LBB170_225:
                                        ; implicit-def: $sgpr9
	s_branch .LBB170_151
.LBB170_226:
                                        ; implicit-def: $sgpr9
	s_branch .LBB170_156
.LBB170_227:
                                        ; implicit-def: $sgpr9
	s_branch .LBB170_161
	.section	.rodata,"a",@progbits
	.p2align	6, 0x0
	.amdhsa_kernel _ZN2at6native29vectorized_elementwise_kernelILi4ENS0_13AUnaryFunctorIN3c107complexINS3_8BFloat16EEES6_bNS0_12_GLOBAL__N_116CompareEqFunctorIS6_EEEESt5arrayIPcLm2EEEEviT0_T1_
		.amdhsa_group_segment_fixed_size 0
		.amdhsa_private_segment_fixed_size 0
		.amdhsa_kernarg_size 32
		.amdhsa_user_sgpr_count 2
		.amdhsa_user_sgpr_dispatch_ptr 0
		.amdhsa_user_sgpr_queue_ptr 0
		.amdhsa_user_sgpr_kernarg_segment_ptr 1
		.amdhsa_user_sgpr_dispatch_id 0
		.amdhsa_user_sgpr_kernarg_preload_length 0
		.amdhsa_user_sgpr_kernarg_preload_offset 0
		.amdhsa_user_sgpr_private_segment_size 0
		.amdhsa_wavefront_size32 1
		.amdhsa_uses_dynamic_stack 0
		.amdhsa_enable_private_segment 0
		.amdhsa_system_sgpr_workgroup_id_x 1
		.amdhsa_system_sgpr_workgroup_id_y 0
		.amdhsa_system_sgpr_workgroup_id_z 0
		.amdhsa_system_sgpr_workgroup_info 0
		.amdhsa_system_vgpr_workitem_id 0
		.amdhsa_next_free_vgpr 22
		.amdhsa_next_free_sgpr 28
		.amdhsa_named_barrier_count 0
		.amdhsa_reserve_vcc 1
		.amdhsa_float_round_mode_32 0
		.amdhsa_float_round_mode_16_64 0
		.amdhsa_float_denorm_mode_32 3
		.amdhsa_float_denorm_mode_16_64 3
		.amdhsa_fp16_overflow 0
		.amdhsa_memory_ordered 1
		.amdhsa_forward_progress 1
		.amdhsa_inst_pref_size 50
		.amdhsa_round_robin_scheduling 0
		.amdhsa_exception_fp_ieee_invalid_op 0
		.amdhsa_exception_fp_denorm_src 0
		.amdhsa_exception_fp_ieee_div_zero 0
		.amdhsa_exception_fp_ieee_overflow 0
		.amdhsa_exception_fp_ieee_underflow 0
		.amdhsa_exception_fp_ieee_inexact 0
		.amdhsa_exception_int_div_zero 0
	.end_amdhsa_kernel
	.section	.text._ZN2at6native29vectorized_elementwise_kernelILi4ENS0_13AUnaryFunctorIN3c107complexINS3_8BFloat16EEES6_bNS0_12_GLOBAL__N_116CompareEqFunctorIS6_EEEESt5arrayIPcLm2EEEEviT0_T1_,"axG",@progbits,_ZN2at6native29vectorized_elementwise_kernelILi4ENS0_13AUnaryFunctorIN3c107complexINS3_8BFloat16EEES6_bNS0_12_GLOBAL__N_116CompareEqFunctorIS6_EEEESt5arrayIPcLm2EEEEviT0_T1_,comdat
.Lfunc_end170:
	.size	_ZN2at6native29vectorized_elementwise_kernelILi4ENS0_13AUnaryFunctorIN3c107complexINS3_8BFloat16EEES6_bNS0_12_GLOBAL__N_116CompareEqFunctorIS6_EEEESt5arrayIPcLm2EEEEviT0_T1_, .Lfunc_end170-_ZN2at6native29vectorized_elementwise_kernelILi4ENS0_13AUnaryFunctorIN3c107complexINS3_8BFloat16EEES6_bNS0_12_GLOBAL__N_116CompareEqFunctorIS6_EEEESt5arrayIPcLm2EEEEviT0_T1_
                                        ; -- End function
	.set _ZN2at6native29vectorized_elementwise_kernelILi4ENS0_13AUnaryFunctorIN3c107complexINS3_8BFloat16EEES6_bNS0_12_GLOBAL__N_116CompareEqFunctorIS6_EEEESt5arrayIPcLm2EEEEviT0_T1_.num_vgpr, 22
	.set _ZN2at6native29vectorized_elementwise_kernelILi4ENS0_13AUnaryFunctorIN3c107complexINS3_8BFloat16EEES6_bNS0_12_GLOBAL__N_116CompareEqFunctorIS6_EEEESt5arrayIPcLm2EEEEviT0_T1_.num_agpr, 0
	.set _ZN2at6native29vectorized_elementwise_kernelILi4ENS0_13AUnaryFunctorIN3c107complexINS3_8BFloat16EEES6_bNS0_12_GLOBAL__N_116CompareEqFunctorIS6_EEEESt5arrayIPcLm2EEEEviT0_T1_.numbered_sgpr, 28
	.set _ZN2at6native29vectorized_elementwise_kernelILi4ENS0_13AUnaryFunctorIN3c107complexINS3_8BFloat16EEES6_bNS0_12_GLOBAL__N_116CompareEqFunctorIS6_EEEESt5arrayIPcLm2EEEEviT0_T1_.num_named_barrier, 0
	.set _ZN2at6native29vectorized_elementwise_kernelILi4ENS0_13AUnaryFunctorIN3c107complexINS3_8BFloat16EEES6_bNS0_12_GLOBAL__N_116CompareEqFunctorIS6_EEEESt5arrayIPcLm2EEEEviT0_T1_.private_seg_size, 0
	.set _ZN2at6native29vectorized_elementwise_kernelILi4ENS0_13AUnaryFunctorIN3c107complexINS3_8BFloat16EEES6_bNS0_12_GLOBAL__N_116CompareEqFunctorIS6_EEEESt5arrayIPcLm2EEEEviT0_T1_.uses_vcc, 1
	.set _ZN2at6native29vectorized_elementwise_kernelILi4ENS0_13AUnaryFunctorIN3c107complexINS3_8BFloat16EEES6_bNS0_12_GLOBAL__N_116CompareEqFunctorIS6_EEEESt5arrayIPcLm2EEEEviT0_T1_.uses_flat_scratch, 0
	.set _ZN2at6native29vectorized_elementwise_kernelILi4ENS0_13AUnaryFunctorIN3c107complexINS3_8BFloat16EEES6_bNS0_12_GLOBAL__N_116CompareEqFunctorIS6_EEEESt5arrayIPcLm2EEEEviT0_T1_.has_dyn_sized_stack, 0
	.set _ZN2at6native29vectorized_elementwise_kernelILi4ENS0_13AUnaryFunctorIN3c107complexINS3_8BFloat16EEES6_bNS0_12_GLOBAL__N_116CompareEqFunctorIS6_EEEESt5arrayIPcLm2EEEEviT0_T1_.has_recursion, 0
	.set _ZN2at6native29vectorized_elementwise_kernelILi4ENS0_13AUnaryFunctorIN3c107complexINS3_8BFloat16EEES6_bNS0_12_GLOBAL__N_116CompareEqFunctorIS6_EEEESt5arrayIPcLm2EEEEviT0_T1_.has_indirect_call, 0
	.section	.AMDGPU.csdata,"",@progbits
; Kernel info:
; codeLenInByte = 6328
; TotalNumSgprs: 30
; NumVgprs: 22
; ScratchSize: 0
; MemoryBound: 0
; FloatMode: 240
; IeeeMode: 1
; LDSByteSize: 0 bytes/workgroup (compile time only)
; SGPRBlocks: 0
; VGPRBlocks: 1
; NumSGPRsForWavesPerEU: 30
; NumVGPRsForWavesPerEU: 22
; NamedBarCnt: 0
; Occupancy: 16
; WaveLimiterHint : 1
; COMPUTE_PGM_RSRC2:SCRATCH_EN: 0
; COMPUTE_PGM_RSRC2:USER_SGPR: 2
; COMPUTE_PGM_RSRC2:TRAP_HANDLER: 0
; COMPUTE_PGM_RSRC2:TGID_X_EN: 1
; COMPUTE_PGM_RSRC2:TGID_Y_EN: 0
; COMPUTE_PGM_RSRC2:TGID_Z_EN: 0
; COMPUTE_PGM_RSRC2:TIDIG_COMP_CNT: 0
	.section	.text._ZN2at6native29vectorized_elementwise_kernelILi2ENS0_13AUnaryFunctorIN3c107complexINS3_8BFloat16EEES6_bNS0_12_GLOBAL__N_116CompareEqFunctorIS6_EEEESt5arrayIPcLm2EEEEviT0_T1_,"axG",@progbits,_ZN2at6native29vectorized_elementwise_kernelILi2ENS0_13AUnaryFunctorIN3c107complexINS3_8BFloat16EEES6_bNS0_12_GLOBAL__N_116CompareEqFunctorIS6_EEEESt5arrayIPcLm2EEEEviT0_T1_,comdat
	.globl	_ZN2at6native29vectorized_elementwise_kernelILi2ENS0_13AUnaryFunctorIN3c107complexINS3_8BFloat16EEES6_bNS0_12_GLOBAL__N_116CompareEqFunctorIS6_EEEESt5arrayIPcLm2EEEEviT0_T1_ ; -- Begin function _ZN2at6native29vectorized_elementwise_kernelILi2ENS0_13AUnaryFunctorIN3c107complexINS3_8BFloat16EEES6_bNS0_12_GLOBAL__N_116CompareEqFunctorIS6_EEEESt5arrayIPcLm2EEEEviT0_T1_
	.p2align	8
	.type	_ZN2at6native29vectorized_elementwise_kernelILi2ENS0_13AUnaryFunctorIN3c107complexINS3_8BFloat16EEES6_bNS0_12_GLOBAL__N_116CompareEqFunctorIS6_EEEESt5arrayIPcLm2EEEEviT0_T1_,@function
_ZN2at6native29vectorized_elementwise_kernelILi2ENS0_13AUnaryFunctorIN3c107complexINS3_8BFloat16EEES6_bNS0_12_GLOBAL__N_116CompareEqFunctorIS6_EEEESt5arrayIPcLm2EEEEviT0_T1_: ; @_ZN2at6native29vectorized_elementwise_kernelILi2ENS0_13AUnaryFunctorIN3c107complexINS3_8BFloat16EEES6_bNS0_12_GLOBAL__N_116CompareEqFunctorIS6_EEEESt5arrayIPcLm2EEEEviT0_T1_
; %bb.0:
	s_clause 0x1
	s_load_b96 s[8:10], s[0:1], 0x0
	s_load_b128 s[4:7], s[0:1], 0x10
	s_wait_xcnt 0x0
	s_bfe_u32 s0, ttmp6, 0x4000c
	s_and_b32 s1, ttmp6, 15
	s_add_co_i32 s0, s0, 1
	s_getreg_b32 s2, hwreg(HW_REG_IB_STS2, 6, 4)
	s_mul_i32 s0, ttmp9, s0
	s_delay_alu instid0(SALU_CYCLE_1) | instskip(SKIP_2) | instid1(SALU_CYCLE_1)
	s_add_co_i32 s1, s1, s0
	s_cmp_eq_u32 s2, 0
	s_cselect_b32 s0, ttmp9, s1
	s_lshl_b32 s2, s0, 12
	s_mov_b32 s0, -1
	s_wait_kmcnt 0x0
	s_sub_co_i32 s8, s8, s2
	s_delay_alu instid0(SALU_CYCLE_1)
	s_cmp_gt_i32 s8, 0xfff
	s_cbranch_scc0 .LBB171_50
; %bb.1:
	s_ashr_i32 s3, s2, 31
	s_delay_alu instid0(SALU_CYCLE_1)
	s_lshl_b64 s[0:1], s[2:3], 2
	s_cmp_lg_u32 s9, 0
	s_add_nc_u64 s[0:1], s[6:7], s[0:1]
	s_cselect_b32 s13, -1, 0
	s_clause 0x7
	global_load_b64 v[16:17], v0, s[0:1] scale_offset
	global_load_b64 v[14:15], v0, s[0:1] offset:2048 scale_offset
	global_load_b64 v[12:13], v0, s[0:1] offset:4096 scale_offset
	;; [unrolled: 1-line block ×7, first 2 shown]
	s_lshl_b32 s11, s10, 16
	s_and_b32 vcc_lo, exec_lo, s13
	s_and_b32 s12, s10, 0xffff0000
	s_wait_loadcnt 0x7
	v_lshlrev_b32_e32 v1, 16, v16
	v_and_b32_e32 v16, 0xffff0000, v16
	s_cbranch_vccz .LBB171_196
; %bb.2:
	s_delay_alu instid0(VALU_DEP_2) | instskip(SKIP_1) | instid1(VALU_DEP_2)
	v_cmp_neq_f32_e32 vcc_lo, s11, v1
	s_wait_xcnt 0x0
	v_cmp_neq_f32_e64 s0, s12, v16
	s_or_b32 s1, vcc_lo, s0
	s_cbranch_execnz .LBB171_4
.LBB171_3:
	v_cmp_eq_f32_e32 vcc_lo, s11, v1
	v_cmp_eq_f32_e64 s0, s12, v16
	s_and_not1_b32 s1, s1, exec_lo
	s_and_b32 s0, vcc_lo, s0
	s_delay_alu instid0(SALU_CYCLE_1) | instskip(NEXT) | instid1(SALU_CYCLE_1)
	s_and_b32 s0, s0, exec_lo
	s_or_b32 s1, s1, s0
.LBB171_4:
	v_cndmask_b32_e64 v1, 0, 1, s13
	v_lshlrev_b32_e32 v16, 16, v17
	v_and_b32_e32 v17, 0xffff0000, v17
	s_and_not1_b32 vcc_lo, exec_lo, s13
	s_cbranch_vccnz .LBB171_197
; %bb.5:
	s_delay_alu instid0(VALU_DEP_2) | instskip(NEXT) | instid1(VALU_DEP_2)
	v_cmp_neq_f32_e32 vcc_lo, s11, v16
	v_cmp_neq_f32_e64 s0, s12, v17
	s_or_b32 s13, vcc_lo, s0
	s_cbranch_execnz .LBB171_7
.LBB171_6:
	v_cmp_eq_f32_e32 vcc_lo, s11, v16
	v_cmp_eq_f32_e64 s0, s12, v17
	s_and_not1_b32 s13, s13, exec_lo
	s_and_b32 s0, vcc_lo, s0
	s_delay_alu instid0(SALU_CYCLE_1) | instskip(NEXT) | instid1(SALU_CYCLE_1)
	s_and_b32 s0, s0, exec_lo
	s_or_b32 s13, s13, s0
.LBB171_7:
	v_cmp_ne_u32_e32 vcc_lo, 1, v1
	s_wait_loadcnt 0x6
	v_lshlrev_b32_e32 v16, 16, v14
	v_and_b32_e32 v14, 0xffff0000, v14
	s_cbranch_vccnz .LBB171_198
; %bb.8:
	s_delay_alu instid0(VALU_DEP_2) | instskip(NEXT) | instid1(VALU_DEP_2)
	v_cmp_neq_f32_e32 vcc_lo, s11, v16
	v_cmp_neq_f32_e64 s0, s12, v14
	s_or_b32 s14, vcc_lo, s0
	s_cbranch_execnz .LBB171_10
.LBB171_9:
	s_delay_alu instid0(VALU_DEP_2) | instskip(NEXT) | instid1(VALU_DEP_2)
	v_cmp_eq_f32_e32 vcc_lo, s11, v16
	v_cmp_eq_f32_e64 s0, s12, v14
	s_and_not1_b32 s14, s14, exec_lo
	s_and_b32 s0, vcc_lo, s0
	s_delay_alu instid0(SALU_CYCLE_1) | instskip(NEXT) | instid1(SALU_CYCLE_1)
	s_and_b32 s0, s0, exec_lo
	s_or_b32 s14, s14, s0
.LBB171_10:
	v_cmp_ne_u32_e32 vcc_lo, 1, v1
	v_lshlrev_b32_e32 v14, 16, v15
	v_and_b32_e32 v15, 0xffff0000, v15
	s_cbranch_vccnz .LBB171_199
; %bb.11:
	s_delay_alu instid0(VALU_DEP_2) | instskip(NEXT) | instid1(VALU_DEP_2)
	v_cmp_neq_f32_e32 vcc_lo, s11, v14
	v_cmp_neq_f32_e64 s0, s12, v15
	s_or_b32 s15, vcc_lo, s0
	s_cbranch_execnz .LBB171_13
.LBB171_12:
	s_delay_alu instid0(VALU_DEP_2) | instskip(NEXT) | instid1(VALU_DEP_2)
	v_cmp_eq_f32_e32 vcc_lo, s11, v14
	v_cmp_eq_f32_e64 s0, s12, v15
	s_and_not1_b32 s15, s15, exec_lo
	s_and_b32 s0, vcc_lo, s0
	s_delay_alu instid0(SALU_CYCLE_1) | instskip(NEXT) | instid1(SALU_CYCLE_1)
	s_and_b32 s0, s0, exec_lo
	s_or_b32 s15, s15, s0
.LBB171_13:
	v_cmp_ne_u32_e32 vcc_lo, 1, v1
	s_wait_loadcnt 0x5
	v_lshlrev_b32_e32 v14, 16, v12
	v_and_b32_e32 v12, 0xffff0000, v12
	s_cbranch_vccnz .LBB171_200
; %bb.14:
	s_delay_alu instid0(VALU_DEP_2) | instskip(NEXT) | instid1(VALU_DEP_2)
	v_cmp_neq_f32_e32 vcc_lo, s11, v14
	v_cmp_neq_f32_e64 s0, s12, v12
	s_or_b32 s16, vcc_lo, s0
	s_cbranch_execnz .LBB171_16
.LBB171_15:
	s_delay_alu instid0(VALU_DEP_2) | instskip(NEXT) | instid1(VALU_DEP_2)
	v_cmp_eq_f32_e32 vcc_lo, s11, v14
	v_cmp_eq_f32_e64 s0, s12, v12
	s_and_not1_b32 s16, s16, exec_lo
	s_and_b32 s0, vcc_lo, s0
	s_delay_alu instid0(SALU_CYCLE_1) | instskip(NEXT) | instid1(SALU_CYCLE_1)
	s_and_b32 s0, s0, exec_lo
	s_or_b32 s16, s16, s0
.LBB171_16:
	v_cmp_ne_u32_e32 vcc_lo, 1, v1
	v_lshlrev_b32_e32 v12, 16, v13
	v_and_b32_e32 v13, 0xffff0000, v13
	s_cbranch_vccnz .LBB171_201
; %bb.17:
	s_delay_alu instid0(VALU_DEP_2) | instskip(NEXT) | instid1(VALU_DEP_2)
	v_cmp_neq_f32_e32 vcc_lo, s11, v12
	v_cmp_neq_f32_e64 s0, s12, v13
	s_or_b32 s17, vcc_lo, s0
	s_cbranch_execnz .LBB171_19
.LBB171_18:
	s_delay_alu instid0(VALU_DEP_2) | instskip(NEXT) | instid1(VALU_DEP_2)
	v_cmp_eq_f32_e32 vcc_lo, s11, v12
	v_cmp_eq_f32_e64 s0, s12, v13
	s_and_not1_b32 s17, s17, exec_lo
	s_and_b32 s0, vcc_lo, s0
	s_delay_alu instid0(SALU_CYCLE_1) | instskip(NEXT) | instid1(SALU_CYCLE_1)
	s_and_b32 s0, s0, exec_lo
	s_or_b32 s17, s17, s0
.LBB171_19:
	v_cmp_ne_u32_e32 vcc_lo, 1, v1
	s_wait_loadcnt 0x4
	v_lshlrev_b32_e32 v12, 16, v10
	v_and_b32_e32 v10, 0xffff0000, v10
	s_cbranch_vccnz .LBB171_202
; %bb.20:
	s_delay_alu instid0(VALU_DEP_2) | instskip(NEXT) | instid1(VALU_DEP_2)
	v_cmp_neq_f32_e32 vcc_lo, s11, v12
	v_cmp_neq_f32_e64 s0, s12, v10
	s_or_b32 s18, vcc_lo, s0
	s_cbranch_execnz .LBB171_22
.LBB171_21:
	s_delay_alu instid0(VALU_DEP_2) | instskip(NEXT) | instid1(VALU_DEP_2)
	v_cmp_eq_f32_e32 vcc_lo, s11, v12
	v_cmp_eq_f32_e64 s0, s12, v10
	s_and_not1_b32 s18, s18, exec_lo
	s_and_b32 s0, vcc_lo, s0
	s_delay_alu instid0(SALU_CYCLE_1) | instskip(NEXT) | instid1(SALU_CYCLE_1)
	s_and_b32 s0, s0, exec_lo
	s_or_b32 s18, s18, s0
.LBB171_22:
	v_cmp_ne_u32_e32 vcc_lo, 1, v1
	v_lshlrev_b32_e32 v10, 16, v11
	v_and_b32_e32 v11, 0xffff0000, v11
	s_cbranch_vccnz .LBB171_203
; %bb.23:
	s_delay_alu instid0(VALU_DEP_2) | instskip(NEXT) | instid1(VALU_DEP_2)
	v_cmp_neq_f32_e32 vcc_lo, s11, v10
	v_cmp_neq_f32_e64 s0, s12, v11
	s_or_b32 s19, vcc_lo, s0
	s_cbranch_execnz .LBB171_25
.LBB171_24:
	s_delay_alu instid0(VALU_DEP_2) | instskip(NEXT) | instid1(VALU_DEP_2)
	v_cmp_eq_f32_e32 vcc_lo, s11, v10
	v_cmp_eq_f32_e64 s0, s12, v11
	s_and_not1_b32 s19, s19, exec_lo
	s_and_b32 s0, vcc_lo, s0
	s_delay_alu instid0(SALU_CYCLE_1) | instskip(NEXT) | instid1(SALU_CYCLE_1)
	s_and_b32 s0, s0, exec_lo
	s_or_b32 s19, s19, s0
.LBB171_25:
	v_cmp_ne_u32_e32 vcc_lo, 1, v1
	s_wait_loadcnt 0x3
	v_lshlrev_b32_e32 v10, 16, v8
	v_and_b32_e32 v8, 0xffff0000, v8
	s_cbranch_vccnz .LBB171_204
; %bb.26:
	s_delay_alu instid0(VALU_DEP_2) | instskip(NEXT) | instid1(VALU_DEP_2)
	v_cmp_neq_f32_e32 vcc_lo, s11, v10
	v_cmp_neq_f32_e64 s0, s12, v8
	s_or_b32 s20, vcc_lo, s0
	s_cbranch_execnz .LBB171_28
.LBB171_27:
	s_delay_alu instid0(VALU_DEP_2) | instskip(NEXT) | instid1(VALU_DEP_2)
	v_cmp_eq_f32_e32 vcc_lo, s11, v10
	v_cmp_eq_f32_e64 s0, s12, v8
	s_and_not1_b32 s20, s20, exec_lo
	s_and_b32 s0, vcc_lo, s0
	s_delay_alu instid0(SALU_CYCLE_1) | instskip(NEXT) | instid1(SALU_CYCLE_1)
	s_and_b32 s0, s0, exec_lo
	s_or_b32 s20, s20, s0
.LBB171_28:
	v_cmp_ne_u32_e32 vcc_lo, 1, v1
	v_lshlrev_b32_e32 v8, 16, v9
	v_and_b32_e32 v9, 0xffff0000, v9
	s_cbranch_vccnz .LBB171_205
; %bb.29:
	s_delay_alu instid0(VALU_DEP_2) | instskip(NEXT) | instid1(VALU_DEP_2)
	v_cmp_neq_f32_e32 vcc_lo, s11, v8
	v_cmp_neq_f32_e64 s0, s12, v9
	s_or_b32 s21, vcc_lo, s0
	s_cbranch_execnz .LBB171_31
.LBB171_30:
	s_delay_alu instid0(VALU_DEP_2) | instskip(NEXT) | instid1(VALU_DEP_2)
	v_cmp_eq_f32_e32 vcc_lo, s11, v8
	v_cmp_eq_f32_e64 s0, s12, v9
	s_and_not1_b32 s21, s21, exec_lo
	s_and_b32 s0, vcc_lo, s0
	s_delay_alu instid0(SALU_CYCLE_1) | instskip(NEXT) | instid1(SALU_CYCLE_1)
	s_and_b32 s0, s0, exec_lo
	s_or_b32 s21, s21, s0
.LBB171_31:
	v_cmp_ne_u32_e32 vcc_lo, 1, v1
	s_wait_loadcnt 0x2
	v_lshlrev_b32_e32 v8, 16, v6
	v_and_b32_e32 v6, 0xffff0000, v6
	s_cbranch_vccnz .LBB171_206
; %bb.32:
	s_delay_alu instid0(VALU_DEP_2) | instskip(NEXT) | instid1(VALU_DEP_2)
	v_cmp_neq_f32_e32 vcc_lo, s11, v8
	v_cmp_neq_f32_e64 s0, s12, v6
	s_or_b32 s22, vcc_lo, s0
	s_cbranch_execnz .LBB171_34
.LBB171_33:
	s_delay_alu instid0(VALU_DEP_2) | instskip(NEXT) | instid1(VALU_DEP_2)
	v_cmp_eq_f32_e32 vcc_lo, s11, v8
	v_cmp_eq_f32_e64 s0, s12, v6
	s_and_not1_b32 s22, s22, exec_lo
	s_and_b32 s0, vcc_lo, s0
	s_delay_alu instid0(SALU_CYCLE_1) | instskip(NEXT) | instid1(SALU_CYCLE_1)
	s_and_b32 s0, s0, exec_lo
	s_or_b32 s22, s22, s0
.LBB171_34:
	v_cmp_ne_u32_e32 vcc_lo, 1, v1
	v_lshlrev_b32_e32 v6, 16, v7
	v_and_b32_e32 v7, 0xffff0000, v7
	s_cbranch_vccnz .LBB171_207
; %bb.35:
	s_delay_alu instid0(VALU_DEP_2) | instskip(NEXT) | instid1(VALU_DEP_2)
	v_cmp_neq_f32_e32 vcc_lo, s11, v6
	v_cmp_neq_f32_e64 s0, s12, v7
	s_or_b32 s23, vcc_lo, s0
	s_cbranch_execnz .LBB171_37
.LBB171_36:
	s_delay_alu instid0(VALU_DEP_2) | instskip(NEXT) | instid1(VALU_DEP_2)
	v_cmp_eq_f32_e32 vcc_lo, s11, v6
	v_cmp_eq_f32_e64 s0, s12, v7
	s_and_not1_b32 s23, s23, exec_lo
	s_and_b32 s0, vcc_lo, s0
	s_delay_alu instid0(SALU_CYCLE_1) | instskip(NEXT) | instid1(SALU_CYCLE_1)
	s_and_b32 s0, s0, exec_lo
	s_or_b32 s23, s23, s0
.LBB171_37:
	v_cmp_ne_u32_e32 vcc_lo, 1, v1
	s_wait_loadcnt 0x1
	v_lshlrev_b32_e32 v6, 16, v4
	v_and_b32_e32 v4, 0xffff0000, v4
	s_cbranch_vccnz .LBB171_208
; %bb.38:
	s_delay_alu instid0(VALU_DEP_2) | instskip(NEXT) | instid1(VALU_DEP_2)
	v_cmp_neq_f32_e32 vcc_lo, s11, v6
	v_cmp_neq_f32_e64 s0, s12, v4
	s_or_b32 s24, vcc_lo, s0
	s_cbranch_execnz .LBB171_40
.LBB171_39:
	s_delay_alu instid0(VALU_DEP_2) | instskip(NEXT) | instid1(VALU_DEP_2)
	v_cmp_eq_f32_e32 vcc_lo, s11, v6
	v_cmp_eq_f32_e64 s0, s12, v4
	s_and_not1_b32 s24, s24, exec_lo
	s_and_b32 s0, vcc_lo, s0
	s_delay_alu instid0(SALU_CYCLE_1) | instskip(NEXT) | instid1(SALU_CYCLE_1)
	s_and_b32 s0, s0, exec_lo
	s_or_b32 s24, s24, s0
.LBB171_40:
	v_cmp_ne_u32_e32 vcc_lo, 1, v1
	v_lshlrev_b32_e32 v4, 16, v5
	v_and_b32_e32 v5, 0xffff0000, v5
	s_cbranch_vccnz .LBB171_209
; %bb.41:
	s_delay_alu instid0(VALU_DEP_2) | instskip(NEXT) | instid1(VALU_DEP_2)
	v_cmp_neq_f32_e32 vcc_lo, s11, v4
	v_cmp_neq_f32_e64 s0, s12, v5
	s_or_b32 s25, vcc_lo, s0
	s_cbranch_execnz .LBB171_43
.LBB171_42:
	s_delay_alu instid0(VALU_DEP_2) | instskip(NEXT) | instid1(VALU_DEP_2)
	v_cmp_eq_f32_e32 vcc_lo, s11, v4
	v_cmp_eq_f32_e64 s0, s12, v5
	s_and_not1_b32 s25, s25, exec_lo
	s_and_b32 s0, vcc_lo, s0
	s_delay_alu instid0(SALU_CYCLE_1) | instskip(NEXT) | instid1(SALU_CYCLE_1)
	s_and_b32 s0, s0, exec_lo
	s_or_b32 s25, s25, s0
.LBB171_43:
	v_cmp_ne_u32_e32 vcc_lo, 1, v1
	s_wait_loadcnt 0x0
	v_lshlrev_b32_e32 v4, 16, v2
	v_and_b32_e32 v2, 0xffff0000, v2
	s_cbranch_vccnz .LBB171_210
; %bb.44:
	s_delay_alu instid0(VALU_DEP_2) | instskip(NEXT) | instid1(VALU_DEP_2)
	v_cmp_neq_f32_e32 vcc_lo, s11, v4
	v_cmp_neq_f32_e64 s0, s12, v2
	s_or_b32 s26, vcc_lo, s0
	s_cbranch_execnz .LBB171_46
.LBB171_45:
	s_delay_alu instid0(VALU_DEP_2) | instskip(NEXT) | instid1(VALU_DEP_2)
	v_cmp_eq_f32_e32 vcc_lo, s11, v4
	v_cmp_eq_f32_e64 s0, s12, v2
	s_and_not1_b32 s26, s26, exec_lo
	s_and_b32 s0, vcc_lo, s0
	s_delay_alu instid0(SALU_CYCLE_1) | instskip(NEXT) | instid1(SALU_CYCLE_1)
	s_and_b32 s0, s0, exec_lo
	s_or_b32 s26, s26, s0
.LBB171_46:
	v_cmp_ne_u32_e32 vcc_lo, 1, v1
	v_lshlrev_b32_e32 v1, 16, v3
	v_and_b32_e32 v2, 0xffff0000, v3
	s_cbranch_vccnz .LBB171_211
; %bb.47:
	s_delay_alu instid0(VALU_DEP_2) | instskip(NEXT) | instid1(VALU_DEP_2)
	v_cmp_neq_f32_e32 vcc_lo, s11, v1
	v_cmp_neq_f32_e64 s0, s12, v2
	s_or_b32 s27, vcc_lo, s0
	s_cbranch_execnz .LBB171_49
.LBB171_48:
	s_delay_alu instid0(VALU_DEP_2) | instskip(NEXT) | instid1(VALU_DEP_2)
	v_cmp_eq_f32_e32 vcc_lo, s11, v1
	v_cmp_eq_f32_e64 s0, s12, v2
	s_and_not1_b32 s11, s27, exec_lo
	s_and_b32 s0, vcc_lo, s0
	s_delay_alu instid0(SALU_CYCLE_1) | instskip(NEXT) | instid1(SALU_CYCLE_1)
	s_and_b32 s0, s0, exec_lo
	s_or_b32 s27, s11, s0
.LBB171_49:
	v_cndmask_b32_e64 v1, 0, 1, s24
	v_cndmask_b32_e64 v2, 0, 0x100, s25
	;; [unrolled: 1-line block ×6, first 2 shown]
	v_or_b32_e32 v1, v2, v1
	v_cndmask_b32_e64 v9, 0, 1, s1
	v_or_b32_e32 v2, v4, v3
	v_cndmask_b32_e64 v4, 0, 1, s18
	;; [unrolled: 2-line block ×3, first 2 shown]
	v_cndmask_b32_e64 v10, 0, 0x100, s13
	v_cndmask_b32_e64 v8, 0, 1, s14
	;; [unrolled: 1-line block ×6, first 2 shown]
	v_or_b32_e32 v4, v5, v4
	v_cndmask_b32_e64 v5, 0, 0x100, s27
	v_or_b32_e32 v9, v10, v9
	v_or_b32_e32 v8, v11, v8
	;; [unrolled: 1-line block ×3, first 2 shown]
	s_mov_b32 s0, 0
	s_add_nc_u64 s[12:13], s[4:5], s[2:3]
	v_or_b32_e32 v5, v5, v7
	s_clause 0x7
	global_store_b16 v0, v9, s[12:13] scale_offset
	global_store_b16 v0, v8, s[12:13] offset:512 scale_offset
	global_store_b16 v0, v6, s[12:13] offset:1024 scale_offset
	;; [unrolled: 1-line block ×7, first 2 shown]
.LBB171_50:
	s_and_b32 vcc_lo, exec_lo, s0
	s_cbranch_vccz .LBB171_195
; %bb.51:
	v_cmp_gt_i32_e64 s0, s8, v0
	s_wait_xcnt 0x1
	v_dual_mov_b32 v7, 0 :: v_dual_bitop2_b32 v1, s2, v0 bitop3:0x54
	v_or_b32_e32 v6, 0x100, v0
	v_dual_mov_b32 v8, 0 :: v_dual_mov_b32 v9, 0
	v_dual_mov_b32 v10, 0 :: v_dual_mov_b32 v11, 0
	;; [unrolled: 1-line block ×7, first 2 shown]
	v_mov_b32_e32 v20, 0
	s_wait_xcnt 0x0
	s_and_saveexec_b32 s1, s0
	s_cbranch_execz .LBB171_83
; %bb.52:
	global_load_b32 v20, v1, s[6:7] scale_offset
	v_or_b32_e32 v2, 0x100, v0
	v_dual_mov_b32 v19, 0 :: v_dual_mov_b32 v3, 0
	v_dual_mov_b32 v21, 0 :: v_dual_mov_b32 v18, 0
	;; [unrolled: 1-line block ×7, first 2 shown]
	v_mov_b32_e32 v7, 0
	s_mov_b32 s3, exec_lo
	s_wait_xcnt 0x0
	v_cmpx_gt_u32_e64 s8, v2
	s_cbranch_execz .LBB171_82
; %bb.53:
	v_dual_mov_b32 v3, 0 :: v_dual_add_nc_u32 v2, s2, v0
	v_or_b32_e32 v4, 0x200, v0
	v_dual_mov_b32 v21, 0 :: v_dual_mov_b32 v18, 0
	global_load_b32 v19, v2, s[6:7] offset:1024 scale_offset
	v_dual_mov_b32 v17, 0 :: v_dual_mov_b32 v16, 0
	v_dual_mov_b32 v15, 0 :: v_dual_mov_b32 v14, 0
	;; [unrolled: 1-line block ×5, first 2 shown]
	v_mov_b32_e32 v7, 0
	s_mov_b32 s11, exec_lo
	s_wait_xcnt 0x0
	v_cmpx_gt_u32_e64 s8, v4
	s_cbranch_execz .LBB171_81
; %bb.54:
	v_lshl_add_u64 v[4:5], v[2:3], 2, s[6:7]
	v_or_b32_e32 v7, 0x300, v0
	v_dual_mov_b32 v18, 0 :: v_dual_mov_b32 v17, 0
	v_dual_mov_b32 v16, 0 :: v_dual_mov_b32 v15, 0
	global_load_b32 v2, v[4:5], off offset:2048
	v_cmp_gt_u32_e32 vcc_lo, s8, v7
	v_dual_mov_b32 v14, 0 :: v_dual_mov_b32 v13, 0
	v_dual_mov_b32 v12, 0 :: v_dual_mov_b32 v11, 0
	;; [unrolled: 1-line block ×4, first 2 shown]
	s_wait_xcnt 0x0
	s_and_saveexec_b32 s6, vcc_lo
	s_cbranch_execz .LBB171_80
; %bb.55:
	global_load_b32 v3, v[4:5], off offset:3072
	v_or_b32_e32 v7, 0x400, v0
	v_dual_mov_b32 v18, 0 :: v_dual_mov_b32 v17, 0
	v_dual_mov_b32 v16, 0 :: v_dual_mov_b32 v15, 0
	s_delay_alu instid0(VALU_DEP_3)
	v_cmp_gt_u32_e32 vcc_lo, s8, v7
	v_dual_mov_b32 v14, 0 :: v_dual_mov_b32 v13, 0
	v_dual_mov_b32 v12, 0 :: v_dual_mov_b32 v11, 0
	;; [unrolled: 1-line block ×4, first 2 shown]
	s_wait_xcnt 0x0
	s_and_saveexec_b32 s7, vcc_lo
	s_cbranch_execz .LBB171_79
; %bb.56:
	global_load_b32 v18, v[4:5], off offset:4096
	v_or_b32_e32 v7, 0x500, v0
	v_dual_mov_b32 v17, 0 :: v_dual_mov_b32 v16, 0
	v_dual_mov_b32 v15, 0 :: v_dual_mov_b32 v14, 0
	s_delay_alu instid0(VALU_DEP_3)
	v_cmp_gt_u32_e32 vcc_lo, s8, v7
	v_dual_mov_b32 v13, 0 :: v_dual_mov_b32 v12, 0
	v_dual_mov_b32 v11, 0 :: v_dual_mov_b32 v10, 0
	;; [unrolled: 1-line block ×3, first 2 shown]
	v_mov_b32_e32 v7, 0
	s_wait_xcnt 0x0
	s_and_saveexec_b32 s12, vcc_lo
	s_cbranch_execz .LBB171_78
; %bb.57:
	global_load_b32 v17, v[4:5], off offset:5120
	v_or_b32_e32 v7, 0x600, v0
	v_dual_mov_b32 v16, 0 :: v_dual_mov_b32 v15, 0
	v_dual_mov_b32 v14, 0 :: v_dual_mov_b32 v13, 0
	s_delay_alu instid0(VALU_DEP_3)
	v_cmp_gt_u32_e32 vcc_lo, s8, v7
	v_dual_mov_b32 v12, 0 :: v_dual_mov_b32 v11, 0
	v_dual_mov_b32 v10, 0 :: v_dual_mov_b32 v9, 0
	v_dual_mov_b32 v8, 0 :: v_dual_mov_b32 v7, 0
	s_wait_xcnt 0x0
	s_and_saveexec_b32 s13, vcc_lo
	s_cbranch_execz .LBB171_77
; %bb.58:
	global_load_b32 v16, v[4:5], off offset:6144
	v_or_b32_e32 v7, 0x700, v0
	v_dual_mov_b32 v15, 0 :: v_dual_mov_b32 v14, 0
	v_dual_mov_b32 v13, 0 :: v_dual_mov_b32 v12, 0
	s_delay_alu instid0(VALU_DEP_3)
	v_cmp_gt_u32_e32 vcc_lo, s8, v7
	v_dual_mov_b32 v11, 0 :: v_dual_mov_b32 v10, 0
	v_dual_mov_b32 v9, 0 :: v_dual_mov_b32 v8, 0
	v_mov_b32_e32 v7, 0
	s_wait_xcnt 0x0
	s_and_saveexec_b32 s14, vcc_lo
	s_cbranch_execz .LBB171_76
; %bb.59:
	global_load_b32 v15, v[4:5], off offset:7168
	v_or_b32_e32 v7, 0x800, v0
	v_dual_mov_b32 v14, 0 :: v_dual_mov_b32 v13, 0
	v_dual_mov_b32 v12, 0 :: v_dual_mov_b32 v11, 0
	s_delay_alu instid0(VALU_DEP_3)
	v_cmp_gt_u32_e32 vcc_lo, s8, v7
	v_dual_mov_b32 v10, 0 :: v_dual_mov_b32 v9, 0
	v_dual_mov_b32 v8, 0 :: v_dual_mov_b32 v7, 0
	s_wait_xcnt 0x0
	s_and_saveexec_b32 s15, vcc_lo
	s_cbranch_execz .LBB171_75
; %bb.60:
	global_load_b32 v14, v[4:5], off offset:8192
	v_or_b32_e32 v7, 0x900, v0
	v_dual_mov_b32 v13, 0 :: v_dual_mov_b32 v12, 0
	v_dual_mov_b32 v11, 0 :: v_dual_mov_b32 v10, 0
	s_delay_alu instid0(VALU_DEP_3)
	v_cmp_gt_u32_e32 vcc_lo, s8, v7
	v_dual_mov_b32 v9, 0 :: v_dual_mov_b32 v8, 0
	v_mov_b32_e32 v7, 0
	s_wait_xcnt 0x0
	s_and_saveexec_b32 s16, vcc_lo
	s_cbranch_execz .LBB171_74
; %bb.61:
	global_load_b32 v13, v[4:5], off offset:9216
	v_or_b32_e32 v7, 0xa00, v0
	v_dual_mov_b32 v12, 0 :: v_dual_mov_b32 v11, 0
	v_dual_mov_b32 v10, 0 :: v_dual_mov_b32 v9, 0
	s_delay_alu instid0(VALU_DEP_3)
	v_cmp_gt_u32_e32 vcc_lo, s8, v7
	v_dual_mov_b32 v8, 0 :: v_dual_mov_b32 v7, 0
	s_wait_xcnt 0x0
	s_and_saveexec_b32 s17, vcc_lo
	s_cbranch_execz .LBB171_73
; %bb.62:
	global_load_b32 v12, v[4:5], off offset:10240
	v_or_b32_e32 v7, 0xb00, v0
	v_dual_mov_b32 v11, 0 :: v_dual_mov_b32 v10, 0
	v_dual_mov_b32 v9, 0 :: v_dual_mov_b32 v8, 0
	s_delay_alu instid0(VALU_DEP_3)
	v_cmp_gt_u32_e32 vcc_lo, s8, v7
	v_mov_b32_e32 v7, 0
	s_wait_xcnt 0x0
	s_and_saveexec_b32 s18, vcc_lo
	s_cbranch_execz .LBB171_72
; %bb.63:
	global_load_b32 v11, v[4:5], off offset:11264
	v_or_b32_e32 v7, 0xc00, v0
	v_dual_mov_b32 v10, 0 :: v_dual_mov_b32 v9, 0
	v_mov_b32_e32 v8, 0
	s_delay_alu instid0(VALU_DEP_3)
	v_cmp_gt_u32_e32 vcc_lo, s8, v7
	v_mov_b32_e32 v7, 0
	s_wait_xcnt 0x0
	s_and_saveexec_b32 s19, vcc_lo
	s_cbranch_execz .LBB171_71
; %bb.64:
	global_load_b32 v10, v[4:5], off offset:12288
	v_or_b32_e32 v7, 0xd00, v0
	v_dual_mov_b32 v9, 0 :: v_dual_mov_b32 v8, 0
	s_delay_alu instid0(VALU_DEP_2)
	v_cmp_gt_u32_e32 vcc_lo, s8, v7
	v_mov_b32_e32 v7, 0
	s_wait_xcnt 0x0
	s_and_saveexec_b32 s20, vcc_lo
	s_cbranch_execz .LBB171_70
; %bb.65:
	global_load_b32 v9, v[4:5], off offset:13312
	v_or_b32_e32 v7, 0xe00, v0
	v_mov_b32_e32 v8, 0
	s_delay_alu instid0(VALU_DEP_2)
	v_cmp_gt_u32_e32 vcc_lo, s8, v7
	v_mov_b32_e32 v7, 0
	s_wait_xcnt 0x0
	s_and_saveexec_b32 s21, vcc_lo
	s_cbranch_execz .LBB171_69
; %bb.66:
	global_load_b32 v8, v[4:5], off offset:14336
	v_or_b32_e32 v7, 0xf00, v0
	s_delay_alu instid0(VALU_DEP_1)
	v_cmp_gt_u32_e32 vcc_lo, s8, v7
	v_mov_b32_e32 v7, 0
	s_wait_xcnt 0x0
	s_and_saveexec_b32 s22, vcc_lo
	s_cbranch_execz .LBB171_68
; %bb.67:
	global_load_b32 v7, v[4:5], off offset:15360
.LBB171_68:
	s_wait_xcnt 0x0
	s_or_b32 exec_lo, exec_lo, s22
.LBB171_69:
	s_delay_alu instid0(SALU_CYCLE_1)
	s_or_b32 exec_lo, exec_lo, s21
.LBB171_70:
	s_delay_alu instid0(SALU_CYCLE_1)
	s_or_b32 exec_lo, exec_lo, s20
.LBB171_71:
	s_delay_alu instid0(SALU_CYCLE_1)
	s_or_b32 exec_lo, exec_lo, s19
.LBB171_72:
	s_delay_alu instid0(SALU_CYCLE_1)
	s_or_b32 exec_lo, exec_lo, s18
.LBB171_73:
	s_delay_alu instid0(SALU_CYCLE_1)
	s_or_b32 exec_lo, exec_lo, s17
.LBB171_74:
	s_delay_alu instid0(SALU_CYCLE_1)
	s_or_b32 exec_lo, exec_lo, s16
.LBB171_75:
	s_delay_alu instid0(SALU_CYCLE_1)
	s_or_b32 exec_lo, exec_lo, s15
.LBB171_76:
	s_delay_alu instid0(SALU_CYCLE_1)
	s_or_b32 exec_lo, exec_lo, s14
.LBB171_77:
	s_delay_alu instid0(SALU_CYCLE_1)
	s_or_b32 exec_lo, exec_lo, s13
.LBB171_78:
	s_delay_alu instid0(SALU_CYCLE_1)
	s_or_b32 exec_lo, exec_lo, s12
.LBB171_79:
	s_delay_alu instid0(SALU_CYCLE_1)
	s_or_b32 exec_lo, exec_lo, s7
.LBB171_80:
	s_delay_alu instid0(SALU_CYCLE_1)
	s_or_b32 exec_lo, exec_lo, s6
	s_wait_loadcnt 0x0
	v_dual_mov_b32 v21, v3 :: v_dual_mov_b32 v3, v2
.LBB171_81:
	s_or_b32 exec_lo, exec_lo, s11
.LBB171_82:
	s_delay_alu instid0(SALU_CYCLE_1)
	s_or_b32 exec_lo, exec_lo, s3
.LBB171_83:
	s_delay_alu instid0(SALU_CYCLE_1)
	s_or_b32 exec_lo, exec_lo, s1
	s_cmp_lg_u32 s9, 0
                                        ; implicit-def: $vgpr2
	s_cselect_b32 s7, -1, 0
	s_lshl_b32 s3, s10, 16
	s_and_b32 s6, s10, 0xffff0000
	s_and_saveexec_b32 s9, s0
	s_cbranch_execz .LBB171_88
; %bb.84:
	s_wait_loadcnt 0x0
	v_lshlrev_b32_e32 v2, 16, v20
	v_and_b32_e32 v4, 0xffff0000, v20
	s_and_b32 vcc_lo, exec_lo, s7
	s_cbranch_vccz .LBB171_212
; %bb.85:
	s_delay_alu instid0(VALU_DEP_2) | instskip(NEXT) | instid1(VALU_DEP_2)
	v_cmp_neq_f32_e32 vcc_lo, s3, v2
	v_cmp_neq_f32_e64 s1, s6, v4
	s_or_b32 s10, vcc_lo, s1
	s_cbranch_execnz .LBB171_87
.LBB171_86:
	v_cmp_eq_f32_e32 vcc_lo, s3, v2
	v_cmp_eq_f32_e64 s1, s6, v4
	s_and_not1_b32 s10, s10, exec_lo
	s_and_b32 s1, vcc_lo, s1
	s_delay_alu instid0(SALU_CYCLE_1) | instskip(NEXT) | instid1(SALU_CYCLE_1)
	s_and_b32 s1, s1, exec_lo
	s_or_b32 s10, s10, s1
.LBB171_87:
	s_delay_alu instid0(SALU_CYCLE_1)
	v_cndmask_b32_e64 v2, 0, 1, s10
.LBB171_88:
	s_or_b32 exec_lo, exec_lo, s9
	v_cndmask_b32_e64 v5, 0, 1, s7
	s_mov_b32 s9, exec_lo
                                        ; implicit-def: $vgpr4
	v_cmpx_gt_i32_e64 s8, v6
	s_cbranch_execz .LBB171_93
; %bb.89:
	s_wait_loadcnt 0x0
	v_lshlrev_b32_e32 v4, 16, v19
	v_and_b32_e32 v19, 0xffff0000, v19
	s_and_not1_b32 vcc_lo, exec_lo, s7
	s_cbranch_vccnz .LBB171_213
; %bb.90:
	s_delay_alu instid0(VALU_DEP_2) | instskip(NEXT) | instid1(VALU_DEP_2)
	v_cmp_neq_f32_e32 vcc_lo, s3, v4
	v_cmp_neq_f32_e64 s1, s6, v19
	s_or_b32 s7, vcc_lo, s1
	s_cbranch_execnz .LBB171_92
.LBB171_91:
	v_cmp_eq_f32_e32 vcc_lo, s3, v4
	v_cmp_eq_f32_e64 s1, s6, v19
	s_and_not1_b32 s7, s7, exec_lo
	s_and_b32 s1, vcc_lo, s1
	s_delay_alu instid0(SALU_CYCLE_1) | instskip(NEXT) | instid1(SALU_CYCLE_1)
	s_and_b32 s1, s1, exec_lo
	s_or_b32 s7, s7, s1
.LBB171_92:
	s_delay_alu instid0(SALU_CYCLE_1)
	v_cndmask_b32_e64 v4, 0, 1, s7
.LBB171_93:
	s_or_b32 exec_lo, exec_lo, s9
	s_wait_loadcnt 0x0
	v_or_b32_e32 v19, 0x200, v0
	s_delay_alu instid0(VALU_DEP_1)
	v_cmp_gt_i32_e32 vcc_lo, s8, v19
                                        ; implicit-def: $vgpr19
	s_and_saveexec_b32 s7, vcc_lo
	s_cbranch_execz .LBB171_98
; %bb.94:
	v_cmp_ne_u32_e32 vcc_lo, 1, v5
	v_lshlrev_b32_e32 v19, 16, v3
	v_and_b32_e32 v3, 0xffff0000, v3
	s_cbranch_vccnz .LBB171_214
; %bb.95:
	s_delay_alu instid0(VALU_DEP_2) | instskip(NEXT) | instid1(VALU_DEP_2)
	v_cmp_neq_f32_e32 vcc_lo, s3, v19
	v_cmp_neq_f32_e64 s1, s6, v3
	s_or_b32 s9, vcc_lo, s1
	s_cbranch_execnz .LBB171_97
.LBB171_96:
	s_delay_alu instid0(VALU_DEP_2) | instskip(NEXT) | instid1(VALU_DEP_2)
	v_cmp_eq_f32_e32 vcc_lo, s3, v19
	v_cmp_eq_f32_e64 s1, s6, v3
	s_and_not1_b32 s9, s9, exec_lo
	s_and_b32 s1, vcc_lo, s1
	s_delay_alu instid0(SALU_CYCLE_1) | instskip(NEXT) | instid1(SALU_CYCLE_1)
	s_and_b32 s1, s1, exec_lo
	s_or_b32 s9, s9, s1
.LBB171_97:
	s_delay_alu instid0(SALU_CYCLE_1)
	v_cndmask_b32_e64 v19, 0, 1, s9
.LBB171_98:
	s_or_b32 exec_lo, exec_lo, s7
	v_or_b32_e32 v3, 0x300, v0
	s_delay_alu instid0(VALU_DEP_1)
	v_cmp_gt_i32_e32 vcc_lo, s8, v3
                                        ; implicit-def: $vgpr3
	s_and_saveexec_b32 s7, vcc_lo
	s_cbranch_execz .LBB171_103
; %bb.99:
	v_cmp_ne_u32_e32 vcc_lo, 1, v5
	v_lshlrev_b32_e32 v3, 16, v21
	v_and_b32_e32 v20, 0xffff0000, v21
	s_cbranch_vccnz .LBB171_215
; %bb.100:
	s_delay_alu instid0(VALU_DEP_2) | instskip(NEXT) | instid1(VALU_DEP_2)
	v_cmp_neq_f32_e32 vcc_lo, s3, v3
	v_cmp_neq_f32_e64 s1, s6, v20
	s_or_b32 s9, vcc_lo, s1
	s_cbranch_execnz .LBB171_102
.LBB171_101:
	s_delay_alu instid0(VALU_DEP_2) | instskip(NEXT) | instid1(VALU_DEP_2)
	v_cmp_eq_f32_e32 vcc_lo, s3, v3
	v_cmp_eq_f32_e64 s1, s6, v20
	s_and_not1_b32 s9, s9, exec_lo
	s_and_b32 s1, vcc_lo, s1
	s_delay_alu instid0(SALU_CYCLE_1) | instskip(NEXT) | instid1(SALU_CYCLE_1)
	s_and_b32 s1, s1, exec_lo
	s_or_b32 s9, s9, s1
.LBB171_102:
	s_delay_alu instid0(SALU_CYCLE_1)
	v_cndmask_b32_e64 v3, 0, 1, s9
.LBB171_103:
	s_or_b32 exec_lo, exec_lo, s7
	v_or_b32_e32 v20, 0x400, v0
	s_delay_alu instid0(VALU_DEP_1)
	v_cmp_gt_i32_e32 vcc_lo, s8, v20
                                        ; implicit-def: $vgpr20
	s_and_saveexec_b32 s7, vcc_lo
	s_cbranch_execz .LBB171_108
; %bb.104:
	v_cmp_ne_u32_e32 vcc_lo, 1, v5
	v_lshlrev_b32_e32 v20, 16, v18
	v_and_b32_e32 v18, 0xffff0000, v18
	s_cbranch_vccnz .LBB171_216
; %bb.105:
	s_delay_alu instid0(VALU_DEP_2) | instskip(NEXT) | instid1(VALU_DEP_2)
	v_cmp_neq_f32_e32 vcc_lo, s3, v20
	v_cmp_neq_f32_e64 s1, s6, v18
	s_or_b32 s9, vcc_lo, s1
	s_cbranch_execnz .LBB171_107
.LBB171_106:
	s_delay_alu instid0(VALU_DEP_2) | instskip(NEXT) | instid1(VALU_DEP_2)
	v_cmp_eq_f32_e32 vcc_lo, s3, v20
	v_cmp_eq_f32_e64 s1, s6, v18
	s_and_not1_b32 s9, s9, exec_lo
	s_and_b32 s1, vcc_lo, s1
	s_delay_alu instid0(SALU_CYCLE_1) | instskip(NEXT) | instid1(SALU_CYCLE_1)
	s_and_b32 s1, s1, exec_lo
	s_or_b32 s9, s9, s1
.LBB171_107:
	s_delay_alu instid0(SALU_CYCLE_1)
	v_cndmask_b32_e64 v20, 0, 1, s9
.LBB171_108:
	s_or_b32 exec_lo, exec_lo, s7
	v_or_b32_e32 v18, 0x500, v0
	s_delay_alu instid0(VALU_DEP_1)
	v_cmp_gt_i32_e32 vcc_lo, s8, v18
                                        ; implicit-def: $vgpr18
	s_and_saveexec_b32 s7, vcc_lo
	s_cbranch_execz .LBB171_113
; %bb.109:
	v_cmp_ne_u32_e32 vcc_lo, 1, v5
	v_lshlrev_b32_e32 v18, 16, v17
	v_and_b32_e32 v17, 0xffff0000, v17
	s_cbranch_vccnz .LBB171_217
; %bb.110:
	s_delay_alu instid0(VALU_DEP_2) | instskip(NEXT) | instid1(VALU_DEP_2)
	v_cmp_neq_f32_e32 vcc_lo, s3, v18
	v_cmp_neq_f32_e64 s1, s6, v17
	s_or_b32 s9, vcc_lo, s1
	s_cbranch_execnz .LBB171_112
.LBB171_111:
	s_delay_alu instid0(VALU_DEP_2) | instskip(NEXT) | instid1(VALU_DEP_2)
	v_cmp_eq_f32_e32 vcc_lo, s3, v18
	v_cmp_eq_f32_e64 s1, s6, v17
	s_and_not1_b32 s9, s9, exec_lo
	s_and_b32 s1, vcc_lo, s1
	s_delay_alu instid0(SALU_CYCLE_1) | instskip(NEXT) | instid1(SALU_CYCLE_1)
	s_and_b32 s1, s1, exec_lo
	s_or_b32 s9, s9, s1
.LBB171_112:
	s_delay_alu instid0(SALU_CYCLE_1)
	v_cndmask_b32_e64 v18, 0, 1, s9
.LBB171_113:
	s_or_b32 exec_lo, exec_lo, s7
	v_or_b32_e32 v17, 0x600, v0
	s_delay_alu instid0(VALU_DEP_1)
	v_cmp_gt_i32_e32 vcc_lo, s8, v17
                                        ; implicit-def: $vgpr17
	s_and_saveexec_b32 s7, vcc_lo
	s_cbranch_execz .LBB171_118
; %bb.114:
	v_cmp_ne_u32_e32 vcc_lo, 1, v5
	v_lshlrev_b32_e32 v17, 16, v16
	v_and_b32_e32 v16, 0xffff0000, v16
	s_cbranch_vccnz .LBB171_218
; %bb.115:
	s_delay_alu instid0(VALU_DEP_2) | instskip(NEXT) | instid1(VALU_DEP_2)
	v_cmp_neq_f32_e32 vcc_lo, s3, v17
	v_cmp_neq_f32_e64 s1, s6, v16
	s_or_b32 s9, vcc_lo, s1
	s_cbranch_execnz .LBB171_117
.LBB171_116:
	s_delay_alu instid0(VALU_DEP_2) | instskip(NEXT) | instid1(VALU_DEP_2)
	v_cmp_eq_f32_e32 vcc_lo, s3, v17
	v_cmp_eq_f32_e64 s1, s6, v16
	s_and_not1_b32 s9, s9, exec_lo
	s_and_b32 s1, vcc_lo, s1
	s_delay_alu instid0(SALU_CYCLE_1) | instskip(NEXT) | instid1(SALU_CYCLE_1)
	s_and_b32 s1, s1, exec_lo
	s_or_b32 s9, s9, s1
.LBB171_117:
	s_delay_alu instid0(SALU_CYCLE_1)
	v_cndmask_b32_e64 v17, 0, 1, s9
.LBB171_118:
	s_or_b32 exec_lo, exec_lo, s7
	v_or_b32_e32 v16, 0x700, v0
	s_delay_alu instid0(VALU_DEP_1)
	v_cmp_gt_i32_e32 vcc_lo, s8, v16
                                        ; implicit-def: $vgpr16
	s_and_saveexec_b32 s7, vcc_lo
	s_cbranch_execz .LBB171_123
; %bb.119:
	v_cmp_ne_u32_e32 vcc_lo, 1, v5
	v_lshlrev_b32_e32 v16, 16, v15
	v_and_b32_e32 v15, 0xffff0000, v15
	s_cbranch_vccnz .LBB171_219
; %bb.120:
	s_delay_alu instid0(VALU_DEP_2) | instskip(NEXT) | instid1(VALU_DEP_2)
	v_cmp_neq_f32_e32 vcc_lo, s3, v16
	v_cmp_neq_f32_e64 s1, s6, v15
	s_or_b32 s9, vcc_lo, s1
	s_cbranch_execnz .LBB171_122
.LBB171_121:
	s_delay_alu instid0(VALU_DEP_2) | instskip(NEXT) | instid1(VALU_DEP_2)
	v_cmp_eq_f32_e32 vcc_lo, s3, v16
	v_cmp_eq_f32_e64 s1, s6, v15
	s_and_not1_b32 s9, s9, exec_lo
	s_and_b32 s1, vcc_lo, s1
	s_delay_alu instid0(SALU_CYCLE_1) | instskip(NEXT) | instid1(SALU_CYCLE_1)
	s_and_b32 s1, s1, exec_lo
	s_or_b32 s9, s9, s1
.LBB171_122:
	s_delay_alu instid0(SALU_CYCLE_1)
	v_cndmask_b32_e64 v16, 0, 1, s9
.LBB171_123:
	s_or_b32 exec_lo, exec_lo, s7
	v_or_b32_e32 v15, 0x800, v0
	s_delay_alu instid0(VALU_DEP_1)
	v_cmp_gt_i32_e32 vcc_lo, s8, v15
                                        ; implicit-def: $vgpr15
	s_and_saveexec_b32 s7, vcc_lo
	s_cbranch_execz .LBB171_128
; %bb.124:
	v_cmp_ne_u32_e32 vcc_lo, 1, v5
	v_lshlrev_b32_e32 v15, 16, v14
	v_and_b32_e32 v14, 0xffff0000, v14
	s_cbranch_vccnz .LBB171_220
; %bb.125:
	s_delay_alu instid0(VALU_DEP_2) | instskip(NEXT) | instid1(VALU_DEP_2)
	v_cmp_neq_f32_e32 vcc_lo, s3, v15
	v_cmp_neq_f32_e64 s1, s6, v14
	s_or_b32 s9, vcc_lo, s1
	s_cbranch_execnz .LBB171_127
.LBB171_126:
	s_delay_alu instid0(VALU_DEP_2) | instskip(NEXT) | instid1(VALU_DEP_2)
	v_cmp_eq_f32_e32 vcc_lo, s3, v15
	v_cmp_eq_f32_e64 s1, s6, v14
	s_and_not1_b32 s9, s9, exec_lo
	s_and_b32 s1, vcc_lo, s1
	s_delay_alu instid0(SALU_CYCLE_1) | instskip(NEXT) | instid1(SALU_CYCLE_1)
	s_and_b32 s1, s1, exec_lo
	s_or_b32 s9, s9, s1
.LBB171_127:
	s_delay_alu instid0(SALU_CYCLE_1)
	v_cndmask_b32_e64 v15, 0, 1, s9
.LBB171_128:
	s_or_b32 exec_lo, exec_lo, s7
	v_or_b32_e32 v14, 0x900, v0
	s_delay_alu instid0(VALU_DEP_1)
	v_cmp_gt_i32_e32 vcc_lo, s8, v14
                                        ; implicit-def: $vgpr14
	s_and_saveexec_b32 s7, vcc_lo
	s_cbranch_execz .LBB171_133
; %bb.129:
	v_cmp_ne_u32_e32 vcc_lo, 1, v5
	v_lshlrev_b32_e32 v14, 16, v13
	v_and_b32_e32 v13, 0xffff0000, v13
	s_cbranch_vccnz .LBB171_221
; %bb.130:
	s_delay_alu instid0(VALU_DEP_2) | instskip(NEXT) | instid1(VALU_DEP_2)
	v_cmp_neq_f32_e32 vcc_lo, s3, v14
	v_cmp_neq_f32_e64 s1, s6, v13
	s_or_b32 s9, vcc_lo, s1
	s_cbranch_execnz .LBB171_132
.LBB171_131:
	s_delay_alu instid0(VALU_DEP_2) | instskip(NEXT) | instid1(VALU_DEP_2)
	v_cmp_eq_f32_e32 vcc_lo, s3, v14
	v_cmp_eq_f32_e64 s1, s6, v13
	s_and_not1_b32 s9, s9, exec_lo
	s_and_b32 s1, vcc_lo, s1
	s_delay_alu instid0(SALU_CYCLE_1) | instskip(NEXT) | instid1(SALU_CYCLE_1)
	s_and_b32 s1, s1, exec_lo
	s_or_b32 s9, s9, s1
.LBB171_132:
	s_delay_alu instid0(SALU_CYCLE_1)
	v_cndmask_b32_e64 v14, 0, 1, s9
.LBB171_133:
	s_or_b32 exec_lo, exec_lo, s7
	v_or_b32_e32 v13, 0xa00, v0
	s_delay_alu instid0(VALU_DEP_1)
	v_cmp_gt_i32_e32 vcc_lo, s8, v13
                                        ; implicit-def: $vgpr13
	s_and_saveexec_b32 s7, vcc_lo
	s_cbranch_execz .LBB171_138
; %bb.134:
	v_cmp_ne_u32_e32 vcc_lo, 1, v5
	v_lshlrev_b32_e32 v13, 16, v12
	v_and_b32_e32 v12, 0xffff0000, v12
	s_cbranch_vccnz .LBB171_222
; %bb.135:
	s_delay_alu instid0(VALU_DEP_2) | instskip(NEXT) | instid1(VALU_DEP_2)
	v_cmp_neq_f32_e32 vcc_lo, s3, v13
	v_cmp_neq_f32_e64 s1, s6, v12
	s_or_b32 s9, vcc_lo, s1
	s_cbranch_execnz .LBB171_137
.LBB171_136:
	s_delay_alu instid0(VALU_DEP_2) | instskip(NEXT) | instid1(VALU_DEP_2)
	v_cmp_eq_f32_e32 vcc_lo, s3, v13
	v_cmp_eq_f32_e64 s1, s6, v12
	s_and_not1_b32 s9, s9, exec_lo
	s_and_b32 s1, vcc_lo, s1
	s_delay_alu instid0(SALU_CYCLE_1) | instskip(NEXT) | instid1(SALU_CYCLE_1)
	s_and_b32 s1, s1, exec_lo
	s_or_b32 s9, s9, s1
.LBB171_137:
	s_delay_alu instid0(SALU_CYCLE_1)
	v_cndmask_b32_e64 v13, 0, 1, s9
.LBB171_138:
	s_or_b32 exec_lo, exec_lo, s7
	v_or_b32_e32 v12, 0xb00, v0
	s_delay_alu instid0(VALU_DEP_1)
	v_cmp_gt_i32_e32 vcc_lo, s8, v12
                                        ; implicit-def: $vgpr12
	s_and_saveexec_b32 s7, vcc_lo
	s_cbranch_execz .LBB171_143
; %bb.139:
	v_cmp_ne_u32_e32 vcc_lo, 1, v5
	v_lshlrev_b32_e32 v12, 16, v11
	v_and_b32_e32 v11, 0xffff0000, v11
	s_cbranch_vccnz .LBB171_223
; %bb.140:
	s_delay_alu instid0(VALU_DEP_2) | instskip(NEXT) | instid1(VALU_DEP_2)
	v_cmp_neq_f32_e32 vcc_lo, s3, v12
	v_cmp_neq_f32_e64 s1, s6, v11
	s_or_b32 s9, vcc_lo, s1
	s_cbranch_execnz .LBB171_142
.LBB171_141:
	s_delay_alu instid0(VALU_DEP_2) | instskip(NEXT) | instid1(VALU_DEP_2)
	v_cmp_eq_f32_e32 vcc_lo, s3, v12
	v_cmp_eq_f32_e64 s1, s6, v11
	s_and_not1_b32 s9, s9, exec_lo
	s_and_b32 s1, vcc_lo, s1
	s_delay_alu instid0(SALU_CYCLE_1) | instskip(NEXT) | instid1(SALU_CYCLE_1)
	s_and_b32 s1, s1, exec_lo
	s_or_b32 s9, s9, s1
.LBB171_142:
	s_delay_alu instid0(SALU_CYCLE_1)
	v_cndmask_b32_e64 v12, 0, 1, s9
.LBB171_143:
	s_or_b32 exec_lo, exec_lo, s7
	v_or_b32_e32 v11, 0xc00, v0
	s_delay_alu instid0(VALU_DEP_1)
	v_cmp_gt_i32_e32 vcc_lo, s8, v11
                                        ; implicit-def: $vgpr11
	s_and_saveexec_b32 s7, vcc_lo
	s_cbranch_execz .LBB171_148
; %bb.144:
	v_cmp_ne_u32_e32 vcc_lo, 1, v5
	v_lshlrev_b32_e32 v11, 16, v10
	v_and_b32_e32 v10, 0xffff0000, v10
	s_cbranch_vccnz .LBB171_224
; %bb.145:
	s_delay_alu instid0(VALU_DEP_2) | instskip(NEXT) | instid1(VALU_DEP_2)
	v_cmp_neq_f32_e32 vcc_lo, s3, v11
	v_cmp_neq_f32_e64 s1, s6, v10
	s_or_b32 s9, vcc_lo, s1
	s_cbranch_execnz .LBB171_147
.LBB171_146:
	s_delay_alu instid0(VALU_DEP_2) | instskip(NEXT) | instid1(VALU_DEP_2)
	v_cmp_eq_f32_e32 vcc_lo, s3, v11
	v_cmp_eq_f32_e64 s1, s6, v10
	s_and_not1_b32 s9, s9, exec_lo
	s_and_b32 s1, vcc_lo, s1
	s_delay_alu instid0(SALU_CYCLE_1) | instskip(NEXT) | instid1(SALU_CYCLE_1)
	s_and_b32 s1, s1, exec_lo
	s_or_b32 s9, s9, s1
.LBB171_147:
	s_delay_alu instid0(SALU_CYCLE_1)
	v_cndmask_b32_e64 v11, 0, 1, s9
.LBB171_148:
	s_or_b32 exec_lo, exec_lo, s7
	v_or_b32_e32 v10, 0xd00, v0
	s_delay_alu instid0(VALU_DEP_1)
	v_cmp_gt_i32_e32 vcc_lo, s8, v10
                                        ; implicit-def: $vgpr10
	s_and_saveexec_b32 s7, vcc_lo
	s_cbranch_execz .LBB171_153
; %bb.149:
	v_cmp_ne_u32_e32 vcc_lo, 1, v5
	v_lshlrev_b32_e32 v10, 16, v9
	v_and_b32_e32 v9, 0xffff0000, v9
	s_cbranch_vccnz .LBB171_225
; %bb.150:
	s_delay_alu instid0(VALU_DEP_2) | instskip(NEXT) | instid1(VALU_DEP_2)
	v_cmp_neq_f32_e32 vcc_lo, s3, v10
	v_cmp_neq_f32_e64 s1, s6, v9
	s_or_b32 s9, vcc_lo, s1
	s_cbranch_execnz .LBB171_152
.LBB171_151:
	s_delay_alu instid0(VALU_DEP_2) | instskip(NEXT) | instid1(VALU_DEP_2)
	v_cmp_eq_f32_e32 vcc_lo, s3, v10
	v_cmp_eq_f32_e64 s1, s6, v9
	s_and_not1_b32 s9, s9, exec_lo
	s_and_b32 s1, vcc_lo, s1
	s_delay_alu instid0(SALU_CYCLE_1) | instskip(NEXT) | instid1(SALU_CYCLE_1)
	s_and_b32 s1, s1, exec_lo
	s_or_b32 s9, s9, s1
.LBB171_152:
	s_delay_alu instid0(SALU_CYCLE_1)
	v_cndmask_b32_e64 v10, 0, 1, s9
.LBB171_153:
	s_or_b32 exec_lo, exec_lo, s7
	v_or_b32_e32 v9, 0xe00, v0
	s_delay_alu instid0(VALU_DEP_1)
	v_cmp_gt_i32_e32 vcc_lo, s8, v9
                                        ; implicit-def: $vgpr9
	s_and_saveexec_b32 s7, vcc_lo
	s_cbranch_execz .LBB171_158
; %bb.154:
	v_cmp_ne_u32_e32 vcc_lo, 1, v5
	v_lshlrev_b32_e32 v9, 16, v8
	v_and_b32_e32 v8, 0xffff0000, v8
	s_cbranch_vccnz .LBB171_226
; %bb.155:
	s_delay_alu instid0(VALU_DEP_2) | instskip(NEXT) | instid1(VALU_DEP_2)
	v_cmp_neq_f32_e32 vcc_lo, s3, v9
	v_cmp_neq_f32_e64 s1, s6, v8
	s_or_b32 s9, vcc_lo, s1
	s_cbranch_execnz .LBB171_157
.LBB171_156:
	s_delay_alu instid0(VALU_DEP_2) | instskip(NEXT) | instid1(VALU_DEP_2)
	v_cmp_eq_f32_e32 vcc_lo, s3, v9
	v_cmp_eq_f32_e64 s1, s6, v8
	s_and_not1_b32 s9, s9, exec_lo
	s_and_b32 s1, vcc_lo, s1
	s_delay_alu instid0(SALU_CYCLE_1) | instskip(NEXT) | instid1(SALU_CYCLE_1)
	s_and_b32 s1, s1, exec_lo
	s_or_b32 s9, s9, s1
.LBB171_157:
	s_delay_alu instid0(SALU_CYCLE_1)
	v_cndmask_b32_e64 v9, 0, 1, s9
.LBB171_158:
	s_or_b32 exec_lo, exec_lo, s7
	v_or_b32_e32 v8, 0xf00, v0
	s_delay_alu instid0(VALU_DEP_1)
	v_cmp_gt_i32_e32 vcc_lo, s8, v8
                                        ; implicit-def: $vgpr8
	s_and_saveexec_b32 s7, vcc_lo
	s_cbranch_execz .LBB171_163
; %bb.159:
	v_cmp_ne_u32_e32 vcc_lo, 1, v5
	v_lshlrev_b32_e32 v5, 16, v7
	v_and_b32_e32 v7, 0xffff0000, v7
	s_cbranch_vccnz .LBB171_227
; %bb.160:
	s_delay_alu instid0(VALU_DEP_2) | instskip(NEXT) | instid1(VALU_DEP_2)
	v_cmp_neq_f32_e32 vcc_lo, s3, v5
	v_cmp_neq_f32_e64 s1, s6, v7
	s_or_b32 s9, vcc_lo, s1
	s_cbranch_execnz .LBB171_162
.LBB171_161:
	s_delay_alu instid0(VALU_DEP_2) | instskip(NEXT) | instid1(VALU_DEP_2)
	v_cmp_eq_f32_e32 vcc_lo, s3, v5
	v_cmp_eq_f32_e64 s1, s6, v7
	s_and_not1_b32 s3, s9, exec_lo
	s_and_b32 s1, vcc_lo, s1
	s_delay_alu instid0(SALU_CYCLE_1) | instskip(NEXT) | instid1(SALU_CYCLE_1)
	s_and_b32 s1, s1, exec_lo
	s_or_b32 s9, s3, s1
.LBB171_162:
	s_delay_alu instid0(SALU_CYCLE_1)
	v_cndmask_b32_e64 v8, 0, 1, s9
.LBB171_163:
	s_or_b32 exec_lo, exec_lo, s7
	s_and_saveexec_b32 s1, s0
	s_delay_alu instid0(SALU_CYCLE_1)
	s_xor_b32 s0, exec_lo, s1
	s_cbranch_execz .LBB171_165
; %bb.164:
	v_mov_b32_e32 v0, v6
	global_store_b8 v1, v2, s[4:5]
.LBB171_165:
	s_wait_xcnt 0x0
	s_or_b32 exec_lo, exec_lo, s0
	s_delay_alu instid0(SALU_CYCLE_1)
	s_mov_b32 s0, exec_lo
	v_cmpx_gt_i32_e64 s8, v0
	s_cbranch_execnz .LBB171_181
; %bb.166:
	s_or_b32 exec_lo, exec_lo, s0
	s_delay_alu instid0(SALU_CYCLE_1)
	s_mov_b32 s0, exec_lo
	v_cmpx_gt_i32_e64 s8, v0
	s_cbranch_execnz .LBB171_182
.LBB171_167:
	s_or_b32 exec_lo, exec_lo, s0
	s_delay_alu instid0(SALU_CYCLE_1)
	s_mov_b32 s0, exec_lo
	v_cmpx_gt_i32_e64 s8, v0
	s_cbranch_execnz .LBB171_183
.LBB171_168:
	s_or_b32 exec_lo, exec_lo, s0
	s_delay_alu instid0(SALU_CYCLE_1)
	s_mov_b32 s0, exec_lo
	v_cmpx_gt_i32_e64 s8, v0
	s_cbranch_execnz .LBB171_184
.LBB171_169:
	s_or_b32 exec_lo, exec_lo, s0
	s_delay_alu instid0(SALU_CYCLE_1)
	s_mov_b32 s0, exec_lo
	v_cmpx_gt_i32_e64 s8, v0
	s_cbranch_execnz .LBB171_185
.LBB171_170:
	s_or_b32 exec_lo, exec_lo, s0
	s_delay_alu instid0(SALU_CYCLE_1)
	s_mov_b32 s0, exec_lo
	v_cmpx_gt_i32_e64 s8, v0
	s_cbranch_execnz .LBB171_186
.LBB171_171:
	s_or_b32 exec_lo, exec_lo, s0
	s_delay_alu instid0(SALU_CYCLE_1)
	s_mov_b32 s0, exec_lo
	v_cmpx_gt_i32_e64 s8, v0
	s_cbranch_execnz .LBB171_187
.LBB171_172:
	s_or_b32 exec_lo, exec_lo, s0
	s_delay_alu instid0(SALU_CYCLE_1)
	s_mov_b32 s0, exec_lo
	v_cmpx_gt_i32_e64 s8, v0
	s_cbranch_execnz .LBB171_188
.LBB171_173:
	s_or_b32 exec_lo, exec_lo, s0
	s_delay_alu instid0(SALU_CYCLE_1)
	s_mov_b32 s0, exec_lo
	v_cmpx_gt_i32_e64 s8, v0
	s_cbranch_execnz .LBB171_189
.LBB171_174:
	s_or_b32 exec_lo, exec_lo, s0
	s_delay_alu instid0(SALU_CYCLE_1)
	s_mov_b32 s0, exec_lo
	v_cmpx_gt_i32_e64 s8, v0
	s_cbranch_execnz .LBB171_190
.LBB171_175:
	s_or_b32 exec_lo, exec_lo, s0
	s_delay_alu instid0(SALU_CYCLE_1)
	s_mov_b32 s0, exec_lo
	v_cmpx_gt_i32_e64 s8, v0
	s_cbranch_execnz .LBB171_191
.LBB171_176:
	s_or_b32 exec_lo, exec_lo, s0
	s_delay_alu instid0(SALU_CYCLE_1)
	s_mov_b32 s0, exec_lo
	v_cmpx_gt_i32_e64 s8, v0
	s_cbranch_execnz .LBB171_192
.LBB171_177:
	s_or_b32 exec_lo, exec_lo, s0
	s_delay_alu instid0(SALU_CYCLE_1)
	s_mov_b32 s0, exec_lo
	v_cmpx_gt_i32_e64 s8, v0
	s_cbranch_execnz .LBB171_193
.LBB171_178:
	s_or_b32 exec_lo, exec_lo, s0
	s_delay_alu instid0(SALU_CYCLE_1)
	s_mov_b32 s0, exec_lo
	v_cmpx_gt_i32_e64 s8, v0
	s_cbranch_execnz .LBB171_194
.LBB171_179:
	s_or_b32 exec_lo, exec_lo, s0
	s_delay_alu instid0(SALU_CYCLE_1)
	s_mov_b32 s0, exec_lo
	v_cmpx_gt_i32_e64 s8, v0
	s_cbranch_execz .LBB171_195
.LBB171_180:
	v_add_nc_u32_e32 v0, s2, v0
	global_store_b8 v0, v8, s[4:5]
	s_endpgm
.LBB171_181:
	v_add_nc_u32_e32 v1, s2, v0
	v_add_nc_u32_e32 v0, 0x100, v0
	global_store_b8 v1, v4, s[4:5]
	s_wait_xcnt 0x0
	s_or_b32 exec_lo, exec_lo, s0
	s_delay_alu instid0(SALU_CYCLE_1)
	s_mov_b32 s0, exec_lo
	v_cmpx_gt_i32_e64 s8, v0
	s_cbranch_execz .LBB171_167
.LBB171_182:
	v_add_nc_u32_e32 v1, s2, v0
	v_add_nc_u32_e32 v0, 0x100, v0
	global_store_b8 v1, v19, s[4:5]
	s_wait_xcnt 0x0
	s_or_b32 exec_lo, exec_lo, s0
	s_delay_alu instid0(SALU_CYCLE_1)
	s_mov_b32 s0, exec_lo
	v_cmpx_gt_i32_e64 s8, v0
	s_cbranch_execz .LBB171_168
.LBB171_183:
	v_add_nc_u32_e32 v1, s2, v0
	v_add_nc_u32_e32 v0, 0x100, v0
	global_store_b8 v1, v3, s[4:5]
	s_wait_xcnt 0x0
	s_or_b32 exec_lo, exec_lo, s0
	s_delay_alu instid0(SALU_CYCLE_1)
	s_mov_b32 s0, exec_lo
	v_cmpx_gt_i32_e64 s8, v0
	s_cbranch_execz .LBB171_169
.LBB171_184:
	v_add_nc_u32_e32 v1, s2, v0
	v_add_nc_u32_e32 v0, 0x100, v0
	global_store_b8 v1, v20, s[4:5]
	s_wait_xcnt 0x0
	s_or_b32 exec_lo, exec_lo, s0
	s_delay_alu instid0(SALU_CYCLE_1)
	s_mov_b32 s0, exec_lo
	v_cmpx_gt_i32_e64 s8, v0
	s_cbranch_execz .LBB171_170
.LBB171_185:
	v_add_nc_u32_e32 v1, s2, v0
	v_add_nc_u32_e32 v0, 0x100, v0
	global_store_b8 v1, v18, s[4:5]
	s_wait_xcnt 0x0
	s_or_b32 exec_lo, exec_lo, s0
	s_delay_alu instid0(SALU_CYCLE_1)
	s_mov_b32 s0, exec_lo
	v_cmpx_gt_i32_e64 s8, v0
	s_cbranch_execz .LBB171_171
.LBB171_186:
	v_add_nc_u32_e32 v1, s2, v0
	v_add_nc_u32_e32 v0, 0x100, v0
	global_store_b8 v1, v17, s[4:5]
	s_wait_xcnt 0x0
	s_or_b32 exec_lo, exec_lo, s0
	s_delay_alu instid0(SALU_CYCLE_1)
	s_mov_b32 s0, exec_lo
	v_cmpx_gt_i32_e64 s8, v0
	s_cbranch_execz .LBB171_172
.LBB171_187:
	v_add_nc_u32_e32 v1, s2, v0
	v_add_nc_u32_e32 v0, 0x100, v0
	global_store_b8 v1, v16, s[4:5]
	s_wait_xcnt 0x0
	s_or_b32 exec_lo, exec_lo, s0
	s_delay_alu instid0(SALU_CYCLE_1)
	s_mov_b32 s0, exec_lo
	v_cmpx_gt_i32_e64 s8, v0
	s_cbranch_execz .LBB171_173
.LBB171_188:
	v_add_nc_u32_e32 v1, s2, v0
	v_add_nc_u32_e32 v0, 0x100, v0
	global_store_b8 v1, v15, s[4:5]
	s_wait_xcnt 0x0
	s_or_b32 exec_lo, exec_lo, s0
	s_delay_alu instid0(SALU_CYCLE_1)
	s_mov_b32 s0, exec_lo
	v_cmpx_gt_i32_e64 s8, v0
	s_cbranch_execz .LBB171_174
.LBB171_189:
	v_add_nc_u32_e32 v1, s2, v0
	v_add_nc_u32_e32 v0, 0x100, v0
	global_store_b8 v1, v14, s[4:5]
	s_wait_xcnt 0x0
	s_or_b32 exec_lo, exec_lo, s0
	s_delay_alu instid0(SALU_CYCLE_1)
	s_mov_b32 s0, exec_lo
	v_cmpx_gt_i32_e64 s8, v0
	s_cbranch_execz .LBB171_175
.LBB171_190:
	v_add_nc_u32_e32 v1, s2, v0
	v_add_nc_u32_e32 v0, 0x100, v0
	global_store_b8 v1, v13, s[4:5]
	s_wait_xcnt 0x0
	s_or_b32 exec_lo, exec_lo, s0
	s_delay_alu instid0(SALU_CYCLE_1)
	s_mov_b32 s0, exec_lo
	v_cmpx_gt_i32_e64 s8, v0
	s_cbranch_execz .LBB171_176
.LBB171_191:
	v_add_nc_u32_e32 v1, s2, v0
	v_add_nc_u32_e32 v0, 0x100, v0
	global_store_b8 v1, v12, s[4:5]
	s_wait_xcnt 0x0
	s_or_b32 exec_lo, exec_lo, s0
	s_delay_alu instid0(SALU_CYCLE_1)
	s_mov_b32 s0, exec_lo
	v_cmpx_gt_i32_e64 s8, v0
	s_cbranch_execz .LBB171_177
.LBB171_192:
	v_add_nc_u32_e32 v1, s2, v0
	v_add_nc_u32_e32 v0, 0x100, v0
	global_store_b8 v1, v11, s[4:5]
	s_wait_xcnt 0x0
	s_or_b32 exec_lo, exec_lo, s0
	s_delay_alu instid0(SALU_CYCLE_1)
	s_mov_b32 s0, exec_lo
	v_cmpx_gt_i32_e64 s8, v0
	s_cbranch_execz .LBB171_178
.LBB171_193:
	v_add_nc_u32_e32 v1, s2, v0
	v_add_nc_u32_e32 v0, 0x100, v0
	global_store_b8 v1, v10, s[4:5]
	s_wait_xcnt 0x0
	s_or_b32 exec_lo, exec_lo, s0
	s_delay_alu instid0(SALU_CYCLE_1)
	s_mov_b32 s0, exec_lo
	v_cmpx_gt_i32_e64 s8, v0
	s_cbranch_execz .LBB171_179
.LBB171_194:
	v_add_nc_u32_e32 v1, s2, v0
	v_add_nc_u32_e32 v0, 0x100, v0
	global_store_b8 v1, v9, s[4:5]
	s_wait_xcnt 0x0
	s_or_b32 exec_lo, exec_lo, s0
	s_delay_alu instid0(SALU_CYCLE_1)
	s_mov_b32 s0, exec_lo
	v_cmpx_gt_i32_e64 s8, v0
	s_cbranch_execnz .LBB171_180
.LBB171_195:
	s_endpgm
.LBB171_196:
	s_wait_xcnt 0x0
                                        ; implicit-def: $sgpr1
	s_branch .LBB171_3
.LBB171_197:
                                        ; implicit-def: $sgpr13
	s_branch .LBB171_6
.LBB171_198:
                                        ; implicit-def: $sgpr14
	s_branch .LBB171_9
.LBB171_199:
                                        ; implicit-def: $sgpr15
	s_branch .LBB171_12
.LBB171_200:
                                        ; implicit-def: $sgpr16
	s_branch .LBB171_15
.LBB171_201:
                                        ; implicit-def: $sgpr17
	s_branch .LBB171_18
.LBB171_202:
                                        ; implicit-def: $sgpr18
	s_branch .LBB171_21
.LBB171_203:
                                        ; implicit-def: $sgpr19
	s_branch .LBB171_24
.LBB171_204:
                                        ; implicit-def: $sgpr20
	s_branch .LBB171_27
.LBB171_205:
                                        ; implicit-def: $sgpr21
	s_branch .LBB171_30
.LBB171_206:
                                        ; implicit-def: $sgpr22
	s_branch .LBB171_33
.LBB171_207:
                                        ; implicit-def: $sgpr23
	s_branch .LBB171_36
.LBB171_208:
                                        ; implicit-def: $sgpr24
	s_branch .LBB171_39
.LBB171_209:
                                        ; implicit-def: $sgpr25
	s_branch .LBB171_42
.LBB171_210:
                                        ; implicit-def: $sgpr26
	s_branch .LBB171_45
.LBB171_211:
                                        ; implicit-def: $sgpr27
	s_branch .LBB171_48
.LBB171_212:
                                        ; implicit-def: $sgpr10
	s_branch .LBB171_86
.LBB171_213:
                                        ; implicit-def: $sgpr7
	s_branch .LBB171_91
.LBB171_214:
                                        ; implicit-def: $sgpr9
	s_branch .LBB171_96
.LBB171_215:
                                        ; implicit-def: $sgpr9
	s_branch .LBB171_101
.LBB171_216:
                                        ; implicit-def: $sgpr9
	s_branch .LBB171_106
.LBB171_217:
                                        ; implicit-def: $sgpr9
	s_branch .LBB171_111
.LBB171_218:
                                        ; implicit-def: $sgpr9
	s_branch .LBB171_116
.LBB171_219:
                                        ; implicit-def: $sgpr9
	s_branch .LBB171_121
.LBB171_220:
                                        ; implicit-def: $sgpr9
	s_branch .LBB171_126
.LBB171_221:
                                        ; implicit-def: $sgpr9
	s_branch .LBB171_131
.LBB171_222:
                                        ; implicit-def: $sgpr9
	s_branch .LBB171_136
.LBB171_223:
                                        ; implicit-def: $sgpr9
	s_branch .LBB171_141
.LBB171_224:
                                        ; implicit-def: $sgpr9
	s_branch .LBB171_146
.LBB171_225:
                                        ; implicit-def: $sgpr9
	s_branch .LBB171_151
.LBB171_226:
                                        ; implicit-def: $sgpr9
	s_branch .LBB171_156
.LBB171_227:
                                        ; implicit-def: $sgpr9
	s_branch .LBB171_161
	.section	.rodata,"a",@progbits
	.p2align	6, 0x0
	.amdhsa_kernel _ZN2at6native29vectorized_elementwise_kernelILi2ENS0_13AUnaryFunctorIN3c107complexINS3_8BFloat16EEES6_bNS0_12_GLOBAL__N_116CompareEqFunctorIS6_EEEESt5arrayIPcLm2EEEEviT0_T1_
		.amdhsa_group_segment_fixed_size 0
		.amdhsa_private_segment_fixed_size 0
		.amdhsa_kernarg_size 32
		.amdhsa_user_sgpr_count 2
		.amdhsa_user_sgpr_dispatch_ptr 0
		.amdhsa_user_sgpr_queue_ptr 0
		.amdhsa_user_sgpr_kernarg_segment_ptr 1
		.amdhsa_user_sgpr_dispatch_id 0
		.amdhsa_user_sgpr_kernarg_preload_length 0
		.amdhsa_user_sgpr_kernarg_preload_offset 0
		.amdhsa_user_sgpr_private_segment_size 0
		.amdhsa_wavefront_size32 1
		.amdhsa_uses_dynamic_stack 0
		.amdhsa_enable_private_segment 0
		.amdhsa_system_sgpr_workgroup_id_x 1
		.amdhsa_system_sgpr_workgroup_id_y 0
		.amdhsa_system_sgpr_workgroup_id_z 0
		.amdhsa_system_sgpr_workgroup_info 0
		.amdhsa_system_vgpr_workitem_id 0
		.amdhsa_next_free_vgpr 22
		.amdhsa_next_free_sgpr 28
		.amdhsa_named_barrier_count 0
		.amdhsa_reserve_vcc 1
		.amdhsa_float_round_mode_32 0
		.amdhsa_float_round_mode_16_64 0
		.amdhsa_float_denorm_mode_32 3
		.amdhsa_float_denorm_mode_16_64 3
		.amdhsa_fp16_overflow 0
		.amdhsa_memory_ordered 1
		.amdhsa_forward_progress 1
		.amdhsa_inst_pref_size 51
		.amdhsa_round_robin_scheduling 0
		.amdhsa_exception_fp_ieee_invalid_op 0
		.amdhsa_exception_fp_denorm_src 0
		.amdhsa_exception_fp_ieee_div_zero 0
		.amdhsa_exception_fp_ieee_overflow 0
		.amdhsa_exception_fp_ieee_underflow 0
		.amdhsa_exception_fp_ieee_inexact 0
		.amdhsa_exception_int_div_zero 0
	.end_amdhsa_kernel
	.section	.text._ZN2at6native29vectorized_elementwise_kernelILi2ENS0_13AUnaryFunctorIN3c107complexINS3_8BFloat16EEES6_bNS0_12_GLOBAL__N_116CompareEqFunctorIS6_EEEESt5arrayIPcLm2EEEEviT0_T1_,"axG",@progbits,_ZN2at6native29vectorized_elementwise_kernelILi2ENS0_13AUnaryFunctorIN3c107complexINS3_8BFloat16EEES6_bNS0_12_GLOBAL__N_116CompareEqFunctorIS6_EEEESt5arrayIPcLm2EEEEviT0_T1_,comdat
.Lfunc_end171:
	.size	_ZN2at6native29vectorized_elementwise_kernelILi2ENS0_13AUnaryFunctorIN3c107complexINS3_8BFloat16EEES6_bNS0_12_GLOBAL__N_116CompareEqFunctorIS6_EEEESt5arrayIPcLm2EEEEviT0_T1_, .Lfunc_end171-_ZN2at6native29vectorized_elementwise_kernelILi2ENS0_13AUnaryFunctorIN3c107complexINS3_8BFloat16EEES6_bNS0_12_GLOBAL__N_116CompareEqFunctorIS6_EEEESt5arrayIPcLm2EEEEviT0_T1_
                                        ; -- End function
	.set _ZN2at6native29vectorized_elementwise_kernelILi2ENS0_13AUnaryFunctorIN3c107complexINS3_8BFloat16EEES6_bNS0_12_GLOBAL__N_116CompareEqFunctorIS6_EEEESt5arrayIPcLm2EEEEviT0_T1_.num_vgpr, 22
	.set _ZN2at6native29vectorized_elementwise_kernelILi2ENS0_13AUnaryFunctorIN3c107complexINS3_8BFloat16EEES6_bNS0_12_GLOBAL__N_116CompareEqFunctorIS6_EEEESt5arrayIPcLm2EEEEviT0_T1_.num_agpr, 0
	.set _ZN2at6native29vectorized_elementwise_kernelILi2ENS0_13AUnaryFunctorIN3c107complexINS3_8BFloat16EEES6_bNS0_12_GLOBAL__N_116CompareEqFunctorIS6_EEEESt5arrayIPcLm2EEEEviT0_T1_.numbered_sgpr, 28
	.set _ZN2at6native29vectorized_elementwise_kernelILi2ENS0_13AUnaryFunctorIN3c107complexINS3_8BFloat16EEES6_bNS0_12_GLOBAL__N_116CompareEqFunctorIS6_EEEESt5arrayIPcLm2EEEEviT0_T1_.num_named_barrier, 0
	.set _ZN2at6native29vectorized_elementwise_kernelILi2ENS0_13AUnaryFunctorIN3c107complexINS3_8BFloat16EEES6_bNS0_12_GLOBAL__N_116CompareEqFunctorIS6_EEEESt5arrayIPcLm2EEEEviT0_T1_.private_seg_size, 0
	.set _ZN2at6native29vectorized_elementwise_kernelILi2ENS0_13AUnaryFunctorIN3c107complexINS3_8BFloat16EEES6_bNS0_12_GLOBAL__N_116CompareEqFunctorIS6_EEEESt5arrayIPcLm2EEEEviT0_T1_.uses_vcc, 1
	.set _ZN2at6native29vectorized_elementwise_kernelILi2ENS0_13AUnaryFunctorIN3c107complexINS3_8BFloat16EEES6_bNS0_12_GLOBAL__N_116CompareEqFunctorIS6_EEEESt5arrayIPcLm2EEEEviT0_T1_.uses_flat_scratch, 0
	.set _ZN2at6native29vectorized_elementwise_kernelILi2ENS0_13AUnaryFunctorIN3c107complexINS3_8BFloat16EEES6_bNS0_12_GLOBAL__N_116CompareEqFunctorIS6_EEEESt5arrayIPcLm2EEEEviT0_T1_.has_dyn_sized_stack, 0
	.set _ZN2at6native29vectorized_elementwise_kernelILi2ENS0_13AUnaryFunctorIN3c107complexINS3_8BFloat16EEES6_bNS0_12_GLOBAL__N_116CompareEqFunctorIS6_EEEESt5arrayIPcLm2EEEEviT0_T1_.has_recursion, 0
	.set _ZN2at6native29vectorized_elementwise_kernelILi2ENS0_13AUnaryFunctorIN3c107complexINS3_8BFloat16EEES6_bNS0_12_GLOBAL__N_116CompareEqFunctorIS6_EEEESt5arrayIPcLm2EEEEviT0_T1_.has_indirect_call, 0
	.section	.AMDGPU.csdata,"",@progbits
; Kernel info:
; codeLenInByte = 6412
; TotalNumSgprs: 30
; NumVgprs: 22
; ScratchSize: 0
; MemoryBound: 0
; FloatMode: 240
; IeeeMode: 1
; LDSByteSize: 0 bytes/workgroup (compile time only)
; SGPRBlocks: 0
; VGPRBlocks: 1
; NumSGPRsForWavesPerEU: 30
; NumVGPRsForWavesPerEU: 22
; NamedBarCnt: 0
; Occupancy: 16
; WaveLimiterHint : 1
; COMPUTE_PGM_RSRC2:SCRATCH_EN: 0
; COMPUTE_PGM_RSRC2:USER_SGPR: 2
; COMPUTE_PGM_RSRC2:TRAP_HANDLER: 0
; COMPUTE_PGM_RSRC2:TGID_X_EN: 1
; COMPUTE_PGM_RSRC2:TGID_Y_EN: 0
; COMPUTE_PGM_RSRC2:TGID_Z_EN: 0
; COMPUTE_PGM_RSRC2:TIDIG_COMP_CNT: 0
	.section	.text._ZN2at6native27unrolled_elementwise_kernelINS0_13AUnaryFunctorIN3c107complexINS3_8BFloat16EEES6_bNS0_12_GLOBAL__N_116CompareEqFunctorIS6_EEEESt5arrayIPcLm2EELi4E23TrivialOffsetCalculatorILi1EjESF_NS0_6memory15LoadWithoutCastENSG_16StoreWithoutCastEEEviT_T0_T2_T3_T4_T5_,"axG",@progbits,_ZN2at6native27unrolled_elementwise_kernelINS0_13AUnaryFunctorIN3c107complexINS3_8BFloat16EEES6_bNS0_12_GLOBAL__N_116CompareEqFunctorIS6_EEEESt5arrayIPcLm2EELi4E23TrivialOffsetCalculatorILi1EjESF_NS0_6memory15LoadWithoutCastENSG_16StoreWithoutCastEEEviT_T0_T2_T3_T4_T5_,comdat
	.globl	_ZN2at6native27unrolled_elementwise_kernelINS0_13AUnaryFunctorIN3c107complexINS3_8BFloat16EEES6_bNS0_12_GLOBAL__N_116CompareEqFunctorIS6_EEEESt5arrayIPcLm2EELi4E23TrivialOffsetCalculatorILi1EjESF_NS0_6memory15LoadWithoutCastENSG_16StoreWithoutCastEEEviT_T0_T2_T3_T4_T5_ ; -- Begin function _ZN2at6native27unrolled_elementwise_kernelINS0_13AUnaryFunctorIN3c107complexINS3_8BFloat16EEES6_bNS0_12_GLOBAL__N_116CompareEqFunctorIS6_EEEESt5arrayIPcLm2EELi4E23TrivialOffsetCalculatorILi1EjESF_NS0_6memory15LoadWithoutCastENSG_16StoreWithoutCastEEEviT_T0_T2_T3_T4_T5_
	.p2align	8
	.type	_ZN2at6native27unrolled_elementwise_kernelINS0_13AUnaryFunctorIN3c107complexINS3_8BFloat16EEES6_bNS0_12_GLOBAL__N_116CompareEqFunctorIS6_EEEESt5arrayIPcLm2EELi4E23TrivialOffsetCalculatorILi1EjESF_NS0_6memory15LoadWithoutCastENSG_16StoreWithoutCastEEEviT_T0_T2_T3_T4_T5_,@function
_ZN2at6native27unrolled_elementwise_kernelINS0_13AUnaryFunctorIN3c107complexINS3_8BFloat16EEES6_bNS0_12_GLOBAL__N_116CompareEqFunctorIS6_EEEESt5arrayIPcLm2EELi4E23TrivialOffsetCalculatorILi1EjESF_NS0_6memory15LoadWithoutCastENSG_16StoreWithoutCastEEEviT_T0_T2_T3_T4_T5_: ; @_ZN2at6native27unrolled_elementwise_kernelINS0_13AUnaryFunctorIN3c107complexINS3_8BFloat16EEES6_bNS0_12_GLOBAL__N_116CompareEqFunctorIS6_EEEESt5arrayIPcLm2EELi4E23TrivialOffsetCalculatorILi1EjESF_NS0_6memory15LoadWithoutCastENSG_16StoreWithoutCastEEEviT_T0_T2_T3_T4_T5_
; %bb.0:
	s_clause 0x1
	s_load_b96 s[8:10], s[0:1], 0x0
	s_load_b128 s[4:7], s[0:1], 0x10
	s_bfe_u32 s3, ttmp6, 0x4000c
	s_and_b32 s2, ttmp6, 15
	s_add_co_i32 s3, s3, 1
	s_getreg_b32 s11, hwreg(HW_REG_IB_STS2, 6, 4)
	s_wait_xcnt 0x0
	s_mul_i32 s0, ttmp9, s3
	v_dual_mov_b32 v1, 0 :: v_dual_mov_b32 v4, 0
	s_add_co_i32 s2, s2, s0
	s_cmp_eq_u32 s11, 0
	v_dual_mov_b32 v5, 0 :: v_dual_mov_b32 v6, 0
	s_cselect_b32 s0, ttmp9, s2
	v_or_b32_e32 v2, 0x100, v0
	s_lshl_b32 s2, s0, 10
	s_delay_alu instid0(SALU_CYCLE_1) | instskip(SKIP_2) | instid1(SALU_CYCLE_1)
	v_dual_mov_b32 v7, 0 :: v_dual_bitop2_b32 v3, s2, v0 bitop3:0x54
	s_wait_kmcnt 0x0
	s_sub_co_i32 s3, s8, s2
	v_cmp_gt_i32_e64 s0, s3, v0
	s_and_saveexec_b32 s1, s0
	s_cbranch_execz .LBB172_8
; %bb.1:
	global_load_b32 v7, v3, s[6:7] scale_offset
	v_or_b32_e32 v8, 0x100, v0
	v_dual_mov_b32 v6, 0 :: v_dual_mov_b32 v5, 0
	v_mov_b32_e32 v4, 0
	s_mov_b32 s8, exec_lo
	s_wait_xcnt 0x0
	v_cmpx_gt_u32_e64 s3, v8
	s_cbranch_execz .LBB172_7
; %bb.2:
	v_dual_mov_b32 v5, 0 :: v_dual_add_nc_u32 v4, s2, v8
	v_or_b32_e32 v8, 0x200, v0
	s_mov_b32 s11, exec_lo
	global_load_b32 v6, v4, s[6:7] scale_offset
	s_wait_xcnt 0x0
	v_mov_b32_e32 v4, 0
	v_cmpx_gt_u32_e64 s3, v8
	s_cbranch_execz .LBB172_6
; %bb.3:
	v_add_nc_u32_e32 v4, s2, v8
	v_or_b32_e32 v8, 0x300, v0
	s_mov_b32 s12, exec_lo
	global_load_b32 v5, v4, s[6:7] scale_offset
	s_wait_xcnt 0x0
	v_mov_b32_e32 v4, 0
	v_cmpx_gt_u32_e64 s3, v8
	s_cbranch_execz .LBB172_5
; %bb.4:
	v_add_nc_u32_e32 v4, s2, v8
	global_load_b32 v4, v4, s[6:7] scale_offset
.LBB172_5:
	s_wait_xcnt 0x0
	s_or_b32 exec_lo, exec_lo, s12
.LBB172_6:
	s_delay_alu instid0(SALU_CYCLE_1)
	s_or_b32 exec_lo, exec_lo, s11
.LBB172_7:
	s_delay_alu instid0(SALU_CYCLE_1)
	s_or_b32 exec_lo, exec_lo, s8
.LBB172_8:
	s_delay_alu instid0(SALU_CYCLE_1)
	s_or_b32 exec_lo, exec_lo, s1
	s_cmp_lg_u32 s9, 0
	s_cselect_b32 s8, -1, 0
	s_lshl_b32 s6, s10, 16
	s_and_b32 s7, s10, 0xffff0000
	s_and_saveexec_b32 s9, s0
	s_cbranch_execz .LBB172_13
; %bb.9:
	s_wait_loadcnt 0x0
	v_lshlrev_b32_e32 v1, 16, v7
	v_and_b32_e32 v7, 0xffff0000, v7
	s_and_b32 vcc_lo, exec_lo, s8
	s_cbranch_vccz .LBB172_37
; %bb.10:
	s_delay_alu instid0(VALU_DEP_2) | instskip(NEXT) | instid1(VALU_DEP_2)
	v_cmp_neq_f32_e32 vcc_lo, s6, v1
	v_cmp_neq_f32_e64 s1, s7, v7
	s_or_b32 s10, vcc_lo, s1
	s_cbranch_execnz .LBB172_12
.LBB172_11:
	v_cmp_eq_f32_e32 vcc_lo, s6, v1
	v_cmp_eq_f32_e64 s1, s7, v7
	s_and_not1_b32 s10, s10, exec_lo
	s_and_b32 s1, vcc_lo, s1
	s_delay_alu instid0(SALU_CYCLE_1) | instskip(NEXT) | instid1(SALU_CYCLE_1)
	s_and_b32 s1, s1, exec_lo
	s_or_b32 s10, s10, s1
.LBB172_12:
	s_delay_alu instid0(SALU_CYCLE_1)
	v_cndmask_b32_e64 v1, 0, 1, s10
.LBB172_13:
	s_or_b32 exec_lo, exec_lo, s9
	s_wait_loadcnt 0x0
	v_cndmask_b32_e64 v7, 0, 1, s8
	s_mov_b32 s9, exec_lo
	v_cmpx_gt_i32_e64 s3, v2
	s_cbranch_execz .LBB172_18
; %bb.14:
	v_lshlrev_b32_e32 v8, 16, v6
	v_and_b32_e32 v6, 0xffff0000, v6
	s_and_not1_b32 vcc_lo, exec_lo, s8
	s_cbranch_vccnz .LBB172_38
; %bb.15:
	s_delay_alu instid0(VALU_DEP_2) | instskip(NEXT) | instid1(VALU_DEP_2)
	v_cmp_neq_f32_e32 vcc_lo, s6, v8
	v_cmp_neq_f32_e64 s1, s7, v6
	s_or_b32 s8, vcc_lo, s1
	s_cbranch_execnz .LBB172_17
.LBB172_16:
	v_cmp_eq_f32_e32 vcc_lo, s6, v8
	v_cmp_eq_f32_e64 s1, s7, v6
	s_and_not1_b32 s8, s8, exec_lo
	s_and_b32 s1, vcc_lo, s1
	s_delay_alu instid0(SALU_CYCLE_1) | instskip(NEXT) | instid1(SALU_CYCLE_1)
	s_and_b32 s1, s1, exec_lo
	s_or_b32 s8, s8, s1
.LBB172_17:
	s_delay_alu instid0(SALU_CYCLE_1) | instskip(NEXT) | instid1(VALU_DEP_1)
	v_cndmask_b32_e64 v6, 0, 1, s8
	v_lshlrev_b16 v6, 8, v6
	s_delay_alu instid0(VALU_DEP_1) | instskip(NEXT) | instid1(VALU_DEP_1)
	v_or_b32_e32 v1, v1, v6
	v_and_b32_e32 v1, 0xffff, v1
.LBB172_18:
	s_or_b32 exec_lo, exec_lo, s9
	v_or_b32_e32 v6, 0x200, v0
	s_mov_b32 s8, exec_lo
	s_delay_alu instid0(VALU_DEP_1)
	v_cmpx_gt_i32_e64 s3, v6
	s_cbranch_execz .LBB172_23
; %bb.19:
	v_cmp_ne_u32_e32 vcc_lo, 1, v7
	v_lshlrev_b32_e32 v6, 16, v5
	v_and_b32_e32 v5, 0xffff0000, v5
	s_cbranch_vccnz .LBB172_39
; %bb.20:
	s_delay_alu instid0(VALU_DEP_2) | instskip(NEXT) | instid1(VALU_DEP_2)
	v_cmp_neq_f32_e32 vcc_lo, s6, v6
	v_cmp_neq_f32_e64 s1, s7, v5
	s_or_b32 s9, vcc_lo, s1
	s_cbranch_execnz .LBB172_22
.LBB172_21:
	s_delay_alu instid0(VALU_DEP_2) | instskip(NEXT) | instid1(VALU_DEP_2)
	v_cmp_eq_f32_e32 vcc_lo, s6, v6
	v_cmp_eq_f32_e64 s1, s7, v5
	s_and_not1_b32 s9, s9, exec_lo
	s_and_b32 s1, vcc_lo, s1
	s_delay_alu instid0(SALU_CYCLE_1) | instskip(NEXT) | instid1(SALU_CYCLE_1)
	s_and_b32 s1, s1, exec_lo
	s_or_b32 s9, s9, s1
.LBB172_22:
	s_delay_alu instid0(SALU_CYCLE_1) | instskip(NEXT) | instid1(VALU_DEP_1)
	v_cndmask_b32_e64 v5, 0, 1, s9
	v_lshl_or_b32 v1, v5, 16, v1
.LBB172_23:
	s_or_b32 exec_lo, exec_lo, s8
	v_or_b32_e32 v5, 0x300, v0
	s_mov_b32 s8, exec_lo
	s_delay_alu instid0(VALU_DEP_1)
	v_cmpx_gt_i32_e64 s3, v5
	s_cbranch_execz .LBB172_28
; %bb.24:
	v_cmp_ne_u32_e32 vcc_lo, 1, v7
	v_lshlrev_b32_e32 v5, 16, v4
	v_and_b32_e32 v4, 0xffff0000, v4
	s_cbranch_vccnz .LBB172_40
; %bb.25:
	s_delay_alu instid0(VALU_DEP_2) | instskip(NEXT) | instid1(VALU_DEP_2)
	v_cmp_neq_f32_e32 vcc_lo, s6, v5
	v_cmp_neq_f32_e64 s1, s7, v4
	s_or_b32 s9, vcc_lo, s1
	s_cbranch_execnz .LBB172_27
.LBB172_26:
	s_delay_alu instid0(VALU_DEP_2) | instskip(NEXT) | instid1(VALU_DEP_2)
	v_cmp_eq_f32_e32 vcc_lo, s6, v5
	v_cmp_eq_f32_e64 s1, s7, v4
	s_and_not1_b32 s6, s9, exec_lo
	s_and_b32 s1, vcc_lo, s1
	s_delay_alu instid0(SALU_CYCLE_1) | instskip(NEXT) | instid1(SALU_CYCLE_1)
	s_and_b32 s1, s1, exec_lo
	s_or_b32 s9, s6, s1
.LBB172_27:
	s_delay_alu instid0(SALU_CYCLE_1) | instskip(SKIP_1) | instid1(VALU_DEP_2)
	v_cndmask_b32_e64 v4, 0, 1, s9
	v_lshrrev_b32_e32 v5, 16, v1
	v_lshlrev_b16 v4, 8, v4
	s_delay_alu instid0(VALU_DEP_1) | instskip(NEXT) | instid1(VALU_DEP_1)
	v_or_b32_e32 v4, v5, v4
	v_lshlrev_b32_e32 v4, 16, v4
	s_delay_alu instid0(VALU_DEP_1)
	v_and_or_b32 v1, 0xffff, v1, v4
.LBB172_28:
	s_or_b32 exec_lo, exec_lo, s8
	s_and_saveexec_b32 s1, s0
	s_delay_alu instid0(SALU_CYCLE_1)
	s_xor_b32 s0, exec_lo, s1
	s_cbranch_execz .LBB172_30
; %bb.29:
	v_mov_b32_e32 v0, v2
	global_store_b8 v3, v1, s[4:5]
.LBB172_30:
	s_wait_xcnt 0x0
	s_or_b32 exec_lo, exec_lo, s0
	s_delay_alu instid0(SALU_CYCLE_1)
	s_mov_b32 s0, exec_lo
	v_cmpx_gt_i32_e64 s3, v0
	s_cbranch_execnz .LBB172_34
; %bb.31:
	s_or_b32 exec_lo, exec_lo, s0
	s_delay_alu instid0(SALU_CYCLE_1)
	s_mov_b32 s0, exec_lo
	v_cmpx_gt_i32_e64 s3, v0
	s_cbranch_execnz .LBB172_35
.LBB172_32:
	s_or_b32 exec_lo, exec_lo, s0
	s_delay_alu instid0(SALU_CYCLE_1)
	s_mov_b32 s0, exec_lo
	v_cmpx_gt_i32_e64 s3, v0
	s_cbranch_execnz .LBB172_36
.LBB172_33:
	s_endpgm
.LBB172_34:
	v_add_nc_u32_e32 v2, 0x100, v0
	v_dual_add_nc_u32 v3, s2, v0 :: v_dual_lshrrev_b32 v4, 8, v1
	s_delay_alu instid0(VALU_DEP_2) | instskip(SKIP_3) | instid1(SALU_CYCLE_1)
	v_mov_b32_e32 v0, v2
	global_store_b8 v3, v4, s[4:5]
	s_wait_xcnt 0x0
	s_or_b32 exec_lo, exec_lo, s0
	s_mov_b32 s0, exec_lo
	v_cmpx_gt_i32_e64 s3, v0
	s_cbranch_execz .LBB172_32
.LBB172_35:
	v_add_nc_u32_e32 v2, 0x100, v0
	s_delay_alu instid0(VALU_DEP_1) | instskip(SKIP_3) | instid1(SALU_CYCLE_1)
	v_dual_mov_b32 v0, v2 :: v_dual_add_nc_u32 v3, s2, v0
	global_store_d16_hi_b8 v3, v1, s[4:5]
	s_wait_xcnt 0x0
	s_or_b32 exec_lo, exec_lo, s0
	s_mov_b32 s0, exec_lo
	v_cmpx_gt_i32_e64 s3, v0
	s_cbranch_execz .LBB172_33
.LBB172_36:
	v_dual_add_nc_u32 v0, s2, v0 :: v_dual_lshrrev_b32 v1, 24, v1
	global_store_b8 v0, v1, s[4:5]
	s_endpgm
.LBB172_37:
                                        ; implicit-def: $sgpr10
	s_branch .LBB172_11
.LBB172_38:
                                        ; implicit-def: $sgpr8
	s_branch .LBB172_16
.LBB172_39:
                                        ; implicit-def: $sgpr9
	s_branch .LBB172_21
.LBB172_40:
                                        ; implicit-def: $sgpr9
	s_branch .LBB172_26
	.section	.rodata,"a",@progbits
	.p2align	6, 0x0
	.amdhsa_kernel _ZN2at6native27unrolled_elementwise_kernelINS0_13AUnaryFunctorIN3c107complexINS3_8BFloat16EEES6_bNS0_12_GLOBAL__N_116CompareEqFunctorIS6_EEEESt5arrayIPcLm2EELi4E23TrivialOffsetCalculatorILi1EjESF_NS0_6memory15LoadWithoutCastENSG_16StoreWithoutCastEEEviT_T0_T2_T3_T4_T5_
		.amdhsa_group_segment_fixed_size 0
		.amdhsa_private_segment_fixed_size 0
		.amdhsa_kernarg_size 36
		.amdhsa_user_sgpr_count 2
		.amdhsa_user_sgpr_dispatch_ptr 0
		.amdhsa_user_sgpr_queue_ptr 0
		.amdhsa_user_sgpr_kernarg_segment_ptr 1
		.amdhsa_user_sgpr_dispatch_id 0
		.amdhsa_user_sgpr_kernarg_preload_length 0
		.amdhsa_user_sgpr_kernarg_preload_offset 0
		.amdhsa_user_sgpr_private_segment_size 0
		.amdhsa_wavefront_size32 1
		.amdhsa_uses_dynamic_stack 0
		.amdhsa_enable_private_segment 0
		.amdhsa_system_sgpr_workgroup_id_x 1
		.amdhsa_system_sgpr_workgroup_id_y 0
		.amdhsa_system_sgpr_workgroup_id_z 0
		.amdhsa_system_sgpr_workgroup_info 0
		.amdhsa_system_vgpr_workitem_id 0
		.amdhsa_next_free_vgpr 9
		.amdhsa_next_free_sgpr 13
		.amdhsa_named_barrier_count 0
		.amdhsa_reserve_vcc 1
		.amdhsa_float_round_mode_32 0
		.amdhsa_float_round_mode_16_64 0
		.amdhsa_float_denorm_mode_32 3
		.amdhsa_float_denorm_mode_16_64 3
		.amdhsa_fp16_overflow 0
		.amdhsa_memory_ordered 1
		.amdhsa_forward_progress 1
		.amdhsa_inst_pref_size 10
		.amdhsa_round_robin_scheduling 0
		.amdhsa_exception_fp_ieee_invalid_op 0
		.amdhsa_exception_fp_denorm_src 0
		.amdhsa_exception_fp_ieee_div_zero 0
		.amdhsa_exception_fp_ieee_overflow 0
		.amdhsa_exception_fp_ieee_underflow 0
		.amdhsa_exception_fp_ieee_inexact 0
		.amdhsa_exception_int_div_zero 0
	.end_amdhsa_kernel
	.section	.text._ZN2at6native27unrolled_elementwise_kernelINS0_13AUnaryFunctorIN3c107complexINS3_8BFloat16EEES6_bNS0_12_GLOBAL__N_116CompareEqFunctorIS6_EEEESt5arrayIPcLm2EELi4E23TrivialOffsetCalculatorILi1EjESF_NS0_6memory15LoadWithoutCastENSG_16StoreWithoutCastEEEviT_T0_T2_T3_T4_T5_,"axG",@progbits,_ZN2at6native27unrolled_elementwise_kernelINS0_13AUnaryFunctorIN3c107complexINS3_8BFloat16EEES6_bNS0_12_GLOBAL__N_116CompareEqFunctorIS6_EEEESt5arrayIPcLm2EELi4E23TrivialOffsetCalculatorILi1EjESF_NS0_6memory15LoadWithoutCastENSG_16StoreWithoutCastEEEviT_T0_T2_T3_T4_T5_,comdat
.Lfunc_end172:
	.size	_ZN2at6native27unrolled_elementwise_kernelINS0_13AUnaryFunctorIN3c107complexINS3_8BFloat16EEES6_bNS0_12_GLOBAL__N_116CompareEqFunctorIS6_EEEESt5arrayIPcLm2EELi4E23TrivialOffsetCalculatorILi1EjESF_NS0_6memory15LoadWithoutCastENSG_16StoreWithoutCastEEEviT_T0_T2_T3_T4_T5_, .Lfunc_end172-_ZN2at6native27unrolled_elementwise_kernelINS0_13AUnaryFunctorIN3c107complexINS3_8BFloat16EEES6_bNS0_12_GLOBAL__N_116CompareEqFunctorIS6_EEEESt5arrayIPcLm2EELi4E23TrivialOffsetCalculatorILi1EjESF_NS0_6memory15LoadWithoutCastENSG_16StoreWithoutCastEEEviT_T0_T2_T3_T4_T5_
                                        ; -- End function
	.set _ZN2at6native27unrolled_elementwise_kernelINS0_13AUnaryFunctorIN3c107complexINS3_8BFloat16EEES6_bNS0_12_GLOBAL__N_116CompareEqFunctorIS6_EEEESt5arrayIPcLm2EELi4E23TrivialOffsetCalculatorILi1EjESF_NS0_6memory15LoadWithoutCastENSG_16StoreWithoutCastEEEviT_T0_T2_T3_T4_T5_.num_vgpr, 9
	.set _ZN2at6native27unrolled_elementwise_kernelINS0_13AUnaryFunctorIN3c107complexINS3_8BFloat16EEES6_bNS0_12_GLOBAL__N_116CompareEqFunctorIS6_EEEESt5arrayIPcLm2EELi4E23TrivialOffsetCalculatorILi1EjESF_NS0_6memory15LoadWithoutCastENSG_16StoreWithoutCastEEEviT_T0_T2_T3_T4_T5_.num_agpr, 0
	.set _ZN2at6native27unrolled_elementwise_kernelINS0_13AUnaryFunctorIN3c107complexINS3_8BFloat16EEES6_bNS0_12_GLOBAL__N_116CompareEqFunctorIS6_EEEESt5arrayIPcLm2EELi4E23TrivialOffsetCalculatorILi1EjESF_NS0_6memory15LoadWithoutCastENSG_16StoreWithoutCastEEEviT_T0_T2_T3_T4_T5_.numbered_sgpr, 13
	.set _ZN2at6native27unrolled_elementwise_kernelINS0_13AUnaryFunctorIN3c107complexINS3_8BFloat16EEES6_bNS0_12_GLOBAL__N_116CompareEqFunctorIS6_EEEESt5arrayIPcLm2EELi4E23TrivialOffsetCalculatorILi1EjESF_NS0_6memory15LoadWithoutCastENSG_16StoreWithoutCastEEEviT_T0_T2_T3_T4_T5_.num_named_barrier, 0
	.set _ZN2at6native27unrolled_elementwise_kernelINS0_13AUnaryFunctorIN3c107complexINS3_8BFloat16EEES6_bNS0_12_GLOBAL__N_116CompareEqFunctorIS6_EEEESt5arrayIPcLm2EELi4E23TrivialOffsetCalculatorILi1EjESF_NS0_6memory15LoadWithoutCastENSG_16StoreWithoutCastEEEviT_T0_T2_T3_T4_T5_.private_seg_size, 0
	.set _ZN2at6native27unrolled_elementwise_kernelINS0_13AUnaryFunctorIN3c107complexINS3_8BFloat16EEES6_bNS0_12_GLOBAL__N_116CompareEqFunctorIS6_EEEESt5arrayIPcLm2EELi4E23TrivialOffsetCalculatorILi1EjESF_NS0_6memory15LoadWithoutCastENSG_16StoreWithoutCastEEEviT_T0_T2_T3_T4_T5_.uses_vcc, 1
	.set _ZN2at6native27unrolled_elementwise_kernelINS0_13AUnaryFunctorIN3c107complexINS3_8BFloat16EEES6_bNS0_12_GLOBAL__N_116CompareEqFunctorIS6_EEEESt5arrayIPcLm2EELi4E23TrivialOffsetCalculatorILi1EjESF_NS0_6memory15LoadWithoutCastENSG_16StoreWithoutCastEEEviT_T0_T2_T3_T4_T5_.uses_flat_scratch, 0
	.set _ZN2at6native27unrolled_elementwise_kernelINS0_13AUnaryFunctorIN3c107complexINS3_8BFloat16EEES6_bNS0_12_GLOBAL__N_116CompareEqFunctorIS6_EEEESt5arrayIPcLm2EELi4E23TrivialOffsetCalculatorILi1EjESF_NS0_6memory15LoadWithoutCastENSG_16StoreWithoutCastEEEviT_T0_T2_T3_T4_T5_.has_dyn_sized_stack, 0
	.set _ZN2at6native27unrolled_elementwise_kernelINS0_13AUnaryFunctorIN3c107complexINS3_8BFloat16EEES6_bNS0_12_GLOBAL__N_116CompareEqFunctorIS6_EEEESt5arrayIPcLm2EELi4E23TrivialOffsetCalculatorILi1EjESF_NS0_6memory15LoadWithoutCastENSG_16StoreWithoutCastEEEviT_T0_T2_T3_T4_T5_.has_recursion, 0
	.set _ZN2at6native27unrolled_elementwise_kernelINS0_13AUnaryFunctorIN3c107complexINS3_8BFloat16EEES6_bNS0_12_GLOBAL__N_116CompareEqFunctorIS6_EEEESt5arrayIPcLm2EELi4E23TrivialOffsetCalculatorILi1EjESF_NS0_6memory15LoadWithoutCastENSG_16StoreWithoutCastEEEviT_T0_T2_T3_T4_T5_.has_indirect_call, 0
	.section	.AMDGPU.csdata,"",@progbits
; Kernel info:
; codeLenInByte = 1168
; TotalNumSgprs: 15
; NumVgprs: 9
; ScratchSize: 0
; MemoryBound: 0
; FloatMode: 240
; IeeeMode: 1
; LDSByteSize: 0 bytes/workgroup (compile time only)
; SGPRBlocks: 0
; VGPRBlocks: 0
; NumSGPRsForWavesPerEU: 15
; NumVGPRsForWavesPerEU: 9
; NamedBarCnt: 0
; Occupancy: 16
; WaveLimiterHint : 0
; COMPUTE_PGM_RSRC2:SCRATCH_EN: 0
; COMPUTE_PGM_RSRC2:USER_SGPR: 2
; COMPUTE_PGM_RSRC2:TRAP_HANDLER: 0
; COMPUTE_PGM_RSRC2:TGID_X_EN: 1
; COMPUTE_PGM_RSRC2:TGID_Y_EN: 0
; COMPUTE_PGM_RSRC2:TGID_Z_EN: 0
; COMPUTE_PGM_RSRC2:TIDIG_COMP_CNT: 0
	.section	.text._ZN2at6native32elementwise_kernel_manual_unrollILi128ELi8EZNS0_22gpu_kernel_impl_nocastINS0_13AUnaryFunctorIN3c107complexINS4_8BFloat16EEES7_bNS0_12_GLOBAL__N_116CompareEqFunctorIS7_EEEEEEvRNS_18TensorIteratorBaseERKT_EUlibE_EEviT1_,"axG",@progbits,_ZN2at6native32elementwise_kernel_manual_unrollILi128ELi8EZNS0_22gpu_kernel_impl_nocastINS0_13AUnaryFunctorIN3c107complexINS4_8BFloat16EEES7_bNS0_12_GLOBAL__N_116CompareEqFunctorIS7_EEEEEEvRNS_18TensorIteratorBaseERKT_EUlibE_EEviT1_,comdat
	.globl	_ZN2at6native32elementwise_kernel_manual_unrollILi128ELi8EZNS0_22gpu_kernel_impl_nocastINS0_13AUnaryFunctorIN3c107complexINS4_8BFloat16EEES7_bNS0_12_GLOBAL__N_116CompareEqFunctorIS7_EEEEEEvRNS_18TensorIteratorBaseERKT_EUlibE_EEviT1_ ; -- Begin function _ZN2at6native32elementwise_kernel_manual_unrollILi128ELi8EZNS0_22gpu_kernel_impl_nocastINS0_13AUnaryFunctorIN3c107complexINS4_8BFloat16EEES7_bNS0_12_GLOBAL__N_116CompareEqFunctorIS7_EEEEEEvRNS_18TensorIteratorBaseERKT_EUlibE_EEviT1_
	.p2align	8
	.type	_ZN2at6native32elementwise_kernel_manual_unrollILi128ELi8EZNS0_22gpu_kernel_impl_nocastINS0_13AUnaryFunctorIN3c107complexINS4_8BFloat16EEES7_bNS0_12_GLOBAL__N_116CompareEqFunctorIS7_EEEEEEvRNS_18TensorIteratorBaseERKT_EUlibE_EEviT1_,@function
_ZN2at6native32elementwise_kernel_manual_unrollILi128ELi8EZNS0_22gpu_kernel_impl_nocastINS0_13AUnaryFunctorIN3c107complexINS4_8BFloat16EEES7_bNS0_12_GLOBAL__N_116CompareEqFunctorIS7_EEEEEEvRNS_18TensorIteratorBaseERKT_EUlibE_EEviT1_: ; @_ZN2at6native32elementwise_kernel_manual_unrollILi128ELi8EZNS0_22gpu_kernel_impl_nocastINS0_13AUnaryFunctorIN3c107complexINS4_8BFloat16EEES7_bNS0_12_GLOBAL__N_116CompareEqFunctorIS7_EEEEEEvRNS_18TensorIteratorBaseERKT_EUlibE_EEviT1_
; %bb.0:
	s_clause 0x1
	s_load_b32 s28, s[0:1], 0x8
	s_load_b32 s36, s[0:1], 0x0
	s_bfe_u32 s2, ttmp6, 0x4000c
	s_and_b32 s3, ttmp6, 15
	s_add_co_i32 s2, s2, 1
	s_getreg_b32 s4, hwreg(HW_REG_IB_STS2, 6, 4)
	s_mul_i32 s2, ttmp9, s2
	s_mov_b32 s17, 0
	s_add_co_i32 s3, s3, s2
	s_cmp_eq_u32 s4, 0
	s_cselect_b32 s2, ttmp9, s3
	s_delay_alu instid0(SALU_CYCLE_1) | instskip(SKIP_3) | instid1(VALU_DEP_1)
	v_lshl_or_b32 v0, s2, 10, v0
	s_add_nc_u64 s[2:3], s[0:1], 8
	s_wait_xcnt 0x0
	s_mov_b32 s0, exec_lo
	v_or_b32_e32 v16, 0x380, v0
	s_wait_kmcnt 0x0
	s_add_co_i32 s29, s28, -1
	s_delay_alu instid0(SALU_CYCLE_1)
	s_cmp_gt_u32 s29, 1
	s_cselect_b32 s30, -1, 0
	v_cmpx_le_i32_e64 s36, v16
	s_xor_b32 s31, exec_lo, s0
	s_cbranch_execz .LBB173_161
; %bb.1:
	s_clause 0x4
	s_load_b128 s[8:11], s[2:3], 0x4
	s_load_b64 s[22:23], s[2:3], 0x158
	s_load_b64 s[0:1], s[2:3], 0x14
	s_load_b128 s[12:15], s[2:3], 0xc4
	s_load_b128 s[4:7], s[2:3], 0x148
	s_cmp_lg_u32 s28, 0
	s_add_nc_u64 s[20:21], s[2:3], 0xc4
	s_cselect_b32 s38, -1, 0
	s_min_u32 s37, s29, 15
	s_cmp_gt_u32 s28, 1
	s_mov_b32 s19, s17
	s_cselect_b32 s35, -1, 0
	s_mov_b32 s39, exec_lo
	s_wait_kmcnt 0x0
	s_mov_b32 s16, s9
	s_cmp_lg_u32 s22, 0
	s_mov_b32 s18, s0
	s_cselect_b32 s34, -1, 0
	s_lshl_b32 s9, s23, 16
	s_and_b32 s33, s23, 0xffff0000
	v_cmpx_gt_i32_e64 s36, v0
	s_cbranch_execnz .LBB173_9
; %bb.2:
	s_or_b32 exec_lo, exec_lo, s39
	s_delay_alu instid0(SALU_CYCLE_1)
	s_mov_b32 s39, exec_lo
	v_cmpx_gt_i32_e64 s36, v0
	s_cbranch_execnz .LBB173_27
.LBB173_3:
	s_or_b32 exec_lo, exec_lo, s39
	s_delay_alu instid0(SALU_CYCLE_1)
	s_mov_b32 s39, exec_lo
	v_cmpx_gt_i32_e64 s36, v0
	s_cbranch_execnz .LBB173_46
.LBB173_4:
	s_or_b32 exec_lo, exec_lo, s39
	s_delay_alu instid0(SALU_CYCLE_1)
	s_mov_b32 s39, exec_lo
	v_cmpx_gt_i32_e64 s36, v0
	s_cbranch_execnz .LBB173_65
.LBB173_5:
	s_or_b32 exec_lo, exec_lo, s39
	s_delay_alu instid0(SALU_CYCLE_1)
	s_mov_b32 s39, exec_lo
	v_cmpx_gt_i32_e64 s36, v0
	s_cbranch_execnz .LBB173_84
.LBB173_6:
	s_or_b32 exec_lo, exec_lo, s39
	s_delay_alu instid0(SALU_CYCLE_1)
	s_mov_b32 s39, exec_lo
	v_cmpx_gt_i32_e64 s36, v0
	s_cbranch_execnz .LBB173_103
.LBB173_7:
	s_or_b32 exec_lo, exec_lo, s39
	s_delay_alu instid0(SALU_CYCLE_1)
	s_mov_b32 s39, exec_lo
	v_cmpx_gt_i32_e64 s36, v0
	s_cbranch_execnz .LBB173_122
.LBB173_8:
	s_or_b32 exec_lo, exec_lo, s39
	s_delay_alu instid0(SALU_CYCLE_1)
	s_mov_b32 s26, exec_lo
	v_cmpx_gt_i32_e64 s36, v0
	s_cbranch_execnz .LBB173_141
	s_branch .LBB173_160
.LBB173_9:
	s_and_not1_b32 vcc_lo, exec_lo, s30
	s_cbranch_vccnz .LBB173_14
; %bb.10:
	s_and_not1_b32 vcc_lo, exec_lo, s38
	s_cbranch_vccnz .LBB173_15
; %bb.11:
	s_add_co_i32 s0, s37, 1
	s_cmp_eq_u32 s29, 2
	s_cbranch_scc1 .LBB173_16
; %bb.12:
	v_dual_mov_b32 v2, 0 :: v_dual_mov_b32 v3, 0
	v_mov_b32_e32 v1, v0
	s_and_b32 s22, s0, 28
	s_mov_b32 s23, 0
	s_mov_b64 s[24:25], s[2:3]
	s_mov_b64 s[26:27], s[20:21]
.LBB173_13:                             ; =>This Inner Loop Header: Depth=1
	s_clause 0x1
	s_load_b256 s[40:47], s[24:25], 0x4
	s_load_b128 s[56:59], s[24:25], 0x24
	s_load_b256 s[48:55], s[26:27], 0x0
	s_add_co_i32 s23, s23, 4
	s_wait_xcnt 0x0
	s_add_nc_u64 s[24:25], s[24:25], 48
	s_cmp_lg_u32 s22, s23
	s_add_nc_u64 s[26:27], s[26:27], 32
	s_wait_kmcnt 0x0
	v_mul_hi_u32 v4, s41, v1
	s_delay_alu instid0(VALU_DEP_1) | instskip(NEXT) | instid1(VALU_DEP_1)
	v_add_nc_u32_e32 v4, v1, v4
	v_lshrrev_b32_e32 v4, s42, v4
	s_delay_alu instid0(VALU_DEP_1) | instskip(NEXT) | instid1(VALU_DEP_1)
	v_mul_hi_u32 v5, s44, v4
	v_add_nc_u32_e32 v5, v4, v5
	s_delay_alu instid0(VALU_DEP_1) | instskip(NEXT) | instid1(VALU_DEP_1)
	v_lshrrev_b32_e32 v5, s45, v5
	v_mul_hi_u32 v6, s47, v5
	s_delay_alu instid0(VALU_DEP_1) | instskip(SKIP_1) | instid1(VALU_DEP_1)
	v_add_nc_u32_e32 v6, v5, v6
	v_mul_lo_u32 v7, v4, s40
	v_sub_nc_u32_e32 v1, v1, v7
	v_mul_lo_u32 v7, v5, s43
	s_delay_alu instid0(VALU_DEP_4) | instskip(NEXT) | instid1(VALU_DEP_3)
	v_lshrrev_b32_e32 v6, s56, v6
	v_mad_u32 v3, v1, s49, v3
	v_mad_u32 v1, v1, s48, v2
	s_delay_alu instid0(VALU_DEP_4) | instskip(NEXT) | instid1(VALU_DEP_4)
	v_sub_nc_u32_e32 v2, v4, v7
	v_mul_hi_u32 v8, s58, v6
	v_mul_lo_u32 v4, v6, s46
	s_delay_alu instid0(VALU_DEP_3) | instskip(SKIP_1) | instid1(VALU_DEP_4)
	v_mad_u32 v3, v2, s51, v3
	v_mad_u32 v2, v2, s50, v1
	v_add_nc_u32_e32 v7, v6, v8
	s_delay_alu instid0(VALU_DEP_1) | instskip(NEXT) | instid1(VALU_DEP_1)
	v_dual_sub_nc_u32 v4, v5, v4 :: v_dual_lshrrev_b32 v1, s59, v7
	v_mad_u32 v3, v4, s53, v3
	s_delay_alu instid0(VALU_DEP_4) | instskip(NEXT) | instid1(VALU_DEP_3)
	v_mad_u32 v2, v4, s52, v2
	v_mul_lo_u32 v5, v1, s57
	s_delay_alu instid0(VALU_DEP_1) | instskip(NEXT) | instid1(VALU_DEP_1)
	v_sub_nc_u32_e32 v4, v6, v5
	v_mad_u32 v3, v4, s55, v3
	s_delay_alu instid0(VALU_DEP_4)
	v_mad_u32 v2, v4, s54, v2
	s_cbranch_scc1 .LBB173_13
	s_branch .LBB173_17
.LBB173_14:
                                        ; implicit-def: $vgpr3
	s_branch .LBB173_21
.LBB173_15:
	v_dual_mov_b32 v3, 0 :: v_dual_mov_b32 v2, 0
	s_branch .LBB173_20
.LBB173_16:
	v_mov_b64_e32 v[2:3], 0
	v_mov_b32_e32 v1, v0
	s_mov_b32 s22, 0
.LBB173_17:
	s_and_b32 s0, s0, 3
	s_mov_b32 s23, 0
	s_cmp_eq_u32 s0, 0
	s_cbranch_scc1 .LBB173_20
; %bb.18:
	s_lshl_b32 s24, s22, 3
	s_mov_b32 s25, s23
	s_mul_u64 s[26:27], s[22:23], 12
	s_add_nc_u64 s[24:25], s[2:3], s[24:25]
	s_delay_alu instid0(SALU_CYCLE_1)
	s_add_nc_u64 s[22:23], s[24:25], 0xc4
	s_add_nc_u64 s[24:25], s[2:3], s[26:27]
.LBB173_19:                             ; =>This Inner Loop Header: Depth=1
	s_load_b96 s[40:42], s[24:25], 0x4
	s_load_b64 s[26:27], s[22:23], 0x0
	s_add_co_i32 s0, s0, -1
	s_wait_xcnt 0x0
	s_add_nc_u64 s[24:25], s[24:25], 12
	s_cmp_lg_u32 s0, 0
	s_add_nc_u64 s[22:23], s[22:23], 8
	s_wait_kmcnt 0x0
	v_mul_hi_u32 v4, s41, v1
	s_delay_alu instid0(VALU_DEP_1) | instskip(NEXT) | instid1(VALU_DEP_1)
	v_add_nc_u32_e32 v4, v1, v4
	v_lshrrev_b32_e32 v4, s42, v4
	s_delay_alu instid0(VALU_DEP_1) | instskip(NEXT) | instid1(VALU_DEP_1)
	v_mul_lo_u32 v5, v4, s40
	v_sub_nc_u32_e32 v1, v1, v5
	s_delay_alu instid0(VALU_DEP_1)
	v_mad_u32 v3, v1, s27, v3
	v_mad_u32 v2, v1, s26, v2
	v_mov_b32_e32 v1, v4
	s_cbranch_scc1 .LBB173_19
.LBB173_20:
	s_cbranch_execnz .LBB173_23
.LBB173_21:
	v_mov_b32_e32 v1, 0
	s_and_not1_b32 vcc_lo, exec_lo, s35
	s_delay_alu instid0(VALU_DEP_1) | instskip(NEXT) | instid1(VALU_DEP_1)
	v_mul_u64_e32 v[2:3], s[16:17], v[0:1]
	v_add_nc_u32_e32 v2, v0, v3
	s_delay_alu instid0(VALU_DEP_1) | instskip(NEXT) | instid1(VALU_DEP_1)
	v_lshrrev_b32_e32 v4, s10, v2
	v_mul_lo_u32 v2, v4, s8
	s_delay_alu instid0(VALU_DEP_1) | instskip(NEXT) | instid1(VALU_DEP_1)
	v_sub_nc_u32_e32 v2, v0, v2
	v_mul_lo_u32 v3, v2, s13
	v_mul_lo_u32 v2, v2, s12
	s_cbranch_vccnz .LBB173_23
; %bb.22:
	v_mov_b32_e32 v5, v1
	s_delay_alu instid0(VALU_DEP_1) | instskip(NEXT) | instid1(VALU_DEP_1)
	v_mul_u64_e32 v[6:7], s[18:19], v[4:5]
	v_add_nc_u32_e32 v1, v4, v7
	s_delay_alu instid0(VALU_DEP_1) | instskip(NEXT) | instid1(VALU_DEP_1)
	v_lshrrev_b32_e32 v1, s1, v1
	v_mul_lo_u32 v1, v1, s11
	s_delay_alu instid0(VALU_DEP_1) | instskip(NEXT) | instid1(VALU_DEP_1)
	v_sub_nc_u32_e32 v1, v4, v1
	v_mad_u32 v2, v1, s14, v2
	v_mad_u32 v3, v1, s15, v3
.LBB173_23:
	global_load_b32 v3, v3, s[6:7]
	s_and_b32 vcc_lo, exec_lo, s34
	s_wait_loadcnt 0x0
	v_lshlrev_b32_e32 v1, 16, v3
	v_and_b32_e32 v3, 0xffff0000, v3
	s_cbranch_vccz .LBB173_33
; %bb.24:
	s_delay_alu instid0(VALU_DEP_2) | instskip(NEXT) | instid1(VALU_DEP_2)
	v_cmp_neq_f32_e32 vcc_lo, s9, v1
	v_cmp_neq_f32_e64 s0, s33, v3
	s_or_b32 s22, vcc_lo, s0
	s_cbranch_execnz .LBB173_26
.LBB173_25:
	s_delay_alu instid0(VALU_DEP_2) | instskip(NEXT) | instid1(VALU_DEP_2)
	v_cmp_eq_f32_e32 vcc_lo, s9, v1
	v_cmp_eq_f32_e64 s0, s33, v3
	s_and_not1_b32 s22, s22, exec_lo
	s_and_b32 s0, vcc_lo, s0
	s_delay_alu instid0(SALU_CYCLE_1) | instskip(NEXT) | instid1(SALU_CYCLE_1)
	s_and_b32 s0, s0, exec_lo
	s_or_b32 s22, s22, s0
.LBB173_26:
	s_delay_alu instid0(SALU_CYCLE_1) | instskip(SKIP_4) | instid1(SALU_CYCLE_1)
	v_cndmask_b32_e64 v1, 0, 1, s22
	v_add_nc_u32_e32 v0, 0x80, v0
	global_store_b8 v2, v1, s[4:5]
	s_wait_xcnt 0x0
	s_or_b32 exec_lo, exec_lo, s39
	s_mov_b32 s39, exec_lo
	v_cmpx_gt_i32_e64 s36, v0
	s_cbranch_execz .LBB173_3
.LBB173_27:
	s_and_not1_b32 vcc_lo, exec_lo, s30
	s_cbranch_vccnz .LBB173_32
; %bb.28:
	s_and_not1_b32 vcc_lo, exec_lo, s38
	s_cbranch_vccnz .LBB173_34
; %bb.29:
	s_add_co_i32 s0, s37, 1
	s_cmp_eq_u32 s29, 2
	s_cbranch_scc1 .LBB173_35
; %bb.30:
	v_dual_mov_b32 v2, 0 :: v_dual_mov_b32 v3, 0
	v_mov_b32_e32 v1, v0
	s_and_b32 s22, s0, 28
	s_mov_b32 s23, 0
	s_mov_b64 s[24:25], s[2:3]
	s_mov_b64 s[26:27], s[20:21]
.LBB173_31:                             ; =>This Inner Loop Header: Depth=1
	s_clause 0x1
	s_load_b256 s[40:47], s[24:25], 0x4
	s_load_b128 s[56:59], s[24:25], 0x24
	s_load_b256 s[48:55], s[26:27], 0x0
	s_add_co_i32 s23, s23, 4
	s_wait_xcnt 0x0
	s_add_nc_u64 s[24:25], s[24:25], 48
	s_cmp_eq_u32 s22, s23
	s_add_nc_u64 s[26:27], s[26:27], 32
	s_wait_kmcnt 0x0
	v_mul_hi_u32 v4, s41, v1
	s_delay_alu instid0(VALU_DEP_1) | instskip(NEXT) | instid1(VALU_DEP_1)
	v_add_nc_u32_e32 v4, v1, v4
	v_lshrrev_b32_e32 v4, s42, v4
	s_delay_alu instid0(VALU_DEP_1) | instskip(NEXT) | instid1(VALU_DEP_1)
	v_mul_hi_u32 v5, s44, v4
	v_add_nc_u32_e32 v5, v4, v5
	s_delay_alu instid0(VALU_DEP_1) | instskip(NEXT) | instid1(VALU_DEP_1)
	v_lshrrev_b32_e32 v5, s45, v5
	v_mul_hi_u32 v6, s47, v5
	s_delay_alu instid0(VALU_DEP_1) | instskip(SKIP_1) | instid1(VALU_DEP_1)
	v_add_nc_u32_e32 v6, v5, v6
	v_mul_lo_u32 v7, v4, s40
	v_sub_nc_u32_e32 v1, v1, v7
	v_mul_lo_u32 v7, v5, s43
	s_delay_alu instid0(VALU_DEP_4) | instskip(NEXT) | instid1(VALU_DEP_3)
	v_lshrrev_b32_e32 v6, s56, v6
	v_mad_u32 v3, v1, s49, v3
	v_mad_u32 v1, v1, s48, v2
	s_delay_alu instid0(VALU_DEP_4) | instskip(NEXT) | instid1(VALU_DEP_4)
	v_sub_nc_u32_e32 v2, v4, v7
	v_mul_hi_u32 v8, s58, v6
	v_mul_lo_u32 v4, v6, s46
	s_delay_alu instid0(VALU_DEP_3) | instskip(SKIP_1) | instid1(VALU_DEP_4)
	v_mad_u32 v3, v2, s51, v3
	v_mad_u32 v2, v2, s50, v1
	v_add_nc_u32_e32 v7, v6, v8
	s_delay_alu instid0(VALU_DEP_1) | instskip(NEXT) | instid1(VALU_DEP_1)
	v_dual_sub_nc_u32 v4, v5, v4 :: v_dual_lshrrev_b32 v1, s59, v7
	v_mad_u32 v3, v4, s53, v3
	s_delay_alu instid0(VALU_DEP_4) | instskip(NEXT) | instid1(VALU_DEP_3)
	v_mad_u32 v2, v4, s52, v2
	v_mul_lo_u32 v5, v1, s57
	s_delay_alu instid0(VALU_DEP_1) | instskip(NEXT) | instid1(VALU_DEP_1)
	v_sub_nc_u32_e32 v4, v6, v5
	v_mad_u32 v3, v4, s55, v3
	s_delay_alu instid0(VALU_DEP_4)
	v_mad_u32 v2, v4, s54, v2
	s_cbranch_scc0 .LBB173_31
	s_branch .LBB173_36
.LBB173_32:
                                        ; implicit-def: $vgpr3
	s_branch .LBB173_40
.LBB173_33:
                                        ; implicit-def: $sgpr22
	s_branch .LBB173_25
.LBB173_34:
	v_dual_mov_b32 v3, 0 :: v_dual_mov_b32 v2, 0
	s_branch .LBB173_39
.LBB173_35:
	v_mov_b64_e32 v[2:3], 0
	v_mov_b32_e32 v1, v0
	s_mov_b32 s22, 0
.LBB173_36:
	s_and_b32 s0, s0, 3
	s_mov_b32 s23, 0
	s_cmp_eq_u32 s0, 0
	s_cbranch_scc1 .LBB173_39
; %bb.37:
	s_lshl_b32 s24, s22, 3
	s_mov_b32 s25, s23
	s_mul_u64 s[26:27], s[22:23], 12
	s_add_nc_u64 s[24:25], s[2:3], s[24:25]
	s_delay_alu instid0(SALU_CYCLE_1)
	s_add_nc_u64 s[22:23], s[24:25], 0xc4
	s_add_nc_u64 s[24:25], s[2:3], s[26:27]
.LBB173_38:                             ; =>This Inner Loop Header: Depth=1
	s_load_b96 s[40:42], s[24:25], 0x4
	s_load_b64 s[26:27], s[22:23], 0x0
	s_add_co_i32 s0, s0, -1
	s_wait_xcnt 0x0
	s_add_nc_u64 s[24:25], s[24:25], 12
	s_cmp_lg_u32 s0, 0
	s_add_nc_u64 s[22:23], s[22:23], 8
	s_wait_kmcnt 0x0
	v_mul_hi_u32 v4, s41, v1
	s_delay_alu instid0(VALU_DEP_1) | instskip(NEXT) | instid1(VALU_DEP_1)
	v_add_nc_u32_e32 v4, v1, v4
	v_lshrrev_b32_e32 v4, s42, v4
	s_delay_alu instid0(VALU_DEP_1) | instskip(NEXT) | instid1(VALU_DEP_1)
	v_mul_lo_u32 v5, v4, s40
	v_sub_nc_u32_e32 v1, v1, v5
	s_delay_alu instid0(VALU_DEP_1)
	v_mad_u32 v3, v1, s27, v3
	v_mad_u32 v2, v1, s26, v2
	v_mov_b32_e32 v1, v4
	s_cbranch_scc1 .LBB173_38
.LBB173_39:
	s_cbranch_execnz .LBB173_42
.LBB173_40:
	v_mov_b32_e32 v1, 0
	s_and_not1_b32 vcc_lo, exec_lo, s35
	s_delay_alu instid0(VALU_DEP_1) | instskip(NEXT) | instid1(VALU_DEP_1)
	v_mul_u64_e32 v[2:3], s[16:17], v[0:1]
	v_add_nc_u32_e32 v2, v0, v3
	s_delay_alu instid0(VALU_DEP_1) | instskip(NEXT) | instid1(VALU_DEP_1)
	v_lshrrev_b32_e32 v4, s10, v2
	v_mul_lo_u32 v2, v4, s8
	s_delay_alu instid0(VALU_DEP_1) | instskip(NEXT) | instid1(VALU_DEP_1)
	v_sub_nc_u32_e32 v2, v0, v2
	v_mul_lo_u32 v3, v2, s13
	v_mul_lo_u32 v2, v2, s12
	s_cbranch_vccnz .LBB173_42
; %bb.41:
	v_mov_b32_e32 v5, v1
	s_delay_alu instid0(VALU_DEP_1) | instskip(NEXT) | instid1(VALU_DEP_1)
	v_mul_u64_e32 v[6:7], s[18:19], v[4:5]
	v_add_nc_u32_e32 v1, v4, v7
	s_delay_alu instid0(VALU_DEP_1) | instskip(NEXT) | instid1(VALU_DEP_1)
	v_lshrrev_b32_e32 v1, s1, v1
	v_mul_lo_u32 v1, v1, s11
	s_delay_alu instid0(VALU_DEP_1) | instskip(NEXT) | instid1(VALU_DEP_1)
	v_sub_nc_u32_e32 v1, v4, v1
	v_mad_u32 v2, v1, s14, v2
	v_mad_u32 v3, v1, s15, v3
.LBB173_42:
	global_load_b32 v3, v3, s[6:7]
	s_and_not1_b32 vcc_lo, exec_lo, s34
	s_wait_loadcnt 0x0
	v_lshlrev_b32_e32 v1, 16, v3
	s_wait_xcnt 0x0
	v_and_b32_e32 v3, 0xffff0000, v3
	s_cbranch_vccnz .LBB173_52
; %bb.43:
	s_delay_alu instid0(VALU_DEP_2) | instskip(NEXT) | instid1(VALU_DEP_2)
	v_cmp_neq_f32_e32 vcc_lo, s9, v1
	v_cmp_neq_f32_e64 s0, s33, v3
	s_or_b32 s22, vcc_lo, s0
	s_cbranch_execnz .LBB173_45
.LBB173_44:
	v_cmp_eq_f32_e32 vcc_lo, s9, v1
	s_delay_alu instid0(VALU_DEP_2) | instskip(SKIP_2) | instid1(SALU_CYCLE_1)
	v_cmp_eq_f32_e64 s0, s33, v3
	s_and_not1_b32 s22, s22, exec_lo
	s_and_b32 s0, vcc_lo, s0
	s_and_b32 s0, s0, exec_lo
	s_delay_alu instid0(SALU_CYCLE_1)
	s_or_b32 s22, s22, s0
.LBB173_45:
	s_delay_alu instid0(SALU_CYCLE_1) | instskip(SKIP_4) | instid1(SALU_CYCLE_1)
	v_cndmask_b32_e64 v1, 0, 1, s22
	v_add_nc_u32_e32 v0, 0x80, v0
	global_store_b8 v2, v1, s[4:5]
	s_wait_xcnt 0x0
	s_or_b32 exec_lo, exec_lo, s39
	s_mov_b32 s39, exec_lo
	v_cmpx_gt_i32_e64 s36, v0
	s_cbranch_execz .LBB173_4
.LBB173_46:
	s_and_not1_b32 vcc_lo, exec_lo, s30
	s_cbranch_vccnz .LBB173_51
; %bb.47:
	s_and_not1_b32 vcc_lo, exec_lo, s38
	s_cbranch_vccnz .LBB173_53
; %bb.48:
	s_add_co_i32 s0, s37, 1
	s_cmp_eq_u32 s29, 2
	s_cbranch_scc1 .LBB173_54
; %bb.49:
	v_dual_mov_b32 v2, 0 :: v_dual_mov_b32 v3, 0
	v_mov_b32_e32 v1, v0
	s_and_b32 s22, s0, 28
	s_mov_b32 s23, 0
	s_mov_b64 s[24:25], s[2:3]
	s_mov_b64 s[26:27], s[20:21]
.LBB173_50:                             ; =>This Inner Loop Header: Depth=1
	s_clause 0x1
	s_load_b256 s[40:47], s[24:25], 0x4
	s_load_b128 s[56:59], s[24:25], 0x24
	s_load_b256 s[48:55], s[26:27], 0x0
	s_add_co_i32 s23, s23, 4
	s_wait_xcnt 0x0
	s_add_nc_u64 s[24:25], s[24:25], 48
	s_cmp_eq_u32 s22, s23
	s_add_nc_u64 s[26:27], s[26:27], 32
	s_wait_kmcnt 0x0
	v_mul_hi_u32 v4, s41, v1
	s_delay_alu instid0(VALU_DEP_1) | instskip(NEXT) | instid1(VALU_DEP_1)
	v_add_nc_u32_e32 v4, v1, v4
	v_lshrrev_b32_e32 v4, s42, v4
	s_delay_alu instid0(VALU_DEP_1) | instskip(NEXT) | instid1(VALU_DEP_1)
	v_mul_hi_u32 v5, s44, v4
	v_add_nc_u32_e32 v5, v4, v5
	s_delay_alu instid0(VALU_DEP_1) | instskip(NEXT) | instid1(VALU_DEP_1)
	v_lshrrev_b32_e32 v5, s45, v5
	v_mul_hi_u32 v6, s47, v5
	s_delay_alu instid0(VALU_DEP_1) | instskip(SKIP_1) | instid1(VALU_DEP_1)
	v_add_nc_u32_e32 v6, v5, v6
	v_mul_lo_u32 v7, v4, s40
	v_sub_nc_u32_e32 v1, v1, v7
	v_mul_lo_u32 v7, v5, s43
	s_delay_alu instid0(VALU_DEP_4) | instskip(NEXT) | instid1(VALU_DEP_3)
	v_lshrrev_b32_e32 v6, s56, v6
	v_mad_u32 v3, v1, s49, v3
	v_mad_u32 v1, v1, s48, v2
	s_delay_alu instid0(VALU_DEP_4) | instskip(NEXT) | instid1(VALU_DEP_4)
	v_sub_nc_u32_e32 v2, v4, v7
	v_mul_hi_u32 v8, s58, v6
	v_mul_lo_u32 v4, v6, s46
	s_delay_alu instid0(VALU_DEP_3) | instskip(SKIP_1) | instid1(VALU_DEP_4)
	v_mad_u32 v3, v2, s51, v3
	v_mad_u32 v2, v2, s50, v1
	v_add_nc_u32_e32 v7, v6, v8
	s_delay_alu instid0(VALU_DEP_1) | instskip(NEXT) | instid1(VALU_DEP_1)
	v_dual_sub_nc_u32 v4, v5, v4 :: v_dual_lshrrev_b32 v1, s59, v7
	v_mad_u32 v3, v4, s53, v3
	s_delay_alu instid0(VALU_DEP_4) | instskip(NEXT) | instid1(VALU_DEP_3)
	v_mad_u32 v2, v4, s52, v2
	v_mul_lo_u32 v5, v1, s57
	s_delay_alu instid0(VALU_DEP_1) | instskip(NEXT) | instid1(VALU_DEP_1)
	v_sub_nc_u32_e32 v4, v6, v5
	v_mad_u32 v3, v4, s55, v3
	s_delay_alu instid0(VALU_DEP_4)
	v_mad_u32 v2, v4, s54, v2
	s_cbranch_scc0 .LBB173_50
	s_branch .LBB173_55
.LBB173_51:
                                        ; implicit-def: $vgpr3
	s_branch .LBB173_59
.LBB173_52:
                                        ; implicit-def: $sgpr22
	s_branch .LBB173_44
.LBB173_53:
	v_dual_mov_b32 v3, 0 :: v_dual_mov_b32 v2, 0
	s_branch .LBB173_58
.LBB173_54:
	v_mov_b64_e32 v[2:3], 0
	v_mov_b32_e32 v1, v0
	s_mov_b32 s22, 0
.LBB173_55:
	s_and_b32 s0, s0, 3
	s_mov_b32 s23, 0
	s_cmp_eq_u32 s0, 0
	s_cbranch_scc1 .LBB173_58
; %bb.56:
	s_lshl_b32 s24, s22, 3
	s_mov_b32 s25, s23
	s_mul_u64 s[26:27], s[22:23], 12
	s_add_nc_u64 s[24:25], s[2:3], s[24:25]
	s_delay_alu instid0(SALU_CYCLE_1)
	s_add_nc_u64 s[22:23], s[24:25], 0xc4
	s_add_nc_u64 s[24:25], s[2:3], s[26:27]
.LBB173_57:                             ; =>This Inner Loop Header: Depth=1
	s_load_b96 s[40:42], s[24:25], 0x4
	s_load_b64 s[26:27], s[22:23], 0x0
	s_add_co_i32 s0, s0, -1
	s_wait_xcnt 0x0
	s_add_nc_u64 s[24:25], s[24:25], 12
	s_cmp_lg_u32 s0, 0
	s_add_nc_u64 s[22:23], s[22:23], 8
	s_wait_kmcnt 0x0
	v_mul_hi_u32 v4, s41, v1
	s_delay_alu instid0(VALU_DEP_1) | instskip(NEXT) | instid1(VALU_DEP_1)
	v_add_nc_u32_e32 v4, v1, v4
	v_lshrrev_b32_e32 v4, s42, v4
	s_delay_alu instid0(VALU_DEP_1) | instskip(NEXT) | instid1(VALU_DEP_1)
	v_mul_lo_u32 v5, v4, s40
	v_sub_nc_u32_e32 v1, v1, v5
	s_delay_alu instid0(VALU_DEP_1)
	v_mad_u32 v3, v1, s27, v3
	v_mad_u32 v2, v1, s26, v2
	v_mov_b32_e32 v1, v4
	s_cbranch_scc1 .LBB173_57
.LBB173_58:
	s_cbranch_execnz .LBB173_61
.LBB173_59:
	v_mov_b32_e32 v1, 0
	s_and_not1_b32 vcc_lo, exec_lo, s35
	s_delay_alu instid0(VALU_DEP_1) | instskip(NEXT) | instid1(VALU_DEP_1)
	v_mul_u64_e32 v[2:3], s[16:17], v[0:1]
	v_add_nc_u32_e32 v2, v0, v3
	s_delay_alu instid0(VALU_DEP_1) | instskip(NEXT) | instid1(VALU_DEP_1)
	v_lshrrev_b32_e32 v4, s10, v2
	v_mul_lo_u32 v2, v4, s8
	s_delay_alu instid0(VALU_DEP_1) | instskip(NEXT) | instid1(VALU_DEP_1)
	v_sub_nc_u32_e32 v2, v0, v2
	v_mul_lo_u32 v3, v2, s13
	v_mul_lo_u32 v2, v2, s12
	s_cbranch_vccnz .LBB173_61
; %bb.60:
	v_mov_b32_e32 v5, v1
	s_delay_alu instid0(VALU_DEP_1) | instskip(NEXT) | instid1(VALU_DEP_1)
	v_mul_u64_e32 v[6:7], s[18:19], v[4:5]
	v_add_nc_u32_e32 v1, v4, v7
	s_delay_alu instid0(VALU_DEP_1) | instskip(NEXT) | instid1(VALU_DEP_1)
	v_lshrrev_b32_e32 v1, s1, v1
	v_mul_lo_u32 v1, v1, s11
	s_delay_alu instid0(VALU_DEP_1) | instskip(NEXT) | instid1(VALU_DEP_1)
	v_sub_nc_u32_e32 v1, v4, v1
	v_mad_u32 v2, v1, s14, v2
	v_mad_u32 v3, v1, s15, v3
.LBB173_61:
	global_load_b32 v3, v3, s[6:7]
	s_and_not1_b32 vcc_lo, exec_lo, s34
	s_wait_loadcnt 0x0
	v_lshlrev_b32_e32 v1, 16, v3
	s_wait_xcnt 0x0
	v_and_b32_e32 v3, 0xffff0000, v3
	s_cbranch_vccnz .LBB173_71
; %bb.62:
	s_delay_alu instid0(VALU_DEP_2) | instskip(NEXT) | instid1(VALU_DEP_2)
	v_cmp_neq_f32_e32 vcc_lo, s9, v1
	v_cmp_neq_f32_e64 s0, s33, v3
	s_or_b32 s22, vcc_lo, s0
	s_cbranch_execnz .LBB173_64
.LBB173_63:
	v_cmp_eq_f32_e32 vcc_lo, s9, v1
	s_delay_alu instid0(VALU_DEP_2) | instskip(SKIP_2) | instid1(SALU_CYCLE_1)
	v_cmp_eq_f32_e64 s0, s33, v3
	s_and_not1_b32 s22, s22, exec_lo
	s_and_b32 s0, vcc_lo, s0
	s_and_b32 s0, s0, exec_lo
	s_delay_alu instid0(SALU_CYCLE_1)
	s_or_b32 s22, s22, s0
.LBB173_64:
	s_delay_alu instid0(SALU_CYCLE_1) | instskip(SKIP_4) | instid1(SALU_CYCLE_1)
	v_cndmask_b32_e64 v1, 0, 1, s22
	v_add_nc_u32_e32 v0, 0x80, v0
	global_store_b8 v2, v1, s[4:5]
	s_wait_xcnt 0x0
	s_or_b32 exec_lo, exec_lo, s39
	s_mov_b32 s39, exec_lo
	v_cmpx_gt_i32_e64 s36, v0
	s_cbranch_execz .LBB173_5
.LBB173_65:
	s_and_not1_b32 vcc_lo, exec_lo, s30
	s_cbranch_vccnz .LBB173_70
; %bb.66:
	s_and_not1_b32 vcc_lo, exec_lo, s38
	s_cbranch_vccnz .LBB173_72
; %bb.67:
	s_add_co_i32 s0, s37, 1
	s_cmp_eq_u32 s29, 2
	s_cbranch_scc1 .LBB173_73
; %bb.68:
	v_dual_mov_b32 v2, 0 :: v_dual_mov_b32 v3, 0
	v_mov_b32_e32 v1, v0
	s_and_b32 s22, s0, 28
	s_mov_b32 s23, 0
	s_mov_b64 s[24:25], s[2:3]
	s_mov_b64 s[26:27], s[20:21]
.LBB173_69:                             ; =>This Inner Loop Header: Depth=1
	s_clause 0x1
	s_load_b256 s[40:47], s[24:25], 0x4
	s_load_b128 s[56:59], s[24:25], 0x24
	s_load_b256 s[48:55], s[26:27], 0x0
	s_add_co_i32 s23, s23, 4
	s_wait_xcnt 0x0
	s_add_nc_u64 s[24:25], s[24:25], 48
	s_cmp_eq_u32 s22, s23
	s_add_nc_u64 s[26:27], s[26:27], 32
	s_wait_kmcnt 0x0
	v_mul_hi_u32 v4, s41, v1
	s_delay_alu instid0(VALU_DEP_1) | instskip(NEXT) | instid1(VALU_DEP_1)
	v_add_nc_u32_e32 v4, v1, v4
	v_lshrrev_b32_e32 v4, s42, v4
	s_delay_alu instid0(VALU_DEP_1) | instskip(NEXT) | instid1(VALU_DEP_1)
	v_mul_hi_u32 v5, s44, v4
	v_add_nc_u32_e32 v5, v4, v5
	s_delay_alu instid0(VALU_DEP_1) | instskip(NEXT) | instid1(VALU_DEP_1)
	v_lshrrev_b32_e32 v5, s45, v5
	v_mul_hi_u32 v6, s47, v5
	s_delay_alu instid0(VALU_DEP_1) | instskip(SKIP_1) | instid1(VALU_DEP_1)
	v_add_nc_u32_e32 v6, v5, v6
	v_mul_lo_u32 v7, v4, s40
	v_sub_nc_u32_e32 v1, v1, v7
	v_mul_lo_u32 v7, v5, s43
	s_delay_alu instid0(VALU_DEP_4) | instskip(NEXT) | instid1(VALU_DEP_3)
	v_lshrrev_b32_e32 v6, s56, v6
	v_mad_u32 v3, v1, s49, v3
	v_mad_u32 v1, v1, s48, v2
	s_delay_alu instid0(VALU_DEP_4) | instskip(NEXT) | instid1(VALU_DEP_4)
	v_sub_nc_u32_e32 v2, v4, v7
	v_mul_hi_u32 v8, s58, v6
	v_mul_lo_u32 v4, v6, s46
	s_delay_alu instid0(VALU_DEP_3) | instskip(SKIP_1) | instid1(VALU_DEP_4)
	v_mad_u32 v3, v2, s51, v3
	v_mad_u32 v2, v2, s50, v1
	v_add_nc_u32_e32 v7, v6, v8
	s_delay_alu instid0(VALU_DEP_1) | instskip(NEXT) | instid1(VALU_DEP_1)
	v_dual_sub_nc_u32 v4, v5, v4 :: v_dual_lshrrev_b32 v1, s59, v7
	v_mad_u32 v3, v4, s53, v3
	s_delay_alu instid0(VALU_DEP_4) | instskip(NEXT) | instid1(VALU_DEP_3)
	v_mad_u32 v2, v4, s52, v2
	v_mul_lo_u32 v5, v1, s57
	s_delay_alu instid0(VALU_DEP_1) | instskip(NEXT) | instid1(VALU_DEP_1)
	v_sub_nc_u32_e32 v4, v6, v5
	v_mad_u32 v3, v4, s55, v3
	s_delay_alu instid0(VALU_DEP_4)
	v_mad_u32 v2, v4, s54, v2
	s_cbranch_scc0 .LBB173_69
	s_branch .LBB173_74
.LBB173_70:
                                        ; implicit-def: $vgpr3
	s_branch .LBB173_78
.LBB173_71:
                                        ; implicit-def: $sgpr22
	s_branch .LBB173_63
.LBB173_72:
	v_dual_mov_b32 v3, 0 :: v_dual_mov_b32 v2, 0
	s_branch .LBB173_77
.LBB173_73:
	v_mov_b64_e32 v[2:3], 0
	v_mov_b32_e32 v1, v0
	s_mov_b32 s22, 0
.LBB173_74:
	s_and_b32 s0, s0, 3
	s_mov_b32 s23, 0
	s_cmp_eq_u32 s0, 0
	s_cbranch_scc1 .LBB173_77
; %bb.75:
	s_lshl_b32 s24, s22, 3
	s_mov_b32 s25, s23
	s_mul_u64 s[26:27], s[22:23], 12
	s_add_nc_u64 s[24:25], s[2:3], s[24:25]
	s_delay_alu instid0(SALU_CYCLE_1)
	s_add_nc_u64 s[22:23], s[24:25], 0xc4
	s_add_nc_u64 s[24:25], s[2:3], s[26:27]
.LBB173_76:                             ; =>This Inner Loop Header: Depth=1
	s_load_b96 s[40:42], s[24:25], 0x4
	s_load_b64 s[26:27], s[22:23], 0x0
	s_add_co_i32 s0, s0, -1
	s_wait_xcnt 0x0
	s_add_nc_u64 s[24:25], s[24:25], 12
	s_cmp_lg_u32 s0, 0
	s_add_nc_u64 s[22:23], s[22:23], 8
	s_wait_kmcnt 0x0
	v_mul_hi_u32 v4, s41, v1
	s_delay_alu instid0(VALU_DEP_1) | instskip(NEXT) | instid1(VALU_DEP_1)
	v_add_nc_u32_e32 v4, v1, v4
	v_lshrrev_b32_e32 v4, s42, v4
	s_delay_alu instid0(VALU_DEP_1) | instskip(NEXT) | instid1(VALU_DEP_1)
	v_mul_lo_u32 v5, v4, s40
	v_sub_nc_u32_e32 v1, v1, v5
	s_delay_alu instid0(VALU_DEP_1)
	v_mad_u32 v3, v1, s27, v3
	v_mad_u32 v2, v1, s26, v2
	v_mov_b32_e32 v1, v4
	s_cbranch_scc1 .LBB173_76
.LBB173_77:
	s_cbranch_execnz .LBB173_80
.LBB173_78:
	v_mov_b32_e32 v1, 0
	s_and_not1_b32 vcc_lo, exec_lo, s35
	s_delay_alu instid0(VALU_DEP_1) | instskip(NEXT) | instid1(VALU_DEP_1)
	v_mul_u64_e32 v[2:3], s[16:17], v[0:1]
	v_add_nc_u32_e32 v2, v0, v3
	s_delay_alu instid0(VALU_DEP_1) | instskip(NEXT) | instid1(VALU_DEP_1)
	v_lshrrev_b32_e32 v4, s10, v2
	v_mul_lo_u32 v2, v4, s8
	s_delay_alu instid0(VALU_DEP_1) | instskip(NEXT) | instid1(VALU_DEP_1)
	v_sub_nc_u32_e32 v2, v0, v2
	v_mul_lo_u32 v3, v2, s13
	v_mul_lo_u32 v2, v2, s12
	s_cbranch_vccnz .LBB173_80
; %bb.79:
	v_mov_b32_e32 v5, v1
	s_delay_alu instid0(VALU_DEP_1) | instskip(NEXT) | instid1(VALU_DEP_1)
	v_mul_u64_e32 v[6:7], s[18:19], v[4:5]
	v_add_nc_u32_e32 v1, v4, v7
	s_delay_alu instid0(VALU_DEP_1) | instskip(NEXT) | instid1(VALU_DEP_1)
	v_lshrrev_b32_e32 v1, s1, v1
	v_mul_lo_u32 v1, v1, s11
	s_delay_alu instid0(VALU_DEP_1) | instskip(NEXT) | instid1(VALU_DEP_1)
	v_sub_nc_u32_e32 v1, v4, v1
	v_mad_u32 v2, v1, s14, v2
	v_mad_u32 v3, v1, s15, v3
.LBB173_80:
	global_load_b32 v3, v3, s[6:7]
	s_and_not1_b32 vcc_lo, exec_lo, s34
	s_wait_loadcnt 0x0
	v_lshlrev_b32_e32 v1, 16, v3
	s_wait_xcnt 0x0
	v_and_b32_e32 v3, 0xffff0000, v3
	s_cbranch_vccnz .LBB173_90
; %bb.81:
	s_delay_alu instid0(VALU_DEP_2) | instskip(NEXT) | instid1(VALU_DEP_2)
	v_cmp_neq_f32_e32 vcc_lo, s9, v1
	v_cmp_neq_f32_e64 s0, s33, v3
	s_or_b32 s22, vcc_lo, s0
	s_cbranch_execnz .LBB173_83
.LBB173_82:
	v_cmp_eq_f32_e32 vcc_lo, s9, v1
	s_delay_alu instid0(VALU_DEP_2) | instskip(SKIP_2) | instid1(SALU_CYCLE_1)
	v_cmp_eq_f32_e64 s0, s33, v3
	s_and_not1_b32 s22, s22, exec_lo
	s_and_b32 s0, vcc_lo, s0
	s_and_b32 s0, s0, exec_lo
	s_delay_alu instid0(SALU_CYCLE_1)
	s_or_b32 s22, s22, s0
.LBB173_83:
	s_delay_alu instid0(SALU_CYCLE_1) | instskip(SKIP_4) | instid1(SALU_CYCLE_1)
	v_cndmask_b32_e64 v1, 0, 1, s22
	v_add_nc_u32_e32 v0, 0x80, v0
	global_store_b8 v2, v1, s[4:5]
	s_wait_xcnt 0x0
	s_or_b32 exec_lo, exec_lo, s39
	s_mov_b32 s39, exec_lo
	v_cmpx_gt_i32_e64 s36, v0
	s_cbranch_execz .LBB173_6
.LBB173_84:
	s_and_not1_b32 vcc_lo, exec_lo, s30
	s_cbranch_vccnz .LBB173_89
; %bb.85:
	s_and_not1_b32 vcc_lo, exec_lo, s38
	s_cbranch_vccnz .LBB173_91
; %bb.86:
	s_add_co_i32 s0, s37, 1
	s_cmp_eq_u32 s29, 2
	s_cbranch_scc1 .LBB173_92
; %bb.87:
	v_dual_mov_b32 v2, 0 :: v_dual_mov_b32 v3, 0
	v_mov_b32_e32 v1, v0
	s_and_b32 s22, s0, 28
	s_mov_b32 s23, 0
	s_mov_b64 s[24:25], s[2:3]
	s_mov_b64 s[26:27], s[20:21]
.LBB173_88:                             ; =>This Inner Loop Header: Depth=1
	s_clause 0x1
	s_load_b256 s[40:47], s[24:25], 0x4
	s_load_b128 s[56:59], s[24:25], 0x24
	s_load_b256 s[48:55], s[26:27], 0x0
	s_add_co_i32 s23, s23, 4
	s_wait_xcnt 0x0
	s_add_nc_u64 s[24:25], s[24:25], 48
	s_cmp_eq_u32 s22, s23
	s_add_nc_u64 s[26:27], s[26:27], 32
	s_wait_kmcnt 0x0
	v_mul_hi_u32 v4, s41, v1
	s_delay_alu instid0(VALU_DEP_1) | instskip(NEXT) | instid1(VALU_DEP_1)
	v_add_nc_u32_e32 v4, v1, v4
	v_lshrrev_b32_e32 v4, s42, v4
	s_delay_alu instid0(VALU_DEP_1) | instskip(NEXT) | instid1(VALU_DEP_1)
	v_mul_hi_u32 v5, s44, v4
	v_add_nc_u32_e32 v5, v4, v5
	s_delay_alu instid0(VALU_DEP_1) | instskip(NEXT) | instid1(VALU_DEP_1)
	v_lshrrev_b32_e32 v5, s45, v5
	v_mul_hi_u32 v6, s47, v5
	s_delay_alu instid0(VALU_DEP_1) | instskip(SKIP_1) | instid1(VALU_DEP_1)
	v_add_nc_u32_e32 v6, v5, v6
	v_mul_lo_u32 v7, v4, s40
	v_sub_nc_u32_e32 v1, v1, v7
	v_mul_lo_u32 v7, v5, s43
	s_delay_alu instid0(VALU_DEP_4) | instskip(NEXT) | instid1(VALU_DEP_3)
	v_lshrrev_b32_e32 v6, s56, v6
	v_mad_u32 v3, v1, s49, v3
	v_mad_u32 v1, v1, s48, v2
	s_delay_alu instid0(VALU_DEP_4) | instskip(NEXT) | instid1(VALU_DEP_4)
	v_sub_nc_u32_e32 v2, v4, v7
	v_mul_hi_u32 v8, s58, v6
	v_mul_lo_u32 v4, v6, s46
	s_delay_alu instid0(VALU_DEP_3) | instskip(SKIP_1) | instid1(VALU_DEP_4)
	v_mad_u32 v3, v2, s51, v3
	v_mad_u32 v2, v2, s50, v1
	v_add_nc_u32_e32 v7, v6, v8
	s_delay_alu instid0(VALU_DEP_1) | instskip(NEXT) | instid1(VALU_DEP_1)
	v_dual_sub_nc_u32 v4, v5, v4 :: v_dual_lshrrev_b32 v1, s59, v7
	v_mad_u32 v3, v4, s53, v3
	s_delay_alu instid0(VALU_DEP_4) | instskip(NEXT) | instid1(VALU_DEP_3)
	v_mad_u32 v2, v4, s52, v2
	v_mul_lo_u32 v5, v1, s57
	s_delay_alu instid0(VALU_DEP_1) | instskip(NEXT) | instid1(VALU_DEP_1)
	v_sub_nc_u32_e32 v4, v6, v5
	v_mad_u32 v3, v4, s55, v3
	s_delay_alu instid0(VALU_DEP_4)
	v_mad_u32 v2, v4, s54, v2
	s_cbranch_scc0 .LBB173_88
	s_branch .LBB173_93
.LBB173_89:
                                        ; implicit-def: $vgpr3
	s_branch .LBB173_97
.LBB173_90:
                                        ; implicit-def: $sgpr22
	s_branch .LBB173_82
.LBB173_91:
	v_dual_mov_b32 v3, 0 :: v_dual_mov_b32 v2, 0
	s_branch .LBB173_96
.LBB173_92:
	v_mov_b64_e32 v[2:3], 0
	v_mov_b32_e32 v1, v0
	s_mov_b32 s22, 0
.LBB173_93:
	s_and_b32 s0, s0, 3
	s_mov_b32 s23, 0
	s_cmp_eq_u32 s0, 0
	s_cbranch_scc1 .LBB173_96
; %bb.94:
	s_lshl_b32 s24, s22, 3
	s_mov_b32 s25, s23
	s_mul_u64 s[26:27], s[22:23], 12
	s_add_nc_u64 s[24:25], s[2:3], s[24:25]
	s_delay_alu instid0(SALU_CYCLE_1)
	s_add_nc_u64 s[22:23], s[24:25], 0xc4
	s_add_nc_u64 s[24:25], s[2:3], s[26:27]
.LBB173_95:                             ; =>This Inner Loop Header: Depth=1
	s_load_b96 s[40:42], s[24:25], 0x4
	s_load_b64 s[26:27], s[22:23], 0x0
	s_add_co_i32 s0, s0, -1
	s_wait_xcnt 0x0
	s_add_nc_u64 s[24:25], s[24:25], 12
	s_cmp_lg_u32 s0, 0
	s_add_nc_u64 s[22:23], s[22:23], 8
	s_wait_kmcnt 0x0
	v_mul_hi_u32 v4, s41, v1
	s_delay_alu instid0(VALU_DEP_1) | instskip(NEXT) | instid1(VALU_DEP_1)
	v_add_nc_u32_e32 v4, v1, v4
	v_lshrrev_b32_e32 v4, s42, v4
	s_delay_alu instid0(VALU_DEP_1) | instskip(NEXT) | instid1(VALU_DEP_1)
	v_mul_lo_u32 v5, v4, s40
	v_sub_nc_u32_e32 v1, v1, v5
	s_delay_alu instid0(VALU_DEP_1)
	v_mad_u32 v3, v1, s27, v3
	v_mad_u32 v2, v1, s26, v2
	v_mov_b32_e32 v1, v4
	s_cbranch_scc1 .LBB173_95
.LBB173_96:
	s_cbranch_execnz .LBB173_99
.LBB173_97:
	v_mov_b32_e32 v1, 0
	s_and_not1_b32 vcc_lo, exec_lo, s35
	s_delay_alu instid0(VALU_DEP_1) | instskip(NEXT) | instid1(VALU_DEP_1)
	v_mul_u64_e32 v[2:3], s[16:17], v[0:1]
	v_add_nc_u32_e32 v2, v0, v3
	s_delay_alu instid0(VALU_DEP_1) | instskip(NEXT) | instid1(VALU_DEP_1)
	v_lshrrev_b32_e32 v4, s10, v2
	v_mul_lo_u32 v2, v4, s8
	s_delay_alu instid0(VALU_DEP_1) | instskip(NEXT) | instid1(VALU_DEP_1)
	v_sub_nc_u32_e32 v2, v0, v2
	v_mul_lo_u32 v3, v2, s13
	v_mul_lo_u32 v2, v2, s12
	s_cbranch_vccnz .LBB173_99
; %bb.98:
	v_mov_b32_e32 v5, v1
	s_delay_alu instid0(VALU_DEP_1) | instskip(NEXT) | instid1(VALU_DEP_1)
	v_mul_u64_e32 v[6:7], s[18:19], v[4:5]
	v_add_nc_u32_e32 v1, v4, v7
	s_delay_alu instid0(VALU_DEP_1) | instskip(NEXT) | instid1(VALU_DEP_1)
	v_lshrrev_b32_e32 v1, s1, v1
	v_mul_lo_u32 v1, v1, s11
	s_delay_alu instid0(VALU_DEP_1) | instskip(NEXT) | instid1(VALU_DEP_1)
	v_sub_nc_u32_e32 v1, v4, v1
	v_mad_u32 v2, v1, s14, v2
	v_mad_u32 v3, v1, s15, v3
.LBB173_99:
	global_load_b32 v3, v3, s[6:7]
	s_and_not1_b32 vcc_lo, exec_lo, s34
	s_wait_loadcnt 0x0
	v_lshlrev_b32_e32 v1, 16, v3
	s_wait_xcnt 0x0
	v_and_b32_e32 v3, 0xffff0000, v3
	s_cbranch_vccnz .LBB173_109
; %bb.100:
	s_delay_alu instid0(VALU_DEP_2) | instskip(NEXT) | instid1(VALU_DEP_2)
	v_cmp_neq_f32_e32 vcc_lo, s9, v1
	v_cmp_neq_f32_e64 s0, s33, v3
	s_or_b32 s22, vcc_lo, s0
	s_cbranch_execnz .LBB173_102
.LBB173_101:
	v_cmp_eq_f32_e32 vcc_lo, s9, v1
	s_delay_alu instid0(VALU_DEP_2) | instskip(SKIP_2) | instid1(SALU_CYCLE_1)
	v_cmp_eq_f32_e64 s0, s33, v3
	s_and_not1_b32 s22, s22, exec_lo
	s_and_b32 s0, vcc_lo, s0
	s_and_b32 s0, s0, exec_lo
	s_delay_alu instid0(SALU_CYCLE_1)
	s_or_b32 s22, s22, s0
.LBB173_102:
	s_delay_alu instid0(SALU_CYCLE_1) | instskip(SKIP_4) | instid1(SALU_CYCLE_1)
	v_cndmask_b32_e64 v1, 0, 1, s22
	v_add_nc_u32_e32 v0, 0x80, v0
	global_store_b8 v2, v1, s[4:5]
	s_wait_xcnt 0x0
	s_or_b32 exec_lo, exec_lo, s39
	s_mov_b32 s39, exec_lo
	v_cmpx_gt_i32_e64 s36, v0
	s_cbranch_execz .LBB173_7
.LBB173_103:
	s_and_not1_b32 vcc_lo, exec_lo, s30
	s_cbranch_vccnz .LBB173_108
; %bb.104:
	s_and_not1_b32 vcc_lo, exec_lo, s38
	s_cbranch_vccnz .LBB173_110
; %bb.105:
	s_add_co_i32 s0, s37, 1
	s_cmp_eq_u32 s29, 2
	s_cbranch_scc1 .LBB173_111
; %bb.106:
	v_dual_mov_b32 v2, 0 :: v_dual_mov_b32 v3, 0
	v_mov_b32_e32 v1, v0
	s_and_b32 s22, s0, 28
	s_mov_b32 s23, 0
	s_mov_b64 s[24:25], s[2:3]
	s_mov_b64 s[26:27], s[20:21]
.LBB173_107:                            ; =>This Inner Loop Header: Depth=1
	s_clause 0x1
	s_load_b256 s[40:47], s[24:25], 0x4
	s_load_b128 s[56:59], s[24:25], 0x24
	s_load_b256 s[48:55], s[26:27], 0x0
	s_add_co_i32 s23, s23, 4
	s_wait_xcnt 0x0
	s_add_nc_u64 s[24:25], s[24:25], 48
	s_cmp_eq_u32 s22, s23
	s_add_nc_u64 s[26:27], s[26:27], 32
	s_wait_kmcnt 0x0
	v_mul_hi_u32 v4, s41, v1
	s_delay_alu instid0(VALU_DEP_1) | instskip(NEXT) | instid1(VALU_DEP_1)
	v_add_nc_u32_e32 v4, v1, v4
	v_lshrrev_b32_e32 v4, s42, v4
	s_delay_alu instid0(VALU_DEP_1) | instskip(NEXT) | instid1(VALU_DEP_1)
	v_mul_hi_u32 v5, s44, v4
	v_add_nc_u32_e32 v5, v4, v5
	s_delay_alu instid0(VALU_DEP_1) | instskip(NEXT) | instid1(VALU_DEP_1)
	v_lshrrev_b32_e32 v5, s45, v5
	v_mul_hi_u32 v6, s47, v5
	s_delay_alu instid0(VALU_DEP_1) | instskip(SKIP_1) | instid1(VALU_DEP_1)
	v_add_nc_u32_e32 v6, v5, v6
	v_mul_lo_u32 v7, v4, s40
	v_sub_nc_u32_e32 v1, v1, v7
	v_mul_lo_u32 v7, v5, s43
	s_delay_alu instid0(VALU_DEP_4) | instskip(NEXT) | instid1(VALU_DEP_3)
	v_lshrrev_b32_e32 v6, s56, v6
	v_mad_u32 v3, v1, s49, v3
	v_mad_u32 v1, v1, s48, v2
	s_delay_alu instid0(VALU_DEP_4) | instskip(NEXT) | instid1(VALU_DEP_4)
	v_sub_nc_u32_e32 v2, v4, v7
	v_mul_hi_u32 v8, s58, v6
	v_mul_lo_u32 v4, v6, s46
	s_delay_alu instid0(VALU_DEP_3) | instskip(SKIP_1) | instid1(VALU_DEP_4)
	v_mad_u32 v3, v2, s51, v3
	v_mad_u32 v2, v2, s50, v1
	v_add_nc_u32_e32 v7, v6, v8
	s_delay_alu instid0(VALU_DEP_1) | instskip(NEXT) | instid1(VALU_DEP_1)
	v_dual_sub_nc_u32 v4, v5, v4 :: v_dual_lshrrev_b32 v1, s59, v7
	v_mad_u32 v3, v4, s53, v3
	s_delay_alu instid0(VALU_DEP_4) | instskip(NEXT) | instid1(VALU_DEP_3)
	v_mad_u32 v2, v4, s52, v2
	v_mul_lo_u32 v5, v1, s57
	s_delay_alu instid0(VALU_DEP_1) | instskip(NEXT) | instid1(VALU_DEP_1)
	v_sub_nc_u32_e32 v4, v6, v5
	v_mad_u32 v3, v4, s55, v3
	s_delay_alu instid0(VALU_DEP_4)
	v_mad_u32 v2, v4, s54, v2
	s_cbranch_scc0 .LBB173_107
	s_branch .LBB173_112
.LBB173_108:
                                        ; implicit-def: $vgpr3
	s_branch .LBB173_116
.LBB173_109:
                                        ; implicit-def: $sgpr22
	s_branch .LBB173_101
.LBB173_110:
	v_dual_mov_b32 v3, 0 :: v_dual_mov_b32 v2, 0
	s_branch .LBB173_115
.LBB173_111:
	v_mov_b64_e32 v[2:3], 0
	v_mov_b32_e32 v1, v0
	s_mov_b32 s22, 0
.LBB173_112:
	s_and_b32 s0, s0, 3
	s_mov_b32 s23, 0
	s_cmp_eq_u32 s0, 0
	s_cbranch_scc1 .LBB173_115
; %bb.113:
	s_lshl_b32 s24, s22, 3
	s_mov_b32 s25, s23
	s_mul_u64 s[26:27], s[22:23], 12
	s_add_nc_u64 s[24:25], s[2:3], s[24:25]
	s_delay_alu instid0(SALU_CYCLE_1)
	s_add_nc_u64 s[22:23], s[24:25], 0xc4
	s_add_nc_u64 s[24:25], s[2:3], s[26:27]
.LBB173_114:                            ; =>This Inner Loop Header: Depth=1
	s_load_b96 s[40:42], s[24:25], 0x4
	s_load_b64 s[26:27], s[22:23], 0x0
	s_add_co_i32 s0, s0, -1
	s_wait_xcnt 0x0
	s_add_nc_u64 s[24:25], s[24:25], 12
	s_cmp_lg_u32 s0, 0
	s_add_nc_u64 s[22:23], s[22:23], 8
	s_wait_kmcnt 0x0
	v_mul_hi_u32 v4, s41, v1
	s_delay_alu instid0(VALU_DEP_1) | instskip(NEXT) | instid1(VALU_DEP_1)
	v_add_nc_u32_e32 v4, v1, v4
	v_lshrrev_b32_e32 v4, s42, v4
	s_delay_alu instid0(VALU_DEP_1) | instskip(NEXT) | instid1(VALU_DEP_1)
	v_mul_lo_u32 v5, v4, s40
	v_sub_nc_u32_e32 v1, v1, v5
	s_delay_alu instid0(VALU_DEP_1)
	v_mad_u32 v3, v1, s27, v3
	v_mad_u32 v2, v1, s26, v2
	v_mov_b32_e32 v1, v4
	s_cbranch_scc1 .LBB173_114
.LBB173_115:
	s_cbranch_execnz .LBB173_118
.LBB173_116:
	v_mov_b32_e32 v1, 0
	s_and_not1_b32 vcc_lo, exec_lo, s35
	s_delay_alu instid0(VALU_DEP_1) | instskip(NEXT) | instid1(VALU_DEP_1)
	v_mul_u64_e32 v[2:3], s[16:17], v[0:1]
	v_add_nc_u32_e32 v2, v0, v3
	s_delay_alu instid0(VALU_DEP_1) | instskip(NEXT) | instid1(VALU_DEP_1)
	v_lshrrev_b32_e32 v4, s10, v2
	v_mul_lo_u32 v2, v4, s8
	s_delay_alu instid0(VALU_DEP_1) | instskip(NEXT) | instid1(VALU_DEP_1)
	v_sub_nc_u32_e32 v2, v0, v2
	v_mul_lo_u32 v3, v2, s13
	v_mul_lo_u32 v2, v2, s12
	s_cbranch_vccnz .LBB173_118
; %bb.117:
	v_mov_b32_e32 v5, v1
	s_delay_alu instid0(VALU_DEP_1) | instskip(NEXT) | instid1(VALU_DEP_1)
	v_mul_u64_e32 v[6:7], s[18:19], v[4:5]
	v_add_nc_u32_e32 v1, v4, v7
	s_delay_alu instid0(VALU_DEP_1) | instskip(NEXT) | instid1(VALU_DEP_1)
	v_lshrrev_b32_e32 v1, s1, v1
	v_mul_lo_u32 v1, v1, s11
	s_delay_alu instid0(VALU_DEP_1) | instskip(NEXT) | instid1(VALU_DEP_1)
	v_sub_nc_u32_e32 v1, v4, v1
	v_mad_u32 v2, v1, s14, v2
	v_mad_u32 v3, v1, s15, v3
.LBB173_118:
	global_load_b32 v3, v3, s[6:7]
	s_and_not1_b32 vcc_lo, exec_lo, s34
	s_wait_loadcnt 0x0
	v_lshlrev_b32_e32 v1, 16, v3
	s_wait_xcnt 0x0
	v_and_b32_e32 v3, 0xffff0000, v3
	s_cbranch_vccnz .LBB173_128
; %bb.119:
	s_delay_alu instid0(VALU_DEP_2) | instskip(NEXT) | instid1(VALU_DEP_2)
	v_cmp_neq_f32_e32 vcc_lo, s9, v1
	v_cmp_neq_f32_e64 s0, s33, v3
	s_or_b32 s22, vcc_lo, s0
	s_cbranch_execnz .LBB173_121
.LBB173_120:
	v_cmp_eq_f32_e32 vcc_lo, s9, v1
	s_delay_alu instid0(VALU_DEP_2) | instskip(SKIP_2) | instid1(SALU_CYCLE_1)
	v_cmp_eq_f32_e64 s0, s33, v3
	s_and_not1_b32 s22, s22, exec_lo
	s_and_b32 s0, vcc_lo, s0
	s_and_b32 s0, s0, exec_lo
	s_delay_alu instid0(SALU_CYCLE_1)
	s_or_b32 s22, s22, s0
.LBB173_121:
	s_delay_alu instid0(SALU_CYCLE_1) | instskip(SKIP_4) | instid1(SALU_CYCLE_1)
	v_cndmask_b32_e64 v1, 0, 1, s22
	v_add_nc_u32_e32 v0, 0x80, v0
	global_store_b8 v2, v1, s[4:5]
	s_wait_xcnt 0x0
	s_or_b32 exec_lo, exec_lo, s39
	s_mov_b32 s39, exec_lo
	v_cmpx_gt_i32_e64 s36, v0
	s_cbranch_execz .LBB173_8
.LBB173_122:
	s_and_not1_b32 vcc_lo, exec_lo, s30
	s_cbranch_vccnz .LBB173_127
; %bb.123:
	s_and_not1_b32 vcc_lo, exec_lo, s38
	s_cbranch_vccnz .LBB173_129
; %bb.124:
	s_add_co_i32 s0, s37, 1
	s_cmp_eq_u32 s29, 2
	s_cbranch_scc1 .LBB173_130
; %bb.125:
	v_dual_mov_b32 v2, 0 :: v_dual_mov_b32 v3, 0
	v_mov_b32_e32 v1, v0
	s_and_b32 s22, s0, 28
	s_mov_b32 s23, 0
	s_mov_b64 s[24:25], s[2:3]
	s_mov_b64 s[26:27], s[20:21]
.LBB173_126:                            ; =>This Inner Loop Header: Depth=1
	s_clause 0x1
	s_load_b256 s[40:47], s[24:25], 0x4
	s_load_b128 s[56:59], s[24:25], 0x24
	s_load_b256 s[48:55], s[26:27], 0x0
	s_add_co_i32 s23, s23, 4
	s_wait_xcnt 0x0
	s_add_nc_u64 s[24:25], s[24:25], 48
	s_cmp_eq_u32 s22, s23
	s_add_nc_u64 s[26:27], s[26:27], 32
	s_wait_kmcnt 0x0
	v_mul_hi_u32 v4, s41, v1
	s_delay_alu instid0(VALU_DEP_1) | instskip(NEXT) | instid1(VALU_DEP_1)
	v_add_nc_u32_e32 v4, v1, v4
	v_lshrrev_b32_e32 v4, s42, v4
	s_delay_alu instid0(VALU_DEP_1) | instskip(NEXT) | instid1(VALU_DEP_1)
	v_mul_hi_u32 v5, s44, v4
	v_add_nc_u32_e32 v5, v4, v5
	s_delay_alu instid0(VALU_DEP_1) | instskip(NEXT) | instid1(VALU_DEP_1)
	v_lshrrev_b32_e32 v5, s45, v5
	v_mul_hi_u32 v6, s47, v5
	s_delay_alu instid0(VALU_DEP_1) | instskip(SKIP_1) | instid1(VALU_DEP_1)
	v_add_nc_u32_e32 v6, v5, v6
	v_mul_lo_u32 v7, v4, s40
	v_sub_nc_u32_e32 v1, v1, v7
	v_mul_lo_u32 v7, v5, s43
	s_delay_alu instid0(VALU_DEP_4) | instskip(NEXT) | instid1(VALU_DEP_3)
	v_lshrrev_b32_e32 v6, s56, v6
	v_mad_u32 v3, v1, s49, v3
	v_mad_u32 v1, v1, s48, v2
	s_delay_alu instid0(VALU_DEP_4) | instskip(NEXT) | instid1(VALU_DEP_4)
	v_sub_nc_u32_e32 v2, v4, v7
	v_mul_hi_u32 v8, s58, v6
	v_mul_lo_u32 v4, v6, s46
	s_delay_alu instid0(VALU_DEP_3) | instskip(SKIP_1) | instid1(VALU_DEP_4)
	v_mad_u32 v3, v2, s51, v3
	v_mad_u32 v2, v2, s50, v1
	v_add_nc_u32_e32 v7, v6, v8
	s_delay_alu instid0(VALU_DEP_1) | instskip(NEXT) | instid1(VALU_DEP_1)
	v_dual_sub_nc_u32 v4, v5, v4 :: v_dual_lshrrev_b32 v1, s59, v7
	v_mad_u32 v3, v4, s53, v3
	s_delay_alu instid0(VALU_DEP_4) | instskip(NEXT) | instid1(VALU_DEP_3)
	v_mad_u32 v2, v4, s52, v2
	v_mul_lo_u32 v5, v1, s57
	s_delay_alu instid0(VALU_DEP_1) | instskip(NEXT) | instid1(VALU_DEP_1)
	v_sub_nc_u32_e32 v4, v6, v5
	v_mad_u32 v3, v4, s55, v3
	s_delay_alu instid0(VALU_DEP_4)
	v_mad_u32 v2, v4, s54, v2
	s_cbranch_scc0 .LBB173_126
	s_branch .LBB173_131
.LBB173_127:
                                        ; implicit-def: $vgpr3
	s_branch .LBB173_135
.LBB173_128:
                                        ; implicit-def: $sgpr22
	s_branch .LBB173_120
.LBB173_129:
	v_dual_mov_b32 v3, 0 :: v_dual_mov_b32 v2, 0
	s_branch .LBB173_134
.LBB173_130:
	v_mov_b64_e32 v[2:3], 0
	v_mov_b32_e32 v1, v0
	s_mov_b32 s22, 0
.LBB173_131:
	s_and_b32 s0, s0, 3
	s_mov_b32 s23, 0
	s_cmp_eq_u32 s0, 0
	s_cbranch_scc1 .LBB173_134
; %bb.132:
	s_lshl_b32 s24, s22, 3
	s_mov_b32 s25, s23
	s_mul_u64 s[26:27], s[22:23], 12
	s_add_nc_u64 s[24:25], s[2:3], s[24:25]
	s_delay_alu instid0(SALU_CYCLE_1)
	s_add_nc_u64 s[22:23], s[24:25], 0xc4
	s_add_nc_u64 s[24:25], s[2:3], s[26:27]
.LBB173_133:                            ; =>This Inner Loop Header: Depth=1
	s_load_b96 s[40:42], s[24:25], 0x4
	s_load_b64 s[26:27], s[22:23], 0x0
	s_add_co_i32 s0, s0, -1
	s_wait_xcnt 0x0
	s_add_nc_u64 s[24:25], s[24:25], 12
	s_cmp_lg_u32 s0, 0
	s_add_nc_u64 s[22:23], s[22:23], 8
	s_wait_kmcnt 0x0
	v_mul_hi_u32 v4, s41, v1
	s_delay_alu instid0(VALU_DEP_1) | instskip(NEXT) | instid1(VALU_DEP_1)
	v_add_nc_u32_e32 v4, v1, v4
	v_lshrrev_b32_e32 v4, s42, v4
	s_delay_alu instid0(VALU_DEP_1) | instskip(NEXT) | instid1(VALU_DEP_1)
	v_mul_lo_u32 v5, v4, s40
	v_sub_nc_u32_e32 v1, v1, v5
	s_delay_alu instid0(VALU_DEP_1)
	v_mad_u32 v3, v1, s27, v3
	v_mad_u32 v2, v1, s26, v2
	v_mov_b32_e32 v1, v4
	s_cbranch_scc1 .LBB173_133
.LBB173_134:
	s_cbranch_execnz .LBB173_137
.LBB173_135:
	v_mov_b32_e32 v1, 0
	s_and_not1_b32 vcc_lo, exec_lo, s35
	s_delay_alu instid0(VALU_DEP_1) | instskip(NEXT) | instid1(VALU_DEP_1)
	v_mul_u64_e32 v[2:3], s[16:17], v[0:1]
	v_add_nc_u32_e32 v2, v0, v3
	s_delay_alu instid0(VALU_DEP_1) | instskip(NEXT) | instid1(VALU_DEP_1)
	v_lshrrev_b32_e32 v4, s10, v2
	v_mul_lo_u32 v2, v4, s8
	s_delay_alu instid0(VALU_DEP_1) | instskip(NEXT) | instid1(VALU_DEP_1)
	v_sub_nc_u32_e32 v2, v0, v2
	v_mul_lo_u32 v3, v2, s13
	v_mul_lo_u32 v2, v2, s12
	s_cbranch_vccnz .LBB173_137
; %bb.136:
	v_mov_b32_e32 v5, v1
	s_delay_alu instid0(VALU_DEP_1) | instskip(NEXT) | instid1(VALU_DEP_1)
	v_mul_u64_e32 v[6:7], s[18:19], v[4:5]
	v_add_nc_u32_e32 v1, v4, v7
	s_delay_alu instid0(VALU_DEP_1) | instskip(NEXT) | instid1(VALU_DEP_1)
	v_lshrrev_b32_e32 v1, s1, v1
	v_mul_lo_u32 v1, v1, s11
	s_delay_alu instid0(VALU_DEP_1) | instskip(NEXT) | instid1(VALU_DEP_1)
	v_sub_nc_u32_e32 v1, v4, v1
	v_mad_u32 v2, v1, s14, v2
	v_mad_u32 v3, v1, s15, v3
.LBB173_137:
	global_load_b32 v3, v3, s[6:7]
	s_and_not1_b32 vcc_lo, exec_lo, s34
	s_wait_loadcnt 0x0
	v_lshlrev_b32_e32 v1, 16, v3
	s_wait_xcnt 0x0
	v_and_b32_e32 v3, 0xffff0000, v3
	s_cbranch_vccnz .LBB173_147
; %bb.138:
	s_delay_alu instid0(VALU_DEP_2) | instskip(NEXT) | instid1(VALU_DEP_2)
	v_cmp_neq_f32_e32 vcc_lo, s9, v1
	v_cmp_neq_f32_e64 s0, s33, v3
	s_or_b32 s22, vcc_lo, s0
	s_cbranch_execnz .LBB173_140
.LBB173_139:
	v_cmp_eq_f32_e32 vcc_lo, s9, v1
	s_delay_alu instid0(VALU_DEP_2) | instskip(SKIP_2) | instid1(SALU_CYCLE_1)
	v_cmp_eq_f32_e64 s0, s33, v3
	s_and_not1_b32 s22, s22, exec_lo
	s_and_b32 s0, vcc_lo, s0
	s_and_b32 s0, s0, exec_lo
	s_delay_alu instid0(SALU_CYCLE_1)
	s_or_b32 s22, s22, s0
.LBB173_140:
	s_delay_alu instid0(SALU_CYCLE_1) | instskip(SKIP_4) | instid1(SALU_CYCLE_1)
	v_cndmask_b32_e64 v1, 0, 1, s22
	v_add_nc_u32_e32 v0, 0x80, v0
	global_store_b8 v2, v1, s[4:5]
	s_wait_xcnt 0x0
	s_or_b32 exec_lo, exec_lo, s39
	s_mov_b32 s26, exec_lo
	v_cmpx_gt_i32_e64 s36, v0
	s_cbranch_execz .LBB173_160
.LBB173_141:
	s_and_not1_b32 vcc_lo, exec_lo, s30
	s_cbranch_vccnz .LBB173_146
; %bb.142:
	s_and_not1_b32 vcc_lo, exec_lo, s38
	s_cbranch_vccnz .LBB173_148
; %bb.143:
	s_add_co_i32 s37, s37, 1
	s_cmp_eq_u32 s29, 2
	s_cbranch_scc1 .LBB173_149
; %bb.144:
	v_dual_mov_b32 v2, 0 :: v_dual_mov_b32 v3, 0
	v_mov_b32_e32 v1, v0
	s_and_b32 s22, s37, 28
	s_mov_b32 s0, 0
	s_mov_b64 s[24:25], s[2:3]
.LBB173_145:                            ; =>This Inner Loop Header: Depth=1
	s_clause 0x1
	s_load_b256 s[40:47], s[24:25], 0x4
	s_load_b128 s[56:59], s[24:25], 0x24
	s_load_b256 s[48:55], s[20:21], 0x0
	s_add_co_i32 s0, s0, 4
	s_wait_xcnt 0x0
	s_add_nc_u64 s[24:25], s[24:25], 48
	s_cmp_eq_u32 s22, s0
	s_add_nc_u64 s[20:21], s[20:21], 32
	s_wait_kmcnt 0x0
	v_mul_hi_u32 v4, s41, v1
	s_delay_alu instid0(VALU_DEP_1) | instskip(NEXT) | instid1(VALU_DEP_1)
	v_add_nc_u32_e32 v4, v1, v4
	v_lshrrev_b32_e32 v4, s42, v4
	s_delay_alu instid0(VALU_DEP_1) | instskip(NEXT) | instid1(VALU_DEP_1)
	v_mul_hi_u32 v5, s44, v4
	v_add_nc_u32_e32 v5, v4, v5
	s_delay_alu instid0(VALU_DEP_1) | instskip(NEXT) | instid1(VALU_DEP_1)
	v_lshrrev_b32_e32 v5, s45, v5
	v_mul_hi_u32 v6, s47, v5
	s_delay_alu instid0(VALU_DEP_1) | instskip(SKIP_1) | instid1(VALU_DEP_1)
	v_add_nc_u32_e32 v6, v5, v6
	v_mul_lo_u32 v7, v4, s40
	v_sub_nc_u32_e32 v1, v1, v7
	v_mul_lo_u32 v7, v5, s43
	s_delay_alu instid0(VALU_DEP_4) | instskip(NEXT) | instid1(VALU_DEP_3)
	v_lshrrev_b32_e32 v6, s56, v6
	v_mad_u32 v3, v1, s49, v3
	v_mad_u32 v1, v1, s48, v2
	s_delay_alu instid0(VALU_DEP_4) | instskip(NEXT) | instid1(VALU_DEP_4)
	v_sub_nc_u32_e32 v2, v4, v7
	v_mul_hi_u32 v8, s58, v6
	v_mul_lo_u32 v4, v6, s46
	s_delay_alu instid0(VALU_DEP_3) | instskip(SKIP_1) | instid1(VALU_DEP_4)
	v_mad_u32 v3, v2, s51, v3
	v_mad_u32 v2, v2, s50, v1
	v_add_nc_u32_e32 v7, v6, v8
	s_delay_alu instid0(VALU_DEP_1) | instskip(NEXT) | instid1(VALU_DEP_1)
	v_dual_sub_nc_u32 v4, v5, v4 :: v_dual_lshrrev_b32 v1, s59, v7
	v_mad_u32 v3, v4, s53, v3
	s_delay_alu instid0(VALU_DEP_4) | instskip(NEXT) | instid1(VALU_DEP_3)
	v_mad_u32 v2, v4, s52, v2
	v_mul_lo_u32 v5, v1, s57
	s_delay_alu instid0(VALU_DEP_1) | instskip(NEXT) | instid1(VALU_DEP_1)
	v_sub_nc_u32_e32 v4, v6, v5
	v_mad_u32 v3, v4, s55, v3
	s_delay_alu instid0(VALU_DEP_4)
	v_mad_u32 v2, v4, s54, v2
	s_cbranch_scc0 .LBB173_145
	s_branch .LBB173_150
.LBB173_146:
                                        ; implicit-def: $vgpr3
	s_branch .LBB173_154
.LBB173_147:
                                        ; implicit-def: $sgpr22
	s_branch .LBB173_139
.LBB173_148:
	v_dual_mov_b32 v3, 0 :: v_dual_mov_b32 v2, 0
	s_branch .LBB173_153
.LBB173_149:
	v_mov_b64_e32 v[2:3], 0
	v_mov_b32_e32 v1, v0
	s_mov_b32 s22, 0
.LBB173_150:
	s_and_b32 s0, s37, 3
	s_mov_b32 s23, 0
	s_cmp_eq_u32 s0, 0
	s_cbranch_scc1 .LBB173_153
; %bb.151:
	s_lshl_b32 s20, s22, 3
	s_mov_b32 s21, s23
	s_mul_u64 s[22:23], s[22:23], 12
	s_add_nc_u64 s[20:21], s[2:3], s[20:21]
	s_add_nc_u64 s[22:23], s[2:3], s[22:23]
	;; [unrolled: 1-line block ×3, first 2 shown]
.LBB173_152:                            ; =>This Inner Loop Header: Depth=1
	s_load_b96 s[36:38], s[22:23], 0x4
	s_load_b64 s[24:25], s[20:21], 0x0
	s_add_co_i32 s0, s0, -1
	s_wait_xcnt 0x0
	s_add_nc_u64 s[22:23], s[22:23], 12
	s_cmp_lg_u32 s0, 0
	s_add_nc_u64 s[20:21], s[20:21], 8
	s_wait_kmcnt 0x0
	v_mul_hi_u32 v4, s37, v1
	s_delay_alu instid0(VALU_DEP_1) | instskip(NEXT) | instid1(VALU_DEP_1)
	v_add_nc_u32_e32 v4, v1, v4
	v_lshrrev_b32_e32 v4, s38, v4
	s_delay_alu instid0(VALU_DEP_1) | instskip(NEXT) | instid1(VALU_DEP_1)
	v_mul_lo_u32 v5, v4, s36
	v_sub_nc_u32_e32 v1, v1, v5
	s_delay_alu instid0(VALU_DEP_1)
	v_mad_u32 v3, v1, s25, v3
	v_mad_u32 v2, v1, s24, v2
	v_mov_b32_e32 v1, v4
	s_cbranch_scc1 .LBB173_152
.LBB173_153:
	s_cbranch_execnz .LBB173_156
.LBB173_154:
	v_mov_b32_e32 v1, 0
	s_and_not1_b32 vcc_lo, exec_lo, s35
	s_delay_alu instid0(VALU_DEP_1) | instskip(NEXT) | instid1(VALU_DEP_1)
	v_mul_u64_e32 v[2:3], s[16:17], v[0:1]
	v_add_nc_u32_e32 v2, v0, v3
	s_delay_alu instid0(VALU_DEP_1) | instskip(NEXT) | instid1(VALU_DEP_1)
	v_lshrrev_b32_e32 v4, s10, v2
	v_mul_lo_u32 v2, v4, s8
	s_delay_alu instid0(VALU_DEP_1) | instskip(NEXT) | instid1(VALU_DEP_1)
	v_sub_nc_u32_e32 v0, v0, v2
	v_mul_lo_u32 v3, v0, s13
	v_mul_lo_u32 v2, v0, s12
	s_cbranch_vccnz .LBB173_156
; %bb.155:
	v_mov_b32_e32 v5, v1
	s_delay_alu instid0(VALU_DEP_1) | instskip(NEXT) | instid1(VALU_DEP_1)
	v_mul_u64_e32 v[0:1], s[18:19], v[4:5]
	v_add_nc_u32_e32 v0, v4, v1
	s_delay_alu instid0(VALU_DEP_1) | instskip(NEXT) | instid1(VALU_DEP_1)
	v_lshrrev_b32_e32 v0, s1, v0
	v_mul_lo_u32 v0, v0, s11
	s_delay_alu instid0(VALU_DEP_1) | instskip(NEXT) | instid1(VALU_DEP_1)
	v_sub_nc_u32_e32 v0, v4, v0
	v_mad_u32 v2, v0, s14, v2
	v_mad_u32 v3, v0, s15, v3
.LBB173_156:
	global_load_b32 v1, v3, s[6:7]
	s_and_not1_b32 vcc_lo, exec_lo, s34
	s_wait_loadcnt 0x0
	v_lshlrev_b32_e32 v0, 16, v1
	v_and_b32_e32 v1, 0xffff0000, v1
	s_cbranch_vccnz .LBB173_170
; %bb.157:
	s_delay_alu instid0(VALU_DEP_2) | instskip(NEXT) | instid1(VALU_DEP_2)
	v_cmp_neq_f32_e32 vcc_lo, s9, v0
	v_cmp_neq_f32_e64 s0, s33, v1
	s_or_b32 s1, vcc_lo, s0
	s_cbranch_execnz .LBB173_159
.LBB173_158:
	s_delay_alu instid0(VALU_DEP_2) | instskip(NEXT) | instid1(VALU_DEP_2)
	v_cmp_eq_f32_e32 vcc_lo, s9, v0
	v_cmp_eq_f32_e64 s0, s33, v1
	s_and_not1_b32 s1, s1, exec_lo
	s_and_b32 s0, vcc_lo, s0
	s_delay_alu instid0(SALU_CYCLE_1) | instskip(NEXT) | instid1(SALU_CYCLE_1)
	s_and_b32 s0, s0, exec_lo
	s_or_b32 s1, s1, s0
.LBB173_159:
	s_delay_alu instid0(SALU_CYCLE_1)
	v_cndmask_b32_e64 v0, 0, 1, s1
	global_store_b8 v2, v0, s[4:5]
.LBB173_160:
	s_wait_xcnt 0x0
	s_or_b32 exec_lo, exec_lo, s26
                                        ; implicit-def: $vgpr16
                                        ; implicit-def: $vgpr0
.LBB173_161:
	s_and_not1_saveexec_b32 s0, s31
	s_cbranch_execz .LBB173_168
; %bb.162:
	v_cndmask_b32_e64 v14, 0, 1, s30
	s_and_not1_b32 vcc_lo, exec_lo, s30
	s_cbranch_vccnz .LBB173_169
; %bb.163:
	s_cmp_lg_u32 s28, 0
	s_mov_b32 s8, 0
	s_cbranch_scc0 .LBB173_171
; %bb.164:
	s_min_u32 s1, s29, 15
	s_delay_alu instid0(SALU_CYCLE_1)
	s_add_co_i32 s1, s1, 1
	s_cmp_eq_u32 s29, 2
	s_cbranch_scc1 .LBB173_172
; %bb.165:
	v_dual_mov_b32 v2, 0 :: v_dual_mov_b32 v3, 0
	v_mov_b32_e32 v1, v0
	s_and_b32 s0, s1, 28
	s_add_nc_u64 s[4:5], s[2:3], 0xc4
	s_mov_b32 s9, 0
	s_mov_b64 s[6:7], s[2:3]
.LBB173_166:                            ; =>This Inner Loop Header: Depth=1
	s_clause 0x1
	s_load_b256 s[12:19], s[6:7], 0x4
	s_load_b128 s[36:39], s[6:7], 0x24
	s_load_b256 s[20:27], s[4:5], 0x0
	s_add_co_i32 s9, s9, 4
	s_wait_xcnt 0x0
	s_add_nc_u64 s[6:7], s[6:7], 48
	s_cmp_lg_u32 s0, s9
	s_add_nc_u64 s[4:5], s[4:5], 32
	s_wait_kmcnt 0x0
	v_mul_hi_u32 v4, s13, v1
	s_delay_alu instid0(VALU_DEP_1) | instskip(NEXT) | instid1(VALU_DEP_1)
	v_add_nc_u32_e32 v4, v1, v4
	v_lshrrev_b32_e32 v4, s14, v4
	s_delay_alu instid0(VALU_DEP_1) | instskip(NEXT) | instid1(VALU_DEP_1)
	v_mul_hi_u32 v5, s16, v4
	v_add_nc_u32_e32 v5, v4, v5
	s_delay_alu instid0(VALU_DEP_1) | instskip(NEXT) | instid1(VALU_DEP_1)
	v_lshrrev_b32_e32 v5, s17, v5
	v_mul_hi_u32 v6, s19, v5
	s_delay_alu instid0(VALU_DEP_1) | instskip(SKIP_1) | instid1(VALU_DEP_1)
	v_add_nc_u32_e32 v6, v5, v6
	v_mul_lo_u32 v7, v4, s12
	v_sub_nc_u32_e32 v1, v1, v7
	v_mul_lo_u32 v7, v5, s15
	s_delay_alu instid0(VALU_DEP_4) | instskip(NEXT) | instid1(VALU_DEP_3)
	v_lshrrev_b32_e32 v6, s36, v6
	v_mad_u32 v3, v1, s21, v3
	v_mad_u32 v1, v1, s20, v2
	s_delay_alu instid0(VALU_DEP_4) | instskip(NEXT) | instid1(VALU_DEP_4)
	v_sub_nc_u32_e32 v2, v4, v7
	v_mul_hi_u32 v8, s38, v6
	v_mul_lo_u32 v4, v6, s18
	s_delay_alu instid0(VALU_DEP_3) | instskip(SKIP_1) | instid1(VALU_DEP_4)
	v_mad_u32 v3, v2, s23, v3
	v_mad_u32 v2, v2, s22, v1
	v_add_nc_u32_e32 v7, v6, v8
	s_delay_alu instid0(VALU_DEP_1) | instskip(NEXT) | instid1(VALU_DEP_1)
	v_dual_sub_nc_u32 v4, v5, v4 :: v_dual_lshrrev_b32 v1, s39, v7
	v_mad_u32 v3, v4, s25, v3
	s_delay_alu instid0(VALU_DEP_4) | instskip(NEXT) | instid1(VALU_DEP_3)
	v_mad_u32 v2, v4, s24, v2
	v_mul_lo_u32 v5, v1, s37
	s_delay_alu instid0(VALU_DEP_1) | instskip(NEXT) | instid1(VALU_DEP_1)
	v_sub_nc_u32_e32 v4, v6, v5
	v_mad_u32 v3, v4, s27, v3
	s_delay_alu instid0(VALU_DEP_4)
	v_mad_u32 v2, v4, s26, v2
	s_cbranch_scc1 .LBB173_166
; %bb.167:
	s_and_b32 s6, s1, 3
	s_mov_b32 s1, 0
	s_cmp_eq_u32 s6, 0
	s_cbranch_scc0 .LBB173_173
	s_branch .LBB173_175
.LBB173_168:
	s_endpgm
.LBB173_169:
	s_mov_b32 s8, -1
                                        ; implicit-def: $vgpr3
	s_branch .LBB173_175
.LBB173_170:
                                        ; implicit-def: $sgpr1
	s_branch .LBB173_158
.LBB173_171:
	v_dual_mov_b32 v3, 0 :: v_dual_mov_b32 v2, 0
	s_branch .LBB173_175
.LBB173_172:
	v_mov_b64_e32 v[2:3], 0
	v_mov_b32_e32 v1, v0
	s_mov_b32 s0, 0
	s_and_b32 s6, s1, 3
	s_mov_b32 s1, 0
	s_cmp_eq_u32 s6, 0
	s_cbranch_scc1 .LBB173_175
.LBB173_173:
	s_lshl_b32 s4, s0, 3
	s_mov_b32 s5, s1
	s_mul_u64 s[10:11], s[0:1], 12
	s_add_nc_u64 s[4:5], s[2:3], s[4:5]
	s_delay_alu instid0(SALU_CYCLE_1)
	s_add_nc_u64 s[0:1], s[4:5], 0xc4
	s_add_nc_u64 s[4:5], s[2:3], s[10:11]
.LBB173_174:                            ; =>This Inner Loop Header: Depth=1
	s_load_b96 s[12:14], s[4:5], 0x4
	s_load_b64 s[10:11], s[0:1], 0x0
	s_add_co_i32 s6, s6, -1
	s_wait_xcnt 0x0
	s_add_nc_u64 s[4:5], s[4:5], 12
	s_cmp_lg_u32 s6, 0
	s_add_nc_u64 s[0:1], s[0:1], 8
	s_wait_kmcnt 0x0
	v_mul_hi_u32 v4, s13, v1
	s_delay_alu instid0(VALU_DEP_1) | instskip(NEXT) | instid1(VALU_DEP_1)
	v_add_nc_u32_e32 v4, v1, v4
	v_lshrrev_b32_e32 v4, s14, v4
	s_delay_alu instid0(VALU_DEP_1) | instskip(NEXT) | instid1(VALU_DEP_1)
	v_mul_lo_u32 v5, v4, s12
	v_sub_nc_u32_e32 v1, v1, v5
	s_delay_alu instid0(VALU_DEP_1)
	v_mad_u32 v3, v1, s11, v3
	v_mad_u32 v2, v1, s10, v2
	v_mov_b32_e32 v1, v4
	s_cbranch_scc1 .LBB173_174
.LBB173_175:
	s_and_not1_b32 vcc_lo, exec_lo, s8
	s_cbranch_vccnz .LBB173_178
; %bb.176:
	s_clause 0x1
	s_load_b96 s[4:6], s[2:3], 0x4
	s_load_b64 s[0:1], s[2:3], 0xc4
	s_cmp_lt_u32 s28, 2
	s_wait_kmcnt 0x0
	v_mul_hi_u32 v1, s5, v0
	s_delay_alu instid0(VALU_DEP_1) | instskip(NEXT) | instid1(VALU_DEP_1)
	v_add_nc_u32_e32 v1, v0, v1
	v_lshrrev_b32_e32 v1, s6, v1
	s_delay_alu instid0(VALU_DEP_1) | instskip(NEXT) | instid1(VALU_DEP_1)
	v_mul_lo_u32 v2, v1, s4
	v_sub_nc_u32_e32 v2, v0, v2
	s_delay_alu instid0(VALU_DEP_1)
	v_mul_lo_u32 v3, v2, s1
	v_mul_lo_u32 v2, v2, s0
	s_cbranch_scc1 .LBB173_178
; %bb.177:
	s_clause 0x1
	s_load_b96 s[4:6], s[2:3], 0x10
	s_load_b64 s[0:1], s[2:3], 0xcc
	s_wait_kmcnt 0x0
	v_mul_hi_u32 v4, s5, v1
	s_delay_alu instid0(VALU_DEP_1) | instskip(NEXT) | instid1(VALU_DEP_1)
	v_add_nc_u32_e32 v4, v1, v4
	v_lshrrev_b32_e32 v4, s6, v4
	s_delay_alu instid0(VALU_DEP_1) | instskip(NEXT) | instid1(VALU_DEP_1)
	v_mul_lo_u32 v4, v4, s4
	v_sub_nc_u32_e32 v1, v1, v4
	s_delay_alu instid0(VALU_DEP_1)
	v_mad_u32 v2, v1, s0, v2
	v_mad_u32 v3, v1, s1, v3
.LBB173_178:
	v_cmp_ne_u32_e32 vcc_lo, 1, v14
	v_add_nc_u32_e32 v1, 0x80, v0
	s_cbranch_vccnz .LBB173_184
; %bb.179:
	s_cmp_lg_u32 s28, 0
	s_mov_b32 s8, 0
	s_cbranch_scc0 .LBB173_185
; %bb.180:
	s_min_u32 s1, s29, 15
	s_delay_alu instid0(SALU_CYCLE_1)
	s_add_co_i32 s1, s1, 1
	s_cmp_eq_u32 s29, 2
	s_cbranch_scc1 .LBB173_186
; %bb.181:
	v_dual_mov_b32 v4, 0 :: v_dual_mov_b32 v5, 0
	v_mov_b32_e32 v6, v1
	s_and_b32 s0, s1, 28
	s_add_nc_u64 s[4:5], s[2:3], 0xc4
	s_mov_b32 s9, 0
	s_mov_b64 s[6:7], s[2:3]
.LBB173_182:                            ; =>This Inner Loop Header: Depth=1
	s_clause 0x1
	s_load_b256 s[12:19], s[6:7], 0x4
	s_load_b128 s[36:39], s[6:7], 0x24
	s_load_b256 s[20:27], s[4:5], 0x0
	s_add_co_i32 s9, s9, 4
	s_wait_xcnt 0x0
	s_add_nc_u64 s[6:7], s[6:7], 48
	s_cmp_lg_u32 s0, s9
	s_add_nc_u64 s[4:5], s[4:5], 32
	s_wait_kmcnt 0x0
	v_mul_hi_u32 v7, s13, v6
	s_delay_alu instid0(VALU_DEP_1) | instskip(NEXT) | instid1(VALU_DEP_1)
	v_add_nc_u32_e32 v7, v6, v7
	v_lshrrev_b32_e32 v7, s14, v7
	s_delay_alu instid0(VALU_DEP_1) | instskip(NEXT) | instid1(VALU_DEP_1)
	v_mul_hi_u32 v8, s16, v7
	v_add_nc_u32_e32 v8, v7, v8
	s_delay_alu instid0(VALU_DEP_1) | instskip(NEXT) | instid1(VALU_DEP_1)
	v_lshrrev_b32_e32 v8, s17, v8
	v_mul_hi_u32 v9, s19, v8
	s_delay_alu instid0(VALU_DEP_1) | instskip(SKIP_1) | instid1(VALU_DEP_1)
	v_add_nc_u32_e32 v9, v8, v9
	v_mul_lo_u32 v10, v7, s12
	v_sub_nc_u32_e32 v6, v6, v10
	v_mul_lo_u32 v10, v8, s15
	s_delay_alu instid0(VALU_DEP_4) | instskip(NEXT) | instid1(VALU_DEP_3)
	v_lshrrev_b32_e32 v9, s36, v9
	v_mad_u32 v5, v6, s21, v5
	v_mad_u32 v4, v6, s20, v4
	s_delay_alu instid0(VALU_DEP_4) | instskip(NEXT) | instid1(VALU_DEP_4)
	v_sub_nc_u32_e32 v6, v7, v10
	v_mul_hi_u32 v11, s38, v9
	v_mul_lo_u32 v7, v9, s18
	s_delay_alu instid0(VALU_DEP_3) | instskip(SKIP_1) | instid1(VALU_DEP_4)
	v_mad_u32 v5, v6, s23, v5
	v_mad_u32 v4, v6, s22, v4
	v_add_nc_u32_e32 v10, v9, v11
	s_delay_alu instid0(VALU_DEP_1) | instskip(NEXT) | instid1(VALU_DEP_1)
	v_dual_sub_nc_u32 v7, v8, v7 :: v_dual_lshrrev_b32 v6, s39, v10
	v_mad_u32 v5, v7, s25, v5
	s_delay_alu instid0(VALU_DEP_4) | instskip(NEXT) | instid1(VALU_DEP_3)
	v_mad_u32 v4, v7, s24, v4
	v_mul_lo_u32 v8, v6, s37
	s_delay_alu instid0(VALU_DEP_1) | instskip(NEXT) | instid1(VALU_DEP_1)
	v_sub_nc_u32_e32 v7, v9, v8
	v_mad_u32 v5, v7, s27, v5
	s_delay_alu instid0(VALU_DEP_4)
	v_mad_u32 v4, v7, s26, v4
	s_cbranch_scc1 .LBB173_182
; %bb.183:
	s_and_b32 s6, s1, 3
	s_mov_b32 s1, 0
	s_cmp_eq_u32 s6, 0
	s_cbranch_scc0 .LBB173_187
	s_branch .LBB173_189
.LBB173_184:
	s_mov_b32 s8, -1
                                        ; implicit-def: $vgpr5
	s_branch .LBB173_189
.LBB173_185:
	v_dual_mov_b32 v5, 0 :: v_dual_mov_b32 v4, 0
	s_branch .LBB173_189
.LBB173_186:
	v_mov_b64_e32 v[4:5], 0
	v_mov_b32_e32 v6, v1
	s_mov_b32 s0, 0
	s_and_b32 s6, s1, 3
	s_mov_b32 s1, 0
	s_cmp_eq_u32 s6, 0
	s_cbranch_scc1 .LBB173_189
.LBB173_187:
	s_lshl_b32 s4, s0, 3
	s_mov_b32 s5, s1
	s_mul_u64 s[10:11], s[0:1], 12
	s_add_nc_u64 s[4:5], s[2:3], s[4:5]
	s_delay_alu instid0(SALU_CYCLE_1)
	s_add_nc_u64 s[0:1], s[4:5], 0xc4
	s_add_nc_u64 s[4:5], s[2:3], s[10:11]
.LBB173_188:                            ; =>This Inner Loop Header: Depth=1
	s_load_b96 s[12:14], s[4:5], 0x4
	s_load_b64 s[10:11], s[0:1], 0x0
	s_add_co_i32 s6, s6, -1
	s_wait_xcnt 0x0
	s_add_nc_u64 s[4:5], s[4:5], 12
	s_cmp_lg_u32 s6, 0
	s_add_nc_u64 s[0:1], s[0:1], 8
	s_wait_kmcnt 0x0
	v_mul_hi_u32 v7, s13, v6
	s_delay_alu instid0(VALU_DEP_1) | instskip(NEXT) | instid1(VALU_DEP_1)
	v_add_nc_u32_e32 v7, v6, v7
	v_lshrrev_b32_e32 v7, s14, v7
	s_delay_alu instid0(VALU_DEP_1) | instskip(NEXT) | instid1(VALU_DEP_1)
	v_mul_lo_u32 v8, v7, s12
	v_sub_nc_u32_e32 v6, v6, v8
	s_delay_alu instid0(VALU_DEP_1)
	v_mad_u32 v5, v6, s11, v5
	v_mad_u32 v4, v6, s10, v4
	v_mov_b32_e32 v6, v7
	s_cbranch_scc1 .LBB173_188
.LBB173_189:
	s_and_not1_b32 vcc_lo, exec_lo, s8
	s_cbranch_vccnz .LBB173_192
; %bb.190:
	s_clause 0x1
	s_load_b96 s[4:6], s[2:3], 0x4
	s_load_b64 s[0:1], s[2:3], 0xc4
	s_cmp_lt_u32 s28, 2
	s_wait_kmcnt 0x0
	v_mul_hi_u32 v4, s5, v1
	s_delay_alu instid0(VALU_DEP_1) | instskip(NEXT) | instid1(VALU_DEP_1)
	v_add_nc_u32_e32 v4, v1, v4
	v_lshrrev_b32_e32 v6, s6, v4
	s_delay_alu instid0(VALU_DEP_1) | instskip(NEXT) | instid1(VALU_DEP_1)
	v_mul_lo_u32 v4, v6, s4
	v_sub_nc_u32_e32 v1, v1, v4
	s_delay_alu instid0(VALU_DEP_1)
	v_mul_lo_u32 v5, v1, s1
	v_mul_lo_u32 v4, v1, s0
	s_cbranch_scc1 .LBB173_192
; %bb.191:
	s_clause 0x1
	s_load_b96 s[4:6], s[2:3], 0x10
	s_load_b64 s[0:1], s[2:3], 0xcc
	s_wait_kmcnt 0x0
	v_mul_hi_u32 v1, s5, v6
	s_delay_alu instid0(VALU_DEP_1) | instskip(NEXT) | instid1(VALU_DEP_1)
	v_add_nc_u32_e32 v1, v6, v1
	v_lshrrev_b32_e32 v1, s6, v1
	s_delay_alu instid0(VALU_DEP_1) | instskip(NEXT) | instid1(VALU_DEP_1)
	v_mul_lo_u32 v1, v1, s4
	v_sub_nc_u32_e32 v1, v6, v1
	s_delay_alu instid0(VALU_DEP_1)
	v_mad_u32 v4, v1, s0, v4
	v_mad_u32 v5, v1, s1, v5
.LBB173_192:
	v_cmp_ne_u32_e32 vcc_lo, 1, v14
	v_add_nc_u32_e32 v1, 0x100, v0
	s_cbranch_vccnz .LBB173_198
; %bb.193:
	s_cmp_lg_u32 s28, 0
	s_mov_b32 s8, 0
	s_cbranch_scc0 .LBB173_199
; %bb.194:
	s_min_u32 s1, s29, 15
	s_delay_alu instid0(SALU_CYCLE_1)
	s_add_co_i32 s1, s1, 1
	s_cmp_eq_u32 s29, 2
	s_cbranch_scc1 .LBB173_200
; %bb.195:
	v_dual_mov_b32 v6, 0 :: v_dual_mov_b32 v7, 0
	v_mov_b32_e32 v8, v1
	s_and_b32 s0, s1, 28
	s_add_nc_u64 s[4:5], s[2:3], 0xc4
	s_mov_b32 s9, 0
	s_mov_b64 s[6:7], s[2:3]
.LBB173_196:                            ; =>This Inner Loop Header: Depth=1
	s_clause 0x1
	s_load_b256 s[12:19], s[6:7], 0x4
	s_load_b128 s[36:39], s[6:7], 0x24
	s_load_b256 s[20:27], s[4:5], 0x0
	s_add_co_i32 s9, s9, 4
	s_wait_xcnt 0x0
	s_add_nc_u64 s[6:7], s[6:7], 48
	s_cmp_lg_u32 s0, s9
	s_add_nc_u64 s[4:5], s[4:5], 32
	s_wait_kmcnt 0x0
	v_mul_hi_u32 v9, s13, v8
	s_delay_alu instid0(VALU_DEP_1) | instskip(NEXT) | instid1(VALU_DEP_1)
	v_add_nc_u32_e32 v9, v8, v9
	v_lshrrev_b32_e32 v9, s14, v9
	s_delay_alu instid0(VALU_DEP_1) | instskip(NEXT) | instid1(VALU_DEP_1)
	v_mul_hi_u32 v10, s16, v9
	v_add_nc_u32_e32 v10, v9, v10
	s_delay_alu instid0(VALU_DEP_1) | instskip(NEXT) | instid1(VALU_DEP_1)
	v_lshrrev_b32_e32 v10, s17, v10
	v_mul_hi_u32 v11, s19, v10
	s_delay_alu instid0(VALU_DEP_1) | instskip(SKIP_1) | instid1(VALU_DEP_1)
	v_add_nc_u32_e32 v11, v10, v11
	v_mul_lo_u32 v12, v9, s12
	v_sub_nc_u32_e32 v8, v8, v12
	v_mul_lo_u32 v12, v10, s15
	s_delay_alu instid0(VALU_DEP_4) | instskip(NEXT) | instid1(VALU_DEP_3)
	v_lshrrev_b32_e32 v11, s36, v11
	v_mad_u32 v7, v8, s21, v7
	v_mad_u32 v6, v8, s20, v6
	s_delay_alu instid0(VALU_DEP_4) | instskip(NEXT) | instid1(VALU_DEP_4)
	v_sub_nc_u32_e32 v8, v9, v12
	v_mul_hi_u32 v13, s38, v11
	v_mul_lo_u32 v9, v11, s18
	s_delay_alu instid0(VALU_DEP_3) | instskip(SKIP_1) | instid1(VALU_DEP_4)
	v_mad_u32 v7, v8, s23, v7
	v_mad_u32 v6, v8, s22, v6
	v_add_nc_u32_e32 v12, v11, v13
	s_delay_alu instid0(VALU_DEP_1) | instskip(NEXT) | instid1(VALU_DEP_1)
	v_dual_sub_nc_u32 v9, v10, v9 :: v_dual_lshrrev_b32 v8, s39, v12
	v_mad_u32 v7, v9, s25, v7
	s_delay_alu instid0(VALU_DEP_4) | instskip(NEXT) | instid1(VALU_DEP_3)
	v_mad_u32 v6, v9, s24, v6
	v_mul_lo_u32 v10, v8, s37
	s_delay_alu instid0(VALU_DEP_1) | instskip(NEXT) | instid1(VALU_DEP_1)
	v_sub_nc_u32_e32 v9, v11, v10
	v_mad_u32 v7, v9, s27, v7
	s_delay_alu instid0(VALU_DEP_4)
	v_mad_u32 v6, v9, s26, v6
	s_cbranch_scc1 .LBB173_196
; %bb.197:
	s_and_b32 s6, s1, 3
	s_mov_b32 s1, 0
	s_cmp_eq_u32 s6, 0
	s_cbranch_scc0 .LBB173_201
	s_branch .LBB173_203
.LBB173_198:
	s_mov_b32 s8, -1
                                        ; implicit-def: $vgpr7
	s_branch .LBB173_203
.LBB173_199:
	v_dual_mov_b32 v7, 0 :: v_dual_mov_b32 v6, 0
	s_branch .LBB173_203
.LBB173_200:
	v_mov_b64_e32 v[6:7], 0
	v_mov_b32_e32 v8, v1
	s_mov_b32 s0, 0
	s_and_b32 s6, s1, 3
	s_mov_b32 s1, 0
	s_cmp_eq_u32 s6, 0
	s_cbranch_scc1 .LBB173_203
.LBB173_201:
	s_lshl_b32 s4, s0, 3
	s_mov_b32 s5, s1
	s_mul_u64 s[10:11], s[0:1], 12
	s_add_nc_u64 s[4:5], s[2:3], s[4:5]
	s_delay_alu instid0(SALU_CYCLE_1)
	s_add_nc_u64 s[0:1], s[4:5], 0xc4
	s_add_nc_u64 s[4:5], s[2:3], s[10:11]
.LBB173_202:                            ; =>This Inner Loop Header: Depth=1
	s_load_b96 s[12:14], s[4:5], 0x4
	s_load_b64 s[10:11], s[0:1], 0x0
	s_add_co_i32 s6, s6, -1
	s_wait_xcnt 0x0
	s_add_nc_u64 s[4:5], s[4:5], 12
	s_cmp_lg_u32 s6, 0
	s_add_nc_u64 s[0:1], s[0:1], 8
	s_wait_kmcnt 0x0
	v_mul_hi_u32 v9, s13, v8
	s_delay_alu instid0(VALU_DEP_1) | instskip(NEXT) | instid1(VALU_DEP_1)
	v_add_nc_u32_e32 v9, v8, v9
	v_lshrrev_b32_e32 v9, s14, v9
	s_delay_alu instid0(VALU_DEP_1) | instskip(NEXT) | instid1(VALU_DEP_1)
	v_mul_lo_u32 v10, v9, s12
	v_sub_nc_u32_e32 v8, v8, v10
	s_delay_alu instid0(VALU_DEP_1)
	v_mad_u32 v7, v8, s11, v7
	v_mad_u32 v6, v8, s10, v6
	v_mov_b32_e32 v8, v9
	s_cbranch_scc1 .LBB173_202
.LBB173_203:
	s_and_not1_b32 vcc_lo, exec_lo, s8
	s_cbranch_vccnz .LBB173_206
; %bb.204:
	s_clause 0x1
	s_load_b96 s[4:6], s[2:3], 0x4
	s_load_b64 s[0:1], s[2:3], 0xc4
	s_cmp_lt_u32 s28, 2
	s_wait_kmcnt 0x0
	v_mul_hi_u32 v6, s5, v1
	s_delay_alu instid0(VALU_DEP_1) | instskip(NEXT) | instid1(VALU_DEP_1)
	v_add_nc_u32_e32 v6, v1, v6
	v_lshrrev_b32_e32 v8, s6, v6
	s_delay_alu instid0(VALU_DEP_1) | instskip(NEXT) | instid1(VALU_DEP_1)
	v_mul_lo_u32 v6, v8, s4
	v_sub_nc_u32_e32 v1, v1, v6
	s_delay_alu instid0(VALU_DEP_1)
	v_mul_lo_u32 v7, v1, s1
	v_mul_lo_u32 v6, v1, s0
	s_cbranch_scc1 .LBB173_206
; %bb.205:
	s_clause 0x1
	s_load_b96 s[4:6], s[2:3], 0x10
	s_load_b64 s[0:1], s[2:3], 0xcc
	s_wait_kmcnt 0x0
	v_mul_hi_u32 v1, s5, v8
	s_delay_alu instid0(VALU_DEP_1) | instskip(NEXT) | instid1(VALU_DEP_1)
	v_add_nc_u32_e32 v1, v8, v1
	v_lshrrev_b32_e32 v1, s6, v1
	s_delay_alu instid0(VALU_DEP_1) | instskip(NEXT) | instid1(VALU_DEP_1)
	v_mul_lo_u32 v1, v1, s4
	v_sub_nc_u32_e32 v1, v8, v1
	s_delay_alu instid0(VALU_DEP_1)
	v_mad_u32 v6, v1, s0, v6
	v_mad_u32 v7, v1, s1, v7
.LBB173_206:
	v_cmp_ne_u32_e32 vcc_lo, 1, v14
	v_add_nc_u32_e32 v1, 0x180, v0
	s_cbranch_vccnz .LBB173_212
; %bb.207:
	s_cmp_lg_u32 s28, 0
	s_mov_b32 s8, 0
	s_cbranch_scc0 .LBB173_213
; %bb.208:
	s_min_u32 s1, s29, 15
	s_delay_alu instid0(SALU_CYCLE_1)
	s_add_co_i32 s1, s1, 1
	s_cmp_eq_u32 s29, 2
	s_cbranch_scc1 .LBB173_214
; %bb.209:
	v_dual_mov_b32 v8, 0 :: v_dual_mov_b32 v9, 0
	v_mov_b32_e32 v10, v1
	s_and_b32 s0, s1, 28
	s_add_nc_u64 s[4:5], s[2:3], 0xc4
	s_mov_b32 s9, 0
	s_mov_b64 s[6:7], s[2:3]
.LBB173_210:                            ; =>This Inner Loop Header: Depth=1
	s_clause 0x1
	s_load_b256 s[12:19], s[6:7], 0x4
	s_load_b128 s[36:39], s[6:7], 0x24
	s_load_b256 s[20:27], s[4:5], 0x0
	s_add_co_i32 s9, s9, 4
	s_wait_xcnt 0x0
	s_add_nc_u64 s[6:7], s[6:7], 48
	s_cmp_lg_u32 s0, s9
	s_add_nc_u64 s[4:5], s[4:5], 32
	s_wait_kmcnt 0x0
	v_mul_hi_u32 v11, s13, v10
	s_delay_alu instid0(VALU_DEP_1) | instskip(NEXT) | instid1(VALU_DEP_1)
	v_add_nc_u32_e32 v11, v10, v11
	v_lshrrev_b32_e32 v11, s14, v11
	s_delay_alu instid0(VALU_DEP_1) | instskip(NEXT) | instid1(VALU_DEP_1)
	v_mul_hi_u32 v12, s16, v11
	v_add_nc_u32_e32 v12, v11, v12
	s_delay_alu instid0(VALU_DEP_1) | instskip(NEXT) | instid1(VALU_DEP_1)
	v_lshrrev_b32_e32 v12, s17, v12
	v_mul_hi_u32 v13, s19, v12
	s_delay_alu instid0(VALU_DEP_1) | instskip(SKIP_1) | instid1(VALU_DEP_1)
	v_add_nc_u32_e32 v13, v12, v13
	v_mul_lo_u32 v15, v11, s12
	v_sub_nc_u32_e32 v10, v10, v15
	v_mul_lo_u32 v15, v12, s15
	s_delay_alu instid0(VALU_DEP_4) | instskip(NEXT) | instid1(VALU_DEP_3)
	v_lshrrev_b32_e32 v13, s36, v13
	v_mad_u32 v9, v10, s21, v9
	v_mad_u32 v8, v10, s20, v8
	s_delay_alu instid0(VALU_DEP_4) | instskip(NEXT) | instid1(VALU_DEP_4)
	v_sub_nc_u32_e32 v10, v11, v15
	v_mul_hi_u32 v17, s38, v13
	v_mul_lo_u32 v11, v13, s18
	s_delay_alu instid0(VALU_DEP_3) | instskip(SKIP_1) | instid1(VALU_DEP_3)
	v_mad_u32 v9, v10, s23, v9
	v_mad_u32 v8, v10, s22, v8
	v_dual_add_nc_u32 v15, v13, v17 :: v_dual_sub_nc_u32 v11, v12, v11
	s_delay_alu instid0(VALU_DEP_1) | instskip(NEXT) | instid1(VALU_DEP_2)
	v_lshrrev_b32_e32 v10, s39, v15
	v_mad_u32 v9, v11, s25, v9
	s_delay_alu instid0(VALU_DEP_4) | instskip(NEXT) | instid1(VALU_DEP_3)
	v_mad_u32 v8, v11, s24, v8
	v_mul_lo_u32 v12, v10, s37
	s_delay_alu instid0(VALU_DEP_1) | instskip(NEXT) | instid1(VALU_DEP_1)
	v_sub_nc_u32_e32 v11, v13, v12
	v_mad_u32 v9, v11, s27, v9
	s_delay_alu instid0(VALU_DEP_4)
	v_mad_u32 v8, v11, s26, v8
	s_cbranch_scc1 .LBB173_210
; %bb.211:
	s_and_b32 s6, s1, 3
	s_mov_b32 s1, 0
	s_cmp_eq_u32 s6, 0
	s_cbranch_scc0 .LBB173_215
	s_branch .LBB173_217
.LBB173_212:
	s_mov_b32 s8, -1
                                        ; implicit-def: $vgpr9
	s_branch .LBB173_217
.LBB173_213:
	v_dual_mov_b32 v9, 0 :: v_dual_mov_b32 v8, 0
	s_branch .LBB173_217
.LBB173_214:
	v_mov_b64_e32 v[8:9], 0
	v_mov_b32_e32 v10, v1
	s_mov_b32 s0, 0
	s_and_b32 s6, s1, 3
	s_mov_b32 s1, 0
	s_cmp_eq_u32 s6, 0
	s_cbranch_scc1 .LBB173_217
.LBB173_215:
	s_lshl_b32 s4, s0, 3
	s_mov_b32 s5, s1
	s_mul_u64 s[10:11], s[0:1], 12
	s_add_nc_u64 s[4:5], s[2:3], s[4:5]
	s_delay_alu instid0(SALU_CYCLE_1)
	s_add_nc_u64 s[0:1], s[4:5], 0xc4
	s_add_nc_u64 s[4:5], s[2:3], s[10:11]
.LBB173_216:                            ; =>This Inner Loop Header: Depth=1
	s_load_b96 s[12:14], s[4:5], 0x4
	s_load_b64 s[10:11], s[0:1], 0x0
	s_add_co_i32 s6, s6, -1
	s_wait_xcnt 0x0
	s_add_nc_u64 s[4:5], s[4:5], 12
	s_cmp_lg_u32 s6, 0
	s_add_nc_u64 s[0:1], s[0:1], 8
	s_wait_kmcnt 0x0
	v_mul_hi_u32 v11, s13, v10
	s_delay_alu instid0(VALU_DEP_1) | instskip(NEXT) | instid1(VALU_DEP_1)
	v_add_nc_u32_e32 v11, v10, v11
	v_lshrrev_b32_e32 v11, s14, v11
	s_delay_alu instid0(VALU_DEP_1) | instskip(NEXT) | instid1(VALU_DEP_1)
	v_mul_lo_u32 v12, v11, s12
	v_sub_nc_u32_e32 v10, v10, v12
	s_delay_alu instid0(VALU_DEP_1)
	v_mad_u32 v9, v10, s11, v9
	v_mad_u32 v8, v10, s10, v8
	v_mov_b32_e32 v10, v11
	s_cbranch_scc1 .LBB173_216
.LBB173_217:
	s_and_not1_b32 vcc_lo, exec_lo, s8
	s_cbranch_vccnz .LBB173_220
; %bb.218:
	s_clause 0x1
	s_load_b96 s[4:6], s[2:3], 0x4
	s_load_b64 s[0:1], s[2:3], 0xc4
	s_cmp_lt_u32 s28, 2
	s_wait_kmcnt 0x0
	v_mul_hi_u32 v8, s5, v1
	s_delay_alu instid0(VALU_DEP_1) | instskip(NEXT) | instid1(VALU_DEP_1)
	v_add_nc_u32_e32 v8, v1, v8
	v_lshrrev_b32_e32 v10, s6, v8
	s_delay_alu instid0(VALU_DEP_1) | instskip(NEXT) | instid1(VALU_DEP_1)
	v_mul_lo_u32 v8, v10, s4
	v_sub_nc_u32_e32 v1, v1, v8
	s_delay_alu instid0(VALU_DEP_1)
	v_mul_lo_u32 v9, v1, s1
	v_mul_lo_u32 v8, v1, s0
	s_cbranch_scc1 .LBB173_220
; %bb.219:
	s_clause 0x1
	s_load_b96 s[4:6], s[2:3], 0x10
	s_load_b64 s[0:1], s[2:3], 0xcc
	s_wait_kmcnt 0x0
	v_mul_hi_u32 v1, s5, v10
	s_delay_alu instid0(VALU_DEP_1) | instskip(NEXT) | instid1(VALU_DEP_1)
	v_add_nc_u32_e32 v1, v10, v1
	v_lshrrev_b32_e32 v1, s6, v1
	s_delay_alu instid0(VALU_DEP_1) | instskip(NEXT) | instid1(VALU_DEP_1)
	v_mul_lo_u32 v1, v1, s4
	v_sub_nc_u32_e32 v1, v10, v1
	s_delay_alu instid0(VALU_DEP_1)
	v_mad_u32 v8, v1, s0, v8
	v_mad_u32 v9, v1, s1, v9
.LBB173_220:
	v_cmp_ne_u32_e32 vcc_lo, 1, v14
	v_add_nc_u32_e32 v1, 0x200, v0
	s_cbranch_vccnz .LBB173_226
; %bb.221:
	s_cmp_lg_u32 s28, 0
	s_mov_b32 s8, 0
	s_cbranch_scc0 .LBB173_227
; %bb.222:
	s_min_u32 s1, s29, 15
	s_delay_alu instid0(SALU_CYCLE_1)
	s_add_co_i32 s1, s1, 1
	s_cmp_eq_u32 s29, 2
	s_cbranch_scc1 .LBB173_228
; %bb.223:
	v_dual_mov_b32 v10, 0 :: v_dual_mov_b32 v11, 0
	v_mov_b32_e32 v12, v1
	s_and_b32 s0, s1, 28
	s_add_nc_u64 s[4:5], s[2:3], 0xc4
	s_mov_b32 s9, 0
	s_mov_b64 s[6:7], s[2:3]
.LBB173_224:                            ; =>This Inner Loop Header: Depth=1
	s_clause 0x1
	s_load_b256 s[12:19], s[6:7], 0x4
	s_load_b128 s[36:39], s[6:7], 0x24
	s_load_b256 s[20:27], s[4:5], 0x0
	s_add_co_i32 s9, s9, 4
	s_wait_xcnt 0x0
	s_add_nc_u64 s[6:7], s[6:7], 48
	s_cmp_lg_u32 s0, s9
	s_add_nc_u64 s[4:5], s[4:5], 32
	s_wait_kmcnt 0x0
	v_mul_hi_u32 v13, s13, v12
	s_delay_alu instid0(VALU_DEP_1) | instskip(NEXT) | instid1(VALU_DEP_1)
	v_add_nc_u32_e32 v13, v12, v13
	v_lshrrev_b32_e32 v13, s14, v13
	s_delay_alu instid0(VALU_DEP_1) | instskip(NEXT) | instid1(VALU_DEP_1)
	v_mul_lo_u32 v18, v13, s12
	v_sub_nc_u32_e32 v12, v12, v18
	v_mul_hi_u32 v15, s16, v13
	s_delay_alu instid0(VALU_DEP_2) | instskip(SKIP_1) | instid1(VALU_DEP_3)
	v_mad_u32 v11, v12, s21, v11
	v_mad_u32 v10, v12, s20, v10
	v_add_nc_u32_e32 v15, v13, v15
	s_delay_alu instid0(VALU_DEP_1) | instskip(NEXT) | instid1(VALU_DEP_1)
	v_lshrrev_b32_e32 v15, s17, v15
	v_mul_hi_u32 v17, s19, v15
	v_mul_lo_u32 v18, v15, s15
	s_delay_alu instid0(VALU_DEP_1) | instskip(NEXT) | instid1(VALU_DEP_1)
	v_dual_add_nc_u32 v17, v15, v17 :: v_dual_sub_nc_u32 v12, v13, v18
	v_lshrrev_b32_e32 v17, s36, v17
	s_delay_alu instid0(VALU_DEP_2) | instskip(SKIP_1) | instid1(VALU_DEP_3)
	v_mad_u32 v11, v12, s23, v11
	v_mad_u32 v10, v12, s22, v10
	v_mul_hi_u32 v19, s38, v17
	v_mul_lo_u32 v13, v17, s18
	s_delay_alu instid0(VALU_DEP_1) | instskip(NEXT) | instid1(VALU_DEP_1)
	v_dual_add_nc_u32 v18, v17, v19 :: v_dual_sub_nc_u32 v13, v15, v13
	v_lshrrev_b32_e32 v12, s39, v18
	s_delay_alu instid0(VALU_DEP_2) | instskip(SKIP_1) | instid1(VALU_DEP_3)
	v_mad_u32 v11, v13, s25, v11
	v_mad_u32 v10, v13, s24, v10
	v_mul_lo_u32 v15, v12, s37
	s_delay_alu instid0(VALU_DEP_1) | instskip(NEXT) | instid1(VALU_DEP_1)
	v_sub_nc_u32_e32 v13, v17, v15
	v_mad_u32 v11, v13, s27, v11
	s_delay_alu instid0(VALU_DEP_4)
	v_mad_u32 v10, v13, s26, v10
	s_cbranch_scc1 .LBB173_224
; %bb.225:
	s_and_b32 s6, s1, 3
	s_mov_b32 s1, 0
	s_cmp_eq_u32 s6, 0
	s_cbranch_scc0 .LBB173_229
	s_branch .LBB173_231
.LBB173_226:
	s_mov_b32 s8, -1
                                        ; implicit-def: $vgpr11
	s_branch .LBB173_231
.LBB173_227:
	v_dual_mov_b32 v11, 0 :: v_dual_mov_b32 v10, 0
	s_branch .LBB173_231
.LBB173_228:
	v_mov_b64_e32 v[10:11], 0
	v_mov_b32_e32 v12, v1
	s_mov_b32 s0, 0
	s_and_b32 s6, s1, 3
	s_mov_b32 s1, 0
	s_cmp_eq_u32 s6, 0
	s_cbranch_scc1 .LBB173_231
.LBB173_229:
	s_lshl_b32 s4, s0, 3
	s_mov_b32 s5, s1
	s_mul_u64 s[10:11], s[0:1], 12
	s_add_nc_u64 s[4:5], s[2:3], s[4:5]
	s_delay_alu instid0(SALU_CYCLE_1)
	s_add_nc_u64 s[0:1], s[4:5], 0xc4
	s_add_nc_u64 s[4:5], s[2:3], s[10:11]
.LBB173_230:                            ; =>This Inner Loop Header: Depth=1
	s_load_b96 s[12:14], s[4:5], 0x4
	s_load_b64 s[10:11], s[0:1], 0x0
	s_add_co_i32 s6, s6, -1
	s_wait_xcnt 0x0
	s_add_nc_u64 s[4:5], s[4:5], 12
	s_cmp_lg_u32 s6, 0
	s_add_nc_u64 s[0:1], s[0:1], 8
	s_wait_kmcnt 0x0
	v_mul_hi_u32 v13, s13, v12
	s_delay_alu instid0(VALU_DEP_1) | instskip(NEXT) | instid1(VALU_DEP_1)
	v_add_nc_u32_e32 v13, v12, v13
	v_lshrrev_b32_e32 v13, s14, v13
	s_delay_alu instid0(VALU_DEP_1) | instskip(NEXT) | instid1(VALU_DEP_1)
	v_mul_lo_u32 v15, v13, s12
	v_sub_nc_u32_e32 v12, v12, v15
	s_delay_alu instid0(VALU_DEP_1)
	v_mad_u32 v11, v12, s11, v11
	v_mad_u32 v10, v12, s10, v10
	v_mov_b32_e32 v12, v13
	s_cbranch_scc1 .LBB173_230
.LBB173_231:
	s_and_not1_b32 vcc_lo, exec_lo, s8
	s_cbranch_vccnz .LBB173_234
; %bb.232:
	s_clause 0x1
	s_load_b96 s[4:6], s[2:3], 0x4
	s_load_b64 s[0:1], s[2:3], 0xc4
	s_cmp_lt_u32 s28, 2
	s_wait_kmcnt 0x0
	v_mul_hi_u32 v10, s5, v1
	s_delay_alu instid0(VALU_DEP_1) | instskip(NEXT) | instid1(VALU_DEP_1)
	v_add_nc_u32_e32 v10, v1, v10
	v_lshrrev_b32_e32 v12, s6, v10
	s_delay_alu instid0(VALU_DEP_1) | instskip(NEXT) | instid1(VALU_DEP_1)
	v_mul_lo_u32 v10, v12, s4
	v_sub_nc_u32_e32 v1, v1, v10
	s_delay_alu instid0(VALU_DEP_1)
	v_mul_lo_u32 v11, v1, s1
	v_mul_lo_u32 v10, v1, s0
	s_cbranch_scc1 .LBB173_234
; %bb.233:
	s_clause 0x1
	s_load_b96 s[4:6], s[2:3], 0x10
	s_load_b64 s[0:1], s[2:3], 0xcc
	s_wait_kmcnt 0x0
	v_mul_hi_u32 v1, s5, v12
	s_delay_alu instid0(VALU_DEP_1) | instskip(NEXT) | instid1(VALU_DEP_1)
	v_add_nc_u32_e32 v1, v12, v1
	v_lshrrev_b32_e32 v1, s6, v1
	s_delay_alu instid0(VALU_DEP_1) | instskip(NEXT) | instid1(VALU_DEP_1)
	v_mul_lo_u32 v1, v1, s4
	v_sub_nc_u32_e32 v1, v12, v1
	s_delay_alu instid0(VALU_DEP_1)
	v_mad_u32 v10, v1, s0, v10
	v_mad_u32 v11, v1, s1, v11
.LBB173_234:
	v_cmp_ne_u32_e32 vcc_lo, 1, v14
	v_add_nc_u32_e32 v1, 0x280, v0
	s_cbranch_vccnz .LBB173_240
; %bb.235:
	s_cmp_lg_u32 s28, 0
	s_mov_b32 s8, 0
	s_cbranch_scc0 .LBB173_241
; %bb.236:
	s_min_u32 s1, s29, 15
	s_delay_alu instid0(SALU_CYCLE_1)
	s_add_co_i32 s1, s1, 1
	s_cmp_eq_u32 s29, 2
	s_cbranch_scc1 .LBB173_242
; %bb.237:
	v_dual_mov_b32 v12, 0 :: v_dual_mov_b32 v13, 0
	v_mov_b32_e32 v15, v1
	s_and_b32 s0, s1, 28
	s_add_nc_u64 s[4:5], s[2:3], 0xc4
	s_mov_b32 s9, 0
	s_mov_b64 s[6:7], s[2:3]
.LBB173_238:                            ; =>This Inner Loop Header: Depth=1
	s_clause 0x1
	s_load_b256 s[12:19], s[6:7], 0x4
	s_load_b128 s[36:39], s[6:7], 0x24
	s_load_b256 s[20:27], s[4:5], 0x0
	s_add_co_i32 s9, s9, 4
	s_wait_xcnt 0x0
	s_add_nc_u64 s[6:7], s[6:7], 48
	s_cmp_lg_u32 s0, s9
	s_add_nc_u64 s[4:5], s[4:5], 32
	s_wait_kmcnt 0x0
	v_mul_hi_u32 v17, s13, v15
	s_delay_alu instid0(VALU_DEP_1) | instskip(NEXT) | instid1(VALU_DEP_1)
	v_add_nc_u32_e32 v17, v15, v17
	v_lshrrev_b32_e32 v17, s14, v17
	s_delay_alu instid0(VALU_DEP_1) | instskip(NEXT) | instid1(VALU_DEP_1)
	v_mul_hi_u32 v18, s16, v17
	v_add_nc_u32_e32 v18, v17, v18
	s_delay_alu instid0(VALU_DEP_1) | instskip(NEXT) | instid1(VALU_DEP_1)
	v_lshrrev_b32_e32 v18, s17, v18
	v_mul_hi_u32 v19, s19, v18
	s_delay_alu instid0(VALU_DEP_1) | instskip(SKIP_1) | instid1(VALU_DEP_1)
	v_add_nc_u32_e32 v19, v18, v19
	v_mul_lo_u32 v20, v17, s12
	v_sub_nc_u32_e32 v15, v15, v20
	v_mul_lo_u32 v20, v18, s15
	s_delay_alu instid0(VALU_DEP_4) | instskip(NEXT) | instid1(VALU_DEP_3)
	v_lshrrev_b32_e32 v19, s36, v19
	v_mad_u32 v13, v15, s21, v13
	v_mad_u32 v12, v15, s20, v12
	s_delay_alu instid0(VALU_DEP_4) | instskip(NEXT) | instid1(VALU_DEP_4)
	v_sub_nc_u32_e32 v15, v17, v20
	v_mul_hi_u32 v21, s38, v19
	v_mul_lo_u32 v17, v19, s18
	s_delay_alu instid0(VALU_DEP_3) | instskip(SKIP_1) | instid1(VALU_DEP_4)
	v_mad_u32 v13, v15, s23, v13
	v_mad_u32 v12, v15, s22, v12
	v_add_nc_u32_e32 v20, v19, v21
	s_delay_alu instid0(VALU_DEP_1) | instskip(NEXT) | instid1(VALU_DEP_1)
	v_dual_sub_nc_u32 v17, v18, v17 :: v_dual_lshrrev_b32 v15, s39, v20
	v_mad_u32 v13, v17, s25, v13
	s_delay_alu instid0(VALU_DEP_4) | instskip(NEXT) | instid1(VALU_DEP_3)
	v_mad_u32 v12, v17, s24, v12
	v_mul_lo_u32 v18, v15, s37
	s_delay_alu instid0(VALU_DEP_1) | instskip(NEXT) | instid1(VALU_DEP_1)
	v_sub_nc_u32_e32 v17, v19, v18
	v_mad_u32 v13, v17, s27, v13
	s_delay_alu instid0(VALU_DEP_4)
	v_mad_u32 v12, v17, s26, v12
	s_cbranch_scc1 .LBB173_238
; %bb.239:
	s_and_b32 s6, s1, 3
	s_mov_b32 s1, 0
	s_cmp_eq_u32 s6, 0
	s_cbranch_scc0 .LBB173_243
	s_branch .LBB173_245
.LBB173_240:
	s_mov_b32 s8, -1
                                        ; implicit-def: $vgpr13
	s_branch .LBB173_245
.LBB173_241:
	v_dual_mov_b32 v13, 0 :: v_dual_mov_b32 v12, 0
	s_branch .LBB173_245
.LBB173_242:
	v_mov_b64_e32 v[12:13], 0
	v_mov_b32_e32 v15, v1
	s_mov_b32 s0, 0
	s_and_b32 s6, s1, 3
	s_mov_b32 s1, 0
	s_cmp_eq_u32 s6, 0
	s_cbranch_scc1 .LBB173_245
.LBB173_243:
	s_lshl_b32 s4, s0, 3
	s_mov_b32 s5, s1
	s_mul_u64 s[10:11], s[0:1], 12
	s_add_nc_u64 s[4:5], s[2:3], s[4:5]
	s_delay_alu instid0(SALU_CYCLE_1)
	s_add_nc_u64 s[0:1], s[4:5], 0xc4
	s_add_nc_u64 s[4:5], s[2:3], s[10:11]
.LBB173_244:                            ; =>This Inner Loop Header: Depth=1
	s_load_b96 s[12:14], s[4:5], 0x4
	s_load_b64 s[10:11], s[0:1], 0x0
	s_add_co_i32 s6, s6, -1
	s_wait_xcnt 0x0
	s_add_nc_u64 s[4:5], s[4:5], 12
	s_cmp_lg_u32 s6, 0
	s_add_nc_u64 s[0:1], s[0:1], 8
	s_wait_kmcnt 0x0
	v_mul_hi_u32 v17, s13, v15
	s_delay_alu instid0(VALU_DEP_1) | instskip(NEXT) | instid1(VALU_DEP_1)
	v_add_nc_u32_e32 v17, v15, v17
	v_lshrrev_b32_e32 v17, s14, v17
	s_delay_alu instid0(VALU_DEP_1) | instskip(NEXT) | instid1(VALU_DEP_1)
	v_mul_lo_u32 v18, v17, s12
	v_sub_nc_u32_e32 v15, v15, v18
	s_delay_alu instid0(VALU_DEP_1)
	v_mad_u32 v13, v15, s11, v13
	v_mad_u32 v12, v15, s10, v12
	v_mov_b32_e32 v15, v17
	s_cbranch_scc1 .LBB173_244
.LBB173_245:
	s_and_not1_b32 vcc_lo, exec_lo, s8
	s_cbranch_vccnz .LBB173_248
; %bb.246:
	s_clause 0x1
	s_load_b96 s[4:6], s[2:3], 0x4
	s_load_b64 s[0:1], s[2:3], 0xc4
	s_cmp_lt_u32 s28, 2
	s_wait_kmcnt 0x0
	v_mul_hi_u32 v12, s5, v1
	s_delay_alu instid0(VALU_DEP_1) | instskip(NEXT) | instid1(VALU_DEP_1)
	v_add_nc_u32_e32 v12, v1, v12
	v_lshrrev_b32_e32 v15, s6, v12
	s_delay_alu instid0(VALU_DEP_1) | instskip(NEXT) | instid1(VALU_DEP_1)
	v_mul_lo_u32 v12, v15, s4
	v_sub_nc_u32_e32 v1, v1, v12
	s_delay_alu instid0(VALU_DEP_1)
	v_mul_lo_u32 v13, v1, s1
	v_mul_lo_u32 v12, v1, s0
	s_cbranch_scc1 .LBB173_248
; %bb.247:
	s_clause 0x1
	s_load_b96 s[4:6], s[2:3], 0x10
	s_load_b64 s[0:1], s[2:3], 0xcc
	s_wait_kmcnt 0x0
	v_mul_hi_u32 v1, s5, v15
	s_delay_alu instid0(VALU_DEP_1) | instskip(NEXT) | instid1(VALU_DEP_1)
	v_add_nc_u32_e32 v1, v15, v1
	v_lshrrev_b32_e32 v1, s6, v1
	s_delay_alu instid0(VALU_DEP_1) | instskip(NEXT) | instid1(VALU_DEP_1)
	v_mul_lo_u32 v1, v1, s4
	v_sub_nc_u32_e32 v1, v15, v1
	s_delay_alu instid0(VALU_DEP_1)
	v_mad_u32 v12, v1, s0, v12
	v_mad_u32 v13, v1, s1, v13
.LBB173_248:
	v_cmp_ne_u32_e32 vcc_lo, 1, v14
	v_add_nc_u32_e32 v15, 0x300, v0
	s_cbranch_vccnz .LBB173_254
; %bb.249:
	s_cmp_lg_u32 s28, 0
	s_mov_b32 s8, 0
	s_cbranch_scc0 .LBB173_255
; %bb.250:
	s_min_u32 s1, s29, 15
	s_delay_alu instid0(SALU_CYCLE_1)
	s_add_co_i32 s1, s1, 1
	s_cmp_eq_u32 s29, 2
	s_cbranch_scc1 .LBB173_256
; %bb.251:
	v_dual_mov_b32 v0, 0 :: v_dual_mov_b32 v1, 0
	v_mov_b32_e32 v17, v15
	s_and_b32 s0, s1, 28
	s_add_nc_u64 s[4:5], s[2:3], 0xc4
	s_mov_b32 s9, 0
	s_mov_b64 s[6:7], s[2:3]
.LBB173_252:                            ; =>This Inner Loop Header: Depth=1
	s_clause 0x1
	s_load_b256 s[12:19], s[6:7], 0x4
	s_load_b128 s[36:39], s[6:7], 0x24
	s_load_b256 s[20:27], s[4:5], 0x0
	s_add_co_i32 s9, s9, 4
	s_wait_xcnt 0x0
	s_add_nc_u64 s[6:7], s[6:7], 48
	s_cmp_lg_u32 s0, s9
	s_add_nc_u64 s[4:5], s[4:5], 32
	s_wait_kmcnt 0x0
	v_mul_hi_u32 v18, s13, v17
	s_delay_alu instid0(VALU_DEP_1) | instskip(NEXT) | instid1(VALU_DEP_1)
	v_add_nc_u32_e32 v18, v17, v18
	v_lshrrev_b32_e32 v18, s14, v18
	s_delay_alu instid0(VALU_DEP_1) | instskip(NEXT) | instid1(VALU_DEP_1)
	v_mul_hi_u32 v19, s16, v18
	v_add_nc_u32_e32 v19, v18, v19
	s_delay_alu instid0(VALU_DEP_1) | instskip(NEXT) | instid1(VALU_DEP_1)
	v_lshrrev_b32_e32 v19, s17, v19
	v_mul_hi_u32 v20, s19, v19
	s_delay_alu instid0(VALU_DEP_1) | instskip(SKIP_1) | instid1(VALU_DEP_1)
	v_add_nc_u32_e32 v20, v19, v20
	v_mul_lo_u32 v21, v18, s12
	v_sub_nc_u32_e32 v17, v17, v21
	v_mul_lo_u32 v21, v19, s15
	s_delay_alu instid0(VALU_DEP_4) | instskip(NEXT) | instid1(VALU_DEP_3)
	v_lshrrev_b32_e32 v20, s36, v20
	v_mad_u32 v1, v17, s21, v1
	v_mad_u32 v0, v17, s20, v0
	s_delay_alu instid0(VALU_DEP_4) | instskip(NEXT) | instid1(VALU_DEP_4)
	v_sub_nc_u32_e32 v17, v18, v21
	v_mul_hi_u32 v22, s38, v20
	v_mul_lo_u32 v18, v20, s18
	s_delay_alu instid0(VALU_DEP_3) | instskip(SKIP_1) | instid1(VALU_DEP_4)
	v_mad_u32 v1, v17, s23, v1
	v_mad_u32 v0, v17, s22, v0
	v_add_nc_u32_e32 v21, v20, v22
	s_delay_alu instid0(VALU_DEP_1) | instskip(NEXT) | instid1(VALU_DEP_1)
	v_dual_sub_nc_u32 v18, v19, v18 :: v_dual_lshrrev_b32 v17, s39, v21
	v_mad_u32 v1, v18, s25, v1
	s_delay_alu instid0(VALU_DEP_4) | instskip(NEXT) | instid1(VALU_DEP_3)
	v_mad_u32 v0, v18, s24, v0
	v_mul_lo_u32 v19, v17, s37
	s_delay_alu instid0(VALU_DEP_1) | instskip(NEXT) | instid1(VALU_DEP_1)
	v_sub_nc_u32_e32 v18, v20, v19
	v_mad_u32 v1, v18, s27, v1
	s_delay_alu instid0(VALU_DEP_4)
	v_mad_u32 v0, v18, s26, v0
	s_cbranch_scc1 .LBB173_252
; %bb.253:
	s_and_b32 s6, s1, 3
	s_mov_b32 s1, 0
	s_cmp_eq_u32 s6, 0
	s_cbranch_scc0 .LBB173_257
	s_branch .LBB173_259
.LBB173_254:
	s_mov_b32 s8, -1
                                        ; implicit-def: $vgpr1
	s_branch .LBB173_259
.LBB173_255:
	v_dual_mov_b32 v1, 0 :: v_dual_mov_b32 v0, 0
	s_branch .LBB173_259
.LBB173_256:
	v_mov_b64_e32 v[0:1], 0
	v_mov_b32_e32 v17, v15
	s_mov_b32 s0, 0
	s_and_b32 s6, s1, 3
	s_mov_b32 s1, 0
	s_cmp_eq_u32 s6, 0
	s_cbranch_scc1 .LBB173_259
.LBB173_257:
	s_lshl_b32 s4, s0, 3
	s_mov_b32 s5, s1
	s_mul_u64 s[10:11], s[0:1], 12
	s_add_nc_u64 s[4:5], s[2:3], s[4:5]
	s_delay_alu instid0(SALU_CYCLE_1)
	s_add_nc_u64 s[0:1], s[4:5], 0xc4
	s_add_nc_u64 s[4:5], s[2:3], s[10:11]
.LBB173_258:                            ; =>This Inner Loop Header: Depth=1
	s_load_b96 s[12:14], s[4:5], 0x4
	s_load_b64 s[10:11], s[0:1], 0x0
	s_add_co_i32 s6, s6, -1
	s_wait_xcnt 0x0
	s_add_nc_u64 s[4:5], s[4:5], 12
	s_cmp_lg_u32 s6, 0
	s_add_nc_u64 s[0:1], s[0:1], 8
	s_wait_kmcnt 0x0
	v_mul_hi_u32 v18, s13, v17
	s_delay_alu instid0(VALU_DEP_1) | instskip(NEXT) | instid1(VALU_DEP_1)
	v_add_nc_u32_e32 v18, v17, v18
	v_lshrrev_b32_e32 v18, s14, v18
	s_delay_alu instid0(VALU_DEP_1) | instskip(NEXT) | instid1(VALU_DEP_1)
	v_mul_lo_u32 v19, v18, s12
	v_sub_nc_u32_e32 v17, v17, v19
	s_delay_alu instid0(VALU_DEP_1)
	v_mad_u32 v1, v17, s11, v1
	v_mad_u32 v0, v17, s10, v0
	v_mov_b32_e32 v17, v18
	s_cbranch_scc1 .LBB173_258
.LBB173_259:
	s_and_not1_b32 vcc_lo, exec_lo, s8
	s_cbranch_vccnz .LBB173_262
; %bb.260:
	s_clause 0x1
	s_load_b96 s[4:6], s[2:3], 0x4
	s_load_b64 s[0:1], s[2:3], 0xc4
	s_cmp_lt_u32 s28, 2
	s_wait_kmcnt 0x0
	v_mul_hi_u32 v0, s5, v15
	s_delay_alu instid0(VALU_DEP_1) | instskip(NEXT) | instid1(VALU_DEP_1)
	v_add_nc_u32_e32 v0, v15, v0
	v_lshrrev_b32_e32 v17, s6, v0
	s_delay_alu instid0(VALU_DEP_1) | instskip(NEXT) | instid1(VALU_DEP_1)
	v_mul_lo_u32 v0, v17, s4
	v_sub_nc_u32_e32 v0, v15, v0
	s_delay_alu instid0(VALU_DEP_1)
	v_mul_lo_u32 v1, v0, s1
	v_mul_lo_u32 v0, v0, s0
	s_cbranch_scc1 .LBB173_262
; %bb.261:
	s_clause 0x1
	s_load_b96 s[4:6], s[2:3], 0x10
	s_load_b64 s[0:1], s[2:3], 0xcc
	s_wait_kmcnt 0x0
	v_mul_hi_u32 v15, s5, v17
	s_delay_alu instid0(VALU_DEP_1) | instskip(NEXT) | instid1(VALU_DEP_1)
	v_add_nc_u32_e32 v15, v17, v15
	v_lshrrev_b32_e32 v15, s6, v15
	s_delay_alu instid0(VALU_DEP_1) | instskip(NEXT) | instid1(VALU_DEP_1)
	v_mul_lo_u32 v15, v15, s4
	v_sub_nc_u32_e32 v15, v17, v15
	s_delay_alu instid0(VALU_DEP_1)
	v_mad_u32 v0, v15, s0, v0
	v_mad_u32 v1, v15, s1, v1
.LBB173_262:
	v_cmp_ne_u32_e32 vcc_lo, 1, v14
	s_cbranch_vccnz .LBB173_268
; %bb.263:
	s_cmp_lg_u32 s28, 0
	s_mov_b32 s8, 0
	s_cbranch_scc0 .LBB173_269
; %bb.264:
	s_min_u32 s1, s29, 15
	s_delay_alu instid0(SALU_CYCLE_1)
	s_add_co_i32 s1, s1, 1
	s_cmp_eq_u32 s29, 2
	s_cbranch_scc1 .LBB173_270
; %bb.265:
	v_dual_mov_b32 v14, 0 :: v_dual_mov_b32 v15, 0
	v_mov_b32_e32 v17, v16
	s_and_b32 s0, s1, 28
	s_add_nc_u64 s[4:5], s[2:3], 0xc4
	s_mov_b32 s9, 0
	s_mov_b64 s[6:7], s[2:3]
.LBB173_266:                            ; =>This Inner Loop Header: Depth=1
	s_clause 0x1
	s_load_b256 s[12:19], s[6:7], 0x4
	s_load_b128 s[36:39], s[6:7], 0x24
	s_load_b256 s[20:27], s[4:5], 0x0
	s_add_co_i32 s9, s9, 4
	s_wait_xcnt 0x0
	s_add_nc_u64 s[6:7], s[6:7], 48
	s_cmp_lg_u32 s0, s9
	s_add_nc_u64 s[4:5], s[4:5], 32
	s_wait_kmcnt 0x0
	v_mul_hi_u32 v18, s13, v17
	s_delay_alu instid0(VALU_DEP_1) | instskip(NEXT) | instid1(VALU_DEP_1)
	v_add_nc_u32_e32 v18, v17, v18
	v_lshrrev_b32_e32 v18, s14, v18
	s_delay_alu instid0(VALU_DEP_1) | instskip(NEXT) | instid1(VALU_DEP_1)
	v_mul_hi_u32 v19, s16, v18
	v_add_nc_u32_e32 v19, v18, v19
	s_delay_alu instid0(VALU_DEP_1) | instskip(NEXT) | instid1(VALU_DEP_1)
	v_lshrrev_b32_e32 v19, s17, v19
	v_mul_hi_u32 v20, s19, v19
	s_delay_alu instid0(VALU_DEP_1) | instskip(SKIP_1) | instid1(VALU_DEP_1)
	v_add_nc_u32_e32 v20, v19, v20
	v_mul_lo_u32 v21, v18, s12
	v_sub_nc_u32_e32 v17, v17, v21
	v_mul_lo_u32 v21, v19, s15
	s_delay_alu instid0(VALU_DEP_4) | instskip(NEXT) | instid1(VALU_DEP_3)
	v_lshrrev_b32_e32 v20, s36, v20
	v_mad_u32 v15, v17, s21, v15
	v_mad_u32 v14, v17, s20, v14
	s_delay_alu instid0(VALU_DEP_4) | instskip(NEXT) | instid1(VALU_DEP_4)
	v_sub_nc_u32_e32 v17, v18, v21
	v_mul_hi_u32 v22, s38, v20
	v_mul_lo_u32 v18, v20, s18
	s_delay_alu instid0(VALU_DEP_3) | instskip(SKIP_1) | instid1(VALU_DEP_4)
	v_mad_u32 v15, v17, s23, v15
	v_mad_u32 v14, v17, s22, v14
	v_add_nc_u32_e32 v21, v20, v22
	s_delay_alu instid0(VALU_DEP_1) | instskip(NEXT) | instid1(VALU_DEP_1)
	v_dual_sub_nc_u32 v18, v19, v18 :: v_dual_lshrrev_b32 v17, s39, v21
	v_mad_u32 v15, v18, s25, v15
	s_delay_alu instid0(VALU_DEP_4) | instskip(NEXT) | instid1(VALU_DEP_3)
	v_mad_u32 v14, v18, s24, v14
	v_mul_lo_u32 v19, v17, s37
	s_delay_alu instid0(VALU_DEP_1) | instskip(NEXT) | instid1(VALU_DEP_1)
	v_sub_nc_u32_e32 v18, v20, v19
	v_mad_u32 v15, v18, s27, v15
	s_delay_alu instid0(VALU_DEP_4)
	v_mad_u32 v14, v18, s26, v14
	s_cbranch_scc1 .LBB173_266
; %bb.267:
	s_and_b32 s6, s1, 3
	s_mov_b32 s1, 0
	s_cmp_eq_u32 s6, 0
	s_cbranch_scc0 .LBB173_271
	s_branch .LBB173_273
.LBB173_268:
	s_mov_b32 s8, -1
                                        ; implicit-def: $vgpr15
	s_branch .LBB173_273
.LBB173_269:
	v_dual_mov_b32 v15, 0 :: v_dual_mov_b32 v14, 0
	s_branch .LBB173_273
.LBB173_270:
	v_mov_b64_e32 v[14:15], 0
	v_mov_b32_e32 v17, v16
	s_mov_b32 s0, 0
	s_and_b32 s6, s1, 3
	s_mov_b32 s1, 0
	s_cmp_eq_u32 s6, 0
	s_cbranch_scc1 .LBB173_273
.LBB173_271:
	s_lshl_b32 s4, s0, 3
	s_mov_b32 s5, s1
	s_mul_u64 s[10:11], s[0:1], 12
	s_add_nc_u64 s[4:5], s[2:3], s[4:5]
	s_delay_alu instid0(SALU_CYCLE_1)
	s_add_nc_u64 s[0:1], s[4:5], 0xc4
	s_add_nc_u64 s[4:5], s[2:3], s[10:11]
.LBB173_272:                            ; =>This Inner Loop Header: Depth=1
	s_load_b96 s[12:14], s[4:5], 0x4
	s_load_b64 s[10:11], s[0:1], 0x0
	s_add_co_i32 s6, s6, -1
	s_wait_xcnt 0x0
	s_add_nc_u64 s[4:5], s[4:5], 12
	s_cmp_lg_u32 s6, 0
	s_add_nc_u64 s[0:1], s[0:1], 8
	s_wait_kmcnt 0x0
	v_mul_hi_u32 v18, s13, v17
	s_delay_alu instid0(VALU_DEP_1) | instskip(NEXT) | instid1(VALU_DEP_1)
	v_add_nc_u32_e32 v18, v17, v18
	v_lshrrev_b32_e32 v18, s14, v18
	s_delay_alu instid0(VALU_DEP_1) | instskip(NEXT) | instid1(VALU_DEP_1)
	v_mul_lo_u32 v19, v18, s12
	v_sub_nc_u32_e32 v17, v17, v19
	s_delay_alu instid0(VALU_DEP_1)
	v_mad_u32 v15, v17, s11, v15
	v_mad_u32 v14, v17, s10, v14
	v_mov_b32_e32 v17, v18
	s_cbranch_scc1 .LBB173_272
.LBB173_273:
	s_and_not1_b32 vcc_lo, exec_lo, s8
	s_cbranch_vccnz .LBB173_276
; %bb.274:
	s_clause 0x1
	s_load_b96 s[4:6], s[2:3], 0x4
	s_load_b64 s[0:1], s[2:3], 0xc4
	s_cmp_lt_u32 s28, 2
	s_wait_kmcnt 0x0
	v_mul_hi_u32 v14, s5, v16
	s_delay_alu instid0(VALU_DEP_1) | instskip(NEXT) | instid1(VALU_DEP_1)
	v_add_nc_u32_e32 v14, v16, v14
	v_lshrrev_b32_e32 v17, s6, v14
	s_delay_alu instid0(VALU_DEP_1) | instskip(NEXT) | instid1(VALU_DEP_1)
	v_mul_lo_u32 v14, v17, s4
	v_sub_nc_u32_e32 v14, v16, v14
	s_delay_alu instid0(VALU_DEP_1)
	v_mul_lo_u32 v15, v14, s1
	v_mul_lo_u32 v14, v14, s0
	s_cbranch_scc1 .LBB173_276
; %bb.275:
	s_clause 0x1
	s_load_b96 s[4:6], s[2:3], 0x10
	s_load_b64 s[0:1], s[2:3], 0xcc
	s_wait_kmcnt 0x0
	v_mul_hi_u32 v16, s5, v17
	s_delay_alu instid0(VALU_DEP_1) | instskip(NEXT) | instid1(VALU_DEP_1)
	v_add_nc_u32_e32 v16, v17, v16
	v_lshrrev_b32_e32 v16, s6, v16
	s_delay_alu instid0(VALU_DEP_1) | instskip(NEXT) | instid1(VALU_DEP_1)
	v_mul_lo_u32 v16, v16, s4
	v_sub_nc_u32_e32 v16, v17, v16
	s_delay_alu instid0(VALU_DEP_1)
	v_mad_u32 v14, v16, s0, v14
	v_mad_u32 v15, v16, s1, v15
.LBB173_276:
	s_clause 0x1
	s_load_b128 s[4:7], s[2:3], 0x148
	s_load_b64 s[0:1], s[2:3], 0x158
	s_mov_b32 s8, 0
	s_wait_kmcnt 0x0
	global_load_b32 v16, v3, s[6:7]
	s_cmp_lg_u32 s0, 0
	s_cselect_b32 s3, -1, 0
	s_delay_alu instid0(SALU_CYCLE_1)
	s_and_b32 vcc_lo, exec_lo, s3
	s_wait_loadcnt 0x0
	v_lshlrev_b32_e32 v3, 16, v16
	v_and_b32_e32 v16, 0xffff0000, v16
	s_cbranch_vccz .LBB173_301
; %bb.277:
	v_and_b32_e64 v17, 0xffff0000, s1
	s_lshl_b32 s0, s1, 16
	s_delay_alu instid0(SALU_CYCLE_1) | instskip(NEXT) | instid1(VALU_DEP_2)
	v_cmp_neq_f32_e32 vcc_lo, s0, v3
	v_cmp_neq_f32_e64 s0, v17, v16
	s_or_b32 s2, vcc_lo, s0
	s_and_not1_b32 vcc_lo, exec_lo, s8
	s_cbranch_vccnz .LBB173_279
.LBB173_278:
	v_and_b32_e64 v17, 0xffff0000, s1
	s_lshl_b32 s0, s1, 16
	s_and_not1_b32 s2, s2, exec_lo
	v_cmp_eq_f32_e32 vcc_lo, s0, v3
	s_delay_alu instid0(VALU_DEP_2) | instskip(SKIP_1) | instid1(SALU_CYCLE_1)
	v_cmp_eq_f32_e64 s0, v17, v16
	s_and_b32 s0, vcc_lo, s0
	s_and_b32 s0, s0, exec_lo
	s_delay_alu instid0(SALU_CYCLE_1)
	s_or_b32 s2, s2, s0
.LBB173_279:
	global_load_b32 v5, v5, s[6:7]
	s_and_b32 vcc_lo, exec_lo, s3
	s_wait_loadcnt 0x0
	v_lshlrev_b32_e32 v3, 16, v5
	s_wait_xcnt 0x0
	v_and_b32_e32 v5, 0xffff0000, v5
	s_cbranch_vccz .LBB173_302
; %bb.280:
	v_and_b32_e64 v16, 0xffff0000, s1
	s_lshl_b32 s0, s1, 16
	s_delay_alu instid0(SALU_CYCLE_1) | instskip(NEXT) | instid1(VALU_DEP_2)
	v_cmp_neq_f32_e32 vcc_lo, s0, v3
	v_cmp_neq_f32_e64 s0, v16, v5
	s_or_b32 s8, vcc_lo, s0
	s_cbranch_execnz .LBB173_282
.LBB173_281:
	v_and_b32_e64 v16, 0xffff0000, s1
	s_lshl_b32 s0, s1, 16
	s_and_not1_b32 s8, s8, exec_lo
	v_cmp_eq_f32_e32 vcc_lo, s0, v3
	s_delay_alu instid0(VALU_DEP_2) | instskip(SKIP_1) | instid1(SALU_CYCLE_1)
	v_cmp_eq_f32_e64 s0, v16, v5
	s_and_b32 s0, vcc_lo, s0
	s_and_b32 s0, s0, exec_lo
	s_delay_alu instid0(SALU_CYCLE_1)
	s_or_b32 s8, s8, s0
.LBB173_282:
	global_load_b32 v5, v7, s[6:7]
	s_and_b32 vcc_lo, exec_lo, s3
	s_wait_loadcnt 0x0
	v_lshlrev_b32_e32 v3, 16, v5
	v_and_b32_e32 v5, 0xffff0000, v5
	s_cbranch_vccz .LBB173_303
; %bb.283:
	s_wait_xcnt 0x0
	v_and_b32_e64 v7, 0xffff0000, s1
	s_lshl_b32 s0, s1, 16
	s_delay_alu instid0(SALU_CYCLE_1) | instskip(NEXT) | instid1(VALU_DEP_2)
	v_cmp_neq_f32_e32 vcc_lo, s0, v3
	v_cmp_neq_f32_e64 s0, v7, v5
	s_or_b32 s9, vcc_lo, s0
	s_cbranch_execnz .LBB173_285
.LBB173_284:
	s_wait_xcnt 0x0
	v_and_b32_e64 v7, 0xffff0000, s1
	s_lshl_b32 s0, s1, 16
	s_and_not1_b32 s9, s9, exec_lo
	v_cmp_eq_f32_e32 vcc_lo, s0, v3
	s_delay_alu instid0(VALU_DEP_2) | instskip(SKIP_1) | instid1(SALU_CYCLE_1)
	v_cmp_eq_f32_e64 s0, v7, v5
	s_and_b32 s0, vcc_lo, s0
	s_and_b32 s0, s0, exec_lo
	s_delay_alu instid0(SALU_CYCLE_1)
	s_or_b32 s9, s9, s0
.LBB173_285:
	global_load_b32 v5, v9, s[6:7]
	s_and_b32 vcc_lo, exec_lo, s3
	s_wait_loadcnt 0x0
	v_lshlrev_b32_e32 v3, 16, v5
	v_and_b32_e32 v5, 0xffff0000, v5
	s_cbranch_vccz .LBB173_304
; %bb.286:
	s_wait_xcnt 0x1
	v_and_b32_e64 v7, 0xffff0000, s1
	s_lshl_b32 s0, s1, 16
	s_delay_alu instid0(SALU_CYCLE_1) | instskip(NEXT) | instid1(VALU_DEP_2)
	v_cmp_neq_f32_e32 vcc_lo, s0, v3
	v_cmp_neq_f32_e64 s0, v7, v5
	s_or_b32 s10, vcc_lo, s0
	s_cbranch_execnz .LBB173_288
.LBB173_287:
	s_wait_xcnt 0x1
	v_and_b32_e64 v7, 0xffff0000, s1
	s_lshl_b32 s0, s1, 16
	s_and_not1_b32 s10, s10, exec_lo
	v_cmp_eq_f32_e32 vcc_lo, s0, v3
	s_delay_alu instid0(VALU_DEP_2) | instskip(SKIP_1) | instid1(SALU_CYCLE_1)
	v_cmp_eq_f32_e64 s0, v7, v5
	s_and_b32 s0, vcc_lo, s0
	s_and_b32 s0, s0, exec_lo
	s_delay_alu instid0(SALU_CYCLE_1)
	s_or_b32 s10, s10, s0
.LBB173_288:
	global_load_b32 v5, v11, s[6:7]
	s_and_b32 vcc_lo, exec_lo, s3
	s_wait_loadcnt 0x0
	v_lshlrev_b32_e32 v3, 16, v5
	v_and_b32_e32 v5, 0xffff0000, v5
	s_cbranch_vccz .LBB173_305
; %bb.289:
	s_wait_xcnt 0x2
	v_and_b32_e64 v7, 0xffff0000, s1
	s_lshl_b32 s0, s1, 16
	s_delay_alu instid0(SALU_CYCLE_1) | instskip(NEXT) | instid1(VALU_DEP_2)
	v_cmp_neq_f32_e32 vcc_lo, s0, v3
	v_cmp_neq_f32_e64 s0, v7, v5
	s_or_b32 s11, vcc_lo, s0
	s_cbranch_execnz .LBB173_291
.LBB173_290:
	s_wait_xcnt 0x2
	v_and_b32_e64 v7, 0xffff0000, s1
	s_lshl_b32 s0, s1, 16
	s_and_not1_b32 s11, s11, exec_lo
	v_cmp_eq_f32_e32 vcc_lo, s0, v3
	s_delay_alu instid0(VALU_DEP_2) | instskip(SKIP_1) | instid1(SALU_CYCLE_1)
	v_cmp_eq_f32_e64 s0, v7, v5
	s_and_b32 s0, vcc_lo, s0
	s_and_b32 s0, s0, exec_lo
	s_delay_alu instid0(SALU_CYCLE_1)
	s_or_b32 s11, s11, s0
.LBB173_291:
	global_load_b32 v5, v13, s[6:7]
	s_and_b32 vcc_lo, exec_lo, s3
	s_wait_loadcnt 0x0
	v_lshlrev_b32_e32 v3, 16, v5
	v_and_b32_e32 v5, 0xffff0000, v5
	s_cbranch_vccz .LBB173_306
; %bb.292:
	s_wait_xcnt 0x3
	v_and_b32_e64 v7, 0xffff0000, s1
	s_lshl_b32 s0, s1, 16
	s_delay_alu instid0(SALU_CYCLE_1) | instskip(NEXT) | instid1(VALU_DEP_2)
	v_cmp_neq_f32_e32 vcc_lo, s0, v3
	v_cmp_neq_f32_e64 s0, v7, v5
	s_or_b32 s12, vcc_lo, s0
	s_cbranch_execnz .LBB173_294
.LBB173_293:
	s_wait_xcnt 0x3
	v_and_b32_e64 v7, 0xffff0000, s1
	s_lshl_b32 s0, s1, 16
	s_and_not1_b32 s12, s12, exec_lo
	v_cmp_eq_f32_e32 vcc_lo, s0, v3
	s_delay_alu instid0(VALU_DEP_2) | instskip(SKIP_1) | instid1(SALU_CYCLE_1)
	v_cmp_eq_f32_e64 s0, v7, v5
	s_and_b32 s0, vcc_lo, s0
	s_and_b32 s0, s0, exec_lo
	s_delay_alu instid0(SALU_CYCLE_1)
	s_or_b32 s12, s12, s0
.LBB173_294:
	global_load_b32 v3, v1, s[6:7]
	s_and_b32 vcc_lo, exec_lo, s3
	s_wait_loadcnt 0x0
	v_lshlrev_b32_e32 v1, 16, v3
	v_and_b32_e32 v3, 0xffff0000, v3
	s_cbranch_vccz .LBB173_307
; %bb.295:
	v_and_b32_e64 v5, 0xffff0000, s1
	s_lshl_b32 s0, s1, 16
	s_delay_alu instid0(SALU_CYCLE_1) | instskip(NEXT) | instid1(VALU_DEP_2)
	v_cmp_neq_f32_e32 vcc_lo, s0, v1
	v_cmp_neq_f32_e64 s0, v5, v3
	s_or_b32 s13, vcc_lo, s0
	s_cbranch_execnz .LBB173_297
.LBB173_296:
	v_and_b32_e64 v5, 0xffff0000, s1
	s_lshl_b32 s0, s1, 16
	s_and_not1_b32 s13, s13, exec_lo
	v_cmp_eq_f32_e32 vcc_lo, s0, v1
	s_delay_alu instid0(VALU_DEP_2) | instskip(SKIP_1) | instid1(SALU_CYCLE_1)
	v_cmp_eq_f32_e64 s0, v5, v3
	s_and_b32 s0, vcc_lo, s0
	s_and_b32 s0, s0, exec_lo
	s_delay_alu instid0(SALU_CYCLE_1)
	s_or_b32 s13, s13, s0
.LBB173_297:
	global_load_b32 v3, v15, s[6:7]
	s_and_b32 vcc_lo, exec_lo, s3
	s_wait_loadcnt 0x0
	v_lshlrev_b32_e32 v1, 16, v3
	v_and_b32_e32 v3, 0xffff0000, v3
	s_cbranch_vccz .LBB173_308
; %bb.298:
	v_and_b32_e64 v5, 0xffff0000, s1
	s_lshl_b32 s0, s1, 16
	s_delay_alu instid0(SALU_CYCLE_1) | instskip(NEXT) | instid1(VALU_DEP_2)
	v_cmp_neq_f32_e32 vcc_lo, s0, v1
	v_cmp_neq_f32_e64 s0, v5, v3
	s_or_b32 s3, vcc_lo, s0
	s_cbranch_execnz .LBB173_300
.LBB173_299:
	v_and_b32_e64 v5, 0xffff0000, s1
	s_lshl_b32 s0, s1, 16
	s_and_not1_b32 s1, s3, exec_lo
	v_cmp_eq_f32_e32 vcc_lo, s0, v1
	s_delay_alu instid0(VALU_DEP_2) | instskip(SKIP_1) | instid1(SALU_CYCLE_1)
	v_cmp_eq_f32_e64 s0, v5, v3
	s_and_b32 s0, vcc_lo, s0
	s_and_b32 s0, s0, exec_lo
	s_delay_alu instid0(SALU_CYCLE_1)
	s_or_b32 s3, s1, s0
.LBB173_300:
	v_cndmask_b32_e64 v7, 0, 1, s2
	v_cndmask_b32_e64 v9, 0, 1, s8
	;; [unrolled: 1-line block ×7, first 2 shown]
	s_wait_xcnt 0x0
	v_cndmask_b32_e64 v15, 0, 1, s3
	s_clause 0x7
	global_store_b8 v2, v7, s[4:5]
	global_store_b8 v4, v9, s[4:5]
	;; [unrolled: 1-line block ×8, first 2 shown]
	s_endpgm
.LBB173_301:
                                        ; implicit-def: $sgpr2
	s_branch .LBB173_278
.LBB173_302:
                                        ; implicit-def: $sgpr8
	s_branch .LBB173_281
.LBB173_303:
                                        ; implicit-def: $sgpr9
	s_branch .LBB173_284
.LBB173_304:
                                        ; implicit-def: $sgpr10
	s_branch .LBB173_287
.LBB173_305:
                                        ; implicit-def: $sgpr11
	s_branch .LBB173_290
.LBB173_306:
                                        ; implicit-def: $sgpr12
	s_branch .LBB173_293
.LBB173_307:
                                        ; implicit-def: $sgpr13
	s_branch .LBB173_296
.LBB173_308:
                                        ; implicit-def: $sgpr3
	s_branch .LBB173_299
	.section	.rodata,"a",@progbits
	.p2align	6, 0x0
	.amdhsa_kernel _ZN2at6native32elementwise_kernel_manual_unrollILi128ELi8EZNS0_22gpu_kernel_impl_nocastINS0_13AUnaryFunctorIN3c107complexINS4_8BFloat16EEES7_bNS0_12_GLOBAL__N_116CompareEqFunctorIS7_EEEEEEvRNS_18TensorIteratorBaseERKT_EUlibE_EEviT1_
		.amdhsa_group_segment_fixed_size 0
		.amdhsa_private_segment_fixed_size 0
		.amdhsa_kernarg_size 360
		.amdhsa_user_sgpr_count 2
		.amdhsa_user_sgpr_dispatch_ptr 0
		.amdhsa_user_sgpr_queue_ptr 0
		.amdhsa_user_sgpr_kernarg_segment_ptr 1
		.amdhsa_user_sgpr_dispatch_id 0
		.amdhsa_user_sgpr_kernarg_preload_length 0
		.amdhsa_user_sgpr_kernarg_preload_offset 0
		.amdhsa_user_sgpr_private_segment_size 0
		.amdhsa_wavefront_size32 1
		.amdhsa_uses_dynamic_stack 0
		.amdhsa_enable_private_segment 0
		.amdhsa_system_sgpr_workgroup_id_x 1
		.amdhsa_system_sgpr_workgroup_id_y 0
		.amdhsa_system_sgpr_workgroup_id_z 0
		.amdhsa_system_sgpr_workgroup_info 0
		.amdhsa_system_vgpr_workitem_id 0
		.amdhsa_next_free_vgpr 23
		.amdhsa_next_free_sgpr 60
		.amdhsa_named_barrier_count 0
		.amdhsa_reserve_vcc 1
		.amdhsa_float_round_mode_32 0
		.amdhsa_float_round_mode_16_64 0
		.amdhsa_float_denorm_mode_32 3
		.amdhsa_float_denorm_mode_16_64 3
		.amdhsa_fp16_overflow 0
		.amdhsa_memory_ordered 1
		.amdhsa_forward_progress 1
		.amdhsa_inst_pref_size 110
		.amdhsa_round_robin_scheduling 0
		.amdhsa_exception_fp_ieee_invalid_op 0
		.amdhsa_exception_fp_denorm_src 0
		.amdhsa_exception_fp_ieee_div_zero 0
		.amdhsa_exception_fp_ieee_overflow 0
		.amdhsa_exception_fp_ieee_underflow 0
		.amdhsa_exception_fp_ieee_inexact 0
		.amdhsa_exception_int_div_zero 0
	.end_amdhsa_kernel
	.section	.text._ZN2at6native32elementwise_kernel_manual_unrollILi128ELi8EZNS0_22gpu_kernel_impl_nocastINS0_13AUnaryFunctorIN3c107complexINS4_8BFloat16EEES7_bNS0_12_GLOBAL__N_116CompareEqFunctorIS7_EEEEEEvRNS_18TensorIteratorBaseERKT_EUlibE_EEviT1_,"axG",@progbits,_ZN2at6native32elementwise_kernel_manual_unrollILi128ELi8EZNS0_22gpu_kernel_impl_nocastINS0_13AUnaryFunctorIN3c107complexINS4_8BFloat16EEES7_bNS0_12_GLOBAL__N_116CompareEqFunctorIS7_EEEEEEvRNS_18TensorIteratorBaseERKT_EUlibE_EEviT1_,comdat
.Lfunc_end173:
	.size	_ZN2at6native32elementwise_kernel_manual_unrollILi128ELi8EZNS0_22gpu_kernel_impl_nocastINS0_13AUnaryFunctorIN3c107complexINS4_8BFloat16EEES7_bNS0_12_GLOBAL__N_116CompareEqFunctorIS7_EEEEEEvRNS_18TensorIteratorBaseERKT_EUlibE_EEviT1_, .Lfunc_end173-_ZN2at6native32elementwise_kernel_manual_unrollILi128ELi8EZNS0_22gpu_kernel_impl_nocastINS0_13AUnaryFunctorIN3c107complexINS4_8BFloat16EEES7_bNS0_12_GLOBAL__N_116CompareEqFunctorIS7_EEEEEEvRNS_18TensorIteratorBaseERKT_EUlibE_EEviT1_
                                        ; -- End function
	.set _ZN2at6native32elementwise_kernel_manual_unrollILi128ELi8EZNS0_22gpu_kernel_impl_nocastINS0_13AUnaryFunctorIN3c107complexINS4_8BFloat16EEES7_bNS0_12_GLOBAL__N_116CompareEqFunctorIS7_EEEEEEvRNS_18TensorIteratorBaseERKT_EUlibE_EEviT1_.num_vgpr, 23
	.set _ZN2at6native32elementwise_kernel_manual_unrollILi128ELi8EZNS0_22gpu_kernel_impl_nocastINS0_13AUnaryFunctorIN3c107complexINS4_8BFloat16EEES7_bNS0_12_GLOBAL__N_116CompareEqFunctorIS7_EEEEEEvRNS_18TensorIteratorBaseERKT_EUlibE_EEviT1_.num_agpr, 0
	.set _ZN2at6native32elementwise_kernel_manual_unrollILi128ELi8EZNS0_22gpu_kernel_impl_nocastINS0_13AUnaryFunctorIN3c107complexINS4_8BFloat16EEES7_bNS0_12_GLOBAL__N_116CompareEqFunctorIS7_EEEEEEvRNS_18TensorIteratorBaseERKT_EUlibE_EEviT1_.numbered_sgpr, 60
	.set _ZN2at6native32elementwise_kernel_manual_unrollILi128ELi8EZNS0_22gpu_kernel_impl_nocastINS0_13AUnaryFunctorIN3c107complexINS4_8BFloat16EEES7_bNS0_12_GLOBAL__N_116CompareEqFunctorIS7_EEEEEEvRNS_18TensorIteratorBaseERKT_EUlibE_EEviT1_.num_named_barrier, 0
	.set _ZN2at6native32elementwise_kernel_manual_unrollILi128ELi8EZNS0_22gpu_kernel_impl_nocastINS0_13AUnaryFunctorIN3c107complexINS4_8BFloat16EEES7_bNS0_12_GLOBAL__N_116CompareEqFunctorIS7_EEEEEEvRNS_18TensorIteratorBaseERKT_EUlibE_EEviT1_.private_seg_size, 0
	.set _ZN2at6native32elementwise_kernel_manual_unrollILi128ELi8EZNS0_22gpu_kernel_impl_nocastINS0_13AUnaryFunctorIN3c107complexINS4_8BFloat16EEES7_bNS0_12_GLOBAL__N_116CompareEqFunctorIS7_EEEEEEvRNS_18TensorIteratorBaseERKT_EUlibE_EEviT1_.uses_vcc, 1
	.set _ZN2at6native32elementwise_kernel_manual_unrollILi128ELi8EZNS0_22gpu_kernel_impl_nocastINS0_13AUnaryFunctorIN3c107complexINS4_8BFloat16EEES7_bNS0_12_GLOBAL__N_116CompareEqFunctorIS7_EEEEEEvRNS_18TensorIteratorBaseERKT_EUlibE_EEviT1_.uses_flat_scratch, 0
	.set _ZN2at6native32elementwise_kernel_manual_unrollILi128ELi8EZNS0_22gpu_kernel_impl_nocastINS0_13AUnaryFunctorIN3c107complexINS4_8BFloat16EEES7_bNS0_12_GLOBAL__N_116CompareEqFunctorIS7_EEEEEEvRNS_18TensorIteratorBaseERKT_EUlibE_EEviT1_.has_dyn_sized_stack, 0
	.set _ZN2at6native32elementwise_kernel_manual_unrollILi128ELi8EZNS0_22gpu_kernel_impl_nocastINS0_13AUnaryFunctorIN3c107complexINS4_8BFloat16EEES7_bNS0_12_GLOBAL__N_116CompareEqFunctorIS7_EEEEEEvRNS_18TensorIteratorBaseERKT_EUlibE_EEviT1_.has_recursion, 0
	.set _ZN2at6native32elementwise_kernel_manual_unrollILi128ELi8EZNS0_22gpu_kernel_impl_nocastINS0_13AUnaryFunctorIN3c107complexINS4_8BFloat16EEES7_bNS0_12_GLOBAL__N_116CompareEqFunctorIS7_EEEEEEvRNS_18TensorIteratorBaseERKT_EUlibE_EEviT1_.has_indirect_call, 0
	.section	.AMDGPU.csdata,"",@progbits
; Kernel info:
; codeLenInByte = 14048
; TotalNumSgprs: 62
; NumVgprs: 23
; ScratchSize: 0
; MemoryBound: 0
; FloatMode: 240
; IeeeMode: 1
; LDSByteSize: 0 bytes/workgroup (compile time only)
; SGPRBlocks: 0
; VGPRBlocks: 1
; NumSGPRsForWavesPerEU: 62
; NumVGPRsForWavesPerEU: 23
; NamedBarCnt: 0
; Occupancy: 16
; WaveLimiterHint : 1
; COMPUTE_PGM_RSRC2:SCRATCH_EN: 0
; COMPUTE_PGM_RSRC2:USER_SGPR: 2
; COMPUTE_PGM_RSRC2:TRAP_HANDLER: 0
; COMPUTE_PGM_RSRC2:TGID_X_EN: 1
; COMPUTE_PGM_RSRC2:TGID_Y_EN: 0
; COMPUTE_PGM_RSRC2:TGID_Z_EN: 0
; COMPUTE_PGM_RSRC2:TIDIG_COMP_CNT: 0
	.section	.text._ZN2at6native32elementwise_kernel_manual_unrollILi128ELi4EZNS0_15gpu_kernel_implINS0_13AUnaryFunctorIN3c107complexINS4_8BFloat16EEES7_bNS0_12_GLOBAL__N_116CompareEqFunctorIS7_EEEEEEvRNS_18TensorIteratorBaseERKT_EUlibE_EEviT1_,"axG",@progbits,_ZN2at6native32elementwise_kernel_manual_unrollILi128ELi4EZNS0_15gpu_kernel_implINS0_13AUnaryFunctorIN3c107complexINS4_8BFloat16EEES7_bNS0_12_GLOBAL__N_116CompareEqFunctorIS7_EEEEEEvRNS_18TensorIteratorBaseERKT_EUlibE_EEviT1_,comdat
	.globl	_ZN2at6native32elementwise_kernel_manual_unrollILi128ELi4EZNS0_15gpu_kernel_implINS0_13AUnaryFunctorIN3c107complexINS4_8BFloat16EEES7_bNS0_12_GLOBAL__N_116CompareEqFunctorIS7_EEEEEEvRNS_18TensorIteratorBaseERKT_EUlibE_EEviT1_ ; -- Begin function _ZN2at6native32elementwise_kernel_manual_unrollILi128ELi4EZNS0_15gpu_kernel_implINS0_13AUnaryFunctorIN3c107complexINS4_8BFloat16EEES7_bNS0_12_GLOBAL__N_116CompareEqFunctorIS7_EEEEEEvRNS_18TensorIteratorBaseERKT_EUlibE_EEviT1_
	.p2align	8
	.type	_ZN2at6native32elementwise_kernel_manual_unrollILi128ELi4EZNS0_15gpu_kernel_implINS0_13AUnaryFunctorIN3c107complexINS4_8BFloat16EEES7_bNS0_12_GLOBAL__N_116CompareEqFunctorIS7_EEEEEEvRNS_18TensorIteratorBaseERKT_EUlibE_EEviT1_,@function
_ZN2at6native32elementwise_kernel_manual_unrollILi128ELi4EZNS0_15gpu_kernel_implINS0_13AUnaryFunctorIN3c107complexINS4_8BFloat16EEES7_bNS0_12_GLOBAL__N_116CompareEqFunctorIS7_EEEEEEvRNS_18TensorIteratorBaseERKT_EUlibE_EEviT1_: ; @_ZN2at6native32elementwise_kernel_manual_unrollILi128ELi4EZNS0_15gpu_kernel_implINS0_13AUnaryFunctorIN3c107complexINS4_8BFloat16EEES7_bNS0_12_GLOBAL__N_116CompareEqFunctorIS7_EEEEEEvRNS_18TensorIteratorBaseERKT_EUlibE_EEviT1_
; %bb.0:
	s_load_b32 s2, s[0:1], 0x28
	s_bfe_u32 s3, ttmp6, 0x4000c
	s_clause 0x1
	s_load_b32 s16, s[0:1], 0x0
	s_load_b256 s[4:11], s[0:1], 0x8
	s_add_co_i32 s3, s3, 1
	s_and_b32 s12, ttmp6, 15
	s_wait_xcnt 0x0
	s_mul_i32 s0, ttmp9, s3
	s_getreg_b32 s13, hwreg(HW_REG_IB_STS2, 6, 4)
	s_add_co_i32 s12, s12, s0
	s_mov_b32 s1, 0
	s_wait_kmcnt 0x0
	s_bfe_u32 s3, s2, 0x80008
	s_cmp_eq_u32 s13, 0
	s_mov_b32 s13, 0
	s_cselect_b32 s0, ttmp9, s12
	s_delay_alu instid0(SALU_CYCLE_1) | instskip(SKIP_1) | instid1(VALU_DEP_1)
	v_lshl_or_b32 v4, s0, 9, v0
	s_mov_b32 s0, exec_lo
	v_or_b32_e32 v0, 0x180, v4
	s_delay_alu instid0(VALU_DEP_1)
	v_cmpx_le_i32_e64 s16, v0
	s_xor_b32 s12, exec_lo, s0
	s_cbranch_execz .LBB174_1067
; %bb.1:
	s_cmp_lg_u32 s10, 0
	s_mov_b32 s20, 0
	s_cselect_b32 s15, -1, 0
	s_lshl_b32 s13, s11, 16
	s_and_b32 s14, s11, 0xffff0000
	s_mov_b32 s22, -1
	s_mov_b32 s18, 0
	s_mov_b32 s17, 0
	s_mov_b32 s19, exec_lo
	v_cmpx_gt_i32_e64 s16, v4
	s_cbranch_execz .LBB174_260
; %bb.2:
	v_mul_lo_u32 v0, v4, s9
	s_and_b32 s0, 0xffff, s3
	s_delay_alu instid0(SALU_CYCLE_1) | instskip(NEXT) | instid1(VALU_DEP_1)
	s_cmp_lt_i32 s0, 11
	v_ashrrev_i32_e32 v1, 31, v0
	s_delay_alu instid0(VALU_DEP_1)
	v_add_nc_u64_e32 v[0:1], s[6:7], v[0:1]
	s_cbranch_scc1 .LBB174_9
; %bb.3:
	s_cmp_gt_i32 s0, 25
	s_cbranch_scc0 .LBB174_21
; %bb.4:
	s_cmp_gt_i32 s0, 28
	s_cbranch_scc0 .LBB174_25
	;; [unrolled: 3-line block ×4, first 2 shown]
; %bb.7:
	s_cmp_eq_u32 s0, 46
	s_mov_b32 s21, 0
	s_cbranch_scc0 .LBB174_31
; %bb.8:
	global_load_b32 v2, v[0:1], off
	s_mov_b32 s17, -1
	s_wait_loadcnt 0x0
	v_and_b32_e32 v3, 0xffff0000, v2
	s_branch .LBB174_33
.LBB174_9:
                                        ; implicit-def: $vgpr3
                                        ; implicit-def: $vgpr2
	s_cbranch_execnz .LBB174_208
.LBB174_10:
	s_and_not1_b32 vcc_lo, exec_lo, s17
	s_cbranch_vccnz .LBB174_257
.LBB174_11:
	s_wait_loadcnt 0x0
	s_delay_alu instid0(VALU_DEP_2) | instskip(NEXT) | instid1(VALU_DEP_2)
	v_and_b32_e32 v0, 0xffff, v2
	v_and_b32_e32 v1, 0xffff0000, v3
	s_and_b32 vcc_lo, exec_lo, s15
	s_delay_alu instid0(VALU_DEP_2) | instskip(NEXT) | instid1(VALU_DEP_1)
	v_or_b32_e32 v0, v3, v0
	v_lshlrev_b32_e32 v0, 16, v0
	s_cbranch_vccz .LBB174_24
; %bb.12:
	s_delay_alu instid0(VALU_DEP_1)
	v_cmp_neq_f32_e32 vcc_lo, s13, v0
	v_cmp_neq_f32_e64 s0, s14, v1
	s_or_b32 s17, vcc_lo, s0
	s_cbranch_execnz .LBB174_14
.LBB174_13:
	s_delay_alu instid0(VALU_DEP_1) | instskip(SKIP_3) | instid1(SALU_CYCLE_1)
	v_cmp_eq_f32_e32 vcc_lo, s13, v0
	v_cmp_eq_f32_e64 s0, s14, v1
	s_and_not1_b32 s17, s17, exec_lo
	s_and_b32 s0, vcc_lo, s0
	s_and_b32 s0, s0, exec_lo
	s_delay_alu instid0(SALU_CYCLE_1)
	s_or_b32 s17, s17, s0
.LBB174_14:
	v_mul_lo_u32 v0, v4, s8
	s_and_b32 s21, s2, 0xff
	s_delay_alu instid0(SALU_CYCLE_1) | instskip(NEXT) | instid1(VALU_DEP_1)
	s_cmp_lt_i32 s21, 11
	v_ashrrev_i32_e32 v1, 31, v0
	s_delay_alu instid0(VALU_DEP_1)
	v_add_nc_u64_e32 v[0:1], s[4:5], v[0:1]
	s_cbranch_scc1 .LBB174_22
; %bb.15:
	s_and_b32 s22, 0xffff, s21
	s_delay_alu instid0(SALU_CYCLE_1)
	s_cmp_gt_i32 s22, 25
	s_cbranch_scc0 .LBB174_26
; %bb.16:
	s_cmp_gt_i32 s22, 28
	s_cbranch_scc0 .LBB174_28
; %bb.17:
	;; [unrolled: 3-line block ×4, first 2 shown]
	s_mov_b32 s24, 0
	s_mov_b32 s0, -1
	s_cmp_eq_u32 s22, 46
	s_mov_b32 s23, 0
	s_cbranch_scc0 .LBB174_37
; %bb.20:
	v_cndmask_b32_e64 v2, 0, 1.0, s17
	s_mov_b32 s23, -1
	s_mov_b32 s0, 0
	s_delay_alu instid0(VALU_DEP_1) | instskip(NEXT) | instid1(VALU_DEP_1)
	v_bfe_u32 v3, v2, 16, 1
	v_add3_u32 v2, v2, v3, 0x7fff
	s_delay_alu instid0(VALU_DEP_1)
	v_lshrrev_b32_e32 v2, 16, v2
	global_store_b32 v[0:1], v2, off
	s_branch .LBB174_37
.LBB174_21:
                                        ; implicit-def: $vgpr3
                                        ; implicit-def: $vgpr2
	s_cbranch_execnz .LBB174_173
	s_branch .LBB174_207
.LBB174_22:
	s_mov_b32 s0, 0
	s_mov_b32 s23, 0
	s_cbranch_execnz .LBB174_106
.LBB174_23:
	s_and_not1_b32 vcc_lo, exec_lo, s23
	s_cbranch_vccnz .LBB174_258
	s_branch .LBB174_144
.LBB174_24:
                                        ; implicit-def: $sgpr17
	s_branch .LBB174_13
.LBB174_25:
	s_mov_b32 s21, -1
                                        ; implicit-def: $vgpr3
                                        ; implicit-def: $vgpr2
	s_branch .LBB174_154
.LBB174_26:
	s_mov_b32 s24, -1
	s_mov_b32 s0, 0
	s_mov_b32 s23, 0
	s_branch .LBB174_64
.LBB174_27:
	s_mov_b32 s21, -1
                                        ; implicit-def: $vgpr3
                                        ; implicit-def: $vgpr2
	s_branch .LBB174_148
.LBB174_28:
	s_mov_b32 s24, -1
	s_mov_b32 s0, 0
	s_mov_b32 s23, 0
	s_branch .LBB174_47
.LBB174_29:
	s_mov_b32 s21, -1
	s_branch .LBB174_32
.LBB174_30:
	s_mov_b32 s24, -1
	s_mov_b32 s0, 0
	s_mov_b32 s23, 0
	s_branch .LBB174_43
.LBB174_31:
	s_mov_b32 s18, -1
.LBB174_32:
                                        ; implicit-def: $vgpr3
                                        ; implicit-def: $vgpr2
.LBB174_33:
	s_and_b32 vcc_lo, exec_lo, s21
	s_cbranch_vccz .LBB174_147
; %bb.34:
	s_cmp_eq_u32 s0, 44
	s_cbranch_scc0 .LBB174_145
; %bb.35:
	global_load_u8 v2, v[0:1], off
	s_mov_b32 s18, 0
	s_mov_b32 s17, -1
	s_wait_loadcnt 0x0
	v_lshlrev_b32_e32 v3, 23, v2
	v_cmp_ne_u32_e32 vcc_lo, 0xff, v2
	s_delay_alu instid0(VALU_DEP_2) | instskip(SKIP_1) | instid1(VALU_DEP_2)
	v_cndmask_b32_e32 v3, 0x7f800001, v3, vcc_lo
	v_cmp_ne_u32_e32 vcc_lo, 0, v2
	v_cndmask_b32_e32 v2, 0x400000, v3, vcc_lo
	s_delay_alu instid0(VALU_DEP_1) | instskip(NEXT) | instid1(VALU_DEP_1)
	v_add_nc_u32_e32 v3, 0x7fff, v2
	v_lshrrev_b32_e32 v3, 16, v3
	v_cmp_o_f32_e32 vcc_lo, v2, v2
	s_delay_alu instid0(VALU_DEP_2)
	v_cndmask_b32_e32 v2, 0x7fc0, v3, vcc_lo
	s_branch .LBB174_146
.LBB174_36:
	s_mov_b32 s24, -1
	s_mov_b32 s0, 0
	s_mov_b32 s23, 0
.LBB174_37:
	s_and_b32 vcc_lo, exec_lo, s24
	s_cbranch_vccz .LBB174_42
; %bb.38:
	s_cmp_eq_u32 s22, 44
	s_mov_b32 s0, -1
	s_cbranch_scc0 .LBB174_42
; %bb.39:
	v_cndmask_b32_e64 v5, 0, 1.0, s17
	s_mov_b32 s23, exec_lo
	s_wait_xcnt 0x0
	s_delay_alu instid0(VALU_DEP_1) | instskip(NEXT) | instid1(VALU_DEP_1)
	v_dual_mov_b32 v3, 0xff :: v_dual_lshrrev_b32 v2, 23, v5
	v_cmpx_ne_u32_e32 0xff, v2
; %bb.40:
	v_and_b32_e32 v3, 0x400000, v5
	v_and_or_b32 v5, 0x3fffff, v5, v2
	s_delay_alu instid0(VALU_DEP_2) | instskip(NEXT) | instid1(VALU_DEP_2)
	v_cmp_ne_u32_e32 vcc_lo, 0, v3
	v_cmp_ne_u32_e64 s0, 0, v5
	s_and_b32 s0, vcc_lo, s0
	s_delay_alu instid0(SALU_CYCLE_1) | instskip(NEXT) | instid1(VALU_DEP_1)
	v_cndmask_b32_e64 v3, 0, 1, s0
	v_add_nc_u32_e32 v3, v2, v3
; %bb.41:
	s_or_b32 exec_lo, exec_lo, s23
	s_mov_b32 s23, -1
	s_mov_b32 s0, 0
	global_store_b8 v[0:1], v3, off
.LBB174_42:
	s_mov_b32 s24, 0
.LBB174_43:
	s_delay_alu instid0(SALU_CYCLE_1)
	s_and_b32 vcc_lo, exec_lo, s24
	s_cbranch_vccz .LBB174_46
; %bb.44:
	s_cmp_eq_u32 s22, 29
	s_mov_b32 s0, -1
	s_cbranch_scc0 .LBB174_46
; %bb.45:
	s_mov_b32 s0, 0
	s_wait_xcnt 0x0
	v_cndmask_b32_e64 v2, 0, 1, s17
	v_mov_b32_e32 v3, s0
	s_mov_b32 s23, -1
	s_mov_b32 s24, 0
	global_store_b64 v[0:1], v[2:3], off
	s_branch .LBB174_47
.LBB174_46:
	s_mov_b32 s24, 0
.LBB174_47:
	s_delay_alu instid0(SALU_CYCLE_1)
	s_and_b32 vcc_lo, exec_lo, s24
	s_cbranch_vccz .LBB174_63
; %bb.48:
	s_cmp_lt_i32 s22, 27
	s_mov_b32 s23, -1
	s_cbranch_scc1 .LBB174_54
; %bb.49:
	s_cmp_gt_i32 s22, 27
	s_cbranch_scc0 .LBB174_51
; %bb.50:
	s_wait_xcnt 0x0
	v_cndmask_b32_e64 v2, 0, 1, s17
	s_mov_b32 s23, 0
	global_store_b32 v[0:1], v2, off
.LBB174_51:
	s_and_not1_b32 vcc_lo, exec_lo, s23
	s_cbranch_vccnz .LBB174_53
; %bb.52:
	s_wait_xcnt 0x0
	v_cndmask_b32_e64 v2, 0, 1, s17
	global_store_b16 v[0:1], v2, off
.LBB174_53:
	s_mov_b32 s23, 0
.LBB174_54:
	s_delay_alu instid0(SALU_CYCLE_1)
	s_and_not1_b32 vcc_lo, exec_lo, s23
	s_cbranch_vccnz .LBB174_62
; %bb.55:
	s_wait_xcnt 0x0
	v_cndmask_b32_e64 v3, 0, 1.0, s17
	v_mov_b32_e32 v5, 0x80
	s_mov_b32 s23, exec_lo
	s_delay_alu instid0(VALU_DEP_2)
	v_cmpx_gt_u32_e32 0x43800000, v3
	s_cbranch_execz .LBB174_61
; %bb.56:
	s_mov_b32 s24, 0
	s_mov_b32 s25, exec_lo
                                        ; implicit-def: $vgpr2
	v_cmpx_lt_u32_e32 0x3bffffff, v3
	s_xor_b32 s25, exec_lo, s25
	s_cbranch_execz .LBB174_291
; %bb.57:
	v_bfe_u32 v2, v3, 20, 1
	s_mov_b32 s24, exec_lo
	s_delay_alu instid0(VALU_DEP_1) | instskip(NEXT) | instid1(VALU_DEP_1)
	v_add3_u32 v2, v3, v2, 0x487ffff
                                        ; implicit-def: $vgpr3
	v_lshrrev_b32_e32 v2, 20, v2
	s_and_not1_saveexec_b32 s25, s25
	s_cbranch_execnz .LBB174_292
.LBB174_58:
	s_or_b32 exec_lo, exec_lo, s25
	v_mov_b32_e32 v5, 0
	s_and_saveexec_b32 s25, s24
.LBB174_59:
	v_mov_b32_e32 v5, v2
.LBB174_60:
	s_or_b32 exec_lo, exec_lo, s25
.LBB174_61:
	s_delay_alu instid0(SALU_CYCLE_1)
	s_or_b32 exec_lo, exec_lo, s23
	global_store_b8 v[0:1], v5, off
.LBB174_62:
	s_mov_b32 s23, -1
.LBB174_63:
	s_mov_b32 s24, 0
.LBB174_64:
	s_delay_alu instid0(SALU_CYCLE_1)
	s_and_b32 vcc_lo, exec_lo, s24
	s_cbranch_vccz .LBB174_105
; %bb.65:
	s_cmp_gt_i32 s22, 22
	s_mov_b32 s24, -1
	s_cbranch_scc0 .LBB174_97
; %bb.66:
	s_cmp_lt_i32 s22, 24
	s_mov_b32 s23, -1
	s_cbranch_scc1 .LBB174_86
; %bb.67:
	s_cmp_gt_i32 s22, 24
	s_cbranch_scc0 .LBB174_75
; %bb.68:
	s_wait_xcnt 0x0
	v_cndmask_b32_e64 v3, 0, 1.0, s17
	v_mov_b32_e32 v5, 0x80
	s_mov_b32 s23, exec_lo
	s_delay_alu instid0(VALU_DEP_2)
	v_cmpx_gt_u32_e32 0x47800000, v3
	s_cbranch_execz .LBB174_74
; %bb.69:
	s_mov_b32 s24, 0
	s_mov_b32 s25, exec_lo
                                        ; implicit-def: $vgpr2
	v_cmpx_lt_u32_e32 0x37ffffff, v3
	s_xor_b32 s25, exec_lo, s25
	s_cbranch_execz .LBB174_295
; %bb.70:
	v_bfe_u32 v2, v3, 21, 1
	s_mov_b32 s24, exec_lo
	s_delay_alu instid0(VALU_DEP_1) | instskip(NEXT) | instid1(VALU_DEP_1)
	v_add3_u32 v2, v3, v2, 0x88fffff
                                        ; implicit-def: $vgpr3
	v_lshrrev_b32_e32 v2, 21, v2
	s_and_not1_saveexec_b32 s25, s25
	s_cbranch_execnz .LBB174_296
.LBB174_71:
	s_or_b32 exec_lo, exec_lo, s25
	v_mov_b32_e32 v5, 0
	s_and_saveexec_b32 s25, s24
.LBB174_72:
	v_mov_b32_e32 v5, v2
.LBB174_73:
	s_or_b32 exec_lo, exec_lo, s25
.LBB174_74:
	s_delay_alu instid0(SALU_CYCLE_1)
	s_or_b32 exec_lo, exec_lo, s23
	s_mov_b32 s23, 0
	global_store_b8 v[0:1], v5, off
.LBB174_75:
	s_and_b32 vcc_lo, exec_lo, s23
	s_cbranch_vccz .LBB174_85
; %bb.76:
	s_wait_xcnt 0x0
	v_cndmask_b32_e64 v3, 0, 1.0, s17
	s_mov_b32 s23, exec_lo
                                        ; implicit-def: $vgpr2
	s_delay_alu instid0(VALU_DEP_1)
	v_cmpx_gt_u32_e32 0x43f00000, v3
	s_xor_b32 s23, exec_lo, s23
	s_cbranch_execz .LBB174_82
; %bb.77:
	s_mov_b32 s24, exec_lo
                                        ; implicit-def: $vgpr2
	v_cmpx_lt_u32_e32 0x3c7fffff, v3
	s_xor_b32 s24, exec_lo, s24
; %bb.78:
	v_bfe_u32 v2, v3, 20, 1
	s_delay_alu instid0(VALU_DEP_1) | instskip(NEXT) | instid1(VALU_DEP_1)
	v_add3_u32 v2, v3, v2, 0x407ffff
	v_and_b32_e32 v3, 0xff00000, v2
	v_lshrrev_b32_e32 v2, 20, v2
	s_delay_alu instid0(VALU_DEP_2) | instskip(NEXT) | instid1(VALU_DEP_2)
	v_cmp_ne_u32_e32 vcc_lo, 0x7f00000, v3
                                        ; implicit-def: $vgpr3
	v_cndmask_b32_e32 v2, 0x7e, v2, vcc_lo
; %bb.79:
	s_and_not1_saveexec_b32 s24, s24
; %bb.80:
	v_add_f32_e32 v2, 0x46800000, v3
; %bb.81:
	s_or_b32 exec_lo, exec_lo, s24
                                        ; implicit-def: $vgpr3
.LBB174_82:
	s_and_not1_saveexec_b32 s23, s23
; %bb.83:
	v_mov_b32_e32 v2, 0x7f
	v_cmp_lt_u32_e32 vcc_lo, 0x7f800000, v3
	s_delay_alu instid0(VALU_DEP_2)
	v_cndmask_b32_e32 v2, 0x7e, v2, vcc_lo
; %bb.84:
	s_or_b32 exec_lo, exec_lo, s23
	global_store_b8 v[0:1], v2, off
.LBB174_85:
	s_mov_b32 s23, 0
.LBB174_86:
	s_delay_alu instid0(SALU_CYCLE_1)
	s_and_not1_b32 vcc_lo, exec_lo, s23
	s_cbranch_vccnz .LBB174_96
; %bb.87:
	s_wait_xcnt 0x0
	v_cndmask_b32_e64 v3, 0, 1.0, s17
	s_mov_b32 s23, exec_lo
                                        ; implicit-def: $vgpr2
	s_delay_alu instid0(VALU_DEP_1)
	v_cmpx_gt_u32_e32 0x47800000, v3
	s_xor_b32 s23, exec_lo, s23
	s_cbranch_execz .LBB174_93
; %bb.88:
	s_mov_b32 s24, exec_lo
                                        ; implicit-def: $vgpr2
	v_cmpx_lt_u32_e32 0x387fffff, v3
	s_xor_b32 s24, exec_lo, s24
; %bb.89:
	v_bfe_u32 v2, v3, 21, 1
	s_delay_alu instid0(VALU_DEP_1) | instskip(NEXT) | instid1(VALU_DEP_1)
	v_add3_u32 v2, v3, v2, 0x80fffff
                                        ; implicit-def: $vgpr3
	v_lshrrev_b32_e32 v2, 21, v2
; %bb.90:
	s_and_not1_saveexec_b32 s24, s24
; %bb.91:
	v_add_f32_e32 v2, 0x43000000, v3
; %bb.92:
	s_or_b32 exec_lo, exec_lo, s24
                                        ; implicit-def: $vgpr3
.LBB174_93:
	s_and_not1_saveexec_b32 s23, s23
; %bb.94:
	v_mov_b32_e32 v2, 0x7f
	v_cmp_lt_u32_e32 vcc_lo, 0x7f800000, v3
	s_delay_alu instid0(VALU_DEP_2)
	v_cndmask_b32_e32 v2, 0x7c, v2, vcc_lo
; %bb.95:
	s_or_b32 exec_lo, exec_lo, s23
	global_store_b8 v[0:1], v2, off
.LBB174_96:
	s_mov_b32 s24, 0
	s_mov_b32 s23, -1
.LBB174_97:
	s_and_not1_b32 vcc_lo, exec_lo, s24
	s_cbranch_vccnz .LBB174_105
; %bb.98:
	s_cmp_gt_i32 s22, 14
	s_mov_b32 s24, -1
	s_cbranch_scc0 .LBB174_102
; %bb.99:
	s_cmp_eq_u32 s22, 15
	s_mov_b32 s0, -1
	s_cbranch_scc0 .LBB174_101
; %bb.100:
	s_wait_xcnt 0x0
	v_cndmask_b32_e64 v2, 0, 1.0, s17
	s_mov_b32 s23, -1
	s_mov_b32 s0, 0
	s_delay_alu instid0(VALU_DEP_1) | instskip(NEXT) | instid1(VALU_DEP_1)
	v_bfe_u32 v3, v2, 16, 1
	v_add3_u32 v2, v2, v3, 0x7fff
	global_store_d16_hi_b16 v[0:1], v2, off
.LBB174_101:
	s_mov_b32 s24, 0
.LBB174_102:
	s_delay_alu instid0(SALU_CYCLE_1)
	s_and_b32 vcc_lo, exec_lo, s24
	s_cbranch_vccz .LBB174_105
; %bb.103:
	s_cmp_eq_u32 s22, 11
	s_mov_b32 s0, -1
	s_cbranch_scc0 .LBB174_105
; %bb.104:
	s_wait_xcnt 0x0
	v_cndmask_b32_e64 v2, 0, 1, s17
	s_mov_b32 s23, -1
	s_mov_b32 s0, 0
	global_store_b8 v[0:1], v2, off
.LBB174_105:
	s_branch .LBB174_23
.LBB174_106:
	s_and_b32 s21, 0xffff, s21
	s_mov_b32 s22, -1
	s_cmp_lt_i32 s21, 5
	s_cbranch_scc1 .LBB174_127
; %bb.107:
	s_cmp_lt_i32 s21, 8
	s_cbranch_scc1 .LBB174_117
; %bb.108:
	;; [unrolled: 3-line block ×3, first 2 shown]
	s_cmp_gt_i32 s21, 9
	s_cbranch_scc0 .LBB174_111
; %bb.110:
	s_wait_xcnt 0x0
	v_cndmask_b32_e64 v2, 0, 1, s17
	v_mov_b32_e32 v8, 0
	s_mov_b32 s22, 0
	s_delay_alu instid0(VALU_DEP_2) | instskip(NEXT) | instid1(VALU_DEP_2)
	v_cvt_f64_u32_e32 v[6:7], v2
	v_mov_b32_e32 v9, v8
	global_store_b128 v[0:1], v[6:9], off
.LBB174_111:
	s_and_not1_b32 vcc_lo, exec_lo, s22
	s_cbranch_vccnz .LBB174_113
; %bb.112:
	s_wait_xcnt 0x0
	v_cndmask_b32_e64 v2, 0, 1.0, s17
	v_mov_b32_e32 v3, 0
	global_store_b64 v[0:1], v[2:3], off
.LBB174_113:
	s_mov_b32 s22, 0
.LBB174_114:
	s_delay_alu instid0(SALU_CYCLE_1)
	s_and_not1_b32 vcc_lo, exec_lo, s22
	s_cbranch_vccnz .LBB174_116
; %bb.115:
	s_wait_xcnt 0x0
	v_cndmask_b32_e64 v2, 0, 1.0, s17
	s_delay_alu instid0(VALU_DEP_1) | instskip(NEXT) | instid1(VALU_DEP_1)
	v_cvt_f16_f32_e32 v2, v2
	v_and_b32_e32 v2, 0xffff, v2
	global_store_b32 v[0:1], v2, off
.LBB174_116:
	s_mov_b32 s22, 0
.LBB174_117:
	s_delay_alu instid0(SALU_CYCLE_1)
	s_and_not1_b32 vcc_lo, exec_lo, s22
	s_cbranch_vccnz .LBB174_126
; %bb.118:
	s_cmp_lt_i32 s21, 6
	s_mov_b32 s22, -1
	s_cbranch_scc1 .LBB174_124
; %bb.119:
	s_cmp_gt_i32 s21, 6
	s_cbranch_scc0 .LBB174_121
; %bb.120:
	s_wait_xcnt 0x0
	v_cndmask_b32_e64 v2, 0, 1, s17
	s_mov_b32 s22, 0
	s_delay_alu instid0(VALU_DEP_1)
	v_cvt_f64_u32_e32 v[2:3], v2
	global_store_b64 v[0:1], v[2:3], off
.LBB174_121:
	s_and_not1_b32 vcc_lo, exec_lo, s22
	s_cbranch_vccnz .LBB174_123
; %bb.122:
	s_wait_xcnt 0x0
	v_cndmask_b32_e64 v2, 0, 1.0, s17
	global_store_b32 v[0:1], v2, off
.LBB174_123:
	s_mov_b32 s22, 0
.LBB174_124:
	s_delay_alu instid0(SALU_CYCLE_1)
	s_and_not1_b32 vcc_lo, exec_lo, s22
	s_cbranch_vccnz .LBB174_126
; %bb.125:
	s_wait_xcnt 0x0
	v_cndmask_b32_e64 v2, 0, 1.0, s17
	s_delay_alu instid0(VALU_DEP_1)
	v_cvt_f16_f32_e32 v2, v2
	global_store_b16 v[0:1], v2, off
.LBB174_126:
	s_mov_b32 s22, 0
.LBB174_127:
	s_delay_alu instid0(SALU_CYCLE_1)
	s_and_not1_b32 vcc_lo, exec_lo, s22
	s_cbranch_vccnz .LBB174_143
; %bb.128:
	s_cmp_lt_i32 s21, 2
	s_mov_b32 s22, -1
	s_cbranch_scc1 .LBB174_138
; %bb.129:
	s_cmp_lt_i32 s21, 3
	s_cbranch_scc1 .LBB174_135
; %bb.130:
	s_cmp_gt_i32 s21, 3
	s_cbranch_scc0 .LBB174_132
; %bb.131:
	s_mov_b32 s22, 0
	s_wait_xcnt 0x0
	v_cndmask_b32_e64 v2, 0, 1, s17
	v_mov_b32_e32 v3, s22
	global_store_b64 v[0:1], v[2:3], off
.LBB174_132:
	s_and_not1_b32 vcc_lo, exec_lo, s22
	s_cbranch_vccnz .LBB174_134
; %bb.133:
	s_wait_xcnt 0x0
	v_cndmask_b32_e64 v2, 0, 1, s17
	global_store_b32 v[0:1], v2, off
.LBB174_134:
	s_mov_b32 s22, 0
.LBB174_135:
	s_delay_alu instid0(SALU_CYCLE_1)
	s_and_not1_b32 vcc_lo, exec_lo, s22
	s_cbranch_vccnz .LBB174_137
; %bb.136:
	s_wait_xcnt 0x0
	v_cndmask_b32_e64 v2, 0, 1, s17
	global_store_b16 v[0:1], v2, off
.LBB174_137:
	s_mov_b32 s22, 0
.LBB174_138:
	s_delay_alu instid0(SALU_CYCLE_1)
	s_and_not1_b32 vcc_lo, exec_lo, s22
	s_cbranch_vccnz .LBB174_143
; %bb.139:
	s_wait_xcnt 0x0
	v_cndmask_b32_e64 v2, 0, 1, s17
	s_cmp_gt_i32 s21, 0
	s_mov_b32 s17, -1
	s_cbranch_scc0 .LBB174_141
; %bb.140:
	s_mov_b32 s17, 0
	global_store_b8 v[0:1], v2, off
.LBB174_141:
	s_and_not1_b32 vcc_lo, exec_lo, s17
	s_cbranch_vccnz .LBB174_143
; %bb.142:
	global_store_b8 v[0:1], v2, off
.LBB174_143:
.LBB174_144:
	v_add_nc_u32_e32 v4, 0x80, v4
	s_mov_b32 s21, -1
	s_branch .LBB174_259
.LBB174_145:
	s_mov_b32 s18, -1
                                        ; implicit-def: $vgpr2
.LBB174_146:
	v_mov_b32_e32 v3, 0
.LBB174_147:
	s_mov_b32 s21, 0
.LBB174_148:
	s_delay_alu instid0(SALU_CYCLE_1)
	s_and_b32 vcc_lo, exec_lo, s21
	s_cbranch_vccz .LBB174_153
; %bb.149:
	s_cmp_eq_u32 s0, 29
	s_cbranch_scc0 .LBB174_151
; %bb.150:
	global_load_b64 v[2:3], v[0:1], off
	s_mov_b32 s17, -1
	s_mov_b32 s18, 0
	s_wait_loadcnt 0x0
	v_clz_i32_u32_e32 v5, v3
	s_delay_alu instid0(VALU_DEP_1) | instskip(NEXT) | instid1(VALU_DEP_1)
	v_min_u32_e32 v5, 32, v5
	v_lshlrev_b64_e32 v[2:3], v5, v[2:3]
	s_delay_alu instid0(VALU_DEP_1) | instskip(NEXT) | instid1(VALU_DEP_1)
	v_min_u32_e32 v2, 1, v2
	v_dual_sub_nc_u32 v3, 32, v5 :: v_dual_bitop2_b32 v2, v3, v2 bitop3:0x54
	s_delay_alu instid0(VALU_DEP_1) | instskip(NEXT) | instid1(VALU_DEP_1)
	v_cvt_f32_u32_e32 v2, v2
	v_ldexp_f32 v2, v2, v3
	s_delay_alu instid0(VALU_DEP_1) | instskip(NEXT) | instid1(VALU_DEP_1)
	v_bfe_u32 v3, v2, 16, 1
	v_add3_u32 v2, v2, v3, 0x7fff
	s_delay_alu instid0(VALU_DEP_1)
	v_lshrrev_b32_e32 v2, 16, v2
	s_branch .LBB174_152
.LBB174_151:
	s_mov_b32 s18, -1
                                        ; implicit-def: $vgpr2
.LBB174_152:
	v_mov_b32_e32 v3, 0
.LBB174_153:
	s_mov_b32 s21, 0
.LBB174_154:
	s_delay_alu instid0(SALU_CYCLE_1)
	s_and_b32 vcc_lo, exec_lo, s21
	s_cbranch_vccz .LBB174_172
; %bb.155:
	s_cmp_lt_i32 s0, 27
	s_cbranch_scc1 .LBB174_158
; %bb.156:
	s_cmp_gt_i32 s0, 27
	s_cbranch_scc0 .LBB174_159
; %bb.157:
	global_load_b32 v2, v[0:1], off
	s_mov_b32 s17, 0
	s_wait_loadcnt 0x0
	v_cvt_f32_u32_e32 v2, v2
	s_delay_alu instid0(VALU_DEP_1) | instskip(NEXT) | instid1(VALU_DEP_1)
	v_bfe_u32 v3, v2, 16, 1
	v_add3_u32 v2, v2, v3, 0x7fff
	s_delay_alu instid0(VALU_DEP_1)
	v_lshrrev_b32_e32 v2, 16, v2
	s_branch .LBB174_160
.LBB174_158:
	s_mov_b32 s17, -1
                                        ; implicit-def: $vgpr2
	s_branch .LBB174_163
.LBB174_159:
	s_mov_b32 s17, -1
                                        ; implicit-def: $vgpr2
.LBB174_160:
	s_delay_alu instid0(SALU_CYCLE_1)
	s_and_not1_b32 vcc_lo, exec_lo, s17
	s_cbranch_vccnz .LBB174_162
; %bb.161:
	global_load_u16 v2, v[0:1], off
	s_wait_loadcnt 0x0
	v_cvt_f32_u32_e32 v2, v2
	s_delay_alu instid0(VALU_DEP_1) | instskip(NEXT) | instid1(VALU_DEP_1)
	v_bfe_u32 v3, v2, 16, 1
	v_add3_u32 v2, v2, v3, 0x7fff
	s_delay_alu instid0(VALU_DEP_1)
	v_lshrrev_b32_e32 v2, 16, v2
.LBB174_162:
	s_mov_b32 s17, 0
.LBB174_163:
	s_delay_alu instid0(SALU_CYCLE_1)
	s_and_not1_b32 vcc_lo, exec_lo, s17
	s_cbranch_vccnz .LBB174_171
; %bb.164:
	global_load_u8 v2, v[0:1], off
	s_mov_b32 s17, 0
	s_mov_b32 s21, exec_lo
	s_wait_loadcnt 0x0
	v_cmpx_lt_i16_e32 0x7f, v2
	s_xor_b32 s21, exec_lo, s21
	s_cbranch_execz .LBB174_184
; %bb.165:
	s_mov_b32 s17, -1
	s_mov_b32 s22, exec_lo
	v_cmpx_eq_u16_e32 0x80, v2
; %bb.166:
	s_xor_b32 s17, exec_lo, -1
; %bb.167:
	s_or_b32 exec_lo, exec_lo, s22
	s_delay_alu instid0(SALU_CYCLE_1)
	s_and_b32 s17, s17, exec_lo
	s_or_saveexec_b32 s21, s21
	v_mov_b32_e32 v3, 0x7f800001
	s_xor_b32 exec_lo, exec_lo, s21
	s_cbranch_execnz .LBB174_185
.LBB174_168:
	s_or_b32 exec_lo, exec_lo, s21
	s_and_saveexec_b32 s21, s17
	s_cbranch_execz .LBB174_170
.LBB174_169:
	v_and_b32_e32 v3, 0xffff, v2
	s_delay_alu instid0(VALU_DEP_1) | instskip(SKIP_1) | instid1(VALU_DEP_2)
	v_and_b32_e32 v5, 7, v3
	v_bfe_u32 v8, v3, 3, 4
	v_clz_i32_u32_e32 v6, v5
	s_delay_alu instid0(VALU_DEP_2) | instskip(NEXT) | instid1(VALU_DEP_2)
	v_cmp_eq_u32_e32 vcc_lo, 0, v8
	v_min_u32_e32 v6, 32, v6
	s_delay_alu instid0(VALU_DEP_1) | instskip(NEXT) | instid1(VALU_DEP_1)
	v_subrev_nc_u32_e32 v7, 28, v6
	v_dual_lshlrev_b32 v3, v7, v3 :: v_dual_sub_nc_u32 v6, 29, v6
	s_delay_alu instid0(VALU_DEP_1) | instskip(NEXT) | instid1(VALU_DEP_1)
	v_dual_lshlrev_b32 v2, 24, v2 :: v_dual_bitop2_b32 v3, 7, v3 bitop3:0x40
	v_dual_cndmask_b32 v3, v5, v3 :: v_dual_cndmask_b32 v6, v8, v6
	s_delay_alu instid0(VALU_DEP_2) | instskip(NEXT) | instid1(VALU_DEP_2)
	v_and_b32_e32 v2, 0x80000000, v2
	v_lshlrev_b32_e32 v3, 20, v3
	s_delay_alu instid0(VALU_DEP_3) | instskip(NEXT) | instid1(VALU_DEP_1)
	v_lshl_add_u32 v5, v6, 23, 0x3b800000
	v_or3_b32 v3, v2, v5, v3
.LBB174_170:
	s_or_b32 exec_lo, exec_lo, s21
	s_delay_alu instid0(VALU_DEP_1) | instskip(SKIP_1) | instid1(VALU_DEP_2)
	v_bfe_u32 v2, v3, 16, 1
	v_cmp_o_f32_e32 vcc_lo, v3, v3
	v_add3_u32 v2, v3, v2, 0x7fff
	s_delay_alu instid0(VALU_DEP_1) | instskip(NEXT) | instid1(VALU_DEP_1)
	v_lshrrev_b32_e32 v2, 16, v2
	v_cndmask_b32_e32 v2, 0x7fc0, v2, vcc_lo
.LBB174_171:
	v_mov_b32_e32 v3, 0
	s_mov_b32 s17, -1
.LBB174_172:
	s_branch .LBB174_207
.LBB174_173:
	s_cmp_gt_i32 s0, 22
	s_cbranch_scc0 .LBB174_183
; %bb.174:
	s_cmp_lt_i32 s0, 24
	s_cbranch_scc1 .LBB174_186
; %bb.175:
	s_cmp_gt_i32 s0, 24
	s_cbranch_scc0 .LBB174_187
; %bb.176:
	global_load_u8 v2, v[0:1], off
	s_mov_b32 s17, 0
	s_mov_b32 s21, exec_lo
	s_wait_loadcnt 0x0
	v_cmpx_lt_i16_e32 0x7f, v2
	s_xor_b32 s21, exec_lo, s21
	s_cbranch_execz .LBB174_198
; %bb.177:
	s_mov_b32 s17, -1
	s_mov_b32 s22, exec_lo
	v_cmpx_eq_u16_e32 0x80, v2
; %bb.178:
	s_xor_b32 s17, exec_lo, -1
; %bb.179:
	s_or_b32 exec_lo, exec_lo, s22
	s_delay_alu instid0(SALU_CYCLE_1)
	s_and_b32 s17, s17, exec_lo
	s_or_saveexec_b32 s21, s21
	v_mov_b32_e32 v3, 0x7f800001
	s_xor_b32 exec_lo, exec_lo, s21
	s_cbranch_execnz .LBB174_199
.LBB174_180:
	s_or_b32 exec_lo, exec_lo, s21
	s_and_saveexec_b32 s21, s17
	s_cbranch_execz .LBB174_182
.LBB174_181:
	v_and_b32_e32 v3, 0xffff, v2
	s_delay_alu instid0(VALU_DEP_1) | instskip(SKIP_1) | instid1(VALU_DEP_2)
	v_and_b32_e32 v5, 3, v3
	v_bfe_u32 v8, v3, 2, 5
	v_clz_i32_u32_e32 v6, v5
	s_delay_alu instid0(VALU_DEP_2) | instskip(NEXT) | instid1(VALU_DEP_2)
	v_cmp_eq_u32_e32 vcc_lo, 0, v8
	v_min_u32_e32 v6, 32, v6
	s_delay_alu instid0(VALU_DEP_1) | instskip(NEXT) | instid1(VALU_DEP_1)
	v_subrev_nc_u32_e32 v7, 29, v6
	v_dual_lshlrev_b32 v3, v7, v3 :: v_dual_sub_nc_u32 v6, 30, v6
	s_delay_alu instid0(VALU_DEP_1) | instskip(NEXT) | instid1(VALU_DEP_1)
	v_dual_lshlrev_b32 v2, 24, v2 :: v_dual_bitop2_b32 v3, 3, v3 bitop3:0x40
	v_dual_cndmask_b32 v3, v5, v3 :: v_dual_cndmask_b32 v6, v8, v6
	s_delay_alu instid0(VALU_DEP_2) | instskip(NEXT) | instid1(VALU_DEP_2)
	v_and_b32_e32 v2, 0x80000000, v2
	v_lshlrev_b32_e32 v3, 21, v3
	s_delay_alu instid0(VALU_DEP_3) | instskip(NEXT) | instid1(VALU_DEP_1)
	v_lshl_add_u32 v5, v6, 23, 0x37800000
	v_or3_b32 v3, v2, v5, v3
.LBB174_182:
	s_or_b32 exec_lo, exec_lo, s21
	s_delay_alu instid0(VALU_DEP_1) | instskip(SKIP_2) | instid1(VALU_DEP_2)
	v_bfe_u32 v2, v3, 16, 1
	v_cmp_o_f32_e32 vcc_lo, v3, v3
	s_mov_b32 s17, 0
	v_add3_u32 v2, v3, v2, 0x7fff
	s_delay_alu instid0(VALU_DEP_1) | instskip(NEXT) | instid1(VALU_DEP_1)
	v_lshrrev_b32_e32 v2, 16, v2
	v_cndmask_b32_e32 v2, 0x7fc0, v2, vcc_lo
	s_branch .LBB174_188
.LBB174_183:
                                        ; implicit-def: $vgpr2
	s_branch .LBB174_194
.LBB174_184:
	s_or_saveexec_b32 s21, s21
	v_mov_b32_e32 v3, 0x7f800001
	s_xor_b32 exec_lo, exec_lo, s21
	s_cbranch_execz .LBB174_168
.LBB174_185:
	v_cmp_ne_u16_e32 vcc_lo, 0, v2
	v_mov_b32_e32 v3, 0
	s_and_not1_b32 s17, s17, exec_lo
	s_and_b32 s22, vcc_lo, exec_lo
	s_delay_alu instid0(SALU_CYCLE_1)
	s_or_b32 s17, s17, s22
	s_or_b32 exec_lo, exec_lo, s21
	s_and_saveexec_b32 s21, s17
	s_cbranch_execnz .LBB174_169
	s_branch .LBB174_170
.LBB174_186:
	s_mov_b32 s17, -1
                                        ; implicit-def: $vgpr2
	s_branch .LBB174_191
.LBB174_187:
	s_mov_b32 s17, -1
                                        ; implicit-def: $vgpr2
.LBB174_188:
	s_delay_alu instid0(SALU_CYCLE_1)
	s_and_b32 vcc_lo, exec_lo, s17
	s_cbranch_vccz .LBB174_190
; %bb.189:
	global_load_u8 v2, v[0:1], off
	s_wait_loadcnt 0x0
	v_lshlrev_b32_e32 v2, 24, v2
	s_delay_alu instid0(VALU_DEP_1) | instskip(NEXT) | instid1(VALU_DEP_1)
	v_and_b32_e32 v3, 0x7f000000, v2
	v_clz_i32_u32_e32 v5, v3
	v_add_nc_u32_e32 v7, 0x1000000, v3
	v_cmp_ne_u32_e32 vcc_lo, 0, v3
	s_delay_alu instid0(VALU_DEP_3) | instskip(NEXT) | instid1(VALU_DEP_1)
	v_min_u32_e32 v5, 32, v5
	v_sub_nc_u32_e64 v5, v5, 4 clamp
	s_delay_alu instid0(VALU_DEP_1) | instskip(NEXT) | instid1(VALU_DEP_1)
	v_dual_lshlrev_b32 v6, v5, v3 :: v_dual_lshlrev_b32 v5, 23, v5
	v_lshrrev_b32_e32 v6, 4, v6
	s_delay_alu instid0(VALU_DEP_1) | instskip(NEXT) | instid1(VALU_DEP_1)
	v_dual_sub_nc_u32 v5, v6, v5 :: v_dual_ashrrev_i32 v6, 8, v7
	v_add_nc_u32_e32 v5, 0x3c000000, v5
	s_delay_alu instid0(VALU_DEP_1) | instskip(NEXT) | instid1(VALU_DEP_1)
	v_and_or_b32 v5, 0x7f800000, v6, v5
	v_cndmask_b32_e32 v3, 0, v5, vcc_lo
	s_delay_alu instid0(VALU_DEP_1) | instskip(SKIP_1) | instid1(VALU_DEP_2)
	v_and_or_b32 v2, 0x80000000, v2, v3
	v_bfe_u32 v3, v3, 16, 1
	v_cmp_o_f32_e32 vcc_lo, v2, v2
	s_delay_alu instid0(VALU_DEP_2) | instskip(NEXT) | instid1(VALU_DEP_1)
	v_add3_u32 v3, v2, v3, 0x7fff
	v_lshrrev_b32_e32 v3, 16, v3
	s_delay_alu instid0(VALU_DEP_1)
	v_cndmask_b32_e32 v2, 0x7fc0, v3, vcc_lo
.LBB174_190:
	s_mov_b32 s17, 0
.LBB174_191:
	s_delay_alu instid0(SALU_CYCLE_1)
	s_and_not1_b32 vcc_lo, exec_lo, s17
	s_cbranch_vccnz .LBB174_193
; %bb.192:
	global_load_u8 v2, v[0:1], off
	s_wait_loadcnt 0x0
	v_lshlrev_b32_e32 v3, 25, v2
	v_lshlrev_b16 v2, 8, v2
	s_delay_alu instid0(VALU_DEP_2) | instskip(NEXT) | instid1(VALU_DEP_2)
	v_cmp_gt_u32_e32 vcc_lo, 0x8000000, v3
	v_and_or_b32 v6, 0x7f00, v2, 0.5
	v_lshrrev_b32_e32 v5, 4, v3
	v_bfe_i32 v2, v2, 0, 16
	s_delay_alu instid0(VALU_DEP_3) | instskip(NEXT) | instid1(VALU_DEP_3)
	v_add_f32_e32 v6, -0.5, v6
	v_or_b32_e32 v5, 0x70000000, v5
	s_delay_alu instid0(VALU_DEP_1) | instskip(NEXT) | instid1(VALU_DEP_1)
	v_mul_f32_e32 v5, 0x7800000, v5
	v_cndmask_b32_e32 v3, v5, v6, vcc_lo
	s_delay_alu instid0(VALU_DEP_1) | instskip(SKIP_1) | instid1(VALU_DEP_2)
	v_and_or_b32 v2, 0x80000000, v2, v3
	v_bfe_u32 v3, v3, 16, 1
	v_cmp_o_f32_e32 vcc_lo, v2, v2
	s_delay_alu instid0(VALU_DEP_2) | instskip(NEXT) | instid1(VALU_DEP_1)
	v_add3_u32 v3, v2, v3, 0x7fff
	v_lshrrev_b32_e32 v3, 16, v3
	s_delay_alu instid0(VALU_DEP_1)
	v_cndmask_b32_e32 v2, 0x7fc0, v3, vcc_lo
.LBB174_193:
	s_mov_b32 s17, -1
	s_cbranch_execnz .LBB174_206
.LBB174_194:
	s_cmp_gt_i32 s0, 14
	s_cbranch_scc0 .LBB174_197
; %bb.195:
	s_cmp_eq_u32 s0, 15
	s_cbranch_scc0 .LBB174_200
; %bb.196:
	global_load_u16 v2, v[0:1], off
	s_mov_b32 s17, -1
	s_mov_b32 s18, 0
	s_branch .LBB174_201
.LBB174_197:
	s_mov_b32 s21, -1
                                        ; implicit-def: $vgpr2
	s_branch .LBB174_202
.LBB174_198:
	s_or_saveexec_b32 s21, s21
	v_mov_b32_e32 v3, 0x7f800001
	s_xor_b32 exec_lo, exec_lo, s21
	s_cbranch_execz .LBB174_180
.LBB174_199:
	v_cmp_ne_u16_e32 vcc_lo, 0, v2
	v_mov_b32_e32 v3, 0
	s_and_not1_b32 s17, s17, exec_lo
	s_and_b32 s22, vcc_lo, exec_lo
	s_delay_alu instid0(SALU_CYCLE_1)
	s_or_b32 s17, s17, s22
	s_or_b32 exec_lo, exec_lo, s21
	s_and_saveexec_b32 s21, s17
	s_cbranch_execnz .LBB174_181
	s_branch .LBB174_182
.LBB174_200:
	s_mov_b32 s18, -1
                                        ; implicit-def: $vgpr2
.LBB174_201:
	s_mov_b32 s21, 0
.LBB174_202:
	s_delay_alu instid0(SALU_CYCLE_1)
	s_and_b32 vcc_lo, exec_lo, s21
	s_cbranch_vccz .LBB174_206
; %bb.203:
	s_cmp_eq_u32 s0, 11
	s_cbranch_scc0 .LBB174_205
; %bb.204:
	s_wait_loadcnt 0x0
	global_load_u8 v2, v[0:1], off
	s_mov_b32 s18, 0
	s_mov_b32 s17, -1
	v_mov_b32_e32 v3, 0
	s_wait_loadcnt 0x0
	v_cmp_ne_u16_e32 vcc_lo, 0, v2
	v_cndmask_b32_e64 v2, 0, 1.0, vcc_lo
	s_delay_alu instid0(VALU_DEP_1)
	v_lshrrev_b32_e32 v2, 16, v2
	s_branch .LBB174_207
.LBB174_205:
	s_mov_b32 s18, -1
                                        ; implicit-def: $vgpr2
.LBB174_206:
	v_mov_b32_e32 v3, 0
.LBB174_207:
	s_branch .LBB174_10
.LBB174_208:
	s_cmp_lt_i32 s0, 5
	s_cbranch_scc1 .LBB174_213
; %bb.209:
	s_cmp_lt_i32 s0, 8
	s_cbranch_scc1 .LBB174_214
; %bb.210:
	s_cmp_lt_i32 s0, 9
	s_cbranch_scc1 .LBB174_215
; %bb.211:
	s_cmp_gt_i32 s0, 9
	s_cbranch_scc0 .LBB174_216
; %bb.212:
	global_load_b128 v[6:9], v[0:1], off
	s_mov_b32 s17, 0
	s_wait_loadcnt 0x0
	v_cvt_f32_f64_e32 v2, v[6:7]
	v_cvt_f32_f64_e32 v3, v[8:9]
	s_delay_alu instid0(VALU_DEP_2) | instskip(NEXT) | instid1(VALU_DEP_2)
	v_bfe_u32 v5, v2, 16, 1
	v_bfe_u32 v6, v3, 16, 1
	v_cmp_o_f32_e32 vcc_lo, v2, v2
	s_delay_alu instid0(VALU_DEP_3) | instskip(NEXT) | instid1(VALU_DEP_3)
	v_add3_u32 v5, v2, v5, 0x7fff
	v_add3_u32 v6, v3, v6, 0x7fff
	s_delay_alu instid0(VALU_DEP_2) | instskip(NEXT) | instid1(VALU_DEP_2)
	v_lshrrev_b32_e32 v5, 16, v5
	v_and_b32_e32 v6, 0xffff0000, v6
	s_delay_alu instid0(VALU_DEP_2) | instskip(SKIP_1) | instid1(VALU_DEP_3)
	v_cndmask_b32_e32 v2, 0x7fc0, v5, vcc_lo
	v_cmp_o_f32_e32 vcc_lo, v3, v3
	v_cndmask_b32_e32 v3, 0x7fc00000, v6, vcc_lo
	s_branch .LBB174_217
.LBB174_213:
                                        ; implicit-def: $vgpr3
                                        ; implicit-def: $vgpr2
	s_branch .LBB174_236
.LBB174_214:
	s_mov_b32 s17, -1
                                        ; implicit-def: $vgpr3
                                        ; implicit-def: $vgpr2
	s_branch .LBB174_223
.LBB174_215:
	s_mov_b32 s17, -1
                                        ; implicit-def: $vgpr3
                                        ; implicit-def: $vgpr2
	s_branch .LBB174_220
.LBB174_216:
	s_mov_b32 s17, -1
                                        ; implicit-def: $vgpr3
                                        ; implicit-def: $vgpr2
.LBB174_217:
	s_delay_alu instid0(SALU_CYCLE_1)
	s_and_not1_b32 vcc_lo, exec_lo, s17
	s_cbranch_vccnz .LBB174_219
; %bb.218:
	s_wait_loadcnt 0x0
	global_load_b64 v[2:3], v[0:1], off
	s_wait_loadcnt 0x0
	v_bfe_u32 v5, v2, 16, 1
	v_bfe_u32 v6, v3, 16, 1
	v_cmp_o_f32_e32 vcc_lo, v2, v2
	s_delay_alu instid0(VALU_DEP_3) | instskip(NEXT) | instid1(VALU_DEP_3)
	v_add3_u32 v5, v2, v5, 0x7fff
	v_add3_u32 v6, v3, v6, 0x7fff
	s_delay_alu instid0(VALU_DEP_2) | instskip(NEXT) | instid1(VALU_DEP_2)
	v_lshrrev_b32_e32 v5, 16, v5
	v_and_b32_e32 v6, 0xffff0000, v6
	s_delay_alu instid0(VALU_DEP_2) | instskip(SKIP_1) | instid1(VALU_DEP_3)
	v_cndmask_b32_e32 v2, 0x7fc0, v5, vcc_lo
	v_cmp_o_f32_e32 vcc_lo, v3, v3
	v_cndmask_b32_e32 v3, 0x7fc00000, v6, vcc_lo
.LBB174_219:
	s_mov_b32 s17, 0
.LBB174_220:
	s_delay_alu instid0(SALU_CYCLE_1)
	s_and_not1_b32 vcc_lo, exec_lo, s17
	s_cbranch_vccnz .LBB174_222
; %bb.221:
	s_wait_loadcnt 0x0
	global_load_b32 v2, v[0:1], off
	s_wait_loadcnt 0x0
	v_cvt_f32_f16_e32 v5, v2
	v_cmp_o_f16_e32 vcc_lo, v2, v2
	s_delay_alu instid0(VALU_DEP_2) | instskip(NEXT) | instid1(VALU_DEP_1)
	v_bfe_u32 v7, v5, 16, 1
	v_add3_u32 v5, v5, v7, 0x7fff
	s_delay_alu instid0(VALU_DEP_1) | instskip(NEXT) | instid1(VALU_DEP_1)
	v_dual_lshrrev_b32 v3, 16, v2 :: v_dual_lshrrev_b32 v5, 16, v5
	v_cvt_f32_f16_e32 v6, v3
	s_delay_alu instid0(VALU_DEP_2) | instskip(NEXT) | instid1(VALU_DEP_2)
	v_cndmask_b32_e32 v2, 0x7fc0, v5, vcc_lo
	v_bfe_u32 v8, v6, 16, 1
	v_cmp_o_f16_e32 vcc_lo, v3, v3
	s_delay_alu instid0(VALU_DEP_2) | instskip(NEXT) | instid1(VALU_DEP_1)
	v_add3_u32 v6, v6, v8, 0x7fff
	v_and_b32_e32 v6, 0xffff0000, v6
	s_delay_alu instid0(VALU_DEP_1)
	v_cndmask_b32_e32 v3, 0x7fc00000, v6, vcc_lo
.LBB174_222:
	s_mov_b32 s17, 0
.LBB174_223:
	s_delay_alu instid0(SALU_CYCLE_1)
	s_and_not1_b32 vcc_lo, exec_lo, s17
	s_cbranch_vccnz .LBB174_235
; %bb.224:
	s_cmp_lt_i32 s0, 6
	s_cbranch_scc1 .LBB174_227
; %bb.225:
	s_cmp_gt_i32 s0, 6
	s_cbranch_scc0 .LBB174_228
; %bb.226:
	s_wait_loadcnt 0x0
	global_load_b64 v[2:3], v[0:1], off
	s_mov_b32 s17, 0
	s_wait_loadcnt 0x0
	v_cvt_f32_f64_e32 v2, v[2:3]
	s_delay_alu instid0(VALU_DEP_1) | instskip(SKIP_1) | instid1(VALU_DEP_2)
	v_bfe_u32 v3, v2, 16, 1
	v_cmp_o_f32_e32 vcc_lo, v2, v2
	v_add3_u32 v3, v2, v3, 0x7fff
	s_delay_alu instid0(VALU_DEP_1) | instskip(NEXT) | instid1(VALU_DEP_1)
	v_lshrrev_b32_e32 v3, 16, v3
	v_cndmask_b32_e32 v2, 0x7fc0, v3, vcc_lo
	s_branch .LBB174_229
.LBB174_227:
	s_mov_b32 s17, -1
                                        ; implicit-def: $vgpr2
	s_branch .LBB174_232
.LBB174_228:
	s_mov_b32 s17, -1
                                        ; implicit-def: $vgpr2
.LBB174_229:
	s_delay_alu instid0(SALU_CYCLE_1)
	s_and_not1_b32 vcc_lo, exec_lo, s17
	s_cbranch_vccnz .LBB174_231
; %bb.230:
	s_wait_loadcnt 0x0
	global_load_b32 v2, v[0:1], off
	s_wait_loadcnt 0x0
	v_bfe_u32 v3, v2, 16, 1
	v_cmp_o_f32_e32 vcc_lo, v2, v2
	s_delay_alu instid0(VALU_DEP_2) | instskip(NEXT) | instid1(VALU_DEP_1)
	v_add3_u32 v3, v2, v3, 0x7fff
	v_lshrrev_b32_e32 v3, 16, v3
	s_delay_alu instid0(VALU_DEP_1)
	v_cndmask_b32_e32 v2, 0x7fc0, v3, vcc_lo
.LBB174_231:
	s_mov_b32 s17, 0
.LBB174_232:
	s_delay_alu instid0(SALU_CYCLE_1)
	s_and_not1_b32 vcc_lo, exec_lo, s17
	s_cbranch_vccnz .LBB174_234
; %bb.233:
	s_wait_loadcnt 0x0
	global_load_u16 v2, v[0:1], off
	s_wait_loadcnt 0x0
	v_cvt_f32_f16_e32 v3, v2
	v_cmp_o_f16_e32 vcc_lo, v2, v2
	s_delay_alu instid0(VALU_DEP_2) | instskip(NEXT) | instid1(VALU_DEP_1)
	v_bfe_u32 v5, v3, 16, 1
	v_add3_u32 v3, v3, v5, 0x7fff
	s_delay_alu instid0(VALU_DEP_1) | instskip(NEXT) | instid1(VALU_DEP_1)
	v_lshrrev_b32_e32 v3, 16, v3
	v_cndmask_b32_e32 v2, 0x7fc0, v3, vcc_lo
.LBB174_234:
	v_mov_b32_e32 v3, 0
.LBB174_235:
	s_cbranch_execnz .LBB174_256
.LBB174_236:
	s_cmp_lt_i32 s0, 2
	s_cbranch_scc1 .LBB174_240
; %bb.237:
	s_cmp_lt_i32 s0, 3
	s_cbranch_scc1 .LBB174_241
; %bb.238:
	s_cmp_gt_i32 s0, 3
	s_cbranch_scc0 .LBB174_242
; %bb.239:
	s_wait_loadcnt 0x0
	global_load_b64 v[2:3], v[0:1], off
	s_mov_b32 s17, 0
	s_wait_loadcnt 0x0
	v_xor_b32_e32 v5, v2, v3
	v_cls_i32_e32 v6, v3
	s_delay_alu instid0(VALU_DEP_2) | instskip(NEXT) | instid1(VALU_DEP_1)
	v_ashrrev_i32_e32 v5, 31, v5
	v_add_nc_u32_e32 v5, 32, v5
	s_delay_alu instid0(VALU_DEP_1) | instskip(NEXT) | instid1(VALU_DEP_1)
	v_add_min_u32_e64 v5, v6, -1, v5
	v_lshlrev_b64_e32 v[2:3], v5, v[2:3]
	s_delay_alu instid0(VALU_DEP_1) | instskip(NEXT) | instid1(VALU_DEP_1)
	v_min_u32_e32 v2, 1, v2
	v_dual_sub_nc_u32 v3, 32, v5 :: v_dual_bitop2_b32 v2, v3, v2 bitop3:0x54
	s_delay_alu instid0(VALU_DEP_1) | instskip(NEXT) | instid1(VALU_DEP_1)
	v_cvt_f32_i32_e32 v2, v2
	v_ldexp_f32 v2, v2, v3
	s_delay_alu instid0(VALU_DEP_1) | instskip(NEXT) | instid1(VALU_DEP_1)
	v_bfe_u32 v3, v2, 16, 1
	v_add3_u32 v2, v2, v3, 0x7fff
	s_delay_alu instid0(VALU_DEP_1)
	v_lshrrev_b32_e32 v2, 16, v2
	s_branch .LBB174_243
.LBB174_240:
	s_mov_b32 s17, -1
                                        ; implicit-def: $vgpr2
	s_branch .LBB174_249
.LBB174_241:
	s_mov_b32 s17, -1
                                        ; implicit-def: $vgpr2
	s_branch .LBB174_246
.LBB174_242:
	s_mov_b32 s17, -1
                                        ; implicit-def: $vgpr2
.LBB174_243:
	s_delay_alu instid0(SALU_CYCLE_1)
	s_and_not1_b32 vcc_lo, exec_lo, s17
	s_cbranch_vccnz .LBB174_245
; %bb.244:
	s_wait_loadcnt 0x0
	global_load_b32 v2, v[0:1], off
	s_wait_loadcnt 0x0
	v_cvt_f32_i32_e32 v2, v2
	s_delay_alu instid0(VALU_DEP_1) | instskip(NEXT) | instid1(VALU_DEP_1)
	v_bfe_u32 v3, v2, 16, 1
	v_add3_u32 v2, v2, v3, 0x7fff
	s_delay_alu instid0(VALU_DEP_1)
	v_lshrrev_b32_e32 v2, 16, v2
.LBB174_245:
	s_mov_b32 s17, 0
.LBB174_246:
	s_delay_alu instid0(SALU_CYCLE_1)
	s_and_not1_b32 vcc_lo, exec_lo, s17
	s_cbranch_vccnz .LBB174_248
; %bb.247:
	s_wait_loadcnt 0x0
	global_load_i16 v2, v[0:1], off
	s_wait_loadcnt 0x0
	v_cvt_f32_i32_e32 v2, v2
	s_delay_alu instid0(VALU_DEP_1) | instskip(NEXT) | instid1(VALU_DEP_1)
	v_bfe_u32 v3, v2, 16, 1
	v_add3_u32 v2, v2, v3, 0x7fff
	s_delay_alu instid0(VALU_DEP_1)
	v_lshrrev_b32_e32 v2, 16, v2
.LBB174_248:
	s_mov_b32 s17, 0
.LBB174_249:
	s_delay_alu instid0(SALU_CYCLE_1)
	s_and_not1_b32 vcc_lo, exec_lo, s17
	s_cbranch_vccnz .LBB174_255
; %bb.250:
	s_cmp_gt_i32 s0, 0
	s_mov_b32 s0, 0
	s_cbranch_scc0 .LBB174_252
; %bb.251:
	s_wait_loadcnt 0x0
	global_load_i8 v2, v[0:1], off
	s_wait_loadcnt 0x0
	v_cvt_f32_i32_e32 v2, v2
	s_delay_alu instid0(VALU_DEP_1) | instskip(NEXT) | instid1(VALU_DEP_1)
	v_bfe_u32 v3, v2, 16, 1
	v_add3_u32 v2, v2, v3, 0x7fff
	s_delay_alu instid0(VALU_DEP_1)
	v_lshrrev_b32_e32 v2, 16, v2
	s_branch .LBB174_253
.LBB174_252:
	s_mov_b32 s0, -1
                                        ; implicit-def: $vgpr2
.LBB174_253:
	s_delay_alu instid0(SALU_CYCLE_1)
	s_and_not1_b32 vcc_lo, exec_lo, s0
	s_cbranch_vccnz .LBB174_255
; %bb.254:
	global_load_u8 v0, v[0:1], off
	s_wait_loadcnt 0x0
	v_cvt_f32_ubyte0_e32 v0, v0
	s_delay_alu instid0(VALU_DEP_1) | instskip(NEXT) | instid1(VALU_DEP_1)
	v_bfe_u32 v1, v0, 16, 1
	v_add3_u32 v0, v0, v1, 0x7fff
	s_delay_alu instid0(VALU_DEP_1)
	v_lshrrev_b32_e32 v2, 16, v0
.LBB174_255:
	v_mov_b32_e32 v3, 0
.LBB174_256:
	s_branch .LBB174_11
.LBB174_257:
	s_mov_b32 s0, 0
.LBB174_258:
	s_mov_b32 s21, 0
                                        ; implicit-def: $vgpr4
.LBB174_259:
	s_and_b32 s17, s0, exec_lo
	s_and_b32 s18, s18, exec_lo
	s_or_not1_b32 s22, s21, exec_lo
.LBB174_260:
	s_wait_xcnt 0x0
	s_or_b32 exec_lo, exec_lo, s19
	s_mov_b32 s21, 0
	s_mov_b32 s0, 0
                                        ; implicit-def: $vgpr0_vgpr1
                                        ; implicit-def: $vgpr3
                                        ; implicit-def: $vgpr2
	s_and_saveexec_b32 s19, s22
	s_cbranch_execz .LBB174_269
; %bb.261:
	s_mov_b32 s0, -1
	s_mov_b32 s20, s18
	s_mov_b32 s21, s17
	s_mov_b32 s22, exec_lo
	v_cmpx_gt_i32_e64 s16, v4
	s_cbranch_execz .LBB174_532
; %bb.262:
	v_mul_lo_u32 v0, v4, s9
	s_and_b32 s0, 0xffff, s3
	s_delay_alu instid0(SALU_CYCLE_1) | instskip(NEXT) | instid1(VALU_DEP_1)
	s_cmp_lt_i32 s0, 11
	v_ashrrev_i32_e32 v1, 31, v0
	s_delay_alu instid0(VALU_DEP_1)
	v_add_nc_u64_e32 v[0:1], s[6:7], v[0:1]
	s_cbranch_scc1 .LBB174_272
; %bb.263:
	s_cmp_gt_i32 s0, 25
	s_cbranch_scc0 .LBB174_284
; %bb.264:
	s_cmp_gt_i32 s0, 28
	s_cbranch_scc0 .LBB174_287
	;; [unrolled: 3-line block ×4, first 2 shown]
; %bb.267:
	s_cmp_eq_u32 s0, 46
	s_mov_b32 s23, 0
	s_cbranch_scc0 .LBB174_297
; %bb.268:
	s_wait_loadcnt 0x0
	global_load_b32 v2, v[0:1], off
	s_mov_b32 s21, -1
	s_mov_b32 s20, 0
	s_wait_loadcnt 0x0
	v_and_b32_e32 v3, 0xffff0000, v2
	s_branch .LBB174_299
.LBB174_269:
	s_or_b32 exec_lo, exec_lo, s19
	s_mov_b32 s16, 0
	s_and_saveexec_b32 s19, s18
	s_cbranch_execnz .LBB174_893
.LBB174_270:
	s_or_b32 exec_lo, exec_lo, s19
	s_and_saveexec_b32 s18, s20
	s_delay_alu instid0(SALU_CYCLE_1)
	s_xor_b32 s18, exec_lo, s18
	s_cbranch_execz .LBB174_894
.LBB174_271:
	s_wait_loadcnt 0x0
	global_load_u8 v2, v[0:1], off
	s_or_b32 s0, s0, exec_lo
	v_mov_b32_e32 v3, 0
	s_wait_loadcnt 0x0
	v_cmp_ne_u16_e32 vcc_lo, 0, v2
	v_cndmask_b32_e64 v2, 0, 1.0, vcc_lo
	s_delay_alu instid0(VALU_DEP_1)
	v_lshrrev_b32_e32 v2, 16, v2
	s_wait_xcnt 0x0
	s_or_b32 exec_lo, exec_lo, s18
	s_and_saveexec_b32 s18, s21
	s_cbranch_execz .LBB174_942
	s_branch .LBB174_895
.LBB174_272:
	s_mov_b32 s21, 0
	s_mov_b32 s20, s18
                                        ; implicit-def: $vgpr3
                                        ; implicit-def: $vgpr2
	s_cbranch_execnz .LBB174_479
.LBB174_273:
	s_and_not1_b32 vcc_lo, exec_lo, s21
	s_cbranch_vccnz .LBB174_529
.LBB174_274:
	s_wait_loadcnt 0x0
	s_delay_alu instid0(VALU_DEP_2) | instskip(NEXT) | instid1(VALU_DEP_2)
	v_and_b32_e32 v0, 0xffff, v2
	v_and_b32_e32 v1, 0xffff0000, v3
	s_and_not1_b32 vcc_lo, exec_lo, s15
	s_delay_alu instid0(VALU_DEP_2) | instskip(NEXT) | instid1(VALU_DEP_1)
	v_or_b32_e32 v0, v3, v0
	v_lshlrev_b32_e32 v0, 16, v0
	s_cbranch_vccnz .LBB174_286
; %bb.275:
	s_delay_alu instid0(VALU_DEP_1)
	v_cmp_neq_f32_e32 vcc_lo, s13, v0
	v_cmp_neq_f32_e64 s0, s14, v1
	s_or_b32 s21, vcc_lo, s0
	s_cbranch_execnz .LBB174_277
.LBB174_276:
	s_delay_alu instid0(VALU_DEP_1) | instskip(SKIP_3) | instid1(SALU_CYCLE_1)
	v_cmp_eq_f32_e32 vcc_lo, s13, v0
	v_cmp_eq_f32_e64 s0, s14, v1
	s_and_not1_b32 s21, s21, exec_lo
	s_and_b32 s0, vcc_lo, s0
	s_and_b32 s0, s0, exec_lo
	s_delay_alu instid0(SALU_CYCLE_1)
	s_or_b32 s21, s21, s0
.LBB174_277:
	v_mul_lo_u32 v0, v4, s8
	s_and_b32 s23, s2, 0xff
	s_delay_alu instid0(SALU_CYCLE_1) | instskip(NEXT) | instid1(VALU_DEP_1)
	s_cmp_lt_i32 s23, 11
	v_ashrrev_i32_e32 v1, 31, v0
	s_delay_alu instid0(VALU_DEP_1)
	v_add_nc_u64_e32 v[0:1], s[4:5], v[0:1]
	s_cbranch_scc1 .LBB174_285
; %bb.278:
	s_and_b32 s24, 0xffff, s23
	s_delay_alu instid0(SALU_CYCLE_1)
	s_cmp_gt_i32 s24, 25
	s_cbranch_scc0 .LBB174_288
; %bb.279:
	s_cmp_gt_i32 s24, 28
	s_cbranch_scc0 .LBB174_290
; %bb.280:
	;; [unrolled: 3-line block ×4, first 2 shown]
	s_mov_b32 s26, 0
	s_mov_b32 s0, -1
	s_cmp_eq_u32 s24, 46
	s_mov_b32 s25, 0
	s_cbranch_scc0 .LBB174_303
; %bb.283:
	v_cndmask_b32_e64 v2, 0, 1.0, s21
	s_mov_b32 s25, -1
	s_mov_b32 s0, 0
	s_delay_alu instid0(VALU_DEP_1) | instskip(NEXT) | instid1(VALU_DEP_1)
	v_bfe_u32 v3, v2, 16, 1
	v_add3_u32 v2, v2, v3, 0x7fff
	s_delay_alu instid0(VALU_DEP_1)
	v_lshrrev_b32_e32 v2, 16, v2
	global_store_b32 v[0:1], v2, off
	s_branch .LBB174_303
.LBB174_284:
	s_mov_b32 s23, -1
	s_mov_b32 s21, 0
	s_mov_b32 s20, s18
                                        ; implicit-def: $vgpr3
                                        ; implicit-def: $vgpr2
	s_branch .LBB174_442
.LBB174_285:
	s_mov_b32 s24, -1
	s_mov_b32 s25, 0
	s_mov_b32 s0, s17
	s_branch .LBB174_372
.LBB174_286:
                                        ; implicit-def: $sgpr21
	s_branch .LBB174_276
.LBB174_287:
	s_mov_b32 s23, -1
	s_mov_b32 s21, 0
	s_mov_b32 s20, s18
                                        ; implicit-def: $vgpr3
                                        ; implicit-def: $vgpr2
	s_branch .LBB174_423
.LBB174_288:
	s_mov_b32 s26, -1
	s_mov_b32 s25, 0
	s_mov_b32 s0, s17
	s_branch .LBB174_330
.LBB174_289:
	s_mov_b32 s23, -1
	s_mov_b32 s21, 0
	s_mov_b32 s20, s18
                                        ; implicit-def: $vgpr3
                                        ; implicit-def: $vgpr2
	s_branch .LBB174_417
.LBB174_290:
	s_mov_b32 s26, -1
	s_mov_b32 s25, 0
	s_mov_b32 s0, s17
	s_branch .LBB174_313
.LBB174_291:
	s_and_not1_saveexec_b32 s25, s25
	s_cbranch_execz .LBB174_58
.LBB174_292:
	v_add_f32_e32 v2, 0x46000000, v3
	s_and_not1_b32 s24, s24, exec_lo
	s_delay_alu instid0(VALU_DEP_1) | instskip(NEXT) | instid1(VALU_DEP_1)
	v_and_b32_e32 v2, 0xff, v2
	v_cmp_ne_u32_e32 vcc_lo, 0, v2
	s_and_b32 s26, vcc_lo, exec_lo
	s_delay_alu instid0(SALU_CYCLE_1)
	s_or_b32 s24, s24, s26
	s_or_b32 exec_lo, exec_lo, s25
	v_mov_b32_e32 v5, 0
	s_and_saveexec_b32 s25, s24
	s_cbranch_execnz .LBB174_59
	s_branch .LBB174_60
.LBB174_293:
	s_mov_b32 s23, -1
	s_mov_b32 s21, 0
	s_mov_b32 s20, s18
	s_branch .LBB174_298
.LBB174_294:
	s_mov_b32 s26, -1
	s_mov_b32 s25, 0
	s_mov_b32 s0, s17
	s_branch .LBB174_309
.LBB174_295:
	s_and_not1_saveexec_b32 s25, s25
	s_cbranch_execz .LBB174_71
.LBB174_296:
	v_add_f32_e32 v2, 0x42800000, v3
	s_and_not1_b32 s24, s24, exec_lo
	s_delay_alu instid0(VALU_DEP_1) | instskip(NEXT) | instid1(VALU_DEP_1)
	v_and_b32_e32 v2, 0xff, v2
	v_cmp_ne_u32_e32 vcc_lo, 0, v2
	s_and_b32 s26, vcc_lo, exec_lo
	s_delay_alu instid0(SALU_CYCLE_1)
	s_or_b32 s24, s24, s26
	s_or_b32 exec_lo, exec_lo, s25
	v_mov_b32_e32 v5, 0
	s_and_saveexec_b32 s25, s24
	s_cbranch_execnz .LBB174_72
	s_branch .LBB174_73
.LBB174_297:
	s_mov_b32 s20, -1
	s_mov_b32 s21, 0
.LBB174_298:
                                        ; implicit-def: $vgpr3
                                        ; implicit-def: $vgpr2
.LBB174_299:
	s_and_b32 vcc_lo, exec_lo, s23
	s_cbranch_vccz .LBB174_416
; %bb.300:
	s_cmp_eq_u32 s0, 44
	s_cbranch_scc0 .LBB174_414
; %bb.301:
	s_wait_loadcnt 0x0
	global_load_u8 v2, v[0:1], off
	s_mov_b32 s20, 0
	s_mov_b32 s21, -1
	s_wait_loadcnt 0x0
	v_lshlrev_b32_e32 v3, 23, v2
	v_cmp_ne_u32_e32 vcc_lo, 0xff, v2
	s_delay_alu instid0(VALU_DEP_2) | instskip(SKIP_1) | instid1(VALU_DEP_2)
	v_cndmask_b32_e32 v3, 0x7f800001, v3, vcc_lo
	v_cmp_ne_u32_e32 vcc_lo, 0, v2
	v_cndmask_b32_e32 v2, 0x400000, v3, vcc_lo
	s_delay_alu instid0(VALU_DEP_1) | instskip(NEXT) | instid1(VALU_DEP_1)
	v_add_nc_u32_e32 v3, 0x7fff, v2
	v_lshrrev_b32_e32 v3, 16, v3
	v_cmp_o_f32_e32 vcc_lo, v2, v2
	s_delay_alu instid0(VALU_DEP_2)
	v_cndmask_b32_e32 v2, 0x7fc0, v3, vcc_lo
	s_branch .LBB174_415
.LBB174_302:
	s_mov_b32 s26, -1
	s_mov_b32 s25, 0
	s_mov_b32 s0, s17
.LBB174_303:
	s_and_b32 vcc_lo, exec_lo, s26
	s_cbranch_vccz .LBB174_308
; %bb.304:
	s_cmp_eq_u32 s24, 44
	s_mov_b32 s0, -1
	s_cbranch_scc0 .LBB174_308
; %bb.305:
	v_cndmask_b32_e64 v5, 0, 1.0, s21
	s_mov_b32 s25, exec_lo
	s_wait_xcnt 0x0
	s_delay_alu instid0(VALU_DEP_1) | instskip(NEXT) | instid1(VALU_DEP_1)
	v_dual_mov_b32 v3, 0xff :: v_dual_lshrrev_b32 v2, 23, v5
	v_cmpx_ne_u32_e32 0xff, v2
; %bb.306:
	v_and_b32_e32 v3, 0x400000, v5
	v_and_or_b32 v5, 0x3fffff, v5, v2
	s_delay_alu instid0(VALU_DEP_2) | instskip(NEXT) | instid1(VALU_DEP_2)
	v_cmp_ne_u32_e32 vcc_lo, 0, v3
	v_cmp_ne_u32_e64 s0, 0, v5
	s_and_b32 s0, vcc_lo, s0
	s_delay_alu instid0(SALU_CYCLE_1) | instskip(NEXT) | instid1(VALU_DEP_1)
	v_cndmask_b32_e64 v3, 0, 1, s0
	v_add_nc_u32_e32 v3, v2, v3
; %bb.307:
	s_or_b32 exec_lo, exec_lo, s25
	s_mov_b32 s25, -1
	s_mov_b32 s0, 0
	global_store_b8 v[0:1], v3, off
.LBB174_308:
	s_mov_b32 s26, 0
.LBB174_309:
	s_delay_alu instid0(SALU_CYCLE_1)
	s_and_b32 vcc_lo, exec_lo, s26
	s_cbranch_vccz .LBB174_312
; %bb.310:
	s_cmp_eq_u32 s24, 29
	s_mov_b32 s0, -1
	s_cbranch_scc0 .LBB174_312
; %bb.311:
	s_mov_b32 s0, 0
	s_wait_xcnt 0x0
	v_cndmask_b32_e64 v2, 0, 1, s21
	v_mov_b32_e32 v3, s0
	s_mov_b32 s25, -1
	s_mov_b32 s26, 0
	global_store_b64 v[0:1], v[2:3], off
	s_branch .LBB174_313
.LBB174_312:
	s_mov_b32 s26, 0
.LBB174_313:
	s_delay_alu instid0(SALU_CYCLE_1)
	s_and_b32 vcc_lo, exec_lo, s26
	s_cbranch_vccz .LBB174_329
; %bb.314:
	s_cmp_lt_i32 s24, 27
	s_mov_b32 s25, -1
	s_cbranch_scc1 .LBB174_320
; %bb.315:
	s_cmp_gt_i32 s24, 27
	s_cbranch_scc0 .LBB174_317
; %bb.316:
	s_wait_xcnt 0x0
	v_cndmask_b32_e64 v2, 0, 1, s21
	s_mov_b32 s25, 0
	global_store_b32 v[0:1], v2, off
.LBB174_317:
	s_and_not1_b32 vcc_lo, exec_lo, s25
	s_cbranch_vccnz .LBB174_319
; %bb.318:
	s_wait_xcnt 0x0
	v_cndmask_b32_e64 v2, 0, 1, s21
	global_store_b16 v[0:1], v2, off
.LBB174_319:
	s_mov_b32 s25, 0
.LBB174_320:
	s_delay_alu instid0(SALU_CYCLE_1)
	s_and_not1_b32 vcc_lo, exec_lo, s25
	s_cbranch_vccnz .LBB174_328
; %bb.321:
	s_wait_xcnt 0x0
	v_cndmask_b32_e64 v3, 0, 1.0, s21
	v_mov_b32_e32 v5, 0x80
	s_mov_b32 s25, exec_lo
	s_delay_alu instid0(VALU_DEP_2)
	v_cmpx_gt_u32_e32 0x43800000, v3
	s_cbranch_execz .LBB174_327
; %bb.322:
	s_mov_b32 s26, 0
	s_mov_b32 s27, exec_lo
                                        ; implicit-def: $vgpr2
	v_cmpx_lt_u32_e32 0x3bffffff, v3
	s_xor_b32 s27, exec_lo, s27
	s_cbranch_execz .LBB174_545
; %bb.323:
	v_bfe_u32 v2, v3, 20, 1
	s_mov_b32 s26, exec_lo
	s_delay_alu instid0(VALU_DEP_1) | instskip(NEXT) | instid1(VALU_DEP_1)
	v_add3_u32 v2, v3, v2, 0x487ffff
                                        ; implicit-def: $vgpr3
	v_lshrrev_b32_e32 v2, 20, v2
	s_and_not1_saveexec_b32 s27, s27
	s_cbranch_execnz .LBB174_546
.LBB174_324:
	s_or_b32 exec_lo, exec_lo, s27
	v_mov_b32_e32 v5, 0
	s_and_saveexec_b32 s27, s26
.LBB174_325:
	v_mov_b32_e32 v5, v2
.LBB174_326:
	s_or_b32 exec_lo, exec_lo, s27
.LBB174_327:
	s_delay_alu instid0(SALU_CYCLE_1)
	s_or_b32 exec_lo, exec_lo, s25
	global_store_b8 v[0:1], v5, off
.LBB174_328:
	s_mov_b32 s25, -1
.LBB174_329:
	s_mov_b32 s26, 0
.LBB174_330:
	s_delay_alu instid0(SALU_CYCLE_1)
	s_and_b32 vcc_lo, exec_lo, s26
	s_cbranch_vccz .LBB174_371
; %bb.331:
	s_cmp_gt_i32 s24, 22
	s_mov_b32 s26, -1
	s_cbranch_scc0 .LBB174_363
; %bb.332:
	s_cmp_lt_i32 s24, 24
	s_mov_b32 s25, -1
	s_cbranch_scc1 .LBB174_352
; %bb.333:
	s_cmp_gt_i32 s24, 24
	s_cbranch_scc0 .LBB174_341
; %bb.334:
	s_wait_xcnt 0x0
	v_cndmask_b32_e64 v3, 0, 1.0, s21
	v_mov_b32_e32 v5, 0x80
	s_mov_b32 s25, exec_lo
	s_delay_alu instid0(VALU_DEP_2)
	v_cmpx_gt_u32_e32 0x47800000, v3
	s_cbranch_execz .LBB174_340
; %bb.335:
	s_mov_b32 s26, 0
	s_mov_b32 s27, exec_lo
                                        ; implicit-def: $vgpr2
	v_cmpx_lt_u32_e32 0x37ffffff, v3
	s_xor_b32 s27, exec_lo, s27
	s_cbranch_execz .LBB174_548
; %bb.336:
	v_bfe_u32 v2, v3, 21, 1
	s_mov_b32 s26, exec_lo
	s_delay_alu instid0(VALU_DEP_1) | instskip(NEXT) | instid1(VALU_DEP_1)
	v_add3_u32 v2, v3, v2, 0x88fffff
                                        ; implicit-def: $vgpr3
	v_lshrrev_b32_e32 v2, 21, v2
	s_and_not1_saveexec_b32 s27, s27
	s_cbranch_execnz .LBB174_549
.LBB174_337:
	s_or_b32 exec_lo, exec_lo, s27
	v_mov_b32_e32 v5, 0
	s_and_saveexec_b32 s27, s26
.LBB174_338:
	v_mov_b32_e32 v5, v2
.LBB174_339:
	s_or_b32 exec_lo, exec_lo, s27
.LBB174_340:
	s_delay_alu instid0(SALU_CYCLE_1)
	s_or_b32 exec_lo, exec_lo, s25
	s_mov_b32 s25, 0
	global_store_b8 v[0:1], v5, off
.LBB174_341:
	s_and_b32 vcc_lo, exec_lo, s25
	s_cbranch_vccz .LBB174_351
; %bb.342:
	s_wait_xcnt 0x0
	v_cndmask_b32_e64 v3, 0, 1.0, s21
	s_mov_b32 s25, exec_lo
                                        ; implicit-def: $vgpr2
	s_delay_alu instid0(VALU_DEP_1)
	v_cmpx_gt_u32_e32 0x43f00000, v3
	s_xor_b32 s25, exec_lo, s25
	s_cbranch_execz .LBB174_348
; %bb.343:
	s_mov_b32 s26, exec_lo
                                        ; implicit-def: $vgpr2
	v_cmpx_lt_u32_e32 0x3c7fffff, v3
	s_xor_b32 s26, exec_lo, s26
; %bb.344:
	v_bfe_u32 v2, v3, 20, 1
	s_delay_alu instid0(VALU_DEP_1) | instskip(NEXT) | instid1(VALU_DEP_1)
	v_add3_u32 v2, v3, v2, 0x407ffff
	v_and_b32_e32 v3, 0xff00000, v2
	v_lshrrev_b32_e32 v2, 20, v2
	s_delay_alu instid0(VALU_DEP_2) | instskip(NEXT) | instid1(VALU_DEP_2)
	v_cmp_ne_u32_e32 vcc_lo, 0x7f00000, v3
                                        ; implicit-def: $vgpr3
	v_cndmask_b32_e32 v2, 0x7e, v2, vcc_lo
; %bb.345:
	s_and_not1_saveexec_b32 s26, s26
; %bb.346:
	v_add_f32_e32 v2, 0x46800000, v3
; %bb.347:
	s_or_b32 exec_lo, exec_lo, s26
                                        ; implicit-def: $vgpr3
.LBB174_348:
	s_and_not1_saveexec_b32 s25, s25
; %bb.349:
	v_mov_b32_e32 v2, 0x7f
	v_cmp_lt_u32_e32 vcc_lo, 0x7f800000, v3
	s_delay_alu instid0(VALU_DEP_2)
	v_cndmask_b32_e32 v2, 0x7e, v2, vcc_lo
; %bb.350:
	s_or_b32 exec_lo, exec_lo, s25
	global_store_b8 v[0:1], v2, off
.LBB174_351:
	s_mov_b32 s25, 0
.LBB174_352:
	s_delay_alu instid0(SALU_CYCLE_1)
	s_and_not1_b32 vcc_lo, exec_lo, s25
	s_cbranch_vccnz .LBB174_362
; %bb.353:
	s_wait_xcnt 0x0
	v_cndmask_b32_e64 v3, 0, 1.0, s21
	s_mov_b32 s25, exec_lo
                                        ; implicit-def: $vgpr2
	s_delay_alu instid0(VALU_DEP_1)
	v_cmpx_gt_u32_e32 0x47800000, v3
	s_xor_b32 s25, exec_lo, s25
	s_cbranch_execz .LBB174_359
; %bb.354:
	s_mov_b32 s26, exec_lo
                                        ; implicit-def: $vgpr2
	v_cmpx_lt_u32_e32 0x387fffff, v3
	s_xor_b32 s26, exec_lo, s26
; %bb.355:
	v_bfe_u32 v2, v3, 21, 1
	s_delay_alu instid0(VALU_DEP_1) | instskip(NEXT) | instid1(VALU_DEP_1)
	v_add3_u32 v2, v3, v2, 0x80fffff
                                        ; implicit-def: $vgpr3
	v_lshrrev_b32_e32 v2, 21, v2
; %bb.356:
	s_and_not1_saveexec_b32 s26, s26
; %bb.357:
	v_add_f32_e32 v2, 0x43000000, v3
; %bb.358:
	s_or_b32 exec_lo, exec_lo, s26
                                        ; implicit-def: $vgpr3
.LBB174_359:
	s_and_not1_saveexec_b32 s25, s25
; %bb.360:
	v_mov_b32_e32 v2, 0x7f
	v_cmp_lt_u32_e32 vcc_lo, 0x7f800000, v3
	s_delay_alu instid0(VALU_DEP_2)
	v_cndmask_b32_e32 v2, 0x7c, v2, vcc_lo
; %bb.361:
	s_or_b32 exec_lo, exec_lo, s25
	global_store_b8 v[0:1], v2, off
.LBB174_362:
	s_mov_b32 s26, 0
	s_mov_b32 s25, -1
.LBB174_363:
	s_and_not1_b32 vcc_lo, exec_lo, s26
	s_cbranch_vccnz .LBB174_371
; %bb.364:
	s_cmp_gt_i32 s24, 14
	s_mov_b32 s26, -1
	s_cbranch_scc0 .LBB174_368
; %bb.365:
	s_cmp_eq_u32 s24, 15
	s_mov_b32 s0, -1
	s_cbranch_scc0 .LBB174_367
; %bb.366:
	s_wait_xcnt 0x0
	v_cndmask_b32_e64 v2, 0, 1.0, s21
	s_mov_b32 s25, -1
	s_mov_b32 s0, 0
	s_delay_alu instid0(VALU_DEP_1) | instskip(NEXT) | instid1(VALU_DEP_1)
	v_bfe_u32 v3, v2, 16, 1
	v_add3_u32 v2, v2, v3, 0x7fff
	global_store_d16_hi_b16 v[0:1], v2, off
.LBB174_367:
	s_mov_b32 s26, 0
.LBB174_368:
	s_delay_alu instid0(SALU_CYCLE_1)
	s_and_b32 vcc_lo, exec_lo, s26
	s_cbranch_vccz .LBB174_371
; %bb.369:
	s_cmp_eq_u32 s24, 11
	s_mov_b32 s0, -1
	s_cbranch_scc0 .LBB174_371
; %bb.370:
	s_wait_xcnt 0x0
	v_cndmask_b32_e64 v2, 0, 1, s21
	s_mov_b32 s25, -1
	s_mov_b32 s0, 0
	global_store_b8 v[0:1], v2, off
.LBB174_371:
	s_mov_b32 s24, 0
.LBB174_372:
	s_delay_alu instid0(SALU_CYCLE_1)
	s_and_b32 vcc_lo, exec_lo, s24
	s_cbranch_vccz .LBB174_411
; %bb.373:
	s_and_b32 s23, 0xffff, s23
	s_mov_b32 s24, -1
	s_cmp_lt_i32 s23, 5
	s_cbranch_scc1 .LBB174_394
; %bb.374:
	s_cmp_lt_i32 s23, 8
	s_cbranch_scc1 .LBB174_384
; %bb.375:
	;; [unrolled: 3-line block ×3, first 2 shown]
	s_cmp_gt_i32 s23, 9
	s_cbranch_scc0 .LBB174_378
; %bb.377:
	s_wait_xcnt 0x0
	v_cndmask_b32_e64 v2, 0, 1, s21
	v_mov_b32_e32 v8, 0
	s_mov_b32 s24, 0
	s_delay_alu instid0(VALU_DEP_2) | instskip(NEXT) | instid1(VALU_DEP_2)
	v_cvt_f64_u32_e32 v[6:7], v2
	v_mov_b32_e32 v9, v8
	global_store_b128 v[0:1], v[6:9], off
.LBB174_378:
	s_and_not1_b32 vcc_lo, exec_lo, s24
	s_cbranch_vccnz .LBB174_380
; %bb.379:
	s_wait_xcnt 0x0
	v_cndmask_b32_e64 v2, 0, 1.0, s21
	v_mov_b32_e32 v3, 0
	global_store_b64 v[0:1], v[2:3], off
.LBB174_380:
	s_mov_b32 s24, 0
.LBB174_381:
	s_delay_alu instid0(SALU_CYCLE_1)
	s_and_not1_b32 vcc_lo, exec_lo, s24
	s_cbranch_vccnz .LBB174_383
; %bb.382:
	s_wait_xcnt 0x0
	v_cndmask_b32_e64 v2, 0, 1.0, s21
	s_delay_alu instid0(VALU_DEP_1) | instskip(NEXT) | instid1(VALU_DEP_1)
	v_cvt_f16_f32_e32 v2, v2
	v_and_b32_e32 v2, 0xffff, v2
	global_store_b32 v[0:1], v2, off
.LBB174_383:
	s_mov_b32 s24, 0
.LBB174_384:
	s_delay_alu instid0(SALU_CYCLE_1)
	s_and_not1_b32 vcc_lo, exec_lo, s24
	s_cbranch_vccnz .LBB174_393
; %bb.385:
	s_cmp_lt_i32 s23, 6
	s_mov_b32 s24, -1
	s_cbranch_scc1 .LBB174_391
; %bb.386:
	s_cmp_gt_i32 s23, 6
	s_cbranch_scc0 .LBB174_388
; %bb.387:
	s_wait_xcnt 0x0
	v_cndmask_b32_e64 v2, 0, 1, s21
	s_mov_b32 s24, 0
	s_delay_alu instid0(VALU_DEP_1)
	v_cvt_f64_u32_e32 v[2:3], v2
	global_store_b64 v[0:1], v[2:3], off
.LBB174_388:
	s_and_not1_b32 vcc_lo, exec_lo, s24
	s_cbranch_vccnz .LBB174_390
; %bb.389:
	s_wait_xcnt 0x0
	v_cndmask_b32_e64 v2, 0, 1.0, s21
	global_store_b32 v[0:1], v2, off
.LBB174_390:
	s_mov_b32 s24, 0
.LBB174_391:
	s_delay_alu instid0(SALU_CYCLE_1)
	s_and_not1_b32 vcc_lo, exec_lo, s24
	s_cbranch_vccnz .LBB174_393
; %bb.392:
	s_wait_xcnt 0x0
	v_cndmask_b32_e64 v2, 0, 1.0, s21
	s_delay_alu instid0(VALU_DEP_1)
	v_cvt_f16_f32_e32 v2, v2
	global_store_b16 v[0:1], v2, off
.LBB174_393:
	s_mov_b32 s24, 0
.LBB174_394:
	s_delay_alu instid0(SALU_CYCLE_1)
	s_and_not1_b32 vcc_lo, exec_lo, s24
	s_cbranch_vccnz .LBB174_410
; %bb.395:
	s_cmp_lt_i32 s23, 2
	s_mov_b32 s24, -1
	s_cbranch_scc1 .LBB174_405
; %bb.396:
	s_cmp_lt_i32 s23, 3
	s_cbranch_scc1 .LBB174_402
; %bb.397:
	s_cmp_gt_i32 s23, 3
	s_cbranch_scc0 .LBB174_399
; %bb.398:
	s_mov_b32 s24, 0
	s_wait_xcnt 0x0
	v_cndmask_b32_e64 v2, 0, 1, s21
	v_mov_b32_e32 v3, s24
	global_store_b64 v[0:1], v[2:3], off
.LBB174_399:
	s_and_not1_b32 vcc_lo, exec_lo, s24
	s_cbranch_vccnz .LBB174_401
; %bb.400:
	s_wait_xcnt 0x0
	v_cndmask_b32_e64 v2, 0, 1, s21
	global_store_b32 v[0:1], v2, off
.LBB174_401:
	s_mov_b32 s24, 0
.LBB174_402:
	s_delay_alu instid0(SALU_CYCLE_1)
	s_and_not1_b32 vcc_lo, exec_lo, s24
	s_cbranch_vccnz .LBB174_404
; %bb.403:
	s_wait_xcnt 0x0
	v_cndmask_b32_e64 v2, 0, 1, s21
	global_store_b16 v[0:1], v2, off
.LBB174_404:
	s_mov_b32 s24, 0
.LBB174_405:
	s_delay_alu instid0(SALU_CYCLE_1)
	s_and_not1_b32 vcc_lo, exec_lo, s24
	s_cbranch_vccnz .LBB174_410
; %bb.406:
	s_wait_xcnt 0x0
	v_cndmask_b32_e64 v2, 0, 1, s21
	s_cmp_gt_i32 s23, 0
	s_mov_b32 s21, -1
	s_cbranch_scc0 .LBB174_408
; %bb.407:
	s_mov_b32 s21, 0
	global_store_b8 v[0:1], v2, off
.LBB174_408:
	s_and_not1_b32 vcc_lo, exec_lo, s21
	s_cbranch_vccnz .LBB174_410
; %bb.409:
	global_store_b8 v[0:1], v2, off
.LBB174_410:
	s_mov_b32 s25, -1
.LBB174_411:
	s_delay_alu instid0(SALU_CYCLE_1)
	s_and_not1_b32 vcc_lo, exec_lo, s25
	s_cbranch_vccnz .LBB174_413
; %bb.412:
	v_add_nc_u32_e32 v4, 0x80, v4
	s_mov_b32 s23, -1
	s_branch .LBB174_531
.LBB174_413:
	s_mov_b32 s23, 0
	s_branch .LBB174_530
.LBB174_414:
	s_mov_b32 s20, -1
                                        ; implicit-def: $vgpr2
.LBB174_415:
	v_mov_b32_e32 v3, 0
.LBB174_416:
	s_mov_b32 s23, 0
.LBB174_417:
	s_delay_alu instid0(SALU_CYCLE_1)
	s_and_b32 vcc_lo, exec_lo, s23
	s_cbranch_vccz .LBB174_422
; %bb.418:
	s_cmp_eq_u32 s0, 29
	s_cbranch_scc0 .LBB174_420
; %bb.419:
	s_wait_loadcnt 0x0
	global_load_b64 v[2:3], v[0:1], off
	s_mov_b32 s21, -1
	s_mov_b32 s20, 0
	s_wait_loadcnt 0x0
	v_clz_i32_u32_e32 v5, v3
	s_delay_alu instid0(VALU_DEP_1) | instskip(NEXT) | instid1(VALU_DEP_1)
	v_min_u32_e32 v5, 32, v5
	v_lshlrev_b64_e32 v[2:3], v5, v[2:3]
	s_delay_alu instid0(VALU_DEP_1) | instskip(NEXT) | instid1(VALU_DEP_1)
	v_min_u32_e32 v2, 1, v2
	v_dual_sub_nc_u32 v3, 32, v5 :: v_dual_bitop2_b32 v2, v3, v2 bitop3:0x54
	s_delay_alu instid0(VALU_DEP_1) | instskip(NEXT) | instid1(VALU_DEP_1)
	v_cvt_f32_u32_e32 v2, v2
	v_ldexp_f32 v2, v2, v3
	s_delay_alu instid0(VALU_DEP_1) | instskip(NEXT) | instid1(VALU_DEP_1)
	v_bfe_u32 v3, v2, 16, 1
	v_add3_u32 v2, v2, v3, 0x7fff
	s_delay_alu instid0(VALU_DEP_1)
	v_lshrrev_b32_e32 v2, 16, v2
	s_branch .LBB174_421
.LBB174_420:
	s_mov_b32 s20, -1
                                        ; implicit-def: $vgpr2
.LBB174_421:
	v_mov_b32_e32 v3, 0
.LBB174_422:
	s_mov_b32 s23, 0
.LBB174_423:
	s_delay_alu instid0(SALU_CYCLE_1)
	s_and_b32 vcc_lo, exec_lo, s23
	s_cbranch_vccz .LBB174_441
; %bb.424:
	s_cmp_lt_i32 s0, 27
	s_cbranch_scc1 .LBB174_427
; %bb.425:
	s_cmp_gt_i32 s0, 27
	s_cbranch_scc0 .LBB174_428
; %bb.426:
	s_wait_loadcnt 0x0
	global_load_b32 v2, v[0:1], off
	s_mov_b32 s21, 0
	s_wait_loadcnt 0x0
	v_cvt_f32_u32_e32 v2, v2
	s_delay_alu instid0(VALU_DEP_1) | instskip(NEXT) | instid1(VALU_DEP_1)
	v_bfe_u32 v3, v2, 16, 1
	v_add3_u32 v2, v2, v3, 0x7fff
	s_delay_alu instid0(VALU_DEP_1)
	v_lshrrev_b32_e32 v2, 16, v2
	s_branch .LBB174_429
.LBB174_427:
	s_mov_b32 s21, -1
                                        ; implicit-def: $vgpr2
	s_branch .LBB174_432
.LBB174_428:
	s_mov_b32 s21, -1
                                        ; implicit-def: $vgpr2
.LBB174_429:
	s_delay_alu instid0(SALU_CYCLE_1)
	s_and_not1_b32 vcc_lo, exec_lo, s21
	s_cbranch_vccnz .LBB174_431
; %bb.430:
	s_wait_loadcnt 0x0
	global_load_u16 v2, v[0:1], off
	s_wait_loadcnt 0x0
	v_cvt_f32_u32_e32 v2, v2
	s_delay_alu instid0(VALU_DEP_1) | instskip(NEXT) | instid1(VALU_DEP_1)
	v_bfe_u32 v3, v2, 16, 1
	v_add3_u32 v2, v2, v3, 0x7fff
	s_delay_alu instid0(VALU_DEP_1)
	v_lshrrev_b32_e32 v2, 16, v2
.LBB174_431:
	s_mov_b32 s21, 0
.LBB174_432:
	s_delay_alu instid0(SALU_CYCLE_1)
	s_and_not1_b32 vcc_lo, exec_lo, s21
	s_cbranch_vccnz .LBB174_440
; %bb.433:
	s_wait_loadcnt 0x0
	global_load_u8 v2, v[0:1], off
	s_mov_b32 s21, 0
	s_mov_b32 s23, exec_lo
	s_wait_loadcnt 0x0
	v_cmpx_lt_i16_e32 0x7f, v2
	s_xor_b32 s23, exec_lo, s23
	s_cbranch_execz .LBB174_454
; %bb.434:
	s_mov_b32 s21, -1
	s_mov_b32 s24, exec_lo
	v_cmpx_eq_u16_e32 0x80, v2
; %bb.435:
	s_xor_b32 s21, exec_lo, -1
; %bb.436:
	s_or_b32 exec_lo, exec_lo, s24
	s_delay_alu instid0(SALU_CYCLE_1)
	s_and_b32 s21, s21, exec_lo
	s_or_saveexec_b32 s23, s23
	v_mov_b32_e32 v3, 0x7f800001
	s_xor_b32 exec_lo, exec_lo, s23
	s_cbranch_execnz .LBB174_455
.LBB174_437:
	s_or_b32 exec_lo, exec_lo, s23
	s_and_saveexec_b32 s23, s21
	s_cbranch_execz .LBB174_439
.LBB174_438:
	v_and_b32_e32 v3, 0xffff, v2
	s_delay_alu instid0(VALU_DEP_1) | instskip(SKIP_1) | instid1(VALU_DEP_2)
	v_and_b32_e32 v5, 7, v3
	v_bfe_u32 v8, v3, 3, 4
	v_clz_i32_u32_e32 v6, v5
	s_delay_alu instid0(VALU_DEP_2) | instskip(NEXT) | instid1(VALU_DEP_2)
	v_cmp_eq_u32_e32 vcc_lo, 0, v8
	v_min_u32_e32 v6, 32, v6
	s_delay_alu instid0(VALU_DEP_1) | instskip(NEXT) | instid1(VALU_DEP_1)
	v_subrev_nc_u32_e32 v7, 28, v6
	v_dual_lshlrev_b32 v3, v7, v3 :: v_dual_sub_nc_u32 v6, 29, v6
	s_delay_alu instid0(VALU_DEP_1) | instskip(NEXT) | instid1(VALU_DEP_1)
	v_dual_lshlrev_b32 v2, 24, v2 :: v_dual_bitop2_b32 v3, 7, v3 bitop3:0x40
	v_dual_cndmask_b32 v3, v5, v3 :: v_dual_cndmask_b32 v6, v8, v6
	s_delay_alu instid0(VALU_DEP_2) | instskip(NEXT) | instid1(VALU_DEP_2)
	v_and_b32_e32 v2, 0x80000000, v2
	v_lshlrev_b32_e32 v3, 20, v3
	s_delay_alu instid0(VALU_DEP_3) | instskip(NEXT) | instid1(VALU_DEP_1)
	v_lshl_add_u32 v5, v6, 23, 0x3b800000
	v_or3_b32 v3, v2, v5, v3
.LBB174_439:
	s_or_b32 exec_lo, exec_lo, s23
	s_delay_alu instid0(VALU_DEP_1) | instskip(SKIP_1) | instid1(VALU_DEP_2)
	v_bfe_u32 v2, v3, 16, 1
	v_cmp_o_f32_e32 vcc_lo, v3, v3
	v_add3_u32 v2, v3, v2, 0x7fff
	s_delay_alu instid0(VALU_DEP_1) | instskip(NEXT) | instid1(VALU_DEP_1)
	v_lshrrev_b32_e32 v2, 16, v2
	v_cndmask_b32_e32 v2, 0x7fc0, v2, vcc_lo
.LBB174_440:
	v_mov_b32_e32 v3, 0
	s_mov_b32 s21, -1
.LBB174_441:
	s_mov_b32 s23, 0
.LBB174_442:
	s_delay_alu instid0(SALU_CYCLE_1)
	s_and_b32 vcc_lo, exec_lo, s23
	s_cbranch_vccz .LBB174_478
; %bb.443:
	s_cmp_gt_i32 s0, 22
	s_cbranch_scc0 .LBB174_453
; %bb.444:
	s_cmp_lt_i32 s0, 24
	s_cbranch_scc1 .LBB174_456
; %bb.445:
	s_cmp_gt_i32 s0, 24
	s_cbranch_scc0 .LBB174_457
; %bb.446:
	s_wait_loadcnt 0x0
	global_load_u8 v2, v[0:1], off
	s_mov_b32 s21, 0
	s_mov_b32 s23, exec_lo
	s_wait_loadcnt 0x0
	v_cmpx_lt_i16_e32 0x7f, v2
	s_xor_b32 s23, exec_lo, s23
	s_cbranch_execz .LBB174_469
; %bb.447:
	s_mov_b32 s21, -1
	s_mov_b32 s24, exec_lo
	v_cmpx_eq_u16_e32 0x80, v2
; %bb.448:
	s_xor_b32 s21, exec_lo, -1
; %bb.449:
	s_or_b32 exec_lo, exec_lo, s24
	s_delay_alu instid0(SALU_CYCLE_1)
	s_and_b32 s21, s21, exec_lo
	s_or_saveexec_b32 s23, s23
	v_mov_b32_e32 v3, 0x7f800001
	s_xor_b32 exec_lo, exec_lo, s23
	s_cbranch_execnz .LBB174_470
.LBB174_450:
	s_or_b32 exec_lo, exec_lo, s23
	s_and_saveexec_b32 s23, s21
	s_cbranch_execz .LBB174_452
.LBB174_451:
	v_and_b32_e32 v3, 0xffff, v2
	s_delay_alu instid0(VALU_DEP_1) | instskip(SKIP_1) | instid1(VALU_DEP_2)
	v_and_b32_e32 v5, 3, v3
	v_bfe_u32 v8, v3, 2, 5
	v_clz_i32_u32_e32 v6, v5
	s_delay_alu instid0(VALU_DEP_2) | instskip(NEXT) | instid1(VALU_DEP_2)
	v_cmp_eq_u32_e32 vcc_lo, 0, v8
	v_min_u32_e32 v6, 32, v6
	s_delay_alu instid0(VALU_DEP_1) | instskip(NEXT) | instid1(VALU_DEP_1)
	v_subrev_nc_u32_e32 v7, 29, v6
	v_dual_lshlrev_b32 v3, v7, v3 :: v_dual_sub_nc_u32 v6, 30, v6
	s_delay_alu instid0(VALU_DEP_1) | instskip(NEXT) | instid1(VALU_DEP_1)
	v_dual_lshlrev_b32 v2, 24, v2 :: v_dual_bitop2_b32 v3, 3, v3 bitop3:0x40
	v_dual_cndmask_b32 v3, v5, v3 :: v_dual_cndmask_b32 v6, v8, v6
	s_delay_alu instid0(VALU_DEP_2) | instskip(NEXT) | instid1(VALU_DEP_2)
	v_and_b32_e32 v2, 0x80000000, v2
	v_lshlrev_b32_e32 v3, 21, v3
	s_delay_alu instid0(VALU_DEP_3) | instskip(NEXT) | instid1(VALU_DEP_1)
	v_lshl_add_u32 v5, v6, 23, 0x37800000
	v_or3_b32 v3, v2, v5, v3
.LBB174_452:
	s_or_b32 exec_lo, exec_lo, s23
	s_delay_alu instid0(VALU_DEP_1) | instskip(SKIP_2) | instid1(VALU_DEP_2)
	v_bfe_u32 v2, v3, 16, 1
	v_cmp_o_f32_e32 vcc_lo, v3, v3
	s_mov_b32 s21, 0
	v_add3_u32 v2, v3, v2, 0x7fff
	s_delay_alu instid0(VALU_DEP_1) | instskip(NEXT) | instid1(VALU_DEP_1)
	v_lshrrev_b32_e32 v2, 16, v2
	v_cndmask_b32_e32 v2, 0x7fc0, v2, vcc_lo
	s_branch .LBB174_458
.LBB174_453:
	s_mov_b32 s23, -1
                                        ; implicit-def: $vgpr2
	s_branch .LBB174_464
.LBB174_454:
	s_or_saveexec_b32 s23, s23
	v_mov_b32_e32 v3, 0x7f800001
	s_xor_b32 exec_lo, exec_lo, s23
	s_cbranch_execz .LBB174_437
.LBB174_455:
	v_cmp_ne_u16_e32 vcc_lo, 0, v2
	v_mov_b32_e32 v3, 0
	s_and_not1_b32 s21, s21, exec_lo
	s_and_b32 s24, vcc_lo, exec_lo
	s_delay_alu instid0(SALU_CYCLE_1)
	s_or_b32 s21, s21, s24
	s_or_b32 exec_lo, exec_lo, s23
	s_and_saveexec_b32 s23, s21
	s_cbranch_execnz .LBB174_438
	s_branch .LBB174_439
.LBB174_456:
	s_mov_b32 s21, -1
                                        ; implicit-def: $vgpr2
	s_branch .LBB174_461
.LBB174_457:
	s_mov_b32 s21, -1
                                        ; implicit-def: $vgpr2
.LBB174_458:
	s_delay_alu instid0(SALU_CYCLE_1)
	s_and_b32 vcc_lo, exec_lo, s21
	s_cbranch_vccz .LBB174_460
; %bb.459:
	s_wait_loadcnt 0x0
	global_load_u8 v2, v[0:1], off
	s_wait_loadcnt 0x0
	v_lshlrev_b32_e32 v2, 24, v2
	s_delay_alu instid0(VALU_DEP_1) | instskip(NEXT) | instid1(VALU_DEP_1)
	v_and_b32_e32 v3, 0x7f000000, v2
	v_clz_i32_u32_e32 v5, v3
	v_add_nc_u32_e32 v7, 0x1000000, v3
	v_cmp_ne_u32_e32 vcc_lo, 0, v3
	s_delay_alu instid0(VALU_DEP_3) | instskip(NEXT) | instid1(VALU_DEP_1)
	v_min_u32_e32 v5, 32, v5
	v_sub_nc_u32_e64 v5, v5, 4 clamp
	s_delay_alu instid0(VALU_DEP_1) | instskip(NEXT) | instid1(VALU_DEP_1)
	v_dual_lshlrev_b32 v6, v5, v3 :: v_dual_lshlrev_b32 v5, 23, v5
	v_lshrrev_b32_e32 v6, 4, v6
	s_delay_alu instid0(VALU_DEP_1) | instskip(NEXT) | instid1(VALU_DEP_1)
	v_dual_sub_nc_u32 v5, v6, v5 :: v_dual_ashrrev_i32 v6, 8, v7
	v_add_nc_u32_e32 v5, 0x3c000000, v5
	s_delay_alu instid0(VALU_DEP_1) | instskip(NEXT) | instid1(VALU_DEP_1)
	v_and_or_b32 v5, 0x7f800000, v6, v5
	v_cndmask_b32_e32 v3, 0, v5, vcc_lo
	s_delay_alu instid0(VALU_DEP_1) | instskip(SKIP_1) | instid1(VALU_DEP_2)
	v_and_or_b32 v2, 0x80000000, v2, v3
	v_bfe_u32 v3, v3, 16, 1
	v_cmp_o_f32_e32 vcc_lo, v2, v2
	s_delay_alu instid0(VALU_DEP_2) | instskip(NEXT) | instid1(VALU_DEP_1)
	v_add3_u32 v3, v2, v3, 0x7fff
	v_lshrrev_b32_e32 v3, 16, v3
	s_delay_alu instid0(VALU_DEP_1)
	v_cndmask_b32_e32 v2, 0x7fc0, v3, vcc_lo
.LBB174_460:
	s_mov_b32 s21, 0
.LBB174_461:
	s_delay_alu instid0(SALU_CYCLE_1)
	s_and_not1_b32 vcc_lo, exec_lo, s21
	s_cbranch_vccnz .LBB174_463
; %bb.462:
	s_wait_loadcnt 0x0
	global_load_u8 v2, v[0:1], off
	s_wait_loadcnt 0x0
	v_lshlrev_b32_e32 v3, 25, v2
	v_lshlrev_b16 v2, 8, v2
	s_delay_alu instid0(VALU_DEP_2) | instskip(NEXT) | instid1(VALU_DEP_2)
	v_cmp_gt_u32_e32 vcc_lo, 0x8000000, v3
	v_and_or_b32 v6, 0x7f00, v2, 0.5
	v_lshrrev_b32_e32 v5, 4, v3
	v_bfe_i32 v2, v2, 0, 16
	s_delay_alu instid0(VALU_DEP_3) | instskip(NEXT) | instid1(VALU_DEP_3)
	v_add_f32_e32 v6, -0.5, v6
	v_or_b32_e32 v5, 0x70000000, v5
	s_delay_alu instid0(VALU_DEP_1) | instskip(NEXT) | instid1(VALU_DEP_1)
	v_mul_f32_e32 v5, 0x7800000, v5
	v_cndmask_b32_e32 v3, v5, v6, vcc_lo
	s_delay_alu instid0(VALU_DEP_1) | instskip(SKIP_1) | instid1(VALU_DEP_2)
	v_and_or_b32 v2, 0x80000000, v2, v3
	v_bfe_u32 v3, v3, 16, 1
	v_cmp_o_f32_e32 vcc_lo, v2, v2
	s_delay_alu instid0(VALU_DEP_2) | instskip(NEXT) | instid1(VALU_DEP_1)
	v_add3_u32 v3, v2, v3, 0x7fff
	v_lshrrev_b32_e32 v3, 16, v3
	s_delay_alu instid0(VALU_DEP_1)
	v_cndmask_b32_e32 v2, 0x7fc0, v3, vcc_lo
.LBB174_463:
	s_mov_b32 s23, 0
	s_mov_b32 s21, -1
.LBB174_464:
	s_and_not1_b32 vcc_lo, exec_lo, s23
	s_cbranch_vccnz .LBB174_477
; %bb.465:
	s_cmp_gt_i32 s0, 14
	s_cbranch_scc0 .LBB174_468
; %bb.466:
	s_cmp_eq_u32 s0, 15
	s_cbranch_scc0 .LBB174_471
; %bb.467:
	s_wait_loadcnt 0x0
	global_load_u16 v2, v[0:1], off
	s_mov_b32 s21, -1
	s_mov_b32 s20, 0
	s_branch .LBB174_472
.LBB174_468:
	s_mov_b32 s23, -1
                                        ; implicit-def: $vgpr2
	s_branch .LBB174_473
.LBB174_469:
	s_or_saveexec_b32 s23, s23
	v_mov_b32_e32 v3, 0x7f800001
	s_xor_b32 exec_lo, exec_lo, s23
	s_cbranch_execz .LBB174_450
.LBB174_470:
	v_cmp_ne_u16_e32 vcc_lo, 0, v2
	v_mov_b32_e32 v3, 0
	s_and_not1_b32 s21, s21, exec_lo
	s_and_b32 s24, vcc_lo, exec_lo
	s_delay_alu instid0(SALU_CYCLE_1)
	s_or_b32 s21, s21, s24
	s_or_b32 exec_lo, exec_lo, s23
	s_and_saveexec_b32 s23, s21
	s_cbranch_execnz .LBB174_451
	s_branch .LBB174_452
.LBB174_471:
	s_mov_b32 s20, -1
                                        ; implicit-def: $vgpr2
.LBB174_472:
	s_mov_b32 s23, 0
.LBB174_473:
	s_delay_alu instid0(SALU_CYCLE_1)
	s_and_b32 vcc_lo, exec_lo, s23
	s_cbranch_vccz .LBB174_477
; %bb.474:
	s_cmp_eq_u32 s0, 11
	s_cbranch_scc0 .LBB174_476
; %bb.475:
	s_wait_loadcnt 0x0
	global_load_u8 v2, v[0:1], off
	s_mov_b32 s20, 0
	s_mov_b32 s21, -1
	v_mov_b32_e32 v3, 0
	s_wait_loadcnt 0x0
	v_cmp_ne_u16_e32 vcc_lo, 0, v2
	v_cndmask_b32_e64 v2, 0, 1.0, vcc_lo
	s_delay_alu instid0(VALU_DEP_1)
	v_lshrrev_b32_e32 v2, 16, v2
	s_branch .LBB174_478
.LBB174_476:
	s_mov_b32 s20, -1
                                        ; implicit-def: $vgpr2
.LBB174_477:
	v_mov_b32_e32 v3, 0
.LBB174_478:
	s_branch .LBB174_273
.LBB174_479:
	s_cmp_lt_i32 s0, 5
	s_cbranch_scc1 .LBB174_484
; %bb.480:
	s_cmp_lt_i32 s0, 8
	s_cbranch_scc1 .LBB174_485
; %bb.481:
	;; [unrolled: 3-line block ×3, first 2 shown]
	s_cmp_gt_i32 s0, 9
	s_cbranch_scc0 .LBB174_487
; %bb.483:
	global_load_b128 v[6:9], v[0:1], off
	s_mov_b32 s21, 0
	s_wait_loadcnt 0x0
	v_cvt_f32_f64_e32 v2, v[6:7]
	v_cvt_f32_f64_e32 v3, v[8:9]
	s_delay_alu instid0(VALU_DEP_2) | instskip(NEXT) | instid1(VALU_DEP_2)
	v_bfe_u32 v5, v2, 16, 1
	v_bfe_u32 v6, v3, 16, 1
	v_cmp_o_f32_e32 vcc_lo, v2, v2
	s_delay_alu instid0(VALU_DEP_3) | instskip(NEXT) | instid1(VALU_DEP_3)
	v_add3_u32 v5, v2, v5, 0x7fff
	v_add3_u32 v6, v3, v6, 0x7fff
	s_delay_alu instid0(VALU_DEP_2) | instskip(NEXT) | instid1(VALU_DEP_2)
	v_lshrrev_b32_e32 v5, 16, v5
	v_and_b32_e32 v6, 0xffff0000, v6
	s_delay_alu instid0(VALU_DEP_2) | instskip(SKIP_1) | instid1(VALU_DEP_3)
	v_cndmask_b32_e32 v2, 0x7fc0, v5, vcc_lo
	v_cmp_o_f32_e32 vcc_lo, v3, v3
	v_cndmask_b32_e32 v3, 0x7fc00000, v6, vcc_lo
	s_branch .LBB174_488
.LBB174_484:
	s_mov_b32 s21, -1
                                        ; implicit-def: $vgpr3
                                        ; implicit-def: $vgpr2
	s_branch .LBB174_507
.LBB174_485:
	s_mov_b32 s21, -1
                                        ; implicit-def: $vgpr3
                                        ; implicit-def: $vgpr2
	s_branch .LBB174_494
.LBB174_486:
	s_mov_b32 s21, -1
                                        ; implicit-def: $vgpr3
                                        ; implicit-def: $vgpr2
	s_branch .LBB174_491
.LBB174_487:
	s_mov_b32 s21, -1
                                        ; implicit-def: $vgpr3
                                        ; implicit-def: $vgpr2
.LBB174_488:
	s_delay_alu instid0(SALU_CYCLE_1)
	s_and_not1_b32 vcc_lo, exec_lo, s21
	s_cbranch_vccnz .LBB174_490
; %bb.489:
	s_wait_loadcnt 0x0
	global_load_b64 v[2:3], v[0:1], off
	s_wait_loadcnt 0x0
	v_bfe_u32 v5, v2, 16, 1
	v_bfe_u32 v6, v3, 16, 1
	v_cmp_o_f32_e32 vcc_lo, v2, v2
	s_delay_alu instid0(VALU_DEP_3) | instskip(NEXT) | instid1(VALU_DEP_3)
	v_add3_u32 v5, v2, v5, 0x7fff
	v_add3_u32 v6, v3, v6, 0x7fff
	s_delay_alu instid0(VALU_DEP_2) | instskip(NEXT) | instid1(VALU_DEP_2)
	v_lshrrev_b32_e32 v5, 16, v5
	v_and_b32_e32 v6, 0xffff0000, v6
	s_delay_alu instid0(VALU_DEP_2) | instskip(SKIP_1) | instid1(VALU_DEP_3)
	v_cndmask_b32_e32 v2, 0x7fc0, v5, vcc_lo
	v_cmp_o_f32_e32 vcc_lo, v3, v3
	v_cndmask_b32_e32 v3, 0x7fc00000, v6, vcc_lo
.LBB174_490:
	s_mov_b32 s21, 0
.LBB174_491:
	s_delay_alu instid0(SALU_CYCLE_1)
	s_and_not1_b32 vcc_lo, exec_lo, s21
	s_cbranch_vccnz .LBB174_493
; %bb.492:
	s_wait_loadcnt 0x0
	global_load_b32 v2, v[0:1], off
	s_wait_loadcnt 0x0
	v_cvt_f32_f16_e32 v5, v2
	v_cmp_o_f16_e32 vcc_lo, v2, v2
	s_delay_alu instid0(VALU_DEP_2) | instskip(NEXT) | instid1(VALU_DEP_1)
	v_bfe_u32 v7, v5, 16, 1
	v_add3_u32 v5, v5, v7, 0x7fff
	s_delay_alu instid0(VALU_DEP_1) | instskip(NEXT) | instid1(VALU_DEP_1)
	v_dual_lshrrev_b32 v3, 16, v2 :: v_dual_lshrrev_b32 v5, 16, v5
	v_cvt_f32_f16_e32 v6, v3
	s_delay_alu instid0(VALU_DEP_2) | instskip(NEXT) | instid1(VALU_DEP_2)
	v_cndmask_b32_e32 v2, 0x7fc0, v5, vcc_lo
	v_bfe_u32 v8, v6, 16, 1
	v_cmp_o_f16_e32 vcc_lo, v3, v3
	s_delay_alu instid0(VALU_DEP_2) | instskip(NEXT) | instid1(VALU_DEP_1)
	v_add3_u32 v6, v6, v8, 0x7fff
	v_and_b32_e32 v6, 0xffff0000, v6
	s_delay_alu instid0(VALU_DEP_1)
	v_cndmask_b32_e32 v3, 0x7fc00000, v6, vcc_lo
.LBB174_493:
	s_mov_b32 s21, 0
.LBB174_494:
	s_delay_alu instid0(SALU_CYCLE_1)
	s_and_not1_b32 vcc_lo, exec_lo, s21
	s_cbranch_vccnz .LBB174_506
; %bb.495:
	s_cmp_lt_i32 s0, 6
	s_cbranch_scc1 .LBB174_498
; %bb.496:
	s_cmp_gt_i32 s0, 6
	s_cbranch_scc0 .LBB174_499
; %bb.497:
	s_wait_loadcnt 0x0
	global_load_b64 v[2:3], v[0:1], off
	s_mov_b32 s21, 0
	s_wait_loadcnt 0x0
	v_cvt_f32_f64_e32 v2, v[2:3]
	s_delay_alu instid0(VALU_DEP_1) | instskip(SKIP_1) | instid1(VALU_DEP_2)
	v_bfe_u32 v3, v2, 16, 1
	v_cmp_o_f32_e32 vcc_lo, v2, v2
	v_add3_u32 v3, v2, v3, 0x7fff
	s_delay_alu instid0(VALU_DEP_1) | instskip(NEXT) | instid1(VALU_DEP_1)
	v_lshrrev_b32_e32 v3, 16, v3
	v_cndmask_b32_e32 v2, 0x7fc0, v3, vcc_lo
	s_branch .LBB174_500
.LBB174_498:
	s_mov_b32 s21, -1
                                        ; implicit-def: $vgpr2
	s_branch .LBB174_503
.LBB174_499:
	s_mov_b32 s21, -1
                                        ; implicit-def: $vgpr2
.LBB174_500:
	s_delay_alu instid0(SALU_CYCLE_1)
	s_and_not1_b32 vcc_lo, exec_lo, s21
	s_cbranch_vccnz .LBB174_502
; %bb.501:
	s_wait_loadcnt 0x0
	global_load_b32 v2, v[0:1], off
	s_wait_loadcnt 0x0
	v_bfe_u32 v3, v2, 16, 1
	v_cmp_o_f32_e32 vcc_lo, v2, v2
	s_delay_alu instid0(VALU_DEP_2) | instskip(NEXT) | instid1(VALU_DEP_1)
	v_add3_u32 v3, v2, v3, 0x7fff
	v_lshrrev_b32_e32 v3, 16, v3
	s_delay_alu instid0(VALU_DEP_1)
	v_cndmask_b32_e32 v2, 0x7fc0, v3, vcc_lo
.LBB174_502:
	s_mov_b32 s21, 0
.LBB174_503:
	s_delay_alu instid0(SALU_CYCLE_1)
	s_and_not1_b32 vcc_lo, exec_lo, s21
	s_cbranch_vccnz .LBB174_505
; %bb.504:
	s_wait_loadcnt 0x0
	global_load_u16 v2, v[0:1], off
	s_wait_loadcnt 0x0
	v_cvt_f32_f16_e32 v3, v2
	v_cmp_o_f16_e32 vcc_lo, v2, v2
	s_delay_alu instid0(VALU_DEP_2) | instskip(NEXT) | instid1(VALU_DEP_1)
	v_bfe_u32 v5, v3, 16, 1
	v_add3_u32 v3, v3, v5, 0x7fff
	s_delay_alu instid0(VALU_DEP_1) | instskip(NEXT) | instid1(VALU_DEP_1)
	v_lshrrev_b32_e32 v3, 16, v3
	v_cndmask_b32_e32 v2, 0x7fc0, v3, vcc_lo
.LBB174_505:
	v_mov_b32_e32 v3, 0
.LBB174_506:
	s_mov_b32 s21, 0
.LBB174_507:
	s_delay_alu instid0(SALU_CYCLE_1)
	s_and_not1_b32 vcc_lo, exec_lo, s21
	s_cbranch_vccnz .LBB174_528
; %bb.508:
	s_cmp_lt_i32 s0, 2
	s_cbranch_scc1 .LBB174_512
; %bb.509:
	s_cmp_lt_i32 s0, 3
	s_cbranch_scc1 .LBB174_513
; %bb.510:
	s_cmp_gt_i32 s0, 3
	s_cbranch_scc0 .LBB174_514
; %bb.511:
	s_wait_loadcnt 0x0
	global_load_b64 v[2:3], v[0:1], off
	s_mov_b32 s21, 0
	s_wait_loadcnt 0x0
	v_xor_b32_e32 v5, v2, v3
	v_cls_i32_e32 v6, v3
	s_delay_alu instid0(VALU_DEP_2) | instskip(NEXT) | instid1(VALU_DEP_1)
	v_ashrrev_i32_e32 v5, 31, v5
	v_add_nc_u32_e32 v5, 32, v5
	s_delay_alu instid0(VALU_DEP_1) | instskip(NEXT) | instid1(VALU_DEP_1)
	v_add_min_u32_e64 v5, v6, -1, v5
	v_lshlrev_b64_e32 v[2:3], v5, v[2:3]
	s_delay_alu instid0(VALU_DEP_1) | instskip(NEXT) | instid1(VALU_DEP_1)
	v_min_u32_e32 v2, 1, v2
	v_dual_sub_nc_u32 v3, 32, v5 :: v_dual_bitop2_b32 v2, v3, v2 bitop3:0x54
	s_delay_alu instid0(VALU_DEP_1) | instskip(NEXT) | instid1(VALU_DEP_1)
	v_cvt_f32_i32_e32 v2, v2
	v_ldexp_f32 v2, v2, v3
	s_delay_alu instid0(VALU_DEP_1) | instskip(NEXT) | instid1(VALU_DEP_1)
	v_bfe_u32 v3, v2, 16, 1
	v_add3_u32 v2, v2, v3, 0x7fff
	s_delay_alu instid0(VALU_DEP_1)
	v_lshrrev_b32_e32 v2, 16, v2
	s_branch .LBB174_515
.LBB174_512:
	s_mov_b32 s21, -1
                                        ; implicit-def: $vgpr2
	s_branch .LBB174_521
.LBB174_513:
	s_mov_b32 s21, -1
                                        ; implicit-def: $vgpr2
	s_branch .LBB174_518
.LBB174_514:
	s_mov_b32 s21, -1
                                        ; implicit-def: $vgpr2
.LBB174_515:
	s_delay_alu instid0(SALU_CYCLE_1)
	s_and_not1_b32 vcc_lo, exec_lo, s21
	s_cbranch_vccnz .LBB174_517
; %bb.516:
	s_wait_loadcnt 0x0
	global_load_b32 v2, v[0:1], off
	s_wait_loadcnt 0x0
	v_cvt_f32_i32_e32 v2, v2
	s_delay_alu instid0(VALU_DEP_1) | instskip(NEXT) | instid1(VALU_DEP_1)
	v_bfe_u32 v3, v2, 16, 1
	v_add3_u32 v2, v2, v3, 0x7fff
	s_delay_alu instid0(VALU_DEP_1)
	v_lshrrev_b32_e32 v2, 16, v2
.LBB174_517:
	s_mov_b32 s21, 0
.LBB174_518:
	s_delay_alu instid0(SALU_CYCLE_1)
	s_and_not1_b32 vcc_lo, exec_lo, s21
	s_cbranch_vccnz .LBB174_520
; %bb.519:
	s_wait_loadcnt 0x0
	global_load_i16 v2, v[0:1], off
	s_wait_loadcnt 0x0
	v_cvt_f32_i32_e32 v2, v2
	s_delay_alu instid0(VALU_DEP_1) | instskip(NEXT) | instid1(VALU_DEP_1)
	v_bfe_u32 v3, v2, 16, 1
	v_add3_u32 v2, v2, v3, 0x7fff
	s_delay_alu instid0(VALU_DEP_1)
	v_lshrrev_b32_e32 v2, 16, v2
.LBB174_520:
	s_mov_b32 s21, 0
.LBB174_521:
	s_delay_alu instid0(SALU_CYCLE_1)
	s_and_not1_b32 vcc_lo, exec_lo, s21
	s_cbranch_vccnz .LBB174_527
; %bb.522:
	s_cmp_gt_i32 s0, 0
	s_mov_b32 s0, 0
	s_cbranch_scc0 .LBB174_524
; %bb.523:
	s_wait_loadcnt 0x0
	global_load_i8 v2, v[0:1], off
	s_wait_loadcnt 0x0
	v_cvt_f32_i32_e32 v2, v2
	s_delay_alu instid0(VALU_DEP_1) | instskip(NEXT) | instid1(VALU_DEP_1)
	v_bfe_u32 v3, v2, 16, 1
	v_add3_u32 v2, v2, v3, 0x7fff
	s_delay_alu instid0(VALU_DEP_1)
	v_lshrrev_b32_e32 v2, 16, v2
	s_branch .LBB174_525
.LBB174_524:
	s_mov_b32 s0, -1
                                        ; implicit-def: $vgpr2
.LBB174_525:
	s_delay_alu instid0(SALU_CYCLE_1)
	s_and_not1_b32 vcc_lo, exec_lo, s0
	s_cbranch_vccnz .LBB174_527
; %bb.526:
	global_load_u8 v0, v[0:1], off
	s_wait_loadcnt 0x0
	v_cvt_f32_ubyte0_e32 v0, v0
	s_delay_alu instid0(VALU_DEP_1) | instskip(NEXT) | instid1(VALU_DEP_1)
	v_bfe_u32 v1, v0, 16, 1
	v_add3_u32 v0, v0, v1, 0x7fff
	s_delay_alu instid0(VALU_DEP_1)
	v_lshrrev_b32_e32 v2, 16, v0
.LBB174_527:
	v_mov_b32_e32 v3, 0
.LBB174_528:
	s_branch .LBB174_274
.LBB174_529:
	s_mov_b32 s23, 0
	s_mov_b32 s0, s17
.LBB174_530:
                                        ; implicit-def: $vgpr4
.LBB174_531:
	s_and_not1_b32 s21, s17, exec_lo
	s_and_b32 s0, s0, exec_lo
	s_and_not1_b32 s24, s18, exec_lo
	s_and_b32 s20, s20, exec_lo
	s_or_b32 s21, s21, s0
	s_or_b32 s20, s24, s20
	s_or_not1_b32 s0, s23, exec_lo
.LBB174_532:
	s_wait_xcnt 0x0
	s_or_b32 exec_lo, exec_lo, s22
	s_mov_b32 s23, 0
	s_mov_b32 s24, 0
	;; [unrolled: 1-line block ×3, first 2 shown]
                                        ; implicit-def: $vgpr0_vgpr1
                                        ; implicit-def: $vgpr3
                                        ; implicit-def: $vgpr2
	s_and_saveexec_b32 s22, s0
	s_cbranch_execz .LBB174_892
; %bb.533:
	s_mov_b32 s25, -1
	s_mov_b32 s0, s20
	s_mov_b32 s24, s21
	s_mov_b32 s23, exec_lo
	v_cmpx_gt_i32_e64 s16, v4
	s_cbranch_execz .LBB174_803
; %bb.534:
	v_mul_lo_u32 v0, v4, s9
	s_and_b32 s0, 0xffff, s3
	s_delay_alu instid0(SALU_CYCLE_1) | instskip(NEXT) | instid1(VALU_DEP_1)
	s_cmp_lt_i32 s0, 11
	v_ashrrev_i32_e32 v1, 31, v0
	s_delay_alu instid0(VALU_DEP_1)
	v_add_nc_u64_e32 v[0:1], s[6:7], v[0:1]
	s_cbranch_scc1 .LBB174_541
; %bb.535:
	s_cmp_gt_i32 s0, 25
	s_cbranch_scc0 .LBB174_542
; %bb.536:
	s_cmp_gt_i32 s0, 28
	s_cbranch_scc0 .LBB174_543
	;; [unrolled: 3-line block ×4, first 2 shown]
; %bb.539:
	s_cmp_eq_u32 s0, 46
	s_mov_b32 s26, 0
	s_cbranch_scc0 .LBB174_550
; %bb.540:
	s_wait_loadcnt 0x0
	global_load_b32 v2, v[0:1], off
	s_mov_b32 s24, 0
	s_wait_loadcnt 0x0
	v_and_b32_e32 v3, 0xffff0000, v2
	s_branch .LBB174_552
.LBB174_541:
	s_mov_b32 s26, -1
	s_mov_b32 s25, 0
	s_mov_b32 s24, s20
                                        ; implicit-def: $vgpr3
                                        ; implicit-def: $vgpr2
	s_branch .LBB174_620
.LBB174_542:
	s_mov_b32 s26, -1
	s_mov_b32 s25, 0
	s_mov_b32 s24, s20
                                        ; implicit-def: $vgpr3
                                        ; implicit-def: $vgpr2
	s_branch .LBB174_583
.LBB174_543:
	s_mov_b32 s26, -1
	s_mov_b32 s25, 0
	s_mov_b32 s24, s20
                                        ; implicit-def: $vgpr3
                                        ; implicit-def: $vgpr2
	s_branch .LBB174_564
.LBB174_544:
	s_mov_b32 s26, -1
	s_mov_b32 s25, 0
	s_mov_b32 s24, s20
                                        ; implicit-def: $vgpr3
                                        ; implicit-def: $vgpr2
	s_branch .LBB174_558
.LBB174_545:
	s_and_not1_saveexec_b32 s27, s27
	s_cbranch_execz .LBB174_324
.LBB174_546:
	v_add_f32_e32 v2, 0x46000000, v3
	s_and_not1_b32 s26, s26, exec_lo
	s_delay_alu instid0(VALU_DEP_1) | instskip(NEXT) | instid1(VALU_DEP_1)
	v_and_b32_e32 v2, 0xff, v2
	v_cmp_ne_u32_e32 vcc_lo, 0, v2
	s_and_b32 s28, vcc_lo, exec_lo
	s_delay_alu instid0(SALU_CYCLE_1)
	s_or_b32 s26, s26, s28
	s_or_b32 exec_lo, exec_lo, s27
	v_mov_b32_e32 v5, 0
	s_and_saveexec_b32 s27, s26
	s_cbranch_execnz .LBB174_325
	s_branch .LBB174_326
.LBB174_547:
	s_mov_b32 s26, -1
	s_mov_b32 s25, 0
	s_mov_b32 s24, s20
	s_branch .LBB174_551
.LBB174_548:
	s_and_not1_saveexec_b32 s27, s27
	s_cbranch_execz .LBB174_337
.LBB174_549:
	v_add_f32_e32 v2, 0x42800000, v3
	s_and_not1_b32 s26, s26, exec_lo
	s_delay_alu instid0(VALU_DEP_1) | instskip(NEXT) | instid1(VALU_DEP_1)
	v_and_b32_e32 v2, 0xff, v2
	v_cmp_ne_u32_e32 vcc_lo, 0, v2
	s_and_b32 s28, vcc_lo, exec_lo
	s_delay_alu instid0(SALU_CYCLE_1)
	s_or_b32 s26, s26, s28
	s_or_b32 exec_lo, exec_lo, s27
	v_mov_b32_e32 v5, 0
	s_and_saveexec_b32 s27, s26
	s_cbranch_execnz .LBB174_338
	s_branch .LBB174_339
.LBB174_550:
	s_mov_b32 s24, -1
	s_mov_b32 s25, 0
.LBB174_551:
                                        ; implicit-def: $vgpr3
                                        ; implicit-def: $vgpr2
.LBB174_552:
	s_and_b32 vcc_lo, exec_lo, s26
	s_cbranch_vccz .LBB174_557
; %bb.553:
	s_cmp_eq_u32 s0, 44
	s_cbranch_scc0 .LBB174_555
; %bb.554:
	s_wait_loadcnt 0x0
	global_load_u8 v2, v[0:1], off
	s_mov_b32 s24, 0
	s_mov_b32 s25, -1
	s_wait_loadcnt 0x0
	v_lshlrev_b32_e32 v3, 23, v2
	v_cmp_ne_u32_e32 vcc_lo, 0xff, v2
	s_delay_alu instid0(VALU_DEP_2) | instskip(SKIP_1) | instid1(VALU_DEP_2)
	v_cndmask_b32_e32 v3, 0x7f800001, v3, vcc_lo
	v_cmp_ne_u32_e32 vcc_lo, 0, v2
	v_cndmask_b32_e32 v2, 0x400000, v3, vcc_lo
	s_delay_alu instid0(VALU_DEP_1) | instskip(NEXT) | instid1(VALU_DEP_1)
	v_add_nc_u32_e32 v3, 0x7fff, v2
	v_lshrrev_b32_e32 v3, 16, v3
	v_cmp_o_f32_e32 vcc_lo, v2, v2
	s_delay_alu instid0(VALU_DEP_2)
	v_cndmask_b32_e32 v2, 0x7fc0, v3, vcc_lo
	s_branch .LBB174_556
.LBB174_555:
	s_mov_b32 s24, -1
                                        ; implicit-def: $vgpr2
.LBB174_556:
	v_mov_b32_e32 v3, 0
.LBB174_557:
	s_mov_b32 s26, 0
.LBB174_558:
	s_delay_alu instid0(SALU_CYCLE_1)
	s_and_b32 vcc_lo, exec_lo, s26
	s_cbranch_vccz .LBB174_563
; %bb.559:
	s_cmp_eq_u32 s0, 29
	s_cbranch_scc0 .LBB174_561
; %bb.560:
	s_wait_loadcnt 0x0
	global_load_b64 v[2:3], v[0:1], off
	s_mov_b32 s25, -1
	s_mov_b32 s24, 0
	s_wait_loadcnt 0x0
	v_clz_i32_u32_e32 v5, v3
	s_delay_alu instid0(VALU_DEP_1) | instskip(NEXT) | instid1(VALU_DEP_1)
	v_min_u32_e32 v5, 32, v5
	v_lshlrev_b64_e32 v[2:3], v5, v[2:3]
	s_delay_alu instid0(VALU_DEP_1) | instskip(NEXT) | instid1(VALU_DEP_1)
	v_min_u32_e32 v2, 1, v2
	v_dual_sub_nc_u32 v3, 32, v5 :: v_dual_bitop2_b32 v2, v3, v2 bitop3:0x54
	s_delay_alu instid0(VALU_DEP_1) | instskip(NEXT) | instid1(VALU_DEP_1)
	v_cvt_f32_u32_e32 v2, v2
	v_ldexp_f32 v2, v2, v3
	s_delay_alu instid0(VALU_DEP_1) | instskip(NEXT) | instid1(VALU_DEP_1)
	v_bfe_u32 v3, v2, 16, 1
	v_add3_u32 v2, v2, v3, 0x7fff
	s_delay_alu instid0(VALU_DEP_1)
	v_lshrrev_b32_e32 v2, 16, v2
	s_branch .LBB174_562
.LBB174_561:
	s_mov_b32 s24, -1
                                        ; implicit-def: $vgpr2
.LBB174_562:
	v_mov_b32_e32 v3, 0
.LBB174_563:
	s_mov_b32 s26, 0
.LBB174_564:
	s_delay_alu instid0(SALU_CYCLE_1)
	s_and_b32 vcc_lo, exec_lo, s26
	s_cbranch_vccz .LBB174_582
; %bb.565:
	s_cmp_lt_i32 s0, 27
	s_cbranch_scc1 .LBB174_568
; %bb.566:
	s_cmp_gt_i32 s0, 27
	s_cbranch_scc0 .LBB174_569
; %bb.567:
	s_wait_loadcnt 0x0
	global_load_b32 v2, v[0:1], off
	s_mov_b32 s25, 0
	s_wait_loadcnt 0x0
	v_cvt_f32_u32_e32 v2, v2
	s_delay_alu instid0(VALU_DEP_1) | instskip(NEXT) | instid1(VALU_DEP_1)
	v_bfe_u32 v3, v2, 16, 1
	v_add3_u32 v2, v2, v3, 0x7fff
	s_delay_alu instid0(VALU_DEP_1)
	v_lshrrev_b32_e32 v2, 16, v2
	s_branch .LBB174_570
.LBB174_568:
	s_mov_b32 s25, -1
                                        ; implicit-def: $vgpr2
	s_branch .LBB174_573
.LBB174_569:
	s_mov_b32 s25, -1
                                        ; implicit-def: $vgpr2
.LBB174_570:
	s_delay_alu instid0(SALU_CYCLE_1)
	s_and_not1_b32 vcc_lo, exec_lo, s25
	s_cbranch_vccnz .LBB174_572
; %bb.571:
	s_wait_loadcnt 0x0
	global_load_u16 v2, v[0:1], off
	s_wait_loadcnt 0x0
	v_cvt_f32_u32_e32 v2, v2
	s_delay_alu instid0(VALU_DEP_1) | instskip(NEXT) | instid1(VALU_DEP_1)
	v_bfe_u32 v3, v2, 16, 1
	v_add3_u32 v2, v2, v3, 0x7fff
	s_delay_alu instid0(VALU_DEP_1)
	v_lshrrev_b32_e32 v2, 16, v2
.LBB174_572:
	s_mov_b32 s25, 0
.LBB174_573:
	s_delay_alu instid0(SALU_CYCLE_1)
	s_and_not1_b32 vcc_lo, exec_lo, s25
	s_cbranch_vccnz .LBB174_581
; %bb.574:
	s_wait_loadcnt 0x0
	global_load_u8 v2, v[0:1], off
	s_mov_b32 s25, 0
	s_mov_b32 s26, exec_lo
	s_wait_loadcnt 0x0
	v_cmpx_lt_i16_e32 0x7f, v2
	s_xor_b32 s26, exec_lo, s26
	s_cbranch_execz .LBB174_595
; %bb.575:
	s_mov_b32 s25, -1
	s_mov_b32 s27, exec_lo
	v_cmpx_eq_u16_e32 0x80, v2
; %bb.576:
	s_xor_b32 s25, exec_lo, -1
; %bb.577:
	s_or_b32 exec_lo, exec_lo, s27
	s_delay_alu instid0(SALU_CYCLE_1)
	s_and_b32 s25, s25, exec_lo
	s_or_saveexec_b32 s26, s26
	v_mov_b32_e32 v3, 0x7f800001
	s_xor_b32 exec_lo, exec_lo, s26
	s_cbranch_execnz .LBB174_596
.LBB174_578:
	s_or_b32 exec_lo, exec_lo, s26
	s_and_saveexec_b32 s26, s25
	s_cbranch_execz .LBB174_580
.LBB174_579:
	v_and_b32_e32 v3, 0xffff, v2
	s_delay_alu instid0(VALU_DEP_1) | instskip(SKIP_1) | instid1(VALU_DEP_2)
	v_and_b32_e32 v5, 7, v3
	v_bfe_u32 v8, v3, 3, 4
	v_clz_i32_u32_e32 v6, v5
	s_delay_alu instid0(VALU_DEP_2) | instskip(NEXT) | instid1(VALU_DEP_2)
	v_cmp_eq_u32_e32 vcc_lo, 0, v8
	v_min_u32_e32 v6, 32, v6
	s_delay_alu instid0(VALU_DEP_1) | instskip(NEXT) | instid1(VALU_DEP_1)
	v_subrev_nc_u32_e32 v7, 28, v6
	v_dual_lshlrev_b32 v3, v7, v3 :: v_dual_sub_nc_u32 v6, 29, v6
	s_delay_alu instid0(VALU_DEP_1) | instskip(NEXT) | instid1(VALU_DEP_1)
	v_dual_lshlrev_b32 v2, 24, v2 :: v_dual_bitop2_b32 v3, 7, v3 bitop3:0x40
	v_dual_cndmask_b32 v3, v5, v3 :: v_dual_cndmask_b32 v6, v8, v6
	s_delay_alu instid0(VALU_DEP_2) | instskip(NEXT) | instid1(VALU_DEP_2)
	v_and_b32_e32 v2, 0x80000000, v2
	v_lshlrev_b32_e32 v3, 20, v3
	s_delay_alu instid0(VALU_DEP_3) | instskip(NEXT) | instid1(VALU_DEP_1)
	v_lshl_add_u32 v5, v6, 23, 0x3b800000
	v_or3_b32 v3, v2, v5, v3
.LBB174_580:
	s_or_b32 exec_lo, exec_lo, s26
	s_delay_alu instid0(VALU_DEP_1) | instskip(SKIP_1) | instid1(VALU_DEP_2)
	v_bfe_u32 v2, v3, 16, 1
	v_cmp_o_f32_e32 vcc_lo, v3, v3
	v_add3_u32 v2, v3, v2, 0x7fff
	s_delay_alu instid0(VALU_DEP_1) | instskip(NEXT) | instid1(VALU_DEP_1)
	v_lshrrev_b32_e32 v2, 16, v2
	v_cndmask_b32_e32 v2, 0x7fc0, v2, vcc_lo
.LBB174_581:
	v_mov_b32_e32 v3, 0
	s_mov_b32 s25, -1
.LBB174_582:
	s_mov_b32 s26, 0
.LBB174_583:
	s_delay_alu instid0(SALU_CYCLE_1)
	s_and_b32 vcc_lo, exec_lo, s26
	s_cbranch_vccz .LBB174_619
; %bb.584:
	s_cmp_gt_i32 s0, 22
	s_cbranch_scc0 .LBB174_594
; %bb.585:
	s_cmp_lt_i32 s0, 24
	s_cbranch_scc1 .LBB174_597
; %bb.586:
	s_cmp_gt_i32 s0, 24
	s_cbranch_scc0 .LBB174_598
; %bb.587:
	s_wait_loadcnt 0x0
	global_load_u8 v2, v[0:1], off
	s_mov_b32 s25, 0
	s_mov_b32 s26, exec_lo
	s_wait_loadcnt 0x0
	v_cmpx_lt_i16_e32 0x7f, v2
	s_xor_b32 s26, exec_lo, s26
	s_cbranch_execz .LBB174_610
; %bb.588:
	s_mov_b32 s25, -1
	s_mov_b32 s27, exec_lo
	v_cmpx_eq_u16_e32 0x80, v2
; %bb.589:
	s_xor_b32 s25, exec_lo, -1
; %bb.590:
	s_or_b32 exec_lo, exec_lo, s27
	s_delay_alu instid0(SALU_CYCLE_1)
	s_and_b32 s25, s25, exec_lo
	s_or_saveexec_b32 s26, s26
	v_mov_b32_e32 v3, 0x7f800001
	s_xor_b32 exec_lo, exec_lo, s26
	s_cbranch_execnz .LBB174_611
.LBB174_591:
	s_or_b32 exec_lo, exec_lo, s26
	s_and_saveexec_b32 s26, s25
	s_cbranch_execz .LBB174_593
.LBB174_592:
	v_and_b32_e32 v3, 0xffff, v2
	s_delay_alu instid0(VALU_DEP_1) | instskip(SKIP_1) | instid1(VALU_DEP_2)
	v_and_b32_e32 v5, 3, v3
	v_bfe_u32 v8, v3, 2, 5
	v_clz_i32_u32_e32 v6, v5
	s_delay_alu instid0(VALU_DEP_2) | instskip(NEXT) | instid1(VALU_DEP_2)
	v_cmp_eq_u32_e32 vcc_lo, 0, v8
	v_min_u32_e32 v6, 32, v6
	s_delay_alu instid0(VALU_DEP_1) | instskip(NEXT) | instid1(VALU_DEP_1)
	v_subrev_nc_u32_e32 v7, 29, v6
	v_dual_lshlrev_b32 v3, v7, v3 :: v_dual_sub_nc_u32 v6, 30, v6
	s_delay_alu instid0(VALU_DEP_1) | instskip(NEXT) | instid1(VALU_DEP_1)
	v_dual_lshlrev_b32 v2, 24, v2 :: v_dual_bitop2_b32 v3, 3, v3 bitop3:0x40
	v_dual_cndmask_b32 v3, v5, v3 :: v_dual_cndmask_b32 v6, v8, v6
	s_delay_alu instid0(VALU_DEP_2) | instskip(NEXT) | instid1(VALU_DEP_2)
	v_and_b32_e32 v2, 0x80000000, v2
	v_lshlrev_b32_e32 v3, 21, v3
	s_delay_alu instid0(VALU_DEP_3) | instskip(NEXT) | instid1(VALU_DEP_1)
	v_lshl_add_u32 v5, v6, 23, 0x37800000
	v_or3_b32 v3, v2, v5, v3
.LBB174_593:
	s_or_b32 exec_lo, exec_lo, s26
	s_delay_alu instid0(VALU_DEP_1) | instskip(SKIP_2) | instid1(VALU_DEP_2)
	v_bfe_u32 v2, v3, 16, 1
	v_cmp_o_f32_e32 vcc_lo, v3, v3
	s_mov_b32 s25, 0
	v_add3_u32 v2, v3, v2, 0x7fff
	s_delay_alu instid0(VALU_DEP_1) | instskip(NEXT) | instid1(VALU_DEP_1)
	v_lshrrev_b32_e32 v2, 16, v2
	v_cndmask_b32_e32 v2, 0x7fc0, v2, vcc_lo
	s_branch .LBB174_599
.LBB174_594:
	s_mov_b32 s26, -1
                                        ; implicit-def: $vgpr2
	s_branch .LBB174_605
.LBB174_595:
	s_or_saveexec_b32 s26, s26
	v_mov_b32_e32 v3, 0x7f800001
	s_xor_b32 exec_lo, exec_lo, s26
	s_cbranch_execz .LBB174_578
.LBB174_596:
	v_cmp_ne_u16_e32 vcc_lo, 0, v2
	v_mov_b32_e32 v3, 0
	s_and_not1_b32 s25, s25, exec_lo
	s_and_b32 s27, vcc_lo, exec_lo
	s_delay_alu instid0(SALU_CYCLE_1)
	s_or_b32 s25, s25, s27
	s_or_b32 exec_lo, exec_lo, s26
	s_and_saveexec_b32 s26, s25
	s_cbranch_execnz .LBB174_579
	s_branch .LBB174_580
.LBB174_597:
	s_mov_b32 s25, -1
                                        ; implicit-def: $vgpr2
	s_branch .LBB174_602
.LBB174_598:
	s_mov_b32 s25, -1
                                        ; implicit-def: $vgpr2
.LBB174_599:
	s_delay_alu instid0(SALU_CYCLE_1)
	s_and_b32 vcc_lo, exec_lo, s25
	s_cbranch_vccz .LBB174_601
; %bb.600:
	s_wait_loadcnt 0x0
	global_load_u8 v2, v[0:1], off
	s_wait_loadcnt 0x0
	v_lshlrev_b32_e32 v2, 24, v2
	s_delay_alu instid0(VALU_DEP_1) | instskip(NEXT) | instid1(VALU_DEP_1)
	v_and_b32_e32 v3, 0x7f000000, v2
	v_clz_i32_u32_e32 v5, v3
	v_add_nc_u32_e32 v7, 0x1000000, v3
	v_cmp_ne_u32_e32 vcc_lo, 0, v3
	s_delay_alu instid0(VALU_DEP_3) | instskip(NEXT) | instid1(VALU_DEP_1)
	v_min_u32_e32 v5, 32, v5
	v_sub_nc_u32_e64 v5, v5, 4 clamp
	s_delay_alu instid0(VALU_DEP_1) | instskip(NEXT) | instid1(VALU_DEP_1)
	v_dual_lshlrev_b32 v6, v5, v3 :: v_dual_lshlrev_b32 v5, 23, v5
	v_lshrrev_b32_e32 v6, 4, v6
	s_delay_alu instid0(VALU_DEP_1) | instskip(NEXT) | instid1(VALU_DEP_1)
	v_dual_sub_nc_u32 v5, v6, v5 :: v_dual_ashrrev_i32 v6, 8, v7
	v_add_nc_u32_e32 v5, 0x3c000000, v5
	s_delay_alu instid0(VALU_DEP_1) | instskip(NEXT) | instid1(VALU_DEP_1)
	v_and_or_b32 v5, 0x7f800000, v6, v5
	v_cndmask_b32_e32 v3, 0, v5, vcc_lo
	s_delay_alu instid0(VALU_DEP_1) | instskip(SKIP_1) | instid1(VALU_DEP_2)
	v_and_or_b32 v2, 0x80000000, v2, v3
	v_bfe_u32 v3, v3, 16, 1
	v_cmp_o_f32_e32 vcc_lo, v2, v2
	s_delay_alu instid0(VALU_DEP_2) | instskip(NEXT) | instid1(VALU_DEP_1)
	v_add3_u32 v3, v2, v3, 0x7fff
	v_lshrrev_b32_e32 v3, 16, v3
	s_delay_alu instid0(VALU_DEP_1)
	v_cndmask_b32_e32 v2, 0x7fc0, v3, vcc_lo
.LBB174_601:
	s_mov_b32 s25, 0
.LBB174_602:
	s_delay_alu instid0(SALU_CYCLE_1)
	s_and_not1_b32 vcc_lo, exec_lo, s25
	s_cbranch_vccnz .LBB174_604
; %bb.603:
	s_wait_loadcnt 0x0
	global_load_u8 v2, v[0:1], off
	s_wait_loadcnt 0x0
	v_lshlrev_b32_e32 v3, 25, v2
	v_lshlrev_b16 v2, 8, v2
	s_delay_alu instid0(VALU_DEP_2) | instskip(NEXT) | instid1(VALU_DEP_2)
	v_cmp_gt_u32_e32 vcc_lo, 0x8000000, v3
	v_and_or_b32 v6, 0x7f00, v2, 0.5
	v_lshrrev_b32_e32 v5, 4, v3
	v_bfe_i32 v2, v2, 0, 16
	s_delay_alu instid0(VALU_DEP_3) | instskip(NEXT) | instid1(VALU_DEP_3)
	v_add_f32_e32 v6, -0.5, v6
	v_or_b32_e32 v5, 0x70000000, v5
	s_delay_alu instid0(VALU_DEP_1) | instskip(NEXT) | instid1(VALU_DEP_1)
	v_mul_f32_e32 v5, 0x7800000, v5
	v_cndmask_b32_e32 v3, v5, v6, vcc_lo
	s_delay_alu instid0(VALU_DEP_1) | instskip(SKIP_1) | instid1(VALU_DEP_2)
	v_and_or_b32 v2, 0x80000000, v2, v3
	v_bfe_u32 v3, v3, 16, 1
	v_cmp_o_f32_e32 vcc_lo, v2, v2
	s_delay_alu instid0(VALU_DEP_2) | instskip(NEXT) | instid1(VALU_DEP_1)
	v_add3_u32 v3, v2, v3, 0x7fff
	v_lshrrev_b32_e32 v3, 16, v3
	s_delay_alu instid0(VALU_DEP_1)
	v_cndmask_b32_e32 v2, 0x7fc0, v3, vcc_lo
.LBB174_604:
	s_mov_b32 s26, 0
	s_mov_b32 s25, -1
.LBB174_605:
	s_and_not1_b32 vcc_lo, exec_lo, s26
	s_cbranch_vccnz .LBB174_618
; %bb.606:
	s_cmp_gt_i32 s0, 14
	s_cbranch_scc0 .LBB174_609
; %bb.607:
	s_cmp_eq_u32 s0, 15
	s_cbranch_scc0 .LBB174_612
; %bb.608:
	s_wait_loadcnt 0x0
	global_load_u16 v2, v[0:1], off
	s_mov_b32 s25, -1
	s_mov_b32 s24, 0
	s_branch .LBB174_613
.LBB174_609:
	s_mov_b32 s26, -1
                                        ; implicit-def: $vgpr2
	s_branch .LBB174_614
.LBB174_610:
	s_or_saveexec_b32 s26, s26
	v_mov_b32_e32 v3, 0x7f800001
	s_xor_b32 exec_lo, exec_lo, s26
	s_cbranch_execz .LBB174_591
.LBB174_611:
	v_cmp_ne_u16_e32 vcc_lo, 0, v2
	v_mov_b32_e32 v3, 0
	s_and_not1_b32 s25, s25, exec_lo
	s_and_b32 s27, vcc_lo, exec_lo
	s_delay_alu instid0(SALU_CYCLE_1)
	s_or_b32 s25, s25, s27
	s_or_b32 exec_lo, exec_lo, s26
	s_and_saveexec_b32 s26, s25
	s_cbranch_execnz .LBB174_592
	s_branch .LBB174_593
.LBB174_612:
	s_mov_b32 s24, -1
                                        ; implicit-def: $vgpr2
.LBB174_613:
	s_mov_b32 s26, 0
.LBB174_614:
	s_delay_alu instid0(SALU_CYCLE_1)
	s_and_b32 vcc_lo, exec_lo, s26
	s_cbranch_vccz .LBB174_618
; %bb.615:
	s_cmp_eq_u32 s0, 11
	s_cbranch_scc0 .LBB174_617
; %bb.616:
	s_wait_loadcnt 0x0
	global_load_u8 v2, v[0:1], off
	s_mov_b32 s24, 0
	s_mov_b32 s25, -1
	v_mov_b32_e32 v3, 0
	s_wait_loadcnt 0x0
	v_cmp_ne_u16_e32 vcc_lo, 0, v2
	v_cndmask_b32_e64 v2, 0, 1.0, vcc_lo
	s_delay_alu instid0(VALU_DEP_1)
	v_lshrrev_b32_e32 v2, 16, v2
	s_branch .LBB174_619
.LBB174_617:
	s_mov_b32 s24, -1
                                        ; implicit-def: $vgpr2
.LBB174_618:
	v_mov_b32_e32 v3, 0
.LBB174_619:
	s_mov_b32 s26, 0
.LBB174_620:
	s_delay_alu instid0(SALU_CYCLE_1)
	s_and_b32 vcc_lo, exec_lo, s26
	s_cbranch_vccz .LBB174_671
; %bb.621:
	s_cmp_lt_i32 s0, 5
	s_cbranch_scc1 .LBB174_626
; %bb.622:
	s_cmp_lt_i32 s0, 8
	s_cbranch_scc1 .LBB174_627
	;; [unrolled: 3-line block ×3, first 2 shown]
; %bb.624:
	s_cmp_gt_i32 s0, 9
	s_cbranch_scc0 .LBB174_629
; %bb.625:
	global_load_b128 v[6:9], v[0:1], off
	s_mov_b32 s25, 0
	s_wait_loadcnt 0x0
	v_cvt_f32_f64_e32 v2, v[6:7]
	v_cvt_f32_f64_e32 v3, v[8:9]
	s_delay_alu instid0(VALU_DEP_2) | instskip(NEXT) | instid1(VALU_DEP_2)
	v_bfe_u32 v5, v2, 16, 1
	v_bfe_u32 v6, v3, 16, 1
	v_cmp_o_f32_e32 vcc_lo, v2, v2
	s_delay_alu instid0(VALU_DEP_3) | instskip(NEXT) | instid1(VALU_DEP_3)
	v_add3_u32 v5, v2, v5, 0x7fff
	v_add3_u32 v6, v3, v6, 0x7fff
	s_delay_alu instid0(VALU_DEP_2) | instskip(NEXT) | instid1(VALU_DEP_2)
	v_lshrrev_b32_e32 v5, 16, v5
	v_and_b32_e32 v6, 0xffff0000, v6
	s_delay_alu instid0(VALU_DEP_2) | instskip(SKIP_1) | instid1(VALU_DEP_3)
	v_cndmask_b32_e32 v2, 0x7fc0, v5, vcc_lo
	v_cmp_o_f32_e32 vcc_lo, v3, v3
	v_cndmask_b32_e32 v3, 0x7fc00000, v6, vcc_lo
	s_branch .LBB174_630
.LBB174_626:
	s_mov_b32 s25, -1
                                        ; implicit-def: $vgpr3
                                        ; implicit-def: $vgpr2
	s_branch .LBB174_649
.LBB174_627:
	s_mov_b32 s25, -1
                                        ; implicit-def: $vgpr3
                                        ; implicit-def: $vgpr2
	s_branch .LBB174_636
.LBB174_628:
	s_mov_b32 s25, -1
                                        ; implicit-def: $vgpr3
                                        ; implicit-def: $vgpr2
	s_branch .LBB174_633
.LBB174_629:
	s_mov_b32 s25, -1
                                        ; implicit-def: $vgpr3
                                        ; implicit-def: $vgpr2
.LBB174_630:
	s_delay_alu instid0(SALU_CYCLE_1)
	s_and_not1_b32 vcc_lo, exec_lo, s25
	s_cbranch_vccnz .LBB174_632
; %bb.631:
	s_wait_loadcnt 0x0
	global_load_b64 v[2:3], v[0:1], off
	s_wait_loadcnt 0x0
	v_bfe_u32 v5, v2, 16, 1
	v_bfe_u32 v6, v3, 16, 1
	v_cmp_o_f32_e32 vcc_lo, v2, v2
	s_delay_alu instid0(VALU_DEP_3) | instskip(NEXT) | instid1(VALU_DEP_3)
	v_add3_u32 v5, v2, v5, 0x7fff
	v_add3_u32 v6, v3, v6, 0x7fff
	s_delay_alu instid0(VALU_DEP_2) | instskip(NEXT) | instid1(VALU_DEP_2)
	v_lshrrev_b32_e32 v5, 16, v5
	v_and_b32_e32 v6, 0xffff0000, v6
	s_delay_alu instid0(VALU_DEP_2) | instskip(SKIP_1) | instid1(VALU_DEP_3)
	v_cndmask_b32_e32 v2, 0x7fc0, v5, vcc_lo
	v_cmp_o_f32_e32 vcc_lo, v3, v3
	v_cndmask_b32_e32 v3, 0x7fc00000, v6, vcc_lo
.LBB174_632:
	s_mov_b32 s25, 0
.LBB174_633:
	s_delay_alu instid0(SALU_CYCLE_1)
	s_and_not1_b32 vcc_lo, exec_lo, s25
	s_cbranch_vccnz .LBB174_635
; %bb.634:
	s_wait_loadcnt 0x0
	global_load_b32 v2, v[0:1], off
	s_wait_loadcnt 0x0
	v_cvt_f32_f16_e32 v5, v2
	v_cmp_o_f16_e32 vcc_lo, v2, v2
	s_delay_alu instid0(VALU_DEP_2) | instskip(NEXT) | instid1(VALU_DEP_1)
	v_bfe_u32 v7, v5, 16, 1
	v_add3_u32 v5, v5, v7, 0x7fff
	s_delay_alu instid0(VALU_DEP_1) | instskip(NEXT) | instid1(VALU_DEP_1)
	v_dual_lshrrev_b32 v3, 16, v2 :: v_dual_lshrrev_b32 v5, 16, v5
	v_cvt_f32_f16_e32 v6, v3
	s_delay_alu instid0(VALU_DEP_2) | instskip(NEXT) | instid1(VALU_DEP_2)
	v_cndmask_b32_e32 v2, 0x7fc0, v5, vcc_lo
	v_bfe_u32 v8, v6, 16, 1
	v_cmp_o_f16_e32 vcc_lo, v3, v3
	s_delay_alu instid0(VALU_DEP_2) | instskip(NEXT) | instid1(VALU_DEP_1)
	v_add3_u32 v6, v6, v8, 0x7fff
	v_and_b32_e32 v6, 0xffff0000, v6
	s_delay_alu instid0(VALU_DEP_1)
	v_cndmask_b32_e32 v3, 0x7fc00000, v6, vcc_lo
.LBB174_635:
	s_mov_b32 s25, 0
.LBB174_636:
	s_delay_alu instid0(SALU_CYCLE_1)
	s_and_not1_b32 vcc_lo, exec_lo, s25
	s_cbranch_vccnz .LBB174_648
; %bb.637:
	s_cmp_lt_i32 s0, 6
	s_cbranch_scc1 .LBB174_640
; %bb.638:
	s_cmp_gt_i32 s0, 6
	s_cbranch_scc0 .LBB174_641
; %bb.639:
	s_wait_loadcnt 0x0
	global_load_b64 v[2:3], v[0:1], off
	s_mov_b32 s25, 0
	s_wait_loadcnt 0x0
	v_cvt_f32_f64_e32 v2, v[2:3]
	s_delay_alu instid0(VALU_DEP_1) | instskip(SKIP_1) | instid1(VALU_DEP_2)
	v_bfe_u32 v3, v2, 16, 1
	v_cmp_o_f32_e32 vcc_lo, v2, v2
	v_add3_u32 v3, v2, v3, 0x7fff
	s_delay_alu instid0(VALU_DEP_1) | instskip(NEXT) | instid1(VALU_DEP_1)
	v_lshrrev_b32_e32 v3, 16, v3
	v_cndmask_b32_e32 v2, 0x7fc0, v3, vcc_lo
	s_branch .LBB174_642
.LBB174_640:
	s_mov_b32 s25, -1
                                        ; implicit-def: $vgpr2
	s_branch .LBB174_645
.LBB174_641:
	s_mov_b32 s25, -1
                                        ; implicit-def: $vgpr2
.LBB174_642:
	s_delay_alu instid0(SALU_CYCLE_1)
	s_and_not1_b32 vcc_lo, exec_lo, s25
	s_cbranch_vccnz .LBB174_644
; %bb.643:
	s_wait_loadcnt 0x0
	global_load_b32 v2, v[0:1], off
	s_wait_loadcnt 0x0
	v_bfe_u32 v3, v2, 16, 1
	v_cmp_o_f32_e32 vcc_lo, v2, v2
	s_delay_alu instid0(VALU_DEP_2) | instskip(NEXT) | instid1(VALU_DEP_1)
	v_add3_u32 v3, v2, v3, 0x7fff
	v_lshrrev_b32_e32 v3, 16, v3
	s_delay_alu instid0(VALU_DEP_1)
	v_cndmask_b32_e32 v2, 0x7fc0, v3, vcc_lo
.LBB174_644:
	s_mov_b32 s25, 0
.LBB174_645:
	s_delay_alu instid0(SALU_CYCLE_1)
	s_and_not1_b32 vcc_lo, exec_lo, s25
	s_cbranch_vccnz .LBB174_647
; %bb.646:
	s_wait_loadcnt 0x0
	global_load_u16 v2, v[0:1], off
	s_wait_loadcnt 0x0
	v_cvt_f32_f16_e32 v3, v2
	v_cmp_o_f16_e32 vcc_lo, v2, v2
	s_delay_alu instid0(VALU_DEP_2) | instskip(NEXT) | instid1(VALU_DEP_1)
	v_bfe_u32 v5, v3, 16, 1
	v_add3_u32 v3, v3, v5, 0x7fff
	s_delay_alu instid0(VALU_DEP_1) | instskip(NEXT) | instid1(VALU_DEP_1)
	v_lshrrev_b32_e32 v3, 16, v3
	v_cndmask_b32_e32 v2, 0x7fc0, v3, vcc_lo
.LBB174_647:
	v_mov_b32_e32 v3, 0
.LBB174_648:
	s_mov_b32 s25, 0
.LBB174_649:
	s_delay_alu instid0(SALU_CYCLE_1)
	s_and_not1_b32 vcc_lo, exec_lo, s25
	s_cbranch_vccnz .LBB174_670
; %bb.650:
	s_cmp_lt_i32 s0, 2
	s_cbranch_scc1 .LBB174_654
; %bb.651:
	s_cmp_lt_i32 s0, 3
	s_cbranch_scc1 .LBB174_655
; %bb.652:
	s_cmp_gt_i32 s0, 3
	s_cbranch_scc0 .LBB174_656
; %bb.653:
	s_wait_loadcnt 0x0
	global_load_b64 v[2:3], v[0:1], off
	s_mov_b32 s25, 0
	s_wait_loadcnt 0x0
	v_xor_b32_e32 v5, v2, v3
	v_cls_i32_e32 v6, v3
	s_delay_alu instid0(VALU_DEP_2) | instskip(NEXT) | instid1(VALU_DEP_1)
	v_ashrrev_i32_e32 v5, 31, v5
	v_add_nc_u32_e32 v5, 32, v5
	s_delay_alu instid0(VALU_DEP_1) | instskip(NEXT) | instid1(VALU_DEP_1)
	v_add_min_u32_e64 v5, v6, -1, v5
	v_lshlrev_b64_e32 v[2:3], v5, v[2:3]
	s_delay_alu instid0(VALU_DEP_1) | instskip(NEXT) | instid1(VALU_DEP_1)
	v_min_u32_e32 v2, 1, v2
	v_dual_sub_nc_u32 v3, 32, v5 :: v_dual_bitop2_b32 v2, v3, v2 bitop3:0x54
	s_delay_alu instid0(VALU_DEP_1) | instskip(NEXT) | instid1(VALU_DEP_1)
	v_cvt_f32_i32_e32 v2, v2
	v_ldexp_f32 v2, v2, v3
	s_delay_alu instid0(VALU_DEP_1) | instskip(NEXT) | instid1(VALU_DEP_1)
	v_bfe_u32 v3, v2, 16, 1
	v_add3_u32 v2, v2, v3, 0x7fff
	s_delay_alu instid0(VALU_DEP_1)
	v_lshrrev_b32_e32 v2, 16, v2
	s_branch .LBB174_657
.LBB174_654:
	s_mov_b32 s25, -1
                                        ; implicit-def: $vgpr2
	s_branch .LBB174_663
.LBB174_655:
	s_mov_b32 s25, -1
                                        ; implicit-def: $vgpr2
	s_branch .LBB174_660
.LBB174_656:
	s_mov_b32 s25, -1
                                        ; implicit-def: $vgpr2
.LBB174_657:
	s_delay_alu instid0(SALU_CYCLE_1)
	s_and_not1_b32 vcc_lo, exec_lo, s25
	s_cbranch_vccnz .LBB174_659
; %bb.658:
	s_wait_loadcnt 0x0
	global_load_b32 v2, v[0:1], off
	s_wait_loadcnt 0x0
	v_cvt_f32_i32_e32 v2, v2
	s_delay_alu instid0(VALU_DEP_1) | instskip(NEXT) | instid1(VALU_DEP_1)
	v_bfe_u32 v3, v2, 16, 1
	v_add3_u32 v2, v2, v3, 0x7fff
	s_delay_alu instid0(VALU_DEP_1)
	v_lshrrev_b32_e32 v2, 16, v2
.LBB174_659:
	s_mov_b32 s25, 0
.LBB174_660:
	s_delay_alu instid0(SALU_CYCLE_1)
	s_and_not1_b32 vcc_lo, exec_lo, s25
	s_cbranch_vccnz .LBB174_662
; %bb.661:
	s_wait_loadcnt 0x0
	global_load_i16 v2, v[0:1], off
	s_wait_loadcnt 0x0
	v_cvt_f32_i32_e32 v2, v2
	s_delay_alu instid0(VALU_DEP_1) | instskip(NEXT) | instid1(VALU_DEP_1)
	v_bfe_u32 v3, v2, 16, 1
	v_add3_u32 v2, v2, v3, 0x7fff
	s_delay_alu instid0(VALU_DEP_1)
	v_lshrrev_b32_e32 v2, 16, v2
.LBB174_662:
	s_mov_b32 s25, 0
.LBB174_663:
	s_delay_alu instid0(SALU_CYCLE_1)
	s_and_not1_b32 vcc_lo, exec_lo, s25
	s_cbranch_vccnz .LBB174_669
; %bb.664:
	s_cmp_gt_i32 s0, 0
	s_mov_b32 s0, 0
	s_cbranch_scc0 .LBB174_666
; %bb.665:
	s_wait_loadcnt 0x0
	global_load_i8 v2, v[0:1], off
	s_wait_loadcnt 0x0
	v_cvt_f32_i32_e32 v2, v2
	s_delay_alu instid0(VALU_DEP_1) | instskip(NEXT) | instid1(VALU_DEP_1)
	v_bfe_u32 v3, v2, 16, 1
	v_add3_u32 v2, v2, v3, 0x7fff
	s_delay_alu instid0(VALU_DEP_1)
	v_lshrrev_b32_e32 v2, 16, v2
	s_branch .LBB174_667
.LBB174_666:
	s_mov_b32 s0, -1
                                        ; implicit-def: $vgpr2
.LBB174_667:
	s_delay_alu instid0(SALU_CYCLE_1)
	s_and_not1_b32 vcc_lo, exec_lo, s0
	s_cbranch_vccnz .LBB174_669
; %bb.668:
	global_load_u8 v0, v[0:1], off
	s_wait_loadcnt 0x0
	v_cvt_f32_ubyte0_e32 v0, v0
	s_delay_alu instid0(VALU_DEP_1) | instskip(NEXT) | instid1(VALU_DEP_1)
	v_bfe_u32 v1, v0, 16, 1
	v_add3_u32 v0, v0, v1, 0x7fff
	s_delay_alu instid0(VALU_DEP_1)
	v_lshrrev_b32_e32 v2, 16, v0
.LBB174_669:
	v_mov_b32_e32 v3, 0
.LBB174_670:
	s_mov_b32 s25, -1
.LBB174_671:
	s_delay_alu instid0(SALU_CYCLE_1)
	s_and_not1_b32 vcc_lo, exec_lo, s25
	s_cbranch_vccnz .LBB174_674
; %bb.672:
	s_wait_loadcnt 0x0
	v_and_b32_e32 v0, 0xffff, v2
	v_and_b32_e32 v1, 0xffff0000, v3
	s_and_not1_b32 vcc_lo, exec_lo, s15
	s_delay_alu instid0(VALU_DEP_2) | instskip(NEXT) | instid1(VALU_DEP_1)
	v_or_b32_e32 v0, v3, v0
	v_lshlrev_b32_e32 v0, 16, v0
	s_cbranch_vccnz .LBB174_675
; %bb.673:
	s_delay_alu instid0(VALU_DEP_1)
	v_cmp_neq_f32_e32 vcc_lo, s13, v0
	v_cmp_neq_f32_e64 s0, s14, v1
	s_or_b32 s25, vcc_lo, s0
	s_mov_b32 s0, 0
	s_branch .LBB174_676
.LBB174_674:
	s_mov_b32 s25, 0
	s_mov_b32 s0, s21
	s_branch .LBB174_801
.LBB174_675:
	s_mov_b32 s0, -1
                                        ; implicit-def: $sgpr25
.LBB174_676:
	s_delay_alu instid0(SALU_CYCLE_1)
	s_and_not1_b32 vcc_lo, exec_lo, s0
	s_cbranch_vccnz .LBB174_678
; %bb.677:
	v_cmp_eq_f32_e32 vcc_lo, s13, v0
	v_cmp_eq_f32_e64 s0, s14, v1
	s_and_not1_b32 s25, s25, exec_lo
	s_and_b32 s0, vcc_lo, s0
	s_delay_alu instid0(SALU_CYCLE_1) | instskip(NEXT) | instid1(SALU_CYCLE_1)
	s_and_b32 s0, s0, exec_lo
	s_or_b32 s25, s25, s0
.LBB174_678:
	v_mul_lo_u32 v0, v4, s8
	s_and_b32 s26, s2, 0xff
	s_delay_alu instid0(SALU_CYCLE_1) | instskip(NEXT) | instid1(VALU_DEP_1)
	s_cmp_lt_i32 s26, 11
	v_ashrrev_i32_e32 v1, 31, v0
	s_delay_alu instid0(VALU_DEP_1)
	v_add_nc_u64_e32 v[0:1], s[4:5], v[0:1]
	s_cbranch_scc1 .LBB174_685
; %bb.679:
	s_and_b32 s27, 0xffff, s26
	s_delay_alu instid0(SALU_CYCLE_1)
	s_cmp_gt_i32 s27, 25
	s_cbranch_scc0 .LBB174_686
; %bb.680:
	s_cmp_gt_i32 s27, 28
	s_cbranch_scc0 .LBB174_687
; %bb.681:
	;; [unrolled: 3-line block ×4, first 2 shown]
	s_mov_b32 s29, 0
	s_mov_b32 s0, -1
	s_cmp_eq_u32 s27, 46
	s_mov_b32 s28, 0
	s_cbranch_scc0 .LBB174_690
; %bb.684:
	v_cndmask_b32_e64 v2, 0, 1.0, s25
	s_mov_b32 s28, -1
	s_mov_b32 s0, 0
	s_delay_alu instid0(VALU_DEP_1) | instskip(NEXT) | instid1(VALU_DEP_1)
	v_bfe_u32 v3, v2, 16, 1
	v_add3_u32 v2, v2, v3, 0x7fff
	s_delay_alu instid0(VALU_DEP_1)
	v_lshrrev_b32_e32 v2, 16, v2
	global_store_b32 v[0:1], v2, off
	s_branch .LBB174_690
.LBB174_685:
	s_mov_b32 s27, -1
	s_mov_b32 s28, 0
	s_mov_b32 s0, s21
	s_branch .LBB174_759
.LBB174_686:
	s_mov_b32 s29, -1
	s_mov_b32 s28, 0
	s_mov_b32 s0, s21
	s_branch .LBB174_717
.LBB174_687:
	s_mov_b32 s29, -1
	s_mov_b32 s28, 0
	s_mov_b32 s0, s21
	s_branch .LBB174_700
.LBB174_688:
	s_mov_b32 s29, -1
	s_mov_b32 s28, 0
	s_mov_b32 s0, s21
	s_branch .LBB174_696
.LBB174_689:
	s_mov_b32 s29, -1
	s_mov_b32 s28, 0
	s_mov_b32 s0, s21
.LBB174_690:
	s_and_b32 vcc_lo, exec_lo, s29
	s_cbranch_vccz .LBB174_695
; %bb.691:
	s_cmp_eq_u32 s27, 44
	s_mov_b32 s0, -1
	s_cbranch_scc0 .LBB174_695
; %bb.692:
	v_cndmask_b32_e64 v5, 0, 1.0, s25
	s_mov_b32 s28, exec_lo
	s_wait_xcnt 0x0
	s_delay_alu instid0(VALU_DEP_1) | instskip(NEXT) | instid1(VALU_DEP_1)
	v_dual_mov_b32 v3, 0xff :: v_dual_lshrrev_b32 v2, 23, v5
	v_cmpx_ne_u32_e32 0xff, v2
; %bb.693:
	v_and_b32_e32 v3, 0x400000, v5
	v_and_or_b32 v5, 0x3fffff, v5, v2
	s_delay_alu instid0(VALU_DEP_2) | instskip(NEXT) | instid1(VALU_DEP_2)
	v_cmp_ne_u32_e32 vcc_lo, 0, v3
	v_cmp_ne_u32_e64 s0, 0, v5
	s_and_b32 s0, vcc_lo, s0
	s_delay_alu instid0(SALU_CYCLE_1) | instskip(NEXT) | instid1(VALU_DEP_1)
	v_cndmask_b32_e64 v3, 0, 1, s0
	v_add_nc_u32_e32 v3, v2, v3
; %bb.694:
	s_or_b32 exec_lo, exec_lo, s28
	s_mov_b32 s28, -1
	s_mov_b32 s0, 0
	global_store_b8 v[0:1], v3, off
.LBB174_695:
	s_mov_b32 s29, 0
.LBB174_696:
	s_delay_alu instid0(SALU_CYCLE_1)
	s_and_b32 vcc_lo, exec_lo, s29
	s_cbranch_vccz .LBB174_699
; %bb.697:
	s_cmp_eq_u32 s27, 29
	s_mov_b32 s0, -1
	s_cbranch_scc0 .LBB174_699
; %bb.698:
	s_mov_b32 s0, 0
	s_wait_xcnt 0x0
	v_cndmask_b32_e64 v2, 0, 1, s25
	v_mov_b32_e32 v3, s0
	s_mov_b32 s28, -1
	s_mov_b32 s29, 0
	global_store_b64 v[0:1], v[2:3], off
	s_branch .LBB174_700
.LBB174_699:
	s_mov_b32 s29, 0
.LBB174_700:
	s_delay_alu instid0(SALU_CYCLE_1)
	s_and_b32 vcc_lo, exec_lo, s29
	s_cbranch_vccz .LBB174_716
; %bb.701:
	s_cmp_lt_i32 s27, 27
	s_mov_b32 s28, -1
	s_cbranch_scc1 .LBB174_707
; %bb.702:
	s_cmp_gt_i32 s27, 27
	s_cbranch_scc0 .LBB174_704
; %bb.703:
	s_wait_xcnt 0x0
	v_cndmask_b32_e64 v2, 0, 1, s25
	s_mov_b32 s28, 0
	global_store_b32 v[0:1], v2, off
.LBB174_704:
	s_and_not1_b32 vcc_lo, exec_lo, s28
	s_cbranch_vccnz .LBB174_706
; %bb.705:
	s_wait_xcnt 0x0
	v_cndmask_b32_e64 v2, 0, 1, s25
	global_store_b16 v[0:1], v2, off
.LBB174_706:
	s_mov_b32 s28, 0
.LBB174_707:
	s_delay_alu instid0(SALU_CYCLE_1)
	s_and_not1_b32 vcc_lo, exec_lo, s28
	s_cbranch_vccnz .LBB174_715
; %bb.708:
	s_wait_xcnt 0x0
	v_cndmask_b32_e64 v3, 0, 1.0, s25
	v_mov_b32_e32 v5, 0x80
	s_mov_b32 s28, exec_lo
	s_delay_alu instid0(VALU_DEP_2)
	v_cmpx_gt_u32_e32 0x43800000, v3
	s_cbranch_execz .LBB174_714
; %bb.709:
	s_mov_b32 s29, 0
	s_mov_b32 s30, exec_lo
                                        ; implicit-def: $vgpr2
	v_cmpx_lt_u32_e32 0x3bffffff, v3
	s_xor_b32 s30, exec_lo, s30
	s_cbranch_execz .LBB174_816
; %bb.710:
	v_bfe_u32 v2, v3, 20, 1
	s_mov_b32 s29, exec_lo
	s_delay_alu instid0(VALU_DEP_1) | instskip(NEXT) | instid1(VALU_DEP_1)
	v_add3_u32 v2, v3, v2, 0x487ffff
                                        ; implicit-def: $vgpr3
	v_lshrrev_b32_e32 v2, 20, v2
	s_and_not1_saveexec_b32 s30, s30
	s_cbranch_execnz .LBB174_817
.LBB174_711:
	s_or_b32 exec_lo, exec_lo, s30
	v_mov_b32_e32 v5, 0
	s_and_saveexec_b32 s30, s29
.LBB174_712:
	v_mov_b32_e32 v5, v2
.LBB174_713:
	s_or_b32 exec_lo, exec_lo, s30
.LBB174_714:
	s_delay_alu instid0(SALU_CYCLE_1)
	s_or_b32 exec_lo, exec_lo, s28
	global_store_b8 v[0:1], v5, off
.LBB174_715:
	s_mov_b32 s28, -1
.LBB174_716:
	s_mov_b32 s29, 0
.LBB174_717:
	s_delay_alu instid0(SALU_CYCLE_1)
	s_and_b32 vcc_lo, exec_lo, s29
	s_cbranch_vccz .LBB174_758
; %bb.718:
	s_cmp_gt_i32 s27, 22
	s_mov_b32 s29, -1
	s_cbranch_scc0 .LBB174_750
; %bb.719:
	s_cmp_lt_i32 s27, 24
	s_mov_b32 s28, -1
	s_cbranch_scc1 .LBB174_739
; %bb.720:
	s_cmp_gt_i32 s27, 24
	s_cbranch_scc0 .LBB174_728
; %bb.721:
	s_wait_xcnt 0x0
	v_cndmask_b32_e64 v3, 0, 1.0, s25
	v_mov_b32_e32 v5, 0x80
	s_mov_b32 s28, exec_lo
	s_delay_alu instid0(VALU_DEP_2)
	v_cmpx_gt_u32_e32 0x47800000, v3
	s_cbranch_execz .LBB174_727
; %bb.722:
	s_mov_b32 s29, 0
	s_mov_b32 s30, exec_lo
                                        ; implicit-def: $vgpr2
	v_cmpx_lt_u32_e32 0x37ffffff, v3
	s_xor_b32 s30, exec_lo, s30
	s_cbranch_execz .LBB174_819
; %bb.723:
	v_bfe_u32 v2, v3, 21, 1
	s_mov_b32 s29, exec_lo
	s_delay_alu instid0(VALU_DEP_1) | instskip(NEXT) | instid1(VALU_DEP_1)
	v_add3_u32 v2, v3, v2, 0x88fffff
                                        ; implicit-def: $vgpr3
	v_lshrrev_b32_e32 v2, 21, v2
	s_and_not1_saveexec_b32 s30, s30
	s_cbranch_execnz .LBB174_820
.LBB174_724:
	s_or_b32 exec_lo, exec_lo, s30
	v_mov_b32_e32 v5, 0
	s_and_saveexec_b32 s30, s29
.LBB174_725:
	v_mov_b32_e32 v5, v2
.LBB174_726:
	s_or_b32 exec_lo, exec_lo, s30
.LBB174_727:
	s_delay_alu instid0(SALU_CYCLE_1)
	s_or_b32 exec_lo, exec_lo, s28
	s_mov_b32 s28, 0
	global_store_b8 v[0:1], v5, off
.LBB174_728:
	s_and_b32 vcc_lo, exec_lo, s28
	s_cbranch_vccz .LBB174_738
; %bb.729:
	s_wait_xcnt 0x0
	v_cndmask_b32_e64 v3, 0, 1.0, s25
	s_mov_b32 s28, exec_lo
                                        ; implicit-def: $vgpr2
	s_delay_alu instid0(VALU_DEP_1)
	v_cmpx_gt_u32_e32 0x43f00000, v3
	s_xor_b32 s28, exec_lo, s28
	s_cbranch_execz .LBB174_735
; %bb.730:
	s_mov_b32 s29, exec_lo
                                        ; implicit-def: $vgpr2
	v_cmpx_lt_u32_e32 0x3c7fffff, v3
	s_xor_b32 s29, exec_lo, s29
; %bb.731:
	v_bfe_u32 v2, v3, 20, 1
	s_delay_alu instid0(VALU_DEP_1) | instskip(NEXT) | instid1(VALU_DEP_1)
	v_add3_u32 v2, v3, v2, 0x407ffff
	v_and_b32_e32 v3, 0xff00000, v2
	v_lshrrev_b32_e32 v2, 20, v2
	s_delay_alu instid0(VALU_DEP_2) | instskip(NEXT) | instid1(VALU_DEP_2)
	v_cmp_ne_u32_e32 vcc_lo, 0x7f00000, v3
                                        ; implicit-def: $vgpr3
	v_cndmask_b32_e32 v2, 0x7e, v2, vcc_lo
; %bb.732:
	s_and_not1_saveexec_b32 s29, s29
; %bb.733:
	v_add_f32_e32 v2, 0x46800000, v3
; %bb.734:
	s_or_b32 exec_lo, exec_lo, s29
                                        ; implicit-def: $vgpr3
.LBB174_735:
	s_and_not1_saveexec_b32 s28, s28
; %bb.736:
	v_mov_b32_e32 v2, 0x7f
	v_cmp_lt_u32_e32 vcc_lo, 0x7f800000, v3
	s_delay_alu instid0(VALU_DEP_2)
	v_cndmask_b32_e32 v2, 0x7e, v2, vcc_lo
; %bb.737:
	s_or_b32 exec_lo, exec_lo, s28
	global_store_b8 v[0:1], v2, off
.LBB174_738:
	s_mov_b32 s28, 0
.LBB174_739:
	s_delay_alu instid0(SALU_CYCLE_1)
	s_and_not1_b32 vcc_lo, exec_lo, s28
	s_cbranch_vccnz .LBB174_749
; %bb.740:
	s_wait_xcnt 0x0
	v_cndmask_b32_e64 v3, 0, 1.0, s25
	s_mov_b32 s28, exec_lo
                                        ; implicit-def: $vgpr2
	s_delay_alu instid0(VALU_DEP_1)
	v_cmpx_gt_u32_e32 0x47800000, v3
	s_xor_b32 s28, exec_lo, s28
	s_cbranch_execz .LBB174_746
; %bb.741:
	s_mov_b32 s29, exec_lo
                                        ; implicit-def: $vgpr2
	v_cmpx_lt_u32_e32 0x387fffff, v3
	s_xor_b32 s29, exec_lo, s29
; %bb.742:
	v_bfe_u32 v2, v3, 21, 1
	s_delay_alu instid0(VALU_DEP_1) | instskip(NEXT) | instid1(VALU_DEP_1)
	v_add3_u32 v2, v3, v2, 0x80fffff
                                        ; implicit-def: $vgpr3
	v_lshrrev_b32_e32 v2, 21, v2
; %bb.743:
	s_and_not1_saveexec_b32 s29, s29
; %bb.744:
	v_add_f32_e32 v2, 0x43000000, v3
; %bb.745:
	s_or_b32 exec_lo, exec_lo, s29
                                        ; implicit-def: $vgpr3
.LBB174_746:
	s_and_not1_saveexec_b32 s28, s28
; %bb.747:
	v_mov_b32_e32 v2, 0x7f
	v_cmp_lt_u32_e32 vcc_lo, 0x7f800000, v3
	s_delay_alu instid0(VALU_DEP_2)
	v_cndmask_b32_e32 v2, 0x7c, v2, vcc_lo
; %bb.748:
	s_or_b32 exec_lo, exec_lo, s28
	global_store_b8 v[0:1], v2, off
.LBB174_749:
	s_mov_b32 s29, 0
	s_mov_b32 s28, -1
.LBB174_750:
	s_and_not1_b32 vcc_lo, exec_lo, s29
	s_cbranch_vccnz .LBB174_758
; %bb.751:
	s_cmp_gt_i32 s27, 14
	s_mov_b32 s29, -1
	s_cbranch_scc0 .LBB174_755
; %bb.752:
	s_cmp_eq_u32 s27, 15
	s_mov_b32 s0, -1
	s_cbranch_scc0 .LBB174_754
; %bb.753:
	s_wait_xcnt 0x0
	v_cndmask_b32_e64 v2, 0, 1.0, s25
	s_mov_b32 s28, -1
	s_mov_b32 s0, 0
	s_delay_alu instid0(VALU_DEP_1) | instskip(NEXT) | instid1(VALU_DEP_1)
	v_bfe_u32 v3, v2, 16, 1
	v_add3_u32 v2, v2, v3, 0x7fff
	global_store_d16_hi_b16 v[0:1], v2, off
.LBB174_754:
	s_mov_b32 s29, 0
.LBB174_755:
	s_delay_alu instid0(SALU_CYCLE_1)
	s_and_b32 vcc_lo, exec_lo, s29
	s_cbranch_vccz .LBB174_758
; %bb.756:
	s_cmp_eq_u32 s27, 11
	s_mov_b32 s0, -1
	s_cbranch_scc0 .LBB174_758
; %bb.757:
	s_wait_xcnt 0x0
	v_cndmask_b32_e64 v2, 0, 1, s25
	s_mov_b32 s28, -1
	s_mov_b32 s0, 0
	global_store_b8 v[0:1], v2, off
.LBB174_758:
	s_mov_b32 s27, 0
.LBB174_759:
	s_delay_alu instid0(SALU_CYCLE_1)
	s_and_b32 vcc_lo, exec_lo, s27
	s_cbranch_vccz .LBB174_798
; %bb.760:
	s_and_b32 s26, 0xffff, s26
	s_mov_b32 s27, -1
	s_cmp_lt_i32 s26, 5
	s_cbranch_scc1 .LBB174_781
; %bb.761:
	s_cmp_lt_i32 s26, 8
	s_cbranch_scc1 .LBB174_771
; %bb.762:
	;; [unrolled: 3-line block ×3, first 2 shown]
	s_cmp_gt_i32 s26, 9
	s_cbranch_scc0 .LBB174_765
; %bb.764:
	s_wait_xcnt 0x0
	v_cndmask_b32_e64 v2, 0, 1, s25
	v_mov_b32_e32 v8, 0
	s_mov_b32 s27, 0
	s_delay_alu instid0(VALU_DEP_2) | instskip(NEXT) | instid1(VALU_DEP_2)
	v_cvt_f64_u32_e32 v[6:7], v2
	v_mov_b32_e32 v9, v8
	global_store_b128 v[0:1], v[6:9], off
.LBB174_765:
	s_and_not1_b32 vcc_lo, exec_lo, s27
	s_cbranch_vccnz .LBB174_767
; %bb.766:
	s_wait_xcnt 0x0
	v_cndmask_b32_e64 v2, 0, 1.0, s25
	v_mov_b32_e32 v3, 0
	global_store_b64 v[0:1], v[2:3], off
.LBB174_767:
	s_mov_b32 s27, 0
.LBB174_768:
	s_delay_alu instid0(SALU_CYCLE_1)
	s_and_not1_b32 vcc_lo, exec_lo, s27
	s_cbranch_vccnz .LBB174_770
; %bb.769:
	s_wait_xcnt 0x0
	v_cndmask_b32_e64 v2, 0, 1.0, s25
	s_delay_alu instid0(VALU_DEP_1) | instskip(NEXT) | instid1(VALU_DEP_1)
	v_cvt_f16_f32_e32 v2, v2
	v_and_b32_e32 v2, 0xffff, v2
	global_store_b32 v[0:1], v2, off
.LBB174_770:
	s_mov_b32 s27, 0
.LBB174_771:
	s_delay_alu instid0(SALU_CYCLE_1)
	s_and_not1_b32 vcc_lo, exec_lo, s27
	s_cbranch_vccnz .LBB174_780
; %bb.772:
	s_cmp_lt_i32 s26, 6
	s_mov_b32 s27, -1
	s_cbranch_scc1 .LBB174_778
; %bb.773:
	s_cmp_gt_i32 s26, 6
	s_cbranch_scc0 .LBB174_775
; %bb.774:
	s_wait_xcnt 0x0
	v_cndmask_b32_e64 v2, 0, 1, s25
	s_mov_b32 s27, 0
	s_delay_alu instid0(VALU_DEP_1)
	v_cvt_f64_u32_e32 v[2:3], v2
	global_store_b64 v[0:1], v[2:3], off
.LBB174_775:
	s_and_not1_b32 vcc_lo, exec_lo, s27
	s_cbranch_vccnz .LBB174_777
; %bb.776:
	s_wait_xcnt 0x0
	v_cndmask_b32_e64 v2, 0, 1.0, s25
	global_store_b32 v[0:1], v2, off
.LBB174_777:
	s_mov_b32 s27, 0
.LBB174_778:
	s_delay_alu instid0(SALU_CYCLE_1)
	s_and_not1_b32 vcc_lo, exec_lo, s27
	s_cbranch_vccnz .LBB174_780
; %bb.779:
	s_wait_xcnt 0x0
	v_cndmask_b32_e64 v2, 0, 1.0, s25
	s_delay_alu instid0(VALU_DEP_1)
	v_cvt_f16_f32_e32 v2, v2
	global_store_b16 v[0:1], v2, off
.LBB174_780:
	s_mov_b32 s27, 0
.LBB174_781:
	s_delay_alu instid0(SALU_CYCLE_1)
	s_and_not1_b32 vcc_lo, exec_lo, s27
	s_cbranch_vccnz .LBB174_797
; %bb.782:
	s_cmp_lt_i32 s26, 2
	s_mov_b32 s27, -1
	s_cbranch_scc1 .LBB174_792
; %bb.783:
	s_cmp_lt_i32 s26, 3
	s_cbranch_scc1 .LBB174_789
; %bb.784:
	s_cmp_gt_i32 s26, 3
	s_cbranch_scc0 .LBB174_786
; %bb.785:
	s_mov_b32 s27, 0
	s_wait_xcnt 0x0
	v_cndmask_b32_e64 v2, 0, 1, s25
	v_mov_b32_e32 v3, s27
	global_store_b64 v[0:1], v[2:3], off
.LBB174_786:
	s_and_not1_b32 vcc_lo, exec_lo, s27
	s_cbranch_vccnz .LBB174_788
; %bb.787:
	s_wait_xcnt 0x0
	v_cndmask_b32_e64 v2, 0, 1, s25
	global_store_b32 v[0:1], v2, off
.LBB174_788:
	s_mov_b32 s27, 0
.LBB174_789:
	s_delay_alu instid0(SALU_CYCLE_1)
	s_and_not1_b32 vcc_lo, exec_lo, s27
	s_cbranch_vccnz .LBB174_791
; %bb.790:
	s_wait_xcnt 0x0
	v_cndmask_b32_e64 v2, 0, 1, s25
	global_store_b16 v[0:1], v2, off
.LBB174_791:
	s_mov_b32 s27, 0
.LBB174_792:
	s_delay_alu instid0(SALU_CYCLE_1)
	s_and_not1_b32 vcc_lo, exec_lo, s27
	s_cbranch_vccnz .LBB174_797
; %bb.793:
	s_wait_xcnt 0x0
	v_cndmask_b32_e64 v2, 0, 1, s25
	s_cmp_gt_i32 s26, 0
	s_mov_b32 s25, -1
	s_cbranch_scc0 .LBB174_795
; %bb.794:
	s_mov_b32 s25, 0
	global_store_b8 v[0:1], v2, off
.LBB174_795:
	s_and_not1_b32 vcc_lo, exec_lo, s25
	s_cbranch_vccnz .LBB174_797
; %bb.796:
	global_store_b8 v[0:1], v2, off
.LBB174_797:
	s_mov_b32 s28, -1
.LBB174_798:
	s_delay_alu instid0(SALU_CYCLE_1)
	s_and_not1_b32 vcc_lo, exec_lo, s28
	s_cbranch_vccnz .LBB174_800
; %bb.799:
	v_add_nc_u32_e32 v4, 0x80, v4
	s_mov_b32 s25, -1
	s_branch .LBB174_802
.LBB174_800:
	s_mov_b32 s25, 0
.LBB174_801:
                                        ; implicit-def: $vgpr4
.LBB174_802:
	s_and_not1_b32 s26, s21, exec_lo
	s_and_b32 s0, s0, exec_lo
	s_and_not1_b32 s27, s20, exec_lo
	s_and_b32 s28, s24, exec_lo
	s_or_b32 s24, s26, s0
	s_or_b32 s0, s27, s28
	s_or_not1_b32 s25, s25, exec_lo
.LBB174_803:
	s_wait_xcnt 0x0
	s_or_b32 exec_lo, exec_lo, s23
	s_mov_b32 s26, 0
	s_mov_b32 s27, 0
	;; [unrolled: 1-line block ×3, first 2 shown]
                                        ; implicit-def: $vgpr0_vgpr1
                                        ; implicit-def: $vgpr3
                                        ; implicit-def: $vgpr2
	s_and_saveexec_b32 s23, s25
	s_cbranch_execz .LBB174_891
; %bb.804:
	v_cmp_gt_i32_e32 vcc_lo, s16, v4
	s_mov_b32 s25, 0
	s_mov_b32 s26, s0
	;; [unrolled: 1-line block ×3, first 2 shown]
                                        ; implicit-def: $vgpr0_vgpr1
                                        ; implicit-def: $vgpr3
                                        ; implicit-def: $vgpr2
	s_and_saveexec_b32 s16, vcc_lo
	s_cbranch_execz .LBB174_890
; %bb.805:
	v_mul_lo_u32 v0, v4, s9
	s_and_b32 s25, 0xffff, s3
	s_delay_alu instid0(SALU_CYCLE_1) | instskip(NEXT) | instid1(VALU_DEP_1)
	s_cmp_lt_i32 s25, 11
	v_ashrrev_i32_e32 v1, 31, v0
	s_delay_alu instid0(VALU_DEP_1)
	v_add_nc_u64_e32 v[0:1], s[6:7], v[0:1]
	s_cbranch_scc1 .LBB174_812
; %bb.806:
	s_cmp_gt_i32 s25, 25
	s_cbranch_scc0 .LBB174_813
; %bb.807:
	s_cmp_gt_i32 s25, 28
	s_cbranch_scc0 .LBB174_814
	;; [unrolled: 3-line block ×4, first 2 shown]
; %bb.810:
	s_cmp_eq_u32 s25, 46
	s_cbranch_scc0 .LBB174_821
; %bb.811:
	s_wait_loadcnt 0x0
	global_load_b32 v2, v[0:1], off
	s_mov_b32 s26, 0
	s_mov_b32 s28, -1
	s_wait_loadcnt 0x0
	v_and_b32_e32 v3, 0xffff0000, v2
	s_branch .LBB174_823
.LBB174_812:
	s_mov_b32 s25, -1
	s_mov_b32 s26, s0
                                        ; implicit-def: $vgpr3
                                        ; implicit-def: $vgpr2
	s_branch .LBB174_889
.LBB174_813:
	s_mov_b32 s29, -1
	s_mov_b32 s26, s0
                                        ; implicit-def: $vgpr3
                                        ; implicit-def: $vgpr2
	s_branch .LBB174_854
.LBB174_814:
	s_mov_b32 s29, -1
	s_mov_b32 s26, s0
                                        ; implicit-def: $vgpr3
                                        ; implicit-def: $vgpr2
	s_branch .LBB174_835
.LBB174_815:
	s_mov_b32 s29, -1
	s_mov_b32 s26, s0
                                        ; implicit-def: $vgpr3
                                        ; implicit-def: $vgpr2
	s_branch .LBB174_829
.LBB174_816:
	s_and_not1_saveexec_b32 s30, s30
	s_cbranch_execz .LBB174_711
.LBB174_817:
	v_add_f32_e32 v2, 0x46000000, v3
	s_and_not1_b32 s29, s29, exec_lo
	s_delay_alu instid0(VALU_DEP_1) | instskip(NEXT) | instid1(VALU_DEP_1)
	v_and_b32_e32 v2, 0xff, v2
	v_cmp_ne_u32_e32 vcc_lo, 0, v2
	s_and_b32 s31, vcc_lo, exec_lo
	s_delay_alu instid0(SALU_CYCLE_1)
	s_or_b32 s29, s29, s31
	s_or_b32 exec_lo, exec_lo, s30
	v_mov_b32_e32 v5, 0
	s_and_saveexec_b32 s30, s29
	s_cbranch_execnz .LBB174_712
	s_branch .LBB174_713
.LBB174_818:
	s_mov_b32 s29, -1
	s_mov_b32 s26, s0
	s_branch .LBB174_822
.LBB174_819:
	s_and_not1_saveexec_b32 s30, s30
	s_cbranch_execz .LBB174_724
.LBB174_820:
	v_add_f32_e32 v2, 0x42800000, v3
	s_and_not1_b32 s29, s29, exec_lo
	s_delay_alu instid0(VALU_DEP_1) | instskip(NEXT) | instid1(VALU_DEP_1)
	v_and_b32_e32 v2, 0xff, v2
	v_cmp_ne_u32_e32 vcc_lo, 0, v2
	s_and_b32 s31, vcc_lo, exec_lo
	s_delay_alu instid0(SALU_CYCLE_1)
	s_or_b32 s29, s29, s31
	s_or_b32 exec_lo, exec_lo, s30
	v_mov_b32_e32 v5, 0
	s_and_saveexec_b32 s30, s29
	s_cbranch_execnz .LBB174_725
	s_branch .LBB174_726
.LBB174_821:
	s_mov_b32 s26, -1
.LBB174_822:
                                        ; implicit-def: $vgpr3
                                        ; implicit-def: $vgpr2
.LBB174_823:
	s_and_b32 vcc_lo, exec_lo, s29
	s_cbranch_vccz .LBB174_828
; %bb.824:
	s_cmp_eq_u32 s25, 44
	s_cbranch_scc0 .LBB174_826
; %bb.825:
	s_wait_loadcnt 0x0
	global_load_u8 v2, v[0:1], off
	s_mov_b32 s26, 0
	s_mov_b32 s28, -1
	s_wait_loadcnt 0x0
	v_lshlrev_b32_e32 v3, 23, v2
	v_cmp_ne_u32_e32 vcc_lo, 0xff, v2
	s_delay_alu instid0(VALU_DEP_2) | instskip(SKIP_1) | instid1(VALU_DEP_2)
	v_cndmask_b32_e32 v3, 0x7f800001, v3, vcc_lo
	v_cmp_ne_u32_e32 vcc_lo, 0, v2
	v_cndmask_b32_e32 v2, 0x400000, v3, vcc_lo
	s_delay_alu instid0(VALU_DEP_1) | instskip(NEXT) | instid1(VALU_DEP_1)
	v_add_nc_u32_e32 v3, 0x7fff, v2
	v_lshrrev_b32_e32 v3, 16, v3
	v_cmp_o_f32_e32 vcc_lo, v2, v2
	s_delay_alu instid0(VALU_DEP_2)
	v_cndmask_b32_e32 v2, 0x7fc0, v3, vcc_lo
	s_branch .LBB174_827
.LBB174_826:
	s_mov_b32 s26, -1
                                        ; implicit-def: $vgpr2
.LBB174_827:
	v_mov_b32_e32 v3, 0
.LBB174_828:
	s_mov_b32 s29, 0
.LBB174_829:
	s_delay_alu instid0(SALU_CYCLE_1)
	s_and_b32 vcc_lo, exec_lo, s29
	s_cbranch_vccz .LBB174_834
; %bb.830:
	s_cmp_eq_u32 s25, 29
	s_cbranch_scc0 .LBB174_832
; %bb.831:
	s_wait_loadcnt 0x0
	global_load_b64 v[2:3], v[0:1], off
	s_mov_b32 s26, 0
	s_mov_b32 s28, -1
	s_wait_loadcnt 0x0
	v_clz_i32_u32_e32 v5, v3
	s_delay_alu instid0(VALU_DEP_1) | instskip(NEXT) | instid1(VALU_DEP_1)
	v_min_u32_e32 v5, 32, v5
	v_lshlrev_b64_e32 v[2:3], v5, v[2:3]
	s_delay_alu instid0(VALU_DEP_1) | instskip(NEXT) | instid1(VALU_DEP_1)
	v_min_u32_e32 v2, 1, v2
	v_dual_sub_nc_u32 v3, 32, v5 :: v_dual_bitop2_b32 v2, v3, v2 bitop3:0x54
	s_delay_alu instid0(VALU_DEP_1) | instskip(NEXT) | instid1(VALU_DEP_1)
	v_cvt_f32_u32_e32 v2, v2
	v_ldexp_f32 v2, v2, v3
	s_delay_alu instid0(VALU_DEP_1) | instskip(NEXT) | instid1(VALU_DEP_1)
	v_bfe_u32 v3, v2, 16, 1
	v_add3_u32 v2, v2, v3, 0x7fff
	s_delay_alu instid0(VALU_DEP_1)
	v_lshrrev_b32_e32 v2, 16, v2
	s_branch .LBB174_833
.LBB174_832:
	s_mov_b32 s26, -1
                                        ; implicit-def: $vgpr2
.LBB174_833:
	v_mov_b32_e32 v3, 0
.LBB174_834:
	s_mov_b32 s29, 0
.LBB174_835:
	s_delay_alu instid0(SALU_CYCLE_1)
	s_and_b32 vcc_lo, exec_lo, s29
	s_cbranch_vccz .LBB174_853
; %bb.836:
	s_cmp_lt_i32 s25, 27
	s_cbranch_scc1 .LBB174_839
; %bb.837:
	s_cmp_gt_i32 s25, 27
	s_cbranch_scc0 .LBB174_840
; %bb.838:
	s_wait_loadcnt 0x0
	global_load_b32 v2, v[0:1], off
	s_mov_b32 s28, 0
	s_wait_loadcnt 0x0
	v_cvt_f32_u32_e32 v2, v2
	s_delay_alu instid0(VALU_DEP_1) | instskip(NEXT) | instid1(VALU_DEP_1)
	v_bfe_u32 v3, v2, 16, 1
	v_add3_u32 v2, v2, v3, 0x7fff
	s_delay_alu instid0(VALU_DEP_1)
	v_lshrrev_b32_e32 v2, 16, v2
	s_branch .LBB174_841
.LBB174_839:
	s_mov_b32 s28, -1
                                        ; implicit-def: $vgpr2
	s_branch .LBB174_844
.LBB174_840:
	s_mov_b32 s28, -1
                                        ; implicit-def: $vgpr2
.LBB174_841:
	s_delay_alu instid0(SALU_CYCLE_1)
	s_and_not1_b32 vcc_lo, exec_lo, s28
	s_cbranch_vccnz .LBB174_843
; %bb.842:
	s_wait_loadcnt 0x0
	global_load_u16 v2, v[0:1], off
	s_wait_loadcnt 0x0
	v_cvt_f32_u32_e32 v2, v2
	s_delay_alu instid0(VALU_DEP_1) | instskip(NEXT) | instid1(VALU_DEP_1)
	v_bfe_u32 v3, v2, 16, 1
	v_add3_u32 v2, v2, v3, 0x7fff
	s_delay_alu instid0(VALU_DEP_1)
	v_lshrrev_b32_e32 v2, 16, v2
.LBB174_843:
	s_mov_b32 s28, 0
.LBB174_844:
	s_delay_alu instid0(SALU_CYCLE_1)
	s_and_not1_b32 vcc_lo, exec_lo, s28
	s_cbranch_vccnz .LBB174_852
; %bb.845:
	s_wait_loadcnt 0x0
	global_load_u8 v2, v[0:1], off
	s_mov_b32 s28, 0
	s_mov_b32 s29, exec_lo
	s_wait_loadcnt 0x0
	v_cmpx_lt_i16_e32 0x7f, v2
	s_xor_b32 s29, exec_lo, s29
	s_cbranch_execz .LBB174_866
; %bb.846:
	s_mov_b32 s28, -1
	s_mov_b32 s30, exec_lo
	v_cmpx_eq_u16_e32 0x80, v2
; %bb.847:
	s_xor_b32 s28, exec_lo, -1
; %bb.848:
	s_or_b32 exec_lo, exec_lo, s30
	s_delay_alu instid0(SALU_CYCLE_1)
	s_and_b32 s28, s28, exec_lo
	s_or_saveexec_b32 s29, s29
	v_mov_b32_e32 v3, 0x7f800001
	s_xor_b32 exec_lo, exec_lo, s29
	s_cbranch_execnz .LBB174_867
.LBB174_849:
	s_or_b32 exec_lo, exec_lo, s29
	s_and_saveexec_b32 s29, s28
	s_cbranch_execz .LBB174_851
.LBB174_850:
	v_and_b32_e32 v3, 0xffff, v2
	s_delay_alu instid0(VALU_DEP_1) | instskip(SKIP_1) | instid1(VALU_DEP_2)
	v_and_b32_e32 v5, 7, v3
	v_bfe_u32 v8, v3, 3, 4
	v_clz_i32_u32_e32 v6, v5
	s_delay_alu instid0(VALU_DEP_2) | instskip(NEXT) | instid1(VALU_DEP_2)
	v_cmp_eq_u32_e32 vcc_lo, 0, v8
	v_min_u32_e32 v6, 32, v6
	s_delay_alu instid0(VALU_DEP_1) | instskip(NEXT) | instid1(VALU_DEP_1)
	v_subrev_nc_u32_e32 v7, 28, v6
	v_dual_lshlrev_b32 v3, v7, v3 :: v_dual_sub_nc_u32 v6, 29, v6
	s_delay_alu instid0(VALU_DEP_1) | instskip(NEXT) | instid1(VALU_DEP_1)
	v_dual_lshlrev_b32 v2, 24, v2 :: v_dual_bitop2_b32 v3, 7, v3 bitop3:0x40
	v_dual_cndmask_b32 v3, v5, v3 :: v_dual_cndmask_b32 v6, v8, v6
	s_delay_alu instid0(VALU_DEP_2) | instskip(NEXT) | instid1(VALU_DEP_2)
	v_and_b32_e32 v2, 0x80000000, v2
	v_lshlrev_b32_e32 v3, 20, v3
	s_delay_alu instid0(VALU_DEP_3) | instskip(NEXT) | instid1(VALU_DEP_1)
	v_lshl_add_u32 v5, v6, 23, 0x3b800000
	v_or3_b32 v3, v2, v5, v3
.LBB174_851:
	s_or_b32 exec_lo, exec_lo, s29
	s_delay_alu instid0(VALU_DEP_1) | instskip(SKIP_1) | instid1(VALU_DEP_2)
	v_bfe_u32 v2, v3, 16, 1
	v_cmp_o_f32_e32 vcc_lo, v3, v3
	v_add3_u32 v2, v3, v2, 0x7fff
	s_delay_alu instid0(VALU_DEP_1) | instskip(NEXT) | instid1(VALU_DEP_1)
	v_lshrrev_b32_e32 v2, 16, v2
	v_cndmask_b32_e32 v2, 0x7fc0, v2, vcc_lo
.LBB174_852:
	v_mov_b32_e32 v3, 0
	s_mov_b32 s28, -1
.LBB174_853:
	s_mov_b32 s29, 0
.LBB174_854:
	s_delay_alu instid0(SALU_CYCLE_1)
	s_and_b32 vcc_lo, exec_lo, s29
	s_cbranch_vccz .LBB174_888
; %bb.855:
	s_cmp_gt_i32 s25, 22
	s_cbranch_scc0 .LBB174_865
; %bb.856:
	s_cmp_lt_i32 s25, 24
	s_cbranch_scc1 .LBB174_868
; %bb.857:
	s_cmp_gt_i32 s25, 24
	s_cbranch_scc0 .LBB174_869
; %bb.858:
	s_wait_loadcnt 0x0
	global_load_u8 v2, v[0:1], off
	s_mov_b32 s28, exec_lo
	s_wait_loadcnt 0x0
	v_cmpx_lt_i16_e32 0x7f, v2
	s_xor_b32 s28, exec_lo, s28
	s_cbranch_execz .LBB174_881
; %bb.859:
	s_mov_b32 s27, -1
	s_mov_b32 s29, exec_lo
	v_cmpx_eq_u16_e32 0x80, v2
; %bb.860:
	s_xor_b32 s27, exec_lo, -1
; %bb.861:
	s_or_b32 exec_lo, exec_lo, s29
	s_delay_alu instid0(SALU_CYCLE_1)
	s_and_b32 s27, s27, exec_lo
	s_or_saveexec_b32 s28, s28
	v_mov_b32_e32 v3, 0x7f800001
	s_xor_b32 exec_lo, exec_lo, s28
	s_cbranch_execnz .LBB174_882
.LBB174_862:
	s_or_b32 exec_lo, exec_lo, s28
	s_and_saveexec_b32 s28, s27
	s_cbranch_execz .LBB174_864
.LBB174_863:
	v_and_b32_e32 v3, 0xffff, v2
	s_delay_alu instid0(VALU_DEP_1) | instskip(SKIP_1) | instid1(VALU_DEP_2)
	v_and_b32_e32 v5, 3, v3
	v_bfe_u32 v8, v3, 2, 5
	v_clz_i32_u32_e32 v6, v5
	s_delay_alu instid0(VALU_DEP_2) | instskip(NEXT) | instid1(VALU_DEP_2)
	v_cmp_eq_u32_e32 vcc_lo, 0, v8
	v_min_u32_e32 v6, 32, v6
	s_delay_alu instid0(VALU_DEP_1) | instskip(NEXT) | instid1(VALU_DEP_1)
	v_subrev_nc_u32_e32 v7, 29, v6
	v_dual_lshlrev_b32 v3, v7, v3 :: v_dual_sub_nc_u32 v6, 30, v6
	s_delay_alu instid0(VALU_DEP_1) | instskip(NEXT) | instid1(VALU_DEP_1)
	v_dual_lshlrev_b32 v2, 24, v2 :: v_dual_bitop2_b32 v3, 3, v3 bitop3:0x40
	v_dual_cndmask_b32 v3, v5, v3 :: v_dual_cndmask_b32 v6, v8, v6
	s_delay_alu instid0(VALU_DEP_2) | instskip(NEXT) | instid1(VALU_DEP_2)
	v_and_b32_e32 v2, 0x80000000, v2
	v_lshlrev_b32_e32 v3, 21, v3
	s_delay_alu instid0(VALU_DEP_3) | instskip(NEXT) | instid1(VALU_DEP_1)
	v_lshl_add_u32 v5, v6, 23, 0x37800000
	v_or3_b32 v3, v2, v5, v3
.LBB174_864:
	s_or_b32 exec_lo, exec_lo, s28
	s_delay_alu instid0(VALU_DEP_1) | instskip(SKIP_2) | instid1(VALU_DEP_2)
	v_bfe_u32 v2, v3, 16, 1
	v_cmp_o_f32_e32 vcc_lo, v3, v3
	s_mov_b32 s27, 0
	v_add3_u32 v2, v3, v2, 0x7fff
	s_delay_alu instid0(VALU_DEP_1) | instskip(NEXT) | instid1(VALU_DEP_1)
	v_lshrrev_b32_e32 v2, 16, v2
	v_cndmask_b32_e32 v2, 0x7fc0, v2, vcc_lo
	s_branch .LBB174_870
.LBB174_865:
	s_mov_b32 s27, -1
                                        ; implicit-def: $vgpr2
	s_branch .LBB174_876
.LBB174_866:
	s_or_saveexec_b32 s29, s29
	v_mov_b32_e32 v3, 0x7f800001
	s_xor_b32 exec_lo, exec_lo, s29
	s_cbranch_execz .LBB174_849
.LBB174_867:
	v_cmp_ne_u16_e32 vcc_lo, 0, v2
	v_mov_b32_e32 v3, 0
	s_and_not1_b32 s28, s28, exec_lo
	s_and_b32 s30, vcc_lo, exec_lo
	s_delay_alu instid0(SALU_CYCLE_1)
	s_or_b32 s28, s28, s30
	s_or_b32 exec_lo, exec_lo, s29
	s_and_saveexec_b32 s29, s28
	s_cbranch_execnz .LBB174_850
	s_branch .LBB174_851
.LBB174_868:
	s_mov_b32 s27, -1
                                        ; implicit-def: $vgpr2
	s_branch .LBB174_873
.LBB174_869:
	s_mov_b32 s27, -1
                                        ; implicit-def: $vgpr2
.LBB174_870:
	s_delay_alu instid0(SALU_CYCLE_1)
	s_and_b32 vcc_lo, exec_lo, s27
	s_cbranch_vccz .LBB174_872
; %bb.871:
	s_wait_loadcnt 0x0
	global_load_u8 v2, v[0:1], off
	s_wait_loadcnt 0x0
	v_lshlrev_b32_e32 v2, 24, v2
	s_delay_alu instid0(VALU_DEP_1) | instskip(NEXT) | instid1(VALU_DEP_1)
	v_and_b32_e32 v3, 0x7f000000, v2
	v_clz_i32_u32_e32 v5, v3
	v_add_nc_u32_e32 v7, 0x1000000, v3
	v_cmp_ne_u32_e32 vcc_lo, 0, v3
	s_delay_alu instid0(VALU_DEP_3) | instskip(NEXT) | instid1(VALU_DEP_1)
	v_min_u32_e32 v5, 32, v5
	v_sub_nc_u32_e64 v5, v5, 4 clamp
	s_delay_alu instid0(VALU_DEP_1) | instskip(NEXT) | instid1(VALU_DEP_1)
	v_dual_lshlrev_b32 v6, v5, v3 :: v_dual_lshlrev_b32 v5, 23, v5
	v_lshrrev_b32_e32 v6, 4, v6
	s_delay_alu instid0(VALU_DEP_1) | instskip(NEXT) | instid1(VALU_DEP_1)
	v_dual_sub_nc_u32 v5, v6, v5 :: v_dual_ashrrev_i32 v6, 8, v7
	v_add_nc_u32_e32 v5, 0x3c000000, v5
	s_delay_alu instid0(VALU_DEP_1) | instskip(NEXT) | instid1(VALU_DEP_1)
	v_and_or_b32 v5, 0x7f800000, v6, v5
	v_cndmask_b32_e32 v3, 0, v5, vcc_lo
	s_delay_alu instid0(VALU_DEP_1) | instskip(SKIP_1) | instid1(VALU_DEP_2)
	v_and_or_b32 v2, 0x80000000, v2, v3
	v_bfe_u32 v3, v3, 16, 1
	v_cmp_o_f32_e32 vcc_lo, v2, v2
	s_delay_alu instid0(VALU_DEP_2) | instskip(NEXT) | instid1(VALU_DEP_1)
	v_add3_u32 v3, v2, v3, 0x7fff
	v_lshrrev_b32_e32 v3, 16, v3
	s_delay_alu instid0(VALU_DEP_1)
	v_cndmask_b32_e32 v2, 0x7fc0, v3, vcc_lo
.LBB174_872:
	s_mov_b32 s27, 0
.LBB174_873:
	s_delay_alu instid0(SALU_CYCLE_1)
	s_and_not1_b32 vcc_lo, exec_lo, s27
	s_cbranch_vccnz .LBB174_875
; %bb.874:
	s_wait_loadcnt 0x0
	global_load_u8 v2, v[0:1], off
	s_wait_loadcnt 0x0
	v_lshlrev_b32_e32 v3, 25, v2
	v_lshlrev_b16 v2, 8, v2
	s_delay_alu instid0(VALU_DEP_2) | instskip(NEXT) | instid1(VALU_DEP_2)
	v_cmp_gt_u32_e32 vcc_lo, 0x8000000, v3
	v_and_or_b32 v6, 0x7f00, v2, 0.5
	v_lshrrev_b32_e32 v5, 4, v3
	v_bfe_i32 v2, v2, 0, 16
	s_delay_alu instid0(VALU_DEP_3) | instskip(NEXT) | instid1(VALU_DEP_3)
	v_add_f32_e32 v6, -0.5, v6
	v_or_b32_e32 v5, 0x70000000, v5
	s_delay_alu instid0(VALU_DEP_1) | instskip(NEXT) | instid1(VALU_DEP_1)
	v_mul_f32_e32 v5, 0x7800000, v5
	v_cndmask_b32_e32 v3, v5, v6, vcc_lo
	s_delay_alu instid0(VALU_DEP_1) | instskip(SKIP_1) | instid1(VALU_DEP_2)
	v_and_or_b32 v2, 0x80000000, v2, v3
	v_bfe_u32 v3, v3, 16, 1
	v_cmp_o_f32_e32 vcc_lo, v2, v2
	s_delay_alu instid0(VALU_DEP_2) | instskip(NEXT) | instid1(VALU_DEP_1)
	v_add3_u32 v3, v2, v3, 0x7fff
	v_lshrrev_b32_e32 v3, 16, v3
	s_delay_alu instid0(VALU_DEP_1)
	v_cndmask_b32_e32 v2, 0x7fc0, v3, vcc_lo
.LBB174_875:
	s_mov_b32 s27, 0
	s_mov_b32 s28, -1
.LBB174_876:
	s_and_not1_b32 vcc_lo, exec_lo, s27
	s_mov_b32 s27, 0
	s_cbranch_vccnz .LBB174_887
; %bb.877:
	s_cmp_gt_i32 s25, 14
	s_cbranch_scc0 .LBB174_880
; %bb.878:
	s_cmp_eq_u32 s25, 15
	s_cbranch_scc0 .LBB174_883
; %bb.879:
	s_wait_loadcnt 0x0
	global_load_u16 v2, v[0:1], off
	s_mov_b32 s26, 0
	s_mov_b32 s28, -1
	s_branch .LBB174_885
.LBB174_880:
	s_mov_b32 s27, -1
	s_branch .LBB174_884
.LBB174_881:
	s_or_saveexec_b32 s28, s28
	v_mov_b32_e32 v3, 0x7f800001
	s_xor_b32 exec_lo, exec_lo, s28
	s_cbranch_execz .LBB174_862
.LBB174_882:
	v_cmp_ne_u16_e32 vcc_lo, 0, v2
	v_mov_b32_e32 v3, 0
	s_and_not1_b32 s27, s27, exec_lo
	s_and_b32 s29, vcc_lo, exec_lo
	s_delay_alu instid0(SALU_CYCLE_1)
	s_or_b32 s27, s27, s29
	s_or_b32 exec_lo, exec_lo, s28
	s_and_saveexec_b32 s28, s27
	s_cbranch_execnz .LBB174_863
	s_branch .LBB174_864
.LBB174_883:
	s_mov_b32 s26, -1
.LBB174_884:
                                        ; implicit-def: $vgpr2
.LBB174_885:
	s_and_b32 vcc_lo, exec_lo, s27
	s_mov_b32 s27, 0
	s_cbranch_vccz .LBB174_887
; %bb.886:
	s_cmp_lg_u32 s25, 11
	s_mov_b32 s27, -1
	s_cselect_b32 s25, -1, 0
	s_and_not1_b32 s26, s26, exec_lo
	s_and_b32 s25, s25, exec_lo
	s_delay_alu instid0(SALU_CYCLE_1)
	s_or_b32 s26, s26, s25
.LBB174_887:
	v_mov_b32_e32 v3, 0
.LBB174_888:
	s_mov_b32 s25, 0
.LBB174_889:
	s_and_not1_b32 s30, s0, exec_lo
	s_and_b32 s26, s26, exec_lo
	s_and_b32 s28, s28, exec_lo
	;; [unrolled: 1-line block ×4, first 2 shown]
	s_or_b32 s26, s30, s26
.LBB174_890:
	s_wait_xcnt 0x0
	s_or_b32 exec_lo, exec_lo, s16
	s_delay_alu instid0(SALU_CYCLE_1)
	s_and_not1_b32 s0, s0, exec_lo
	s_and_b32 s16, s26, exec_lo
	s_and_b32 s28, s28, exec_lo
	;; [unrolled: 1-line block ×4, first 2 shown]
	s_or_b32 s0, s0, s16
.LBB174_891:
	s_or_b32 exec_lo, exec_lo, s23
	s_delay_alu instid0(SALU_CYCLE_1)
	s_and_not1_b32 s16, s21, exec_lo
	s_and_b32 s21, s24, exec_lo
	s_and_b32 s0, s0, exec_lo
	s_or_b32 s21, s16, s21
	s_and_not1_b32 s16, s20, exec_lo
	s_and_b32 s25, s28, exec_lo
	s_and_b32 s24, s27, exec_lo
	;; [unrolled: 1-line block ×3, first 2 shown]
	s_or_b32 s20, s16, s0
.LBB174_892:
	s_or_b32 exec_lo, exec_lo, s22
	s_delay_alu instid0(SALU_CYCLE_1)
	s_and_not1_b32 s0, s17, exec_lo
	s_and_b32 s16, s21, exec_lo
	s_and_b32 s21, s24, exec_lo
	s_or_b32 s17, s0, s16
	s_and_not1_b32 s16, s18, exec_lo
	s_and_b32 s18, s20, exec_lo
	s_and_b32 s0, s25, exec_lo
	;; [unrolled: 1-line block ×3, first 2 shown]
	s_or_b32 s18, s16, s18
	s_or_b32 exec_lo, exec_lo, s19
	s_mov_b32 s16, 0
	s_and_saveexec_b32 s19, s18
	s_cbranch_execz .LBB174_270
.LBB174_893:
	s_mov_b32 s16, exec_lo
	s_and_not1_b32 s20, s20, exec_lo
	s_trap 2
	s_or_b32 exec_lo, exec_lo, s19
	s_and_saveexec_b32 s18, s20
	s_delay_alu instid0(SALU_CYCLE_1)
	s_xor_b32 s18, exec_lo, s18
	s_cbranch_execnz .LBB174_271
.LBB174_894:
	s_or_b32 exec_lo, exec_lo, s18
	s_and_saveexec_b32 s18, s21
	s_cbranch_execz .LBB174_942
.LBB174_895:
	s_sext_i32_i16 s19, s3
	s_delay_alu instid0(SALU_CYCLE_1)
	s_cmp_lt_i32 s19, 5
	s_cbranch_scc1 .LBB174_900
; %bb.896:
	s_cmp_lt_i32 s19, 8
	s_cbranch_scc1 .LBB174_901
; %bb.897:
	;; [unrolled: 3-line block ×3, first 2 shown]
	s_cmp_gt_i32 s19, 9
	s_cbranch_scc0 .LBB174_903
; %bb.899:
	global_load_b128 v[6:9], v[0:1], off
	s_mov_b32 s19, 0
	s_wait_loadcnt 0x0
	v_cvt_f32_f64_e32 v2, v[6:7]
	v_cvt_f32_f64_e32 v3, v[8:9]
	s_delay_alu instid0(VALU_DEP_2) | instskip(NEXT) | instid1(VALU_DEP_2)
	v_bfe_u32 v5, v2, 16, 1
	v_bfe_u32 v6, v3, 16, 1
	v_cmp_o_f32_e32 vcc_lo, v2, v2
	s_delay_alu instid0(VALU_DEP_3) | instskip(NEXT) | instid1(VALU_DEP_3)
	v_add3_u32 v5, v2, v5, 0x7fff
	v_add3_u32 v6, v3, v6, 0x7fff
	s_delay_alu instid0(VALU_DEP_2) | instskip(NEXT) | instid1(VALU_DEP_2)
	v_lshrrev_b32_e32 v5, 16, v5
	v_and_b32_e32 v6, 0xffff0000, v6
	s_delay_alu instid0(VALU_DEP_2) | instskip(SKIP_1) | instid1(VALU_DEP_3)
	v_cndmask_b32_e32 v2, 0x7fc0, v5, vcc_lo
	v_cmp_o_f32_e32 vcc_lo, v3, v3
	v_cndmask_b32_e32 v3, 0x7fc00000, v6, vcc_lo
	s_branch .LBB174_904
.LBB174_900:
                                        ; implicit-def: $vgpr3
                                        ; implicit-def: $vgpr2
	s_branch .LBB174_922
.LBB174_901:
                                        ; implicit-def: $vgpr3
                                        ; implicit-def: $vgpr2
	s_branch .LBB174_910
.LBB174_902:
	s_mov_b32 s19, -1
                                        ; implicit-def: $vgpr3
                                        ; implicit-def: $vgpr2
	s_branch .LBB174_907
.LBB174_903:
	s_mov_b32 s19, -1
                                        ; implicit-def: $vgpr3
                                        ; implicit-def: $vgpr2
.LBB174_904:
	s_delay_alu instid0(SALU_CYCLE_1)
	s_and_not1_b32 vcc_lo, exec_lo, s19
	s_cbranch_vccnz .LBB174_906
; %bb.905:
	s_wait_loadcnt 0x0
	global_load_b64 v[2:3], v[0:1], off
	s_wait_loadcnt 0x0
	v_bfe_u32 v5, v2, 16, 1
	v_bfe_u32 v6, v3, 16, 1
	v_cmp_o_f32_e32 vcc_lo, v2, v2
	s_delay_alu instid0(VALU_DEP_3) | instskip(NEXT) | instid1(VALU_DEP_3)
	v_add3_u32 v5, v2, v5, 0x7fff
	v_add3_u32 v6, v3, v6, 0x7fff
	s_delay_alu instid0(VALU_DEP_2) | instskip(NEXT) | instid1(VALU_DEP_2)
	v_lshrrev_b32_e32 v5, 16, v5
	v_and_b32_e32 v6, 0xffff0000, v6
	s_delay_alu instid0(VALU_DEP_2) | instskip(SKIP_1) | instid1(VALU_DEP_3)
	v_cndmask_b32_e32 v2, 0x7fc0, v5, vcc_lo
	v_cmp_o_f32_e32 vcc_lo, v3, v3
	v_cndmask_b32_e32 v3, 0x7fc00000, v6, vcc_lo
.LBB174_906:
	s_mov_b32 s19, 0
.LBB174_907:
	s_delay_alu instid0(SALU_CYCLE_1)
	s_and_not1_b32 vcc_lo, exec_lo, s19
	s_cbranch_vccnz .LBB174_909
; %bb.908:
	s_wait_loadcnt 0x0
	global_load_b32 v2, v[0:1], off
	s_wait_loadcnt 0x0
	v_cvt_f32_f16_e32 v5, v2
	v_cmp_o_f16_e32 vcc_lo, v2, v2
	s_delay_alu instid0(VALU_DEP_2) | instskip(NEXT) | instid1(VALU_DEP_1)
	v_bfe_u32 v7, v5, 16, 1
	v_add3_u32 v5, v5, v7, 0x7fff
	s_delay_alu instid0(VALU_DEP_1) | instskip(NEXT) | instid1(VALU_DEP_1)
	v_dual_lshrrev_b32 v3, 16, v2 :: v_dual_lshrrev_b32 v5, 16, v5
	v_cvt_f32_f16_e32 v6, v3
	s_delay_alu instid0(VALU_DEP_2) | instskip(NEXT) | instid1(VALU_DEP_2)
	v_cndmask_b32_e32 v2, 0x7fc0, v5, vcc_lo
	v_bfe_u32 v8, v6, 16, 1
	v_cmp_o_f16_e32 vcc_lo, v3, v3
	s_delay_alu instid0(VALU_DEP_2) | instskip(NEXT) | instid1(VALU_DEP_1)
	v_add3_u32 v6, v6, v8, 0x7fff
	v_and_b32_e32 v6, 0xffff0000, v6
	s_delay_alu instid0(VALU_DEP_1)
	v_cndmask_b32_e32 v3, 0x7fc00000, v6, vcc_lo
.LBB174_909:
	s_cbranch_execnz .LBB174_921
.LBB174_910:
	s_sext_i32_i16 s19, s3
	s_delay_alu instid0(SALU_CYCLE_1)
	s_cmp_lt_i32 s19, 6
	s_cbranch_scc1 .LBB174_913
; %bb.911:
	s_cmp_gt_i32 s19, 6
	s_cbranch_scc0 .LBB174_914
; %bb.912:
	s_wait_loadcnt 0x0
	global_load_b64 v[2:3], v[0:1], off
	s_mov_b32 s19, 0
	s_wait_loadcnt 0x0
	v_cvt_f32_f64_e32 v2, v[2:3]
	s_delay_alu instid0(VALU_DEP_1) | instskip(SKIP_1) | instid1(VALU_DEP_2)
	v_bfe_u32 v3, v2, 16, 1
	v_cmp_o_f32_e32 vcc_lo, v2, v2
	v_add3_u32 v3, v2, v3, 0x7fff
	s_delay_alu instid0(VALU_DEP_1) | instskip(NEXT) | instid1(VALU_DEP_1)
	v_lshrrev_b32_e32 v3, 16, v3
	v_cndmask_b32_e32 v2, 0x7fc0, v3, vcc_lo
	s_branch .LBB174_915
.LBB174_913:
	s_mov_b32 s19, -1
                                        ; implicit-def: $vgpr2
	s_branch .LBB174_918
.LBB174_914:
	s_mov_b32 s19, -1
                                        ; implicit-def: $vgpr2
.LBB174_915:
	s_delay_alu instid0(SALU_CYCLE_1)
	s_and_not1_b32 vcc_lo, exec_lo, s19
	s_cbranch_vccnz .LBB174_917
; %bb.916:
	s_wait_loadcnt 0x0
	global_load_b32 v2, v[0:1], off
	s_wait_loadcnt 0x0
	v_bfe_u32 v3, v2, 16, 1
	v_cmp_o_f32_e32 vcc_lo, v2, v2
	s_delay_alu instid0(VALU_DEP_2) | instskip(NEXT) | instid1(VALU_DEP_1)
	v_add3_u32 v3, v2, v3, 0x7fff
	v_lshrrev_b32_e32 v3, 16, v3
	s_delay_alu instid0(VALU_DEP_1)
	v_cndmask_b32_e32 v2, 0x7fc0, v3, vcc_lo
.LBB174_917:
	s_mov_b32 s19, 0
.LBB174_918:
	s_delay_alu instid0(SALU_CYCLE_1)
	s_and_not1_b32 vcc_lo, exec_lo, s19
	s_cbranch_vccnz .LBB174_920
; %bb.919:
	s_wait_loadcnt 0x0
	global_load_u16 v2, v[0:1], off
	s_wait_loadcnt 0x0
	v_cvt_f32_f16_e32 v3, v2
	v_cmp_o_f16_e32 vcc_lo, v2, v2
	s_delay_alu instid0(VALU_DEP_2) | instskip(NEXT) | instid1(VALU_DEP_1)
	v_bfe_u32 v5, v3, 16, 1
	v_add3_u32 v3, v3, v5, 0x7fff
	s_delay_alu instid0(VALU_DEP_1) | instskip(NEXT) | instid1(VALU_DEP_1)
	v_lshrrev_b32_e32 v3, 16, v3
	v_cndmask_b32_e32 v2, 0x7fc0, v3, vcc_lo
.LBB174_920:
	v_mov_b32_e32 v3, 0
.LBB174_921:
	s_cbranch_execnz .LBB174_941
.LBB174_922:
	s_sext_i32_i16 s19, s3
	s_delay_alu instid0(SALU_CYCLE_1)
	s_cmp_lt_i32 s19, 2
	s_cbranch_scc1 .LBB174_926
; %bb.923:
	s_cmp_lt_i32 s19, 3
	s_cbranch_scc1 .LBB174_927
; %bb.924:
	s_cmp_gt_i32 s19, 3
	s_cbranch_scc0 .LBB174_928
; %bb.925:
	s_wait_loadcnt 0x0
	global_load_b64 v[2:3], v[0:1], off
	s_mov_b32 s19, 0
	s_wait_loadcnt 0x0
	v_xor_b32_e32 v5, v2, v3
	v_cls_i32_e32 v6, v3
	s_delay_alu instid0(VALU_DEP_2) | instskip(NEXT) | instid1(VALU_DEP_1)
	v_ashrrev_i32_e32 v5, 31, v5
	v_add_nc_u32_e32 v5, 32, v5
	s_delay_alu instid0(VALU_DEP_1) | instskip(NEXT) | instid1(VALU_DEP_1)
	v_add_min_u32_e64 v5, v6, -1, v5
	v_lshlrev_b64_e32 v[2:3], v5, v[2:3]
	s_delay_alu instid0(VALU_DEP_1) | instskip(NEXT) | instid1(VALU_DEP_1)
	v_min_u32_e32 v2, 1, v2
	v_dual_sub_nc_u32 v3, 32, v5 :: v_dual_bitop2_b32 v2, v3, v2 bitop3:0x54
	s_delay_alu instid0(VALU_DEP_1) | instskip(NEXT) | instid1(VALU_DEP_1)
	v_cvt_f32_i32_e32 v2, v2
	v_ldexp_f32 v2, v2, v3
	s_delay_alu instid0(VALU_DEP_1) | instskip(NEXT) | instid1(VALU_DEP_1)
	v_bfe_u32 v3, v2, 16, 1
	v_add3_u32 v2, v2, v3, 0x7fff
	s_delay_alu instid0(VALU_DEP_1)
	v_lshrrev_b32_e32 v2, 16, v2
	s_branch .LBB174_929
.LBB174_926:
                                        ; implicit-def: $vgpr2
	s_branch .LBB174_935
.LBB174_927:
	s_mov_b32 s19, -1
                                        ; implicit-def: $vgpr2
	s_branch .LBB174_932
.LBB174_928:
	s_mov_b32 s19, -1
                                        ; implicit-def: $vgpr2
.LBB174_929:
	s_delay_alu instid0(SALU_CYCLE_1)
	s_and_not1_b32 vcc_lo, exec_lo, s19
	s_cbranch_vccnz .LBB174_931
; %bb.930:
	s_wait_loadcnt 0x0
	global_load_b32 v2, v[0:1], off
	s_wait_loadcnt 0x0
	v_cvt_f32_i32_e32 v2, v2
	s_delay_alu instid0(VALU_DEP_1) | instskip(NEXT) | instid1(VALU_DEP_1)
	v_bfe_u32 v3, v2, 16, 1
	v_add3_u32 v2, v2, v3, 0x7fff
	s_delay_alu instid0(VALU_DEP_1)
	v_lshrrev_b32_e32 v2, 16, v2
.LBB174_931:
	s_mov_b32 s19, 0
.LBB174_932:
	s_delay_alu instid0(SALU_CYCLE_1)
	s_and_not1_b32 vcc_lo, exec_lo, s19
	s_cbranch_vccnz .LBB174_934
; %bb.933:
	s_wait_loadcnt 0x0
	global_load_i16 v2, v[0:1], off
	s_wait_loadcnt 0x0
	v_cvt_f32_i32_e32 v2, v2
	s_delay_alu instid0(VALU_DEP_1) | instskip(NEXT) | instid1(VALU_DEP_1)
	v_bfe_u32 v3, v2, 16, 1
	v_add3_u32 v2, v2, v3, 0x7fff
	s_delay_alu instid0(VALU_DEP_1)
	v_lshrrev_b32_e32 v2, 16, v2
.LBB174_934:
	s_cbranch_execnz .LBB174_940
.LBB174_935:
	s_sext_i32_i16 s19, s3
	s_delay_alu instid0(SALU_CYCLE_1)
	s_cmp_gt_i32 s19, 0
	s_mov_b32 s19, 0
	s_cbranch_scc0 .LBB174_937
; %bb.936:
	s_wait_loadcnt 0x0
	global_load_i8 v2, v[0:1], off
	s_wait_loadcnt 0x0
	v_cvt_f32_i32_e32 v2, v2
	s_delay_alu instid0(VALU_DEP_1) | instskip(NEXT) | instid1(VALU_DEP_1)
	v_bfe_u32 v3, v2, 16, 1
	v_add3_u32 v2, v2, v3, 0x7fff
	s_delay_alu instid0(VALU_DEP_1)
	v_lshrrev_b32_e32 v2, 16, v2
	s_branch .LBB174_938
.LBB174_937:
	s_mov_b32 s19, -1
                                        ; implicit-def: $vgpr2
.LBB174_938:
	s_delay_alu instid0(SALU_CYCLE_1)
	s_and_not1_b32 vcc_lo, exec_lo, s19
	s_cbranch_vccnz .LBB174_940
; %bb.939:
	global_load_u8 v0, v[0:1], off
	s_wait_loadcnt 0x0
	v_cvt_f32_ubyte0_e32 v0, v0
	s_delay_alu instid0(VALU_DEP_1) | instskip(NEXT) | instid1(VALU_DEP_1)
	v_bfe_u32 v1, v0, 16, 1
	v_add3_u32 v0, v0, v1, 0x7fff
	s_delay_alu instid0(VALU_DEP_1)
	v_lshrrev_b32_e32 v2, 16, v0
.LBB174_940:
	v_mov_b32_e32 v3, 0
.LBB174_941:
	s_or_b32 s0, s0, exec_lo
.LBB174_942:
	s_wait_xcnt 0x0
	s_or_b32 exec_lo, exec_lo, s18
	s_mov_b32 s22, 0
	s_mov_b32 s21, 0
                                        ; implicit-def: $sgpr18
                                        ; implicit-def: $sgpr19
                                        ; implicit-def: $vgpr0_vgpr1
	s_and_saveexec_b32 s20, s0
	s_cbranch_execz .LBB174_953
; %bb.943:
	s_wait_loadcnt 0x0
	v_and_b32_e32 v0, 0xffff, v2
	v_and_b32_e32 v1, 0xffff0000, v3
	s_and_not1_b32 vcc_lo, exec_lo, s15
	s_delay_alu instid0(VALU_DEP_2) | instskip(NEXT) | instid1(VALU_DEP_1)
	v_or_b32_e32 v0, v3, v0
	v_lshlrev_b32_e32 v0, 16, v0
	s_cbranch_vccnz .LBB174_957
; %bb.944:
	s_delay_alu instid0(VALU_DEP_1)
	v_cmp_neq_f32_e32 vcc_lo, s13, v0
	v_cmp_neq_f32_e64 s0, s14, v1
	s_or_b32 s18, vcc_lo, s0
	s_cbranch_execnz .LBB174_946
.LBB174_945:
	s_delay_alu instid0(VALU_DEP_1) | instskip(SKIP_3) | instid1(SALU_CYCLE_1)
	v_cmp_eq_f32_e32 vcc_lo, s13, v0
	v_cmp_eq_f32_e64 s0, s14, v1
	s_and_not1_b32 s13, s18, exec_lo
	s_and_b32 s0, vcc_lo, s0
	s_and_b32 s0, s0, exec_lo
	s_delay_alu instid0(SALU_CYCLE_1)
	s_or_b32 s18, s13, s0
.LBB174_946:
	v_mul_lo_u32 v0, v4, s8
	s_and_b32 s19, s2, 0xff
	s_delay_alu instid0(SALU_CYCLE_1) | instskip(NEXT) | instid1(VALU_DEP_1)
	s_cmp_lt_i32 s19, 11
	v_ashrrev_i32_e32 v1, 31, v0
	s_delay_alu instid0(VALU_DEP_1)
	v_add_nc_u64_e32 v[0:1], s[4:5], v[0:1]
	s_cbranch_scc1 .LBB174_956
; %bb.947:
	s_and_b32 s13, 0xffff, s19
	s_mov_b32 s14, -1
	s_cmp_gt_i32 s13, 25
	s_mov_b32 s0, s17
	s_cbranch_scc0 .LBB174_985
; %bb.948:
	s_cmp_gt_i32 s13, 28
	s_mov_b32 s0, s17
	s_cbranch_scc0 .LBB174_969
; %bb.949:
	;; [unrolled: 4-line block ×4, first 2 shown]
	s_cmp_eq_u32 s13, 46
	s_mov_b32 s0, -1
	s_cbranch_scc0 .LBB174_958
; %bb.952:
	v_cndmask_b32_e64 v2, 0, 1.0, s18
	s_mov_b32 s0, 0
	s_mov_b32 s14, 0
	s_delay_alu instid0(VALU_DEP_1) | instskip(NEXT) | instid1(VALU_DEP_1)
	v_bfe_u32 v3, v2, 16, 1
	v_add3_u32 v2, v2, v3, 0x7fff
	s_delay_alu instid0(VALU_DEP_1)
	v_lshrrev_b32_e32 v2, 16, v2
	global_store_b32 v[0:1], v2, off
	s_branch .LBB174_959
.LBB174_953:
	s_or_b32 exec_lo, exec_lo, s20
	s_and_saveexec_b32 s0, s17
	s_cbranch_execnz .LBB174_1027
.LBB174_954:
	s_or_b32 exec_lo, exec_lo, s0
	s_and_saveexec_b32 s0, s22
	s_delay_alu instid0(SALU_CYCLE_1)
	s_xor_b32 s0, exec_lo, s0
	s_cbranch_execz .LBB174_1028
.LBB174_955:
	s_wait_loadcnt 0x0
	v_cndmask_b32_e64 v2, 0, 1, s18
	global_store_b8 v[0:1], v2, off
	s_wait_xcnt 0x0
	s_or_b32 exec_lo, exec_lo, s0
	s_and_saveexec_b32 s0, s21
	s_delay_alu instid0(SALU_CYCLE_1)
	s_xor_b32 s0, exec_lo, s0
	s_cbranch_execz .LBB174_1066
	s_branch .LBB174_1029
.LBB174_956:
	s_mov_b32 s15, 0
	s_mov_b32 s14, -1
	s_mov_b32 s0, s17
	s_branch .LBB174_1026
.LBB174_957:
                                        ; implicit-def: $sgpr18
	s_branch .LBB174_945
.LBB174_958:
	s_mov_b32 s14, 0
.LBB174_959:
	s_delay_alu instid0(SALU_CYCLE_1)
	s_and_b32 vcc_lo, exec_lo, s14
	s_cbranch_vccz .LBB174_964
; %bb.960:
	s_cmp_eq_u32 s13, 44
	s_mov_b32 s0, -1
	s_cbranch_scc0 .LBB174_964
; %bb.961:
	v_cndmask_b32_e64 v4, 0, 1.0, s18
	s_mov_b32 s14, exec_lo
	s_wait_xcnt 0x0
	s_delay_alu instid0(VALU_DEP_1) | instskip(NEXT) | instid1(VALU_DEP_1)
	v_dual_mov_b32 v3, 0xff :: v_dual_lshrrev_b32 v2, 23, v4
	v_cmpx_ne_u32_e32 0xff, v2
; %bb.962:
	v_and_b32_e32 v3, 0x400000, v4
	v_and_or_b32 v4, 0x3fffff, v4, v2
	s_delay_alu instid0(VALU_DEP_2) | instskip(NEXT) | instid1(VALU_DEP_2)
	v_cmp_ne_u32_e32 vcc_lo, 0, v3
	v_cmp_ne_u32_e64 s0, 0, v4
	s_and_b32 s0, vcc_lo, s0
	s_delay_alu instid0(SALU_CYCLE_1) | instskip(NEXT) | instid1(VALU_DEP_1)
	v_cndmask_b32_e64 v3, 0, 1, s0
	v_add_nc_u32_e32 v3, v2, v3
; %bb.963:
	s_or_b32 exec_lo, exec_lo, s14
	s_mov_b32 s0, 0
	global_store_b8 v[0:1], v3, off
.LBB174_964:
	s_mov_b32 s14, 0
.LBB174_965:
	s_delay_alu instid0(SALU_CYCLE_1)
	s_and_b32 vcc_lo, exec_lo, s14
	s_cbranch_vccz .LBB174_968
; %bb.966:
	s_cmp_eq_u32 s13, 29
	s_mov_b32 s0, -1
	s_cbranch_scc0 .LBB174_968
; %bb.967:
	s_mov_b32 s0, 0
	s_wait_xcnt 0x0
	v_cndmask_b32_e64 v2, 0, 1, s18
	v_mov_b32_e32 v3, s0
	s_mov_b32 s14, 0
	global_store_b64 v[0:1], v[2:3], off
	s_branch .LBB174_969
.LBB174_968:
	s_mov_b32 s14, 0
.LBB174_969:
	s_delay_alu instid0(SALU_CYCLE_1)
	s_and_b32 vcc_lo, exec_lo, s14
	s_cbranch_vccz .LBB174_984
; %bb.970:
	s_cmp_lt_i32 s13, 27
	s_mov_b32 s14, -1
	s_cbranch_scc1 .LBB174_976
; %bb.971:
	s_wait_xcnt 0x0
	v_cndmask_b32_e64 v2, 0, 1, s18
	s_cmp_gt_i32 s13, 27
	s_cbranch_scc0 .LBB174_973
; %bb.972:
	s_mov_b32 s14, 0
	global_store_b32 v[0:1], v2, off
.LBB174_973:
	s_and_not1_b32 vcc_lo, exec_lo, s14
	s_cbranch_vccnz .LBB174_975
; %bb.974:
	global_store_b16 v[0:1], v2, off
.LBB174_975:
	s_mov_b32 s14, 0
.LBB174_976:
	s_delay_alu instid0(SALU_CYCLE_1)
	s_and_not1_b32 vcc_lo, exec_lo, s14
	s_cbranch_vccnz .LBB174_984
; %bb.977:
	s_wait_xcnt 0x0
	v_cndmask_b32_e64 v3, 0, 1.0, s18
	v_mov_b32_e32 v4, 0x80
	s_mov_b32 s14, exec_lo
	s_delay_alu instid0(VALU_DEP_2)
	v_cmpx_gt_u32_e32 0x43800000, v3
	s_cbranch_execz .LBB174_983
; %bb.978:
	s_mov_b32 s15, 0
	s_mov_b32 s21, exec_lo
                                        ; implicit-def: $vgpr2
	v_cmpx_lt_u32_e32 0x3bffffff, v3
	s_xor_b32 s21, exec_lo, s21
	s_cbranch_execz .LBB174_1081
; %bb.979:
	v_bfe_u32 v2, v3, 20, 1
	s_mov_b32 s15, exec_lo
	s_delay_alu instid0(VALU_DEP_1) | instskip(NEXT) | instid1(VALU_DEP_1)
	v_add3_u32 v2, v3, v2, 0x487ffff
                                        ; implicit-def: $vgpr3
	v_lshrrev_b32_e32 v2, 20, v2
	s_and_not1_saveexec_b32 s21, s21
	s_cbranch_execnz .LBB174_1082
.LBB174_980:
	s_or_b32 exec_lo, exec_lo, s21
	v_mov_b32_e32 v4, 0
	s_and_saveexec_b32 s21, s15
.LBB174_981:
	v_mov_b32_e32 v4, v2
.LBB174_982:
	s_or_b32 exec_lo, exec_lo, s21
.LBB174_983:
	s_delay_alu instid0(SALU_CYCLE_1)
	s_or_b32 exec_lo, exec_lo, s14
	global_store_b8 v[0:1], v4, off
.LBB174_984:
	s_mov_b32 s14, 0
.LBB174_985:
	s_delay_alu instid0(SALU_CYCLE_1)
	s_and_b32 vcc_lo, exec_lo, s14
	s_mov_b32 s14, 0
	s_cbranch_vccz .LBB174_1025
; %bb.986:
	s_cmp_gt_i32 s13, 22
	s_mov_b32 s15, -1
	s_cbranch_scc0 .LBB174_1018
; %bb.987:
	s_cmp_lt_i32 s13, 24
	s_cbranch_scc1 .LBB174_1007
; %bb.988:
	s_cmp_gt_i32 s13, 24
	s_cbranch_scc0 .LBB174_996
; %bb.989:
	s_wait_xcnt 0x0
	v_cndmask_b32_e64 v3, 0, 1.0, s18
	v_mov_b32_e32 v4, 0x80
	s_mov_b32 s15, exec_lo
	s_delay_alu instid0(VALU_DEP_2)
	v_cmpx_gt_u32_e32 0x47800000, v3
	s_cbranch_execz .LBB174_995
; %bb.990:
	s_mov_b32 s21, 0
	s_mov_b32 s22, exec_lo
                                        ; implicit-def: $vgpr2
	v_cmpx_lt_u32_e32 0x37ffffff, v3
	s_xor_b32 s22, exec_lo, s22
	s_cbranch_execz .LBB174_1216
; %bb.991:
	v_bfe_u32 v2, v3, 21, 1
	s_mov_b32 s21, exec_lo
	s_delay_alu instid0(VALU_DEP_1) | instskip(NEXT) | instid1(VALU_DEP_1)
	v_add3_u32 v2, v3, v2, 0x88fffff
                                        ; implicit-def: $vgpr3
	v_lshrrev_b32_e32 v2, 21, v2
	s_and_not1_saveexec_b32 s22, s22
	s_cbranch_execnz .LBB174_1217
.LBB174_992:
	s_or_b32 exec_lo, exec_lo, s22
	v_mov_b32_e32 v4, 0
	s_and_saveexec_b32 s22, s21
.LBB174_993:
	v_mov_b32_e32 v4, v2
.LBB174_994:
	s_or_b32 exec_lo, exec_lo, s22
.LBB174_995:
	s_delay_alu instid0(SALU_CYCLE_1)
	s_or_b32 exec_lo, exec_lo, s15
	s_mov_b32 s15, 0
	global_store_b8 v[0:1], v4, off
.LBB174_996:
	s_and_b32 vcc_lo, exec_lo, s15
	s_cbranch_vccz .LBB174_1006
; %bb.997:
	s_wait_xcnt 0x0
	v_cndmask_b32_e64 v3, 0, 1.0, s18
	s_mov_b32 s15, exec_lo
                                        ; implicit-def: $vgpr2
	s_delay_alu instid0(VALU_DEP_1)
	v_cmpx_gt_u32_e32 0x43f00000, v3
	s_xor_b32 s15, exec_lo, s15
	s_cbranch_execz .LBB174_1003
; %bb.998:
	s_mov_b32 s21, exec_lo
                                        ; implicit-def: $vgpr2
	v_cmpx_lt_u32_e32 0x3c7fffff, v3
	s_xor_b32 s21, exec_lo, s21
; %bb.999:
	v_bfe_u32 v2, v3, 20, 1
	s_delay_alu instid0(VALU_DEP_1) | instskip(NEXT) | instid1(VALU_DEP_1)
	v_add3_u32 v2, v3, v2, 0x407ffff
	v_and_b32_e32 v3, 0xff00000, v2
	v_lshrrev_b32_e32 v2, 20, v2
	s_delay_alu instid0(VALU_DEP_2) | instskip(NEXT) | instid1(VALU_DEP_2)
	v_cmp_ne_u32_e32 vcc_lo, 0x7f00000, v3
                                        ; implicit-def: $vgpr3
	v_cndmask_b32_e32 v2, 0x7e, v2, vcc_lo
; %bb.1000:
	s_and_not1_saveexec_b32 s21, s21
; %bb.1001:
	v_add_f32_e32 v2, 0x46800000, v3
; %bb.1002:
	s_or_b32 exec_lo, exec_lo, s21
                                        ; implicit-def: $vgpr3
.LBB174_1003:
	s_and_not1_saveexec_b32 s15, s15
; %bb.1004:
	v_mov_b32_e32 v2, 0x7f
	v_cmp_lt_u32_e32 vcc_lo, 0x7f800000, v3
	s_delay_alu instid0(VALU_DEP_2)
	v_cndmask_b32_e32 v2, 0x7e, v2, vcc_lo
; %bb.1005:
	s_or_b32 exec_lo, exec_lo, s15
	global_store_b8 v[0:1], v2, off
.LBB174_1006:
	s_mov_b32 s15, 0
.LBB174_1007:
	s_delay_alu instid0(SALU_CYCLE_1)
	s_and_not1_b32 vcc_lo, exec_lo, s15
	s_cbranch_vccnz .LBB174_1017
; %bb.1008:
	s_wait_xcnt 0x0
	v_cndmask_b32_e64 v3, 0, 1.0, s18
	s_mov_b32 s15, exec_lo
                                        ; implicit-def: $vgpr2
	s_delay_alu instid0(VALU_DEP_1)
	v_cmpx_gt_u32_e32 0x47800000, v3
	s_xor_b32 s15, exec_lo, s15
	s_cbranch_execz .LBB174_1014
; %bb.1009:
	s_mov_b32 s21, exec_lo
                                        ; implicit-def: $vgpr2
	v_cmpx_lt_u32_e32 0x387fffff, v3
	s_xor_b32 s21, exec_lo, s21
; %bb.1010:
	v_bfe_u32 v2, v3, 21, 1
	s_delay_alu instid0(VALU_DEP_1) | instskip(NEXT) | instid1(VALU_DEP_1)
	v_add3_u32 v2, v3, v2, 0x80fffff
                                        ; implicit-def: $vgpr3
	v_lshrrev_b32_e32 v2, 21, v2
; %bb.1011:
	s_and_not1_saveexec_b32 s21, s21
; %bb.1012:
	v_add_f32_e32 v2, 0x43000000, v3
; %bb.1013:
	s_or_b32 exec_lo, exec_lo, s21
                                        ; implicit-def: $vgpr3
.LBB174_1014:
	s_and_not1_saveexec_b32 s15, s15
; %bb.1015:
	v_mov_b32_e32 v2, 0x7f
	v_cmp_lt_u32_e32 vcc_lo, 0x7f800000, v3
	s_delay_alu instid0(VALU_DEP_2)
	v_cndmask_b32_e32 v2, 0x7c, v2, vcc_lo
; %bb.1016:
	s_or_b32 exec_lo, exec_lo, s15
	global_store_b8 v[0:1], v2, off
.LBB174_1017:
	s_mov_b32 s15, 0
.LBB174_1018:
	s_delay_alu instid0(SALU_CYCLE_1)
	s_and_not1_b32 vcc_lo, exec_lo, s15
	s_mov_b32 s15, 0
	s_cbranch_vccnz .LBB174_1026
; %bb.1019:
	s_cmp_gt_i32 s13, 14
	s_mov_b32 s15, -1
	s_cbranch_scc0 .LBB174_1023
; %bb.1020:
	s_cmp_eq_u32 s13, 15
	s_mov_b32 s0, -1
	s_cbranch_scc0 .LBB174_1022
; %bb.1021:
	s_wait_xcnt 0x0
	v_cndmask_b32_e64 v2, 0, 1.0, s18
	s_mov_b32 s0, 0
	s_delay_alu instid0(VALU_DEP_1) | instskip(NEXT) | instid1(VALU_DEP_1)
	v_bfe_u32 v3, v2, 16, 1
	v_add3_u32 v2, v2, v3, 0x7fff
	global_store_d16_hi_b16 v[0:1], v2, off
.LBB174_1022:
	s_mov_b32 s15, 0
.LBB174_1023:
	s_delay_alu instid0(SALU_CYCLE_1)
	s_and_b32 vcc_lo, exec_lo, s15
	s_mov_b32 s15, 0
	s_cbranch_vccz .LBB174_1026
; %bb.1024:
	s_cmp_lg_u32 s13, 11
	s_mov_b32 s15, -1
	s_cselect_b32 s13, -1, 0
	s_and_not1_b32 s0, s0, exec_lo
	s_and_b32 s13, s13, exec_lo
	s_delay_alu instid0(SALU_CYCLE_1)
	s_or_b32 s0, s0, s13
	s_branch .LBB174_1026
.LBB174_1025:
	s_mov_b32 s15, 0
.LBB174_1026:
	s_and_not1_b32 s13, s17, exec_lo
	s_and_b32 s0, s0, exec_lo
	s_and_b32 s21, s14, exec_lo
	;; [unrolled: 1-line block ×3, first 2 shown]
	s_or_b32 s17, s13, s0
	s_wait_xcnt 0x0
	s_or_b32 exec_lo, exec_lo, s20
	s_and_saveexec_b32 s0, s17
	s_cbranch_execz .LBB174_954
.LBB174_1027:
	s_or_b32 s16, s16, exec_lo
	s_and_not1_b32 s22, s22, exec_lo
	s_trap 2
	s_or_b32 exec_lo, exec_lo, s0
	s_and_saveexec_b32 s0, s22
	s_delay_alu instid0(SALU_CYCLE_1)
	s_xor_b32 s0, exec_lo, s0
	s_cbranch_execnz .LBB174_955
.LBB174_1028:
	s_or_b32 exec_lo, exec_lo, s0
	s_and_saveexec_b32 s0, s21
	s_delay_alu instid0(SALU_CYCLE_1)
	s_xor_b32 s0, exec_lo, s0
	s_cbranch_execz .LBB174_1066
.LBB174_1029:
	s_sext_i32_i16 s14, s19
	s_mov_b32 s13, -1
	s_cmp_lt_i32 s14, 5
	s_cbranch_scc1 .LBB174_1050
; %bb.1030:
	s_cmp_lt_i32 s14, 8
	s_cbranch_scc1 .LBB174_1040
; %bb.1031:
	s_cmp_lt_i32 s14, 9
	s_cbranch_scc1 .LBB174_1037
; %bb.1032:
	s_cmp_gt_i32 s14, 9
	s_cbranch_scc0 .LBB174_1034
; %bb.1033:
	s_wait_loadcnt 0x0
	v_cndmask_b32_e64 v2, 0, 1, s18
	v_mov_b32_e32 v4, 0
	s_mov_b32 s13, 0
	s_delay_alu instid0(VALU_DEP_2) | instskip(NEXT) | instid1(VALU_DEP_2)
	v_cvt_f64_u32_e32 v[2:3], v2
	v_mov_b32_e32 v5, v4
	global_store_b128 v[0:1], v[2:5], off
.LBB174_1034:
	s_and_not1_b32 vcc_lo, exec_lo, s13
	s_cbranch_vccnz .LBB174_1036
; %bb.1035:
	s_wait_loadcnt 0x0
	v_cndmask_b32_e64 v2, 0, 1.0, s18
	v_mov_b32_e32 v3, 0
	global_store_b64 v[0:1], v[2:3], off
.LBB174_1036:
	s_mov_b32 s13, 0
.LBB174_1037:
	s_delay_alu instid0(SALU_CYCLE_1)
	s_and_not1_b32 vcc_lo, exec_lo, s13
	s_cbranch_vccnz .LBB174_1039
; %bb.1038:
	s_wait_loadcnt 0x0
	v_cndmask_b32_e64 v2, 0, 1.0, s18
	s_delay_alu instid0(VALU_DEP_1) | instskip(NEXT) | instid1(VALU_DEP_1)
	v_cvt_f16_f32_e32 v2, v2
	v_and_b32_e32 v2, 0xffff, v2
	global_store_b32 v[0:1], v2, off
.LBB174_1039:
	s_mov_b32 s13, 0
.LBB174_1040:
	s_delay_alu instid0(SALU_CYCLE_1)
	s_and_not1_b32 vcc_lo, exec_lo, s13
	s_cbranch_vccnz .LBB174_1049
; %bb.1041:
	s_sext_i32_i16 s14, s19
	s_mov_b32 s13, -1
	s_cmp_lt_i32 s14, 6
	s_cbranch_scc1 .LBB174_1047
; %bb.1042:
	s_cmp_gt_i32 s14, 6
	s_cbranch_scc0 .LBB174_1044
; %bb.1043:
	s_wait_loadcnt 0x0
	v_cndmask_b32_e64 v2, 0, 1, s18
	s_mov_b32 s13, 0
	s_delay_alu instid0(VALU_DEP_1)
	v_cvt_f64_u32_e32 v[2:3], v2
	global_store_b64 v[0:1], v[2:3], off
.LBB174_1044:
	s_and_not1_b32 vcc_lo, exec_lo, s13
	s_cbranch_vccnz .LBB174_1046
; %bb.1045:
	s_wait_loadcnt 0x0
	v_cndmask_b32_e64 v2, 0, 1.0, s18
	global_store_b32 v[0:1], v2, off
.LBB174_1046:
	s_mov_b32 s13, 0
.LBB174_1047:
	s_delay_alu instid0(SALU_CYCLE_1)
	s_and_not1_b32 vcc_lo, exec_lo, s13
	s_cbranch_vccnz .LBB174_1049
; %bb.1048:
	s_wait_loadcnt 0x0
	v_cndmask_b32_e64 v2, 0, 1.0, s18
	s_delay_alu instid0(VALU_DEP_1)
	v_cvt_f16_f32_e32 v2, v2
	global_store_b16 v[0:1], v2, off
.LBB174_1049:
	s_mov_b32 s13, 0
.LBB174_1050:
	s_delay_alu instid0(SALU_CYCLE_1)
	s_and_not1_b32 vcc_lo, exec_lo, s13
	s_cbranch_vccnz .LBB174_1066
; %bb.1051:
	s_sext_i32_i16 s14, s19
	s_mov_b32 s13, -1
	s_cmp_lt_i32 s14, 2
	s_cbranch_scc1 .LBB174_1061
; %bb.1052:
	s_cmp_lt_i32 s14, 3
	s_cbranch_scc1 .LBB174_1058
; %bb.1053:
	s_cmp_gt_i32 s14, 3
	s_cbranch_scc0 .LBB174_1055
; %bb.1054:
	s_mov_b32 s13, 0
	s_wait_loadcnt 0x0
	v_cndmask_b32_e64 v2, 0, 1, s18
	v_mov_b32_e32 v3, s13
	global_store_b64 v[0:1], v[2:3], off
.LBB174_1055:
	s_and_not1_b32 vcc_lo, exec_lo, s13
	s_cbranch_vccnz .LBB174_1057
; %bb.1056:
	s_wait_loadcnt 0x0
	v_cndmask_b32_e64 v2, 0, 1, s18
	global_store_b32 v[0:1], v2, off
.LBB174_1057:
	s_mov_b32 s13, 0
.LBB174_1058:
	s_delay_alu instid0(SALU_CYCLE_1)
	s_and_not1_b32 vcc_lo, exec_lo, s13
	s_cbranch_vccnz .LBB174_1060
; %bb.1059:
	s_wait_loadcnt 0x0
	v_cndmask_b32_e64 v2, 0, 1, s18
	global_store_b16 v[0:1], v2, off
.LBB174_1060:
	s_mov_b32 s13, 0
.LBB174_1061:
	s_delay_alu instid0(SALU_CYCLE_1)
	s_and_not1_b32 vcc_lo, exec_lo, s13
	s_cbranch_vccnz .LBB174_1066
; %bb.1062:
	s_wait_loadcnt 0x0
	v_cndmask_b32_e64 v2, 0, 1, s18
	s_sext_i32_i16 s13, s19
	s_delay_alu instid0(SALU_CYCLE_1)
	s_cmp_gt_i32 s13, 0
	s_mov_b32 s13, -1
	s_cbranch_scc0 .LBB174_1064
; %bb.1063:
	s_mov_b32 s13, 0
	global_store_b8 v[0:1], v2, off
.LBB174_1064:
	s_and_not1_b32 vcc_lo, exec_lo, s13
	s_cbranch_vccnz .LBB174_1066
; %bb.1065:
	global_store_b8 v[0:1], v2, off
.LBB174_1066:
	s_wait_xcnt 0x0
	s_or_b32 exec_lo, exec_lo, s0
	s_delay_alu instid0(SALU_CYCLE_1)
	s_and_b32 s13, s16, exec_lo
                                        ; implicit-def: $vgpr4
.LBB174_1067:
	s_or_saveexec_b32 s12, s12
	s_mov_b32 s0, 0
                                        ; implicit-def: $sgpr15
                                        ; implicit-def: $sgpr16
                                        ; implicit-def: $vgpr0_vgpr1
	s_xor_b32 exec_lo, exec_lo, s12
	s_cbranch_execz .LBB174_1621
; %bb.1068:
	v_mul_lo_u32 v0, s9, v4
	s_and_b32 s3, 0xffff, s3
	s_delay_alu instid0(SALU_CYCLE_1) | instskip(NEXT) | instid1(VALU_DEP_1)
	s_cmp_lt_i32 s3, 11
	v_ashrrev_i32_e32 v1, 31, v0
	s_wait_loadcnt 0x0
	s_delay_alu instid0(VALU_DEP_1)
	v_add_nc_u64_e32 v[2:3], s[6:7], v[0:1]
	s_cbranch_scc1 .LBB174_1075
; %bb.1069:
	s_cmp_gt_i32 s3, 25
	s_mov_b32 s14, 0
	s_cbranch_scc0 .LBB174_1077
; %bb.1070:
	s_cmp_gt_i32 s3, 28
	s_cbranch_scc0 .LBB174_1078
; %bb.1071:
	s_cmp_gt_i32 s3, 43
	;; [unrolled: 3-line block ×3, first 2 shown]
	s_cbranch_scc0 .LBB174_1080
; %bb.1073:
	s_cmp_eq_u32 s3, 46
	s_cbranch_scc0 .LBB174_1083
; %bb.1074:
	global_load_b32 v1, v[2:3], off
	s_mov_b32 s15, -1
	s_wait_loadcnt 0x0
	v_and_b32_e32 v5, 0xffff0000, v1
	s_branch .LBB174_1085
.LBB174_1075:
	s_mov_b32 s15, 0
	s_mov_b32 s1, s13
                                        ; implicit-def: $vgpr5
                                        ; implicit-def: $vgpr1
	s_cbranch_execnz .LBB174_1151
.LBB174_1076:
	s_and_not1_b32 vcc_lo, exec_lo, s15
	s_cbranch_vccz .LBB174_1198
	s_branch .LBB174_1618
.LBB174_1077:
	s_mov_b32 s15, 0
                                        ; implicit-def: $vgpr5
                                        ; implicit-def: $vgpr1
	s_cbranch_execnz .LBB174_1115
	s_branch .LBB174_1147
.LBB174_1078:
	s_mov_b32 s15, 0
                                        ; implicit-def: $vgpr5
                                        ; implicit-def: $vgpr1
	s_cbranch_execnz .LBB174_1097
	s_branch .LBB174_1114
.LBB174_1079:
	s_mov_b32 s1, -1
	s_mov_b32 s15, 0
                                        ; implicit-def: $vgpr5
                                        ; implicit-def: $vgpr1
	s_branch .LBB174_1091
.LBB174_1080:
	s_mov_b32 s1, -1
	s_branch .LBB174_1084
.LBB174_1081:
	s_and_not1_saveexec_b32 s21, s21
	s_cbranch_execz .LBB174_980
.LBB174_1082:
	v_add_f32_e32 v2, 0x46000000, v3
	s_and_not1_b32 s15, s15, exec_lo
	s_delay_alu instid0(VALU_DEP_1) | instskip(NEXT) | instid1(VALU_DEP_1)
	v_and_b32_e32 v2, 0xff, v2
	v_cmp_ne_u32_e32 vcc_lo, 0, v2
	s_and_b32 s22, vcc_lo, exec_lo
	s_delay_alu instid0(SALU_CYCLE_1)
	s_or_b32 s15, s15, s22
	s_or_b32 exec_lo, exec_lo, s21
	v_mov_b32_e32 v4, 0
	s_and_saveexec_b32 s21, s15
	s_cbranch_execnz .LBB174_981
	s_branch .LBB174_982
.LBB174_1083:
	s_mov_b32 s0, -1
.LBB174_1084:
	s_mov_b32 s15, 0
                                        ; implicit-def: $vgpr5
                                        ; implicit-def: $vgpr1
.LBB174_1085:
	s_and_b32 vcc_lo, exec_lo, s1
	s_cbranch_vccz .LBB174_1090
; %bb.1086:
	s_cmp_eq_u32 s3, 44
	s_cbranch_scc0 .LBB174_1088
; %bb.1087:
	global_load_u8 v1, v[2:3], off
	s_mov_b32 s0, 0
	s_mov_b32 s15, -1
	s_wait_loadcnt 0x0
	v_lshlrev_b32_e32 v5, 23, v1
	v_cmp_ne_u32_e32 vcc_lo, 0xff, v1
	s_delay_alu instid0(VALU_DEP_2) | instskip(SKIP_1) | instid1(VALU_DEP_2)
	v_cndmask_b32_e32 v5, 0x7f800001, v5, vcc_lo
	v_cmp_ne_u32_e32 vcc_lo, 0, v1
	v_cndmask_b32_e32 v1, 0x400000, v5, vcc_lo
	s_delay_alu instid0(VALU_DEP_1) | instskip(SKIP_1) | instid1(VALU_DEP_2)
	v_add_nc_u32_e32 v5, 0x7fff, v1
	v_cmp_o_f32_e32 vcc_lo, v1, v1
	v_lshrrev_b32_e32 v5, 16, v5
	s_delay_alu instid0(VALU_DEP_1)
	v_cndmask_b32_e32 v1, 0x7fc0, v5, vcc_lo
	s_branch .LBB174_1089
.LBB174_1088:
	s_mov_b32 s0, -1
                                        ; implicit-def: $vgpr1
.LBB174_1089:
	v_mov_b32_e32 v5, 0
.LBB174_1090:
	s_mov_b32 s1, 0
.LBB174_1091:
	s_delay_alu instid0(SALU_CYCLE_1)
	s_and_b32 vcc_lo, exec_lo, s1
	s_cbranch_vccz .LBB174_1096
; %bb.1092:
	s_cmp_eq_u32 s3, 29
	s_cbranch_scc0 .LBB174_1094
; %bb.1093:
	global_load_b64 v[6:7], v[2:3], off
	s_mov_b32 s0, 0
	s_mov_b32 s15, -1
	s_wait_loadcnt 0x0
	v_clz_i32_u32_e32 v1, v7
	s_delay_alu instid0(VALU_DEP_1) | instskip(NEXT) | instid1(VALU_DEP_1)
	v_min_u32_e32 v1, 32, v1
	v_lshlrev_b64_e32 v[6:7], v1, v[6:7]
	v_sub_nc_u32_e32 v1, 32, v1
	s_delay_alu instid0(VALU_DEP_2) | instskip(NEXT) | instid1(VALU_DEP_1)
	v_min_u32_e32 v5, 1, v6
	v_or_b32_e32 v5, v7, v5
	s_delay_alu instid0(VALU_DEP_1) | instskip(NEXT) | instid1(VALU_DEP_1)
	v_cvt_f32_u32_e32 v5, v5
	v_ldexp_f32 v1, v5, v1
	s_delay_alu instid0(VALU_DEP_1) | instskip(NEXT) | instid1(VALU_DEP_1)
	v_bfe_u32 v5, v1, 16, 1
	v_add3_u32 v1, v1, v5, 0x7fff
	s_delay_alu instid0(VALU_DEP_1)
	v_lshrrev_b32_e32 v1, 16, v1
	s_branch .LBB174_1095
.LBB174_1094:
	s_mov_b32 s0, -1
                                        ; implicit-def: $vgpr1
.LBB174_1095:
	v_mov_b32_e32 v5, 0
.LBB174_1096:
	s_branch .LBB174_1114
.LBB174_1097:
	s_cmp_lt_i32 s3, 27
	s_cbranch_scc1 .LBB174_1100
; %bb.1098:
	s_cmp_gt_i32 s3, 27
	s_cbranch_scc0 .LBB174_1101
; %bb.1099:
	global_load_b32 v1, v[2:3], off
	s_mov_b32 s1, 0
	s_wait_loadcnt 0x0
	v_cvt_f32_u32_e32 v1, v1
	s_delay_alu instid0(VALU_DEP_1) | instskip(NEXT) | instid1(VALU_DEP_1)
	v_bfe_u32 v5, v1, 16, 1
	v_add3_u32 v1, v1, v5, 0x7fff
	s_delay_alu instid0(VALU_DEP_1)
	v_lshrrev_b32_e32 v1, 16, v1
	s_branch .LBB174_1102
.LBB174_1100:
	s_mov_b32 s1, -1
                                        ; implicit-def: $vgpr1
	s_branch .LBB174_1105
.LBB174_1101:
	s_mov_b32 s1, -1
                                        ; implicit-def: $vgpr1
.LBB174_1102:
	s_delay_alu instid0(SALU_CYCLE_1)
	s_and_not1_b32 vcc_lo, exec_lo, s1
	s_cbranch_vccnz .LBB174_1104
; %bb.1103:
	global_load_u16 v1, v[2:3], off
	s_wait_loadcnt 0x0
	v_cvt_f32_u32_e32 v1, v1
	s_delay_alu instid0(VALU_DEP_1) | instskip(NEXT) | instid1(VALU_DEP_1)
	v_bfe_u32 v5, v1, 16, 1
	v_add3_u32 v1, v1, v5, 0x7fff
	s_delay_alu instid0(VALU_DEP_1)
	v_lshrrev_b32_e32 v1, 16, v1
.LBB174_1104:
	s_mov_b32 s1, 0
.LBB174_1105:
	s_delay_alu instid0(SALU_CYCLE_1)
	s_and_not1_b32 vcc_lo, exec_lo, s1
	s_cbranch_vccnz .LBB174_1113
; %bb.1106:
	global_load_u8 v1, v[2:3], off
	s_mov_b32 s1, 0
	s_mov_b32 s15, exec_lo
	s_wait_loadcnt 0x0
	v_cmpx_lt_i16_e32 0x7f, v1
	s_xor_b32 s15, exec_lo, s15
	s_cbranch_execz .LBB174_1126
; %bb.1107:
	s_mov_b32 s1, -1
	s_mov_b32 s16, exec_lo
	v_cmpx_eq_u16_e32 0x80, v1
; %bb.1108:
	s_xor_b32 s1, exec_lo, -1
; %bb.1109:
	s_or_b32 exec_lo, exec_lo, s16
	s_delay_alu instid0(SALU_CYCLE_1)
	s_and_b32 s1, s1, exec_lo
	s_or_saveexec_b32 s15, s15
	v_mov_b32_e32 v5, 0x7f800001
	s_xor_b32 exec_lo, exec_lo, s15
	s_cbranch_execnz .LBB174_1127
.LBB174_1110:
	s_or_b32 exec_lo, exec_lo, s15
	s_and_saveexec_b32 s15, s1
	s_cbranch_execz .LBB174_1112
.LBB174_1111:
	v_and_b32_e32 v5, 0xffff, v1
	s_delay_alu instid0(VALU_DEP_1) | instskip(SKIP_1) | instid1(VALU_DEP_2)
	v_and_b32_e32 v6, 7, v5
	v_bfe_u32 v9, v5, 3, 4
	v_clz_i32_u32_e32 v7, v6
	s_delay_alu instid0(VALU_DEP_2) | instskip(NEXT) | instid1(VALU_DEP_2)
	v_cmp_eq_u32_e32 vcc_lo, 0, v9
	v_min_u32_e32 v7, 32, v7
	s_delay_alu instid0(VALU_DEP_1) | instskip(NEXT) | instid1(VALU_DEP_1)
	v_subrev_nc_u32_e32 v8, 28, v7
	v_dual_lshlrev_b32 v5, v8, v5 :: v_dual_sub_nc_u32 v7, 29, v7
	s_delay_alu instid0(VALU_DEP_1) | instskip(NEXT) | instid1(VALU_DEP_2)
	v_and_b32_e32 v5, 7, v5
	v_dual_lshlrev_b32 v1, 24, v1 :: v_dual_cndmask_b32 v7, v9, v7, vcc_lo
	s_delay_alu instid0(VALU_DEP_2) | instskip(NEXT) | instid1(VALU_DEP_2)
	v_cndmask_b32_e32 v5, v6, v5, vcc_lo
	v_and_b32_e32 v1, 0x80000000, v1
	s_delay_alu instid0(VALU_DEP_3) | instskip(NEXT) | instid1(VALU_DEP_3)
	v_lshl_add_u32 v6, v7, 23, 0x3b800000
	v_lshlrev_b32_e32 v5, 20, v5
	s_delay_alu instid0(VALU_DEP_1)
	v_or3_b32 v5, v1, v6, v5
.LBB174_1112:
	s_or_b32 exec_lo, exec_lo, s15
	s_delay_alu instid0(VALU_DEP_1) | instskip(SKIP_1) | instid1(VALU_DEP_2)
	v_bfe_u32 v1, v5, 16, 1
	v_cmp_o_f32_e32 vcc_lo, v5, v5
	v_add3_u32 v1, v5, v1, 0x7fff
	s_delay_alu instid0(VALU_DEP_1) | instskip(NEXT) | instid1(VALU_DEP_1)
	v_lshrrev_b32_e32 v1, 16, v1
	v_cndmask_b32_e32 v1, 0x7fc0, v1, vcc_lo
.LBB174_1113:
	v_mov_b32_e32 v5, 0
	s_mov_b32 s15, -1
.LBB174_1114:
	s_branch .LBB174_1147
.LBB174_1115:
	s_cmp_gt_i32 s3, 22
	s_cbranch_scc0 .LBB174_1125
; %bb.1116:
	s_cmp_lt_i32 s3, 24
	s_cbranch_scc1 .LBB174_1128
; %bb.1117:
	s_cmp_gt_i32 s3, 24
	s_cbranch_scc0 .LBB174_1129
; %bb.1118:
	global_load_u8 v1, v[2:3], off
	s_mov_b32 s1, 0
	s_mov_b32 s14, exec_lo
	s_wait_loadcnt 0x0
	v_cmpx_lt_i16_e32 0x7f, v1
	s_xor_b32 s14, exec_lo, s14
	s_cbranch_execz .LBB174_1140
; %bb.1119:
	s_mov_b32 s1, -1
	s_mov_b32 s15, exec_lo
	v_cmpx_eq_u16_e32 0x80, v1
; %bb.1120:
	s_xor_b32 s1, exec_lo, -1
; %bb.1121:
	s_or_b32 exec_lo, exec_lo, s15
	s_delay_alu instid0(SALU_CYCLE_1)
	s_and_b32 s1, s1, exec_lo
	s_or_saveexec_b32 s14, s14
	v_mov_b32_e32 v5, 0x7f800001
	s_xor_b32 exec_lo, exec_lo, s14
	s_cbranch_execnz .LBB174_1141
.LBB174_1122:
	s_or_b32 exec_lo, exec_lo, s14
	s_and_saveexec_b32 s14, s1
	s_cbranch_execz .LBB174_1124
.LBB174_1123:
	v_and_b32_e32 v5, 0xffff, v1
	s_delay_alu instid0(VALU_DEP_1) | instskip(SKIP_1) | instid1(VALU_DEP_2)
	v_and_b32_e32 v6, 3, v5
	v_bfe_u32 v9, v5, 2, 5
	v_clz_i32_u32_e32 v7, v6
	s_delay_alu instid0(VALU_DEP_2) | instskip(NEXT) | instid1(VALU_DEP_2)
	v_cmp_eq_u32_e32 vcc_lo, 0, v9
	v_min_u32_e32 v7, 32, v7
	s_delay_alu instid0(VALU_DEP_1) | instskip(NEXT) | instid1(VALU_DEP_1)
	v_subrev_nc_u32_e32 v8, 29, v7
	v_dual_lshlrev_b32 v5, v8, v5 :: v_dual_sub_nc_u32 v7, 30, v7
	s_delay_alu instid0(VALU_DEP_1) | instskip(NEXT) | instid1(VALU_DEP_2)
	v_and_b32_e32 v5, 3, v5
	v_dual_lshlrev_b32 v1, 24, v1 :: v_dual_cndmask_b32 v7, v9, v7, vcc_lo
	s_delay_alu instid0(VALU_DEP_2) | instskip(NEXT) | instid1(VALU_DEP_2)
	v_cndmask_b32_e32 v5, v6, v5, vcc_lo
	v_and_b32_e32 v1, 0x80000000, v1
	s_delay_alu instid0(VALU_DEP_3) | instskip(NEXT) | instid1(VALU_DEP_3)
	v_lshl_add_u32 v6, v7, 23, 0x37800000
	v_lshlrev_b32_e32 v5, 21, v5
	s_delay_alu instid0(VALU_DEP_1)
	v_or3_b32 v5, v1, v6, v5
.LBB174_1124:
	s_or_b32 exec_lo, exec_lo, s14
	s_delay_alu instid0(VALU_DEP_1) | instskip(SKIP_2) | instid1(VALU_DEP_2)
	v_bfe_u32 v1, v5, 16, 1
	v_cmp_o_f32_e32 vcc_lo, v5, v5
	s_mov_b32 s1, 0
	v_add3_u32 v1, v5, v1, 0x7fff
	s_delay_alu instid0(VALU_DEP_1) | instskip(NEXT) | instid1(VALU_DEP_1)
	v_lshrrev_b32_e32 v1, 16, v1
	v_cndmask_b32_e32 v1, 0x7fc0, v1, vcc_lo
	s_branch .LBB174_1130
.LBB174_1125:
                                        ; implicit-def: $vgpr1
	s_mov_b32 s14, 0
	s_branch .LBB174_1136
.LBB174_1126:
	s_or_saveexec_b32 s15, s15
	v_mov_b32_e32 v5, 0x7f800001
	s_xor_b32 exec_lo, exec_lo, s15
	s_cbranch_execz .LBB174_1110
.LBB174_1127:
	v_cmp_ne_u16_e32 vcc_lo, 0, v1
	v_mov_b32_e32 v5, 0
	s_and_not1_b32 s1, s1, exec_lo
	s_and_b32 s16, vcc_lo, exec_lo
	s_delay_alu instid0(SALU_CYCLE_1)
	s_or_b32 s1, s1, s16
	s_or_b32 exec_lo, exec_lo, s15
	s_and_saveexec_b32 s15, s1
	s_cbranch_execnz .LBB174_1111
	s_branch .LBB174_1112
.LBB174_1128:
	s_mov_b32 s1, -1
                                        ; implicit-def: $vgpr1
	s_branch .LBB174_1133
.LBB174_1129:
	s_mov_b32 s1, -1
                                        ; implicit-def: $vgpr1
.LBB174_1130:
	s_delay_alu instid0(SALU_CYCLE_1)
	s_and_b32 vcc_lo, exec_lo, s1
	s_cbranch_vccz .LBB174_1132
; %bb.1131:
	global_load_u8 v1, v[2:3], off
	s_wait_loadcnt 0x0
	v_lshlrev_b32_e32 v1, 24, v1
	s_delay_alu instid0(VALU_DEP_1) | instskip(NEXT) | instid1(VALU_DEP_1)
	v_and_b32_e32 v5, 0x7f000000, v1
	v_clz_i32_u32_e32 v6, v5
	v_cmp_ne_u32_e32 vcc_lo, 0, v5
	v_add_nc_u32_e32 v8, 0x1000000, v5
	s_delay_alu instid0(VALU_DEP_3) | instskip(NEXT) | instid1(VALU_DEP_1)
	v_min_u32_e32 v6, 32, v6
	v_sub_nc_u32_e64 v6, v6, 4 clamp
	s_delay_alu instid0(VALU_DEP_1) | instskip(NEXT) | instid1(VALU_DEP_1)
	v_dual_lshlrev_b32 v7, v6, v5 :: v_dual_lshlrev_b32 v6, 23, v6
	v_lshrrev_b32_e32 v7, 4, v7
	s_delay_alu instid0(VALU_DEP_1) | instskip(NEXT) | instid1(VALU_DEP_1)
	v_dual_sub_nc_u32 v6, v7, v6 :: v_dual_ashrrev_i32 v7, 8, v8
	v_add_nc_u32_e32 v6, 0x3c000000, v6
	s_delay_alu instid0(VALU_DEP_1) | instskip(NEXT) | instid1(VALU_DEP_1)
	v_and_or_b32 v6, 0x7f800000, v7, v6
	v_cndmask_b32_e32 v5, 0, v6, vcc_lo
	s_delay_alu instid0(VALU_DEP_1) | instskip(SKIP_1) | instid1(VALU_DEP_2)
	v_and_or_b32 v1, 0x80000000, v1, v5
	v_bfe_u32 v5, v5, 16, 1
	v_cmp_o_f32_e32 vcc_lo, v1, v1
	s_delay_alu instid0(VALU_DEP_2) | instskip(NEXT) | instid1(VALU_DEP_1)
	v_add3_u32 v5, v1, v5, 0x7fff
	v_lshrrev_b32_e32 v5, 16, v5
	s_delay_alu instid0(VALU_DEP_1)
	v_cndmask_b32_e32 v1, 0x7fc0, v5, vcc_lo
.LBB174_1132:
	s_mov_b32 s1, 0
.LBB174_1133:
	s_delay_alu instid0(SALU_CYCLE_1)
	s_and_not1_b32 vcc_lo, exec_lo, s1
	s_cbranch_vccnz .LBB174_1135
; %bb.1134:
	global_load_u8 v1, v[2:3], off
	s_wait_loadcnt 0x0
	v_lshlrev_b32_e32 v5, 25, v1
	v_lshlrev_b16 v1, 8, v1
	s_delay_alu instid0(VALU_DEP_1) | instskip(SKIP_1) | instid1(VALU_DEP_2)
	v_and_or_b32 v7, 0x7f00, v1, 0.5
	v_bfe_i32 v1, v1, 0, 16
	v_dual_add_f32 v7, -0.5, v7 :: v_dual_lshrrev_b32 v6, 4, v5
	v_cmp_gt_u32_e32 vcc_lo, 0x8000000, v5
	s_delay_alu instid0(VALU_DEP_2) | instskip(NEXT) | instid1(VALU_DEP_1)
	v_or_b32_e32 v6, 0x70000000, v6
	v_mul_f32_e32 v6, 0x7800000, v6
	s_delay_alu instid0(VALU_DEP_1) | instskip(NEXT) | instid1(VALU_DEP_1)
	v_cndmask_b32_e32 v5, v6, v7, vcc_lo
	v_and_or_b32 v1, 0x80000000, v1, v5
	v_bfe_u32 v5, v5, 16, 1
	s_delay_alu instid0(VALU_DEP_2) | instskip(NEXT) | instid1(VALU_DEP_2)
	v_cmp_o_f32_e32 vcc_lo, v1, v1
	v_add3_u32 v5, v1, v5, 0x7fff
	s_delay_alu instid0(VALU_DEP_1) | instskip(NEXT) | instid1(VALU_DEP_1)
	v_lshrrev_b32_e32 v5, 16, v5
	v_cndmask_b32_e32 v1, 0x7fc0, v5, vcc_lo
.LBB174_1135:
	s_mov_b32 s15, -1
	s_mov_b32 s14, 0
	s_cbranch_execnz .LBB174_1146
.LBB174_1136:
	s_cmp_gt_i32 s3, 14
	s_cbranch_scc0 .LBB174_1139
; %bb.1137:
	s_cmp_eq_u32 s3, 15
	s_cbranch_scc0 .LBB174_1142
; %bb.1138:
	global_load_u16 v1, v[2:3], off
	s_mov_b32 s0, 0
	s_mov_b32 s15, -1
	s_branch .LBB174_1143
.LBB174_1139:
	s_mov_b32 s1, -1
                                        ; implicit-def: $vgpr1
	s_branch .LBB174_1144
.LBB174_1140:
	s_or_saveexec_b32 s14, s14
	v_mov_b32_e32 v5, 0x7f800001
	s_xor_b32 exec_lo, exec_lo, s14
	s_cbranch_execz .LBB174_1122
.LBB174_1141:
	v_cmp_ne_u16_e32 vcc_lo, 0, v1
	v_mov_b32_e32 v5, 0
	s_and_not1_b32 s1, s1, exec_lo
	s_and_b32 s15, vcc_lo, exec_lo
	s_delay_alu instid0(SALU_CYCLE_1)
	s_or_b32 s1, s1, s15
	s_or_b32 exec_lo, exec_lo, s14
	s_and_saveexec_b32 s14, s1
	s_cbranch_execnz .LBB174_1123
	s_branch .LBB174_1124
.LBB174_1142:
	s_mov_b32 s0, -1
                                        ; implicit-def: $vgpr1
.LBB174_1143:
	s_mov_b32 s1, 0
.LBB174_1144:
	s_delay_alu instid0(SALU_CYCLE_1)
	s_and_b32 vcc_lo, exec_lo, s1
	s_cbranch_vccz .LBB174_1146
; %bb.1145:
	s_cmp_lg_u32 s3, 11
	s_mov_b32 s14, -1
	s_cselect_b32 s0, -1, 0
.LBB174_1146:
	v_mov_b32_e32 v5, 0
.LBB174_1147:
	s_and_b32 vcc_lo, exec_lo, s0
	s_mov_b32 s1, s13
	s_cbranch_vccnz .LBB174_1214
; %bb.1148:
	s_and_not1_b32 vcc_lo, exec_lo, s14
	s_cbranch_vccnz .LBB174_1150
.LBB174_1149:
	s_wait_loadcnt 0x0
	global_load_u8 v1, v[2:3], off
	s_mov_b32 s15, -1
	v_mov_b32_e32 v5, 0
	s_wait_loadcnt 0x0
	v_cmp_ne_u16_e32 vcc_lo, 0, v1
	v_cndmask_b32_e64 v1, 0, 1.0, vcc_lo
	s_delay_alu instid0(VALU_DEP_1)
	v_lshrrev_b32_e32 v1, 16, v1
.LBB174_1150:
	s_branch .LBB174_1076
.LBB174_1151:
	s_cmp_lt_i32 s3, 5
	s_cbranch_scc1 .LBB174_1156
; %bb.1152:
	s_cmp_lt_i32 s3, 8
	s_cbranch_scc1 .LBB174_1158
; %bb.1153:
	;; [unrolled: 3-line block ×3, first 2 shown]
	s_cmp_gt_i32 s3, 9
	s_cbranch_scc0 .LBB174_1160
; %bb.1155:
	global_load_b128 v[6:9], v[2:3], off
	s_mov_b32 s0, 0
	s_wait_loadcnt 0x0
	v_cvt_f32_f64_e32 v1, v[6:7]
	v_cvt_f32_f64_e32 v5, v[8:9]
	s_delay_alu instid0(VALU_DEP_2) | instskip(NEXT) | instid1(VALU_DEP_2)
	v_bfe_u32 v6, v1, 16, 1
	v_bfe_u32 v7, v5, 16, 1
	v_cmp_o_f32_e32 vcc_lo, v1, v1
	s_delay_alu instid0(VALU_DEP_3) | instskip(NEXT) | instid1(VALU_DEP_3)
	v_add3_u32 v6, v1, v6, 0x7fff
	v_add3_u32 v7, v5, v7, 0x7fff
	s_delay_alu instid0(VALU_DEP_1) | instskip(NEXT) | instid1(VALU_DEP_3)
	v_and_b32_e32 v7, 0xffff0000, v7
	v_lshrrev_b32_e32 v6, 16, v6
	s_delay_alu instid0(VALU_DEP_1) | instskip(SKIP_1) | instid1(VALU_DEP_4)
	v_cndmask_b32_e32 v1, 0x7fc0, v6, vcc_lo
	v_cmp_o_f32_e32 vcc_lo, v5, v5
	v_cndmask_b32_e32 v5, 0x7fc00000, v7, vcc_lo
	s_branch .LBB174_1161
.LBB174_1156:
                                        ; implicit-def: $vgpr5
                                        ; implicit-def: $vgpr1
	s_branch .LBB174_1179
.LBB174_1157:
	s_branch .LBB174_1198
.LBB174_1158:
                                        ; implicit-def: $vgpr5
                                        ; implicit-def: $vgpr1
	s_branch .LBB174_1167
.LBB174_1159:
	s_mov_b32 s0, -1
                                        ; implicit-def: $vgpr5
                                        ; implicit-def: $vgpr1
	s_branch .LBB174_1164
.LBB174_1160:
	s_mov_b32 s0, -1
                                        ; implicit-def: $vgpr5
                                        ; implicit-def: $vgpr1
.LBB174_1161:
	s_delay_alu instid0(SALU_CYCLE_1)
	s_and_not1_b32 vcc_lo, exec_lo, s0
	s_cbranch_vccnz .LBB174_1163
; %bb.1162:
	global_load_b64 v[6:7], v[2:3], off
	s_wait_loadcnt 0x0
	v_bfe_u32 v1, v6, 16, 1
	v_bfe_u32 v5, v7, 16, 1
	v_cmp_o_f32_e32 vcc_lo, v6, v6
	s_delay_alu instid0(VALU_DEP_3) | instskip(NEXT) | instid1(VALU_DEP_3)
	v_add3_u32 v1, v6, v1, 0x7fff
	v_add3_u32 v5, v7, v5, 0x7fff
	s_delay_alu instid0(VALU_DEP_2) | instskip(NEXT) | instid1(VALU_DEP_2)
	v_lshrrev_b32_e32 v1, 16, v1
	v_and_b32_e32 v5, 0xffff0000, v5
	s_delay_alu instid0(VALU_DEP_2) | instskip(SKIP_1) | instid1(VALU_DEP_3)
	v_cndmask_b32_e32 v1, 0x7fc0, v1, vcc_lo
	v_cmp_o_f32_e32 vcc_lo, v7, v7
	v_cndmask_b32_e32 v5, 0x7fc00000, v5, vcc_lo
.LBB174_1163:
	s_mov_b32 s0, 0
.LBB174_1164:
	s_delay_alu instid0(SALU_CYCLE_1)
	s_and_not1_b32 vcc_lo, exec_lo, s0
	s_cbranch_vccnz .LBB174_1166
; %bb.1165:
	s_wait_loadcnt 0x0
	global_load_b32 v1, v[2:3], off
	s_wait_loadcnt 0x0
	v_cvt_f32_f16_e32 v6, v1
	v_cmp_o_f16_e32 vcc_lo, v1, v1
	s_delay_alu instid0(VALU_DEP_2) | instskip(NEXT) | instid1(VALU_DEP_1)
	v_bfe_u32 v8, v6, 16, 1
	v_add3_u32 v6, v6, v8, 0x7fff
	s_delay_alu instid0(VALU_DEP_1) | instskip(NEXT) | instid1(VALU_DEP_1)
	v_dual_lshrrev_b32 v5, 16, v1 :: v_dual_lshrrev_b32 v6, 16, v6
	v_cvt_f32_f16_e32 v7, v5
	s_delay_alu instid0(VALU_DEP_2) | instskip(NEXT) | instid1(VALU_DEP_2)
	v_cndmask_b32_e32 v1, 0x7fc0, v6, vcc_lo
	v_bfe_u32 v9, v7, 16, 1
	v_cmp_o_f16_e32 vcc_lo, v5, v5
	s_delay_alu instid0(VALU_DEP_2) | instskip(NEXT) | instid1(VALU_DEP_1)
	v_add3_u32 v7, v7, v9, 0x7fff
	v_and_b32_e32 v7, 0xffff0000, v7
	s_delay_alu instid0(VALU_DEP_1)
	v_cndmask_b32_e32 v5, 0x7fc00000, v7, vcc_lo
.LBB174_1166:
	s_cbranch_execnz .LBB174_1178
.LBB174_1167:
	s_cmp_lt_i32 s3, 6
	s_cbranch_scc1 .LBB174_1170
; %bb.1168:
	s_cmp_gt_i32 s3, 6
	s_cbranch_scc0 .LBB174_1171
; %bb.1169:
	global_load_b64 v[6:7], v[2:3], off
	s_mov_b32 s0, 0
	s_wait_loadcnt 0x0
	v_cvt_f32_f64_e32 v1, v[6:7]
	s_delay_alu instid0(VALU_DEP_1) | instskip(SKIP_1) | instid1(VALU_DEP_2)
	v_bfe_u32 v5, v1, 16, 1
	v_cmp_o_f32_e32 vcc_lo, v1, v1
	v_add3_u32 v5, v1, v5, 0x7fff
	s_delay_alu instid0(VALU_DEP_1) | instskip(NEXT) | instid1(VALU_DEP_1)
	v_lshrrev_b32_e32 v5, 16, v5
	v_cndmask_b32_e32 v1, 0x7fc0, v5, vcc_lo
	s_branch .LBB174_1172
.LBB174_1170:
	s_mov_b32 s0, -1
                                        ; implicit-def: $vgpr1
	s_branch .LBB174_1175
.LBB174_1171:
	s_mov_b32 s0, -1
                                        ; implicit-def: $vgpr1
.LBB174_1172:
	s_delay_alu instid0(SALU_CYCLE_1)
	s_and_not1_b32 vcc_lo, exec_lo, s0
	s_cbranch_vccnz .LBB174_1174
; %bb.1173:
	s_wait_loadcnt 0x0
	global_load_b32 v1, v[2:3], off
	s_wait_loadcnt 0x0
	v_bfe_u32 v5, v1, 16, 1
	v_cmp_o_f32_e32 vcc_lo, v1, v1
	s_delay_alu instid0(VALU_DEP_2) | instskip(NEXT) | instid1(VALU_DEP_1)
	v_add3_u32 v5, v1, v5, 0x7fff
	v_lshrrev_b32_e32 v5, 16, v5
	s_delay_alu instid0(VALU_DEP_1)
	v_cndmask_b32_e32 v1, 0x7fc0, v5, vcc_lo
.LBB174_1174:
	s_mov_b32 s0, 0
.LBB174_1175:
	s_delay_alu instid0(SALU_CYCLE_1)
	s_and_not1_b32 vcc_lo, exec_lo, s0
	s_cbranch_vccnz .LBB174_1177
; %bb.1176:
	s_wait_loadcnt 0x0
	global_load_u16 v1, v[2:3], off
	s_wait_loadcnt 0x0
	v_cvt_f32_f16_e32 v5, v1
	v_cmp_o_f16_e32 vcc_lo, v1, v1
	s_delay_alu instid0(VALU_DEP_2) | instskip(NEXT) | instid1(VALU_DEP_1)
	v_bfe_u32 v6, v5, 16, 1
	v_add3_u32 v5, v5, v6, 0x7fff
	s_delay_alu instid0(VALU_DEP_1) | instskip(NEXT) | instid1(VALU_DEP_1)
	v_lshrrev_b32_e32 v5, 16, v5
	v_cndmask_b32_e32 v1, 0x7fc0, v5, vcc_lo
.LBB174_1177:
	v_mov_b32_e32 v5, 0
.LBB174_1178:
	s_cbranch_execnz .LBB174_1157
.LBB174_1179:
	s_cmp_lt_i32 s3, 2
	s_cbranch_scc1 .LBB174_1183
; %bb.1180:
	s_cmp_lt_i32 s3, 3
	s_cbranch_scc1 .LBB174_1184
; %bb.1181:
	s_cmp_gt_i32 s3, 3
	s_cbranch_scc0 .LBB174_1185
; %bb.1182:
	global_load_b64 v[6:7], v[2:3], off
	s_mov_b32 s0, 0
	s_wait_loadcnt 0x0
	v_xor_b32_e32 v1, v6, v7
	v_cls_i32_e32 v5, v7
	s_delay_alu instid0(VALU_DEP_2) | instskip(NEXT) | instid1(VALU_DEP_1)
	v_ashrrev_i32_e32 v1, 31, v1
	v_add_nc_u32_e32 v1, 32, v1
	s_delay_alu instid0(VALU_DEP_1) | instskip(NEXT) | instid1(VALU_DEP_1)
	v_add_min_u32_e64 v1, v5, -1, v1
	v_lshlrev_b64_e32 v[6:7], v1, v[6:7]
	v_sub_nc_u32_e32 v1, 32, v1
	s_delay_alu instid0(VALU_DEP_2) | instskip(NEXT) | instid1(VALU_DEP_1)
	v_min_u32_e32 v5, 1, v6
	v_or_b32_e32 v5, v7, v5
	s_delay_alu instid0(VALU_DEP_1) | instskip(NEXT) | instid1(VALU_DEP_1)
	v_cvt_f32_i32_e32 v5, v5
	v_ldexp_f32 v1, v5, v1
	s_delay_alu instid0(VALU_DEP_1) | instskip(NEXT) | instid1(VALU_DEP_1)
	v_bfe_u32 v5, v1, 16, 1
	v_add3_u32 v1, v1, v5, 0x7fff
	s_delay_alu instid0(VALU_DEP_1)
	v_lshrrev_b32_e32 v1, 16, v1
	s_branch .LBB174_1186
.LBB174_1183:
                                        ; implicit-def: $vgpr1
	s_branch .LBB174_1192
.LBB174_1184:
	s_mov_b32 s0, -1
                                        ; implicit-def: $vgpr1
	s_branch .LBB174_1189
.LBB174_1185:
	s_mov_b32 s0, -1
                                        ; implicit-def: $vgpr1
.LBB174_1186:
	s_delay_alu instid0(SALU_CYCLE_1)
	s_and_not1_b32 vcc_lo, exec_lo, s0
	s_cbranch_vccnz .LBB174_1188
; %bb.1187:
	s_wait_loadcnt 0x0
	global_load_b32 v1, v[2:3], off
	s_wait_loadcnt 0x0
	v_cvt_f32_i32_e32 v1, v1
	s_delay_alu instid0(VALU_DEP_1) | instskip(NEXT) | instid1(VALU_DEP_1)
	v_bfe_u32 v5, v1, 16, 1
	v_add3_u32 v1, v1, v5, 0x7fff
	s_delay_alu instid0(VALU_DEP_1)
	v_lshrrev_b32_e32 v1, 16, v1
.LBB174_1188:
	s_mov_b32 s0, 0
.LBB174_1189:
	s_delay_alu instid0(SALU_CYCLE_1)
	s_and_not1_b32 vcc_lo, exec_lo, s0
	s_cbranch_vccnz .LBB174_1191
; %bb.1190:
	s_wait_loadcnt 0x0
	global_load_i16 v1, v[2:3], off
	s_wait_loadcnt 0x0
	v_cvt_f32_i32_e32 v1, v1
	s_delay_alu instid0(VALU_DEP_1) | instskip(NEXT) | instid1(VALU_DEP_1)
	v_bfe_u32 v5, v1, 16, 1
	v_add3_u32 v1, v1, v5, 0x7fff
	s_delay_alu instid0(VALU_DEP_1)
	v_lshrrev_b32_e32 v1, 16, v1
.LBB174_1191:
	s_cbranch_execnz .LBB174_1197
.LBB174_1192:
	s_cmp_gt_i32 s3, 0
	s_mov_b32 s0, 0
	s_cbranch_scc0 .LBB174_1194
; %bb.1193:
	s_wait_loadcnt 0x0
	global_load_i8 v1, v[2:3], off
	s_wait_loadcnt 0x0
	v_cvt_f32_i32_e32 v1, v1
	s_delay_alu instid0(VALU_DEP_1) | instskip(NEXT) | instid1(VALU_DEP_1)
	v_bfe_u32 v5, v1, 16, 1
	v_add3_u32 v1, v1, v5, 0x7fff
	s_delay_alu instid0(VALU_DEP_1)
	v_lshrrev_b32_e32 v1, 16, v1
	s_branch .LBB174_1195
.LBB174_1194:
	s_mov_b32 s0, -1
                                        ; implicit-def: $vgpr1
.LBB174_1195:
	s_delay_alu instid0(SALU_CYCLE_1)
	s_and_not1_b32 vcc_lo, exec_lo, s0
	s_cbranch_vccnz .LBB174_1197
; %bb.1196:
	s_wait_loadcnt 0x0
	global_load_u8 v1, v[2:3], off
	s_wait_loadcnt 0x0
	v_cvt_f32_ubyte0_e32 v1, v1
	s_wait_xcnt 0x0
	s_delay_alu instid0(VALU_DEP_1) | instskip(NEXT) | instid1(VALU_DEP_1)
	v_bfe_u32 v2, v1, 16, 1
	v_add3_u32 v1, v1, v2, 0x7fff
	s_delay_alu instid0(VALU_DEP_1)
	v_lshrrev_b32_e32 v1, 16, v1
.LBB174_1197:
	v_mov_b32_e32 v5, 0
.LBB174_1198:
	s_wait_loadcnt 0x0
	s_delay_alu instid0(VALU_DEP_2)
	v_and_b32_e32 v1, 0xffff, v1
	s_cmp_lg_u32 s10, 0
	s_wait_xcnt 0x0
	v_and_b32_e32 v2, 0xffff0000, v5
	s_cselect_b32 s15, -1, 0
	s_mov_b32 s14, 0
	v_or_b32_e32 v1, v5, v1
	s_and_b32 vcc_lo, exec_lo, s15
	s_delay_alu instid0(VALU_DEP_1)
	v_lshlrev_b32_e32 v1, 16, v1
	s_cbranch_vccz .LBB174_1210
; %bb.1199:
	v_and_b32_e64 v3, 0xffff0000, s11
	s_lshl_b32 s0, s11, 16
	s_delay_alu instid0(VALU_DEP_2) | instid1(SALU_CYCLE_1)
	v_cmp_neq_f32_e32 vcc_lo, s0, v1
	s_delay_alu instid0(VALU_DEP_2)
	v_cmp_neq_f32_e64 s0, v3, v2
	s_or_b32 s10, vcc_lo, s0
	s_and_not1_b32 vcc_lo, exec_lo, s14
	s_cbranch_vccnz .LBB174_1201
.LBB174_1200:
	v_and_b32_e64 v3, 0xffff0000, s11
	s_lshl_b32 s0, s11, 16
	s_and_not1_b32 s10, s10, exec_lo
	v_cmp_eq_f32_e32 vcc_lo, s0, v1
	s_delay_alu instid0(VALU_DEP_2) | instskip(SKIP_1) | instid1(SALU_CYCLE_1)
	v_cmp_eq_f32_e64 s0, v3, v2
	s_and_b32 s0, vcc_lo, s0
	s_and_b32 s0, s0, exec_lo
	s_delay_alu instid0(SALU_CYCLE_1)
	s_or_b32 s10, s10, s0
.LBB174_1201:
	s_lshl_b32 s16, s9, 7
	s_cmp_lt_i32 s3, 11
	v_add_nc_u32_e32 v0, s16, v0
	s_delay_alu instid0(VALU_DEP_1) | instskip(NEXT) | instid1(VALU_DEP_1)
	v_ashrrev_i32_e32 v1, 31, v0
	v_add_nc_u64_e32 v[2:3], s[6:7], v[0:1]
	s_cbranch_scc1 .LBB174_1208
; %bb.1202:
	s_cmp_gt_i32 s3, 25
	s_mov_b32 s9, 0
	s_cbranch_scc0 .LBB174_1211
; %bb.1203:
	s_cmp_gt_i32 s3, 28
	s_cbranch_scc0 .LBB174_1212
; %bb.1204:
	s_cmp_gt_i32 s3, 43
	;; [unrolled: 3-line block ×3, first 2 shown]
	s_cbranch_scc0 .LBB174_1215
; %bb.1206:
	s_cmp_eq_u32 s3, 46
	s_mov_b32 s17, 0
	s_cbranch_scc0 .LBB174_1218
; %bb.1207:
	global_load_b32 v1, v[2:3], off
	s_mov_b32 s0, 0
	s_mov_b32 s14, -1
	s_wait_loadcnt 0x0
	v_and_b32_e32 v5, 0xffff0000, v1
	s_branch .LBB174_1220
.LBB174_1208:
	s_mov_b32 s14, 0
                                        ; implicit-def: $vgpr5
                                        ; implicit-def: $vgpr1
	s_cbranch_execnz .LBB174_1288
.LBB174_1209:
	s_and_not1_b32 vcc_lo, exec_lo, s14
	s_cbranch_vccnz .LBB174_1618
	s_branch .LBB174_1337
.LBB174_1210:
                                        ; implicit-def: $sgpr10
	s_branch .LBB174_1200
.LBB174_1211:
	s_mov_b32 s14, 0
	s_mov_b32 s0, 0
                                        ; implicit-def: $vgpr5
                                        ; implicit-def: $vgpr1
	s_cbranch_execnz .LBB174_1251
	s_branch .LBB174_1284
.LBB174_1212:
	s_mov_b32 s17, -1
	s_mov_b32 s14, 0
	s_mov_b32 s0, 0
                                        ; implicit-def: $vgpr5
                                        ; implicit-def: $vgpr1
	s_branch .LBB174_1232
.LBB174_1213:
	s_mov_b32 s17, -1
	s_mov_b32 s14, 0
	s_mov_b32 s0, 0
                                        ; implicit-def: $vgpr5
                                        ; implicit-def: $vgpr1
	s_branch .LBB174_1226
.LBB174_1214:
	s_or_b32 s1, s13, exec_lo
	s_trap 2
	s_cbranch_execz .LBB174_1149
	s_branch .LBB174_1150
.LBB174_1215:
	s_mov_b32 s17, -1
	s_mov_b32 s14, 0
	s_mov_b32 s0, 0
	s_branch .LBB174_1219
.LBB174_1216:
	s_and_not1_saveexec_b32 s22, s22
	s_cbranch_execz .LBB174_992
.LBB174_1217:
	v_add_f32_e32 v2, 0x42800000, v3
	s_and_not1_b32 s21, s21, exec_lo
	s_delay_alu instid0(VALU_DEP_1) | instskip(NEXT) | instid1(VALU_DEP_1)
	v_and_b32_e32 v2, 0xff, v2
	v_cmp_ne_u32_e32 vcc_lo, 0, v2
	s_and_b32 s23, vcc_lo, exec_lo
	s_delay_alu instid0(SALU_CYCLE_1)
	s_or_b32 s21, s21, s23
	s_or_b32 exec_lo, exec_lo, s22
	v_mov_b32_e32 v4, 0
	s_and_saveexec_b32 s22, s21
	s_cbranch_execnz .LBB174_993
	s_branch .LBB174_994
.LBB174_1218:
	s_mov_b32 s0, -1
	s_mov_b32 s14, 0
.LBB174_1219:
                                        ; implicit-def: $vgpr5
                                        ; implicit-def: $vgpr1
.LBB174_1220:
	s_and_b32 vcc_lo, exec_lo, s17
	s_cbranch_vccz .LBB174_1225
; %bb.1221:
	s_cmp_eq_u32 s3, 44
	s_cbranch_scc0 .LBB174_1223
; %bb.1222:
	global_load_u8 v1, v[2:3], off
	s_mov_b32 s0, 0
	s_mov_b32 s14, -1
	s_wait_loadcnt 0x0
	v_lshlrev_b32_e32 v5, 23, v1
	v_cmp_ne_u32_e32 vcc_lo, 0xff, v1
	s_delay_alu instid0(VALU_DEP_2) | instskip(SKIP_1) | instid1(VALU_DEP_2)
	v_cndmask_b32_e32 v5, 0x7f800001, v5, vcc_lo
	v_cmp_ne_u32_e32 vcc_lo, 0, v1
	v_cndmask_b32_e32 v1, 0x400000, v5, vcc_lo
	s_delay_alu instid0(VALU_DEP_1) | instskip(SKIP_1) | instid1(VALU_DEP_2)
	v_add_nc_u32_e32 v5, 0x7fff, v1
	v_cmp_o_f32_e32 vcc_lo, v1, v1
	v_lshrrev_b32_e32 v5, 16, v5
	s_delay_alu instid0(VALU_DEP_1)
	v_cndmask_b32_e32 v1, 0x7fc0, v5, vcc_lo
	s_branch .LBB174_1224
.LBB174_1223:
	s_mov_b32 s0, -1
                                        ; implicit-def: $vgpr1
.LBB174_1224:
	v_mov_b32_e32 v5, 0
.LBB174_1225:
	s_mov_b32 s17, 0
.LBB174_1226:
	s_delay_alu instid0(SALU_CYCLE_1)
	s_and_b32 vcc_lo, exec_lo, s17
	s_cbranch_vccz .LBB174_1231
; %bb.1227:
	s_cmp_eq_u32 s3, 29
	s_cbranch_scc0 .LBB174_1229
; %bb.1228:
	global_load_b64 v[6:7], v[2:3], off
	s_mov_b32 s0, 0
	s_mov_b32 s14, -1
	s_wait_loadcnt 0x0
	v_clz_i32_u32_e32 v1, v7
	s_delay_alu instid0(VALU_DEP_1) | instskip(NEXT) | instid1(VALU_DEP_1)
	v_min_u32_e32 v1, 32, v1
	v_lshlrev_b64_e32 v[6:7], v1, v[6:7]
	v_sub_nc_u32_e32 v1, 32, v1
	s_delay_alu instid0(VALU_DEP_2) | instskip(NEXT) | instid1(VALU_DEP_1)
	v_min_u32_e32 v5, 1, v6
	v_or_b32_e32 v5, v7, v5
	s_delay_alu instid0(VALU_DEP_1) | instskip(NEXT) | instid1(VALU_DEP_1)
	v_cvt_f32_u32_e32 v5, v5
	v_ldexp_f32 v1, v5, v1
	s_delay_alu instid0(VALU_DEP_1) | instskip(NEXT) | instid1(VALU_DEP_1)
	v_bfe_u32 v5, v1, 16, 1
	v_add3_u32 v1, v1, v5, 0x7fff
	s_delay_alu instid0(VALU_DEP_1)
	v_lshrrev_b32_e32 v1, 16, v1
	s_branch .LBB174_1230
.LBB174_1229:
	s_mov_b32 s0, -1
                                        ; implicit-def: $vgpr1
.LBB174_1230:
	v_mov_b32_e32 v5, 0
.LBB174_1231:
	s_mov_b32 s17, 0
.LBB174_1232:
	s_delay_alu instid0(SALU_CYCLE_1)
	s_and_b32 vcc_lo, exec_lo, s17
	s_cbranch_vccz .LBB174_1250
; %bb.1233:
	s_cmp_lt_i32 s3, 27
	s_cbranch_scc1 .LBB174_1236
; %bb.1234:
	s_cmp_gt_i32 s3, 27
	s_cbranch_scc0 .LBB174_1237
; %bb.1235:
	global_load_b32 v1, v[2:3], off
	s_mov_b32 s14, 0
	s_wait_loadcnt 0x0
	v_cvt_f32_u32_e32 v1, v1
	s_delay_alu instid0(VALU_DEP_1) | instskip(NEXT) | instid1(VALU_DEP_1)
	v_bfe_u32 v5, v1, 16, 1
	v_add3_u32 v1, v1, v5, 0x7fff
	s_delay_alu instid0(VALU_DEP_1)
	v_lshrrev_b32_e32 v1, 16, v1
	s_branch .LBB174_1238
.LBB174_1236:
	s_mov_b32 s14, -1
                                        ; implicit-def: $vgpr1
	s_branch .LBB174_1241
.LBB174_1237:
	s_mov_b32 s14, -1
                                        ; implicit-def: $vgpr1
.LBB174_1238:
	s_delay_alu instid0(SALU_CYCLE_1)
	s_and_not1_b32 vcc_lo, exec_lo, s14
	s_cbranch_vccnz .LBB174_1240
; %bb.1239:
	global_load_u16 v1, v[2:3], off
	s_wait_loadcnt 0x0
	v_cvt_f32_u32_e32 v1, v1
	s_delay_alu instid0(VALU_DEP_1) | instskip(NEXT) | instid1(VALU_DEP_1)
	v_bfe_u32 v5, v1, 16, 1
	v_add3_u32 v1, v1, v5, 0x7fff
	s_delay_alu instid0(VALU_DEP_1)
	v_lshrrev_b32_e32 v1, 16, v1
.LBB174_1240:
	s_mov_b32 s14, 0
.LBB174_1241:
	s_delay_alu instid0(SALU_CYCLE_1)
	s_and_not1_b32 vcc_lo, exec_lo, s14
	s_cbranch_vccnz .LBB174_1249
; %bb.1242:
	global_load_u8 v1, v[2:3], off
	s_mov_b32 s14, 0
	s_mov_b32 s17, exec_lo
	s_wait_loadcnt 0x0
	v_cmpx_lt_i16_e32 0x7f, v1
	s_xor_b32 s17, exec_lo, s17
	s_cbranch_execz .LBB174_1262
; %bb.1243:
	s_mov_b32 s14, -1
	s_mov_b32 s18, exec_lo
	v_cmpx_eq_u16_e32 0x80, v1
; %bb.1244:
	s_xor_b32 s14, exec_lo, -1
; %bb.1245:
	s_or_b32 exec_lo, exec_lo, s18
	s_delay_alu instid0(SALU_CYCLE_1)
	s_and_b32 s14, s14, exec_lo
	s_or_saveexec_b32 s17, s17
	v_mov_b32_e32 v5, 0x7f800001
	s_xor_b32 exec_lo, exec_lo, s17
	s_cbranch_execnz .LBB174_1263
.LBB174_1246:
	s_or_b32 exec_lo, exec_lo, s17
	s_and_saveexec_b32 s17, s14
	s_cbranch_execz .LBB174_1248
.LBB174_1247:
	v_and_b32_e32 v5, 0xffff, v1
	s_delay_alu instid0(VALU_DEP_1) | instskip(SKIP_1) | instid1(VALU_DEP_2)
	v_and_b32_e32 v6, 7, v5
	v_bfe_u32 v9, v5, 3, 4
	v_clz_i32_u32_e32 v7, v6
	s_delay_alu instid0(VALU_DEP_2) | instskip(NEXT) | instid1(VALU_DEP_2)
	v_cmp_eq_u32_e32 vcc_lo, 0, v9
	v_min_u32_e32 v7, 32, v7
	s_delay_alu instid0(VALU_DEP_1) | instskip(NEXT) | instid1(VALU_DEP_1)
	v_subrev_nc_u32_e32 v8, 28, v7
	v_dual_lshlrev_b32 v5, v8, v5 :: v_dual_sub_nc_u32 v7, 29, v7
	s_delay_alu instid0(VALU_DEP_1) | instskip(NEXT) | instid1(VALU_DEP_2)
	v_and_b32_e32 v5, 7, v5
	v_dual_lshlrev_b32 v1, 24, v1 :: v_dual_cndmask_b32 v7, v9, v7, vcc_lo
	s_delay_alu instid0(VALU_DEP_2) | instskip(NEXT) | instid1(VALU_DEP_2)
	v_cndmask_b32_e32 v5, v6, v5, vcc_lo
	v_and_b32_e32 v1, 0x80000000, v1
	s_delay_alu instid0(VALU_DEP_3) | instskip(NEXT) | instid1(VALU_DEP_3)
	v_lshl_add_u32 v6, v7, 23, 0x3b800000
	v_lshlrev_b32_e32 v5, 20, v5
	s_delay_alu instid0(VALU_DEP_1)
	v_or3_b32 v5, v1, v6, v5
.LBB174_1248:
	s_or_b32 exec_lo, exec_lo, s17
	s_delay_alu instid0(VALU_DEP_1) | instskip(SKIP_1) | instid1(VALU_DEP_2)
	v_bfe_u32 v1, v5, 16, 1
	v_cmp_o_f32_e32 vcc_lo, v5, v5
	v_add3_u32 v1, v5, v1, 0x7fff
	s_delay_alu instid0(VALU_DEP_1) | instskip(NEXT) | instid1(VALU_DEP_1)
	v_lshrrev_b32_e32 v1, 16, v1
	v_cndmask_b32_e32 v1, 0x7fc0, v1, vcc_lo
.LBB174_1249:
	v_mov_b32_e32 v5, 0
	s_mov_b32 s14, -1
.LBB174_1250:
	s_branch .LBB174_1284
.LBB174_1251:
	s_cmp_gt_i32 s3, 22
	s_cbranch_scc0 .LBB174_1261
; %bb.1252:
	s_cmp_lt_i32 s3, 24
	s_cbranch_scc1 .LBB174_1264
; %bb.1253:
	s_cmp_gt_i32 s3, 24
	s_cbranch_scc0 .LBB174_1265
; %bb.1254:
	global_load_u8 v1, v[2:3], off
	s_mov_b32 s14, exec_lo
	s_wait_loadcnt 0x0
	v_cmpx_lt_i16_e32 0x7f, v1
	s_xor_b32 s14, exec_lo, s14
	s_cbranch_execz .LBB174_1277
; %bb.1255:
	s_mov_b32 s9, -1
	s_mov_b32 s17, exec_lo
	v_cmpx_eq_u16_e32 0x80, v1
; %bb.1256:
	s_xor_b32 s9, exec_lo, -1
; %bb.1257:
	s_or_b32 exec_lo, exec_lo, s17
	s_delay_alu instid0(SALU_CYCLE_1)
	s_and_b32 s9, s9, exec_lo
	s_or_saveexec_b32 s14, s14
	v_mov_b32_e32 v5, 0x7f800001
	s_xor_b32 exec_lo, exec_lo, s14
	s_cbranch_execnz .LBB174_1278
.LBB174_1258:
	s_or_b32 exec_lo, exec_lo, s14
	s_and_saveexec_b32 s14, s9
	s_cbranch_execz .LBB174_1260
.LBB174_1259:
	v_and_b32_e32 v5, 0xffff, v1
	s_delay_alu instid0(VALU_DEP_1) | instskip(SKIP_1) | instid1(VALU_DEP_2)
	v_and_b32_e32 v6, 3, v5
	v_bfe_u32 v9, v5, 2, 5
	v_clz_i32_u32_e32 v7, v6
	s_delay_alu instid0(VALU_DEP_2) | instskip(NEXT) | instid1(VALU_DEP_2)
	v_cmp_eq_u32_e32 vcc_lo, 0, v9
	v_min_u32_e32 v7, 32, v7
	s_delay_alu instid0(VALU_DEP_1) | instskip(NEXT) | instid1(VALU_DEP_1)
	v_subrev_nc_u32_e32 v8, 29, v7
	v_dual_lshlrev_b32 v5, v8, v5 :: v_dual_sub_nc_u32 v7, 30, v7
	s_delay_alu instid0(VALU_DEP_1) | instskip(NEXT) | instid1(VALU_DEP_2)
	v_and_b32_e32 v5, 3, v5
	v_dual_lshlrev_b32 v1, 24, v1 :: v_dual_cndmask_b32 v7, v9, v7, vcc_lo
	s_delay_alu instid0(VALU_DEP_2) | instskip(NEXT) | instid1(VALU_DEP_2)
	v_cndmask_b32_e32 v5, v6, v5, vcc_lo
	v_and_b32_e32 v1, 0x80000000, v1
	s_delay_alu instid0(VALU_DEP_3) | instskip(NEXT) | instid1(VALU_DEP_3)
	v_lshl_add_u32 v6, v7, 23, 0x37800000
	v_lshlrev_b32_e32 v5, 21, v5
	s_delay_alu instid0(VALU_DEP_1)
	v_or3_b32 v5, v1, v6, v5
.LBB174_1260:
	s_or_b32 exec_lo, exec_lo, s14
	s_delay_alu instid0(VALU_DEP_1) | instskip(SKIP_2) | instid1(VALU_DEP_2)
	v_bfe_u32 v1, v5, 16, 1
	v_cmp_o_f32_e32 vcc_lo, v5, v5
	s_mov_b32 s9, 0
	v_add3_u32 v1, v5, v1, 0x7fff
	s_delay_alu instid0(VALU_DEP_1) | instskip(NEXT) | instid1(VALU_DEP_1)
	v_lshrrev_b32_e32 v1, 16, v1
	v_cndmask_b32_e32 v1, 0x7fc0, v1, vcc_lo
	s_branch .LBB174_1266
.LBB174_1261:
	s_mov_b32 s9, -1
                                        ; implicit-def: $vgpr1
	s_branch .LBB174_1272
.LBB174_1262:
	s_or_saveexec_b32 s17, s17
	v_mov_b32_e32 v5, 0x7f800001
	s_xor_b32 exec_lo, exec_lo, s17
	s_cbranch_execz .LBB174_1246
.LBB174_1263:
	v_cmp_ne_u16_e32 vcc_lo, 0, v1
	v_mov_b32_e32 v5, 0
	s_and_not1_b32 s14, s14, exec_lo
	s_and_b32 s18, vcc_lo, exec_lo
	s_delay_alu instid0(SALU_CYCLE_1)
	s_or_b32 s14, s14, s18
	s_or_b32 exec_lo, exec_lo, s17
	s_and_saveexec_b32 s17, s14
	s_cbranch_execnz .LBB174_1247
	s_branch .LBB174_1248
.LBB174_1264:
	s_mov_b32 s9, -1
                                        ; implicit-def: $vgpr1
	s_branch .LBB174_1269
.LBB174_1265:
	s_mov_b32 s9, -1
                                        ; implicit-def: $vgpr1
.LBB174_1266:
	s_delay_alu instid0(SALU_CYCLE_1)
	s_and_b32 vcc_lo, exec_lo, s9
	s_cbranch_vccz .LBB174_1268
; %bb.1267:
	global_load_u8 v1, v[2:3], off
	s_wait_loadcnt 0x0
	v_lshlrev_b32_e32 v1, 24, v1
	s_delay_alu instid0(VALU_DEP_1) | instskip(NEXT) | instid1(VALU_DEP_1)
	v_and_b32_e32 v5, 0x7f000000, v1
	v_clz_i32_u32_e32 v6, v5
	v_cmp_ne_u32_e32 vcc_lo, 0, v5
	v_add_nc_u32_e32 v8, 0x1000000, v5
	s_delay_alu instid0(VALU_DEP_3) | instskip(NEXT) | instid1(VALU_DEP_1)
	v_min_u32_e32 v6, 32, v6
	v_sub_nc_u32_e64 v6, v6, 4 clamp
	s_delay_alu instid0(VALU_DEP_1) | instskip(NEXT) | instid1(VALU_DEP_1)
	v_dual_lshlrev_b32 v7, v6, v5 :: v_dual_lshlrev_b32 v6, 23, v6
	v_lshrrev_b32_e32 v7, 4, v7
	s_delay_alu instid0(VALU_DEP_1) | instskip(NEXT) | instid1(VALU_DEP_1)
	v_dual_sub_nc_u32 v6, v7, v6 :: v_dual_ashrrev_i32 v7, 8, v8
	v_add_nc_u32_e32 v6, 0x3c000000, v6
	s_delay_alu instid0(VALU_DEP_1) | instskip(NEXT) | instid1(VALU_DEP_1)
	v_and_or_b32 v6, 0x7f800000, v7, v6
	v_cndmask_b32_e32 v5, 0, v6, vcc_lo
	s_delay_alu instid0(VALU_DEP_1) | instskip(SKIP_1) | instid1(VALU_DEP_2)
	v_and_or_b32 v1, 0x80000000, v1, v5
	v_bfe_u32 v5, v5, 16, 1
	v_cmp_o_f32_e32 vcc_lo, v1, v1
	s_delay_alu instid0(VALU_DEP_2) | instskip(NEXT) | instid1(VALU_DEP_1)
	v_add3_u32 v5, v1, v5, 0x7fff
	v_lshrrev_b32_e32 v5, 16, v5
	s_delay_alu instid0(VALU_DEP_1)
	v_cndmask_b32_e32 v1, 0x7fc0, v5, vcc_lo
.LBB174_1268:
	s_mov_b32 s9, 0
.LBB174_1269:
	s_delay_alu instid0(SALU_CYCLE_1)
	s_and_not1_b32 vcc_lo, exec_lo, s9
	s_cbranch_vccnz .LBB174_1271
; %bb.1270:
	global_load_u8 v1, v[2:3], off
	s_wait_loadcnt 0x0
	v_lshlrev_b32_e32 v5, 25, v1
	v_lshlrev_b16 v1, 8, v1
	s_delay_alu instid0(VALU_DEP_1) | instskip(SKIP_1) | instid1(VALU_DEP_2)
	v_and_or_b32 v7, 0x7f00, v1, 0.5
	v_bfe_i32 v1, v1, 0, 16
	v_dual_add_f32 v7, -0.5, v7 :: v_dual_lshrrev_b32 v6, 4, v5
	v_cmp_gt_u32_e32 vcc_lo, 0x8000000, v5
	s_delay_alu instid0(VALU_DEP_2) | instskip(NEXT) | instid1(VALU_DEP_1)
	v_or_b32_e32 v6, 0x70000000, v6
	v_mul_f32_e32 v6, 0x7800000, v6
	s_delay_alu instid0(VALU_DEP_1) | instskip(NEXT) | instid1(VALU_DEP_1)
	v_cndmask_b32_e32 v5, v6, v7, vcc_lo
	v_and_or_b32 v1, 0x80000000, v1, v5
	v_bfe_u32 v5, v5, 16, 1
	s_delay_alu instid0(VALU_DEP_2) | instskip(NEXT) | instid1(VALU_DEP_2)
	v_cmp_o_f32_e32 vcc_lo, v1, v1
	v_add3_u32 v5, v1, v5, 0x7fff
	s_delay_alu instid0(VALU_DEP_1) | instskip(NEXT) | instid1(VALU_DEP_1)
	v_lshrrev_b32_e32 v5, 16, v5
	v_cndmask_b32_e32 v1, 0x7fc0, v5, vcc_lo
.LBB174_1271:
	s_mov_b32 s9, 0
	s_mov_b32 s14, -1
.LBB174_1272:
	s_and_not1_b32 vcc_lo, exec_lo, s9
	s_mov_b32 s9, 0
	s_cbranch_vccnz .LBB174_1283
; %bb.1273:
	s_cmp_gt_i32 s3, 14
	s_cbranch_scc0 .LBB174_1276
; %bb.1274:
	s_cmp_eq_u32 s3, 15
	s_cbranch_scc0 .LBB174_1279
; %bb.1275:
	global_load_u16 v1, v[2:3], off
	s_mov_b32 s0, 0
	s_mov_b32 s14, -1
	s_branch .LBB174_1281
.LBB174_1276:
	s_mov_b32 s9, -1
	s_branch .LBB174_1280
.LBB174_1277:
	s_or_saveexec_b32 s14, s14
	v_mov_b32_e32 v5, 0x7f800001
	s_xor_b32 exec_lo, exec_lo, s14
	s_cbranch_execz .LBB174_1258
.LBB174_1278:
	v_cmp_ne_u16_e32 vcc_lo, 0, v1
	v_mov_b32_e32 v5, 0
	s_and_not1_b32 s9, s9, exec_lo
	s_and_b32 s17, vcc_lo, exec_lo
	s_delay_alu instid0(SALU_CYCLE_1)
	s_or_b32 s9, s9, s17
	s_or_b32 exec_lo, exec_lo, s14
	s_and_saveexec_b32 s14, s9
	s_cbranch_execnz .LBB174_1259
	s_branch .LBB174_1260
.LBB174_1279:
	s_mov_b32 s0, -1
.LBB174_1280:
                                        ; implicit-def: $vgpr1
.LBB174_1281:
	s_and_b32 vcc_lo, exec_lo, s9
	s_mov_b32 s9, 0
	s_cbranch_vccz .LBB174_1283
; %bb.1282:
	s_cmp_lg_u32 s3, 11
	s_mov_b32 s9, -1
	s_cselect_b32 s0, -1, 0
.LBB174_1283:
	v_mov_b32_e32 v5, 0
.LBB174_1284:
	s_and_b32 vcc_lo, exec_lo, s0
	s_cbranch_vccnz .LBB174_1365
; %bb.1285:
	s_and_not1_b32 vcc_lo, exec_lo, s9
	s_cbranch_vccnz .LBB174_1287
.LBB174_1286:
	s_wait_loadcnt 0x0
	global_load_u8 v1, v[2:3], off
	s_mov_b32 s14, -1
	v_mov_b32_e32 v5, 0
	s_wait_loadcnt 0x0
	v_cmp_ne_u16_e32 vcc_lo, 0, v1
	v_cndmask_b32_e64 v1, 0, 1.0, vcc_lo
	s_delay_alu instid0(VALU_DEP_1)
	v_lshrrev_b32_e32 v1, 16, v1
.LBB174_1287:
	s_branch .LBB174_1209
.LBB174_1288:
	s_cmp_lt_i32 s3, 5
	s_cbranch_scc1 .LBB174_1293
; %bb.1289:
	s_cmp_lt_i32 s3, 8
	s_cbranch_scc1 .LBB174_1295
; %bb.1290:
	;; [unrolled: 3-line block ×3, first 2 shown]
	s_cmp_gt_i32 s3, 9
	s_cbranch_scc0 .LBB174_1297
; %bb.1292:
	global_load_b128 v[6:9], v[2:3], off
	s_mov_b32 s0, 0
	s_wait_loadcnt 0x0
	v_cvt_f32_f64_e32 v1, v[6:7]
	v_cvt_f32_f64_e32 v5, v[8:9]
	s_delay_alu instid0(VALU_DEP_2) | instskip(NEXT) | instid1(VALU_DEP_2)
	v_bfe_u32 v6, v1, 16, 1
	v_bfe_u32 v7, v5, 16, 1
	v_cmp_o_f32_e32 vcc_lo, v1, v1
	s_delay_alu instid0(VALU_DEP_3) | instskip(NEXT) | instid1(VALU_DEP_3)
	v_add3_u32 v6, v1, v6, 0x7fff
	v_add3_u32 v7, v5, v7, 0x7fff
	s_delay_alu instid0(VALU_DEP_1) | instskip(NEXT) | instid1(VALU_DEP_3)
	v_and_b32_e32 v7, 0xffff0000, v7
	v_lshrrev_b32_e32 v6, 16, v6
	s_delay_alu instid0(VALU_DEP_1) | instskip(SKIP_1) | instid1(VALU_DEP_4)
	v_cndmask_b32_e32 v1, 0x7fc0, v6, vcc_lo
	v_cmp_o_f32_e32 vcc_lo, v5, v5
	v_cndmask_b32_e32 v5, 0x7fc00000, v7, vcc_lo
	s_branch .LBB174_1298
.LBB174_1293:
                                        ; implicit-def: $vgpr5
                                        ; implicit-def: $vgpr1
	s_branch .LBB174_1317
.LBB174_1294:
	s_branch .LBB174_1337
.LBB174_1295:
	s_mov_b32 s0, -1
                                        ; implicit-def: $vgpr5
                                        ; implicit-def: $vgpr1
	s_branch .LBB174_1304
.LBB174_1296:
	s_mov_b32 s0, -1
                                        ; implicit-def: $vgpr5
                                        ; implicit-def: $vgpr1
	s_branch .LBB174_1301
.LBB174_1297:
	s_mov_b32 s0, -1
                                        ; implicit-def: $vgpr5
                                        ; implicit-def: $vgpr1
.LBB174_1298:
	s_delay_alu instid0(SALU_CYCLE_1)
	s_and_not1_b32 vcc_lo, exec_lo, s0
	s_cbranch_vccnz .LBB174_1300
; %bb.1299:
	global_load_b64 v[6:7], v[2:3], off
	s_wait_loadcnt 0x0
	v_bfe_u32 v1, v6, 16, 1
	v_bfe_u32 v5, v7, 16, 1
	v_cmp_o_f32_e32 vcc_lo, v6, v6
	s_delay_alu instid0(VALU_DEP_3) | instskip(NEXT) | instid1(VALU_DEP_3)
	v_add3_u32 v1, v6, v1, 0x7fff
	v_add3_u32 v5, v7, v5, 0x7fff
	s_delay_alu instid0(VALU_DEP_2) | instskip(NEXT) | instid1(VALU_DEP_2)
	v_lshrrev_b32_e32 v1, 16, v1
	v_and_b32_e32 v5, 0xffff0000, v5
	s_delay_alu instid0(VALU_DEP_2) | instskip(SKIP_1) | instid1(VALU_DEP_3)
	v_cndmask_b32_e32 v1, 0x7fc0, v1, vcc_lo
	v_cmp_o_f32_e32 vcc_lo, v7, v7
	v_cndmask_b32_e32 v5, 0x7fc00000, v5, vcc_lo
.LBB174_1300:
	s_mov_b32 s0, 0
.LBB174_1301:
	s_delay_alu instid0(SALU_CYCLE_1)
	s_and_not1_b32 vcc_lo, exec_lo, s0
	s_cbranch_vccnz .LBB174_1303
; %bb.1302:
	s_wait_loadcnt 0x0
	global_load_b32 v1, v[2:3], off
	s_wait_loadcnt 0x0
	v_cvt_f32_f16_e32 v6, v1
	v_cmp_o_f16_e32 vcc_lo, v1, v1
	s_delay_alu instid0(VALU_DEP_2) | instskip(NEXT) | instid1(VALU_DEP_1)
	v_bfe_u32 v8, v6, 16, 1
	v_add3_u32 v6, v6, v8, 0x7fff
	s_delay_alu instid0(VALU_DEP_1) | instskip(NEXT) | instid1(VALU_DEP_1)
	v_dual_lshrrev_b32 v5, 16, v1 :: v_dual_lshrrev_b32 v6, 16, v6
	v_cvt_f32_f16_e32 v7, v5
	s_delay_alu instid0(VALU_DEP_2) | instskip(NEXT) | instid1(VALU_DEP_2)
	v_cndmask_b32_e32 v1, 0x7fc0, v6, vcc_lo
	v_bfe_u32 v9, v7, 16, 1
	v_cmp_o_f16_e32 vcc_lo, v5, v5
	s_delay_alu instid0(VALU_DEP_2) | instskip(NEXT) | instid1(VALU_DEP_1)
	v_add3_u32 v7, v7, v9, 0x7fff
	v_and_b32_e32 v7, 0xffff0000, v7
	s_delay_alu instid0(VALU_DEP_1)
	v_cndmask_b32_e32 v5, 0x7fc00000, v7, vcc_lo
.LBB174_1303:
	s_mov_b32 s0, 0
.LBB174_1304:
	s_delay_alu instid0(SALU_CYCLE_1)
	s_and_not1_b32 vcc_lo, exec_lo, s0
	s_cbranch_vccnz .LBB174_1316
; %bb.1305:
	s_cmp_lt_i32 s3, 6
	s_cbranch_scc1 .LBB174_1308
; %bb.1306:
	s_cmp_gt_i32 s3, 6
	s_cbranch_scc0 .LBB174_1309
; %bb.1307:
	global_load_b64 v[6:7], v[2:3], off
	s_mov_b32 s0, 0
	s_wait_loadcnt 0x0
	v_cvt_f32_f64_e32 v1, v[6:7]
	s_delay_alu instid0(VALU_DEP_1) | instskip(SKIP_1) | instid1(VALU_DEP_2)
	v_bfe_u32 v5, v1, 16, 1
	v_cmp_o_f32_e32 vcc_lo, v1, v1
	v_add3_u32 v5, v1, v5, 0x7fff
	s_delay_alu instid0(VALU_DEP_1) | instskip(NEXT) | instid1(VALU_DEP_1)
	v_lshrrev_b32_e32 v5, 16, v5
	v_cndmask_b32_e32 v1, 0x7fc0, v5, vcc_lo
	s_branch .LBB174_1310
.LBB174_1308:
	s_mov_b32 s0, -1
                                        ; implicit-def: $vgpr1
	s_branch .LBB174_1313
.LBB174_1309:
	s_mov_b32 s0, -1
                                        ; implicit-def: $vgpr1
.LBB174_1310:
	s_delay_alu instid0(SALU_CYCLE_1)
	s_and_not1_b32 vcc_lo, exec_lo, s0
	s_cbranch_vccnz .LBB174_1312
; %bb.1311:
	s_wait_loadcnt 0x0
	global_load_b32 v1, v[2:3], off
	s_wait_loadcnt 0x0
	v_bfe_u32 v5, v1, 16, 1
	v_cmp_o_f32_e32 vcc_lo, v1, v1
	s_delay_alu instid0(VALU_DEP_2) | instskip(NEXT) | instid1(VALU_DEP_1)
	v_add3_u32 v5, v1, v5, 0x7fff
	v_lshrrev_b32_e32 v5, 16, v5
	s_delay_alu instid0(VALU_DEP_1)
	v_cndmask_b32_e32 v1, 0x7fc0, v5, vcc_lo
.LBB174_1312:
	s_mov_b32 s0, 0
.LBB174_1313:
	s_delay_alu instid0(SALU_CYCLE_1)
	s_and_not1_b32 vcc_lo, exec_lo, s0
	s_cbranch_vccnz .LBB174_1315
; %bb.1314:
	s_wait_loadcnt 0x0
	global_load_u16 v1, v[2:3], off
	s_wait_loadcnt 0x0
	v_cvt_f32_f16_e32 v5, v1
	v_cmp_o_f16_e32 vcc_lo, v1, v1
	s_delay_alu instid0(VALU_DEP_2) | instskip(NEXT) | instid1(VALU_DEP_1)
	v_bfe_u32 v6, v5, 16, 1
	v_add3_u32 v5, v5, v6, 0x7fff
	s_delay_alu instid0(VALU_DEP_1) | instskip(NEXT) | instid1(VALU_DEP_1)
	v_lshrrev_b32_e32 v5, 16, v5
	v_cndmask_b32_e32 v1, 0x7fc0, v5, vcc_lo
.LBB174_1315:
	v_mov_b32_e32 v5, 0
.LBB174_1316:
	s_cbranch_execnz .LBB174_1294
.LBB174_1317:
	s_cmp_lt_i32 s3, 2
	s_cbranch_scc1 .LBB174_1321
; %bb.1318:
	s_cmp_lt_i32 s3, 3
	s_cbranch_scc1 .LBB174_1322
; %bb.1319:
	s_cmp_gt_i32 s3, 3
	s_cbranch_scc0 .LBB174_1323
; %bb.1320:
	global_load_b64 v[6:7], v[2:3], off
	s_mov_b32 s0, 0
	s_wait_loadcnt 0x0
	v_xor_b32_e32 v1, v6, v7
	v_cls_i32_e32 v5, v7
	s_delay_alu instid0(VALU_DEP_2) | instskip(NEXT) | instid1(VALU_DEP_1)
	v_ashrrev_i32_e32 v1, 31, v1
	v_add_nc_u32_e32 v1, 32, v1
	s_delay_alu instid0(VALU_DEP_1) | instskip(NEXT) | instid1(VALU_DEP_1)
	v_add_min_u32_e64 v1, v5, -1, v1
	v_lshlrev_b64_e32 v[6:7], v1, v[6:7]
	v_sub_nc_u32_e32 v1, 32, v1
	s_delay_alu instid0(VALU_DEP_2) | instskip(NEXT) | instid1(VALU_DEP_1)
	v_min_u32_e32 v5, 1, v6
	v_or_b32_e32 v5, v7, v5
	s_delay_alu instid0(VALU_DEP_1) | instskip(NEXT) | instid1(VALU_DEP_1)
	v_cvt_f32_i32_e32 v5, v5
	v_ldexp_f32 v1, v5, v1
	s_delay_alu instid0(VALU_DEP_1) | instskip(NEXT) | instid1(VALU_DEP_1)
	v_bfe_u32 v5, v1, 16, 1
	v_add3_u32 v1, v1, v5, 0x7fff
	s_delay_alu instid0(VALU_DEP_1)
	v_lshrrev_b32_e32 v1, 16, v1
	s_branch .LBB174_1324
.LBB174_1321:
	s_mov_b32 s0, -1
                                        ; implicit-def: $vgpr1
	s_branch .LBB174_1330
.LBB174_1322:
	s_mov_b32 s0, -1
                                        ; implicit-def: $vgpr1
	s_branch .LBB174_1327
.LBB174_1323:
	s_mov_b32 s0, -1
                                        ; implicit-def: $vgpr1
.LBB174_1324:
	s_delay_alu instid0(SALU_CYCLE_1)
	s_and_not1_b32 vcc_lo, exec_lo, s0
	s_cbranch_vccnz .LBB174_1326
; %bb.1325:
	s_wait_loadcnt 0x0
	global_load_b32 v1, v[2:3], off
	s_wait_loadcnt 0x0
	v_cvt_f32_i32_e32 v1, v1
	s_delay_alu instid0(VALU_DEP_1) | instskip(NEXT) | instid1(VALU_DEP_1)
	v_bfe_u32 v5, v1, 16, 1
	v_add3_u32 v1, v1, v5, 0x7fff
	s_delay_alu instid0(VALU_DEP_1)
	v_lshrrev_b32_e32 v1, 16, v1
.LBB174_1326:
	s_mov_b32 s0, 0
.LBB174_1327:
	s_delay_alu instid0(SALU_CYCLE_1)
	s_and_not1_b32 vcc_lo, exec_lo, s0
	s_cbranch_vccnz .LBB174_1329
; %bb.1328:
	s_wait_loadcnt 0x0
	global_load_i16 v1, v[2:3], off
	s_wait_loadcnt 0x0
	v_cvt_f32_i32_e32 v1, v1
	s_delay_alu instid0(VALU_DEP_1) | instskip(NEXT) | instid1(VALU_DEP_1)
	v_bfe_u32 v5, v1, 16, 1
	v_add3_u32 v1, v1, v5, 0x7fff
	s_delay_alu instid0(VALU_DEP_1)
	v_lshrrev_b32_e32 v1, 16, v1
.LBB174_1329:
	s_mov_b32 s0, 0
.LBB174_1330:
	s_delay_alu instid0(SALU_CYCLE_1)
	s_and_not1_b32 vcc_lo, exec_lo, s0
	s_cbranch_vccnz .LBB174_1336
; %bb.1331:
	s_cmp_gt_i32 s3, 0
	s_mov_b32 s0, 0
	s_cbranch_scc0 .LBB174_1333
; %bb.1332:
	s_wait_loadcnt 0x0
	global_load_i8 v1, v[2:3], off
	s_wait_loadcnt 0x0
	v_cvt_f32_i32_e32 v1, v1
	s_delay_alu instid0(VALU_DEP_1) | instskip(NEXT) | instid1(VALU_DEP_1)
	v_bfe_u32 v5, v1, 16, 1
	v_add3_u32 v1, v1, v5, 0x7fff
	s_delay_alu instid0(VALU_DEP_1)
	v_lshrrev_b32_e32 v1, 16, v1
	s_branch .LBB174_1334
.LBB174_1333:
	s_mov_b32 s0, -1
                                        ; implicit-def: $vgpr1
.LBB174_1334:
	s_delay_alu instid0(SALU_CYCLE_1)
	s_and_not1_b32 vcc_lo, exec_lo, s0
	s_cbranch_vccnz .LBB174_1336
; %bb.1335:
	s_wait_loadcnt 0x0
	global_load_u8 v1, v[2:3], off
	s_wait_loadcnt 0x0
	v_cvt_f32_ubyte0_e32 v1, v1
	s_wait_xcnt 0x0
	s_delay_alu instid0(VALU_DEP_1) | instskip(NEXT) | instid1(VALU_DEP_1)
	v_bfe_u32 v2, v1, 16, 1
	v_add3_u32 v1, v1, v2, 0x7fff
	s_delay_alu instid0(VALU_DEP_1)
	v_lshrrev_b32_e32 v1, 16, v1
.LBB174_1336:
	v_mov_b32_e32 v5, 0
.LBB174_1337:
	s_wait_loadcnt 0x0
	s_delay_alu instid0(VALU_DEP_2) | instskip(SKIP_1) | instid1(VALU_DEP_2)
	v_and_b32_e32 v1, 0xffff, v1
	s_wait_xcnt 0x0
	v_and_b32_e32 v2, 0xffff0000, v5
	s_and_b32 vcc_lo, exec_lo, s15
	s_delay_alu instid0(VALU_DEP_2) | instskip(NEXT) | instid1(VALU_DEP_1)
	v_or_b32_e32 v1, v5, v1
	v_lshlrev_b32_e32 v1, 16, v1
	s_cbranch_vccz .LBB174_1349
; %bb.1338:
	v_and_b32_e64 v3, 0xffff0000, s11
	s_lshl_b32 s0, s11, 16
	s_delay_alu instid0(VALU_DEP_2) | instid1(SALU_CYCLE_1)
	v_cmp_neq_f32_e32 vcc_lo, s0, v1
	s_delay_alu instid0(VALU_DEP_2)
	v_cmp_neq_f32_e64 s0, v3, v2
	s_or_b32 s9, vcc_lo, s0
	s_cbranch_execnz .LBB174_1340
.LBB174_1339:
	v_and_b32_e64 v3, 0xffff0000, s11
	s_lshl_b32 s0, s11, 16
	s_and_not1_b32 s9, s9, exec_lo
	v_cmp_eq_f32_e32 vcc_lo, s0, v1
	s_delay_alu instid0(VALU_DEP_2) | instskip(SKIP_1) | instid1(SALU_CYCLE_1)
	v_cmp_eq_f32_e64 s0, v3, v2
	s_and_b32 s0, vcc_lo, s0
	s_and_b32 s0, s0, exec_lo
	s_delay_alu instid0(SALU_CYCLE_1)
	s_or_b32 s9, s9, s0
.LBB174_1340:
	v_add_nc_u32_e32 v0, s16, v0
	s_cmp_lt_i32 s3, 11
	s_delay_alu instid0(VALU_DEP_1) | instskip(NEXT) | instid1(VALU_DEP_1)
	v_ashrrev_i32_e32 v1, 31, v0
	v_add_nc_u64_e32 v[2:3], s[6:7], v[0:1]
	s_cbranch_scc1 .LBB174_1347
; %bb.1341:
	s_cmp_gt_i32 s3, 25
	s_mov_b32 s14, 0
	s_cbranch_scc0 .LBB174_1350
; %bb.1342:
	s_cmp_gt_i32 s3, 28
	s_cbranch_scc0 .LBB174_1361
; %bb.1343:
	s_cmp_gt_i32 s3, 43
	;; [unrolled: 3-line block ×3, first 2 shown]
	s_cbranch_scc0 .LBB174_1366
; %bb.1345:
	s_cmp_eq_u32 s3, 46
	s_mov_b32 s18, 0
	s_cbranch_scc0 .LBB174_1424
; %bb.1346:
	global_load_b32 v1, v[2:3], off
	s_mov_b32 s0, 0
	s_mov_b32 s17, -1
	s_wait_loadcnt 0x0
	v_and_b32_e32 v5, 0xffff0000, v1
	s_branch .LBB174_1426
.LBB174_1347:
	s_mov_b32 s17, 0
                                        ; implicit-def: $vgpr5
                                        ; implicit-def: $vgpr1
	s_cbranch_execnz .LBB174_1355
.LBB174_1348:
	s_and_not1_b32 vcc_lo, exec_lo, s17
	s_cbranch_vccnz .LBB174_1618
	s_branch .LBB174_1409
.LBB174_1349:
                                        ; implicit-def: $sgpr9
	s_branch .LBB174_1339
.LBB174_1350:
	s_mov_b32 s17, 0
	s_mov_b32 s0, 0
                                        ; implicit-def: $vgpr5
                                        ; implicit-def: $vgpr1
	s_cbranch_execnz .LBB174_1458
.LBB174_1351:
	s_and_b32 vcc_lo, exec_lo, s0
	s_cbranch_vccnz .LBB174_1491
.LBB174_1352:
	s_and_not1_b32 vcc_lo, exec_lo, s14
	s_cbranch_vccnz .LBB174_1354
.LBB174_1353:
	s_wait_loadcnt 0x0
	global_load_u8 v1, v[2:3], off
	s_mov_b32 s17, -1
	v_mov_b32_e32 v5, 0
	s_wait_loadcnt 0x0
	v_cmp_ne_u16_e32 vcc_lo, 0, v1
	v_cndmask_b32_e64 v1, 0, 1.0, vcc_lo
	s_delay_alu instid0(VALU_DEP_1)
	v_lshrrev_b32_e32 v1, 16, v1
.LBB174_1354:
	s_branch .LBB174_1348
.LBB174_1355:
	s_cmp_lt_i32 s3, 5
	s_cbranch_scc1 .LBB174_1360
; %bb.1356:
	s_cmp_lt_i32 s3, 8
	s_cbranch_scc1 .LBB174_1362
; %bb.1357:
	;; [unrolled: 3-line block ×3, first 2 shown]
	s_cmp_gt_i32 s3, 9
	s_cbranch_scc0 .LBB174_1367
; %bb.1359:
	global_load_b128 v[6:9], v[2:3], off
	s_mov_b32 s0, 0
	s_wait_loadcnt 0x0
	v_cvt_f32_f64_e32 v1, v[6:7]
	v_cvt_f32_f64_e32 v5, v[8:9]
	s_delay_alu instid0(VALU_DEP_2) | instskip(NEXT) | instid1(VALU_DEP_2)
	v_bfe_u32 v6, v1, 16, 1
	v_bfe_u32 v7, v5, 16, 1
	v_cmp_o_f32_e32 vcc_lo, v1, v1
	s_delay_alu instid0(VALU_DEP_3) | instskip(NEXT) | instid1(VALU_DEP_3)
	v_add3_u32 v6, v1, v6, 0x7fff
	v_add3_u32 v7, v5, v7, 0x7fff
	s_delay_alu instid0(VALU_DEP_1) | instskip(NEXT) | instid1(VALU_DEP_3)
	v_and_b32_e32 v7, 0xffff0000, v7
	v_lshrrev_b32_e32 v6, 16, v6
	s_delay_alu instid0(VALU_DEP_1) | instskip(SKIP_1) | instid1(VALU_DEP_4)
	v_cndmask_b32_e32 v1, 0x7fc0, v6, vcc_lo
	v_cmp_o_f32_e32 vcc_lo, v5, v5
	v_cndmask_b32_e32 v5, 0x7fc00000, v7, vcc_lo
	s_branch .LBB174_1368
.LBB174_1360:
	s_mov_b32 s0, -1
                                        ; implicit-def: $vgpr5
                                        ; implicit-def: $vgpr1
	s_branch .LBB174_1387
.LBB174_1361:
	s_mov_b32 s18, -1
	s_mov_b32 s17, 0
	s_mov_b32 s0, 0
                                        ; implicit-def: $vgpr5
                                        ; implicit-def: $vgpr1
	s_branch .LBB174_1439
.LBB174_1362:
	s_mov_b32 s0, -1
                                        ; implicit-def: $vgpr5
                                        ; implicit-def: $vgpr1
	s_branch .LBB174_1374
.LBB174_1363:
	s_mov_b32 s18, -1
	s_mov_b32 s17, 0
	s_mov_b32 s0, 0
                                        ; implicit-def: $vgpr5
                                        ; implicit-def: $vgpr1
	s_branch .LBB174_1433
.LBB174_1364:
	s_mov_b32 s0, -1
                                        ; implicit-def: $vgpr5
                                        ; implicit-def: $vgpr1
	s_branch .LBB174_1371
.LBB174_1365:
	s_or_b32 s1, s1, exec_lo
	s_trap 2
	s_cbranch_execz .LBB174_1286
	s_branch .LBB174_1287
.LBB174_1366:
	s_mov_b32 s18, -1
	s_mov_b32 s17, 0
	s_mov_b32 s0, 0
	s_branch .LBB174_1425
.LBB174_1367:
	s_mov_b32 s0, -1
                                        ; implicit-def: $vgpr5
                                        ; implicit-def: $vgpr1
.LBB174_1368:
	s_delay_alu instid0(SALU_CYCLE_1)
	s_and_not1_b32 vcc_lo, exec_lo, s0
	s_cbranch_vccnz .LBB174_1370
; %bb.1369:
	global_load_b64 v[6:7], v[2:3], off
	s_wait_loadcnt 0x0
	v_bfe_u32 v1, v6, 16, 1
	v_bfe_u32 v5, v7, 16, 1
	v_cmp_o_f32_e32 vcc_lo, v6, v6
	s_delay_alu instid0(VALU_DEP_3) | instskip(NEXT) | instid1(VALU_DEP_3)
	v_add3_u32 v1, v6, v1, 0x7fff
	v_add3_u32 v5, v7, v5, 0x7fff
	s_delay_alu instid0(VALU_DEP_2) | instskip(NEXT) | instid1(VALU_DEP_2)
	v_lshrrev_b32_e32 v1, 16, v1
	v_and_b32_e32 v5, 0xffff0000, v5
	s_delay_alu instid0(VALU_DEP_2) | instskip(SKIP_1) | instid1(VALU_DEP_3)
	v_cndmask_b32_e32 v1, 0x7fc0, v1, vcc_lo
	v_cmp_o_f32_e32 vcc_lo, v7, v7
	v_cndmask_b32_e32 v5, 0x7fc00000, v5, vcc_lo
.LBB174_1370:
	s_mov_b32 s0, 0
.LBB174_1371:
	s_delay_alu instid0(SALU_CYCLE_1)
	s_and_not1_b32 vcc_lo, exec_lo, s0
	s_cbranch_vccnz .LBB174_1373
; %bb.1372:
	s_wait_loadcnt 0x0
	global_load_b32 v1, v[2:3], off
	s_wait_loadcnt 0x0
	v_cvt_f32_f16_e32 v6, v1
	v_cmp_o_f16_e32 vcc_lo, v1, v1
	s_delay_alu instid0(VALU_DEP_2) | instskip(NEXT) | instid1(VALU_DEP_1)
	v_bfe_u32 v8, v6, 16, 1
	v_add3_u32 v6, v6, v8, 0x7fff
	s_delay_alu instid0(VALU_DEP_1) | instskip(NEXT) | instid1(VALU_DEP_1)
	v_dual_lshrrev_b32 v5, 16, v1 :: v_dual_lshrrev_b32 v6, 16, v6
	v_cvt_f32_f16_e32 v7, v5
	s_delay_alu instid0(VALU_DEP_2) | instskip(NEXT) | instid1(VALU_DEP_2)
	v_cndmask_b32_e32 v1, 0x7fc0, v6, vcc_lo
	v_bfe_u32 v9, v7, 16, 1
	v_cmp_o_f16_e32 vcc_lo, v5, v5
	s_delay_alu instid0(VALU_DEP_2) | instskip(NEXT) | instid1(VALU_DEP_1)
	v_add3_u32 v7, v7, v9, 0x7fff
	v_and_b32_e32 v7, 0xffff0000, v7
	s_delay_alu instid0(VALU_DEP_1)
	v_cndmask_b32_e32 v5, 0x7fc00000, v7, vcc_lo
.LBB174_1373:
	s_mov_b32 s0, 0
.LBB174_1374:
	s_delay_alu instid0(SALU_CYCLE_1)
	s_and_not1_b32 vcc_lo, exec_lo, s0
	s_cbranch_vccnz .LBB174_1386
; %bb.1375:
	s_cmp_lt_i32 s3, 6
	s_cbranch_scc1 .LBB174_1378
; %bb.1376:
	s_cmp_gt_i32 s3, 6
	s_cbranch_scc0 .LBB174_1379
; %bb.1377:
	global_load_b64 v[6:7], v[2:3], off
	s_mov_b32 s0, 0
	s_wait_loadcnt 0x0
	v_cvt_f32_f64_e32 v1, v[6:7]
	s_delay_alu instid0(VALU_DEP_1) | instskip(SKIP_1) | instid1(VALU_DEP_2)
	v_bfe_u32 v5, v1, 16, 1
	v_cmp_o_f32_e32 vcc_lo, v1, v1
	v_add3_u32 v5, v1, v5, 0x7fff
	s_delay_alu instid0(VALU_DEP_1) | instskip(NEXT) | instid1(VALU_DEP_1)
	v_lshrrev_b32_e32 v5, 16, v5
	v_cndmask_b32_e32 v1, 0x7fc0, v5, vcc_lo
	s_branch .LBB174_1380
.LBB174_1378:
	s_mov_b32 s0, -1
                                        ; implicit-def: $vgpr1
	s_branch .LBB174_1383
.LBB174_1379:
	s_mov_b32 s0, -1
                                        ; implicit-def: $vgpr1
.LBB174_1380:
	s_delay_alu instid0(SALU_CYCLE_1)
	s_and_not1_b32 vcc_lo, exec_lo, s0
	s_cbranch_vccnz .LBB174_1382
; %bb.1381:
	s_wait_loadcnt 0x0
	global_load_b32 v1, v[2:3], off
	s_wait_loadcnt 0x0
	v_bfe_u32 v5, v1, 16, 1
	v_cmp_o_f32_e32 vcc_lo, v1, v1
	s_delay_alu instid0(VALU_DEP_2) | instskip(NEXT) | instid1(VALU_DEP_1)
	v_add3_u32 v5, v1, v5, 0x7fff
	v_lshrrev_b32_e32 v5, 16, v5
	s_delay_alu instid0(VALU_DEP_1)
	v_cndmask_b32_e32 v1, 0x7fc0, v5, vcc_lo
.LBB174_1382:
	s_mov_b32 s0, 0
.LBB174_1383:
	s_delay_alu instid0(SALU_CYCLE_1)
	s_and_not1_b32 vcc_lo, exec_lo, s0
	s_cbranch_vccnz .LBB174_1385
; %bb.1384:
	s_wait_loadcnt 0x0
	global_load_u16 v1, v[2:3], off
	s_wait_loadcnt 0x0
	v_cvt_f32_f16_e32 v5, v1
	v_cmp_o_f16_e32 vcc_lo, v1, v1
	s_delay_alu instid0(VALU_DEP_2) | instskip(NEXT) | instid1(VALU_DEP_1)
	v_bfe_u32 v6, v5, 16, 1
	v_add3_u32 v5, v5, v6, 0x7fff
	s_delay_alu instid0(VALU_DEP_1) | instskip(NEXT) | instid1(VALU_DEP_1)
	v_lshrrev_b32_e32 v5, 16, v5
	v_cndmask_b32_e32 v1, 0x7fc0, v5, vcc_lo
.LBB174_1385:
	v_mov_b32_e32 v5, 0
.LBB174_1386:
	s_mov_b32 s0, 0
.LBB174_1387:
	s_delay_alu instid0(SALU_CYCLE_1)
	s_and_not1_b32 vcc_lo, exec_lo, s0
	s_cbranch_vccnz .LBB174_1408
; %bb.1388:
	s_cmp_lt_i32 s3, 2
	s_cbranch_scc1 .LBB174_1392
; %bb.1389:
	s_cmp_lt_i32 s3, 3
	s_cbranch_scc1 .LBB174_1393
; %bb.1390:
	s_cmp_gt_i32 s3, 3
	s_cbranch_scc0 .LBB174_1394
; %bb.1391:
	global_load_b64 v[6:7], v[2:3], off
	s_mov_b32 s0, 0
	s_wait_loadcnt 0x0
	v_xor_b32_e32 v1, v6, v7
	v_cls_i32_e32 v5, v7
	s_delay_alu instid0(VALU_DEP_2) | instskip(NEXT) | instid1(VALU_DEP_1)
	v_ashrrev_i32_e32 v1, 31, v1
	v_add_nc_u32_e32 v1, 32, v1
	s_delay_alu instid0(VALU_DEP_1) | instskip(NEXT) | instid1(VALU_DEP_1)
	v_add_min_u32_e64 v1, v5, -1, v1
	v_lshlrev_b64_e32 v[6:7], v1, v[6:7]
	v_sub_nc_u32_e32 v1, 32, v1
	s_delay_alu instid0(VALU_DEP_2) | instskip(NEXT) | instid1(VALU_DEP_1)
	v_min_u32_e32 v5, 1, v6
	v_or_b32_e32 v5, v7, v5
	s_delay_alu instid0(VALU_DEP_1) | instskip(NEXT) | instid1(VALU_DEP_1)
	v_cvt_f32_i32_e32 v5, v5
	v_ldexp_f32 v1, v5, v1
	s_delay_alu instid0(VALU_DEP_1) | instskip(NEXT) | instid1(VALU_DEP_1)
	v_bfe_u32 v5, v1, 16, 1
	v_add3_u32 v1, v1, v5, 0x7fff
	s_delay_alu instid0(VALU_DEP_1)
	v_lshrrev_b32_e32 v1, 16, v1
	s_branch .LBB174_1395
.LBB174_1392:
	s_mov_b32 s0, -1
                                        ; implicit-def: $vgpr1
	s_branch .LBB174_1401
.LBB174_1393:
	s_mov_b32 s0, -1
                                        ; implicit-def: $vgpr1
	s_branch .LBB174_1398
.LBB174_1394:
	s_mov_b32 s0, -1
                                        ; implicit-def: $vgpr1
.LBB174_1395:
	s_delay_alu instid0(SALU_CYCLE_1)
	s_and_not1_b32 vcc_lo, exec_lo, s0
	s_cbranch_vccnz .LBB174_1397
; %bb.1396:
	s_wait_loadcnt 0x0
	global_load_b32 v1, v[2:3], off
	s_wait_loadcnt 0x0
	v_cvt_f32_i32_e32 v1, v1
	s_delay_alu instid0(VALU_DEP_1) | instskip(NEXT) | instid1(VALU_DEP_1)
	v_bfe_u32 v5, v1, 16, 1
	v_add3_u32 v1, v1, v5, 0x7fff
	s_delay_alu instid0(VALU_DEP_1)
	v_lshrrev_b32_e32 v1, 16, v1
.LBB174_1397:
	s_mov_b32 s0, 0
.LBB174_1398:
	s_delay_alu instid0(SALU_CYCLE_1)
	s_and_not1_b32 vcc_lo, exec_lo, s0
	s_cbranch_vccnz .LBB174_1400
; %bb.1399:
	s_wait_loadcnt 0x0
	global_load_i16 v1, v[2:3], off
	s_wait_loadcnt 0x0
	v_cvt_f32_i32_e32 v1, v1
	s_delay_alu instid0(VALU_DEP_1) | instskip(NEXT) | instid1(VALU_DEP_1)
	v_bfe_u32 v5, v1, 16, 1
	v_add3_u32 v1, v1, v5, 0x7fff
	s_delay_alu instid0(VALU_DEP_1)
	v_lshrrev_b32_e32 v1, 16, v1
.LBB174_1400:
	s_mov_b32 s0, 0
.LBB174_1401:
	s_delay_alu instid0(SALU_CYCLE_1)
	s_and_not1_b32 vcc_lo, exec_lo, s0
	s_cbranch_vccnz .LBB174_1407
; %bb.1402:
	s_cmp_gt_i32 s3, 0
	s_mov_b32 s0, 0
	s_cbranch_scc0 .LBB174_1404
; %bb.1403:
	s_wait_loadcnt 0x0
	global_load_i8 v1, v[2:3], off
	s_wait_loadcnt 0x0
	v_cvt_f32_i32_e32 v1, v1
	s_delay_alu instid0(VALU_DEP_1) | instskip(NEXT) | instid1(VALU_DEP_1)
	v_bfe_u32 v5, v1, 16, 1
	v_add3_u32 v1, v1, v5, 0x7fff
	s_delay_alu instid0(VALU_DEP_1)
	v_lshrrev_b32_e32 v1, 16, v1
	s_branch .LBB174_1405
.LBB174_1404:
	s_mov_b32 s0, -1
                                        ; implicit-def: $vgpr1
.LBB174_1405:
	s_delay_alu instid0(SALU_CYCLE_1)
	s_and_not1_b32 vcc_lo, exec_lo, s0
	s_cbranch_vccnz .LBB174_1407
; %bb.1406:
	s_wait_loadcnt 0x0
	global_load_u8 v1, v[2:3], off
	s_wait_loadcnt 0x0
	v_cvt_f32_ubyte0_e32 v1, v1
	s_wait_xcnt 0x0
	s_delay_alu instid0(VALU_DEP_1) | instskip(NEXT) | instid1(VALU_DEP_1)
	v_bfe_u32 v2, v1, 16, 1
	v_add3_u32 v1, v1, v2, 0x7fff
	s_delay_alu instid0(VALU_DEP_1)
	v_lshrrev_b32_e32 v1, 16, v1
.LBB174_1407:
	v_mov_b32_e32 v5, 0
.LBB174_1408:
.LBB174_1409:
	s_wait_loadcnt 0x0
	s_delay_alu instid0(VALU_DEP_2) | instskip(SKIP_1) | instid1(VALU_DEP_2)
	v_and_b32_e32 v1, 0xffff, v1
	s_wait_xcnt 0x0
	v_and_b32_e32 v2, 0xffff0000, v5
	s_and_b32 vcc_lo, exec_lo, s15
	s_delay_alu instid0(VALU_DEP_2) | instskip(NEXT) | instid1(VALU_DEP_1)
	v_or_b32_e32 v1, v5, v1
	v_lshlrev_b32_e32 v1, 16, v1
	s_cbranch_vccz .LBB174_1420
; %bb.1410:
	v_and_b32_e64 v3, 0xffff0000, s11
	s_lshl_b32 s0, s11, 16
	s_delay_alu instid0(VALU_DEP_2) | instid1(SALU_CYCLE_1)
	v_cmp_neq_f32_e32 vcc_lo, s0, v1
	s_delay_alu instid0(VALU_DEP_2)
	v_cmp_neq_f32_e64 s0, v3, v2
	s_or_b32 s14, vcc_lo, s0
	s_cbranch_execnz .LBB174_1412
.LBB174_1411:
	v_and_b32_e64 v3, 0xffff0000, s11
	s_lshl_b32 s0, s11, 16
	s_and_not1_b32 s14, s14, exec_lo
	v_cmp_eq_f32_e32 vcc_lo, s0, v1
	s_delay_alu instid0(VALU_DEP_2) | instskip(SKIP_1) | instid1(SALU_CYCLE_1)
	v_cmp_eq_f32_e64 s0, v3, v2
	s_and_b32 s0, vcc_lo, s0
	s_and_b32 s0, s0, exec_lo
	s_delay_alu instid0(SALU_CYCLE_1)
	s_or_b32 s14, s14, s0
.LBB174_1412:
	v_add_nc_u32_e32 v0, s16, v0
	s_cmp_lt_i32 s3, 11
	s_delay_alu instid0(VALU_DEP_1) | instskip(NEXT) | instid1(VALU_DEP_1)
	v_ashrrev_i32_e32 v1, 31, v0
	v_add_nc_u64_e32 v[0:1], s[6:7], v[0:1]
	s_cbranch_scc1 .LBB174_1419
; %bb.1413:
	s_cmp_gt_i32 s3, 25
	s_mov_b32 s6, 0
	s_cbranch_scc0 .LBB174_1421
; %bb.1414:
	s_cmp_gt_i32 s3, 28
	s_cbranch_scc0 .LBB174_1422
; %bb.1415:
	s_cmp_gt_i32 s3, 43
	;; [unrolled: 3-line block ×3, first 2 shown]
	s_cbranch_scc0 .LBB174_1429
; %bb.1417:
	s_cmp_eq_u32 s3, 46
	s_mov_b32 s16, 0
	s_cbranch_scc0 .LBB174_1492
; %bb.1418:
	global_load_b32 v2, v[0:1], off
	s_mov_b32 s0, 0
	s_mov_b32 s7, -1
	s_wait_loadcnt 0x0
	v_and_b32_e32 v3, 0xffff0000, v2
	s_branch .LBB174_1494
.LBB174_1419:
	s_mov_b32 s0, -1
	s_mov_b32 s7, 0
                                        ; implicit-def: $vgpr3
                                        ; implicit-def: $vgpr2
	s_branch .LBB174_1540
.LBB174_1420:
                                        ; implicit-def: $sgpr14
	s_branch .LBB174_1411
.LBB174_1421:
	s_mov_b32 s16, -1
	s_mov_b32 s7, 0
	s_mov_b32 s0, 0
                                        ; implicit-def: $vgpr3
                                        ; implicit-def: $vgpr2
	s_branch .LBB174_1525
.LBB174_1422:
	s_mov_b32 s16, -1
	s_mov_b32 s7, 0
	s_mov_b32 s0, 0
                                        ; implicit-def: $vgpr3
                                        ; implicit-def: $vgpr2
	s_branch .LBB174_1506
.LBB174_1423:
	s_mov_b32 s16, -1
	s_mov_b32 s7, 0
	s_mov_b32 s0, 0
                                        ; implicit-def: $vgpr3
                                        ; implicit-def: $vgpr2
	s_branch .LBB174_1500
.LBB174_1424:
	s_mov_b32 s0, -1
	s_mov_b32 s17, 0
.LBB174_1425:
                                        ; implicit-def: $vgpr5
                                        ; implicit-def: $vgpr1
.LBB174_1426:
	s_and_b32 vcc_lo, exec_lo, s18
	s_cbranch_vccz .LBB174_1432
; %bb.1427:
	s_cmp_eq_u32 s3, 44
	s_cbranch_scc0 .LBB174_1430
; %bb.1428:
	global_load_u8 v1, v[2:3], off
	s_mov_b32 s0, 0
	s_mov_b32 s17, -1
	s_wait_loadcnt 0x0
	v_lshlrev_b32_e32 v5, 23, v1
	v_cmp_ne_u32_e32 vcc_lo, 0xff, v1
	s_delay_alu instid0(VALU_DEP_2) | instskip(SKIP_1) | instid1(VALU_DEP_2)
	v_cndmask_b32_e32 v5, 0x7f800001, v5, vcc_lo
	v_cmp_ne_u32_e32 vcc_lo, 0, v1
	v_cndmask_b32_e32 v1, 0x400000, v5, vcc_lo
	s_delay_alu instid0(VALU_DEP_1) | instskip(SKIP_1) | instid1(VALU_DEP_2)
	v_add_nc_u32_e32 v5, 0x7fff, v1
	v_cmp_o_f32_e32 vcc_lo, v1, v1
	v_lshrrev_b32_e32 v5, 16, v5
	s_delay_alu instid0(VALU_DEP_1)
	v_cndmask_b32_e32 v1, 0x7fc0, v5, vcc_lo
	s_branch .LBB174_1431
.LBB174_1429:
	s_mov_b32 s16, -1
	s_mov_b32 s7, 0
	s_mov_b32 s0, 0
	s_branch .LBB174_1493
.LBB174_1430:
	s_mov_b32 s0, -1
                                        ; implicit-def: $vgpr1
.LBB174_1431:
	v_mov_b32_e32 v5, 0
.LBB174_1432:
	s_mov_b32 s18, 0
.LBB174_1433:
	s_delay_alu instid0(SALU_CYCLE_1)
	s_and_b32 vcc_lo, exec_lo, s18
	s_cbranch_vccz .LBB174_1438
; %bb.1434:
	s_cmp_eq_u32 s3, 29
	s_cbranch_scc0 .LBB174_1436
; %bb.1435:
	global_load_b64 v[6:7], v[2:3], off
	s_mov_b32 s0, 0
	s_mov_b32 s17, -1
	s_wait_loadcnt 0x0
	v_clz_i32_u32_e32 v1, v7
	s_delay_alu instid0(VALU_DEP_1) | instskip(NEXT) | instid1(VALU_DEP_1)
	v_min_u32_e32 v1, 32, v1
	v_lshlrev_b64_e32 v[6:7], v1, v[6:7]
	v_sub_nc_u32_e32 v1, 32, v1
	s_delay_alu instid0(VALU_DEP_2) | instskip(NEXT) | instid1(VALU_DEP_1)
	v_min_u32_e32 v5, 1, v6
	v_or_b32_e32 v5, v7, v5
	s_delay_alu instid0(VALU_DEP_1) | instskip(NEXT) | instid1(VALU_DEP_1)
	v_cvt_f32_u32_e32 v5, v5
	v_ldexp_f32 v1, v5, v1
	s_delay_alu instid0(VALU_DEP_1) | instskip(NEXT) | instid1(VALU_DEP_1)
	v_bfe_u32 v5, v1, 16, 1
	v_add3_u32 v1, v1, v5, 0x7fff
	s_delay_alu instid0(VALU_DEP_1)
	v_lshrrev_b32_e32 v1, 16, v1
	s_branch .LBB174_1437
.LBB174_1436:
	s_mov_b32 s0, -1
                                        ; implicit-def: $vgpr1
.LBB174_1437:
	v_mov_b32_e32 v5, 0
.LBB174_1438:
	s_mov_b32 s18, 0
.LBB174_1439:
	s_delay_alu instid0(SALU_CYCLE_1)
	s_and_b32 vcc_lo, exec_lo, s18
	s_cbranch_vccz .LBB174_1457
; %bb.1440:
	s_cmp_lt_i32 s3, 27
	s_cbranch_scc1 .LBB174_1443
; %bb.1441:
	s_cmp_gt_i32 s3, 27
	s_cbranch_scc0 .LBB174_1444
; %bb.1442:
	global_load_b32 v1, v[2:3], off
	s_mov_b32 s17, 0
	s_wait_loadcnt 0x0
	v_cvt_f32_u32_e32 v1, v1
	s_delay_alu instid0(VALU_DEP_1) | instskip(NEXT) | instid1(VALU_DEP_1)
	v_bfe_u32 v5, v1, 16, 1
	v_add3_u32 v1, v1, v5, 0x7fff
	s_delay_alu instid0(VALU_DEP_1)
	v_lshrrev_b32_e32 v1, 16, v1
	s_branch .LBB174_1445
.LBB174_1443:
	s_mov_b32 s17, -1
                                        ; implicit-def: $vgpr1
	s_branch .LBB174_1448
.LBB174_1444:
	s_mov_b32 s17, -1
                                        ; implicit-def: $vgpr1
.LBB174_1445:
	s_delay_alu instid0(SALU_CYCLE_1)
	s_and_not1_b32 vcc_lo, exec_lo, s17
	s_cbranch_vccnz .LBB174_1447
; %bb.1446:
	global_load_u16 v1, v[2:3], off
	s_wait_loadcnt 0x0
	v_cvt_f32_u32_e32 v1, v1
	s_delay_alu instid0(VALU_DEP_1) | instskip(NEXT) | instid1(VALU_DEP_1)
	v_bfe_u32 v5, v1, 16, 1
	v_add3_u32 v1, v1, v5, 0x7fff
	s_delay_alu instid0(VALU_DEP_1)
	v_lshrrev_b32_e32 v1, 16, v1
.LBB174_1447:
	s_mov_b32 s17, 0
.LBB174_1448:
	s_delay_alu instid0(SALU_CYCLE_1)
	s_and_not1_b32 vcc_lo, exec_lo, s17
	s_cbranch_vccnz .LBB174_1456
; %bb.1449:
	global_load_u8 v1, v[2:3], off
	s_mov_b32 s17, 0
	s_mov_b32 s18, exec_lo
	s_wait_loadcnt 0x0
	v_cmpx_lt_i16_e32 0x7f, v1
	s_xor_b32 s18, exec_lo, s18
	s_cbranch_execz .LBB174_1469
; %bb.1450:
	s_mov_b32 s17, -1
	s_mov_b32 s19, exec_lo
	v_cmpx_eq_u16_e32 0x80, v1
; %bb.1451:
	s_xor_b32 s17, exec_lo, -1
; %bb.1452:
	s_or_b32 exec_lo, exec_lo, s19
	s_delay_alu instid0(SALU_CYCLE_1)
	s_and_b32 s17, s17, exec_lo
	s_or_saveexec_b32 s18, s18
	v_mov_b32_e32 v5, 0x7f800001
	s_xor_b32 exec_lo, exec_lo, s18
	s_cbranch_execnz .LBB174_1470
.LBB174_1453:
	s_or_b32 exec_lo, exec_lo, s18
	s_and_saveexec_b32 s18, s17
	s_cbranch_execz .LBB174_1455
.LBB174_1454:
	v_and_b32_e32 v5, 0xffff, v1
	s_delay_alu instid0(VALU_DEP_1) | instskip(SKIP_1) | instid1(VALU_DEP_2)
	v_and_b32_e32 v6, 7, v5
	v_bfe_u32 v9, v5, 3, 4
	v_clz_i32_u32_e32 v7, v6
	s_delay_alu instid0(VALU_DEP_2) | instskip(NEXT) | instid1(VALU_DEP_2)
	v_cmp_eq_u32_e32 vcc_lo, 0, v9
	v_min_u32_e32 v7, 32, v7
	s_delay_alu instid0(VALU_DEP_1) | instskip(NEXT) | instid1(VALU_DEP_1)
	v_subrev_nc_u32_e32 v8, 28, v7
	v_dual_lshlrev_b32 v5, v8, v5 :: v_dual_sub_nc_u32 v7, 29, v7
	s_delay_alu instid0(VALU_DEP_1) | instskip(NEXT) | instid1(VALU_DEP_2)
	v_and_b32_e32 v5, 7, v5
	v_dual_lshlrev_b32 v1, 24, v1 :: v_dual_cndmask_b32 v7, v9, v7, vcc_lo
	s_delay_alu instid0(VALU_DEP_2) | instskip(NEXT) | instid1(VALU_DEP_2)
	v_cndmask_b32_e32 v5, v6, v5, vcc_lo
	v_and_b32_e32 v1, 0x80000000, v1
	s_delay_alu instid0(VALU_DEP_3) | instskip(NEXT) | instid1(VALU_DEP_3)
	v_lshl_add_u32 v6, v7, 23, 0x3b800000
	v_lshlrev_b32_e32 v5, 20, v5
	s_delay_alu instid0(VALU_DEP_1)
	v_or3_b32 v5, v1, v6, v5
.LBB174_1455:
	s_or_b32 exec_lo, exec_lo, s18
	s_delay_alu instid0(VALU_DEP_1) | instskip(SKIP_1) | instid1(VALU_DEP_2)
	v_bfe_u32 v1, v5, 16, 1
	v_cmp_o_f32_e32 vcc_lo, v5, v5
	v_add3_u32 v1, v5, v1, 0x7fff
	s_delay_alu instid0(VALU_DEP_1) | instskip(NEXT) | instid1(VALU_DEP_1)
	v_lshrrev_b32_e32 v1, 16, v1
	v_cndmask_b32_e32 v1, 0x7fc0, v1, vcc_lo
.LBB174_1456:
	v_mov_b32_e32 v5, 0
	s_mov_b32 s17, -1
.LBB174_1457:
	s_branch .LBB174_1351
.LBB174_1458:
	s_cmp_gt_i32 s3, 22
	s_cbranch_scc0 .LBB174_1468
; %bb.1459:
	s_cmp_lt_i32 s3, 24
	s_cbranch_scc1 .LBB174_1471
; %bb.1460:
	s_cmp_gt_i32 s3, 24
	s_cbranch_scc0 .LBB174_1472
; %bb.1461:
	global_load_u8 v1, v[2:3], off
	s_mov_b32 s17, exec_lo
	s_wait_loadcnt 0x0
	v_cmpx_lt_i16_e32 0x7f, v1
	s_xor_b32 s17, exec_lo, s17
	s_cbranch_execz .LBB174_1484
; %bb.1462:
	s_mov_b32 s14, -1
	s_mov_b32 s18, exec_lo
	v_cmpx_eq_u16_e32 0x80, v1
; %bb.1463:
	s_xor_b32 s14, exec_lo, -1
; %bb.1464:
	s_or_b32 exec_lo, exec_lo, s18
	s_delay_alu instid0(SALU_CYCLE_1)
	s_and_b32 s14, s14, exec_lo
	s_or_saveexec_b32 s17, s17
	v_mov_b32_e32 v5, 0x7f800001
	s_xor_b32 exec_lo, exec_lo, s17
	s_cbranch_execnz .LBB174_1485
.LBB174_1465:
	s_or_b32 exec_lo, exec_lo, s17
	s_and_saveexec_b32 s17, s14
	s_cbranch_execz .LBB174_1467
.LBB174_1466:
	v_and_b32_e32 v5, 0xffff, v1
	s_delay_alu instid0(VALU_DEP_1) | instskip(SKIP_1) | instid1(VALU_DEP_2)
	v_and_b32_e32 v6, 3, v5
	v_bfe_u32 v9, v5, 2, 5
	v_clz_i32_u32_e32 v7, v6
	s_delay_alu instid0(VALU_DEP_2) | instskip(NEXT) | instid1(VALU_DEP_2)
	v_cmp_eq_u32_e32 vcc_lo, 0, v9
	v_min_u32_e32 v7, 32, v7
	s_delay_alu instid0(VALU_DEP_1) | instskip(NEXT) | instid1(VALU_DEP_1)
	v_subrev_nc_u32_e32 v8, 29, v7
	v_dual_lshlrev_b32 v5, v8, v5 :: v_dual_sub_nc_u32 v7, 30, v7
	s_delay_alu instid0(VALU_DEP_1) | instskip(NEXT) | instid1(VALU_DEP_2)
	v_and_b32_e32 v5, 3, v5
	v_dual_lshlrev_b32 v1, 24, v1 :: v_dual_cndmask_b32 v7, v9, v7, vcc_lo
	s_delay_alu instid0(VALU_DEP_2) | instskip(NEXT) | instid1(VALU_DEP_2)
	v_cndmask_b32_e32 v5, v6, v5, vcc_lo
	v_and_b32_e32 v1, 0x80000000, v1
	s_delay_alu instid0(VALU_DEP_3) | instskip(NEXT) | instid1(VALU_DEP_3)
	v_lshl_add_u32 v6, v7, 23, 0x37800000
	v_lshlrev_b32_e32 v5, 21, v5
	s_delay_alu instid0(VALU_DEP_1)
	v_or3_b32 v5, v1, v6, v5
.LBB174_1467:
	s_or_b32 exec_lo, exec_lo, s17
	s_delay_alu instid0(VALU_DEP_1) | instskip(SKIP_2) | instid1(VALU_DEP_2)
	v_bfe_u32 v1, v5, 16, 1
	v_cmp_o_f32_e32 vcc_lo, v5, v5
	s_mov_b32 s14, 0
	v_add3_u32 v1, v5, v1, 0x7fff
	s_delay_alu instid0(VALU_DEP_1) | instskip(NEXT) | instid1(VALU_DEP_1)
	v_lshrrev_b32_e32 v1, 16, v1
	v_cndmask_b32_e32 v1, 0x7fc0, v1, vcc_lo
	s_branch .LBB174_1473
.LBB174_1468:
	s_mov_b32 s14, -1
                                        ; implicit-def: $vgpr1
	s_branch .LBB174_1479
.LBB174_1469:
	s_or_saveexec_b32 s18, s18
	v_mov_b32_e32 v5, 0x7f800001
	s_xor_b32 exec_lo, exec_lo, s18
	s_cbranch_execz .LBB174_1453
.LBB174_1470:
	v_cmp_ne_u16_e32 vcc_lo, 0, v1
	v_mov_b32_e32 v5, 0
	s_and_not1_b32 s17, s17, exec_lo
	s_and_b32 s19, vcc_lo, exec_lo
	s_delay_alu instid0(SALU_CYCLE_1)
	s_or_b32 s17, s17, s19
	s_or_b32 exec_lo, exec_lo, s18
	s_and_saveexec_b32 s18, s17
	s_cbranch_execnz .LBB174_1454
	s_branch .LBB174_1455
.LBB174_1471:
	s_mov_b32 s14, -1
                                        ; implicit-def: $vgpr1
	s_branch .LBB174_1476
.LBB174_1472:
	s_mov_b32 s14, -1
                                        ; implicit-def: $vgpr1
.LBB174_1473:
	s_delay_alu instid0(SALU_CYCLE_1)
	s_and_b32 vcc_lo, exec_lo, s14
	s_cbranch_vccz .LBB174_1475
; %bb.1474:
	global_load_u8 v1, v[2:3], off
	s_wait_loadcnt 0x0
	v_lshlrev_b32_e32 v1, 24, v1
	s_delay_alu instid0(VALU_DEP_1) | instskip(NEXT) | instid1(VALU_DEP_1)
	v_and_b32_e32 v5, 0x7f000000, v1
	v_clz_i32_u32_e32 v6, v5
	v_cmp_ne_u32_e32 vcc_lo, 0, v5
	v_add_nc_u32_e32 v8, 0x1000000, v5
	s_delay_alu instid0(VALU_DEP_3) | instskip(NEXT) | instid1(VALU_DEP_1)
	v_min_u32_e32 v6, 32, v6
	v_sub_nc_u32_e64 v6, v6, 4 clamp
	s_delay_alu instid0(VALU_DEP_1) | instskip(NEXT) | instid1(VALU_DEP_1)
	v_dual_lshlrev_b32 v7, v6, v5 :: v_dual_lshlrev_b32 v6, 23, v6
	v_lshrrev_b32_e32 v7, 4, v7
	s_delay_alu instid0(VALU_DEP_1) | instskip(NEXT) | instid1(VALU_DEP_1)
	v_dual_sub_nc_u32 v6, v7, v6 :: v_dual_ashrrev_i32 v7, 8, v8
	v_add_nc_u32_e32 v6, 0x3c000000, v6
	s_delay_alu instid0(VALU_DEP_1) | instskip(NEXT) | instid1(VALU_DEP_1)
	v_and_or_b32 v6, 0x7f800000, v7, v6
	v_cndmask_b32_e32 v5, 0, v6, vcc_lo
	s_delay_alu instid0(VALU_DEP_1) | instskip(SKIP_1) | instid1(VALU_DEP_2)
	v_and_or_b32 v1, 0x80000000, v1, v5
	v_bfe_u32 v5, v5, 16, 1
	v_cmp_o_f32_e32 vcc_lo, v1, v1
	s_delay_alu instid0(VALU_DEP_2) | instskip(NEXT) | instid1(VALU_DEP_1)
	v_add3_u32 v5, v1, v5, 0x7fff
	v_lshrrev_b32_e32 v5, 16, v5
	s_delay_alu instid0(VALU_DEP_1)
	v_cndmask_b32_e32 v1, 0x7fc0, v5, vcc_lo
.LBB174_1475:
	s_mov_b32 s14, 0
.LBB174_1476:
	s_delay_alu instid0(SALU_CYCLE_1)
	s_and_not1_b32 vcc_lo, exec_lo, s14
	s_cbranch_vccnz .LBB174_1478
; %bb.1477:
	global_load_u8 v1, v[2:3], off
	s_wait_loadcnt 0x0
	v_lshlrev_b32_e32 v5, 25, v1
	v_lshlrev_b16 v1, 8, v1
	s_delay_alu instid0(VALU_DEP_1) | instskip(SKIP_1) | instid1(VALU_DEP_2)
	v_and_or_b32 v7, 0x7f00, v1, 0.5
	v_bfe_i32 v1, v1, 0, 16
	v_dual_add_f32 v7, -0.5, v7 :: v_dual_lshrrev_b32 v6, 4, v5
	v_cmp_gt_u32_e32 vcc_lo, 0x8000000, v5
	s_delay_alu instid0(VALU_DEP_2) | instskip(NEXT) | instid1(VALU_DEP_1)
	v_or_b32_e32 v6, 0x70000000, v6
	v_mul_f32_e32 v6, 0x7800000, v6
	s_delay_alu instid0(VALU_DEP_1) | instskip(NEXT) | instid1(VALU_DEP_1)
	v_cndmask_b32_e32 v5, v6, v7, vcc_lo
	v_and_or_b32 v1, 0x80000000, v1, v5
	v_bfe_u32 v5, v5, 16, 1
	s_delay_alu instid0(VALU_DEP_2) | instskip(NEXT) | instid1(VALU_DEP_2)
	v_cmp_o_f32_e32 vcc_lo, v1, v1
	v_add3_u32 v5, v1, v5, 0x7fff
	s_delay_alu instid0(VALU_DEP_1) | instskip(NEXT) | instid1(VALU_DEP_1)
	v_lshrrev_b32_e32 v5, 16, v5
	v_cndmask_b32_e32 v1, 0x7fc0, v5, vcc_lo
.LBB174_1478:
	s_mov_b32 s14, 0
	s_mov_b32 s17, -1
.LBB174_1479:
	s_and_not1_b32 vcc_lo, exec_lo, s14
	s_mov_b32 s14, 0
	s_cbranch_vccnz .LBB174_1490
; %bb.1480:
	s_cmp_gt_i32 s3, 14
	s_cbranch_scc0 .LBB174_1483
; %bb.1481:
	s_cmp_eq_u32 s3, 15
	s_cbranch_scc0 .LBB174_1486
; %bb.1482:
	global_load_u16 v1, v[2:3], off
	s_mov_b32 s0, 0
	s_mov_b32 s17, -1
	s_branch .LBB174_1488
.LBB174_1483:
	s_mov_b32 s14, -1
	s_branch .LBB174_1487
.LBB174_1484:
	s_or_saveexec_b32 s17, s17
	v_mov_b32_e32 v5, 0x7f800001
	s_xor_b32 exec_lo, exec_lo, s17
	s_cbranch_execz .LBB174_1465
.LBB174_1485:
	v_cmp_ne_u16_e32 vcc_lo, 0, v1
	v_mov_b32_e32 v5, 0
	s_and_not1_b32 s14, s14, exec_lo
	s_and_b32 s18, vcc_lo, exec_lo
	s_delay_alu instid0(SALU_CYCLE_1)
	s_or_b32 s14, s14, s18
	s_or_b32 exec_lo, exec_lo, s17
	s_and_saveexec_b32 s17, s14
	s_cbranch_execnz .LBB174_1466
	s_branch .LBB174_1467
.LBB174_1486:
	s_mov_b32 s0, -1
.LBB174_1487:
                                        ; implicit-def: $vgpr1
.LBB174_1488:
	s_and_b32 vcc_lo, exec_lo, s14
	s_mov_b32 s14, 0
	s_cbranch_vccz .LBB174_1490
; %bb.1489:
	s_cmp_lg_u32 s3, 11
	s_mov_b32 s14, -1
	s_cselect_b32 s0, -1, 0
.LBB174_1490:
	v_mov_b32_e32 v5, 0
	s_and_b32 vcc_lo, exec_lo, s0
	s_cbranch_vccz .LBB174_1352
.LBB174_1491:
	s_or_b32 s1, s1, exec_lo
	s_trap 2
	s_cbranch_execz .LBB174_1353
	s_branch .LBB174_1354
.LBB174_1492:
	s_mov_b32 s0, -1
	s_mov_b32 s7, 0
.LBB174_1493:
                                        ; implicit-def: $vgpr3
                                        ; implicit-def: $vgpr2
.LBB174_1494:
	s_and_b32 vcc_lo, exec_lo, s16
	s_cbranch_vccz .LBB174_1499
; %bb.1495:
	s_cmp_eq_u32 s3, 44
	s_cbranch_scc0 .LBB174_1497
; %bb.1496:
	global_load_u8 v2, v[0:1], off
	s_mov_b32 s0, 0
	s_mov_b32 s7, -1
	s_wait_loadcnt 0x0
	v_lshlrev_b32_e32 v3, 23, v2
	v_cmp_ne_u32_e32 vcc_lo, 0xff, v2
	s_delay_alu instid0(VALU_DEP_2) | instskip(SKIP_1) | instid1(VALU_DEP_2)
	v_cndmask_b32_e32 v3, 0x7f800001, v3, vcc_lo
	v_cmp_ne_u32_e32 vcc_lo, 0, v2
	v_cndmask_b32_e32 v2, 0x400000, v3, vcc_lo
	s_delay_alu instid0(VALU_DEP_1) | instskip(NEXT) | instid1(VALU_DEP_1)
	v_add_nc_u32_e32 v3, 0x7fff, v2
	v_lshrrev_b32_e32 v3, 16, v3
	v_cmp_o_f32_e32 vcc_lo, v2, v2
	s_delay_alu instid0(VALU_DEP_2)
	v_cndmask_b32_e32 v2, 0x7fc0, v3, vcc_lo
	s_branch .LBB174_1498
.LBB174_1497:
	s_mov_b32 s0, -1
                                        ; implicit-def: $vgpr2
.LBB174_1498:
	v_mov_b32_e32 v3, 0
.LBB174_1499:
	s_mov_b32 s16, 0
.LBB174_1500:
	s_delay_alu instid0(SALU_CYCLE_1)
	s_and_b32 vcc_lo, exec_lo, s16
	s_cbranch_vccz .LBB174_1505
; %bb.1501:
	s_cmp_eq_u32 s3, 29
	s_cbranch_scc0 .LBB174_1503
; %bb.1502:
	global_load_b64 v[2:3], v[0:1], off
	s_mov_b32 s0, 0
	s_mov_b32 s7, -1
	s_wait_loadcnt 0x0
	v_clz_i32_u32_e32 v5, v3
	s_delay_alu instid0(VALU_DEP_1) | instskip(NEXT) | instid1(VALU_DEP_1)
	v_min_u32_e32 v5, 32, v5
	v_lshlrev_b64_e32 v[2:3], v5, v[2:3]
	s_delay_alu instid0(VALU_DEP_1) | instskip(NEXT) | instid1(VALU_DEP_1)
	v_min_u32_e32 v2, 1, v2
	v_dual_sub_nc_u32 v3, 32, v5 :: v_dual_bitop2_b32 v2, v3, v2 bitop3:0x54
	s_delay_alu instid0(VALU_DEP_1) | instskip(NEXT) | instid1(VALU_DEP_1)
	v_cvt_f32_u32_e32 v2, v2
	v_ldexp_f32 v2, v2, v3
	s_delay_alu instid0(VALU_DEP_1) | instskip(NEXT) | instid1(VALU_DEP_1)
	v_bfe_u32 v3, v2, 16, 1
	v_add3_u32 v2, v2, v3, 0x7fff
	s_delay_alu instid0(VALU_DEP_1)
	v_lshrrev_b32_e32 v2, 16, v2
	s_branch .LBB174_1504
.LBB174_1503:
	s_mov_b32 s0, -1
                                        ; implicit-def: $vgpr2
.LBB174_1504:
	v_mov_b32_e32 v3, 0
.LBB174_1505:
	s_mov_b32 s16, 0
.LBB174_1506:
	s_delay_alu instid0(SALU_CYCLE_1)
	s_and_b32 vcc_lo, exec_lo, s16
	s_cbranch_vccz .LBB174_1524
; %bb.1507:
	s_cmp_lt_i32 s3, 27
	s_cbranch_scc1 .LBB174_1510
; %bb.1508:
	s_cmp_gt_i32 s3, 27
	s_cbranch_scc0 .LBB174_1511
; %bb.1509:
	global_load_b32 v2, v[0:1], off
	s_mov_b32 s7, 0
	s_wait_loadcnt 0x0
	v_cvt_f32_u32_e32 v2, v2
	s_delay_alu instid0(VALU_DEP_1) | instskip(NEXT) | instid1(VALU_DEP_1)
	v_bfe_u32 v3, v2, 16, 1
	v_add3_u32 v2, v2, v3, 0x7fff
	s_delay_alu instid0(VALU_DEP_1)
	v_lshrrev_b32_e32 v2, 16, v2
	s_branch .LBB174_1512
.LBB174_1510:
	s_mov_b32 s7, -1
                                        ; implicit-def: $vgpr2
	s_branch .LBB174_1515
.LBB174_1511:
	s_mov_b32 s7, -1
                                        ; implicit-def: $vgpr2
.LBB174_1512:
	s_delay_alu instid0(SALU_CYCLE_1)
	s_and_not1_b32 vcc_lo, exec_lo, s7
	s_cbranch_vccnz .LBB174_1514
; %bb.1513:
	global_load_u16 v2, v[0:1], off
	s_wait_loadcnt 0x0
	v_cvt_f32_u32_e32 v2, v2
	s_delay_alu instid0(VALU_DEP_1) | instskip(NEXT) | instid1(VALU_DEP_1)
	v_bfe_u32 v3, v2, 16, 1
	v_add3_u32 v2, v2, v3, 0x7fff
	s_delay_alu instid0(VALU_DEP_1)
	v_lshrrev_b32_e32 v2, 16, v2
.LBB174_1514:
	s_mov_b32 s7, 0
.LBB174_1515:
	s_delay_alu instid0(SALU_CYCLE_1)
	s_and_not1_b32 vcc_lo, exec_lo, s7
	s_cbranch_vccnz .LBB174_1523
; %bb.1516:
	global_load_u8 v2, v[0:1], off
	s_mov_b32 s7, 0
	s_mov_b32 s16, exec_lo
	s_wait_loadcnt 0x0
	v_cmpx_lt_i16_e32 0x7f, v2
	s_xor_b32 s16, exec_lo, s16
	s_cbranch_execz .LBB174_1549
; %bb.1517:
	s_mov_b32 s7, -1
	s_mov_b32 s17, exec_lo
	v_cmpx_eq_u16_e32 0x80, v2
; %bb.1518:
	s_xor_b32 s7, exec_lo, -1
; %bb.1519:
	s_or_b32 exec_lo, exec_lo, s17
	s_delay_alu instid0(SALU_CYCLE_1)
	s_and_b32 s7, s7, exec_lo
	s_or_saveexec_b32 s16, s16
	v_mov_b32_e32 v3, 0x7f800001
	s_xor_b32 exec_lo, exec_lo, s16
	s_cbranch_execnz .LBB174_1550
.LBB174_1520:
	s_or_b32 exec_lo, exec_lo, s16
	s_and_saveexec_b32 s16, s7
	s_cbranch_execz .LBB174_1522
.LBB174_1521:
	v_and_b32_e32 v3, 0xffff, v2
	s_delay_alu instid0(VALU_DEP_1) | instskip(SKIP_1) | instid1(VALU_DEP_2)
	v_and_b32_e32 v5, 7, v3
	v_bfe_u32 v8, v3, 3, 4
	v_clz_i32_u32_e32 v6, v5
	s_delay_alu instid0(VALU_DEP_2) | instskip(NEXT) | instid1(VALU_DEP_2)
	v_cmp_eq_u32_e32 vcc_lo, 0, v8
	v_min_u32_e32 v6, 32, v6
	s_delay_alu instid0(VALU_DEP_1) | instskip(NEXT) | instid1(VALU_DEP_1)
	v_subrev_nc_u32_e32 v7, 28, v6
	v_dual_lshlrev_b32 v3, v7, v3 :: v_dual_sub_nc_u32 v6, 29, v6
	s_delay_alu instid0(VALU_DEP_1) | instskip(NEXT) | instid1(VALU_DEP_1)
	v_dual_lshlrev_b32 v2, 24, v2 :: v_dual_bitop2_b32 v3, 7, v3 bitop3:0x40
	v_dual_cndmask_b32 v3, v5, v3 :: v_dual_cndmask_b32 v6, v8, v6
	s_delay_alu instid0(VALU_DEP_2) | instskip(NEXT) | instid1(VALU_DEP_2)
	v_and_b32_e32 v2, 0x80000000, v2
	v_lshlrev_b32_e32 v3, 20, v3
	s_delay_alu instid0(VALU_DEP_3) | instskip(NEXT) | instid1(VALU_DEP_1)
	v_lshl_add_u32 v5, v6, 23, 0x3b800000
	v_or3_b32 v3, v2, v5, v3
.LBB174_1522:
	s_or_b32 exec_lo, exec_lo, s16
	s_delay_alu instid0(VALU_DEP_1) | instskip(SKIP_1) | instid1(VALU_DEP_2)
	v_bfe_u32 v2, v3, 16, 1
	v_cmp_o_f32_e32 vcc_lo, v3, v3
	v_add3_u32 v2, v3, v2, 0x7fff
	s_delay_alu instid0(VALU_DEP_1) | instskip(NEXT) | instid1(VALU_DEP_1)
	v_lshrrev_b32_e32 v2, 16, v2
	v_cndmask_b32_e32 v2, 0x7fc0, v2, vcc_lo
.LBB174_1523:
	v_mov_b32_e32 v3, 0
	s_mov_b32 s7, -1
.LBB174_1524:
	s_mov_b32 s16, 0
.LBB174_1525:
	s_delay_alu instid0(SALU_CYCLE_1)
	s_and_b32 vcc_lo, exec_lo, s16
	s_cbranch_vccz .LBB174_1536
; %bb.1526:
	s_cmp_gt_i32 s3, 22
	s_cbranch_scc0 .LBB174_1547
; %bb.1527:
	s_cmp_lt_i32 s3, 24
	s_cbranch_scc1 .LBB174_1551
; %bb.1528:
	s_cmp_gt_i32 s3, 24
	s_cbranch_scc0 .LBB174_1553
; %bb.1529:
	global_load_u8 v2, v[0:1], off
	s_mov_b32 s7, exec_lo
	s_wait_loadcnt 0x0
	v_cmpx_lt_i16_e32 0x7f, v2
	s_xor_b32 s7, exec_lo, s7
	s_cbranch_execz .LBB174_1565
; %bb.1530:
	s_mov_b32 s6, -1
	s_mov_b32 s16, exec_lo
	v_cmpx_eq_u16_e32 0x80, v2
; %bb.1531:
	s_xor_b32 s6, exec_lo, -1
; %bb.1532:
	s_or_b32 exec_lo, exec_lo, s16
	s_delay_alu instid0(SALU_CYCLE_1)
	s_and_b32 s6, s6, exec_lo
	s_or_saveexec_b32 s7, s7
	v_mov_b32_e32 v3, 0x7f800001
	s_xor_b32 exec_lo, exec_lo, s7
	s_cbranch_execnz .LBB174_1566
.LBB174_1533:
	s_or_b32 exec_lo, exec_lo, s7
	s_and_saveexec_b32 s7, s6
	s_cbranch_execz .LBB174_1535
.LBB174_1534:
	v_and_b32_e32 v3, 0xffff, v2
	s_delay_alu instid0(VALU_DEP_1) | instskip(SKIP_1) | instid1(VALU_DEP_2)
	v_and_b32_e32 v5, 3, v3
	v_bfe_u32 v8, v3, 2, 5
	v_clz_i32_u32_e32 v6, v5
	s_delay_alu instid0(VALU_DEP_2) | instskip(NEXT) | instid1(VALU_DEP_2)
	v_cmp_eq_u32_e32 vcc_lo, 0, v8
	v_min_u32_e32 v6, 32, v6
	s_delay_alu instid0(VALU_DEP_1) | instskip(NEXT) | instid1(VALU_DEP_1)
	v_subrev_nc_u32_e32 v7, 29, v6
	v_dual_lshlrev_b32 v3, v7, v3 :: v_dual_sub_nc_u32 v6, 30, v6
	s_delay_alu instid0(VALU_DEP_1) | instskip(NEXT) | instid1(VALU_DEP_1)
	v_dual_lshlrev_b32 v2, 24, v2 :: v_dual_bitop2_b32 v3, 3, v3 bitop3:0x40
	v_dual_cndmask_b32 v3, v5, v3 :: v_dual_cndmask_b32 v6, v8, v6
	s_delay_alu instid0(VALU_DEP_2) | instskip(NEXT) | instid1(VALU_DEP_2)
	v_and_b32_e32 v2, 0x80000000, v2
	v_lshlrev_b32_e32 v3, 21, v3
	s_delay_alu instid0(VALU_DEP_3) | instskip(NEXT) | instid1(VALU_DEP_1)
	v_lshl_add_u32 v5, v6, 23, 0x37800000
	v_or3_b32 v3, v2, v5, v3
.LBB174_1535:
	s_or_b32 exec_lo, exec_lo, s7
	s_delay_alu instid0(VALU_DEP_1) | instskip(SKIP_2) | instid1(VALU_DEP_2)
	v_bfe_u32 v2, v3, 16, 1
	v_cmp_o_f32_e32 vcc_lo, v3, v3
	s_mov_b32 s6, 0
	v_add3_u32 v2, v3, v2, 0x7fff
	s_delay_alu instid0(VALU_DEP_1) | instskip(NEXT) | instid1(VALU_DEP_1)
	v_lshrrev_b32_e32 v2, 16, v2
	v_cndmask_b32_e32 v2, 0x7fc0, v2, vcc_lo
	s_branch .LBB174_1554
.LBB174_1536:
	s_and_b32 vcc_lo, exec_lo, s0
	s_cbranch_vccnz .LBB174_1584
.LBB174_1537:
	s_and_not1_b32 vcc_lo, exec_lo, s6
	s_cbranch_vccnz .LBB174_1539
.LBB174_1538:
	s_wait_loadcnt 0x0
	global_load_u8 v2, v[0:1], off
	s_mov_b32 s7, -1
	v_mov_b32_e32 v3, 0
	s_wait_loadcnt 0x0
	v_cmp_ne_u16_e32 vcc_lo, 0, v2
	v_cndmask_b32_e64 v2, 0, 1.0, vcc_lo
	s_delay_alu instid0(VALU_DEP_1)
	v_lshrrev_b32_e32 v2, 16, v2
.LBB174_1539:
	s_mov_b32 s0, 0
.LBB174_1540:
	s_delay_alu instid0(SALU_CYCLE_1)
	s_and_b32 vcc_lo, exec_lo, s0
	s_cbranch_vccz .LBB174_1615
; %bb.1541:
	s_cmp_lt_i32 s3, 5
	s_cbranch_scc1 .LBB174_1546
; %bb.1542:
	s_cmp_lt_i32 s3, 8
	s_cbranch_scc1 .LBB174_1548
	;; [unrolled: 3-line block ×3, first 2 shown]
; %bb.1544:
	s_cmp_gt_i32 s3, 9
	s_cbranch_scc0 .LBB174_1567
; %bb.1545:
	global_load_b128 v[6:9], v[0:1], off
	s_mov_b32 s0, 0
	s_wait_loadcnt 0x0
	v_cvt_f32_f64_e32 v2, v[6:7]
	v_cvt_f32_f64_e32 v3, v[8:9]
	s_delay_alu instid0(VALU_DEP_2) | instskip(NEXT) | instid1(VALU_DEP_2)
	v_bfe_u32 v5, v2, 16, 1
	v_bfe_u32 v6, v3, 16, 1
	v_cmp_o_f32_e32 vcc_lo, v2, v2
	s_delay_alu instid0(VALU_DEP_3) | instskip(NEXT) | instid1(VALU_DEP_3)
	v_add3_u32 v5, v2, v5, 0x7fff
	v_add3_u32 v6, v3, v6, 0x7fff
	s_delay_alu instid0(VALU_DEP_2) | instskip(NEXT) | instid1(VALU_DEP_2)
	v_lshrrev_b32_e32 v5, 16, v5
	v_and_b32_e32 v6, 0xffff0000, v6
	s_delay_alu instid0(VALU_DEP_2) | instskip(SKIP_1) | instid1(VALU_DEP_3)
	v_cndmask_b32_e32 v2, 0x7fc0, v5, vcc_lo
	v_cmp_o_f32_e32 vcc_lo, v3, v3
	v_cndmask_b32_e32 v3, 0x7fc00000, v6, vcc_lo
	s_branch .LBB174_1568
.LBB174_1546:
	s_mov_b32 s0, -1
                                        ; implicit-def: $vgpr3
                                        ; implicit-def: $vgpr2
	s_branch .LBB174_1593
.LBB174_1547:
	s_mov_b32 s6, -1
                                        ; implicit-def: $vgpr2
	s_branch .LBB174_1560
.LBB174_1548:
	s_mov_b32 s0, -1
                                        ; implicit-def: $vgpr3
                                        ; implicit-def: $vgpr2
	s_branch .LBB174_1574
.LBB174_1549:
	s_or_saveexec_b32 s16, s16
	v_mov_b32_e32 v3, 0x7f800001
	s_xor_b32 exec_lo, exec_lo, s16
	s_cbranch_execz .LBB174_1520
.LBB174_1550:
	v_cmp_ne_u16_e32 vcc_lo, 0, v2
	v_mov_b32_e32 v3, 0
	s_and_not1_b32 s7, s7, exec_lo
	s_and_b32 s17, vcc_lo, exec_lo
	s_delay_alu instid0(SALU_CYCLE_1)
	s_or_b32 s7, s7, s17
	s_or_b32 exec_lo, exec_lo, s16
	s_and_saveexec_b32 s16, s7
	s_cbranch_execnz .LBB174_1521
	s_branch .LBB174_1522
.LBB174_1551:
	s_mov_b32 s6, -1
                                        ; implicit-def: $vgpr2
	s_branch .LBB174_1557
.LBB174_1552:
	s_mov_b32 s0, -1
                                        ; implicit-def: $vgpr3
                                        ; implicit-def: $vgpr2
	s_branch .LBB174_1571
.LBB174_1553:
	s_mov_b32 s6, -1
                                        ; implicit-def: $vgpr2
.LBB174_1554:
	s_delay_alu instid0(SALU_CYCLE_1)
	s_and_b32 vcc_lo, exec_lo, s6
	s_cbranch_vccz .LBB174_1556
; %bb.1555:
	global_load_u8 v2, v[0:1], off
	s_wait_loadcnt 0x0
	v_lshlrev_b32_e32 v2, 24, v2
	s_delay_alu instid0(VALU_DEP_1) | instskip(NEXT) | instid1(VALU_DEP_1)
	v_and_b32_e32 v3, 0x7f000000, v2
	v_clz_i32_u32_e32 v5, v3
	v_add_nc_u32_e32 v7, 0x1000000, v3
	v_cmp_ne_u32_e32 vcc_lo, 0, v3
	s_delay_alu instid0(VALU_DEP_3) | instskip(NEXT) | instid1(VALU_DEP_1)
	v_min_u32_e32 v5, 32, v5
	v_sub_nc_u32_e64 v5, v5, 4 clamp
	s_delay_alu instid0(VALU_DEP_1) | instskip(NEXT) | instid1(VALU_DEP_1)
	v_dual_lshlrev_b32 v6, v5, v3 :: v_dual_lshlrev_b32 v5, 23, v5
	v_lshrrev_b32_e32 v6, 4, v6
	s_delay_alu instid0(VALU_DEP_1) | instskip(NEXT) | instid1(VALU_DEP_1)
	v_dual_sub_nc_u32 v5, v6, v5 :: v_dual_ashrrev_i32 v6, 8, v7
	v_add_nc_u32_e32 v5, 0x3c000000, v5
	s_delay_alu instid0(VALU_DEP_1) | instskip(NEXT) | instid1(VALU_DEP_1)
	v_and_or_b32 v5, 0x7f800000, v6, v5
	v_cndmask_b32_e32 v3, 0, v5, vcc_lo
	s_delay_alu instid0(VALU_DEP_1) | instskip(SKIP_1) | instid1(VALU_DEP_2)
	v_and_or_b32 v2, 0x80000000, v2, v3
	v_bfe_u32 v3, v3, 16, 1
	v_cmp_o_f32_e32 vcc_lo, v2, v2
	s_delay_alu instid0(VALU_DEP_2) | instskip(NEXT) | instid1(VALU_DEP_1)
	v_add3_u32 v3, v2, v3, 0x7fff
	v_lshrrev_b32_e32 v3, 16, v3
	s_delay_alu instid0(VALU_DEP_1)
	v_cndmask_b32_e32 v2, 0x7fc0, v3, vcc_lo
.LBB174_1556:
	s_mov_b32 s6, 0
.LBB174_1557:
	s_delay_alu instid0(SALU_CYCLE_1)
	s_and_not1_b32 vcc_lo, exec_lo, s6
	s_cbranch_vccnz .LBB174_1559
; %bb.1558:
	global_load_u8 v2, v[0:1], off
	s_wait_loadcnt 0x0
	v_lshlrev_b32_e32 v3, 25, v2
	v_lshlrev_b16 v2, 8, v2
	s_delay_alu instid0(VALU_DEP_2) | instskip(NEXT) | instid1(VALU_DEP_2)
	v_cmp_gt_u32_e32 vcc_lo, 0x8000000, v3
	v_and_or_b32 v6, 0x7f00, v2, 0.5
	v_lshrrev_b32_e32 v5, 4, v3
	v_bfe_i32 v2, v2, 0, 16
	s_delay_alu instid0(VALU_DEP_3) | instskip(NEXT) | instid1(VALU_DEP_3)
	v_add_f32_e32 v6, -0.5, v6
	v_or_b32_e32 v5, 0x70000000, v5
	s_delay_alu instid0(VALU_DEP_1) | instskip(NEXT) | instid1(VALU_DEP_1)
	v_mul_f32_e32 v5, 0x7800000, v5
	v_cndmask_b32_e32 v3, v5, v6, vcc_lo
	s_delay_alu instid0(VALU_DEP_1) | instskip(SKIP_1) | instid1(VALU_DEP_2)
	v_and_or_b32 v2, 0x80000000, v2, v3
	v_bfe_u32 v3, v3, 16, 1
	v_cmp_o_f32_e32 vcc_lo, v2, v2
	s_delay_alu instid0(VALU_DEP_2) | instskip(NEXT) | instid1(VALU_DEP_1)
	v_add3_u32 v3, v2, v3, 0x7fff
	v_lshrrev_b32_e32 v3, 16, v3
	s_delay_alu instid0(VALU_DEP_1)
	v_cndmask_b32_e32 v2, 0x7fc0, v3, vcc_lo
.LBB174_1559:
	s_mov_b32 s6, 0
	s_mov_b32 s7, -1
.LBB174_1560:
	s_and_not1_b32 vcc_lo, exec_lo, s6
	s_mov_b32 s6, 0
	s_cbranch_vccnz .LBB174_1583
; %bb.1561:
	s_cmp_gt_i32 s3, 14
	s_cbranch_scc0 .LBB174_1564
; %bb.1562:
	s_cmp_eq_u32 s3, 15
	s_cbranch_scc0 .LBB174_1579
; %bb.1563:
	global_load_u16 v2, v[0:1], off
	s_mov_b32 s0, 0
	s_mov_b32 s7, -1
	s_branch .LBB174_1581
.LBB174_1564:
	s_mov_b32 s6, -1
	s_branch .LBB174_1580
.LBB174_1565:
	s_or_saveexec_b32 s7, s7
	v_mov_b32_e32 v3, 0x7f800001
	s_xor_b32 exec_lo, exec_lo, s7
	s_cbranch_execz .LBB174_1533
.LBB174_1566:
	v_cmp_ne_u16_e32 vcc_lo, 0, v2
	v_mov_b32_e32 v3, 0
	s_and_not1_b32 s6, s6, exec_lo
	s_and_b32 s16, vcc_lo, exec_lo
	s_delay_alu instid0(SALU_CYCLE_1)
	s_or_b32 s6, s6, s16
	s_or_b32 exec_lo, exec_lo, s7
	s_and_saveexec_b32 s7, s6
	s_cbranch_execnz .LBB174_1534
	s_branch .LBB174_1535
.LBB174_1567:
	s_mov_b32 s0, -1
                                        ; implicit-def: $vgpr3
                                        ; implicit-def: $vgpr2
.LBB174_1568:
	s_delay_alu instid0(SALU_CYCLE_1)
	s_and_not1_b32 vcc_lo, exec_lo, s0
	s_cbranch_vccnz .LBB174_1570
; %bb.1569:
	s_wait_loadcnt 0x0
	global_load_b64 v[2:3], v[0:1], off
	s_wait_loadcnt 0x0
	v_bfe_u32 v5, v2, 16, 1
	v_bfe_u32 v6, v3, 16, 1
	v_cmp_o_f32_e32 vcc_lo, v2, v2
	s_delay_alu instid0(VALU_DEP_3) | instskip(NEXT) | instid1(VALU_DEP_3)
	v_add3_u32 v5, v2, v5, 0x7fff
	v_add3_u32 v6, v3, v6, 0x7fff
	s_delay_alu instid0(VALU_DEP_2) | instskip(NEXT) | instid1(VALU_DEP_2)
	v_lshrrev_b32_e32 v5, 16, v5
	v_and_b32_e32 v6, 0xffff0000, v6
	s_delay_alu instid0(VALU_DEP_2) | instskip(SKIP_1) | instid1(VALU_DEP_3)
	v_cndmask_b32_e32 v2, 0x7fc0, v5, vcc_lo
	v_cmp_o_f32_e32 vcc_lo, v3, v3
	v_cndmask_b32_e32 v3, 0x7fc00000, v6, vcc_lo
.LBB174_1570:
	s_mov_b32 s0, 0
.LBB174_1571:
	s_delay_alu instid0(SALU_CYCLE_1)
	s_and_not1_b32 vcc_lo, exec_lo, s0
	s_cbranch_vccnz .LBB174_1573
; %bb.1572:
	s_wait_loadcnt 0x0
	global_load_b32 v2, v[0:1], off
	s_wait_loadcnt 0x0
	v_cvt_f32_f16_e32 v5, v2
	v_cmp_o_f16_e32 vcc_lo, v2, v2
	s_delay_alu instid0(VALU_DEP_2) | instskip(NEXT) | instid1(VALU_DEP_1)
	v_bfe_u32 v7, v5, 16, 1
	v_add3_u32 v5, v5, v7, 0x7fff
	s_delay_alu instid0(VALU_DEP_1) | instskip(NEXT) | instid1(VALU_DEP_1)
	v_dual_lshrrev_b32 v3, 16, v2 :: v_dual_lshrrev_b32 v5, 16, v5
	v_cvt_f32_f16_e32 v6, v3
	s_delay_alu instid0(VALU_DEP_2) | instskip(NEXT) | instid1(VALU_DEP_2)
	v_cndmask_b32_e32 v2, 0x7fc0, v5, vcc_lo
	v_bfe_u32 v8, v6, 16, 1
	v_cmp_o_f16_e32 vcc_lo, v3, v3
	s_delay_alu instid0(VALU_DEP_2) | instskip(NEXT) | instid1(VALU_DEP_1)
	v_add3_u32 v6, v6, v8, 0x7fff
	v_and_b32_e32 v6, 0xffff0000, v6
	s_delay_alu instid0(VALU_DEP_1)
	v_cndmask_b32_e32 v3, 0x7fc00000, v6, vcc_lo
.LBB174_1573:
	s_mov_b32 s0, 0
.LBB174_1574:
	s_delay_alu instid0(SALU_CYCLE_1)
	s_and_not1_b32 vcc_lo, exec_lo, s0
	s_cbranch_vccnz .LBB174_1592
; %bb.1575:
	s_cmp_lt_i32 s3, 6
	s_cbranch_scc1 .LBB174_1578
; %bb.1576:
	s_cmp_gt_i32 s3, 6
	s_cbranch_scc0 .LBB174_1585
; %bb.1577:
	s_wait_loadcnt 0x0
	global_load_b64 v[2:3], v[0:1], off
	s_mov_b32 s0, 0
	s_wait_loadcnt 0x0
	v_cvt_f32_f64_e32 v2, v[2:3]
	s_delay_alu instid0(VALU_DEP_1) | instskip(SKIP_1) | instid1(VALU_DEP_2)
	v_bfe_u32 v3, v2, 16, 1
	v_cmp_o_f32_e32 vcc_lo, v2, v2
	v_add3_u32 v3, v2, v3, 0x7fff
	s_delay_alu instid0(VALU_DEP_1) | instskip(NEXT) | instid1(VALU_DEP_1)
	v_lshrrev_b32_e32 v3, 16, v3
	v_cndmask_b32_e32 v2, 0x7fc0, v3, vcc_lo
	s_branch .LBB174_1586
.LBB174_1578:
	s_mov_b32 s0, -1
                                        ; implicit-def: $vgpr2
	s_branch .LBB174_1589
.LBB174_1579:
	s_mov_b32 s0, -1
.LBB174_1580:
                                        ; implicit-def: $vgpr2
.LBB174_1581:
	s_and_b32 vcc_lo, exec_lo, s6
	s_mov_b32 s6, 0
	s_cbranch_vccz .LBB174_1583
; %bb.1582:
	s_cmp_lg_u32 s3, 11
	s_mov_b32 s6, -1
	s_cselect_b32 s0, -1, 0
.LBB174_1583:
	v_mov_b32_e32 v3, 0
	s_and_b32 vcc_lo, exec_lo, s0
	s_cbranch_vccz .LBB174_1537
.LBB174_1584:
	s_or_b32 s1, s1, exec_lo
	s_trap 2
	s_cbranch_execz .LBB174_1538
	s_branch .LBB174_1539
.LBB174_1585:
	s_mov_b32 s0, -1
                                        ; implicit-def: $vgpr2
.LBB174_1586:
	s_delay_alu instid0(SALU_CYCLE_1)
	s_and_not1_b32 vcc_lo, exec_lo, s0
	s_cbranch_vccnz .LBB174_1588
; %bb.1587:
	s_wait_loadcnt 0x0
	global_load_b32 v2, v[0:1], off
	s_wait_loadcnt 0x0
	v_bfe_u32 v3, v2, 16, 1
	v_cmp_o_f32_e32 vcc_lo, v2, v2
	s_delay_alu instid0(VALU_DEP_2) | instskip(NEXT) | instid1(VALU_DEP_1)
	v_add3_u32 v3, v2, v3, 0x7fff
	v_lshrrev_b32_e32 v3, 16, v3
	s_delay_alu instid0(VALU_DEP_1)
	v_cndmask_b32_e32 v2, 0x7fc0, v3, vcc_lo
.LBB174_1588:
	s_mov_b32 s0, 0
.LBB174_1589:
	s_delay_alu instid0(SALU_CYCLE_1)
	s_and_not1_b32 vcc_lo, exec_lo, s0
	s_cbranch_vccnz .LBB174_1591
; %bb.1590:
	s_wait_loadcnt 0x0
	global_load_u16 v2, v[0:1], off
	s_wait_loadcnt 0x0
	v_cvt_f32_f16_e32 v3, v2
	v_cmp_o_f16_e32 vcc_lo, v2, v2
	s_delay_alu instid0(VALU_DEP_2) | instskip(NEXT) | instid1(VALU_DEP_1)
	v_bfe_u32 v5, v3, 16, 1
	v_add3_u32 v3, v3, v5, 0x7fff
	s_delay_alu instid0(VALU_DEP_1) | instskip(NEXT) | instid1(VALU_DEP_1)
	v_lshrrev_b32_e32 v3, 16, v3
	v_cndmask_b32_e32 v2, 0x7fc0, v3, vcc_lo
.LBB174_1591:
	v_mov_b32_e32 v3, 0
.LBB174_1592:
	s_mov_b32 s0, 0
.LBB174_1593:
	s_delay_alu instid0(SALU_CYCLE_1)
	s_and_not1_b32 vcc_lo, exec_lo, s0
	s_cbranch_vccnz .LBB174_1614
; %bb.1594:
	s_cmp_lt_i32 s3, 2
	s_cbranch_scc1 .LBB174_1598
; %bb.1595:
	s_cmp_lt_i32 s3, 3
	s_cbranch_scc1 .LBB174_1599
; %bb.1596:
	s_cmp_gt_i32 s3, 3
	s_cbranch_scc0 .LBB174_1600
; %bb.1597:
	s_wait_loadcnt 0x0
	global_load_b64 v[2:3], v[0:1], off
	s_mov_b32 s0, 0
	s_wait_loadcnt 0x0
	v_xor_b32_e32 v5, v2, v3
	v_cls_i32_e32 v6, v3
	s_delay_alu instid0(VALU_DEP_2) | instskip(NEXT) | instid1(VALU_DEP_1)
	v_ashrrev_i32_e32 v5, 31, v5
	v_add_nc_u32_e32 v5, 32, v5
	s_delay_alu instid0(VALU_DEP_1) | instskip(NEXT) | instid1(VALU_DEP_1)
	v_add_min_u32_e64 v5, v6, -1, v5
	v_lshlrev_b64_e32 v[2:3], v5, v[2:3]
	s_delay_alu instid0(VALU_DEP_1) | instskip(NEXT) | instid1(VALU_DEP_1)
	v_min_u32_e32 v2, 1, v2
	v_dual_sub_nc_u32 v3, 32, v5 :: v_dual_bitop2_b32 v2, v3, v2 bitop3:0x54
	s_delay_alu instid0(VALU_DEP_1) | instskip(NEXT) | instid1(VALU_DEP_1)
	v_cvt_f32_i32_e32 v2, v2
	v_ldexp_f32 v2, v2, v3
	s_delay_alu instid0(VALU_DEP_1) | instskip(NEXT) | instid1(VALU_DEP_1)
	v_bfe_u32 v3, v2, 16, 1
	v_add3_u32 v2, v2, v3, 0x7fff
	s_delay_alu instid0(VALU_DEP_1)
	v_lshrrev_b32_e32 v2, 16, v2
	s_branch .LBB174_1601
.LBB174_1598:
	s_mov_b32 s0, -1
                                        ; implicit-def: $vgpr2
	s_branch .LBB174_1607
.LBB174_1599:
	s_mov_b32 s0, -1
                                        ; implicit-def: $vgpr2
	s_branch .LBB174_1604
.LBB174_1600:
	s_mov_b32 s0, -1
                                        ; implicit-def: $vgpr2
.LBB174_1601:
	s_delay_alu instid0(SALU_CYCLE_1)
	s_and_not1_b32 vcc_lo, exec_lo, s0
	s_cbranch_vccnz .LBB174_1603
; %bb.1602:
	s_wait_loadcnt 0x0
	global_load_b32 v2, v[0:1], off
	s_wait_loadcnt 0x0
	v_cvt_f32_i32_e32 v2, v2
	s_delay_alu instid0(VALU_DEP_1) | instskip(NEXT) | instid1(VALU_DEP_1)
	v_bfe_u32 v3, v2, 16, 1
	v_add3_u32 v2, v2, v3, 0x7fff
	s_delay_alu instid0(VALU_DEP_1)
	v_lshrrev_b32_e32 v2, 16, v2
.LBB174_1603:
	s_mov_b32 s0, 0
.LBB174_1604:
	s_delay_alu instid0(SALU_CYCLE_1)
	s_and_not1_b32 vcc_lo, exec_lo, s0
	s_cbranch_vccnz .LBB174_1606
; %bb.1605:
	s_wait_loadcnt 0x0
	global_load_i16 v2, v[0:1], off
	s_wait_loadcnt 0x0
	v_cvt_f32_i32_e32 v2, v2
	s_delay_alu instid0(VALU_DEP_1) | instskip(NEXT) | instid1(VALU_DEP_1)
	v_bfe_u32 v3, v2, 16, 1
	v_add3_u32 v2, v2, v3, 0x7fff
	s_delay_alu instid0(VALU_DEP_1)
	v_lshrrev_b32_e32 v2, 16, v2
.LBB174_1606:
	s_mov_b32 s0, 0
.LBB174_1607:
	s_delay_alu instid0(SALU_CYCLE_1)
	s_and_not1_b32 vcc_lo, exec_lo, s0
	s_cbranch_vccnz .LBB174_1613
; %bb.1608:
	s_cmp_gt_i32 s3, 0
	s_mov_b32 s0, 0
	s_cbranch_scc0 .LBB174_1610
; %bb.1609:
	s_wait_loadcnt 0x0
	global_load_i8 v2, v[0:1], off
	s_wait_loadcnt 0x0
	v_cvt_f32_i32_e32 v2, v2
	s_delay_alu instid0(VALU_DEP_1) | instskip(NEXT) | instid1(VALU_DEP_1)
	v_bfe_u32 v3, v2, 16, 1
	v_add3_u32 v2, v2, v3, 0x7fff
	s_delay_alu instid0(VALU_DEP_1)
	v_lshrrev_b32_e32 v2, 16, v2
	s_branch .LBB174_1611
.LBB174_1610:
	s_mov_b32 s0, -1
                                        ; implicit-def: $vgpr2
.LBB174_1611:
	s_delay_alu instid0(SALU_CYCLE_1)
	s_and_not1_b32 vcc_lo, exec_lo, s0
	s_cbranch_vccnz .LBB174_1613
; %bb.1612:
	global_load_u8 v0, v[0:1], off
	s_wait_loadcnt 0x0
	v_cvt_f32_ubyte0_e32 v0, v0
	s_delay_alu instid0(VALU_DEP_1) | instskip(NEXT) | instid1(VALU_DEP_1)
	v_bfe_u32 v1, v0, 16, 1
	v_add3_u32 v0, v0, v1, 0x7fff
	s_delay_alu instid0(VALU_DEP_1)
	v_lshrrev_b32_e32 v2, 16, v0
.LBB174_1613:
	v_mov_b32_e32 v3, 0
.LBB174_1614:
	s_mov_b32 s7, -1
.LBB174_1615:
	s_delay_alu instid0(SALU_CYCLE_1)
	s_and_not1_b32 vcc_lo, exec_lo, s7
	s_cbranch_vccnz .LBB174_1618
; %bb.1616:
	s_wait_loadcnt 0x0
	v_and_b32_e32 v0, 0xffff, v2
	v_and_b32_e32 v1, 0xffff0000, v3
	s_and_b32 vcc_lo, exec_lo, s15
	s_delay_alu instid0(VALU_DEP_2) | instskip(NEXT) | instid1(VALU_DEP_1)
	v_or_b32_e32 v0, v3, v0
	v_lshlrev_b32_e32 v0, 16, v0
	s_cbranch_vccz .LBB174_1664
; %bb.1617:
	v_and_b32_e64 v2, 0xffff0000, s11
	s_lshl_b32 s0, s11, 16
	s_delay_alu instid0(VALU_DEP_2) | instid1(SALU_CYCLE_1)
	v_cmp_neq_f32_e32 vcc_lo, s0, v0
	s_delay_alu instid0(VALU_DEP_2)
	v_cmp_neq_f32_e64 s0, v2, v1
	s_or_b32 s15, vcc_lo, s0
	s_mov_b32 s0, 0
	s_branch .LBB174_1665
.LBB174_1618:
	s_mov_b32 s0, 0
	s_mov_b32 s3, 0
                                        ; implicit-def: $sgpr15
.LBB174_1619:
                                        ; implicit-def: $sgpr16
                                        ; implicit-def: $vgpr0_vgpr1
.LBB174_1620:
	s_and_not1_b32 s2, s13, exec_lo
	s_and_b32 s4, s1, exec_lo
	s_and_b32 s0, s0, exec_lo
	;; [unrolled: 1-line block ×3, first 2 shown]
	s_or_b32 s13, s2, s4
.LBB174_1621:
	s_wait_xcnt 0x0
	s_or_b32 exec_lo, exec_lo, s12
	s_and_saveexec_b32 s2, s13
	s_cbranch_execz .LBB174_1624
; %bb.1622:
	; divergent unreachable
	s_or_b32 exec_lo, exec_lo, s2
	s_and_saveexec_b32 s2, s1
	s_delay_alu instid0(SALU_CYCLE_1)
	s_xor_b32 s1, exec_lo, s2
	s_cbranch_execnz .LBB174_1625
.LBB174_1623:
	s_or_b32 exec_lo, exec_lo, s1
	s_and_saveexec_b32 s1, s0
	s_cbranch_execnz .LBB174_1626
	s_branch .LBB174_1663
.LBB174_1624:
	s_or_b32 exec_lo, exec_lo, s2
	s_and_saveexec_b32 s2, s1
	s_delay_alu instid0(SALU_CYCLE_1)
	s_xor_b32 s1, exec_lo, s2
	s_cbranch_execz .LBB174_1623
.LBB174_1625:
	s_wait_loadcnt 0x0
	v_cndmask_b32_e64 v2, 0, 1, s15
	global_store_b8 v[0:1], v2, off
	s_wait_xcnt 0x0
	s_or_b32 exec_lo, exec_lo, s1
	s_and_saveexec_b32 s1, s0
	s_cbranch_execz .LBB174_1663
.LBB174_1626:
	s_sext_i32_i16 s1, s16
	s_mov_b32 s0, -1
	s_cmp_lt_i32 s1, 5
	s_cbranch_scc1 .LBB174_1647
; %bb.1627:
	s_cmp_lt_i32 s1, 8
	s_cbranch_scc1 .LBB174_1637
; %bb.1628:
	;; [unrolled: 3-line block ×3, first 2 shown]
	s_cmp_gt_i32 s1, 9
	s_cbranch_scc0 .LBB174_1631
; %bb.1630:
	s_wait_loadcnt 0x0
	v_cndmask_b32_e64 v2, 0, 1, s15
	v_mov_b32_e32 v4, 0
	s_mov_b32 s0, 0
	s_delay_alu instid0(VALU_DEP_2) | instskip(NEXT) | instid1(VALU_DEP_2)
	v_cvt_f64_u32_e32 v[2:3], v2
	v_mov_b32_e32 v5, v4
	global_store_b128 v[0:1], v[2:5], off
.LBB174_1631:
	s_and_not1_b32 vcc_lo, exec_lo, s0
	s_cbranch_vccnz .LBB174_1633
; %bb.1632:
	s_wait_loadcnt 0x0
	v_cndmask_b32_e64 v2, 0, 1.0, s15
	v_mov_b32_e32 v3, 0
	global_store_b64 v[0:1], v[2:3], off
.LBB174_1633:
	s_mov_b32 s0, 0
.LBB174_1634:
	s_delay_alu instid0(SALU_CYCLE_1)
	s_and_not1_b32 vcc_lo, exec_lo, s0
	s_cbranch_vccnz .LBB174_1636
; %bb.1635:
	s_wait_loadcnt 0x0
	v_cndmask_b32_e64 v2, 0, 1.0, s15
	s_delay_alu instid0(VALU_DEP_1) | instskip(NEXT) | instid1(VALU_DEP_1)
	v_cvt_f16_f32_e32 v2, v2
	v_and_b32_e32 v2, 0xffff, v2
	global_store_b32 v[0:1], v2, off
.LBB174_1636:
	s_mov_b32 s0, 0
.LBB174_1637:
	s_delay_alu instid0(SALU_CYCLE_1)
	s_and_not1_b32 vcc_lo, exec_lo, s0
	s_cbranch_vccnz .LBB174_1646
; %bb.1638:
	s_sext_i32_i16 s1, s16
	s_mov_b32 s0, -1
	s_cmp_lt_i32 s1, 6
	s_cbranch_scc1 .LBB174_1644
; %bb.1639:
	s_cmp_gt_i32 s1, 6
	s_cbranch_scc0 .LBB174_1641
; %bb.1640:
	s_wait_loadcnt 0x0
	v_cndmask_b32_e64 v2, 0, 1, s15
	s_mov_b32 s0, 0
	s_delay_alu instid0(VALU_DEP_1)
	v_cvt_f64_u32_e32 v[2:3], v2
	global_store_b64 v[0:1], v[2:3], off
.LBB174_1641:
	s_and_not1_b32 vcc_lo, exec_lo, s0
	s_cbranch_vccnz .LBB174_1643
; %bb.1642:
	s_wait_loadcnt 0x0
	v_cndmask_b32_e64 v2, 0, 1.0, s15
	global_store_b32 v[0:1], v2, off
.LBB174_1643:
	s_mov_b32 s0, 0
.LBB174_1644:
	s_delay_alu instid0(SALU_CYCLE_1)
	s_and_not1_b32 vcc_lo, exec_lo, s0
	s_cbranch_vccnz .LBB174_1646
; %bb.1645:
	s_wait_loadcnt 0x0
	v_cndmask_b32_e64 v2, 0, 1.0, s15
	s_delay_alu instid0(VALU_DEP_1)
	v_cvt_f16_f32_e32 v2, v2
	global_store_b16 v[0:1], v2, off
.LBB174_1646:
	s_mov_b32 s0, 0
.LBB174_1647:
	s_delay_alu instid0(SALU_CYCLE_1)
	s_and_not1_b32 vcc_lo, exec_lo, s0
	s_cbranch_vccnz .LBB174_1663
; %bb.1648:
	s_sext_i32_i16 s1, s16
	s_mov_b32 s0, -1
	s_cmp_lt_i32 s1, 2
	s_cbranch_scc1 .LBB174_1658
; %bb.1649:
	s_cmp_lt_i32 s1, 3
	s_cbranch_scc1 .LBB174_1655
; %bb.1650:
	s_cmp_gt_i32 s1, 3
	s_cbranch_scc0 .LBB174_1652
; %bb.1651:
	s_mov_b32 s0, 0
	s_wait_loadcnt 0x0
	v_cndmask_b32_e64 v2, 0, 1, s15
	v_mov_b32_e32 v3, s0
	global_store_b64 v[0:1], v[2:3], off
.LBB174_1652:
	s_and_not1_b32 vcc_lo, exec_lo, s0
	s_cbranch_vccnz .LBB174_1654
; %bb.1653:
	s_wait_loadcnt 0x0
	v_cndmask_b32_e64 v2, 0, 1, s15
	global_store_b32 v[0:1], v2, off
.LBB174_1654:
	s_mov_b32 s0, 0
.LBB174_1655:
	s_delay_alu instid0(SALU_CYCLE_1)
	s_and_not1_b32 vcc_lo, exec_lo, s0
	s_cbranch_vccnz .LBB174_1657
; %bb.1656:
	s_wait_loadcnt 0x0
	v_cndmask_b32_e64 v2, 0, 1, s15
	global_store_b16 v[0:1], v2, off
.LBB174_1657:
	s_mov_b32 s0, 0
.LBB174_1658:
	s_delay_alu instid0(SALU_CYCLE_1)
	s_and_not1_b32 vcc_lo, exec_lo, s0
	s_cbranch_vccnz .LBB174_1663
; %bb.1659:
	s_wait_loadcnt 0x0
	v_cndmask_b32_e64 v2, 0, 1, s15
	s_sext_i32_i16 s0, s16
	s_delay_alu instid0(SALU_CYCLE_1)
	s_cmp_gt_i32 s0, 0
	s_mov_b32 s0, -1
	s_cbranch_scc0 .LBB174_1661
; %bb.1660:
	s_mov_b32 s0, 0
	global_store_b8 v[0:1], v2, off
.LBB174_1661:
	s_and_not1_b32 vcc_lo, exec_lo, s0
	s_cbranch_vccnz .LBB174_1663
; %bb.1662:
	global_store_b8 v[0:1], v2, off
	s_endpgm
.LBB174_1663:
	s_endpgm
.LBB174_1664:
	s_mov_b32 s0, -1
                                        ; implicit-def: $sgpr15
.LBB174_1665:
	s_delay_alu instid0(SALU_CYCLE_1)
	s_and_not1_b32 vcc_lo, exec_lo, s0
	s_cbranch_vccnz .LBB174_1667
; %bb.1666:
	v_and_b32_e64 v2, 0xffff0000, s11
	s_lshl_b32 s0, s11, 16
	s_and_not1_b32 s3, s15, exec_lo
	v_cmp_eq_f32_e32 vcc_lo, s0, v0
	s_delay_alu instid0(VALU_DEP_2) | instskip(SKIP_1) | instid1(SALU_CYCLE_1)
	v_cmp_eq_f32_e64 s0, v2, v1
	s_and_b32 s0, vcc_lo, s0
	s_and_b32 s0, s0, exec_lo
	s_delay_alu instid0(SALU_CYCLE_1)
	s_or_b32 s15, s3, s0
.LBB174_1667:
	v_mul_lo_u32 v0, s8, v4
	s_and_b32 s16, s2, 0xff
	s_delay_alu instid0(SALU_CYCLE_1) | instskip(NEXT) | instid1(VALU_DEP_1)
	s_cmp_lt_i32 s16, 11
	v_ashrrev_i32_e32 v1, 31, v0
	s_delay_alu instid0(VALU_DEP_1)
	v_add_nc_u64_e32 v[2:3], s[4:5], v[0:1]
	s_cbranch_scc1 .LBB174_1745
; %bb.1668:
	s_and_b32 s2, 0xffff, s16
	s_mov_b32 s7, -1
	s_mov_b32 s3, 0
	s_cmp_gt_i32 s2, 25
	s_mov_b32 s6, 0
	s_mov_b32 s0, 0
	s_cbranch_scc0 .LBB174_1701
; %bb.1669:
	s_cmp_gt_i32 s2, 28
	s_cbranch_scc0 .LBB174_1684
; %bb.1670:
	s_cmp_gt_i32 s2, 43
	;; [unrolled: 3-line block ×3, first 2 shown]
	s_cbranch_scc0 .LBB174_1674
; %bb.1672:
	s_mov_b32 s0, -1
	s_mov_b32 s7, 0
	s_cmp_eq_u32 s2, 46
	s_cbranch_scc0 .LBB174_1674
; %bb.1673:
	v_cndmask_b32_e64 v1, 0, 1.0, s10
	s_mov_b32 s0, 0
	s_mov_b32 s6, -1
	s_delay_alu instid0(VALU_DEP_1) | instskip(NEXT) | instid1(VALU_DEP_1)
	v_bfe_u32 v4, v1, 16, 1
	v_add3_u32 v1, v1, v4, 0x7fff
	s_delay_alu instid0(VALU_DEP_1)
	v_lshrrev_b32_e32 v1, 16, v1
	global_store_b32 v[2:3], v1, off
.LBB174_1674:
	s_and_b32 vcc_lo, exec_lo, s7
	s_cbranch_vccz .LBB174_1679
; %bb.1675:
	s_cmp_eq_u32 s2, 44
	s_mov_b32 s0, -1
	s_cbranch_scc0 .LBB174_1679
; %bb.1676:
	v_cndmask_b32_e64 v5, 0, 1.0, s10
	s_mov_b32 s6, exec_lo
	s_wait_xcnt 0x0
	s_delay_alu instid0(VALU_DEP_1) | instskip(NEXT) | instid1(VALU_DEP_1)
	v_dual_mov_b32 v4, 0xff :: v_dual_lshrrev_b32 v1, 23, v5
	v_cmpx_ne_u32_e32 0xff, v1
; %bb.1677:
	v_and_b32_e32 v4, 0x400000, v5
	v_and_or_b32 v5, 0x3fffff, v5, v1
	s_delay_alu instid0(VALU_DEP_2) | instskip(NEXT) | instid1(VALU_DEP_2)
	v_cmp_ne_u32_e32 vcc_lo, 0, v4
	v_cmp_ne_u32_e64 s0, 0, v5
	s_and_b32 s0, vcc_lo, s0
	s_delay_alu instid0(SALU_CYCLE_1) | instskip(NEXT) | instid1(VALU_DEP_1)
	v_cndmask_b32_e64 v4, 0, 1, s0
	v_add_nc_u32_e32 v4, v1, v4
; %bb.1678:
	s_or_b32 exec_lo, exec_lo, s6
	s_mov_b32 s0, 0
	s_mov_b32 s6, -1
	global_store_b8 v[2:3], v4, off
.LBB174_1679:
	s_mov_b32 s7, 0
.LBB174_1680:
	s_delay_alu instid0(SALU_CYCLE_1)
	s_and_b32 vcc_lo, exec_lo, s7
	s_cbranch_vccz .LBB174_1683
; %bb.1681:
	s_cmp_eq_u32 s2, 29
	s_mov_b32 s0, -1
	s_cbranch_scc0 .LBB174_1683
; %bb.1682:
	s_mov_b32 s0, 0
	s_wait_xcnt 0x0
	v_cndmask_b32_e64 v4, 0, 1, s10
	v_mov_b32_e32 v5, s0
	s_mov_b32 s6, -1
	global_store_b64 v[2:3], v[4:5], off
.LBB174_1683:
	s_mov_b32 s7, 0
.LBB174_1684:
	s_delay_alu instid0(SALU_CYCLE_1)
	s_and_b32 vcc_lo, exec_lo, s7
	s_cbranch_vccz .LBB174_1700
; %bb.1685:
	s_cmp_lt_i32 s2, 27
	s_mov_b32 s6, -1
	s_cbranch_scc1 .LBB174_1691
; %bb.1686:
	s_cmp_gt_i32 s2, 27
	s_cbranch_scc0 .LBB174_1688
; %bb.1687:
	s_wait_xcnt 0x0
	v_cndmask_b32_e64 v1, 0, 1, s10
	s_mov_b32 s6, 0
	global_store_b32 v[2:3], v1, off
.LBB174_1688:
	s_and_not1_b32 vcc_lo, exec_lo, s6
	s_cbranch_vccnz .LBB174_1690
; %bb.1689:
	s_wait_xcnt 0x0
	v_cndmask_b32_e64 v1, 0, 1, s10
	global_store_b16 v[2:3], v1, off
.LBB174_1690:
	s_mov_b32 s6, 0
.LBB174_1691:
	s_delay_alu instid0(SALU_CYCLE_1)
	s_and_not1_b32 vcc_lo, exec_lo, s6
	s_cbranch_vccnz .LBB174_1699
; %bb.1692:
	s_wait_xcnt 0x0
	v_cndmask_b32_e64 v4, 0, 1.0, s10
	v_mov_b32_e32 v5, 0x80
	s_mov_b32 s6, exec_lo
	s_delay_alu instid0(VALU_DEP_2)
	v_cmpx_gt_u32_e32 0x43800000, v4
	s_cbranch_execz .LBB174_1698
; %bb.1693:
	s_mov_b32 s7, 0
	s_mov_b32 s11, exec_lo
                                        ; implicit-def: $vgpr1
	v_cmpx_lt_u32_e32 0x3bffffff, v4
	s_xor_b32 s11, exec_lo, s11
	s_cbranch_execz .LBB174_2102
; %bb.1694:
	v_bfe_u32 v1, v4, 20, 1
	s_mov_b32 s7, exec_lo
	s_delay_alu instid0(VALU_DEP_1) | instskip(NEXT) | instid1(VALU_DEP_1)
	v_add3_u32 v1, v4, v1, 0x487ffff
                                        ; implicit-def: $vgpr4
	v_lshrrev_b32_e32 v1, 20, v1
	s_and_not1_saveexec_b32 s11, s11
	s_cbranch_execnz .LBB174_2103
.LBB174_1695:
	s_or_b32 exec_lo, exec_lo, s11
	v_mov_b32_e32 v5, 0
	s_and_saveexec_b32 s11, s7
.LBB174_1696:
	v_mov_b32_e32 v5, v1
.LBB174_1697:
	s_or_b32 exec_lo, exec_lo, s11
.LBB174_1698:
	s_delay_alu instid0(SALU_CYCLE_1)
	s_or_b32 exec_lo, exec_lo, s6
	global_store_b8 v[2:3], v5, off
.LBB174_1699:
	s_mov_b32 s6, -1
.LBB174_1700:
	s_mov_b32 s7, 0
.LBB174_1701:
	s_delay_alu instid0(SALU_CYCLE_1)
	s_and_b32 vcc_lo, exec_lo, s7
	s_cbranch_vccz .LBB174_1741
; %bb.1702:
	s_cmp_gt_i32 s2, 22
	s_mov_b32 s3, -1
	s_cbranch_scc0 .LBB174_1734
; %bb.1703:
	s_cmp_lt_i32 s2, 24
	s_cbranch_scc1 .LBB174_1723
; %bb.1704:
	s_cmp_gt_i32 s2, 24
	s_cbranch_scc0 .LBB174_1712
; %bb.1705:
	s_wait_xcnt 0x0
	v_cndmask_b32_e64 v4, 0, 1.0, s10
	v_mov_b32_e32 v5, 0x80
	s_mov_b32 s3, exec_lo
	s_delay_alu instid0(VALU_DEP_2)
	v_cmpx_gt_u32_e32 0x47800000, v4
	s_cbranch_execz .LBB174_1711
; %bb.1706:
	s_mov_b32 s6, 0
	s_mov_b32 s7, exec_lo
                                        ; implicit-def: $vgpr1
	v_cmpx_lt_u32_e32 0x37ffffff, v4
	s_xor_b32 s7, exec_lo, s7
	s_cbranch_execz .LBB174_2105
; %bb.1707:
	v_bfe_u32 v1, v4, 21, 1
	s_mov_b32 s6, exec_lo
	s_delay_alu instid0(VALU_DEP_1) | instskip(NEXT) | instid1(VALU_DEP_1)
	v_add3_u32 v1, v4, v1, 0x88fffff
                                        ; implicit-def: $vgpr4
	v_lshrrev_b32_e32 v1, 21, v1
	s_and_not1_saveexec_b32 s7, s7
	s_cbranch_execnz .LBB174_2106
.LBB174_1708:
	s_or_b32 exec_lo, exec_lo, s7
	v_mov_b32_e32 v5, 0
	s_and_saveexec_b32 s7, s6
.LBB174_1709:
	v_mov_b32_e32 v5, v1
.LBB174_1710:
	s_or_b32 exec_lo, exec_lo, s7
.LBB174_1711:
	s_delay_alu instid0(SALU_CYCLE_1)
	s_or_b32 exec_lo, exec_lo, s3
	s_mov_b32 s3, 0
	global_store_b8 v[2:3], v5, off
.LBB174_1712:
	s_and_b32 vcc_lo, exec_lo, s3
	s_cbranch_vccz .LBB174_1722
; %bb.1713:
	s_wait_xcnt 0x0
	v_cndmask_b32_e64 v4, 0, 1.0, s10
	s_mov_b32 s3, exec_lo
                                        ; implicit-def: $vgpr1
	s_delay_alu instid0(VALU_DEP_1)
	v_cmpx_gt_u32_e32 0x43f00000, v4
	s_xor_b32 s3, exec_lo, s3
	s_cbranch_execz .LBB174_1719
; %bb.1714:
	s_mov_b32 s6, exec_lo
                                        ; implicit-def: $vgpr1
	v_cmpx_lt_u32_e32 0x3c7fffff, v4
	s_xor_b32 s6, exec_lo, s6
; %bb.1715:
	v_bfe_u32 v1, v4, 20, 1
	s_delay_alu instid0(VALU_DEP_1) | instskip(NEXT) | instid1(VALU_DEP_1)
	v_add3_u32 v1, v4, v1, 0x407ffff
	v_and_b32_e32 v4, 0xff00000, v1
	v_lshrrev_b32_e32 v1, 20, v1
	s_delay_alu instid0(VALU_DEP_2) | instskip(NEXT) | instid1(VALU_DEP_2)
	v_cmp_ne_u32_e32 vcc_lo, 0x7f00000, v4
                                        ; implicit-def: $vgpr4
	v_cndmask_b32_e32 v1, 0x7e, v1, vcc_lo
; %bb.1716:
	s_and_not1_saveexec_b32 s6, s6
; %bb.1717:
	v_add_f32_e32 v1, 0x46800000, v4
; %bb.1718:
	s_or_b32 exec_lo, exec_lo, s6
                                        ; implicit-def: $vgpr4
.LBB174_1719:
	s_and_not1_saveexec_b32 s3, s3
; %bb.1720:
	v_mov_b32_e32 v1, 0x7f
	v_cmp_lt_u32_e32 vcc_lo, 0x7f800000, v4
	s_delay_alu instid0(VALU_DEP_2)
	v_cndmask_b32_e32 v1, 0x7e, v1, vcc_lo
; %bb.1721:
	s_or_b32 exec_lo, exec_lo, s3
	global_store_b8 v[2:3], v1, off
.LBB174_1722:
	s_mov_b32 s3, 0
.LBB174_1723:
	s_delay_alu instid0(SALU_CYCLE_1)
	s_and_not1_b32 vcc_lo, exec_lo, s3
	s_cbranch_vccnz .LBB174_1733
; %bb.1724:
	s_wait_xcnt 0x0
	v_cndmask_b32_e64 v4, 0, 1.0, s10
	s_mov_b32 s3, exec_lo
                                        ; implicit-def: $vgpr1
	s_delay_alu instid0(VALU_DEP_1)
	v_cmpx_gt_u32_e32 0x47800000, v4
	s_xor_b32 s3, exec_lo, s3
	s_cbranch_execz .LBB174_1730
; %bb.1725:
	s_mov_b32 s6, exec_lo
                                        ; implicit-def: $vgpr1
	v_cmpx_lt_u32_e32 0x387fffff, v4
	s_xor_b32 s6, exec_lo, s6
; %bb.1726:
	v_bfe_u32 v1, v4, 21, 1
	s_delay_alu instid0(VALU_DEP_1) | instskip(NEXT) | instid1(VALU_DEP_1)
	v_add3_u32 v1, v4, v1, 0x80fffff
                                        ; implicit-def: $vgpr4
	v_lshrrev_b32_e32 v1, 21, v1
; %bb.1727:
	s_and_not1_saveexec_b32 s6, s6
; %bb.1728:
	v_add_f32_e32 v1, 0x43000000, v4
; %bb.1729:
	s_or_b32 exec_lo, exec_lo, s6
                                        ; implicit-def: $vgpr4
.LBB174_1730:
	s_and_not1_saveexec_b32 s3, s3
; %bb.1731:
	v_mov_b32_e32 v1, 0x7f
	v_cmp_lt_u32_e32 vcc_lo, 0x7f800000, v4
	s_delay_alu instid0(VALU_DEP_2)
	v_cndmask_b32_e32 v1, 0x7c, v1, vcc_lo
; %bb.1732:
	s_or_b32 exec_lo, exec_lo, s3
	global_store_b8 v[2:3], v1, off
.LBB174_1733:
	s_mov_b32 s3, 0
	s_mov_b32 s6, -1
.LBB174_1734:
	s_and_not1_b32 vcc_lo, exec_lo, s3
	s_mov_b32 s3, 0
	s_cbranch_vccnz .LBB174_1741
; %bb.1735:
	s_cmp_gt_i32 s2, 14
	s_mov_b32 s3, -1
	s_cbranch_scc0 .LBB174_1739
; %bb.1736:
	s_cmp_eq_u32 s2, 15
	s_mov_b32 s0, -1
	s_cbranch_scc0 .LBB174_1738
; %bb.1737:
	s_wait_xcnt 0x0
	v_cndmask_b32_e64 v1, 0, 1.0, s10
	s_mov_b32 s0, 0
	s_mov_b32 s6, -1
	s_delay_alu instid0(VALU_DEP_1) | instskip(NEXT) | instid1(VALU_DEP_1)
	v_bfe_u32 v4, v1, 16, 1
	v_add3_u32 v1, v1, v4, 0x7fff
	global_store_d16_hi_b16 v[2:3], v1, off
.LBB174_1738:
	s_mov_b32 s3, 0
.LBB174_1739:
	s_delay_alu instid0(SALU_CYCLE_1)
	s_and_b32 vcc_lo, exec_lo, s3
	s_mov_b32 s3, 0
	s_cbranch_vccz .LBB174_1741
; %bb.1740:
	s_cmp_lg_u32 s2, 11
	s_mov_b32 s3, -1
	s_cselect_b32 s0, -1, 0
.LBB174_1741:
	s_delay_alu instid0(SALU_CYCLE_1)
	s_and_b32 vcc_lo, exec_lo, s0
	s_cbranch_vccnz .LBB174_2104
; %bb.1742:
	s_and_not1_b32 vcc_lo, exec_lo, s3
	s_cbranch_vccnz .LBB174_1744
.LBB174_1743:
	s_wait_xcnt 0x0
	v_cndmask_b32_e64 v1, 0, 1, s10
	s_mov_b32 s6, -1
	global_store_b8 v[2:3], v1, off
.LBB174_1744:
	s_mov_b32 s0, 0
	s_branch .LBB174_1746
.LBB174_1745:
	s_mov_b32 s0, -1
	s_mov_b32 s6, 0
.LBB174_1746:
	s_and_b32 vcc_lo, exec_lo, s0
	s_cbranch_vccz .LBB174_1785
; %bb.1747:
	s_and_b32 s0, 0xffff, s16
	s_mov_b32 s2, -1
	s_cmp_lt_i32 s0, 5
	s_cbranch_scc1 .LBB174_1768
; %bb.1748:
	s_cmp_lt_i32 s0, 8
	s_cbranch_scc1 .LBB174_1758
; %bb.1749:
	;; [unrolled: 3-line block ×3, first 2 shown]
	s_cmp_gt_i32 s0, 9
	s_cbranch_scc0 .LBB174_1752
; %bb.1751:
	s_wait_xcnt 0x0
	v_cndmask_b32_e64 v1, 0, 1, s10
	v_mov_b32_e32 v6, 0
	s_mov_b32 s2, 0
	s_delay_alu instid0(VALU_DEP_2) | instskip(NEXT) | instid1(VALU_DEP_2)
	v_cvt_f64_u32_e32 v[4:5], v1
	v_mov_b32_e32 v7, v6
	global_store_b128 v[2:3], v[4:7], off
.LBB174_1752:
	s_and_not1_b32 vcc_lo, exec_lo, s2
	s_cbranch_vccnz .LBB174_1754
; %bb.1753:
	s_wait_xcnt 0x0
	v_cndmask_b32_e64 v4, 0, 1.0, s10
	v_mov_b32_e32 v5, 0
	global_store_b64 v[2:3], v[4:5], off
.LBB174_1754:
	s_mov_b32 s2, 0
.LBB174_1755:
	s_delay_alu instid0(SALU_CYCLE_1)
	s_and_not1_b32 vcc_lo, exec_lo, s2
	s_cbranch_vccnz .LBB174_1757
; %bb.1756:
	s_wait_xcnt 0x0
	v_cndmask_b32_e64 v1, 0, 1.0, s10
	s_delay_alu instid0(VALU_DEP_1) | instskip(NEXT) | instid1(VALU_DEP_1)
	v_cvt_f16_f32_e32 v1, v1
	v_and_b32_e32 v1, 0xffff, v1
	global_store_b32 v[2:3], v1, off
.LBB174_1757:
	s_mov_b32 s2, 0
.LBB174_1758:
	s_delay_alu instid0(SALU_CYCLE_1)
	s_and_not1_b32 vcc_lo, exec_lo, s2
	s_cbranch_vccnz .LBB174_1767
; %bb.1759:
	s_cmp_lt_i32 s0, 6
	s_mov_b32 s2, -1
	s_cbranch_scc1 .LBB174_1765
; %bb.1760:
	s_cmp_gt_i32 s0, 6
	s_cbranch_scc0 .LBB174_1762
; %bb.1761:
	s_wait_xcnt 0x0
	v_cndmask_b32_e64 v1, 0, 1, s10
	s_mov_b32 s2, 0
	s_delay_alu instid0(VALU_DEP_1)
	v_cvt_f64_u32_e32 v[4:5], v1
	global_store_b64 v[2:3], v[4:5], off
.LBB174_1762:
	s_and_not1_b32 vcc_lo, exec_lo, s2
	s_cbranch_vccnz .LBB174_1764
; %bb.1763:
	s_wait_xcnt 0x0
	v_cndmask_b32_e64 v1, 0, 1.0, s10
	global_store_b32 v[2:3], v1, off
.LBB174_1764:
	s_mov_b32 s2, 0
.LBB174_1765:
	s_delay_alu instid0(SALU_CYCLE_1)
	s_and_not1_b32 vcc_lo, exec_lo, s2
	s_cbranch_vccnz .LBB174_1767
; %bb.1766:
	s_wait_xcnt 0x0
	v_cndmask_b32_e64 v1, 0, 1.0, s10
	s_delay_alu instid0(VALU_DEP_1)
	v_cvt_f16_f32_e32 v1, v1
	global_store_b16 v[2:3], v1, off
.LBB174_1767:
	s_mov_b32 s2, 0
.LBB174_1768:
	s_delay_alu instid0(SALU_CYCLE_1)
	s_and_not1_b32 vcc_lo, exec_lo, s2
	s_cbranch_vccnz .LBB174_1784
; %bb.1769:
	s_cmp_lt_i32 s0, 2
	s_mov_b32 s2, -1
	s_cbranch_scc1 .LBB174_1779
; %bb.1770:
	s_cmp_lt_i32 s0, 3
	s_cbranch_scc1 .LBB174_1776
; %bb.1771:
	s_cmp_gt_i32 s0, 3
	s_cbranch_scc0 .LBB174_1773
; %bb.1772:
	s_mov_b32 s2, 0
	s_wait_xcnt 0x0
	v_cndmask_b32_e64 v4, 0, 1, s10
	v_mov_b32_e32 v5, s2
	global_store_b64 v[2:3], v[4:5], off
.LBB174_1773:
	s_and_not1_b32 vcc_lo, exec_lo, s2
	s_cbranch_vccnz .LBB174_1775
; %bb.1774:
	s_wait_xcnt 0x0
	v_cndmask_b32_e64 v1, 0, 1, s10
	global_store_b32 v[2:3], v1, off
.LBB174_1775:
	s_mov_b32 s2, 0
.LBB174_1776:
	s_delay_alu instid0(SALU_CYCLE_1)
	s_and_not1_b32 vcc_lo, exec_lo, s2
	s_cbranch_vccnz .LBB174_1778
; %bb.1777:
	s_wait_xcnt 0x0
	v_cndmask_b32_e64 v1, 0, 1, s10
	global_store_b16 v[2:3], v1, off
.LBB174_1778:
	s_mov_b32 s2, 0
.LBB174_1779:
	s_delay_alu instid0(SALU_CYCLE_1)
	s_and_not1_b32 vcc_lo, exec_lo, s2
	s_cbranch_vccnz .LBB174_1784
; %bb.1780:
	s_wait_xcnt 0x0
	v_cndmask_b32_e64 v1, 0, 1, s10
	s_cmp_gt_i32 s0, 0
	s_mov_b32 s0, -1
	s_cbranch_scc0 .LBB174_1782
; %bb.1781:
	s_mov_b32 s0, 0
	global_store_b8 v[2:3], v1, off
.LBB174_1782:
	s_and_not1_b32 vcc_lo, exec_lo, s0
	s_cbranch_vccnz .LBB174_1784
; %bb.1783:
	global_store_b8 v[2:3], v1, off
.LBB174_1784:
	s_mov_b32 s6, -1
.LBB174_1785:
	s_delay_alu instid0(SALU_CYCLE_1)
	s_and_not1_b32 vcc_lo, exec_lo, s6
	s_cbranch_vccnz .LBB174_2100
; %bb.1786:
	s_lshl_b32 s2, s8, 7
	s_cmp_lt_i32 s16, 11
	v_add_nc_u32_e32 v0, s2, v0
	s_wait_xcnt 0x0
	s_delay_alu instid0(VALU_DEP_1) | instskip(NEXT) | instid1(VALU_DEP_1)
	v_ashrrev_i32_e32 v1, 31, v0
	v_add_nc_u64_e32 v[2:3], s[4:5], v[0:1]
	s_cbranch_scc1 .LBB174_1864
; %bb.1787:
	s_and_b32 s3, 0xffff, s16
	s_mov_b32 s8, -1
	s_mov_b32 s6, 0
	s_cmp_gt_i32 s3, 25
	s_mov_b32 s7, 0
	s_mov_b32 s0, 0
	s_cbranch_scc0 .LBB174_1820
; %bb.1788:
	s_cmp_gt_i32 s3, 28
	s_cbranch_scc0 .LBB174_1803
; %bb.1789:
	s_cmp_gt_i32 s3, 43
	s_cbranch_scc0 .LBB174_1799
; %bb.1790:
	s_cmp_gt_i32 s3, 45
	s_cbranch_scc0 .LBB174_1793
; %bb.1791:
	s_mov_b32 s0, -1
	s_mov_b32 s8, 0
	s_cmp_eq_u32 s3, 46
	s_cbranch_scc0 .LBB174_1793
; %bb.1792:
	v_cndmask_b32_e64 v1, 0, 1.0, s9
	s_mov_b32 s0, 0
	s_mov_b32 s7, -1
	s_delay_alu instid0(VALU_DEP_1) | instskip(NEXT) | instid1(VALU_DEP_1)
	v_bfe_u32 v4, v1, 16, 1
	v_add3_u32 v1, v1, v4, 0x7fff
	s_delay_alu instid0(VALU_DEP_1)
	v_lshrrev_b32_e32 v1, 16, v1
	global_store_b32 v[2:3], v1, off
.LBB174_1793:
	s_and_b32 vcc_lo, exec_lo, s8
	s_cbranch_vccz .LBB174_1798
; %bb.1794:
	s_cmp_eq_u32 s3, 44
	s_mov_b32 s0, -1
	s_cbranch_scc0 .LBB174_1798
; %bb.1795:
	v_cndmask_b32_e64 v5, 0, 1.0, s9
	s_mov_b32 s7, exec_lo
	s_wait_xcnt 0x0
	s_delay_alu instid0(VALU_DEP_1) | instskip(NEXT) | instid1(VALU_DEP_1)
	v_dual_mov_b32 v4, 0xff :: v_dual_lshrrev_b32 v1, 23, v5
	v_cmpx_ne_u32_e32 0xff, v1
; %bb.1796:
	v_and_b32_e32 v4, 0x400000, v5
	v_and_or_b32 v5, 0x3fffff, v5, v1
	s_delay_alu instid0(VALU_DEP_2) | instskip(NEXT) | instid1(VALU_DEP_2)
	v_cmp_ne_u32_e32 vcc_lo, 0, v4
	v_cmp_ne_u32_e64 s0, 0, v5
	s_and_b32 s0, vcc_lo, s0
	s_delay_alu instid0(SALU_CYCLE_1) | instskip(NEXT) | instid1(VALU_DEP_1)
	v_cndmask_b32_e64 v4, 0, 1, s0
	v_add_nc_u32_e32 v4, v1, v4
; %bb.1797:
	s_or_b32 exec_lo, exec_lo, s7
	s_mov_b32 s0, 0
	s_mov_b32 s7, -1
	global_store_b8 v[2:3], v4, off
.LBB174_1798:
	s_mov_b32 s8, 0
.LBB174_1799:
	s_delay_alu instid0(SALU_CYCLE_1)
	s_and_b32 vcc_lo, exec_lo, s8
	s_cbranch_vccz .LBB174_1802
; %bb.1800:
	s_cmp_eq_u32 s3, 29
	s_mov_b32 s0, -1
	s_cbranch_scc0 .LBB174_1802
; %bb.1801:
	s_mov_b32 s0, 0
	s_wait_xcnt 0x0
	v_cndmask_b32_e64 v4, 0, 1, s9
	v_mov_b32_e32 v5, s0
	s_mov_b32 s7, -1
	global_store_b64 v[2:3], v[4:5], off
.LBB174_1802:
	s_mov_b32 s8, 0
.LBB174_1803:
	s_delay_alu instid0(SALU_CYCLE_1)
	s_and_b32 vcc_lo, exec_lo, s8
	s_cbranch_vccz .LBB174_1819
; %bb.1804:
	s_cmp_lt_i32 s3, 27
	s_mov_b32 s7, -1
	s_cbranch_scc1 .LBB174_1810
; %bb.1805:
	s_cmp_gt_i32 s3, 27
	s_cbranch_scc0 .LBB174_1807
; %bb.1806:
	s_wait_xcnt 0x0
	v_cndmask_b32_e64 v1, 0, 1, s9
	s_mov_b32 s7, 0
	global_store_b32 v[2:3], v1, off
.LBB174_1807:
	s_and_not1_b32 vcc_lo, exec_lo, s7
	s_cbranch_vccnz .LBB174_1809
; %bb.1808:
	s_wait_xcnt 0x0
	v_cndmask_b32_e64 v1, 0, 1, s9
	global_store_b16 v[2:3], v1, off
.LBB174_1809:
	s_mov_b32 s7, 0
.LBB174_1810:
	s_delay_alu instid0(SALU_CYCLE_1)
	s_and_not1_b32 vcc_lo, exec_lo, s7
	s_cbranch_vccnz .LBB174_1818
; %bb.1811:
	s_wait_xcnt 0x0
	v_cndmask_b32_e64 v4, 0, 1.0, s9
	v_mov_b32_e32 v5, 0x80
	s_mov_b32 s7, exec_lo
	s_delay_alu instid0(VALU_DEP_2)
	v_cmpx_gt_u32_e32 0x43800000, v4
	s_cbranch_execz .LBB174_1817
; %bb.1812:
	s_mov_b32 s8, 0
	s_mov_b32 s10, exec_lo
                                        ; implicit-def: $vgpr1
	v_cmpx_lt_u32_e32 0x3bffffff, v4
	s_xor_b32 s10, exec_lo, s10
	s_cbranch_execz .LBB174_2107
; %bb.1813:
	v_bfe_u32 v1, v4, 20, 1
	s_mov_b32 s8, exec_lo
	s_delay_alu instid0(VALU_DEP_1) | instskip(NEXT) | instid1(VALU_DEP_1)
	v_add3_u32 v1, v4, v1, 0x487ffff
                                        ; implicit-def: $vgpr4
	v_lshrrev_b32_e32 v1, 20, v1
	s_and_not1_saveexec_b32 s10, s10
	s_cbranch_execnz .LBB174_2108
.LBB174_1814:
	s_or_b32 exec_lo, exec_lo, s10
	v_mov_b32_e32 v5, 0
	s_and_saveexec_b32 s10, s8
.LBB174_1815:
	v_mov_b32_e32 v5, v1
.LBB174_1816:
	s_or_b32 exec_lo, exec_lo, s10
.LBB174_1817:
	s_delay_alu instid0(SALU_CYCLE_1)
	s_or_b32 exec_lo, exec_lo, s7
	global_store_b8 v[2:3], v5, off
.LBB174_1818:
	s_mov_b32 s7, -1
.LBB174_1819:
	s_mov_b32 s8, 0
.LBB174_1820:
	s_delay_alu instid0(SALU_CYCLE_1)
	s_and_b32 vcc_lo, exec_lo, s8
	s_cbranch_vccz .LBB174_1860
; %bb.1821:
	s_cmp_gt_i32 s3, 22
	s_mov_b32 s6, -1
	s_cbranch_scc0 .LBB174_1853
; %bb.1822:
	s_cmp_lt_i32 s3, 24
	s_cbranch_scc1 .LBB174_1842
; %bb.1823:
	s_cmp_gt_i32 s3, 24
	s_cbranch_scc0 .LBB174_1831
; %bb.1824:
	s_wait_xcnt 0x0
	v_cndmask_b32_e64 v4, 0, 1.0, s9
	v_mov_b32_e32 v5, 0x80
	s_mov_b32 s6, exec_lo
	s_delay_alu instid0(VALU_DEP_2)
	v_cmpx_gt_u32_e32 0x47800000, v4
	s_cbranch_execz .LBB174_1830
; %bb.1825:
	s_mov_b32 s7, 0
	s_mov_b32 s8, exec_lo
                                        ; implicit-def: $vgpr1
	v_cmpx_lt_u32_e32 0x37ffffff, v4
	s_xor_b32 s8, exec_lo, s8
	s_cbranch_execz .LBB174_2110
; %bb.1826:
	v_bfe_u32 v1, v4, 21, 1
	s_mov_b32 s7, exec_lo
	s_delay_alu instid0(VALU_DEP_1) | instskip(NEXT) | instid1(VALU_DEP_1)
	v_add3_u32 v1, v4, v1, 0x88fffff
                                        ; implicit-def: $vgpr4
	v_lshrrev_b32_e32 v1, 21, v1
	s_and_not1_saveexec_b32 s8, s8
	s_cbranch_execnz .LBB174_2111
.LBB174_1827:
	s_or_b32 exec_lo, exec_lo, s8
	v_mov_b32_e32 v5, 0
	s_and_saveexec_b32 s8, s7
.LBB174_1828:
	v_mov_b32_e32 v5, v1
.LBB174_1829:
	s_or_b32 exec_lo, exec_lo, s8
.LBB174_1830:
	s_delay_alu instid0(SALU_CYCLE_1)
	s_or_b32 exec_lo, exec_lo, s6
	s_mov_b32 s6, 0
	global_store_b8 v[2:3], v5, off
.LBB174_1831:
	s_and_b32 vcc_lo, exec_lo, s6
	s_cbranch_vccz .LBB174_1841
; %bb.1832:
	s_wait_xcnt 0x0
	v_cndmask_b32_e64 v4, 0, 1.0, s9
	s_mov_b32 s6, exec_lo
                                        ; implicit-def: $vgpr1
	s_delay_alu instid0(VALU_DEP_1)
	v_cmpx_gt_u32_e32 0x43f00000, v4
	s_xor_b32 s6, exec_lo, s6
	s_cbranch_execz .LBB174_1838
; %bb.1833:
	s_mov_b32 s7, exec_lo
                                        ; implicit-def: $vgpr1
	v_cmpx_lt_u32_e32 0x3c7fffff, v4
	s_xor_b32 s7, exec_lo, s7
; %bb.1834:
	v_bfe_u32 v1, v4, 20, 1
	s_delay_alu instid0(VALU_DEP_1) | instskip(NEXT) | instid1(VALU_DEP_1)
	v_add3_u32 v1, v4, v1, 0x407ffff
	v_and_b32_e32 v4, 0xff00000, v1
	v_lshrrev_b32_e32 v1, 20, v1
	s_delay_alu instid0(VALU_DEP_2) | instskip(NEXT) | instid1(VALU_DEP_2)
	v_cmp_ne_u32_e32 vcc_lo, 0x7f00000, v4
                                        ; implicit-def: $vgpr4
	v_cndmask_b32_e32 v1, 0x7e, v1, vcc_lo
; %bb.1835:
	s_and_not1_saveexec_b32 s7, s7
; %bb.1836:
	v_add_f32_e32 v1, 0x46800000, v4
; %bb.1837:
	s_or_b32 exec_lo, exec_lo, s7
                                        ; implicit-def: $vgpr4
.LBB174_1838:
	s_and_not1_saveexec_b32 s6, s6
; %bb.1839:
	v_mov_b32_e32 v1, 0x7f
	v_cmp_lt_u32_e32 vcc_lo, 0x7f800000, v4
	s_delay_alu instid0(VALU_DEP_2)
	v_cndmask_b32_e32 v1, 0x7e, v1, vcc_lo
; %bb.1840:
	s_or_b32 exec_lo, exec_lo, s6
	global_store_b8 v[2:3], v1, off
.LBB174_1841:
	s_mov_b32 s6, 0
.LBB174_1842:
	s_delay_alu instid0(SALU_CYCLE_1)
	s_and_not1_b32 vcc_lo, exec_lo, s6
	s_cbranch_vccnz .LBB174_1852
; %bb.1843:
	s_wait_xcnt 0x0
	v_cndmask_b32_e64 v4, 0, 1.0, s9
	s_mov_b32 s6, exec_lo
                                        ; implicit-def: $vgpr1
	s_delay_alu instid0(VALU_DEP_1)
	v_cmpx_gt_u32_e32 0x47800000, v4
	s_xor_b32 s6, exec_lo, s6
	s_cbranch_execz .LBB174_1849
; %bb.1844:
	s_mov_b32 s7, exec_lo
                                        ; implicit-def: $vgpr1
	v_cmpx_lt_u32_e32 0x387fffff, v4
	s_xor_b32 s7, exec_lo, s7
; %bb.1845:
	v_bfe_u32 v1, v4, 21, 1
	s_delay_alu instid0(VALU_DEP_1) | instskip(NEXT) | instid1(VALU_DEP_1)
	v_add3_u32 v1, v4, v1, 0x80fffff
                                        ; implicit-def: $vgpr4
	v_lshrrev_b32_e32 v1, 21, v1
; %bb.1846:
	s_and_not1_saveexec_b32 s7, s7
; %bb.1847:
	v_add_f32_e32 v1, 0x43000000, v4
; %bb.1848:
	s_or_b32 exec_lo, exec_lo, s7
                                        ; implicit-def: $vgpr4
.LBB174_1849:
	s_and_not1_saveexec_b32 s6, s6
; %bb.1850:
	v_mov_b32_e32 v1, 0x7f
	v_cmp_lt_u32_e32 vcc_lo, 0x7f800000, v4
	s_delay_alu instid0(VALU_DEP_2)
	v_cndmask_b32_e32 v1, 0x7c, v1, vcc_lo
; %bb.1851:
	s_or_b32 exec_lo, exec_lo, s6
	global_store_b8 v[2:3], v1, off
.LBB174_1852:
	s_mov_b32 s6, 0
	s_mov_b32 s7, -1
.LBB174_1853:
	s_and_not1_b32 vcc_lo, exec_lo, s6
	s_mov_b32 s6, 0
	s_cbranch_vccnz .LBB174_1860
; %bb.1854:
	s_cmp_gt_i32 s3, 14
	s_mov_b32 s6, -1
	s_cbranch_scc0 .LBB174_1858
; %bb.1855:
	s_cmp_eq_u32 s3, 15
	s_mov_b32 s0, -1
	s_cbranch_scc0 .LBB174_1857
; %bb.1856:
	s_wait_xcnt 0x0
	v_cndmask_b32_e64 v1, 0, 1.0, s9
	s_mov_b32 s0, 0
	s_mov_b32 s7, -1
	s_delay_alu instid0(VALU_DEP_1) | instskip(NEXT) | instid1(VALU_DEP_1)
	v_bfe_u32 v4, v1, 16, 1
	v_add3_u32 v1, v1, v4, 0x7fff
	global_store_d16_hi_b16 v[2:3], v1, off
.LBB174_1857:
	s_mov_b32 s6, 0
.LBB174_1858:
	s_delay_alu instid0(SALU_CYCLE_1)
	s_and_b32 vcc_lo, exec_lo, s6
	s_mov_b32 s6, 0
	s_cbranch_vccz .LBB174_1860
; %bb.1859:
	s_cmp_lg_u32 s3, 11
	s_mov_b32 s6, -1
	s_cselect_b32 s0, -1, 0
.LBB174_1860:
	s_delay_alu instid0(SALU_CYCLE_1)
	s_and_b32 vcc_lo, exec_lo, s0
	s_cbranch_vccnz .LBB174_2109
; %bb.1861:
	s_and_not1_b32 vcc_lo, exec_lo, s6
	s_cbranch_vccnz .LBB174_1863
.LBB174_1862:
	s_wait_xcnt 0x0
	v_cndmask_b32_e64 v1, 0, 1, s9
	s_mov_b32 s7, -1
	global_store_b8 v[2:3], v1, off
.LBB174_1863:
	s_mov_b32 s0, 0
	s_branch .LBB174_1865
.LBB174_1864:
	s_mov_b32 s0, -1
	s_mov_b32 s7, 0
.LBB174_1865:
	s_and_b32 vcc_lo, exec_lo, s0
	s_cbranch_vccz .LBB174_1904
; %bb.1866:
	s_and_b32 s0, 0xffff, s16
	s_mov_b32 s3, -1
	s_cmp_lt_i32 s0, 5
	s_cbranch_scc1 .LBB174_1887
; %bb.1867:
	s_cmp_lt_i32 s0, 8
	s_cbranch_scc1 .LBB174_1877
; %bb.1868:
	;; [unrolled: 3-line block ×3, first 2 shown]
	s_cmp_gt_i32 s0, 9
	s_cbranch_scc0 .LBB174_1871
; %bb.1870:
	s_wait_xcnt 0x0
	v_cndmask_b32_e64 v1, 0, 1, s9
	v_mov_b32_e32 v6, 0
	s_mov_b32 s3, 0
	s_delay_alu instid0(VALU_DEP_2) | instskip(NEXT) | instid1(VALU_DEP_2)
	v_cvt_f64_u32_e32 v[4:5], v1
	v_mov_b32_e32 v7, v6
	global_store_b128 v[2:3], v[4:7], off
.LBB174_1871:
	s_and_not1_b32 vcc_lo, exec_lo, s3
	s_cbranch_vccnz .LBB174_1873
; %bb.1872:
	s_wait_xcnt 0x0
	v_cndmask_b32_e64 v4, 0, 1.0, s9
	v_mov_b32_e32 v5, 0
	global_store_b64 v[2:3], v[4:5], off
.LBB174_1873:
	s_mov_b32 s3, 0
.LBB174_1874:
	s_delay_alu instid0(SALU_CYCLE_1)
	s_and_not1_b32 vcc_lo, exec_lo, s3
	s_cbranch_vccnz .LBB174_1876
; %bb.1875:
	s_wait_xcnt 0x0
	v_cndmask_b32_e64 v1, 0, 1.0, s9
	s_delay_alu instid0(VALU_DEP_1) | instskip(NEXT) | instid1(VALU_DEP_1)
	v_cvt_f16_f32_e32 v1, v1
	v_and_b32_e32 v1, 0xffff, v1
	global_store_b32 v[2:3], v1, off
.LBB174_1876:
	s_mov_b32 s3, 0
.LBB174_1877:
	s_delay_alu instid0(SALU_CYCLE_1)
	s_and_not1_b32 vcc_lo, exec_lo, s3
	s_cbranch_vccnz .LBB174_1886
; %bb.1878:
	s_cmp_lt_i32 s0, 6
	s_mov_b32 s3, -1
	s_cbranch_scc1 .LBB174_1884
; %bb.1879:
	s_cmp_gt_i32 s0, 6
	s_cbranch_scc0 .LBB174_1881
; %bb.1880:
	s_wait_xcnt 0x0
	v_cndmask_b32_e64 v1, 0, 1, s9
	s_mov_b32 s3, 0
	s_delay_alu instid0(VALU_DEP_1)
	v_cvt_f64_u32_e32 v[4:5], v1
	global_store_b64 v[2:3], v[4:5], off
.LBB174_1881:
	s_and_not1_b32 vcc_lo, exec_lo, s3
	s_cbranch_vccnz .LBB174_1883
; %bb.1882:
	s_wait_xcnt 0x0
	v_cndmask_b32_e64 v1, 0, 1.0, s9
	global_store_b32 v[2:3], v1, off
.LBB174_1883:
	s_mov_b32 s3, 0
.LBB174_1884:
	s_delay_alu instid0(SALU_CYCLE_1)
	s_and_not1_b32 vcc_lo, exec_lo, s3
	s_cbranch_vccnz .LBB174_1886
; %bb.1885:
	s_wait_xcnt 0x0
	v_cndmask_b32_e64 v1, 0, 1.0, s9
	s_delay_alu instid0(VALU_DEP_1)
	v_cvt_f16_f32_e32 v1, v1
	global_store_b16 v[2:3], v1, off
.LBB174_1886:
	s_mov_b32 s3, 0
.LBB174_1887:
	s_delay_alu instid0(SALU_CYCLE_1)
	s_and_not1_b32 vcc_lo, exec_lo, s3
	s_cbranch_vccnz .LBB174_1903
; %bb.1888:
	s_cmp_lt_i32 s0, 2
	s_mov_b32 s3, -1
	s_cbranch_scc1 .LBB174_1898
; %bb.1889:
	s_cmp_lt_i32 s0, 3
	s_cbranch_scc1 .LBB174_1895
; %bb.1890:
	s_cmp_gt_i32 s0, 3
	s_cbranch_scc0 .LBB174_1892
; %bb.1891:
	s_mov_b32 s3, 0
	s_wait_xcnt 0x0
	v_cndmask_b32_e64 v4, 0, 1, s9
	v_mov_b32_e32 v5, s3
	global_store_b64 v[2:3], v[4:5], off
.LBB174_1892:
	s_and_not1_b32 vcc_lo, exec_lo, s3
	s_cbranch_vccnz .LBB174_1894
; %bb.1893:
	s_wait_xcnt 0x0
	v_cndmask_b32_e64 v1, 0, 1, s9
	global_store_b32 v[2:3], v1, off
.LBB174_1894:
	s_mov_b32 s3, 0
.LBB174_1895:
	s_delay_alu instid0(SALU_CYCLE_1)
	s_and_not1_b32 vcc_lo, exec_lo, s3
	s_cbranch_vccnz .LBB174_1897
; %bb.1896:
	s_wait_xcnt 0x0
	v_cndmask_b32_e64 v1, 0, 1, s9
	global_store_b16 v[2:3], v1, off
.LBB174_1897:
	s_mov_b32 s3, 0
.LBB174_1898:
	s_delay_alu instid0(SALU_CYCLE_1)
	s_and_not1_b32 vcc_lo, exec_lo, s3
	s_cbranch_vccnz .LBB174_1903
; %bb.1899:
	s_wait_xcnt 0x0
	v_cndmask_b32_e64 v1, 0, 1, s9
	s_cmp_gt_i32 s0, 0
	s_mov_b32 s0, -1
	s_cbranch_scc0 .LBB174_1901
; %bb.1900:
	s_mov_b32 s0, 0
	global_store_b8 v[2:3], v1, off
.LBB174_1901:
	s_and_not1_b32 vcc_lo, exec_lo, s0
	s_cbranch_vccnz .LBB174_1903
; %bb.1902:
	global_store_b8 v[2:3], v1, off
.LBB174_1903:
	s_mov_b32 s7, -1
.LBB174_1904:
	s_delay_alu instid0(SALU_CYCLE_1)
	s_and_not1_b32 vcc_lo, exec_lo, s7
	s_cbranch_vccnz .LBB174_2100
; %bb.1905:
	v_add_nc_u32_e32 v0, s2, v0
	s_cmp_lt_i32 s16, 11
	s_wait_xcnt 0x0
	s_delay_alu instid0(VALU_DEP_1) | instskip(NEXT) | instid1(VALU_DEP_1)
	v_ashrrev_i32_e32 v1, 31, v0
	v_add_nc_u64_e32 v[2:3], s[4:5], v[0:1]
	s_cbranch_scc1 .LBB174_1983
; %bb.1906:
	s_and_b32 s3, 0xffff, s16
	s_mov_b32 s8, -1
	s_mov_b32 s6, 0
	s_cmp_gt_i32 s3, 25
	s_mov_b32 s7, 0
	s_mov_b32 s0, 0
	s_cbranch_scc0 .LBB174_1939
; %bb.1907:
	s_cmp_gt_i32 s3, 28
	s_cbranch_scc0 .LBB174_1922
; %bb.1908:
	s_cmp_gt_i32 s3, 43
	;; [unrolled: 3-line block ×3, first 2 shown]
	s_cbranch_scc0 .LBB174_1912
; %bb.1910:
	s_mov_b32 s0, -1
	s_mov_b32 s8, 0
	s_cmp_eq_u32 s3, 46
	s_cbranch_scc0 .LBB174_1912
; %bb.1911:
	v_cndmask_b32_e64 v1, 0, 1.0, s14
	s_mov_b32 s0, 0
	s_mov_b32 s7, -1
	s_delay_alu instid0(VALU_DEP_1) | instskip(NEXT) | instid1(VALU_DEP_1)
	v_bfe_u32 v4, v1, 16, 1
	v_add3_u32 v1, v1, v4, 0x7fff
	s_delay_alu instid0(VALU_DEP_1)
	v_lshrrev_b32_e32 v1, 16, v1
	global_store_b32 v[2:3], v1, off
.LBB174_1912:
	s_and_b32 vcc_lo, exec_lo, s8
	s_cbranch_vccz .LBB174_1917
; %bb.1913:
	s_cmp_eq_u32 s3, 44
	s_mov_b32 s0, -1
	s_cbranch_scc0 .LBB174_1917
; %bb.1914:
	v_cndmask_b32_e64 v5, 0, 1.0, s14
	s_mov_b32 s7, exec_lo
	s_wait_xcnt 0x0
	s_delay_alu instid0(VALU_DEP_1) | instskip(NEXT) | instid1(VALU_DEP_1)
	v_dual_mov_b32 v4, 0xff :: v_dual_lshrrev_b32 v1, 23, v5
	v_cmpx_ne_u32_e32 0xff, v1
; %bb.1915:
	v_and_b32_e32 v4, 0x400000, v5
	v_and_or_b32 v5, 0x3fffff, v5, v1
	s_delay_alu instid0(VALU_DEP_2) | instskip(NEXT) | instid1(VALU_DEP_2)
	v_cmp_ne_u32_e32 vcc_lo, 0, v4
	v_cmp_ne_u32_e64 s0, 0, v5
	s_and_b32 s0, vcc_lo, s0
	s_delay_alu instid0(SALU_CYCLE_1) | instskip(NEXT) | instid1(VALU_DEP_1)
	v_cndmask_b32_e64 v4, 0, 1, s0
	v_add_nc_u32_e32 v4, v1, v4
; %bb.1916:
	s_or_b32 exec_lo, exec_lo, s7
	s_mov_b32 s0, 0
	s_mov_b32 s7, -1
	global_store_b8 v[2:3], v4, off
.LBB174_1917:
	s_mov_b32 s8, 0
.LBB174_1918:
	s_delay_alu instid0(SALU_CYCLE_1)
	s_and_b32 vcc_lo, exec_lo, s8
	s_cbranch_vccz .LBB174_1921
; %bb.1919:
	s_cmp_eq_u32 s3, 29
	s_mov_b32 s0, -1
	s_cbranch_scc0 .LBB174_1921
; %bb.1920:
	s_mov_b32 s0, 0
	s_wait_xcnt 0x0
	v_cndmask_b32_e64 v4, 0, 1, s14
	v_mov_b32_e32 v5, s0
	s_mov_b32 s7, -1
	global_store_b64 v[2:3], v[4:5], off
.LBB174_1921:
	s_mov_b32 s8, 0
.LBB174_1922:
	s_delay_alu instid0(SALU_CYCLE_1)
	s_and_b32 vcc_lo, exec_lo, s8
	s_cbranch_vccz .LBB174_1938
; %bb.1923:
	s_cmp_lt_i32 s3, 27
	s_mov_b32 s7, -1
	s_cbranch_scc1 .LBB174_1929
; %bb.1924:
	s_cmp_gt_i32 s3, 27
	s_cbranch_scc0 .LBB174_1926
; %bb.1925:
	s_wait_xcnt 0x0
	v_cndmask_b32_e64 v1, 0, 1, s14
	s_mov_b32 s7, 0
	global_store_b32 v[2:3], v1, off
.LBB174_1926:
	s_and_not1_b32 vcc_lo, exec_lo, s7
	s_cbranch_vccnz .LBB174_1928
; %bb.1927:
	s_wait_xcnt 0x0
	v_cndmask_b32_e64 v1, 0, 1, s14
	global_store_b16 v[2:3], v1, off
.LBB174_1928:
	s_mov_b32 s7, 0
.LBB174_1929:
	s_delay_alu instid0(SALU_CYCLE_1)
	s_and_not1_b32 vcc_lo, exec_lo, s7
	s_cbranch_vccnz .LBB174_1937
; %bb.1930:
	s_wait_xcnt 0x0
	v_cndmask_b32_e64 v4, 0, 1.0, s14
	v_mov_b32_e32 v5, 0x80
	s_mov_b32 s7, exec_lo
	s_delay_alu instid0(VALU_DEP_2)
	v_cmpx_gt_u32_e32 0x43800000, v4
	s_cbranch_execz .LBB174_1936
; %bb.1931:
	s_mov_b32 s8, 0
	s_mov_b32 s9, exec_lo
                                        ; implicit-def: $vgpr1
	v_cmpx_lt_u32_e32 0x3bffffff, v4
	s_xor_b32 s9, exec_lo, s9
	s_cbranch_execz .LBB174_2112
; %bb.1932:
	v_bfe_u32 v1, v4, 20, 1
	s_mov_b32 s8, exec_lo
	s_delay_alu instid0(VALU_DEP_1) | instskip(NEXT) | instid1(VALU_DEP_1)
	v_add3_u32 v1, v4, v1, 0x487ffff
                                        ; implicit-def: $vgpr4
	v_lshrrev_b32_e32 v1, 20, v1
	s_and_not1_saveexec_b32 s9, s9
	s_cbranch_execnz .LBB174_2113
.LBB174_1933:
	s_or_b32 exec_lo, exec_lo, s9
	v_mov_b32_e32 v5, 0
	s_and_saveexec_b32 s9, s8
.LBB174_1934:
	v_mov_b32_e32 v5, v1
.LBB174_1935:
	s_or_b32 exec_lo, exec_lo, s9
.LBB174_1936:
	s_delay_alu instid0(SALU_CYCLE_1)
	s_or_b32 exec_lo, exec_lo, s7
	global_store_b8 v[2:3], v5, off
.LBB174_1937:
	s_mov_b32 s7, -1
.LBB174_1938:
	s_mov_b32 s8, 0
.LBB174_1939:
	s_delay_alu instid0(SALU_CYCLE_1)
	s_and_b32 vcc_lo, exec_lo, s8
	s_cbranch_vccz .LBB174_1979
; %bb.1940:
	s_cmp_gt_i32 s3, 22
	s_mov_b32 s6, -1
	s_cbranch_scc0 .LBB174_1972
; %bb.1941:
	s_cmp_lt_i32 s3, 24
	s_cbranch_scc1 .LBB174_1961
; %bb.1942:
	s_cmp_gt_i32 s3, 24
	s_cbranch_scc0 .LBB174_1950
; %bb.1943:
	s_wait_xcnt 0x0
	v_cndmask_b32_e64 v4, 0, 1.0, s14
	v_mov_b32_e32 v5, 0x80
	s_mov_b32 s6, exec_lo
	s_delay_alu instid0(VALU_DEP_2)
	v_cmpx_gt_u32_e32 0x47800000, v4
	s_cbranch_execz .LBB174_1949
; %bb.1944:
	s_mov_b32 s7, 0
	s_mov_b32 s8, exec_lo
                                        ; implicit-def: $vgpr1
	v_cmpx_lt_u32_e32 0x37ffffff, v4
	s_xor_b32 s8, exec_lo, s8
	s_cbranch_execz .LBB174_2115
; %bb.1945:
	v_bfe_u32 v1, v4, 21, 1
	s_mov_b32 s7, exec_lo
	s_delay_alu instid0(VALU_DEP_1) | instskip(NEXT) | instid1(VALU_DEP_1)
	v_add3_u32 v1, v4, v1, 0x88fffff
                                        ; implicit-def: $vgpr4
	v_lshrrev_b32_e32 v1, 21, v1
	s_and_not1_saveexec_b32 s8, s8
	s_cbranch_execnz .LBB174_2116
.LBB174_1946:
	s_or_b32 exec_lo, exec_lo, s8
	v_mov_b32_e32 v5, 0
	s_and_saveexec_b32 s8, s7
.LBB174_1947:
	v_mov_b32_e32 v5, v1
.LBB174_1948:
	s_or_b32 exec_lo, exec_lo, s8
.LBB174_1949:
	s_delay_alu instid0(SALU_CYCLE_1)
	s_or_b32 exec_lo, exec_lo, s6
	s_mov_b32 s6, 0
	global_store_b8 v[2:3], v5, off
.LBB174_1950:
	s_and_b32 vcc_lo, exec_lo, s6
	s_cbranch_vccz .LBB174_1960
; %bb.1951:
	s_wait_xcnt 0x0
	v_cndmask_b32_e64 v4, 0, 1.0, s14
	s_mov_b32 s6, exec_lo
                                        ; implicit-def: $vgpr1
	s_delay_alu instid0(VALU_DEP_1)
	v_cmpx_gt_u32_e32 0x43f00000, v4
	s_xor_b32 s6, exec_lo, s6
	s_cbranch_execz .LBB174_1957
; %bb.1952:
	s_mov_b32 s7, exec_lo
                                        ; implicit-def: $vgpr1
	v_cmpx_lt_u32_e32 0x3c7fffff, v4
	s_xor_b32 s7, exec_lo, s7
; %bb.1953:
	v_bfe_u32 v1, v4, 20, 1
	s_delay_alu instid0(VALU_DEP_1) | instskip(NEXT) | instid1(VALU_DEP_1)
	v_add3_u32 v1, v4, v1, 0x407ffff
	v_and_b32_e32 v4, 0xff00000, v1
	v_lshrrev_b32_e32 v1, 20, v1
	s_delay_alu instid0(VALU_DEP_2) | instskip(NEXT) | instid1(VALU_DEP_2)
	v_cmp_ne_u32_e32 vcc_lo, 0x7f00000, v4
                                        ; implicit-def: $vgpr4
	v_cndmask_b32_e32 v1, 0x7e, v1, vcc_lo
; %bb.1954:
	s_and_not1_saveexec_b32 s7, s7
; %bb.1955:
	v_add_f32_e32 v1, 0x46800000, v4
; %bb.1956:
	s_or_b32 exec_lo, exec_lo, s7
                                        ; implicit-def: $vgpr4
.LBB174_1957:
	s_and_not1_saveexec_b32 s6, s6
; %bb.1958:
	v_mov_b32_e32 v1, 0x7f
	v_cmp_lt_u32_e32 vcc_lo, 0x7f800000, v4
	s_delay_alu instid0(VALU_DEP_2)
	v_cndmask_b32_e32 v1, 0x7e, v1, vcc_lo
; %bb.1959:
	s_or_b32 exec_lo, exec_lo, s6
	global_store_b8 v[2:3], v1, off
.LBB174_1960:
	s_mov_b32 s6, 0
.LBB174_1961:
	s_delay_alu instid0(SALU_CYCLE_1)
	s_and_not1_b32 vcc_lo, exec_lo, s6
	s_cbranch_vccnz .LBB174_1971
; %bb.1962:
	s_wait_xcnt 0x0
	v_cndmask_b32_e64 v4, 0, 1.0, s14
	s_mov_b32 s6, exec_lo
                                        ; implicit-def: $vgpr1
	s_delay_alu instid0(VALU_DEP_1)
	v_cmpx_gt_u32_e32 0x47800000, v4
	s_xor_b32 s6, exec_lo, s6
	s_cbranch_execz .LBB174_1968
; %bb.1963:
	s_mov_b32 s7, exec_lo
                                        ; implicit-def: $vgpr1
	v_cmpx_lt_u32_e32 0x387fffff, v4
	s_xor_b32 s7, exec_lo, s7
; %bb.1964:
	v_bfe_u32 v1, v4, 21, 1
	s_delay_alu instid0(VALU_DEP_1) | instskip(NEXT) | instid1(VALU_DEP_1)
	v_add3_u32 v1, v4, v1, 0x80fffff
                                        ; implicit-def: $vgpr4
	v_lshrrev_b32_e32 v1, 21, v1
; %bb.1965:
	s_and_not1_saveexec_b32 s7, s7
; %bb.1966:
	v_add_f32_e32 v1, 0x43000000, v4
; %bb.1967:
	s_or_b32 exec_lo, exec_lo, s7
                                        ; implicit-def: $vgpr4
.LBB174_1968:
	s_and_not1_saveexec_b32 s6, s6
; %bb.1969:
	v_mov_b32_e32 v1, 0x7f
	v_cmp_lt_u32_e32 vcc_lo, 0x7f800000, v4
	s_delay_alu instid0(VALU_DEP_2)
	v_cndmask_b32_e32 v1, 0x7c, v1, vcc_lo
; %bb.1970:
	s_or_b32 exec_lo, exec_lo, s6
	global_store_b8 v[2:3], v1, off
.LBB174_1971:
	s_mov_b32 s6, 0
	s_mov_b32 s7, -1
.LBB174_1972:
	s_and_not1_b32 vcc_lo, exec_lo, s6
	s_mov_b32 s6, 0
	s_cbranch_vccnz .LBB174_1979
; %bb.1973:
	s_cmp_gt_i32 s3, 14
	s_mov_b32 s6, -1
	s_cbranch_scc0 .LBB174_1977
; %bb.1974:
	s_cmp_eq_u32 s3, 15
	s_mov_b32 s0, -1
	s_cbranch_scc0 .LBB174_1976
; %bb.1975:
	s_wait_xcnt 0x0
	v_cndmask_b32_e64 v1, 0, 1.0, s14
	s_mov_b32 s0, 0
	s_mov_b32 s7, -1
	s_delay_alu instid0(VALU_DEP_1) | instskip(NEXT) | instid1(VALU_DEP_1)
	v_bfe_u32 v4, v1, 16, 1
	v_add3_u32 v1, v1, v4, 0x7fff
	global_store_d16_hi_b16 v[2:3], v1, off
.LBB174_1976:
	s_mov_b32 s6, 0
.LBB174_1977:
	s_delay_alu instid0(SALU_CYCLE_1)
	s_and_b32 vcc_lo, exec_lo, s6
	s_mov_b32 s6, 0
	s_cbranch_vccz .LBB174_1979
; %bb.1978:
	s_cmp_lg_u32 s3, 11
	s_mov_b32 s6, -1
	s_cselect_b32 s0, -1, 0
.LBB174_1979:
	s_delay_alu instid0(SALU_CYCLE_1)
	s_and_b32 vcc_lo, exec_lo, s0
	s_cbranch_vccnz .LBB174_2114
; %bb.1980:
	s_and_not1_b32 vcc_lo, exec_lo, s6
	s_cbranch_vccnz .LBB174_1982
.LBB174_1981:
	s_wait_xcnt 0x0
	v_cndmask_b32_e64 v1, 0, 1, s14
	s_mov_b32 s7, -1
	global_store_b8 v[2:3], v1, off
.LBB174_1982:
	s_mov_b32 s0, 0
	s_branch .LBB174_1984
.LBB174_1983:
	s_mov_b32 s0, -1
	s_mov_b32 s7, 0
.LBB174_1984:
	s_and_b32 vcc_lo, exec_lo, s0
	s_cbranch_vccz .LBB174_2023
; %bb.1985:
	s_and_b32 s0, 0xffff, s16
	s_mov_b32 s3, -1
	s_cmp_lt_i32 s0, 5
	s_cbranch_scc1 .LBB174_2006
; %bb.1986:
	s_cmp_lt_i32 s0, 8
	s_cbranch_scc1 .LBB174_1996
; %bb.1987:
	;; [unrolled: 3-line block ×3, first 2 shown]
	s_cmp_gt_i32 s0, 9
	s_cbranch_scc0 .LBB174_1990
; %bb.1989:
	s_wait_xcnt 0x0
	v_cndmask_b32_e64 v1, 0, 1, s14
	v_mov_b32_e32 v6, 0
	s_mov_b32 s3, 0
	s_delay_alu instid0(VALU_DEP_2) | instskip(NEXT) | instid1(VALU_DEP_2)
	v_cvt_f64_u32_e32 v[4:5], v1
	v_mov_b32_e32 v7, v6
	global_store_b128 v[2:3], v[4:7], off
.LBB174_1990:
	s_and_not1_b32 vcc_lo, exec_lo, s3
	s_cbranch_vccnz .LBB174_1992
; %bb.1991:
	s_wait_xcnt 0x0
	v_cndmask_b32_e64 v4, 0, 1.0, s14
	v_mov_b32_e32 v5, 0
	global_store_b64 v[2:3], v[4:5], off
.LBB174_1992:
	s_mov_b32 s3, 0
.LBB174_1993:
	s_delay_alu instid0(SALU_CYCLE_1)
	s_and_not1_b32 vcc_lo, exec_lo, s3
	s_cbranch_vccnz .LBB174_1995
; %bb.1994:
	s_wait_xcnt 0x0
	v_cndmask_b32_e64 v1, 0, 1.0, s14
	s_delay_alu instid0(VALU_DEP_1) | instskip(NEXT) | instid1(VALU_DEP_1)
	v_cvt_f16_f32_e32 v1, v1
	v_and_b32_e32 v1, 0xffff, v1
	global_store_b32 v[2:3], v1, off
.LBB174_1995:
	s_mov_b32 s3, 0
.LBB174_1996:
	s_delay_alu instid0(SALU_CYCLE_1)
	s_and_not1_b32 vcc_lo, exec_lo, s3
	s_cbranch_vccnz .LBB174_2005
; %bb.1997:
	s_cmp_lt_i32 s0, 6
	s_mov_b32 s3, -1
	s_cbranch_scc1 .LBB174_2003
; %bb.1998:
	s_cmp_gt_i32 s0, 6
	s_cbranch_scc0 .LBB174_2000
; %bb.1999:
	s_wait_xcnt 0x0
	v_cndmask_b32_e64 v1, 0, 1, s14
	s_mov_b32 s3, 0
	s_delay_alu instid0(VALU_DEP_1)
	v_cvt_f64_u32_e32 v[4:5], v1
	global_store_b64 v[2:3], v[4:5], off
.LBB174_2000:
	s_and_not1_b32 vcc_lo, exec_lo, s3
	s_cbranch_vccnz .LBB174_2002
; %bb.2001:
	s_wait_xcnt 0x0
	v_cndmask_b32_e64 v1, 0, 1.0, s14
	global_store_b32 v[2:3], v1, off
.LBB174_2002:
	s_mov_b32 s3, 0
.LBB174_2003:
	s_delay_alu instid0(SALU_CYCLE_1)
	s_and_not1_b32 vcc_lo, exec_lo, s3
	s_cbranch_vccnz .LBB174_2005
; %bb.2004:
	s_wait_xcnt 0x0
	v_cndmask_b32_e64 v1, 0, 1.0, s14
	s_delay_alu instid0(VALU_DEP_1)
	v_cvt_f16_f32_e32 v1, v1
	global_store_b16 v[2:3], v1, off
.LBB174_2005:
	s_mov_b32 s3, 0
.LBB174_2006:
	s_delay_alu instid0(SALU_CYCLE_1)
	s_and_not1_b32 vcc_lo, exec_lo, s3
	s_cbranch_vccnz .LBB174_2022
; %bb.2007:
	s_cmp_lt_i32 s0, 2
	s_mov_b32 s3, -1
	s_cbranch_scc1 .LBB174_2017
; %bb.2008:
	s_cmp_lt_i32 s0, 3
	s_cbranch_scc1 .LBB174_2014
; %bb.2009:
	s_cmp_gt_i32 s0, 3
	s_cbranch_scc0 .LBB174_2011
; %bb.2010:
	s_mov_b32 s3, 0
	s_wait_xcnt 0x0
	v_cndmask_b32_e64 v4, 0, 1, s14
	v_mov_b32_e32 v5, s3
	global_store_b64 v[2:3], v[4:5], off
.LBB174_2011:
	s_and_not1_b32 vcc_lo, exec_lo, s3
	s_cbranch_vccnz .LBB174_2013
; %bb.2012:
	s_wait_xcnt 0x0
	v_cndmask_b32_e64 v1, 0, 1, s14
	global_store_b32 v[2:3], v1, off
.LBB174_2013:
	s_mov_b32 s3, 0
.LBB174_2014:
	s_delay_alu instid0(SALU_CYCLE_1)
	s_and_not1_b32 vcc_lo, exec_lo, s3
	s_cbranch_vccnz .LBB174_2016
; %bb.2015:
	s_wait_xcnt 0x0
	v_cndmask_b32_e64 v1, 0, 1, s14
	global_store_b16 v[2:3], v1, off
.LBB174_2016:
	s_mov_b32 s3, 0
.LBB174_2017:
	s_delay_alu instid0(SALU_CYCLE_1)
	s_and_not1_b32 vcc_lo, exec_lo, s3
	s_cbranch_vccnz .LBB174_2022
; %bb.2018:
	s_wait_xcnt 0x0
	v_cndmask_b32_e64 v1, 0, 1, s14
	s_cmp_gt_i32 s0, 0
	s_mov_b32 s0, -1
	s_cbranch_scc0 .LBB174_2020
; %bb.2019:
	s_mov_b32 s0, 0
	global_store_b8 v[2:3], v1, off
.LBB174_2020:
	s_and_not1_b32 vcc_lo, exec_lo, s0
	s_cbranch_vccnz .LBB174_2022
; %bb.2021:
	global_store_b8 v[2:3], v1, off
.LBB174_2022:
	s_mov_b32 s7, -1
.LBB174_2023:
	s_delay_alu instid0(SALU_CYCLE_1)
	s_and_not1_b32 vcc_lo, exec_lo, s7
	s_cbranch_vccnz .LBB174_2100
; %bb.2024:
	v_add_nc_u32_e32 v0, s2, v0
	s_cmp_lt_i32 s16, 11
	s_wait_xcnt 0x0
	s_delay_alu instid0(VALU_DEP_1) | instskip(NEXT) | instid1(VALU_DEP_1)
	v_ashrrev_i32_e32 v1, 31, v0
	v_add_nc_u64_e32 v[0:1], s[4:5], v[0:1]
	s_cbranch_scc1 .LBB174_2101
; %bb.2025:
	s_and_b32 s2, 0xffff, s16
	s_mov_b32 s4, -1
	s_mov_b32 s3, 0
	s_cmp_gt_i32 s2, 25
	s_mov_b32 s0, 0
	s_cbranch_scc0 .LBB174_2058
; %bb.2026:
	s_cmp_gt_i32 s2, 28
	s_cbranch_scc0 .LBB174_2042
; %bb.2027:
	s_cmp_gt_i32 s2, 43
	;; [unrolled: 3-line block ×3, first 2 shown]
	s_cbranch_scc0 .LBB174_2032
; %bb.2029:
	s_cmp_eq_u32 s2, 46
	s_mov_b32 s0, -1
	s_cbranch_scc0 .LBB174_2031
; %bb.2030:
	v_cndmask_b32_e64 v2, 0, 1.0, s15
	s_mov_b32 s0, 0
	s_delay_alu instid0(VALU_DEP_1) | instskip(NEXT) | instid1(VALU_DEP_1)
	v_bfe_u32 v3, v2, 16, 1
	v_add3_u32 v2, v2, v3, 0x7fff
	s_delay_alu instid0(VALU_DEP_1)
	v_lshrrev_b32_e32 v2, 16, v2
	global_store_b32 v[0:1], v2, off
.LBB174_2031:
	s_mov_b32 s4, 0
.LBB174_2032:
	s_delay_alu instid0(SALU_CYCLE_1)
	s_and_b32 vcc_lo, exec_lo, s4
	s_cbranch_vccz .LBB174_2037
; %bb.2033:
	s_cmp_eq_u32 s2, 44
	s_mov_b32 s0, -1
	s_cbranch_scc0 .LBB174_2037
; %bb.2034:
	v_cndmask_b32_e64 v4, 0, 1.0, s15
	s_mov_b32 s4, exec_lo
	s_wait_xcnt 0x0
	s_delay_alu instid0(VALU_DEP_1) | instskip(NEXT) | instid1(VALU_DEP_1)
	v_dual_mov_b32 v3, 0xff :: v_dual_lshrrev_b32 v2, 23, v4
	v_cmpx_ne_u32_e32 0xff, v2
; %bb.2035:
	v_and_b32_e32 v3, 0x400000, v4
	v_and_or_b32 v4, 0x3fffff, v4, v2
	s_delay_alu instid0(VALU_DEP_2) | instskip(NEXT) | instid1(VALU_DEP_2)
	v_cmp_ne_u32_e32 vcc_lo, 0, v3
	v_cmp_ne_u32_e64 s0, 0, v4
	s_and_b32 s0, vcc_lo, s0
	s_delay_alu instid0(SALU_CYCLE_1) | instskip(NEXT) | instid1(VALU_DEP_1)
	v_cndmask_b32_e64 v3, 0, 1, s0
	v_add_nc_u32_e32 v3, v2, v3
; %bb.2036:
	s_or_b32 exec_lo, exec_lo, s4
	s_mov_b32 s0, 0
	global_store_b8 v[0:1], v3, off
.LBB174_2037:
	s_mov_b32 s4, 0
.LBB174_2038:
	s_delay_alu instid0(SALU_CYCLE_1)
	s_and_b32 vcc_lo, exec_lo, s4
	s_cbranch_vccz .LBB174_2041
; %bb.2039:
	s_cmp_eq_u32 s2, 29
	s_mov_b32 s0, -1
	s_cbranch_scc0 .LBB174_2041
; %bb.2040:
	s_mov_b32 s0, 0
	s_wait_xcnt 0x0
	v_cndmask_b32_e64 v2, 0, 1, s15
	v_mov_b32_e32 v3, s0
	global_store_b64 v[0:1], v[2:3], off
.LBB174_2041:
	s_mov_b32 s4, 0
.LBB174_2042:
	s_delay_alu instid0(SALU_CYCLE_1)
	s_and_b32 vcc_lo, exec_lo, s4
	s_cbranch_vccz .LBB174_2057
; %bb.2043:
	s_cmp_lt_i32 s2, 27
	s_mov_b32 s4, -1
	s_cbranch_scc1 .LBB174_2049
; %bb.2044:
	s_wait_xcnt 0x0
	v_cndmask_b32_e64 v2, 0, 1, s15
	s_cmp_gt_i32 s2, 27
	s_cbranch_scc0 .LBB174_2046
; %bb.2045:
	s_mov_b32 s4, 0
	global_store_b32 v[0:1], v2, off
.LBB174_2046:
	s_and_not1_b32 vcc_lo, exec_lo, s4
	s_cbranch_vccnz .LBB174_2048
; %bb.2047:
	global_store_b16 v[0:1], v2, off
.LBB174_2048:
	s_mov_b32 s4, 0
.LBB174_2049:
	s_delay_alu instid0(SALU_CYCLE_1)
	s_and_not1_b32 vcc_lo, exec_lo, s4
	s_cbranch_vccnz .LBB174_2057
; %bb.2050:
	s_wait_xcnt 0x0
	v_cndmask_b32_e64 v3, 0, 1.0, s15
	v_mov_b32_e32 v4, 0x80
	s_mov_b32 s4, exec_lo
	s_delay_alu instid0(VALU_DEP_2)
	v_cmpx_gt_u32_e32 0x43800000, v3
	s_cbranch_execz .LBB174_2056
; %bb.2051:
	s_mov_b32 s5, 0
	s_mov_b32 s6, exec_lo
                                        ; implicit-def: $vgpr2
	v_cmpx_lt_u32_e32 0x3bffffff, v3
	s_xor_b32 s6, exec_lo, s6
	s_cbranch_execz .LBB174_2117
; %bb.2052:
	v_bfe_u32 v2, v3, 20, 1
	s_mov_b32 s5, exec_lo
	s_delay_alu instid0(VALU_DEP_1) | instskip(NEXT) | instid1(VALU_DEP_1)
	v_add3_u32 v2, v3, v2, 0x487ffff
                                        ; implicit-def: $vgpr3
	v_lshrrev_b32_e32 v2, 20, v2
	s_and_not1_saveexec_b32 s6, s6
	s_cbranch_execnz .LBB174_2118
.LBB174_2053:
	s_or_b32 exec_lo, exec_lo, s6
	v_mov_b32_e32 v4, 0
	s_and_saveexec_b32 s6, s5
.LBB174_2054:
	v_mov_b32_e32 v4, v2
.LBB174_2055:
	s_or_b32 exec_lo, exec_lo, s6
.LBB174_2056:
	s_delay_alu instid0(SALU_CYCLE_1)
	s_or_b32 exec_lo, exec_lo, s4
	global_store_b8 v[0:1], v4, off
.LBB174_2057:
	s_mov_b32 s4, 0
.LBB174_2058:
	s_delay_alu instid0(SALU_CYCLE_1)
	s_and_b32 vcc_lo, exec_lo, s4
	s_cbranch_vccz .LBB174_2098
; %bb.2059:
	s_cmp_gt_i32 s2, 22
	s_mov_b32 s3, -1
	s_cbranch_scc0 .LBB174_2091
; %bb.2060:
	s_cmp_lt_i32 s2, 24
	s_cbranch_scc1 .LBB174_2080
; %bb.2061:
	s_cmp_gt_i32 s2, 24
	s_cbranch_scc0 .LBB174_2069
; %bb.2062:
	s_wait_xcnt 0x0
	v_cndmask_b32_e64 v3, 0, 1.0, s15
	v_mov_b32_e32 v4, 0x80
	s_mov_b32 s3, exec_lo
	s_delay_alu instid0(VALU_DEP_2)
	v_cmpx_gt_u32_e32 0x47800000, v3
	s_cbranch_execz .LBB174_2068
; %bb.2063:
	s_mov_b32 s4, 0
	s_mov_b32 s5, exec_lo
                                        ; implicit-def: $vgpr2
	v_cmpx_lt_u32_e32 0x37ffffff, v3
	s_xor_b32 s5, exec_lo, s5
	s_cbranch_execz .LBB174_2120
; %bb.2064:
	v_bfe_u32 v2, v3, 21, 1
	s_mov_b32 s4, exec_lo
	s_delay_alu instid0(VALU_DEP_1) | instskip(NEXT) | instid1(VALU_DEP_1)
	v_add3_u32 v2, v3, v2, 0x88fffff
                                        ; implicit-def: $vgpr3
	v_lshrrev_b32_e32 v2, 21, v2
	s_and_not1_saveexec_b32 s5, s5
	s_cbranch_execnz .LBB174_2121
.LBB174_2065:
	s_or_b32 exec_lo, exec_lo, s5
	v_mov_b32_e32 v4, 0
	s_and_saveexec_b32 s5, s4
.LBB174_2066:
	v_mov_b32_e32 v4, v2
.LBB174_2067:
	s_or_b32 exec_lo, exec_lo, s5
.LBB174_2068:
	s_delay_alu instid0(SALU_CYCLE_1)
	s_or_b32 exec_lo, exec_lo, s3
	s_mov_b32 s3, 0
	global_store_b8 v[0:1], v4, off
.LBB174_2069:
	s_and_b32 vcc_lo, exec_lo, s3
	s_cbranch_vccz .LBB174_2079
; %bb.2070:
	s_wait_xcnt 0x0
	v_cndmask_b32_e64 v3, 0, 1.0, s15
	s_mov_b32 s3, exec_lo
                                        ; implicit-def: $vgpr2
	s_delay_alu instid0(VALU_DEP_1)
	v_cmpx_gt_u32_e32 0x43f00000, v3
	s_xor_b32 s3, exec_lo, s3
	s_cbranch_execz .LBB174_2076
; %bb.2071:
	s_mov_b32 s4, exec_lo
                                        ; implicit-def: $vgpr2
	v_cmpx_lt_u32_e32 0x3c7fffff, v3
	s_xor_b32 s4, exec_lo, s4
; %bb.2072:
	v_bfe_u32 v2, v3, 20, 1
	s_delay_alu instid0(VALU_DEP_1) | instskip(NEXT) | instid1(VALU_DEP_1)
	v_add3_u32 v2, v3, v2, 0x407ffff
	v_and_b32_e32 v3, 0xff00000, v2
	v_lshrrev_b32_e32 v2, 20, v2
	s_delay_alu instid0(VALU_DEP_2) | instskip(NEXT) | instid1(VALU_DEP_2)
	v_cmp_ne_u32_e32 vcc_lo, 0x7f00000, v3
                                        ; implicit-def: $vgpr3
	v_cndmask_b32_e32 v2, 0x7e, v2, vcc_lo
; %bb.2073:
	s_and_not1_saveexec_b32 s4, s4
; %bb.2074:
	v_add_f32_e32 v2, 0x46800000, v3
; %bb.2075:
	s_or_b32 exec_lo, exec_lo, s4
                                        ; implicit-def: $vgpr3
.LBB174_2076:
	s_and_not1_saveexec_b32 s3, s3
; %bb.2077:
	v_mov_b32_e32 v2, 0x7f
	v_cmp_lt_u32_e32 vcc_lo, 0x7f800000, v3
	s_delay_alu instid0(VALU_DEP_2)
	v_cndmask_b32_e32 v2, 0x7e, v2, vcc_lo
; %bb.2078:
	s_or_b32 exec_lo, exec_lo, s3
	global_store_b8 v[0:1], v2, off
.LBB174_2079:
	s_mov_b32 s3, 0
.LBB174_2080:
	s_delay_alu instid0(SALU_CYCLE_1)
	s_and_not1_b32 vcc_lo, exec_lo, s3
	s_cbranch_vccnz .LBB174_2090
; %bb.2081:
	s_wait_xcnt 0x0
	v_cndmask_b32_e64 v3, 0, 1.0, s15
	s_mov_b32 s3, exec_lo
                                        ; implicit-def: $vgpr2
	s_delay_alu instid0(VALU_DEP_1)
	v_cmpx_gt_u32_e32 0x47800000, v3
	s_xor_b32 s3, exec_lo, s3
	s_cbranch_execz .LBB174_2087
; %bb.2082:
	s_mov_b32 s4, exec_lo
                                        ; implicit-def: $vgpr2
	v_cmpx_lt_u32_e32 0x387fffff, v3
	s_xor_b32 s4, exec_lo, s4
; %bb.2083:
	v_bfe_u32 v2, v3, 21, 1
	s_delay_alu instid0(VALU_DEP_1) | instskip(NEXT) | instid1(VALU_DEP_1)
	v_add3_u32 v2, v3, v2, 0x80fffff
                                        ; implicit-def: $vgpr3
	v_lshrrev_b32_e32 v2, 21, v2
; %bb.2084:
	s_and_not1_saveexec_b32 s4, s4
; %bb.2085:
	v_add_f32_e32 v2, 0x43000000, v3
; %bb.2086:
	s_or_b32 exec_lo, exec_lo, s4
                                        ; implicit-def: $vgpr3
.LBB174_2087:
	s_and_not1_saveexec_b32 s3, s3
; %bb.2088:
	v_mov_b32_e32 v2, 0x7f
	v_cmp_lt_u32_e32 vcc_lo, 0x7f800000, v3
	s_delay_alu instid0(VALU_DEP_2)
	v_cndmask_b32_e32 v2, 0x7c, v2, vcc_lo
; %bb.2089:
	s_or_b32 exec_lo, exec_lo, s3
	global_store_b8 v[0:1], v2, off
.LBB174_2090:
	s_mov_b32 s3, 0
.LBB174_2091:
	s_delay_alu instid0(SALU_CYCLE_1)
	s_and_not1_b32 vcc_lo, exec_lo, s3
	s_mov_b32 s3, 0
	s_cbranch_vccnz .LBB174_2098
; %bb.2092:
	s_cmp_gt_i32 s2, 14
	s_mov_b32 s3, -1
	s_cbranch_scc0 .LBB174_2096
; %bb.2093:
	s_cmp_eq_u32 s2, 15
	s_mov_b32 s0, -1
	s_cbranch_scc0 .LBB174_2095
; %bb.2094:
	s_wait_xcnt 0x0
	v_cndmask_b32_e64 v2, 0, 1.0, s15
	s_mov_b32 s0, 0
	s_delay_alu instid0(VALU_DEP_1) | instskip(NEXT) | instid1(VALU_DEP_1)
	v_bfe_u32 v3, v2, 16, 1
	v_add3_u32 v2, v2, v3, 0x7fff
	global_store_d16_hi_b16 v[0:1], v2, off
.LBB174_2095:
	s_mov_b32 s3, 0
.LBB174_2096:
	s_delay_alu instid0(SALU_CYCLE_1)
	s_and_b32 vcc_lo, exec_lo, s3
	s_mov_b32 s3, 0
	s_cbranch_vccz .LBB174_2098
; %bb.2097:
	s_cmp_lg_u32 s2, 11
	s_mov_b32 s3, -1
	s_cselect_b32 s0, -1, 0
.LBB174_2098:
	s_delay_alu instid0(SALU_CYCLE_1)
	s_and_b32 vcc_lo, exec_lo, s0
	s_cbranch_vccnz .LBB174_2119
.LBB174_2099:
	s_mov_b32 s0, 0
	s_branch .LBB174_1620
.LBB174_2100:
	s_mov_b32 s0, 0
	s_mov_b32 s3, 0
	s_branch .LBB174_1619
.LBB174_2101:
	s_mov_b32 s3, 0
	s_mov_b32 s0, -1
	s_branch .LBB174_1620
.LBB174_2102:
	s_and_not1_saveexec_b32 s11, s11
	s_cbranch_execz .LBB174_1695
.LBB174_2103:
	v_add_f32_e32 v1, 0x46000000, v4
	s_and_not1_b32 s7, s7, exec_lo
	s_delay_alu instid0(VALU_DEP_1) | instskip(NEXT) | instid1(VALU_DEP_1)
	v_and_b32_e32 v1, 0xff, v1
	v_cmp_ne_u32_e32 vcc_lo, 0, v1
	s_and_b32 s17, vcc_lo, exec_lo
	s_delay_alu instid0(SALU_CYCLE_1)
	s_or_b32 s7, s7, s17
	s_or_b32 exec_lo, exec_lo, s11
	v_mov_b32_e32 v5, 0
	s_and_saveexec_b32 s11, s7
	s_cbranch_execnz .LBB174_1696
	s_branch .LBB174_1697
.LBB174_2104:
	s_or_b32 s1, s1, exec_lo
	s_trap 2
	s_cbranch_execz .LBB174_1743
	s_branch .LBB174_1744
.LBB174_2105:
	s_and_not1_saveexec_b32 s7, s7
	s_cbranch_execz .LBB174_1708
.LBB174_2106:
	v_add_f32_e32 v1, 0x42800000, v4
	s_and_not1_b32 s6, s6, exec_lo
	s_delay_alu instid0(VALU_DEP_1) | instskip(NEXT) | instid1(VALU_DEP_1)
	v_and_b32_e32 v1, 0xff, v1
	v_cmp_ne_u32_e32 vcc_lo, 0, v1
	s_and_b32 s11, vcc_lo, exec_lo
	s_delay_alu instid0(SALU_CYCLE_1)
	s_or_b32 s6, s6, s11
	s_or_b32 exec_lo, exec_lo, s7
	v_mov_b32_e32 v5, 0
	s_and_saveexec_b32 s7, s6
	s_cbranch_execnz .LBB174_1709
	s_branch .LBB174_1710
.LBB174_2107:
	s_and_not1_saveexec_b32 s10, s10
	s_cbranch_execz .LBB174_1814
.LBB174_2108:
	v_add_f32_e32 v1, 0x46000000, v4
	s_and_not1_b32 s8, s8, exec_lo
	s_delay_alu instid0(VALU_DEP_1) | instskip(NEXT) | instid1(VALU_DEP_1)
	v_and_b32_e32 v1, 0xff, v1
	v_cmp_ne_u32_e32 vcc_lo, 0, v1
	s_and_b32 s11, vcc_lo, exec_lo
	s_delay_alu instid0(SALU_CYCLE_1)
	s_or_b32 s8, s8, s11
	s_or_b32 exec_lo, exec_lo, s10
	v_mov_b32_e32 v5, 0
	s_and_saveexec_b32 s10, s8
	s_cbranch_execnz .LBB174_1815
	s_branch .LBB174_1816
.LBB174_2109:
	s_or_b32 s1, s1, exec_lo
	s_trap 2
	s_cbranch_execz .LBB174_1862
	s_branch .LBB174_1863
.LBB174_2110:
	s_and_not1_saveexec_b32 s8, s8
	s_cbranch_execz .LBB174_1827
.LBB174_2111:
	v_add_f32_e32 v1, 0x42800000, v4
	s_and_not1_b32 s7, s7, exec_lo
	s_delay_alu instid0(VALU_DEP_1) | instskip(NEXT) | instid1(VALU_DEP_1)
	v_and_b32_e32 v1, 0xff, v1
	v_cmp_ne_u32_e32 vcc_lo, 0, v1
	s_and_b32 s10, vcc_lo, exec_lo
	s_delay_alu instid0(SALU_CYCLE_1)
	s_or_b32 s7, s7, s10
	s_or_b32 exec_lo, exec_lo, s8
	v_mov_b32_e32 v5, 0
	s_and_saveexec_b32 s8, s7
	s_cbranch_execnz .LBB174_1828
	s_branch .LBB174_1829
.LBB174_2112:
	s_and_not1_saveexec_b32 s9, s9
	s_cbranch_execz .LBB174_1933
.LBB174_2113:
	v_add_f32_e32 v1, 0x46000000, v4
	s_and_not1_b32 s8, s8, exec_lo
	s_delay_alu instid0(VALU_DEP_1) | instskip(NEXT) | instid1(VALU_DEP_1)
	v_and_b32_e32 v1, 0xff, v1
	v_cmp_ne_u32_e32 vcc_lo, 0, v1
	s_and_b32 s10, vcc_lo, exec_lo
	s_delay_alu instid0(SALU_CYCLE_1)
	s_or_b32 s8, s8, s10
	s_or_b32 exec_lo, exec_lo, s9
	v_mov_b32_e32 v5, 0
	s_and_saveexec_b32 s9, s8
	s_cbranch_execnz .LBB174_1934
	s_branch .LBB174_1935
.LBB174_2114:
	s_or_b32 s1, s1, exec_lo
	s_trap 2
	s_cbranch_execz .LBB174_1981
	s_branch .LBB174_1982
.LBB174_2115:
	s_and_not1_saveexec_b32 s8, s8
	s_cbranch_execz .LBB174_1946
.LBB174_2116:
	v_add_f32_e32 v1, 0x42800000, v4
	s_and_not1_b32 s7, s7, exec_lo
	s_delay_alu instid0(VALU_DEP_1) | instskip(NEXT) | instid1(VALU_DEP_1)
	v_and_b32_e32 v1, 0xff, v1
	v_cmp_ne_u32_e32 vcc_lo, 0, v1
	s_and_b32 s9, vcc_lo, exec_lo
	s_delay_alu instid0(SALU_CYCLE_1)
	s_or_b32 s7, s7, s9
	s_or_b32 exec_lo, exec_lo, s8
	v_mov_b32_e32 v5, 0
	s_and_saveexec_b32 s8, s7
	s_cbranch_execnz .LBB174_1947
	s_branch .LBB174_1948
.LBB174_2117:
	s_and_not1_saveexec_b32 s6, s6
	s_cbranch_execz .LBB174_2053
.LBB174_2118:
	v_add_f32_e32 v2, 0x46000000, v3
	s_and_not1_b32 s5, s5, exec_lo
	s_delay_alu instid0(VALU_DEP_1) | instskip(NEXT) | instid1(VALU_DEP_1)
	v_and_b32_e32 v2, 0xff, v2
	v_cmp_ne_u32_e32 vcc_lo, 0, v2
	s_and_b32 s7, vcc_lo, exec_lo
	s_delay_alu instid0(SALU_CYCLE_1)
	s_or_b32 s5, s5, s7
	s_or_b32 exec_lo, exec_lo, s6
	v_mov_b32_e32 v4, 0
	s_and_saveexec_b32 s6, s5
	s_cbranch_execnz .LBB174_2054
	s_branch .LBB174_2055
.LBB174_2119:
	s_mov_b32 s3, 0
	s_or_b32 s1, s1, exec_lo
	s_trap 2
	s_branch .LBB174_2099
.LBB174_2120:
	s_and_not1_saveexec_b32 s5, s5
	s_cbranch_execz .LBB174_2065
.LBB174_2121:
	v_add_f32_e32 v2, 0x42800000, v3
	s_and_not1_b32 s4, s4, exec_lo
	s_delay_alu instid0(VALU_DEP_1) | instskip(NEXT) | instid1(VALU_DEP_1)
	v_and_b32_e32 v2, 0xff, v2
	v_cmp_ne_u32_e32 vcc_lo, 0, v2
	s_and_b32 s6, vcc_lo, exec_lo
	s_delay_alu instid0(SALU_CYCLE_1)
	s_or_b32 s4, s4, s6
	s_or_b32 exec_lo, exec_lo, s5
	v_mov_b32_e32 v4, 0
	s_and_saveexec_b32 s5, s4
	s_cbranch_execnz .LBB174_2066
	s_branch .LBB174_2067
	.section	.rodata,"a",@progbits
	.p2align	6, 0x0
	.amdhsa_kernel _ZN2at6native32elementwise_kernel_manual_unrollILi128ELi4EZNS0_15gpu_kernel_implINS0_13AUnaryFunctorIN3c107complexINS4_8BFloat16EEES7_bNS0_12_GLOBAL__N_116CompareEqFunctorIS7_EEEEEEvRNS_18TensorIteratorBaseERKT_EUlibE_EEviT1_
		.amdhsa_group_segment_fixed_size 0
		.amdhsa_private_segment_fixed_size 0
		.amdhsa_kernarg_size 48
		.amdhsa_user_sgpr_count 2
		.amdhsa_user_sgpr_dispatch_ptr 0
		.amdhsa_user_sgpr_queue_ptr 0
		.amdhsa_user_sgpr_kernarg_segment_ptr 1
		.amdhsa_user_sgpr_dispatch_id 0
		.amdhsa_user_sgpr_kernarg_preload_length 0
		.amdhsa_user_sgpr_kernarg_preload_offset 0
		.amdhsa_user_sgpr_private_segment_size 0
		.amdhsa_wavefront_size32 1
		.amdhsa_uses_dynamic_stack 0
		.amdhsa_enable_private_segment 0
		.amdhsa_system_sgpr_workgroup_id_x 1
		.amdhsa_system_sgpr_workgroup_id_y 0
		.amdhsa_system_sgpr_workgroup_id_z 0
		.amdhsa_system_sgpr_workgroup_info 0
		.amdhsa_system_vgpr_workitem_id 0
		.amdhsa_next_free_vgpr 10
		.amdhsa_next_free_sgpr 32
		.amdhsa_named_barrier_count 0
		.amdhsa_reserve_vcc 1
		.amdhsa_float_round_mode_32 0
		.amdhsa_float_round_mode_16_64 0
		.amdhsa_float_denorm_mode_32 3
		.amdhsa_float_denorm_mode_16_64 3
		.amdhsa_fp16_overflow 0
		.amdhsa_memory_ordered 1
		.amdhsa_forward_progress 1
		.amdhsa_inst_pref_size 255
		.amdhsa_round_robin_scheduling 0
		.amdhsa_exception_fp_ieee_invalid_op 0
		.amdhsa_exception_fp_denorm_src 0
		.amdhsa_exception_fp_ieee_div_zero 0
		.amdhsa_exception_fp_ieee_overflow 0
		.amdhsa_exception_fp_ieee_underflow 0
		.amdhsa_exception_fp_ieee_inexact 0
		.amdhsa_exception_int_div_zero 0
	.end_amdhsa_kernel
	.section	.text._ZN2at6native32elementwise_kernel_manual_unrollILi128ELi4EZNS0_15gpu_kernel_implINS0_13AUnaryFunctorIN3c107complexINS4_8BFloat16EEES7_bNS0_12_GLOBAL__N_116CompareEqFunctorIS7_EEEEEEvRNS_18TensorIteratorBaseERKT_EUlibE_EEviT1_,"axG",@progbits,_ZN2at6native32elementwise_kernel_manual_unrollILi128ELi4EZNS0_15gpu_kernel_implINS0_13AUnaryFunctorIN3c107complexINS4_8BFloat16EEES7_bNS0_12_GLOBAL__N_116CompareEqFunctorIS7_EEEEEEvRNS_18TensorIteratorBaseERKT_EUlibE_EEviT1_,comdat
.Lfunc_end174:
	.size	_ZN2at6native32elementwise_kernel_manual_unrollILi128ELi4EZNS0_15gpu_kernel_implINS0_13AUnaryFunctorIN3c107complexINS4_8BFloat16EEES7_bNS0_12_GLOBAL__N_116CompareEqFunctorIS7_EEEEEEvRNS_18TensorIteratorBaseERKT_EUlibE_EEviT1_, .Lfunc_end174-_ZN2at6native32elementwise_kernel_manual_unrollILi128ELi4EZNS0_15gpu_kernel_implINS0_13AUnaryFunctorIN3c107complexINS4_8BFloat16EEES7_bNS0_12_GLOBAL__N_116CompareEqFunctorIS7_EEEEEEvRNS_18TensorIteratorBaseERKT_EUlibE_EEviT1_
                                        ; -- End function
	.set _ZN2at6native32elementwise_kernel_manual_unrollILi128ELi4EZNS0_15gpu_kernel_implINS0_13AUnaryFunctorIN3c107complexINS4_8BFloat16EEES7_bNS0_12_GLOBAL__N_116CompareEqFunctorIS7_EEEEEEvRNS_18TensorIteratorBaseERKT_EUlibE_EEviT1_.num_vgpr, 10
	.set _ZN2at6native32elementwise_kernel_manual_unrollILi128ELi4EZNS0_15gpu_kernel_implINS0_13AUnaryFunctorIN3c107complexINS4_8BFloat16EEES7_bNS0_12_GLOBAL__N_116CompareEqFunctorIS7_EEEEEEvRNS_18TensorIteratorBaseERKT_EUlibE_EEviT1_.num_agpr, 0
	.set _ZN2at6native32elementwise_kernel_manual_unrollILi128ELi4EZNS0_15gpu_kernel_implINS0_13AUnaryFunctorIN3c107complexINS4_8BFloat16EEES7_bNS0_12_GLOBAL__N_116CompareEqFunctorIS7_EEEEEEvRNS_18TensorIteratorBaseERKT_EUlibE_EEviT1_.numbered_sgpr, 32
	.set _ZN2at6native32elementwise_kernel_manual_unrollILi128ELi4EZNS0_15gpu_kernel_implINS0_13AUnaryFunctorIN3c107complexINS4_8BFloat16EEES7_bNS0_12_GLOBAL__N_116CompareEqFunctorIS7_EEEEEEvRNS_18TensorIteratorBaseERKT_EUlibE_EEviT1_.num_named_barrier, 0
	.set _ZN2at6native32elementwise_kernel_manual_unrollILi128ELi4EZNS0_15gpu_kernel_implINS0_13AUnaryFunctorIN3c107complexINS4_8BFloat16EEES7_bNS0_12_GLOBAL__N_116CompareEqFunctorIS7_EEEEEEvRNS_18TensorIteratorBaseERKT_EUlibE_EEviT1_.private_seg_size, 0
	.set _ZN2at6native32elementwise_kernel_manual_unrollILi128ELi4EZNS0_15gpu_kernel_implINS0_13AUnaryFunctorIN3c107complexINS4_8BFloat16EEES7_bNS0_12_GLOBAL__N_116CompareEqFunctorIS7_EEEEEEvRNS_18TensorIteratorBaseERKT_EUlibE_EEviT1_.uses_vcc, 1
	.set _ZN2at6native32elementwise_kernel_manual_unrollILi128ELi4EZNS0_15gpu_kernel_implINS0_13AUnaryFunctorIN3c107complexINS4_8BFloat16EEES7_bNS0_12_GLOBAL__N_116CompareEqFunctorIS7_EEEEEEvRNS_18TensorIteratorBaseERKT_EUlibE_EEviT1_.uses_flat_scratch, 0
	.set _ZN2at6native32elementwise_kernel_manual_unrollILi128ELi4EZNS0_15gpu_kernel_implINS0_13AUnaryFunctorIN3c107complexINS4_8BFloat16EEES7_bNS0_12_GLOBAL__N_116CompareEqFunctorIS7_EEEEEEvRNS_18TensorIteratorBaseERKT_EUlibE_EEviT1_.has_dyn_sized_stack, 0
	.set _ZN2at6native32elementwise_kernel_manual_unrollILi128ELi4EZNS0_15gpu_kernel_implINS0_13AUnaryFunctorIN3c107complexINS4_8BFloat16EEES7_bNS0_12_GLOBAL__N_116CompareEqFunctorIS7_EEEEEEvRNS_18TensorIteratorBaseERKT_EUlibE_EEviT1_.has_recursion, 0
	.set _ZN2at6native32elementwise_kernel_manual_unrollILi128ELi4EZNS0_15gpu_kernel_implINS0_13AUnaryFunctorIN3c107complexINS4_8BFloat16EEES7_bNS0_12_GLOBAL__N_116CompareEqFunctorIS7_EEEEEEvRNS_18TensorIteratorBaseERKT_EUlibE_EEviT1_.has_indirect_call, 0
	.section	.AMDGPU.csdata,"",@progbits
; Kernel info:
; codeLenInByte = 44200
; TotalNumSgprs: 34
; NumVgprs: 10
; ScratchSize: 0
; MemoryBound: 0
; FloatMode: 240
; IeeeMode: 1
; LDSByteSize: 0 bytes/workgroup (compile time only)
; SGPRBlocks: 0
; VGPRBlocks: 0
; NumSGPRsForWavesPerEU: 34
; NumVGPRsForWavesPerEU: 10
; NamedBarCnt: 0
; Occupancy: 16
; WaveLimiterHint : 0
; COMPUTE_PGM_RSRC2:SCRATCH_EN: 0
; COMPUTE_PGM_RSRC2:USER_SGPR: 2
; COMPUTE_PGM_RSRC2:TRAP_HANDLER: 0
; COMPUTE_PGM_RSRC2:TGID_X_EN: 1
; COMPUTE_PGM_RSRC2:TGID_Y_EN: 0
; COMPUTE_PGM_RSRC2:TGID_Z_EN: 0
; COMPUTE_PGM_RSRC2:TIDIG_COMP_CNT: 0
	.section	.text._ZN2at6native32elementwise_kernel_manual_unrollILi128ELi4EZNS0_15gpu_kernel_implINS0_13AUnaryFunctorIN3c107complexINS4_8BFloat16EEES7_bNS0_12_GLOBAL__N_116CompareEqFunctorIS7_EEEEEEvRNS_18TensorIteratorBaseERKT_EUlibE0_EEviT1_,"axG",@progbits,_ZN2at6native32elementwise_kernel_manual_unrollILi128ELi4EZNS0_15gpu_kernel_implINS0_13AUnaryFunctorIN3c107complexINS4_8BFloat16EEES7_bNS0_12_GLOBAL__N_116CompareEqFunctorIS7_EEEEEEvRNS_18TensorIteratorBaseERKT_EUlibE0_EEviT1_,comdat
	.globl	_ZN2at6native32elementwise_kernel_manual_unrollILi128ELi4EZNS0_15gpu_kernel_implINS0_13AUnaryFunctorIN3c107complexINS4_8BFloat16EEES7_bNS0_12_GLOBAL__N_116CompareEqFunctorIS7_EEEEEEvRNS_18TensorIteratorBaseERKT_EUlibE0_EEviT1_ ; -- Begin function _ZN2at6native32elementwise_kernel_manual_unrollILi128ELi4EZNS0_15gpu_kernel_implINS0_13AUnaryFunctorIN3c107complexINS4_8BFloat16EEES7_bNS0_12_GLOBAL__N_116CompareEqFunctorIS7_EEEEEEvRNS_18TensorIteratorBaseERKT_EUlibE0_EEviT1_
	.p2align	8
	.type	_ZN2at6native32elementwise_kernel_manual_unrollILi128ELi4EZNS0_15gpu_kernel_implINS0_13AUnaryFunctorIN3c107complexINS4_8BFloat16EEES7_bNS0_12_GLOBAL__N_116CompareEqFunctorIS7_EEEEEEvRNS_18TensorIteratorBaseERKT_EUlibE0_EEviT1_,@function
_ZN2at6native32elementwise_kernel_manual_unrollILi128ELi4EZNS0_15gpu_kernel_implINS0_13AUnaryFunctorIN3c107complexINS4_8BFloat16EEES7_bNS0_12_GLOBAL__N_116CompareEqFunctorIS7_EEEEEEvRNS_18TensorIteratorBaseERKT_EUlibE0_EEviT1_: ; @_ZN2at6native32elementwise_kernel_manual_unrollILi128ELi4EZNS0_15gpu_kernel_implINS0_13AUnaryFunctorIN3c107complexINS4_8BFloat16EEES7_bNS0_12_GLOBAL__N_116CompareEqFunctorIS7_EEEEEEvRNS_18TensorIteratorBaseERKT_EUlibE0_EEviT1_
; %bb.0:
	s_clause 0x1
	s_load_b32 s30, s[0:1], 0x8
	s_load_b32 s38, s[0:1], 0x0
	s_bfe_u32 s2, ttmp6, 0x4000c
	s_and_b32 s3, ttmp6, 15
	s_add_co_i32 s2, s2, 1
	s_getreg_b32 s4, hwreg(HW_REG_IB_STS2, 6, 4)
	s_mul_i32 s2, ttmp9, s2
	s_mov_b32 s27, -1
	s_add_co_i32 s3, s3, s2
	s_cmp_eq_u32 s4, 0
	s_add_nc_u64 s[16:17], s[0:1], 8
	s_cselect_b32 s2, ttmp9, s3
	s_mov_b32 s3, 0
	v_lshl_or_b32 v0, s2, 9, v0
	s_mov_b32 s8, 0
	s_wait_xcnt 0x0
	s_mov_b32 s0, exec_lo
	s_delay_alu instid0(VALU_DEP_1) | instskip(SKIP_2) | instid1(SALU_CYCLE_1)
	v_or_b32_e32 v9, 0x180, v0
	s_wait_kmcnt 0x0
	s_add_co_i32 s31, s30, -1
	s_cmp_gt_u32 s31, 1
	s_cselect_b32 s33, -1, 0
	v_cmpx_le_i32_e64 s38, v9
	s_xor_b32 s34, exec_lo, s0
	s_cbranch_execz .LBB175_1132
; %bb.1:
	s_clause 0x4
	s_load_b128 s[8:11], s[16:17], 0x4
	s_load_b96 s[0:2], s[16:17], 0x158
	s_load_b64 s[20:21], s[16:17], 0x14
	s_load_b128 s[12:15], s[16:17], 0xc4
	s_load_b128 s[4:7], s[16:17], 0x148
	s_cmp_lg_u32 s30, 0
	s_mov_b32 s19, 0
	s_cselect_b32 s40, -1, 0
	s_min_u32 s39, s31, 15
	s_cmp_gt_u32 s30, 1
	s_add_nc_u64 s[24:25], s[16:17], 0xc4
	s_cselect_b32 s37, -1, 0
	s_mov_b32 s23, s19
	s_mov_b32 s42, s19
	;; [unrolled: 1-line block ×3, first 2 shown]
	s_mov_b32 s43, exec_lo
	s_wait_kmcnt 0x0
	s_mov_b32 s18, s9
	s_bfe_u32 s36, s2, 0x80008
	s_cmp_lg_u32 s0, 0
	s_mov_b32 s22, s20
	s_cselect_b32 s35, -1, 0
	s_lshl_b32 s9, s1, 16
	s_and_b32 s20, s1, 0xffff0000
	v_cmpx_gt_i32_e64 s38, v0
	s_cbranch_execz .LBB175_275
; %bb.2:
	s_and_not1_b32 vcc_lo, exec_lo, s33
	s_cbranch_vccnz .LBB175_8
; %bb.3:
	s_and_not1_b32 vcc_lo, exec_lo, s40
	s_cbranch_vccnz .LBB175_9
; %bb.4:
	s_add_co_i32 s1, s39, 1
	s_cmp_eq_u32 s31, 2
	s_cbranch_scc1 .LBB175_10
; %bb.5:
	v_dual_mov_b32 v2, 0 :: v_dual_mov_b32 v4, 0
	v_mov_b32_e32 v1, v0
	s_and_b32 s0, s1, 28
	s_mov_b32 s41, 0
	s_mov_b64 s[26:27], s[16:17]
	s_mov_b64 s[28:29], s[24:25]
.LBB175_6:                              ; =>This Inner Loop Header: Depth=1
	s_clause 0x1
	s_load_b256 s[44:51], s[26:27], 0x4
	s_load_b128 s[60:63], s[26:27], 0x24
	s_load_b256 s[52:59], s[28:29], 0x0
	s_add_co_i32 s41, s41, 4
	s_wait_xcnt 0x0
	s_add_nc_u64 s[26:27], s[26:27], 48
	s_cmp_lg_u32 s0, s41
	s_add_nc_u64 s[28:29], s[28:29], 32
	s_wait_kmcnt 0x0
	v_mul_hi_u32 v3, s45, v1
	s_delay_alu instid0(VALU_DEP_1) | instskip(NEXT) | instid1(VALU_DEP_1)
	v_add_nc_u32_e32 v3, v1, v3
	v_lshrrev_b32_e32 v3, s46, v3
	s_delay_alu instid0(VALU_DEP_1) | instskip(NEXT) | instid1(VALU_DEP_1)
	v_mul_hi_u32 v5, s48, v3
	v_add_nc_u32_e32 v5, v3, v5
	s_delay_alu instid0(VALU_DEP_1) | instskip(NEXT) | instid1(VALU_DEP_1)
	v_lshrrev_b32_e32 v5, s49, v5
	v_mul_hi_u32 v6, s51, v5
	s_delay_alu instid0(VALU_DEP_1) | instskip(SKIP_1) | instid1(VALU_DEP_1)
	v_add_nc_u32_e32 v6, v5, v6
	v_mul_lo_u32 v7, v3, s44
	v_sub_nc_u32_e32 v1, v1, v7
	v_mul_lo_u32 v7, v5, s47
	s_delay_alu instid0(VALU_DEP_4) | instskip(NEXT) | instid1(VALU_DEP_3)
	v_lshrrev_b32_e32 v6, s60, v6
	v_mad_u32 v4, v1, s53, v4
	v_mad_u32 v1, v1, s52, v2
	s_delay_alu instid0(VALU_DEP_4) | instskip(NEXT) | instid1(VALU_DEP_4)
	v_sub_nc_u32_e32 v2, v3, v7
	v_mul_hi_u32 v8, s62, v6
	v_mul_lo_u32 v3, v6, s50
	s_delay_alu instid0(VALU_DEP_3) | instskip(SKIP_1) | instid1(VALU_DEP_3)
	v_mad_u32 v4, v2, s55, v4
	v_mad_u32 v2, v2, s54, v1
	v_dual_add_nc_u32 v7, v6, v8 :: v_dual_sub_nc_u32 v3, v5, v3
	s_delay_alu instid0(VALU_DEP_1) | instskip(NEXT) | instid1(VALU_DEP_2)
	v_lshrrev_b32_e32 v1, s63, v7
	v_mad_u32 v4, v3, s57, v4
	s_delay_alu instid0(VALU_DEP_4) | instskip(NEXT) | instid1(VALU_DEP_3)
	v_mad_u32 v2, v3, s56, v2
	v_mul_lo_u32 v5, v1, s61
	s_delay_alu instid0(VALU_DEP_1) | instskip(NEXT) | instid1(VALU_DEP_1)
	v_sub_nc_u32_e32 v3, v6, v5
	v_mad_u32 v4, v3, s59, v4
	s_delay_alu instid0(VALU_DEP_4)
	v_mad_u32 v2, v3, s58, v2
	s_cbranch_scc1 .LBB175_6
; %bb.7:
	s_delay_alu instid0(VALU_DEP_2)
	v_mov_b32_e32 v3, v4
	s_and_b32 s28, s1, 3
	s_mov_b32 s1, 0
	s_cmp_eq_u32 s28, 0
	s_cbranch_scc0 .LBB175_11
	s_branch .LBB175_14
.LBB175_8:
                                        ; implicit-def: $vgpr4
                                        ; implicit-def: $vgpr2
	s_branch .LBB175_15
.LBB175_9:
	v_dual_mov_b32 v4, 0 :: v_dual_mov_b32 v2, 0
	s_branch .LBB175_14
.LBB175_10:
	v_mov_b64_e32 v[2:3], 0
	v_mov_b32_e32 v1, v0
	s_mov_b32 s0, 0
                                        ; implicit-def: $vgpr4
	s_and_b32 s28, s1, 3
	s_mov_b32 s1, 0
	s_cmp_eq_u32 s28, 0
	s_cbranch_scc1 .LBB175_14
.LBB175_11:
	s_lshl_b32 s26, s0, 3
	s_mov_b32 s27, s1
	s_mul_u64 s[44:45], s[0:1], 12
	s_add_nc_u64 s[26:27], s[16:17], s[26:27]
	s_delay_alu instid0(SALU_CYCLE_1)
	s_add_nc_u64 s[0:1], s[26:27], 0xc4
	s_add_nc_u64 s[26:27], s[16:17], s[44:45]
.LBB175_12:                             ; =>This Inner Loop Header: Depth=1
	s_load_b96 s[44:46], s[26:27], 0x4
	s_add_co_i32 s28, s28, -1
	s_wait_xcnt 0x0
	s_add_nc_u64 s[26:27], s[26:27], 12
	s_cmp_lg_u32 s28, 0
	s_wait_kmcnt 0x0
	v_mul_hi_u32 v4, s45, v1
	s_delay_alu instid0(VALU_DEP_1) | instskip(NEXT) | instid1(VALU_DEP_1)
	v_add_nc_u32_e32 v4, v1, v4
	v_lshrrev_b32_e32 v4, s46, v4
	s_load_b64 s[46:47], s[0:1], 0x0
	s_wait_xcnt 0x0
	s_add_nc_u64 s[0:1], s[0:1], 8
	s_delay_alu instid0(VALU_DEP_1) | instskip(NEXT) | instid1(VALU_DEP_1)
	v_mul_lo_u32 v5, v4, s44
	v_sub_nc_u32_e32 v1, v1, v5
	s_wait_kmcnt 0x0
	s_delay_alu instid0(VALU_DEP_1)
	v_mad_u32 v3, v1, s47, v3
	v_mad_u32 v2, v1, s46, v2
	v_mov_b32_e32 v1, v4
	s_cbranch_scc1 .LBB175_12
; %bb.13:
	s_delay_alu instid0(VALU_DEP_3)
	v_mov_b32_e32 v4, v3
.LBB175_14:
	s_cbranch_execnz .LBB175_17
.LBB175_15:
	v_mov_b32_e32 v1, 0
	s_and_not1_b32 vcc_lo, exec_lo, s37
	s_delay_alu instid0(VALU_DEP_1) | instskip(NEXT) | instid1(VALU_DEP_1)
	v_mul_u64_e32 v[2:3], s[18:19], v[0:1]
	v_add_nc_u32_e32 v2, v0, v3
	s_delay_alu instid0(VALU_DEP_1) | instskip(NEXT) | instid1(VALU_DEP_1)
	v_lshrrev_b32_e32 v6, s10, v2
	v_mul_lo_u32 v2, v6, s8
	s_delay_alu instid0(VALU_DEP_1) | instskip(NEXT) | instid1(VALU_DEP_1)
	v_sub_nc_u32_e32 v2, v0, v2
	v_mul_lo_u32 v4, v2, s13
	v_mul_lo_u32 v2, v2, s12
	s_cbranch_vccnz .LBB175_17
; %bb.16:
	v_mov_b32_e32 v7, v1
	s_delay_alu instid0(VALU_DEP_1) | instskip(NEXT) | instid1(VALU_DEP_1)
	v_mul_u64_e32 v[8:9], s[22:23], v[6:7]
	v_add_nc_u32_e32 v1, v6, v9
	s_delay_alu instid0(VALU_DEP_1) | instskip(NEXT) | instid1(VALU_DEP_1)
	v_lshrrev_b32_e32 v1, s21, v1
	v_mul_lo_u32 v1, v1, s11
	s_delay_alu instid0(VALU_DEP_1) | instskip(NEXT) | instid1(VALU_DEP_1)
	v_sub_nc_u32_e32 v1, v6, v1
	v_mad_u32 v2, v1, s14, v2
	v_mad_u32 v4, v1, s15, v4
.LBB175_17:
	v_mov_b32_e32 v5, 0
	s_and_b32 s0, 0xffff, s36
	s_delay_alu instid0(SALU_CYCLE_1) | instskip(NEXT) | instid1(VALU_DEP_1)
	s_cmp_lt_i32 s0, 11
	v_add_nc_u64_e32 v[4:5], s[6:7], v[4:5]
	s_cbranch_scc1 .LBB175_24
; %bb.18:
	s_cmp_gt_i32 s0, 25
	s_cbranch_scc0 .LBB175_36
; %bb.19:
	s_cmp_gt_i32 s0, 28
	s_cbranch_scc0 .LBB175_40
	;; [unrolled: 3-line block ×4, first 2 shown]
; %bb.22:
	s_cmp_eq_u32 s0, 46
	s_mov_b32 s27, 0
	s_cbranch_scc0 .LBB175_46
; %bb.23:
	global_load_b32 v1, v[4:5], off
	s_mov_b32 s26, -1
	s_mov_b32 s1, 0
	s_wait_loadcnt 0x0
	v_and_b32_e32 v3, 0xffff0000, v1
	s_branch .LBB175_48
.LBB175_24:
	s_mov_b32 s1, 0
	s_mov_b32 s26, 0
                                        ; implicit-def: $vgpr3
                                        ; implicit-def: $vgpr1
	s_cbranch_execnz .LBB175_223
.LBB175_25:
	s_and_not1_b32 vcc_lo, exec_lo, s26
	s_cbranch_vccnz .LBB175_272
.LBB175_26:
	s_wait_loadcnt 0x0
	s_delay_alu instid0(VALU_DEP_2) | instskip(SKIP_1) | instid1(VALU_DEP_1)
	v_and_b32_e32 v1, 0xffff, v1
	s_and_b32 vcc_lo, exec_lo, s35
	v_or_b32_e32 v1, v3, v1
	v_and_b32_e32 v3, 0xffff0000, v3
	s_delay_alu instid0(VALU_DEP_2)
	v_lshlrev_b32_e32 v1, 16, v1
	s_cbranch_vccz .LBB175_39
; %bb.27:
	s_delay_alu instid0(VALU_DEP_1) | instskip(NEXT) | instid1(VALU_DEP_3)
	v_cmp_neq_f32_e32 vcc_lo, s9, v1
	v_cmp_neq_f32_e64 s0, s20, v3
	s_or_b32 s26, vcc_lo, s0
	s_cbranch_execnz .LBB175_29
.LBB175_28:
	s_delay_alu instid0(VALU_DEP_1) | instskip(SKIP_3) | instid1(SALU_CYCLE_1)
	v_cmp_eq_f32_e32 vcc_lo, s9, v1
	v_cmp_eq_f32_e64 s0, s20, v3
	s_and_not1_b32 s26, s26, exec_lo
	s_and_b32 s0, vcc_lo, s0
	s_and_b32 s0, s0, exec_lo
	s_delay_alu instid0(SALU_CYCLE_1)
	s_or_b32 s26, s26, s0
.LBB175_29:
	v_mov_b32_e32 v3, 0
	s_and_b32 s27, s2, 0xff
	s_delay_alu instid0(SALU_CYCLE_1) | instskip(NEXT) | instid1(VALU_DEP_1)
	s_cmp_lt_i32 s27, 11
	v_add_nc_u64_e32 v[2:3], s[4:5], v[2:3]
	s_cbranch_scc1 .LBB175_37
; %bb.30:
	s_and_b32 s28, 0xffff, s27
	s_delay_alu instid0(SALU_CYCLE_1)
	s_cmp_gt_i32 s28, 25
	s_cbranch_scc0 .LBB175_41
; %bb.31:
	s_cmp_gt_i32 s28, 28
	s_cbranch_scc0 .LBB175_43
; %bb.32:
	;; [unrolled: 3-line block ×4, first 2 shown]
	s_mov_b32 s41, 0
	s_mov_b32 s0, -1
	s_cmp_eq_u32 s28, 46
	s_mov_b32 s29, 0
	s_cbranch_scc0 .LBB175_52
; %bb.35:
	v_cndmask_b32_e64 v1, 0, 1.0, s26
	s_mov_b32 s29, -1
	s_mov_b32 s0, 0
	s_delay_alu instid0(VALU_DEP_1) | instskip(NEXT) | instid1(VALU_DEP_1)
	v_bfe_u32 v4, v1, 16, 1
	v_add3_u32 v1, v1, v4, 0x7fff
	s_delay_alu instid0(VALU_DEP_1)
	v_lshrrev_b32_e32 v1, 16, v1
	global_store_b32 v[2:3], v1, off
	s_branch .LBB175_52
.LBB175_36:
	s_mov_b32 s1, 0
	s_mov_b32 s26, 0
                                        ; implicit-def: $vgpr3
                                        ; implicit-def: $vgpr1
	s_cbranch_execnz .LBB175_188
	s_branch .LBB175_222
.LBB175_37:
	s_mov_b32 s0, 0
	s_mov_b32 s29, 0
	s_cbranch_execnz .LBB175_121
.LBB175_38:
	s_and_not1_b32 vcc_lo, exec_lo, s29
	s_cbranch_vccz .LBB175_159
	s_branch .LBB175_273
.LBB175_39:
                                        ; implicit-def: $sgpr26
	s_branch .LBB175_28
.LBB175_40:
	s_mov_b32 s27, -1
	s_mov_b32 s1, 0
	s_mov_b32 s26, 0
                                        ; implicit-def: $vgpr3
                                        ; implicit-def: $vgpr1
	s_branch .LBB175_169
.LBB175_41:
	s_mov_b32 s41, -1
	s_mov_b32 s0, 0
	s_mov_b32 s29, 0
	s_branch .LBB175_79
.LBB175_42:
	s_mov_b32 s27, -1
	s_mov_b32 s1, 0
	s_mov_b32 s26, 0
                                        ; implicit-def: $vgpr3
                                        ; implicit-def: $vgpr1
	s_branch .LBB175_163
.LBB175_43:
	s_mov_b32 s41, -1
	s_mov_b32 s0, 0
	s_mov_b32 s29, 0
	s_branch .LBB175_62
.LBB175_44:
	s_mov_b32 s27, -1
	s_mov_b32 s1, 0
	s_branch .LBB175_47
.LBB175_45:
	s_mov_b32 s41, -1
	s_mov_b32 s0, 0
	s_mov_b32 s29, 0
	s_branch .LBB175_58
.LBB175_46:
	s_mov_b32 s1, -1
.LBB175_47:
	s_mov_b32 s26, 0
                                        ; implicit-def: $vgpr3
                                        ; implicit-def: $vgpr1
.LBB175_48:
	s_and_b32 vcc_lo, exec_lo, s27
	s_cbranch_vccz .LBB175_162
; %bb.49:
	s_cmp_eq_u32 s0, 44
	s_cbranch_scc0 .LBB175_160
; %bb.50:
	global_load_u8 v1, v[4:5], off
	s_mov_b32 s1, 0
	s_mov_b32 s26, -1
	s_wait_loadcnt 0x0
	v_lshlrev_b32_e32 v3, 23, v1
	v_cmp_ne_u32_e32 vcc_lo, 0xff, v1
	s_delay_alu instid0(VALU_DEP_2) | instskip(SKIP_1) | instid1(VALU_DEP_2)
	v_cndmask_b32_e32 v3, 0x7f800001, v3, vcc_lo
	v_cmp_ne_u32_e32 vcc_lo, 0, v1
	v_cndmask_b32_e32 v1, 0x400000, v3, vcc_lo
	s_delay_alu instid0(VALU_DEP_1) | instskip(SKIP_1) | instid1(VALU_DEP_2)
	v_add_nc_u32_e32 v3, 0x7fff, v1
	v_cmp_o_f32_e32 vcc_lo, v1, v1
	v_lshrrev_b32_e32 v3, 16, v3
	s_delay_alu instid0(VALU_DEP_1)
	v_cndmask_b32_e32 v1, 0x7fc0, v3, vcc_lo
	s_branch .LBB175_161
.LBB175_51:
	s_mov_b32 s41, -1
	s_mov_b32 s0, 0
	s_mov_b32 s29, 0
.LBB175_52:
	s_and_b32 vcc_lo, exec_lo, s41
	s_cbranch_vccz .LBB175_57
; %bb.53:
	s_cmp_eq_u32 s28, 44
	s_mov_b32 s0, -1
	s_cbranch_scc0 .LBB175_57
; %bb.54:
	v_cndmask_b32_e64 v5, 0, 1.0, s26
	s_mov_b32 s29, exec_lo
	s_wait_xcnt 0x0
	s_delay_alu instid0(VALU_DEP_1) | instskip(NEXT) | instid1(VALU_DEP_1)
	v_dual_mov_b32 v4, 0xff :: v_dual_lshrrev_b32 v1, 23, v5
	v_cmpx_ne_u32_e32 0xff, v1
; %bb.55:
	v_and_b32_e32 v4, 0x400000, v5
	v_and_or_b32 v5, 0x3fffff, v5, v1
	s_delay_alu instid0(VALU_DEP_2) | instskip(NEXT) | instid1(VALU_DEP_2)
	v_cmp_ne_u32_e32 vcc_lo, 0, v4
	v_cmp_ne_u32_e64 s0, 0, v5
	s_and_b32 s0, vcc_lo, s0
	s_delay_alu instid0(SALU_CYCLE_1) | instskip(NEXT) | instid1(VALU_DEP_1)
	v_cndmask_b32_e64 v4, 0, 1, s0
	v_add_nc_u32_e32 v4, v1, v4
; %bb.56:
	s_or_b32 exec_lo, exec_lo, s29
	s_mov_b32 s29, -1
	s_mov_b32 s0, 0
	global_store_b8 v[2:3], v4, off
.LBB175_57:
	s_mov_b32 s41, 0
.LBB175_58:
	s_delay_alu instid0(SALU_CYCLE_1)
	s_and_b32 vcc_lo, exec_lo, s41
	s_cbranch_vccz .LBB175_61
; %bb.59:
	s_cmp_eq_u32 s28, 29
	s_mov_b32 s0, -1
	s_cbranch_scc0 .LBB175_61
; %bb.60:
	s_mov_b32 s0, 0
	s_wait_xcnt 0x0
	v_cndmask_b32_e64 v4, 0, 1, s26
	v_mov_b32_e32 v5, s0
	s_mov_b32 s29, -1
	s_mov_b32 s41, 0
	global_store_b64 v[2:3], v[4:5], off
	s_branch .LBB175_62
.LBB175_61:
	s_mov_b32 s41, 0
.LBB175_62:
	s_delay_alu instid0(SALU_CYCLE_1)
	s_and_b32 vcc_lo, exec_lo, s41
	s_cbranch_vccz .LBB175_78
; %bb.63:
	s_cmp_lt_i32 s28, 27
	s_mov_b32 s29, -1
	s_cbranch_scc1 .LBB175_69
; %bb.64:
	s_cmp_gt_i32 s28, 27
	s_cbranch_scc0 .LBB175_66
; %bb.65:
	s_wait_xcnt 0x0
	v_cndmask_b32_e64 v1, 0, 1, s26
	s_mov_b32 s29, 0
	global_store_b32 v[2:3], v1, off
.LBB175_66:
	s_and_not1_b32 vcc_lo, exec_lo, s29
	s_cbranch_vccnz .LBB175_68
; %bb.67:
	s_wait_xcnt 0x0
	v_cndmask_b32_e64 v1, 0, 1, s26
	global_store_b16 v[2:3], v1, off
.LBB175_68:
	s_mov_b32 s29, 0
.LBB175_69:
	s_delay_alu instid0(SALU_CYCLE_1)
	s_and_not1_b32 vcc_lo, exec_lo, s29
	s_cbranch_vccnz .LBB175_77
; %bb.70:
	s_wait_xcnt 0x0
	v_cndmask_b32_e64 v4, 0, 1.0, s26
	v_mov_b32_e32 v5, 0x80
	s_mov_b32 s29, exec_lo
	s_delay_alu instid0(VALU_DEP_2)
	v_cmpx_gt_u32_e32 0x43800000, v4
	s_cbranch_execz .LBB175_76
; %bb.71:
	s_mov_b32 s41, 0
	s_mov_b32 s42, exec_lo
                                        ; implicit-def: $vgpr1
	v_cmpx_lt_u32_e32 0x3bffffff, v4
	s_xor_b32 s42, exec_lo, s42
	s_cbranch_execz .LBB175_322
; %bb.72:
	v_bfe_u32 v1, v4, 20, 1
	s_mov_b32 s41, exec_lo
	s_delay_alu instid0(VALU_DEP_1) | instskip(NEXT) | instid1(VALU_DEP_1)
	v_add3_u32 v1, v4, v1, 0x487ffff
                                        ; implicit-def: $vgpr4
	v_lshrrev_b32_e32 v1, 20, v1
	s_and_not1_saveexec_b32 s42, s42
	s_cbranch_execnz .LBB175_323
.LBB175_73:
	s_or_b32 exec_lo, exec_lo, s42
	v_mov_b32_e32 v5, 0
	s_and_saveexec_b32 s42, s41
.LBB175_74:
	v_mov_b32_e32 v5, v1
.LBB175_75:
	s_or_b32 exec_lo, exec_lo, s42
.LBB175_76:
	s_delay_alu instid0(SALU_CYCLE_1)
	s_or_b32 exec_lo, exec_lo, s29
	global_store_b8 v[2:3], v5, off
.LBB175_77:
	s_mov_b32 s29, -1
.LBB175_78:
	s_mov_b32 s41, 0
.LBB175_79:
	s_delay_alu instid0(SALU_CYCLE_1)
	s_and_b32 vcc_lo, exec_lo, s41
	s_cbranch_vccz .LBB175_120
; %bb.80:
	s_cmp_gt_i32 s28, 22
	s_mov_b32 s41, -1
	s_cbranch_scc0 .LBB175_112
; %bb.81:
	s_cmp_lt_i32 s28, 24
	s_mov_b32 s29, -1
	s_cbranch_scc1 .LBB175_101
; %bb.82:
	s_cmp_gt_i32 s28, 24
	s_cbranch_scc0 .LBB175_90
; %bb.83:
	s_wait_xcnt 0x0
	v_cndmask_b32_e64 v4, 0, 1.0, s26
	v_mov_b32_e32 v5, 0x80
	s_mov_b32 s29, exec_lo
	s_delay_alu instid0(VALU_DEP_2)
	v_cmpx_gt_u32_e32 0x47800000, v4
	s_cbranch_execz .LBB175_89
; %bb.84:
	s_mov_b32 s41, 0
	s_mov_b32 s42, exec_lo
                                        ; implicit-def: $vgpr1
	v_cmpx_lt_u32_e32 0x37ffffff, v4
	s_xor_b32 s42, exec_lo, s42
	s_cbranch_execz .LBB175_326
; %bb.85:
	v_bfe_u32 v1, v4, 21, 1
	s_mov_b32 s41, exec_lo
	s_delay_alu instid0(VALU_DEP_1) | instskip(NEXT) | instid1(VALU_DEP_1)
	v_add3_u32 v1, v4, v1, 0x88fffff
                                        ; implicit-def: $vgpr4
	v_lshrrev_b32_e32 v1, 21, v1
	s_and_not1_saveexec_b32 s42, s42
	s_cbranch_execnz .LBB175_327
.LBB175_86:
	s_or_b32 exec_lo, exec_lo, s42
	v_mov_b32_e32 v5, 0
	s_and_saveexec_b32 s42, s41
.LBB175_87:
	v_mov_b32_e32 v5, v1
.LBB175_88:
	s_or_b32 exec_lo, exec_lo, s42
.LBB175_89:
	s_delay_alu instid0(SALU_CYCLE_1)
	s_or_b32 exec_lo, exec_lo, s29
	s_mov_b32 s29, 0
	global_store_b8 v[2:3], v5, off
.LBB175_90:
	s_and_b32 vcc_lo, exec_lo, s29
	s_cbranch_vccz .LBB175_100
; %bb.91:
	s_wait_xcnt 0x0
	v_cndmask_b32_e64 v4, 0, 1.0, s26
	s_mov_b32 s29, exec_lo
                                        ; implicit-def: $vgpr1
	s_delay_alu instid0(VALU_DEP_1)
	v_cmpx_gt_u32_e32 0x43f00000, v4
	s_xor_b32 s29, exec_lo, s29
	s_cbranch_execz .LBB175_97
; %bb.92:
	s_mov_b32 s41, exec_lo
                                        ; implicit-def: $vgpr1
	v_cmpx_lt_u32_e32 0x3c7fffff, v4
	s_xor_b32 s41, exec_lo, s41
; %bb.93:
	v_bfe_u32 v1, v4, 20, 1
	s_delay_alu instid0(VALU_DEP_1) | instskip(NEXT) | instid1(VALU_DEP_1)
	v_add3_u32 v1, v4, v1, 0x407ffff
	v_and_b32_e32 v4, 0xff00000, v1
	v_lshrrev_b32_e32 v1, 20, v1
	s_delay_alu instid0(VALU_DEP_2) | instskip(NEXT) | instid1(VALU_DEP_2)
	v_cmp_ne_u32_e32 vcc_lo, 0x7f00000, v4
                                        ; implicit-def: $vgpr4
	v_cndmask_b32_e32 v1, 0x7e, v1, vcc_lo
; %bb.94:
	s_and_not1_saveexec_b32 s41, s41
; %bb.95:
	v_add_f32_e32 v1, 0x46800000, v4
; %bb.96:
	s_or_b32 exec_lo, exec_lo, s41
                                        ; implicit-def: $vgpr4
.LBB175_97:
	s_and_not1_saveexec_b32 s29, s29
; %bb.98:
	v_mov_b32_e32 v1, 0x7f
	v_cmp_lt_u32_e32 vcc_lo, 0x7f800000, v4
	s_delay_alu instid0(VALU_DEP_2)
	v_cndmask_b32_e32 v1, 0x7e, v1, vcc_lo
; %bb.99:
	s_or_b32 exec_lo, exec_lo, s29
	global_store_b8 v[2:3], v1, off
.LBB175_100:
	s_mov_b32 s29, 0
.LBB175_101:
	s_delay_alu instid0(SALU_CYCLE_1)
	s_and_not1_b32 vcc_lo, exec_lo, s29
	s_cbranch_vccnz .LBB175_111
; %bb.102:
	s_wait_xcnt 0x0
	v_cndmask_b32_e64 v4, 0, 1.0, s26
	s_mov_b32 s29, exec_lo
                                        ; implicit-def: $vgpr1
	s_delay_alu instid0(VALU_DEP_1)
	v_cmpx_gt_u32_e32 0x47800000, v4
	s_xor_b32 s29, exec_lo, s29
	s_cbranch_execz .LBB175_108
; %bb.103:
	s_mov_b32 s41, exec_lo
                                        ; implicit-def: $vgpr1
	v_cmpx_lt_u32_e32 0x387fffff, v4
	s_xor_b32 s41, exec_lo, s41
; %bb.104:
	v_bfe_u32 v1, v4, 21, 1
	s_delay_alu instid0(VALU_DEP_1) | instskip(NEXT) | instid1(VALU_DEP_1)
	v_add3_u32 v1, v4, v1, 0x80fffff
                                        ; implicit-def: $vgpr4
	v_lshrrev_b32_e32 v1, 21, v1
; %bb.105:
	s_and_not1_saveexec_b32 s41, s41
; %bb.106:
	v_add_f32_e32 v1, 0x43000000, v4
; %bb.107:
	s_or_b32 exec_lo, exec_lo, s41
                                        ; implicit-def: $vgpr4
.LBB175_108:
	s_and_not1_saveexec_b32 s29, s29
; %bb.109:
	v_mov_b32_e32 v1, 0x7f
	v_cmp_lt_u32_e32 vcc_lo, 0x7f800000, v4
	s_delay_alu instid0(VALU_DEP_2)
	v_cndmask_b32_e32 v1, 0x7c, v1, vcc_lo
; %bb.110:
	s_or_b32 exec_lo, exec_lo, s29
	global_store_b8 v[2:3], v1, off
.LBB175_111:
	s_mov_b32 s41, 0
	s_mov_b32 s29, -1
.LBB175_112:
	s_and_not1_b32 vcc_lo, exec_lo, s41
	s_cbranch_vccnz .LBB175_120
; %bb.113:
	s_cmp_gt_i32 s28, 14
	s_mov_b32 s41, -1
	s_cbranch_scc0 .LBB175_117
; %bb.114:
	s_cmp_eq_u32 s28, 15
	s_mov_b32 s0, -1
	s_cbranch_scc0 .LBB175_116
; %bb.115:
	s_wait_xcnt 0x0
	v_cndmask_b32_e64 v1, 0, 1.0, s26
	s_mov_b32 s29, -1
	s_mov_b32 s0, 0
	s_delay_alu instid0(VALU_DEP_1) | instskip(NEXT) | instid1(VALU_DEP_1)
	v_bfe_u32 v4, v1, 16, 1
	v_add3_u32 v1, v1, v4, 0x7fff
	global_store_d16_hi_b16 v[2:3], v1, off
.LBB175_116:
	s_mov_b32 s41, 0
.LBB175_117:
	s_delay_alu instid0(SALU_CYCLE_1)
	s_and_b32 vcc_lo, exec_lo, s41
	s_cbranch_vccz .LBB175_120
; %bb.118:
	s_cmp_eq_u32 s28, 11
	s_mov_b32 s0, -1
	s_cbranch_scc0 .LBB175_120
; %bb.119:
	s_wait_xcnt 0x0
	v_cndmask_b32_e64 v1, 0, 1, s26
	s_mov_b32 s29, -1
	s_mov_b32 s0, 0
	global_store_b8 v[2:3], v1, off
.LBB175_120:
	s_branch .LBB175_38
.LBB175_121:
	s_and_b32 s27, 0xffff, s27
	s_mov_b32 s28, -1
	s_cmp_lt_i32 s27, 5
	s_cbranch_scc1 .LBB175_142
; %bb.122:
	s_cmp_lt_i32 s27, 8
	s_cbranch_scc1 .LBB175_132
; %bb.123:
	;; [unrolled: 3-line block ×3, first 2 shown]
	s_cmp_gt_i32 s27, 9
	s_cbranch_scc0 .LBB175_126
; %bb.125:
	s_wait_xcnt 0x0
	v_cndmask_b32_e64 v1, 0, 1, s26
	v_mov_b32_e32 v6, 0
	s_mov_b32 s28, 0
	s_delay_alu instid0(VALU_DEP_2) | instskip(NEXT) | instid1(VALU_DEP_2)
	v_cvt_f64_u32_e32 v[4:5], v1
	v_mov_b32_e32 v7, v6
	global_store_b128 v[2:3], v[4:7], off
.LBB175_126:
	s_and_not1_b32 vcc_lo, exec_lo, s28
	s_cbranch_vccnz .LBB175_128
; %bb.127:
	s_wait_xcnt 0x0
	v_cndmask_b32_e64 v4, 0, 1.0, s26
	v_mov_b32_e32 v5, 0
	global_store_b64 v[2:3], v[4:5], off
.LBB175_128:
	s_mov_b32 s28, 0
.LBB175_129:
	s_delay_alu instid0(SALU_CYCLE_1)
	s_and_not1_b32 vcc_lo, exec_lo, s28
	s_cbranch_vccnz .LBB175_131
; %bb.130:
	s_wait_xcnt 0x0
	v_cndmask_b32_e64 v1, 0, 1.0, s26
	s_delay_alu instid0(VALU_DEP_1) | instskip(NEXT) | instid1(VALU_DEP_1)
	v_cvt_f16_f32_e32 v1, v1
	v_and_b32_e32 v1, 0xffff, v1
	global_store_b32 v[2:3], v1, off
.LBB175_131:
	s_mov_b32 s28, 0
.LBB175_132:
	s_delay_alu instid0(SALU_CYCLE_1)
	s_and_not1_b32 vcc_lo, exec_lo, s28
	s_cbranch_vccnz .LBB175_141
; %bb.133:
	s_cmp_lt_i32 s27, 6
	s_mov_b32 s28, -1
	s_cbranch_scc1 .LBB175_139
; %bb.134:
	s_cmp_gt_i32 s27, 6
	s_cbranch_scc0 .LBB175_136
; %bb.135:
	s_wait_xcnt 0x0
	v_cndmask_b32_e64 v1, 0, 1, s26
	s_mov_b32 s28, 0
	s_delay_alu instid0(VALU_DEP_1)
	v_cvt_f64_u32_e32 v[4:5], v1
	global_store_b64 v[2:3], v[4:5], off
.LBB175_136:
	s_and_not1_b32 vcc_lo, exec_lo, s28
	s_cbranch_vccnz .LBB175_138
; %bb.137:
	s_wait_xcnt 0x0
	v_cndmask_b32_e64 v1, 0, 1.0, s26
	global_store_b32 v[2:3], v1, off
.LBB175_138:
	s_mov_b32 s28, 0
.LBB175_139:
	s_delay_alu instid0(SALU_CYCLE_1)
	s_and_not1_b32 vcc_lo, exec_lo, s28
	s_cbranch_vccnz .LBB175_141
; %bb.140:
	s_wait_xcnt 0x0
	v_cndmask_b32_e64 v1, 0, 1.0, s26
	s_delay_alu instid0(VALU_DEP_1)
	v_cvt_f16_f32_e32 v1, v1
	global_store_b16 v[2:3], v1, off
.LBB175_141:
	s_mov_b32 s28, 0
.LBB175_142:
	s_delay_alu instid0(SALU_CYCLE_1)
	s_and_not1_b32 vcc_lo, exec_lo, s28
	s_cbranch_vccnz .LBB175_158
; %bb.143:
	s_cmp_lt_i32 s27, 2
	s_mov_b32 s28, -1
	s_cbranch_scc1 .LBB175_153
; %bb.144:
	s_cmp_lt_i32 s27, 3
	s_cbranch_scc1 .LBB175_150
; %bb.145:
	s_cmp_gt_i32 s27, 3
	s_cbranch_scc0 .LBB175_147
; %bb.146:
	s_mov_b32 s28, 0
	s_wait_xcnt 0x0
	v_cndmask_b32_e64 v4, 0, 1, s26
	v_mov_b32_e32 v5, s28
	global_store_b64 v[2:3], v[4:5], off
.LBB175_147:
	s_and_not1_b32 vcc_lo, exec_lo, s28
	s_cbranch_vccnz .LBB175_149
; %bb.148:
	s_wait_xcnt 0x0
	v_cndmask_b32_e64 v1, 0, 1, s26
	global_store_b32 v[2:3], v1, off
.LBB175_149:
	s_mov_b32 s28, 0
.LBB175_150:
	s_delay_alu instid0(SALU_CYCLE_1)
	s_and_not1_b32 vcc_lo, exec_lo, s28
	s_cbranch_vccnz .LBB175_152
; %bb.151:
	s_wait_xcnt 0x0
	v_cndmask_b32_e64 v1, 0, 1, s26
	global_store_b16 v[2:3], v1, off
.LBB175_152:
	s_mov_b32 s28, 0
.LBB175_153:
	s_delay_alu instid0(SALU_CYCLE_1)
	s_and_not1_b32 vcc_lo, exec_lo, s28
	s_cbranch_vccnz .LBB175_158
; %bb.154:
	s_cmp_gt_i32 s27, 0
	s_mov_b32 s27, -1
	s_cbranch_scc0 .LBB175_156
; %bb.155:
	s_wait_xcnt 0x0
	v_cndmask_b32_e64 v1, 0, 1, s26
	s_mov_b32 s27, 0
	global_store_b8 v[2:3], v1, off
.LBB175_156:
	s_and_not1_b32 vcc_lo, exec_lo, s27
	s_cbranch_vccnz .LBB175_158
; %bb.157:
	s_wait_xcnt 0x0
	v_cndmask_b32_e64 v1, 0, 1, s26
	global_store_b8 v[2:3], v1, off
.LBB175_158:
.LBB175_159:
	v_add_nc_u32_e32 v0, 0x80, v0
	s_mov_b32 s26, -1
	s_branch .LBB175_274
.LBB175_160:
	s_mov_b32 s1, -1
                                        ; implicit-def: $vgpr1
.LBB175_161:
	v_mov_b32_e32 v3, 0
.LBB175_162:
	s_mov_b32 s27, 0
.LBB175_163:
	s_delay_alu instid0(SALU_CYCLE_1)
	s_and_b32 vcc_lo, exec_lo, s27
	s_cbranch_vccz .LBB175_168
; %bb.164:
	s_cmp_eq_u32 s0, 29
	s_cbranch_scc0 .LBB175_166
; %bb.165:
	global_load_b64 v[6:7], v[4:5], off
	s_mov_b32 s26, -1
	s_mov_b32 s1, 0
	s_wait_loadcnt 0x0
	v_clz_i32_u32_e32 v1, v7
	s_delay_alu instid0(VALU_DEP_1) | instskip(NEXT) | instid1(VALU_DEP_1)
	v_min_u32_e32 v1, 32, v1
	v_lshlrev_b64_e32 v[6:7], v1, v[6:7]
	v_sub_nc_u32_e32 v1, 32, v1
	s_delay_alu instid0(VALU_DEP_2) | instskip(NEXT) | instid1(VALU_DEP_1)
	v_min_u32_e32 v3, 1, v6
	v_or_b32_e32 v3, v7, v3
	s_delay_alu instid0(VALU_DEP_1) | instskip(NEXT) | instid1(VALU_DEP_1)
	v_cvt_f32_u32_e32 v3, v3
	v_ldexp_f32 v1, v3, v1
	s_delay_alu instid0(VALU_DEP_1) | instskip(NEXT) | instid1(VALU_DEP_1)
	v_bfe_u32 v3, v1, 16, 1
	v_add3_u32 v1, v1, v3, 0x7fff
	s_delay_alu instid0(VALU_DEP_1)
	v_lshrrev_b32_e32 v1, 16, v1
	s_branch .LBB175_167
.LBB175_166:
	s_mov_b32 s1, -1
                                        ; implicit-def: $vgpr1
.LBB175_167:
	v_mov_b32_e32 v3, 0
.LBB175_168:
	s_mov_b32 s27, 0
.LBB175_169:
	s_delay_alu instid0(SALU_CYCLE_1)
	s_and_b32 vcc_lo, exec_lo, s27
	s_cbranch_vccz .LBB175_187
; %bb.170:
	s_cmp_lt_i32 s0, 27
	s_cbranch_scc1 .LBB175_173
; %bb.171:
	s_cmp_gt_i32 s0, 27
	s_cbranch_scc0 .LBB175_174
; %bb.172:
	global_load_b32 v1, v[4:5], off
	s_mov_b32 s26, 0
	s_wait_loadcnt 0x0
	v_cvt_f32_u32_e32 v1, v1
	s_delay_alu instid0(VALU_DEP_1) | instskip(NEXT) | instid1(VALU_DEP_1)
	v_bfe_u32 v3, v1, 16, 1
	v_add3_u32 v1, v1, v3, 0x7fff
	s_delay_alu instid0(VALU_DEP_1)
	v_lshrrev_b32_e32 v1, 16, v1
	s_branch .LBB175_175
.LBB175_173:
	s_mov_b32 s26, -1
                                        ; implicit-def: $vgpr1
	s_branch .LBB175_178
.LBB175_174:
	s_mov_b32 s26, -1
                                        ; implicit-def: $vgpr1
.LBB175_175:
	s_delay_alu instid0(SALU_CYCLE_1)
	s_and_not1_b32 vcc_lo, exec_lo, s26
	s_cbranch_vccnz .LBB175_177
; %bb.176:
	global_load_u16 v1, v[4:5], off
	s_wait_loadcnt 0x0
	v_cvt_f32_u32_e32 v1, v1
	s_delay_alu instid0(VALU_DEP_1) | instskip(NEXT) | instid1(VALU_DEP_1)
	v_bfe_u32 v3, v1, 16, 1
	v_add3_u32 v1, v1, v3, 0x7fff
	s_delay_alu instid0(VALU_DEP_1)
	v_lshrrev_b32_e32 v1, 16, v1
.LBB175_177:
	s_mov_b32 s26, 0
.LBB175_178:
	s_delay_alu instid0(SALU_CYCLE_1)
	s_and_not1_b32 vcc_lo, exec_lo, s26
	s_cbranch_vccnz .LBB175_186
; %bb.179:
	global_load_u8 v1, v[4:5], off
	s_mov_b32 s26, 0
	s_mov_b32 s27, exec_lo
	s_wait_loadcnt 0x0
	v_cmpx_lt_i16_e32 0x7f, v1
	s_xor_b32 s27, exec_lo, s27
	s_cbranch_execz .LBB175_199
; %bb.180:
	s_mov_b32 s26, -1
	s_mov_b32 s28, exec_lo
	v_cmpx_eq_u16_e32 0x80, v1
; %bb.181:
	s_xor_b32 s26, exec_lo, -1
; %bb.182:
	s_or_b32 exec_lo, exec_lo, s28
	s_delay_alu instid0(SALU_CYCLE_1)
	s_and_b32 s26, s26, exec_lo
	s_or_saveexec_b32 s27, s27
	v_mov_b32_e32 v3, 0x7f800001
	s_xor_b32 exec_lo, exec_lo, s27
	s_cbranch_execnz .LBB175_200
.LBB175_183:
	s_or_b32 exec_lo, exec_lo, s27
	s_and_saveexec_b32 s27, s26
	s_cbranch_execz .LBB175_185
.LBB175_184:
	v_and_b32_e32 v3, 0xffff, v1
	s_delay_alu instid0(VALU_DEP_1) | instskip(SKIP_1) | instid1(VALU_DEP_2)
	v_dual_lshlrev_b32 v1, 24, v1 :: v_dual_bitop2_b32 v6, 7, v3 bitop3:0x40
	v_bfe_u32 v9, v3, 3, 4
	v_and_b32_e32 v1, 0x80000000, v1
	s_delay_alu instid0(VALU_DEP_3) | instskip(NEXT) | instid1(VALU_DEP_3)
	v_clz_i32_u32_e32 v7, v6
	v_cmp_eq_u32_e32 vcc_lo, 0, v9
	s_delay_alu instid0(VALU_DEP_2) | instskip(NEXT) | instid1(VALU_DEP_1)
	v_min_u32_e32 v7, 32, v7
	v_subrev_nc_u32_e32 v8, 28, v7
	v_sub_nc_u32_e32 v7, 29, v7
	s_delay_alu instid0(VALU_DEP_2) | instskip(NEXT) | instid1(VALU_DEP_2)
	v_lshlrev_b32_e32 v3, v8, v3
	v_cndmask_b32_e32 v7, v9, v7, vcc_lo
	s_delay_alu instid0(VALU_DEP_2) | instskip(NEXT) | instid1(VALU_DEP_1)
	v_and_b32_e32 v3, 7, v3
	v_cndmask_b32_e32 v3, v6, v3, vcc_lo
	s_delay_alu instid0(VALU_DEP_3) | instskip(NEXT) | instid1(VALU_DEP_2)
	v_lshl_add_u32 v6, v7, 23, 0x3b800000
	v_lshlrev_b32_e32 v3, 20, v3
	s_delay_alu instid0(VALU_DEP_1)
	v_or3_b32 v3, v1, v6, v3
.LBB175_185:
	s_or_b32 exec_lo, exec_lo, s27
	s_delay_alu instid0(VALU_DEP_1) | instskip(SKIP_1) | instid1(VALU_DEP_2)
	v_bfe_u32 v1, v3, 16, 1
	v_cmp_o_f32_e32 vcc_lo, v3, v3
	v_add3_u32 v1, v3, v1, 0x7fff
	s_delay_alu instid0(VALU_DEP_1) | instskip(NEXT) | instid1(VALU_DEP_1)
	v_lshrrev_b32_e32 v1, 16, v1
	v_cndmask_b32_e32 v1, 0x7fc0, v1, vcc_lo
.LBB175_186:
	v_mov_b32_e32 v3, 0
	s_mov_b32 s26, -1
.LBB175_187:
	s_branch .LBB175_222
.LBB175_188:
	s_cmp_gt_i32 s0, 22
	s_cbranch_scc0 .LBB175_198
; %bb.189:
	s_cmp_lt_i32 s0, 24
	s_cbranch_scc1 .LBB175_201
; %bb.190:
	s_cmp_gt_i32 s0, 24
	s_cbranch_scc0 .LBB175_202
; %bb.191:
	global_load_u8 v1, v[4:5], off
	s_mov_b32 s26, 0
	s_mov_b32 s27, exec_lo
	s_wait_loadcnt 0x0
	v_cmpx_lt_i16_e32 0x7f, v1
	s_xor_b32 s27, exec_lo, s27
	s_cbranch_execz .LBB175_213
; %bb.192:
	s_mov_b32 s26, -1
	s_mov_b32 s28, exec_lo
	v_cmpx_eq_u16_e32 0x80, v1
; %bb.193:
	s_xor_b32 s26, exec_lo, -1
; %bb.194:
	s_or_b32 exec_lo, exec_lo, s28
	s_delay_alu instid0(SALU_CYCLE_1)
	s_and_b32 s26, s26, exec_lo
	s_or_saveexec_b32 s27, s27
	v_mov_b32_e32 v3, 0x7f800001
	s_xor_b32 exec_lo, exec_lo, s27
	s_cbranch_execnz .LBB175_214
.LBB175_195:
	s_or_b32 exec_lo, exec_lo, s27
	s_and_saveexec_b32 s27, s26
	s_cbranch_execz .LBB175_197
.LBB175_196:
	v_and_b32_e32 v3, 0xffff, v1
	s_delay_alu instid0(VALU_DEP_1) | instskip(SKIP_1) | instid1(VALU_DEP_2)
	v_dual_lshlrev_b32 v1, 24, v1 :: v_dual_bitop2_b32 v6, 3, v3 bitop3:0x40
	v_bfe_u32 v9, v3, 2, 5
	v_and_b32_e32 v1, 0x80000000, v1
	s_delay_alu instid0(VALU_DEP_3) | instskip(NEXT) | instid1(VALU_DEP_3)
	v_clz_i32_u32_e32 v7, v6
	v_cmp_eq_u32_e32 vcc_lo, 0, v9
	s_delay_alu instid0(VALU_DEP_2) | instskip(NEXT) | instid1(VALU_DEP_1)
	v_min_u32_e32 v7, 32, v7
	v_subrev_nc_u32_e32 v8, 29, v7
	v_sub_nc_u32_e32 v7, 30, v7
	s_delay_alu instid0(VALU_DEP_2) | instskip(NEXT) | instid1(VALU_DEP_2)
	v_lshlrev_b32_e32 v3, v8, v3
	v_cndmask_b32_e32 v7, v9, v7, vcc_lo
	s_delay_alu instid0(VALU_DEP_2) | instskip(NEXT) | instid1(VALU_DEP_1)
	v_and_b32_e32 v3, 3, v3
	v_cndmask_b32_e32 v3, v6, v3, vcc_lo
	s_delay_alu instid0(VALU_DEP_3) | instskip(NEXT) | instid1(VALU_DEP_2)
	v_lshl_add_u32 v6, v7, 23, 0x37800000
	v_lshlrev_b32_e32 v3, 21, v3
	s_delay_alu instid0(VALU_DEP_1)
	v_or3_b32 v3, v1, v6, v3
.LBB175_197:
	s_or_b32 exec_lo, exec_lo, s27
	s_delay_alu instid0(VALU_DEP_1) | instskip(SKIP_2) | instid1(VALU_DEP_2)
	v_bfe_u32 v1, v3, 16, 1
	v_cmp_o_f32_e32 vcc_lo, v3, v3
	s_mov_b32 s26, 0
	v_add3_u32 v1, v3, v1, 0x7fff
	s_delay_alu instid0(VALU_DEP_1) | instskip(NEXT) | instid1(VALU_DEP_1)
	v_lshrrev_b32_e32 v1, 16, v1
	v_cndmask_b32_e32 v1, 0x7fc0, v1, vcc_lo
	s_branch .LBB175_203
.LBB175_198:
                                        ; implicit-def: $vgpr1
	s_branch .LBB175_209
.LBB175_199:
	s_or_saveexec_b32 s27, s27
	v_mov_b32_e32 v3, 0x7f800001
	s_xor_b32 exec_lo, exec_lo, s27
	s_cbranch_execz .LBB175_183
.LBB175_200:
	v_cmp_ne_u16_e32 vcc_lo, 0, v1
	v_mov_b32_e32 v3, 0
	s_and_not1_b32 s26, s26, exec_lo
	s_and_b32 s28, vcc_lo, exec_lo
	s_delay_alu instid0(SALU_CYCLE_1)
	s_or_b32 s26, s26, s28
	s_or_b32 exec_lo, exec_lo, s27
	s_and_saveexec_b32 s27, s26
	s_cbranch_execnz .LBB175_184
	s_branch .LBB175_185
.LBB175_201:
	s_mov_b32 s26, -1
                                        ; implicit-def: $vgpr1
	s_branch .LBB175_206
.LBB175_202:
	s_mov_b32 s26, -1
                                        ; implicit-def: $vgpr1
.LBB175_203:
	s_delay_alu instid0(SALU_CYCLE_1)
	s_and_b32 vcc_lo, exec_lo, s26
	s_cbranch_vccz .LBB175_205
; %bb.204:
	global_load_u8 v1, v[4:5], off
	s_wait_loadcnt 0x0
	v_lshlrev_b32_e32 v1, 24, v1
	s_delay_alu instid0(VALU_DEP_1) | instskip(NEXT) | instid1(VALU_DEP_1)
	v_and_b32_e32 v3, 0x7f000000, v1
	v_clz_i32_u32_e32 v6, v3
	v_cmp_ne_u32_e32 vcc_lo, 0, v3
	v_add_nc_u32_e32 v8, 0x1000000, v3
	s_delay_alu instid0(VALU_DEP_3) | instskip(NEXT) | instid1(VALU_DEP_1)
	v_min_u32_e32 v6, 32, v6
	v_sub_nc_u32_e64 v6, v6, 4 clamp
	s_delay_alu instid0(VALU_DEP_1) | instskip(NEXT) | instid1(VALU_DEP_1)
	v_dual_lshlrev_b32 v7, v6, v3 :: v_dual_lshlrev_b32 v6, 23, v6
	v_lshrrev_b32_e32 v7, 4, v7
	s_delay_alu instid0(VALU_DEP_1) | instskip(NEXT) | instid1(VALU_DEP_1)
	v_dual_sub_nc_u32 v6, v7, v6 :: v_dual_ashrrev_i32 v7, 8, v8
	v_add_nc_u32_e32 v6, 0x3c000000, v6
	s_delay_alu instid0(VALU_DEP_1) | instskip(NEXT) | instid1(VALU_DEP_1)
	v_and_or_b32 v6, 0x7f800000, v7, v6
	v_cndmask_b32_e32 v3, 0, v6, vcc_lo
	s_delay_alu instid0(VALU_DEP_1) | instskip(SKIP_1) | instid1(VALU_DEP_2)
	v_and_or_b32 v1, 0x80000000, v1, v3
	v_bfe_u32 v3, v3, 16, 1
	v_cmp_o_f32_e32 vcc_lo, v1, v1
	s_delay_alu instid0(VALU_DEP_2) | instskip(NEXT) | instid1(VALU_DEP_1)
	v_add3_u32 v3, v1, v3, 0x7fff
	v_lshrrev_b32_e32 v3, 16, v3
	s_delay_alu instid0(VALU_DEP_1)
	v_cndmask_b32_e32 v1, 0x7fc0, v3, vcc_lo
.LBB175_205:
	s_mov_b32 s26, 0
.LBB175_206:
	s_delay_alu instid0(SALU_CYCLE_1)
	s_and_not1_b32 vcc_lo, exec_lo, s26
	s_cbranch_vccnz .LBB175_208
; %bb.207:
	global_load_u8 v1, v[4:5], off
	s_wait_loadcnt 0x0
	v_lshlrev_b32_e32 v3, 25, v1
	v_lshlrev_b16 v1, 8, v1
	s_delay_alu instid0(VALU_DEP_1) | instskip(SKIP_1) | instid1(VALU_DEP_2)
	v_and_or_b32 v7, 0x7f00, v1, 0.5
	v_bfe_i32 v1, v1, 0, 16
	v_add_f32_e32 v7, -0.5, v7
	v_lshrrev_b32_e32 v6, 4, v3
	v_cmp_gt_u32_e32 vcc_lo, 0x8000000, v3
	s_delay_alu instid0(VALU_DEP_2) | instskip(NEXT) | instid1(VALU_DEP_1)
	v_or_b32_e32 v6, 0x70000000, v6
	v_mul_f32_e32 v6, 0x7800000, v6
	s_delay_alu instid0(VALU_DEP_1) | instskip(NEXT) | instid1(VALU_DEP_1)
	v_cndmask_b32_e32 v3, v6, v7, vcc_lo
	v_and_or_b32 v1, 0x80000000, v1, v3
	v_bfe_u32 v3, v3, 16, 1
	s_delay_alu instid0(VALU_DEP_2) | instskip(NEXT) | instid1(VALU_DEP_2)
	v_cmp_o_f32_e32 vcc_lo, v1, v1
	v_add3_u32 v3, v1, v3, 0x7fff
	s_delay_alu instid0(VALU_DEP_1) | instskip(NEXT) | instid1(VALU_DEP_1)
	v_lshrrev_b32_e32 v3, 16, v3
	v_cndmask_b32_e32 v1, 0x7fc0, v3, vcc_lo
.LBB175_208:
	s_mov_b32 s26, -1
	s_cbranch_execnz .LBB175_221
.LBB175_209:
	s_cmp_gt_i32 s0, 14
	s_cbranch_scc0 .LBB175_212
; %bb.210:
	s_cmp_eq_u32 s0, 15
	s_cbranch_scc0 .LBB175_215
; %bb.211:
	global_load_u16 v1, v[4:5], off
	s_mov_b32 s26, -1
	s_mov_b32 s1, 0
	s_branch .LBB175_216
.LBB175_212:
	s_mov_b32 s27, -1
                                        ; implicit-def: $vgpr1
	s_branch .LBB175_217
.LBB175_213:
	s_or_saveexec_b32 s27, s27
	v_mov_b32_e32 v3, 0x7f800001
	s_xor_b32 exec_lo, exec_lo, s27
	s_cbranch_execz .LBB175_195
.LBB175_214:
	v_cmp_ne_u16_e32 vcc_lo, 0, v1
	v_mov_b32_e32 v3, 0
	s_and_not1_b32 s26, s26, exec_lo
	s_and_b32 s28, vcc_lo, exec_lo
	s_delay_alu instid0(SALU_CYCLE_1)
	s_or_b32 s26, s26, s28
	s_or_b32 exec_lo, exec_lo, s27
	s_and_saveexec_b32 s27, s26
	s_cbranch_execnz .LBB175_196
	s_branch .LBB175_197
.LBB175_215:
	s_mov_b32 s1, -1
                                        ; implicit-def: $vgpr1
.LBB175_216:
	s_mov_b32 s27, 0
.LBB175_217:
	s_delay_alu instid0(SALU_CYCLE_1)
	s_and_b32 vcc_lo, exec_lo, s27
	s_cbranch_vccz .LBB175_221
; %bb.218:
	s_cmp_eq_u32 s0, 11
	s_cbranch_scc0 .LBB175_220
; %bb.219:
	s_wait_loadcnt 0x0
	global_load_u8 v1, v[4:5], off
	s_mov_b32 s1, 0
	s_mov_b32 s26, -1
	v_mov_b32_e32 v3, 0
	s_wait_loadcnt 0x0
	v_cmp_ne_u16_e32 vcc_lo, 0, v1
	v_cndmask_b32_e64 v1, 0, 1.0, vcc_lo
	s_delay_alu instid0(VALU_DEP_1)
	v_lshrrev_b32_e32 v1, 16, v1
	s_branch .LBB175_222
.LBB175_220:
	s_mov_b32 s1, -1
                                        ; implicit-def: $vgpr1
.LBB175_221:
	v_mov_b32_e32 v3, 0
.LBB175_222:
	s_branch .LBB175_25
.LBB175_223:
	s_cmp_lt_i32 s0, 5
	s_cbranch_scc1 .LBB175_228
; %bb.224:
	s_cmp_lt_i32 s0, 8
	s_cbranch_scc1 .LBB175_229
; %bb.225:
	;; [unrolled: 3-line block ×3, first 2 shown]
	s_cmp_gt_i32 s0, 9
	s_cbranch_scc0 .LBB175_231
; %bb.227:
	global_load_b128 v[6:9], v[4:5], off
	s_mov_b32 s26, 0
	s_wait_loadcnt 0x0
	v_cvt_f32_f64_e32 v1, v[6:7]
	v_cvt_f32_f64_e32 v3, v[8:9]
	s_delay_alu instid0(VALU_DEP_2) | instskip(NEXT) | instid1(VALU_DEP_2)
	v_bfe_u32 v6, v1, 16, 1
	v_bfe_u32 v7, v3, 16, 1
	v_cmp_o_f32_e32 vcc_lo, v1, v1
	s_delay_alu instid0(VALU_DEP_3) | instskip(NEXT) | instid1(VALU_DEP_3)
	v_add3_u32 v6, v1, v6, 0x7fff
	v_add3_u32 v7, v3, v7, 0x7fff
	s_delay_alu instid0(VALU_DEP_1) | instskip(NEXT) | instid1(VALU_DEP_3)
	v_and_b32_e32 v7, 0xffff0000, v7
	v_lshrrev_b32_e32 v6, 16, v6
	s_delay_alu instid0(VALU_DEP_1) | instskip(SKIP_1) | instid1(VALU_DEP_4)
	v_cndmask_b32_e32 v1, 0x7fc0, v6, vcc_lo
	v_cmp_o_f32_e32 vcc_lo, v3, v3
	v_cndmask_b32_e32 v3, 0x7fc00000, v7, vcc_lo
	s_branch .LBB175_232
.LBB175_228:
                                        ; implicit-def: $vgpr3
                                        ; implicit-def: $vgpr1
	s_branch .LBB175_251
.LBB175_229:
	s_mov_b32 s26, -1
                                        ; implicit-def: $vgpr3
                                        ; implicit-def: $vgpr1
	s_branch .LBB175_238
.LBB175_230:
	s_mov_b32 s26, -1
                                        ; implicit-def: $vgpr3
                                        ; implicit-def: $vgpr1
	s_branch .LBB175_235
.LBB175_231:
	s_mov_b32 s26, -1
                                        ; implicit-def: $vgpr3
                                        ; implicit-def: $vgpr1
.LBB175_232:
	s_delay_alu instid0(SALU_CYCLE_1)
	s_and_not1_b32 vcc_lo, exec_lo, s26
	s_cbranch_vccnz .LBB175_234
; %bb.233:
	global_load_b64 v[6:7], v[4:5], off
	s_wait_loadcnt 0x0
	v_bfe_u32 v1, v6, 16, 1
	v_bfe_u32 v3, v7, 16, 1
	v_cmp_o_f32_e32 vcc_lo, v6, v6
	s_delay_alu instid0(VALU_DEP_3) | instskip(NEXT) | instid1(VALU_DEP_3)
	v_add3_u32 v1, v6, v1, 0x7fff
	v_add3_u32 v3, v7, v3, 0x7fff
	s_delay_alu instid0(VALU_DEP_2) | instskip(NEXT) | instid1(VALU_DEP_2)
	v_lshrrev_b32_e32 v1, 16, v1
	v_and_b32_e32 v3, 0xffff0000, v3
	s_delay_alu instid0(VALU_DEP_2) | instskip(SKIP_1) | instid1(VALU_DEP_3)
	v_cndmask_b32_e32 v1, 0x7fc0, v1, vcc_lo
	v_cmp_o_f32_e32 vcc_lo, v7, v7
	v_cndmask_b32_e32 v3, 0x7fc00000, v3, vcc_lo
.LBB175_234:
	s_mov_b32 s26, 0
.LBB175_235:
	s_delay_alu instid0(SALU_CYCLE_1)
	s_and_not1_b32 vcc_lo, exec_lo, s26
	s_cbranch_vccnz .LBB175_237
; %bb.236:
	s_wait_loadcnt 0x0
	global_load_b32 v1, v[4:5], off
	s_wait_loadcnt 0x0
	v_cvt_f32_f16_e32 v6, v1
	v_cmp_o_f16_e32 vcc_lo, v1, v1
	s_delay_alu instid0(VALU_DEP_2) | instskip(NEXT) | instid1(VALU_DEP_1)
	v_bfe_u32 v8, v6, 16, 1
	v_add3_u32 v6, v6, v8, 0x7fff
	s_delay_alu instid0(VALU_DEP_1) | instskip(NEXT) | instid1(VALU_DEP_1)
	v_dual_lshrrev_b32 v3, 16, v1 :: v_dual_lshrrev_b32 v6, 16, v6
	v_cvt_f32_f16_e32 v7, v3
	s_delay_alu instid0(VALU_DEP_2) | instskip(NEXT) | instid1(VALU_DEP_2)
	v_cndmask_b32_e32 v1, 0x7fc0, v6, vcc_lo
	v_bfe_u32 v9, v7, 16, 1
	v_cmp_o_f16_e32 vcc_lo, v3, v3
	s_delay_alu instid0(VALU_DEP_2) | instskip(NEXT) | instid1(VALU_DEP_1)
	v_add3_u32 v7, v7, v9, 0x7fff
	v_and_b32_e32 v7, 0xffff0000, v7
	s_delay_alu instid0(VALU_DEP_1)
	v_cndmask_b32_e32 v3, 0x7fc00000, v7, vcc_lo
.LBB175_237:
	s_mov_b32 s26, 0
.LBB175_238:
	s_delay_alu instid0(SALU_CYCLE_1)
	s_and_not1_b32 vcc_lo, exec_lo, s26
	s_cbranch_vccnz .LBB175_250
; %bb.239:
	s_cmp_lt_i32 s0, 6
	s_cbranch_scc1 .LBB175_242
; %bb.240:
	s_cmp_gt_i32 s0, 6
	s_cbranch_scc0 .LBB175_243
; %bb.241:
	global_load_b64 v[6:7], v[4:5], off
	s_mov_b32 s26, 0
	s_wait_loadcnt 0x0
	v_cvt_f32_f64_e32 v1, v[6:7]
	s_delay_alu instid0(VALU_DEP_1) | instskip(SKIP_1) | instid1(VALU_DEP_2)
	v_bfe_u32 v3, v1, 16, 1
	v_cmp_o_f32_e32 vcc_lo, v1, v1
	v_add3_u32 v3, v1, v3, 0x7fff
	s_delay_alu instid0(VALU_DEP_1) | instskip(NEXT) | instid1(VALU_DEP_1)
	v_lshrrev_b32_e32 v3, 16, v3
	v_cndmask_b32_e32 v1, 0x7fc0, v3, vcc_lo
	s_branch .LBB175_244
.LBB175_242:
	s_mov_b32 s26, -1
                                        ; implicit-def: $vgpr1
	s_branch .LBB175_247
.LBB175_243:
	s_mov_b32 s26, -1
                                        ; implicit-def: $vgpr1
.LBB175_244:
	s_delay_alu instid0(SALU_CYCLE_1)
	s_and_not1_b32 vcc_lo, exec_lo, s26
	s_cbranch_vccnz .LBB175_246
; %bb.245:
	s_wait_loadcnt 0x0
	global_load_b32 v1, v[4:5], off
	s_wait_loadcnt 0x0
	v_bfe_u32 v3, v1, 16, 1
	v_cmp_o_f32_e32 vcc_lo, v1, v1
	s_delay_alu instid0(VALU_DEP_2) | instskip(NEXT) | instid1(VALU_DEP_1)
	v_add3_u32 v3, v1, v3, 0x7fff
	v_lshrrev_b32_e32 v3, 16, v3
	s_delay_alu instid0(VALU_DEP_1)
	v_cndmask_b32_e32 v1, 0x7fc0, v3, vcc_lo
.LBB175_246:
	s_mov_b32 s26, 0
.LBB175_247:
	s_delay_alu instid0(SALU_CYCLE_1)
	s_and_not1_b32 vcc_lo, exec_lo, s26
	s_cbranch_vccnz .LBB175_249
; %bb.248:
	s_wait_loadcnt 0x0
	global_load_u16 v1, v[4:5], off
	s_wait_loadcnt 0x0
	v_cvt_f32_f16_e32 v3, v1
	v_cmp_o_f16_e32 vcc_lo, v1, v1
	s_delay_alu instid0(VALU_DEP_2) | instskip(NEXT) | instid1(VALU_DEP_1)
	v_bfe_u32 v6, v3, 16, 1
	v_add3_u32 v3, v3, v6, 0x7fff
	s_delay_alu instid0(VALU_DEP_1) | instskip(NEXT) | instid1(VALU_DEP_1)
	v_lshrrev_b32_e32 v3, 16, v3
	v_cndmask_b32_e32 v1, 0x7fc0, v3, vcc_lo
.LBB175_249:
	v_mov_b32_e32 v3, 0
.LBB175_250:
	s_cbranch_execnz .LBB175_271
.LBB175_251:
	s_cmp_lt_i32 s0, 2
	s_cbranch_scc1 .LBB175_255
; %bb.252:
	s_cmp_lt_i32 s0, 3
	s_cbranch_scc1 .LBB175_256
; %bb.253:
	s_cmp_gt_i32 s0, 3
	s_cbranch_scc0 .LBB175_257
; %bb.254:
	global_load_b64 v[6:7], v[4:5], off
	s_mov_b32 s26, 0
	s_wait_loadcnt 0x0
	v_xor_b32_e32 v1, v6, v7
	v_cls_i32_e32 v3, v7
	s_delay_alu instid0(VALU_DEP_2) | instskip(NEXT) | instid1(VALU_DEP_1)
	v_ashrrev_i32_e32 v1, 31, v1
	v_add_nc_u32_e32 v1, 32, v1
	s_delay_alu instid0(VALU_DEP_1) | instskip(NEXT) | instid1(VALU_DEP_1)
	v_add_min_u32_e64 v1, v3, -1, v1
	v_lshlrev_b64_e32 v[6:7], v1, v[6:7]
	v_sub_nc_u32_e32 v1, 32, v1
	s_delay_alu instid0(VALU_DEP_2) | instskip(NEXT) | instid1(VALU_DEP_1)
	v_min_u32_e32 v3, 1, v6
	v_or_b32_e32 v3, v7, v3
	s_delay_alu instid0(VALU_DEP_1) | instskip(NEXT) | instid1(VALU_DEP_1)
	v_cvt_f32_i32_e32 v3, v3
	v_ldexp_f32 v1, v3, v1
	s_delay_alu instid0(VALU_DEP_1) | instskip(NEXT) | instid1(VALU_DEP_1)
	v_bfe_u32 v3, v1, 16, 1
	v_add3_u32 v1, v1, v3, 0x7fff
	s_delay_alu instid0(VALU_DEP_1)
	v_lshrrev_b32_e32 v1, 16, v1
	s_branch .LBB175_258
.LBB175_255:
	s_mov_b32 s26, -1
                                        ; implicit-def: $vgpr1
	s_branch .LBB175_264
.LBB175_256:
	s_mov_b32 s26, -1
                                        ; implicit-def: $vgpr1
	s_branch .LBB175_261
.LBB175_257:
	s_mov_b32 s26, -1
                                        ; implicit-def: $vgpr1
.LBB175_258:
	s_delay_alu instid0(SALU_CYCLE_1)
	s_and_not1_b32 vcc_lo, exec_lo, s26
	s_cbranch_vccnz .LBB175_260
; %bb.259:
	s_wait_loadcnt 0x0
	global_load_b32 v1, v[4:5], off
	s_wait_loadcnt 0x0
	v_cvt_f32_i32_e32 v1, v1
	s_delay_alu instid0(VALU_DEP_1) | instskip(NEXT) | instid1(VALU_DEP_1)
	v_bfe_u32 v3, v1, 16, 1
	v_add3_u32 v1, v1, v3, 0x7fff
	s_delay_alu instid0(VALU_DEP_1)
	v_lshrrev_b32_e32 v1, 16, v1
.LBB175_260:
	s_mov_b32 s26, 0
.LBB175_261:
	s_delay_alu instid0(SALU_CYCLE_1)
	s_and_not1_b32 vcc_lo, exec_lo, s26
	s_cbranch_vccnz .LBB175_263
; %bb.262:
	s_wait_loadcnt 0x0
	global_load_i16 v1, v[4:5], off
	s_wait_loadcnt 0x0
	v_cvt_f32_i32_e32 v1, v1
	s_delay_alu instid0(VALU_DEP_1) | instskip(NEXT) | instid1(VALU_DEP_1)
	v_bfe_u32 v3, v1, 16, 1
	v_add3_u32 v1, v1, v3, 0x7fff
	s_delay_alu instid0(VALU_DEP_1)
	v_lshrrev_b32_e32 v1, 16, v1
.LBB175_263:
	s_mov_b32 s26, 0
.LBB175_264:
	s_delay_alu instid0(SALU_CYCLE_1)
	s_and_not1_b32 vcc_lo, exec_lo, s26
	s_cbranch_vccnz .LBB175_270
; %bb.265:
	s_cmp_gt_i32 s0, 0
	s_mov_b32 s0, 0
	s_cbranch_scc0 .LBB175_267
; %bb.266:
	s_wait_loadcnt 0x0
	global_load_i8 v1, v[4:5], off
	s_wait_loadcnt 0x0
	v_cvt_f32_i32_e32 v1, v1
	s_delay_alu instid0(VALU_DEP_1) | instskip(NEXT) | instid1(VALU_DEP_1)
	v_bfe_u32 v3, v1, 16, 1
	v_add3_u32 v1, v1, v3, 0x7fff
	s_delay_alu instid0(VALU_DEP_1)
	v_lshrrev_b32_e32 v1, 16, v1
	s_branch .LBB175_268
.LBB175_267:
	s_mov_b32 s0, -1
                                        ; implicit-def: $vgpr1
.LBB175_268:
	s_delay_alu instid0(SALU_CYCLE_1)
	s_and_not1_b32 vcc_lo, exec_lo, s0
	s_cbranch_vccnz .LBB175_270
; %bb.269:
	s_wait_loadcnt 0x0
	global_load_u8 v1, v[4:5], off
	s_wait_loadcnt 0x0
	v_cvt_f32_ubyte0_e32 v1, v1
	s_delay_alu instid0(VALU_DEP_1) | instskip(NEXT) | instid1(VALU_DEP_1)
	v_bfe_u32 v3, v1, 16, 1
	v_add3_u32 v1, v1, v3, 0x7fff
	s_delay_alu instid0(VALU_DEP_1)
	v_lshrrev_b32_e32 v1, 16, v1
.LBB175_270:
	v_mov_b32_e32 v3, 0
.LBB175_271:
	s_branch .LBB175_26
.LBB175_272:
	s_mov_b32 s0, 0
.LBB175_273:
	s_mov_b32 s26, 0
                                        ; implicit-def: $vgpr0
.LBB175_274:
	s_and_b32 s41, s0, exec_lo
	s_and_b32 s42, s1, exec_lo
	s_or_not1_b32 s27, s26, exec_lo
.LBB175_275:
	s_wait_xcnt 0x0
	s_or_b32 exec_lo, exec_lo, s43
	s_mov_b32 s26, 0
	s_mov_b32 s0, 0
                                        ; implicit-def: $vgpr4_vgpr5
                                        ; implicit-def: $vgpr2
                                        ; implicit-def: $vgpr6
                                        ; implicit-def: $vgpr3
	s_and_saveexec_b32 s43, s27
	s_cbranch_execz .LBB175_283
; %bb.276:
	s_mov_b32 s0, -1
	s_mov_b32 s44, s42
	s_mov_b32 s45, s41
	s_mov_b32 s46, exec_lo
	v_cmpx_gt_i32_e64 s38, v0
	s_cbranch_execz .LBB175_563
; %bb.277:
	s_and_not1_b32 vcc_lo, exec_lo, s33
	s_cbranch_vccnz .LBB175_286
; %bb.278:
	s_and_not1_b32 vcc_lo, exec_lo, s40
	s_cbranch_vccnz .LBB175_287
; %bb.279:
	s_add_co_i32 s1, s39, 1
	s_cmp_eq_u32 s31, 2
	s_cbranch_scc1 .LBB175_288
; %bb.280:
	v_dual_mov_b32 v2, 0 :: v_dual_mov_b32 v4, 0
	s_wait_loadcnt 0x0
	v_mov_b32_e32 v1, v0
	s_and_b32 s0, s1, 28
	s_mov_b32 s44, 0
	s_mov_b64 s[26:27], s[16:17]
	s_mov_b64 s[28:29], s[24:25]
.LBB175_281:                            ; =>This Inner Loop Header: Depth=1
	s_clause 0x1
	s_load_b256 s[48:55], s[26:27], 0x4
	s_load_b128 s[64:67], s[26:27], 0x24
	s_load_b256 s[56:63], s[28:29], 0x0
	s_add_co_i32 s44, s44, 4
	s_wait_xcnt 0x0
	s_add_nc_u64 s[26:27], s[26:27], 48
	s_cmp_eq_u32 s0, s44
	s_add_nc_u64 s[28:29], s[28:29], 32
	s_wait_kmcnt 0x0
	v_mul_hi_u32 v3, s49, v1
	s_delay_alu instid0(VALU_DEP_1) | instskip(NEXT) | instid1(VALU_DEP_1)
	v_add_nc_u32_e32 v3, v1, v3
	v_lshrrev_b32_e32 v3, s50, v3
	s_delay_alu instid0(VALU_DEP_1) | instskip(NEXT) | instid1(VALU_DEP_1)
	v_mul_hi_u32 v5, s52, v3
	v_add_nc_u32_e32 v5, v3, v5
	s_delay_alu instid0(VALU_DEP_1) | instskip(NEXT) | instid1(VALU_DEP_1)
	v_lshrrev_b32_e32 v5, s53, v5
	v_mul_hi_u32 v6, s55, v5
	s_delay_alu instid0(VALU_DEP_1) | instskip(SKIP_1) | instid1(VALU_DEP_1)
	v_add_nc_u32_e32 v6, v5, v6
	v_mul_lo_u32 v7, v3, s48
	v_sub_nc_u32_e32 v1, v1, v7
	v_mul_lo_u32 v7, v5, s51
	s_delay_alu instid0(VALU_DEP_4) | instskip(NEXT) | instid1(VALU_DEP_3)
	v_lshrrev_b32_e32 v6, s64, v6
	v_mad_u32 v4, v1, s57, v4
	v_mad_u32 v1, v1, s56, v2
	s_delay_alu instid0(VALU_DEP_4) | instskip(NEXT) | instid1(VALU_DEP_4)
	v_sub_nc_u32_e32 v2, v3, v7
	v_mul_hi_u32 v8, s66, v6
	v_mul_lo_u32 v3, v6, s54
	s_delay_alu instid0(VALU_DEP_3) | instskip(SKIP_1) | instid1(VALU_DEP_3)
	v_mad_u32 v4, v2, s59, v4
	v_mad_u32 v2, v2, s58, v1
	v_dual_add_nc_u32 v7, v6, v8 :: v_dual_sub_nc_u32 v3, v5, v3
	s_delay_alu instid0(VALU_DEP_1) | instskip(NEXT) | instid1(VALU_DEP_2)
	v_lshrrev_b32_e32 v1, s67, v7
	v_mad_u32 v4, v3, s61, v4
	s_delay_alu instid0(VALU_DEP_4) | instskip(NEXT) | instid1(VALU_DEP_3)
	v_mad_u32 v2, v3, s60, v2
	v_mul_lo_u32 v5, v1, s65
	s_delay_alu instid0(VALU_DEP_1) | instskip(NEXT) | instid1(VALU_DEP_1)
	v_sub_nc_u32_e32 v3, v6, v5
	v_mad_u32 v4, v3, s63, v4
	s_delay_alu instid0(VALU_DEP_4)
	v_mad_u32 v2, v3, s62, v2
	s_cbranch_scc0 .LBB175_281
; %bb.282:
	s_delay_alu instid0(VALU_DEP_2)
	v_mov_b32_e32 v3, v4
	s_branch .LBB175_289
.LBB175_283:
	s_or_b32 exec_lo, exec_lo, s43
	s_mov_b32 s1, 0
	s_and_saveexec_b32 s6, s42
	s_cbranch_execnz .LBB175_958
.LBB175_284:
	s_or_b32 exec_lo, exec_lo, s6
	s_and_saveexec_b32 s6, s19
	s_delay_alu instid0(SALU_CYCLE_1)
	s_xor_b32 s6, exec_lo, s6
	s_cbranch_execz .LBB175_959
.LBB175_285:
	global_load_u8 v0, v[4:5], off
	s_or_b32 s0, s0, exec_lo
	v_mov_b32_e32 v6, 0
	s_wait_loadcnt 0x0
	v_cmp_ne_u16_e32 vcc_lo, 0, v0
	v_cndmask_b32_e64 v0, 0, 1.0, vcc_lo
	s_delay_alu instid0(VALU_DEP_1)
	v_lshrrev_b32_e32 v3, 16, v0
	s_wait_xcnt 0x0
	s_or_b32 exec_lo, exec_lo, s6
	s_and_saveexec_b32 s6, s26
	s_cbranch_execz .LBB175_1007
	s_branch .LBB175_960
.LBB175_286:
                                        ; implicit-def: $vgpr4
                                        ; implicit-def: $vgpr2
	s_and_not1_b32 vcc_lo, exec_lo, s0
	s_cbranch_vccnz .LBB175_296
	s_branch .LBB175_294
.LBB175_287:
	v_dual_mov_b32 v4, 0 :: v_dual_mov_b32 v2, 0
	s_branch .LBB175_293
.LBB175_288:
	v_mov_b64_e32 v[2:3], 0
	s_wait_loadcnt 0x0
	v_mov_b32_e32 v1, v0
	s_mov_b32 s0, 0
                                        ; implicit-def: $vgpr4
.LBB175_289:
	s_and_b32 s28, s1, 3
	s_mov_b32 s1, 0
	s_cmp_eq_u32 s28, 0
	s_cbranch_scc1 .LBB175_293
; %bb.290:
	s_lshl_b32 s26, s0, 3
	s_mov_b32 s27, s1
	s_mul_u64 s[44:45], s[0:1], 12
	s_add_nc_u64 s[26:27], s[16:17], s[26:27]
	s_delay_alu instid0(SALU_CYCLE_1)
	s_add_nc_u64 s[0:1], s[26:27], 0xc4
	s_add_nc_u64 s[26:27], s[16:17], s[44:45]
.LBB175_291:                            ; =>This Inner Loop Header: Depth=1
	s_load_b96 s[48:50], s[26:27], 0x4
	s_load_b64 s[44:45], s[0:1], 0x0
	s_add_co_i32 s28, s28, -1
	s_wait_xcnt 0x0
	s_add_nc_u64 s[26:27], s[26:27], 12
	s_cmp_lg_u32 s28, 0
	s_add_nc_u64 s[0:1], s[0:1], 8
	s_wait_kmcnt 0x0
	v_mul_hi_u32 v4, s49, v1
	s_delay_alu instid0(VALU_DEP_1) | instskip(NEXT) | instid1(VALU_DEP_1)
	v_add_nc_u32_e32 v4, v1, v4
	v_lshrrev_b32_e32 v4, s50, v4
	s_delay_alu instid0(VALU_DEP_1) | instskip(NEXT) | instid1(VALU_DEP_1)
	v_mul_lo_u32 v5, v4, s48
	v_sub_nc_u32_e32 v1, v1, v5
	s_delay_alu instid0(VALU_DEP_1)
	v_mad_u32 v3, v1, s45, v3
	v_mad_u32 v2, v1, s44, v2
	v_mov_b32_e32 v1, v4
	s_cbranch_scc1 .LBB175_291
; %bb.292:
	s_delay_alu instid0(VALU_DEP_3)
	v_mov_b32_e32 v4, v3
.LBB175_293:
	s_cbranch_execnz .LBB175_296
.LBB175_294:
	s_wait_loadcnt 0x0
	v_mov_b32_e32 v1, 0
	s_and_not1_b32 vcc_lo, exec_lo, s37
	s_delay_alu instid0(VALU_DEP_1) | instskip(NEXT) | instid1(VALU_DEP_1)
	v_mul_u64_e32 v[2:3], s[18:19], v[0:1]
	v_add_nc_u32_e32 v2, v0, v3
	s_delay_alu instid0(VALU_DEP_1) | instskip(NEXT) | instid1(VALU_DEP_1)
	v_lshrrev_b32_e32 v6, s10, v2
	v_mul_lo_u32 v2, v6, s8
	s_delay_alu instid0(VALU_DEP_1) | instskip(NEXT) | instid1(VALU_DEP_1)
	v_sub_nc_u32_e32 v2, v0, v2
	v_mul_lo_u32 v4, v2, s13
	v_mul_lo_u32 v2, v2, s12
	s_cbranch_vccnz .LBB175_296
; %bb.295:
	v_mov_b32_e32 v7, v1
	s_delay_alu instid0(VALU_DEP_1) | instskip(NEXT) | instid1(VALU_DEP_1)
	v_mul_u64_e32 v[8:9], s[22:23], v[6:7]
	v_add_nc_u32_e32 v1, v6, v9
	s_delay_alu instid0(VALU_DEP_1) | instskip(NEXT) | instid1(VALU_DEP_1)
	v_lshrrev_b32_e32 v1, s21, v1
	v_mul_lo_u32 v1, v1, s11
	s_delay_alu instid0(VALU_DEP_1) | instskip(NEXT) | instid1(VALU_DEP_1)
	v_sub_nc_u32_e32 v1, v6, v1
	v_mad_u32 v2, v1, s14, v2
	v_mad_u32 v4, v1, s15, v4
.LBB175_296:
	v_mov_b32_e32 v5, 0
	s_and_b32 s0, 0xffff, s36
	s_delay_alu instid0(SALU_CYCLE_1) | instskip(NEXT) | instid1(VALU_DEP_1)
	s_cmp_lt_i32 s0, 11
	v_add_nc_u64_e32 v[4:5], s[6:7], v[4:5]
	s_cbranch_scc1 .LBB175_303
; %bb.297:
	s_cmp_gt_i32 s0, 25
	s_cbranch_scc0 .LBB175_315
; %bb.298:
	s_cmp_gt_i32 s0, 28
	s_cbranch_scc0 .LBB175_318
	;; [unrolled: 3-line block ×4, first 2 shown]
; %bb.301:
	s_cmp_eq_u32 s0, 46
	s_mov_b32 s27, 0
	s_cbranch_scc0 .LBB175_328
; %bb.302:
	s_wait_loadcnt 0x0
	global_load_b32 v1, v[4:5], off
	s_mov_b32 s26, -1
	s_mov_b32 s1, 0
	s_wait_loadcnt 0x0
	v_and_b32_e32 v3, 0xffff0000, v1
	s_branch .LBB175_330
.LBB175_303:
	s_mov_b32 s26, 0
	s_mov_b32 s1, s42
                                        ; implicit-def: $vgpr3
                                        ; implicit-def: $vgpr1
	s_cbranch_execnz .LBB175_510
.LBB175_304:
	s_and_not1_b32 vcc_lo, exec_lo, s26
	s_cbranch_vccnz .LBB175_560
.LBB175_305:
	s_wait_loadcnt 0x0
	s_delay_alu instid0(VALU_DEP_2) | instskip(SKIP_1) | instid1(VALU_DEP_1)
	v_and_b32_e32 v1, 0xffff, v1
	s_and_not1_b32 vcc_lo, exec_lo, s35
	v_or_b32_e32 v1, v3, v1
	v_and_b32_e32 v3, 0xffff0000, v3
	s_delay_alu instid0(VALU_DEP_2)
	v_lshlrev_b32_e32 v1, 16, v1
	s_cbranch_vccnz .LBB175_317
; %bb.306:
	s_delay_alu instid0(VALU_DEP_1) | instskip(NEXT) | instid1(VALU_DEP_3)
	v_cmp_neq_f32_e32 vcc_lo, s9, v1
	v_cmp_neq_f32_e64 s0, s20, v3
	s_or_b32 s26, vcc_lo, s0
	s_cbranch_execnz .LBB175_308
.LBB175_307:
	s_delay_alu instid0(VALU_DEP_1) | instskip(SKIP_3) | instid1(SALU_CYCLE_1)
	v_cmp_eq_f32_e32 vcc_lo, s9, v1
	v_cmp_eq_f32_e64 s0, s20, v3
	s_and_not1_b32 s26, s26, exec_lo
	s_and_b32 s0, vcc_lo, s0
	s_and_b32 s0, s0, exec_lo
	s_delay_alu instid0(SALU_CYCLE_1)
	s_or_b32 s26, s26, s0
.LBB175_308:
	v_mov_b32_e32 v3, 0
	s_and_b32 s27, s2, 0xff
	s_delay_alu instid0(SALU_CYCLE_1) | instskip(NEXT) | instid1(VALU_DEP_1)
	s_cmp_lt_i32 s27, 11
	v_add_nc_u64_e32 v[2:3], s[4:5], v[2:3]
	s_cbranch_scc1 .LBB175_316
; %bb.309:
	s_and_b32 s28, 0xffff, s27
	s_delay_alu instid0(SALU_CYCLE_1)
	s_cmp_gt_i32 s28, 25
	s_cbranch_scc0 .LBB175_319
; %bb.310:
	s_cmp_gt_i32 s28, 28
	s_cbranch_scc0 .LBB175_321
; %bb.311:
	;; [unrolled: 3-line block ×4, first 2 shown]
	s_mov_b32 s44, 0
	s_mov_b32 s0, -1
	s_cmp_eq_u32 s28, 46
	s_mov_b32 s29, 0
	s_cbranch_scc0 .LBB175_334
; %bb.314:
	v_cndmask_b32_e64 v1, 0, 1.0, s26
	s_mov_b32 s29, -1
	s_mov_b32 s0, 0
	s_wait_xcnt 0x0
	s_delay_alu instid0(VALU_DEP_1) | instskip(NEXT) | instid1(VALU_DEP_1)
	v_bfe_u32 v4, v1, 16, 1
	v_add3_u32 v1, v1, v4, 0x7fff
	s_delay_alu instid0(VALU_DEP_1)
	v_lshrrev_b32_e32 v1, 16, v1
	global_store_b32 v[2:3], v1, off
	s_branch .LBB175_334
.LBB175_315:
	s_mov_b32 s27, -1
	s_mov_b32 s26, 0
	s_mov_b32 s1, s42
                                        ; implicit-def: $vgpr3
                                        ; implicit-def: $vgpr1
	s_branch .LBB175_473
.LBB175_316:
	s_mov_b32 s28, -1
	s_mov_b32 s29, 0
	s_mov_b32 s0, s41
	s_branch .LBB175_403
.LBB175_317:
                                        ; implicit-def: $sgpr26
	s_branch .LBB175_307
.LBB175_318:
	s_mov_b32 s27, -1
	s_mov_b32 s26, 0
	s_mov_b32 s1, s42
                                        ; implicit-def: $vgpr3
                                        ; implicit-def: $vgpr1
	s_branch .LBB175_454
.LBB175_319:
	s_mov_b32 s44, -1
	s_mov_b32 s29, 0
	s_mov_b32 s0, s41
	s_branch .LBB175_361
.LBB175_320:
	s_mov_b32 s27, -1
	s_mov_b32 s26, 0
	s_mov_b32 s1, s42
                                        ; implicit-def: $vgpr3
                                        ; implicit-def: $vgpr1
	s_branch .LBB175_448
.LBB175_321:
	s_mov_b32 s44, -1
	s_mov_b32 s29, 0
	s_mov_b32 s0, s41
	s_branch .LBB175_344
.LBB175_322:
	s_and_not1_saveexec_b32 s42, s42
	s_cbranch_execz .LBB175_73
.LBB175_323:
	v_add_f32_e32 v1, 0x46000000, v4
	s_and_not1_b32 s41, s41, exec_lo
	s_delay_alu instid0(VALU_DEP_1) | instskip(NEXT) | instid1(VALU_DEP_1)
	v_and_b32_e32 v1, 0xff, v1
	v_cmp_ne_u32_e32 vcc_lo, 0, v1
	s_and_b32 s44, vcc_lo, exec_lo
	s_delay_alu instid0(SALU_CYCLE_1)
	s_or_b32 s41, s41, s44
	s_or_b32 exec_lo, exec_lo, s42
	v_mov_b32_e32 v5, 0
	s_and_saveexec_b32 s42, s41
	s_cbranch_execnz .LBB175_74
	s_branch .LBB175_75
.LBB175_324:
	s_mov_b32 s27, -1
	s_mov_b32 s26, 0
	s_mov_b32 s1, s42
	s_branch .LBB175_329
.LBB175_325:
	s_mov_b32 s44, -1
	s_mov_b32 s29, 0
	s_mov_b32 s0, s41
	s_branch .LBB175_340
.LBB175_326:
	s_and_not1_saveexec_b32 s42, s42
	s_cbranch_execz .LBB175_86
.LBB175_327:
	v_add_f32_e32 v1, 0x42800000, v4
	s_and_not1_b32 s41, s41, exec_lo
	s_delay_alu instid0(VALU_DEP_1) | instskip(NEXT) | instid1(VALU_DEP_1)
	v_and_b32_e32 v1, 0xff, v1
	v_cmp_ne_u32_e32 vcc_lo, 0, v1
	s_and_b32 s44, vcc_lo, exec_lo
	s_delay_alu instid0(SALU_CYCLE_1)
	s_or_b32 s41, s41, s44
	s_or_b32 exec_lo, exec_lo, s42
	v_mov_b32_e32 v5, 0
	s_and_saveexec_b32 s42, s41
	s_cbranch_execnz .LBB175_87
	s_branch .LBB175_88
.LBB175_328:
	s_mov_b32 s1, -1
	s_mov_b32 s26, 0
.LBB175_329:
                                        ; implicit-def: $vgpr3
                                        ; implicit-def: $vgpr1
.LBB175_330:
	s_and_b32 vcc_lo, exec_lo, s27
	s_cbranch_vccz .LBB175_447
; %bb.331:
	s_cmp_eq_u32 s0, 44
	s_cbranch_scc0 .LBB175_445
; %bb.332:
	s_wait_loadcnt 0x0
	global_load_u8 v1, v[4:5], off
	s_mov_b32 s1, 0
	s_mov_b32 s26, -1
	s_wait_loadcnt 0x0
	v_lshlrev_b32_e32 v3, 23, v1
	v_cmp_ne_u32_e32 vcc_lo, 0xff, v1
	s_delay_alu instid0(VALU_DEP_2) | instskip(SKIP_1) | instid1(VALU_DEP_2)
	v_cndmask_b32_e32 v3, 0x7f800001, v3, vcc_lo
	v_cmp_ne_u32_e32 vcc_lo, 0, v1
	v_cndmask_b32_e32 v1, 0x400000, v3, vcc_lo
	s_delay_alu instid0(VALU_DEP_1) | instskip(SKIP_1) | instid1(VALU_DEP_2)
	v_add_nc_u32_e32 v3, 0x7fff, v1
	v_cmp_o_f32_e32 vcc_lo, v1, v1
	v_lshrrev_b32_e32 v3, 16, v3
	s_delay_alu instid0(VALU_DEP_1)
	v_cndmask_b32_e32 v1, 0x7fc0, v3, vcc_lo
	s_branch .LBB175_446
.LBB175_333:
	s_mov_b32 s44, -1
	s_mov_b32 s29, 0
	s_mov_b32 s0, s41
.LBB175_334:
	s_and_b32 vcc_lo, exec_lo, s44
	s_cbranch_vccz .LBB175_339
; %bb.335:
	s_cmp_eq_u32 s28, 44
	s_mov_b32 s0, -1
	s_cbranch_scc0 .LBB175_339
; %bb.336:
	s_wait_xcnt 0x0
	v_cndmask_b32_e64 v5, 0, 1.0, s26
	s_mov_b32 s29, exec_lo
	s_delay_alu instid0(VALU_DEP_1) | instskip(NEXT) | instid1(VALU_DEP_1)
	v_dual_mov_b32 v4, 0xff :: v_dual_lshrrev_b32 v1, 23, v5
	v_cmpx_ne_u32_e32 0xff, v1
; %bb.337:
	v_and_b32_e32 v4, 0x400000, v5
	v_and_or_b32 v5, 0x3fffff, v5, v1
	s_delay_alu instid0(VALU_DEP_2) | instskip(NEXT) | instid1(VALU_DEP_2)
	v_cmp_ne_u32_e32 vcc_lo, 0, v4
	v_cmp_ne_u32_e64 s0, 0, v5
	s_and_b32 s0, vcc_lo, s0
	s_delay_alu instid0(SALU_CYCLE_1) | instskip(NEXT) | instid1(VALU_DEP_1)
	v_cndmask_b32_e64 v4, 0, 1, s0
	v_add_nc_u32_e32 v4, v1, v4
; %bb.338:
	s_or_b32 exec_lo, exec_lo, s29
	s_mov_b32 s29, -1
	s_mov_b32 s0, 0
	global_store_b8 v[2:3], v4, off
.LBB175_339:
	s_mov_b32 s44, 0
.LBB175_340:
	s_delay_alu instid0(SALU_CYCLE_1)
	s_and_b32 vcc_lo, exec_lo, s44
	s_cbranch_vccz .LBB175_343
; %bb.341:
	s_cmp_eq_u32 s28, 29
	s_mov_b32 s0, -1
	s_cbranch_scc0 .LBB175_343
; %bb.342:
	s_mov_b32 s0, 0
	s_wait_xcnt 0x0
	v_cndmask_b32_e64 v4, 0, 1, s26
	v_mov_b32_e32 v5, s0
	s_mov_b32 s29, -1
	s_mov_b32 s44, 0
	global_store_b64 v[2:3], v[4:5], off
	s_branch .LBB175_344
.LBB175_343:
	s_mov_b32 s44, 0
.LBB175_344:
	s_delay_alu instid0(SALU_CYCLE_1)
	s_and_b32 vcc_lo, exec_lo, s44
	s_cbranch_vccz .LBB175_360
; %bb.345:
	s_cmp_lt_i32 s28, 27
	s_mov_b32 s29, -1
	s_cbranch_scc1 .LBB175_351
; %bb.346:
	s_cmp_gt_i32 s28, 27
	s_cbranch_scc0 .LBB175_348
; %bb.347:
	s_wait_xcnt 0x0
	v_cndmask_b32_e64 v1, 0, 1, s26
	s_mov_b32 s29, 0
	global_store_b32 v[2:3], v1, off
.LBB175_348:
	s_and_not1_b32 vcc_lo, exec_lo, s29
	s_cbranch_vccnz .LBB175_350
; %bb.349:
	s_wait_xcnt 0x0
	v_cndmask_b32_e64 v1, 0, 1, s26
	global_store_b16 v[2:3], v1, off
.LBB175_350:
	s_mov_b32 s29, 0
.LBB175_351:
	s_delay_alu instid0(SALU_CYCLE_1)
	s_and_not1_b32 vcc_lo, exec_lo, s29
	s_cbranch_vccnz .LBB175_359
; %bb.352:
	s_wait_xcnt 0x0
	v_cndmask_b32_e64 v4, 0, 1.0, s26
	v_mov_b32_e32 v5, 0x80
	s_mov_b32 s29, exec_lo
	s_delay_alu instid0(VALU_DEP_2)
	v_cmpx_gt_u32_e32 0x43800000, v4
	s_cbranch_execz .LBB175_358
; %bb.353:
	s_mov_b32 s44, 0
	s_mov_b32 s45, exec_lo
                                        ; implicit-def: $vgpr1
	v_cmpx_lt_u32_e32 0x3bffffff, v4
	s_xor_b32 s45, exec_lo, s45
	s_cbranch_execz .LBB175_593
; %bb.354:
	v_bfe_u32 v1, v4, 20, 1
	s_mov_b32 s44, exec_lo
	s_delay_alu instid0(VALU_DEP_1) | instskip(NEXT) | instid1(VALU_DEP_1)
	v_add3_u32 v1, v4, v1, 0x487ffff
                                        ; implicit-def: $vgpr4
	v_lshrrev_b32_e32 v1, 20, v1
	s_and_not1_saveexec_b32 s45, s45
	s_cbranch_execnz .LBB175_594
.LBB175_355:
	s_or_b32 exec_lo, exec_lo, s45
	v_mov_b32_e32 v5, 0
	s_and_saveexec_b32 s45, s44
.LBB175_356:
	v_mov_b32_e32 v5, v1
.LBB175_357:
	s_or_b32 exec_lo, exec_lo, s45
.LBB175_358:
	s_delay_alu instid0(SALU_CYCLE_1)
	s_or_b32 exec_lo, exec_lo, s29
	global_store_b8 v[2:3], v5, off
.LBB175_359:
	s_mov_b32 s29, -1
.LBB175_360:
	s_mov_b32 s44, 0
.LBB175_361:
	s_delay_alu instid0(SALU_CYCLE_1)
	s_and_b32 vcc_lo, exec_lo, s44
	s_cbranch_vccz .LBB175_402
; %bb.362:
	s_cmp_gt_i32 s28, 22
	s_mov_b32 s44, -1
	s_cbranch_scc0 .LBB175_394
; %bb.363:
	s_cmp_lt_i32 s28, 24
	s_mov_b32 s29, -1
	s_cbranch_scc1 .LBB175_383
; %bb.364:
	s_cmp_gt_i32 s28, 24
	s_cbranch_scc0 .LBB175_372
; %bb.365:
	s_wait_xcnt 0x0
	v_cndmask_b32_e64 v4, 0, 1.0, s26
	v_mov_b32_e32 v5, 0x80
	s_mov_b32 s29, exec_lo
	s_delay_alu instid0(VALU_DEP_2)
	v_cmpx_gt_u32_e32 0x47800000, v4
	s_cbranch_execz .LBB175_371
; %bb.366:
	s_mov_b32 s44, 0
	s_mov_b32 s45, exec_lo
                                        ; implicit-def: $vgpr1
	v_cmpx_lt_u32_e32 0x37ffffff, v4
	s_xor_b32 s45, exec_lo, s45
	s_cbranch_execz .LBB175_596
; %bb.367:
	v_bfe_u32 v1, v4, 21, 1
	s_mov_b32 s44, exec_lo
	s_delay_alu instid0(VALU_DEP_1) | instskip(NEXT) | instid1(VALU_DEP_1)
	v_add3_u32 v1, v4, v1, 0x88fffff
                                        ; implicit-def: $vgpr4
	v_lshrrev_b32_e32 v1, 21, v1
	s_and_not1_saveexec_b32 s45, s45
	s_cbranch_execnz .LBB175_597
.LBB175_368:
	s_or_b32 exec_lo, exec_lo, s45
	v_mov_b32_e32 v5, 0
	s_and_saveexec_b32 s45, s44
.LBB175_369:
	v_mov_b32_e32 v5, v1
.LBB175_370:
	s_or_b32 exec_lo, exec_lo, s45
.LBB175_371:
	s_delay_alu instid0(SALU_CYCLE_1)
	s_or_b32 exec_lo, exec_lo, s29
	s_mov_b32 s29, 0
	global_store_b8 v[2:3], v5, off
.LBB175_372:
	s_and_b32 vcc_lo, exec_lo, s29
	s_cbranch_vccz .LBB175_382
; %bb.373:
	s_wait_xcnt 0x0
	v_cndmask_b32_e64 v4, 0, 1.0, s26
	s_mov_b32 s29, exec_lo
                                        ; implicit-def: $vgpr1
	s_delay_alu instid0(VALU_DEP_1)
	v_cmpx_gt_u32_e32 0x43f00000, v4
	s_xor_b32 s29, exec_lo, s29
	s_cbranch_execz .LBB175_379
; %bb.374:
	s_mov_b32 s44, exec_lo
                                        ; implicit-def: $vgpr1
	v_cmpx_lt_u32_e32 0x3c7fffff, v4
	s_xor_b32 s44, exec_lo, s44
; %bb.375:
	v_bfe_u32 v1, v4, 20, 1
	s_delay_alu instid0(VALU_DEP_1) | instskip(NEXT) | instid1(VALU_DEP_1)
	v_add3_u32 v1, v4, v1, 0x407ffff
	v_and_b32_e32 v4, 0xff00000, v1
	v_lshrrev_b32_e32 v1, 20, v1
	s_delay_alu instid0(VALU_DEP_2) | instskip(NEXT) | instid1(VALU_DEP_2)
	v_cmp_ne_u32_e32 vcc_lo, 0x7f00000, v4
                                        ; implicit-def: $vgpr4
	v_cndmask_b32_e32 v1, 0x7e, v1, vcc_lo
; %bb.376:
	s_and_not1_saveexec_b32 s44, s44
; %bb.377:
	v_add_f32_e32 v1, 0x46800000, v4
; %bb.378:
	s_or_b32 exec_lo, exec_lo, s44
                                        ; implicit-def: $vgpr4
.LBB175_379:
	s_and_not1_saveexec_b32 s29, s29
; %bb.380:
	v_mov_b32_e32 v1, 0x7f
	v_cmp_lt_u32_e32 vcc_lo, 0x7f800000, v4
	s_delay_alu instid0(VALU_DEP_2)
	v_cndmask_b32_e32 v1, 0x7e, v1, vcc_lo
; %bb.381:
	s_or_b32 exec_lo, exec_lo, s29
	global_store_b8 v[2:3], v1, off
.LBB175_382:
	s_mov_b32 s29, 0
.LBB175_383:
	s_delay_alu instid0(SALU_CYCLE_1)
	s_and_not1_b32 vcc_lo, exec_lo, s29
	s_cbranch_vccnz .LBB175_393
; %bb.384:
	s_wait_xcnt 0x0
	v_cndmask_b32_e64 v4, 0, 1.0, s26
	s_mov_b32 s29, exec_lo
                                        ; implicit-def: $vgpr1
	s_delay_alu instid0(VALU_DEP_1)
	v_cmpx_gt_u32_e32 0x47800000, v4
	s_xor_b32 s29, exec_lo, s29
	s_cbranch_execz .LBB175_390
; %bb.385:
	s_mov_b32 s44, exec_lo
                                        ; implicit-def: $vgpr1
	v_cmpx_lt_u32_e32 0x387fffff, v4
	s_xor_b32 s44, exec_lo, s44
; %bb.386:
	v_bfe_u32 v1, v4, 21, 1
	s_delay_alu instid0(VALU_DEP_1) | instskip(NEXT) | instid1(VALU_DEP_1)
	v_add3_u32 v1, v4, v1, 0x80fffff
                                        ; implicit-def: $vgpr4
	v_lshrrev_b32_e32 v1, 21, v1
; %bb.387:
	s_and_not1_saveexec_b32 s44, s44
; %bb.388:
	v_add_f32_e32 v1, 0x43000000, v4
; %bb.389:
	s_or_b32 exec_lo, exec_lo, s44
                                        ; implicit-def: $vgpr4
.LBB175_390:
	s_and_not1_saveexec_b32 s29, s29
; %bb.391:
	v_mov_b32_e32 v1, 0x7f
	v_cmp_lt_u32_e32 vcc_lo, 0x7f800000, v4
	s_delay_alu instid0(VALU_DEP_2)
	v_cndmask_b32_e32 v1, 0x7c, v1, vcc_lo
; %bb.392:
	s_or_b32 exec_lo, exec_lo, s29
	global_store_b8 v[2:3], v1, off
.LBB175_393:
	s_mov_b32 s44, 0
	s_mov_b32 s29, -1
.LBB175_394:
	s_and_not1_b32 vcc_lo, exec_lo, s44
	s_cbranch_vccnz .LBB175_402
; %bb.395:
	s_cmp_gt_i32 s28, 14
	s_mov_b32 s44, -1
	s_cbranch_scc0 .LBB175_399
; %bb.396:
	s_cmp_eq_u32 s28, 15
	s_mov_b32 s0, -1
	s_cbranch_scc0 .LBB175_398
; %bb.397:
	s_wait_xcnt 0x0
	v_cndmask_b32_e64 v1, 0, 1.0, s26
	s_mov_b32 s29, -1
	s_mov_b32 s0, 0
	s_delay_alu instid0(VALU_DEP_1) | instskip(NEXT) | instid1(VALU_DEP_1)
	v_bfe_u32 v4, v1, 16, 1
	v_add3_u32 v1, v1, v4, 0x7fff
	global_store_d16_hi_b16 v[2:3], v1, off
.LBB175_398:
	s_mov_b32 s44, 0
.LBB175_399:
	s_delay_alu instid0(SALU_CYCLE_1)
	s_and_b32 vcc_lo, exec_lo, s44
	s_cbranch_vccz .LBB175_402
; %bb.400:
	s_cmp_eq_u32 s28, 11
	s_mov_b32 s0, -1
	s_cbranch_scc0 .LBB175_402
; %bb.401:
	s_wait_xcnt 0x0
	v_cndmask_b32_e64 v1, 0, 1, s26
	s_mov_b32 s29, -1
	s_mov_b32 s0, 0
	global_store_b8 v[2:3], v1, off
.LBB175_402:
	s_mov_b32 s28, 0
.LBB175_403:
	s_delay_alu instid0(SALU_CYCLE_1)
	s_and_b32 vcc_lo, exec_lo, s28
	s_cbranch_vccz .LBB175_442
; %bb.404:
	s_and_b32 s27, 0xffff, s27
	s_mov_b32 s28, -1
	s_cmp_lt_i32 s27, 5
	s_cbranch_scc1 .LBB175_425
; %bb.405:
	s_cmp_lt_i32 s27, 8
	s_cbranch_scc1 .LBB175_415
; %bb.406:
	;; [unrolled: 3-line block ×3, first 2 shown]
	s_cmp_gt_i32 s27, 9
	s_cbranch_scc0 .LBB175_409
; %bb.408:
	s_wait_xcnt 0x0
	v_cndmask_b32_e64 v1, 0, 1, s26
	v_mov_b32_e32 v6, 0
	s_mov_b32 s28, 0
	s_delay_alu instid0(VALU_DEP_2) | instskip(NEXT) | instid1(VALU_DEP_2)
	v_cvt_f64_u32_e32 v[4:5], v1
	v_mov_b32_e32 v7, v6
	global_store_b128 v[2:3], v[4:7], off
.LBB175_409:
	s_and_not1_b32 vcc_lo, exec_lo, s28
	s_cbranch_vccnz .LBB175_411
; %bb.410:
	s_wait_xcnt 0x0
	v_cndmask_b32_e64 v4, 0, 1.0, s26
	v_mov_b32_e32 v5, 0
	global_store_b64 v[2:3], v[4:5], off
.LBB175_411:
	s_mov_b32 s28, 0
.LBB175_412:
	s_delay_alu instid0(SALU_CYCLE_1)
	s_and_not1_b32 vcc_lo, exec_lo, s28
	s_cbranch_vccnz .LBB175_414
; %bb.413:
	s_wait_xcnt 0x0
	v_cndmask_b32_e64 v1, 0, 1.0, s26
	s_delay_alu instid0(VALU_DEP_1) | instskip(NEXT) | instid1(VALU_DEP_1)
	v_cvt_f16_f32_e32 v1, v1
	v_and_b32_e32 v1, 0xffff, v1
	global_store_b32 v[2:3], v1, off
.LBB175_414:
	s_mov_b32 s28, 0
.LBB175_415:
	s_delay_alu instid0(SALU_CYCLE_1)
	s_and_not1_b32 vcc_lo, exec_lo, s28
	s_cbranch_vccnz .LBB175_424
; %bb.416:
	s_cmp_lt_i32 s27, 6
	s_mov_b32 s28, -1
	s_cbranch_scc1 .LBB175_422
; %bb.417:
	s_cmp_gt_i32 s27, 6
	s_cbranch_scc0 .LBB175_419
; %bb.418:
	s_wait_xcnt 0x0
	v_cndmask_b32_e64 v1, 0, 1, s26
	s_mov_b32 s28, 0
	s_delay_alu instid0(VALU_DEP_1)
	v_cvt_f64_u32_e32 v[4:5], v1
	global_store_b64 v[2:3], v[4:5], off
.LBB175_419:
	s_and_not1_b32 vcc_lo, exec_lo, s28
	s_cbranch_vccnz .LBB175_421
; %bb.420:
	s_wait_xcnt 0x0
	v_cndmask_b32_e64 v1, 0, 1.0, s26
	global_store_b32 v[2:3], v1, off
.LBB175_421:
	s_mov_b32 s28, 0
.LBB175_422:
	s_delay_alu instid0(SALU_CYCLE_1)
	s_and_not1_b32 vcc_lo, exec_lo, s28
	s_cbranch_vccnz .LBB175_424
; %bb.423:
	s_wait_xcnt 0x0
	v_cndmask_b32_e64 v1, 0, 1.0, s26
	s_delay_alu instid0(VALU_DEP_1)
	v_cvt_f16_f32_e32 v1, v1
	global_store_b16 v[2:3], v1, off
.LBB175_424:
	s_mov_b32 s28, 0
.LBB175_425:
	s_delay_alu instid0(SALU_CYCLE_1)
	s_and_not1_b32 vcc_lo, exec_lo, s28
	s_cbranch_vccnz .LBB175_441
; %bb.426:
	s_cmp_lt_i32 s27, 2
	s_mov_b32 s28, -1
	s_cbranch_scc1 .LBB175_436
; %bb.427:
	s_cmp_lt_i32 s27, 3
	s_cbranch_scc1 .LBB175_433
; %bb.428:
	s_cmp_gt_i32 s27, 3
	s_cbranch_scc0 .LBB175_430
; %bb.429:
	s_mov_b32 s28, 0
	s_wait_xcnt 0x0
	v_cndmask_b32_e64 v4, 0, 1, s26
	v_mov_b32_e32 v5, s28
	global_store_b64 v[2:3], v[4:5], off
.LBB175_430:
	s_and_not1_b32 vcc_lo, exec_lo, s28
	s_cbranch_vccnz .LBB175_432
; %bb.431:
	s_wait_xcnt 0x0
	v_cndmask_b32_e64 v1, 0, 1, s26
	global_store_b32 v[2:3], v1, off
.LBB175_432:
	s_mov_b32 s28, 0
.LBB175_433:
	s_delay_alu instid0(SALU_CYCLE_1)
	s_and_not1_b32 vcc_lo, exec_lo, s28
	s_cbranch_vccnz .LBB175_435
; %bb.434:
	s_wait_xcnt 0x0
	v_cndmask_b32_e64 v1, 0, 1, s26
	global_store_b16 v[2:3], v1, off
.LBB175_435:
	s_mov_b32 s28, 0
.LBB175_436:
	s_delay_alu instid0(SALU_CYCLE_1)
	s_and_not1_b32 vcc_lo, exec_lo, s28
	s_cbranch_vccnz .LBB175_441
; %bb.437:
	s_wait_xcnt 0x0
	v_cndmask_b32_e64 v1, 0, 1, s26
	s_cmp_gt_i32 s27, 0
	s_mov_b32 s26, -1
	s_cbranch_scc0 .LBB175_439
; %bb.438:
	s_mov_b32 s26, 0
	global_store_b8 v[2:3], v1, off
.LBB175_439:
	s_and_not1_b32 vcc_lo, exec_lo, s26
	s_cbranch_vccnz .LBB175_441
; %bb.440:
	global_store_b8 v[2:3], v1, off
.LBB175_441:
	s_mov_b32 s29, -1
.LBB175_442:
	s_delay_alu instid0(SALU_CYCLE_1)
	s_and_not1_b32 vcc_lo, exec_lo, s29
	s_cbranch_vccnz .LBB175_444
; %bb.443:
	v_add_nc_u32_e32 v0, 0x80, v0
	s_mov_b32 s26, -1
	s_branch .LBB175_562
.LBB175_444:
	s_mov_b32 s26, 0
	s_branch .LBB175_561
.LBB175_445:
	s_mov_b32 s1, -1
                                        ; implicit-def: $vgpr1
.LBB175_446:
	v_mov_b32_e32 v3, 0
.LBB175_447:
	s_mov_b32 s27, 0
.LBB175_448:
	s_delay_alu instid0(SALU_CYCLE_1)
	s_and_b32 vcc_lo, exec_lo, s27
	s_cbranch_vccz .LBB175_453
; %bb.449:
	s_cmp_eq_u32 s0, 29
	s_cbranch_scc0 .LBB175_451
; %bb.450:
	global_load_b64 v[6:7], v[4:5], off
	s_mov_b32 s26, -1
	s_mov_b32 s1, 0
	s_wait_loadcnt 0x0
	v_clz_i32_u32_e32 v1, v7
	s_delay_alu instid0(VALU_DEP_1) | instskip(NEXT) | instid1(VALU_DEP_1)
	v_min_u32_e32 v1, 32, v1
	v_lshlrev_b64_e32 v[6:7], v1, v[6:7]
	v_sub_nc_u32_e32 v1, 32, v1
	s_delay_alu instid0(VALU_DEP_2) | instskip(NEXT) | instid1(VALU_DEP_1)
	v_min_u32_e32 v3, 1, v6
	v_or_b32_e32 v3, v7, v3
	s_delay_alu instid0(VALU_DEP_1) | instskip(NEXT) | instid1(VALU_DEP_1)
	v_cvt_f32_u32_e32 v3, v3
	v_ldexp_f32 v1, v3, v1
	s_delay_alu instid0(VALU_DEP_1) | instskip(NEXT) | instid1(VALU_DEP_1)
	v_bfe_u32 v3, v1, 16, 1
	v_add3_u32 v1, v1, v3, 0x7fff
	s_delay_alu instid0(VALU_DEP_1)
	v_lshrrev_b32_e32 v1, 16, v1
	s_branch .LBB175_452
.LBB175_451:
	s_mov_b32 s1, -1
                                        ; implicit-def: $vgpr1
.LBB175_452:
	v_mov_b32_e32 v3, 0
.LBB175_453:
	s_mov_b32 s27, 0
.LBB175_454:
	s_delay_alu instid0(SALU_CYCLE_1)
	s_and_b32 vcc_lo, exec_lo, s27
	s_cbranch_vccz .LBB175_472
; %bb.455:
	s_cmp_lt_i32 s0, 27
	s_cbranch_scc1 .LBB175_458
; %bb.456:
	s_cmp_gt_i32 s0, 27
	s_cbranch_scc0 .LBB175_459
; %bb.457:
	s_wait_loadcnt 0x0
	global_load_b32 v1, v[4:5], off
	s_mov_b32 s26, 0
	s_wait_loadcnt 0x0
	v_cvt_f32_u32_e32 v1, v1
	s_delay_alu instid0(VALU_DEP_1) | instskip(NEXT) | instid1(VALU_DEP_1)
	v_bfe_u32 v3, v1, 16, 1
	v_add3_u32 v1, v1, v3, 0x7fff
	s_delay_alu instid0(VALU_DEP_1)
	v_lshrrev_b32_e32 v1, 16, v1
	s_branch .LBB175_460
.LBB175_458:
	s_mov_b32 s26, -1
                                        ; implicit-def: $vgpr1
	s_branch .LBB175_463
.LBB175_459:
	s_mov_b32 s26, -1
                                        ; implicit-def: $vgpr1
.LBB175_460:
	s_delay_alu instid0(SALU_CYCLE_1)
	s_and_not1_b32 vcc_lo, exec_lo, s26
	s_cbranch_vccnz .LBB175_462
; %bb.461:
	s_wait_loadcnt 0x0
	global_load_u16 v1, v[4:5], off
	s_wait_loadcnt 0x0
	v_cvt_f32_u32_e32 v1, v1
	s_delay_alu instid0(VALU_DEP_1) | instskip(NEXT) | instid1(VALU_DEP_1)
	v_bfe_u32 v3, v1, 16, 1
	v_add3_u32 v1, v1, v3, 0x7fff
	s_delay_alu instid0(VALU_DEP_1)
	v_lshrrev_b32_e32 v1, 16, v1
.LBB175_462:
	s_mov_b32 s26, 0
.LBB175_463:
	s_delay_alu instid0(SALU_CYCLE_1)
	s_and_not1_b32 vcc_lo, exec_lo, s26
	s_cbranch_vccnz .LBB175_471
; %bb.464:
	s_wait_loadcnt 0x0
	global_load_u8 v1, v[4:5], off
	s_mov_b32 s26, 0
	s_mov_b32 s27, exec_lo
	s_wait_loadcnt 0x0
	v_cmpx_lt_i16_e32 0x7f, v1
	s_xor_b32 s27, exec_lo, s27
	s_cbranch_execz .LBB175_485
; %bb.465:
	s_mov_b32 s26, -1
	s_mov_b32 s28, exec_lo
	v_cmpx_eq_u16_e32 0x80, v1
; %bb.466:
	s_xor_b32 s26, exec_lo, -1
; %bb.467:
	s_or_b32 exec_lo, exec_lo, s28
	s_delay_alu instid0(SALU_CYCLE_1)
	s_and_b32 s26, s26, exec_lo
	s_or_saveexec_b32 s27, s27
	v_mov_b32_e32 v3, 0x7f800001
	s_xor_b32 exec_lo, exec_lo, s27
	s_cbranch_execnz .LBB175_486
.LBB175_468:
	s_or_b32 exec_lo, exec_lo, s27
	s_and_saveexec_b32 s27, s26
	s_cbranch_execz .LBB175_470
.LBB175_469:
	v_and_b32_e32 v3, 0xffff, v1
	s_delay_alu instid0(VALU_DEP_1) | instskip(SKIP_1) | instid1(VALU_DEP_2)
	v_dual_lshlrev_b32 v1, 24, v1 :: v_dual_bitop2_b32 v6, 7, v3 bitop3:0x40
	v_bfe_u32 v9, v3, 3, 4
	v_and_b32_e32 v1, 0x80000000, v1
	s_delay_alu instid0(VALU_DEP_3) | instskip(NEXT) | instid1(VALU_DEP_3)
	v_clz_i32_u32_e32 v7, v6
	v_cmp_eq_u32_e32 vcc_lo, 0, v9
	s_delay_alu instid0(VALU_DEP_2) | instskip(NEXT) | instid1(VALU_DEP_1)
	v_min_u32_e32 v7, 32, v7
	v_subrev_nc_u32_e32 v8, 28, v7
	v_sub_nc_u32_e32 v7, 29, v7
	s_delay_alu instid0(VALU_DEP_2) | instskip(NEXT) | instid1(VALU_DEP_2)
	v_lshlrev_b32_e32 v3, v8, v3
	v_cndmask_b32_e32 v7, v9, v7, vcc_lo
	s_delay_alu instid0(VALU_DEP_2) | instskip(NEXT) | instid1(VALU_DEP_1)
	v_and_b32_e32 v3, 7, v3
	v_cndmask_b32_e32 v3, v6, v3, vcc_lo
	s_delay_alu instid0(VALU_DEP_3) | instskip(NEXT) | instid1(VALU_DEP_2)
	v_lshl_add_u32 v6, v7, 23, 0x3b800000
	v_lshlrev_b32_e32 v3, 20, v3
	s_delay_alu instid0(VALU_DEP_1)
	v_or3_b32 v3, v1, v6, v3
.LBB175_470:
	s_or_b32 exec_lo, exec_lo, s27
	s_delay_alu instid0(VALU_DEP_1) | instskip(SKIP_1) | instid1(VALU_DEP_2)
	v_bfe_u32 v1, v3, 16, 1
	v_cmp_o_f32_e32 vcc_lo, v3, v3
	v_add3_u32 v1, v3, v1, 0x7fff
	s_delay_alu instid0(VALU_DEP_1) | instskip(NEXT) | instid1(VALU_DEP_1)
	v_lshrrev_b32_e32 v1, 16, v1
	v_cndmask_b32_e32 v1, 0x7fc0, v1, vcc_lo
.LBB175_471:
	v_mov_b32_e32 v3, 0
	s_mov_b32 s26, -1
.LBB175_472:
	s_mov_b32 s27, 0
.LBB175_473:
	s_delay_alu instid0(SALU_CYCLE_1)
	s_and_b32 vcc_lo, exec_lo, s27
	s_cbranch_vccz .LBB175_509
; %bb.474:
	s_cmp_gt_i32 s0, 22
	s_cbranch_scc0 .LBB175_484
; %bb.475:
	s_cmp_lt_i32 s0, 24
	s_cbranch_scc1 .LBB175_487
; %bb.476:
	s_cmp_gt_i32 s0, 24
	s_cbranch_scc0 .LBB175_488
; %bb.477:
	s_wait_loadcnt 0x0
	global_load_u8 v1, v[4:5], off
	s_mov_b32 s26, 0
	s_mov_b32 s27, exec_lo
	s_wait_loadcnt 0x0
	v_cmpx_lt_i16_e32 0x7f, v1
	s_xor_b32 s27, exec_lo, s27
	s_cbranch_execz .LBB175_500
; %bb.478:
	s_mov_b32 s26, -1
	s_mov_b32 s28, exec_lo
	v_cmpx_eq_u16_e32 0x80, v1
; %bb.479:
	s_xor_b32 s26, exec_lo, -1
; %bb.480:
	s_or_b32 exec_lo, exec_lo, s28
	s_delay_alu instid0(SALU_CYCLE_1)
	s_and_b32 s26, s26, exec_lo
	s_or_saveexec_b32 s27, s27
	v_mov_b32_e32 v3, 0x7f800001
	s_xor_b32 exec_lo, exec_lo, s27
	s_cbranch_execnz .LBB175_501
.LBB175_481:
	s_or_b32 exec_lo, exec_lo, s27
	s_and_saveexec_b32 s27, s26
	s_cbranch_execz .LBB175_483
.LBB175_482:
	v_and_b32_e32 v3, 0xffff, v1
	s_delay_alu instid0(VALU_DEP_1) | instskip(SKIP_1) | instid1(VALU_DEP_2)
	v_dual_lshlrev_b32 v1, 24, v1 :: v_dual_bitop2_b32 v6, 3, v3 bitop3:0x40
	v_bfe_u32 v9, v3, 2, 5
	v_and_b32_e32 v1, 0x80000000, v1
	s_delay_alu instid0(VALU_DEP_3) | instskip(NEXT) | instid1(VALU_DEP_3)
	v_clz_i32_u32_e32 v7, v6
	v_cmp_eq_u32_e32 vcc_lo, 0, v9
	s_delay_alu instid0(VALU_DEP_2) | instskip(NEXT) | instid1(VALU_DEP_1)
	v_min_u32_e32 v7, 32, v7
	v_subrev_nc_u32_e32 v8, 29, v7
	v_sub_nc_u32_e32 v7, 30, v7
	s_delay_alu instid0(VALU_DEP_2) | instskip(NEXT) | instid1(VALU_DEP_2)
	v_lshlrev_b32_e32 v3, v8, v3
	v_cndmask_b32_e32 v7, v9, v7, vcc_lo
	s_delay_alu instid0(VALU_DEP_2) | instskip(NEXT) | instid1(VALU_DEP_1)
	v_and_b32_e32 v3, 3, v3
	v_cndmask_b32_e32 v3, v6, v3, vcc_lo
	s_delay_alu instid0(VALU_DEP_3) | instskip(NEXT) | instid1(VALU_DEP_2)
	v_lshl_add_u32 v6, v7, 23, 0x37800000
	v_lshlrev_b32_e32 v3, 21, v3
	s_delay_alu instid0(VALU_DEP_1)
	v_or3_b32 v3, v1, v6, v3
.LBB175_483:
	s_or_b32 exec_lo, exec_lo, s27
	s_delay_alu instid0(VALU_DEP_1) | instskip(SKIP_2) | instid1(VALU_DEP_2)
	v_bfe_u32 v1, v3, 16, 1
	v_cmp_o_f32_e32 vcc_lo, v3, v3
	s_mov_b32 s26, 0
	v_add3_u32 v1, v3, v1, 0x7fff
	s_delay_alu instid0(VALU_DEP_1) | instskip(NEXT) | instid1(VALU_DEP_1)
	v_lshrrev_b32_e32 v1, 16, v1
	v_cndmask_b32_e32 v1, 0x7fc0, v1, vcc_lo
	s_branch .LBB175_489
.LBB175_484:
	s_mov_b32 s27, -1
                                        ; implicit-def: $vgpr1
	s_branch .LBB175_495
.LBB175_485:
	s_or_saveexec_b32 s27, s27
	v_mov_b32_e32 v3, 0x7f800001
	s_xor_b32 exec_lo, exec_lo, s27
	s_cbranch_execz .LBB175_468
.LBB175_486:
	v_cmp_ne_u16_e32 vcc_lo, 0, v1
	v_mov_b32_e32 v3, 0
	s_and_not1_b32 s26, s26, exec_lo
	s_and_b32 s28, vcc_lo, exec_lo
	s_delay_alu instid0(SALU_CYCLE_1)
	s_or_b32 s26, s26, s28
	s_or_b32 exec_lo, exec_lo, s27
	s_and_saveexec_b32 s27, s26
	s_cbranch_execnz .LBB175_469
	s_branch .LBB175_470
.LBB175_487:
	s_mov_b32 s26, -1
                                        ; implicit-def: $vgpr1
	s_branch .LBB175_492
.LBB175_488:
	s_mov_b32 s26, -1
                                        ; implicit-def: $vgpr1
.LBB175_489:
	s_delay_alu instid0(SALU_CYCLE_1)
	s_and_b32 vcc_lo, exec_lo, s26
	s_cbranch_vccz .LBB175_491
; %bb.490:
	s_wait_loadcnt 0x0
	global_load_u8 v1, v[4:5], off
	s_wait_loadcnt 0x0
	v_lshlrev_b32_e32 v1, 24, v1
	s_delay_alu instid0(VALU_DEP_1) | instskip(NEXT) | instid1(VALU_DEP_1)
	v_and_b32_e32 v3, 0x7f000000, v1
	v_clz_i32_u32_e32 v6, v3
	v_cmp_ne_u32_e32 vcc_lo, 0, v3
	v_add_nc_u32_e32 v8, 0x1000000, v3
	s_delay_alu instid0(VALU_DEP_3) | instskip(NEXT) | instid1(VALU_DEP_1)
	v_min_u32_e32 v6, 32, v6
	v_sub_nc_u32_e64 v6, v6, 4 clamp
	s_delay_alu instid0(VALU_DEP_1) | instskip(NEXT) | instid1(VALU_DEP_1)
	v_dual_lshlrev_b32 v7, v6, v3 :: v_dual_lshlrev_b32 v6, 23, v6
	v_lshrrev_b32_e32 v7, 4, v7
	s_delay_alu instid0(VALU_DEP_1) | instskip(NEXT) | instid1(VALU_DEP_1)
	v_dual_sub_nc_u32 v6, v7, v6 :: v_dual_ashrrev_i32 v7, 8, v8
	v_add_nc_u32_e32 v6, 0x3c000000, v6
	s_delay_alu instid0(VALU_DEP_1) | instskip(NEXT) | instid1(VALU_DEP_1)
	v_and_or_b32 v6, 0x7f800000, v7, v6
	v_cndmask_b32_e32 v3, 0, v6, vcc_lo
	s_delay_alu instid0(VALU_DEP_1) | instskip(SKIP_1) | instid1(VALU_DEP_2)
	v_and_or_b32 v1, 0x80000000, v1, v3
	v_bfe_u32 v3, v3, 16, 1
	v_cmp_o_f32_e32 vcc_lo, v1, v1
	s_delay_alu instid0(VALU_DEP_2) | instskip(NEXT) | instid1(VALU_DEP_1)
	v_add3_u32 v3, v1, v3, 0x7fff
	v_lshrrev_b32_e32 v3, 16, v3
	s_delay_alu instid0(VALU_DEP_1)
	v_cndmask_b32_e32 v1, 0x7fc0, v3, vcc_lo
.LBB175_491:
	s_mov_b32 s26, 0
.LBB175_492:
	s_delay_alu instid0(SALU_CYCLE_1)
	s_and_not1_b32 vcc_lo, exec_lo, s26
	s_cbranch_vccnz .LBB175_494
; %bb.493:
	s_wait_loadcnt 0x0
	global_load_u8 v1, v[4:5], off
	s_wait_loadcnt 0x0
	v_lshlrev_b32_e32 v3, 25, v1
	v_lshlrev_b16 v1, 8, v1
	s_delay_alu instid0(VALU_DEP_1) | instskip(SKIP_1) | instid1(VALU_DEP_2)
	v_and_or_b32 v7, 0x7f00, v1, 0.5
	v_bfe_i32 v1, v1, 0, 16
	v_add_f32_e32 v7, -0.5, v7
	v_lshrrev_b32_e32 v6, 4, v3
	v_cmp_gt_u32_e32 vcc_lo, 0x8000000, v3
	s_delay_alu instid0(VALU_DEP_2) | instskip(NEXT) | instid1(VALU_DEP_1)
	v_or_b32_e32 v6, 0x70000000, v6
	v_mul_f32_e32 v6, 0x7800000, v6
	s_delay_alu instid0(VALU_DEP_1) | instskip(NEXT) | instid1(VALU_DEP_1)
	v_cndmask_b32_e32 v3, v6, v7, vcc_lo
	v_and_or_b32 v1, 0x80000000, v1, v3
	v_bfe_u32 v3, v3, 16, 1
	s_delay_alu instid0(VALU_DEP_2) | instskip(NEXT) | instid1(VALU_DEP_2)
	v_cmp_o_f32_e32 vcc_lo, v1, v1
	v_add3_u32 v3, v1, v3, 0x7fff
	s_delay_alu instid0(VALU_DEP_1) | instskip(NEXT) | instid1(VALU_DEP_1)
	v_lshrrev_b32_e32 v3, 16, v3
	v_cndmask_b32_e32 v1, 0x7fc0, v3, vcc_lo
.LBB175_494:
	s_mov_b32 s27, 0
	s_mov_b32 s26, -1
.LBB175_495:
	s_and_not1_b32 vcc_lo, exec_lo, s27
	s_cbranch_vccnz .LBB175_508
; %bb.496:
	s_cmp_gt_i32 s0, 14
	s_cbranch_scc0 .LBB175_499
; %bb.497:
	s_cmp_eq_u32 s0, 15
	s_cbranch_scc0 .LBB175_502
; %bb.498:
	s_wait_loadcnt 0x0
	global_load_u16 v1, v[4:5], off
	s_mov_b32 s26, -1
	s_mov_b32 s1, 0
	s_branch .LBB175_503
.LBB175_499:
	s_mov_b32 s27, -1
                                        ; implicit-def: $vgpr1
	s_branch .LBB175_504
.LBB175_500:
	s_or_saveexec_b32 s27, s27
	v_mov_b32_e32 v3, 0x7f800001
	s_xor_b32 exec_lo, exec_lo, s27
	s_cbranch_execz .LBB175_481
.LBB175_501:
	v_cmp_ne_u16_e32 vcc_lo, 0, v1
	v_mov_b32_e32 v3, 0
	s_and_not1_b32 s26, s26, exec_lo
	s_and_b32 s28, vcc_lo, exec_lo
	s_delay_alu instid0(SALU_CYCLE_1)
	s_or_b32 s26, s26, s28
	s_or_b32 exec_lo, exec_lo, s27
	s_and_saveexec_b32 s27, s26
	s_cbranch_execnz .LBB175_482
	s_branch .LBB175_483
.LBB175_502:
	s_mov_b32 s1, -1
                                        ; implicit-def: $vgpr1
.LBB175_503:
	s_mov_b32 s27, 0
.LBB175_504:
	s_delay_alu instid0(SALU_CYCLE_1)
	s_and_b32 vcc_lo, exec_lo, s27
	s_cbranch_vccz .LBB175_508
; %bb.505:
	s_cmp_eq_u32 s0, 11
	s_cbranch_scc0 .LBB175_507
; %bb.506:
	s_wait_loadcnt 0x0
	global_load_u8 v1, v[4:5], off
	s_mov_b32 s1, 0
	s_mov_b32 s26, -1
	v_mov_b32_e32 v3, 0
	s_wait_loadcnt 0x0
	v_cmp_ne_u16_e32 vcc_lo, 0, v1
	v_cndmask_b32_e64 v1, 0, 1.0, vcc_lo
	s_delay_alu instid0(VALU_DEP_1)
	v_lshrrev_b32_e32 v1, 16, v1
	s_branch .LBB175_509
.LBB175_507:
	s_mov_b32 s1, -1
                                        ; implicit-def: $vgpr1
.LBB175_508:
	v_mov_b32_e32 v3, 0
.LBB175_509:
	s_branch .LBB175_304
.LBB175_510:
	s_cmp_lt_i32 s0, 5
	s_cbranch_scc1 .LBB175_515
; %bb.511:
	s_cmp_lt_i32 s0, 8
	s_cbranch_scc1 .LBB175_516
; %bb.512:
	;; [unrolled: 3-line block ×3, first 2 shown]
	s_cmp_gt_i32 s0, 9
	s_cbranch_scc0 .LBB175_518
; %bb.514:
	global_load_b128 v[6:9], v[4:5], off
	s_mov_b32 s26, 0
	s_wait_loadcnt 0x0
	v_cvt_f32_f64_e32 v1, v[6:7]
	v_cvt_f32_f64_e32 v3, v[8:9]
	s_delay_alu instid0(VALU_DEP_2) | instskip(NEXT) | instid1(VALU_DEP_2)
	v_bfe_u32 v6, v1, 16, 1
	v_bfe_u32 v7, v3, 16, 1
	v_cmp_o_f32_e32 vcc_lo, v1, v1
	s_delay_alu instid0(VALU_DEP_3) | instskip(NEXT) | instid1(VALU_DEP_3)
	v_add3_u32 v6, v1, v6, 0x7fff
	v_add3_u32 v7, v3, v7, 0x7fff
	s_delay_alu instid0(VALU_DEP_1) | instskip(NEXT) | instid1(VALU_DEP_3)
	v_and_b32_e32 v7, 0xffff0000, v7
	v_lshrrev_b32_e32 v6, 16, v6
	s_delay_alu instid0(VALU_DEP_1) | instskip(SKIP_1) | instid1(VALU_DEP_4)
	v_cndmask_b32_e32 v1, 0x7fc0, v6, vcc_lo
	v_cmp_o_f32_e32 vcc_lo, v3, v3
	v_cndmask_b32_e32 v3, 0x7fc00000, v7, vcc_lo
	s_branch .LBB175_519
.LBB175_515:
	s_mov_b32 s26, -1
                                        ; implicit-def: $vgpr3
                                        ; implicit-def: $vgpr1
	s_branch .LBB175_538
.LBB175_516:
	s_mov_b32 s26, -1
                                        ; implicit-def: $vgpr3
                                        ; implicit-def: $vgpr1
	s_branch .LBB175_525
.LBB175_517:
	s_mov_b32 s26, -1
                                        ; implicit-def: $vgpr3
                                        ; implicit-def: $vgpr1
	s_branch .LBB175_522
.LBB175_518:
	s_mov_b32 s26, -1
                                        ; implicit-def: $vgpr3
                                        ; implicit-def: $vgpr1
.LBB175_519:
	s_delay_alu instid0(SALU_CYCLE_1)
	s_and_not1_b32 vcc_lo, exec_lo, s26
	s_cbranch_vccnz .LBB175_521
; %bb.520:
	global_load_b64 v[6:7], v[4:5], off
	s_wait_loadcnt 0x0
	v_bfe_u32 v1, v6, 16, 1
	v_bfe_u32 v3, v7, 16, 1
	v_cmp_o_f32_e32 vcc_lo, v6, v6
	s_delay_alu instid0(VALU_DEP_3) | instskip(NEXT) | instid1(VALU_DEP_3)
	v_add3_u32 v1, v6, v1, 0x7fff
	v_add3_u32 v3, v7, v3, 0x7fff
	s_delay_alu instid0(VALU_DEP_2) | instskip(NEXT) | instid1(VALU_DEP_2)
	v_lshrrev_b32_e32 v1, 16, v1
	v_and_b32_e32 v3, 0xffff0000, v3
	s_delay_alu instid0(VALU_DEP_2) | instskip(SKIP_1) | instid1(VALU_DEP_3)
	v_cndmask_b32_e32 v1, 0x7fc0, v1, vcc_lo
	v_cmp_o_f32_e32 vcc_lo, v7, v7
	v_cndmask_b32_e32 v3, 0x7fc00000, v3, vcc_lo
.LBB175_521:
	s_mov_b32 s26, 0
.LBB175_522:
	s_delay_alu instid0(SALU_CYCLE_1)
	s_and_not1_b32 vcc_lo, exec_lo, s26
	s_cbranch_vccnz .LBB175_524
; %bb.523:
	s_wait_loadcnt 0x0
	global_load_b32 v1, v[4:5], off
	s_wait_loadcnt 0x0
	v_cvt_f32_f16_e32 v6, v1
	v_cmp_o_f16_e32 vcc_lo, v1, v1
	s_delay_alu instid0(VALU_DEP_2) | instskip(NEXT) | instid1(VALU_DEP_1)
	v_bfe_u32 v8, v6, 16, 1
	v_add3_u32 v6, v6, v8, 0x7fff
	s_delay_alu instid0(VALU_DEP_1) | instskip(NEXT) | instid1(VALU_DEP_1)
	v_dual_lshrrev_b32 v3, 16, v1 :: v_dual_lshrrev_b32 v6, 16, v6
	v_cvt_f32_f16_e32 v7, v3
	s_delay_alu instid0(VALU_DEP_2) | instskip(NEXT) | instid1(VALU_DEP_2)
	v_cndmask_b32_e32 v1, 0x7fc0, v6, vcc_lo
	v_bfe_u32 v9, v7, 16, 1
	v_cmp_o_f16_e32 vcc_lo, v3, v3
	s_delay_alu instid0(VALU_DEP_2) | instskip(NEXT) | instid1(VALU_DEP_1)
	v_add3_u32 v7, v7, v9, 0x7fff
	v_and_b32_e32 v7, 0xffff0000, v7
	s_delay_alu instid0(VALU_DEP_1)
	v_cndmask_b32_e32 v3, 0x7fc00000, v7, vcc_lo
.LBB175_524:
	s_mov_b32 s26, 0
.LBB175_525:
	s_delay_alu instid0(SALU_CYCLE_1)
	s_and_not1_b32 vcc_lo, exec_lo, s26
	s_cbranch_vccnz .LBB175_537
; %bb.526:
	s_cmp_lt_i32 s0, 6
	s_cbranch_scc1 .LBB175_529
; %bb.527:
	s_cmp_gt_i32 s0, 6
	s_cbranch_scc0 .LBB175_530
; %bb.528:
	global_load_b64 v[6:7], v[4:5], off
	s_mov_b32 s26, 0
	s_wait_loadcnt 0x0
	v_cvt_f32_f64_e32 v1, v[6:7]
	s_delay_alu instid0(VALU_DEP_1) | instskip(SKIP_1) | instid1(VALU_DEP_2)
	v_bfe_u32 v3, v1, 16, 1
	v_cmp_o_f32_e32 vcc_lo, v1, v1
	v_add3_u32 v3, v1, v3, 0x7fff
	s_delay_alu instid0(VALU_DEP_1) | instskip(NEXT) | instid1(VALU_DEP_1)
	v_lshrrev_b32_e32 v3, 16, v3
	v_cndmask_b32_e32 v1, 0x7fc0, v3, vcc_lo
	s_branch .LBB175_531
.LBB175_529:
	s_mov_b32 s26, -1
                                        ; implicit-def: $vgpr1
	s_branch .LBB175_534
.LBB175_530:
	s_mov_b32 s26, -1
                                        ; implicit-def: $vgpr1
.LBB175_531:
	s_delay_alu instid0(SALU_CYCLE_1)
	s_and_not1_b32 vcc_lo, exec_lo, s26
	s_cbranch_vccnz .LBB175_533
; %bb.532:
	s_wait_loadcnt 0x0
	global_load_b32 v1, v[4:5], off
	s_wait_loadcnt 0x0
	v_bfe_u32 v3, v1, 16, 1
	v_cmp_o_f32_e32 vcc_lo, v1, v1
	s_delay_alu instid0(VALU_DEP_2) | instskip(NEXT) | instid1(VALU_DEP_1)
	v_add3_u32 v3, v1, v3, 0x7fff
	v_lshrrev_b32_e32 v3, 16, v3
	s_delay_alu instid0(VALU_DEP_1)
	v_cndmask_b32_e32 v1, 0x7fc0, v3, vcc_lo
.LBB175_533:
	s_mov_b32 s26, 0
.LBB175_534:
	s_delay_alu instid0(SALU_CYCLE_1)
	s_and_not1_b32 vcc_lo, exec_lo, s26
	s_cbranch_vccnz .LBB175_536
; %bb.535:
	s_wait_loadcnt 0x0
	global_load_u16 v1, v[4:5], off
	s_wait_loadcnt 0x0
	v_cvt_f32_f16_e32 v3, v1
	v_cmp_o_f16_e32 vcc_lo, v1, v1
	s_delay_alu instid0(VALU_DEP_2) | instskip(NEXT) | instid1(VALU_DEP_1)
	v_bfe_u32 v6, v3, 16, 1
	v_add3_u32 v3, v3, v6, 0x7fff
	s_delay_alu instid0(VALU_DEP_1) | instskip(NEXT) | instid1(VALU_DEP_1)
	v_lshrrev_b32_e32 v3, 16, v3
	v_cndmask_b32_e32 v1, 0x7fc0, v3, vcc_lo
.LBB175_536:
	v_mov_b32_e32 v3, 0
.LBB175_537:
	s_mov_b32 s26, 0
.LBB175_538:
	s_delay_alu instid0(SALU_CYCLE_1)
	s_and_not1_b32 vcc_lo, exec_lo, s26
	s_cbranch_vccnz .LBB175_559
; %bb.539:
	s_cmp_lt_i32 s0, 2
	s_cbranch_scc1 .LBB175_543
; %bb.540:
	s_cmp_lt_i32 s0, 3
	s_cbranch_scc1 .LBB175_544
; %bb.541:
	s_cmp_gt_i32 s0, 3
	s_cbranch_scc0 .LBB175_545
; %bb.542:
	global_load_b64 v[6:7], v[4:5], off
	s_mov_b32 s26, 0
	s_wait_loadcnt 0x0
	v_xor_b32_e32 v1, v6, v7
	v_cls_i32_e32 v3, v7
	s_delay_alu instid0(VALU_DEP_2) | instskip(NEXT) | instid1(VALU_DEP_1)
	v_ashrrev_i32_e32 v1, 31, v1
	v_add_nc_u32_e32 v1, 32, v1
	s_delay_alu instid0(VALU_DEP_1) | instskip(NEXT) | instid1(VALU_DEP_1)
	v_add_min_u32_e64 v1, v3, -1, v1
	v_lshlrev_b64_e32 v[6:7], v1, v[6:7]
	v_sub_nc_u32_e32 v1, 32, v1
	s_delay_alu instid0(VALU_DEP_2) | instskip(NEXT) | instid1(VALU_DEP_1)
	v_min_u32_e32 v3, 1, v6
	v_or_b32_e32 v3, v7, v3
	s_delay_alu instid0(VALU_DEP_1) | instskip(NEXT) | instid1(VALU_DEP_1)
	v_cvt_f32_i32_e32 v3, v3
	v_ldexp_f32 v1, v3, v1
	s_delay_alu instid0(VALU_DEP_1) | instskip(NEXT) | instid1(VALU_DEP_1)
	v_bfe_u32 v3, v1, 16, 1
	v_add3_u32 v1, v1, v3, 0x7fff
	s_delay_alu instid0(VALU_DEP_1)
	v_lshrrev_b32_e32 v1, 16, v1
	s_branch .LBB175_546
.LBB175_543:
	s_mov_b32 s26, -1
                                        ; implicit-def: $vgpr1
	s_branch .LBB175_552
.LBB175_544:
	s_mov_b32 s26, -1
                                        ; implicit-def: $vgpr1
	s_branch .LBB175_549
.LBB175_545:
	s_mov_b32 s26, -1
                                        ; implicit-def: $vgpr1
.LBB175_546:
	s_delay_alu instid0(SALU_CYCLE_1)
	s_and_not1_b32 vcc_lo, exec_lo, s26
	s_cbranch_vccnz .LBB175_548
; %bb.547:
	s_wait_loadcnt 0x0
	global_load_b32 v1, v[4:5], off
	s_wait_loadcnt 0x0
	v_cvt_f32_i32_e32 v1, v1
	s_delay_alu instid0(VALU_DEP_1) | instskip(NEXT) | instid1(VALU_DEP_1)
	v_bfe_u32 v3, v1, 16, 1
	v_add3_u32 v1, v1, v3, 0x7fff
	s_delay_alu instid0(VALU_DEP_1)
	v_lshrrev_b32_e32 v1, 16, v1
.LBB175_548:
	s_mov_b32 s26, 0
.LBB175_549:
	s_delay_alu instid0(SALU_CYCLE_1)
	s_and_not1_b32 vcc_lo, exec_lo, s26
	s_cbranch_vccnz .LBB175_551
; %bb.550:
	s_wait_loadcnt 0x0
	global_load_i16 v1, v[4:5], off
	s_wait_loadcnt 0x0
	v_cvt_f32_i32_e32 v1, v1
	s_delay_alu instid0(VALU_DEP_1) | instskip(NEXT) | instid1(VALU_DEP_1)
	v_bfe_u32 v3, v1, 16, 1
	v_add3_u32 v1, v1, v3, 0x7fff
	s_delay_alu instid0(VALU_DEP_1)
	v_lshrrev_b32_e32 v1, 16, v1
.LBB175_551:
	s_mov_b32 s26, 0
.LBB175_552:
	s_delay_alu instid0(SALU_CYCLE_1)
	s_and_not1_b32 vcc_lo, exec_lo, s26
	s_cbranch_vccnz .LBB175_558
; %bb.553:
	s_cmp_gt_i32 s0, 0
	s_mov_b32 s0, 0
	s_cbranch_scc0 .LBB175_555
; %bb.554:
	s_wait_loadcnt 0x0
	global_load_i8 v1, v[4:5], off
	s_wait_loadcnt 0x0
	v_cvt_f32_i32_e32 v1, v1
	s_delay_alu instid0(VALU_DEP_1) | instskip(NEXT) | instid1(VALU_DEP_1)
	v_bfe_u32 v3, v1, 16, 1
	v_add3_u32 v1, v1, v3, 0x7fff
	s_delay_alu instid0(VALU_DEP_1)
	v_lshrrev_b32_e32 v1, 16, v1
	s_branch .LBB175_556
.LBB175_555:
	s_mov_b32 s0, -1
                                        ; implicit-def: $vgpr1
.LBB175_556:
	s_delay_alu instid0(SALU_CYCLE_1)
	s_and_not1_b32 vcc_lo, exec_lo, s0
	s_cbranch_vccnz .LBB175_558
; %bb.557:
	s_wait_loadcnt 0x0
	global_load_u8 v1, v[4:5], off
	s_wait_loadcnt 0x0
	v_cvt_f32_ubyte0_e32 v1, v1
	s_delay_alu instid0(VALU_DEP_1) | instskip(NEXT) | instid1(VALU_DEP_1)
	v_bfe_u32 v3, v1, 16, 1
	v_add3_u32 v1, v1, v3, 0x7fff
	s_delay_alu instid0(VALU_DEP_1)
	v_lshrrev_b32_e32 v1, 16, v1
.LBB175_558:
	v_mov_b32_e32 v3, 0
.LBB175_559:
	s_branch .LBB175_305
.LBB175_560:
	s_mov_b32 s26, 0
	s_mov_b32 s0, s41
.LBB175_561:
                                        ; implicit-def: $vgpr0
.LBB175_562:
	s_and_not1_b32 s27, s41, exec_lo
	s_and_b32 s0, s0, exec_lo
	s_and_not1_b32 s28, s42, exec_lo
	s_and_b32 s1, s1, exec_lo
	s_or_b32 s45, s27, s0
	s_or_b32 s44, s28, s1
	s_or_not1_b32 s0, s26, exec_lo
.LBB175_563:
	s_wait_xcnt 0x0
	s_or_b32 exec_lo, exec_lo, s46
	s_mov_b32 s1, 0
	s_mov_b32 s26, 0
	;; [unrolled: 1-line block ×3, first 2 shown]
                                        ; implicit-def: $vgpr4_vgpr5
                                        ; implicit-def: $vgpr2
                                        ; implicit-def: $vgpr6
                                        ; implicit-def: $vgpr3
	s_and_saveexec_b32 s46, s0
	s_cbranch_execz .LBB175_957
; %bb.564:
	s_mov_b32 s27, -1
	s_mov_b32 s28, s44
	s_mov_b32 s29, s45
	s_mov_b32 s47, exec_lo
	v_cmpx_gt_i32_e64 s38, v0
	s_cbranch_execz .LBB175_851
; %bb.565:
	s_and_not1_b32 vcc_lo, exec_lo, s33
	s_cbranch_vccnz .LBB175_571
; %bb.566:
	s_and_not1_b32 vcc_lo, exec_lo, s40
	s_cbranch_vccnz .LBB175_572
; %bb.567:
	s_add_co_i32 s1, s39, 1
	s_cmp_eq_u32 s31, 2
	s_cbranch_scc1 .LBB175_573
; %bb.568:
	v_dual_mov_b32 v2, 0 :: v_dual_mov_b32 v4, 0
	s_wait_loadcnt 0x0
	v_mov_b32_e32 v1, v0
	s_and_b32 s0, s1, 28
	s_mov_b32 s48, 0
	s_mov_b64 s[26:27], s[16:17]
	s_mov_b64 s[28:29], s[24:25]
.LBB175_569:                            ; =>This Inner Loop Header: Depth=1
	s_clause 0x1
	s_load_b256 s[52:59], s[26:27], 0x4
	s_load_b128 s[68:71], s[26:27], 0x24
	s_load_b256 s[60:67], s[28:29], 0x0
	s_add_co_i32 s48, s48, 4
	s_wait_xcnt 0x0
	s_add_nc_u64 s[26:27], s[26:27], 48
	s_cmp_eq_u32 s0, s48
	s_add_nc_u64 s[28:29], s[28:29], 32
	s_wait_kmcnt 0x0
	v_mul_hi_u32 v3, s53, v1
	s_delay_alu instid0(VALU_DEP_1) | instskip(NEXT) | instid1(VALU_DEP_1)
	v_add_nc_u32_e32 v3, v1, v3
	v_lshrrev_b32_e32 v3, s54, v3
	s_delay_alu instid0(VALU_DEP_1) | instskip(NEXT) | instid1(VALU_DEP_1)
	v_mul_hi_u32 v5, s56, v3
	v_add_nc_u32_e32 v5, v3, v5
	s_delay_alu instid0(VALU_DEP_1) | instskip(NEXT) | instid1(VALU_DEP_1)
	v_lshrrev_b32_e32 v5, s57, v5
	v_mul_hi_u32 v6, s59, v5
	s_delay_alu instid0(VALU_DEP_1) | instskip(SKIP_1) | instid1(VALU_DEP_1)
	v_add_nc_u32_e32 v6, v5, v6
	v_mul_lo_u32 v7, v3, s52
	v_sub_nc_u32_e32 v1, v1, v7
	v_mul_lo_u32 v7, v5, s55
	s_delay_alu instid0(VALU_DEP_4) | instskip(NEXT) | instid1(VALU_DEP_3)
	v_lshrrev_b32_e32 v6, s68, v6
	v_mad_u32 v4, v1, s61, v4
	v_mad_u32 v1, v1, s60, v2
	s_delay_alu instid0(VALU_DEP_4) | instskip(NEXT) | instid1(VALU_DEP_4)
	v_sub_nc_u32_e32 v2, v3, v7
	v_mul_hi_u32 v8, s70, v6
	v_mul_lo_u32 v3, v6, s58
	s_delay_alu instid0(VALU_DEP_3) | instskip(SKIP_1) | instid1(VALU_DEP_3)
	v_mad_u32 v4, v2, s63, v4
	v_mad_u32 v2, v2, s62, v1
	v_dual_add_nc_u32 v7, v6, v8 :: v_dual_sub_nc_u32 v3, v5, v3
	s_delay_alu instid0(VALU_DEP_1) | instskip(NEXT) | instid1(VALU_DEP_2)
	v_lshrrev_b32_e32 v1, s71, v7
	v_mad_u32 v4, v3, s65, v4
	s_delay_alu instid0(VALU_DEP_4) | instskip(NEXT) | instid1(VALU_DEP_3)
	v_mad_u32 v2, v3, s64, v2
	v_mul_lo_u32 v5, v1, s69
	s_delay_alu instid0(VALU_DEP_1) | instskip(NEXT) | instid1(VALU_DEP_1)
	v_sub_nc_u32_e32 v3, v6, v5
	v_mad_u32 v4, v3, s67, v4
	s_delay_alu instid0(VALU_DEP_4)
	v_mad_u32 v2, v3, s66, v2
	s_cbranch_scc0 .LBB175_569
; %bb.570:
	s_delay_alu instid0(VALU_DEP_2)
	v_mov_b32_e32 v3, v4
	s_branch .LBB175_574
.LBB175_571:
	s_mov_b32 s0, -1
                                        ; implicit-def: $vgpr4
                                        ; implicit-def: $vgpr2
	s_branch .LBB175_579
.LBB175_572:
	v_dual_mov_b32 v4, 0 :: v_dual_mov_b32 v2, 0
	s_branch .LBB175_578
.LBB175_573:
	v_mov_b64_e32 v[2:3], 0
	s_wait_loadcnt 0x0
	v_mov_b32_e32 v1, v0
	s_mov_b32 s0, 0
                                        ; implicit-def: $vgpr4
.LBB175_574:
	s_and_b32 s28, s1, 3
	s_mov_b32 s1, 0
	s_cmp_eq_u32 s28, 0
	s_cbranch_scc1 .LBB175_578
; %bb.575:
	s_lshl_b32 s26, s0, 3
	s_mov_b32 s27, s1
	s_mul_u64 s[48:49], s[0:1], 12
	s_add_nc_u64 s[26:27], s[16:17], s[26:27]
	s_delay_alu instid0(SALU_CYCLE_1)
	s_add_nc_u64 s[0:1], s[26:27], 0xc4
	s_add_nc_u64 s[26:27], s[16:17], s[48:49]
.LBB175_576:                            ; =>This Inner Loop Header: Depth=1
	s_load_b96 s[48:50], s[26:27], 0x4
	s_add_co_i32 s28, s28, -1
	s_wait_xcnt 0x0
	s_add_nc_u64 s[26:27], s[26:27], 12
	s_cmp_lg_u32 s28, 0
	s_wait_kmcnt 0x0
	v_mul_hi_u32 v4, s49, v1
	s_delay_alu instid0(VALU_DEP_1) | instskip(NEXT) | instid1(VALU_DEP_1)
	v_add_nc_u32_e32 v4, v1, v4
	v_lshrrev_b32_e32 v4, s50, v4
	s_load_b64 s[50:51], s[0:1], 0x0
	s_wait_xcnt 0x0
	s_add_nc_u64 s[0:1], s[0:1], 8
	s_delay_alu instid0(VALU_DEP_1) | instskip(NEXT) | instid1(VALU_DEP_1)
	v_mul_lo_u32 v5, v4, s48
	v_sub_nc_u32_e32 v1, v1, v5
	s_wait_kmcnt 0x0
	s_delay_alu instid0(VALU_DEP_1)
	v_mad_u32 v3, v1, s51, v3
	v_mad_u32 v2, v1, s50, v2
	v_mov_b32_e32 v1, v4
	s_cbranch_scc1 .LBB175_576
; %bb.577:
	s_delay_alu instid0(VALU_DEP_3)
	v_mov_b32_e32 v4, v3
.LBB175_578:
	s_mov_b32 s0, 0
.LBB175_579:
	s_delay_alu instid0(SALU_CYCLE_1)
	s_and_not1_b32 vcc_lo, exec_lo, s0
	s_cbranch_vccnz .LBB175_582
; %bb.580:
	s_wait_loadcnt 0x0
	v_mov_b32_e32 v1, 0
	s_and_not1_b32 vcc_lo, exec_lo, s37
	s_delay_alu instid0(VALU_DEP_1) | instskip(NEXT) | instid1(VALU_DEP_1)
	v_mul_u64_e32 v[2:3], s[18:19], v[0:1]
	v_add_nc_u32_e32 v2, v0, v3
	s_delay_alu instid0(VALU_DEP_1) | instskip(NEXT) | instid1(VALU_DEP_1)
	v_lshrrev_b32_e32 v6, s10, v2
	v_mul_lo_u32 v2, v6, s8
	s_delay_alu instid0(VALU_DEP_1) | instskip(NEXT) | instid1(VALU_DEP_1)
	v_sub_nc_u32_e32 v2, v0, v2
	v_mul_lo_u32 v4, v2, s13
	v_mul_lo_u32 v2, v2, s12
	s_cbranch_vccnz .LBB175_582
; %bb.581:
	v_mov_b32_e32 v7, v1
	s_delay_alu instid0(VALU_DEP_1) | instskip(NEXT) | instid1(VALU_DEP_1)
	v_mul_u64_e32 v[8:9], s[22:23], v[6:7]
	v_add_nc_u32_e32 v1, v6, v9
	s_delay_alu instid0(VALU_DEP_1) | instskip(NEXT) | instid1(VALU_DEP_1)
	v_lshrrev_b32_e32 v1, s21, v1
	v_mul_lo_u32 v1, v1, s11
	s_delay_alu instid0(VALU_DEP_1) | instskip(NEXT) | instid1(VALU_DEP_1)
	v_sub_nc_u32_e32 v1, v6, v1
	v_mad_u32 v2, v1, s14, v2
	v_mad_u32 v4, v1, s15, v4
.LBB175_582:
	v_mov_b32_e32 v5, 0
	s_and_b32 s0, 0xffff, s36
	s_delay_alu instid0(SALU_CYCLE_1) | instskip(NEXT) | instid1(VALU_DEP_1)
	s_cmp_lt_i32 s0, 11
	v_add_nc_u64_e32 v[4:5], s[6:7], v[4:5]
	s_cbranch_scc1 .LBB175_589
; %bb.583:
	s_cmp_gt_i32 s0, 25
	s_cbranch_scc0 .LBB175_590
; %bb.584:
	s_cmp_gt_i32 s0, 28
	s_cbranch_scc0 .LBB175_591
; %bb.585:
	s_cmp_gt_i32 s0, 43
	s_cbranch_scc0 .LBB175_592
; %bb.586:
	s_cmp_gt_i32 s0, 45
	s_cbranch_scc0 .LBB175_595
; %bb.587:
	s_cmp_eq_u32 s0, 46
	s_mov_b32 s27, 0
	s_cbranch_scc0 .LBB175_598
; %bb.588:
	s_wait_loadcnt 0x0
	global_load_b32 v1, v[4:5], off
	s_mov_b32 s26, -1
	s_mov_b32 s1, 0
	s_wait_loadcnt 0x0
	v_and_b32_e32 v3, 0xffff0000, v1
	s_branch .LBB175_600
.LBB175_589:
	s_mov_b32 s27, -1
	s_mov_b32 s26, 0
	s_mov_b32 s1, s44
                                        ; implicit-def: $vgpr3
                                        ; implicit-def: $vgpr1
	s_branch .LBB175_668
.LBB175_590:
	s_mov_b32 s27, -1
	s_mov_b32 s26, 0
	s_mov_b32 s1, s44
                                        ; implicit-def: $vgpr3
                                        ; implicit-def: $vgpr1
	s_branch .LBB175_631
.LBB175_591:
	s_mov_b32 s27, -1
	s_mov_b32 s26, 0
	s_mov_b32 s1, s44
                                        ; implicit-def: $vgpr3
                                        ; implicit-def: $vgpr1
	s_branch .LBB175_612
.LBB175_592:
	s_mov_b32 s27, -1
	s_mov_b32 s26, 0
	s_mov_b32 s1, s44
                                        ; implicit-def: $vgpr3
                                        ; implicit-def: $vgpr1
	s_branch .LBB175_606
.LBB175_593:
	s_and_not1_saveexec_b32 s45, s45
	s_cbranch_execz .LBB175_355
.LBB175_594:
	v_add_f32_e32 v1, 0x46000000, v4
	s_and_not1_b32 s44, s44, exec_lo
	s_delay_alu instid0(VALU_DEP_1) | instskip(NEXT) | instid1(VALU_DEP_1)
	v_and_b32_e32 v1, 0xff, v1
	v_cmp_ne_u32_e32 vcc_lo, 0, v1
	s_and_b32 s47, vcc_lo, exec_lo
	s_delay_alu instid0(SALU_CYCLE_1)
	s_or_b32 s44, s44, s47
	s_or_b32 exec_lo, exec_lo, s45
	v_mov_b32_e32 v5, 0
	s_and_saveexec_b32 s45, s44
	s_cbranch_execnz .LBB175_356
	s_branch .LBB175_357
.LBB175_595:
	s_mov_b32 s27, -1
	s_mov_b32 s26, 0
	s_mov_b32 s1, s44
	s_branch .LBB175_599
.LBB175_596:
	s_and_not1_saveexec_b32 s45, s45
	s_cbranch_execz .LBB175_368
.LBB175_597:
	v_add_f32_e32 v1, 0x42800000, v4
	s_and_not1_b32 s44, s44, exec_lo
	s_delay_alu instid0(VALU_DEP_1) | instskip(NEXT) | instid1(VALU_DEP_1)
	v_and_b32_e32 v1, 0xff, v1
	v_cmp_ne_u32_e32 vcc_lo, 0, v1
	s_and_b32 s47, vcc_lo, exec_lo
	s_delay_alu instid0(SALU_CYCLE_1)
	s_or_b32 s44, s44, s47
	s_or_b32 exec_lo, exec_lo, s45
	v_mov_b32_e32 v5, 0
	s_and_saveexec_b32 s45, s44
	s_cbranch_execnz .LBB175_369
	s_branch .LBB175_370
.LBB175_598:
	s_mov_b32 s1, -1
	s_mov_b32 s26, 0
.LBB175_599:
                                        ; implicit-def: $vgpr3
                                        ; implicit-def: $vgpr1
.LBB175_600:
	s_and_b32 vcc_lo, exec_lo, s27
	s_cbranch_vccz .LBB175_605
; %bb.601:
	s_cmp_eq_u32 s0, 44
	s_cbranch_scc0 .LBB175_603
; %bb.602:
	s_wait_loadcnt 0x0
	global_load_u8 v1, v[4:5], off
	s_mov_b32 s1, 0
	s_mov_b32 s26, -1
	s_wait_loadcnt 0x0
	v_lshlrev_b32_e32 v3, 23, v1
	v_cmp_ne_u32_e32 vcc_lo, 0xff, v1
	s_delay_alu instid0(VALU_DEP_2) | instskip(SKIP_1) | instid1(VALU_DEP_2)
	v_cndmask_b32_e32 v3, 0x7f800001, v3, vcc_lo
	v_cmp_ne_u32_e32 vcc_lo, 0, v1
	v_cndmask_b32_e32 v1, 0x400000, v3, vcc_lo
	s_delay_alu instid0(VALU_DEP_1) | instskip(SKIP_1) | instid1(VALU_DEP_2)
	v_add_nc_u32_e32 v3, 0x7fff, v1
	v_cmp_o_f32_e32 vcc_lo, v1, v1
	v_lshrrev_b32_e32 v3, 16, v3
	s_delay_alu instid0(VALU_DEP_1)
	v_cndmask_b32_e32 v1, 0x7fc0, v3, vcc_lo
	s_branch .LBB175_604
.LBB175_603:
	s_mov_b32 s1, -1
                                        ; implicit-def: $vgpr1
.LBB175_604:
	v_mov_b32_e32 v3, 0
.LBB175_605:
	s_mov_b32 s27, 0
.LBB175_606:
	s_delay_alu instid0(SALU_CYCLE_1)
	s_and_b32 vcc_lo, exec_lo, s27
	s_cbranch_vccz .LBB175_611
; %bb.607:
	s_cmp_eq_u32 s0, 29
	s_cbranch_scc0 .LBB175_609
; %bb.608:
	global_load_b64 v[6:7], v[4:5], off
	s_mov_b32 s26, -1
	s_mov_b32 s1, 0
	s_wait_loadcnt 0x0
	v_clz_i32_u32_e32 v1, v7
	s_delay_alu instid0(VALU_DEP_1) | instskip(NEXT) | instid1(VALU_DEP_1)
	v_min_u32_e32 v1, 32, v1
	v_lshlrev_b64_e32 v[6:7], v1, v[6:7]
	v_sub_nc_u32_e32 v1, 32, v1
	s_delay_alu instid0(VALU_DEP_2) | instskip(NEXT) | instid1(VALU_DEP_1)
	v_min_u32_e32 v3, 1, v6
	v_or_b32_e32 v3, v7, v3
	s_delay_alu instid0(VALU_DEP_1) | instskip(NEXT) | instid1(VALU_DEP_1)
	v_cvt_f32_u32_e32 v3, v3
	v_ldexp_f32 v1, v3, v1
	s_delay_alu instid0(VALU_DEP_1) | instskip(NEXT) | instid1(VALU_DEP_1)
	v_bfe_u32 v3, v1, 16, 1
	v_add3_u32 v1, v1, v3, 0x7fff
	s_delay_alu instid0(VALU_DEP_1)
	v_lshrrev_b32_e32 v1, 16, v1
	s_branch .LBB175_610
.LBB175_609:
	s_mov_b32 s1, -1
                                        ; implicit-def: $vgpr1
.LBB175_610:
	v_mov_b32_e32 v3, 0
.LBB175_611:
	s_mov_b32 s27, 0
.LBB175_612:
	s_delay_alu instid0(SALU_CYCLE_1)
	s_and_b32 vcc_lo, exec_lo, s27
	s_cbranch_vccz .LBB175_630
; %bb.613:
	s_cmp_lt_i32 s0, 27
	s_cbranch_scc1 .LBB175_616
; %bb.614:
	s_cmp_gt_i32 s0, 27
	s_cbranch_scc0 .LBB175_617
; %bb.615:
	s_wait_loadcnt 0x0
	global_load_b32 v1, v[4:5], off
	s_mov_b32 s26, 0
	s_wait_loadcnt 0x0
	v_cvt_f32_u32_e32 v1, v1
	s_delay_alu instid0(VALU_DEP_1) | instskip(NEXT) | instid1(VALU_DEP_1)
	v_bfe_u32 v3, v1, 16, 1
	v_add3_u32 v1, v1, v3, 0x7fff
	s_delay_alu instid0(VALU_DEP_1)
	v_lshrrev_b32_e32 v1, 16, v1
	s_branch .LBB175_618
.LBB175_616:
	s_mov_b32 s26, -1
                                        ; implicit-def: $vgpr1
	s_branch .LBB175_621
.LBB175_617:
	s_mov_b32 s26, -1
                                        ; implicit-def: $vgpr1
.LBB175_618:
	s_delay_alu instid0(SALU_CYCLE_1)
	s_and_not1_b32 vcc_lo, exec_lo, s26
	s_cbranch_vccnz .LBB175_620
; %bb.619:
	s_wait_loadcnt 0x0
	global_load_u16 v1, v[4:5], off
	s_wait_loadcnt 0x0
	v_cvt_f32_u32_e32 v1, v1
	s_delay_alu instid0(VALU_DEP_1) | instskip(NEXT) | instid1(VALU_DEP_1)
	v_bfe_u32 v3, v1, 16, 1
	v_add3_u32 v1, v1, v3, 0x7fff
	s_delay_alu instid0(VALU_DEP_1)
	v_lshrrev_b32_e32 v1, 16, v1
.LBB175_620:
	s_mov_b32 s26, 0
.LBB175_621:
	s_delay_alu instid0(SALU_CYCLE_1)
	s_and_not1_b32 vcc_lo, exec_lo, s26
	s_cbranch_vccnz .LBB175_629
; %bb.622:
	s_wait_loadcnt 0x0
	global_load_u8 v1, v[4:5], off
	s_mov_b32 s26, 0
	s_mov_b32 s27, exec_lo
	s_wait_loadcnt 0x0
	v_cmpx_lt_i16_e32 0x7f, v1
	s_xor_b32 s27, exec_lo, s27
	s_cbranch_execz .LBB175_643
; %bb.623:
	s_mov_b32 s26, -1
	s_mov_b32 s28, exec_lo
	v_cmpx_eq_u16_e32 0x80, v1
; %bb.624:
	s_xor_b32 s26, exec_lo, -1
; %bb.625:
	s_or_b32 exec_lo, exec_lo, s28
	s_delay_alu instid0(SALU_CYCLE_1)
	s_and_b32 s26, s26, exec_lo
	s_or_saveexec_b32 s27, s27
	v_mov_b32_e32 v3, 0x7f800001
	s_xor_b32 exec_lo, exec_lo, s27
	s_cbranch_execnz .LBB175_644
.LBB175_626:
	s_or_b32 exec_lo, exec_lo, s27
	s_and_saveexec_b32 s27, s26
	s_cbranch_execz .LBB175_628
.LBB175_627:
	v_and_b32_e32 v3, 0xffff, v1
	s_delay_alu instid0(VALU_DEP_1) | instskip(SKIP_1) | instid1(VALU_DEP_2)
	v_dual_lshlrev_b32 v1, 24, v1 :: v_dual_bitop2_b32 v6, 7, v3 bitop3:0x40
	v_bfe_u32 v9, v3, 3, 4
	v_and_b32_e32 v1, 0x80000000, v1
	s_delay_alu instid0(VALU_DEP_3) | instskip(NEXT) | instid1(VALU_DEP_3)
	v_clz_i32_u32_e32 v7, v6
	v_cmp_eq_u32_e32 vcc_lo, 0, v9
	s_delay_alu instid0(VALU_DEP_2) | instskip(NEXT) | instid1(VALU_DEP_1)
	v_min_u32_e32 v7, 32, v7
	v_subrev_nc_u32_e32 v8, 28, v7
	v_sub_nc_u32_e32 v7, 29, v7
	s_delay_alu instid0(VALU_DEP_2) | instskip(NEXT) | instid1(VALU_DEP_2)
	v_lshlrev_b32_e32 v3, v8, v3
	v_cndmask_b32_e32 v7, v9, v7, vcc_lo
	s_delay_alu instid0(VALU_DEP_2) | instskip(NEXT) | instid1(VALU_DEP_1)
	v_and_b32_e32 v3, 7, v3
	v_cndmask_b32_e32 v3, v6, v3, vcc_lo
	s_delay_alu instid0(VALU_DEP_3) | instskip(NEXT) | instid1(VALU_DEP_2)
	v_lshl_add_u32 v6, v7, 23, 0x3b800000
	v_lshlrev_b32_e32 v3, 20, v3
	s_delay_alu instid0(VALU_DEP_1)
	v_or3_b32 v3, v1, v6, v3
.LBB175_628:
	s_or_b32 exec_lo, exec_lo, s27
	s_delay_alu instid0(VALU_DEP_1) | instskip(SKIP_1) | instid1(VALU_DEP_2)
	v_bfe_u32 v1, v3, 16, 1
	v_cmp_o_f32_e32 vcc_lo, v3, v3
	v_add3_u32 v1, v3, v1, 0x7fff
	s_delay_alu instid0(VALU_DEP_1) | instskip(NEXT) | instid1(VALU_DEP_1)
	v_lshrrev_b32_e32 v1, 16, v1
	v_cndmask_b32_e32 v1, 0x7fc0, v1, vcc_lo
.LBB175_629:
	v_mov_b32_e32 v3, 0
	s_mov_b32 s26, -1
.LBB175_630:
	s_mov_b32 s27, 0
.LBB175_631:
	s_delay_alu instid0(SALU_CYCLE_1)
	s_and_b32 vcc_lo, exec_lo, s27
	s_cbranch_vccz .LBB175_667
; %bb.632:
	s_cmp_gt_i32 s0, 22
	s_cbranch_scc0 .LBB175_642
; %bb.633:
	s_cmp_lt_i32 s0, 24
	s_cbranch_scc1 .LBB175_645
; %bb.634:
	s_cmp_gt_i32 s0, 24
	s_cbranch_scc0 .LBB175_646
; %bb.635:
	s_wait_loadcnt 0x0
	global_load_u8 v1, v[4:5], off
	s_mov_b32 s26, 0
	s_mov_b32 s27, exec_lo
	s_wait_loadcnt 0x0
	v_cmpx_lt_i16_e32 0x7f, v1
	s_xor_b32 s27, exec_lo, s27
	s_cbranch_execz .LBB175_658
; %bb.636:
	s_mov_b32 s26, -1
	s_mov_b32 s28, exec_lo
	v_cmpx_eq_u16_e32 0x80, v1
; %bb.637:
	s_xor_b32 s26, exec_lo, -1
; %bb.638:
	s_or_b32 exec_lo, exec_lo, s28
	s_delay_alu instid0(SALU_CYCLE_1)
	s_and_b32 s26, s26, exec_lo
	s_or_saveexec_b32 s27, s27
	v_mov_b32_e32 v3, 0x7f800001
	s_xor_b32 exec_lo, exec_lo, s27
	s_cbranch_execnz .LBB175_659
.LBB175_639:
	s_or_b32 exec_lo, exec_lo, s27
	s_and_saveexec_b32 s27, s26
	s_cbranch_execz .LBB175_641
.LBB175_640:
	v_and_b32_e32 v3, 0xffff, v1
	s_delay_alu instid0(VALU_DEP_1) | instskip(SKIP_1) | instid1(VALU_DEP_2)
	v_dual_lshlrev_b32 v1, 24, v1 :: v_dual_bitop2_b32 v6, 3, v3 bitop3:0x40
	v_bfe_u32 v9, v3, 2, 5
	v_and_b32_e32 v1, 0x80000000, v1
	s_delay_alu instid0(VALU_DEP_3) | instskip(NEXT) | instid1(VALU_DEP_3)
	v_clz_i32_u32_e32 v7, v6
	v_cmp_eq_u32_e32 vcc_lo, 0, v9
	s_delay_alu instid0(VALU_DEP_2) | instskip(NEXT) | instid1(VALU_DEP_1)
	v_min_u32_e32 v7, 32, v7
	v_subrev_nc_u32_e32 v8, 29, v7
	v_sub_nc_u32_e32 v7, 30, v7
	s_delay_alu instid0(VALU_DEP_2) | instskip(NEXT) | instid1(VALU_DEP_2)
	v_lshlrev_b32_e32 v3, v8, v3
	v_cndmask_b32_e32 v7, v9, v7, vcc_lo
	s_delay_alu instid0(VALU_DEP_2) | instskip(NEXT) | instid1(VALU_DEP_1)
	v_and_b32_e32 v3, 3, v3
	v_cndmask_b32_e32 v3, v6, v3, vcc_lo
	s_delay_alu instid0(VALU_DEP_3) | instskip(NEXT) | instid1(VALU_DEP_2)
	v_lshl_add_u32 v6, v7, 23, 0x37800000
	v_lshlrev_b32_e32 v3, 21, v3
	s_delay_alu instid0(VALU_DEP_1)
	v_or3_b32 v3, v1, v6, v3
.LBB175_641:
	s_or_b32 exec_lo, exec_lo, s27
	s_delay_alu instid0(VALU_DEP_1) | instskip(SKIP_2) | instid1(VALU_DEP_2)
	v_bfe_u32 v1, v3, 16, 1
	v_cmp_o_f32_e32 vcc_lo, v3, v3
	s_mov_b32 s26, 0
	v_add3_u32 v1, v3, v1, 0x7fff
	s_delay_alu instid0(VALU_DEP_1) | instskip(NEXT) | instid1(VALU_DEP_1)
	v_lshrrev_b32_e32 v1, 16, v1
	v_cndmask_b32_e32 v1, 0x7fc0, v1, vcc_lo
	s_branch .LBB175_647
.LBB175_642:
	s_mov_b32 s27, -1
                                        ; implicit-def: $vgpr1
	s_branch .LBB175_653
.LBB175_643:
	s_or_saveexec_b32 s27, s27
	v_mov_b32_e32 v3, 0x7f800001
	s_xor_b32 exec_lo, exec_lo, s27
	s_cbranch_execz .LBB175_626
.LBB175_644:
	v_cmp_ne_u16_e32 vcc_lo, 0, v1
	v_mov_b32_e32 v3, 0
	s_and_not1_b32 s26, s26, exec_lo
	s_and_b32 s28, vcc_lo, exec_lo
	s_delay_alu instid0(SALU_CYCLE_1)
	s_or_b32 s26, s26, s28
	s_or_b32 exec_lo, exec_lo, s27
	s_and_saveexec_b32 s27, s26
	s_cbranch_execnz .LBB175_627
	s_branch .LBB175_628
.LBB175_645:
	s_mov_b32 s26, -1
                                        ; implicit-def: $vgpr1
	s_branch .LBB175_650
.LBB175_646:
	s_mov_b32 s26, -1
                                        ; implicit-def: $vgpr1
.LBB175_647:
	s_delay_alu instid0(SALU_CYCLE_1)
	s_and_b32 vcc_lo, exec_lo, s26
	s_cbranch_vccz .LBB175_649
; %bb.648:
	s_wait_loadcnt 0x0
	global_load_u8 v1, v[4:5], off
	s_wait_loadcnt 0x0
	v_lshlrev_b32_e32 v1, 24, v1
	s_delay_alu instid0(VALU_DEP_1) | instskip(NEXT) | instid1(VALU_DEP_1)
	v_and_b32_e32 v3, 0x7f000000, v1
	v_clz_i32_u32_e32 v6, v3
	v_cmp_ne_u32_e32 vcc_lo, 0, v3
	v_add_nc_u32_e32 v8, 0x1000000, v3
	s_delay_alu instid0(VALU_DEP_3) | instskip(NEXT) | instid1(VALU_DEP_1)
	v_min_u32_e32 v6, 32, v6
	v_sub_nc_u32_e64 v6, v6, 4 clamp
	s_delay_alu instid0(VALU_DEP_1) | instskip(NEXT) | instid1(VALU_DEP_1)
	v_dual_lshlrev_b32 v7, v6, v3 :: v_dual_lshlrev_b32 v6, 23, v6
	v_lshrrev_b32_e32 v7, 4, v7
	s_delay_alu instid0(VALU_DEP_1) | instskip(NEXT) | instid1(VALU_DEP_1)
	v_dual_sub_nc_u32 v6, v7, v6 :: v_dual_ashrrev_i32 v7, 8, v8
	v_add_nc_u32_e32 v6, 0x3c000000, v6
	s_delay_alu instid0(VALU_DEP_1) | instskip(NEXT) | instid1(VALU_DEP_1)
	v_and_or_b32 v6, 0x7f800000, v7, v6
	v_cndmask_b32_e32 v3, 0, v6, vcc_lo
	s_delay_alu instid0(VALU_DEP_1) | instskip(SKIP_1) | instid1(VALU_DEP_2)
	v_and_or_b32 v1, 0x80000000, v1, v3
	v_bfe_u32 v3, v3, 16, 1
	v_cmp_o_f32_e32 vcc_lo, v1, v1
	s_delay_alu instid0(VALU_DEP_2) | instskip(NEXT) | instid1(VALU_DEP_1)
	v_add3_u32 v3, v1, v3, 0x7fff
	v_lshrrev_b32_e32 v3, 16, v3
	s_delay_alu instid0(VALU_DEP_1)
	v_cndmask_b32_e32 v1, 0x7fc0, v3, vcc_lo
.LBB175_649:
	s_mov_b32 s26, 0
.LBB175_650:
	s_delay_alu instid0(SALU_CYCLE_1)
	s_and_not1_b32 vcc_lo, exec_lo, s26
	s_cbranch_vccnz .LBB175_652
; %bb.651:
	s_wait_loadcnt 0x0
	global_load_u8 v1, v[4:5], off
	s_wait_loadcnt 0x0
	v_lshlrev_b32_e32 v3, 25, v1
	v_lshlrev_b16 v1, 8, v1
	s_delay_alu instid0(VALU_DEP_1) | instskip(SKIP_1) | instid1(VALU_DEP_2)
	v_and_or_b32 v7, 0x7f00, v1, 0.5
	v_bfe_i32 v1, v1, 0, 16
	v_add_f32_e32 v7, -0.5, v7
	v_lshrrev_b32_e32 v6, 4, v3
	v_cmp_gt_u32_e32 vcc_lo, 0x8000000, v3
	s_delay_alu instid0(VALU_DEP_2) | instskip(NEXT) | instid1(VALU_DEP_1)
	v_or_b32_e32 v6, 0x70000000, v6
	v_mul_f32_e32 v6, 0x7800000, v6
	s_delay_alu instid0(VALU_DEP_1) | instskip(NEXT) | instid1(VALU_DEP_1)
	v_cndmask_b32_e32 v3, v6, v7, vcc_lo
	v_and_or_b32 v1, 0x80000000, v1, v3
	v_bfe_u32 v3, v3, 16, 1
	s_delay_alu instid0(VALU_DEP_2) | instskip(NEXT) | instid1(VALU_DEP_2)
	v_cmp_o_f32_e32 vcc_lo, v1, v1
	v_add3_u32 v3, v1, v3, 0x7fff
	s_delay_alu instid0(VALU_DEP_1) | instskip(NEXT) | instid1(VALU_DEP_1)
	v_lshrrev_b32_e32 v3, 16, v3
	v_cndmask_b32_e32 v1, 0x7fc0, v3, vcc_lo
.LBB175_652:
	s_mov_b32 s27, 0
	s_mov_b32 s26, -1
.LBB175_653:
	s_and_not1_b32 vcc_lo, exec_lo, s27
	s_cbranch_vccnz .LBB175_666
; %bb.654:
	s_cmp_gt_i32 s0, 14
	s_cbranch_scc0 .LBB175_657
; %bb.655:
	s_cmp_eq_u32 s0, 15
	s_cbranch_scc0 .LBB175_660
; %bb.656:
	s_wait_loadcnt 0x0
	global_load_u16 v1, v[4:5], off
	s_mov_b32 s26, -1
	s_mov_b32 s1, 0
	s_branch .LBB175_661
.LBB175_657:
	s_mov_b32 s27, -1
                                        ; implicit-def: $vgpr1
	s_branch .LBB175_662
.LBB175_658:
	s_or_saveexec_b32 s27, s27
	v_mov_b32_e32 v3, 0x7f800001
	s_xor_b32 exec_lo, exec_lo, s27
	s_cbranch_execz .LBB175_639
.LBB175_659:
	v_cmp_ne_u16_e32 vcc_lo, 0, v1
	v_mov_b32_e32 v3, 0
	s_and_not1_b32 s26, s26, exec_lo
	s_and_b32 s28, vcc_lo, exec_lo
	s_delay_alu instid0(SALU_CYCLE_1)
	s_or_b32 s26, s26, s28
	s_or_b32 exec_lo, exec_lo, s27
	s_and_saveexec_b32 s27, s26
	s_cbranch_execnz .LBB175_640
	s_branch .LBB175_641
.LBB175_660:
	s_mov_b32 s1, -1
                                        ; implicit-def: $vgpr1
.LBB175_661:
	s_mov_b32 s27, 0
.LBB175_662:
	s_delay_alu instid0(SALU_CYCLE_1)
	s_and_b32 vcc_lo, exec_lo, s27
	s_cbranch_vccz .LBB175_666
; %bb.663:
	s_cmp_eq_u32 s0, 11
	s_cbranch_scc0 .LBB175_665
; %bb.664:
	s_wait_loadcnt 0x0
	global_load_u8 v1, v[4:5], off
	s_mov_b32 s1, 0
	s_mov_b32 s26, -1
	v_mov_b32_e32 v3, 0
	s_wait_loadcnt 0x0
	v_cmp_ne_u16_e32 vcc_lo, 0, v1
	v_cndmask_b32_e64 v1, 0, 1.0, vcc_lo
	s_delay_alu instid0(VALU_DEP_1)
	v_lshrrev_b32_e32 v1, 16, v1
	s_branch .LBB175_667
.LBB175_665:
	s_mov_b32 s1, -1
                                        ; implicit-def: $vgpr1
.LBB175_666:
	v_mov_b32_e32 v3, 0
.LBB175_667:
	s_mov_b32 s27, 0
.LBB175_668:
	s_delay_alu instid0(SALU_CYCLE_1)
	s_and_b32 vcc_lo, exec_lo, s27
	s_cbranch_vccz .LBB175_719
; %bb.669:
	s_cmp_lt_i32 s0, 5
	s_cbranch_scc1 .LBB175_674
; %bb.670:
	s_cmp_lt_i32 s0, 8
	s_cbranch_scc1 .LBB175_675
	;; [unrolled: 3-line block ×3, first 2 shown]
; %bb.672:
	s_cmp_gt_i32 s0, 9
	s_cbranch_scc0 .LBB175_677
; %bb.673:
	global_load_b128 v[6:9], v[4:5], off
	s_mov_b32 s26, 0
	s_wait_loadcnt 0x0
	v_cvt_f32_f64_e32 v1, v[6:7]
	v_cvt_f32_f64_e32 v3, v[8:9]
	s_delay_alu instid0(VALU_DEP_2) | instskip(NEXT) | instid1(VALU_DEP_2)
	v_bfe_u32 v6, v1, 16, 1
	v_bfe_u32 v7, v3, 16, 1
	v_cmp_o_f32_e32 vcc_lo, v1, v1
	s_delay_alu instid0(VALU_DEP_3) | instskip(NEXT) | instid1(VALU_DEP_3)
	v_add3_u32 v6, v1, v6, 0x7fff
	v_add3_u32 v7, v3, v7, 0x7fff
	s_delay_alu instid0(VALU_DEP_1) | instskip(NEXT) | instid1(VALU_DEP_3)
	v_and_b32_e32 v7, 0xffff0000, v7
	v_lshrrev_b32_e32 v6, 16, v6
	s_delay_alu instid0(VALU_DEP_1) | instskip(SKIP_1) | instid1(VALU_DEP_4)
	v_cndmask_b32_e32 v1, 0x7fc0, v6, vcc_lo
	v_cmp_o_f32_e32 vcc_lo, v3, v3
	v_cndmask_b32_e32 v3, 0x7fc00000, v7, vcc_lo
	s_branch .LBB175_678
.LBB175_674:
	s_mov_b32 s26, -1
                                        ; implicit-def: $vgpr3
                                        ; implicit-def: $vgpr1
	s_branch .LBB175_697
.LBB175_675:
	s_mov_b32 s26, -1
                                        ; implicit-def: $vgpr3
                                        ; implicit-def: $vgpr1
	s_branch .LBB175_684
.LBB175_676:
	s_mov_b32 s26, -1
                                        ; implicit-def: $vgpr3
                                        ; implicit-def: $vgpr1
	s_branch .LBB175_681
.LBB175_677:
	s_mov_b32 s26, -1
                                        ; implicit-def: $vgpr3
                                        ; implicit-def: $vgpr1
.LBB175_678:
	s_delay_alu instid0(SALU_CYCLE_1)
	s_and_not1_b32 vcc_lo, exec_lo, s26
	s_cbranch_vccnz .LBB175_680
; %bb.679:
	global_load_b64 v[6:7], v[4:5], off
	s_wait_loadcnt 0x0
	v_bfe_u32 v1, v6, 16, 1
	v_bfe_u32 v3, v7, 16, 1
	v_cmp_o_f32_e32 vcc_lo, v6, v6
	s_delay_alu instid0(VALU_DEP_3) | instskip(NEXT) | instid1(VALU_DEP_3)
	v_add3_u32 v1, v6, v1, 0x7fff
	v_add3_u32 v3, v7, v3, 0x7fff
	s_delay_alu instid0(VALU_DEP_2) | instskip(NEXT) | instid1(VALU_DEP_2)
	v_lshrrev_b32_e32 v1, 16, v1
	v_and_b32_e32 v3, 0xffff0000, v3
	s_delay_alu instid0(VALU_DEP_2) | instskip(SKIP_1) | instid1(VALU_DEP_3)
	v_cndmask_b32_e32 v1, 0x7fc0, v1, vcc_lo
	v_cmp_o_f32_e32 vcc_lo, v7, v7
	v_cndmask_b32_e32 v3, 0x7fc00000, v3, vcc_lo
.LBB175_680:
	s_mov_b32 s26, 0
.LBB175_681:
	s_delay_alu instid0(SALU_CYCLE_1)
	s_and_not1_b32 vcc_lo, exec_lo, s26
	s_cbranch_vccnz .LBB175_683
; %bb.682:
	s_wait_loadcnt 0x0
	global_load_b32 v1, v[4:5], off
	s_wait_loadcnt 0x0
	v_cvt_f32_f16_e32 v6, v1
	v_cmp_o_f16_e32 vcc_lo, v1, v1
	s_delay_alu instid0(VALU_DEP_2) | instskip(NEXT) | instid1(VALU_DEP_1)
	v_bfe_u32 v8, v6, 16, 1
	v_add3_u32 v6, v6, v8, 0x7fff
	s_delay_alu instid0(VALU_DEP_1) | instskip(NEXT) | instid1(VALU_DEP_1)
	v_dual_lshrrev_b32 v3, 16, v1 :: v_dual_lshrrev_b32 v6, 16, v6
	v_cvt_f32_f16_e32 v7, v3
	s_delay_alu instid0(VALU_DEP_2) | instskip(NEXT) | instid1(VALU_DEP_2)
	v_cndmask_b32_e32 v1, 0x7fc0, v6, vcc_lo
	v_bfe_u32 v9, v7, 16, 1
	v_cmp_o_f16_e32 vcc_lo, v3, v3
	s_delay_alu instid0(VALU_DEP_2) | instskip(NEXT) | instid1(VALU_DEP_1)
	v_add3_u32 v7, v7, v9, 0x7fff
	v_and_b32_e32 v7, 0xffff0000, v7
	s_delay_alu instid0(VALU_DEP_1)
	v_cndmask_b32_e32 v3, 0x7fc00000, v7, vcc_lo
.LBB175_683:
	s_mov_b32 s26, 0
.LBB175_684:
	s_delay_alu instid0(SALU_CYCLE_1)
	s_and_not1_b32 vcc_lo, exec_lo, s26
	s_cbranch_vccnz .LBB175_696
; %bb.685:
	s_cmp_lt_i32 s0, 6
	s_cbranch_scc1 .LBB175_688
; %bb.686:
	s_cmp_gt_i32 s0, 6
	s_cbranch_scc0 .LBB175_689
; %bb.687:
	global_load_b64 v[6:7], v[4:5], off
	s_mov_b32 s26, 0
	s_wait_loadcnt 0x0
	v_cvt_f32_f64_e32 v1, v[6:7]
	s_delay_alu instid0(VALU_DEP_1) | instskip(SKIP_1) | instid1(VALU_DEP_2)
	v_bfe_u32 v3, v1, 16, 1
	v_cmp_o_f32_e32 vcc_lo, v1, v1
	v_add3_u32 v3, v1, v3, 0x7fff
	s_delay_alu instid0(VALU_DEP_1) | instskip(NEXT) | instid1(VALU_DEP_1)
	v_lshrrev_b32_e32 v3, 16, v3
	v_cndmask_b32_e32 v1, 0x7fc0, v3, vcc_lo
	s_branch .LBB175_690
.LBB175_688:
	s_mov_b32 s26, -1
                                        ; implicit-def: $vgpr1
	s_branch .LBB175_693
.LBB175_689:
	s_mov_b32 s26, -1
                                        ; implicit-def: $vgpr1
.LBB175_690:
	s_delay_alu instid0(SALU_CYCLE_1)
	s_and_not1_b32 vcc_lo, exec_lo, s26
	s_cbranch_vccnz .LBB175_692
; %bb.691:
	s_wait_loadcnt 0x0
	global_load_b32 v1, v[4:5], off
	s_wait_loadcnt 0x0
	v_bfe_u32 v3, v1, 16, 1
	v_cmp_o_f32_e32 vcc_lo, v1, v1
	s_delay_alu instid0(VALU_DEP_2) | instskip(NEXT) | instid1(VALU_DEP_1)
	v_add3_u32 v3, v1, v3, 0x7fff
	v_lshrrev_b32_e32 v3, 16, v3
	s_delay_alu instid0(VALU_DEP_1)
	v_cndmask_b32_e32 v1, 0x7fc0, v3, vcc_lo
.LBB175_692:
	s_mov_b32 s26, 0
.LBB175_693:
	s_delay_alu instid0(SALU_CYCLE_1)
	s_and_not1_b32 vcc_lo, exec_lo, s26
	s_cbranch_vccnz .LBB175_695
; %bb.694:
	s_wait_loadcnt 0x0
	global_load_u16 v1, v[4:5], off
	s_wait_loadcnt 0x0
	v_cvt_f32_f16_e32 v3, v1
	v_cmp_o_f16_e32 vcc_lo, v1, v1
	s_delay_alu instid0(VALU_DEP_2) | instskip(NEXT) | instid1(VALU_DEP_1)
	v_bfe_u32 v6, v3, 16, 1
	v_add3_u32 v3, v3, v6, 0x7fff
	s_delay_alu instid0(VALU_DEP_1) | instskip(NEXT) | instid1(VALU_DEP_1)
	v_lshrrev_b32_e32 v3, 16, v3
	v_cndmask_b32_e32 v1, 0x7fc0, v3, vcc_lo
.LBB175_695:
	v_mov_b32_e32 v3, 0
.LBB175_696:
	s_mov_b32 s26, 0
.LBB175_697:
	s_delay_alu instid0(SALU_CYCLE_1)
	s_and_not1_b32 vcc_lo, exec_lo, s26
	s_cbranch_vccnz .LBB175_718
; %bb.698:
	s_cmp_lt_i32 s0, 2
	s_cbranch_scc1 .LBB175_702
; %bb.699:
	s_cmp_lt_i32 s0, 3
	s_cbranch_scc1 .LBB175_703
; %bb.700:
	s_cmp_gt_i32 s0, 3
	s_cbranch_scc0 .LBB175_704
; %bb.701:
	global_load_b64 v[6:7], v[4:5], off
	s_mov_b32 s26, 0
	s_wait_loadcnt 0x0
	v_xor_b32_e32 v1, v6, v7
	v_cls_i32_e32 v3, v7
	s_delay_alu instid0(VALU_DEP_2) | instskip(NEXT) | instid1(VALU_DEP_1)
	v_ashrrev_i32_e32 v1, 31, v1
	v_add_nc_u32_e32 v1, 32, v1
	s_delay_alu instid0(VALU_DEP_1) | instskip(NEXT) | instid1(VALU_DEP_1)
	v_add_min_u32_e64 v1, v3, -1, v1
	v_lshlrev_b64_e32 v[6:7], v1, v[6:7]
	v_sub_nc_u32_e32 v1, 32, v1
	s_delay_alu instid0(VALU_DEP_2) | instskip(NEXT) | instid1(VALU_DEP_1)
	v_min_u32_e32 v3, 1, v6
	v_or_b32_e32 v3, v7, v3
	s_delay_alu instid0(VALU_DEP_1) | instskip(NEXT) | instid1(VALU_DEP_1)
	v_cvt_f32_i32_e32 v3, v3
	v_ldexp_f32 v1, v3, v1
	s_delay_alu instid0(VALU_DEP_1) | instskip(NEXT) | instid1(VALU_DEP_1)
	v_bfe_u32 v3, v1, 16, 1
	v_add3_u32 v1, v1, v3, 0x7fff
	s_delay_alu instid0(VALU_DEP_1)
	v_lshrrev_b32_e32 v1, 16, v1
	s_branch .LBB175_705
.LBB175_702:
	s_mov_b32 s26, -1
                                        ; implicit-def: $vgpr1
	s_branch .LBB175_711
.LBB175_703:
	s_mov_b32 s26, -1
                                        ; implicit-def: $vgpr1
	s_branch .LBB175_708
.LBB175_704:
	s_mov_b32 s26, -1
                                        ; implicit-def: $vgpr1
.LBB175_705:
	s_delay_alu instid0(SALU_CYCLE_1)
	s_and_not1_b32 vcc_lo, exec_lo, s26
	s_cbranch_vccnz .LBB175_707
; %bb.706:
	s_wait_loadcnt 0x0
	global_load_b32 v1, v[4:5], off
	s_wait_loadcnt 0x0
	v_cvt_f32_i32_e32 v1, v1
	s_delay_alu instid0(VALU_DEP_1) | instskip(NEXT) | instid1(VALU_DEP_1)
	v_bfe_u32 v3, v1, 16, 1
	v_add3_u32 v1, v1, v3, 0x7fff
	s_delay_alu instid0(VALU_DEP_1)
	v_lshrrev_b32_e32 v1, 16, v1
.LBB175_707:
	s_mov_b32 s26, 0
.LBB175_708:
	s_delay_alu instid0(SALU_CYCLE_1)
	s_and_not1_b32 vcc_lo, exec_lo, s26
	s_cbranch_vccnz .LBB175_710
; %bb.709:
	s_wait_loadcnt 0x0
	global_load_i16 v1, v[4:5], off
	s_wait_loadcnt 0x0
	v_cvt_f32_i32_e32 v1, v1
	s_delay_alu instid0(VALU_DEP_1) | instskip(NEXT) | instid1(VALU_DEP_1)
	v_bfe_u32 v3, v1, 16, 1
	v_add3_u32 v1, v1, v3, 0x7fff
	s_delay_alu instid0(VALU_DEP_1)
	v_lshrrev_b32_e32 v1, 16, v1
.LBB175_710:
	s_mov_b32 s26, 0
.LBB175_711:
	s_delay_alu instid0(SALU_CYCLE_1)
	s_and_not1_b32 vcc_lo, exec_lo, s26
	s_cbranch_vccnz .LBB175_717
; %bb.712:
	s_cmp_gt_i32 s0, 0
	s_mov_b32 s0, 0
	s_cbranch_scc0 .LBB175_714
; %bb.713:
	s_wait_loadcnt 0x0
	global_load_i8 v1, v[4:5], off
	s_wait_loadcnt 0x0
	v_cvt_f32_i32_e32 v1, v1
	s_delay_alu instid0(VALU_DEP_1) | instskip(NEXT) | instid1(VALU_DEP_1)
	v_bfe_u32 v3, v1, 16, 1
	v_add3_u32 v1, v1, v3, 0x7fff
	s_delay_alu instid0(VALU_DEP_1)
	v_lshrrev_b32_e32 v1, 16, v1
	s_branch .LBB175_715
.LBB175_714:
	s_mov_b32 s0, -1
                                        ; implicit-def: $vgpr1
.LBB175_715:
	s_delay_alu instid0(SALU_CYCLE_1)
	s_and_not1_b32 vcc_lo, exec_lo, s0
	s_cbranch_vccnz .LBB175_717
; %bb.716:
	s_wait_loadcnt 0x0
	global_load_u8 v1, v[4:5], off
	s_wait_loadcnt 0x0
	v_cvt_f32_ubyte0_e32 v1, v1
	s_delay_alu instid0(VALU_DEP_1) | instskip(NEXT) | instid1(VALU_DEP_1)
	v_bfe_u32 v3, v1, 16, 1
	v_add3_u32 v1, v1, v3, 0x7fff
	s_delay_alu instid0(VALU_DEP_1)
	v_lshrrev_b32_e32 v1, 16, v1
.LBB175_717:
	v_mov_b32_e32 v3, 0
.LBB175_718:
	s_mov_b32 s26, -1
.LBB175_719:
	s_delay_alu instid0(SALU_CYCLE_1)
	s_and_not1_b32 vcc_lo, exec_lo, s26
	s_cbranch_vccnz .LBB175_722
; %bb.720:
	s_wait_loadcnt 0x0
	v_and_b32_e32 v1, 0xffff, v1
	s_and_not1_b32 vcc_lo, exec_lo, s35
	s_delay_alu instid0(VALU_DEP_1) | instskip(SKIP_1) | instid1(VALU_DEP_2)
	v_or_b32_e32 v1, v3, v1
	v_and_b32_e32 v3, 0xffff0000, v3
	v_lshlrev_b32_e32 v1, 16, v1
	s_cbranch_vccnz .LBB175_723
; %bb.721:
	s_delay_alu instid0(VALU_DEP_1) | instskip(NEXT) | instid1(VALU_DEP_3)
	v_cmp_neq_f32_e32 vcc_lo, s9, v1
	v_cmp_neq_f32_e64 s0, s20, v3
	s_or_b32 s26, vcc_lo, s0
	s_mov_b32 s0, 0
	s_branch .LBB175_724
.LBB175_722:
	s_mov_b32 s26, 0
	s_mov_b32 s0, s45
	s_branch .LBB175_849
.LBB175_723:
	s_mov_b32 s0, -1
                                        ; implicit-def: $sgpr26
.LBB175_724:
	s_delay_alu instid0(SALU_CYCLE_1)
	s_and_not1_b32 vcc_lo, exec_lo, s0
	s_cbranch_vccnz .LBB175_726
; %bb.725:
	v_cmp_eq_f32_e32 vcc_lo, s9, v1
	v_cmp_eq_f32_e64 s0, s20, v3
	s_and_not1_b32 s26, s26, exec_lo
	s_and_b32 s0, vcc_lo, s0
	s_delay_alu instid0(SALU_CYCLE_1) | instskip(NEXT) | instid1(SALU_CYCLE_1)
	s_and_b32 s0, s0, exec_lo
	s_or_b32 s26, s26, s0
.LBB175_726:
	v_mov_b32_e32 v3, 0
	s_and_b32 s27, s2, 0xff
	s_delay_alu instid0(SALU_CYCLE_1) | instskip(NEXT) | instid1(VALU_DEP_1)
	s_cmp_lt_i32 s27, 11
	v_add_nc_u64_e32 v[2:3], s[4:5], v[2:3]
	s_cbranch_scc1 .LBB175_733
; %bb.727:
	s_and_b32 s28, 0xffff, s27
	s_delay_alu instid0(SALU_CYCLE_1)
	s_cmp_gt_i32 s28, 25
	s_cbranch_scc0 .LBB175_734
; %bb.728:
	s_cmp_gt_i32 s28, 28
	s_cbranch_scc0 .LBB175_735
; %bb.729:
	;; [unrolled: 3-line block ×4, first 2 shown]
	s_mov_b32 s48, 0
	s_mov_b32 s0, -1
	s_cmp_eq_u32 s28, 46
	s_mov_b32 s29, 0
	s_cbranch_scc0 .LBB175_738
; %bb.732:
	v_cndmask_b32_e64 v1, 0, 1.0, s26
	s_mov_b32 s29, -1
	s_mov_b32 s0, 0
	s_wait_xcnt 0x0
	s_delay_alu instid0(VALU_DEP_1) | instskip(NEXT) | instid1(VALU_DEP_1)
	v_bfe_u32 v4, v1, 16, 1
	v_add3_u32 v1, v1, v4, 0x7fff
	s_delay_alu instid0(VALU_DEP_1)
	v_lshrrev_b32_e32 v1, 16, v1
	global_store_b32 v[2:3], v1, off
	s_branch .LBB175_738
.LBB175_733:
	s_mov_b32 s28, -1
	s_mov_b32 s29, 0
	s_mov_b32 s0, s45
	s_branch .LBB175_807
.LBB175_734:
	s_mov_b32 s48, -1
	s_mov_b32 s29, 0
	s_mov_b32 s0, s45
	s_branch .LBB175_765
.LBB175_735:
	s_mov_b32 s48, -1
	s_mov_b32 s29, 0
	s_mov_b32 s0, s45
	s_branch .LBB175_748
.LBB175_736:
	s_mov_b32 s48, -1
	s_mov_b32 s29, 0
	s_mov_b32 s0, s45
	s_branch .LBB175_744
.LBB175_737:
	s_mov_b32 s48, -1
	s_mov_b32 s29, 0
	s_mov_b32 s0, s45
.LBB175_738:
	s_and_b32 vcc_lo, exec_lo, s48
	s_cbranch_vccz .LBB175_743
; %bb.739:
	s_cmp_eq_u32 s28, 44
	s_mov_b32 s0, -1
	s_cbranch_scc0 .LBB175_743
; %bb.740:
	s_wait_xcnt 0x0
	v_cndmask_b32_e64 v5, 0, 1.0, s26
	s_mov_b32 s29, exec_lo
	s_delay_alu instid0(VALU_DEP_1) | instskip(NEXT) | instid1(VALU_DEP_1)
	v_dual_mov_b32 v4, 0xff :: v_dual_lshrrev_b32 v1, 23, v5
	v_cmpx_ne_u32_e32 0xff, v1
; %bb.741:
	v_and_b32_e32 v4, 0x400000, v5
	v_and_or_b32 v5, 0x3fffff, v5, v1
	s_delay_alu instid0(VALU_DEP_2) | instskip(NEXT) | instid1(VALU_DEP_2)
	v_cmp_ne_u32_e32 vcc_lo, 0, v4
	v_cmp_ne_u32_e64 s0, 0, v5
	s_and_b32 s0, vcc_lo, s0
	s_delay_alu instid0(SALU_CYCLE_1) | instskip(NEXT) | instid1(VALU_DEP_1)
	v_cndmask_b32_e64 v4, 0, 1, s0
	v_add_nc_u32_e32 v4, v1, v4
; %bb.742:
	s_or_b32 exec_lo, exec_lo, s29
	s_mov_b32 s29, -1
	s_mov_b32 s0, 0
	global_store_b8 v[2:3], v4, off
.LBB175_743:
	s_mov_b32 s48, 0
.LBB175_744:
	s_delay_alu instid0(SALU_CYCLE_1)
	s_and_b32 vcc_lo, exec_lo, s48
	s_cbranch_vccz .LBB175_747
; %bb.745:
	s_cmp_eq_u32 s28, 29
	s_mov_b32 s0, -1
	s_cbranch_scc0 .LBB175_747
; %bb.746:
	s_mov_b32 s0, 0
	s_wait_xcnt 0x0
	v_cndmask_b32_e64 v4, 0, 1, s26
	v_mov_b32_e32 v5, s0
	s_mov_b32 s29, -1
	s_mov_b32 s48, 0
	global_store_b64 v[2:3], v[4:5], off
	s_branch .LBB175_748
.LBB175_747:
	s_mov_b32 s48, 0
.LBB175_748:
	s_delay_alu instid0(SALU_CYCLE_1)
	s_and_b32 vcc_lo, exec_lo, s48
	s_cbranch_vccz .LBB175_764
; %bb.749:
	s_cmp_lt_i32 s28, 27
	s_mov_b32 s29, -1
	s_cbranch_scc1 .LBB175_755
; %bb.750:
	s_cmp_gt_i32 s28, 27
	s_cbranch_scc0 .LBB175_752
; %bb.751:
	s_wait_xcnt 0x0
	v_cndmask_b32_e64 v1, 0, 1, s26
	s_mov_b32 s29, 0
	global_store_b32 v[2:3], v1, off
.LBB175_752:
	s_and_not1_b32 vcc_lo, exec_lo, s29
	s_cbranch_vccnz .LBB175_754
; %bb.753:
	s_wait_xcnt 0x0
	v_cndmask_b32_e64 v1, 0, 1, s26
	global_store_b16 v[2:3], v1, off
.LBB175_754:
	s_mov_b32 s29, 0
.LBB175_755:
	s_delay_alu instid0(SALU_CYCLE_1)
	s_and_not1_b32 vcc_lo, exec_lo, s29
	s_cbranch_vccnz .LBB175_763
; %bb.756:
	s_wait_xcnt 0x0
	v_cndmask_b32_e64 v4, 0, 1.0, s26
	v_mov_b32_e32 v5, 0x80
	s_mov_b32 s29, exec_lo
	s_delay_alu instid0(VALU_DEP_2)
	v_cmpx_gt_u32_e32 0x43800000, v4
	s_cbranch_execz .LBB175_762
; %bb.757:
	s_mov_b32 s48, 0
	s_mov_b32 s49, exec_lo
                                        ; implicit-def: $vgpr1
	v_cmpx_lt_u32_e32 0x3bffffff, v4
	s_xor_b32 s49, exec_lo, s49
	s_cbranch_execz .LBB175_881
; %bb.758:
	v_bfe_u32 v1, v4, 20, 1
	s_mov_b32 s48, exec_lo
	s_delay_alu instid0(VALU_DEP_1) | instskip(NEXT) | instid1(VALU_DEP_1)
	v_add3_u32 v1, v4, v1, 0x487ffff
                                        ; implicit-def: $vgpr4
	v_lshrrev_b32_e32 v1, 20, v1
	s_and_not1_saveexec_b32 s49, s49
	s_cbranch_execnz .LBB175_882
.LBB175_759:
	s_or_b32 exec_lo, exec_lo, s49
	v_mov_b32_e32 v5, 0
	s_and_saveexec_b32 s49, s48
.LBB175_760:
	v_mov_b32_e32 v5, v1
.LBB175_761:
	s_or_b32 exec_lo, exec_lo, s49
.LBB175_762:
	s_delay_alu instid0(SALU_CYCLE_1)
	s_or_b32 exec_lo, exec_lo, s29
	global_store_b8 v[2:3], v5, off
.LBB175_763:
	s_mov_b32 s29, -1
.LBB175_764:
	s_mov_b32 s48, 0
.LBB175_765:
	s_delay_alu instid0(SALU_CYCLE_1)
	s_and_b32 vcc_lo, exec_lo, s48
	s_cbranch_vccz .LBB175_806
; %bb.766:
	s_cmp_gt_i32 s28, 22
	s_mov_b32 s48, -1
	s_cbranch_scc0 .LBB175_798
; %bb.767:
	s_cmp_lt_i32 s28, 24
	s_mov_b32 s29, -1
	s_cbranch_scc1 .LBB175_787
; %bb.768:
	s_cmp_gt_i32 s28, 24
	s_cbranch_scc0 .LBB175_776
; %bb.769:
	s_wait_xcnt 0x0
	v_cndmask_b32_e64 v4, 0, 1.0, s26
	v_mov_b32_e32 v5, 0x80
	s_mov_b32 s29, exec_lo
	s_delay_alu instid0(VALU_DEP_2)
	v_cmpx_gt_u32_e32 0x47800000, v4
	s_cbranch_execz .LBB175_775
; %bb.770:
	s_mov_b32 s48, 0
	s_mov_b32 s49, exec_lo
                                        ; implicit-def: $vgpr1
	v_cmpx_lt_u32_e32 0x37ffffff, v4
	s_xor_b32 s49, exec_lo, s49
	s_cbranch_execz .LBB175_884
; %bb.771:
	v_bfe_u32 v1, v4, 21, 1
	s_mov_b32 s48, exec_lo
	s_delay_alu instid0(VALU_DEP_1) | instskip(NEXT) | instid1(VALU_DEP_1)
	v_add3_u32 v1, v4, v1, 0x88fffff
                                        ; implicit-def: $vgpr4
	v_lshrrev_b32_e32 v1, 21, v1
	s_and_not1_saveexec_b32 s49, s49
	s_cbranch_execnz .LBB175_885
.LBB175_772:
	s_or_b32 exec_lo, exec_lo, s49
	v_mov_b32_e32 v5, 0
	s_and_saveexec_b32 s49, s48
.LBB175_773:
	v_mov_b32_e32 v5, v1
.LBB175_774:
	s_or_b32 exec_lo, exec_lo, s49
.LBB175_775:
	s_delay_alu instid0(SALU_CYCLE_1)
	s_or_b32 exec_lo, exec_lo, s29
	s_mov_b32 s29, 0
	global_store_b8 v[2:3], v5, off
.LBB175_776:
	s_and_b32 vcc_lo, exec_lo, s29
	s_cbranch_vccz .LBB175_786
; %bb.777:
	s_wait_xcnt 0x0
	v_cndmask_b32_e64 v4, 0, 1.0, s26
	s_mov_b32 s29, exec_lo
                                        ; implicit-def: $vgpr1
	s_delay_alu instid0(VALU_DEP_1)
	v_cmpx_gt_u32_e32 0x43f00000, v4
	s_xor_b32 s29, exec_lo, s29
	s_cbranch_execz .LBB175_783
; %bb.778:
	s_mov_b32 s48, exec_lo
                                        ; implicit-def: $vgpr1
	v_cmpx_lt_u32_e32 0x3c7fffff, v4
	s_xor_b32 s48, exec_lo, s48
; %bb.779:
	v_bfe_u32 v1, v4, 20, 1
	s_delay_alu instid0(VALU_DEP_1) | instskip(NEXT) | instid1(VALU_DEP_1)
	v_add3_u32 v1, v4, v1, 0x407ffff
	v_and_b32_e32 v4, 0xff00000, v1
	v_lshrrev_b32_e32 v1, 20, v1
	s_delay_alu instid0(VALU_DEP_2) | instskip(NEXT) | instid1(VALU_DEP_2)
	v_cmp_ne_u32_e32 vcc_lo, 0x7f00000, v4
                                        ; implicit-def: $vgpr4
	v_cndmask_b32_e32 v1, 0x7e, v1, vcc_lo
; %bb.780:
	s_and_not1_saveexec_b32 s48, s48
; %bb.781:
	v_add_f32_e32 v1, 0x46800000, v4
; %bb.782:
	s_or_b32 exec_lo, exec_lo, s48
                                        ; implicit-def: $vgpr4
.LBB175_783:
	s_and_not1_saveexec_b32 s29, s29
; %bb.784:
	v_mov_b32_e32 v1, 0x7f
	v_cmp_lt_u32_e32 vcc_lo, 0x7f800000, v4
	s_delay_alu instid0(VALU_DEP_2)
	v_cndmask_b32_e32 v1, 0x7e, v1, vcc_lo
; %bb.785:
	s_or_b32 exec_lo, exec_lo, s29
	global_store_b8 v[2:3], v1, off
.LBB175_786:
	s_mov_b32 s29, 0
.LBB175_787:
	s_delay_alu instid0(SALU_CYCLE_1)
	s_and_not1_b32 vcc_lo, exec_lo, s29
	s_cbranch_vccnz .LBB175_797
; %bb.788:
	s_wait_xcnt 0x0
	v_cndmask_b32_e64 v4, 0, 1.0, s26
	s_mov_b32 s29, exec_lo
                                        ; implicit-def: $vgpr1
	s_delay_alu instid0(VALU_DEP_1)
	v_cmpx_gt_u32_e32 0x47800000, v4
	s_xor_b32 s29, exec_lo, s29
	s_cbranch_execz .LBB175_794
; %bb.789:
	s_mov_b32 s48, exec_lo
                                        ; implicit-def: $vgpr1
	v_cmpx_lt_u32_e32 0x387fffff, v4
	s_xor_b32 s48, exec_lo, s48
; %bb.790:
	v_bfe_u32 v1, v4, 21, 1
	s_delay_alu instid0(VALU_DEP_1) | instskip(NEXT) | instid1(VALU_DEP_1)
	v_add3_u32 v1, v4, v1, 0x80fffff
                                        ; implicit-def: $vgpr4
	v_lshrrev_b32_e32 v1, 21, v1
; %bb.791:
	s_and_not1_saveexec_b32 s48, s48
; %bb.792:
	v_add_f32_e32 v1, 0x43000000, v4
; %bb.793:
	s_or_b32 exec_lo, exec_lo, s48
                                        ; implicit-def: $vgpr4
.LBB175_794:
	s_and_not1_saveexec_b32 s29, s29
; %bb.795:
	v_mov_b32_e32 v1, 0x7f
	v_cmp_lt_u32_e32 vcc_lo, 0x7f800000, v4
	s_delay_alu instid0(VALU_DEP_2)
	v_cndmask_b32_e32 v1, 0x7c, v1, vcc_lo
; %bb.796:
	s_or_b32 exec_lo, exec_lo, s29
	global_store_b8 v[2:3], v1, off
.LBB175_797:
	s_mov_b32 s48, 0
	s_mov_b32 s29, -1
.LBB175_798:
	s_and_not1_b32 vcc_lo, exec_lo, s48
	s_cbranch_vccnz .LBB175_806
; %bb.799:
	s_cmp_gt_i32 s28, 14
	s_mov_b32 s48, -1
	s_cbranch_scc0 .LBB175_803
; %bb.800:
	s_cmp_eq_u32 s28, 15
	s_mov_b32 s0, -1
	s_cbranch_scc0 .LBB175_802
; %bb.801:
	s_wait_xcnt 0x0
	v_cndmask_b32_e64 v1, 0, 1.0, s26
	s_mov_b32 s29, -1
	s_mov_b32 s0, 0
	s_delay_alu instid0(VALU_DEP_1) | instskip(NEXT) | instid1(VALU_DEP_1)
	v_bfe_u32 v4, v1, 16, 1
	v_add3_u32 v1, v1, v4, 0x7fff
	global_store_d16_hi_b16 v[2:3], v1, off
.LBB175_802:
	s_mov_b32 s48, 0
.LBB175_803:
	s_delay_alu instid0(SALU_CYCLE_1)
	s_and_b32 vcc_lo, exec_lo, s48
	s_cbranch_vccz .LBB175_806
; %bb.804:
	s_cmp_eq_u32 s28, 11
	s_mov_b32 s0, -1
	s_cbranch_scc0 .LBB175_806
; %bb.805:
	s_wait_xcnt 0x0
	v_cndmask_b32_e64 v1, 0, 1, s26
	s_mov_b32 s29, -1
	s_mov_b32 s0, 0
	global_store_b8 v[2:3], v1, off
.LBB175_806:
	s_mov_b32 s28, 0
.LBB175_807:
	s_delay_alu instid0(SALU_CYCLE_1)
	s_and_b32 vcc_lo, exec_lo, s28
	s_cbranch_vccz .LBB175_846
; %bb.808:
	s_and_b32 s27, 0xffff, s27
	s_mov_b32 s28, -1
	s_cmp_lt_i32 s27, 5
	s_cbranch_scc1 .LBB175_829
; %bb.809:
	s_cmp_lt_i32 s27, 8
	s_cbranch_scc1 .LBB175_819
; %bb.810:
	;; [unrolled: 3-line block ×3, first 2 shown]
	s_cmp_gt_i32 s27, 9
	s_cbranch_scc0 .LBB175_813
; %bb.812:
	s_wait_xcnt 0x0
	v_cndmask_b32_e64 v1, 0, 1, s26
	v_mov_b32_e32 v6, 0
	s_mov_b32 s28, 0
	s_delay_alu instid0(VALU_DEP_2) | instskip(NEXT) | instid1(VALU_DEP_2)
	v_cvt_f64_u32_e32 v[4:5], v1
	v_mov_b32_e32 v7, v6
	global_store_b128 v[2:3], v[4:7], off
.LBB175_813:
	s_and_not1_b32 vcc_lo, exec_lo, s28
	s_cbranch_vccnz .LBB175_815
; %bb.814:
	s_wait_xcnt 0x0
	v_cndmask_b32_e64 v4, 0, 1.0, s26
	v_mov_b32_e32 v5, 0
	global_store_b64 v[2:3], v[4:5], off
.LBB175_815:
	s_mov_b32 s28, 0
.LBB175_816:
	s_delay_alu instid0(SALU_CYCLE_1)
	s_and_not1_b32 vcc_lo, exec_lo, s28
	s_cbranch_vccnz .LBB175_818
; %bb.817:
	s_wait_xcnt 0x0
	v_cndmask_b32_e64 v1, 0, 1.0, s26
	s_delay_alu instid0(VALU_DEP_1) | instskip(NEXT) | instid1(VALU_DEP_1)
	v_cvt_f16_f32_e32 v1, v1
	v_and_b32_e32 v1, 0xffff, v1
	global_store_b32 v[2:3], v1, off
.LBB175_818:
	s_mov_b32 s28, 0
.LBB175_819:
	s_delay_alu instid0(SALU_CYCLE_1)
	s_and_not1_b32 vcc_lo, exec_lo, s28
	s_cbranch_vccnz .LBB175_828
; %bb.820:
	s_cmp_lt_i32 s27, 6
	s_mov_b32 s28, -1
	s_cbranch_scc1 .LBB175_826
; %bb.821:
	s_cmp_gt_i32 s27, 6
	s_cbranch_scc0 .LBB175_823
; %bb.822:
	s_wait_xcnt 0x0
	v_cndmask_b32_e64 v1, 0, 1, s26
	s_mov_b32 s28, 0
	s_delay_alu instid0(VALU_DEP_1)
	v_cvt_f64_u32_e32 v[4:5], v1
	global_store_b64 v[2:3], v[4:5], off
.LBB175_823:
	s_and_not1_b32 vcc_lo, exec_lo, s28
	s_cbranch_vccnz .LBB175_825
; %bb.824:
	s_wait_xcnt 0x0
	v_cndmask_b32_e64 v1, 0, 1.0, s26
	global_store_b32 v[2:3], v1, off
.LBB175_825:
	s_mov_b32 s28, 0
.LBB175_826:
	s_delay_alu instid0(SALU_CYCLE_1)
	s_and_not1_b32 vcc_lo, exec_lo, s28
	s_cbranch_vccnz .LBB175_828
; %bb.827:
	s_wait_xcnt 0x0
	v_cndmask_b32_e64 v1, 0, 1.0, s26
	s_delay_alu instid0(VALU_DEP_1)
	v_cvt_f16_f32_e32 v1, v1
	global_store_b16 v[2:3], v1, off
.LBB175_828:
	s_mov_b32 s28, 0
.LBB175_829:
	s_delay_alu instid0(SALU_CYCLE_1)
	s_and_not1_b32 vcc_lo, exec_lo, s28
	s_cbranch_vccnz .LBB175_845
; %bb.830:
	s_cmp_lt_i32 s27, 2
	s_mov_b32 s28, -1
	s_cbranch_scc1 .LBB175_840
; %bb.831:
	s_cmp_lt_i32 s27, 3
	s_cbranch_scc1 .LBB175_837
; %bb.832:
	s_cmp_gt_i32 s27, 3
	s_cbranch_scc0 .LBB175_834
; %bb.833:
	s_mov_b32 s28, 0
	s_wait_xcnt 0x0
	v_cndmask_b32_e64 v4, 0, 1, s26
	v_mov_b32_e32 v5, s28
	global_store_b64 v[2:3], v[4:5], off
.LBB175_834:
	s_and_not1_b32 vcc_lo, exec_lo, s28
	s_cbranch_vccnz .LBB175_836
; %bb.835:
	s_wait_xcnt 0x0
	v_cndmask_b32_e64 v1, 0, 1, s26
	global_store_b32 v[2:3], v1, off
.LBB175_836:
	s_mov_b32 s28, 0
.LBB175_837:
	s_delay_alu instid0(SALU_CYCLE_1)
	s_and_not1_b32 vcc_lo, exec_lo, s28
	s_cbranch_vccnz .LBB175_839
; %bb.838:
	s_wait_xcnt 0x0
	v_cndmask_b32_e64 v1, 0, 1, s26
	global_store_b16 v[2:3], v1, off
.LBB175_839:
	s_mov_b32 s28, 0
.LBB175_840:
	s_delay_alu instid0(SALU_CYCLE_1)
	s_and_not1_b32 vcc_lo, exec_lo, s28
	s_cbranch_vccnz .LBB175_845
; %bb.841:
	s_wait_xcnt 0x0
	v_cndmask_b32_e64 v1, 0, 1, s26
	s_cmp_gt_i32 s27, 0
	s_mov_b32 s26, -1
	s_cbranch_scc0 .LBB175_843
; %bb.842:
	s_mov_b32 s26, 0
	global_store_b8 v[2:3], v1, off
.LBB175_843:
	s_and_not1_b32 vcc_lo, exec_lo, s26
	s_cbranch_vccnz .LBB175_845
; %bb.844:
	global_store_b8 v[2:3], v1, off
.LBB175_845:
	s_mov_b32 s29, -1
.LBB175_846:
	s_delay_alu instid0(SALU_CYCLE_1)
	s_and_not1_b32 vcc_lo, exec_lo, s29
	s_cbranch_vccnz .LBB175_848
; %bb.847:
	v_add_nc_u32_e32 v0, 0x80, v0
	s_mov_b32 s26, -1
	s_branch .LBB175_850
.LBB175_848:
	s_mov_b32 s26, 0
.LBB175_849:
                                        ; implicit-def: $vgpr0
.LBB175_850:
	s_and_not1_b32 s27, s45, exec_lo
	s_and_b32 s0, s0, exec_lo
	s_and_not1_b32 s28, s44, exec_lo
	s_and_b32 s1, s1, exec_lo
	s_or_b32 s29, s27, s0
	s_or_b32 s28, s28, s1
	s_or_not1_b32 s27, s26, exec_lo
.LBB175_851:
	s_wait_xcnt 0x0
	s_or_b32 exec_lo, exec_lo, s47
	s_mov_b32 s0, 0
	s_mov_b32 s1, 0
	;; [unrolled: 1-line block ×3, first 2 shown]
                                        ; implicit-def: $vgpr4_vgpr5
                                        ; implicit-def: $vgpr2
                                        ; implicit-def: $vgpr6
                                        ; implicit-def: $vgpr3
	s_and_saveexec_b32 s47, s27
	s_cbranch_execz .LBB175_956
; %bb.852:
	v_cmp_gt_i32_e32 vcc_lo, s38, v0
	s_mov_b32 s48, s28
	s_mov_b32 s27, 0
                                        ; implicit-def: $vgpr4_vgpr5
                                        ; implicit-def: $vgpr2
                                        ; implicit-def: $vgpr6
                                        ; implicit-def: $vgpr3
	s_and_saveexec_b32 s38, vcc_lo
	s_cbranch_execz .LBB175_955
; %bb.853:
	s_and_not1_b32 vcc_lo, exec_lo, s33
	s_cbranch_vccnz .LBB175_859
; %bb.854:
	s_and_not1_b32 vcc_lo, exec_lo, s40
	s_cbranch_vccnz .LBB175_860
; %bb.855:
	s_add_co_i32 s39, s39, 1
	s_cmp_eq_u32 s31, 2
	s_cbranch_scc1 .LBB175_861
; %bb.856:
	v_dual_mov_b32 v2, 0 :: v_dual_mov_b32 v4, 0
	s_wait_loadcnt 0x0
	v_mov_b32_e32 v1, v0
	s_and_b32 s0, s39, 28
	s_mov_b64 s[26:27], s[16:17]
.LBB175_857:                            ; =>This Inner Loop Header: Depth=1
	s_clause 0x1
	s_load_b256 s[48:55], s[26:27], 0x4
	s_load_b128 s[64:67], s[26:27], 0x24
	s_load_b256 s[56:63], s[24:25], 0x0
	s_add_co_i32 s1, s1, 4
	s_wait_xcnt 0x0
	s_add_nc_u64 s[26:27], s[26:27], 48
	s_cmp_eq_u32 s0, s1
	s_add_nc_u64 s[24:25], s[24:25], 32
	s_wait_kmcnt 0x0
	v_mul_hi_u32 v3, s49, v1
	s_delay_alu instid0(VALU_DEP_1) | instskip(NEXT) | instid1(VALU_DEP_1)
	v_add_nc_u32_e32 v3, v1, v3
	v_lshrrev_b32_e32 v3, s50, v3
	s_delay_alu instid0(VALU_DEP_1) | instskip(NEXT) | instid1(VALU_DEP_1)
	v_mul_hi_u32 v5, s52, v3
	v_add_nc_u32_e32 v5, v3, v5
	s_delay_alu instid0(VALU_DEP_1) | instskip(NEXT) | instid1(VALU_DEP_1)
	v_lshrrev_b32_e32 v5, s53, v5
	v_mul_hi_u32 v6, s55, v5
	s_delay_alu instid0(VALU_DEP_1) | instskip(SKIP_1) | instid1(VALU_DEP_1)
	v_add_nc_u32_e32 v6, v5, v6
	v_mul_lo_u32 v7, v3, s48
	v_sub_nc_u32_e32 v1, v1, v7
	v_mul_lo_u32 v7, v5, s51
	s_delay_alu instid0(VALU_DEP_4) | instskip(NEXT) | instid1(VALU_DEP_3)
	v_lshrrev_b32_e32 v6, s64, v6
	v_mad_u32 v4, v1, s57, v4
	v_mad_u32 v1, v1, s56, v2
	s_delay_alu instid0(VALU_DEP_4) | instskip(NEXT) | instid1(VALU_DEP_4)
	v_sub_nc_u32_e32 v2, v3, v7
	v_mul_hi_u32 v8, s66, v6
	v_mul_lo_u32 v3, v6, s54
	s_delay_alu instid0(VALU_DEP_3) | instskip(SKIP_1) | instid1(VALU_DEP_3)
	v_mad_u32 v4, v2, s59, v4
	v_mad_u32 v2, v2, s58, v1
	v_dual_add_nc_u32 v7, v6, v8 :: v_dual_sub_nc_u32 v3, v5, v3
	s_delay_alu instid0(VALU_DEP_1) | instskip(NEXT) | instid1(VALU_DEP_2)
	v_lshrrev_b32_e32 v1, s67, v7
	v_mad_u32 v4, v3, s61, v4
	s_delay_alu instid0(VALU_DEP_4) | instskip(NEXT) | instid1(VALU_DEP_3)
	v_mad_u32 v2, v3, s60, v2
	v_mul_lo_u32 v5, v1, s65
	s_delay_alu instid0(VALU_DEP_1) | instskip(NEXT) | instid1(VALU_DEP_1)
	v_sub_nc_u32_e32 v3, v6, v5
	v_mad_u32 v4, v3, s63, v4
	s_delay_alu instid0(VALU_DEP_4)
	v_mad_u32 v2, v3, s62, v2
	s_cbranch_scc0 .LBB175_857
; %bb.858:
	s_delay_alu instid0(VALU_DEP_2)
	v_mov_b32_e32 v3, v4
	s_branch .LBB175_862
.LBB175_859:
	s_mov_b32 s0, -1
                                        ; implicit-def: $vgpr4
                                        ; implicit-def: $vgpr2
	s_branch .LBB175_867
.LBB175_860:
	v_dual_mov_b32 v4, 0 :: v_dual_mov_b32 v2, 0
	s_branch .LBB175_866
.LBB175_861:
	v_mov_b64_e32 v[2:3], 0
	s_wait_loadcnt 0x0
	v_mov_b32_e32 v1, v0
                                        ; implicit-def: $vgpr4
.LBB175_862:
	s_and_b32 s26, s39, 3
	s_mov_b32 s1, 0
	s_cmp_eq_u32 s26, 0
	s_cbranch_scc1 .LBB175_866
; %bb.863:
	s_lshl_b32 s24, s0, 3
	s_mov_b32 s25, s1
	s_mul_u64 s[48:49], s[0:1], 12
	s_add_nc_u64 s[24:25], s[16:17], s[24:25]
	s_delay_alu instid0(SALU_CYCLE_1)
	s_add_nc_u64 s[0:1], s[24:25], 0xc4
	s_add_nc_u64 s[24:25], s[16:17], s[48:49]
.LBB175_864:                            ; =>This Inner Loop Header: Depth=1
	s_load_b96 s[48:50], s[24:25], 0x4
	s_add_co_i32 s26, s26, -1
	s_wait_xcnt 0x0
	s_add_nc_u64 s[24:25], s[24:25], 12
	s_cmp_lg_u32 s26, 0
	s_wait_kmcnt 0x0
	v_mul_hi_u32 v4, s49, v1
	s_delay_alu instid0(VALU_DEP_1) | instskip(NEXT) | instid1(VALU_DEP_1)
	v_add_nc_u32_e32 v4, v1, v4
	v_lshrrev_b32_e32 v4, s50, v4
	s_load_b64 s[50:51], s[0:1], 0x0
	s_wait_xcnt 0x0
	s_add_nc_u64 s[0:1], s[0:1], 8
	s_delay_alu instid0(VALU_DEP_1) | instskip(NEXT) | instid1(VALU_DEP_1)
	v_mul_lo_u32 v5, v4, s48
	v_sub_nc_u32_e32 v1, v1, v5
	s_wait_kmcnt 0x0
	s_delay_alu instid0(VALU_DEP_1)
	v_mad_u32 v3, v1, s51, v3
	v_mad_u32 v2, v1, s50, v2
	v_mov_b32_e32 v1, v4
	s_cbranch_scc1 .LBB175_864
; %bb.865:
	s_delay_alu instid0(VALU_DEP_3)
	v_mov_b32_e32 v4, v3
.LBB175_866:
	s_mov_b32 s0, 0
.LBB175_867:
	s_delay_alu instid0(SALU_CYCLE_1)
	s_and_not1_b32 vcc_lo, exec_lo, s0
	s_cbranch_vccnz .LBB175_870
; %bb.868:
	s_wait_loadcnt 0x0
	v_mov_b32_e32 v1, 0
	s_and_not1_b32 vcc_lo, exec_lo, s37
	s_delay_alu instid0(VALU_DEP_1) | instskip(NEXT) | instid1(VALU_DEP_1)
	v_mul_u64_e32 v[2:3], s[18:19], v[0:1]
	v_add_nc_u32_e32 v2, v0, v3
	s_delay_alu instid0(VALU_DEP_1) | instskip(NEXT) | instid1(VALU_DEP_1)
	v_lshrrev_b32_e32 v6, s10, v2
	v_mul_lo_u32 v2, v6, s8
	s_delay_alu instid0(VALU_DEP_1) | instskip(NEXT) | instid1(VALU_DEP_1)
	v_sub_nc_u32_e32 v0, v0, v2
	v_mul_lo_u32 v4, v0, s13
	v_mul_lo_u32 v2, v0, s12
	s_cbranch_vccnz .LBB175_870
; %bb.869:
	v_mov_b32_e32 v7, v1
	s_delay_alu instid0(VALU_DEP_1) | instskip(NEXT) | instid1(VALU_DEP_1)
	v_mul_u64_e32 v[0:1], s[22:23], v[6:7]
	v_add_nc_u32_e32 v0, v6, v1
	s_delay_alu instid0(VALU_DEP_1) | instskip(NEXT) | instid1(VALU_DEP_1)
	v_lshrrev_b32_e32 v0, s21, v0
	v_mul_lo_u32 v0, v0, s11
	s_delay_alu instid0(VALU_DEP_1) | instskip(NEXT) | instid1(VALU_DEP_1)
	v_sub_nc_u32_e32 v0, v6, v0
	v_mad_u32 v2, v0, s14, v2
	v_mad_u32 v4, v0, s15, v4
.LBB175_870:
	v_mov_b32_e32 v5, 0
	s_and_b32 s0, 0xffff, s36
	s_delay_alu instid0(SALU_CYCLE_1) | instskip(NEXT) | instid1(VALU_DEP_1)
	s_cmp_lt_i32 s0, 11
	v_add_nc_u64_e32 v[4:5], s[6:7], v[4:5]
	s_cbranch_scc1 .LBB175_877
; %bb.871:
	s_cmp_gt_i32 s0, 25
	s_mov_b32 s6, 0
	s_cbranch_scc0 .LBB175_878
; %bb.872:
	s_cmp_gt_i32 s0, 28
	s_cbranch_scc0 .LBB175_879
; %bb.873:
	s_cmp_gt_i32 s0, 43
	;; [unrolled: 3-line block ×3, first 2 shown]
	s_cbranch_scc0 .LBB175_883
; %bb.875:
	s_cmp_eq_u32 s0, 46
	s_mov_b32 s8, 0
	s_cbranch_scc0 .LBB175_886
; %bb.876:
	global_load_b32 v3, v[4:5], off
	s_mov_b32 s1, 0
	s_mov_b32 s7, -1
	s_wait_loadcnt 0x0
	v_and_b32_e32 v6, 0xffff0000, v3
	s_branch .LBB175_888
.LBB175_877:
	s_mov_b32 s0, -1
	s_mov_b32 s7, 0
	s_mov_b32 s6, 0
	;; [unrolled: 1-line block ×3, first 2 shown]
                                        ; implicit-def: $vgpr6
                                        ; implicit-def: $vgpr3
	s_branch .LBB175_954
.LBB175_878:
	s_mov_b32 s8, -1
	s_mov_b32 s7, 0
	s_mov_b32 s1, s28
                                        ; implicit-def: $vgpr6
                                        ; implicit-def: $vgpr3
	s_branch .LBB175_919
.LBB175_879:
	s_mov_b32 s8, -1
	s_mov_b32 s7, 0
	s_mov_b32 s1, s28
                                        ; implicit-def: $vgpr6
                                        ; implicit-def: $vgpr3
	s_branch .LBB175_900
.LBB175_880:
	s_mov_b32 s8, -1
	s_mov_b32 s7, 0
	s_mov_b32 s1, s28
                                        ; implicit-def: $vgpr6
                                        ; implicit-def: $vgpr3
	s_branch .LBB175_894
.LBB175_881:
	s_and_not1_saveexec_b32 s49, s49
	s_cbranch_execz .LBB175_759
.LBB175_882:
	v_add_f32_e32 v1, 0x46000000, v4
	s_and_not1_b32 s48, s48, exec_lo
	s_delay_alu instid0(VALU_DEP_1) | instskip(NEXT) | instid1(VALU_DEP_1)
	v_and_b32_e32 v1, 0xff, v1
	v_cmp_ne_u32_e32 vcc_lo, 0, v1
	s_and_b32 s50, vcc_lo, exec_lo
	s_delay_alu instid0(SALU_CYCLE_1)
	s_or_b32 s48, s48, s50
	s_or_b32 exec_lo, exec_lo, s49
	v_mov_b32_e32 v5, 0
	s_and_saveexec_b32 s49, s48
	s_cbranch_execnz .LBB175_760
	s_branch .LBB175_761
.LBB175_883:
	s_mov_b32 s8, -1
	s_mov_b32 s7, 0
	s_mov_b32 s1, s28
	s_branch .LBB175_887
.LBB175_884:
	s_and_not1_saveexec_b32 s49, s49
	s_cbranch_execz .LBB175_772
.LBB175_885:
	v_add_f32_e32 v1, 0x42800000, v4
	s_and_not1_b32 s48, s48, exec_lo
	s_delay_alu instid0(VALU_DEP_1) | instskip(NEXT) | instid1(VALU_DEP_1)
	v_and_b32_e32 v1, 0xff, v1
	v_cmp_ne_u32_e32 vcc_lo, 0, v1
	s_and_b32 s50, vcc_lo, exec_lo
	s_delay_alu instid0(SALU_CYCLE_1)
	s_or_b32 s48, s48, s50
	s_or_b32 exec_lo, exec_lo, s49
	v_mov_b32_e32 v5, 0
	s_and_saveexec_b32 s49, s48
	s_cbranch_execnz .LBB175_773
	s_branch .LBB175_774
.LBB175_886:
	s_mov_b32 s1, -1
	s_mov_b32 s7, 0
.LBB175_887:
                                        ; implicit-def: $vgpr6
                                        ; implicit-def: $vgpr3
.LBB175_888:
	s_and_b32 vcc_lo, exec_lo, s8
	s_cbranch_vccz .LBB175_893
; %bb.889:
	s_cmp_eq_u32 s0, 44
	s_cbranch_scc0 .LBB175_891
; %bb.890:
	global_load_u8 v0, v[4:5], off
	s_mov_b32 s1, 0
	s_mov_b32 s7, -1
	s_wait_loadcnt 0x0
	v_lshlrev_b32_e32 v1, 23, v0
	v_cmp_ne_u32_e32 vcc_lo, 0xff, v0
	s_delay_alu instid0(VALU_DEP_2) | instskip(SKIP_1) | instid1(VALU_DEP_2)
	v_cndmask_b32_e32 v1, 0x7f800001, v1, vcc_lo
	v_cmp_ne_u32_e32 vcc_lo, 0, v0
	v_cndmask_b32_e32 v0, 0x400000, v1, vcc_lo
	s_delay_alu instid0(VALU_DEP_1) | instskip(NEXT) | instid1(VALU_DEP_1)
	v_add_nc_u32_e32 v1, 0x7fff, v0
	v_lshrrev_b32_e32 v1, 16, v1
	v_cmp_o_f32_e32 vcc_lo, v0, v0
	s_delay_alu instid0(VALU_DEP_2)
	v_cndmask_b32_e32 v3, 0x7fc0, v1, vcc_lo
	s_branch .LBB175_892
.LBB175_891:
	s_mov_b32 s1, -1
                                        ; implicit-def: $vgpr3
.LBB175_892:
	v_mov_b32_e32 v6, 0
.LBB175_893:
	s_mov_b32 s8, 0
.LBB175_894:
	s_delay_alu instid0(SALU_CYCLE_1)
	s_and_b32 vcc_lo, exec_lo, s8
	s_cbranch_vccz .LBB175_899
; %bb.895:
	s_cmp_eq_u32 s0, 29
	s_cbranch_scc0 .LBB175_897
; %bb.896:
	s_wait_loadcnt 0x0
	global_load_b64 v[0:1], v[4:5], off
	s_mov_b32 s1, 0
	s_mov_b32 s7, -1
	s_wait_loadcnt 0x0
	v_clz_i32_u32_e32 v3, v1
	s_delay_alu instid0(VALU_DEP_1) | instskip(NEXT) | instid1(VALU_DEP_1)
	v_min_u32_e32 v3, 32, v3
	v_lshlrev_b64_e32 v[0:1], v3, v[0:1]
	s_delay_alu instid0(VALU_DEP_1) | instskip(NEXT) | instid1(VALU_DEP_1)
	v_min_u32_e32 v0, 1, v0
	v_dual_sub_nc_u32 v1, 32, v3 :: v_dual_bitop2_b32 v0, v1, v0 bitop3:0x54
	s_delay_alu instid0(VALU_DEP_1) | instskip(NEXT) | instid1(VALU_DEP_1)
	v_cvt_f32_u32_e32 v0, v0
	v_ldexp_f32 v0, v0, v1
	s_delay_alu instid0(VALU_DEP_1) | instskip(NEXT) | instid1(VALU_DEP_1)
	v_bfe_u32 v1, v0, 16, 1
	v_add3_u32 v0, v0, v1, 0x7fff
	s_delay_alu instid0(VALU_DEP_1)
	v_lshrrev_b32_e32 v3, 16, v0
	s_branch .LBB175_898
.LBB175_897:
	s_mov_b32 s1, -1
                                        ; implicit-def: $vgpr3
.LBB175_898:
	v_mov_b32_e32 v6, 0
.LBB175_899:
	s_mov_b32 s8, 0
.LBB175_900:
	s_delay_alu instid0(SALU_CYCLE_1)
	s_and_b32 vcc_lo, exec_lo, s8
	s_cbranch_vccz .LBB175_918
; %bb.901:
	s_cmp_lt_i32 s0, 27
	s_cbranch_scc1 .LBB175_904
; %bb.902:
	s_cmp_gt_i32 s0, 27
	s_cbranch_scc0 .LBB175_905
; %bb.903:
	global_load_b32 v0, v[4:5], off
	s_mov_b32 s7, 0
	s_wait_loadcnt 0x0
	v_cvt_f32_u32_e32 v0, v0
	s_delay_alu instid0(VALU_DEP_1) | instskip(NEXT) | instid1(VALU_DEP_1)
	v_bfe_u32 v1, v0, 16, 1
	v_add3_u32 v0, v0, v1, 0x7fff
	s_delay_alu instid0(VALU_DEP_1)
	v_lshrrev_b32_e32 v3, 16, v0
	s_branch .LBB175_906
.LBB175_904:
	s_mov_b32 s7, -1
                                        ; implicit-def: $vgpr3
	s_branch .LBB175_909
.LBB175_905:
	s_mov_b32 s7, -1
                                        ; implicit-def: $vgpr3
.LBB175_906:
	s_delay_alu instid0(SALU_CYCLE_1)
	s_and_not1_b32 vcc_lo, exec_lo, s7
	s_cbranch_vccnz .LBB175_908
; %bb.907:
	global_load_u16 v0, v[4:5], off
	s_wait_loadcnt 0x0
	v_cvt_f32_u32_e32 v0, v0
	s_delay_alu instid0(VALU_DEP_1) | instskip(NEXT) | instid1(VALU_DEP_1)
	v_bfe_u32 v1, v0, 16, 1
	v_add3_u32 v0, v0, v1, 0x7fff
	s_delay_alu instid0(VALU_DEP_1)
	v_lshrrev_b32_e32 v3, 16, v0
.LBB175_908:
	s_mov_b32 s7, 0
.LBB175_909:
	s_delay_alu instid0(SALU_CYCLE_1)
	s_and_not1_b32 vcc_lo, exec_lo, s7
	s_cbranch_vccnz .LBB175_917
; %bb.910:
	global_load_u8 v0, v[4:5], off
	s_mov_b32 s7, 0
	s_mov_b32 s8, exec_lo
	s_wait_loadcnt 0x0
	v_cmpx_lt_i16_e32 0x7f, v0
	s_xor_b32 s8, exec_lo, s8
	s_cbranch_execz .LBB175_931
; %bb.911:
	s_mov_b32 s7, -1
	s_mov_b32 s10, exec_lo
	v_cmpx_eq_u16_e32 0x80, v0
; %bb.912:
	s_xor_b32 s7, exec_lo, -1
; %bb.913:
	s_or_b32 exec_lo, exec_lo, s10
	s_delay_alu instid0(SALU_CYCLE_1)
	s_and_b32 s7, s7, exec_lo
	s_or_saveexec_b32 s8, s8
	v_mov_b32_e32 v1, 0x7f800001
	s_xor_b32 exec_lo, exec_lo, s8
	s_cbranch_execnz .LBB175_932
.LBB175_914:
	s_or_b32 exec_lo, exec_lo, s8
	s_and_saveexec_b32 s8, s7
	s_cbranch_execz .LBB175_916
.LBB175_915:
	v_and_b32_e32 v1, 0xffff, v0
	s_delay_alu instid0(VALU_DEP_1) | instskip(SKIP_1) | instid1(VALU_DEP_2)
	v_and_b32_e32 v3, 7, v1
	v_bfe_u32 v8, v1, 3, 4
	v_clz_i32_u32_e32 v6, v3
	s_delay_alu instid0(VALU_DEP_2) | instskip(NEXT) | instid1(VALU_DEP_2)
	v_cmp_eq_u32_e32 vcc_lo, 0, v8
	v_min_u32_e32 v6, 32, v6
	s_delay_alu instid0(VALU_DEP_1) | instskip(NEXT) | instid1(VALU_DEP_1)
	v_subrev_nc_u32_e32 v7, 28, v6
	v_dual_lshlrev_b32 v1, v7, v1 :: v_dual_sub_nc_u32 v6, 29, v6
	s_delay_alu instid0(VALU_DEP_1) | instskip(NEXT) | instid1(VALU_DEP_1)
	v_dual_lshlrev_b32 v0, 24, v0 :: v_dual_bitop2_b32 v1, 7, v1 bitop3:0x40
	v_dual_cndmask_b32 v6, v8, v6 :: v_dual_cndmask_b32 v1, v3, v1
	s_delay_alu instid0(VALU_DEP_2) | instskip(NEXT) | instid1(VALU_DEP_2)
	v_and_b32_e32 v0, 0x80000000, v0
	v_lshl_add_u32 v3, v6, 23, 0x3b800000
	s_delay_alu instid0(VALU_DEP_3) | instskip(NEXT) | instid1(VALU_DEP_1)
	v_lshlrev_b32_e32 v1, 20, v1
	v_or3_b32 v1, v0, v3, v1
.LBB175_916:
	s_or_b32 exec_lo, exec_lo, s8
	s_delay_alu instid0(VALU_DEP_1) | instskip(SKIP_1) | instid1(VALU_DEP_2)
	v_bfe_u32 v0, v1, 16, 1
	v_cmp_o_f32_e32 vcc_lo, v1, v1
	v_add3_u32 v0, v1, v0, 0x7fff
	s_delay_alu instid0(VALU_DEP_1) | instskip(NEXT) | instid1(VALU_DEP_1)
	v_lshrrev_b32_e32 v0, 16, v0
	v_cndmask_b32_e32 v3, 0x7fc0, v0, vcc_lo
.LBB175_917:
	v_mov_b32_e32 v6, 0
	s_mov_b32 s7, -1
.LBB175_918:
	s_mov_b32 s8, 0
.LBB175_919:
	s_delay_alu instid0(SALU_CYCLE_1)
	s_and_b32 vcc_lo, exec_lo, s8
	s_cbranch_vccz .LBB175_953
; %bb.920:
	s_cmp_gt_i32 s0, 22
	s_cbranch_scc0 .LBB175_930
; %bb.921:
	s_cmp_lt_i32 s0, 24
	s_cbranch_scc1 .LBB175_933
; %bb.922:
	s_cmp_gt_i32 s0, 24
	s_cbranch_scc0 .LBB175_934
; %bb.923:
	global_load_u8 v0, v[4:5], off
	s_mov_b32 s7, exec_lo
	s_wait_loadcnt 0x0
	v_cmpx_lt_i16_e32 0x7f, v0
	s_xor_b32 s7, exec_lo, s7
	s_cbranch_execz .LBB175_946
; %bb.924:
	s_mov_b32 s6, -1
	s_mov_b32 s8, exec_lo
	v_cmpx_eq_u16_e32 0x80, v0
; %bb.925:
	s_xor_b32 s6, exec_lo, -1
; %bb.926:
	s_or_b32 exec_lo, exec_lo, s8
	s_delay_alu instid0(SALU_CYCLE_1)
	s_and_b32 s6, s6, exec_lo
	s_or_saveexec_b32 s7, s7
	v_mov_b32_e32 v1, 0x7f800001
	s_xor_b32 exec_lo, exec_lo, s7
	s_cbranch_execnz .LBB175_947
.LBB175_927:
	s_or_b32 exec_lo, exec_lo, s7
	s_and_saveexec_b32 s7, s6
	s_cbranch_execz .LBB175_929
.LBB175_928:
	v_and_b32_e32 v1, 0xffff, v0
	s_delay_alu instid0(VALU_DEP_1) | instskip(SKIP_1) | instid1(VALU_DEP_2)
	v_and_b32_e32 v3, 3, v1
	v_bfe_u32 v8, v1, 2, 5
	v_clz_i32_u32_e32 v6, v3
	s_delay_alu instid0(VALU_DEP_2) | instskip(NEXT) | instid1(VALU_DEP_2)
	v_cmp_eq_u32_e32 vcc_lo, 0, v8
	v_min_u32_e32 v6, 32, v6
	s_delay_alu instid0(VALU_DEP_1) | instskip(NEXT) | instid1(VALU_DEP_1)
	v_subrev_nc_u32_e32 v7, 29, v6
	v_dual_lshlrev_b32 v1, v7, v1 :: v_dual_sub_nc_u32 v6, 30, v6
	s_delay_alu instid0(VALU_DEP_1) | instskip(NEXT) | instid1(VALU_DEP_1)
	v_dual_lshlrev_b32 v0, 24, v0 :: v_dual_bitop2_b32 v1, 3, v1 bitop3:0x40
	v_dual_cndmask_b32 v6, v8, v6 :: v_dual_cndmask_b32 v1, v3, v1
	s_delay_alu instid0(VALU_DEP_2) | instskip(NEXT) | instid1(VALU_DEP_2)
	v_and_b32_e32 v0, 0x80000000, v0
	v_lshl_add_u32 v3, v6, 23, 0x37800000
	s_delay_alu instid0(VALU_DEP_3) | instskip(NEXT) | instid1(VALU_DEP_1)
	v_lshlrev_b32_e32 v1, 21, v1
	v_or3_b32 v1, v0, v3, v1
.LBB175_929:
	s_or_b32 exec_lo, exec_lo, s7
	s_delay_alu instid0(VALU_DEP_1) | instskip(SKIP_2) | instid1(VALU_DEP_2)
	v_bfe_u32 v0, v1, 16, 1
	v_cmp_o_f32_e32 vcc_lo, v1, v1
	s_mov_b32 s6, 0
	v_add3_u32 v0, v1, v0, 0x7fff
	s_delay_alu instid0(VALU_DEP_1) | instskip(NEXT) | instid1(VALU_DEP_1)
	v_lshrrev_b32_e32 v0, 16, v0
	v_cndmask_b32_e32 v3, 0x7fc0, v0, vcc_lo
	s_branch .LBB175_935
.LBB175_930:
	s_mov_b32 s6, -1
                                        ; implicit-def: $vgpr3
	s_branch .LBB175_941
.LBB175_931:
	s_or_saveexec_b32 s8, s8
	v_mov_b32_e32 v1, 0x7f800001
	s_xor_b32 exec_lo, exec_lo, s8
	s_cbranch_execz .LBB175_914
.LBB175_932:
	v_cmp_ne_u16_e32 vcc_lo, 0, v0
	v_mov_b32_e32 v1, 0
	s_and_not1_b32 s7, s7, exec_lo
	s_and_b32 s10, vcc_lo, exec_lo
	s_delay_alu instid0(SALU_CYCLE_1)
	s_or_b32 s7, s7, s10
	s_or_b32 exec_lo, exec_lo, s8
	s_and_saveexec_b32 s8, s7
	s_cbranch_execnz .LBB175_915
	s_branch .LBB175_916
.LBB175_933:
	s_mov_b32 s6, -1
                                        ; implicit-def: $vgpr3
	s_branch .LBB175_938
.LBB175_934:
	s_mov_b32 s6, -1
                                        ; implicit-def: $vgpr3
.LBB175_935:
	s_delay_alu instid0(SALU_CYCLE_1)
	s_and_b32 vcc_lo, exec_lo, s6
	s_cbranch_vccz .LBB175_937
; %bb.936:
	global_load_u8 v0, v[4:5], off
	s_wait_loadcnt 0x0
	v_lshlrev_b32_e32 v0, 24, v0
	s_delay_alu instid0(VALU_DEP_1) | instskip(NEXT) | instid1(VALU_DEP_1)
	v_and_b32_e32 v1, 0x7f000000, v0
	v_clz_i32_u32_e32 v3, v1
	v_add_nc_u32_e32 v7, 0x1000000, v1
	v_cmp_ne_u32_e32 vcc_lo, 0, v1
	s_delay_alu instid0(VALU_DEP_3) | instskip(NEXT) | instid1(VALU_DEP_1)
	v_min_u32_e32 v3, 32, v3
	v_sub_nc_u32_e64 v3, v3, 4 clamp
	s_delay_alu instid0(VALU_DEP_1) | instskip(NEXT) | instid1(VALU_DEP_1)
	v_dual_lshlrev_b32 v6, v3, v1 :: v_dual_lshlrev_b32 v3, 23, v3
	v_lshrrev_b32_e32 v6, 4, v6
	s_delay_alu instid0(VALU_DEP_1) | instskip(SKIP_1) | instid1(VALU_DEP_2)
	v_sub_nc_u32_e32 v3, v6, v3
	v_ashrrev_i32_e32 v6, 8, v7
	v_add_nc_u32_e32 v3, 0x3c000000, v3
	s_delay_alu instid0(VALU_DEP_1) | instskip(NEXT) | instid1(VALU_DEP_1)
	v_and_or_b32 v3, 0x7f800000, v6, v3
	v_cndmask_b32_e32 v1, 0, v3, vcc_lo
	s_delay_alu instid0(VALU_DEP_1) | instskip(SKIP_1) | instid1(VALU_DEP_2)
	v_and_or_b32 v0, 0x80000000, v0, v1
	v_bfe_u32 v1, v1, 16, 1
	v_cmp_o_f32_e32 vcc_lo, v0, v0
	s_delay_alu instid0(VALU_DEP_2) | instskip(NEXT) | instid1(VALU_DEP_1)
	v_add3_u32 v1, v0, v1, 0x7fff
	v_lshrrev_b32_e32 v1, 16, v1
	s_delay_alu instid0(VALU_DEP_1)
	v_cndmask_b32_e32 v3, 0x7fc0, v1, vcc_lo
.LBB175_937:
	s_mov_b32 s6, 0
.LBB175_938:
	s_delay_alu instid0(SALU_CYCLE_1)
	s_and_not1_b32 vcc_lo, exec_lo, s6
	s_cbranch_vccnz .LBB175_940
; %bb.939:
	global_load_u8 v0, v[4:5], off
	s_wait_loadcnt 0x0
	v_lshlrev_b32_e32 v1, 25, v0
	v_lshlrev_b16 v0, 8, v0
	s_delay_alu instid0(VALU_DEP_1) | instskip(SKIP_1) | instid1(VALU_DEP_2)
	v_and_or_b32 v6, 0x7f00, v0, 0.5
	v_bfe_i32 v0, v0, 0, 16
	v_dual_add_f32 v6, -0.5, v6 :: v_dual_lshrrev_b32 v3, 4, v1
	v_cmp_gt_u32_e32 vcc_lo, 0x8000000, v1
	s_delay_alu instid0(VALU_DEP_2) | instskip(NEXT) | instid1(VALU_DEP_1)
	v_or_b32_e32 v3, 0x70000000, v3
	v_mul_f32_e32 v3, 0x7800000, v3
	s_delay_alu instid0(VALU_DEP_1) | instskip(NEXT) | instid1(VALU_DEP_1)
	v_cndmask_b32_e32 v1, v3, v6, vcc_lo
	v_and_or_b32 v0, 0x80000000, v0, v1
	v_bfe_u32 v1, v1, 16, 1
	s_delay_alu instid0(VALU_DEP_2) | instskip(NEXT) | instid1(VALU_DEP_2)
	v_cmp_o_f32_e32 vcc_lo, v0, v0
	v_add3_u32 v1, v0, v1, 0x7fff
	s_delay_alu instid0(VALU_DEP_1) | instskip(NEXT) | instid1(VALU_DEP_1)
	v_lshrrev_b32_e32 v1, 16, v1
	v_cndmask_b32_e32 v3, 0x7fc0, v1, vcc_lo
.LBB175_940:
	s_mov_b32 s6, 0
	s_mov_b32 s7, -1
.LBB175_941:
	s_and_not1_b32 vcc_lo, exec_lo, s6
	s_mov_b32 s6, 0
	s_cbranch_vccnz .LBB175_952
; %bb.942:
	s_cmp_gt_i32 s0, 14
	s_cbranch_scc0 .LBB175_945
; %bb.943:
	s_cmp_eq_u32 s0, 15
	s_cbranch_scc0 .LBB175_948
; %bb.944:
	global_load_u16 v3, v[4:5], off
	s_mov_b32 s1, 0
	s_mov_b32 s7, -1
	s_branch .LBB175_950
.LBB175_945:
	s_mov_b32 s6, -1
	s_branch .LBB175_949
.LBB175_946:
	s_or_saveexec_b32 s7, s7
	v_mov_b32_e32 v1, 0x7f800001
	s_xor_b32 exec_lo, exec_lo, s7
	s_cbranch_execz .LBB175_927
.LBB175_947:
	v_cmp_ne_u16_e32 vcc_lo, 0, v0
	v_mov_b32_e32 v1, 0
	s_and_not1_b32 s6, s6, exec_lo
	s_and_b32 s8, vcc_lo, exec_lo
	s_delay_alu instid0(SALU_CYCLE_1)
	s_or_b32 s6, s6, s8
	s_or_b32 exec_lo, exec_lo, s7
	s_and_saveexec_b32 s7, s6
	s_cbranch_execnz .LBB175_928
	s_branch .LBB175_929
.LBB175_948:
	s_mov_b32 s1, -1
.LBB175_949:
                                        ; implicit-def: $vgpr3
.LBB175_950:
	s_and_b32 vcc_lo, exec_lo, s6
	s_mov_b32 s6, 0
	s_cbranch_vccz .LBB175_952
; %bb.951:
	s_cmp_lg_u32 s0, 11
	s_mov_b32 s6, -1
	s_cselect_b32 s0, -1, 0
	s_and_not1_b32 s1, s1, exec_lo
	s_and_b32 s0, s0, exec_lo
	s_delay_alu instid0(SALU_CYCLE_1)
	s_or_b32 s1, s1, s0
.LBB175_952:
	v_mov_b32_e32 v6, 0
.LBB175_953:
	s_mov_b32 s0, 0
.LBB175_954:
	s_and_b32 s26, s7, exec_lo
	s_and_not1_b32 s7, s28, exec_lo
	s_and_b32 s1, s1, exec_lo
	s_and_b32 s27, s0, exec_lo
	;; [unrolled: 1-line block ×3, first 2 shown]
	s_or_b32 s48, s7, s1
.LBB175_955:
	s_wait_xcnt 0x0
	s_or_b32 exec_lo, exec_lo, s38
	s_delay_alu instid0(SALU_CYCLE_1)
	s_and_not1_b32 s6, s28, exec_lo
	s_and_b32 s7, s48, exec_lo
	s_and_b32 s26, s26, exec_lo
	;; [unrolled: 1-line block ×4, first 2 shown]
	s_or_b32 s28, s6, s7
.LBB175_956:
	s_or_b32 exec_lo, exec_lo, s47
	s_delay_alu instid0(SALU_CYCLE_1)
	s_and_not1_b32 s6, s45, exec_lo
	s_and_b32 s7, s29, exec_lo
	s_and_b32 s27, s26, exec_lo
	s_or_b32 s45, s6, s7
	s_and_not1_b32 s6, s44, exec_lo
	s_and_b32 s7, s28, exec_lo
	s_and_b32 s26, s1, exec_lo
	;; [unrolled: 1-line block ×3, first 2 shown]
	s_or_b32 s44, s6, s7
.LBB175_957:
	s_or_b32 exec_lo, exec_lo, s46
	s_delay_alu instid0(SALU_CYCLE_1)
	s_and_not1_b32 s0, s41, exec_lo
	s_and_b32 s6, s45, exec_lo
	s_and_b32 s7, s44, exec_lo
	s_or_b32 s41, s0, s6
	s_and_not1_b32 s6, s42, exec_lo
	s_and_b32 s0, s27, exec_lo
	s_and_b32 s26, s26, exec_lo
	;; [unrolled: 1-line block ×3, first 2 shown]
	s_or_b32 s42, s6, s7
	s_or_b32 exec_lo, exec_lo, s43
	s_mov_b32 s1, 0
	s_and_saveexec_b32 s6, s42
	s_cbranch_execz .LBB175_284
.LBB175_958:
	s_mov_b32 s1, exec_lo
	s_and_not1_b32 s19, s19, exec_lo
	s_trap 2
	s_or_b32 exec_lo, exec_lo, s6
	s_and_saveexec_b32 s6, s19
	s_delay_alu instid0(SALU_CYCLE_1)
	s_xor_b32 s6, exec_lo, s6
	s_cbranch_execnz .LBB175_285
.LBB175_959:
	s_or_b32 exec_lo, exec_lo, s6
	s_and_saveexec_b32 s6, s26
	s_cbranch_execz .LBB175_1007
.LBB175_960:
	s_sext_i32_i16 s7, s36
	s_delay_alu instid0(SALU_CYCLE_1)
	s_cmp_lt_i32 s7, 5
	s_cbranch_scc1 .LBB175_965
; %bb.961:
	s_cmp_lt_i32 s7, 8
	s_cbranch_scc1 .LBB175_966
; %bb.962:
	;; [unrolled: 3-line block ×3, first 2 shown]
	s_cmp_gt_i32 s7, 9
	s_cbranch_scc0 .LBB175_968
; %bb.964:
	global_load_b128 v[6:9], v[4:5], off
	s_mov_b32 s7, 0
	s_wait_loadcnt 0x0
	v_cvt_f32_f64_e32 v0, v[6:7]
	v_cvt_f32_f64_e32 v1, v[8:9]
	s_delay_alu instid0(VALU_DEP_2) | instskip(NEXT) | instid1(VALU_DEP_2)
	v_bfe_u32 v3, v0, 16, 1
	v_bfe_u32 v6, v1, 16, 1
	v_cmp_o_f32_e32 vcc_lo, v0, v0
	s_delay_alu instid0(VALU_DEP_3) | instskip(NEXT) | instid1(VALU_DEP_3)
	v_add3_u32 v3, v0, v3, 0x7fff
	v_add3_u32 v6, v1, v6, 0x7fff
	s_delay_alu instid0(VALU_DEP_1) | instskip(NEXT) | instid1(VALU_DEP_3)
	v_and_b32_e32 v6, 0xffff0000, v6
	v_lshrrev_b32_e32 v3, 16, v3
	s_delay_alu instid0(VALU_DEP_1) | instskip(SKIP_1) | instid1(VALU_DEP_4)
	v_cndmask_b32_e32 v3, 0x7fc0, v3, vcc_lo
	v_cmp_o_f32_e32 vcc_lo, v1, v1
	v_cndmask_b32_e32 v6, 0x7fc00000, v6, vcc_lo
	s_branch .LBB175_969
.LBB175_965:
                                        ; implicit-def: $vgpr6
                                        ; implicit-def: $vgpr3
	s_branch .LBB175_987
.LBB175_966:
                                        ; implicit-def: $vgpr6
                                        ; implicit-def: $vgpr3
	s_branch .LBB175_975
.LBB175_967:
	s_mov_b32 s7, -1
                                        ; implicit-def: $vgpr6
                                        ; implicit-def: $vgpr3
	s_branch .LBB175_972
.LBB175_968:
	s_mov_b32 s7, -1
                                        ; implicit-def: $vgpr6
                                        ; implicit-def: $vgpr3
.LBB175_969:
	s_delay_alu instid0(SALU_CYCLE_1)
	s_and_not1_b32 vcc_lo, exec_lo, s7
	s_cbranch_vccnz .LBB175_971
; %bb.970:
	s_wait_loadcnt 0x0
	global_load_b64 v[0:1], v[4:5], off
	s_wait_loadcnt 0x0
	v_bfe_u32 v3, v0, 16, 1
	v_bfe_u32 v6, v1, 16, 1
	v_cmp_o_f32_e32 vcc_lo, v0, v0
	s_delay_alu instid0(VALU_DEP_3) | instskip(NEXT) | instid1(VALU_DEP_3)
	v_add3_u32 v3, v0, v3, 0x7fff
	v_add3_u32 v6, v1, v6, 0x7fff
	s_delay_alu instid0(VALU_DEP_1) | instskip(NEXT) | instid1(VALU_DEP_3)
	v_and_b32_e32 v6, 0xffff0000, v6
	v_lshrrev_b32_e32 v3, 16, v3
	s_delay_alu instid0(VALU_DEP_1) | instskip(SKIP_1) | instid1(VALU_DEP_4)
	v_cndmask_b32_e32 v3, 0x7fc0, v3, vcc_lo
	v_cmp_o_f32_e32 vcc_lo, v1, v1
	v_cndmask_b32_e32 v6, 0x7fc00000, v6, vcc_lo
.LBB175_971:
	s_mov_b32 s7, 0
.LBB175_972:
	s_delay_alu instid0(SALU_CYCLE_1)
	s_and_not1_b32 vcc_lo, exec_lo, s7
	s_cbranch_vccnz .LBB175_974
; %bb.973:
	global_load_b32 v0, v[4:5], off
	s_wait_loadcnt 0x0
	v_cvt_f32_f16_e32 v3, v0
	v_cmp_o_f16_e32 vcc_lo, v0, v0
	s_delay_alu instid0(VALU_DEP_2) | instskip(NEXT) | instid1(VALU_DEP_1)
	v_bfe_u32 v7, v3, 16, 1
	v_add3_u32 v3, v3, v7, 0x7fff
	s_delay_alu instid0(VALU_DEP_1) | instskip(NEXT) | instid1(VALU_DEP_1)
	v_dual_lshrrev_b32 v1, 16, v0 :: v_dual_lshrrev_b32 v3, 16, v3
	v_cvt_f32_f16_e32 v6, v1
	s_delay_alu instid0(VALU_DEP_2) | instskip(NEXT) | instid1(VALU_DEP_2)
	v_cndmask_b32_e32 v3, 0x7fc0, v3, vcc_lo
	v_bfe_u32 v8, v6, 16, 1
	v_cmp_o_f16_e32 vcc_lo, v1, v1
	s_delay_alu instid0(VALU_DEP_2) | instskip(NEXT) | instid1(VALU_DEP_1)
	v_add3_u32 v6, v6, v8, 0x7fff
	v_and_b32_e32 v6, 0xffff0000, v6
	s_delay_alu instid0(VALU_DEP_1)
	v_cndmask_b32_e32 v6, 0x7fc00000, v6, vcc_lo
.LBB175_974:
	s_cbranch_execnz .LBB175_986
.LBB175_975:
	s_sext_i32_i16 s7, s36
	s_delay_alu instid0(SALU_CYCLE_1)
	s_cmp_lt_i32 s7, 6
	s_cbranch_scc1 .LBB175_978
; %bb.976:
	s_cmp_gt_i32 s7, 6
	s_cbranch_scc0 .LBB175_979
; %bb.977:
	s_wait_loadcnt 0x0
	global_load_b64 v[0:1], v[4:5], off
	s_mov_b32 s7, 0
	s_wait_loadcnt 0x0
	v_cvt_f32_f64_e32 v0, v[0:1]
	s_delay_alu instid0(VALU_DEP_1) | instskip(SKIP_1) | instid1(VALU_DEP_2)
	v_bfe_u32 v1, v0, 16, 1
	v_cmp_o_f32_e32 vcc_lo, v0, v0
	v_add3_u32 v1, v0, v1, 0x7fff
	s_delay_alu instid0(VALU_DEP_1) | instskip(NEXT) | instid1(VALU_DEP_1)
	v_lshrrev_b32_e32 v1, 16, v1
	v_cndmask_b32_e32 v3, 0x7fc0, v1, vcc_lo
	s_branch .LBB175_980
.LBB175_978:
	s_mov_b32 s7, -1
                                        ; implicit-def: $vgpr3
	s_branch .LBB175_983
.LBB175_979:
	s_mov_b32 s7, -1
                                        ; implicit-def: $vgpr3
.LBB175_980:
	s_delay_alu instid0(SALU_CYCLE_1)
	s_and_not1_b32 vcc_lo, exec_lo, s7
	s_cbranch_vccnz .LBB175_982
; %bb.981:
	global_load_b32 v0, v[4:5], off
	s_wait_loadcnt 0x0
	v_bfe_u32 v1, v0, 16, 1
	v_cmp_o_f32_e32 vcc_lo, v0, v0
	s_delay_alu instid0(VALU_DEP_2) | instskip(NEXT) | instid1(VALU_DEP_1)
	v_add3_u32 v1, v0, v1, 0x7fff
	v_lshrrev_b32_e32 v1, 16, v1
	s_delay_alu instid0(VALU_DEP_1)
	v_cndmask_b32_e32 v3, 0x7fc0, v1, vcc_lo
.LBB175_982:
	s_mov_b32 s7, 0
.LBB175_983:
	s_delay_alu instid0(SALU_CYCLE_1)
	s_and_not1_b32 vcc_lo, exec_lo, s7
	s_cbranch_vccnz .LBB175_985
; %bb.984:
	global_load_u16 v0, v[4:5], off
	s_wait_loadcnt 0x0
	v_cvt_f32_f16_e32 v1, v0
	v_cmp_o_f16_e32 vcc_lo, v0, v0
	s_delay_alu instid0(VALU_DEP_2) | instskip(NEXT) | instid1(VALU_DEP_1)
	v_bfe_u32 v3, v1, 16, 1
	v_add3_u32 v1, v1, v3, 0x7fff
	s_delay_alu instid0(VALU_DEP_1) | instskip(NEXT) | instid1(VALU_DEP_1)
	v_lshrrev_b32_e32 v1, 16, v1
	v_cndmask_b32_e32 v3, 0x7fc0, v1, vcc_lo
.LBB175_985:
	v_mov_b32_e32 v6, 0
.LBB175_986:
	s_cbranch_execnz .LBB175_1006
.LBB175_987:
	s_sext_i32_i16 s7, s36
	s_delay_alu instid0(SALU_CYCLE_1)
	s_cmp_lt_i32 s7, 2
	s_cbranch_scc1 .LBB175_991
; %bb.988:
	s_cmp_lt_i32 s7, 3
	s_cbranch_scc1 .LBB175_992
; %bb.989:
	s_cmp_gt_i32 s7, 3
	s_cbranch_scc0 .LBB175_993
; %bb.990:
	s_wait_loadcnt 0x0
	global_load_b64 v[0:1], v[4:5], off
	s_mov_b32 s7, 0
	s_wait_loadcnt 0x0
	v_xor_b32_e32 v3, v0, v1
	v_cls_i32_e32 v6, v1
	s_delay_alu instid0(VALU_DEP_2) | instskip(NEXT) | instid1(VALU_DEP_1)
	v_ashrrev_i32_e32 v3, 31, v3
	v_add_nc_u32_e32 v3, 32, v3
	s_delay_alu instid0(VALU_DEP_1) | instskip(NEXT) | instid1(VALU_DEP_1)
	v_add_min_u32_e64 v3, v6, -1, v3
	v_lshlrev_b64_e32 v[0:1], v3, v[0:1]
	s_delay_alu instid0(VALU_DEP_1) | instskip(NEXT) | instid1(VALU_DEP_1)
	v_min_u32_e32 v0, 1, v0
	v_dual_sub_nc_u32 v1, 32, v3 :: v_dual_bitop2_b32 v0, v1, v0 bitop3:0x54
	s_delay_alu instid0(VALU_DEP_1) | instskip(NEXT) | instid1(VALU_DEP_1)
	v_cvt_f32_i32_e32 v0, v0
	v_ldexp_f32 v0, v0, v1
	s_delay_alu instid0(VALU_DEP_1) | instskip(NEXT) | instid1(VALU_DEP_1)
	v_bfe_u32 v1, v0, 16, 1
	v_add3_u32 v0, v0, v1, 0x7fff
	s_delay_alu instid0(VALU_DEP_1)
	v_lshrrev_b32_e32 v3, 16, v0
	s_branch .LBB175_994
.LBB175_991:
                                        ; implicit-def: $vgpr3
	s_branch .LBB175_1000
.LBB175_992:
	s_mov_b32 s7, -1
                                        ; implicit-def: $vgpr3
	s_branch .LBB175_997
.LBB175_993:
	s_mov_b32 s7, -1
                                        ; implicit-def: $vgpr3
.LBB175_994:
	s_delay_alu instid0(SALU_CYCLE_1)
	s_and_not1_b32 vcc_lo, exec_lo, s7
	s_cbranch_vccnz .LBB175_996
; %bb.995:
	global_load_b32 v0, v[4:5], off
	s_wait_loadcnt 0x0
	v_cvt_f32_i32_e32 v0, v0
	s_delay_alu instid0(VALU_DEP_1) | instskip(NEXT) | instid1(VALU_DEP_1)
	v_bfe_u32 v1, v0, 16, 1
	v_add3_u32 v0, v0, v1, 0x7fff
	s_delay_alu instid0(VALU_DEP_1)
	v_lshrrev_b32_e32 v3, 16, v0
.LBB175_996:
	s_mov_b32 s7, 0
.LBB175_997:
	s_delay_alu instid0(SALU_CYCLE_1)
	s_and_not1_b32 vcc_lo, exec_lo, s7
	s_cbranch_vccnz .LBB175_999
; %bb.998:
	global_load_i16 v0, v[4:5], off
	s_wait_loadcnt 0x0
	v_cvt_f32_i32_e32 v0, v0
	s_delay_alu instid0(VALU_DEP_1) | instskip(NEXT) | instid1(VALU_DEP_1)
	v_bfe_u32 v1, v0, 16, 1
	v_add3_u32 v0, v0, v1, 0x7fff
	s_delay_alu instid0(VALU_DEP_1)
	v_lshrrev_b32_e32 v3, 16, v0
.LBB175_999:
	s_cbranch_execnz .LBB175_1005
.LBB175_1000:
	s_sext_i32_i16 s7, s36
	s_delay_alu instid0(SALU_CYCLE_1)
	s_cmp_gt_i32 s7, 0
	s_mov_b32 s7, 0
	s_cbranch_scc0 .LBB175_1002
; %bb.1001:
	global_load_i8 v0, v[4:5], off
	s_wait_loadcnt 0x0
	v_cvt_f32_i32_e32 v0, v0
	s_delay_alu instid0(VALU_DEP_1) | instskip(NEXT) | instid1(VALU_DEP_1)
	v_bfe_u32 v1, v0, 16, 1
	v_add3_u32 v0, v0, v1, 0x7fff
	s_delay_alu instid0(VALU_DEP_1)
	v_lshrrev_b32_e32 v3, 16, v0
	s_branch .LBB175_1003
.LBB175_1002:
	s_mov_b32 s7, -1
                                        ; implicit-def: $vgpr3
.LBB175_1003:
	s_delay_alu instid0(SALU_CYCLE_1)
	s_and_not1_b32 vcc_lo, exec_lo, s7
	s_cbranch_vccnz .LBB175_1005
; %bb.1004:
	global_load_u8 v0, v[4:5], off
	s_wait_loadcnt 0x0
	v_cvt_f32_ubyte0_e32 v0, v0
	s_delay_alu instid0(VALU_DEP_1) | instskip(NEXT) | instid1(VALU_DEP_1)
	v_bfe_u32 v1, v0, 16, 1
	v_add3_u32 v0, v0, v1, 0x7fff
	s_delay_alu instid0(VALU_DEP_1)
	v_lshrrev_b32_e32 v3, 16, v0
.LBB175_1005:
	v_mov_b32_e32 v6, 0
.LBB175_1006:
	s_or_b32 s0, s0, exec_lo
.LBB175_1007:
	s_wait_xcnt 0x0
	s_or_b32 exec_lo, exec_lo, s6
	s_mov_b32 s11, 0
	s_mov_b32 s10, 0
                                        ; implicit-def: $sgpr6
                                        ; implicit-def: $sgpr7
                                        ; implicit-def: $vgpr0_vgpr1
	s_and_saveexec_b32 s8, s0
	s_cbranch_execz .LBB175_1018
; %bb.1008:
	s_wait_loadcnt 0x0
	v_and_b32_e32 v0, 0xffff, v3
	v_and_b32_e32 v1, 0xffff0000, v6
	s_and_not1_b32 vcc_lo, exec_lo, s35
	s_delay_alu instid0(VALU_DEP_2) | instskip(NEXT) | instid1(VALU_DEP_1)
	v_or_b32_e32 v0, v6, v0
	v_lshlrev_b32_e32 v0, 16, v0
	s_cbranch_vccnz .LBB175_1022
; %bb.1009:
	s_delay_alu instid0(VALU_DEP_1)
	v_cmp_neq_f32_e32 vcc_lo, s9, v0
	v_cmp_neq_f32_e64 s0, s20, v1
	s_or_b32 s6, vcc_lo, s0
	s_cbranch_execnz .LBB175_1011
.LBB175_1010:
	s_delay_alu instid0(VALU_DEP_1) | instskip(SKIP_3) | instid1(SALU_CYCLE_1)
	v_cmp_eq_f32_e32 vcc_lo, s9, v0
	v_cmp_eq_f32_e64 s0, s20, v1
	s_and_not1_b32 s6, s6, exec_lo
	s_and_b32 s0, vcc_lo, s0
	s_and_b32 s0, s0, exec_lo
	s_delay_alu instid0(SALU_CYCLE_1)
	s_or_b32 s6, s6, s0
.LBB175_1011:
	v_mov_b32_e32 v3, 0
	s_and_b32 s7, s2, 0xff
	s_delay_alu instid0(SALU_CYCLE_1) | instskip(NEXT) | instid1(VALU_DEP_1)
	s_cmp_lt_i32 s7, 11
	v_add_nc_u64_e32 v[0:1], s[4:5], v[2:3]
	s_cbranch_scc1 .LBB175_1021
; %bb.1012:
	s_and_b32 s2, 0xffff, s7
	s_mov_b32 s4, -1
	s_cmp_gt_i32 s2, 25
	s_mov_b32 s0, s41
	s_cbranch_scc0 .LBB175_1050
; %bb.1013:
	s_cmp_gt_i32 s2, 28
	s_mov_b32 s0, s41
	s_cbranch_scc0 .LBB175_1034
; %bb.1014:
	;; [unrolled: 4-line block ×4, first 2 shown]
	s_cmp_eq_u32 s2, 46
	s_mov_b32 s0, -1
	s_cbranch_scc0 .LBB175_1023
; %bb.1017:
	v_cndmask_b32_e64 v2, 0, 1.0, s6
	s_mov_b32 s0, 0
	s_mov_b32 s4, 0
	s_delay_alu instid0(VALU_DEP_1) | instskip(NEXT) | instid1(VALU_DEP_1)
	v_bfe_u32 v3, v2, 16, 1
	v_add3_u32 v2, v2, v3, 0x7fff
	s_delay_alu instid0(VALU_DEP_1)
	v_lshrrev_b32_e32 v2, 16, v2
	global_store_b32 v[0:1], v2, off
	s_branch .LBB175_1024
.LBB175_1018:
	s_or_b32 exec_lo, exec_lo, s8
	s_and_saveexec_b32 s0, s41
	s_cbranch_execnz .LBB175_1092
.LBB175_1019:
	s_or_b32 exec_lo, exec_lo, s0
	s_and_saveexec_b32 s0, s11
	s_delay_alu instid0(SALU_CYCLE_1)
	s_xor_b32 s0, exec_lo, s0
	s_cbranch_execz .LBB175_1093
.LBB175_1020:
	v_cndmask_b32_e64 v2, 0, 1, s6
	s_wait_loadcnt 0x0
	global_store_b8 v[0:1], v2, off
	s_wait_xcnt 0x0
	s_or_b32 exec_lo, exec_lo, s0
	s_and_saveexec_b32 s0, s10
	s_delay_alu instid0(SALU_CYCLE_1)
	s_xor_b32 s0, exec_lo, s0
	s_cbranch_execz .LBB175_1131
	s_branch .LBB175_1094
.LBB175_1021:
	s_mov_b32 s5, 0
	s_mov_b32 s4, -1
	s_mov_b32 s0, s41
	s_branch .LBB175_1091
.LBB175_1022:
                                        ; implicit-def: $sgpr6
	s_branch .LBB175_1010
.LBB175_1023:
	s_mov_b32 s4, 0
.LBB175_1024:
	s_delay_alu instid0(SALU_CYCLE_1)
	s_and_b32 vcc_lo, exec_lo, s4
	s_cbranch_vccz .LBB175_1029
; %bb.1025:
	s_cmp_eq_u32 s2, 44
	s_mov_b32 s0, -1
	s_cbranch_scc0 .LBB175_1029
; %bb.1026:
	v_cndmask_b32_e64 v4, 0, 1.0, s6
	s_mov_b32 s4, exec_lo
	s_wait_xcnt 0x0
	s_delay_alu instid0(VALU_DEP_1) | instskip(NEXT) | instid1(VALU_DEP_1)
	v_dual_mov_b32 v3, 0xff :: v_dual_lshrrev_b32 v2, 23, v4
	v_cmpx_ne_u32_e32 0xff, v2
; %bb.1027:
	v_and_b32_e32 v3, 0x400000, v4
	v_and_or_b32 v4, 0x3fffff, v4, v2
	s_delay_alu instid0(VALU_DEP_2) | instskip(NEXT) | instid1(VALU_DEP_2)
	v_cmp_ne_u32_e32 vcc_lo, 0, v3
	v_cmp_ne_u32_e64 s0, 0, v4
	s_and_b32 s0, vcc_lo, s0
	s_delay_alu instid0(SALU_CYCLE_1) | instskip(NEXT) | instid1(VALU_DEP_1)
	v_cndmask_b32_e64 v3, 0, 1, s0
	v_add_nc_u32_e32 v3, v2, v3
; %bb.1028:
	s_or_b32 exec_lo, exec_lo, s4
	s_mov_b32 s0, 0
	global_store_b8 v[0:1], v3, off
.LBB175_1029:
	s_mov_b32 s4, 0
.LBB175_1030:
	s_delay_alu instid0(SALU_CYCLE_1)
	s_and_b32 vcc_lo, exec_lo, s4
	s_cbranch_vccz .LBB175_1033
; %bb.1031:
	s_cmp_eq_u32 s2, 29
	s_mov_b32 s0, -1
	s_cbranch_scc0 .LBB175_1033
; %bb.1032:
	s_mov_b32 s0, 0
	s_wait_xcnt 0x0
	v_cndmask_b32_e64 v2, 0, 1, s6
	v_mov_b32_e32 v3, s0
	s_mov_b32 s4, 0
	global_store_b64 v[0:1], v[2:3], off
	s_branch .LBB175_1034
.LBB175_1033:
	s_mov_b32 s4, 0
.LBB175_1034:
	s_delay_alu instid0(SALU_CYCLE_1)
	s_and_b32 vcc_lo, exec_lo, s4
	s_cbranch_vccz .LBB175_1049
; %bb.1035:
	s_cmp_lt_i32 s2, 27
	s_mov_b32 s4, -1
	s_cbranch_scc1 .LBB175_1041
; %bb.1036:
	s_cmp_gt_i32 s2, 27
	s_cbranch_scc0 .LBB175_1038
; %bb.1037:
	s_wait_xcnt 0x0
	v_cndmask_b32_e64 v2, 0, 1, s6
	s_mov_b32 s4, 0
	global_store_b32 v[0:1], v2, off
.LBB175_1038:
	s_and_not1_b32 vcc_lo, exec_lo, s4
	s_cbranch_vccnz .LBB175_1040
; %bb.1039:
	s_wait_xcnt 0x0
	v_cndmask_b32_e64 v2, 0, 1, s6
	global_store_b16 v[0:1], v2, off
.LBB175_1040:
	s_mov_b32 s4, 0
.LBB175_1041:
	s_delay_alu instid0(SALU_CYCLE_1)
	s_and_not1_b32 vcc_lo, exec_lo, s4
	s_cbranch_vccnz .LBB175_1049
; %bb.1042:
	s_wait_xcnt 0x0
	v_cndmask_b32_e64 v3, 0, 1.0, s6
	v_mov_b32_e32 v4, 0x80
	s_mov_b32 s4, exec_lo
	s_delay_alu instid0(VALU_DEP_2)
	v_cmpx_gt_u32_e32 0x43800000, v3
	s_cbranch_execz .LBB175_1048
; %bb.1043:
	s_mov_b32 s5, 0
	s_mov_b32 s9, exec_lo
                                        ; implicit-def: $vgpr2
	v_cmpx_lt_u32_e32 0x3bffffff, v3
	s_xor_b32 s9, exec_lo, s9
	s_cbranch_execz .LBB175_1206
; %bb.1044:
	v_bfe_u32 v2, v3, 20, 1
	s_mov_b32 s5, exec_lo
	s_delay_alu instid0(VALU_DEP_1) | instskip(NEXT) | instid1(VALU_DEP_1)
	v_add3_u32 v2, v3, v2, 0x487ffff
                                        ; implicit-def: $vgpr3
	v_lshrrev_b32_e32 v2, 20, v2
	s_and_not1_saveexec_b32 s9, s9
	s_cbranch_execnz .LBB175_1207
.LBB175_1045:
	s_or_b32 exec_lo, exec_lo, s9
	v_mov_b32_e32 v4, 0
	s_and_saveexec_b32 s9, s5
.LBB175_1046:
	v_mov_b32_e32 v4, v2
.LBB175_1047:
	s_or_b32 exec_lo, exec_lo, s9
.LBB175_1048:
	s_delay_alu instid0(SALU_CYCLE_1)
	s_or_b32 exec_lo, exec_lo, s4
	global_store_b8 v[0:1], v4, off
.LBB175_1049:
	s_mov_b32 s4, 0
.LBB175_1050:
	s_delay_alu instid0(SALU_CYCLE_1)
	s_and_b32 vcc_lo, exec_lo, s4
	s_mov_b32 s4, 0
	s_cbranch_vccz .LBB175_1090
; %bb.1051:
	s_cmp_gt_i32 s2, 22
	s_mov_b32 s5, -1
	s_cbranch_scc0 .LBB175_1083
; %bb.1052:
	s_cmp_lt_i32 s2, 24
	s_cbranch_scc1 .LBB175_1072
; %bb.1053:
	s_cmp_gt_i32 s2, 24
	s_cbranch_scc0 .LBB175_1061
; %bb.1054:
	s_wait_xcnt 0x0
	v_cndmask_b32_e64 v3, 0, 1.0, s6
	v_mov_b32_e32 v4, 0x80
	s_mov_b32 s5, exec_lo
	s_delay_alu instid0(VALU_DEP_2)
	v_cmpx_gt_u32_e32 0x47800000, v3
	s_cbranch_execz .LBB175_1060
; %bb.1055:
	s_mov_b32 s9, 0
	s_mov_b32 s10, exec_lo
                                        ; implicit-def: $vgpr2
	v_cmpx_lt_u32_e32 0x37ffffff, v3
	s_xor_b32 s10, exec_lo, s10
	s_cbranch_execz .LBB175_1341
; %bb.1056:
	v_bfe_u32 v2, v3, 21, 1
	s_mov_b32 s9, exec_lo
	s_delay_alu instid0(VALU_DEP_1) | instskip(NEXT) | instid1(VALU_DEP_1)
	v_add3_u32 v2, v3, v2, 0x88fffff
                                        ; implicit-def: $vgpr3
	v_lshrrev_b32_e32 v2, 21, v2
	s_and_not1_saveexec_b32 s10, s10
	s_cbranch_execnz .LBB175_1342
.LBB175_1057:
	s_or_b32 exec_lo, exec_lo, s10
	v_mov_b32_e32 v4, 0
	s_and_saveexec_b32 s10, s9
.LBB175_1058:
	v_mov_b32_e32 v4, v2
.LBB175_1059:
	s_or_b32 exec_lo, exec_lo, s10
.LBB175_1060:
	s_delay_alu instid0(SALU_CYCLE_1)
	s_or_b32 exec_lo, exec_lo, s5
	s_mov_b32 s5, 0
	global_store_b8 v[0:1], v4, off
.LBB175_1061:
	s_and_b32 vcc_lo, exec_lo, s5
	s_cbranch_vccz .LBB175_1071
; %bb.1062:
	s_wait_xcnt 0x0
	v_cndmask_b32_e64 v3, 0, 1.0, s6
	s_mov_b32 s5, exec_lo
                                        ; implicit-def: $vgpr2
	s_delay_alu instid0(VALU_DEP_1)
	v_cmpx_gt_u32_e32 0x43f00000, v3
	s_xor_b32 s5, exec_lo, s5
	s_cbranch_execz .LBB175_1068
; %bb.1063:
	s_mov_b32 s9, exec_lo
                                        ; implicit-def: $vgpr2
	v_cmpx_lt_u32_e32 0x3c7fffff, v3
	s_xor_b32 s9, exec_lo, s9
; %bb.1064:
	v_bfe_u32 v2, v3, 20, 1
	s_delay_alu instid0(VALU_DEP_1) | instskip(NEXT) | instid1(VALU_DEP_1)
	v_add3_u32 v2, v3, v2, 0x407ffff
	v_and_b32_e32 v3, 0xff00000, v2
	v_lshrrev_b32_e32 v2, 20, v2
	s_delay_alu instid0(VALU_DEP_2) | instskip(NEXT) | instid1(VALU_DEP_2)
	v_cmp_ne_u32_e32 vcc_lo, 0x7f00000, v3
                                        ; implicit-def: $vgpr3
	v_cndmask_b32_e32 v2, 0x7e, v2, vcc_lo
; %bb.1065:
	s_and_not1_saveexec_b32 s9, s9
; %bb.1066:
	v_add_f32_e32 v2, 0x46800000, v3
; %bb.1067:
	s_or_b32 exec_lo, exec_lo, s9
                                        ; implicit-def: $vgpr3
.LBB175_1068:
	s_and_not1_saveexec_b32 s5, s5
; %bb.1069:
	v_mov_b32_e32 v2, 0x7f
	v_cmp_lt_u32_e32 vcc_lo, 0x7f800000, v3
	s_delay_alu instid0(VALU_DEP_2)
	v_cndmask_b32_e32 v2, 0x7e, v2, vcc_lo
; %bb.1070:
	s_or_b32 exec_lo, exec_lo, s5
	global_store_b8 v[0:1], v2, off
.LBB175_1071:
	s_mov_b32 s5, 0
.LBB175_1072:
	s_delay_alu instid0(SALU_CYCLE_1)
	s_and_not1_b32 vcc_lo, exec_lo, s5
	s_cbranch_vccnz .LBB175_1082
; %bb.1073:
	s_wait_xcnt 0x0
	v_cndmask_b32_e64 v3, 0, 1.0, s6
	s_mov_b32 s5, exec_lo
                                        ; implicit-def: $vgpr2
	s_delay_alu instid0(VALU_DEP_1)
	v_cmpx_gt_u32_e32 0x47800000, v3
	s_xor_b32 s5, exec_lo, s5
	s_cbranch_execz .LBB175_1079
; %bb.1074:
	s_mov_b32 s9, exec_lo
                                        ; implicit-def: $vgpr2
	v_cmpx_lt_u32_e32 0x387fffff, v3
	s_xor_b32 s9, exec_lo, s9
; %bb.1075:
	v_bfe_u32 v2, v3, 21, 1
	s_delay_alu instid0(VALU_DEP_1) | instskip(NEXT) | instid1(VALU_DEP_1)
	v_add3_u32 v2, v3, v2, 0x80fffff
                                        ; implicit-def: $vgpr3
	v_lshrrev_b32_e32 v2, 21, v2
; %bb.1076:
	s_and_not1_saveexec_b32 s9, s9
; %bb.1077:
	v_add_f32_e32 v2, 0x43000000, v3
; %bb.1078:
	s_or_b32 exec_lo, exec_lo, s9
                                        ; implicit-def: $vgpr3
.LBB175_1079:
	s_and_not1_saveexec_b32 s5, s5
; %bb.1080:
	v_mov_b32_e32 v2, 0x7f
	v_cmp_lt_u32_e32 vcc_lo, 0x7f800000, v3
	s_delay_alu instid0(VALU_DEP_2)
	v_cndmask_b32_e32 v2, 0x7c, v2, vcc_lo
; %bb.1081:
	s_or_b32 exec_lo, exec_lo, s5
	global_store_b8 v[0:1], v2, off
.LBB175_1082:
	s_mov_b32 s5, 0
.LBB175_1083:
	s_delay_alu instid0(SALU_CYCLE_1)
	s_and_not1_b32 vcc_lo, exec_lo, s5
	s_mov_b32 s5, 0
	s_cbranch_vccnz .LBB175_1091
; %bb.1084:
	s_cmp_gt_i32 s2, 14
	s_mov_b32 s5, -1
	s_cbranch_scc0 .LBB175_1088
; %bb.1085:
	s_cmp_eq_u32 s2, 15
	s_mov_b32 s0, -1
	s_cbranch_scc0 .LBB175_1087
; %bb.1086:
	s_wait_xcnt 0x0
	v_cndmask_b32_e64 v2, 0, 1.0, s6
	s_mov_b32 s0, 0
	s_delay_alu instid0(VALU_DEP_1) | instskip(NEXT) | instid1(VALU_DEP_1)
	v_bfe_u32 v3, v2, 16, 1
	v_add3_u32 v2, v2, v3, 0x7fff
	global_store_d16_hi_b16 v[0:1], v2, off
.LBB175_1087:
	s_mov_b32 s5, 0
.LBB175_1088:
	s_delay_alu instid0(SALU_CYCLE_1)
	s_and_b32 vcc_lo, exec_lo, s5
	s_mov_b32 s5, 0
	s_cbranch_vccz .LBB175_1091
; %bb.1089:
	s_cmp_lg_u32 s2, 11
	s_mov_b32 s5, -1
	s_cselect_b32 s2, -1, 0
	s_and_not1_b32 s0, s0, exec_lo
	s_and_b32 s2, s2, exec_lo
	s_delay_alu instid0(SALU_CYCLE_1)
	s_or_b32 s0, s0, s2
	s_branch .LBB175_1091
.LBB175_1090:
	s_mov_b32 s5, 0
.LBB175_1091:
	s_and_not1_b32 s2, s41, exec_lo
	s_and_b32 s0, s0, exec_lo
	s_and_b32 s10, s4, exec_lo
	;; [unrolled: 1-line block ×3, first 2 shown]
	s_or_b32 s41, s2, s0
	s_wait_xcnt 0x0
	s_or_b32 exec_lo, exec_lo, s8
	s_and_saveexec_b32 s0, s41
	s_cbranch_execz .LBB175_1019
.LBB175_1092:
	s_or_b32 s1, s1, exec_lo
	s_and_not1_b32 s11, s11, exec_lo
	s_trap 2
	s_or_b32 exec_lo, exec_lo, s0
	s_and_saveexec_b32 s0, s11
	s_delay_alu instid0(SALU_CYCLE_1)
	s_xor_b32 s0, exec_lo, s0
	s_cbranch_execnz .LBB175_1020
.LBB175_1093:
	s_or_b32 exec_lo, exec_lo, s0
	s_and_saveexec_b32 s0, s10
	s_delay_alu instid0(SALU_CYCLE_1)
	s_xor_b32 s0, exec_lo, s0
	s_cbranch_execz .LBB175_1131
.LBB175_1094:
	s_sext_i32_i16 s4, s7
	s_mov_b32 s2, -1
	s_cmp_lt_i32 s4, 5
	s_cbranch_scc1 .LBB175_1115
; %bb.1095:
	s_cmp_lt_i32 s4, 8
	s_cbranch_scc1 .LBB175_1105
; %bb.1096:
	s_cmp_lt_i32 s4, 9
	s_cbranch_scc1 .LBB175_1102
; %bb.1097:
	s_cmp_gt_i32 s4, 9
	s_cbranch_scc0 .LBB175_1099
; %bb.1098:
	v_cndmask_b32_e64 v2, 0, 1, s6
	v_mov_b32_e32 v4, 0
	s_mov_b32 s2, 0
	s_wait_loadcnt 0x0
	s_delay_alu instid0(VALU_DEP_2) | instskip(NEXT) | instid1(VALU_DEP_2)
	v_cvt_f64_u32_e32 v[2:3], v2
	v_mov_b32_e32 v5, v4
	global_store_b128 v[0:1], v[2:5], off
.LBB175_1099:
	s_and_not1_b32 vcc_lo, exec_lo, s2
	s_cbranch_vccnz .LBB175_1101
; %bb.1100:
	s_wait_xcnt 0x0
	v_cndmask_b32_e64 v2, 0, 1.0, s6
	s_wait_loadcnt 0x0
	v_mov_b32_e32 v3, 0
	global_store_b64 v[0:1], v[2:3], off
.LBB175_1101:
	s_mov_b32 s2, 0
.LBB175_1102:
	s_delay_alu instid0(SALU_CYCLE_1)
	s_and_not1_b32 vcc_lo, exec_lo, s2
	s_cbranch_vccnz .LBB175_1104
; %bb.1103:
	s_wait_xcnt 0x0
	v_cndmask_b32_e64 v2, 0, 1.0, s6
	s_delay_alu instid0(VALU_DEP_1) | instskip(NEXT) | instid1(VALU_DEP_1)
	v_cvt_f16_f32_e32 v2, v2
	v_and_b32_e32 v2, 0xffff, v2
	s_wait_loadcnt 0x0
	global_store_b32 v[0:1], v2, off
.LBB175_1104:
	s_mov_b32 s2, 0
.LBB175_1105:
	s_delay_alu instid0(SALU_CYCLE_1)
	s_and_not1_b32 vcc_lo, exec_lo, s2
	s_cbranch_vccnz .LBB175_1114
; %bb.1106:
	s_sext_i32_i16 s4, s7
	s_mov_b32 s2, -1
	s_cmp_lt_i32 s4, 6
	s_cbranch_scc1 .LBB175_1112
; %bb.1107:
	s_cmp_gt_i32 s4, 6
	s_cbranch_scc0 .LBB175_1109
; %bb.1108:
	s_wait_xcnt 0x0
	v_cndmask_b32_e64 v2, 0, 1, s6
	s_mov_b32 s2, 0
	s_wait_loadcnt 0x0
	s_delay_alu instid0(VALU_DEP_1)
	v_cvt_f64_u32_e32 v[2:3], v2
	global_store_b64 v[0:1], v[2:3], off
.LBB175_1109:
	s_and_not1_b32 vcc_lo, exec_lo, s2
	s_cbranch_vccnz .LBB175_1111
; %bb.1110:
	s_wait_xcnt 0x0
	v_cndmask_b32_e64 v2, 0, 1.0, s6
	s_wait_loadcnt 0x0
	global_store_b32 v[0:1], v2, off
.LBB175_1111:
	s_mov_b32 s2, 0
.LBB175_1112:
	s_delay_alu instid0(SALU_CYCLE_1)
	s_and_not1_b32 vcc_lo, exec_lo, s2
	s_cbranch_vccnz .LBB175_1114
; %bb.1113:
	s_wait_xcnt 0x0
	v_cndmask_b32_e64 v2, 0, 1.0, s6
	s_delay_alu instid0(VALU_DEP_1)
	v_cvt_f16_f32_e32 v2, v2
	s_wait_loadcnt 0x0
	global_store_b16 v[0:1], v2, off
.LBB175_1114:
	s_mov_b32 s2, 0
.LBB175_1115:
	s_delay_alu instid0(SALU_CYCLE_1)
	s_and_not1_b32 vcc_lo, exec_lo, s2
	s_cbranch_vccnz .LBB175_1131
; %bb.1116:
	s_sext_i32_i16 s4, s7
	s_mov_b32 s2, -1
	s_cmp_lt_i32 s4, 2
	s_cbranch_scc1 .LBB175_1126
; %bb.1117:
	s_cmp_lt_i32 s4, 3
	s_cbranch_scc1 .LBB175_1123
; %bb.1118:
	s_cmp_gt_i32 s4, 3
	s_cbranch_scc0 .LBB175_1120
; %bb.1119:
	s_mov_b32 s2, 0
	s_wait_xcnt 0x0
	v_cndmask_b32_e64 v2, 0, 1, s6
	s_wait_loadcnt 0x0
	v_mov_b32_e32 v3, s2
	global_store_b64 v[0:1], v[2:3], off
.LBB175_1120:
	s_and_not1_b32 vcc_lo, exec_lo, s2
	s_cbranch_vccnz .LBB175_1122
; %bb.1121:
	s_wait_xcnt 0x0
	v_cndmask_b32_e64 v2, 0, 1, s6
	s_wait_loadcnt 0x0
	global_store_b32 v[0:1], v2, off
.LBB175_1122:
	s_mov_b32 s2, 0
.LBB175_1123:
	s_delay_alu instid0(SALU_CYCLE_1)
	s_and_not1_b32 vcc_lo, exec_lo, s2
	s_cbranch_vccnz .LBB175_1125
; %bb.1124:
	s_wait_xcnt 0x0
	v_cndmask_b32_e64 v2, 0, 1, s6
	s_wait_loadcnt 0x0
	global_store_b16 v[0:1], v2, off
.LBB175_1125:
	s_mov_b32 s2, 0
.LBB175_1126:
	s_delay_alu instid0(SALU_CYCLE_1)
	s_and_not1_b32 vcc_lo, exec_lo, s2
	s_cbranch_vccnz .LBB175_1131
; %bb.1127:
	s_sext_i32_i16 s2, s7
	s_delay_alu instid0(SALU_CYCLE_1)
	s_cmp_gt_i32 s2, 0
	s_mov_b32 s2, -1
	s_cbranch_scc0 .LBB175_1129
; %bb.1128:
	s_wait_xcnt 0x0
	v_cndmask_b32_e64 v2, 0, 1, s6
	s_mov_b32 s2, 0
	s_wait_loadcnt 0x0
	global_store_b8 v[0:1], v2, off
.LBB175_1129:
	s_and_not1_b32 vcc_lo, exec_lo, s2
	s_cbranch_vccnz .LBB175_1131
; %bb.1130:
	s_wait_xcnt 0x0
	v_cndmask_b32_e64 v2, 0, 1, s6
	s_wait_loadcnt 0x0
	global_store_b8 v[0:1], v2, off
.LBB175_1131:
	s_wait_xcnt 0x0
	s_or_b32 exec_lo, exec_lo, s0
	s_delay_alu instid0(SALU_CYCLE_1)
	s_and_b32 s8, s1, exec_lo
                                        ; implicit-def: $vgpr9
                                        ; implicit-def: $vgpr0
.LBB175_1132:
	s_or_saveexec_b32 s9, s34
	s_mov_b32 s0, 0
                                        ; implicit-def: $sgpr6
                                        ; implicit-def: $vgpr2_vgpr3
                                        ; implicit-def: $sgpr1
	s_xor_b32 exec_lo, exec_lo, s9
	s_cbranch_execz .LBB175_1746
; %bb.1133:
	s_wait_loadcnt 0x0
	v_cndmask_b32_e64 v1, 0, 1, s33
	s_and_not1_b32 vcc_lo, exec_lo, s33
	s_cbranch_vccnz .LBB175_1139
; %bb.1134:
	s_cmp_lg_u32 s30, 0
	s_mov_b32 s6, 0
	s_cbranch_scc0 .LBB175_1140
; %bb.1135:
	s_min_u32 s1, s31, 15
	s_delay_alu instid0(SALU_CYCLE_1)
	s_add_co_i32 s1, s1, 1
	s_cmp_eq_u32 s31, 2
	s_cbranch_scc1 .LBB175_1141
; %bb.1136:
	v_dual_mov_b32 v6, 0 :: v_dual_mov_b32 v14, 0
	v_mov_b32_e32 v2, v0
	s_and_b32 s0, s1, 28
	s_add_nc_u64 s[2:3], s[16:17], 0xc4
	s_mov_b32 s7, 0
	s_mov_b64 s[4:5], s[16:17]
.LBB175_1137:                           ; =>This Inner Loop Header: Depth=1
	s_clause 0x1
	s_load_b256 s[20:27], s[4:5], 0x4
	s_load_b128 s[12:15], s[4:5], 0x24
	s_load_b256 s[36:43], s[2:3], 0x0
	s_add_co_i32 s7, s7, 4
	s_wait_xcnt 0x0
	s_add_nc_u64 s[4:5], s[4:5], 48
	s_cmp_lg_u32 s0, s7
	s_add_nc_u64 s[2:3], s[2:3], 32
	s_wait_kmcnt 0x0
	v_mul_hi_u32 v3, s21, v2
	s_delay_alu instid0(VALU_DEP_1) | instskip(NEXT) | instid1(VALU_DEP_1)
	v_add_nc_u32_e32 v3, v2, v3
	v_lshrrev_b32_e32 v3, s22, v3
	s_delay_alu instid0(VALU_DEP_1) | instskip(NEXT) | instid1(VALU_DEP_1)
	v_mul_hi_u32 v4, s24, v3
	v_add_nc_u32_e32 v4, v3, v4
	s_delay_alu instid0(VALU_DEP_1) | instskip(NEXT) | instid1(VALU_DEP_1)
	v_lshrrev_b32_e32 v4, s25, v4
	v_mul_hi_u32 v5, s27, v4
	s_delay_alu instid0(VALU_DEP_1) | instskip(SKIP_1) | instid1(VALU_DEP_1)
	v_add_nc_u32_e32 v5, v4, v5
	v_mul_lo_u32 v7, v3, s20
	v_sub_nc_u32_e32 v2, v2, v7
	v_mul_lo_u32 v7, v4, s23
	s_delay_alu instid0(VALU_DEP_4) | instskip(NEXT) | instid1(VALU_DEP_3)
	v_lshrrev_b32_e32 v5, s12, v5
	v_mad_u32 v10, v2, s37, v14
	v_mad_u32 v2, v2, s36, v6
	s_delay_alu instid0(VALU_DEP_4) | instskip(NEXT) | instid1(VALU_DEP_4)
	v_sub_nc_u32_e32 v3, v3, v7
	v_mul_hi_u32 v8, s14, v5
	v_mul_lo_u32 v6, v5, s26
	s_delay_alu instid0(VALU_DEP_1) | instskip(NEXT) | instid1(VALU_DEP_4)
	v_dual_add_nc_u32 v7, v5, v8 :: v_dual_sub_nc_u32 v4, v4, v6
	v_mad_u32 v8, v3, s39, v10
	v_mad_u32 v3, v3, s38, v2
	s_delay_alu instid0(VALU_DEP_3) | instskip(NEXT) | instid1(VALU_DEP_1)
	v_lshrrev_b32_e32 v2, s15, v7
	v_mul_lo_u32 v6, v2, s13
	s_delay_alu instid0(VALU_DEP_4) | instskip(NEXT) | instid1(VALU_DEP_4)
	v_mad_u32 v7, v4, s41, v8
	v_mad_u32 v3, v4, s40, v3
	s_delay_alu instid0(VALU_DEP_3) | instskip(NEXT) | instid1(VALU_DEP_1)
	v_sub_nc_u32_e32 v4, v5, v6
	v_mad_u32 v14, v4, s43, v7
	s_delay_alu instid0(VALU_DEP_3)
	v_mad_u32 v6, v4, s42, v3
	s_cbranch_scc1 .LBB175_1137
; %bb.1138:
	s_delay_alu instid0(VALU_DEP_2)
	v_mov_b32_e32 v7, v14
	s_and_b32 s4, s1, 3
	s_mov_b32 s1, 0
	s_cmp_eq_u32 s4, 0
	s_cbranch_scc0 .LBB175_1142
	s_branch .LBB175_1145
.LBB175_1139:
	s_mov_b32 s6, -1
                                        ; implicit-def: $vgpr14
                                        ; implicit-def: $vgpr6
	s_branch .LBB175_1145
.LBB175_1140:
	v_dual_mov_b32 v14, 0 :: v_dual_mov_b32 v6, 0
	s_branch .LBB175_1145
.LBB175_1141:
	v_mov_b64_e32 v[6:7], 0
	v_mov_b32_e32 v2, v0
                                        ; implicit-def: $vgpr14
	s_and_b32 s4, s1, 3
	s_mov_b32 s1, 0
	s_cmp_eq_u32 s4, 0
	s_cbranch_scc1 .LBB175_1145
.LBB175_1142:
	s_lshl_b32 s2, s0, 3
	s_mov_b32 s3, s1
	s_mul_u64 s[10:11], s[0:1], 12
	s_add_nc_u64 s[2:3], s[16:17], s[2:3]
	s_delay_alu instid0(SALU_CYCLE_1)
	s_add_nc_u64 s[0:1], s[2:3], 0xc4
	s_add_nc_u64 s[2:3], s[16:17], s[10:11]
.LBB175_1143:                           ; =>This Inner Loop Header: Depth=1
	s_load_b96 s[12:14], s[2:3], 0x4
	s_load_b64 s[10:11], s[0:1], 0x0
	s_add_co_i32 s4, s4, -1
	s_wait_xcnt 0x0
	s_add_nc_u64 s[2:3], s[2:3], 12
	s_cmp_lg_u32 s4, 0
	s_add_nc_u64 s[0:1], s[0:1], 8
	s_wait_kmcnt 0x0
	v_mul_hi_u32 v3, s13, v2
	s_delay_alu instid0(VALU_DEP_1) | instskip(NEXT) | instid1(VALU_DEP_1)
	v_add_nc_u32_e32 v3, v2, v3
	v_lshrrev_b32_e32 v3, s14, v3
	s_delay_alu instid0(VALU_DEP_1) | instskip(NEXT) | instid1(VALU_DEP_1)
	v_mul_lo_u32 v4, v3, s12
	v_sub_nc_u32_e32 v2, v2, v4
	s_delay_alu instid0(VALU_DEP_1)
	v_mad_u32 v7, v2, s11, v7
	v_mad_u32 v6, v2, s10, v6
	v_mov_b32_e32 v2, v3
	s_cbranch_scc1 .LBB175_1143
; %bb.1144:
	s_delay_alu instid0(VALU_DEP_3)
	v_mov_b32_e32 v14, v7
.LBB175_1145:
	s_and_not1_b32 vcc_lo, exec_lo, s6
	s_cbranch_vccnz .LBB175_1148
; %bb.1146:
	s_clause 0x1
	s_load_b96 s[0:2], s[16:17], 0x4
	s_load_b64 s[4:5], s[16:17], 0xc4
	s_cmp_lt_u32 s30, 2
	s_wait_kmcnt 0x0
	v_mul_hi_u32 v2, s1, v0
	s_delay_alu instid0(VALU_DEP_1) | instskip(NEXT) | instid1(VALU_DEP_1)
	v_add_nc_u32_e32 v2, v0, v2
	v_lshrrev_b32_e32 v2, s2, v2
	s_delay_alu instid0(VALU_DEP_1) | instskip(NEXT) | instid1(VALU_DEP_1)
	v_mul_lo_u32 v3, v2, s0
	v_sub_nc_u32_e32 v3, v0, v3
	s_delay_alu instid0(VALU_DEP_1)
	v_mul_lo_u32 v14, v3, s5
	v_mul_lo_u32 v6, v3, s4
	s_cbranch_scc1 .LBB175_1148
; %bb.1147:
	s_clause 0x1
	s_load_b96 s[0:2], s[16:17], 0x10
	s_load_b64 s[4:5], s[16:17], 0xcc
	s_wait_kmcnt 0x0
	v_mul_hi_u32 v3, s1, v2
	s_delay_alu instid0(VALU_DEP_1) | instskip(NEXT) | instid1(VALU_DEP_1)
	v_add_nc_u32_e32 v3, v2, v3
	v_lshrrev_b32_e32 v3, s2, v3
	s_delay_alu instid0(VALU_DEP_1) | instskip(NEXT) | instid1(VALU_DEP_1)
	v_mul_lo_u32 v3, v3, s0
	v_sub_nc_u32_e32 v2, v2, v3
	s_delay_alu instid0(VALU_DEP_1)
	v_mad_u32 v6, v2, s4, v6
	v_mad_u32 v14, v2, s5, v14
.LBB175_1148:
	v_cmp_ne_u32_e32 vcc_lo, 1, v1
	v_add_nc_u32_e32 v2, 0x80, v0
	s_cbranch_vccnz .LBB175_1154
; %bb.1149:
	s_cmp_lg_u32 s30, 0
	s_mov_b32 s6, 0
	s_cbranch_scc0 .LBB175_1155
; %bb.1150:
	s_min_u32 s1, s31, 15
	s_delay_alu instid0(SALU_CYCLE_1)
	s_add_co_i32 s1, s1, 1
	s_cmp_eq_u32 s31, 2
	s_cbranch_scc1 .LBB175_1156
; %bb.1151:
	v_dual_mov_b32 v4, 0 :: v_dual_mov_b32 v12, 0
	v_mov_b32_e32 v3, v2
	s_and_b32 s0, s1, 28
	s_add_nc_u64 s[2:3], s[16:17], 0xc4
	s_mov_b32 s7, 0
	s_mov_b64 s[4:5], s[16:17]
.LBB175_1152:                           ; =>This Inner Loop Header: Depth=1
	s_clause 0x1
	s_load_b256 s[20:27], s[4:5], 0x4
	s_load_b128 s[12:15], s[4:5], 0x24
	s_load_b256 s[36:43], s[2:3], 0x0
	s_add_co_i32 s7, s7, 4
	s_wait_xcnt 0x0
	s_add_nc_u64 s[4:5], s[4:5], 48
	s_cmp_lg_u32 s0, s7
	s_add_nc_u64 s[2:3], s[2:3], 32
	s_wait_kmcnt 0x0
	v_mul_hi_u32 v5, s21, v3
	s_delay_alu instid0(VALU_DEP_1) | instskip(NEXT) | instid1(VALU_DEP_1)
	v_add_nc_u32_e32 v5, v3, v5
	v_lshrrev_b32_e32 v5, s22, v5
	s_delay_alu instid0(VALU_DEP_1) | instskip(NEXT) | instid1(VALU_DEP_1)
	v_mul_hi_u32 v7, s24, v5
	v_add_nc_u32_e32 v7, v5, v7
	s_delay_alu instid0(VALU_DEP_1) | instskip(NEXT) | instid1(VALU_DEP_1)
	v_lshrrev_b32_e32 v7, s25, v7
	v_mul_hi_u32 v8, s27, v7
	s_delay_alu instid0(VALU_DEP_1) | instskip(SKIP_1) | instid1(VALU_DEP_1)
	v_add_nc_u32_e32 v8, v7, v8
	v_mul_lo_u32 v10, v5, s20
	v_sub_nc_u32_e32 v3, v3, v10
	v_mul_lo_u32 v10, v7, s23
	s_delay_alu instid0(VALU_DEP_4) | instskip(NEXT) | instid1(VALU_DEP_3)
	v_lshrrev_b32_e32 v8, s12, v8
	v_mad_u32 v12, v3, s37, v12
	v_mad_u32 v3, v3, s36, v4
	s_delay_alu instid0(VALU_DEP_4) | instskip(NEXT) | instid1(VALU_DEP_4)
	v_sub_nc_u32_e32 v4, v5, v10
	v_mul_hi_u32 v11, s14, v8
	v_mul_lo_u32 v5, v8, s26
	s_delay_alu instid0(VALU_DEP_1) | instskip(NEXT) | instid1(VALU_DEP_4)
	v_dual_add_nc_u32 v10, v8, v11 :: v_dual_sub_nc_u32 v5, v7, v5
	v_mad_u32 v11, v4, s39, v12
	v_mad_u32 v4, v4, s38, v3
	s_delay_alu instid0(VALU_DEP_3) | instskip(NEXT) | instid1(VALU_DEP_1)
	v_lshrrev_b32_e32 v3, s15, v10
	v_mul_lo_u32 v7, v3, s13
	s_delay_alu instid0(VALU_DEP_4) | instskip(NEXT) | instid1(VALU_DEP_4)
	v_mad_u32 v10, v5, s41, v11
	v_mad_u32 v4, v5, s40, v4
	s_delay_alu instid0(VALU_DEP_3) | instskip(NEXT) | instid1(VALU_DEP_1)
	v_sub_nc_u32_e32 v5, v8, v7
	v_mad_u32 v12, v5, s43, v10
	s_delay_alu instid0(VALU_DEP_3)
	v_mad_u32 v4, v5, s42, v4
	s_cbranch_scc1 .LBB175_1152
; %bb.1153:
	s_delay_alu instid0(VALU_DEP_2)
	v_mov_b32_e32 v5, v12
	s_and_b32 s4, s1, 3
	s_mov_b32 s1, 0
	s_cmp_eq_u32 s4, 0
	s_cbranch_scc0 .LBB175_1157
	s_branch .LBB175_1160
.LBB175_1154:
	s_mov_b32 s6, -1
                                        ; implicit-def: $vgpr12
                                        ; implicit-def: $vgpr4
	s_branch .LBB175_1160
.LBB175_1155:
	v_dual_mov_b32 v12, 0 :: v_dual_mov_b32 v4, 0
	s_branch .LBB175_1160
.LBB175_1156:
	v_mov_b64_e32 v[4:5], 0
	v_mov_b32_e32 v3, v2
	s_mov_b32 s0, 0
                                        ; implicit-def: $vgpr12
	s_and_b32 s4, s1, 3
	s_mov_b32 s1, 0
	s_cmp_eq_u32 s4, 0
	s_cbranch_scc1 .LBB175_1160
.LBB175_1157:
	s_lshl_b32 s2, s0, 3
	s_mov_b32 s3, s1
	s_mul_u64 s[10:11], s[0:1], 12
	s_add_nc_u64 s[2:3], s[16:17], s[2:3]
	s_delay_alu instid0(SALU_CYCLE_1)
	s_add_nc_u64 s[0:1], s[2:3], 0xc4
	s_add_nc_u64 s[2:3], s[16:17], s[10:11]
.LBB175_1158:                           ; =>This Inner Loop Header: Depth=1
	s_load_b96 s[12:14], s[2:3], 0x4
	s_load_b64 s[10:11], s[0:1], 0x0
	s_add_co_i32 s4, s4, -1
	s_wait_xcnt 0x0
	s_add_nc_u64 s[2:3], s[2:3], 12
	s_cmp_lg_u32 s4, 0
	s_add_nc_u64 s[0:1], s[0:1], 8
	s_wait_kmcnt 0x0
	v_mul_hi_u32 v7, s13, v3
	s_delay_alu instid0(VALU_DEP_1) | instskip(NEXT) | instid1(VALU_DEP_1)
	v_add_nc_u32_e32 v7, v3, v7
	v_lshrrev_b32_e32 v7, s14, v7
	s_delay_alu instid0(VALU_DEP_1) | instskip(NEXT) | instid1(VALU_DEP_1)
	v_mul_lo_u32 v8, v7, s12
	v_sub_nc_u32_e32 v3, v3, v8
	s_delay_alu instid0(VALU_DEP_1)
	v_mad_u32 v5, v3, s11, v5
	v_mad_u32 v4, v3, s10, v4
	v_mov_b32_e32 v3, v7
	s_cbranch_scc1 .LBB175_1158
; %bb.1159:
	s_delay_alu instid0(VALU_DEP_3)
	v_mov_b32_e32 v12, v5
.LBB175_1160:
	s_and_not1_b32 vcc_lo, exec_lo, s6
	s_cbranch_vccnz .LBB175_1163
; %bb.1161:
	s_clause 0x1
	s_load_b96 s[0:2], s[16:17], 0x4
	s_load_b64 s[4:5], s[16:17], 0xc4
	s_cmp_lt_u32 s30, 2
	s_wait_kmcnt 0x0
	v_mul_hi_u32 v3, s1, v2
	s_delay_alu instid0(VALU_DEP_1) | instskip(NEXT) | instid1(VALU_DEP_1)
	v_add_nc_u32_e32 v3, v2, v3
	v_lshrrev_b32_e32 v3, s2, v3
	s_delay_alu instid0(VALU_DEP_1) | instskip(NEXT) | instid1(VALU_DEP_1)
	v_mul_lo_u32 v4, v3, s0
	v_sub_nc_u32_e32 v2, v2, v4
	s_delay_alu instid0(VALU_DEP_1)
	v_mul_lo_u32 v12, v2, s5
	v_mul_lo_u32 v4, v2, s4
	s_cbranch_scc1 .LBB175_1163
; %bb.1162:
	s_clause 0x1
	s_load_b96 s[0:2], s[16:17], 0x10
	s_load_b64 s[4:5], s[16:17], 0xcc
	s_wait_kmcnt 0x0
	v_mul_hi_u32 v2, s1, v3
	s_delay_alu instid0(VALU_DEP_1) | instskip(NEXT) | instid1(VALU_DEP_1)
	v_add_nc_u32_e32 v2, v3, v2
	v_lshrrev_b32_e32 v2, s2, v2
	s_delay_alu instid0(VALU_DEP_1) | instskip(NEXT) | instid1(VALU_DEP_1)
	v_mul_lo_u32 v2, v2, s0
	v_sub_nc_u32_e32 v2, v3, v2
	s_delay_alu instid0(VALU_DEP_1)
	v_mad_u32 v4, v2, s4, v4
	v_mad_u32 v12, v2, s5, v12
.LBB175_1163:
	v_cmp_ne_u32_e32 vcc_lo, 1, v1
	v_add_nc_u32_e32 v0, 0x100, v0
	s_cbranch_vccnz .LBB175_1169
; %bb.1164:
	s_cmp_lg_u32 s30, 0
	s_mov_b32 s6, 0
	s_cbranch_scc0 .LBB175_1170
; %bb.1165:
	s_min_u32 s1, s31, 15
	s_delay_alu instid0(SALU_CYCLE_1)
	s_add_co_i32 s1, s1, 1
	s_cmp_eq_u32 s31, 2
	s_cbranch_scc1 .LBB175_1171
; %bb.1166:
	v_dual_mov_b32 v2, 0 :: v_dual_mov_b32 v10, 0
	v_mov_b32_e32 v5, v0
	s_and_b32 s0, s1, 28
	s_add_nc_u64 s[2:3], s[16:17], 0xc4
	s_mov_b32 s7, 0
	s_mov_b64 s[4:5], s[16:17]
.LBB175_1167:                           ; =>This Inner Loop Header: Depth=1
	s_clause 0x1
	s_load_b256 s[20:27], s[4:5], 0x4
	s_load_b128 s[12:15], s[4:5], 0x24
	s_load_b256 s[36:43], s[2:3], 0x0
	s_add_co_i32 s7, s7, 4
	s_wait_xcnt 0x0
	s_add_nc_u64 s[4:5], s[4:5], 48
	s_cmp_lg_u32 s0, s7
	s_add_nc_u64 s[2:3], s[2:3], 32
	s_wait_kmcnt 0x0
	v_mul_hi_u32 v3, s21, v5
	s_delay_alu instid0(VALU_DEP_1) | instskip(NEXT) | instid1(VALU_DEP_1)
	v_add_nc_u32_e32 v3, v5, v3
	v_lshrrev_b32_e32 v3, s22, v3
	s_delay_alu instid0(VALU_DEP_1) | instskip(NEXT) | instid1(VALU_DEP_1)
	v_mul_hi_u32 v7, s24, v3
	v_add_nc_u32_e32 v7, v3, v7
	s_delay_alu instid0(VALU_DEP_1) | instskip(NEXT) | instid1(VALU_DEP_1)
	v_lshrrev_b32_e32 v7, s25, v7
	v_mul_hi_u32 v8, s27, v7
	s_delay_alu instid0(VALU_DEP_1) | instskip(NEXT) | instid1(VALU_DEP_1)
	v_add_nc_u32_e32 v8, v7, v8
	v_lshrrev_b32_e32 v8, s12, v8
	v_mul_lo_u32 v11, v3, s20
	s_delay_alu instid0(VALU_DEP_2) | instskip(NEXT) | instid1(VALU_DEP_2)
	v_mul_hi_u32 v13, s14, v8
	v_sub_nc_u32_e32 v5, v5, v11
	s_delay_alu instid0(VALU_DEP_1) | instskip(SKIP_1) | instid1(VALU_DEP_4)
	v_mad_u32 v10, v5, s37, v10
	v_mad_u32 v2, v5, s36, v2
	v_add_nc_u32_e32 v5, v8, v13
	s_delay_alu instid0(VALU_DEP_1) | instskip(SKIP_1) | instid1(VALU_DEP_1)
	v_lshrrev_b32_e32 v5, s15, v5
	v_mul_lo_u32 v11, v7, s23
	v_sub_nc_u32_e32 v3, v3, v11
	v_mul_lo_u32 v11, v8, s26
	s_delay_alu instid0(VALU_DEP_2) | instskip(SKIP_1) | instid1(VALU_DEP_3)
	v_mad_u32 v10, v3, s39, v10
	v_mad_u32 v2, v3, s38, v2
	v_sub_nc_u32_e32 v3, v7, v11
	v_mul_lo_u32 v7, v5, s13
	s_delay_alu instid0(VALU_DEP_2) | instskip(NEXT) | instid1(VALU_DEP_4)
	v_mad_u32 v10, v3, s41, v10
	v_mad_u32 v2, v3, s40, v2
	s_delay_alu instid0(VALU_DEP_3) | instskip(NEXT) | instid1(VALU_DEP_1)
	v_sub_nc_u32_e32 v3, v8, v7
	v_mad_u32 v10, v3, s43, v10
	s_delay_alu instid0(VALU_DEP_3)
	v_mad_u32 v2, v3, s42, v2
	s_cbranch_scc1 .LBB175_1167
; %bb.1168:
	s_delay_alu instid0(VALU_DEP_2)
	v_mov_b32_e32 v3, v10
	s_and_b32 s4, s1, 3
	s_mov_b32 s1, 0
	s_cmp_eq_u32 s4, 0
	s_cbranch_scc0 .LBB175_1172
	s_branch .LBB175_1175
.LBB175_1169:
	s_mov_b32 s6, -1
                                        ; implicit-def: $vgpr10
                                        ; implicit-def: $vgpr2
	s_branch .LBB175_1175
.LBB175_1170:
	v_dual_mov_b32 v10, 0 :: v_dual_mov_b32 v2, 0
	s_branch .LBB175_1175
.LBB175_1171:
	v_mov_b64_e32 v[2:3], 0
	v_mov_b32_e32 v5, v0
	s_mov_b32 s0, 0
                                        ; implicit-def: $vgpr10
	s_and_b32 s4, s1, 3
	s_mov_b32 s1, 0
	s_cmp_eq_u32 s4, 0
	s_cbranch_scc1 .LBB175_1175
.LBB175_1172:
	s_lshl_b32 s2, s0, 3
	s_mov_b32 s3, s1
	s_mul_u64 s[10:11], s[0:1], 12
	s_add_nc_u64 s[2:3], s[16:17], s[2:3]
	s_delay_alu instid0(SALU_CYCLE_1)
	s_add_nc_u64 s[0:1], s[2:3], 0xc4
	s_add_nc_u64 s[2:3], s[16:17], s[10:11]
.LBB175_1173:                           ; =>This Inner Loop Header: Depth=1
	s_load_b96 s[12:14], s[2:3], 0x4
	s_load_b64 s[10:11], s[0:1], 0x0
	s_add_co_i32 s4, s4, -1
	s_wait_xcnt 0x0
	s_add_nc_u64 s[2:3], s[2:3], 12
	s_cmp_lg_u32 s4, 0
	s_add_nc_u64 s[0:1], s[0:1], 8
	s_wait_kmcnt 0x0
	v_mul_hi_u32 v7, s13, v5
	s_delay_alu instid0(VALU_DEP_1) | instskip(NEXT) | instid1(VALU_DEP_1)
	v_add_nc_u32_e32 v7, v5, v7
	v_lshrrev_b32_e32 v7, s14, v7
	s_delay_alu instid0(VALU_DEP_1) | instskip(NEXT) | instid1(VALU_DEP_1)
	v_mul_lo_u32 v8, v7, s12
	v_sub_nc_u32_e32 v5, v5, v8
	s_delay_alu instid0(VALU_DEP_1)
	v_mad_u32 v3, v5, s11, v3
	v_mad_u32 v2, v5, s10, v2
	v_mov_b32_e32 v5, v7
	s_cbranch_scc1 .LBB175_1173
; %bb.1174:
	s_delay_alu instid0(VALU_DEP_3)
	v_mov_b32_e32 v10, v3
.LBB175_1175:
	s_and_not1_b32 vcc_lo, exec_lo, s6
	s_cbranch_vccnz .LBB175_1178
; %bb.1176:
	s_clause 0x1
	s_load_b96 s[0:2], s[16:17], 0x4
	s_load_b64 s[4:5], s[16:17], 0xc4
	s_cmp_lt_u32 s30, 2
	s_wait_kmcnt 0x0
	v_mul_hi_u32 v2, s1, v0
	s_delay_alu instid0(VALU_DEP_1) | instskip(NEXT) | instid1(VALU_DEP_1)
	v_add_nc_u32_e32 v2, v0, v2
	v_lshrrev_b32_e32 v3, s2, v2
	s_delay_alu instid0(VALU_DEP_1) | instskip(NEXT) | instid1(VALU_DEP_1)
	v_mul_lo_u32 v2, v3, s0
	v_sub_nc_u32_e32 v0, v0, v2
	s_delay_alu instid0(VALU_DEP_1)
	v_mul_lo_u32 v10, v0, s5
	v_mul_lo_u32 v2, v0, s4
	s_cbranch_scc1 .LBB175_1178
; %bb.1177:
	s_clause 0x1
	s_load_b96 s[0:2], s[16:17], 0x10
	s_load_b64 s[4:5], s[16:17], 0xcc
	s_wait_kmcnt 0x0
	v_mul_hi_u32 v0, s1, v3
	s_delay_alu instid0(VALU_DEP_1) | instskip(NEXT) | instid1(VALU_DEP_1)
	v_add_nc_u32_e32 v0, v3, v0
	v_lshrrev_b32_e32 v0, s2, v0
	s_delay_alu instid0(VALU_DEP_1) | instskip(NEXT) | instid1(VALU_DEP_1)
	v_mul_lo_u32 v0, v0, s0
	v_sub_nc_u32_e32 v0, v3, v0
	s_delay_alu instid0(VALU_DEP_1)
	v_mad_u32 v2, v0, s4, v2
	v_mad_u32 v10, v0, s5, v10
.LBB175_1178:
	v_cmp_ne_u32_e32 vcc_lo, 1, v1
	s_cbranch_vccnz .LBB175_1184
; %bb.1179:
	s_cmp_lg_u32 s30, 0
	s_mov_b32 s6, 0
	s_cbranch_scc0 .LBB175_1185
; %bb.1180:
	s_min_u32 s1, s31, 15
	s_delay_alu instid0(SALU_CYCLE_1)
	s_add_co_i32 s1, s1, 1
	s_cmp_eq_u32 s31, 2
	s_cbranch_scc1 .LBB175_1186
; %bb.1181:
	v_dual_mov_b32 v0, 0 :: v_dual_mov_b32 v8, 0
	v_mov_b32_e32 v3, v9
	s_and_b32 s0, s1, 28
	s_add_nc_u64 s[2:3], s[16:17], 0xc4
	s_mov_b32 s7, 0
	s_mov_b64 s[4:5], s[16:17]
.LBB175_1182:                           ; =>This Inner Loop Header: Depth=1
	s_clause 0x1
	s_load_b256 s[20:27], s[4:5], 0x4
	s_load_b128 s[12:15], s[4:5], 0x24
	s_load_b256 s[36:43], s[2:3], 0x0
	s_add_co_i32 s7, s7, 4
	s_wait_xcnt 0x0
	s_add_nc_u64 s[4:5], s[4:5], 48
	s_cmp_lg_u32 s0, s7
	s_add_nc_u64 s[2:3], s[2:3], 32
	s_wait_kmcnt 0x0
	v_mul_hi_u32 v1, s21, v3
	s_delay_alu instid0(VALU_DEP_1) | instskip(NEXT) | instid1(VALU_DEP_1)
	v_add_nc_u32_e32 v1, v3, v1
	v_lshrrev_b32_e32 v1, s22, v1
	s_delay_alu instid0(VALU_DEP_1) | instskip(NEXT) | instid1(VALU_DEP_1)
	v_mul_lo_u32 v11, v1, s20
	v_sub_nc_u32_e32 v3, v3, v11
	v_mul_hi_u32 v5, s24, v1
	s_delay_alu instid0(VALU_DEP_2) | instskip(SKIP_1) | instid1(VALU_DEP_3)
	v_mad_u32 v8, v3, s37, v8
	v_mad_u32 v0, v3, s36, v0
	v_add_nc_u32_e32 v5, v1, v5
	s_delay_alu instid0(VALU_DEP_1) | instskip(NEXT) | instid1(VALU_DEP_1)
	v_lshrrev_b32_e32 v5, s25, v5
	v_mul_lo_u32 v11, v5, s23
	s_delay_alu instid0(VALU_DEP_1) | instskip(SKIP_1) | instid1(VALU_DEP_2)
	v_sub_nc_u32_e32 v1, v1, v11
	v_mul_hi_u32 v7, s27, v5
	v_mad_u32 v8, v1, s39, v8
	v_mad_u32 v0, v1, s38, v0
	s_delay_alu instid0(VALU_DEP_3) | instskip(NEXT) | instid1(VALU_DEP_1)
	v_add_nc_u32_e32 v7, v5, v7
	v_lshrrev_b32_e32 v7, s12, v7
	s_delay_alu instid0(VALU_DEP_1) | instskip(SKIP_1) | instid1(VALU_DEP_1)
	v_mul_hi_u32 v13, s14, v7
	v_mul_lo_u32 v11, v7, s26
	v_dual_add_nc_u32 v3, v7, v13 :: v_dual_sub_nc_u32 v1, v5, v11
	s_delay_alu instid0(VALU_DEP_1) | instskip(NEXT) | instid1(VALU_DEP_2)
	v_lshrrev_b32_e32 v3, s15, v3
	v_mad_u32 v8, v1, s41, v8
	v_mad_u32 v0, v1, s40, v0
	s_delay_alu instid0(VALU_DEP_3) | instskip(NEXT) | instid1(VALU_DEP_1)
	v_mul_lo_u32 v5, v3, s13
	v_sub_nc_u32_e32 v1, v7, v5
	s_delay_alu instid0(VALU_DEP_1) | instskip(NEXT) | instid1(VALU_DEP_4)
	v_mad_u32 v8, v1, s43, v8
	v_mad_u32 v0, v1, s42, v0
	s_cbranch_scc1 .LBB175_1182
; %bb.1183:
	s_delay_alu instid0(VALU_DEP_2)
	v_mov_b32_e32 v1, v8
	s_and_b32 s4, s1, 3
	s_mov_b32 s1, 0
	s_cmp_eq_u32 s4, 0
	s_cbranch_scc0 .LBB175_1187
	s_branch .LBB175_1190
.LBB175_1184:
	s_mov_b32 s6, -1
                                        ; implicit-def: $vgpr8
                                        ; implicit-def: $vgpr0
	s_branch .LBB175_1190
.LBB175_1185:
	v_dual_mov_b32 v8, 0 :: v_dual_mov_b32 v0, 0
	s_branch .LBB175_1190
.LBB175_1186:
	v_mov_b64_e32 v[0:1], 0
	v_mov_b32_e32 v3, v9
	s_mov_b32 s0, 0
                                        ; implicit-def: $vgpr8
	s_and_b32 s4, s1, 3
	s_mov_b32 s1, 0
	s_cmp_eq_u32 s4, 0
	s_cbranch_scc1 .LBB175_1190
.LBB175_1187:
	s_lshl_b32 s2, s0, 3
	s_mov_b32 s3, s1
	s_mul_u64 s[10:11], s[0:1], 12
	s_add_nc_u64 s[2:3], s[16:17], s[2:3]
	s_delay_alu instid0(SALU_CYCLE_1)
	s_add_nc_u64 s[0:1], s[2:3], 0xc4
	s_add_nc_u64 s[2:3], s[16:17], s[10:11]
.LBB175_1188:                           ; =>This Inner Loop Header: Depth=1
	s_load_b96 s[12:14], s[2:3], 0x4
	s_load_b64 s[10:11], s[0:1], 0x0
	s_add_co_i32 s4, s4, -1
	s_wait_xcnt 0x0
	s_add_nc_u64 s[2:3], s[2:3], 12
	s_cmp_lg_u32 s4, 0
	s_add_nc_u64 s[0:1], s[0:1], 8
	s_wait_kmcnt 0x0
	v_mul_hi_u32 v5, s13, v3
	s_delay_alu instid0(VALU_DEP_1) | instskip(NEXT) | instid1(VALU_DEP_1)
	v_add_nc_u32_e32 v5, v3, v5
	v_lshrrev_b32_e32 v5, s14, v5
	s_delay_alu instid0(VALU_DEP_1) | instskip(NEXT) | instid1(VALU_DEP_1)
	v_mul_lo_u32 v7, v5, s12
	v_sub_nc_u32_e32 v3, v3, v7
	s_delay_alu instid0(VALU_DEP_1)
	v_mad_u32 v1, v3, s11, v1
	v_mad_u32 v0, v3, s10, v0
	v_mov_b32_e32 v3, v5
	s_cbranch_scc1 .LBB175_1188
; %bb.1189:
	s_delay_alu instid0(VALU_DEP_3)
	v_mov_b32_e32 v8, v1
.LBB175_1190:
	s_and_not1_b32 vcc_lo, exec_lo, s6
	s_cbranch_vccnz .LBB175_1193
; %bb.1191:
	s_clause 0x1
	s_load_b96 s[0:2], s[16:17], 0x4
	s_load_b64 s[4:5], s[16:17], 0xc4
	s_cmp_lt_u32 s30, 2
	s_wait_kmcnt 0x0
	v_mul_hi_u32 v0, s1, v9
	s_delay_alu instid0(VALU_DEP_1) | instskip(NEXT) | instid1(VALU_DEP_1)
	v_add_nc_u32_e32 v0, v9, v0
	v_lshrrev_b32_e32 v1, s2, v0
	s_delay_alu instid0(VALU_DEP_1) | instskip(NEXT) | instid1(VALU_DEP_1)
	v_mul_lo_u32 v0, v1, s0
	v_sub_nc_u32_e32 v0, v9, v0
	s_delay_alu instid0(VALU_DEP_1)
	v_mul_lo_u32 v8, v0, s5
	v_mul_lo_u32 v0, v0, s4
	s_cbranch_scc1 .LBB175_1193
; %bb.1192:
	s_clause 0x1
	s_load_b96 s[0:2], s[16:17], 0x10
	s_load_b64 s[4:5], s[16:17], 0xcc
	s_wait_kmcnt 0x0
	v_mul_hi_u32 v3, s1, v1
	s_delay_alu instid0(VALU_DEP_1) | instskip(NEXT) | instid1(VALU_DEP_1)
	v_add_nc_u32_e32 v3, v1, v3
	v_lshrrev_b32_e32 v3, s2, v3
	s_delay_alu instid0(VALU_DEP_1) | instskip(NEXT) | instid1(VALU_DEP_1)
	v_mul_lo_u32 v3, v3, s0
	v_sub_nc_u32_e32 v1, v1, v3
	s_delay_alu instid0(VALU_DEP_1)
	v_mad_u32 v0, v1, s4, v0
	v_mad_u32 v8, v1, s5, v8
.LBB175_1193:
	v_mov_b32_e32 v15, 0
	s_load_b128 s[4:7], s[16:17], 0x148
	global_load_u8 v1, v15, s[16:17] offset:353
	s_wait_kmcnt 0x0
	v_add_nc_u64_e32 v[14:15], s[6:7], v[14:15]
	s_wait_loadcnt 0x0
	v_and_b32_e32 v3, 0xffff, v1
	v_readfirstlane_b32 s10, v1
	s_delay_alu instid0(VALU_DEP_2)
	v_cmp_gt_i32_e32 vcc_lo, 11, v3
	s_cbranch_vccnz .LBB175_1200
; %bb.1194:
	s_and_b32 s0, 0xffff, s10
	s_mov_b32 s3, 0
	s_cmp_gt_i32 s0, 25
	s_cbranch_scc0 .LBB175_1202
; %bb.1195:
	s_cmp_gt_i32 s0, 28
	s_cbranch_scc0 .LBB175_1203
; %bb.1196:
	;; [unrolled: 3-line block ×4, first 2 shown]
	s_cmp_eq_u32 s0, 46
	s_mov_b32 s2, 0
	s_cbranch_scc0 .LBB175_1208
; %bb.1199:
	global_load_b32 v1, v[14:15], off
	s_mov_b32 s1, 0
	s_mov_b32 s11, -1
	s_wait_loadcnt 0x0
	v_and_b32_e32 v3, 0xffff0000, v1
	s_branch .LBB175_1210
.LBB175_1200:
	s_mov_b32 s11, 0
	s_mov_b32 s2, s8
                                        ; implicit-def: $vgpr3
                                        ; implicit-def: $vgpr1
	s_cbranch_execnz .LBB175_1276
.LBB175_1201:
	s_and_not1_b32 vcc_lo, exec_lo, s11
	s_cbranch_vccz .LBB175_1323
	s_branch .LBB175_1743
.LBB175_1202:
	s_mov_b32 s11, 0
	s_mov_b32 s1, 0
                                        ; implicit-def: $vgpr3
                                        ; implicit-def: $vgpr1
	s_cbranch_execnz .LBB175_1240
	s_branch .LBB175_1272
.LBB175_1203:
	s_mov_b32 s11, 0
	s_mov_b32 s1, 0
                                        ; implicit-def: $vgpr3
                                        ; implicit-def: $vgpr1
	s_cbranch_execnz .LBB175_1222
	s_branch .LBB175_1239
.LBB175_1204:
	s_mov_b32 s2, -1
	s_mov_b32 s11, 0
	s_mov_b32 s1, 0
                                        ; implicit-def: $vgpr3
                                        ; implicit-def: $vgpr1
	s_branch .LBB175_1216
.LBB175_1205:
	s_mov_b32 s2, -1
	s_mov_b32 s11, 0
	s_mov_b32 s1, 0
	s_branch .LBB175_1209
.LBB175_1206:
	s_and_not1_saveexec_b32 s9, s9
	s_cbranch_execz .LBB175_1045
.LBB175_1207:
	v_add_f32_e32 v2, 0x46000000, v3
	s_and_not1_b32 s5, s5, exec_lo
	s_delay_alu instid0(VALU_DEP_1) | instskip(NEXT) | instid1(VALU_DEP_1)
	v_and_b32_e32 v2, 0xff, v2
	v_cmp_ne_u32_e32 vcc_lo, 0, v2
	s_and_b32 s10, vcc_lo, exec_lo
	s_delay_alu instid0(SALU_CYCLE_1)
	s_or_b32 s5, s5, s10
	s_or_b32 exec_lo, exec_lo, s9
	v_mov_b32_e32 v4, 0
	s_and_saveexec_b32 s9, s5
	s_cbranch_execnz .LBB175_1046
	s_branch .LBB175_1047
.LBB175_1208:
	s_mov_b32 s1, -1
	s_mov_b32 s11, 0
.LBB175_1209:
                                        ; implicit-def: $vgpr3
                                        ; implicit-def: $vgpr1
.LBB175_1210:
	s_and_b32 vcc_lo, exec_lo, s2
	s_cbranch_vccz .LBB175_1215
; %bb.1211:
	s_cmp_eq_u32 s0, 44
	s_cbranch_scc0 .LBB175_1213
; %bb.1212:
	global_load_u8 v1, v[14:15], off
	s_mov_b32 s1, 0
	s_mov_b32 s11, -1
	s_wait_loadcnt 0x0
	v_lshlrev_b32_e32 v3, 23, v1
	v_cmp_ne_u32_e32 vcc_lo, 0xff, v1
	s_delay_alu instid0(VALU_DEP_2) | instskip(SKIP_1) | instid1(VALU_DEP_2)
	v_cndmask_b32_e32 v3, 0x7f800001, v3, vcc_lo
	v_cmp_ne_u32_e32 vcc_lo, 0, v1
	v_cndmask_b32_e32 v1, 0x400000, v3, vcc_lo
	s_delay_alu instid0(VALU_DEP_1) | instskip(SKIP_1) | instid1(VALU_DEP_2)
	v_add_nc_u32_e32 v3, 0x7fff, v1
	v_cmp_o_f32_e32 vcc_lo, v1, v1
	v_lshrrev_b32_e32 v3, 16, v3
	s_delay_alu instid0(VALU_DEP_1)
	v_cndmask_b32_e32 v1, 0x7fc0, v3, vcc_lo
	s_branch .LBB175_1214
.LBB175_1213:
	s_mov_b32 s1, -1
                                        ; implicit-def: $vgpr1
.LBB175_1214:
	v_mov_b32_e32 v3, 0
.LBB175_1215:
	s_mov_b32 s2, 0
.LBB175_1216:
	s_delay_alu instid0(SALU_CYCLE_1)
	s_and_b32 vcc_lo, exec_lo, s2
	s_cbranch_vccz .LBB175_1221
; %bb.1217:
	s_cmp_eq_u32 s0, 29
	s_cbranch_scc0 .LBB175_1219
; %bb.1218:
	global_load_b64 v[16:17], v[14:15], off
	s_mov_b32 s1, 0
	s_mov_b32 s11, -1
	s_wait_loadcnt 0x0
	v_clz_i32_u32_e32 v1, v17
	s_delay_alu instid0(VALU_DEP_1) | instskip(NEXT) | instid1(VALU_DEP_1)
	v_min_u32_e32 v1, 32, v1
	v_lshlrev_b64_e32 v[16:17], v1, v[16:17]
	v_sub_nc_u32_e32 v1, 32, v1
	s_delay_alu instid0(VALU_DEP_2) | instskip(NEXT) | instid1(VALU_DEP_1)
	v_min_u32_e32 v3, 1, v16
	v_or_b32_e32 v3, v17, v3
	s_delay_alu instid0(VALU_DEP_1) | instskip(NEXT) | instid1(VALU_DEP_1)
	v_cvt_f32_u32_e32 v3, v3
	v_ldexp_f32 v1, v3, v1
	s_delay_alu instid0(VALU_DEP_1) | instskip(NEXT) | instid1(VALU_DEP_1)
	v_bfe_u32 v3, v1, 16, 1
	v_add3_u32 v1, v1, v3, 0x7fff
	s_delay_alu instid0(VALU_DEP_1)
	v_lshrrev_b32_e32 v1, 16, v1
	s_branch .LBB175_1220
.LBB175_1219:
	s_mov_b32 s1, -1
                                        ; implicit-def: $vgpr1
.LBB175_1220:
	v_mov_b32_e32 v3, 0
.LBB175_1221:
	s_branch .LBB175_1239
.LBB175_1222:
	s_cmp_lt_i32 s0, 27
	s_cbranch_scc1 .LBB175_1225
; %bb.1223:
	s_cmp_gt_i32 s0, 27
	s_cbranch_scc0 .LBB175_1226
; %bb.1224:
	global_load_b32 v1, v[14:15], off
	s_mov_b32 s2, 0
	s_wait_loadcnt 0x0
	v_cvt_f32_u32_e32 v1, v1
	s_delay_alu instid0(VALU_DEP_1) | instskip(NEXT) | instid1(VALU_DEP_1)
	v_bfe_u32 v3, v1, 16, 1
	v_add3_u32 v1, v1, v3, 0x7fff
	s_delay_alu instid0(VALU_DEP_1)
	v_lshrrev_b32_e32 v1, 16, v1
	s_branch .LBB175_1227
.LBB175_1225:
	s_mov_b32 s2, -1
                                        ; implicit-def: $vgpr1
	s_branch .LBB175_1230
.LBB175_1226:
	s_mov_b32 s2, -1
                                        ; implicit-def: $vgpr1
.LBB175_1227:
	s_delay_alu instid0(SALU_CYCLE_1)
	s_and_not1_b32 vcc_lo, exec_lo, s2
	s_cbranch_vccnz .LBB175_1229
; %bb.1228:
	global_load_u16 v1, v[14:15], off
	s_wait_loadcnt 0x0
	v_cvt_f32_u32_e32 v1, v1
	s_delay_alu instid0(VALU_DEP_1) | instskip(NEXT) | instid1(VALU_DEP_1)
	v_bfe_u32 v3, v1, 16, 1
	v_add3_u32 v1, v1, v3, 0x7fff
	s_delay_alu instid0(VALU_DEP_1)
	v_lshrrev_b32_e32 v1, 16, v1
.LBB175_1229:
	s_mov_b32 s2, 0
.LBB175_1230:
	s_delay_alu instid0(SALU_CYCLE_1)
	s_and_not1_b32 vcc_lo, exec_lo, s2
	s_cbranch_vccnz .LBB175_1238
; %bb.1231:
	global_load_u8 v1, v[14:15], off
	s_mov_b32 s2, 0
	s_mov_b32 s11, exec_lo
	s_wait_loadcnt 0x0
	v_cmpx_lt_i16_e32 0x7f, v1
	s_xor_b32 s11, exec_lo, s11
	s_cbranch_execz .LBB175_1251
; %bb.1232:
	s_mov_b32 s2, -1
	s_mov_b32 s12, exec_lo
	v_cmpx_eq_u16_e32 0x80, v1
; %bb.1233:
	s_xor_b32 s2, exec_lo, -1
; %bb.1234:
	s_or_b32 exec_lo, exec_lo, s12
	s_delay_alu instid0(SALU_CYCLE_1)
	s_and_b32 s2, s2, exec_lo
	s_or_saveexec_b32 s11, s11
	v_mov_b32_e32 v3, 0x7f800001
	s_xor_b32 exec_lo, exec_lo, s11
	s_cbranch_execnz .LBB175_1252
.LBB175_1235:
	s_or_b32 exec_lo, exec_lo, s11
	s_and_saveexec_b32 s11, s2
	s_cbranch_execz .LBB175_1237
.LBB175_1236:
	v_and_b32_e32 v3, 0xffff, v1
	s_delay_alu instid0(VALU_DEP_1) | instskip(SKIP_1) | instid1(VALU_DEP_2)
	v_dual_lshlrev_b32 v1, 24, v1 :: v_dual_bitop2_b32 v5, 7, v3 bitop3:0x40
	v_bfe_u32 v11, v3, 3, 4
	v_and_b32_e32 v1, 0x80000000, v1
	s_delay_alu instid0(VALU_DEP_3) | instskip(NEXT) | instid1(VALU_DEP_3)
	v_clz_i32_u32_e32 v7, v5
	v_cmp_eq_u32_e32 vcc_lo, 0, v11
	s_delay_alu instid0(VALU_DEP_2) | instskip(NEXT) | instid1(VALU_DEP_1)
	v_min_u32_e32 v7, 32, v7
	v_subrev_nc_u32_e32 v9, 28, v7
	v_sub_nc_u32_e32 v7, 29, v7
	s_delay_alu instid0(VALU_DEP_2) | instskip(NEXT) | instid1(VALU_DEP_2)
	v_lshlrev_b32_e32 v3, v9, v3
	v_cndmask_b32_e32 v7, v11, v7, vcc_lo
	s_delay_alu instid0(VALU_DEP_2) | instskip(NEXT) | instid1(VALU_DEP_1)
	v_and_b32_e32 v3, 7, v3
	v_cndmask_b32_e32 v3, v5, v3, vcc_lo
	s_delay_alu instid0(VALU_DEP_3) | instskip(NEXT) | instid1(VALU_DEP_2)
	v_lshl_add_u32 v5, v7, 23, 0x3b800000
	v_lshlrev_b32_e32 v3, 20, v3
	s_delay_alu instid0(VALU_DEP_1)
	v_or3_b32 v3, v1, v5, v3
.LBB175_1237:
	s_or_b32 exec_lo, exec_lo, s11
	s_delay_alu instid0(VALU_DEP_1) | instskip(SKIP_1) | instid1(VALU_DEP_2)
	v_bfe_u32 v1, v3, 16, 1
	v_cmp_o_f32_e32 vcc_lo, v3, v3
	v_add3_u32 v1, v3, v1, 0x7fff
	s_delay_alu instid0(VALU_DEP_1) | instskip(NEXT) | instid1(VALU_DEP_1)
	v_lshrrev_b32_e32 v1, 16, v1
	v_cndmask_b32_e32 v1, 0x7fc0, v1, vcc_lo
.LBB175_1238:
	v_mov_b32_e32 v3, 0
	s_mov_b32 s11, -1
.LBB175_1239:
	s_branch .LBB175_1272
.LBB175_1240:
	s_cmp_gt_i32 s0, 22
	s_cbranch_scc0 .LBB175_1250
; %bb.1241:
	s_cmp_lt_i32 s0, 24
	s_cbranch_scc1 .LBB175_1253
; %bb.1242:
	s_cmp_gt_i32 s0, 24
	s_cbranch_scc0 .LBB175_1254
; %bb.1243:
	global_load_u8 v1, v[14:15], off
	s_mov_b32 s2, 0
	s_mov_b32 s3, exec_lo
	s_wait_loadcnt 0x0
	v_cmpx_lt_i16_e32 0x7f, v1
	s_xor_b32 s3, exec_lo, s3
	s_cbranch_execz .LBB175_1265
; %bb.1244:
	s_mov_b32 s2, -1
	s_mov_b32 s11, exec_lo
	v_cmpx_eq_u16_e32 0x80, v1
; %bb.1245:
	s_xor_b32 s2, exec_lo, -1
; %bb.1246:
	s_or_b32 exec_lo, exec_lo, s11
	s_delay_alu instid0(SALU_CYCLE_1)
	s_and_b32 s2, s2, exec_lo
	s_or_saveexec_b32 s3, s3
	v_mov_b32_e32 v3, 0x7f800001
	s_xor_b32 exec_lo, exec_lo, s3
	s_cbranch_execnz .LBB175_1266
.LBB175_1247:
	s_or_b32 exec_lo, exec_lo, s3
	s_and_saveexec_b32 s3, s2
	s_cbranch_execz .LBB175_1249
.LBB175_1248:
	v_and_b32_e32 v3, 0xffff, v1
	s_delay_alu instid0(VALU_DEP_1) | instskip(SKIP_1) | instid1(VALU_DEP_2)
	v_dual_lshlrev_b32 v1, 24, v1 :: v_dual_bitop2_b32 v5, 3, v3 bitop3:0x40
	v_bfe_u32 v11, v3, 2, 5
	v_and_b32_e32 v1, 0x80000000, v1
	s_delay_alu instid0(VALU_DEP_3) | instskip(NEXT) | instid1(VALU_DEP_3)
	v_clz_i32_u32_e32 v7, v5
	v_cmp_eq_u32_e32 vcc_lo, 0, v11
	s_delay_alu instid0(VALU_DEP_2) | instskip(NEXT) | instid1(VALU_DEP_1)
	v_min_u32_e32 v7, 32, v7
	v_subrev_nc_u32_e32 v9, 29, v7
	v_sub_nc_u32_e32 v7, 30, v7
	s_delay_alu instid0(VALU_DEP_2) | instskip(NEXT) | instid1(VALU_DEP_2)
	v_lshlrev_b32_e32 v3, v9, v3
	v_cndmask_b32_e32 v7, v11, v7, vcc_lo
	s_delay_alu instid0(VALU_DEP_2) | instskip(NEXT) | instid1(VALU_DEP_1)
	v_and_b32_e32 v3, 3, v3
	v_cndmask_b32_e32 v3, v5, v3, vcc_lo
	s_delay_alu instid0(VALU_DEP_3) | instskip(NEXT) | instid1(VALU_DEP_2)
	v_lshl_add_u32 v5, v7, 23, 0x37800000
	v_lshlrev_b32_e32 v3, 21, v3
	s_delay_alu instid0(VALU_DEP_1)
	v_or3_b32 v3, v1, v5, v3
.LBB175_1249:
	s_or_b32 exec_lo, exec_lo, s3
	s_delay_alu instid0(VALU_DEP_1) | instskip(SKIP_2) | instid1(VALU_DEP_2)
	v_bfe_u32 v1, v3, 16, 1
	v_cmp_o_f32_e32 vcc_lo, v3, v3
	s_mov_b32 s2, 0
	v_add3_u32 v1, v3, v1, 0x7fff
	s_delay_alu instid0(VALU_DEP_1) | instskip(NEXT) | instid1(VALU_DEP_1)
	v_lshrrev_b32_e32 v1, 16, v1
	v_cndmask_b32_e32 v1, 0x7fc0, v1, vcc_lo
	s_branch .LBB175_1255
.LBB175_1250:
                                        ; implicit-def: $vgpr1
	s_mov_b32 s3, 0
	s_branch .LBB175_1261
.LBB175_1251:
	s_or_saveexec_b32 s11, s11
	v_mov_b32_e32 v3, 0x7f800001
	s_xor_b32 exec_lo, exec_lo, s11
	s_cbranch_execz .LBB175_1235
.LBB175_1252:
	v_cmp_ne_u16_e32 vcc_lo, 0, v1
	v_mov_b32_e32 v3, 0
	s_and_not1_b32 s2, s2, exec_lo
	s_and_b32 s12, vcc_lo, exec_lo
	s_delay_alu instid0(SALU_CYCLE_1)
	s_or_b32 s2, s2, s12
	s_or_b32 exec_lo, exec_lo, s11
	s_and_saveexec_b32 s11, s2
	s_cbranch_execnz .LBB175_1236
	s_branch .LBB175_1237
.LBB175_1253:
	s_mov_b32 s2, -1
                                        ; implicit-def: $vgpr1
	s_branch .LBB175_1258
.LBB175_1254:
	s_mov_b32 s2, -1
                                        ; implicit-def: $vgpr1
.LBB175_1255:
	s_delay_alu instid0(SALU_CYCLE_1)
	s_and_b32 vcc_lo, exec_lo, s2
	s_cbranch_vccz .LBB175_1257
; %bb.1256:
	global_load_u8 v1, v[14:15], off
	s_wait_loadcnt 0x0
	v_lshlrev_b32_e32 v1, 24, v1
	s_delay_alu instid0(VALU_DEP_1) | instskip(NEXT) | instid1(VALU_DEP_1)
	v_and_b32_e32 v3, 0x7f000000, v1
	v_clz_i32_u32_e32 v5, v3
	v_add_nc_u32_e32 v9, 0x1000000, v3
	v_cmp_ne_u32_e32 vcc_lo, 0, v3
	s_delay_alu instid0(VALU_DEP_3) | instskip(NEXT) | instid1(VALU_DEP_1)
	v_min_u32_e32 v5, 32, v5
	v_sub_nc_u32_e64 v5, v5, 4 clamp
	s_delay_alu instid0(VALU_DEP_1) | instskip(NEXT) | instid1(VALU_DEP_1)
	v_dual_lshlrev_b32 v7, v5, v3 :: v_dual_lshlrev_b32 v5, 23, v5
	v_lshrrev_b32_e32 v7, 4, v7
	s_delay_alu instid0(VALU_DEP_1) | instskip(SKIP_1) | instid1(VALU_DEP_2)
	v_sub_nc_u32_e32 v5, v7, v5
	v_ashrrev_i32_e32 v7, 8, v9
	v_add_nc_u32_e32 v5, 0x3c000000, v5
	s_delay_alu instid0(VALU_DEP_1) | instskip(NEXT) | instid1(VALU_DEP_1)
	v_and_or_b32 v5, 0x7f800000, v7, v5
	v_cndmask_b32_e32 v3, 0, v5, vcc_lo
	s_delay_alu instid0(VALU_DEP_1) | instskip(SKIP_1) | instid1(VALU_DEP_2)
	v_and_or_b32 v1, 0x80000000, v1, v3
	v_bfe_u32 v3, v3, 16, 1
	v_cmp_o_f32_e32 vcc_lo, v1, v1
	s_delay_alu instid0(VALU_DEP_2) | instskip(NEXT) | instid1(VALU_DEP_1)
	v_add3_u32 v3, v1, v3, 0x7fff
	v_lshrrev_b32_e32 v3, 16, v3
	s_delay_alu instid0(VALU_DEP_1)
	v_cndmask_b32_e32 v1, 0x7fc0, v3, vcc_lo
.LBB175_1257:
	s_mov_b32 s2, 0
.LBB175_1258:
	s_delay_alu instid0(SALU_CYCLE_1)
	s_and_not1_b32 vcc_lo, exec_lo, s2
	s_cbranch_vccnz .LBB175_1260
; %bb.1259:
	global_load_u8 v1, v[14:15], off
	s_wait_loadcnt 0x0
	v_lshlrev_b32_e32 v3, 25, v1
	v_lshlrev_b16 v1, 8, v1
	s_delay_alu instid0(VALU_DEP_1) | instskip(SKIP_1) | instid1(VALU_DEP_2)
	v_and_or_b32 v7, 0x7f00, v1, 0.5
	v_bfe_i32 v1, v1, 0, 16
	v_add_f32_e32 v7, -0.5, v7
	v_lshrrev_b32_e32 v5, 4, v3
	v_cmp_gt_u32_e32 vcc_lo, 0x8000000, v3
	s_delay_alu instid0(VALU_DEP_2) | instskip(NEXT) | instid1(VALU_DEP_1)
	v_or_b32_e32 v5, 0x70000000, v5
	v_mul_f32_e32 v5, 0x7800000, v5
	s_delay_alu instid0(VALU_DEP_1) | instskip(NEXT) | instid1(VALU_DEP_1)
	v_cndmask_b32_e32 v3, v5, v7, vcc_lo
	v_and_or_b32 v1, 0x80000000, v1, v3
	v_bfe_u32 v3, v3, 16, 1
	s_delay_alu instid0(VALU_DEP_2) | instskip(NEXT) | instid1(VALU_DEP_2)
	v_cmp_o_f32_e32 vcc_lo, v1, v1
	v_add3_u32 v3, v1, v3, 0x7fff
	s_delay_alu instid0(VALU_DEP_1) | instskip(NEXT) | instid1(VALU_DEP_1)
	v_lshrrev_b32_e32 v3, 16, v3
	v_cndmask_b32_e32 v1, 0x7fc0, v3, vcc_lo
.LBB175_1260:
	s_mov_b32 s11, -1
	s_mov_b32 s3, 0
	s_cbranch_execnz .LBB175_1271
.LBB175_1261:
	s_cmp_gt_i32 s0, 14
	s_cbranch_scc0 .LBB175_1264
; %bb.1262:
	s_cmp_eq_u32 s0, 15
	s_cbranch_scc0 .LBB175_1267
; %bb.1263:
	global_load_u16 v1, v[14:15], off
	s_mov_b32 s1, 0
	s_mov_b32 s11, -1
	s_branch .LBB175_1268
.LBB175_1264:
	s_mov_b32 s2, -1
                                        ; implicit-def: $vgpr1
	s_branch .LBB175_1269
.LBB175_1265:
	s_or_saveexec_b32 s3, s3
	v_mov_b32_e32 v3, 0x7f800001
	s_xor_b32 exec_lo, exec_lo, s3
	s_cbranch_execz .LBB175_1247
.LBB175_1266:
	v_cmp_ne_u16_e32 vcc_lo, 0, v1
	v_mov_b32_e32 v3, 0
	s_and_not1_b32 s2, s2, exec_lo
	s_and_b32 s11, vcc_lo, exec_lo
	s_delay_alu instid0(SALU_CYCLE_1)
	s_or_b32 s2, s2, s11
	s_or_b32 exec_lo, exec_lo, s3
	s_and_saveexec_b32 s3, s2
	s_cbranch_execnz .LBB175_1248
	s_branch .LBB175_1249
.LBB175_1267:
	s_mov_b32 s1, -1
                                        ; implicit-def: $vgpr1
.LBB175_1268:
	s_mov_b32 s2, 0
.LBB175_1269:
	s_delay_alu instid0(SALU_CYCLE_1)
	s_and_b32 vcc_lo, exec_lo, s2
	s_cbranch_vccz .LBB175_1271
; %bb.1270:
	s_cmp_lg_u32 s0, 11
	s_mov_b32 s3, -1
	s_cselect_b32 s1, -1, 0
.LBB175_1271:
	v_mov_b32_e32 v3, 0
.LBB175_1272:
	s_and_b32 vcc_lo, exec_lo, s1
	s_mov_b32 s2, s8
	s_cbranch_vccnz .LBB175_1339
; %bb.1273:
	s_and_not1_b32 vcc_lo, exec_lo, s3
	s_cbranch_vccnz .LBB175_1275
.LBB175_1274:
	s_wait_loadcnt 0x0
	global_load_u8 v1, v[14:15], off
	s_mov_b32 s11, -1
	v_mov_b32_e32 v3, 0
	s_wait_loadcnt 0x0
	v_cmp_ne_u16_e32 vcc_lo, 0, v1
	v_cndmask_b32_e64 v1, 0, 1.0, vcc_lo
	s_delay_alu instid0(VALU_DEP_1)
	v_lshrrev_b32_e32 v1, 16, v1
.LBB175_1275:
	s_branch .LBB175_1201
.LBB175_1276:
	s_and_b32 s0, 0xffff, s10
	s_delay_alu instid0(SALU_CYCLE_1)
	s_cmp_lt_i32 s0, 5
	s_cbranch_scc1 .LBB175_1281
; %bb.1277:
	s_cmp_lt_i32 s0, 8
	s_cbranch_scc1 .LBB175_1283
; %bb.1278:
	;; [unrolled: 3-line block ×3, first 2 shown]
	s_cmp_gt_i32 s0, 9
	s_cbranch_scc0 .LBB175_1285
; %bb.1280:
	global_load_b128 v[16:19], v[14:15], off
	s_mov_b32 s1, 0
	s_wait_loadcnt 0x0
	v_cvt_f32_f64_e32 v1, v[16:17]
	v_cvt_f32_f64_e32 v3, v[18:19]
	s_delay_alu instid0(VALU_DEP_2) | instskip(NEXT) | instid1(VALU_DEP_2)
	v_bfe_u32 v5, v1, 16, 1
	v_bfe_u32 v7, v3, 16, 1
	v_cmp_o_f32_e32 vcc_lo, v1, v1
	s_delay_alu instid0(VALU_DEP_3) | instskip(NEXT) | instid1(VALU_DEP_3)
	v_add3_u32 v5, v1, v5, 0x7fff
	v_add3_u32 v7, v3, v7, 0x7fff
	s_delay_alu instid0(VALU_DEP_2) | instskip(NEXT) | instid1(VALU_DEP_2)
	v_lshrrev_b32_e32 v5, 16, v5
	v_and_b32_e32 v7, 0xffff0000, v7
	s_delay_alu instid0(VALU_DEP_2) | instskip(SKIP_1) | instid1(VALU_DEP_3)
	v_cndmask_b32_e32 v1, 0x7fc0, v5, vcc_lo
	v_cmp_o_f32_e32 vcc_lo, v3, v3
	v_cndmask_b32_e32 v3, 0x7fc00000, v7, vcc_lo
	s_branch .LBB175_1286
.LBB175_1281:
                                        ; implicit-def: $vgpr3
                                        ; implicit-def: $vgpr1
	s_branch .LBB175_1304
.LBB175_1282:
	s_branch .LBB175_1323
.LBB175_1283:
                                        ; implicit-def: $vgpr3
                                        ; implicit-def: $vgpr1
	s_branch .LBB175_1292
.LBB175_1284:
	s_mov_b32 s1, -1
                                        ; implicit-def: $vgpr3
                                        ; implicit-def: $vgpr1
	s_branch .LBB175_1289
.LBB175_1285:
	s_mov_b32 s1, -1
                                        ; implicit-def: $vgpr3
                                        ; implicit-def: $vgpr1
.LBB175_1286:
	s_delay_alu instid0(SALU_CYCLE_1)
	s_and_not1_b32 vcc_lo, exec_lo, s1
	s_cbranch_vccnz .LBB175_1288
; %bb.1287:
	global_load_b64 v[16:17], v[14:15], off
	s_wait_loadcnt 0x0
	v_bfe_u32 v1, v16, 16, 1
	v_bfe_u32 v3, v17, 16, 1
	v_cmp_o_f32_e32 vcc_lo, v16, v16
	s_delay_alu instid0(VALU_DEP_3) | instskip(NEXT) | instid1(VALU_DEP_3)
	v_add3_u32 v1, v16, v1, 0x7fff
	v_add3_u32 v3, v17, v3, 0x7fff
	s_delay_alu instid0(VALU_DEP_2) | instskip(NEXT) | instid1(VALU_DEP_2)
	v_lshrrev_b32_e32 v1, 16, v1
	v_and_b32_e32 v3, 0xffff0000, v3
	s_delay_alu instid0(VALU_DEP_2) | instskip(SKIP_1) | instid1(VALU_DEP_3)
	v_cndmask_b32_e32 v1, 0x7fc0, v1, vcc_lo
	v_cmp_o_f32_e32 vcc_lo, v17, v17
	v_cndmask_b32_e32 v3, 0x7fc00000, v3, vcc_lo
.LBB175_1288:
	s_mov_b32 s1, 0
.LBB175_1289:
	s_delay_alu instid0(SALU_CYCLE_1)
	s_and_not1_b32 vcc_lo, exec_lo, s1
	s_cbranch_vccnz .LBB175_1291
; %bb.1290:
	s_wait_loadcnt 0x0
	global_load_b32 v1, v[14:15], off
	s_wait_loadcnt 0x0
	v_lshrrev_b32_e32 v3, 16, v1
	v_cvt_f32_f16_e32 v5, v1
	v_cmp_o_f16_e32 vcc_lo, v1, v1
	s_delay_alu instid0(VALU_DEP_3) | instskip(NEXT) | instid1(VALU_DEP_3)
	v_cvt_f32_f16_e32 v7, v3
	v_bfe_u32 v9, v5, 16, 1
	s_delay_alu instid0(VALU_DEP_2) | instskip(NEXT) | instid1(VALU_DEP_2)
	v_bfe_u32 v11, v7, 16, 1
	v_add3_u32 v5, v5, v9, 0x7fff
	s_delay_alu instid0(VALU_DEP_2) | instskip(NEXT) | instid1(VALU_DEP_2)
	v_add3_u32 v7, v7, v11, 0x7fff
	v_lshrrev_b32_e32 v5, 16, v5
	s_delay_alu instid0(VALU_DEP_2) | instskip(NEXT) | instid1(VALU_DEP_2)
	v_and_b32_e32 v7, 0xffff0000, v7
	v_cndmask_b32_e32 v1, 0x7fc0, v5, vcc_lo
	v_cmp_o_f16_e32 vcc_lo, v3, v3
	s_delay_alu instid0(VALU_DEP_3)
	v_cndmask_b32_e32 v3, 0x7fc00000, v7, vcc_lo
.LBB175_1291:
	s_cbranch_execnz .LBB175_1303
.LBB175_1292:
	s_cmp_lt_i32 s0, 6
	s_cbranch_scc1 .LBB175_1295
; %bb.1293:
	s_cmp_gt_i32 s0, 6
	s_cbranch_scc0 .LBB175_1296
; %bb.1294:
	global_load_b64 v[16:17], v[14:15], off
	s_mov_b32 s1, 0
	s_wait_loadcnt 0x0
	v_cvt_f32_f64_e32 v1, v[16:17]
	s_delay_alu instid0(VALU_DEP_1) | instskip(SKIP_1) | instid1(VALU_DEP_2)
	v_bfe_u32 v3, v1, 16, 1
	v_cmp_o_f32_e32 vcc_lo, v1, v1
	v_add3_u32 v3, v1, v3, 0x7fff
	s_delay_alu instid0(VALU_DEP_1) | instskip(NEXT) | instid1(VALU_DEP_1)
	v_lshrrev_b32_e32 v3, 16, v3
	v_cndmask_b32_e32 v1, 0x7fc0, v3, vcc_lo
	s_branch .LBB175_1297
.LBB175_1295:
	s_mov_b32 s1, -1
                                        ; implicit-def: $vgpr1
	s_branch .LBB175_1300
.LBB175_1296:
	s_mov_b32 s1, -1
                                        ; implicit-def: $vgpr1
.LBB175_1297:
	s_delay_alu instid0(SALU_CYCLE_1)
	s_and_not1_b32 vcc_lo, exec_lo, s1
	s_cbranch_vccnz .LBB175_1299
; %bb.1298:
	s_wait_loadcnt 0x0
	global_load_b32 v1, v[14:15], off
	s_wait_loadcnt 0x0
	v_bfe_u32 v3, v1, 16, 1
	v_cmp_o_f32_e32 vcc_lo, v1, v1
	s_delay_alu instid0(VALU_DEP_2) | instskip(NEXT) | instid1(VALU_DEP_1)
	v_add3_u32 v3, v1, v3, 0x7fff
	v_lshrrev_b32_e32 v3, 16, v3
	s_delay_alu instid0(VALU_DEP_1)
	v_cndmask_b32_e32 v1, 0x7fc0, v3, vcc_lo
.LBB175_1299:
	s_mov_b32 s1, 0
.LBB175_1300:
	s_delay_alu instid0(SALU_CYCLE_1)
	s_and_not1_b32 vcc_lo, exec_lo, s1
	s_cbranch_vccnz .LBB175_1302
; %bb.1301:
	s_wait_loadcnt 0x0
	global_load_u16 v1, v[14:15], off
	s_wait_loadcnt 0x0
	v_cvt_f32_f16_e32 v3, v1
	v_cmp_o_f16_e32 vcc_lo, v1, v1
	s_delay_alu instid0(VALU_DEP_2) | instskip(NEXT) | instid1(VALU_DEP_1)
	v_bfe_u32 v5, v3, 16, 1
	v_add3_u32 v3, v3, v5, 0x7fff
	s_delay_alu instid0(VALU_DEP_1) | instskip(NEXT) | instid1(VALU_DEP_1)
	v_lshrrev_b32_e32 v3, 16, v3
	v_cndmask_b32_e32 v1, 0x7fc0, v3, vcc_lo
.LBB175_1302:
	v_mov_b32_e32 v3, 0
.LBB175_1303:
	s_cbranch_execnz .LBB175_1282
.LBB175_1304:
	s_cmp_lt_i32 s0, 2
	s_cbranch_scc1 .LBB175_1308
; %bb.1305:
	s_cmp_lt_i32 s0, 3
	s_cbranch_scc1 .LBB175_1309
; %bb.1306:
	s_cmp_gt_i32 s0, 3
	s_cbranch_scc0 .LBB175_1310
; %bb.1307:
	global_load_b64 v[16:17], v[14:15], off
	s_mov_b32 s1, 0
	s_wait_loadcnt 0x0
	v_xor_b32_e32 v1, v16, v17
	v_cls_i32_e32 v3, v17
	s_delay_alu instid0(VALU_DEP_2) | instskip(NEXT) | instid1(VALU_DEP_1)
	v_ashrrev_i32_e32 v1, 31, v1
	v_add_nc_u32_e32 v1, 32, v1
	s_delay_alu instid0(VALU_DEP_1) | instskip(NEXT) | instid1(VALU_DEP_1)
	v_add_min_u32_e64 v1, v3, -1, v1
	v_lshlrev_b64_e32 v[16:17], v1, v[16:17]
	v_sub_nc_u32_e32 v1, 32, v1
	s_delay_alu instid0(VALU_DEP_2) | instskip(NEXT) | instid1(VALU_DEP_1)
	v_min_u32_e32 v3, 1, v16
	v_or_b32_e32 v3, v17, v3
	s_delay_alu instid0(VALU_DEP_1) | instskip(NEXT) | instid1(VALU_DEP_1)
	v_cvt_f32_i32_e32 v3, v3
	v_ldexp_f32 v1, v3, v1
	s_delay_alu instid0(VALU_DEP_1) | instskip(NEXT) | instid1(VALU_DEP_1)
	v_bfe_u32 v3, v1, 16, 1
	v_add3_u32 v1, v1, v3, 0x7fff
	s_delay_alu instid0(VALU_DEP_1)
	v_lshrrev_b32_e32 v1, 16, v1
	s_branch .LBB175_1311
.LBB175_1308:
                                        ; implicit-def: $vgpr1
	s_branch .LBB175_1317
.LBB175_1309:
	s_mov_b32 s1, -1
                                        ; implicit-def: $vgpr1
	s_branch .LBB175_1314
.LBB175_1310:
	s_mov_b32 s1, -1
                                        ; implicit-def: $vgpr1
.LBB175_1311:
	s_delay_alu instid0(SALU_CYCLE_1)
	s_and_not1_b32 vcc_lo, exec_lo, s1
	s_cbranch_vccnz .LBB175_1313
; %bb.1312:
	s_wait_loadcnt 0x0
	global_load_b32 v1, v[14:15], off
	s_wait_loadcnt 0x0
	v_cvt_f32_i32_e32 v1, v1
	s_delay_alu instid0(VALU_DEP_1) | instskip(NEXT) | instid1(VALU_DEP_1)
	v_bfe_u32 v3, v1, 16, 1
	v_add3_u32 v1, v1, v3, 0x7fff
	s_delay_alu instid0(VALU_DEP_1)
	v_lshrrev_b32_e32 v1, 16, v1
.LBB175_1313:
	s_mov_b32 s1, 0
.LBB175_1314:
	s_delay_alu instid0(SALU_CYCLE_1)
	s_and_not1_b32 vcc_lo, exec_lo, s1
	s_cbranch_vccnz .LBB175_1316
; %bb.1315:
	s_wait_loadcnt 0x0
	global_load_i16 v1, v[14:15], off
	s_wait_loadcnt 0x0
	v_cvt_f32_i32_e32 v1, v1
	s_delay_alu instid0(VALU_DEP_1) | instskip(NEXT) | instid1(VALU_DEP_1)
	v_bfe_u32 v3, v1, 16, 1
	v_add3_u32 v1, v1, v3, 0x7fff
	s_delay_alu instid0(VALU_DEP_1)
	v_lshrrev_b32_e32 v1, 16, v1
.LBB175_1316:
	s_cbranch_execnz .LBB175_1322
.LBB175_1317:
	s_cmp_gt_i32 s0, 0
	s_mov_b32 s0, 0
	s_cbranch_scc0 .LBB175_1319
; %bb.1318:
	s_wait_loadcnt 0x0
	global_load_i8 v1, v[14:15], off
	s_wait_loadcnt 0x0
	v_cvt_f32_i32_e32 v1, v1
	s_delay_alu instid0(VALU_DEP_1) | instskip(NEXT) | instid1(VALU_DEP_1)
	v_bfe_u32 v3, v1, 16, 1
	v_add3_u32 v1, v1, v3, 0x7fff
	s_delay_alu instid0(VALU_DEP_1)
	v_lshrrev_b32_e32 v1, 16, v1
	s_branch .LBB175_1320
.LBB175_1319:
	s_mov_b32 s0, -1
                                        ; implicit-def: $vgpr1
.LBB175_1320:
	s_delay_alu instid0(SALU_CYCLE_1)
	s_and_not1_b32 vcc_lo, exec_lo, s0
	s_cbranch_vccnz .LBB175_1322
; %bb.1321:
	s_wait_loadcnt 0x0
	global_load_u8 v1, v[14:15], off
	s_wait_loadcnt 0x0
	v_cvt_f32_ubyte0_e32 v1, v1
	s_delay_alu instid0(VALU_DEP_1) | instskip(NEXT) | instid1(VALU_DEP_1)
	v_bfe_u32 v3, v1, 16, 1
	v_add3_u32 v1, v1, v3, 0x7fff
	s_delay_alu instid0(VALU_DEP_1)
	v_lshrrev_b32_e32 v1, 16, v1
.LBB175_1322:
	v_mov_b32_e32 v3, 0
.LBB175_1323:
	s_load_b64 s[0:1], s[16:17], 0x158
	s_wait_loadcnt 0x0
	s_delay_alu instid0(VALU_DEP_2) | instskip(SKIP_1) | instid1(VALU_DEP_1)
	v_and_b32_e32 v1, 0xffff, v1
	s_mov_b32 s11, 0
	v_or_b32_e32 v1, v3, v1
	v_and_b32_e32 v3, 0xffff0000, v3
	s_delay_alu instid0(VALU_DEP_2) | instskip(SKIP_3) | instid1(SALU_CYCLE_1)
	v_lshlrev_b32_e32 v1, 16, v1
	s_wait_kmcnt 0x0
	s_cmp_lg_u32 s0, 0
	s_cselect_b32 s12, -1, 0
	s_and_b32 vcc_lo, exec_lo, s12
	s_cbranch_vccz .LBB175_1335
; %bb.1324:
	v_and_b32_e64 v5, 0xffff0000, s1
	s_lshl_b32 s0, s1, 16
	s_delay_alu instid0(SALU_CYCLE_1) | instskip(NEXT) | instid1(VALU_DEP_2)
	v_cmp_neq_f32_e32 vcc_lo, s0, v1
	v_cmp_neq_f32_e64 s0, v5, v3
	s_or_b32 s3, vcc_lo, s0
	s_and_not1_b32 vcc_lo, exec_lo, s11
	s_cbranch_vccnz .LBB175_1326
.LBB175_1325:
	v_and_b32_e64 v5, 0xffff0000, s1
	s_lshl_b32 s0, s1, 16
	s_and_not1_b32 s3, s3, exec_lo
	v_cmp_eq_f32_e32 vcc_lo, s0, v1
	s_delay_alu instid0(VALU_DEP_2) | instskip(SKIP_1) | instid1(SALU_CYCLE_1)
	v_cmp_eq_f32_e64 s0, v5, v3
	s_and_b32 s0, vcc_lo, s0
	s_and_b32 s0, s0, exec_lo
	s_delay_alu instid0(SALU_CYCLE_1)
	s_or_b32 s3, s3, s0
.LBB175_1326:
	v_mov_b32_e32 v13, 0
	s_and_b32 s13, 0xffff, s10
	s_delay_alu instid0(SALU_CYCLE_1) | instskip(NEXT) | instid1(VALU_DEP_1)
	s_cmp_lt_i32 s13, 11
	v_add_nc_u64_e32 v[12:13], s[6:7], v[12:13]
	s_cbranch_scc1 .LBB175_1333
; %bb.1327:
	s_cmp_gt_i32 s13, 25
	s_mov_b32 s10, 0
	s_cbranch_scc0 .LBB175_1336
; %bb.1328:
	s_cmp_gt_i32 s13, 28
	s_cbranch_scc0 .LBB175_1337
; %bb.1329:
	s_cmp_gt_i32 s13, 43
	;; [unrolled: 3-line block ×3, first 2 shown]
	s_cbranch_scc0 .LBB175_1340
; %bb.1331:
	s_cmp_eq_u32 s13, 46
	s_mov_b32 s14, 0
	s_cbranch_scc0 .LBB175_1343
; %bb.1332:
	global_load_b32 v1, v[12:13], off
	s_mov_b32 s0, 0
	s_mov_b32 s11, -1
	s_wait_loadcnt 0x0
	v_and_b32_e32 v3, 0xffff0000, v1
	s_branch .LBB175_1345
.LBB175_1333:
	s_mov_b32 s11, 0
                                        ; implicit-def: $vgpr3
                                        ; implicit-def: $vgpr1
	s_cbranch_execnz .LBB175_1413
.LBB175_1334:
	s_and_not1_b32 vcc_lo, exec_lo, s11
	s_cbranch_vccnz .LBB175_1743
	s_branch .LBB175_1462
.LBB175_1335:
                                        ; implicit-def: $sgpr3
	s_branch .LBB175_1325
.LBB175_1336:
	s_mov_b32 s11, 0
	s_mov_b32 s0, 0
                                        ; implicit-def: $vgpr3
                                        ; implicit-def: $vgpr1
	s_cbranch_execnz .LBB175_1376
	s_branch .LBB175_1409
.LBB175_1337:
	s_mov_b32 s14, -1
	s_mov_b32 s11, 0
	s_mov_b32 s0, 0
                                        ; implicit-def: $vgpr3
                                        ; implicit-def: $vgpr1
	s_branch .LBB175_1357
.LBB175_1338:
	s_mov_b32 s14, -1
	s_mov_b32 s11, 0
	s_mov_b32 s0, 0
                                        ; implicit-def: $vgpr3
                                        ; implicit-def: $vgpr1
	s_branch .LBB175_1351
.LBB175_1339:
	s_or_b32 s2, s8, exec_lo
	s_trap 2
	s_cbranch_execz .LBB175_1274
	s_branch .LBB175_1275
.LBB175_1340:
	s_mov_b32 s14, -1
	s_mov_b32 s11, 0
	s_mov_b32 s0, 0
	s_branch .LBB175_1344
.LBB175_1341:
	s_and_not1_saveexec_b32 s10, s10
	s_cbranch_execz .LBB175_1057
.LBB175_1342:
	v_add_f32_e32 v2, 0x42800000, v3
	s_and_not1_b32 s9, s9, exec_lo
	s_delay_alu instid0(VALU_DEP_1) | instskip(NEXT) | instid1(VALU_DEP_1)
	v_and_b32_e32 v2, 0xff, v2
	v_cmp_ne_u32_e32 vcc_lo, 0, v2
	s_and_b32 s11, vcc_lo, exec_lo
	s_delay_alu instid0(SALU_CYCLE_1)
	s_or_b32 s9, s9, s11
	s_or_b32 exec_lo, exec_lo, s10
	v_mov_b32_e32 v4, 0
	s_and_saveexec_b32 s10, s9
	s_cbranch_execnz .LBB175_1058
	s_branch .LBB175_1059
.LBB175_1343:
	s_mov_b32 s0, -1
	s_mov_b32 s11, 0
.LBB175_1344:
                                        ; implicit-def: $vgpr3
                                        ; implicit-def: $vgpr1
.LBB175_1345:
	s_and_b32 vcc_lo, exec_lo, s14
	s_cbranch_vccz .LBB175_1350
; %bb.1346:
	s_cmp_eq_u32 s13, 44
	s_cbranch_scc0 .LBB175_1348
; %bb.1347:
	global_load_u8 v1, v[12:13], off
	s_mov_b32 s0, 0
	s_mov_b32 s11, -1
	s_wait_loadcnt 0x0
	v_lshlrev_b32_e32 v3, 23, v1
	v_cmp_ne_u32_e32 vcc_lo, 0xff, v1
	s_delay_alu instid0(VALU_DEP_2) | instskip(SKIP_1) | instid1(VALU_DEP_2)
	v_cndmask_b32_e32 v3, 0x7f800001, v3, vcc_lo
	v_cmp_ne_u32_e32 vcc_lo, 0, v1
	v_cndmask_b32_e32 v1, 0x400000, v3, vcc_lo
	s_delay_alu instid0(VALU_DEP_1) | instskip(SKIP_1) | instid1(VALU_DEP_2)
	v_add_nc_u32_e32 v3, 0x7fff, v1
	v_cmp_o_f32_e32 vcc_lo, v1, v1
	v_lshrrev_b32_e32 v3, 16, v3
	s_delay_alu instid0(VALU_DEP_1)
	v_cndmask_b32_e32 v1, 0x7fc0, v3, vcc_lo
	s_branch .LBB175_1349
.LBB175_1348:
	s_mov_b32 s0, -1
                                        ; implicit-def: $vgpr1
.LBB175_1349:
	v_mov_b32_e32 v3, 0
.LBB175_1350:
	s_mov_b32 s14, 0
.LBB175_1351:
	s_delay_alu instid0(SALU_CYCLE_1)
	s_and_b32 vcc_lo, exec_lo, s14
	s_cbranch_vccz .LBB175_1356
; %bb.1352:
	s_cmp_eq_u32 s13, 29
	s_cbranch_scc0 .LBB175_1354
; %bb.1353:
	global_load_b64 v[14:15], v[12:13], off
	s_mov_b32 s0, 0
	s_mov_b32 s11, -1
	s_wait_loadcnt 0x0
	v_clz_i32_u32_e32 v1, v15
	s_delay_alu instid0(VALU_DEP_1) | instskip(NEXT) | instid1(VALU_DEP_1)
	v_min_u32_e32 v1, 32, v1
	v_lshlrev_b64_e32 v[14:15], v1, v[14:15]
	v_sub_nc_u32_e32 v1, 32, v1
	s_delay_alu instid0(VALU_DEP_2) | instskip(NEXT) | instid1(VALU_DEP_1)
	v_min_u32_e32 v3, 1, v14
	v_or_b32_e32 v3, v15, v3
	s_delay_alu instid0(VALU_DEP_1) | instskip(NEXT) | instid1(VALU_DEP_1)
	v_cvt_f32_u32_e32 v3, v3
	v_ldexp_f32 v1, v3, v1
	s_delay_alu instid0(VALU_DEP_1) | instskip(NEXT) | instid1(VALU_DEP_1)
	v_bfe_u32 v3, v1, 16, 1
	v_add3_u32 v1, v1, v3, 0x7fff
	s_delay_alu instid0(VALU_DEP_1)
	v_lshrrev_b32_e32 v1, 16, v1
	s_branch .LBB175_1355
.LBB175_1354:
	s_mov_b32 s0, -1
                                        ; implicit-def: $vgpr1
.LBB175_1355:
	v_mov_b32_e32 v3, 0
.LBB175_1356:
	s_mov_b32 s14, 0
.LBB175_1357:
	s_delay_alu instid0(SALU_CYCLE_1)
	s_and_b32 vcc_lo, exec_lo, s14
	s_cbranch_vccz .LBB175_1375
; %bb.1358:
	s_cmp_lt_i32 s13, 27
	s_cbranch_scc1 .LBB175_1361
; %bb.1359:
	s_cmp_gt_i32 s13, 27
	s_cbranch_scc0 .LBB175_1362
; %bb.1360:
	global_load_b32 v1, v[12:13], off
	s_mov_b32 s11, 0
	s_wait_loadcnt 0x0
	v_cvt_f32_u32_e32 v1, v1
	s_delay_alu instid0(VALU_DEP_1) | instskip(NEXT) | instid1(VALU_DEP_1)
	v_bfe_u32 v3, v1, 16, 1
	v_add3_u32 v1, v1, v3, 0x7fff
	s_delay_alu instid0(VALU_DEP_1)
	v_lshrrev_b32_e32 v1, 16, v1
	s_branch .LBB175_1363
.LBB175_1361:
	s_mov_b32 s11, -1
                                        ; implicit-def: $vgpr1
	s_branch .LBB175_1366
.LBB175_1362:
	s_mov_b32 s11, -1
                                        ; implicit-def: $vgpr1
.LBB175_1363:
	s_delay_alu instid0(SALU_CYCLE_1)
	s_and_not1_b32 vcc_lo, exec_lo, s11
	s_cbranch_vccnz .LBB175_1365
; %bb.1364:
	global_load_u16 v1, v[12:13], off
	s_wait_loadcnt 0x0
	v_cvt_f32_u32_e32 v1, v1
	s_delay_alu instid0(VALU_DEP_1) | instskip(NEXT) | instid1(VALU_DEP_1)
	v_bfe_u32 v3, v1, 16, 1
	v_add3_u32 v1, v1, v3, 0x7fff
	s_delay_alu instid0(VALU_DEP_1)
	v_lshrrev_b32_e32 v1, 16, v1
.LBB175_1365:
	s_mov_b32 s11, 0
.LBB175_1366:
	s_delay_alu instid0(SALU_CYCLE_1)
	s_and_not1_b32 vcc_lo, exec_lo, s11
	s_cbranch_vccnz .LBB175_1374
; %bb.1367:
	global_load_u8 v1, v[12:13], off
	s_mov_b32 s11, 0
	s_mov_b32 s14, exec_lo
	s_wait_loadcnt 0x0
	v_cmpx_lt_i16_e32 0x7f, v1
	s_xor_b32 s14, exec_lo, s14
	s_cbranch_execz .LBB175_1387
; %bb.1368:
	s_mov_b32 s11, -1
	s_mov_b32 s15, exec_lo
	v_cmpx_eq_u16_e32 0x80, v1
; %bb.1369:
	s_xor_b32 s11, exec_lo, -1
; %bb.1370:
	s_or_b32 exec_lo, exec_lo, s15
	s_delay_alu instid0(SALU_CYCLE_1)
	s_and_b32 s11, s11, exec_lo
	s_or_saveexec_b32 s14, s14
	v_mov_b32_e32 v3, 0x7f800001
	s_xor_b32 exec_lo, exec_lo, s14
	s_cbranch_execnz .LBB175_1388
.LBB175_1371:
	s_or_b32 exec_lo, exec_lo, s14
	s_and_saveexec_b32 s14, s11
	s_cbranch_execz .LBB175_1373
.LBB175_1372:
	v_and_b32_e32 v3, 0xffff, v1
	s_delay_alu instid0(VALU_DEP_1) | instskip(SKIP_1) | instid1(VALU_DEP_2)
	v_dual_lshlrev_b32 v1, 24, v1 :: v_dual_bitop2_b32 v5, 7, v3 bitop3:0x40
	v_bfe_u32 v11, v3, 3, 4
	v_and_b32_e32 v1, 0x80000000, v1
	s_delay_alu instid0(VALU_DEP_3) | instskip(NEXT) | instid1(VALU_DEP_3)
	v_clz_i32_u32_e32 v7, v5
	v_cmp_eq_u32_e32 vcc_lo, 0, v11
	s_delay_alu instid0(VALU_DEP_2) | instskip(NEXT) | instid1(VALU_DEP_1)
	v_min_u32_e32 v7, 32, v7
	v_subrev_nc_u32_e32 v9, 28, v7
	v_sub_nc_u32_e32 v7, 29, v7
	s_delay_alu instid0(VALU_DEP_2) | instskip(NEXT) | instid1(VALU_DEP_2)
	v_lshlrev_b32_e32 v3, v9, v3
	v_cndmask_b32_e32 v7, v11, v7, vcc_lo
	s_delay_alu instid0(VALU_DEP_2) | instskip(NEXT) | instid1(VALU_DEP_1)
	v_and_b32_e32 v3, 7, v3
	v_cndmask_b32_e32 v3, v5, v3, vcc_lo
	s_delay_alu instid0(VALU_DEP_3) | instskip(NEXT) | instid1(VALU_DEP_2)
	v_lshl_add_u32 v5, v7, 23, 0x3b800000
	v_lshlrev_b32_e32 v3, 20, v3
	s_delay_alu instid0(VALU_DEP_1)
	v_or3_b32 v3, v1, v5, v3
.LBB175_1373:
	s_or_b32 exec_lo, exec_lo, s14
	s_delay_alu instid0(VALU_DEP_1) | instskip(SKIP_1) | instid1(VALU_DEP_2)
	v_bfe_u32 v1, v3, 16, 1
	v_cmp_o_f32_e32 vcc_lo, v3, v3
	v_add3_u32 v1, v3, v1, 0x7fff
	s_delay_alu instid0(VALU_DEP_1) | instskip(NEXT) | instid1(VALU_DEP_1)
	v_lshrrev_b32_e32 v1, 16, v1
	v_cndmask_b32_e32 v1, 0x7fc0, v1, vcc_lo
.LBB175_1374:
	v_mov_b32_e32 v3, 0
	s_mov_b32 s11, -1
.LBB175_1375:
	s_branch .LBB175_1409
.LBB175_1376:
	s_cmp_gt_i32 s13, 22
	s_cbranch_scc0 .LBB175_1386
; %bb.1377:
	s_cmp_lt_i32 s13, 24
	s_cbranch_scc1 .LBB175_1389
; %bb.1378:
	s_cmp_gt_i32 s13, 24
	s_cbranch_scc0 .LBB175_1390
; %bb.1379:
	global_load_u8 v1, v[12:13], off
	s_mov_b32 s11, exec_lo
	s_wait_loadcnt 0x0
	v_cmpx_lt_i16_e32 0x7f, v1
	s_xor_b32 s11, exec_lo, s11
	s_cbranch_execz .LBB175_1402
; %bb.1380:
	s_mov_b32 s10, -1
	s_mov_b32 s14, exec_lo
	v_cmpx_eq_u16_e32 0x80, v1
; %bb.1381:
	s_xor_b32 s10, exec_lo, -1
; %bb.1382:
	s_or_b32 exec_lo, exec_lo, s14
	s_delay_alu instid0(SALU_CYCLE_1)
	s_and_b32 s10, s10, exec_lo
	s_or_saveexec_b32 s11, s11
	v_mov_b32_e32 v3, 0x7f800001
	s_xor_b32 exec_lo, exec_lo, s11
	s_cbranch_execnz .LBB175_1403
.LBB175_1383:
	s_or_b32 exec_lo, exec_lo, s11
	s_and_saveexec_b32 s11, s10
	s_cbranch_execz .LBB175_1385
.LBB175_1384:
	v_and_b32_e32 v3, 0xffff, v1
	s_delay_alu instid0(VALU_DEP_1) | instskip(SKIP_1) | instid1(VALU_DEP_2)
	v_dual_lshlrev_b32 v1, 24, v1 :: v_dual_bitop2_b32 v5, 3, v3 bitop3:0x40
	v_bfe_u32 v11, v3, 2, 5
	v_and_b32_e32 v1, 0x80000000, v1
	s_delay_alu instid0(VALU_DEP_3) | instskip(NEXT) | instid1(VALU_DEP_3)
	v_clz_i32_u32_e32 v7, v5
	v_cmp_eq_u32_e32 vcc_lo, 0, v11
	s_delay_alu instid0(VALU_DEP_2) | instskip(NEXT) | instid1(VALU_DEP_1)
	v_min_u32_e32 v7, 32, v7
	v_subrev_nc_u32_e32 v9, 29, v7
	v_sub_nc_u32_e32 v7, 30, v7
	s_delay_alu instid0(VALU_DEP_2) | instskip(NEXT) | instid1(VALU_DEP_2)
	v_lshlrev_b32_e32 v3, v9, v3
	v_cndmask_b32_e32 v7, v11, v7, vcc_lo
	s_delay_alu instid0(VALU_DEP_2) | instskip(NEXT) | instid1(VALU_DEP_1)
	v_and_b32_e32 v3, 3, v3
	v_cndmask_b32_e32 v3, v5, v3, vcc_lo
	s_delay_alu instid0(VALU_DEP_3) | instskip(NEXT) | instid1(VALU_DEP_2)
	v_lshl_add_u32 v5, v7, 23, 0x37800000
	v_lshlrev_b32_e32 v3, 21, v3
	s_delay_alu instid0(VALU_DEP_1)
	v_or3_b32 v3, v1, v5, v3
.LBB175_1385:
	s_or_b32 exec_lo, exec_lo, s11
	s_delay_alu instid0(VALU_DEP_1) | instskip(SKIP_2) | instid1(VALU_DEP_2)
	v_bfe_u32 v1, v3, 16, 1
	v_cmp_o_f32_e32 vcc_lo, v3, v3
	s_mov_b32 s10, 0
	v_add3_u32 v1, v3, v1, 0x7fff
	s_delay_alu instid0(VALU_DEP_1) | instskip(NEXT) | instid1(VALU_DEP_1)
	v_lshrrev_b32_e32 v1, 16, v1
	v_cndmask_b32_e32 v1, 0x7fc0, v1, vcc_lo
	s_branch .LBB175_1391
.LBB175_1386:
	s_mov_b32 s10, -1
                                        ; implicit-def: $vgpr1
	s_branch .LBB175_1397
.LBB175_1387:
	s_or_saveexec_b32 s14, s14
	v_mov_b32_e32 v3, 0x7f800001
	s_xor_b32 exec_lo, exec_lo, s14
	s_cbranch_execz .LBB175_1371
.LBB175_1388:
	v_cmp_ne_u16_e32 vcc_lo, 0, v1
	v_mov_b32_e32 v3, 0
	s_and_not1_b32 s11, s11, exec_lo
	s_and_b32 s15, vcc_lo, exec_lo
	s_delay_alu instid0(SALU_CYCLE_1)
	s_or_b32 s11, s11, s15
	s_or_b32 exec_lo, exec_lo, s14
	s_and_saveexec_b32 s14, s11
	s_cbranch_execnz .LBB175_1372
	s_branch .LBB175_1373
.LBB175_1389:
	s_mov_b32 s10, -1
                                        ; implicit-def: $vgpr1
	s_branch .LBB175_1394
.LBB175_1390:
	s_mov_b32 s10, -1
                                        ; implicit-def: $vgpr1
.LBB175_1391:
	s_delay_alu instid0(SALU_CYCLE_1)
	s_and_b32 vcc_lo, exec_lo, s10
	s_cbranch_vccz .LBB175_1393
; %bb.1392:
	global_load_u8 v1, v[12:13], off
	s_wait_loadcnt 0x0
	v_lshlrev_b32_e32 v1, 24, v1
	s_delay_alu instid0(VALU_DEP_1) | instskip(NEXT) | instid1(VALU_DEP_1)
	v_and_b32_e32 v3, 0x7f000000, v1
	v_clz_i32_u32_e32 v5, v3
	v_add_nc_u32_e32 v9, 0x1000000, v3
	v_cmp_ne_u32_e32 vcc_lo, 0, v3
	s_delay_alu instid0(VALU_DEP_3) | instskip(NEXT) | instid1(VALU_DEP_1)
	v_min_u32_e32 v5, 32, v5
	v_sub_nc_u32_e64 v5, v5, 4 clamp
	s_delay_alu instid0(VALU_DEP_1) | instskip(NEXT) | instid1(VALU_DEP_1)
	v_dual_lshlrev_b32 v7, v5, v3 :: v_dual_lshlrev_b32 v5, 23, v5
	v_lshrrev_b32_e32 v7, 4, v7
	s_delay_alu instid0(VALU_DEP_1) | instskip(SKIP_1) | instid1(VALU_DEP_2)
	v_sub_nc_u32_e32 v5, v7, v5
	v_ashrrev_i32_e32 v7, 8, v9
	v_add_nc_u32_e32 v5, 0x3c000000, v5
	s_delay_alu instid0(VALU_DEP_1) | instskip(NEXT) | instid1(VALU_DEP_1)
	v_and_or_b32 v5, 0x7f800000, v7, v5
	v_cndmask_b32_e32 v3, 0, v5, vcc_lo
	s_delay_alu instid0(VALU_DEP_1) | instskip(SKIP_1) | instid1(VALU_DEP_2)
	v_and_or_b32 v1, 0x80000000, v1, v3
	v_bfe_u32 v3, v3, 16, 1
	v_cmp_o_f32_e32 vcc_lo, v1, v1
	s_delay_alu instid0(VALU_DEP_2) | instskip(NEXT) | instid1(VALU_DEP_1)
	v_add3_u32 v3, v1, v3, 0x7fff
	v_lshrrev_b32_e32 v3, 16, v3
	s_delay_alu instid0(VALU_DEP_1)
	v_cndmask_b32_e32 v1, 0x7fc0, v3, vcc_lo
.LBB175_1393:
	s_mov_b32 s10, 0
.LBB175_1394:
	s_delay_alu instid0(SALU_CYCLE_1)
	s_and_not1_b32 vcc_lo, exec_lo, s10
	s_cbranch_vccnz .LBB175_1396
; %bb.1395:
	global_load_u8 v1, v[12:13], off
	s_wait_loadcnt 0x0
	v_lshlrev_b32_e32 v3, 25, v1
	v_lshlrev_b16 v1, 8, v1
	s_delay_alu instid0(VALU_DEP_1) | instskip(SKIP_1) | instid1(VALU_DEP_2)
	v_and_or_b32 v7, 0x7f00, v1, 0.5
	v_bfe_i32 v1, v1, 0, 16
	v_add_f32_e32 v7, -0.5, v7
	v_lshrrev_b32_e32 v5, 4, v3
	v_cmp_gt_u32_e32 vcc_lo, 0x8000000, v3
	s_delay_alu instid0(VALU_DEP_2) | instskip(NEXT) | instid1(VALU_DEP_1)
	v_or_b32_e32 v5, 0x70000000, v5
	v_mul_f32_e32 v5, 0x7800000, v5
	s_delay_alu instid0(VALU_DEP_1) | instskip(NEXT) | instid1(VALU_DEP_1)
	v_cndmask_b32_e32 v3, v5, v7, vcc_lo
	v_and_or_b32 v1, 0x80000000, v1, v3
	v_bfe_u32 v3, v3, 16, 1
	s_delay_alu instid0(VALU_DEP_2) | instskip(NEXT) | instid1(VALU_DEP_2)
	v_cmp_o_f32_e32 vcc_lo, v1, v1
	v_add3_u32 v3, v1, v3, 0x7fff
	s_delay_alu instid0(VALU_DEP_1) | instskip(NEXT) | instid1(VALU_DEP_1)
	v_lshrrev_b32_e32 v3, 16, v3
	v_cndmask_b32_e32 v1, 0x7fc0, v3, vcc_lo
.LBB175_1396:
	s_mov_b32 s10, 0
	s_mov_b32 s11, -1
.LBB175_1397:
	s_and_not1_b32 vcc_lo, exec_lo, s10
	s_mov_b32 s10, 0
	s_cbranch_vccnz .LBB175_1408
; %bb.1398:
	s_cmp_gt_i32 s13, 14
	s_cbranch_scc0 .LBB175_1401
; %bb.1399:
	s_cmp_eq_u32 s13, 15
	s_cbranch_scc0 .LBB175_1404
; %bb.1400:
	global_load_u16 v1, v[12:13], off
	s_mov_b32 s0, 0
	s_mov_b32 s11, -1
	s_branch .LBB175_1406
.LBB175_1401:
	s_mov_b32 s10, -1
	s_branch .LBB175_1405
.LBB175_1402:
	s_or_saveexec_b32 s11, s11
	v_mov_b32_e32 v3, 0x7f800001
	s_xor_b32 exec_lo, exec_lo, s11
	s_cbranch_execz .LBB175_1383
.LBB175_1403:
	v_cmp_ne_u16_e32 vcc_lo, 0, v1
	v_mov_b32_e32 v3, 0
	s_and_not1_b32 s10, s10, exec_lo
	s_and_b32 s14, vcc_lo, exec_lo
	s_delay_alu instid0(SALU_CYCLE_1)
	s_or_b32 s10, s10, s14
	s_or_b32 exec_lo, exec_lo, s11
	s_and_saveexec_b32 s11, s10
	s_cbranch_execnz .LBB175_1384
	s_branch .LBB175_1385
.LBB175_1404:
	s_mov_b32 s0, -1
.LBB175_1405:
                                        ; implicit-def: $vgpr1
.LBB175_1406:
	s_and_b32 vcc_lo, exec_lo, s10
	s_mov_b32 s10, 0
	s_cbranch_vccz .LBB175_1408
; %bb.1407:
	s_cmp_lg_u32 s13, 11
	s_mov_b32 s10, -1
	s_cselect_b32 s0, -1, 0
.LBB175_1408:
	v_mov_b32_e32 v3, 0
.LBB175_1409:
	s_and_b32 vcc_lo, exec_lo, s0
	s_cbranch_vccnz .LBB175_1490
; %bb.1410:
	s_and_not1_b32 vcc_lo, exec_lo, s10
	s_cbranch_vccnz .LBB175_1412
.LBB175_1411:
	s_wait_loadcnt 0x0
	global_load_u8 v1, v[12:13], off
	s_mov_b32 s11, -1
	v_mov_b32_e32 v3, 0
	s_wait_loadcnt 0x0
	v_cmp_ne_u16_e32 vcc_lo, 0, v1
	v_cndmask_b32_e64 v1, 0, 1.0, vcc_lo
	s_delay_alu instid0(VALU_DEP_1)
	v_lshrrev_b32_e32 v1, 16, v1
.LBB175_1412:
	s_branch .LBB175_1334
.LBB175_1413:
	s_cmp_lt_i32 s13, 5
	s_cbranch_scc1 .LBB175_1418
; %bb.1414:
	s_cmp_lt_i32 s13, 8
	s_cbranch_scc1 .LBB175_1420
; %bb.1415:
	;; [unrolled: 3-line block ×3, first 2 shown]
	s_cmp_gt_i32 s13, 9
	s_cbranch_scc0 .LBB175_1422
; %bb.1417:
	global_load_b128 v[14:17], v[12:13], off
	s_mov_b32 s0, 0
	s_wait_loadcnt 0x0
	v_cvt_f32_f64_e32 v1, v[14:15]
	v_cvt_f32_f64_e32 v3, v[16:17]
	s_delay_alu instid0(VALU_DEP_2) | instskip(NEXT) | instid1(VALU_DEP_2)
	v_bfe_u32 v5, v1, 16, 1
	v_bfe_u32 v7, v3, 16, 1
	v_cmp_o_f32_e32 vcc_lo, v1, v1
	s_delay_alu instid0(VALU_DEP_3) | instskip(NEXT) | instid1(VALU_DEP_3)
	v_add3_u32 v5, v1, v5, 0x7fff
	v_add3_u32 v7, v3, v7, 0x7fff
	s_delay_alu instid0(VALU_DEP_2) | instskip(NEXT) | instid1(VALU_DEP_2)
	v_lshrrev_b32_e32 v5, 16, v5
	v_and_b32_e32 v7, 0xffff0000, v7
	s_delay_alu instid0(VALU_DEP_2) | instskip(SKIP_1) | instid1(VALU_DEP_3)
	v_cndmask_b32_e32 v1, 0x7fc0, v5, vcc_lo
	v_cmp_o_f32_e32 vcc_lo, v3, v3
	v_cndmask_b32_e32 v3, 0x7fc00000, v7, vcc_lo
	s_branch .LBB175_1423
.LBB175_1418:
                                        ; implicit-def: $vgpr3
                                        ; implicit-def: $vgpr1
	s_branch .LBB175_1442
.LBB175_1419:
	s_branch .LBB175_1462
.LBB175_1420:
	s_mov_b32 s0, -1
                                        ; implicit-def: $vgpr3
                                        ; implicit-def: $vgpr1
	s_branch .LBB175_1429
.LBB175_1421:
	s_mov_b32 s0, -1
                                        ; implicit-def: $vgpr3
                                        ; implicit-def: $vgpr1
	s_branch .LBB175_1426
.LBB175_1422:
	s_mov_b32 s0, -1
                                        ; implicit-def: $vgpr3
                                        ; implicit-def: $vgpr1
.LBB175_1423:
	s_delay_alu instid0(SALU_CYCLE_1)
	s_and_not1_b32 vcc_lo, exec_lo, s0
	s_cbranch_vccnz .LBB175_1425
; %bb.1424:
	global_load_b64 v[14:15], v[12:13], off
	s_wait_loadcnt 0x0
	v_bfe_u32 v1, v14, 16, 1
	v_bfe_u32 v3, v15, 16, 1
	v_cmp_o_f32_e32 vcc_lo, v14, v14
	s_delay_alu instid0(VALU_DEP_3) | instskip(NEXT) | instid1(VALU_DEP_3)
	v_add3_u32 v1, v14, v1, 0x7fff
	v_add3_u32 v3, v15, v3, 0x7fff
	s_delay_alu instid0(VALU_DEP_2) | instskip(NEXT) | instid1(VALU_DEP_2)
	v_lshrrev_b32_e32 v1, 16, v1
	v_and_b32_e32 v3, 0xffff0000, v3
	s_delay_alu instid0(VALU_DEP_2) | instskip(SKIP_1) | instid1(VALU_DEP_3)
	v_cndmask_b32_e32 v1, 0x7fc0, v1, vcc_lo
	v_cmp_o_f32_e32 vcc_lo, v15, v15
	v_cndmask_b32_e32 v3, 0x7fc00000, v3, vcc_lo
.LBB175_1425:
	s_mov_b32 s0, 0
.LBB175_1426:
	s_delay_alu instid0(SALU_CYCLE_1)
	s_and_not1_b32 vcc_lo, exec_lo, s0
	s_cbranch_vccnz .LBB175_1428
; %bb.1427:
	s_wait_loadcnt 0x0
	global_load_b32 v1, v[12:13], off
	s_wait_loadcnt 0x0
	v_lshrrev_b32_e32 v3, 16, v1
	v_cvt_f32_f16_e32 v5, v1
	v_cmp_o_f16_e32 vcc_lo, v1, v1
	s_delay_alu instid0(VALU_DEP_3) | instskip(NEXT) | instid1(VALU_DEP_3)
	v_cvt_f32_f16_e32 v7, v3
	v_bfe_u32 v9, v5, 16, 1
	s_delay_alu instid0(VALU_DEP_2) | instskip(NEXT) | instid1(VALU_DEP_2)
	v_bfe_u32 v11, v7, 16, 1
	v_add3_u32 v5, v5, v9, 0x7fff
	s_delay_alu instid0(VALU_DEP_2) | instskip(NEXT) | instid1(VALU_DEP_2)
	v_add3_u32 v7, v7, v11, 0x7fff
	v_lshrrev_b32_e32 v5, 16, v5
	s_delay_alu instid0(VALU_DEP_2) | instskip(NEXT) | instid1(VALU_DEP_2)
	v_and_b32_e32 v7, 0xffff0000, v7
	v_cndmask_b32_e32 v1, 0x7fc0, v5, vcc_lo
	v_cmp_o_f16_e32 vcc_lo, v3, v3
	s_delay_alu instid0(VALU_DEP_3)
	v_cndmask_b32_e32 v3, 0x7fc00000, v7, vcc_lo
.LBB175_1428:
	s_mov_b32 s0, 0
.LBB175_1429:
	s_delay_alu instid0(SALU_CYCLE_1)
	s_and_not1_b32 vcc_lo, exec_lo, s0
	s_cbranch_vccnz .LBB175_1441
; %bb.1430:
	s_cmp_lt_i32 s13, 6
	s_cbranch_scc1 .LBB175_1433
; %bb.1431:
	s_cmp_gt_i32 s13, 6
	s_cbranch_scc0 .LBB175_1434
; %bb.1432:
	global_load_b64 v[14:15], v[12:13], off
	s_mov_b32 s0, 0
	s_wait_loadcnt 0x0
	v_cvt_f32_f64_e32 v1, v[14:15]
	s_delay_alu instid0(VALU_DEP_1) | instskip(SKIP_1) | instid1(VALU_DEP_2)
	v_bfe_u32 v3, v1, 16, 1
	v_cmp_o_f32_e32 vcc_lo, v1, v1
	v_add3_u32 v3, v1, v3, 0x7fff
	s_delay_alu instid0(VALU_DEP_1) | instskip(NEXT) | instid1(VALU_DEP_1)
	v_lshrrev_b32_e32 v3, 16, v3
	v_cndmask_b32_e32 v1, 0x7fc0, v3, vcc_lo
	s_branch .LBB175_1435
.LBB175_1433:
	s_mov_b32 s0, -1
                                        ; implicit-def: $vgpr1
	s_branch .LBB175_1438
.LBB175_1434:
	s_mov_b32 s0, -1
                                        ; implicit-def: $vgpr1
.LBB175_1435:
	s_delay_alu instid0(SALU_CYCLE_1)
	s_and_not1_b32 vcc_lo, exec_lo, s0
	s_cbranch_vccnz .LBB175_1437
; %bb.1436:
	s_wait_loadcnt 0x0
	global_load_b32 v1, v[12:13], off
	s_wait_loadcnt 0x0
	v_bfe_u32 v3, v1, 16, 1
	v_cmp_o_f32_e32 vcc_lo, v1, v1
	s_delay_alu instid0(VALU_DEP_2) | instskip(NEXT) | instid1(VALU_DEP_1)
	v_add3_u32 v3, v1, v3, 0x7fff
	v_lshrrev_b32_e32 v3, 16, v3
	s_delay_alu instid0(VALU_DEP_1)
	v_cndmask_b32_e32 v1, 0x7fc0, v3, vcc_lo
.LBB175_1437:
	s_mov_b32 s0, 0
.LBB175_1438:
	s_delay_alu instid0(SALU_CYCLE_1)
	s_and_not1_b32 vcc_lo, exec_lo, s0
	s_cbranch_vccnz .LBB175_1440
; %bb.1439:
	s_wait_loadcnt 0x0
	global_load_u16 v1, v[12:13], off
	s_wait_loadcnt 0x0
	v_cvt_f32_f16_e32 v3, v1
	v_cmp_o_f16_e32 vcc_lo, v1, v1
	s_delay_alu instid0(VALU_DEP_2) | instskip(NEXT) | instid1(VALU_DEP_1)
	v_bfe_u32 v5, v3, 16, 1
	v_add3_u32 v3, v3, v5, 0x7fff
	s_delay_alu instid0(VALU_DEP_1) | instskip(NEXT) | instid1(VALU_DEP_1)
	v_lshrrev_b32_e32 v3, 16, v3
	v_cndmask_b32_e32 v1, 0x7fc0, v3, vcc_lo
.LBB175_1440:
	v_mov_b32_e32 v3, 0
.LBB175_1441:
	s_cbranch_execnz .LBB175_1419
.LBB175_1442:
	s_cmp_lt_i32 s13, 2
	s_cbranch_scc1 .LBB175_1446
; %bb.1443:
	s_cmp_lt_i32 s13, 3
	s_cbranch_scc1 .LBB175_1447
; %bb.1444:
	s_cmp_gt_i32 s13, 3
	s_cbranch_scc0 .LBB175_1448
; %bb.1445:
	global_load_b64 v[14:15], v[12:13], off
	s_mov_b32 s0, 0
	s_wait_loadcnt 0x0
	v_xor_b32_e32 v1, v14, v15
	v_cls_i32_e32 v3, v15
	s_delay_alu instid0(VALU_DEP_2) | instskip(NEXT) | instid1(VALU_DEP_1)
	v_ashrrev_i32_e32 v1, 31, v1
	v_add_nc_u32_e32 v1, 32, v1
	s_delay_alu instid0(VALU_DEP_1) | instskip(NEXT) | instid1(VALU_DEP_1)
	v_add_min_u32_e64 v1, v3, -1, v1
	v_lshlrev_b64_e32 v[14:15], v1, v[14:15]
	v_sub_nc_u32_e32 v1, 32, v1
	s_delay_alu instid0(VALU_DEP_2) | instskip(NEXT) | instid1(VALU_DEP_1)
	v_min_u32_e32 v3, 1, v14
	v_or_b32_e32 v3, v15, v3
	s_delay_alu instid0(VALU_DEP_1) | instskip(NEXT) | instid1(VALU_DEP_1)
	v_cvt_f32_i32_e32 v3, v3
	v_ldexp_f32 v1, v3, v1
	s_delay_alu instid0(VALU_DEP_1) | instskip(NEXT) | instid1(VALU_DEP_1)
	v_bfe_u32 v3, v1, 16, 1
	v_add3_u32 v1, v1, v3, 0x7fff
	s_delay_alu instid0(VALU_DEP_1)
	v_lshrrev_b32_e32 v1, 16, v1
	s_branch .LBB175_1449
.LBB175_1446:
	s_mov_b32 s0, -1
                                        ; implicit-def: $vgpr1
	s_branch .LBB175_1455
.LBB175_1447:
	s_mov_b32 s0, -1
                                        ; implicit-def: $vgpr1
	s_branch .LBB175_1452
.LBB175_1448:
	s_mov_b32 s0, -1
                                        ; implicit-def: $vgpr1
.LBB175_1449:
	s_delay_alu instid0(SALU_CYCLE_1)
	s_and_not1_b32 vcc_lo, exec_lo, s0
	s_cbranch_vccnz .LBB175_1451
; %bb.1450:
	s_wait_loadcnt 0x0
	global_load_b32 v1, v[12:13], off
	s_wait_loadcnt 0x0
	v_cvt_f32_i32_e32 v1, v1
	s_delay_alu instid0(VALU_DEP_1) | instskip(NEXT) | instid1(VALU_DEP_1)
	v_bfe_u32 v3, v1, 16, 1
	v_add3_u32 v1, v1, v3, 0x7fff
	s_delay_alu instid0(VALU_DEP_1)
	v_lshrrev_b32_e32 v1, 16, v1
.LBB175_1451:
	s_mov_b32 s0, 0
.LBB175_1452:
	s_delay_alu instid0(SALU_CYCLE_1)
	s_and_not1_b32 vcc_lo, exec_lo, s0
	s_cbranch_vccnz .LBB175_1454
; %bb.1453:
	s_wait_loadcnt 0x0
	global_load_i16 v1, v[12:13], off
	s_wait_loadcnt 0x0
	v_cvt_f32_i32_e32 v1, v1
	s_delay_alu instid0(VALU_DEP_1) | instskip(NEXT) | instid1(VALU_DEP_1)
	v_bfe_u32 v3, v1, 16, 1
	v_add3_u32 v1, v1, v3, 0x7fff
	s_delay_alu instid0(VALU_DEP_1)
	v_lshrrev_b32_e32 v1, 16, v1
.LBB175_1454:
	s_mov_b32 s0, 0
.LBB175_1455:
	s_delay_alu instid0(SALU_CYCLE_1)
	s_and_not1_b32 vcc_lo, exec_lo, s0
	s_cbranch_vccnz .LBB175_1461
; %bb.1456:
	s_cmp_gt_i32 s13, 0
	s_mov_b32 s0, 0
	s_cbranch_scc0 .LBB175_1458
; %bb.1457:
	s_wait_loadcnt 0x0
	global_load_i8 v1, v[12:13], off
	s_wait_loadcnt 0x0
	v_cvt_f32_i32_e32 v1, v1
	s_delay_alu instid0(VALU_DEP_1) | instskip(NEXT) | instid1(VALU_DEP_1)
	v_bfe_u32 v3, v1, 16, 1
	v_add3_u32 v1, v1, v3, 0x7fff
	s_delay_alu instid0(VALU_DEP_1)
	v_lshrrev_b32_e32 v1, 16, v1
	s_branch .LBB175_1459
.LBB175_1458:
	s_mov_b32 s0, -1
                                        ; implicit-def: $vgpr1
.LBB175_1459:
	s_delay_alu instid0(SALU_CYCLE_1)
	s_and_not1_b32 vcc_lo, exec_lo, s0
	s_cbranch_vccnz .LBB175_1461
; %bb.1460:
	s_wait_loadcnt 0x0
	global_load_u8 v1, v[12:13], off
	s_wait_loadcnt 0x0
	v_cvt_f32_ubyte0_e32 v1, v1
	s_delay_alu instid0(VALU_DEP_1) | instskip(NEXT) | instid1(VALU_DEP_1)
	v_bfe_u32 v3, v1, 16, 1
	v_add3_u32 v1, v1, v3, 0x7fff
	s_delay_alu instid0(VALU_DEP_1)
	v_lshrrev_b32_e32 v1, 16, v1
.LBB175_1461:
	v_mov_b32_e32 v3, 0
.LBB175_1462:
	s_wait_loadcnt 0x0
	s_delay_alu instid0(VALU_DEP_2) | instskip(SKIP_1) | instid1(VALU_DEP_1)
	v_and_b32_e32 v1, 0xffff, v1
	s_and_b32 vcc_lo, exec_lo, s12
	v_or_b32_e32 v1, v3, v1
	v_and_b32_e32 v3, 0xffff0000, v3
	s_delay_alu instid0(VALU_DEP_2)
	v_lshlrev_b32_e32 v1, 16, v1
	s_cbranch_vccz .LBB175_1474
; %bb.1463:
	v_and_b32_e64 v5, 0xffff0000, s1
	s_lshl_b32 s0, s1, 16
	s_delay_alu instid0(VALU_DEP_2) | instid1(SALU_CYCLE_1)
	v_cmp_neq_f32_e32 vcc_lo, s0, v1
	s_delay_alu instid0(VALU_DEP_2)
	v_cmp_neq_f32_e64 s0, v5, v3
	s_or_b32 s10, vcc_lo, s0
	s_cbranch_execnz .LBB175_1465
.LBB175_1464:
	v_and_b32_e64 v5, 0xffff0000, s1
	s_lshl_b32 s0, s1, 16
	s_and_not1_b32 s10, s10, exec_lo
	v_cmp_eq_f32_e32 vcc_lo, s0, v1
	s_delay_alu instid0(VALU_DEP_2) | instskip(SKIP_1) | instid1(SALU_CYCLE_1)
	v_cmp_eq_f32_e64 s0, v5, v3
	s_and_b32 s0, vcc_lo, s0
	s_and_b32 s0, s0, exec_lo
	s_delay_alu instid0(SALU_CYCLE_1)
	s_or_b32 s10, s10, s0
.LBB175_1465:
	v_mov_b32_e32 v11, 0
	s_cmp_lt_i32 s13, 11
	s_delay_alu instid0(VALU_DEP_1)
	v_add_nc_u64_e32 v[10:11], s[6:7], v[10:11]
	s_cbranch_scc1 .LBB175_1472
; %bb.1466:
	s_cmp_gt_i32 s13, 25
	s_mov_b32 s11, 0
	s_cbranch_scc0 .LBB175_1475
; %bb.1467:
	s_cmp_gt_i32 s13, 28
	s_cbranch_scc0 .LBB175_1486
; %bb.1468:
	s_cmp_gt_i32 s13, 43
	;; [unrolled: 3-line block ×3, first 2 shown]
	s_cbranch_scc0 .LBB175_1491
; %bb.1470:
	s_cmp_eq_u32 s13, 46
	s_mov_b32 s15, 0
	s_cbranch_scc0 .LBB175_1549
; %bb.1471:
	global_load_b32 v1, v[10:11], off
	s_mov_b32 s0, 0
	s_mov_b32 s14, -1
	s_wait_loadcnt 0x0
	v_and_b32_e32 v3, 0xffff0000, v1
	s_branch .LBB175_1551
.LBB175_1472:
	s_mov_b32 s14, 0
                                        ; implicit-def: $vgpr3
                                        ; implicit-def: $vgpr1
	s_cbranch_execnz .LBB175_1480
.LBB175_1473:
	s_and_not1_b32 vcc_lo, exec_lo, s14
	s_cbranch_vccnz .LBB175_1743
	s_branch .LBB175_1534
.LBB175_1474:
                                        ; implicit-def: $sgpr10
	s_branch .LBB175_1464
.LBB175_1475:
	s_mov_b32 s14, 0
	s_mov_b32 s0, 0
                                        ; implicit-def: $vgpr3
                                        ; implicit-def: $vgpr1
	s_cbranch_execnz .LBB175_1583
.LBB175_1476:
	s_and_b32 vcc_lo, exec_lo, s0
	s_cbranch_vccnz .LBB175_1616
.LBB175_1477:
	s_and_not1_b32 vcc_lo, exec_lo, s11
	s_cbranch_vccnz .LBB175_1479
.LBB175_1478:
	s_wait_loadcnt 0x0
	global_load_u8 v1, v[10:11], off
	s_mov_b32 s14, -1
	v_mov_b32_e32 v3, 0
	s_wait_loadcnt 0x0
	v_cmp_ne_u16_e32 vcc_lo, 0, v1
	v_cndmask_b32_e64 v1, 0, 1.0, vcc_lo
	s_delay_alu instid0(VALU_DEP_1)
	v_lshrrev_b32_e32 v1, 16, v1
.LBB175_1479:
	s_branch .LBB175_1473
.LBB175_1480:
	s_cmp_lt_i32 s13, 5
	s_cbranch_scc1 .LBB175_1485
; %bb.1481:
	s_cmp_lt_i32 s13, 8
	s_cbranch_scc1 .LBB175_1487
; %bb.1482:
	;; [unrolled: 3-line block ×3, first 2 shown]
	s_cmp_gt_i32 s13, 9
	s_cbranch_scc0 .LBB175_1492
; %bb.1484:
	global_load_b128 v[12:15], v[10:11], off
	s_mov_b32 s0, 0
	s_wait_loadcnt 0x0
	v_cvt_f32_f64_e32 v1, v[12:13]
	v_cvt_f32_f64_e32 v3, v[14:15]
	s_delay_alu instid0(VALU_DEP_2) | instskip(NEXT) | instid1(VALU_DEP_2)
	v_bfe_u32 v5, v1, 16, 1
	v_bfe_u32 v7, v3, 16, 1
	v_cmp_o_f32_e32 vcc_lo, v1, v1
	s_delay_alu instid0(VALU_DEP_3) | instskip(NEXT) | instid1(VALU_DEP_3)
	v_add3_u32 v5, v1, v5, 0x7fff
	v_add3_u32 v7, v3, v7, 0x7fff
	s_delay_alu instid0(VALU_DEP_2) | instskip(NEXT) | instid1(VALU_DEP_2)
	v_lshrrev_b32_e32 v5, 16, v5
	v_and_b32_e32 v7, 0xffff0000, v7
	s_delay_alu instid0(VALU_DEP_2) | instskip(SKIP_1) | instid1(VALU_DEP_3)
	v_cndmask_b32_e32 v1, 0x7fc0, v5, vcc_lo
	v_cmp_o_f32_e32 vcc_lo, v3, v3
	v_cndmask_b32_e32 v3, 0x7fc00000, v7, vcc_lo
	s_branch .LBB175_1493
.LBB175_1485:
	s_mov_b32 s0, -1
                                        ; implicit-def: $vgpr3
                                        ; implicit-def: $vgpr1
	s_branch .LBB175_1512
.LBB175_1486:
	s_mov_b32 s15, -1
	s_mov_b32 s14, 0
	s_mov_b32 s0, 0
                                        ; implicit-def: $vgpr3
                                        ; implicit-def: $vgpr1
	s_branch .LBB175_1564
.LBB175_1487:
	s_mov_b32 s0, -1
                                        ; implicit-def: $vgpr3
                                        ; implicit-def: $vgpr1
	s_branch .LBB175_1499
.LBB175_1488:
	s_mov_b32 s15, -1
	s_mov_b32 s14, 0
	s_mov_b32 s0, 0
                                        ; implicit-def: $vgpr3
                                        ; implicit-def: $vgpr1
	s_branch .LBB175_1558
.LBB175_1489:
	s_mov_b32 s0, -1
                                        ; implicit-def: $vgpr3
                                        ; implicit-def: $vgpr1
	s_branch .LBB175_1496
.LBB175_1490:
	s_or_b32 s2, s2, exec_lo
	s_trap 2
	s_cbranch_execz .LBB175_1411
	s_branch .LBB175_1412
.LBB175_1491:
	s_mov_b32 s15, -1
	s_mov_b32 s14, 0
	s_mov_b32 s0, 0
	s_branch .LBB175_1550
.LBB175_1492:
	s_mov_b32 s0, -1
                                        ; implicit-def: $vgpr3
                                        ; implicit-def: $vgpr1
.LBB175_1493:
	s_delay_alu instid0(SALU_CYCLE_1)
	s_and_not1_b32 vcc_lo, exec_lo, s0
	s_cbranch_vccnz .LBB175_1495
; %bb.1494:
	global_load_b64 v[12:13], v[10:11], off
	s_wait_loadcnt 0x0
	v_bfe_u32 v1, v12, 16, 1
	v_bfe_u32 v3, v13, 16, 1
	v_cmp_o_f32_e32 vcc_lo, v12, v12
	s_delay_alu instid0(VALU_DEP_3) | instskip(NEXT) | instid1(VALU_DEP_3)
	v_add3_u32 v1, v12, v1, 0x7fff
	v_add3_u32 v3, v13, v3, 0x7fff
	s_delay_alu instid0(VALU_DEP_2) | instskip(NEXT) | instid1(VALU_DEP_2)
	v_lshrrev_b32_e32 v1, 16, v1
	v_and_b32_e32 v3, 0xffff0000, v3
	s_delay_alu instid0(VALU_DEP_2) | instskip(SKIP_1) | instid1(VALU_DEP_3)
	v_cndmask_b32_e32 v1, 0x7fc0, v1, vcc_lo
	v_cmp_o_f32_e32 vcc_lo, v13, v13
	v_cndmask_b32_e32 v3, 0x7fc00000, v3, vcc_lo
.LBB175_1495:
	s_mov_b32 s0, 0
.LBB175_1496:
	s_delay_alu instid0(SALU_CYCLE_1)
	s_and_not1_b32 vcc_lo, exec_lo, s0
	s_cbranch_vccnz .LBB175_1498
; %bb.1497:
	s_wait_loadcnt 0x0
	global_load_b32 v1, v[10:11], off
	s_wait_loadcnt 0x0
	v_lshrrev_b32_e32 v3, 16, v1
	v_cvt_f32_f16_e32 v5, v1
	v_cmp_o_f16_e32 vcc_lo, v1, v1
	s_delay_alu instid0(VALU_DEP_3) | instskip(NEXT) | instid1(VALU_DEP_3)
	v_cvt_f32_f16_e32 v7, v3
	v_bfe_u32 v9, v5, 16, 1
	s_wait_xcnt 0x1
	s_delay_alu instid0(VALU_DEP_2) | instskip(NEXT) | instid1(VALU_DEP_2)
	v_bfe_u32 v12, v7, 16, 1
	v_add3_u32 v5, v5, v9, 0x7fff
	s_delay_alu instid0(VALU_DEP_2) | instskip(NEXT) | instid1(VALU_DEP_2)
	v_add3_u32 v7, v7, v12, 0x7fff
	v_lshrrev_b32_e32 v5, 16, v5
	s_delay_alu instid0(VALU_DEP_2) | instskip(NEXT) | instid1(VALU_DEP_2)
	v_and_b32_e32 v7, 0xffff0000, v7
	v_cndmask_b32_e32 v1, 0x7fc0, v5, vcc_lo
	v_cmp_o_f16_e32 vcc_lo, v3, v3
	s_delay_alu instid0(VALU_DEP_3)
	v_cndmask_b32_e32 v3, 0x7fc00000, v7, vcc_lo
.LBB175_1498:
	s_mov_b32 s0, 0
.LBB175_1499:
	s_delay_alu instid0(SALU_CYCLE_1)
	s_and_not1_b32 vcc_lo, exec_lo, s0
	s_cbranch_vccnz .LBB175_1511
; %bb.1500:
	s_cmp_lt_i32 s13, 6
	s_cbranch_scc1 .LBB175_1503
; %bb.1501:
	s_cmp_gt_i32 s13, 6
	s_cbranch_scc0 .LBB175_1504
; %bb.1502:
	global_load_b64 v[12:13], v[10:11], off
	s_mov_b32 s0, 0
	s_wait_loadcnt 0x0
	v_cvt_f32_f64_e32 v1, v[12:13]
	s_delay_alu instid0(VALU_DEP_1) | instskip(SKIP_1) | instid1(VALU_DEP_2)
	v_bfe_u32 v3, v1, 16, 1
	v_cmp_o_f32_e32 vcc_lo, v1, v1
	v_add3_u32 v3, v1, v3, 0x7fff
	s_delay_alu instid0(VALU_DEP_1) | instskip(NEXT) | instid1(VALU_DEP_1)
	v_lshrrev_b32_e32 v3, 16, v3
	v_cndmask_b32_e32 v1, 0x7fc0, v3, vcc_lo
	s_branch .LBB175_1505
.LBB175_1503:
	s_mov_b32 s0, -1
                                        ; implicit-def: $vgpr1
	s_branch .LBB175_1508
.LBB175_1504:
	s_mov_b32 s0, -1
                                        ; implicit-def: $vgpr1
.LBB175_1505:
	s_delay_alu instid0(SALU_CYCLE_1)
	s_and_not1_b32 vcc_lo, exec_lo, s0
	s_cbranch_vccnz .LBB175_1507
; %bb.1506:
	s_wait_loadcnt 0x0
	global_load_b32 v1, v[10:11], off
	s_wait_loadcnt 0x0
	v_bfe_u32 v3, v1, 16, 1
	v_cmp_o_f32_e32 vcc_lo, v1, v1
	s_delay_alu instid0(VALU_DEP_2) | instskip(NEXT) | instid1(VALU_DEP_1)
	v_add3_u32 v3, v1, v3, 0x7fff
	v_lshrrev_b32_e32 v3, 16, v3
	s_delay_alu instid0(VALU_DEP_1)
	v_cndmask_b32_e32 v1, 0x7fc0, v3, vcc_lo
.LBB175_1507:
	s_mov_b32 s0, 0
.LBB175_1508:
	s_delay_alu instid0(SALU_CYCLE_1)
	s_and_not1_b32 vcc_lo, exec_lo, s0
	s_cbranch_vccnz .LBB175_1510
; %bb.1509:
	s_wait_loadcnt 0x0
	global_load_u16 v1, v[10:11], off
	s_wait_loadcnt 0x0
	v_cvt_f32_f16_e32 v3, v1
	v_cmp_o_f16_e32 vcc_lo, v1, v1
	s_delay_alu instid0(VALU_DEP_2) | instskip(NEXT) | instid1(VALU_DEP_1)
	v_bfe_u32 v5, v3, 16, 1
	v_add3_u32 v3, v3, v5, 0x7fff
	s_delay_alu instid0(VALU_DEP_1) | instskip(NEXT) | instid1(VALU_DEP_1)
	v_lshrrev_b32_e32 v3, 16, v3
	v_cndmask_b32_e32 v1, 0x7fc0, v3, vcc_lo
.LBB175_1510:
	v_mov_b32_e32 v3, 0
.LBB175_1511:
	s_mov_b32 s0, 0
.LBB175_1512:
	s_delay_alu instid0(SALU_CYCLE_1)
	s_and_not1_b32 vcc_lo, exec_lo, s0
	s_cbranch_vccnz .LBB175_1533
; %bb.1513:
	s_cmp_lt_i32 s13, 2
	s_cbranch_scc1 .LBB175_1517
; %bb.1514:
	s_cmp_lt_i32 s13, 3
	s_cbranch_scc1 .LBB175_1518
; %bb.1515:
	s_cmp_gt_i32 s13, 3
	s_cbranch_scc0 .LBB175_1519
; %bb.1516:
	global_load_b64 v[12:13], v[10:11], off
	s_mov_b32 s0, 0
	s_wait_loadcnt 0x0
	v_xor_b32_e32 v1, v12, v13
	v_cls_i32_e32 v3, v13
	s_delay_alu instid0(VALU_DEP_2) | instskip(NEXT) | instid1(VALU_DEP_1)
	v_ashrrev_i32_e32 v1, 31, v1
	v_add_nc_u32_e32 v1, 32, v1
	s_delay_alu instid0(VALU_DEP_1) | instskip(NEXT) | instid1(VALU_DEP_1)
	v_add_min_u32_e64 v1, v3, -1, v1
	v_lshlrev_b64_e32 v[12:13], v1, v[12:13]
	v_sub_nc_u32_e32 v1, 32, v1
	s_delay_alu instid0(VALU_DEP_2) | instskip(NEXT) | instid1(VALU_DEP_1)
	v_min_u32_e32 v3, 1, v12
	v_or_b32_e32 v3, v13, v3
	s_delay_alu instid0(VALU_DEP_1) | instskip(NEXT) | instid1(VALU_DEP_1)
	v_cvt_f32_i32_e32 v3, v3
	v_ldexp_f32 v1, v3, v1
	s_delay_alu instid0(VALU_DEP_1) | instskip(NEXT) | instid1(VALU_DEP_1)
	v_bfe_u32 v3, v1, 16, 1
	v_add3_u32 v1, v1, v3, 0x7fff
	s_delay_alu instid0(VALU_DEP_1)
	v_lshrrev_b32_e32 v1, 16, v1
	s_branch .LBB175_1520
.LBB175_1517:
	s_mov_b32 s0, -1
                                        ; implicit-def: $vgpr1
	s_branch .LBB175_1526
.LBB175_1518:
	s_mov_b32 s0, -1
                                        ; implicit-def: $vgpr1
	s_branch .LBB175_1523
.LBB175_1519:
	s_mov_b32 s0, -1
                                        ; implicit-def: $vgpr1
.LBB175_1520:
	s_delay_alu instid0(SALU_CYCLE_1)
	s_and_not1_b32 vcc_lo, exec_lo, s0
	s_cbranch_vccnz .LBB175_1522
; %bb.1521:
	s_wait_loadcnt 0x0
	global_load_b32 v1, v[10:11], off
	s_wait_loadcnt 0x0
	v_cvt_f32_i32_e32 v1, v1
	s_delay_alu instid0(VALU_DEP_1) | instskip(NEXT) | instid1(VALU_DEP_1)
	v_bfe_u32 v3, v1, 16, 1
	v_add3_u32 v1, v1, v3, 0x7fff
	s_delay_alu instid0(VALU_DEP_1)
	v_lshrrev_b32_e32 v1, 16, v1
.LBB175_1522:
	s_mov_b32 s0, 0
.LBB175_1523:
	s_delay_alu instid0(SALU_CYCLE_1)
	s_and_not1_b32 vcc_lo, exec_lo, s0
	s_cbranch_vccnz .LBB175_1525
; %bb.1524:
	s_wait_loadcnt 0x0
	global_load_i16 v1, v[10:11], off
	s_wait_loadcnt 0x0
	v_cvt_f32_i32_e32 v1, v1
	s_delay_alu instid0(VALU_DEP_1) | instskip(NEXT) | instid1(VALU_DEP_1)
	v_bfe_u32 v3, v1, 16, 1
	v_add3_u32 v1, v1, v3, 0x7fff
	s_delay_alu instid0(VALU_DEP_1)
	v_lshrrev_b32_e32 v1, 16, v1
.LBB175_1525:
	s_mov_b32 s0, 0
.LBB175_1526:
	s_delay_alu instid0(SALU_CYCLE_1)
	s_and_not1_b32 vcc_lo, exec_lo, s0
	s_cbranch_vccnz .LBB175_1532
; %bb.1527:
	s_cmp_gt_i32 s13, 0
	s_mov_b32 s0, 0
	s_cbranch_scc0 .LBB175_1529
; %bb.1528:
	s_wait_loadcnt 0x0
	global_load_i8 v1, v[10:11], off
	s_wait_loadcnt 0x0
	v_cvt_f32_i32_e32 v1, v1
	s_delay_alu instid0(VALU_DEP_1) | instskip(NEXT) | instid1(VALU_DEP_1)
	v_bfe_u32 v3, v1, 16, 1
	v_add3_u32 v1, v1, v3, 0x7fff
	s_delay_alu instid0(VALU_DEP_1)
	v_lshrrev_b32_e32 v1, 16, v1
	s_branch .LBB175_1530
.LBB175_1529:
	s_mov_b32 s0, -1
                                        ; implicit-def: $vgpr1
.LBB175_1530:
	s_delay_alu instid0(SALU_CYCLE_1)
	s_and_not1_b32 vcc_lo, exec_lo, s0
	s_cbranch_vccnz .LBB175_1532
; %bb.1531:
	s_wait_loadcnt 0x0
	global_load_u8 v1, v[10:11], off
	s_wait_loadcnt 0x0
	v_cvt_f32_ubyte0_e32 v1, v1
	s_delay_alu instid0(VALU_DEP_1) | instskip(NEXT) | instid1(VALU_DEP_1)
	v_bfe_u32 v3, v1, 16, 1
	v_add3_u32 v1, v1, v3, 0x7fff
	s_delay_alu instid0(VALU_DEP_1)
	v_lshrrev_b32_e32 v1, 16, v1
.LBB175_1532:
	v_mov_b32_e32 v3, 0
.LBB175_1533:
.LBB175_1534:
	s_wait_loadcnt 0x0
	s_delay_alu instid0(VALU_DEP_2) | instskip(SKIP_1) | instid1(VALU_DEP_1)
	v_and_b32_e32 v1, 0xffff, v1
	s_and_b32 vcc_lo, exec_lo, s12
	v_or_b32_e32 v1, v3, v1
	v_and_b32_e32 v3, 0xffff0000, v3
	s_delay_alu instid0(VALU_DEP_2)
	v_lshlrev_b32_e32 v1, 16, v1
	s_cbranch_vccz .LBB175_1545
; %bb.1535:
	v_and_b32_e64 v5, 0xffff0000, s1
	s_lshl_b32 s0, s1, 16
	s_delay_alu instid0(VALU_DEP_2) | instid1(SALU_CYCLE_1)
	v_cmp_neq_f32_e32 vcc_lo, s0, v1
	s_delay_alu instid0(VALU_DEP_2)
	v_cmp_neq_f32_e64 s0, v5, v3
	s_or_b32 s11, vcc_lo, s0
	s_cbranch_execnz .LBB175_1537
.LBB175_1536:
	v_and_b32_e64 v5, 0xffff0000, s1
	s_lshl_b32 s0, s1, 16
	s_and_not1_b32 s11, s11, exec_lo
	v_cmp_eq_f32_e32 vcc_lo, s0, v1
	s_delay_alu instid0(VALU_DEP_2) | instskip(SKIP_1) | instid1(SALU_CYCLE_1)
	v_cmp_eq_f32_e64 s0, v5, v3
	s_and_b32 s0, vcc_lo, s0
	s_and_b32 s0, s0, exec_lo
	s_delay_alu instid0(SALU_CYCLE_1)
	s_or_b32 s11, s11, s0
.LBB175_1537:
	v_mov_b32_e32 v9, 0
	s_cmp_lt_i32 s13, 11
	s_delay_alu instid0(VALU_DEP_1)
	v_add_nc_u64_e32 v[8:9], s[6:7], v[8:9]
	s_cbranch_scc1 .LBB175_1544
; %bb.1538:
	s_cmp_gt_i32 s13, 25
	s_mov_b32 s6, 0
	s_cbranch_scc0 .LBB175_1546
; %bb.1539:
	s_cmp_gt_i32 s13, 28
	s_cbranch_scc0 .LBB175_1547
; %bb.1540:
	s_cmp_gt_i32 s13, 43
	;; [unrolled: 3-line block ×3, first 2 shown]
	s_cbranch_scc0 .LBB175_1554
; %bb.1542:
	s_cmp_eq_u32 s13, 46
	s_mov_b32 s14, 0
	s_cbranch_scc0 .LBB175_1617
; %bb.1543:
	global_load_b32 v1, v[8:9], off
	s_mov_b32 s0, 0
	s_mov_b32 s7, -1
	s_wait_loadcnt 0x0
	v_and_b32_e32 v3, 0xffff0000, v1
	s_branch .LBB175_1619
.LBB175_1544:
	s_mov_b32 s0, -1
	s_mov_b32 s7, 0
                                        ; implicit-def: $vgpr3
                                        ; implicit-def: $vgpr1
	s_branch .LBB175_1665
.LBB175_1545:
                                        ; implicit-def: $sgpr11
	s_branch .LBB175_1536
.LBB175_1546:
	s_mov_b32 s14, -1
	s_mov_b32 s7, 0
	s_mov_b32 s0, 0
                                        ; implicit-def: $vgpr3
                                        ; implicit-def: $vgpr1
	s_branch .LBB175_1650
.LBB175_1547:
	s_mov_b32 s14, -1
	s_mov_b32 s7, 0
	s_mov_b32 s0, 0
                                        ; implicit-def: $vgpr3
                                        ; implicit-def: $vgpr1
	s_branch .LBB175_1631
.LBB175_1548:
	s_mov_b32 s14, -1
	s_mov_b32 s7, 0
	s_mov_b32 s0, 0
                                        ; implicit-def: $vgpr3
                                        ; implicit-def: $vgpr1
	s_branch .LBB175_1625
.LBB175_1549:
	s_mov_b32 s0, -1
	s_mov_b32 s14, 0
.LBB175_1550:
                                        ; implicit-def: $vgpr3
                                        ; implicit-def: $vgpr1
.LBB175_1551:
	s_and_b32 vcc_lo, exec_lo, s15
	s_cbranch_vccz .LBB175_1557
; %bb.1552:
	s_cmp_eq_u32 s13, 44
	s_cbranch_scc0 .LBB175_1555
; %bb.1553:
	global_load_u8 v1, v[10:11], off
	s_mov_b32 s0, 0
	s_mov_b32 s14, -1
	s_wait_loadcnt 0x0
	v_lshlrev_b32_e32 v3, 23, v1
	v_cmp_ne_u32_e32 vcc_lo, 0xff, v1
	s_delay_alu instid0(VALU_DEP_2) | instskip(SKIP_1) | instid1(VALU_DEP_2)
	v_cndmask_b32_e32 v3, 0x7f800001, v3, vcc_lo
	v_cmp_ne_u32_e32 vcc_lo, 0, v1
	v_cndmask_b32_e32 v1, 0x400000, v3, vcc_lo
	s_delay_alu instid0(VALU_DEP_1) | instskip(SKIP_1) | instid1(VALU_DEP_2)
	v_add_nc_u32_e32 v3, 0x7fff, v1
	v_cmp_o_f32_e32 vcc_lo, v1, v1
	v_lshrrev_b32_e32 v3, 16, v3
	s_delay_alu instid0(VALU_DEP_1)
	v_cndmask_b32_e32 v1, 0x7fc0, v3, vcc_lo
	s_branch .LBB175_1556
.LBB175_1554:
	s_mov_b32 s14, -1
	s_mov_b32 s7, 0
	s_mov_b32 s0, 0
	s_branch .LBB175_1618
.LBB175_1555:
	s_mov_b32 s0, -1
                                        ; implicit-def: $vgpr1
.LBB175_1556:
	v_mov_b32_e32 v3, 0
.LBB175_1557:
	s_mov_b32 s15, 0
.LBB175_1558:
	s_delay_alu instid0(SALU_CYCLE_1)
	s_and_b32 vcc_lo, exec_lo, s15
	s_cbranch_vccz .LBB175_1563
; %bb.1559:
	s_cmp_eq_u32 s13, 29
	s_cbranch_scc0 .LBB175_1561
; %bb.1560:
	global_load_b64 v[12:13], v[10:11], off
	s_mov_b32 s0, 0
	s_mov_b32 s14, -1
	s_wait_loadcnt 0x0
	v_clz_i32_u32_e32 v1, v13
	s_delay_alu instid0(VALU_DEP_1) | instskip(NEXT) | instid1(VALU_DEP_1)
	v_min_u32_e32 v1, 32, v1
	v_lshlrev_b64_e32 v[12:13], v1, v[12:13]
	v_sub_nc_u32_e32 v1, 32, v1
	s_delay_alu instid0(VALU_DEP_2) | instskip(NEXT) | instid1(VALU_DEP_1)
	v_min_u32_e32 v3, 1, v12
	v_or_b32_e32 v3, v13, v3
	s_delay_alu instid0(VALU_DEP_1) | instskip(NEXT) | instid1(VALU_DEP_1)
	v_cvt_f32_u32_e32 v3, v3
	v_ldexp_f32 v1, v3, v1
	s_delay_alu instid0(VALU_DEP_1) | instskip(NEXT) | instid1(VALU_DEP_1)
	v_bfe_u32 v3, v1, 16, 1
	v_add3_u32 v1, v1, v3, 0x7fff
	s_delay_alu instid0(VALU_DEP_1)
	v_lshrrev_b32_e32 v1, 16, v1
	s_branch .LBB175_1562
.LBB175_1561:
	s_mov_b32 s0, -1
                                        ; implicit-def: $vgpr1
.LBB175_1562:
	v_mov_b32_e32 v3, 0
.LBB175_1563:
	s_mov_b32 s15, 0
.LBB175_1564:
	s_delay_alu instid0(SALU_CYCLE_1)
	s_and_b32 vcc_lo, exec_lo, s15
	s_cbranch_vccz .LBB175_1582
; %bb.1565:
	s_cmp_lt_i32 s13, 27
	s_cbranch_scc1 .LBB175_1568
; %bb.1566:
	s_cmp_gt_i32 s13, 27
	s_cbranch_scc0 .LBB175_1569
; %bb.1567:
	global_load_b32 v1, v[10:11], off
	s_mov_b32 s14, 0
	s_wait_loadcnt 0x0
	v_cvt_f32_u32_e32 v1, v1
	s_delay_alu instid0(VALU_DEP_1) | instskip(NEXT) | instid1(VALU_DEP_1)
	v_bfe_u32 v3, v1, 16, 1
	v_add3_u32 v1, v1, v3, 0x7fff
	s_delay_alu instid0(VALU_DEP_1)
	v_lshrrev_b32_e32 v1, 16, v1
	s_branch .LBB175_1570
.LBB175_1568:
	s_mov_b32 s14, -1
                                        ; implicit-def: $vgpr1
	s_branch .LBB175_1573
.LBB175_1569:
	s_mov_b32 s14, -1
                                        ; implicit-def: $vgpr1
.LBB175_1570:
	s_delay_alu instid0(SALU_CYCLE_1)
	s_and_not1_b32 vcc_lo, exec_lo, s14
	s_cbranch_vccnz .LBB175_1572
; %bb.1571:
	global_load_u16 v1, v[10:11], off
	s_wait_loadcnt 0x0
	v_cvt_f32_u32_e32 v1, v1
	s_delay_alu instid0(VALU_DEP_1) | instskip(NEXT) | instid1(VALU_DEP_1)
	v_bfe_u32 v3, v1, 16, 1
	v_add3_u32 v1, v1, v3, 0x7fff
	s_delay_alu instid0(VALU_DEP_1)
	v_lshrrev_b32_e32 v1, 16, v1
.LBB175_1572:
	s_mov_b32 s14, 0
.LBB175_1573:
	s_delay_alu instid0(SALU_CYCLE_1)
	s_and_not1_b32 vcc_lo, exec_lo, s14
	s_cbranch_vccnz .LBB175_1581
; %bb.1574:
	global_load_u8 v1, v[10:11], off
	s_mov_b32 s14, 0
	s_mov_b32 s15, exec_lo
	s_wait_loadcnt 0x0
	v_cmpx_lt_i16_e32 0x7f, v1
	s_xor_b32 s15, exec_lo, s15
	s_cbranch_execz .LBB175_1594
; %bb.1575:
	s_mov_b32 s14, -1
	s_mov_b32 s18, exec_lo
	v_cmpx_eq_u16_e32 0x80, v1
; %bb.1576:
	s_xor_b32 s14, exec_lo, -1
; %bb.1577:
	s_or_b32 exec_lo, exec_lo, s18
	s_delay_alu instid0(SALU_CYCLE_1)
	s_and_b32 s14, s14, exec_lo
	s_or_saveexec_b32 s15, s15
	v_mov_b32_e32 v3, 0x7f800001
	s_xor_b32 exec_lo, exec_lo, s15
	s_cbranch_execnz .LBB175_1595
.LBB175_1578:
	s_or_b32 exec_lo, exec_lo, s15
	s_and_saveexec_b32 s15, s14
	s_cbranch_execz .LBB175_1580
.LBB175_1579:
	v_and_b32_e32 v3, 0xffff, v1
	s_delay_alu instid0(VALU_DEP_1) | instskip(SKIP_1) | instid1(VALU_DEP_2)
	v_dual_lshlrev_b32 v1, 24, v1 :: v_dual_bitop2_b32 v5, 7, v3 bitop3:0x40
	v_bfe_u32 v12, v3, 3, 4
	v_and_b32_e32 v1, 0x80000000, v1
	s_delay_alu instid0(VALU_DEP_3) | instskip(NEXT) | instid1(VALU_DEP_3)
	v_clz_i32_u32_e32 v7, v5
	v_cmp_eq_u32_e32 vcc_lo, 0, v12
	s_delay_alu instid0(VALU_DEP_2) | instskip(NEXT) | instid1(VALU_DEP_1)
	v_min_u32_e32 v7, 32, v7
	v_subrev_nc_u32_e32 v9, 28, v7
	v_sub_nc_u32_e32 v7, 29, v7
	s_delay_alu instid0(VALU_DEP_2) | instskip(NEXT) | instid1(VALU_DEP_2)
	v_lshlrev_b32_e32 v3, v9, v3
	v_cndmask_b32_e32 v7, v12, v7, vcc_lo
	s_delay_alu instid0(VALU_DEP_2) | instskip(NEXT) | instid1(VALU_DEP_1)
	v_and_b32_e32 v3, 7, v3
	v_cndmask_b32_e32 v3, v5, v3, vcc_lo
	s_delay_alu instid0(VALU_DEP_3) | instskip(NEXT) | instid1(VALU_DEP_2)
	v_lshl_add_u32 v5, v7, 23, 0x3b800000
	v_lshlrev_b32_e32 v3, 20, v3
	s_delay_alu instid0(VALU_DEP_1)
	v_or3_b32 v3, v1, v5, v3
.LBB175_1580:
	s_or_b32 exec_lo, exec_lo, s15
	s_delay_alu instid0(VALU_DEP_1) | instskip(SKIP_1) | instid1(VALU_DEP_2)
	v_bfe_u32 v1, v3, 16, 1
	v_cmp_o_f32_e32 vcc_lo, v3, v3
	v_add3_u32 v1, v3, v1, 0x7fff
	s_delay_alu instid0(VALU_DEP_1) | instskip(NEXT) | instid1(VALU_DEP_1)
	v_lshrrev_b32_e32 v1, 16, v1
	v_cndmask_b32_e32 v1, 0x7fc0, v1, vcc_lo
.LBB175_1581:
	v_mov_b32_e32 v3, 0
	s_mov_b32 s14, -1
.LBB175_1582:
	s_branch .LBB175_1476
.LBB175_1583:
	s_cmp_gt_i32 s13, 22
	s_cbranch_scc0 .LBB175_1593
; %bb.1584:
	s_cmp_lt_i32 s13, 24
	s_cbranch_scc1 .LBB175_1596
; %bb.1585:
	s_cmp_gt_i32 s13, 24
	s_cbranch_scc0 .LBB175_1597
; %bb.1586:
	global_load_u8 v1, v[10:11], off
	s_mov_b32 s14, exec_lo
	s_wait_loadcnt 0x0
	v_cmpx_lt_i16_e32 0x7f, v1
	s_xor_b32 s14, exec_lo, s14
	s_cbranch_execz .LBB175_1609
; %bb.1587:
	s_mov_b32 s11, -1
	s_mov_b32 s15, exec_lo
	v_cmpx_eq_u16_e32 0x80, v1
; %bb.1588:
	s_xor_b32 s11, exec_lo, -1
; %bb.1589:
	s_or_b32 exec_lo, exec_lo, s15
	s_delay_alu instid0(SALU_CYCLE_1)
	s_and_b32 s11, s11, exec_lo
	s_or_saveexec_b32 s14, s14
	v_mov_b32_e32 v3, 0x7f800001
	s_xor_b32 exec_lo, exec_lo, s14
	s_cbranch_execnz .LBB175_1610
.LBB175_1590:
	s_or_b32 exec_lo, exec_lo, s14
	s_and_saveexec_b32 s14, s11
	s_cbranch_execz .LBB175_1592
.LBB175_1591:
	v_and_b32_e32 v3, 0xffff, v1
	s_delay_alu instid0(VALU_DEP_1) | instskip(SKIP_1) | instid1(VALU_DEP_2)
	v_dual_lshlrev_b32 v1, 24, v1 :: v_dual_bitop2_b32 v5, 3, v3 bitop3:0x40
	v_bfe_u32 v12, v3, 2, 5
	v_and_b32_e32 v1, 0x80000000, v1
	s_delay_alu instid0(VALU_DEP_3) | instskip(NEXT) | instid1(VALU_DEP_3)
	v_clz_i32_u32_e32 v7, v5
	v_cmp_eq_u32_e32 vcc_lo, 0, v12
	s_delay_alu instid0(VALU_DEP_2) | instskip(NEXT) | instid1(VALU_DEP_1)
	v_min_u32_e32 v7, 32, v7
	v_subrev_nc_u32_e32 v9, 29, v7
	v_sub_nc_u32_e32 v7, 30, v7
	s_delay_alu instid0(VALU_DEP_2) | instskip(NEXT) | instid1(VALU_DEP_2)
	v_lshlrev_b32_e32 v3, v9, v3
	v_cndmask_b32_e32 v7, v12, v7, vcc_lo
	s_delay_alu instid0(VALU_DEP_2) | instskip(NEXT) | instid1(VALU_DEP_1)
	v_and_b32_e32 v3, 3, v3
	v_cndmask_b32_e32 v3, v5, v3, vcc_lo
	s_delay_alu instid0(VALU_DEP_3) | instskip(NEXT) | instid1(VALU_DEP_2)
	v_lshl_add_u32 v5, v7, 23, 0x37800000
	v_lshlrev_b32_e32 v3, 21, v3
	s_delay_alu instid0(VALU_DEP_1)
	v_or3_b32 v3, v1, v5, v3
.LBB175_1592:
	s_or_b32 exec_lo, exec_lo, s14
	s_delay_alu instid0(VALU_DEP_1) | instskip(SKIP_2) | instid1(VALU_DEP_2)
	v_bfe_u32 v1, v3, 16, 1
	v_cmp_o_f32_e32 vcc_lo, v3, v3
	s_mov_b32 s11, 0
	v_add3_u32 v1, v3, v1, 0x7fff
	s_delay_alu instid0(VALU_DEP_1) | instskip(NEXT) | instid1(VALU_DEP_1)
	v_lshrrev_b32_e32 v1, 16, v1
	v_cndmask_b32_e32 v1, 0x7fc0, v1, vcc_lo
	s_branch .LBB175_1598
.LBB175_1593:
	s_mov_b32 s11, -1
                                        ; implicit-def: $vgpr1
	s_branch .LBB175_1604
.LBB175_1594:
	s_or_saveexec_b32 s15, s15
	v_mov_b32_e32 v3, 0x7f800001
	s_xor_b32 exec_lo, exec_lo, s15
	s_cbranch_execz .LBB175_1578
.LBB175_1595:
	v_cmp_ne_u16_e32 vcc_lo, 0, v1
	v_mov_b32_e32 v3, 0
	s_and_not1_b32 s14, s14, exec_lo
	s_and_b32 s18, vcc_lo, exec_lo
	s_delay_alu instid0(SALU_CYCLE_1)
	s_or_b32 s14, s14, s18
	s_or_b32 exec_lo, exec_lo, s15
	s_and_saveexec_b32 s15, s14
	s_cbranch_execnz .LBB175_1579
	s_branch .LBB175_1580
.LBB175_1596:
	s_mov_b32 s11, -1
                                        ; implicit-def: $vgpr1
	s_branch .LBB175_1601
.LBB175_1597:
	s_mov_b32 s11, -1
                                        ; implicit-def: $vgpr1
.LBB175_1598:
	s_delay_alu instid0(SALU_CYCLE_1)
	s_and_b32 vcc_lo, exec_lo, s11
	s_cbranch_vccz .LBB175_1600
; %bb.1599:
	global_load_u8 v1, v[10:11], off
	s_wait_loadcnt 0x0
	v_lshlrev_b32_e32 v1, 24, v1
	s_delay_alu instid0(VALU_DEP_1) | instskip(NEXT) | instid1(VALU_DEP_1)
	v_and_b32_e32 v3, 0x7f000000, v1
	v_clz_i32_u32_e32 v5, v3
	v_add_nc_u32_e32 v9, 0x1000000, v3
	v_cmp_ne_u32_e32 vcc_lo, 0, v3
	s_delay_alu instid0(VALU_DEP_3) | instskip(NEXT) | instid1(VALU_DEP_1)
	v_min_u32_e32 v5, 32, v5
	v_sub_nc_u32_e64 v5, v5, 4 clamp
	s_delay_alu instid0(VALU_DEP_1) | instskip(NEXT) | instid1(VALU_DEP_1)
	v_dual_lshlrev_b32 v7, v5, v3 :: v_dual_lshlrev_b32 v5, 23, v5
	v_lshrrev_b32_e32 v7, 4, v7
	s_delay_alu instid0(VALU_DEP_1) | instskip(SKIP_1) | instid1(VALU_DEP_2)
	v_sub_nc_u32_e32 v5, v7, v5
	v_ashrrev_i32_e32 v7, 8, v9
	v_add_nc_u32_e32 v5, 0x3c000000, v5
	s_delay_alu instid0(VALU_DEP_1) | instskip(NEXT) | instid1(VALU_DEP_1)
	v_and_or_b32 v5, 0x7f800000, v7, v5
	v_cndmask_b32_e32 v3, 0, v5, vcc_lo
	s_delay_alu instid0(VALU_DEP_1) | instskip(SKIP_1) | instid1(VALU_DEP_2)
	v_and_or_b32 v1, 0x80000000, v1, v3
	v_bfe_u32 v3, v3, 16, 1
	v_cmp_o_f32_e32 vcc_lo, v1, v1
	s_delay_alu instid0(VALU_DEP_2) | instskip(NEXT) | instid1(VALU_DEP_1)
	v_add3_u32 v3, v1, v3, 0x7fff
	v_lshrrev_b32_e32 v3, 16, v3
	s_delay_alu instid0(VALU_DEP_1)
	v_cndmask_b32_e32 v1, 0x7fc0, v3, vcc_lo
.LBB175_1600:
	s_mov_b32 s11, 0
.LBB175_1601:
	s_delay_alu instid0(SALU_CYCLE_1)
	s_and_not1_b32 vcc_lo, exec_lo, s11
	s_cbranch_vccnz .LBB175_1603
; %bb.1602:
	global_load_u8 v1, v[10:11], off
	s_wait_loadcnt 0x0
	v_lshlrev_b32_e32 v3, 25, v1
	v_lshlrev_b16 v1, 8, v1
	s_delay_alu instid0(VALU_DEP_1) | instskip(SKIP_1) | instid1(VALU_DEP_2)
	v_and_or_b32 v7, 0x7f00, v1, 0.5
	v_bfe_i32 v1, v1, 0, 16
	v_add_f32_e32 v7, -0.5, v7
	v_lshrrev_b32_e32 v5, 4, v3
	v_cmp_gt_u32_e32 vcc_lo, 0x8000000, v3
	s_delay_alu instid0(VALU_DEP_2) | instskip(NEXT) | instid1(VALU_DEP_1)
	v_or_b32_e32 v5, 0x70000000, v5
	v_mul_f32_e32 v5, 0x7800000, v5
	s_delay_alu instid0(VALU_DEP_1) | instskip(NEXT) | instid1(VALU_DEP_1)
	v_cndmask_b32_e32 v3, v5, v7, vcc_lo
	v_and_or_b32 v1, 0x80000000, v1, v3
	v_bfe_u32 v3, v3, 16, 1
	s_delay_alu instid0(VALU_DEP_2) | instskip(NEXT) | instid1(VALU_DEP_2)
	v_cmp_o_f32_e32 vcc_lo, v1, v1
	v_add3_u32 v3, v1, v3, 0x7fff
	s_delay_alu instid0(VALU_DEP_1) | instskip(NEXT) | instid1(VALU_DEP_1)
	v_lshrrev_b32_e32 v3, 16, v3
	v_cndmask_b32_e32 v1, 0x7fc0, v3, vcc_lo
.LBB175_1603:
	s_mov_b32 s11, 0
	s_mov_b32 s14, -1
.LBB175_1604:
	s_and_not1_b32 vcc_lo, exec_lo, s11
	s_mov_b32 s11, 0
	s_cbranch_vccnz .LBB175_1615
; %bb.1605:
	s_cmp_gt_i32 s13, 14
	s_cbranch_scc0 .LBB175_1608
; %bb.1606:
	s_cmp_eq_u32 s13, 15
	s_cbranch_scc0 .LBB175_1611
; %bb.1607:
	global_load_u16 v1, v[10:11], off
	s_mov_b32 s0, 0
	s_mov_b32 s14, -1
	s_branch .LBB175_1613
.LBB175_1608:
	s_mov_b32 s11, -1
	s_branch .LBB175_1612
.LBB175_1609:
	s_or_saveexec_b32 s14, s14
	v_mov_b32_e32 v3, 0x7f800001
	s_xor_b32 exec_lo, exec_lo, s14
	s_cbranch_execz .LBB175_1590
.LBB175_1610:
	v_cmp_ne_u16_e32 vcc_lo, 0, v1
	v_mov_b32_e32 v3, 0
	s_and_not1_b32 s11, s11, exec_lo
	s_and_b32 s15, vcc_lo, exec_lo
	s_delay_alu instid0(SALU_CYCLE_1)
	s_or_b32 s11, s11, s15
	s_or_b32 exec_lo, exec_lo, s14
	s_and_saveexec_b32 s14, s11
	s_cbranch_execnz .LBB175_1591
	s_branch .LBB175_1592
.LBB175_1611:
	s_mov_b32 s0, -1
.LBB175_1612:
                                        ; implicit-def: $vgpr1
.LBB175_1613:
	s_and_b32 vcc_lo, exec_lo, s11
	s_mov_b32 s11, 0
	s_cbranch_vccz .LBB175_1615
; %bb.1614:
	s_cmp_lg_u32 s13, 11
	s_mov_b32 s11, -1
	s_cselect_b32 s0, -1, 0
.LBB175_1615:
	v_mov_b32_e32 v3, 0
	s_and_b32 vcc_lo, exec_lo, s0
	s_cbranch_vccz .LBB175_1477
.LBB175_1616:
	s_or_b32 s2, s2, exec_lo
	s_trap 2
	s_cbranch_execz .LBB175_1478
	s_branch .LBB175_1479
.LBB175_1617:
	s_mov_b32 s0, -1
	s_mov_b32 s7, 0
.LBB175_1618:
                                        ; implicit-def: $vgpr3
                                        ; implicit-def: $vgpr1
.LBB175_1619:
	s_and_b32 vcc_lo, exec_lo, s14
	s_cbranch_vccz .LBB175_1624
; %bb.1620:
	s_cmp_eq_u32 s13, 44
	s_cbranch_scc0 .LBB175_1622
; %bb.1621:
	global_load_u8 v1, v[8:9], off
	s_mov_b32 s0, 0
	s_mov_b32 s7, -1
	s_wait_loadcnt 0x0
	v_lshlrev_b32_e32 v3, 23, v1
	v_cmp_ne_u32_e32 vcc_lo, 0xff, v1
	s_delay_alu instid0(VALU_DEP_2) | instskip(SKIP_1) | instid1(VALU_DEP_2)
	v_cndmask_b32_e32 v3, 0x7f800001, v3, vcc_lo
	v_cmp_ne_u32_e32 vcc_lo, 0, v1
	v_cndmask_b32_e32 v1, 0x400000, v3, vcc_lo
	s_delay_alu instid0(VALU_DEP_1) | instskip(SKIP_1) | instid1(VALU_DEP_2)
	v_add_nc_u32_e32 v3, 0x7fff, v1
	v_cmp_o_f32_e32 vcc_lo, v1, v1
	v_lshrrev_b32_e32 v3, 16, v3
	s_delay_alu instid0(VALU_DEP_1)
	v_cndmask_b32_e32 v1, 0x7fc0, v3, vcc_lo
	s_branch .LBB175_1623
.LBB175_1622:
	s_mov_b32 s0, -1
                                        ; implicit-def: $vgpr1
.LBB175_1623:
	v_mov_b32_e32 v3, 0
.LBB175_1624:
	s_mov_b32 s14, 0
.LBB175_1625:
	s_delay_alu instid0(SALU_CYCLE_1)
	s_and_b32 vcc_lo, exec_lo, s14
	s_cbranch_vccz .LBB175_1630
; %bb.1626:
	s_cmp_eq_u32 s13, 29
	s_cbranch_scc0 .LBB175_1628
; %bb.1627:
	global_load_b64 v[10:11], v[8:9], off
	s_mov_b32 s0, 0
	s_mov_b32 s7, -1
	s_wait_loadcnt 0x0
	v_clz_i32_u32_e32 v1, v11
	s_delay_alu instid0(VALU_DEP_1) | instskip(NEXT) | instid1(VALU_DEP_1)
	v_min_u32_e32 v1, 32, v1
	v_lshlrev_b64_e32 v[10:11], v1, v[10:11]
	v_sub_nc_u32_e32 v1, 32, v1
	s_delay_alu instid0(VALU_DEP_2) | instskip(NEXT) | instid1(VALU_DEP_1)
	v_min_u32_e32 v3, 1, v10
	v_or_b32_e32 v3, v11, v3
	s_delay_alu instid0(VALU_DEP_1) | instskip(NEXT) | instid1(VALU_DEP_1)
	v_cvt_f32_u32_e32 v3, v3
	v_ldexp_f32 v1, v3, v1
	s_delay_alu instid0(VALU_DEP_1) | instskip(NEXT) | instid1(VALU_DEP_1)
	v_bfe_u32 v3, v1, 16, 1
	v_add3_u32 v1, v1, v3, 0x7fff
	s_delay_alu instid0(VALU_DEP_1)
	v_lshrrev_b32_e32 v1, 16, v1
	s_branch .LBB175_1629
.LBB175_1628:
	s_mov_b32 s0, -1
                                        ; implicit-def: $vgpr1
.LBB175_1629:
	v_mov_b32_e32 v3, 0
.LBB175_1630:
	s_mov_b32 s14, 0
.LBB175_1631:
	s_delay_alu instid0(SALU_CYCLE_1)
	s_and_b32 vcc_lo, exec_lo, s14
	s_cbranch_vccz .LBB175_1649
; %bb.1632:
	s_cmp_lt_i32 s13, 27
	s_cbranch_scc1 .LBB175_1635
; %bb.1633:
	s_cmp_gt_i32 s13, 27
	s_cbranch_scc0 .LBB175_1636
; %bb.1634:
	global_load_b32 v1, v[8:9], off
	s_mov_b32 s7, 0
	s_wait_loadcnt 0x0
	v_cvt_f32_u32_e32 v1, v1
	s_delay_alu instid0(VALU_DEP_1) | instskip(NEXT) | instid1(VALU_DEP_1)
	v_bfe_u32 v3, v1, 16, 1
	v_add3_u32 v1, v1, v3, 0x7fff
	s_delay_alu instid0(VALU_DEP_1)
	v_lshrrev_b32_e32 v1, 16, v1
	s_branch .LBB175_1637
.LBB175_1635:
	s_mov_b32 s7, -1
                                        ; implicit-def: $vgpr1
	s_branch .LBB175_1640
.LBB175_1636:
	s_mov_b32 s7, -1
                                        ; implicit-def: $vgpr1
.LBB175_1637:
	s_delay_alu instid0(SALU_CYCLE_1)
	s_and_not1_b32 vcc_lo, exec_lo, s7
	s_cbranch_vccnz .LBB175_1639
; %bb.1638:
	global_load_u16 v1, v[8:9], off
	s_wait_loadcnt 0x0
	v_cvt_f32_u32_e32 v1, v1
	s_delay_alu instid0(VALU_DEP_1) | instskip(NEXT) | instid1(VALU_DEP_1)
	v_bfe_u32 v3, v1, 16, 1
	v_add3_u32 v1, v1, v3, 0x7fff
	s_delay_alu instid0(VALU_DEP_1)
	v_lshrrev_b32_e32 v1, 16, v1
.LBB175_1639:
	s_mov_b32 s7, 0
.LBB175_1640:
	s_delay_alu instid0(SALU_CYCLE_1)
	s_and_not1_b32 vcc_lo, exec_lo, s7
	s_cbranch_vccnz .LBB175_1648
; %bb.1641:
	global_load_u8 v1, v[8:9], off
	s_mov_b32 s7, 0
	s_mov_b32 s14, exec_lo
	s_wait_loadcnt 0x0
	v_cmpx_lt_i16_e32 0x7f, v1
	s_xor_b32 s14, exec_lo, s14
	s_cbranch_execz .LBB175_1674
; %bb.1642:
	s_mov_b32 s7, -1
	s_mov_b32 s15, exec_lo
	v_cmpx_eq_u16_e32 0x80, v1
; %bb.1643:
	s_xor_b32 s7, exec_lo, -1
; %bb.1644:
	s_or_b32 exec_lo, exec_lo, s15
	s_delay_alu instid0(SALU_CYCLE_1)
	s_and_b32 s7, s7, exec_lo
	s_or_saveexec_b32 s14, s14
	v_mov_b32_e32 v3, 0x7f800001
	s_xor_b32 exec_lo, exec_lo, s14
	s_cbranch_execnz .LBB175_1675
.LBB175_1645:
	s_or_b32 exec_lo, exec_lo, s14
	s_and_saveexec_b32 s14, s7
	s_cbranch_execz .LBB175_1647
.LBB175_1646:
	v_and_b32_e32 v3, 0xffff, v1
	s_delay_alu instid0(VALU_DEP_1) | instskip(SKIP_1) | instid1(VALU_DEP_2)
	v_dual_lshlrev_b32 v1, 24, v1 :: v_dual_bitop2_b32 v5, 7, v3 bitop3:0x40
	v_bfe_u32 v11, v3, 3, 4
	v_and_b32_e32 v1, 0x80000000, v1
	s_delay_alu instid0(VALU_DEP_3) | instskip(NEXT) | instid1(VALU_DEP_3)
	v_clz_i32_u32_e32 v7, v5
	v_cmp_eq_u32_e32 vcc_lo, 0, v11
	s_delay_alu instid0(VALU_DEP_2) | instskip(NEXT) | instid1(VALU_DEP_1)
	v_min_u32_e32 v7, 32, v7
	v_subrev_nc_u32_e32 v10, 28, v7
	v_sub_nc_u32_e32 v7, 29, v7
	s_delay_alu instid0(VALU_DEP_2) | instskip(NEXT) | instid1(VALU_DEP_2)
	v_lshlrev_b32_e32 v3, v10, v3
	v_cndmask_b32_e32 v7, v11, v7, vcc_lo
	s_delay_alu instid0(VALU_DEP_2) | instskip(NEXT) | instid1(VALU_DEP_1)
	v_and_b32_e32 v3, 7, v3
	v_cndmask_b32_e32 v3, v5, v3, vcc_lo
	s_delay_alu instid0(VALU_DEP_3) | instskip(NEXT) | instid1(VALU_DEP_2)
	v_lshl_add_u32 v5, v7, 23, 0x3b800000
	v_lshlrev_b32_e32 v3, 20, v3
	s_delay_alu instid0(VALU_DEP_1)
	v_or3_b32 v3, v1, v5, v3
.LBB175_1647:
	s_or_b32 exec_lo, exec_lo, s14
	s_delay_alu instid0(VALU_DEP_1) | instskip(SKIP_1) | instid1(VALU_DEP_2)
	v_bfe_u32 v1, v3, 16, 1
	v_cmp_o_f32_e32 vcc_lo, v3, v3
	v_add3_u32 v1, v3, v1, 0x7fff
	s_delay_alu instid0(VALU_DEP_1) | instskip(NEXT) | instid1(VALU_DEP_1)
	v_lshrrev_b32_e32 v1, 16, v1
	v_cndmask_b32_e32 v1, 0x7fc0, v1, vcc_lo
.LBB175_1648:
	v_mov_b32_e32 v3, 0
	s_mov_b32 s7, -1
.LBB175_1649:
	s_mov_b32 s14, 0
.LBB175_1650:
	s_delay_alu instid0(SALU_CYCLE_1)
	s_and_b32 vcc_lo, exec_lo, s14
	s_cbranch_vccz .LBB175_1661
; %bb.1651:
	s_cmp_gt_i32 s13, 22
	s_cbranch_scc0 .LBB175_1672
; %bb.1652:
	s_cmp_lt_i32 s13, 24
	s_cbranch_scc1 .LBB175_1676
; %bb.1653:
	s_cmp_gt_i32 s13, 24
	s_cbranch_scc0 .LBB175_1678
; %bb.1654:
	global_load_u8 v1, v[8:9], off
	s_mov_b32 s7, exec_lo
	s_wait_loadcnt 0x0
	v_cmpx_lt_i16_e32 0x7f, v1
	s_xor_b32 s7, exec_lo, s7
	s_cbranch_execz .LBB175_1690
; %bb.1655:
	s_mov_b32 s6, -1
	s_mov_b32 s14, exec_lo
	v_cmpx_eq_u16_e32 0x80, v1
; %bb.1656:
	s_xor_b32 s6, exec_lo, -1
; %bb.1657:
	s_or_b32 exec_lo, exec_lo, s14
	s_delay_alu instid0(SALU_CYCLE_1)
	s_and_b32 s6, s6, exec_lo
	s_or_saveexec_b32 s7, s7
	v_mov_b32_e32 v3, 0x7f800001
	s_xor_b32 exec_lo, exec_lo, s7
	s_cbranch_execnz .LBB175_1691
.LBB175_1658:
	s_or_b32 exec_lo, exec_lo, s7
	s_and_saveexec_b32 s7, s6
	s_cbranch_execz .LBB175_1660
.LBB175_1659:
	v_and_b32_e32 v3, 0xffff, v1
	s_delay_alu instid0(VALU_DEP_1) | instskip(SKIP_1) | instid1(VALU_DEP_2)
	v_dual_lshlrev_b32 v1, 24, v1 :: v_dual_bitop2_b32 v5, 3, v3 bitop3:0x40
	v_bfe_u32 v11, v3, 2, 5
	v_and_b32_e32 v1, 0x80000000, v1
	s_delay_alu instid0(VALU_DEP_3) | instskip(NEXT) | instid1(VALU_DEP_3)
	v_clz_i32_u32_e32 v7, v5
	v_cmp_eq_u32_e32 vcc_lo, 0, v11
	s_delay_alu instid0(VALU_DEP_2) | instskip(NEXT) | instid1(VALU_DEP_1)
	v_min_u32_e32 v7, 32, v7
	v_subrev_nc_u32_e32 v10, 29, v7
	v_sub_nc_u32_e32 v7, 30, v7
	s_delay_alu instid0(VALU_DEP_2) | instskip(NEXT) | instid1(VALU_DEP_2)
	v_lshlrev_b32_e32 v3, v10, v3
	v_cndmask_b32_e32 v7, v11, v7, vcc_lo
	s_delay_alu instid0(VALU_DEP_2) | instskip(NEXT) | instid1(VALU_DEP_1)
	v_and_b32_e32 v3, 3, v3
	v_cndmask_b32_e32 v3, v5, v3, vcc_lo
	s_delay_alu instid0(VALU_DEP_3) | instskip(NEXT) | instid1(VALU_DEP_2)
	v_lshl_add_u32 v5, v7, 23, 0x37800000
	v_lshlrev_b32_e32 v3, 21, v3
	s_delay_alu instid0(VALU_DEP_1)
	v_or3_b32 v3, v1, v5, v3
.LBB175_1660:
	s_or_b32 exec_lo, exec_lo, s7
	s_delay_alu instid0(VALU_DEP_1) | instskip(SKIP_2) | instid1(VALU_DEP_2)
	v_bfe_u32 v1, v3, 16, 1
	v_cmp_o_f32_e32 vcc_lo, v3, v3
	s_mov_b32 s6, 0
	v_add3_u32 v1, v3, v1, 0x7fff
	s_delay_alu instid0(VALU_DEP_1) | instskip(NEXT) | instid1(VALU_DEP_1)
	v_lshrrev_b32_e32 v1, 16, v1
	v_cndmask_b32_e32 v1, 0x7fc0, v1, vcc_lo
	s_branch .LBB175_1679
.LBB175_1661:
	s_and_b32 vcc_lo, exec_lo, s0
	s_cbranch_vccnz .LBB175_1709
.LBB175_1662:
	s_and_not1_b32 vcc_lo, exec_lo, s6
	s_cbranch_vccnz .LBB175_1664
.LBB175_1663:
	s_wait_loadcnt 0x0
	global_load_u8 v1, v[8:9], off
	s_mov_b32 s7, -1
	v_mov_b32_e32 v3, 0
	s_wait_loadcnt 0x0
	v_cmp_ne_u16_e32 vcc_lo, 0, v1
	v_cndmask_b32_e64 v1, 0, 1.0, vcc_lo
	s_delay_alu instid0(VALU_DEP_1)
	v_lshrrev_b32_e32 v1, 16, v1
.LBB175_1664:
	s_mov_b32 s0, 0
.LBB175_1665:
	s_delay_alu instid0(SALU_CYCLE_1)
	s_and_b32 vcc_lo, exec_lo, s0
	s_cbranch_vccz .LBB175_1740
; %bb.1666:
	s_cmp_lt_i32 s13, 5
	s_cbranch_scc1 .LBB175_1671
; %bb.1667:
	s_cmp_lt_i32 s13, 8
	s_cbranch_scc1 .LBB175_1673
	;; [unrolled: 3-line block ×3, first 2 shown]
; %bb.1669:
	s_cmp_gt_i32 s13, 9
	s_cbranch_scc0 .LBB175_1692
; %bb.1670:
	global_load_b128 v[10:13], v[8:9], off
	s_mov_b32 s0, 0
	s_wait_loadcnt 0x0
	v_cvt_f32_f64_e32 v1, v[10:11]
	v_cvt_f32_f64_e32 v3, v[12:13]
	s_delay_alu instid0(VALU_DEP_2) | instskip(NEXT) | instid1(VALU_DEP_2)
	v_bfe_u32 v5, v1, 16, 1
	v_bfe_u32 v7, v3, 16, 1
	v_cmp_o_f32_e32 vcc_lo, v1, v1
	s_delay_alu instid0(VALU_DEP_3) | instskip(NEXT) | instid1(VALU_DEP_3)
	v_add3_u32 v5, v1, v5, 0x7fff
	v_add3_u32 v7, v3, v7, 0x7fff
	s_delay_alu instid0(VALU_DEP_2) | instskip(NEXT) | instid1(VALU_DEP_2)
	v_lshrrev_b32_e32 v5, 16, v5
	v_and_b32_e32 v7, 0xffff0000, v7
	s_delay_alu instid0(VALU_DEP_2) | instskip(SKIP_1) | instid1(VALU_DEP_3)
	v_cndmask_b32_e32 v1, 0x7fc0, v5, vcc_lo
	v_cmp_o_f32_e32 vcc_lo, v3, v3
	v_cndmask_b32_e32 v3, 0x7fc00000, v7, vcc_lo
	s_branch .LBB175_1693
.LBB175_1671:
	s_mov_b32 s0, -1
                                        ; implicit-def: $vgpr3
                                        ; implicit-def: $vgpr1
	s_branch .LBB175_1718
.LBB175_1672:
	s_mov_b32 s6, -1
                                        ; implicit-def: $vgpr1
	s_branch .LBB175_1685
.LBB175_1673:
	s_mov_b32 s0, -1
                                        ; implicit-def: $vgpr3
                                        ; implicit-def: $vgpr1
	s_branch .LBB175_1699
.LBB175_1674:
	s_or_saveexec_b32 s14, s14
	v_mov_b32_e32 v3, 0x7f800001
	s_xor_b32 exec_lo, exec_lo, s14
	s_cbranch_execz .LBB175_1645
.LBB175_1675:
	v_cmp_ne_u16_e32 vcc_lo, 0, v1
	v_mov_b32_e32 v3, 0
	s_and_not1_b32 s7, s7, exec_lo
	s_and_b32 s15, vcc_lo, exec_lo
	s_delay_alu instid0(SALU_CYCLE_1)
	s_or_b32 s7, s7, s15
	s_or_b32 exec_lo, exec_lo, s14
	s_and_saveexec_b32 s14, s7
	s_cbranch_execnz .LBB175_1646
	s_branch .LBB175_1647
.LBB175_1676:
	s_mov_b32 s6, -1
                                        ; implicit-def: $vgpr1
	s_branch .LBB175_1682
.LBB175_1677:
	s_mov_b32 s0, -1
                                        ; implicit-def: $vgpr3
                                        ; implicit-def: $vgpr1
	s_branch .LBB175_1696
.LBB175_1678:
	s_mov_b32 s6, -1
                                        ; implicit-def: $vgpr1
.LBB175_1679:
	s_delay_alu instid0(SALU_CYCLE_1)
	s_and_b32 vcc_lo, exec_lo, s6
	s_cbranch_vccz .LBB175_1681
; %bb.1680:
	global_load_u8 v1, v[8:9], off
	s_wait_loadcnt 0x0
	v_lshlrev_b32_e32 v1, 24, v1
	s_delay_alu instid0(VALU_DEP_1) | instskip(NEXT) | instid1(VALU_DEP_1)
	v_and_b32_e32 v3, 0x7f000000, v1
	v_clz_i32_u32_e32 v5, v3
	v_cmp_ne_u32_e32 vcc_lo, 0, v3
	s_wait_xcnt 0x1
	v_add_nc_u32_e32 v10, 0x1000000, v3
	s_delay_alu instid0(VALU_DEP_3) | instskip(NEXT) | instid1(VALU_DEP_1)
	v_min_u32_e32 v5, 32, v5
	v_sub_nc_u32_e64 v5, v5, 4 clamp
	s_delay_alu instid0(VALU_DEP_1) | instskip(NEXT) | instid1(VALU_DEP_1)
	v_dual_lshlrev_b32 v7, v5, v3 :: v_dual_lshlrev_b32 v5, 23, v5
	v_lshrrev_b32_e32 v7, 4, v7
	s_delay_alu instid0(VALU_DEP_1) | instskip(NEXT) | instid1(VALU_DEP_1)
	v_dual_sub_nc_u32 v5, v7, v5 :: v_dual_ashrrev_i32 v7, 8, v10
	v_add_nc_u32_e32 v5, 0x3c000000, v5
	s_delay_alu instid0(VALU_DEP_1) | instskip(NEXT) | instid1(VALU_DEP_1)
	v_and_or_b32 v5, 0x7f800000, v7, v5
	v_cndmask_b32_e32 v3, 0, v5, vcc_lo
	s_delay_alu instid0(VALU_DEP_1) | instskip(SKIP_1) | instid1(VALU_DEP_2)
	v_and_or_b32 v1, 0x80000000, v1, v3
	v_bfe_u32 v3, v3, 16, 1
	v_cmp_o_f32_e32 vcc_lo, v1, v1
	s_delay_alu instid0(VALU_DEP_2) | instskip(NEXT) | instid1(VALU_DEP_1)
	v_add3_u32 v3, v1, v3, 0x7fff
	v_lshrrev_b32_e32 v3, 16, v3
	s_delay_alu instid0(VALU_DEP_1)
	v_cndmask_b32_e32 v1, 0x7fc0, v3, vcc_lo
.LBB175_1681:
	s_mov_b32 s6, 0
.LBB175_1682:
	s_delay_alu instid0(SALU_CYCLE_1)
	s_and_not1_b32 vcc_lo, exec_lo, s6
	s_cbranch_vccnz .LBB175_1684
; %bb.1683:
	global_load_u8 v1, v[8:9], off
	s_wait_loadcnt 0x0
	v_lshlrev_b32_e32 v3, 25, v1
	v_lshlrev_b16 v1, 8, v1
	s_delay_alu instid0(VALU_DEP_1) | instskip(SKIP_1) | instid1(VALU_DEP_2)
	v_and_or_b32 v7, 0x7f00, v1, 0.5
	v_bfe_i32 v1, v1, 0, 16
	v_add_f32_e32 v7, -0.5, v7
	v_lshrrev_b32_e32 v5, 4, v3
	v_cmp_gt_u32_e32 vcc_lo, 0x8000000, v3
	s_delay_alu instid0(VALU_DEP_2) | instskip(NEXT) | instid1(VALU_DEP_1)
	v_or_b32_e32 v5, 0x70000000, v5
	v_mul_f32_e32 v5, 0x7800000, v5
	s_delay_alu instid0(VALU_DEP_1) | instskip(NEXT) | instid1(VALU_DEP_1)
	v_cndmask_b32_e32 v3, v5, v7, vcc_lo
	v_and_or_b32 v1, 0x80000000, v1, v3
	v_bfe_u32 v3, v3, 16, 1
	s_delay_alu instid0(VALU_DEP_2) | instskip(NEXT) | instid1(VALU_DEP_2)
	v_cmp_o_f32_e32 vcc_lo, v1, v1
	v_add3_u32 v3, v1, v3, 0x7fff
	s_delay_alu instid0(VALU_DEP_1) | instskip(NEXT) | instid1(VALU_DEP_1)
	v_lshrrev_b32_e32 v3, 16, v3
	v_cndmask_b32_e32 v1, 0x7fc0, v3, vcc_lo
.LBB175_1684:
	s_mov_b32 s6, 0
	s_mov_b32 s7, -1
.LBB175_1685:
	s_and_not1_b32 vcc_lo, exec_lo, s6
	s_mov_b32 s6, 0
	s_cbranch_vccnz .LBB175_1708
; %bb.1686:
	s_cmp_gt_i32 s13, 14
	s_cbranch_scc0 .LBB175_1689
; %bb.1687:
	s_cmp_eq_u32 s13, 15
	s_cbranch_scc0 .LBB175_1704
; %bb.1688:
	global_load_u16 v1, v[8:9], off
	s_mov_b32 s0, 0
	s_mov_b32 s7, -1
	s_branch .LBB175_1706
.LBB175_1689:
	s_mov_b32 s6, -1
	s_branch .LBB175_1705
.LBB175_1690:
	s_or_saveexec_b32 s7, s7
	v_mov_b32_e32 v3, 0x7f800001
	s_xor_b32 exec_lo, exec_lo, s7
	s_cbranch_execz .LBB175_1658
.LBB175_1691:
	v_cmp_ne_u16_e32 vcc_lo, 0, v1
	v_mov_b32_e32 v3, 0
	s_and_not1_b32 s6, s6, exec_lo
	s_and_b32 s14, vcc_lo, exec_lo
	s_delay_alu instid0(SALU_CYCLE_1)
	s_or_b32 s6, s6, s14
	s_or_b32 exec_lo, exec_lo, s7
	s_and_saveexec_b32 s7, s6
	s_cbranch_execnz .LBB175_1659
	s_branch .LBB175_1660
.LBB175_1692:
	s_mov_b32 s0, -1
                                        ; implicit-def: $vgpr3
                                        ; implicit-def: $vgpr1
.LBB175_1693:
	s_delay_alu instid0(SALU_CYCLE_1)
	s_and_not1_b32 vcc_lo, exec_lo, s0
	s_cbranch_vccnz .LBB175_1695
; %bb.1694:
	global_load_b64 v[10:11], v[8:9], off
	s_wait_loadcnt 0x0
	v_bfe_u32 v1, v10, 16, 1
	v_bfe_u32 v3, v11, 16, 1
	v_cmp_o_f32_e32 vcc_lo, v10, v10
	s_delay_alu instid0(VALU_DEP_3) | instskip(NEXT) | instid1(VALU_DEP_3)
	v_add3_u32 v1, v10, v1, 0x7fff
	v_add3_u32 v3, v11, v3, 0x7fff
	s_delay_alu instid0(VALU_DEP_2) | instskip(NEXT) | instid1(VALU_DEP_2)
	v_lshrrev_b32_e32 v1, 16, v1
	v_and_b32_e32 v3, 0xffff0000, v3
	s_delay_alu instid0(VALU_DEP_2) | instskip(SKIP_1) | instid1(VALU_DEP_3)
	v_cndmask_b32_e32 v1, 0x7fc0, v1, vcc_lo
	v_cmp_o_f32_e32 vcc_lo, v11, v11
	v_cndmask_b32_e32 v3, 0x7fc00000, v3, vcc_lo
.LBB175_1695:
	s_mov_b32 s0, 0
.LBB175_1696:
	s_delay_alu instid0(SALU_CYCLE_1)
	s_and_not1_b32 vcc_lo, exec_lo, s0
	s_cbranch_vccnz .LBB175_1698
; %bb.1697:
	s_wait_loadcnt 0x0
	global_load_b32 v1, v[8:9], off
	s_wait_loadcnt 0x0
	v_lshrrev_b32_e32 v3, 16, v1
	v_cvt_f32_f16_e32 v5, v1
	v_cmp_o_f16_e32 vcc_lo, v1, v1
	s_delay_alu instid0(VALU_DEP_3) | instskip(SKIP_1) | instid1(VALU_DEP_3)
	v_cvt_f32_f16_e32 v7, v3
	s_wait_xcnt 0x1
	v_bfe_u32 v10, v5, 16, 1
	s_delay_alu instid0(VALU_DEP_2) | instskip(NEXT) | instid1(VALU_DEP_2)
	v_bfe_u32 v11, v7, 16, 1
	v_add3_u32 v5, v5, v10, 0x7fff
	s_delay_alu instid0(VALU_DEP_2) | instskip(NEXT) | instid1(VALU_DEP_2)
	v_add3_u32 v7, v7, v11, 0x7fff
	v_lshrrev_b32_e32 v5, 16, v5
	s_delay_alu instid0(VALU_DEP_2) | instskip(NEXT) | instid1(VALU_DEP_2)
	v_and_b32_e32 v7, 0xffff0000, v7
	v_cndmask_b32_e32 v1, 0x7fc0, v5, vcc_lo
	v_cmp_o_f16_e32 vcc_lo, v3, v3
	s_delay_alu instid0(VALU_DEP_3)
	v_cndmask_b32_e32 v3, 0x7fc00000, v7, vcc_lo
.LBB175_1698:
	s_mov_b32 s0, 0
.LBB175_1699:
	s_delay_alu instid0(SALU_CYCLE_1)
	s_and_not1_b32 vcc_lo, exec_lo, s0
	s_cbranch_vccnz .LBB175_1717
; %bb.1700:
	s_cmp_lt_i32 s13, 6
	s_cbranch_scc1 .LBB175_1703
; %bb.1701:
	s_cmp_gt_i32 s13, 6
	s_cbranch_scc0 .LBB175_1710
; %bb.1702:
	global_load_b64 v[10:11], v[8:9], off
	s_mov_b32 s0, 0
	s_wait_loadcnt 0x0
	v_cvt_f32_f64_e32 v1, v[10:11]
	s_delay_alu instid0(VALU_DEP_1) | instskip(SKIP_1) | instid1(VALU_DEP_2)
	v_bfe_u32 v3, v1, 16, 1
	v_cmp_o_f32_e32 vcc_lo, v1, v1
	v_add3_u32 v3, v1, v3, 0x7fff
	s_delay_alu instid0(VALU_DEP_1) | instskip(NEXT) | instid1(VALU_DEP_1)
	v_lshrrev_b32_e32 v3, 16, v3
	v_cndmask_b32_e32 v1, 0x7fc0, v3, vcc_lo
	s_branch .LBB175_1711
.LBB175_1703:
	s_mov_b32 s0, -1
                                        ; implicit-def: $vgpr1
	s_branch .LBB175_1714
.LBB175_1704:
	s_mov_b32 s0, -1
.LBB175_1705:
                                        ; implicit-def: $vgpr1
.LBB175_1706:
	s_and_b32 vcc_lo, exec_lo, s6
	s_mov_b32 s6, 0
	s_cbranch_vccz .LBB175_1708
; %bb.1707:
	s_cmp_lg_u32 s13, 11
	s_mov_b32 s6, -1
	s_cselect_b32 s0, -1, 0
.LBB175_1708:
	v_mov_b32_e32 v3, 0
	s_and_b32 vcc_lo, exec_lo, s0
	s_cbranch_vccz .LBB175_1662
.LBB175_1709:
	s_or_b32 s2, s2, exec_lo
	s_trap 2
	s_cbranch_execz .LBB175_1663
	s_branch .LBB175_1664
.LBB175_1710:
	s_mov_b32 s0, -1
                                        ; implicit-def: $vgpr1
.LBB175_1711:
	s_delay_alu instid0(SALU_CYCLE_1)
	s_and_not1_b32 vcc_lo, exec_lo, s0
	s_cbranch_vccnz .LBB175_1713
; %bb.1712:
	s_wait_loadcnt 0x0
	global_load_b32 v1, v[8:9], off
	s_wait_loadcnt 0x0
	v_bfe_u32 v3, v1, 16, 1
	v_cmp_o_f32_e32 vcc_lo, v1, v1
	s_delay_alu instid0(VALU_DEP_2) | instskip(NEXT) | instid1(VALU_DEP_1)
	v_add3_u32 v3, v1, v3, 0x7fff
	v_lshrrev_b32_e32 v3, 16, v3
	s_delay_alu instid0(VALU_DEP_1)
	v_cndmask_b32_e32 v1, 0x7fc0, v3, vcc_lo
.LBB175_1713:
	s_mov_b32 s0, 0
.LBB175_1714:
	s_delay_alu instid0(SALU_CYCLE_1)
	s_and_not1_b32 vcc_lo, exec_lo, s0
	s_cbranch_vccnz .LBB175_1716
; %bb.1715:
	s_wait_loadcnt 0x0
	global_load_u16 v1, v[8:9], off
	s_wait_loadcnt 0x0
	v_cvt_f32_f16_e32 v3, v1
	v_cmp_o_f16_e32 vcc_lo, v1, v1
	s_delay_alu instid0(VALU_DEP_2) | instskip(NEXT) | instid1(VALU_DEP_1)
	v_bfe_u32 v5, v3, 16, 1
	v_add3_u32 v3, v3, v5, 0x7fff
	s_delay_alu instid0(VALU_DEP_1) | instskip(NEXT) | instid1(VALU_DEP_1)
	v_lshrrev_b32_e32 v3, 16, v3
	v_cndmask_b32_e32 v1, 0x7fc0, v3, vcc_lo
.LBB175_1716:
	v_mov_b32_e32 v3, 0
.LBB175_1717:
	s_mov_b32 s0, 0
.LBB175_1718:
	s_delay_alu instid0(SALU_CYCLE_1)
	s_and_not1_b32 vcc_lo, exec_lo, s0
	s_cbranch_vccnz .LBB175_1739
; %bb.1719:
	s_cmp_lt_i32 s13, 2
	s_cbranch_scc1 .LBB175_1723
; %bb.1720:
	s_cmp_lt_i32 s13, 3
	s_cbranch_scc1 .LBB175_1724
; %bb.1721:
	s_cmp_gt_i32 s13, 3
	s_cbranch_scc0 .LBB175_1725
; %bb.1722:
	global_load_b64 v[10:11], v[8:9], off
	s_mov_b32 s0, 0
	s_wait_loadcnt 0x0
	v_xor_b32_e32 v1, v10, v11
	v_cls_i32_e32 v3, v11
	s_delay_alu instid0(VALU_DEP_2) | instskip(NEXT) | instid1(VALU_DEP_1)
	v_ashrrev_i32_e32 v1, 31, v1
	v_add_nc_u32_e32 v1, 32, v1
	s_delay_alu instid0(VALU_DEP_1) | instskip(NEXT) | instid1(VALU_DEP_1)
	v_add_min_u32_e64 v1, v3, -1, v1
	v_lshlrev_b64_e32 v[10:11], v1, v[10:11]
	v_sub_nc_u32_e32 v1, 32, v1
	s_delay_alu instid0(VALU_DEP_2) | instskip(NEXT) | instid1(VALU_DEP_1)
	v_min_u32_e32 v3, 1, v10
	v_or_b32_e32 v3, v11, v3
	s_delay_alu instid0(VALU_DEP_1) | instskip(NEXT) | instid1(VALU_DEP_1)
	v_cvt_f32_i32_e32 v3, v3
	v_ldexp_f32 v1, v3, v1
	s_delay_alu instid0(VALU_DEP_1) | instskip(NEXT) | instid1(VALU_DEP_1)
	v_bfe_u32 v3, v1, 16, 1
	v_add3_u32 v1, v1, v3, 0x7fff
	s_delay_alu instid0(VALU_DEP_1)
	v_lshrrev_b32_e32 v1, 16, v1
	s_branch .LBB175_1726
.LBB175_1723:
	s_mov_b32 s0, -1
                                        ; implicit-def: $vgpr1
	s_branch .LBB175_1732
.LBB175_1724:
	s_mov_b32 s0, -1
                                        ; implicit-def: $vgpr1
	s_branch .LBB175_1729
.LBB175_1725:
	s_mov_b32 s0, -1
                                        ; implicit-def: $vgpr1
.LBB175_1726:
	s_delay_alu instid0(SALU_CYCLE_1)
	s_and_not1_b32 vcc_lo, exec_lo, s0
	s_cbranch_vccnz .LBB175_1728
; %bb.1727:
	s_wait_loadcnt 0x0
	global_load_b32 v1, v[8:9], off
	s_wait_loadcnt 0x0
	v_cvt_f32_i32_e32 v1, v1
	s_delay_alu instid0(VALU_DEP_1) | instskip(NEXT) | instid1(VALU_DEP_1)
	v_bfe_u32 v3, v1, 16, 1
	v_add3_u32 v1, v1, v3, 0x7fff
	s_delay_alu instid0(VALU_DEP_1)
	v_lshrrev_b32_e32 v1, 16, v1
.LBB175_1728:
	s_mov_b32 s0, 0
.LBB175_1729:
	s_delay_alu instid0(SALU_CYCLE_1)
	s_and_not1_b32 vcc_lo, exec_lo, s0
	s_cbranch_vccnz .LBB175_1731
; %bb.1730:
	s_wait_loadcnt 0x0
	global_load_i16 v1, v[8:9], off
	s_wait_loadcnt 0x0
	v_cvt_f32_i32_e32 v1, v1
	s_delay_alu instid0(VALU_DEP_1) | instskip(NEXT) | instid1(VALU_DEP_1)
	v_bfe_u32 v3, v1, 16, 1
	v_add3_u32 v1, v1, v3, 0x7fff
	s_delay_alu instid0(VALU_DEP_1)
	v_lshrrev_b32_e32 v1, 16, v1
.LBB175_1731:
	s_mov_b32 s0, 0
.LBB175_1732:
	s_delay_alu instid0(SALU_CYCLE_1)
	s_and_not1_b32 vcc_lo, exec_lo, s0
	s_cbranch_vccnz .LBB175_1738
; %bb.1733:
	s_cmp_gt_i32 s13, 0
	s_mov_b32 s0, 0
	s_cbranch_scc0 .LBB175_1735
; %bb.1734:
	s_wait_loadcnt 0x0
	global_load_i8 v1, v[8:9], off
	s_wait_loadcnt 0x0
	v_cvt_f32_i32_e32 v1, v1
	s_delay_alu instid0(VALU_DEP_1) | instskip(NEXT) | instid1(VALU_DEP_1)
	v_bfe_u32 v3, v1, 16, 1
	v_add3_u32 v1, v1, v3, 0x7fff
	s_delay_alu instid0(VALU_DEP_1)
	v_lshrrev_b32_e32 v1, 16, v1
	s_branch .LBB175_1736
.LBB175_1735:
	s_mov_b32 s0, -1
                                        ; implicit-def: $vgpr1
.LBB175_1736:
	s_delay_alu instid0(SALU_CYCLE_1)
	s_and_not1_b32 vcc_lo, exec_lo, s0
	s_cbranch_vccnz .LBB175_1738
; %bb.1737:
	s_wait_loadcnt 0x0
	global_load_u8 v1, v[8:9], off
	s_wait_loadcnt 0x0
	v_cvt_f32_ubyte0_e32 v1, v1
	s_delay_alu instid0(VALU_DEP_1) | instskip(NEXT) | instid1(VALU_DEP_1)
	v_bfe_u32 v3, v1, 16, 1
	v_add3_u32 v1, v1, v3, 0x7fff
	s_delay_alu instid0(VALU_DEP_1)
	v_lshrrev_b32_e32 v1, 16, v1
.LBB175_1738:
	v_mov_b32_e32 v3, 0
.LBB175_1739:
	s_mov_b32 s7, -1
.LBB175_1740:
	s_delay_alu instid0(SALU_CYCLE_1)
	s_and_not1_b32 vcc_lo, exec_lo, s7
	s_cbranch_vccnz .LBB175_1743
; %bb.1741:
	s_wait_loadcnt 0x0
	v_and_b32_e32 v1, 0xffff, v1
	s_and_b32 vcc_lo, exec_lo, s12
	s_delay_alu instid0(VALU_DEP_1) | instskip(SKIP_1) | instid1(VALU_DEP_2)
	v_or_b32_e32 v1, v3, v1
	v_and_b32_e32 v3, 0xffff0000, v3
	v_lshlrev_b32_e32 v1, 16, v1
	s_cbranch_vccz .LBB175_1789
; %bb.1742:
	v_and_b32_e64 v5, 0xffff0000, s1
	s_lshl_b32 s0, s1, 16
	s_delay_alu instid0(VALU_DEP_2) | instid1(SALU_CYCLE_1)
	v_cmp_neq_f32_e32 vcc_lo, s0, v1
	s_delay_alu instid0(VALU_DEP_2)
	v_cmp_neq_f32_e64 s0, v5, v3
	s_or_b32 s6, vcc_lo, s0
	s_mov_b32 s0, 0
	s_branch .LBB175_1790
.LBB175_1743:
	s_mov_b32 s0, 0
	s_mov_b32 s4, 0
                                        ; implicit-def: $sgpr6
.LBB175_1744:
                                        ; implicit-def: $vgpr2_vgpr3
                                        ; implicit-def: $sgpr1
.LBB175_1745:
	s_and_not1_b32 s5, s8, exec_lo
	s_and_b32 s2, s2, exec_lo
	s_and_b32 s0, s0, exec_lo
	;; [unrolled: 1-line block ×3, first 2 shown]
	s_or_b32 s8, s5, s2
.LBB175_1746:
	s_wait_xcnt 0x0
	s_or_b32 exec_lo, exec_lo, s9
	s_and_saveexec_b32 s2, s8
	s_cbranch_execz .LBB175_1749
; %bb.1747:
	; divergent unreachable
	s_or_b32 exec_lo, exec_lo, s2
	s_and_saveexec_b32 s2, s3
	s_delay_alu instid0(SALU_CYCLE_1)
	s_xor_b32 s2, exec_lo, s2
	s_cbranch_execnz .LBB175_1750
.LBB175_1748:
	s_or_b32 exec_lo, exec_lo, s2
	s_and_saveexec_b32 s2, s0
	s_cbranch_execnz .LBB175_1751
	s_branch .LBB175_1788
.LBB175_1749:
	s_or_b32 exec_lo, exec_lo, s2
	s_and_saveexec_b32 s2, s3
	s_delay_alu instid0(SALU_CYCLE_1)
	s_xor_b32 s2, exec_lo, s2
	s_cbranch_execz .LBB175_1748
.LBB175_1750:
	v_cndmask_b32_e64 v0, 0, 1, s6
	s_wait_loadcnt 0x0
	global_store_b8 v[2:3], v0, off
	s_wait_xcnt 0x0
	s_or_b32 exec_lo, exec_lo, s2
	s_and_saveexec_b32 s2, s0
	s_cbranch_execz .LBB175_1788
.LBB175_1751:
	s_sext_i32_i16 s2, s1
	s_mov_b32 s0, -1
	s_cmp_lt_i32 s2, 5
	s_cbranch_scc1 .LBB175_1772
; %bb.1752:
	s_cmp_lt_i32 s2, 8
	s_cbranch_scc1 .LBB175_1762
; %bb.1753:
	;; [unrolled: 3-line block ×3, first 2 shown]
	s_cmp_gt_i32 s2, 9
	s_cbranch_scc0 .LBB175_1756
; %bb.1755:
	v_cndmask_b32_e64 v0, 0, 1, s6
	v_mov_b32_e32 v6, 0
	s_mov_b32 s0, 0
	s_delay_alu instid0(VALU_DEP_2) | instskip(NEXT) | instid1(VALU_DEP_2)
	v_cvt_f64_u32_e32 v[4:5], v0
	v_mov_b32_e32 v7, v6
	s_wait_loadcnt 0x0
	global_store_b128 v[2:3], v[4:7], off
.LBB175_1756:
	s_and_not1_b32 vcc_lo, exec_lo, s0
	s_cbranch_vccnz .LBB175_1758
; %bb.1757:
	v_cndmask_b32_e64 v0, 0, 1.0, s6
	s_wait_loadcnt 0x0
	v_mov_b32_e32 v1, 0
	global_store_b64 v[2:3], v[0:1], off
.LBB175_1758:
	s_mov_b32 s0, 0
.LBB175_1759:
	s_delay_alu instid0(SALU_CYCLE_1)
	s_and_not1_b32 vcc_lo, exec_lo, s0
	s_cbranch_vccnz .LBB175_1761
; %bb.1760:
	s_wait_xcnt 0x0
	v_cndmask_b32_e64 v0, 0, 1.0, s6
	s_delay_alu instid0(VALU_DEP_1) | instskip(NEXT) | instid1(VALU_DEP_1)
	v_cvt_f16_f32_e32 v0, v0
	v_and_b32_e32 v0, 0xffff, v0
	s_wait_loadcnt 0x0
	global_store_b32 v[2:3], v0, off
.LBB175_1761:
	s_mov_b32 s0, 0
.LBB175_1762:
	s_delay_alu instid0(SALU_CYCLE_1)
	s_and_not1_b32 vcc_lo, exec_lo, s0
	s_cbranch_vccnz .LBB175_1771
; %bb.1763:
	s_sext_i32_i16 s2, s1
	s_mov_b32 s0, -1
	s_cmp_lt_i32 s2, 6
	s_cbranch_scc1 .LBB175_1769
; %bb.1764:
	s_cmp_gt_i32 s2, 6
	s_cbranch_scc0 .LBB175_1766
; %bb.1765:
	s_wait_xcnt 0x0
	v_cndmask_b32_e64 v0, 0, 1, s6
	s_mov_b32 s0, 0
	s_wait_loadcnt 0x0
	s_delay_alu instid0(VALU_DEP_1)
	v_cvt_f64_u32_e32 v[0:1], v0
	global_store_b64 v[2:3], v[0:1], off
.LBB175_1766:
	s_and_not1_b32 vcc_lo, exec_lo, s0
	s_cbranch_vccnz .LBB175_1768
; %bb.1767:
	s_wait_xcnt 0x0
	v_cndmask_b32_e64 v0, 0, 1.0, s6
	s_wait_loadcnt 0x0
	global_store_b32 v[2:3], v0, off
.LBB175_1768:
	s_mov_b32 s0, 0
.LBB175_1769:
	s_delay_alu instid0(SALU_CYCLE_1)
	s_and_not1_b32 vcc_lo, exec_lo, s0
	s_cbranch_vccnz .LBB175_1771
; %bb.1770:
	s_wait_xcnt 0x0
	v_cndmask_b32_e64 v0, 0, 1.0, s6
	s_delay_alu instid0(VALU_DEP_1)
	v_cvt_f16_f32_e32 v0, v0
	s_wait_loadcnt 0x0
	global_store_b16 v[2:3], v0, off
.LBB175_1771:
	s_mov_b32 s0, 0
.LBB175_1772:
	s_delay_alu instid0(SALU_CYCLE_1)
	s_and_not1_b32 vcc_lo, exec_lo, s0
	s_cbranch_vccnz .LBB175_1788
; %bb.1773:
	s_sext_i32_i16 s2, s1
	s_mov_b32 s0, -1
	s_cmp_lt_i32 s2, 2
	s_cbranch_scc1 .LBB175_1783
; %bb.1774:
	s_cmp_lt_i32 s2, 3
	s_cbranch_scc1 .LBB175_1780
; %bb.1775:
	s_cmp_gt_i32 s2, 3
	s_cbranch_scc0 .LBB175_1777
; %bb.1776:
	s_mov_b32 s0, 0
	s_wait_xcnt 0x0
	v_cndmask_b32_e64 v0, 0, 1, s6
	s_wait_loadcnt 0x0
	v_mov_b32_e32 v1, s0
	global_store_b64 v[2:3], v[0:1], off
.LBB175_1777:
	s_and_not1_b32 vcc_lo, exec_lo, s0
	s_cbranch_vccnz .LBB175_1779
; %bb.1778:
	s_wait_xcnt 0x0
	v_cndmask_b32_e64 v0, 0, 1, s6
	s_wait_loadcnt 0x0
	global_store_b32 v[2:3], v0, off
.LBB175_1779:
	s_mov_b32 s0, 0
.LBB175_1780:
	s_delay_alu instid0(SALU_CYCLE_1)
	s_and_not1_b32 vcc_lo, exec_lo, s0
	s_cbranch_vccnz .LBB175_1782
; %bb.1781:
	s_wait_xcnt 0x0
	v_cndmask_b32_e64 v0, 0, 1, s6
	s_wait_loadcnt 0x0
	global_store_b16 v[2:3], v0, off
.LBB175_1782:
	s_mov_b32 s0, 0
.LBB175_1783:
	s_delay_alu instid0(SALU_CYCLE_1)
	s_and_not1_b32 vcc_lo, exec_lo, s0
	s_cbranch_vccnz .LBB175_1788
; %bb.1784:
	s_sext_i32_i16 s0, s1
	s_delay_alu instid0(SALU_CYCLE_1)
	s_cmp_gt_i32 s0, 0
	s_mov_b32 s0, -1
	s_cbranch_scc0 .LBB175_1786
; %bb.1785:
	s_wait_xcnt 0x0
	v_cndmask_b32_e64 v0, 0, 1, s6
	s_mov_b32 s0, 0
	s_wait_loadcnt 0x0
	global_store_b8 v[2:3], v0, off
.LBB175_1786:
	s_and_not1_b32 vcc_lo, exec_lo, s0
	s_cbranch_vccnz .LBB175_1788
; %bb.1787:
	s_wait_xcnt 0x0
	v_cndmask_b32_e64 v0, 0, 1, s6
	s_wait_loadcnt 0x0
	global_store_b8 v[2:3], v0, off
	s_endpgm
.LBB175_1788:
	s_endpgm
.LBB175_1789:
	s_mov_b32 s0, -1
                                        ; implicit-def: $sgpr6
.LBB175_1790:
	s_delay_alu instid0(SALU_CYCLE_1)
	s_and_not1_b32 vcc_lo, exec_lo, s0
	s_cbranch_vccnz .LBB175_1792
; %bb.1791:
	v_and_b32_e64 v5, 0xffff0000, s1
	s_lshl_b32 s0, s1, 16
	s_and_not1_b32 s1, s6, exec_lo
	v_cmp_eq_f32_e32 vcc_lo, s0, v1
	s_delay_alu instid0(VALU_DEP_2) | instskip(SKIP_1) | instid1(SALU_CYCLE_1)
	v_cmp_eq_f32_e64 s0, v5, v3
	s_and_b32 s0, vcc_lo, s0
	s_and_b32 s0, s0, exec_lo
	s_delay_alu instid0(SALU_CYCLE_1)
	s_or_b32 s6, s1, s0
.LBB175_1792:
	s_load_b32 s0, s[16:17], 0x160
	v_mov_b32_e32 v7, 0
	s_delay_alu instid0(VALU_DEP_1) | instskip(SKIP_2) | instid1(SALU_CYCLE_1)
	v_add_nc_u64_e32 v[6:7], s[4:5], v[6:7]
	s_wait_kmcnt 0x0
	s_and_b32 s1, s0, 0xff
	s_cmp_lt_i32 s1, 11
	s_cbranch_scc1 .LBB175_1870
; %bb.1793:
	s_and_b32 s7, 0xffff, s1
	s_mov_b32 s14, -1
	s_mov_b32 s12, 0
	s_cmp_gt_i32 s7, 25
	s_mov_b32 s13, 0
	s_mov_b32 s0, 0
	s_cbranch_scc0 .LBB175_1826
; %bb.1794:
	s_cmp_gt_i32 s7, 28
	s_cbranch_scc0 .LBB175_1809
; %bb.1795:
	s_cmp_gt_i32 s7, 43
	;; [unrolled: 3-line block ×3, first 2 shown]
	s_cbranch_scc0 .LBB175_1799
; %bb.1797:
	s_mov_b32 s0, -1
	s_mov_b32 s14, 0
	s_cmp_eq_u32 s7, 46
	s_cbranch_scc0 .LBB175_1799
; %bb.1798:
	v_cndmask_b32_e64 v1, 0, 1.0, s3
	s_mov_b32 s0, 0
	s_mov_b32 s13, -1
	s_delay_alu instid0(VALU_DEP_1) | instskip(NEXT) | instid1(VALU_DEP_1)
	v_bfe_u32 v3, v1, 16, 1
	v_add3_u32 v1, v1, v3, 0x7fff
	s_delay_alu instid0(VALU_DEP_1)
	v_lshrrev_b32_e32 v1, 16, v1
	global_store_b32 v[6:7], v1, off
.LBB175_1799:
	s_and_b32 vcc_lo, exec_lo, s14
	s_cbranch_vccz .LBB175_1804
; %bb.1800:
	s_cmp_eq_u32 s7, 44
	s_mov_b32 s0, -1
	s_cbranch_scc0 .LBB175_1804
; %bb.1801:
	v_cndmask_b32_e64 v5, 0, 1.0, s3
	v_mov_b32_e32 v3, 0xff
	s_mov_b32 s13, exec_lo
	s_wait_xcnt 0x0
	s_delay_alu instid0(VALU_DEP_2) | instskip(NEXT) | instid1(VALU_DEP_1)
	v_lshrrev_b32_e32 v1, 23, v5
	v_cmpx_ne_u32_e32 0xff, v1
; %bb.1802:
	v_and_b32_e32 v3, 0x400000, v5
	v_and_or_b32 v5, 0x3fffff, v5, v1
	s_delay_alu instid0(VALU_DEP_2) | instskip(NEXT) | instid1(VALU_DEP_2)
	v_cmp_ne_u32_e32 vcc_lo, 0, v3
	v_cmp_ne_u32_e64 s0, 0, v5
	s_and_b32 s0, vcc_lo, s0
	s_delay_alu instid0(SALU_CYCLE_1) | instskip(NEXT) | instid1(VALU_DEP_1)
	v_cndmask_b32_e64 v3, 0, 1, s0
	v_add_nc_u32_e32 v3, v1, v3
; %bb.1803:
	s_or_b32 exec_lo, exec_lo, s13
	s_mov_b32 s0, 0
	s_mov_b32 s13, -1
	global_store_b8 v[6:7], v3, off
.LBB175_1804:
	s_mov_b32 s14, 0
.LBB175_1805:
	s_delay_alu instid0(SALU_CYCLE_1)
	s_and_b32 vcc_lo, exec_lo, s14
	s_cbranch_vccz .LBB175_1808
; %bb.1806:
	s_cmp_eq_u32 s7, 29
	s_mov_b32 s0, -1
	s_cbranch_scc0 .LBB175_1808
; %bb.1807:
	s_mov_b32 s0, 0
	v_cndmask_b32_e64 v8, 0, 1, s3
	v_mov_b32_e32 v9, s0
	s_mov_b32 s13, -1
	global_store_b64 v[6:7], v[8:9], off
.LBB175_1808:
	s_mov_b32 s14, 0
.LBB175_1809:
	s_delay_alu instid0(SALU_CYCLE_1)
	s_and_b32 vcc_lo, exec_lo, s14
	s_cbranch_vccz .LBB175_1825
; %bb.1810:
	s_cmp_lt_i32 s7, 27
	s_mov_b32 s13, -1
	s_cbranch_scc1 .LBB175_1816
; %bb.1811:
	s_cmp_gt_i32 s7, 27
	s_cbranch_scc0 .LBB175_1813
; %bb.1812:
	s_wait_xcnt 0x0
	v_cndmask_b32_e64 v1, 0, 1, s3
	s_mov_b32 s13, 0
	global_store_b32 v[6:7], v1, off
.LBB175_1813:
	s_and_not1_b32 vcc_lo, exec_lo, s13
	s_cbranch_vccnz .LBB175_1815
; %bb.1814:
	s_wait_xcnt 0x0
	v_cndmask_b32_e64 v1, 0, 1, s3
	global_store_b16 v[6:7], v1, off
.LBB175_1815:
	s_mov_b32 s13, 0
.LBB175_1816:
	s_delay_alu instid0(SALU_CYCLE_1)
	s_and_not1_b32 vcc_lo, exec_lo, s13
	s_cbranch_vccnz .LBB175_1824
; %bb.1817:
	s_wait_xcnt 0x0
	v_cndmask_b32_e64 v3, 0, 1.0, s3
	v_mov_b32_e32 v5, 0x80
	s_mov_b32 s13, exec_lo
	s_delay_alu instid0(VALU_DEP_2)
	v_cmpx_gt_u32_e32 0x43800000, v3
	s_cbranch_execz .LBB175_1823
; %bb.1818:
	s_mov_b32 s14, 0
	s_mov_b32 s15, exec_lo
                                        ; implicit-def: $vgpr1
	v_cmpx_lt_u32_e32 0x3bffffff, v3
	s_xor_b32 s15, exec_lo, s15
	s_cbranch_execz .LBB175_2227
; %bb.1819:
	v_bfe_u32 v1, v3, 20, 1
	s_mov_b32 s14, exec_lo
	s_delay_alu instid0(VALU_DEP_1) | instskip(NEXT) | instid1(VALU_DEP_1)
	v_add3_u32 v1, v3, v1, 0x487ffff
                                        ; implicit-def: $vgpr3
	v_lshrrev_b32_e32 v1, 20, v1
	s_and_not1_saveexec_b32 s15, s15
	s_cbranch_execnz .LBB175_2228
.LBB175_1820:
	s_or_b32 exec_lo, exec_lo, s15
	v_mov_b32_e32 v5, 0
	s_and_saveexec_b32 s15, s14
.LBB175_1821:
	v_mov_b32_e32 v5, v1
.LBB175_1822:
	s_or_b32 exec_lo, exec_lo, s15
.LBB175_1823:
	s_delay_alu instid0(SALU_CYCLE_1)
	s_or_b32 exec_lo, exec_lo, s13
	global_store_b8 v[6:7], v5, off
.LBB175_1824:
	s_mov_b32 s13, -1
.LBB175_1825:
	s_mov_b32 s14, 0
.LBB175_1826:
	s_delay_alu instid0(SALU_CYCLE_1)
	s_and_b32 vcc_lo, exec_lo, s14
	s_cbranch_vccz .LBB175_1866
; %bb.1827:
	s_cmp_gt_i32 s7, 22
	s_mov_b32 s12, -1
	s_cbranch_scc0 .LBB175_1859
; %bb.1828:
	s_cmp_lt_i32 s7, 24
	s_cbranch_scc1 .LBB175_1848
; %bb.1829:
	s_cmp_gt_i32 s7, 24
	s_cbranch_scc0 .LBB175_1837
; %bb.1830:
	s_wait_xcnt 0x0
	v_cndmask_b32_e64 v3, 0, 1.0, s3
	v_mov_b32_e32 v5, 0x80
	s_mov_b32 s12, exec_lo
	s_delay_alu instid0(VALU_DEP_2)
	v_cmpx_gt_u32_e32 0x47800000, v3
	s_cbranch_execz .LBB175_1836
; %bb.1831:
	s_mov_b32 s13, 0
	s_mov_b32 s14, exec_lo
                                        ; implicit-def: $vgpr1
	v_cmpx_lt_u32_e32 0x37ffffff, v3
	s_xor_b32 s14, exec_lo, s14
	s_cbranch_execz .LBB175_2230
; %bb.1832:
	v_bfe_u32 v1, v3, 21, 1
	s_mov_b32 s13, exec_lo
	s_delay_alu instid0(VALU_DEP_1) | instskip(NEXT) | instid1(VALU_DEP_1)
	v_add3_u32 v1, v3, v1, 0x88fffff
                                        ; implicit-def: $vgpr3
	v_lshrrev_b32_e32 v1, 21, v1
	s_and_not1_saveexec_b32 s14, s14
	s_cbranch_execnz .LBB175_2231
.LBB175_1833:
	s_or_b32 exec_lo, exec_lo, s14
	v_mov_b32_e32 v5, 0
	s_and_saveexec_b32 s14, s13
.LBB175_1834:
	v_mov_b32_e32 v5, v1
.LBB175_1835:
	s_or_b32 exec_lo, exec_lo, s14
.LBB175_1836:
	s_delay_alu instid0(SALU_CYCLE_1)
	s_or_b32 exec_lo, exec_lo, s12
	s_mov_b32 s12, 0
	global_store_b8 v[6:7], v5, off
.LBB175_1837:
	s_and_b32 vcc_lo, exec_lo, s12
	s_cbranch_vccz .LBB175_1847
; %bb.1838:
	s_wait_xcnt 0x0
	v_cndmask_b32_e64 v3, 0, 1.0, s3
	s_mov_b32 s12, exec_lo
                                        ; implicit-def: $vgpr1
	s_delay_alu instid0(VALU_DEP_1)
	v_cmpx_gt_u32_e32 0x43f00000, v3
	s_xor_b32 s12, exec_lo, s12
	s_cbranch_execz .LBB175_1844
; %bb.1839:
	s_mov_b32 s13, exec_lo
                                        ; implicit-def: $vgpr1
	v_cmpx_lt_u32_e32 0x3c7fffff, v3
	s_xor_b32 s13, exec_lo, s13
; %bb.1840:
	v_bfe_u32 v1, v3, 20, 1
	s_delay_alu instid0(VALU_DEP_1) | instskip(NEXT) | instid1(VALU_DEP_1)
	v_add3_u32 v1, v3, v1, 0x407ffff
	v_and_b32_e32 v3, 0xff00000, v1
	v_lshrrev_b32_e32 v1, 20, v1
	s_delay_alu instid0(VALU_DEP_2) | instskip(NEXT) | instid1(VALU_DEP_2)
	v_cmp_ne_u32_e32 vcc_lo, 0x7f00000, v3
                                        ; implicit-def: $vgpr3
	v_cndmask_b32_e32 v1, 0x7e, v1, vcc_lo
; %bb.1841:
	s_and_not1_saveexec_b32 s13, s13
; %bb.1842:
	v_add_f32_e32 v1, 0x46800000, v3
; %bb.1843:
	s_or_b32 exec_lo, exec_lo, s13
                                        ; implicit-def: $vgpr3
.LBB175_1844:
	s_and_not1_saveexec_b32 s12, s12
; %bb.1845:
	v_mov_b32_e32 v1, 0x7f
	v_cmp_lt_u32_e32 vcc_lo, 0x7f800000, v3
	s_delay_alu instid0(VALU_DEP_2)
	v_cndmask_b32_e32 v1, 0x7e, v1, vcc_lo
; %bb.1846:
	s_or_b32 exec_lo, exec_lo, s12
	global_store_b8 v[6:7], v1, off
.LBB175_1847:
	s_mov_b32 s12, 0
.LBB175_1848:
	s_delay_alu instid0(SALU_CYCLE_1)
	s_and_not1_b32 vcc_lo, exec_lo, s12
	s_cbranch_vccnz .LBB175_1858
; %bb.1849:
	s_wait_xcnt 0x0
	v_cndmask_b32_e64 v3, 0, 1.0, s3
	s_mov_b32 s12, exec_lo
                                        ; implicit-def: $vgpr1
	s_delay_alu instid0(VALU_DEP_1)
	v_cmpx_gt_u32_e32 0x47800000, v3
	s_xor_b32 s12, exec_lo, s12
	s_cbranch_execz .LBB175_1855
; %bb.1850:
	s_mov_b32 s13, exec_lo
                                        ; implicit-def: $vgpr1
	v_cmpx_lt_u32_e32 0x387fffff, v3
	s_xor_b32 s13, exec_lo, s13
; %bb.1851:
	v_bfe_u32 v1, v3, 21, 1
	s_delay_alu instid0(VALU_DEP_1) | instskip(NEXT) | instid1(VALU_DEP_1)
	v_add3_u32 v1, v3, v1, 0x80fffff
                                        ; implicit-def: $vgpr3
	v_lshrrev_b32_e32 v1, 21, v1
; %bb.1852:
	s_and_not1_saveexec_b32 s13, s13
; %bb.1853:
	v_add_f32_e32 v1, 0x43000000, v3
; %bb.1854:
	s_or_b32 exec_lo, exec_lo, s13
                                        ; implicit-def: $vgpr3
.LBB175_1855:
	s_and_not1_saveexec_b32 s12, s12
; %bb.1856:
	v_mov_b32_e32 v1, 0x7f
	v_cmp_lt_u32_e32 vcc_lo, 0x7f800000, v3
	s_delay_alu instid0(VALU_DEP_2)
	v_cndmask_b32_e32 v1, 0x7c, v1, vcc_lo
; %bb.1857:
	s_or_b32 exec_lo, exec_lo, s12
	global_store_b8 v[6:7], v1, off
.LBB175_1858:
	s_mov_b32 s12, 0
	s_mov_b32 s13, -1
.LBB175_1859:
	s_and_not1_b32 vcc_lo, exec_lo, s12
	s_mov_b32 s12, 0
	s_cbranch_vccnz .LBB175_1866
; %bb.1860:
	s_cmp_gt_i32 s7, 14
	s_mov_b32 s12, -1
	s_cbranch_scc0 .LBB175_1864
; %bb.1861:
	s_cmp_eq_u32 s7, 15
	s_mov_b32 s0, -1
	s_cbranch_scc0 .LBB175_1863
; %bb.1862:
	s_wait_xcnt 0x0
	v_cndmask_b32_e64 v1, 0, 1.0, s3
	s_mov_b32 s0, 0
	s_mov_b32 s13, -1
	s_delay_alu instid0(VALU_DEP_1) | instskip(NEXT) | instid1(VALU_DEP_1)
	v_bfe_u32 v3, v1, 16, 1
	v_add3_u32 v1, v1, v3, 0x7fff
	global_store_d16_hi_b16 v[6:7], v1, off
.LBB175_1863:
	s_mov_b32 s12, 0
.LBB175_1864:
	s_delay_alu instid0(SALU_CYCLE_1)
	s_and_b32 vcc_lo, exec_lo, s12
	s_mov_b32 s12, 0
	s_cbranch_vccz .LBB175_1866
; %bb.1865:
	s_cmp_lg_u32 s7, 11
	s_mov_b32 s12, -1
	s_cselect_b32 s0, -1, 0
.LBB175_1866:
	s_delay_alu instid0(SALU_CYCLE_1)
	s_and_b32 vcc_lo, exec_lo, s0
	s_cbranch_vccnz .LBB175_2229
; %bb.1867:
	s_and_not1_b32 vcc_lo, exec_lo, s12
	s_cbranch_vccnz .LBB175_1869
.LBB175_1868:
	s_wait_xcnt 0x0
	v_cndmask_b32_e64 v1, 0, 1, s3
	s_mov_b32 s13, -1
	global_store_b8 v[6:7], v1, off
.LBB175_1869:
	s_mov_b32 s0, 0
	s_branch .LBB175_1871
.LBB175_1870:
	s_mov_b32 s0, -1
	s_mov_b32 s13, 0
.LBB175_1871:
	s_and_b32 vcc_lo, exec_lo, s0
	s_cbranch_vccz .LBB175_1910
; %bb.1872:
	s_and_b32 s0, 0xffff, s1
	s_mov_b32 s7, -1
	s_cmp_lt_i32 s0, 5
	s_cbranch_scc1 .LBB175_1893
; %bb.1873:
	s_cmp_lt_i32 s0, 8
	s_cbranch_scc1 .LBB175_1883
; %bb.1874:
	;; [unrolled: 3-line block ×3, first 2 shown]
	s_cmp_gt_i32 s0, 9
	s_cbranch_scc0 .LBB175_1877
; %bb.1876:
	s_wait_xcnt 0x0
	v_cndmask_b32_e64 v1, 0, 1, s3
	v_mov_b32_e32 v10, 0
	s_mov_b32 s7, 0
	s_delay_alu instid0(VALU_DEP_2) | instskip(NEXT) | instid1(VALU_DEP_2)
	v_cvt_f64_u32_e32 v[8:9], v1
	v_mov_b32_e32 v11, v10
	global_store_b128 v[6:7], v[8:11], off
.LBB175_1877:
	s_and_not1_b32 vcc_lo, exec_lo, s7
	s_cbranch_vccnz .LBB175_1879
; %bb.1878:
	s_wait_xcnt 0x0
	v_cndmask_b32_e64 v8, 0, 1.0, s3
	v_mov_b32_e32 v9, 0
	global_store_b64 v[6:7], v[8:9], off
.LBB175_1879:
	s_mov_b32 s7, 0
.LBB175_1880:
	s_delay_alu instid0(SALU_CYCLE_1)
	s_and_not1_b32 vcc_lo, exec_lo, s7
	s_cbranch_vccnz .LBB175_1882
; %bb.1881:
	s_wait_xcnt 0x0
	v_cndmask_b32_e64 v1, 0, 1.0, s3
	s_delay_alu instid0(VALU_DEP_1) | instskip(NEXT) | instid1(VALU_DEP_1)
	v_cvt_f16_f32_e32 v1, v1
	v_and_b32_e32 v1, 0xffff, v1
	global_store_b32 v[6:7], v1, off
.LBB175_1882:
	s_mov_b32 s7, 0
.LBB175_1883:
	s_delay_alu instid0(SALU_CYCLE_1)
	s_and_not1_b32 vcc_lo, exec_lo, s7
	s_cbranch_vccnz .LBB175_1892
; %bb.1884:
	s_cmp_lt_i32 s0, 6
	s_mov_b32 s7, -1
	s_cbranch_scc1 .LBB175_1890
; %bb.1885:
	s_cmp_gt_i32 s0, 6
	s_cbranch_scc0 .LBB175_1887
; %bb.1886:
	s_wait_xcnt 0x0
	v_cndmask_b32_e64 v1, 0, 1, s3
	s_mov_b32 s7, 0
	s_delay_alu instid0(VALU_DEP_1)
	v_cvt_f64_u32_e32 v[8:9], v1
	global_store_b64 v[6:7], v[8:9], off
.LBB175_1887:
	s_and_not1_b32 vcc_lo, exec_lo, s7
	s_cbranch_vccnz .LBB175_1889
; %bb.1888:
	s_wait_xcnt 0x0
	v_cndmask_b32_e64 v1, 0, 1.0, s3
	global_store_b32 v[6:7], v1, off
.LBB175_1889:
	s_mov_b32 s7, 0
.LBB175_1890:
	s_delay_alu instid0(SALU_CYCLE_1)
	s_and_not1_b32 vcc_lo, exec_lo, s7
	s_cbranch_vccnz .LBB175_1892
; %bb.1891:
	s_wait_xcnt 0x0
	v_cndmask_b32_e64 v1, 0, 1.0, s3
	s_delay_alu instid0(VALU_DEP_1)
	v_cvt_f16_f32_e32 v1, v1
	global_store_b16 v[6:7], v1, off
.LBB175_1892:
	s_mov_b32 s7, 0
.LBB175_1893:
	s_delay_alu instid0(SALU_CYCLE_1)
	s_and_not1_b32 vcc_lo, exec_lo, s7
	s_cbranch_vccnz .LBB175_1909
; %bb.1894:
	s_cmp_lt_i32 s0, 2
	s_mov_b32 s7, -1
	s_cbranch_scc1 .LBB175_1904
; %bb.1895:
	s_cmp_lt_i32 s0, 3
	s_cbranch_scc1 .LBB175_1901
; %bb.1896:
	s_cmp_gt_i32 s0, 3
	s_cbranch_scc0 .LBB175_1898
; %bb.1897:
	s_mov_b32 s7, 0
	s_wait_xcnt 0x0
	v_cndmask_b32_e64 v8, 0, 1, s3
	v_mov_b32_e32 v9, s7
	global_store_b64 v[6:7], v[8:9], off
.LBB175_1898:
	s_and_not1_b32 vcc_lo, exec_lo, s7
	s_cbranch_vccnz .LBB175_1900
; %bb.1899:
	s_wait_xcnt 0x0
	v_cndmask_b32_e64 v1, 0, 1, s3
	global_store_b32 v[6:7], v1, off
.LBB175_1900:
	s_mov_b32 s7, 0
.LBB175_1901:
	s_delay_alu instid0(SALU_CYCLE_1)
	s_and_not1_b32 vcc_lo, exec_lo, s7
	s_cbranch_vccnz .LBB175_1903
; %bb.1902:
	s_wait_xcnt 0x0
	v_cndmask_b32_e64 v1, 0, 1, s3
	global_store_b16 v[6:7], v1, off
.LBB175_1903:
	s_mov_b32 s7, 0
.LBB175_1904:
	s_delay_alu instid0(SALU_CYCLE_1)
	s_and_not1_b32 vcc_lo, exec_lo, s7
	s_cbranch_vccnz .LBB175_1909
; %bb.1905:
	s_wait_xcnt 0x0
	v_cndmask_b32_e64 v1, 0, 1, s3
	s_cmp_gt_i32 s0, 0
	s_mov_b32 s0, -1
	s_cbranch_scc0 .LBB175_1907
; %bb.1906:
	s_mov_b32 s0, 0
	global_store_b8 v[6:7], v1, off
.LBB175_1907:
	s_and_not1_b32 vcc_lo, exec_lo, s0
	s_cbranch_vccnz .LBB175_1909
; %bb.1908:
	global_store_b8 v[6:7], v1, off
.LBB175_1909:
	s_mov_b32 s13, -1
.LBB175_1910:
	s_delay_alu instid0(SALU_CYCLE_1)
	s_and_not1_b32 vcc_lo, exec_lo, s13
	s_cbranch_vccnz .LBB175_2225
; %bb.1911:
	s_wait_xcnt 0x0
	v_mov_b32_e32 v5, 0
	s_and_b32 s3, 0xffff, s1
	s_delay_alu instid0(SALU_CYCLE_1) | instskip(NEXT) | instid1(VALU_DEP_1)
	s_cmp_lt_i32 s3, 11
	v_add_nc_u64_e32 v[4:5], s[4:5], v[4:5]
	s_cbranch_scc1 .LBB175_1989
; %bb.1912:
	s_mov_b32 s13, -1
	s_mov_b32 s7, 0
	s_cmp_gt_i32 s3, 25
	s_mov_b32 s12, 0
	s_mov_b32 s0, 0
	s_cbranch_scc0 .LBB175_1945
; %bb.1913:
	s_cmp_gt_i32 s3, 28
	s_cbranch_scc0 .LBB175_1928
; %bb.1914:
	s_cmp_gt_i32 s3, 43
	;; [unrolled: 3-line block ×3, first 2 shown]
	s_cbranch_scc0 .LBB175_1918
; %bb.1916:
	s_mov_b32 s0, -1
	s_mov_b32 s13, 0
	s_cmp_eq_u32 s3, 46
	s_cbranch_scc0 .LBB175_1918
; %bb.1917:
	v_cndmask_b32_e64 v1, 0, 1.0, s10
	s_mov_b32 s0, 0
	s_mov_b32 s12, -1
	s_delay_alu instid0(VALU_DEP_1) | instskip(NEXT) | instid1(VALU_DEP_1)
	v_bfe_u32 v3, v1, 16, 1
	v_add3_u32 v1, v1, v3, 0x7fff
	s_delay_alu instid0(VALU_DEP_1)
	v_lshrrev_b32_e32 v1, 16, v1
	global_store_b32 v[4:5], v1, off
.LBB175_1918:
	s_and_b32 vcc_lo, exec_lo, s13
	s_cbranch_vccz .LBB175_1923
; %bb.1919:
	s_cmp_eq_u32 s3, 44
	s_mov_b32 s0, -1
	s_cbranch_scc0 .LBB175_1923
; %bb.1920:
	v_cndmask_b32_e64 v6, 0, 1.0, s10
	v_mov_b32_e32 v3, 0xff
	s_mov_b32 s12, exec_lo
	s_wait_xcnt 0x0
	s_delay_alu instid0(VALU_DEP_2) | instskip(NEXT) | instid1(VALU_DEP_1)
	v_lshrrev_b32_e32 v1, 23, v6
	v_cmpx_ne_u32_e32 0xff, v1
; %bb.1921:
	v_and_b32_e32 v3, 0x400000, v6
	v_and_or_b32 v6, 0x3fffff, v6, v1
	s_delay_alu instid0(VALU_DEP_2) | instskip(NEXT) | instid1(VALU_DEP_2)
	v_cmp_ne_u32_e32 vcc_lo, 0, v3
	v_cmp_ne_u32_e64 s0, 0, v6
	s_and_b32 s0, vcc_lo, s0
	s_delay_alu instid0(SALU_CYCLE_1) | instskip(NEXT) | instid1(VALU_DEP_1)
	v_cndmask_b32_e64 v3, 0, 1, s0
	v_add_nc_u32_e32 v3, v1, v3
; %bb.1922:
	s_or_b32 exec_lo, exec_lo, s12
	s_mov_b32 s0, 0
	s_mov_b32 s12, -1
	global_store_b8 v[4:5], v3, off
.LBB175_1923:
	s_mov_b32 s13, 0
.LBB175_1924:
	s_delay_alu instid0(SALU_CYCLE_1)
	s_and_b32 vcc_lo, exec_lo, s13
	s_cbranch_vccz .LBB175_1927
; %bb.1925:
	s_cmp_eq_u32 s3, 29
	s_mov_b32 s0, -1
	s_cbranch_scc0 .LBB175_1927
; %bb.1926:
	s_mov_b32 s0, 0
	v_cndmask_b32_e64 v6, 0, 1, s10
	v_mov_b32_e32 v7, s0
	s_mov_b32 s12, -1
	global_store_b64 v[4:5], v[6:7], off
.LBB175_1927:
	s_mov_b32 s13, 0
.LBB175_1928:
	s_delay_alu instid0(SALU_CYCLE_1)
	s_and_b32 vcc_lo, exec_lo, s13
	s_cbranch_vccz .LBB175_1944
; %bb.1929:
	s_cmp_lt_i32 s3, 27
	s_mov_b32 s12, -1
	s_cbranch_scc1 .LBB175_1935
; %bb.1930:
	s_cmp_gt_i32 s3, 27
	s_cbranch_scc0 .LBB175_1932
; %bb.1931:
	s_wait_xcnt 0x0
	v_cndmask_b32_e64 v1, 0, 1, s10
	s_mov_b32 s12, 0
	global_store_b32 v[4:5], v1, off
.LBB175_1932:
	s_and_not1_b32 vcc_lo, exec_lo, s12
	s_cbranch_vccnz .LBB175_1934
; %bb.1933:
	s_wait_xcnt 0x0
	v_cndmask_b32_e64 v1, 0, 1, s10
	global_store_b16 v[4:5], v1, off
.LBB175_1934:
	s_mov_b32 s12, 0
.LBB175_1935:
	s_delay_alu instid0(SALU_CYCLE_1)
	s_and_not1_b32 vcc_lo, exec_lo, s12
	s_cbranch_vccnz .LBB175_1943
; %bb.1936:
	s_wait_xcnt 0x0
	v_cndmask_b32_e64 v3, 0, 1.0, s10
	v_mov_b32_e32 v6, 0x80
	s_mov_b32 s12, exec_lo
	s_delay_alu instid0(VALU_DEP_2)
	v_cmpx_gt_u32_e32 0x43800000, v3
	s_cbranch_execz .LBB175_1942
; %bb.1937:
	s_mov_b32 s13, 0
	s_mov_b32 s14, exec_lo
                                        ; implicit-def: $vgpr1
	v_cmpx_lt_u32_e32 0x3bffffff, v3
	s_xor_b32 s14, exec_lo, s14
	s_cbranch_execz .LBB175_2232
; %bb.1938:
	v_bfe_u32 v1, v3, 20, 1
	s_mov_b32 s13, exec_lo
	s_delay_alu instid0(VALU_DEP_1) | instskip(NEXT) | instid1(VALU_DEP_1)
	v_add3_u32 v1, v3, v1, 0x487ffff
                                        ; implicit-def: $vgpr3
	v_lshrrev_b32_e32 v1, 20, v1
	s_and_not1_saveexec_b32 s14, s14
	s_cbranch_execnz .LBB175_2233
.LBB175_1939:
	s_or_b32 exec_lo, exec_lo, s14
	v_mov_b32_e32 v6, 0
	s_and_saveexec_b32 s14, s13
.LBB175_1940:
	v_mov_b32_e32 v6, v1
.LBB175_1941:
	s_or_b32 exec_lo, exec_lo, s14
.LBB175_1942:
	s_delay_alu instid0(SALU_CYCLE_1)
	s_or_b32 exec_lo, exec_lo, s12
	global_store_b8 v[4:5], v6, off
.LBB175_1943:
	s_mov_b32 s12, -1
.LBB175_1944:
	s_mov_b32 s13, 0
.LBB175_1945:
	s_delay_alu instid0(SALU_CYCLE_1)
	s_and_b32 vcc_lo, exec_lo, s13
	s_cbranch_vccz .LBB175_1985
; %bb.1946:
	s_cmp_gt_i32 s3, 22
	s_mov_b32 s7, -1
	s_cbranch_scc0 .LBB175_1978
; %bb.1947:
	s_cmp_lt_i32 s3, 24
	s_cbranch_scc1 .LBB175_1967
; %bb.1948:
	s_cmp_gt_i32 s3, 24
	s_cbranch_scc0 .LBB175_1956
; %bb.1949:
	s_wait_xcnt 0x0
	v_cndmask_b32_e64 v3, 0, 1.0, s10
	v_mov_b32_e32 v6, 0x80
	s_mov_b32 s7, exec_lo
	s_delay_alu instid0(VALU_DEP_2)
	v_cmpx_gt_u32_e32 0x47800000, v3
	s_cbranch_execz .LBB175_1955
; %bb.1950:
	s_mov_b32 s12, 0
	s_mov_b32 s13, exec_lo
                                        ; implicit-def: $vgpr1
	v_cmpx_lt_u32_e32 0x37ffffff, v3
	s_xor_b32 s13, exec_lo, s13
	s_cbranch_execz .LBB175_2235
; %bb.1951:
	v_bfe_u32 v1, v3, 21, 1
	s_mov_b32 s12, exec_lo
	s_delay_alu instid0(VALU_DEP_1) | instskip(NEXT) | instid1(VALU_DEP_1)
	v_add3_u32 v1, v3, v1, 0x88fffff
                                        ; implicit-def: $vgpr3
	v_lshrrev_b32_e32 v1, 21, v1
	s_and_not1_saveexec_b32 s13, s13
	s_cbranch_execnz .LBB175_2236
.LBB175_1952:
	s_or_b32 exec_lo, exec_lo, s13
	v_mov_b32_e32 v6, 0
	s_and_saveexec_b32 s13, s12
.LBB175_1953:
	v_mov_b32_e32 v6, v1
.LBB175_1954:
	s_or_b32 exec_lo, exec_lo, s13
.LBB175_1955:
	s_delay_alu instid0(SALU_CYCLE_1)
	s_or_b32 exec_lo, exec_lo, s7
	s_mov_b32 s7, 0
	global_store_b8 v[4:5], v6, off
.LBB175_1956:
	s_and_b32 vcc_lo, exec_lo, s7
	s_cbranch_vccz .LBB175_1966
; %bb.1957:
	s_wait_xcnt 0x0
	v_cndmask_b32_e64 v3, 0, 1.0, s10
	s_mov_b32 s7, exec_lo
                                        ; implicit-def: $vgpr1
	s_delay_alu instid0(VALU_DEP_1)
	v_cmpx_gt_u32_e32 0x43f00000, v3
	s_xor_b32 s7, exec_lo, s7
	s_cbranch_execz .LBB175_1963
; %bb.1958:
	s_mov_b32 s12, exec_lo
                                        ; implicit-def: $vgpr1
	v_cmpx_lt_u32_e32 0x3c7fffff, v3
	s_xor_b32 s12, exec_lo, s12
; %bb.1959:
	v_bfe_u32 v1, v3, 20, 1
	s_delay_alu instid0(VALU_DEP_1) | instskip(NEXT) | instid1(VALU_DEP_1)
	v_add3_u32 v1, v3, v1, 0x407ffff
	v_and_b32_e32 v3, 0xff00000, v1
	v_lshrrev_b32_e32 v1, 20, v1
	s_delay_alu instid0(VALU_DEP_2) | instskip(NEXT) | instid1(VALU_DEP_2)
	v_cmp_ne_u32_e32 vcc_lo, 0x7f00000, v3
                                        ; implicit-def: $vgpr3
	v_cndmask_b32_e32 v1, 0x7e, v1, vcc_lo
; %bb.1960:
	s_and_not1_saveexec_b32 s12, s12
; %bb.1961:
	v_add_f32_e32 v1, 0x46800000, v3
; %bb.1962:
	s_or_b32 exec_lo, exec_lo, s12
                                        ; implicit-def: $vgpr3
.LBB175_1963:
	s_and_not1_saveexec_b32 s7, s7
; %bb.1964:
	v_mov_b32_e32 v1, 0x7f
	v_cmp_lt_u32_e32 vcc_lo, 0x7f800000, v3
	s_delay_alu instid0(VALU_DEP_2)
	v_cndmask_b32_e32 v1, 0x7e, v1, vcc_lo
; %bb.1965:
	s_or_b32 exec_lo, exec_lo, s7
	global_store_b8 v[4:5], v1, off
.LBB175_1966:
	s_mov_b32 s7, 0
.LBB175_1967:
	s_delay_alu instid0(SALU_CYCLE_1)
	s_and_not1_b32 vcc_lo, exec_lo, s7
	s_cbranch_vccnz .LBB175_1977
; %bb.1968:
	s_wait_xcnt 0x0
	v_cndmask_b32_e64 v3, 0, 1.0, s10
	s_mov_b32 s7, exec_lo
                                        ; implicit-def: $vgpr1
	s_delay_alu instid0(VALU_DEP_1)
	v_cmpx_gt_u32_e32 0x47800000, v3
	s_xor_b32 s7, exec_lo, s7
	s_cbranch_execz .LBB175_1974
; %bb.1969:
	s_mov_b32 s12, exec_lo
                                        ; implicit-def: $vgpr1
	v_cmpx_lt_u32_e32 0x387fffff, v3
	s_xor_b32 s12, exec_lo, s12
; %bb.1970:
	v_bfe_u32 v1, v3, 21, 1
	s_delay_alu instid0(VALU_DEP_1) | instskip(NEXT) | instid1(VALU_DEP_1)
	v_add3_u32 v1, v3, v1, 0x80fffff
                                        ; implicit-def: $vgpr3
	v_lshrrev_b32_e32 v1, 21, v1
; %bb.1971:
	s_and_not1_saveexec_b32 s12, s12
; %bb.1972:
	v_add_f32_e32 v1, 0x43000000, v3
; %bb.1973:
	s_or_b32 exec_lo, exec_lo, s12
                                        ; implicit-def: $vgpr3
.LBB175_1974:
	s_and_not1_saveexec_b32 s7, s7
; %bb.1975:
	v_mov_b32_e32 v1, 0x7f
	v_cmp_lt_u32_e32 vcc_lo, 0x7f800000, v3
	s_delay_alu instid0(VALU_DEP_2)
	v_cndmask_b32_e32 v1, 0x7c, v1, vcc_lo
; %bb.1976:
	s_or_b32 exec_lo, exec_lo, s7
	global_store_b8 v[4:5], v1, off
.LBB175_1977:
	s_mov_b32 s7, 0
	s_mov_b32 s12, -1
.LBB175_1978:
	s_and_not1_b32 vcc_lo, exec_lo, s7
	s_mov_b32 s7, 0
	s_cbranch_vccnz .LBB175_1985
; %bb.1979:
	s_cmp_gt_i32 s3, 14
	s_mov_b32 s7, -1
	s_cbranch_scc0 .LBB175_1983
; %bb.1980:
	s_cmp_eq_u32 s3, 15
	s_mov_b32 s0, -1
	s_cbranch_scc0 .LBB175_1982
; %bb.1981:
	s_wait_xcnt 0x0
	v_cndmask_b32_e64 v1, 0, 1.0, s10
	s_mov_b32 s0, 0
	s_mov_b32 s12, -1
	s_delay_alu instid0(VALU_DEP_1) | instskip(NEXT) | instid1(VALU_DEP_1)
	v_bfe_u32 v3, v1, 16, 1
	v_add3_u32 v1, v1, v3, 0x7fff
	global_store_d16_hi_b16 v[4:5], v1, off
.LBB175_1982:
	s_mov_b32 s7, 0
.LBB175_1983:
	s_delay_alu instid0(SALU_CYCLE_1)
	s_and_b32 vcc_lo, exec_lo, s7
	s_mov_b32 s7, 0
	s_cbranch_vccz .LBB175_1985
; %bb.1984:
	s_cmp_lg_u32 s3, 11
	s_mov_b32 s7, -1
	s_cselect_b32 s0, -1, 0
.LBB175_1985:
	s_delay_alu instid0(SALU_CYCLE_1)
	s_and_b32 vcc_lo, exec_lo, s0
	s_cbranch_vccnz .LBB175_2234
; %bb.1986:
	s_and_not1_b32 vcc_lo, exec_lo, s7
	s_cbranch_vccnz .LBB175_1988
.LBB175_1987:
	s_wait_xcnt 0x0
	v_cndmask_b32_e64 v1, 0, 1, s10
	s_mov_b32 s12, -1
	global_store_b8 v[4:5], v1, off
.LBB175_1988:
	s_mov_b32 s0, 0
	s_branch .LBB175_1990
.LBB175_1989:
	s_mov_b32 s0, -1
	s_mov_b32 s12, 0
.LBB175_1990:
	s_and_b32 vcc_lo, exec_lo, s0
	s_cbranch_vccz .LBB175_2029
; %bb.1991:
	s_cmp_lt_i32 s3, 5
	s_mov_b32 s0, -1
	s_cbranch_scc1 .LBB175_2012
; %bb.1992:
	s_cmp_lt_i32 s3, 8
	s_cbranch_scc1 .LBB175_2002
; %bb.1993:
	s_cmp_lt_i32 s3, 9
	s_cbranch_scc1 .LBB175_1999
; %bb.1994:
	s_cmp_gt_i32 s3, 9
	s_cbranch_scc0 .LBB175_1996
; %bb.1995:
	s_wait_xcnt 0x0
	v_cndmask_b32_e64 v1, 0, 1, s10
	v_mov_b32_e32 v8, 0
	s_mov_b32 s0, 0
	s_delay_alu instid0(VALU_DEP_2) | instskip(NEXT) | instid1(VALU_DEP_2)
	v_cvt_f64_u32_e32 v[6:7], v1
	v_mov_b32_e32 v9, v8
	global_store_b128 v[4:5], v[6:9], off
.LBB175_1996:
	s_and_not1_b32 vcc_lo, exec_lo, s0
	s_cbranch_vccnz .LBB175_1998
; %bb.1997:
	s_wait_xcnt 0x0
	v_cndmask_b32_e64 v6, 0, 1.0, s10
	v_mov_b32_e32 v7, 0
	global_store_b64 v[4:5], v[6:7], off
.LBB175_1998:
	s_mov_b32 s0, 0
.LBB175_1999:
	s_delay_alu instid0(SALU_CYCLE_1)
	s_and_not1_b32 vcc_lo, exec_lo, s0
	s_cbranch_vccnz .LBB175_2001
; %bb.2000:
	s_wait_xcnt 0x0
	v_cndmask_b32_e64 v1, 0, 1.0, s10
	s_delay_alu instid0(VALU_DEP_1) | instskip(NEXT) | instid1(VALU_DEP_1)
	v_cvt_f16_f32_e32 v1, v1
	v_and_b32_e32 v1, 0xffff, v1
	global_store_b32 v[4:5], v1, off
.LBB175_2001:
	s_mov_b32 s0, 0
.LBB175_2002:
	s_delay_alu instid0(SALU_CYCLE_1)
	s_and_not1_b32 vcc_lo, exec_lo, s0
	s_cbranch_vccnz .LBB175_2011
; %bb.2003:
	s_cmp_lt_i32 s3, 6
	s_mov_b32 s0, -1
	s_cbranch_scc1 .LBB175_2009
; %bb.2004:
	s_cmp_gt_i32 s3, 6
	s_cbranch_scc0 .LBB175_2006
; %bb.2005:
	s_wait_xcnt 0x0
	v_cndmask_b32_e64 v1, 0, 1, s10
	s_mov_b32 s0, 0
	s_delay_alu instid0(VALU_DEP_1)
	v_cvt_f64_u32_e32 v[6:7], v1
	global_store_b64 v[4:5], v[6:7], off
.LBB175_2006:
	s_and_not1_b32 vcc_lo, exec_lo, s0
	s_cbranch_vccnz .LBB175_2008
; %bb.2007:
	s_wait_xcnt 0x0
	v_cndmask_b32_e64 v1, 0, 1.0, s10
	global_store_b32 v[4:5], v1, off
.LBB175_2008:
	s_mov_b32 s0, 0
.LBB175_2009:
	s_delay_alu instid0(SALU_CYCLE_1)
	s_and_not1_b32 vcc_lo, exec_lo, s0
	s_cbranch_vccnz .LBB175_2011
; %bb.2010:
	s_wait_xcnt 0x0
	v_cndmask_b32_e64 v1, 0, 1.0, s10
	s_delay_alu instid0(VALU_DEP_1)
	v_cvt_f16_f32_e32 v1, v1
	global_store_b16 v[4:5], v1, off
.LBB175_2011:
	s_mov_b32 s0, 0
.LBB175_2012:
	s_delay_alu instid0(SALU_CYCLE_1)
	s_and_not1_b32 vcc_lo, exec_lo, s0
	s_cbranch_vccnz .LBB175_2028
; %bb.2013:
	s_cmp_lt_i32 s3, 2
	s_mov_b32 s0, -1
	s_cbranch_scc1 .LBB175_2023
; %bb.2014:
	s_cmp_lt_i32 s3, 3
	s_cbranch_scc1 .LBB175_2020
; %bb.2015:
	s_cmp_gt_i32 s3, 3
	s_cbranch_scc0 .LBB175_2017
; %bb.2016:
	s_mov_b32 s0, 0
	s_wait_xcnt 0x0
	v_cndmask_b32_e64 v6, 0, 1, s10
	v_mov_b32_e32 v7, s0
	global_store_b64 v[4:5], v[6:7], off
.LBB175_2017:
	s_and_not1_b32 vcc_lo, exec_lo, s0
	s_cbranch_vccnz .LBB175_2019
; %bb.2018:
	s_wait_xcnt 0x0
	v_cndmask_b32_e64 v1, 0, 1, s10
	global_store_b32 v[4:5], v1, off
.LBB175_2019:
	s_mov_b32 s0, 0
.LBB175_2020:
	s_delay_alu instid0(SALU_CYCLE_1)
	s_and_not1_b32 vcc_lo, exec_lo, s0
	s_cbranch_vccnz .LBB175_2022
; %bb.2021:
	s_wait_xcnt 0x0
	v_cndmask_b32_e64 v1, 0, 1, s10
	global_store_b16 v[4:5], v1, off
.LBB175_2022:
	s_mov_b32 s0, 0
.LBB175_2023:
	s_delay_alu instid0(SALU_CYCLE_1)
	s_and_not1_b32 vcc_lo, exec_lo, s0
	s_cbranch_vccnz .LBB175_2028
; %bb.2024:
	s_wait_xcnt 0x0
	v_cndmask_b32_e64 v1, 0, 1, s10
	s_cmp_gt_i32 s3, 0
	s_mov_b32 s0, -1
	s_cbranch_scc0 .LBB175_2026
; %bb.2025:
	s_mov_b32 s0, 0
	global_store_b8 v[4:5], v1, off
.LBB175_2026:
	s_and_not1_b32 vcc_lo, exec_lo, s0
	s_cbranch_vccnz .LBB175_2028
; %bb.2027:
	global_store_b8 v[4:5], v1, off
.LBB175_2028:
	s_mov_b32 s12, -1
.LBB175_2029:
	s_delay_alu instid0(SALU_CYCLE_1)
	s_and_not1_b32 vcc_lo, exec_lo, s12
	s_cbranch_vccnz .LBB175_2225
; %bb.2030:
	s_wait_xcnt 0x0
	v_mov_b32_e32 v3, 0
	s_cmp_lt_i32 s3, 11
	s_delay_alu instid0(VALU_DEP_1)
	v_add_nc_u64_e32 v[2:3], s[4:5], v[2:3]
	s_cbranch_scc1 .LBB175_2108
; %bb.2031:
	s_mov_b32 s12, -1
	s_mov_b32 s7, 0
	s_cmp_gt_i32 s3, 25
	s_mov_b32 s10, 0
	s_mov_b32 s0, 0
	s_cbranch_scc0 .LBB175_2064
; %bb.2032:
	s_cmp_gt_i32 s3, 28
	s_cbranch_scc0 .LBB175_2047
; %bb.2033:
	s_cmp_gt_i32 s3, 43
	;; [unrolled: 3-line block ×3, first 2 shown]
	s_cbranch_scc0 .LBB175_2037
; %bb.2035:
	s_mov_b32 s0, -1
	s_mov_b32 s12, 0
	s_cmp_eq_u32 s3, 46
	s_cbranch_scc0 .LBB175_2037
; %bb.2036:
	v_cndmask_b32_e64 v1, 0, 1.0, s11
	s_mov_b32 s0, 0
	s_mov_b32 s10, -1
	s_delay_alu instid0(VALU_DEP_1) | instskip(NEXT) | instid1(VALU_DEP_1)
	v_bfe_u32 v4, v1, 16, 1
	v_add3_u32 v1, v1, v4, 0x7fff
	s_delay_alu instid0(VALU_DEP_1)
	v_lshrrev_b32_e32 v1, 16, v1
	global_store_b32 v[2:3], v1, off
.LBB175_2037:
	s_and_b32 vcc_lo, exec_lo, s12
	s_cbranch_vccz .LBB175_2042
; %bb.2038:
	s_cmp_eq_u32 s3, 44
	s_mov_b32 s0, -1
	s_cbranch_scc0 .LBB175_2042
; %bb.2039:
	v_cndmask_b32_e64 v5, 0, 1.0, s11
	s_mov_b32 s10, exec_lo
	s_wait_xcnt 0x0
	s_delay_alu instid0(VALU_DEP_1) | instskip(NEXT) | instid1(VALU_DEP_1)
	v_dual_mov_b32 v4, 0xff :: v_dual_lshrrev_b32 v1, 23, v5
	v_cmpx_ne_u32_e32 0xff, v1
; %bb.2040:
	v_and_b32_e32 v4, 0x400000, v5
	v_and_or_b32 v5, 0x3fffff, v5, v1
	s_delay_alu instid0(VALU_DEP_2) | instskip(NEXT) | instid1(VALU_DEP_2)
	v_cmp_ne_u32_e32 vcc_lo, 0, v4
	v_cmp_ne_u32_e64 s0, 0, v5
	s_and_b32 s0, vcc_lo, s0
	s_delay_alu instid0(SALU_CYCLE_1) | instskip(NEXT) | instid1(VALU_DEP_1)
	v_cndmask_b32_e64 v4, 0, 1, s0
	v_add_nc_u32_e32 v4, v1, v4
; %bb.2041:
	s_or_b32 exec_lo, exec_lo, s10
	s_mov_b32 s0, 0
	s_mov_b32 s10, -1
	global_store_b8 v[2:3], v4, off
.LBB175_2042:
	s_mov_b32 s12, 0
.LBB175_2043:
	s_delay_alu instid0(SALU_CYCLE_1)
	s_and_b32 vcc_lo, exec_lo, s12
	s_cbranch_vccz .LBB175_2046
; %bb.2044:
	s_cmp_eq_u32 s3, 29
	s_mov_b32 s0, -1
	s_cbranch_scc0 .LBB175_2046
; %bb.2045:
	s_mov_b32 s0, 0
	s_wait_xcnt 0x0
	v_cndmask_b32_e64 v4, 0, 1, s11
	v_mov_b32_e32 v5, s0
	s_mov_b32 s10, -1
	global_store_b64 v[2:3], v[4:5], off
.LBB175_2046:
	s_mov_b32 s12, 0
.LBB175_2047:
	s_delay_alu instid0(SALU_CYCLE_1)
	s_and_b32 vcc_lo, exec_lo, s12
	s_cbranch_vccz .LBB175_2063
; %bb.2048:
	s_cmp_lt_i32 s3, 27
	s_mov_b32 s10, -1
	s_cbranch_scc1 .LBB175_2054
; %bb.2049:
	s_cmp_gt_i32 s3, 27
	s_cbranch_scc0 .LBB175_2051
; %bb.2050:
	s_wait_xcnt 0x0
	v_cndmask_b32_e64 v1, 0, 1, s11
	s_mov_b32 s10, 0
	global_store_b32 v[2:3], v1, off
.LBB175_2051:
	s_and_not1_b32 vcc_lo, exec_lo, s10
	s_cbranch_vccnz .LBB175_2053
; %bb.2052:
	s_wait_xcnt 0x0
	v_cndmask_b32_e64 v1, 0, 1, s11
	global_store_b16 v[2:3], v1, off
.LBB175_2053:
	s_mov_b32 s10, 0
.LBB175_2054:
	s_delay_alu instid0(SALU_CYCLE_1)
	s_and_not1_b32 vcc_lo, exec_lo, s10
	s_cbranch_vccnz .LBB175_2062
; %bb.2055:
	s_wait_xcnt 0x0
	v_cndmask_b32_e64 v4, 0, 1.0, s11
	v_mov_b32_e32 v5, 0x80
	s_mov_b32 s10, exec_lo
	s_delay_alu instid0(VALU_DEP_2)
	v_cmpx_gt_u32_e32 0x43800000, v4
	s_cbranch_execz .LBB175_2061
; %bb.2056:
	s_mov_b32 s12, 0
	s_mov_b32 s13, exec_lo
                                        ; implicit-def: $vgpr1
	v_cmpx_lt_u32_e32 0x3bffffff, v4
	s_xor_b32 s13, exec_lo, s13
	s_cbranch_execz .LBB175_2237
; %bb.2057:
	v_bfe_u32 v1, v4, 20, 1
	s_mov_b32 s12, exec_lo
	s_delay_alu instid0(VALU_DEP_1) | instskip(NEXT) | instid1(VALU_DEP_1)
	v_add3_u32 v1, v4, v1, 0x487ffff
                                        ; implicit-def: $vgpr4
	v_lshrrev_b32_e32 v1, 20, v1
	s_and_not1_saveexec_b32 s13, s13
	s_cbranch_execnz .LBB175_2238
.LBB175_2058:
	s_or_b32 exec_lo, exec_lo, s13
	v_mov_b32_e32 v5, 0
	s_and_saveexec_b32 s13, s12
.LBB175_2059:
	v_mov_b32_e32 v5, v1
.LBB175_2060:
	s_or_b32 exec_lo, exec_lo, s13
.LBB175_2061:
	s_delay_alu instid0(SALU_CYCLE_1)
	s_or_b32 exec_lo, exec_lo, s10
	global_store_b8 v[2:3], v5, off
.LBB175_2062:
	s_mov_b32 s10, -1
.LBB175_2063:
	s_mov_b32 s12, 0
.LBB175_2064:
	s_delay_alu instid0(SALU_CYCLE_1)
	s_and_b32 vcc_lo, exec_lo, s12
	s_cbranch_vccz .LBB175_2104
; %bb.2065:
	s_cmp_gt_i32 s3, 22
	s_mov_b32 s7, -1
	s_cbranch_scc0 .LBB175_2097
; %bb.2066:
	s_cmp_lt_i32 s3, 24
	s_cbranch_scc1 .LBB175_2086
; %bb.2067:
	s_cmp_gt_i32 s3, 24
	s_cbranch_scc0 .LBB175_2075
; %bb.2068:
	s_wait_xcnt 0x0
	v_cndmask_b32_e64 v4, 0, 1.0, s11
	v_mov_b32_e32 v5, 0x80
	s_mov_b32 s7, exec_lo
	s_delay_alu instid0(VALU_DEP_2)
	v_cmpx_gt_u32_e32 0x47800000, v4
	s_cbranch_execz .LBB175_2074
; %bb.2069:
	s_mov_b32 s10, 0
	s_mov_b32 s12, exec_lo
                                        ; implicit-def: $vgpr1
	v_cmpx_lt_u32_e32 0x37ffffff, v4
	s_xor_b32 s12, exec_lo, s12
	s_cbranch_execz .LBB175_2240
; %bb.2070:
	v_bfe_u32 v1, v4, 21, 1
	s_mov_b32 s10, exec_lo
	s_delay_alu instid0(VALU_DEP_1) | instskip(NEXT) | instid1(VALU_DEP_1)
	v_add3_u32 v1, v4, v1, 0x88fffff
                                        ; implicit-def: $vgpr4
	v_lshrrev_b32_e32 v1, 21, v1
	s_and_not1_saveexec_b32 s12, s12
	s_cbranch_execnz .LBB175_2241
.LBB175_2071:
	s_or_b32 exec_lo, exec_lo, s12
	v_mov_b32_e32 v5, 0
	s_and_saveexec_b32 s12, s10
.LBB175_2072:
	v_mov_b32_e32 v5, v1
.LBB175_2073:
	s_or_b32 exec_lo, exec_lo, s12
.LBB175_2074:
	s_delay_alu instid0(SALU_CYCLE_1)
	s_or_b32 exec_lo, exec_lo, s7
	s_mov_b32 s7, 0
	global_store_b8 v[2:3], v5, off
.LBB175_2075:
	s_and_b32 vcc_lo, exec_lo, s7
	s_cbranch_vccz .LBB175_2085
; %bb.2076:
	s_wait_xcnt 0x0
	v_cndmask_b32_e64 v4, 0, 1.0, s11
	s_mov_b32 s7, exec_lo
                                        ; implicit-def: $vgpr1
	s_delay_alu instid0(VALU_DEP_1)
	v_cmpx_gt_u32_e32 0x43f00000, v4
	s_xor_b32 s7, exec_lo, s7
	s_cbranch_execz .LBB175_2082
; %bb.2077:
	s_mov_b32 s10, exec_lo
                                        ; implicit-def: $vgpr1
	v_cmpx_lt_u32_e32 0x3c7fffff, v4
	s_xor_b32 s10, exec_lo, s10
; %bb.2078:
	v_bfe_u32 v1, v4, 20, 1
	s_delay_alu instid0(VALU_DEP_1) | instskip(NEXT) | instid1(VALU_DEP_1)
	v_add3_u32 v1, v4, v1, 0x407ffff
	v_and_b32_e32 v4, 0xff00000, v1
	v_lshrrev_b32_e32 v1, 20, v1
	s_delay_alu instid0(VALU_DEP_2) | instskip(NEXT) | instid1(VALU_DEP_2)
	v_cmp_ne_u32_e32 vcc_lo, 0x7f00000, v4
                                        ; implicit-def: $vgpr4
	v_cndmask_b32_e32 v1, 0x7e, v1, vcc_lo
; %bb.2079:
	s_and_not1_saveexec_b32 s10, s10
; %bb.2080:
	v_add_f32_e32 v1, 0x46800000, v4
; %bb.2081:
	s_or_b32 exec_lo, exec_lo, s10
                                        ; implicit-def: $vgpr4
.LBB175_2082:
	s_and_not1_saveexec_b32 s7, s7
; %bb.2083:
	v_mov_b32_e32 v1, 0x7f
	v_cmp_lt_u32_e32 vcc_lo, 0x7f800000, v4
	s_delay_alu instid0(VALU_DEP_2)
	v_cndmask_b32_e32 v1, 0x7e, v1, vcc_lo
; %bb.2084:
	s_or_b32 exec_lo, exec_lo, s7
	global_store_b8 v[2:3], v1, off
.LBB175_2085:
	s_mov_b32 s7, 0
.LBB175_2086:
	s_delay_alu instid0(SALU_CYCLE_1)
	s_and_not1_b32 vcc_lo, exec_lo, s7
	s_cbranch_vccnz .LBB175_2096
; %bb.2087:
	s_wait_xcnt 0x0
	v_cndmask_b32_e64 v4, 0, 1.0, s11
	s_mov_b32 s7, exec_lo
                                        ; implicit-def: $vgpr1
	s_delay_alu instid0(VALU_DEP_1)
	v_cmpx_gt_u32_e32 0x47800000, v4
	s_xor_b32 s7, exec_lo, s7
	s_cbranch_execz .LBB175_2093
; %bb.2088:
	s_mov_b32 s10, exec_lo
                                        ; implicit-def: $vgpr1
	v_cmpx_lt_u32_e32 0x387fffff, v4
	s_xor_b32 s10, exec_lo, s10
; %bb.2089:
	v_bfe_u32 v1, v4, 21, 1
	s_delay_alu instid0(VALU_DEP_1) | instskip(NEXT) | instid1(VALU_DEP_1)
	v_add3_u32 v1, v4, v1, 0x80fffff
                                        ; implicit-def: $vgpr4
	v_lshrrev_b32_e32 v1, 21, v1
; %bb.2090:
	s_and_not1_saveexec_b32 s10, s10
; %bb.2091:
	v_add_f32_e32 v1, 0x43000000, v4
; %bb.2092:
	s_or_b32 exec_lo, exec_lo, s10
                                        ; implicit-def: $vgpr4
.LBB175_2093:
	s_and_not1_saveexec_b32 s7, s7
; %bb.2094:
	v_mov_b32_e32 v1, 0x7f
	v_cmp_lt_u32_e32 vcc_lo, 0x7f800000, v4
	s_delay_alu instid0(VALU_DEP_2)
	v_cndmask_b32_e32 v1, 0x7c, v1, vcc_lo
; %bb.2095:
	s_or_b32 exec_lo, exec_lo, s7
	global_store_b8 v[2:3], v1, off
.LBB175_2096:
	s_mov_b32 s7, 0
	s_mov_b32 s10, -1
.LBB175_2097:
	s_and_not1_b32 vcc_lo, exec_lo, s7
	s_mov_b32 s7, 0
	s_cbranch_vccnz .LBB175_2104
; %bb.2098:
	s_cmp_gt_i32 s3, 14
	s_mov_b32 s7, -1
	s_cbranch_scc0 .LBB175_2102
; %bb.2099:
	s_cmp_eq_u32 s3, 15
	s_mov_b32 s0, -1
	s_cbranch_scc0 .LBB175_2101
; %bb.2100:
	s_wait_xcnt 0x0
	v_cndmask_b32_e64 v1, 0, 1.0, s11
	s_mov_b32 s0, 0
	s_mov_b32 s10, -1
	s_delay_alu instid0(VALU_DEP_1) | instskip(NEXT) | instid1(VALU_DEP_1)
	v_bfe_u32 v4, v1, 16, 1
	v_add3_u32 v1, v1, v4, 0x7fff
	global_store_d16_hi_b16 v[2:3], v1, off
.LBB175_2101:
	s_mov_b32 s7, 0
.LBB175_2102:
	s_delay_alu instid0(SALU_CYCLE_1)
	s_and_b32 vcc_lo, exec_lo, s7
	s_mov_b32 s7, 0
	s_cbranch_vccz .LBB175_2104
; %bb.2103:
	s_cmp_lg_u32 s3, 11
	s_mov_b32 s7, -1
	s_cselect_b32 s0, -1, 0
.LBB175_2104:
	s_delay_alu instid0(SALU_CYCLE_1)
	s_and_b32 vcc_lo, exec_lo, s0
	s_cbranch_vccnz .LBB175_2239
; %bb.2105:
	s_and_not1_b32 vcc_lo, exec_lo, s7
	s_cbranch_vccnz .LBB175_2107
.LBB175_2106:
	s_wait_xcnt 0x0
	v_cndmask_b32_e64 v1, 0, 1, s11
	s_mov_b32 s10, -1
	global_store_b8 v[2:3], v1, off
.LBB175_2107:
	s_mov_b32 s0, 0
	s_branch .LBB175_2109
.LBB175_2108:
	s_mov_b32 s0, -1
	s_mov_b32 s10, 0
.LBB175_2109:
	s_and_b32 vcc_lo, exec_lo, s0
	s_cbranch_vccz .LBB175_2148
; %bb.2110:
	s_cmp_lt_i32 s3, 5
	s_mov_b32 s0, -1
	s_cbranch_scc1 .LBB175_2131
; %bb.2111:
	s_cmp_lt_i32 s3, 8
	s_cbranch_scc1 .LBB175_2121
; %bb.2112:
	s_cmp_lt_i32 s3, 9
	s_cbranch_scc1 .LBB175_2118
; %bb.2113:
	s_cmp_gt_i32 s3, 9
	s_cbranch_scc0 .LBB175_2115
; %bb.2114:
	s_wait_xcnt 0x0
	v_cndmask_b32_e64 v1, 0, 1, s11
	v_mov_b32_e32 v6, 0
	s_mov_b32 s0, 0
	s_delay_alu instid0(VALU_DEP_2) | instskip(NEXT) | instid1(VALU_DEP_2)
	v_cvt_f64_u32_e32 v[4:5], v1
	v_mov_b32_e32 v7, v6
	global_store_b128 v[2:3], v[4:7], off
.LBB175_2115:
	s_and_not1_b32 vcc_lo, exec_lo, s0
	s_cbranch_vccnz .LBB175_2117
; %bb.2116:
	s_wait_xcnt 0x0
	v_cndmask_b32_e64 v4, 0, 1.0, s11
	v_mov_b32_e32 v5, 0
	global_store_b64 v[2:3], v[4:5], off
.LBB175_2117:
	s_mov_b32 s0, 0
.LBB175_2118:
	s_delay_alu instid0(SALU_CYCLE_1)
	s_and_not1_b32 vcc_lo, exec_lo, s0
	s_cbranch_vccnz .LBB175_2120
; %bb.2119:
	s_wait_xcnt 0x0
	v_cndmask_b32_e64 v1, 0, 1.0, s11
	s_delay_alu instid0(VALU_DEP_1) | instskip(NEXT) | instid1(VALU_DEP_1)
	v_cvt_f16_f32_e32 v1, v1
	v_and_b32_e32 v1, 0xffff, v1
	global_store_b32 v[2:3], v1, off
.LBB175_2120:
	s_mov_b32 s0, 0
.LBB175_2121:
	s_delay_alu instid0(SALU_CYCLE_1)
	s_and_not1_b32 vcc_lo, exec_lo, s0
	s_cbranch_vccnz .LBB175_2130
; %bb.2122:
	s_cmp_lt_i32 s3, 6
	s_mov_b32 s0, -1
	s_cbranch_scc1 .LBB175_2128
; %bb.2123:
	s_cmp_gt_i32 s3, 6
	s_cbranch_scc0 .LBB175_2125
; %bb.2124:
	s_wait_xcnt 0x0
	v_cndmask_b32_e64 v1, 0, 1, s11
	s_mov_b32 s0, 0
	s_delay_alu instid0(VALU_DEP_1)
	v_cvt_f64_u32_e32 v[4:5], v1
	global_store_b64 v[2:3], v[4:5], off
.LBB175_2125:
	s_and_not1_b32 vcc_lo, exec_lo, s0
	s_cbranch_vccnz .LBB175_2127
; %bb.2126:
	s_wait_xcnt 0x0
	v_cndmask_b32_e64 v1, 0, 1.0, s11
	global_store_b32 v[2:3], v1, off
.LBB175_2127:
	s_mov_b32 s0, 0
.LBB175_2128:
	s_delay_alu instid0(SALU_CYCLE_1)
	s_and_not1_b32 vcc_lo, exec_lo, s0
	s_cbranch_vccnz .LBB175_2130
; %bb.2129:
	s_wait_xcnt 0x0
	v_cndmask_b32_e64 v1, 0, 1.0, s11
	s_delay_alu instid0(VALU_DEP_1)
	v_cvt_f16_f32_e32 v1, v1
	global_store_b16 v[2:3], v1, off
.LBB175_2130:
	s_mov_b32 s0, 0
.LBB175_2131:
	s_delay_alu instid0(SALU_CYCLE_1)
	s_and_not1_b32 vcc_lo, exec_lo, s0
	s_cbranch_vccnz .LBB175_2147
; %bb.2132:
	s_cmp_lt_i32 s3, 2
	s_mov_b32 s0, -1
	s_cbranch_scc1 .LBB175_2142
; %bb.2133:
	s_cmp_lt_i32 s3, 3
	s_cbranch_scc1 .LBB175_2139
; %bb.2134:
	s_cmp_gt_i32 s3, 3
	s_cbranch_scc0 .LBB175_2136
; %bb.2135:
	s_mov_b32 s0, 0
	s_wait_xcnt 0x0
	v_cndmask_b32_e64 v4, 0, 1, s11
	v_mov_b32_e32 v5, s0
	global_store_b64 v[2:3], v[4:5], off
.LBB175_2136:
	s_and_not1_b32 vcc_lo, exec_lo, s0
	s_cbranch_vccnz .LBB175_2138
; %bb.2137:
	s_wait_xcnt 0x0
	v_cndmask_b32_e64 v1, 0, 1, s11
	global_store_b32 v[2:3], v1, off
.LBB175_2138:
	s_mov_b32 s0, 0
.LBB175_2139:
	s_delay_alu instid0(SALU_CYCLE_1)
	s_and_not1_b32 vcc_lo, exec_lo, s0
	s_cbranch_vccnz .LBB175_2141
; %bb.2140:
	s_wait_xcnt 0x0
	v_cndmask_b32_e64 v1, 0, 1, s11
	global_store_b16 v[2:3], v1, off
.LBB175_2141:
	s_mov_b32 s0, 0
.LBB175_2142:
	s_delay_alu instid0(SALU_CYCLE_1)
	s_and_not1_b32 vcc_lo, exec_lo, s0
	s_cbranch_vccnz .LBB175_2147
; %bb.2143:
	s_cmp_gt_i32 s3, 0
	s_mov_b32 s0, -1
	s_cbranch_scc0 .LBB175_2145
; %bb.2144:
	s_wait_xcnt 0x0
	v_cndmask_b32_e64 v1, 0, 1, s11
	s_mov_b32 s0, 0
	global_store_b8 v[2:3], v1, off
.LBB175_2145:
	s_and_not1_b32 vcc_lo, exec_lo, s0
	s_cbranch_vccnz .LBB175_2147
; %bb.2146:
	s_wait_xcnt 0x0
	v_cndmask_b32_e64 v1, 0, 1, s11
	global_store_b8 v[2:3], v1, off
.LBB175_2147:
	s_mov_b32 s10, -1
.LBB175_2148:
	s_delay_alu instid0(SALU_CYCLE_1)
	s_and_not1_b32 vcc_lo, exec_lo, s10
	s_cbranch_vccnz .LBB175_2225
; %bb.2149:
	s_wait_xcnt 0x0
	v_mov_b32_e32 v1, 0
	s_cmp_lt_i32 s3, 11
	s_delay_alu instid0(VALU_DEP_1)
	v_add_nc_u64_e32 v[2:3], s[4:5], v[0:1]
	s_cbranch_scc1 .LBB175_2226
; %bb.2150:
	s_mov_b32 s5, -1
	s_mov_b32 s4, 0
	s_cmp_gt_i32 s3, 25
	s_mov_b32 s0, 0
	s_cbranch_scc0 .LBB175_2183
; %bb.2151:
	s_cmp_gt_i32 s3, 28
	s_cbranch_scc0 .LBB175_2167
; %bb.2152:
	s_cmp_gt_i32 s3, 43
	;; [unrolled: 3-line block ×3, first 2 shown]
	s_cbranch_scc0 .LBB175_2157
; %bb.2154:
	s_cmp_eq_u32 s3, 46
	s_mov_b32 s0, -1
	s_cbranch_scc0 .LBB175_2156
; %bb.2155:
	v_cndmask_b32_e64 v0, 0, 1.0, s6
	s_mov_b32 s0, 0
	s_delay_alu instid0(VALU_DEP_1) | instskip(NEXT) | instid1(VALU_DEP_1)
	v_bfe_u32 v1, v0, 16, 1
	v_add3_u32 v0, v0, v1, 0x7fff
	s_delay_alu instid0(VALU_DEP_1)
	v_lshrrev_b32_e32 v0, 16, v0
	global_store_b32 v[2:3], v0, off
.LBB175_2156:
	s_mov_b32 s5, 0
.LBB175_2157:
	s_delay_alu instid0(SALU_CYCLE_1)
	s_and_b32 vcc_lo, exec_lo, s5
	s_cbranch_vccz .LBB175_2162
; %bb.2158:
	s_cmp_eq_u32 s3, 44
	s_mov_b32 s0, -1
	s_cbranch_scc0 .LBB175_2162
; %bb.2159:
	v_cndmask_b32_e64 v4, 0, 1.0, s6
	s_mov_b32 s5, exec_lo
	s_wait_xcnt 0x0
	s_delay_alu instid0(VALU_DEP_1) | instskip(NEXT) | instid1(VALU_DEP_1)
	v_dual_mov_b32 v1, 0xff :: v_dual_lshrrev_b32 v0, 23, v4
	v_cmpx_ne_u32_e32 0xff, v0
; %bb.2160:
	v_and_b32_e32 v1, 0x400000, v4
	v_and_or_b32 v4, 0x3fffff, v4, v0
	s_delay_alu instid0(VALU_DEP_2) | instskip(NEXT) | instid1(VALU_DEP_2)
	v_cmp_ne_u32_e32 vcc_lo, 0, v1
	v_cmp_ne_u32_e64 s0, 0, v4
	s_and_b32 s0, vcc_lo, s0
	s_delay_alu instid0(SALU_CYCLE_1) | instskip(NEXT) | instid1(VALU_DEP_1)
	v_cndmask_b32_e64 v1, 0, 1, s0
	v_add_nc_u32_e32 v1, v0, v1
; %bb.2161:
	s_or_b32 exec_lo, exec_lo, s5
	s_mov_b32 s0, 0
	global_store_b8 v[2:3], v1, off
.LBB175_2162:
	s_mov_b32 s5, 0
.LBB175_2163:
	s_delay_alu instid0(SALU_CYCLE_1)
	s_and_b32 vcc_lo, exec_lo, s5
	s_cbranch_vccz .LBB175_2166
; %bb.2164:
	s_cmp_eq_u32 s3, 29
	s_mov_b32 s0, -1
	s_cbranch_scc0 .LBB175_2166
; %bb.2165:
	s_mov_b32 s0, 0
	s_wait_xcnt 0x0
	v_cndmask_b32_e64 v0, 0, 1, s6
	v_mov_b32_e32 v1, s0
	global_store_b64 v[2:3], v[0:1], off
.LBB175_2166:
	s_mov_b32 s5, 0
.LBB175_2167:
	s_delay_alu instid0(SALU_CYCLE_1)
	s_and_b32 vcc_lo, exec_lo, s5
	s_cbranch_vccz .LBB175_2182
; %bb.2168:
	s_cmp_lt_i32 s3, 27
	s_mov_b32 s5, -1
	s_cbranch_scc1 .LBB175_2174
; %bb.2169:
	s_cmp_gt_i32 s3, 27
	s_cbranch_scc0 .LBB175_2171
; %bb.2170:
	s_wait_xcnt 0x0
	v_cndmask_b32_e64 v0, 0, 1, s6
	s_mov_b32 s5, 0
	global_store_b32 v[2:3], v0, off
.LBB175_2171:
	s_and_not1_b32 vcc_lo, exec_lo, s5
	s_cbranch_vccnz .LBB175_2173
; %bb.2172:
	s_wait_xcnt 0x0
	v_cndmask_b32_e64 v0, 0, 1, s6
	global_store_b16 v[2:3], v0, off
.LBB175_2173:
	s_mov_b32 s5, 0
.LBB175_2174:
	s_delay_alu instid0(SALU_CYCLE_1)
	s_and_not1_b32 vcc_lo, exec_lo, s5
	s_cbranch_vccnz .LBB175_2182
; %bb.2175:
	s_wait_xcnt 0x0
	v_cndmask_b32_e64 v1, 0, 1.0, s6
	v_mov_b32_e32 v4, 0x80
	s_mov_b32 s5, exec_lo
	s_delay_alu instid0(VALU_DEP_2)
	v_cmpx_gt_u32_e32 0x43800000, v1
	s_cbranch_execz .LBB175_2181
; %bb.2176:
	s_mov_b32 s7, 0
	s_mov_b32 s10, exec_lo
                                        ; implicit-def: $vgpr0
	v_cmpx_lt_u32_e32 0x3bffffff, v1
	s_xor_b32 s10, exec_lo, s10
	s_cbranch_execz .LBB175_2242
; %bb.2177:
	v_bfe_u32 v0, v1, 20, 1
	s_mov_b32 s7, exec_lo
	s_delay_alu instid0(VALU_DEP_1) | instskip(NEXT) | instid1(VALU_DEP_1)
	v_add3_u32 v0, v1, v0, 0x487ffff
                                        ; implicit-def: $vgpr1
	v_lshrrev_b32_e32 v0, 20, v0
	s_and_not1_saveexec_b32 s10, s10
	s_cbranch_execnz .LBB175_2243
.LBB175_2178:
	s_or_b32 exec_lo, exec_lo, s10
	v_mov_b32_e32 v4, 0
	s_and_saveexec_b32 s10, s7
.LBB175_2179:
	v_mov_b32_e32 v4, v0
.LBB175_2180:
	s_or_b32 exec_lo, exec_lo, s10
.LBB175_2181:
	s_delay_alu instid0(SALU_CYCLE_1)
	s_or_b32 exec_lo, exec_lo, s5
	global_store_b8 v[2:3], v4, off
.LBB175_2182:
	s_mov_b32 s5, 0
.LBB175_2183:
	s_delay_alu instid0(SALU_CYCLE_1)
	s_and_b32 vcc_lo, exec_lo, s5
	s_cbranch_vccz .LBB175_2223
; %bb.2184:
	s_cmp_gt_i32 s3, 22
	s_mov_b32 s4, -1
	s_cbranch_scc0 .LBB175_2216
; %bb.2185:
	s_cmp_lt_i32 s3, 24
	s_cbranch_scc1 .LBB175_2205
; %bb.2186:
	s_cmp_gt_i32 s3, 24
	s_cbranch_scc0 .LBB175_2194
; %bb.2187:
	s_wait_xcnt 0x0
	v_cndmask_b32_e64 v1, 0, 1.0, s6
	v_mov_b32_e32 v4, 0x80
	s_mov_b32 s4, exec_lo
	s_delay_alu instid0(VALU_DEP_2)
	v_cmpx_gt_u32_e32 0x47800000, v1
	s_cbranch_execz .LBB175_2193
; %bb.2188:
	s_mov_b32 s5, 0
	s_mov_b32 s7, exec_lo
                                        ; implicit-def: $vgpr0
	v_cmpx_lt_u32_e32 0x37ffffff, v1
	s_xor_b32 s7, exec_lo, s7
	s_cbranch_execz .LBB175_2245
; %bb.2189:
	v_bfe_u32 v0, v1, 21, 1
	s_mov_b32 s5, exec_lo
	s_delay_alu instid0(VALU_DEP_1) | instskip(NEXT) | instid1(VALU_DEP_1)
	v_add3_u32 v0, v1, v0, 0x88fffff
                                        ; implicit-def: $vgpr1
	v_lshrrev_b32_e32 v0, 21, v0
	s_and_not1_saveexec_b32 s7, s7
	s_cbranch_execnz .LBB175_2246
.LBB175_2190:
	s_or_b32 exec_lo, exec_lo, s7
	v_mov_b32_e32 v4, 0
	s_and_saveexec_b32 s7, s5
.LBB175_2191:
	v_mov_b32_e32 v4, v0
.LBB175_2192:
	s_or_b32 exec_lo, exec_lo, s7
.LBB175_2193:
	s_delay_alu instid0(SALU_CYCLE_1)
	s_or_b32 exec_lo, exec_lo, s4
	s_mov_b32 s4, 0
	global_store_b8 v[2:3], v4, off
.LBB175_2194:
	s_and_b32 vcc_lo, exec_lo, s4
	s_cbranch_vccz .LBB175_2204
; %bb.2195:
	s_wait_xcnt 0x0
	v_cndmask_b32_e64 v1, 0, 1.0, s6
	s_mov_b32 s4, exec_lo
                                        ; implicit-def: $vgpr0
	s_delay_alu instid0(VALU_DEP_1)
	v_cmpx_gt_u32_e32 0x43f00000, v1
	s_xor_b32 s4, exec_lo, s4
	s_cbranch_execz .LBB175_2201
; %bb.2196:
	s_mov_b32 s5, exec_lo
                                        ; implicit-def: $vgpr0
	v_cmpx_lt_u32_e32 0x3c7fffff, v1
	s_xor_b32 s5, exec_lo, s5
; %bb.2197:
	v_bfe_u32 v0, v1, 20, 1
	s_delay_alu instid0(VALU_DEP_1) | instskip(NEXT) | instid1(VALU_DEP_1)
	v_add3_u32 v0, v1, v0, 0x407ffff
	v_and_b32_e32 v1, 0xff00000, v0
	v_lshrrev_b32_e32 v0, 20, v0
	s_delay_alu instid0(VALU_DEP_2) | instskip(NEXT) | instid1(VALU_DEP_2)
	v_cmp_ne_u32_e32 vcc_lo, 0x7f00000, v1
                                        ; implicit-def: $vgpr1
	v_cndmask_b32_e32 v0, 0x7e, v0, vcc_lo
; %bb.2198:
	s_and_not1_saveexec_b32 s5, s5
; %bb.2199:
	v_add_f32_e32 v0, 0x46800000, v1
; %bb.2200:
	s_or_b32 exec_lo, exec_lo, s5
                                        ; implicit-def: $vgpr1
.LBB175_2201:
	s_and_not1_saveexec_b32 s4, s4
; %bb.2202:
	v_mov_b32_e32 v0, 0x7f
	v_cmp_lt_u32_e32 vcc_lo, 0x7f800000, v1
	s_delay_alu instid0(VALU_DEP_2)
	v_cndmask_b32_e32 v0, 0x7e, v0, vcc_lo
; %bb.2203:
	s_or_b32 exec_lo, exec_lo, s4
	global_store_b8 v[2:3], v0, off
.LBB175_2204:
	s_mov_b32 s4, 0
.LBB175_2205:
	s_delay_alu instid0(SALU_CYCLE_1)
	s_and_not1_b32 vcc_lo, exec_lo, s4
	s_cbranch_vccnz .LBB175_2215
; %bb.2206:
	s_wait_xcnt 0x0
	v_cndmask_b32_e64 v1, 0, 1.0, s6
	s_mov_b32 s4, exec_lo
                                        ; implicit-def: $vgpr0
	s_delay_alu instid0(VALU_DEP_1)
	v_cmpx_gt_u32_e32 0x47800000, v1
	s_xor_b32 s4, exec_lo, s4
	s_cbranch_execz .LBB175_2212
; %bb.2207:
	s_mov_b32 s5, exec_lo
                                        ; implicit-def: $vgpr0
	v_cmpx_lt_u32_e32 0x387fffff, v1
	s_xor_b32 s5, exec_lo, s5
; %bb.2208:
	v_bfe_u32 v0, v1, 21, 1
	s_delay_alu instid0(VALU_DEP_1) | instskip(NEXT) | instid1(VALU_DEP_1)
	v_add3_u32 v0, v1, v0, 0x80fffff
                                        ; implicit-def: $vgpr1
	v_lshrrev_b32_e32 v0, 21, v0
; %bb.2209:
	s_and_not1_saveexec_b32 s5, s5
; %bb.2210:
	v_add_f32_e32 v0, 0x43000000, v1
; %bb.2211:
	s_or_b32 exec_lo, exec_lo, s5
                                        ; implicit-def: $vgpr1
.LBB175_2212:
	s_and_not1_saveexec_b32 s4, s4
; %bb.2213:
	v_mov_b32_e32 v0, 0x7f
	v_cmp_lt_u32_e32 vcc_lo, 0x7f800000, v1
	s_delay_alu instid0(VALU_DEP_2)
	v_cndmask_b32_e32 v0, 0x7c, v0, vcc_lo
; %bb.2214:
	s_or_b32 exec_lo, exec_lo, s4
	global_store_b8 v[2:3], v0, off
.LBB175_2215:
	s_mov_b32 s4, 0
.LBB175_2216:
	s_delay_alu instid0(SALU_CYCLE_1)
	s_and_not1_b32 vcc_lo, exec_lo, s4
	s_mov_b32 s4, 0
	s_cbranch_vccnz .LBB175_2223
; %bb.2217:
	s_cmp_gt_i32 s3, 14
	s_mov_b32 s4, -1
	s_cbranch_scc0 .LBB175_2221
; %bb.2218:
	s_cmp_eq_u32 s3, 15
	s_mov_b32 s0, -1
	s_cbranch_scc0 .LBB175_2220
; %bb.2219:
	s_wait_xcnt 0x0
	v_cndmask_b32_e64 v0, 0, 1.0, s6
	s_mov_b32 s0, 0
	s_delay_alu instid0(VALU_DEP_1) | instskip(NEXT) | instid1(VALU_DEP_1)
	v_bfe_u32 v1, v0, 16, 1
	v_add3_u32 v0, v0, v1, 0x7fff
	global_store_d16_hi_b16 v[2:3], v0, off
.LBB175_2220:
	s_mov_b32 s4, 0
.LBB175_2221:
	s_delay_alu instid0(SALU_CYCLE_1)
	s_and_b32 vcc_lo, exec_lo, s4
	s_mov_b32 s4, 0
	s_cbranch_vccz .LBB175_2223
; %bb.2222:
	s_cmp_lg_u32 s3, 11
	s_mov_b32 s4, -1
	s_cselect_b32 s0, -1, 0
.LBB175_2223:
	s_delay_alu instid0(SALU_CYCLE_1)
	s_and_b32 vcc_lo, exec_lo, s0
	s_cbranch_vccnz .LBB175_2244
.LBB175_2224:
	s_mov_b32 s0, 0
	s_branch .LBB175_1745
.LBB175_2225:
	s_mov_b32 s0, 0
	s_mov_b32 s4, 0
	s_branch .LBB175_1744
.LBB175_2226:
	s_mov_b32 s4, 0
	s_mov_b32 s0, -1
	s_branch .LBB175_1745
.LBB175_2227:
	s_and_not1_saveexec_b32 s15, s15
	s_cbranch_execz .LBB175_1820
.LBB175_2228:
	v_add_f32_e32 v1, 0x46000000, v3
	s_and_not1_b32 s14, s14, exec_lo
	s_delay_alu instid0(VALU_DEP_1) | instskip(NEXT) | instid1(VALU_DEP_1)
	v_and_b32_e32 v1, 0xff, v1
	v_cmp_ne_u32_e32 vcc_lo, 0, v1
	s_and_b32 s16, vcc_lo, exec_lo
	s_delay_alu instid0(SALU_CYCLE_1)
	s_or_b32 s14, s14, s16
	s_or_b32 exec_lo, exec_lo, s15
	v_mov_b32_e32 v5, 0
	s_and_saveexec_b32 s15, s14
	s_cbranch_execnz .LBB175_1821
	s_branch .LBB175_1822
.LBB175_2229:
	s_or_b32 s2, s2, exec_lo
	s_trap 2
	s_cbranch_execz .LBB175_1868
	s_branch .LBB175_1869
.LBB175_2230:
	s_and_not1_saveexec_b32 s14, s14
	s_cbranch_execz .LBB175_1833
.LBB175_2231:
	v_add_f32_e32 v1, 0x42800000, v3
	s_and_not1_b32 s13, s13, exec_lo
	s_delay_alu instid0(VALU_DEP_1) | instskip(NEXT) | instid1(VALU_DEP_1)
	v_and_b32_e32 v1, 0xff, v1
	v_cmp_ne_u32_e32 vcc_lo, 0, v1
	s_and_b32 s15, vcc_lo, exec_lo
	s_delay_alu instid0(SALU_CYCLE_1)
	s_or_b32 s13, s13, s15
	s_or_b32 exec_lo, exec_lo, s14
	v_mov_b32_e32 v5, 0
	s_and_saveexec_b32 s14, s13
	s_cbranch_execnz .LBB175_1834
	s_branch .LBB175_1835
.LBB175_2232:
	s_and_not1_saveexec_b32 s14, s14
	s_cbranch_execz .LBB175_1939
.LBB175_2233:
	v_add_f32_e32 v1, 0x46000000, v3
	s_and_not1_b32 s13, s13, exec_lo
	s_delay_alu instid0(VALU_DEP_1) | instskip(NEXT) | instid1(VALU_DEP_1)
	v_and_b32_e32 v1, 0xff, v1
	v_cmp_ne_u32_e32 vcc_lo, 0, v1
	s_and_b32 s15, vcc_lo, exec_lo
	s_delay_alu instid0(SALU_CYCLE_1)
	s_or_b32 s13, s13, s15
	s_or_b32 exec_lo, exec_lo, s14
	v_mov_b32_e32 v6, 0
	s_and_saveexec_b32 s14, s13
	s_cbranch_execnz .LBB175_1940
	s_branch .LBB175_1941
.LBB175_2234:
	s_or_b32 s2, s2, exec_lo
	s_trap 2
	s_cbranch_execz .LBB175_1987
	s_branch .LBB175_1988
.LBB175_2235:
	s_and_not1_saveexec_b32 s13, s13
	s_cbranch_execz .LBB175_1952
.LBB175_2236:
	v_add_f32_e32 v1, 0x42800000, v3
	s_and_not1_b32 s12, s12, exec_lo
	s_delay_alu instid0(VALU_DEP_1) | instskip(NEXT) | instid1(VALU_DEP_1)
	v_and_b32_e32 v1, 0xff, v1
	v_cmp_ne_u32_e32 vcc_lo, 0, v1
	s_and_b32 s14, vcc_lo, exec_lo
	s_delay_alu instid0(SALU_CYCLE_1)
	s_or_b32 s12, s12, s14
	s_or_b32 exec_lo, exec_lo, s13
	v_mov_b32_e32 v6, 0
	s_and_saveexec_b32 s13, s12
	s_cbranch_execnz .LBB175_1953
	s_branch .LBB175_1954
.LBB175_2237:
	s_and_not1_saveexec_b32 s13, s13
	s_cbranch_execz .LBB175_2058
.LBB175_2238:
	v_add_f32_e32 v1, 0x46000000, v4
	s_and_not1_b32 s12, s12, exec_lo
	s_delay_alu instid0(VALU_DEP_1) | instskip(NEXT) | instid1(VALU_DEP_1)
	v_and_b32_e32 v1, 0xff, v1
	v_cmp_ne_u32_e32 vcc_lo, 0, v1
	s_and_b32 s14, vcc_lo, exec_lo
	s_delay_alu instid0(SALU_CYCLE_1)
	s_or_b32 s12, s12, s14
	s_or_b32 exec_lo, exec_lo, s13
	v_mov_b32_e32 v5, 0
	s_and_saveexec_b32 s13, s12
	s_cbranch_execnz .LBB175_2059
	s_branch .LBB175_2060
.LBB175_2239:
	s_or_b32 s2, s2, exec_lo
	s_trap 2
	s_cbranch_execz .LBB175_2106
	s_branch .LBB175_2107
.LBB175_2240:
	s_and_not1_saveexec_b32 s12, s12
	s_cbranch_execz .LBB175_2071
.LBB175_2241:
	v_add_f32_e32 v1, 0x42800000, v4
	s_and_not1_b32 s10, s10, exec_lo
	s_delay_alu instid0(VALU_DEP_1) | instskip(NEXT) | instid1(VALU_DEP_1)
	v_and_b32_e32 v1, 0xff, v1
	v_cmp_ne_u32_e32 vcc_lo, 0, v1
	s_and_b32 s13, vcc_lo, exec_lo
	s_delay_alu instid0(SALU_CYCLE_1)
	s_or_b32 s10, s10, s13
	s_or_b32 exec_lo, exec_lo, s12
	v_mov_b32_e32 v5, 0
	s_and_saveexec_b32 s12, s10
	s_cbranch_execnz .LBB175_2072
	s_branch .LBB175_2073
.LBB175_2242:
	s_and_not1_saveexec_b32 s10, s10
	s_cbranch_execz .LBB175_2178
.LBB175_2243:
	v_add_f32_e32 v0, 0x46000000, v1
	s_and_not1_b32 s7, s7, exec_lo
	s_delay_alu instid0(VALU_DEP_1) | instskip(NEXT) | instid1(VALU_DEP_1)
	v_and_b32_e32 v0, 0xff, v0
	v_cmp_ne_u32_e32 vcc_lo, 0, v0
	s_and_b32 s11, vcc_lo, exec_lo
	s_delay_alu instid0(SALU_CYCLE_1)
	s_or_b32 s7, s7, s11
	s_or_b32 exec_lo, exec_lo, s10
	v_mov_b32_e32 v4, 0
	s_and_saveexec_b32 s10, s7
	s_cbranch_execnz .LBB175_2179
	s_branch .LBB175_2180
.LBB175_2244:
	s_mov_b32 s4, 0
	s_or_b32 s2, s2, exec_lo
	s_trap 2
	s_branch .LBB175_2224
.LBB175_2245:
	s_and_not1_saveexec_b32 s7, s7
	s_cbranch_execz .LBB175_2190
.LBB175_2246:
	v_add_f32_e32 v0, 0x42800000, v1
	s_and_not1_b32 s5, s5, exec_lo
	s_delay_alu instid0(VALU_DEP_1) | instskip(NEXT) | instid1(VALU_DEP_1)
	v_and_b32_e32 v0, 0xff, v0
	v_cmp_ne_u32_e32 vcc_lo, 0, v0
	s_and_b32 s10, vcc_lo, exec_lo
	s_delay_alu instid0(SALU_CYCLE_1)
	s_or_b32 s5, s5, s10
	s_or_b32 exec_lo, exec_lo, s7
	v_mov_b32_e32 v4, 0
	s_and_saveexec_b32 s7, s5
	s_cbranch_execnz .LBB175_2191
	s_branch .LBB175_2192
	.section	.rodata,"a",@progbits
	.p2align	6, 0x0
	.amdhsa_kernel _ZN2at6native32elementwise_kernel_manual_unrollILi128ELi4EZNS0_15gpu_kernel_implINS0_13AUnaryFunctorIN3c107complexINS4_8BFloat16EEES7_bNS0_12_GLOBAL__N_116CompareEqFunctorIS7_EEEEEEvRNS_18TensorIteratorBaseERKT_EUlibE0_EEviT1_
		.amdhsa_group_segment_fixed_size 0
		.amdhsa_private_segment_fixed_size 0
		.amdhsa_kernarg_size 368
		.amdhsa_user_sgpr_count 2
		.amdhsa_user_sgpr_dispatch_ptr 0
		.amdhsa_user_sgpr_queue_ptr 0
		.amdhsa_user_sgpr_kernarg_segment_ptr 1
		.amdhsa_user_sgpr_dispatch_id 0
		.amdhsa_user_sgpr_kernarg_preload_length 0
		.amdhsa_user_sgpr_kernarg_preload_offset 0
		.amdhsa_user_sgpr_private_segment_size 0
		.amdhsa_wavefront_size32 1
		.amdhsa_uses_dynamic_stack 0
		.amdhsa_enable_private_segment 0
		.amdhsa_system_sgpr_workgroup_id_x 1
		.amdhsa_system_sgpr_workgroup_id_y 0
		.amdhsa_system_sgpr_workgroup_id_z 0
		.amdhsa_system_sgpr_workgroup_info 0
		.amdhsa_system_vgpr_workitem_id 0
		.amdhsa_next_free_vgpr 20
		.amdhsa_next_free_sgpr 72
		.amdhsa_named_barrier_count 0
		.amdhsa_reserve_vcc 1
		.amdhsa_float_round_mode_32 0
		.amdhsa_float_round_mode_16_64 0
		.amdhsa_float_denorm_mode_32 3
		.amdhsa_float_denorm_mode_16_64 3
		.amdhsa_fp16_overflow 0
		.amdhsa_memory_ordered 1
		.amdhsa_forward_progress 1
		.amdhsa_inst_pref_size 255
		.amdhsa_round_robin_scheduling 0
		.amdhsa_exception_fp_ieee_invalid_op 0
		.amdhsa_exception_fp_denorm_src 0
		.amdhsa_exception_fp_ieee_div_zero 0
		.amdhsa_exception_fp_ieee_overflow 0
		.amdhsa_exception_fp_ieee_underflow 0
		.amdhsa_exception_fp_ieee_inexact 0
		.amdhsa_exception_int_div_zero 0
	.end_amdhsa_kernel
	.section	.text._ZN2at6native32elementwise_kernel_manual_unrollILi128ELi4EZNS0_15gpu_kernel_implINS0_13AUnaryFunctorIN3c107complexINS4_8BFloat16EEES7_bNS0_12_GLOBAL__N_116CompareEqFunctorIS7_EEEEEEvRNS_18TensorIteratorBaseERKT_EUlibE0_EEviT1_,"axG",@progbits,_ZN2at6native32elementwise_kernel_manual_unrollILi128ELi4EZNS0_15gpu_kernel_implINS0_13AUnaryFunctorIN3c107complexINS4_8BFloat16EEES7_bNS0_12_GLOBAL__N_116CompareEqFunctorIS7_EEEEEEvRNS_18TensorIteratorBaseERKT_EUlibE0_EEviT1_,comdat
.Lfunc_end175:
	.size	_ZN2at6native32elementwise_kernel_manual_unrollILi128ELi4EZNS0_15gpu_kernel_implINS0_13AUnaryFunctorIN3c107complexINS4_8BFloat16EEES7_bNS0_12_GLOBAL__N_116CompareEqFunctorIS7_EEEEEEvRNS_18TensorIteratorBaseERKT_EUlibE0_EEviT1_, .Lfunc_end175-_ZN2at6native32elementwise_kernel_manual_unrollILi128ELi4EZNS0_15gpu_kernel_implINS0_13AUnaryFunctorIN3c107complexINS4_8BFloat16EEES7_bNS0_12_GLOBAL__N_116CompareEqFunctorIS7_EEEEEEvRNS_18TensorIteratorBaseERKT_EUlibE0_EEviT1_
                                        ; -- End function
	.set _ZN2at6native32elementwise_kernel_manual_unrollILi128ELi4EZNS0_15gpu_kernel_implINS0_13AUnaryFunctorIN3c107complexINS4_8BFloat16EEES7_bNS0_12_GLOBAL__N_116CompareEqFunctorIS7_EEEEEEvRNS_18TensorIteratorBaseERKT_EUlibE0_EEviT1_.num_vgpr, 20
	.set _ZN2at6native32elementwise_kernel_manual_unrollILi128ELi4EZNS0_15gpu_kernel_implINS0_13AUnaryFunctorIN3c107complexINS4_8BFloat16EEES7_bNS0_12_GLOBAL__N_116CompareEqFunctorIS7_EEEEEEvRNS_18TensorIteratorBaseERKT_EUlibE0_EEviT1_.num_agpr, 0
	.set _ZN2at6native32elementwise_kernel_manual_unrollILi128ELi4EZNS0_15gpu_kernel_implINS0_13AUnaryFunctorIN3c107complexINS4_8BFloat16EEES7_bNS0_12_GLOBAL__N_116CompareEqFunctorIS7_EEEEEEvRNS_18TensorIteratorBaseERKT_EUlibE0_EEviT1_.numbered_sgpr, 72
	.set _ZN2at6native32elementwise_kernel_manual_unrollILi128ELi4EZNS0_15gpu_kernel_implINS0_13AUnaryFunctorIN3c107complexINS4_8BFloat16EEES7_bNS0_12_GLOBAL__N_116CompareEqFunctorIS7_EEEEEEvRNS_18TensorIteratorBaseERKT_EUlibE0_EEviT1_.num_named_barrier, 0
	.set _ZN2at6native32elementwise_kernel_manual_unrollILi128ELi4EZNS0_15gpu_kernel_implINS0_13AUnaryFunctorIN3c107complexINS4_8BFloat16EEES7_bNS0_12_GLOBAL__N_116CompareEqFunctorIS7_EEEEEEvRNS_18TensorIteratorBaseERKT_EUlibE0_EEviT1_.private_seg_size, 0
	.set _ZN2at6native32elementwise_kernel_manual_unrollILi128ELi4EZNS0_15gpu_kernel_implINS0_13AUnaryFunctorIN3c107complexINS4_8BFloat16EEES7_bNS0_12_GLOBAL__N_116CompareEqFunctorIS7_EEEEEEvRNS_18TensorIteratorBaseERKT_EUlibE0_EEviT1_.uses_vcc, 1
	.set _ZN2at6native32elementwise_kernel_manual_unrollILi128ELi4EZNS0_15gpu_kernel_implINS0_13AUnaryFunctorIN3c107complexINS4_8BFloat16EEES7_bNS0_12_GLOBAL__N_116CompareEqFunctorIS7_EEEEEEvRNS_18TensorIteratorBaseERKT_EUlibE0_EEviT1_.uses_flat_scratch, 0
	.set _ZN2at6native32elementwise_kernel_manual_unrollILi128ELi4EZNS0_15gpu_kernel_implINS0_13AUnaryFunctorIN3c107complexINS4_8BFloat16EEES7_bNS0_12_GLOBAL__N_116CompareEqFunctorIS7_EEEEEEvRNS_18TensorIteratorBaseERKT_EUlibE0_EEviT1_.has_dyn_sized_stack, 0
	.set _ZN2at6native32elementwise_kernel_manual_unrollILi128ELi4EZNS0_15gpu_kernel_implINS0_13AUnaryFunctorIN3c107complexINS4_8BFloat16EEES7_bNS0_12_GLOBAL__N_116CompareEqFunctorIS7_EEEEEEvRNS_18TensorIteratorBaseERKT_EUlibE0_EEviT1_.has_recursion, 0
	.set _ZN2at6native32elementwise_kernel_manual_unrollILi128ELi4EZNS0_15gpu_kernel_implINS0_13AUnaryFunctorIN3c107complexINS4_8BFloat16EEES7_bNS0_12_GLOBAL__N_116CompareEqFunctorIS7_EEEEEEvRNS_18TensorIteratorBaseERKT_EUlibE0_EEviT1_.has_indirect_call, 0
	.section	.AMDGPU.csdata,"",@progbits
; Kernel info:
; codeLenInByte = 50032
; TotalNumSgprs: 74
; NumVgprs: 20
; ScratchSize: 0
; MemoryBound: 0
; FloatMode: 240
; IeeeMode: 1
; LDSByteSize: 0 bytes/workgroup (compile time only)
; SGPRBlocks: 0
; VGPRBlocks: 1
; NumSGPRsForWavesPerEU: 74
; NumVGPRsForWavesPerEU: 20
; NamedBarCnt: 0
; Occupancy: 16
; WaveLimiterHint : 1
; COMPUTE_PGM_RSRC2:SCRATCH_EN: 0
; COMPUTE_PGM_RSRC2:USER_SGPR: 2
; COMPUTE_PGM_RSRC2:TRAP_HANDLER: 0
; COMPUTE_PGM_RSRC2:TGID_X_EN: 1
; COMPUTE_PGM_RSRC2:TGID_Y_EN: 0
; COMPUTE_PGM_RSRC2:TGID_Z_EN: 0
; COMPUTE_PGM_RSRC2:TIDIG_COMP_CNT: 0
	.section	.text._ZN2at6native29vectorized_elementwise_kernelILi16ENS0_13BinaryFunctorIN3c104HalfES4_bNS0_12_GLOBAL__N_116CompareEqFunctorIS4_EEEESt5arrayIPcLm3EEEEviT0_T1_,"axG",@progbits,_ZN2at6native29vectorized_elementwise_kernelILi16ENS0_13BinaryFunctorIN3c104HalfES4_bNS0_12_GLOBAL__N_116CompareEqFunctorIS4_EEEESt5arrayIPcLm3EEEEviT0_T1_,comdat
	.globl	_ZN2at6native29vectorized_elementwise_kernelILi16ENS0_13BinaryFunctorIN3c104HalfES4_bNS0_12_GLOBAL__N_116CompareEqFunctorIS4_EEEESt5arrayIPcLm3EEEEviT0_T1_ ; -- Begin function _ZN2at6native29vectorized_elementwise_kernelILi16ENS0_13BinaryFunctorIN3c104HalfES4_bNS0_12_GLOBAL__N_116CompareEqFunctorIS4_EEEESt5arrayIPcLm3EEEEviT0_T1_
	.p2align	8
	.type	_ZN2at6native29vectorized_elementwise_kernelILi16ENS0_13BinaryFunctorIN3c104HalfES4_bNS0_12_GLOBAL__N_116CompareEqFunctorIS4_EEEESt5arrayIPcLm3EEEEviT0_T1_,@function
_ZN2at6native29vectorized_elementwise_kernelILi16ENS0_13BinaryFunctorIN3c104HalfES4_bNS0_12_GLOBAL__N_116CompareEqFunctorIS4_EEEESt5arrayIPcLm3EEEEviT0_T1_: ; @_ZN2at6native29vectorized_elementwise_kernelILi16ENS0_13BinaryFunctorIN3c104HalfES4_bNS0_12_GLOBAL__N_116CompareEqFunctorIS4_EEEESt5arrayIPcLm3EEEEviT0_T1_
; %bb.0:
	s_clause 0x2
	s_load_b64 s[8:9], s[0:1], 0x0
	s_load_b128 s[4:7], s[0:1], 0x8
	s_load_b64 s[10:11], s[0:1], 0x18
	s_wait_xcnt 0x0
	s_bfe_u32 s0, ttmp6, 0x4000c
	s_and_b32 s1, ttmp6, 15
	s_add_co_i32 s0, s0, 1
	s_getreg_b32 s2, hwreg(HW_REG_IB_STS2, 6, 4)
	s_mul_i32 s0, ttmp9, s0
	s_delay_alu instid0(SALU_CYCLE_1) | instskip(SKIP_2) | instid1(SALU_CYCLE_1)
	s_add_co_i32 s1, s1, s0
	s_cmp_eq_u32 s2, 0
	s_cselect_b32 s0, ttmp9, s1
	s_lshl_b32 s2, s0, 12
	s_mov_b32 s0, -1
	s_wait_kmcnt 0x0
	s_sub_co_i32 s1, s8, s2
	s_delay_alu instid0(SALU_CYCLE_1)
	s_cmp_gt_i32 s1, 0xfff
	s_cbranch_scc0 .LBB176_2
; %bb.1:
	s_ashr_i32 s3, s2, 31
	v_lshlrev_b32_e32 v1, 5, v0
	s_lshl_b64 s[12:13], s[2:3], 1
	s_cmp_eq_u32 s9, 0
	s_add_nc_u64 s[14:15], s[6:7], s[12:13]
	s_add_nc_u64 s[12:13], s[10:11], s[12:13]
	s_clause 0x1
	global_load_b128 v[2:5], v1, s[14:15]
	global_load_b128 v[6:9], v1, s[14:15] offset:16
	s_wait_loadcnt 0x1
	v_lshrrev_b32_e32 v18, 16, v3
	s_clause 0x1
	global_load_b128 v[10:13], v1, s[12:13]
	global_load_b128 v[14:17], v1, s[12:13] offset:16
	s_wait_xcnt 0x0
	v_dual_lshrrev_b32 v1, 16, v2 :: v_dual_lshrrev_b32 v19, 16, v4
	s_wait_loadcnt 0x2
	v_lshrrev_b32_e32 v24, 16, v9
	v_dual_lshrrev_b32 v20, 16, v5 :: v_dual_lshrrev_b32 v21, 16, v6
	v_dual_lshrrev_b32 v22, 16, v7 :: v_dual_lshrrev_b32 v23, 16, v8
	s_add_nc_u64 s[12:13], s[4:5], s[2:3]
	s_wait_loadcnt 0x1
	v_cmp_eq_f16_e32 vcc_lo, v2, v10
	v_dual_lshrrev_b32 v25, 16, v10 :: v_dual_lshrrev_b32 v26, 16, v11
	v_dual_lshrrev_b32 v27, 16, v12 :: v_dual_lshrrev_b32 v28, 16, v13
	s_wait_loadcnt 0x0
	v_lshrrev_b32_e32 v29, 16, v14
	v_cndmask_b32_e64 v33, 0, 1, vcc_lo
	v_cmp_neq_f16_e32 vcc_lo, v2, v10
	v_dual_lshrrev_b32 v30, 16, v15 :: v_dual_lshrrev_b32 v31, 16, v16
	v_cmp_eq_f16_e64 s0, v1, v25
	v_cndmask_b32_e64 v2, 0, 1, vcc_lo
	v_cmp_eq_f16_e32 vcc_lo, v3, v11
	v_cndmask_b32_e64 v10, 0, 1, vcc_lo
	v_cmp_neq_f16_e32 vcc_lo, v3, v11
	v_cndmask_b32_e64 v3, 0, 1, vcc_lo
	v_cmp_eq_f16_e32 vcc_lo, v4, v12
	v_cndmask_b32_e64 v11, 0, 1, vcc_lo
	v_cmp_neq_f16_e32 vcc_lo, v4, v12
	;; [unrolled: 4-line block ×7, first 2 shown]
	v_cndmask_b32_e64 v9, 0, 1, vcc_lo
	s_cselect_b32 vcc_lo, -1, 0
	v_dual_cndmask_b32 v3, v3, v10 :: v_dual_lshrrev_b32 v32, 16, v17
	v_cndmask_b32_e64 v17, 0, 1, s0
	v_cmp_neq_f16_e64 s0, v1, v25
	v_dual_cndmask_b32 v2, v2, v33, vcc_lo :: v_dual_cndmask_b32 v4, v4, v11, vcc_lo
	v_dual_cndmask_b32 v5, v5, v12 :: v_dual_cndmask_b32 v6, v6, v13
	s_delay_alu instid0(VALU_DEP_3) | instskip(SKIP_2) | instid1(VALU_DEP_2)
	v_cndmask_b32_e64 v1, 0, 1, s0
	v_cmp_eq_f16_e64 s0, v18, v26
	v_dual_cndmask_b32 v7, v7, v14 :: v_dual_cndmask_b32 v8, v8, v15
	v_cndmask_b32_e64 v10, 0, 1, s0
	v_cmp_neq_f16_e64 s0, v18, v26
	s_delay_alu instid0(VALU_DEP_1) | instskip(SKIP_1) | instid1(VALU_DEP_2)
	v_cndmask_b32_e64 v18, 0, 1, s0
	v_cmp_eq_f16_e64 s0, v19, v27
	v_dual_cndmask_b32 v9, v9, v16 :: v_dual_cndmask_b32 v10, v18, v10
	s_delay_alu instid0(VALU_DEP_2) | instskip(SKIP_1) | instid1(VALU_DEP_1)
	v_cndmask_b32_e64 v11, 0, 1, s0
	v_cmp_neq_f16_e64 s0, v19, v27
	v_cndmask_b32_e64 v19, 0, 1, s0
	v_cmp_eq_f16_e64 s0, v20, v28
	s_delay_alu instid0(VALU_DEP_2) | instskip(NEXT) | instid1(VALU_DEP_2)
	v_dual_cndmask_b32 v1, v1, v17, vcc_lo :: v_dual_cndmask_b32 v11, v19, v11, vcc_lo
	v_cndmask_b32_e64 v12, 0, 1, s0
	v_cmp_neq_f16_e64 s0, v20, v28
	s_delay_alu instid0(VALU_DEP_3) | instskip(NEXT) | instid1(VALU_DEP_2)
	v_and_b32_e32 v1, 1, v1
	v_cndmask_b32_e64 v20, 0, 1, s0
	v_cmp_eq_f16_e64 s0, v21, v29
	s_delay_alu instid0(VALU_DEP_3) | instskip(NEXT) | instid1(VALU_DEP_2)
	v_lshlrev_b16 v1, 8, v1
	v_cndmask_b32_e64 v13, 0, 1, s0
	v_cmp_neq_f16_e64 s0, v21, v29
	s_delay_alu instid0(VALU_DEP_3) | instskip(NEXT) | instid1(VALU_DEP_2)
	v_bitop3_b16 v1, v2, v1, 1 bitop3:0xec
	v_cndmask_b32_e64 v21, 0, 1, s0
	v_cmp_eq_f16_e64 s0, v22, v30
	v_cndmask_b32_e32 v12, v20, v12, vcc_lo
	s_delay_alu instid0(VALU_DEP_4) | instskip(NEXT) | instid1(VALU_DEP_4)
	v_and_b32_e32 v1, 0xffff, v1
	v_cndmask_b32_e32 v13, v21, v13, vcc_lo
	s_delay_alu instid0(VALU_DEP_4) | instskip(SKIP_2) | instid1(VALU_DEP_4)
	v_cndmask_b32_e64 v14, 0, 1, s0
	v_cmp_neq_f16_e64 s0, v22, v30
	v_and_b32_e32 v12, 1, v12
	v_and_b32_e32 v13, 1, v13
	s_delay_alu instid0(VALU_DEP_3) | instskip(SKIP_1) | instid1(VALU_DEP_4)
	v_cndmask_b32_e64 v22, 0, 1, s0
	v_cmp_eq_f16_e64 s0, v23, v31
	v_lshlrev_b16 v12, 8, v12
	s_delay_alu instid0(VALU_DEP_4) | instskip(NEXT) | instid1(VALU_DEP_3)
	v_lshlrev_b16 v13, 8, v13
	v_cndmask_b32_e64 v15, 0, 1, s0
	v_cmp_neq_f16_e64 s0, v23, v31
	s_delay_alu instid0(VALU_DEP_4) | instskip(SKIP_2) | instid1(VALU_DEP_4)
	v_bitop3_b16 v5, v5, v12, 1 bitop3:0xec
	v_and_b32_e32 v11, 1, v11
	v_bitop3_b16 v6, v6, v13, 1 bitop3:0xec
	v_cndmask_b32_e64 v23, 0, 1, s0
	v_cmp_eq_f16_e64 s0, v24, v32
	v_cndmask_b32_e32 v14, v22, v14, vcc_lo
	s_delay_alu instid0(VALU_DEP_4) | instskip(NEXT) | instid1(VALU_DEP_4)
	v_and_b32_e32 v6, 0xffff, v6
	v_cndmask_b32_e32 v15, v23, v15, vcc_lo
	s_delay_alu instid0(VALU_DEP_4) | instskip(SKIP_2) | instid1(VALU_DEP_2)
	v_cndmask_b32_e64 v16, 0, 1, s0
	v_cmp_neq_f16_e64 s0, v24, v32
	v_and_b32_e32 v14, 1, v14
	v_cndmask_b32_e64 v24, 0, 1, s0
	s_delay_alu instid0(VALU_DEP_2) | instskip(SKIP_1) | instid1(VALU_DEP_2)
	v_lshlrev_b16 v14, 8, v14
	s_mov_b32 s0, 0
	v_cndmask_b32_e32 v16, v24, v16, vcc_lo
	s_delay_alu instid0(VALU_DEP_2) | instskip(NEXT) | instid1(VALU_DEP_1)
	v_bitop3_b16 v7, v7, v14, 1 bitop3:0xec
	v_dual_lshlrev_b32 v7, 16, v7 :: v_dual_bitop2_b32 v16, 1, v16 bitop3:0x40
	s_delay_alu instid0(VALU_DEP_1) | instskip(NEXT) | instid1(VALU_DEP_1)
	v_lshlrev_b16 v16, 8, v16
	v_bitop3_b16 v9, v9, v16, 1 bitop3:0xec
	v_and_b32_e32 v10, 1, v10
	s_delay_alu instid0(VALU_DEP_1) | instskip(NEXT) | instid1(VALU_DEP_1)
	v_lshlrev_b16 v10, 8, v10
	v_bitop3_b16 v2, v3, v10, 1 bitop3:0xec
	v_dual_lshlrev_b32 v10, 16, v5 :: v_dual_bitop2_b32 v15, 1, v15 bitop3:0x40
	v_lshlrev_b16 v11, 8, v11
	s_delay_alu instid0(VALU_DEP_3) | instskip(NEXT) | instid1(VALU_DEP_3)
	v_lshlrev_b32_e32 v2, 16, v2
	v_lshlrev_b16 v15, 8, v15
	s_delay_alu instid0(VALU_DEP_3) | instskip(NEXT) | instid1(VALU_DEP_3)
	v_bitop3_b16 v4, v4, v11, 1 bitop3:0xec
	v_or_b32_e32 v2, v1, v2
	s_delay_alu instid0(VALU_DEP_3) | instskip(NEXT) | instid1(VALU_DEP_1)
	v_bitop3_b16 v8, v8, v15, 1 bitop3:0xec
	v_and_b32_e32 v3, 0xffff, v8
	v_lshlrev_b32_e32 v8, 16, v9
	v_and_b32_e32 v9, 0xffff, v4
	v_or_b32_e32 v4, v6, v7
	s_delay_alu instid0(VALU_DEP_3) | instskip(NEXT) | instid1(VALU_DEP_3)
	v_or_b32_e32 v5, v3, v8
	v_or_b32_e32 v3, v9, v10
	global_store_b128 v0, v[2:5], s[12:13] scale_offset
.LBB176_2:
	s_and_not1_b32 vcc_lo, exec_lo, s0
	s_cbranch_vccnz .LBB176_52
; %bb.3:
	v_cmp_gt_i32_e32 vcc_lo, s1, v0
	s_wait_xcnt 0x0
	v_dual_mov_b32 v1, 0 :: v_dual_bitop2_b32 v4, s2, v0 bitop3:0x54
	v_or_b32_e32 v5, 0x100, v0
	v_dual_mov_b32 v8, 0 :: v_dual_mov_b32 v9, 0
	v_mov_b32_e32 v35, v0
	s_and_saveexec_b32 s0, vcc_lo
	s_cbranch_execz .LBB176_5
; %bb.4:
	s_clause 0x1
	global_load_u16 v8, v4, s[6:7] scale_offset
	global_load_u16 v9, v4, s[10:11] scale_offset
	v_or_b32_e32 v35, 0x100, v0
.LBB176_5:
	s_wait_xcnt 0x0
	s_or_b32 exec_lo, exec_lo, s0
	v_mov_b32_e32 v11, 0
	s_mov_b32 s3, exec_lo
	v_cmpx_gt_i32_e64 s1, v35
	s_cbranch_execz .LBB176_7
; %bb.6:
	v_add_nc_u32_e32 v2, s2, v35
	v_add_nc_u32_e32 v35, 0x100, v35
	s_clause 0x1
	global_load_u16 v1, v2, s[6:7] scale_offset
	global_load_u16 v11, v2, s[10:11] scale_offset
.LBB176_7:
	s_wait_xcnt 0x0
	s_or_b32 exec_lo, exec_lo, s3
	v_dual_mov_b32 v2, 0 :: v_dual_mov_b32 v12, 0
	v_mov_b32_e32 v13, 0
	s_mov_b32 s3, exec_lo
	v_cmpx_gt_i32_e64 s1, v35
	s_cbranch_execz .LBB176_9
; %bb.8:
	v_add_nc_u32_e32 v3, s2, v35
	v_add_nc_u32_e32 v35, 0x100, v35
	s_clause 0x1
	global_load_u16 v12, v3, s[6:7] scale_offset
	global_load_u16 v13, v3, s[10:11] scale_offset
.LBB176_9:
	s_wait_xcnt 0x0
	s_or_b32 exec_lo, exec_lo, s3
	v_mov_b32_e32 v15, 0
	s_mov_b32 s3, exec_lo
	v_cmpx_gt_i32_e64 s1, v35
	s_cbranch_execz .LBB176_11
; %bb.10:
	v_add_nc_u32_e32 v3, s2, v35
	v_add_nc_u32_e32 v35, 0x100, v35
	s_clause 0x1
	global_load_u16 v2, v3, s[6:7] scale_offset
	global_load_u16 v15, v3, s[10:11] scale_offset
.LBB176_11:
	s_wait_xcnt 0x0
	s_or_b32 exec_lo, exec_lo, s3
	v_dual_mov_b32 v3, 0 :: v_dual_mov_b32 v16, 0
	v_mov_b32_e32 v17, 0
	s_mov_b32 s3, exec_lo
	v_cmpx_gt_i32_e64 s1, v35
	s_cbranch_execz .LBB176_13
; %bb.12:
	v_add_nc_u32_e32 v6, s2, v35
	v_add_nc_u32_e32 v35, 0x100, v35
	s_clause 0x1
	global_load_u16 v16, v6, s[6:7] scale_offset
	global_load_u16 v17, v6, s[10:11] scale_offset
.LBB176_13:
	;; [unrolled: 27-line block ×7, first 2 shown]
	s_wait_xcnt 0x0
	s_or_b32 exec_lo, exec_lo, s3
	v_mov_b32_e32 v34, 0
	s_mov_b32 s3, exec_lo
	v_cmpx_gt_i32_e64 s1, v35
	s_cbranch_execz .LBB176_35
; %bb.34:
	v_add_nc_u32_e32 v35, s2, v35
	s_clause 0x1
	global_load_u16 v18, v35, s[6:7] scale_offset
	global_load_u16 v34, v35, s[10:11] scale_offset
.LBB176_35:
	s_wait_xcnt 0x0
	s_or_b32 exec_lo, exec_lo, s3
	s_cmp_eq_u32 s9, 0
	s_cselect_b32 s0, -1, 0
	s_and_saveexec_b32 s3, vcc_lo
	s_cbranch_execnz .LBB176_53
; %bb.36:
	s_or_b32 exec_lo, exec_lo, s3
	s_delay_alu instid0(SALU_CYCLE_1)
	s_mov_b32 s3, exec_lo
	v_cmpx_gt_i32_e64 s1, v0
	s_cbranch_execnz .LBB176_54
.LBB176_37:
	s_or_b32 exec_lo, exec_lo, s3
	s_delay_alu instid0(SALU_CYCLE_1)
	s_mov_b32 s3, exec_lo
	v_cmpx_gt_i32_e64 s1, v0
	s_cbranch_execnz .LBB176_55
.LBB176_38:
	s_or_b32 exec_lo, exec_lo, s3
	s_delay_alu instid0(SALU_CYCLE_1)
	s_mov_b32 s3, exec_lo
	v_cmpx_gt_i32_e64 s1, v0
	s_cbranch_execnz .LBB176_56
.LBB176_39:
	s_or_b32 exec_lo, exec_lo, s3
	s_delay_alu instid0(SALU_CYCLE_1)
	s_mov_b32 s3, exec_lo
	v_cmpx_gt_i32_e64 s1, v0
	s_cbranch_execnz .LBB176_57
.LBB176_40:
	s_or_b32 exec_lo, exec_lo, s3
	s_delay_alu instid0(SALU_CYCLE_1)
	s_mov_b32 s3, exec_lo
	v_cmpx_gt_i32_e64 s1, v0
	s_cbranch_execnz .LBB176_58
.LBB176_41:
	s_or_b32 exec_lo, exec_lo, s3
	s_delay_alu instid0(SALU_CYCLE_1)
	s_mov_b32 s3, exec_lo
	v_cmpx_gt_i32_e64 s1, v0
	s_cbranch_execnz .LBB176_59
.LBB176_42:
	s_or_b32 exec_lo, exec_lo, s3
	s_delay_alu instid0(SALU_CYCLE_1)
	s_mov_b32 s3, exec_lo
	v_cmpx_gt_i32_e64 s1, v0
	s_cbranch_execnz .LBB176_60
.LBB176_43:
	s_or_b32 exec_lo, exec_lo, s3
	s_delay_alu instid0(SALU_CYCLE_1)
	s_mov_b32 s3, exec_lo
	v_cmpx_gt_i32_e64 s1, v0
	s_cbranch_execnz .LBB176_61
.LBB176_44:
	s_or_b32 exec_lo, exec_lo, s3
	s_delay_alu instid0(SALU_CYCLE_1)
	s_mov_b32 s3, exec_lo
	v_cmpx_gt_i32_e64 s1, v0
	s_cbranch_execnz .LBB176_62
.LBB176_45:
	s_or_b32 exec_lo, exec_lo, s3
	s_delay_alu instid0(SALU_CYCLE_1)
	s_mov_b32 s3, exec_lo
	v_cmpx_gt_i32_e64 s1, v0
	s_cbranch_execnz .LBB176_63
.LBB176_46:
	s_or_b32 exec_lo, exec_lo, s3
	s_delay_alu instid0(SALU_CYCLE_1)
	s_mov_b32 s3, exec_lo
	v_cmpx_gt_i32_e64 s1, v0
	s_cbranch_execnz .LBB176_64
.LBB176_47:
	s_or_b32 exec_lo, exec_lo, s3
	s_delay_alu instid0(SALU_CYCLE_1)
	s_mov_b32 s3, exec_lo
	v_cmpx_gt_i32_e64 s1, v0
	s_cbranch_execnz .LBB176_65
.LBB176_48:
	s_or_b32 exec_lo, exec_lo, s3
	s_delay_alu instid0(SALU_CYCLE_1)
	s_mov_b32 s3, exec_lo
	v_cmpx_gt_i32_e64 s1, v0
	s_cbranch_execnz .LBB176_66
.LBB176_49:
	s_or_b32 exec_lo, exec_lo, s3
	s_delay_alu instid0(SALU_CYCLE_1)
	s_mov_b32 s3, exec_lo
	v_cmpx_gt_i32_e64 s1, v0
	s_cbranch_execnz .LBB176_67
.LBB176_50:
	s_or_b32 exec_lo, exec_lo, s3
	v_cmp_gt_i32_e32 vcc_lo, s1, v0
	s_and_saveexec_b32 s1, vcc_lo
	s_cbranch_execz .LBB176_52
.LBB176_51:
	s_wait_loadcnt 0x0
	v_cmp_eq_f16_e32 vcc_lo, v18, v34
	v_add_nc_u32_e32 v0, s2, v0
	v_cndmask_b32_e64 v1, 0, 1, vcc_lo
	v_cmp_neq_f16_e32 vcc_lo, v18, v34
	v_cndmask_b32_e64 v2, 0, 1, vcc_lo
	s_delay_alu instid0(VALU_DEP_1) | instskip(NEXT) | instid1(VALU_DEP_1)
	v_cndmask_b32_e64 v1, v2, v1, s0
	v_and_b32_e32 v1, 1, v1
	global_store_b8 v0, v1, s[4:5]
.LBB176_52:
	s_endpgm
.LBB176_53:
	s_wait_loadcnt 0x0
	v_cmp_eq_f16_e32 vcc_lo, v8, v9
	v_cndmask_b32_e64 v0, 0, 1, vcc_lo
	v_cmp_neq_f16_e32 vcc_lo, v8, v9
	v_cndmask_b32_e64 v8, 0, 1, vcc_lo
	s_delay_alu instid0(VALU_DEP_1) | instskip(NEXT) | instid1(VALU_DEP_1)
	v_cndmask_b32_e64 v0, v8, v0, s0
	v_dual_mov_b32 v0, v5 :: v_dual_bitop2_b32 v8, 1, v0 bitop3:0x40
	global_store_b8 v4, v8, s[4:5]
	s_wait_xcnt 0x0
	s_or_b32 exec_lo, exec_lo, s3
	s_delay_alu instid0(SALU_CYCLE_1)
	s_mov_b32 s3, exec_lo
	v_cmpx_gt_i32_e64 s1, v0
	s_cbranch_execz .LBB176_37
.LBB176_54:
	s_wait_loadcnt 0x0
	v_cmp_eq_f16_e32 vcc_lo, v1, v11
	v_cndmask_b32_e64 v4, 0, 1, vcc_lo
	v_cmp_neq_f16_e32 vcc_lo, v1, v11
	v_cndmask_b32_e64 v1, 0, 1, vcc_lo
	s_delay_alu instid0(VALU_DEP_1) | instskip(SKIP_2) | instid1(VALU_DEP_3)
	v_cndmask_b32_e64 v1, v1, v4, s0
	v_add_nc_u32_e32 v4, s2, v0
	v_add_nc_u32_e32 v0, 0x100, v0
	v_and_b32_e32 v1, 1, v1
	global_store_b8 v4, v1, s[4:5]
	s_wait_xcnt 0x0
	s_or_b32 exec_lo, exec_lo, s3
	s_delay_alu instid0(SALU_CYCLE_1)
	s_mov_b32 s3, exec_lo
	v_cmpx_gt_i32_e64 s1, v0
	s_cbranch_execz .LBB176_38
.LBB176_55:
	s_wait_loadcnt 0x0
	v_cmp_eq_f16_e32 vcc_lo, v12, v13
	v_cndmask_b32_e64 v1, 0, 1, vcc_lo
	v_cmp_neq_f16_e32 vcc_lo, v12, v13
	v_cndmask_b32_e64 v4, 0, 1, vcc_lo
	s_delay_alu instid0(VALU_DEP_1) | instskip(SKIP_1) | instid1(VALU_DEP_2)
	v_dual_cndmask_b32 v1, v4, v1, s0 :: v_dual_add_nc_u32 v4, s2, v0
	v_add_nc_u32_e32 v0, 0x100, v0
	v_and_b32_e32 v1, 1, v1
	global_store_b8 v4, v1, s[4:5]
	s_wait_xcnt 0x0
	s_or_b32 exec_lo, exec_lo, s3
	s_delay_alu instid0(SALU_CYCLE_1)
	s_mov_b32 s3, exec_lo
	v_cmpx_gt_i32_e64 s1, v0
	s_cbranch_execz .LBB176_39
.LBB176_56:
	s_wait_loadcnt 0x0
	v_cmp_eq_f16_e32 vcc_lo, v2, v15
	v_cndmask_b32_e64 v1, 0, 1, vcc_lo
	v_cmp_neq_f16_e32 vcc_lo, v2, v15
	v_cndmask_b32_e64 v2, 0, 1, vcc_lo
	s_delay_alu instid0(VALU_DEP_1) | instskip(SKIP_1) | instid1(VALU_DEP_2)
	v_dual_cndmask_b32 v1, v2, v1, s0 :: v_dual_add_nc_u32 v2, s2, v0
	v_add_nc_u32_e32 v0, 0x100, v0
	v_and_b32_e32 v1, 1, v1
	global_store_b8 v2, v1, s[4:5]
	s_wait_xcnt 0x0
	s_or_b32 exec_lo, exec_lo, s3
	s_delay_alu instid0(SALU_CYCLE_1)
	s_mov_b32 s3, exec_lo
	v_cmpx_gt_i32_e64 s1, v0
	s_cbranch_execz .LBB176_40
.LBB176_57:
	s_wait_loadcnt 0x0
	v_cmp_eq_f16_e32 vcc_lo, v16, v17
	v_cndmask_b32_e64 v1, 0, 1, vcc_lo
	v_cmp_neq_f16_e32 vcc_lo, v16, v17
	v_cndmask_b32_e64 v2, 0, 1, vcc_lo
	s_delay_alu instid0(VALU_DEP_1) | instskip(SKIP_1) | instid1(VALU_DEP_2)
	v_dual_cndmask_b32 v1, v2, v1, s0 :: v_dual_add_nc_u32 v2, s2, v0
	v_add_nc_u32_e32 v0, 0x100, v0
	v_and_b32_e32 v1, 1, v1
	global_store_b8 v2, v1, s[4:5]
	s_wait_xcnt 0x0
	s_or_b32 exec_lo, exec_lo, s3
	s_delay_alu instid0(SALU_CYCLE_1)
	s_mov_b32 s3, exec_lo
	v_cmpx_gt_i32_e64 s1, v0
	s_cbranch_execz .LBB176_41
.LBB176_58:
	s_wait_loadcnt 0x0
	v_cmp_eq_f16_e32 vcc_lo, v3, v19
	v_cndmask_b32_e64 v1, 0, 1, vcc_lo
	v_cmp_neq_f16_e32 vcc_lo, v3, v19
	v_cndmask_b32_e64 v2, 0, 1, vcc_lo
	s_delay_alu instid0(VALU_DEP_1) | instskip(SKIP_1) | instid1(VALU_DEP_2)
	v_dual_cndmask_b32 v1, v2, v1, s0 :: v_dual_add_nc_u32 v2, s2, v0
	v_add_nc_u32_e32 v0, 0x100, v0
	v_and_b32_e32 v1, 1, v1
	global_store_b8 v2, v1, s[4:5]
	s_wait_xcnt 0x0
	s_or_b32 exec_lo, exec_lo, s3
	s_delay_alu instid0(SALU_CYCLE_1)
	s_mov_b32 s3, exec_lo
	v_cmpx_gt_i32_e64 s1, v0
	s_cbranch_execz .LBB176_42
.LBB176_59:
	s_wait_loadcnt 0x0
	v_cmp_eq_f16_e32 vcc_lo, v20, v21
	v_cndmask_b32_e64 v1, 0, 1, vcc_lo
	v_cmp_neq_f16_e32 vcc_lo, v20, v21
	v_cndmask_b32_e64 v2, 0, 1, vcc_lo
	s_delay_alu instid0(VALU_DEP_1) | instskip(SKIP_1) | instid1(VALU_DEP_2)
	v_dual_cndmask_b32 v1, v2, v1, s0 :: v_dual_add_nc_u32 v2, s2, v0
	v_add_nc_u32_e32 v0, 0x100, v0
	v_and_b32_e32 v1, 1, v1
	global_store_b8 v2, v1, s[4:5]
	s_wait_xcnt 0x0
	s_or_b32 exec_lo, exec_lo, s3
	s_delay_alu instid0(SALU_CYCLE_1)
	s_mov_b32 s3, exec_lo
	v_cmpx_gt_i32_e64 s1, v0
	s_cbranch_execz .LBB176_43
.LBB176_60:
	s_wait_loadcnt 0x0
	v_cmp_eq_f16_e32 vcc_lo, v6, v22
	v_cndmask_b32_e64 v1, 0, 1, vcc_lo
	v_cmp_neq_f16_e32 vcc_lo, v6, v22
	v_cndmask_b32_e64 v2, 0, 1, vcc_lo
	s_delay_alu instid0(VALU_DEP_1) | instskip(SKIP_1) | instid1(VALU_DEP_2)
	v_dual_cndmask_b32 v1, v2, v1, s0 :: v_dual_add_nc_u32 v2, s2, v0
	v_add_nc_u32_e32 v0, 0x100, v0
	v_and_b32_e32 v1, 1, v1
	global_store_b8 v2, v1, s[4:5]
	s_wait_xcnt 0x0
	s_or_b32 exec_lo, exec_lo, s3
	s_delay_alu instid0(SALU_CYCLE_1)
	s_mov_b32 s3, exec_lo
	v_cmpx_gt_i32_e64 s1, v0
	s_cbranch_execz .LBB176_44
.LBB176_61:
	s_wait_loadcnt 0x0
	v_cmp_eq_f16_e32 vcc_lo, v23, v24
	v_cndmask_b32_e64 v1, 0, 1, vcc_lo
	v_cmp_neq_f16_e32 vcc_lo, v23, v24
	v_cndmask_b32_e64 v2, 0, 1, vcc_lo
	s_delay_alu instid0(VALU_DEP_1) | instskip(SKIP_1) | instid1(VALU_DEP_2)
	v_dual_cndmask_b32 v1, v2, v1, s0 :: v_dual_add_nc_u32 v2, s2, v0
	v_add_nc_u32_e32 v0, 0x100, v0
	v_and_b32_e32 v1, 1, v1
	global_store_b8 v2, v1, s[4:5]
	s_wait_xcnt 0x0
	s_or_b32 exec_lo, exec_lo, s3
	s_delay_alu instid0(SALU_CYCLE_1)
	s_mov_b32 s3, exec_lo
	v_cmpx_gt_i32_e64 s1, v0
	s_cbranch_execz .LBB176_45
.LBB176_62:
	s_wait_loadcnt 0x0
	v_cmp_eq_f16_e32 vcc_lo, v7, v25
	v_cndmask_b32_e64 v1, 0, 1, vcc_lo
	v_cmp_neq_f16_e32 vcc_lo, v7, v25
	v_cndmask_b32_e64 v2, 0, 1, vcc_lo
	s_delay_alu instid0(VALU_DEP_1) | instskip(SKIP_1) | instid1(VALU_DEP_2)
	v_dual_cndmask_b32 v1, v2, v1, s0 :: v_dual_add_nc_u32 v2, s2, v0
	v_add_nc_u32_e32 v0, 0x100, v0
	v_and_b32_e32 v1, 1, v1
	global_store_b8 v2, v1, s[4:5]
	s_wait_xcnt 0x0
	s_or_b32 exec_lo, exec_lo, s3
	s_delay_alu instid0(SALU_CYCLE_1)
	s_mov_b32 s3, exec_lo
	v_cmpx_gt_i32_e64 s1, v0
	s_cbranch_execz .LBB176_46
.LBB176_63:
	s_wait_loadcnt 0x0
	v_cmp_eq_f16_e32 vcc_lo, v26, v27
	v_cndmask_b32_e64 v1, 0, 1, vcc_lo
	v_cmp_neq_f16_e32 vcc_lo, v26, v27
	v_cndmask_b32_e64 v2, 0, 1, vcc_lo
	s_delay_alu instid0(VALU_DEP_1) | instskip(SKIP_1) | instid1(VALU_DEP_2)
	v_dual_cndmask_b32 v1, v2, v1, s0 :: v_dual_add_nc_u32 v2, s2, v0
	v_add_nc_u32_e32 v0, 0x100, v0
	v_and_b32_e32 v1, 1, v1
	global_store_b8 v2, v1, s[4:5]
	s_wait_xcnt 0x0
	s_or_b32 exec_lo, exec_lo, s3
	s_delay_alu instid0(SALU_CYCLE_1)
	s_mov_b32 s3, exec_lo
	v_cmpx_gt_i32_e64 s1, v0
	s_cbranch_execz .LBB176_47
.LBB176_64:
	s_wait_loadcnt 0x0
	v_cmp_eq_f16_e32 vcc_lo, v10, v28
	v_cndmask_b32_e64 v1, 0, 1, vcc_lo
	v_cmp_neq_f16_e32 vcc_lo, v10, v28
	v_cndmask_b32_e64 v2, 0, 1, vcc_lo
	s_delay_alu instid0(VALU_DEP_1) | instskip(SKIP_1) | instid1(VALU_DEP_2)
	v_dual_cndmask_b32 v1, v2, v1, s0 :: v_dual_add_nc_u32 v2, s2, v0
	v_add_nc_u32_e32 v0, 0x100, v0
	v_and_b32_e32 v1, 1, v1
	global_store_b8 v2, v1, s[4:5]
	s_wait_xcnt 0x0
	s_or_b32 exec_lo, exec_lo, s3
	s_delay_alu instid0(SALU_CYCLE_1)
	s_mov_b32 s3, exec_lo
	v_cmpx_gt_i32_e64 s1, v0
	s_cbranch_execz .LBB176_48
.LBB176_65:
	s_wait_loadcnt 0x0
	v_cmp_eq_f16_e32 vcc_lo, v29, v30
	v_cndmask_b32_e64 v1, 0, 1, vcc_lo
	v_cmp_neq_f16_e32 vcc_lo, v29, v30
	v_cndmask_b32_e64 v2, 0, 1, vcc_lo
	s_delay_alu instid0(VALU_DEP_1) | instskip(SKIP_1) | instid1(VALU_DEP_2)
	v_dual_cndmask_b32 v1, v2, v1, s0 :: v_dual_add_nc_u32 v2, s2, v0
	v_add_nc_u32_e32 v0, 0x100, v0
	v_and_b32_e32 v1, 1, v1
	global_store_b8 v2, v1, s[4:5]
	s_wait_xcnt 0x0
	s_or_b32 exec_lo, exec_lo, s3
	s_delay_alu instid0(SALU_CYCLE_1)
	s_mov_b32 s3, exec_lo
	v_cmpx_gt_i32_e64 s1, v0
	s_cbranch_execz .LBB176_49
.LBB176_66:
	s_wait_loadcnt 0x0
	v_cmp_eq_f16_e32 vcc_lo, v14, v31
	v_cndmask_b32_e64 v1, 0, 1, vcc_lo
	v_cmp_neq_f16_e32 vcc_lo, v14, v31
	v_cndmask_b32_e64 v2, 0, 1, vcc_lo
	s_delay_alu instid0(VALU_DEP_1) | instskip(SKIP_1) | instid1(VALU_DEP_2)
	v_dual_cndmask_b32 v1, v2, v1, s0 :: v_dual_add_nc_u32 v2, s2, v0
	v_add_nc_u32_e32 v0, 0x100, v0
	v_and_b32_e32 v1, 1, v1
	global_store_b8 v2, v1, s[4:5]
	s_wait_xcnt 0x0
	s_or_b32 exec_lo, exec_lo, s3
	s_delay_alu instid0(SALU_CYCLE_1)
	s_mov_b32 s3, exec_lo
	v_cmpx_gt_i32_e64 s1, v0
	s_cbranch_execz .LBB176_50
.LBB176_67:
	s_wait_loadcnt 0x0
	v_cmp_eq_f16_e32 vcc_lo, v32, v33
	v_cndmask_b32_e64 v1, 0, 1, vcc_lo
	v_cmp_neq_f16_e32 vcc_lo, v32, v33
	v_cndmask_b32_e64 v2, 0, 1, vcc_lo
	s_delay_alu instid0(VALU_DEP_1) | instskip(SKIP_1) | instid1(VALU_DEP_2)
	v_dual_cndmask_b32 v1, v2, v1, s0 :: v_dual_add_nc_u32 v2, s2, v0
	v_add_nc_u32_e32 v0, 0x100, v0
	v_and_b32_e32 v1, 1, v1
	global_store_b8 v2, v1, s[4:5]
	s_wait_xcnt 0x0
	s_or_b32 exec_lo, exec_lo, s3
	v_cmp_gt_i32_e32 vcc_lo, s1, v0
	s_and_saveexec_b32 s1, vcc_lo
	s_cbranch_execnz .LBB176_51
	s_branch .LBB176_52
	.section	.rodata,"a",@progbits
	.p2align	6, 0x0
	.amdhsa_kernel _ZN2at6native29vectorized_elementwise_kernelILi16ENS0_13BinaryFunctorIN3c104HalfES4_bNS0_12_GLOBAL__N_116CompareEqFunctorIS4_EEEESt5arrayIPcLm3EEEEviT0_T1_
		.amdhsa_group_segment_fixed_size 0
		.amdhsa_private_segment_fixed_size 0
		.amdhsa_kernarg_size 32
		.amdhsa_user_sgpr_count 2
		.amdhsa_user_sgpr_dispatch_ptr 0
		.amdhsa_user_sgpr_queue_ptr 0
		.amdhsa_user_sgpr_kernarg_segment_ptr 1
		.amdhsa_user_sgpr_dispatch_id 0
		.amdhsa_user_sgpr_kernarg_preload_length 0
		.amdhsa_user_sgpr_kernarg_preload_offset 0
		.amdhsa_user_sgpr_private_segment_size 0
		.amdhsa_wavefront_size32 1
		.amdhsa_uses_dynamic_stack 0
		.amdhsa_enable_private_segment 0
		.amdhsa_system_sgpr_workgroup_id_x 1
		.amdhsa_system_sgpr_workgroup_id_y 0
		.amdhsa_system_sgpr_workgroup_id_z 0
		.amdhsa_system_sgpr_workgroup_info 0
		.amdhsa_system_vgpr_workitem_id 0
		.amdhsa_next_free_vgpr 36
		.amdhsa_next_free_sgpr 16
		.amdhsa_named_barrier_count 0
		.amdhsa_reserve_vcc 1
		.amdhsa_float_round_mode_32 0
		.amdhsa_float_round_mode_16_64 0
		.amdhsa_float_denorm_mode_32 3
		.amdhsa_float_denorm_mode_16_64 3
		.amdhsa_fp16_overflow 0
		.amdhsa_memory_ordered 1
		.amdhsa_forward_progress 1
		.amdhsa_inst_pref_size 33
		.amdhsa_round_robin_scheduling 0
		.amdhsa_exception_fp_ieee_invalid_op 0
		.amdhsa_exception_fp_denorm_src 0
		.amdhsa_exception_fp_ieee_div_zero 0
		.amdhsa_exception_fp_ieee_overflow 0
		.amdhsa_exception_fp_ieee_underflow 0
		.amdhsa_exception_fp_ieee_inexact 0
		.amdhsa_exception_int_div_zero 0
	.end_amdhsa_kernel
	.section	.text._ZN2at6native29vectorized_elementwise_kernelILi16ENS0_13BinaryFunctorIN3c104HalfES4_bNS0_12_GLOBAL__N_116CompareEqFunctorIS4_EEEESt5arrayIPcLm3EEEEviT0_T1_,"axG",@progbits,_ZN2at6native29vectorized_elementwise_kernelILi16ENS0_13BinaryFunctorIN3c104HalfES4_bNS0_12_GLOBAL__N_116CompareEqFunctorIS4_EEEESt5arrayIPcLm3EEEEviT0_T1_,comdat
.Lfunc_end176:
	.size	_ZN2at6native29vectorized_elementwise_kernelILi16ENS0_13BinaryFunctorIN3c104HalfES4_bNS0_12_GLOBAL__N_116CompareEqFunctorIS4_EEEESt5arrayIPcLm3EEEEviT0_T1_, .Lfunc_end176-_ZN2at6native29vectorized_elementwise_kernelILi16ENS0_13BinaryFunctorIN3c104HalfES4_bNS0_12_GLOBAL__N_116CompareEqFunctorIS4_EEEESt5arrayIPcLm3EEEEviT0_T1_
                                        ; -- End function
	.set _ZN2at6native29vectorized_elementwise_kernelILi16ENS0_13BinaryFunctorIN3c104HalfES4_bNS0_12_GLOBAL__N_116CompareEqFunctorIS4_EEEESt5arrayIPcLm3EEEEviT0_T1_.num_vgpr, 36
	.set _ZN2at6native29vectorized_elementwise_kernelILi16ENS0_13BinaryFunctorIN3c104HalfES4_bNS0_12_GLOBAL__N_116CompareEqFunctorIS4_EEEESt5arrayIPcLm3EEEEviT0_T1_.num_agpr, 0
	.set _ZN2at6native29vectorized_elementwise_kernelILi16ENS0_13BinaryFunctorIN3c104HalfES4_bNS0_12_GLOBAL__N_116CompareEqFunctorIS4_EEEESt5arrayIPcLm3EEEEviT0_T1_.numbered_sgpr, 16
	.set _ZN2at6native29vectorized_elementwise_kernelILi16ENS0_13BinaryFunctorIN3c104HalfES4_bNS0_12_GLOBAL__N_116CompareEqFunctorIS4_EEEESt5arrayIPcLm3EEEEviT0_T1_.num_named_barrier, 0
	.set _ZN2at6native29vectorized_elementwise_kernelILi16ENS0_13BinaryFunctorIN3c104HalfES4_bNS0_12_GLOBAL__N_116CompareEqFunctorIS4_EEEESt5arrayIPcLm3EEEEviT0_T1_.private_seg_size, 0
	.set _ZN2at6native29vectorized_elementwise_kernelILi16ENS0_13BinaryFunctorIN3c104HalfES4_bNS0_12_GLOBAL__N_116CompareEqFunctorIS4_EEEESt5arrayIPcLm3EEEEviT0_T1_.uses_vcc, 1
	.set _ZN2at6native29vectorized_elementwise_kernelILi16ENS0_13BinaryFunctorIN3c104HalfES4_bNS0_12_GLOBAL__N_116CompareEqFunctorIS4_EEEESt5arrayIPcLm3EEEEviT0_T1_.uses_flat_scratch, 0
	.set _ZN2at6native29vectorized_elementwise_kernelILi16ENS0_13BinaryFunctorIN3c104HalfES4_bNS0_12_GLOBAL__N_116CompareEqFunctorIS4_EEEESt5arrayIPcLm3EEEEviT0_T1_.has_dyn_sized_stack, 0
	.set _ZN2at6native29vectorized_elementwise_kernelILi16ENS0_13BinaryFunctorIN3c104HalfES4_bNS0_12_GLOBAL__N_116CompareEqFunctorIS4_EEEESt5arrayIPcLm3EEEEviT0_T1_.has_recursion, 0
	.set _ZN2at6native29vectorized_elementwise_kernelILi16ENS0_13BinaryFunctorIN3c104HalfES4_bNS0_12_GLOBAL__N_116CompareEqFunctorIS4_EEEESt5arrayIPcLm3EEEEviT0_T1_.has_indirect_call, 0
	.section	.AMDGPU.csdata,"",@progbits
; Kernel info:
; codeLenInByte = 4208
; TotalNumSgprs: 18
; NumVgprs: 36
; ScratchSize: 0
; MemoryBound: 0
; FloatMode: 240
; IeeeMode: 1
; LDSByteSize: 0 bytes/workgroup (compile time only)
; SGPRBlocks: 0
; VGPRBlocks: 2
; NumSGPRsForWavesPerEU: 18
; NumVGPRsForWavesPerEU: 36
; NamedBarCnt: 0
; Occupancy: 16
; WaveLimiterHint : 0
; COMPUTE_PGM_RSRC2:SCRATCH_EN: 0
; COMPUTE_PGM_RSRC2:USER_SGPR: 2
; COMPUTE_PGM_RSRC2:TRAP_HANDLER: 0
; COMPUTE_PGM_RSRC2:TGID_X_EN: 1
; COMPUTE_PGM_RSRC2:TGID_Y_EN: 0
; COMPUTE_PGM_RSRC2:TGID_Z_EN: 0
; COMPUTE_PGM_RSRC2:TIDIG_COMP_CNT: 0
	.section	.text._ZN2at6native29vectorized_elementwise_kernelILi8ENS0_13BinaryFunctorIN3c104HalfES4_bNS0_12_GLOBAL__N_116CompareEqFunctorIS4_EEEESt5arrayIPcLm3EEEEviT0_T1_,"axG",@progbits,_ZN2at6native29vectorized_elementwise_kernelILi8ENS0_13BinaryFunctorIN3c104HalfES4_bNS0_12_GLOBAL__N_116CompareEqFunctorIS4_EEEESt5arrayIPcLm3EEEEviT0_T1_,comdat
	.globl	_ZN2at6native29vectorized_elementwise_kernelILi8ENS0_13BinaryFunctorIN3c104HalfES4_bNS0_12_GLOBAL__N_116CompareEqFunctorIS4_EEEESt5arrayIPcLm3EEEEviT0_T1_ ; -- Begin function _ZN2at6native29vectorized_elementwise_kernelILi8ENS0_13BinaryFunctorIN3c104HalfES4_bNS0_12_GLOBAL__N_116CompareEqFunctorIS4_EEEESt5arrayIPcLm3EEEEviT0_T1_
	.p2align	8
	.type	_ZN2at6native29vectorized_elementwise_kernelILi8ENS0_13BinaryFunctorIN3c104HalfES4_bNS0_12_GLOBAL__N_116CompareEqFunctorIS4_EEEESt5arrayIPcLm3EEEEviT0_T1_,@function
_ZN2at6native29vectorized_elementwise_kernelILi8ENS0_13BinaryFunctorIN3c104HalfES4_bNS0_12_GLOBAL__N_116CompareEqFunctorIS4_EEEESt5arrayIPcLm3EEEEviT0_T1_: ; @_ZN2at6native29vectorized_elementwise_kernelILi8ENS0_13BinaryFunctorIN3c104HalfES4_bNS0_12_GLOBAL__N_116CompareEqFunctorIS4_EEEESt5arrayIPcLm3EEEEviT0_T1_
; %bb.0:
	s_clause 0x2
	s_load_b64 s[8:9], s[0:1], 0x0
	s_load_b128 s[4:7], s[0:1], 0x8
	s_load_b64 s[10:11], s[0:1], 0x18
	s_wait_xcnt 0x0
	s_bfe_u32 s0, ttmp6, 0x4000c
	s_and_b32 s1, ttmp6, 15
	s_add_co_i32 s0, s0, 1
	s_getreg_b32 s2, hwreg(HW_REG_IB_STS2, 6, 4)
	s_mul_i32 s0, ttmp9, s0
	s_delay_alu instid0(SALU_CYCLE_1) | instskip(SKIP_2) | instid1(SALU_CYCLE_1)
	s_add_co_i32 s1, s1, s0
	s_cmp_eq_u32 s2, 0
	s_cselect_b32 s0, ttmp9, s1
	s_lshl_b32 s2, s0, 12
	s_mov_b32 s0, -1
	s_wait_kmcnt 0x0
	s_sub_co_i32 s1, s8, s2
	s_delay_alu instid0(SALU_CYCLE_1)
	s_cmp_gt_i32 s1, 0xfff
	s_cbranch_scc0 .LBB177_2
; %bb.1:
	s_ashr_i32 s3, s2, 31
	v_or3_b32 v1, 0, 0, 0
	s_lshl_b64 s[12:13], s[2:3], 1
	s_cmp_eq_u32 s9, 0
	s_add_nc_u64 s[14:15], s[6:7], s[12:13]
	s_add_nc_u64 s[12:13], s[10:11], s[12:13]
	s_clause 0x3
	global_load_b128 v[2:5], v0, s[14:15] scale_offset
	global_load_b128 v[6:9], v0, s[14:15] offset:4096 scale_offset
	global_load_b128 v[10:13], v0, s[12:13] scale_offset
	global_load_b128 v[14:17], v0, s[12:13] offset:4096 scale_offset
	s_wait_xcnt 0x0
	s_add_nc_u64 s[12:13], s[4:5], s[2:3]
	s_wait_loadcnt 0x3
	v_dual_lshrrev_b32 v18, 16, v2 :: v_dual_lshrrev_b32 v19, 16, v3
	s_wait_loadcnt 0x1
	v_cmp_eq_f16_e32 vcc_lo, v2, v10
	v_dual_lshrrev_b32 v26, 16, v10 :: v_dual_lshrrev_b32 v27, 16, v11
	v_dual_lshrrev_b32 v20, 16, v4 :: v_dual_lshrrev_b32 v21, 16, v5
	v_cndmask_b32_e64 v34, 0, 1, vcc_lo
	v_cmp_neq_f16_e32 vcc_lo, v2, v10
	v_dual_lshrrev_b32 v28, 16, v12 :: v_dual_lshrrev_b32 v29, 16, v13
	v_dual_lshrrev_b32 v22, 16, v6 :: v_dual_lshrrev_b32 v23, 16, v7
	v_cndmask_b32_e64 v2, 0, 1, vcc_lo
	v_cmp_eq_f16_e32 vcc_lo, v3, v11
	s_wait_loadcnt 0x0
	v_dual_lshrrev_b32 v30, 16, v14 :: v_dual_lshrrev_b32 v31, 16, v15
	v_dual_lshrrev_b32 v24, 16, v8 :: v_dual_lshrrev_b32 v25, 16, v9
	v_cndmask_b32_e64 v10, 0, 1, vcc_lo
	v_cmp_neq_f16_e32 vcc_lo, v3, v11
	v_cmp_eq_f16_e64 s0, v18, v26
	v_dual_lshrrev_b32 v32, 16, v16 :: v_dual_lshrrev_b32 v33, 16, v17
	v_cndmask_b32_e64 v3, 0, 1, vcc_lo
	v_cmp_eq_f16_e32 vcc_lo, v4, v12
	v_cndmask_b32_e64 v11, 0, 1, vcc_lo
	v_cmp_neq_f16_e32 vcc_lo, v4, v12
	v_cndmask_b32_e64 v4, 0, 1, vcc_lo
	v_cmp_eq_f16_e32 vcc_lo, v5, v13
	v_cndmask_b32_e64 v12, 0, 1, vcc_lo
	v_cmp_neq_f16_e32 vcc_lo, v5, v13
	;; [unrolled: 4-line block ×6, first 2 shown]
	v_cndmask_b32_e64 v17, 0, 1, s0
	v_cmp_neq_f16_e64 s0, v18, v26
	v_cndmask_b32_e64 v9, 0, 1, vcc_lo
	s_cselect_b32 vcc_lo, -1, 0
	v_cndmask_b32_e64 v18, 0, 1, s0
	v_cmp_eq_f16_e64 s0, v19, v27
	v_dual_cndmask_b32 v3, v3, v10, vcc_lo :: v_dual_cndmask_b32 v5, v5, v12, vcc_lo
	v_dual_cndmask_b32 v2, v2, v34, vcc_lo :: v_dual_cndmask_b32 v4, v4, v11, vcc_lo
	s_delay_alu instid0(VALU_DEP_3) | instskip(SKIP_3) | instid1(VALU_DEP_3)
	v_cndmask_b32_e64 v10, 0, 1, s0
	v_cmp_neq_f16_e64 s0, v19, v27
	v_dual_cndmask_b32 v6, v6, v13 :: v_dual_cndmask_b32 v7, v7, v14
	v_dual_cndmask_b32 v8, v8, v15 :: v_dual_cndmask_b32 v9, v9, v16
	v_cndmask_b32_e64 v19, 0, 1, s0
	v_cmp_eq_f16_e64 s0, v20, v28
	v_and_b32_e32 v3, 1, v3
	v_dual_cndmask_b32 v17, v18, v17, vcc_lo :: v_dual_bitop2_b32 v2, 1, v2 bitop3:0x40
	s_delay_alu instid0(VALU_DEP_4) | instskip(NEXT) | instid1(VALU_DEP_4)
	v_cndmask_b32_e32 v10, v19, v10, vcc_lo
	v_cndmask_b32_e64 v11, 0, 1, s0
	v_cmp_neq_f16_e64 s0, v20, v28
	s_delay_alu instid0(VALU_DEP_4) | instskip(NEXT) | instid1(VALU_DEP_4)
	v_and_b32_e32 v17, 1, v17
	v_and_b32_e32 v10, 1, v10
	s_delay_alu instid0(VALU_DEP_3) | instskip(SKIP_1) | instid1(VALU_DEP_2)
	v_cndmask_b32_e64 v20, 0, 1, s0
	v_cmp_eq_f16_e64 s0, v21, v29
	v_dual_cndmask_b32 v11, v20, v11, vcc_lo :: v_dual_bitop2_b32 v4, 1, v4 bitop3:0x40
	s_delay_alu instid0(VALU_DEP_2) | instskip(SKIP_1) | instid1(VALU_DEP_3)
	v_cndmask_b32_e64 v12, 0, 1, s0
	v_cmp_neq_f16_e64 s0, v21, v29
	v_and_b32_e32 v11, 1, v11
	s_delay_alu instid0(VALU_DEP_2) | instskip(SKIP_1) | instid1(VALU_DEP_2)
	v_cndmask_b32_e64 v21, 0, 1, s0
	v_cmp_eq_f16_e64 s0, v22, v30
	v_dual_cndmask_b32 v12, v21, v12, vcc_lo :: v_dual_bitop2_b32 v5, 1, v5 bitop3:0x40
	s_delay_alu instid0(VALU_DEP_2) | instskip(SKIP_1) | instid1(VALU_DEP_3)
	v_cndmask_b32_e64 v13, 0, 1, s0
	v_cmp_neq_f16_e64 s0, v22, v30
	v_and_b32_e32 v12, 1, v12
	s_delay_alu instid0(VALU_DEP_2) | instskip(SKIP_1) | instid1(VALU_DEP_2)
	;; [unrolled: 8-line block ×4, first 2 shown]
	v_cndmask_b32_e64 v24, 0, 1, s0
	v_cmp_eq_f16_e64 s0, v25, v33
	v_dual_cndmask_b32 v15, v24, v15, vcc_lo :: v_dual_bitop2_b32 v8, 1, v8 bitop3:0x40
	s_delay_alu instid0(VALU_DEP_2) | instskip(SKIP_1) | instid1(VALU_DEP_3)
	v_cndmask_b32_e64 v16, 0, 1, s0
	v_cmp_neq_f16_e64 s0, v25, v33
	v_and_b32_e32 v15, 1, v15
	s_delay_alu instid0(VALU_DEP_2) | instskip(SKIP_2) | instid1(VALU_DEP_2)
	v_cndmask_b32_e64 v25, 0, 1, s0
	v_and_b32_e32 v9, 1, v9
	s_mov_b32 s0, 0
	v_cndmask_b32_e32 v16, v25, v16, vcc_lo
	v_cmp_eq_u32_e32 vcc_lo, 1, v3
	s_delay_alu instid0(VALU_DEP_2)
	v_and_b32_e32 v16, 1, v16
	v_cndmask_b32_e64 v3, 0, 0x10000, vcc_lo
	v_cmp_eq_u32_e32 vcc_lo, 1, v4
	v_cndmask_b32_e64 v4, 0, 1, vcc_lo
	v_cmp_eq_u32_e32 vcc_lo, 1, v5
	;; [unrolled: 2-line block ×7, first 2 shown]
	s_delay_alu instid0(VALU_DEP_2) | instskip(SKIP_2) | instid1(VALU_DEP_2)
	v_or_b32_e32 v2, v17, v2
	v_cndmask_b32_e64 v10, 0, 0x1000000, vcc_lo
	v_cmp_eq_u32_e32 vcc_lo, 1, v13
	v_or3_b32 v2, v2, v3, v10
	v_cndmask_b32_e64 v13, 0, 0x100, vcc_lo
	v_cmp_eq_u32_e32 vcc_lo, 1, v11
	s_delay_alu instid0(VALU_DEP_3) | instskip(NEXT) | instid1(VALU_DEP_3)
	v_or3_b32 v2, v2, 0, 0
	v_or_b32_e32 v6, v13, v6
	v_cndmask_b32_e64 v11, 0, 0x100, vcc_lo
	v_cmp_eq_u32_e32 vcc_lo, 1, v14
	s_delay_alu instid0(VALU_DEP_4) | instskip(NEXT) | instid1(VALU_DEP_3)
	v_or3_b32 v2, v2, 0, 0
	v_or3_b32 v4, v1, v4, v11
	v_cndmask_b32_e64 v14, 0, 0x1000000, vcc_lo
	v_cmp_eq_u32_e32 vcc_lo, 1, v12
	s_delay_alu instid0(VALU_DEP_2) | instskip(SKIP_2) | instid1(VALU_DEP_3)
	v_or3_b32 v3, v6, v7, v14
	v_cndmask_b32_e64 v12, 0, 0x1000000, vcc_lo
	v_cmp_eq_u32_e32 vcc_lo, 1, v15
	v_or3_b32 v7, v3, 0, 0
	s_delay_alu instid0(VALU_DEP_3) | instskip(SKIP_2) | instid1(VALU_DEP_4)
	v_or3_b32 v3, v4, v5, v12
	v_cndmask_b32_e64 v13, 0, 0x100, vcc_lo
	v_cmp_eq_u32_e32 vcc_lo, 1, v16
	v_or3_b32 v4, v7, 0, 0
	s_delay_alu instid0(VALU_DEP_3) | instskip(SKIP_1) | instid1(VALU_DEP_1)
	v_or3_b32 v1, v1, v8, v13
	v_cndmask_b32_e64 v6, 0, 0x1000000, vcc_lo
	v_or3_b32 v5, v1, v9, v6
	s_clause 0x1
	global_store_b64 v0, v[2:3], s[12:13] scale_offset
	global_store_b64 v0, v[4:5], s[12:13] offset:2048 scale_offset
.LBB177_2:
	s_and_not1_b32 vcc_lo, exec_lo, s0
	s_cbranch_vccnz .LBB177_52
; %bb.3:
	v_cmp_gt_i32_e32 vcc_lo, s1, v0
	s_wait_xcnt 0x0
	v_dual_mov_b32 v1, 0 :: v_dual_bitop2_b32 v4, s2, v0 bitop3:0x54
	v_or_b32_e32 v5, 0x100, v0
	v_dual_mov_b32 v8, 0 :: v_dual_mov_b32 v9, 0
	v_mov_b32_e32 v35, v0
	s_and_saveexec_b32 s0, vcc_lo
	s_cbranch_execz .LBB177_5
; %bb.4:
	s_clause 0x1
	global_load_u16 v8, v4, s[6:7] scale_offset
	global_load_u16 v9, v4, s[10:11] scale_offset
	v_or_b32_e32 v35, 0x100, v0
.LBB177_5:
	s_wait_xcnt 0x0
	s_or_b32 exec_lo, exec_lo, s0
	v_mov_b32_e32 v11, 0
	s_mov_b32 s3, exec_lo
	v_cmpx_gt_i32_e64 s1, v35
	s_cbranch_execz .LBB177_7
; %bb.6:
	v_add_nc_u32_e32 v2, s2, v35
	v_add_nc_u32_e32 v35, 0x100, v35
	s_clause 0x1
	global_load_u16 v1, v2, s[6:7] scale_offset
	global_load_u16 v11, v2, s[10:11] scale_offset
.LBB177_7:
	s_wait_xcnt 0x0
	s_or_b32 exec_lo, exec_lo, s3
	v_dual_mov_b32 v2, 0 :: v_dual_mov_b32 v12, 0
	v_mov_b32_e32 v13, 0
	s_mov_b32 s3, exec_lo
	v_cmpx_gt_i32_e64 s1, v35
	s_cbranch_execz .LBB177_9
; %bb.8:
	v_add_nc_u32_e32 v3, s2, v35
	v_add_nc_u32_e32 v35, 0x100, v35
	s_clause 0x1
	global_load_u16 v12, v3, s[6:7] scale_offset
	global_load_u16 v13, v3, s[10:11] scale_offset
.LBB177_9:
	s_wait_xcnt 0x0
	s_or_b32 exec_lo, exec_lo, s3
	v_mov_b32_e32 v15, 0
	s_mov_b32 s3, exec_lo
	v_cmpx_gt_i32_e64 s1, v35
	s_cbranch_execz .LBB177_11
; %bb.10:
	v_add_nc_u32_e32 v3, s2, v35
	v_add_nc_u32_e32 v35, 0x100, v35
	s_clause 0x1
	global_load_u16 v2, v3, s[6:7] scale_offset
	global_load_u16 v15, v3, s[10:11] scale_offset
.LBB177_11:
	s_wait_xcnt 0x0
	s_or_b32 exec_lo, exec_lo, s3
	v_dual_mov_b32 v3, 0 :: v_dual_mov_b32 v16, 0
	v_mov_b32_e32 v17, 0
	s_mov_b32 s3, exec_lo
	v_cmpx_gt_i32_e64 s1, v35
	s_cbranch_execz .LBB177_13
; %bb.12:
	v_add_nc_u32_e32 v6, s2, v35
	v_add_nc_u32_e32 v35, 0x100, v35
	s_clause 0x1
	global_load_u16 v16, v6, s[6:7] scale_offset
	global_load_u16 v17, v6, s[10:11] scale_offset
.LBB177_13:
	;; [unrolled: 27-line block ×7, first 2 shown]
	s_wait_xcnt 0x0
	s_or_b32 exec_lo, exec_lo, s3
	v_mov_b32_e32 v34, 0
	s_mov_b32 s3, exec_lo
	v_cmpx_gt_i32_e64 s1, v35
	s_cbranch_execz .LBB177_35
; %bb.34:
	v_add_nc_u32_e32 v35, s2, v35
	s_clause 0x1
	global_load_u16 v18, v35, s[6:7] scale_offset
	global_load_u16 v34, v35, s[10:11] scale_offset
.LBB177_35:
	s_wait_xcnt 0x0
	s_or_b32 exec_lo, exec_lo, s3
	s_cmp_eq_u32 s9, 0
	s_cselect_b32 s0, -1, 0
	s_and_saveexec_b32 s3, vcc_lo
	s_cbranch_execnz .LBB177_53
; %bb.36:
	s_or_b32 exec_lo, exec_lo, s3
	s_delay_alu instid0(SALU_CYCLE_1)
	s_mov_b32 s3, exec_lo
	v_cmpx_gt_i32_e64 s1, v0
	s_cbranch_execnz .LBB177_54
.LBB177_37:
	s_or_b32 exec_lo, exec_lo, s3
	s_delay_alu instid0(SALU_CYCLE_1)
	s_mov_b32 s3, exec_lo
	v_cmpx_gt_i32_e64 s1, v0
	s_cbranch_execnz .LBB177_55
.LBB177_38:
	s_or_b32 exec_lo, exec_lo, s3
	s_delay_alu instid0(SALU_CYCLE_1)
	s_mov_b32 s3, exec_lo
	v_cmpx_gt_i32_e64 s1, v0
	s_cbranch_execnz .LBB177_56
.LBB177_39:
	s_or_b32 exec_lo, exec_lo, s3
	s_delay_alu instid0(SALU_CYCLE_1)
	s_mov_b32 s3, exec_lo
	v_cmpx_gt_i32_e64 s1, v0
	s_cbranch_execnz .LBB177_57
.LBB177_40:
	s_or_b32 exec_lo, exec_lo, s3
	s_delay_alu instid0(SALU_CYCLE_1)
	s_mov_b32 s3, exec_lo
	v_cmpx_gt_i32_e64 s1, v0
	s_cbranch_execnz .LBB177_58
.LBB177_41:
	s_or_b32 exec_lo, exec_lo, s3
	s_delay_alu instid0(SALU_CYCLE_1)
	s_mov_b32 s3, exec_lo
	v_cmpx_gt_i32_e64 s1, v0
	s_cbranch_execnz .LBB177_59
.LBB177_42:
	s_or_b32 exec_lo, exec_lo, s3
	s_delay_alu instid0(SALU_CYCLE_1)
	s_mov_b32 s3, exec_lo
	v_cmpx_gt_i32_e64 s1, v0
	s_cbranch_execnz .LBB177_60
.LBB177_43:
	s_or_b32 exec_lo, exec_lo, s3
	s_delay_alu instid0(SALU_CYCLE_1)
	s_mov_b32 s3, exec_lo
	v_cmpx_gt_i32_e64 s1, v0
	s_cbranch_execnz .LBB177_61
.LBB177_44:
	s_or_b32 exec_lo, exec_lo, s3
	s_delay_alu instid0(SALU_CYCLE_1)
	s_mov_b32 s3, exec_lo
	v_cmpx_gt_i32_e64 s1, v0
	s_cbranch_execnz .LBB177_62
.LBB177_45:
	s_or_b32 exec_lo, exec_lo, s3
	s_delay_alu instid0(SALU_CYCLE_1)
	s_mov_b32 s3, exec_lo
	v_cmpx_gt_i32_e64 s1, v0
	s_cbranch_execnz .LBB177_63
.LBB177_46:
	s_or_b32 exec_lo, exec_lo, s3
	s_delay_alu instid0(SALU_CYCLE_1)
	s_mov_b32 s3, exec_lo
	v_cmpx_gt_i32_e64 s1, v0
	s_cbranch_execnz .LBB177_64
.LBB177_47:
	s_or_b32 exec_lo, exec_lo, s3
	s_delay_alu instid0(SALU_CYCLE_1)
	s_mov_b32 s3, exec_lo
	v_cmpx_gt_i32_e64 s1, v0
	s_cbranch_execnz .LBB177_65
.LBB177_48:
	s_or_b32 exec_lo, exec_lo, s3
	s_delay_alu instid0(SALU_CYCLE_1)
	s_mov_b32 s3, exec_lo
	v_cmpx_gt_i32_e64 s1, v0
	s_cbranch_execnz .LBB177_66
.LBB177_49:
	s_or_b32 exec_lo, exec_lo, s3
	s_delay_alu instid0(SALU_CYCLE_1)
	s_mov_b32 s3, exec_lo
	v_cmpx_gt_i32_e64 s1, v0
	s_cbranch_execnz .LBB177_67
.LBB177_50:
	s_or_b32 exec_lo, exec_lo, s3
	v_cmp_gt_i32_e32 vcc_lo, s1, v0
	s_and_saveexec_b32 s1, vcc_lo
	s_cbranch_execz .LBB177_52
.LBB177_51:
	s_wait_loadcnt 0x0
	v_cmp_eq_f16_e32 vcc_lo, v18, v34
	v_add_nc_u32_e32 v0, s2, v0
	v_cndmask_b32_e64 v1, 0, 1, vcc_lo
	v_cmp_neq_f16_e32 vcc_lo, v18, v34
	v_cndmask_b32_e64 v2, 0, 1, vcc_lo
	s_delay_alu instid0(VALU_DEP_1) | instskip(NEXT) | instid1(VALU_DEP_1)
	v_cndmask_b32_e64 v1, v2, v1, s0
	v_and_b32_e32 v1, 1, v1
	global_store_b8 v0, v1, s[4:5]
.LBB177_52:
	s_endpgm
.LBB177_53:
	s_wait_loadcnt 0x0
	v_cmp_eq_f16_e32 vcc_lo, v8, v9
	v_cndmask_b32_e64 v0, 0, 1, vcc_lo
	v_cmp_neq_f16_e32 vcc_lo, v8, v9
	v_cndmask_b32_e64 v8, 0, 1, vcc_lo
	s_delay_alu instid0(VALU_DEP_1) | instskip(NEXT) | instid1(VALU_DEP_1)
	v_cndmask_b32_e64 v0, v8, v0, s0
	v_dual_mov_b32 v0, v5 :: v_dual_bitop2_b32 v8, 1, v0 bitop3:0x40
	global_store_b8 v4, v8, s[4:5]
	s_wait_xcnt 0x0
	s_or_b32 exec_lo, exec_lo, s3
	s_delay_alu instid0(SALU_CYCLE_1)
	s_mov_b32 s3, exec_lo
	v_cmpx_gt_i32_e64 s1, v0
	s_cbranch_execz .LBB177_37
.LBB177_54:
	s_wait_loadcnt 0x0
	v_cmp_eq_f16_e32 vcc_lo, v1, v11
	v_cndmask_b32_e64 v4, 0, 1, vcc_lo
	v_cmp_neq_f16_e32 vcc_lo, v1, v11
	v_cndmask_b32_e64 v1, 0, 1, vcc_lo
	s_delay_alu instid0(VALU_DEP_1) | instskip(SKIP_2) | instid1(VALU_DEP_3)
	v_cndmask_b32_e64 v1, v1, v4, s0
	v_add_nc_u32_e32 v4, s2, v0
	v_add_nc_u32_e32 v0, 0x100, v0
	v_and_b32_e32 v1, 1, v1
	global_store_b8 v4, v1, s[4:5]
	s_wait_xcnt 0x0
	s_or_b32 exec_lo, exec_lo, s3
	s_delay_alu instid0(SALU_CYCLE_1)
	s_mov_b32 s3, exec_lo
	v_cmpx_gt_i32_e64 s1, v0
	s_cbranch_execz .LBB177_38
.LBB177_55:
	s_wait_loadcnt 0x0
	v_cmp_eq_f16_e32 vcc_lo, v12, v13
	v_cndmask_b32_e64 v1, 0, 1, vcc_lo
	v_cmp_neq_f16_e32 vcc_lo, v12, v13
	v_cndmask_b32_e64 v4, 0, 1, vcc_lo
	s_delay_alu instid0(VALU_DEP_1) | instskip(SKIP_1) | instid1(VALU_DEP_2)
	v_dual_cndmask_b32 v1, v4, v1, s0 :: v_dual_add_nc_u32 v4, s2, v0
	v_add_nc_u32_e32 v0, 0x100, v0
	v_and_b32_e32 v1, 1, v1
	global_store_b8 v4, v1, s[4:5]
	s_wait_xcnt 0x0
	s_or_b32 exec_lo, exec_lo, s3
	s_delay_alu instid0(SALU_CYCLE_1)
	s_mov_b32 s3, exec_lo
	v_cmpx_gt_i32_e64 s1, v0
	s_cbranch_execz .LBB177_39
.LBB177_56:
	s_wait_loadcnt 0x0
	v_cmp_eq_f16_e32 vcc_lo, v2, v15
	v_cndmask_b32_e64 v1, 0, 1, vcc_lo
	v_cmp_neq_f16_e32 vcc_lo, v2, v15
	v_cndmask_b32_e64 v2, 0, 1, vcc_lo
	s_delay_alu instid0(VALU_DEP_1) | instskip(SKIP_1) | instid1(VALU_DEP_2)
	v_dual_cndmask_b32 v1, v2, v1, s0 :: v_dual_add_nc_u32 v2, s2, v0
	v_add_nc_u32_e32 v0, 0x100, v0
	v_and_b32_e32 v1, 1, v1
	global_store_b8 v2, v1, s[4:5]
	s_wait_xcnt 0x0
	s_or_b32 exec_lo, exec_lo, s3
	s_delay_alu instid0(SALU_CYCLE_1)
	s_mov_b32 s3, exec_lo
	v_cmpx_gt_i32_e64 s1, v0
	s_cbranch_execz .LBB177_40
.LBB177_57:
	s_wait_loadcnt 0x0
	v_cmp_eq_f16_e32 vcc_lo, v16, v17
	v_cndmask_b32_e64 v1, 0, 1, vcc_lo
	v_cmp_neq_f16_e32 vcc_lo, v16, v17
	v_cndmask_b32_e64 v2, 0, 1, vcc_lo
	s_delay_alu instid0(VALU_DEP_1) | instskip(SKIP_1) | instid1(VALU_DEP_2)
	v_dual_cndmask_b32 v1, v2, v1, s0 :: v_dual_add_nc_u32 v2, s2, v0
	v_add_nc_u32_e32 v0, 0x100, v0
	v_and_b32_e32 v1, 1, v1
	global_store_b8 v2, v1, s[4:5]
	s_wait_xcnt 0x0
	s_or_b32 exec_lo, exec_lo, s3
	s_delay_alu instid0(SALU_CYCLE_1)
	s_mov_b32 s3, exec_lo
	v_cmpx_gt_i32_e64 s1, v0
	s_cbranch_execz .LBB177_41
.LBB177_58:
	s_wait_loadcnt 0x0
	v_cmp_eq_f16_e32 vcc_lo, v3, v19
	v_cndmask_b32_e64 v1, 0, 1, vcc_lo
	v_cmp_neq_f16_e32 vcc_lo, v3, v19
	v_cndmask_b32_e64 v2, 0, 1, vcc_lo
	s_delay_alu instid0(VALU_DEP_1) | instskip(SKIP_1) | instid1(VALU_DEP_2)
	v_dual_cndmask_b32 v1, v2, v1, s0 :: v_dual_add_nc_u32 v2, s2, v0
	v_add_nc_u32_e32 v0, 0x100, v0
	v_and_b32_e32 v1, 1, v1
	global_store_b8 v2, v1, s[4:5]
	s_wait_xcnt 0x0
	s_or_b32 exec_lo, exec_lo, s3
	s_delay_alu instid0(SALU_CYCLE_1)
	s_mov_b32 s3, exec_lo
	v_cmpx_gt_i32_e64 s1, v0
	s_cbranch_execz .LBB177_42
.LBB177_59:
	s_wait_loadcnt 0x0
	v_cmp_eq_f16_e32 vcc_lo, v20, v21
	v_cndmask_b32_e64 v1, 0, 1, vcc_lo
	v_cmp_neq_f16_e32 vcc_lo, v20, v21
	v_cndmask_b32_e64 v2, 0, 1, vcc_lo
	s_delay_alu instid0(VALU_DEP_1) | instskip(SKIP_1) | instid1(VALU_DEP_2)
	v_dual_cndmask_b32 v1, v2, v1, s0 :: v_dual_add_nc_u32 v2, s2, v0
	v_add_nc_u32_e32 v0, 0x100, v0
	v_and_b32_e32 v1, 1, v1
	global_store_b8 v2, v1, s[4:5]
	s_wait_xcnt 0x0
	s_or_b32 exec_lo, exec_lo, s3
	s_delay_alu instid0(SALU_CYCLE_1)
	s_mov_b32 s3, exec_lo
	v_cmpx_gt_i32_e64 s1, v0
	s_cbranch_execz .LBB177_43
.LBB177_60:
	s_wait_loadcnt 0x0
	v_cmp_eq_f16_e32 vcc_lo, v6, v22
	v_cndmask_b32_e64 v1, 0, 1, vcc_lo
	v_cmp_neq_f16_e32 vcc_lo, v6, v22
	v_cndmask_b32_e64 v2, 0, 1, vcc_lo
	s_delay_alu instid0(VALU_DEP_1) | instskip(SKIP_1) | instid1(VALU_DEP_2)
	v_dual_cndmask_b32 v1, v2, v1, s0 :: v_dual_add_nc_u32 v2, s2, v0
	v_add_nc_u32_e32 v0, 0x100, v0
	v_and_b32_e32 v1, 1, v1
	global_store_b8 v2, v1, s[4:5]
	s_wait_xcnt 0x0
	s_or_b32 exec_lo, exec_lo, s3
	s_delay_alu instid0(SALU_CYCLE_1)
	s_mov_b32 s3, exec_lo
	v_cmpx_gt_i32_e64 s1, v0
	s_cbranch_execz .LBB177_44
.LBB177_61:
	s_wait_loadcnt 0x0
	v_cmp_eq_f16_e32 vcc_lo, v23, v24
	v_cndmask_b32_e64 v1, 0, 1, vcc_lo
	v_cmp_neq_f16_e32 vcc_lo, v23, v24
	v_cndmask_b32_e64 v2, 0, 1, vcc_lo
	s_delay_alu instid0(VALU_DEP_1) | instskip(SKIP_1) | instid1(VALU_DEP_2)
	v_dual_cndmask_b32 v1, v2, v1, s0 :: v_dual_add_nc_u32 v2, s2, v0
	v_add_nc_u32_e32 v0, 0x100, v0
	v_and_b32_e32 v1, 1, v1
	global_store_b8 v2, v1, s[4:5]
	s_wait_xcnt 0x0
	s_or_b32 exec_lo, exec_lo, s3
	s_delay_alu instid0(SALU_CYCLE_1)
	s_mov_b32 s3, exec_lo
	v_cmpx_gt_i32_e64 s1, v0
	s_cbranch_execz .LBB177_45
.LBB177_62:
	s_wait_loadcnt 0x0
	v_cmp_eq_f16_e32 vcc_lo, v7, v25
	v_cndmask_b32_e64 v1, 0, 1, vcc_lo
	v_cmp_neq_f16_e32 vcc_lo, v7, v25
	v_cndmask_b32_e64 v2, 0, 1, vcc_lo
	s_delay_alu instid0(VALU_DEP_1) | instskip(SKIP_1) | instid1(VALU_DEP_2)
	v_dual_cndmask_b32 v1, v2, v1, s0 :: v_dual_add_nc_u32 v2, s2, v0
	v_add_nc_u32_e32 v0, 0x100, v0
	v_and_b32_e32 v1, 1, v1
	global_store_b8 v2, v1, s[4:5]
	s_wait_xcnt 0x0
	s_or_b32 exec_lo, exec_lo, s3
	s_delay_alu instid0(SALU_CYCLE_1)
	s_mov_b32 s3, exec_lo
	v_cmpx_gt_i32_e64 s1, v0
	s_cbranch_execz .LBB177_46
.LBB177_63:
	s_wait_loadcnt 0x0
	v_cmp_eq_f16_e32 vcc_lo, v26, v27
	v_cndmask_b32_e64 v1, 0, 1, vcc_lo
	v_cmp_neq_f16_e32 vcc_lo, v26, v27
	v_cndmask_b32_e64 v2, 0, 1, vcc_lo
	s_delay_alu instid0(VALU_DEP_1) | instskip(SKIP_1) | instid1(VALU_DEP_2)
	v_dual_cndmask_b32 v1, v2, v1, s0 :: v_dual_add_nc_u32 v2, s2, v0
	v_add_nc_u32_e32 v0, 0x100, v0
	v_and_b32_e32 v1, 1, v1
	global_store_b8 v2, v1, s[4:5]
	s_wait_xcnt 0x0
	s_or_b32 exec_lo, exec_lo, s3
	s_delay_alu instid0(SALU_CYCLE_1)
	s_mov_b32 s3, exec_lo
	v_cmpx_gt_i32_e64 s1, v0
	s_cbranch_execz .LBB177_47
.LBB177_64:
	s_wait_loadcnt 0x0
	v_cmp_eq_f16_e32 vcc_lo, v10, v28
	v_cndmask_b32_e64 v1, 0, 1, vcc_lo
	v_cmp_neq_f16_e32 vcc_lo, v10, v28
	v_cndmask_b32_e64 v2, 0, 1, vcc_lo
	s_delay_alu instid0(VALU_DEP_1) | instskip(SKIP_1) | instid1(VALU_DEP_2)
	v_dual_cndmask_b32 v1, v2, v1, s0 :: v_dual_add_nc_u32 v2, s2, v0
	v_add_nc_u32_e32 v0, 0x100, v0
	v_and_b32_e32 v1, 1, v1
	global_store_b8 v2, v1, s[4:5]
	s_wait_xcnt 0x0
	s_or_b32 exec_lo, exec_lo, s3
	s_delay_alu instid0(SALU_CYCLE_1)
	s_mov_b32 s3, exec_lo
	v_cmpx_gt_i32_e64 s1, v0
	s_cbranch_execz .LBB177_48
.LBB177_65:
	s_wait_loadcnt 0x0
	v_cmp_eq_f16_e32 vcc_lo, v29, v30
	v_cndmask_b32_e64 v1, 0, 1, vcc_lo
	v_cmp_neq_f16_e32 vcc_lo, v29, v30
	v_cndmask_b32_e64 v2, 0, 1, vcc_lo
	s_delay_alu instid0(VALU_DEP_1) | instskip(SKIP_1) | instid1(VALU_DEP_2)
	v_dual_cndmask_b32 v1, v2, v1, s0 :: v_dual_add_nc_u32 v2, s2, v0
	v_add_nc_u32_e32 v0, 0x100, v0
	v_and_b32_e32 v1, 1, v1
	global_store_b8 v2, v1, s[4:5]
	s_wait_xcnt 0x0
	s_or_b32 exec_lo, exec_lo, s3
	s_delay_alu instid0(SALU_CYCLE_1)
	s_mov_b32 s3, exec_lo
	v_cmpx_gt_i32_e64 s1, v0
	s_cbranch_execz .LBB177_49
.LBB177_66:
	s_wait_loadcnt 0x0
	v_cmp_eq_f16_e32 vcc_lo, v14, v31
	v_cndmask_b32_e64 v1, 0, 1, vcc_lo
	v_cmp_neq_f16_e32 vcc_lo, v14, v31
	v_cndmask_b32_e64 v2, 0, 1, vcc_lo
	s_delay_alu instid0(VALU_DEP_1) | instskip(SKIP_1) | instid1(VALU_DEP_2)
	v_dual_cndmask_b32 v1, v2, v1, s0 :: v_dual_add_nc_u32 v2, s2, v0
	v_add_nc_u32_e32 v0, 0x100, v0
	v_and_b32_e32 v1, 1, v1
	global_store_b8 v2, v1, s[4:5]
	s_wait_xcnt 0x0
	s_or_b32 exec_lo, exec_lo, s3
	s_delay_alu instid0(SALU_CYCLE_1)
	s_mov_b32 s3, exec_lo
	v_cmpx_gt_i32_e64 s1, v0
	s_cbranch_execz .LBB177_50
.LBB177_67:
	s_wait_loadcnt 0x0
	v_cmp_eq_f16_e32 vcc_lo, v32, v33
	v_cndmask_b32_e64 v1, 0, 1, vcc_lo
	v_cmp_neq_f16_e32 vcc_lo, v32, v33
	v_cndmask_b32_e64 v2, 0, 1, vcc_lo
	s_delay_alu instid0(VALU_DEP_1) | instskip(SKIP_1) | instid1(VALU_DEP_2)
	v_dual_cndmask_b32 v1, v2, v1, s0 :: v_dual_add_nc_u32 v2, s2, v0
	v_add_nc_u32_e32 v0, 0x100, v0
	v_and_b32_e32 v1, 1, v1
	global_store_b8 v2, v1, s[4:5]
	s_wait_xcnt 0x0
	s_or_b32 exec_lo, exec_lo, s3
	v_cmp_gt_i32_e32 vcc_lo, s1, v0
	s_and_saveexec_b32 s1, vcc_lo
	s_cbranch_execnz .LBB177_51
	s_branch .LBB177_52
	.section	.rodata,"a",@progbits
	.p2align	6, 0x0
	.amdhsa_kernel _ZN2at6native29vectorized_elementwise_kernelILi8ENS0_13BinaryFunctorIN3c104HalfES4_bNS0_12_GLOBAL__N_116CompareEqFunctorIS4_EEEESt5arrayIPcLm3EEEEviT0_T1_
		.amdhsa_group_segment_fixed_size 0
		.amdhsa_private_segment_fixed_size 0
		.amdhsa_kernarg_size 32
		.amdhsa_user_sgpr_count 2
		.amdhsa_user_sgpr_dispatch_ptr 0
		.amdhsa_user_sgpr_queue_ptr 0
		.amdhsa_user_sgpr_kernarg_segment_ptr 1
		.amdhsa_user_sgpr_dispatch_id 0
		.amdhsa_user_sgpr_kernarg_preload_length 0
		.amdhsa_user_sgpr_kernarg_preload_offset 0
		.amdhsa_user_sgpr_private_segment_size 0
		.amdhsa_wavefront_size32 1
		.amdhsa_uses_dynamic_stack 0
		.amdhsa_enable_private_segment 0
		.amdhsa_system_sgpr_workgroup_id_x 1
		.amdhsa_system_sgpr_workgroup_id_y 0
		.amdhsa_system_sgpr_workgroup_id_z 0
		.amdhsa_system_sgpr_workgroup_info 0
		.amdhsa_system_vgpr_workitem_id 0
		.amdhsa_next_free_vgpr 36
		.amdhsa_next_free_sgpr 16
		.amdhsa_named_barrier_count 0
		.amdhsa_reserve_vcc 1
		.amdhsa_float_round_mode_32 0
		.amdhsa_float_round_mode_16_64 0
		.amdhsa_float_denorm_mode_32 3
		.amdhsa_float_denorm_mode_16_64 3
		.amdhsa_fp16_overflow 0
		.amdhsa_memory_ordered 1
		.amdhsa_forward_progress 1
		.amdhsa_inst_pref_size 35
		.amdhsa_round_robin_scheduling 0
		.amdhsa_exception_fp_ieee_invalid_op 0
		.amdhsa_exception_fp_denorm_src 0
		.amdhsa_exception_fp_ieee_div_zero 0
		.amdhsa_exception_fp_ieee_overflow 0
		.amdhsa_exception_fp_ieee_underflow 0
		.amdhsa_exception_fp_ieee_inexact 0
		.amdhsa_exception_int_div_zero 0
	.end_amdhsa_kernel
	.section	.text._ZN2at6native29vectorized_elementwise_kernelILi8ENS0_13BinaryFunctorIN3c104HalfES4_bNS0_12_GLOBAL__N_116CompareEqFunctorIS4_EEEESt5arrayIPcLm3EEEEviT0_T1_,"axG",@progbits,_ZN2at6native29vectorized_elementwise_kernelILi8ENS0_13BinaryFunctorIN3c104HalfES4_bNS0_12_GLOBAL__N_116CompareEqFunctorIS4_EEEESt5arrayIPcLm3EEEEviT0_T1_,comdat
.Lfunc_end177:
	.size	_ZN2at6native29vectorized_elementwise_kernelILi8ENS0_13BinaryFunctorIN3c104HalfES4_bNS0_12_GLOBAL__N_116CompareEqFunctorIS4_EEEESt5arrayIPcLm3EEEEviT0_T1_, .Lfunc_end177-_ZN2at6native29vectorized_elementwise_kernelILi8ENS0_13BinaryFunctorIN3c104HalfES4_bNS0_12_GLOBAL__N_116CompareEqFunctorIS4_EEEESt5arrayIPcLm3EEEEviT0_T1_
                                        ; -- End function
	.set _ZN2at6native29vectorized_elementwise_kernelILi8ENS0_13BinaryFunctorIN3c104HalfES4_bNS0_12_GLOBAL__N_116CompareEqFunctorIS4_EEEESt5arrayIPcLm3EEEEviT0_T1_.num_vgpr, 36
	.set _ZN2at6native29vectorized_elementwise_kernelILi8ENS0_13BinaryFunctorIN3c104HalfES4_bNS0_12_GLOBAL__N_116CompareEqFunctorIS4_EEEESt5arrayIPcLm3EEEEviT0_T1_.num_agpr, 0
	.set _ZN2at6native29vectorized_elementwise_kernelILi8ENS0_13BinaryFunctorIN3c104HalfES4_bNS0_12_GLOBAL__N_116CompareEqFunctorIS4_EEEESt5arrayIPcLm3EEEEviT0_T1_.numbered_sgpr, 16
	.set _ZN2at6native29vectorized_elementwise_kernelILi8ENS0_13BinaryFunctorIN3c104HalfES4_bNS0_12_GLOBAL__N_116CompareEqFunctorIS4_EEEESt5arrayIPcLm3EEEEviT0_T1_.num_named_barrier, 0
	.set _ZN2at6native29vectorized_elementwise_kernelILi8ENS0_13BinaryFunctorIN3c104HalfES4_bNS0_12_GLOBAL__N_116CompareEqFunctorIS4_EEEESt5arrayIPcLm3EEEEviT0_T1_.private_seg_size, 0
	.set _ZN2at6native29vectorized_elementwise_kernelILi8ENS0_13BinaryFunctorIN3c104HalfES4_bNS0_12_GLOBAL__N_116CompareEqFunctorIS4_EEEESt5arrayIPcLm3EEEEviT0_T1_.uses_vcc, 1
	.set _ZN2at6native29vectorized_elementwise_kernelILi8ENS0_13BinaryFunctorIN3c104HalfES4_bNS0_12_GLOBAL__N_116CompareEqFunctorIS4_EEEESt5arrayIPcLm3EEEEviT0_T1_.uses_flat_scratch, 0
	.set _ZN2at6native29vectorized_elementwise_kernelILi8ENS0_13BinaryFunctorIN3c104HalfES4_bNS0_12_GLOBAL__N_116CompareEqFunctorIS4_EEEESt5arrayIPcLm3EEEEviT0_T1_.has_dyn_sized_stack, 0
	.set _ZN2at6native29vectorized_elementwise_kernelILi8ENS0_13BinaryFunctorIN3c104HalfES4_bNS0_12_GLOBAL__N_116CompareEqFunctorIS4_EEEESt5arrayIPcLm3EEEEviT0_T1_.has_recursion, 0
	.set _ZN2at6native29vectorized_elementwise_kernelILi8ENS0_13BinaryFunctorIN3c104HalfES4_bNS0_12_GLOBAL__N_116CompareEqFunctorIS4_EEEESt5arrayIPcLm3EEEEviT0_T1_.has_indirect_call, 0
	.section	.AMDGPU.csdata,"",@progbits
; Kernel info:
; codeLenInByte = 4384
; TotalNumSgprs: 18
; NumVgprs: 36
; ScratchSize: 0
; MemoryBound: 0
; FloatMode: 240
; IeeeMode: 1
; LDSByteSize: 0 bytes/workgroup (compile time only)
; SGPRBlocks: 0
; VGPRBlocks: 2
; NumSGPRsForWavesPerEU: 18
; NumVGPRsForWavesPerEU: 36
; NamedBarCnt: 0
; Occupancy: 16
; WaveLimiterHint : 1
; COMPUTE_PGM_RSRC2:SCRATCH_EN: 0
; COMPUTE_PGM_RSRC2:USER_SGPR: 2
; COMPUTE_PGM_RSRC2:TRAP_HANDLER: 0
; COMPUTE_PGM_RSRC2:TGID_X_EN: 1
; COMPUTE_PGM_RSRC2:TGID_Y_EN: 0
; COMPUTE_PGM_RSRC2:TGID_Z_EN: 0
; COMPUTE_PGM_RSRC2:TIDIG_COMP_CNT: 0
	.section	.text._ZN2at6native29vectorized_elementwise_kernelILi4ENS0_13BinaryFunctorIN3c104HalfES4_bNS0_12_GLOBAL__N_116CompareEqFunctorIS4_EEEESt5arrayIPcLm3EEEEviT0_T1_,"axG",@progbits,_ZN2at6native29vectorized_elementwise_kernelILi4ENS0_13BinaryFunctorIN3c104HalfES4_bNS0_12_GLOBAL__N_116CompareEqFunctorIS4_EEEESt5arrayIPcLm3EEEEviT0_T1_,comdat
	.globl	_ZN2at6native29vectorized_elementwise_kernelILi4ENS0_13BinaryFunctorIN3c104HalfES4_bNS0_12_GLOBAL__N_116CompareEqFunctorIS4_EEEESt5arrayIPcLm3EEEEviT0_T1_ ; -- Begin function _ZN2at6native29vectorized_elementwise_kernelILi4ENS0_13BinaryFunctorIN3c104HalfES4_bNS0_12_GLOBAL__N_116CompareEqFunctorIS4_EEEESt5arrayIPcLm3EEEEviT0_T1_
	.p2align	8
	.type	_ZN2at6native29vectorized_elementwise_kernelILi4ENS0_13BinaryFunctorIN3c104HalfES4_bNS0_12_GLOBAL__N_116CompareEqFunctorIS4_EEEESt5arrayIPcLm3EEEEviT0_T1_,@function
_ZN2at6native29vectorized_elementwise_kernelILi4ENS0_13BinaryFunctorIN3c104HalfES4_bNS0_12_GLOBAL__N_116CompareEqFunctorIS4_EEEESt5arrayIPcLm3EEEEviT0_T1_: ; @_ZN2at6native29vectorized_elementwise_kernelILi4ENS0_13BinaryFunctorIN3c104HalfES4_bNS0_12_GLOBAL__N_116CompareEqFunctorIS4_EEEESt5arrayIPcLm3EEEEviT0_T1_
; %bb.0:
	s_clause 0x2
	s_load_b64 s[8:9], s[0:1], 0x0
	s_load_b128 s[4:7], s[0:1], 0x8
	s_load_b64 s[10:11], s[0:1], 0x18
	s_wait_xcnt 0x0
	s_bfe_u32 s0, ttmp6, 0x4000c
	s_and_b32 s1, ttmp6, 15
	s_add_co_i32 s0, s0, 1
	s_getreg_b32 s2, hwreg(HW_REG_IB_STS2, 6, 4)
	s_mul_i32 s0, ttmp9, s0
	s_delay_alu instid0(SALU_CYCLE_1) | instskip(SKIP_2) | instid1(SALU_CYCLE_1)
	s_add_co_i32 s1, s1, s0
	s_cmp_eq_u32 s2, 0
	s_cselect_b32 s0, ttmp9, s1
	s_lshl_b32 s2, s0, 12
	s_mov_b32 s0, -1
	s_wait_kmcnt 0x0
	s_sub_co_i32 s8, s8, s2
	s_delay_alu instid0(SALU_CYCLE_1)
	s_cmp_gt_i32 s8, 0xfff
	s_cbranch_scc0 .LBB178_2
; %bb.1:
	s_ashr_i32 s3, s2, 31
	s_delay_alu instid0(SALU_CYCLE_1)
	s_lshl_b64 s[12:13], s[2:3], 1
	s_cmp_eq_u32 s9, 0
	s_add_nc_u64 s[0:1], s[10:11], s[12:13]
	s_add_nc_u64 s[12:13], s[6:7], s[12:13]
	s_clause 0x7
	global_load_b64 v[2:3], v0, s[0:1] scale_offset
	global_load_b64 v[4:5], v0, s[12:13] scale_offset
	global_load_b64 v[6:7], v0, s[12:13] offset:2048 scale_offset
	global_load_b64 v[8:9], v0, s[0:1] offset:2048 scale_offset
	global_load_b64 v[10:11], v0, s[0:1] offset:4096 scale_offset
	global_load_b64 v[12:13], v0, s[12:13] offset:4096 scale_offset
	global_load_b64 v[14:15], v0, s[12:13] offset:6144 scale_offset
	global_load_b64 v[16:17], v0, s[0:1] offset:6144 scale_offset
	s_wait_xcnt 0x1
	s_add_nc_u64 s[12:13], s[4:5], s[2:3]
	s_wait_loadcnt 0x6
	v_cmp_eq_f16_e32 vcc_lo, v4, v2
	v_cndmask_b32_e64 v1, 0, 1, vcc_lo
	v_cmp_neq_f16_e32 vcc_lo, v4, v2
	v_dual_lshrrev_b32 v2, 16, v2 :: v_dual_lshrrev_b32 v4, 16, v4
	v_cndmask_b32_e64 v18, 0, 1, vcc_lo
	v_cmp_eq_f16_e32 vcc_lo, v5, v3
	s_wait_xcnt 0x0
	s_delay_alu instid0(VALU_DEP_3)
	v_cmp_eq_f16_e64 s0, v4, v2
	v_cndmask_b32_e64 v19, 0, 1, vcc_lo
	v_cmp_neq_f16_e32 vcc_lo, v5, v3
	v_dual_lshrrev_b32 v3, 16, v3 :: v_dual_lshrrev_b32 v5, 16, v5
	v_cndmask_b32_e64 v20, 0, 1, vcc_lo
	s_wait_loadcnt 0x4
	v_cmp_eq_f16_e32 vcc_lo, v6, v8
	v_cndmask_b32_e64 v21, 0, 1, vcc_lo
	v_cmp_neq_f16_e32 vcc_lo, v6, v8
	v_dual_lshrrev_b32 v8, 16, v8 :: v_dual_lshrrev_b32 v6, 16, v6
	v_cndmask_b32_e64 v22, 0, 1, vcc_lo
	v_cmp_eq_f16_e32 vcc_lo, v7, v9
	v_cndmask_b32_e64 v23, 0, 1, vcc_lo
	v_cmp_neq_f16_e32 vcc_lo, v7, v9
	v_dual_lshrrev_b32 v9, 16, v9 :: v_dual_lshrrev_b32 v7, 16, v7
	v_cndmask_b32_e64 v24, 0, 1, vcc_lo
	s_wait_loadcnt 0x2
	v_cmp_eq_f16_e32 vcc_lo, v12, v10
	v_cndmask_b32_e64 v25, 0, 1, vcc_lo
	v_cmp_neq_f16_e32 vcc_lo, v12, v10
	v_dual_lshrrev_b32 v10, 16, v10 :: v_dual_lshrrev_b32 v12, 16, v12
	v_cndmask_b32_e64 v26, 0, 1, vcc_lo
	v_cmp_eq_f16_e32 vcc_lo, v13, v11
	v_cndmask_b32_e64 v27, 0, 1, vcc_lo
	v_cmp_neq_f16_e32 vcc_lo, v13, v11
	v_dual_lshrrev_b32 v11, 16, v11 :: v_dual_lshrrev_b32 v13, 16, v13
	v_cndmask_b32_e64 v28, 0, 1, vcc_lo
	s_wait_loadcnt 0x0
	v_cmp_eq_f16_e32 vcc_lo, v14, v16
	v_cndmask_b32_e64 v29, 0, 1, vcc_lo
	v_cmp_neq_f16_e32 vcc_lo, v14, v16
	v_dual_lshrrev_b32 v16, 16, v16 :: v_dual_lshrrev_b32 v14, 16, v14
	v_cndmask_b32_e64 v30, 0, 1, vcc_lo
	v_cmp_eq_f16_e32 vcc_lo, v15, v17
	v_cndmask_b32_e64 v31, 0, 1, vcc_lo
	v_cmp_neq_f16_e32 vcc_lo, v15, v17
	v_dual_lshrrev_b32 v17, 16, v17 :: v_dual_lshrrev_b32 v15, 16, v15
	v_cndmask_b32_e64 v32, 0, 1, vcc_lo
	s_cselect_b32 vcc_lo, -1, 0
	v_cndmask_b32_e32 v1, v18, v1, vcc_lo
	v_cndmask_b32_e64 v18, 0, 1, s0
	v_cmp_neq_f16_e64 s0, v4, v2
	v_cndmask_b32_e32 v4, v20, v19, vcc_lo
	s_delay_alu instid0(VALU_DEP_2) | instskip(SKIP_1) | instid1(VALU_DEP_2)
	v_cndmask_b32_e64 v2, 0, 1, s0
	v_cmp_eq_f16_e64 s0, v5, v3
	v_dual_cndmask_b32 v2, v2, v18, vcc_lo :: v_dual_bitop2_b32 v4, 1, v4 bitop3:0x40
	s_delay_alu instid0(VALU_DEP_2) | instskip(SKIP_1) | instid1(VALU_DEP_3)
	v_cndmask_b32_e64 v19, 0, 1, s0
	v_cmp_neq_f16_e64 s0, v5, v3
	v_dual_cndmask_b32 v5, v22, v21, vcc_lo :: v_dual_bitop2_b32 v2, 1, v2 bitop3:0x40
	s_delay_alu instid0(VALU_DEP_2) | instskip(SKIP_1) | instid1(VALU_DEP_1)
	v_cndmask_b32_e64 v3, 0, 1, s0
	v_cmp_eq_f16_e64 s0, v6, v8
	v_cndmask_b32_e64 v20, 0, 1, s0
	v_cmp_neq_f16_e64 s0, v6, v8
	v_cndmask_b32_e32 v8, v24, v23, vcc_lo
	s_delay_alu instid0(VALU_DEP_2) | instskip(SKIP_1) | instid1(VALU_DEP_2)
	v_cndmask_b32_e64 v6, 0, 1, s0
	v_cmp_eq_f16_e64 s0, v7, v9
	v_dual_cndmask_b32 v3, v3, v19 :: v_dual_cndmask_b32 v6, v6, v20
	s_delay_alu instid0(VALU_DEP_2) | instskip(SKIP_1) | instid1(VALU_DEP_3)
	v_cndmask_b32_e64 v21, 0, 1, s0
	v_cmp_neq_f16_e64 s0, v7, v9
	v_dual_cndmask_b32 v9, v26, v25, vcc_lo :: v_dual_bitop2_b32 v3, 1, v3 bitop3:0x40
	s_delay_alu instid0(VALU_DEP_4) | instskip(NEXT) | instid1(VALU_DEP_3)
	v_and_b32_e32 v6, 1, v6
	v_cndmask_b32_e64 v7, 0, 1, s0
	v_cmp_eq_f16_e64 s0, v12, v10
	s_delay_alu instid0(VALU_DEP_2) | instskip(NEXT) | instid1(VALU_DEP_2)
	v_dual_cndmask_b32 v7, v7, v21, vcc_lo :: v_dual_bitop2_b32 v8, 1, v8 bitop3:0x40
	v_cndmask_b32_e64 v22, 0, 1, s0
	v_cmp_neq_f16_e64 s0, v12, v10
	v_cndmask_b32_e32 v12, v28, v27, vcc_lo
	s_delay_alu instid0(VALU_DEP_4) | instskip(NEXT) | instid1(VALU_DEP_3)
	v_and_b32_e32 v7, 1, v7
	v_cndmask_b32_e64 v10, 0, 1, s0
	v_cmp_eq_f16_e64 s0, v13, v11
	s_delay_alu instid0(VALU_DEP_2) | instskip(NEXT) | instid1(VALU_DEP_2)
	v_dual_cndmask_b32 v10, v10, v22, vcc_lo :: v_dual_bitop2_b32 v12, 1, v12 bitop3:0x40
	v_cndmask_b32_e64 v23, 0, 1, s0
	v_cmp_neq_f16_e64 s0, v13, v11
	s_delay_alu instid0(VALU_DEP_3) | instskip(NEXT) | instid1(VALU_DEP_2)
	v_dual_cndmask_b32 v13, v30, v29, vcc_lo :: v_dual_bitop2_b32 v10, 1, v10 bitop3:0x40
	v_cndmask_b32_e64 v11, 0, 1, s0
	v_cmp_eq_f16_e64 s0, v14, v16
	s_delay_alu instid0(VALU_DEP_1) | instskip(SKIP_2) | instid1(VALU_DEP_2)
	v_cndmask_b32_e64 v24, 0, 1, s0
	v_cmp_neq_f16_e64 s0, v14, v16
	v_cndmask_b32_e32 v16, v32, v31, vcc_lo
	v_cndmask_b32_e64 v14, 0, 1, s0
	v_cmp_eq_f16_e64 s0, v15, v17
	s_delay_alu instid0(VALU_DEP_2) | instskip(NEXT) | instid1(VALU_DEP_2)
	v_dual_cndmask_b32 v11, v11, v23 :: v_dual_cndmask_b32 v14, v14, v24
	v_cndmask_b32_e64 v25, 0, 1, s0
	v_cmp_neq_f16_e64 s0, v15, v17
	s_delay_alu instid0(VALU_DEP_3) | instskip(NEXT) | instid1(VALU_DEP_4)
	v_and_b32_e32 v11, 1, v11
	v_and_b32_e32 v14, 1, v14
	s_delay_alu instid0(VALU_DEP_3) | instskip(SKIP_2) | instid1(VALU_DEP_2)
	v_cndmask_b32_e64 v15, 0, 1, s0
	v_and_b32_e32 v16, 1, v16
	s_mov_b32 s0, 0
	v_cndmask_b32_e32 v15, v15, v25, vcc_lo
	v_cmp_eq_u32_e32 vcc_lo, 1, v4
	s_delay_alu instid0(VALU_DEP_2)
	v_and_b32_e32 v15, 1, v15
	v_cndmask_b32_e64 v4, 0, 0x10000, vcc_lo
	v_cmp_eq_u32_e32 vcc_lo, 1, v8
	v_cndmask_b32_e64 v8, 0, 0x10000, vcc_lo
	v_cmp_eq_u32_e32 vcc_lo, 1, v12
	;; [unrolled: 2-line block ×5, first 2 shown]
	s_delay_alu instid0(VALU_DEP_2) | instskip(SKIP_2) | instid1(VALU_DEP_2)
	v_and_or_b32 v1, v1, 1, v2
	v_cndmask_b32_e64 v3, 0, 0x1000000, vcc_lo
	v_cmp_eq_u32_e32 vcc_lo, 1, v6
	v_or3_b32 v1, v1, v4, v3
	v_cndmask_b32_e64 v6, 0, 0x100, vcc_lo
	v_cmp_eq_u32_e32 vcc_lo, 1, v7
	s_delay_alu instid0(VALU_DEP_2) | instskip(SKIP_2) | instid1(VALU_DEP_2)
	v_and_or_b32 v2, v5, 1, v6
	v_cndmask_b32_e64 v7, 0, 0x1000000, vcc_lo
	v_cmp_eq_u32_e32 vcc_lo, 1, v10
	v_or3_b32 v2, v2, v8, v7
	v_cndmask_b32_e64 v10, 0, 0x100, vcc_lo
	v_cmp_eq_u32_e32 vcc_lo, 1, v11
	;; [unrolled: 7-line block ×3, first 2 shown]
	s_delay_alu instid0(VALU_DEP_2) | instskip(SKIP_1) | instid1(VALU_DEP_1)
	v_and_or_b32 v6, v13, 1, v14
	v_cndmask_b32_e64 v15, 0, 0x1000000, vcc_lo
	v_or3_b32 v4, v6, v16, v15
	s_clause 0x3
	global_store_b32 v0, v1, s[12:13] scale_offset
	global_store_b32 v0, v2, s[12:13] offset:1024 scale_offset
	global_store_b32 v0, v3, s[12:13] offset:2048 scale_offset
	;; [unrolled: 1-line block ×3, first 2 shown]
.LBB178_2:
	s_and_not1_b32 vcc_lo, exec_lo, s0
	s_cbranch_vccnz .LBB178_52
; %bb.3:
	v_cmp_gt_i32_e32 vcc_lo, s8, v0
	s_wait_xcnt 0x0
	v_dual_mov_b32 v1, 0 :: v_dual_bitop2_b32 v4, s2, v0 bitop3:0x54
	v_or_b32_e32 v5, 0x100, v0
	v_dual_mov_b32 v8, 0 :: v_dual_mov_b32 v9, 0
	v_mov_b32_e32 v35, v0
	s_and_saveexec_b32 s0, vcc_lo
	s_cbranch_execz .LBB178_5
; %bb.4:
	s_clause 0x1
	global_load_u16 v8, v4, s[6:7] scale_offset
	global_load_u16 v9, v4, s[10:11] scale_offset
	v_or_b32_e32 v35, 0x100, v0
.LBB178_5:
	s_wait_xcnt 0x0
	s_or_b32 exec_lo, exec_lo, s0
	v_mov_b32_e32 v11, 0
	s_mov_b32 s1, exec_lo
	v_cmpx_gt_i32_e64 s8, v35
	s_cbranch_execz .LBB178_7
; %bb.6:
	v_add_nc_u32_e32 v2, s2, v35
	v_add_nc_u32_e32 v35, 0x100, v35
	s_clause 0x1
	global_load_u16 v1, v2, s[6:7] scale_offset
	global_load_u16 v11, v2, s[10:11] scale_offset
.LBB178_7:
	s_wait_xcnt 0x0
	s_or_b32 exec_lo, exec_lo, s1
	v_dual_mov_b32 v2, 0 :: v_dual_mov_b32 v12, 0
	v_mov_b32_e32 v13, 0
	s_mov_b32 s1, exec_lo
	v_cmpx_gt_i32_e64 s8, v35
	s_cbranch_execz .LBB178_9
; %bb.8:
	v_add_nc_u32_e32 v3, s2, v35
	v_add_nc_u32_e32 v35, 0x100, v35
	s_clause 0x1
	global_load_u16 v12, v3, s[6:7] scale_offset
	global_load_u16 v13, v3, s[10:11] scale_offset
.LBB178_9:
	s_wait_xcnt 0x0
	s_or_b32 exec_lo, exec_lo, s1
	v_mov_b32_e32 v15, 0
	s_mov_b32 s1, exec_lo
	v_cmpx_gt_i32_e64 s8, v35
	s_cbranch_execz .LBB178_11
; %bb.10:
	v_add_nc_u32_e32 v3, s2, v35
	v_add_nc_u32_e32 v35, 0x100, v35
	s_clause 0x1
	global_load_u16 v2, v3, s[6:7] scale_offset
	global_load_u16 v15, v3, s[10:11] scale_offset
.LBB178_11:
	s_wait_xcnt 0x0
	s_or_b32 exec_lo, exec_lo, s1
	v_dual_mov_b32 v3, 0 :: v_dual_mov_b32 v16, 0
	v_mov_b32_e32 v17, 0
	s_mov_b32 s1, exec_lo
	v_cmpx_gt_i32_e64 s8, v35
	s_cbranch_execz .LBB178_13
; %bb.12:
	v_add_nc_u32_e32 v6, s2, v35
	v_add_nc_u32_e32 v35, 0x100, v35
	s_clause 0x1
	global_load_u16 v16, v6, s[6:7] scale_offset
	global_load_u16 v17, v6, s[10:11] scale_offset
.LBB178_13:
	;; [unrolled: 27-line block ×7, first 2 shown]
	s_wait_xcnt 0x0
	s_or_b32 exec_lo, exec_lo, s1
	v_mov_b32_e32 v34, 0
	s_mov_b32 s1, exec_lo
	v_cmpx_gt_i32_e64 s8, v35
	s_cbranch_execz .LBB178_35
; %bb.34:
	v_add_nc_u32_e32 v35, s2, v35
	s_clause 0x1
	global_load_u16 v18, v35, s[6:7] scale_offset
	global_load_u16 v34, v35, s[10:11] scale_offset
.LBB178_35:
	s_wait_xcnt 0x0
	s_or_b32 exec_lo, exec_lo, s1
	s_cmp_eq_u32 s9, 0
	s_cselect_b32 s0, -1, 0
	s_and_saveexec_b32 s1, vcc_lo
	s_cbranch_execnz .LBB178_53
; %bb.36:
	s_or_b32 exec_lo, exec_lo, s1
	s_delay_alu instid0(SALU_CYCLE_1)
	s_mov_b32 s1, exec_lo
	v_cmpx_gt_i32_e64 s8, v0
	s_cbranch_execnz .LBB178_54
.LBB178_37:
	s_or_b32 exec_lo, exec_lo, s1
	s_delay_alu instid0(SALU_CYCLE_1)
	s_mov_b32 s1, exec_lo
	v_cmpx_gt_i32_e64 s8, v0
	s_cbranch_execnz .LBB178_55
.LBB178_38:
	s_or_b32 exec_lo, exec_lo, s1
	s_delay_alu instid0(SALU_CYCLE_1)
	s_mov_b32 s1, exec_lo
	v_cmpx_gt_i32_e64 s8, v0
	s_cbranch_execnz .LBB178_56
.LBB178_39:
	s_or_b32 exec_lo, exec_lo, s1
	s_delay_alu instid0(SALU_CYCLE_1)
	s_mov_b32 s1, exec_lo
	v_cmpx_gt_i32_e64 s8, v0
	s_cbranch_execnz .LBB178_57
.LBB178_40:
	s_or_b32 exec_lo, exec_lo, s1
	s_delay_alu instid0(SALU_CYCLE_1)
	s_mov_b32 s1, exec_lo
	v_cmpx_gt_i32_e64 s8, v0
	s_cbranch_execnz .LBB178_58
.LBB178_41:
	s_or_b32 exec_lo, exec_lo, s1
	s_delay_alu instid0(SALU_CYCLE_1)
	s_mov_b32 s1, exec_lo
	v_cmpx_gt_i32_e64 s8, v0
	s_cbranch_execnz .LBB178_59
.LBB178_42:
	s_or_b32 exec_lo, exec_lo, s1
	s_delay_alu instid0(SALU_CYCLE_1)
	s_mov_b32 s1, exec_lo
	v_cmpx_gt_i32_e64 s8, v0
	s_cbranch_execnz .LBB178_60
.LBB178_43:
	s_or_b32 exec_lo, exec_lo, s1
	s_delay_alu instid0(SALU_CYCLE_1)
	s_mov_b32 s1, exec_lo
	v_cmpx_gt_i32_e64 s8, v0
	s_cbranch_execnz .LBB178_61
.LBB178_44:
	s_or_b32 exec_lo, exec_lo, s1
	s_delay_alu instid0(SALU_CYCLE_1)
	s_mov_b32 s1, exec_lo
	v_cmpx_gt_i32_e64 s8, v0
	s_cbranch_execnz .LBB178_62
.LBB178_45:
	s_or_b32 exec_lo, exec_lo, s1
	s_delay_alu instid0(SALU_CYCLE_1)
	s_mov_b32 s1, exec_lo
	v_cmpx_gt_i32_e64 s8, v0
	s_cbranch_execnz .LBB178_63
.LBB178_46:
	s_or_b32 exec_lo, exec_lo, s1
	s_delay_alu instid0(SALU_CYCLE_1)
	s_mov_b32 s1, exec_lo
	v_cmpx_gt_i32_e64 s8, v0
	s_cbranch_execnz .LBB178_64
.LBB178_47:
	s_or_b32 exec_lo, exec_lo, s1
	s_delay_alu instid0(SALU_CYCLE_1)
	s_mov_b32 s1, exec_lo
	v_cmpx_gt_i32_e64 s8, v0
	s_cbranch_execnz .LBB178_65
.LBB178_48:
	s_or_b32 exec_lo, exec_lo, s1
	s_delay_alu instid0(SALU_CYCLE_1)
	s_mov_b32 s1, exec_lo
	v_cmpx_gt_i32_e64 s8, v0
	s_cbranch_execnz .LBB178_66
.LBB178_49:
	s_or_b32 exec_lo, exec_lo, s1
	s_delay_alu instid0(SALU_CYCLE_1)
	s_mov_b32 s1, exec_lo
	v_cmpx_gt_i32_e64 s8, v0
	s_cbranch_execnz .LBB178_67
.LBB178_50:
	s_or_b32 exec_lo, exec_lo, s1
	s_delay_alu instid0(SALU_CYCLE_1)
	s_mov_b32 s1, exec_lo
	v_cmpx_gt_i32_e64 s8, v0
	s_cbranch_execz .LBB178_52
.LBB178_51:
	s_wait_loadcnt 0x0
	v_cmp_eq_f16_e32 vcc_lo, v18, v34
	v_add_nc_u32_e32 v0, s2, v0
	v_cndmask_b32_e64 v1, 0, 1, vcc_lo
	v_cmp_neq_f16_e32 vcc_lo, v18, v34
	v_cndmask_b32_e64 v2, 0, 1, vcc_lo
	s_delay_alu instid0(VALU_DEP_1) | instskip(NEXT) | instid1(VALU_DEP_1)
	v_cndmask_b32_e64 v1, v2, v1, s0
	v_and_b32_e32 v1, 1, v1
	global_store_b8 v0, v1, s[4:5]
.LBB178_52:
	s_endpgm
.LBB178_53:
	s_wait_loadcnt 0x0
	v_cmp_eq_f16_e32 vcc_lo, v8, v9
	v_cndmask_b32_e64 v0, 0, 1, vcc_lo
	v_cmp_neq_f16_e32 vcc_lo, v8, v9
	v_cndmask_b32_e64 v8, 0, 1, vcc_lo
	s_delay_alu instid0(VALU_DEP_1) | instskip(NEXT) | instid1(VALU_DEP_1)
	v_cndmask_b32_e64 v0, v8, v0, s0
	v_dual_mov_b32 v0, v5 :: v_dual_bitop2_b32 v8, 1, v0 bitop3:0x40
	global_store_b8 v4, v8, s[4:5]
	s_wait_xcnt 0x0
	s_or_b32 exec_lo, exec_lo, s1
	s_delay_alu instid0(SALU_CYCLE_1)
	s_mov_b32 s1, exec_lo
	v_cmpx_gt_i32_e64 s8, v0
	s_cbranch_execz .LBB178_37
.LBB178_54:
	s_wait_loadcnt 0x0
	v_cmp_eq_f16_e32 vcc_lo, v1, v11
	v_cndmask_b32_e64 v4, 0, 1, vcc_lo
	v_cmp_neq_f16_e32 vcc_lo, v1, v11
	v_cndmask_b32_e64 v1, 0, 1, vcc_lo
	s_delay_alu instid0(VALU_DEP_1) | instskip(SKIP_2) | instid1(VALU_DEP_3)
	v_cndmask_b32_e64 v1, v1, v4, s0
	v_add_nc_u32_e32 v4, s2, v0
	v_add_nc_u32_e32 v0, 0x100, v0
	v_and_b32_e32 v1, 1, v1
	global_store_b8 v4, v1, s[4:5]
	s_wait_xcnt 0x0
	s_or_b32 exec_lo, exec_lo, s1
	s_delay_alu instid0(SALU_CYCLE_1)
	s_mov_b32 s1, exec_lo
	v_cmpx_gt_i32_e64 s8, v0
	s_cbranch_execz .LBB178_38
.LBB178_55:
	s_wait_loadcnt 0x0
	v_cmp_eq_f16_e32 vcc_lo, v12, v13
	v_cndmask_b32_e64 v1, 0, 1, vcc_lo
	v_cmp_neq_f16_e32 vcc_lo, v12, v13
	v_cndmask_b32_e64 v4, 0, 1, vcc_lo
	s_delay_alu instid0(VALU_DEP_1) | instskip(SKIP_1) | instid1(VALU_DEP_2)
	v_dual_cndmask_b32 v1, v4, v1, s0 :: v_dual_add_nc_u32 v4, s2, v0
	v_add_nc_u32_e32 v0, 0x100, v0
	v_and_b32_e32 v1, 1, v1
	global_store_b8 v4, v1, s[4:5]
	s_wait_xcnt 0x0
	s_or_b32 exec_lo, exec_lo, s1
	s_delay_alu instid0(SALU_CYCLE_1)
	s_mov_b32 s1, exec_lo
	v_cmpx_gt_i32_e64 s8, v0
	s_cbranch_execz .LBB178_39
.LBB178_56:
	s_wait_loadcnt 0x0
	v_cmp_eq_f16_e32 vcc_lo, v2, v15
	v_cndmask_b32_e64 v1, 0, 1, vcc_lo
	v_cmp_neq_f16_e32 vcc_lo, v2, v15
	v_cndmask_b32_e64 v2, 0, 1, vcc_lo
	s_delay_alu instid0(VALU_DEP_1) | instskip(SKIP_1) | instid1(VALU_DEP_2)
	v_dual_cndmask_b32 v1, v2, v1, s0 :: v_dual_add_nc_u32 v2, s2, v0
	v_add_nc_u32_e32 v0, 0x100, v0
	v_and_b32_e32 v1, 1, v1
	global_store_b8 v2, v1, s[4:5]
	s_wait_xcnt 0x0
	s_or_b32 exec_lo, exec_lo, s1
	s_delay_alu instid0(SALU_CYCLE_1)
	s_mov_b32 s1, exec_lo
	v_cmpx_gt_i32_e64 s8, v0
	s_cbranch_execz .LBB178_40
.LBB178_57:
	s_wait_loadcnt 0x0
	v_cmp_eq_f16_e32 vcc_lo, v16, v17
	v_cndmask_b32_e64 v1, 0, 1, vcc_lo
	v_cmp_neq_f16_e32 vcc_lo, v16, v17
	v_cndmask_b32_e64 v2, 0, 1, vcc_lo
	s_delay_alu instid0(VALU_DEP_1) | instskip(SKIP_1) | instid1(VALU_DEP_2)
	v_dual_cndmask_b32 v1, v2, v1, s0 :: v_dual_add_nc_u32 v2, s2, v0
	v_add_nc_u32_e32 v0, 0x100, v0
	v_and_b32_e32 v1, 1, v1
	global_store_b8 v2, v1, s[4:5]
	s_wait_xcnt 0x0
	s_or_b32 exec_lo, exec_lo, s1
	s_delay_alu instid0(SALU_CYCLE_1)
	s_mov_b32 s1, exec_lo
	v_cmpx_gt_i32_e64 s8, v0
	s_cbranch_execz .LBB178_41
.LBB178_58:
	s_wait_loadcnt 0x0
	v_cmp_eq_f16_e32 vcc_lo, v3, v19
	v_cndmask_b32_e64 v1, 0, 1, vcc_lo
	v_cmp_neq_f16_e32 vcc_lo, v3, v19
	v_cndmask_b32_e64 v2, 0, 1, vcc_lo
	s_delay_alu instid0(VALU_DEP_1) | instskip(SKIP_1) | instid1(VALU_DEP_2)
	v_dual_cndmask_b32 v1, v2, v1, s0 :: v_dual_add_nc_u32 v2, s2, v0
	v_add_nc_u32_e32 v0, 0x100, v0
	v_and_b32_e32 v1, 1, v1
	global_store_b8 v2, v1, s[4:5]
	s_wait_xcnt 0x0
	s_or_b32 exec_lo, exec_lo, s1
	s_delay_alu instid0(SALU_CYCLE_1)
	s_mov_b32 s1, exec_lo
	v_cmpx_gt_i32_e64 s8, v0
	s_cbranch_execz .LBB178_42
.LBB178_59:
	s_wait_loadcnt 0x0
	v_cmp_eq_f16_e32 vcc_lo, v20, v21
	v_cndmask_b32_e64 v1, 0, 1, vcc_lo
	v_cmp_neq_f16_e32 vcc_lo, v20, v21
	v_cndmask_b32_e64 v2, 0, 1, vcc_lo
	s_delay_alu instid0(VALU_DEP_1) | instskip(SKIP_1) | instid1(VALU_DEP_2)
	v_dual_cndmask_b32 v1, v2, v1, s0 :: v_dual_add_nc_u32 v2, s2, v0
	v_add_nc_u32_e32 v0, 0x100, v0
	v_and_b32_e32 v1, 1, v1
	global_store_b8 v2, v1, s[4:5]
	s_wait_xcnt 0x0
	s_or_b32 exec_lo, exec_lo, s1
	s_delay_alu instid0(SALU_CYCLE_1)
	s_mov_b32 s1, exec_lo
	v_cmpx_gt_i32_e64 s8, v0
	s_cbranch_execz .LBB178_43
.LBB178_60:
	s_wait_loadcnt 0x0
	v_cmp_eq_f16_e32 vcc_lo, v6, v22
	v_cndmask_b32_e64 v1, 0, 1, vcc_lo
	v_cmp_neq_f16_e32 vcc_lo, v6, v22
	v_cndmask_b32_e64 v2, 0, 1, vcc_lo
	s_delay_alu instid0(VALU_DEP_1) | instskip(SKIP_1) | instid1(VALU_DEP_2)
	v_dual_cndmask_b32 v1, v2, v1, s0 :: v_dual_add_nc_u32 v2, s2, v0
	v_add_nc_u32_e32 v0, 0x100, v0
	v_and_b32_e32 v1, 1, v1
	global_store_b8 v2, v1, s[4:5]
	s_wait_xcnt 0x0
	s_or_b32 exec_lo, exec_lo, s1
	s_delay_alu instid0(SALU_CYCLE_1)
	s_mov_b32 s1, exec_lo
	v_cmpx_gt_i32_e64 s8, v0
	s_cbranch_execz .LBB178_44
.LBB178_61:
	s_wait_loadcnt 0x0
	v_cmp_eq_f16_e32 vcc_lo, v23, v24
	v_cndmask_b32_e64 v1, 0, 1, vcc_lo
	v_cmp_neq_f16_e32 vcc_lo, v23, v24
	v_cndmask_b32_e64 v2, 0, 1, vcc_lo
	s_delay_alu instid0(VALU_DEP_1) | instskip(SKIP_1) | instid1(VALU_DEP_2)
	v_dual_cndmask_b32 v1, v2, v1, s0 :: v_dual_add_nc_u32 v2, s2, v0
	v_add_nc_u32_e32 v0, 0x100, v0
	v_and_b32_e32 v1, 1, v1
	global_store_b8 v2, v1, s[4:5]
	s_wait_xcnt 0x0
	s_or_b32 exec_lo, exec_lo, s1
	s_delay_alu instid0(SALU_CYCLE_1)
	s_mov_b32 s1, exec_lo
	v_cmpx_gt_i32_e64 s8, v0
	s_cbranch_execz .LBB178_45
.LBB178_62:
	s_wait_loadcnt 0x0
	v_cmp_eq_f16_e32 vcc_lo, v7, v25
	v_cndmask_b32_e64 v1, 0, 1, vcc_lo
	v_cmp_neq_f16_e32 vcc_lo, v7, v25
	v_cndmask_b32_e64 v2, 0, 1, vcc_lo
	s_delay_alu instid0(VALU_DEP_1) | instskip(SKIP_1) | instid1(VALU_DEP_2)
	v_dual_cndmask_b32 v1, v2, v1, s0 :: v_dual_add_nc_u32 v2, s2, v0
	v_add_nc_u32_e32 v0, 0x100, v0
	v_and_b32_e32 v1, 1, v1
	global_store_b8 v2, v1, s[4:5]
	s_wait_xcnt 0x0
	s_or_b32 exec_lo, exec_lo, s1
	s_delay_alu instid0(SALU_CYCLE_1)
	s_mov_b32 s1, exec_lo
	v_cmpx_gt_i32_e64 s8, v0
	s_cbranch_execz .LBB178_46
.LBB178_63:
	s_wait_loadcnt 0x0
	v_cmp_eq_f16_e32 vcc_lo, v26, v27
	v_cndmask_b32_e64 v1, 0, 1, vcc_lo
	v_cmp_neq_f16_e32 vcc_lo, v26, v27
	v_cndmask_b32_e64 v2, 0, 1, vcc_lo
	s_delay_alu instid0(VALU_DEP_1) | instskip(SKIP_1) | instid1(VALU_DEP_2)
	v_dual_cndmask_b32 v1, v2, v1, s0 :: v_dual_add_nc_u32 v2, s2, v0
	v_add_nc_u32_e32 v0, 0x100, v0
	v_and_b32_e32 v1, 1, v1
	global_store_b8 v2, v1, s[4:5]
	s_wait_xcnt 0x0
	s_or_b32 exec_lo, exec_lo, s1
	s_delay_alu instid0(SALU_CYCLE_1)
	s_mov_b32 s1, exec_lo
	v_cmpx_gt_i32_e64 s8, v0
	s_cbranch_execz .LBB178_47
.LBB178_64:
	s_wait_loadcnt 0x0
	v_cmp_eq_f16_e32 vcc_lo, v10, v28
	v_cndmask_b32_e64 v1, 0, 1, vcc_lo
	v_cmp_neq_f16_e32 vcc_lo, v10, v28
	v_cndmask_b32_e64 v2, 0, 1, vcc_lo
	s_delay_alu instid0(VALU_DEP_1) | instskip(SKIP_1) | instid1(VALU_DEP_2)
	v_dual_cndmask_b32 v1, v2, v1, s0 :: v_dual_add_nc_u32 v2, s2, v0
	v_add_nc_u32_e32 v0, 0x100, v0
	v_and_b32_e32 v1, 1, v1
	global_store_b8 v2, v1, s[4:5]
	s_wait_xcnt 0x0
	s_or_b32 exec_lo, exec_lo, s1
	s_delay_alu instid0(SALU_CYCLE_1)
	s_mov_b32 s1, exec_lo
	v_cmpx_gt_i32_e64 s8, v0
	s_cbranch_execz .LBB178_48
.LBB178_65:
	s_wait_loadcnt 0x0
	v_cmp_eq_f16_e32 vcc_lo, v29, v30
	v_cndmask_b32_e64 v1, 0, 1, vcc_lo
	v_cmp_neq_f16_e32 vcc_lo, v29, v30
	v_cndmask_b32_e64 v2, 0, 1, vcc_lo
	s_delay_alu instid0(VALU_DEP_1) | instskip(SKIP_1) | instid1(VALU_DEP_2)
	v_dual_cndmask_b32 v1, v2, v1, s0 :: v_dual_add_nc_u32 v2, s2, v0
	v_add_nc_u32_e32 v0, 0x100, v0
	v_and_b32_e32 v1, 1, v1
	global_store_b8 v2, v1, s[4:5]
	s_wait_xcnt 0x0
	s_or_b32 exec_lo, exec_lo, s1
	s_delay_alu instid0(SALU_CYCLE_1)
	s_mov_b32 s1, exec_lo
	v_cmpx_gt_i32_e64 s8, v0
	s_cbranch_execz .LBB178_49
.LBB178_66:
	s_wait_loadcnt 0x0
	v_cmp_eq_f16_e32 vcc_lo, v14, v31
	v_cndmask_b32_e64 v1, 0, 1, vcc_lo
	v_cmp_neq_f16_e32 vcc_lo, v14, v31
	v_cndmask_b32_e64 v2, 0, 1, vcc_lo
	s_delay_alu instid0(VALU_DEP_1) | instskip(SKIP_1) | instid1(VALU_DEP_2)
	v_dual_cndmask_b32 v1, v2, v1, s0 :: v_dual_add_nc_u32 v2, s2, v0
	v_add_nc_u32_e32 v0, 0x100, v0
	v_and_b32_e32 v1, 1, v1
	global_store_b8 v2, v1, s[4:5]
	s_wait_xcnt 0x0
	s_or_b32 exec_lo, exec_lo, s1
	s_delay_alu instid0(SALU_CYCLE_1)
	s_mov_b32 s1, exec_lo
	v_cmpx_gt_i32_e64 s8, v0
	s_cbranch_execz .LBB178_50
.LBB178_67:
	s_wait_loadcnt 0x0
	v_cmp_eq_f16_e32 vcc_lo, v32, v33
	v_cndmask_b32_e64 v1, 0, 1, vcc_lo
	v_cmp_neq_f16_e32 vcc_lo, v32, v33
	v_cndmask_b32_e64 v2, 0, 1, vcc_lo
	s_delay_alu instid0(VALU_DEP_1) | instskip(SKIP_1) | instid1(VALU_DEP_2)
	v_dual_cndmask_b32 v1, v2, v1, s0 :: v_dual_add_nc_u32 v2, s2, v0
	v_add_nc_u32_e32 v0, 0x100, v0
	v_and_b32_e32 v1, 1, v1
	global_store_b8 v2, v1, s[4:5]
	s_wait_xcnt 0x0
	s_or_b32 exec_lo, exec_lo, s1
	s_delay_alu instid0(SALU_CYCLE_1)
	s_mov_b32 s1, exec_lo
	v_cmpx_gt_i32_e64 s8, v0
	s_cbranch_execnz .LBB178_51
	s_branch .LBB178_52
	.section	.rodata,"a",@progbits
	.p2align	6, 0x0
	.amdhsa_kernel _ZN2at6native29vectorized_elementwise_kernelILi4ENS0_13BinaryFunctorIN3c104HalfES4_bNS0_12_GLOBAL__N_116CompareEqFunctorIS4_EEEESt5arrayIPcLm3EEEEviT0_T1_
		.amdhsa_group_segment_fixed_size 0
		.amdhsa_private_segment_fixed_size 0
		.amdhsa_kernarg_size 32
		.amdhsa_user_sgpr_count 2
		.amdhsa_user_sgpr_dispatch_ptr 0
		.amdhsa_user_sgpr_queue_ptr 0
		.amdhsa_user_sgpr_kernarg_segment_ptr 1
		.amdhsa_user_sgpr_dispatch_id 0
		.amdhsa_user_sgpr_kernarg_preload_length 0
		.amdhsa_user_sgpr_kernarg_preload_offset 0
		.amdhsa_user_sgpr_private_segment_size 0
		.amdhsa_wavefront_size32 1
		.amdhsa_uses_dynamic_stack 0
		.amdhsa_enable_private_segment 0
		.amdhsa_system_sgpr_workgroup_id_x 1
		.amdhsa_system_sgpr_workgroup_id_y 0
		.amdhsa_system_sgpr_workgroup_id_z 0
		.amdhsa_system_sgpr_workgroup_info 0
		.amdhsa_system_vgpr_workitem_id 0
		.amdhsa_next_free_vgpr 36
		.amdhsa_next_free_sgpr 14
		.amdhsa_named_barrier_count 0
		.amdhsa_reserve_vcc 1
		.amdhsa_float_round_mode_32 0
		.amdhsa_float_round_mode_16_64 0
		.amdhsa_float_denorm_mode_32 3
		.amdhsa_float_denorm_mode_16_64 3
		.amdhsa_fp16_overflow 0
		.amdhsa_memory_ordered 1
		.amdhsa_forward_progress 1
		.amdhsa_inst_pref_size 35
		.amdhsa_round_robin_scheduling 0
		.amdhsa_exception_fp_ieee_invalid_op 0
		.amdhsa_exception_fp_denorm_src 0
		.amdhsa_exception_fp_ieee_div_zero 0
		.amdhsa_exception_fp_ieee_overflow 0
		.amdhsa_exception_fp_ieee_underflow 0
		.amdhsa_exception_fp_ieee_inexact 0
		.amdhsa_exception_int_div_zero 0
	.end_amdhsa_kernel
	.section	.text._ZN2at6native29vectorized_elementwise_kernelILi4ENS0_13BinaryFunctorIN3c104HalfES4_bNS0_12_GLOBAL__N_116CompareEqFunctorIS4_EEEESt5arrayIPcLm3EEEEviT0_T1_,"axG",@progbits,_ZN2at6native29vectorized_elementwise_kernelILi4ENS0_13BinaryFunctorIN3c104HalfES4_bNS0_12_GLOBAL__N_116CompareEqFunctorIS4_EEEESt5arrayIPcLm3EEEEviT0_T1_,comdat
.Lfunc_end178:
	.size	_ZN2at6native29vectorized_elementwise_kernelILi4ENS0_13BinaryFunctorIN3c104HalfES4_bNS0_12_GLOBAL__N_116CompareEqFunctorIS4_EEEESt5arrayIPcLm3EEEEviT0_T1_, .Lfunc_end178-_ZN2at6native29vectorized_elementwise_kernelILi4ENS0_13BinaryFunctorIN3c104HalfES4_bNS0_12_GLOBAL__N_116CompareEqFunctorIS4_EEEESt5arrayIPcLm3EEEEviT0_T1_
                                        ; -- End function
	.set _ZN2at6native29vectorized_elementwise_kernelILi4ENS0_13BinaryFunctorIN3c104HalfES4_bNS0_12_GLOBAL__N_116CompareEqFunctorIS4_EEEESt5arrayIPcLm3EEEEviT0_T1_.num_vgpr, 36
	.set _ZN2at6native29vectorized_elementwise_kernelILi4ENS0_13BinaryFunctorIN3c104HalfES4_bNS0_12_GLOBAL__N_116CompareEqFunctorIS4_EEEESt5arrayIPcLm3EEEEviT0_T1_.num_agpr, 0
	.set _ZN2at6native29vectorized_elementwise_kernelILi4ENS0_13BinaryFunctorIN3c104HalfES4_bNS0_12_GLOBAL__N_116CompareEqFunctorIS4_EEEESt5arrayIPcLm3EEEEviT0_T1_.numbered_sgpr, 14
	.set _ZN2at6native29vectorized_elementwise_kernelILi4ENS0_13BinaryFunctorIN3c104HalfES4_bNS0_12_GLOBAL__N_116CompareEqFunctorIS4_EEEESt5arrayIPcLm3EEEEviT0_T1_.num_named_barrier, 0
	.set _ZN2at6native29vectorized_elementwise_kernelILi4ENS0_13BinaryFunctorIN3c104HalfES4_bNS0_12_GLOBAL__N_116CompareEqFunctorIS4_EEEESt5arrayIPcLm3EEEEviT0_T1_.private_seg_size, 0
	.set _ZN2at6native29vectorized_elementwise_kernelILi4ENS0_13BinaryFunctorIN3c104HalfES4_bNS0_12_GLOBAL__N_116CompareEqFunctorIS4_EEEESt5arrayIPcLm3EEEEviT0_T1_.uses_vcc, 1
	.set _ZN2at6native29vectorized_elementwise_kernelILi4ENS0_13BinaryFunctorIN3c104HalfES4_bNS0_12_GLOBAL__N_116CompareEqFunctorIS4_EEEESt5arrayIPcLm3EEEEviT0_T1_.uses_flat_scratch, 0
	.set _ZN2at6native29vectorized_elementwise_kernelILi4ENS0_13BinaryFunctorIN3c104HalfES4_bNS0_12_GLOBAL__N_116CompareEqFunctorIS4_EEEESt5arrayIPcLm3EEEEviT0_T1_.has_dyn_sized_stack, 0
	.set _ZN2at6native29vectorized_elementwise_kernelILi4ENS0_13BinaryFunctorIN3c104HalfES4_bNS0_12_GLOBAL__N_116CompareEqFunctorIS4_EEEESt5arrayIPcLm3EEEEviT0_T1_.has_recursion, 0
	.set _ZN2at6native29vectorized_elementwise_kernelILi4ENS0_13BinaryFunctorIN3c104HalfES4_bNS0_12_GLOBAL__N_116CompareEqFunctorIS4_EEEESt5arrayIPcLm3EEEEviT0_T1_.has_indirect_call, 0
	.section	.AMDGPU.csdata,"",@progbits
; Kernel info:
; codeLenInByte = 4400
; TotalNumSgprs: 16
; NumVgprs: 36
; ScratchSize: 0
; MemoryBound: 0
; FloatMode: 240
; IeeeMode: 1
; LDSByteSize: 0 bytes/workgroup (compile time only)
; SGPRBlocks: 0
; VGPRBlocks: 2
; NumSGPRsForWavesPerEU: 16
; NumVGPRsForWavesPerEU: 36
; NamedBarCnt: 0
; Occupancy: 16
; WaveLimiterHint : 1
; COMPUTE_PGM_RSRC2:SCRATCH_EN: 0
; COMPUTE_PGM_RSRC2:USER_SGPR: 2
; COMPUTE_PGM_RSRC2:TRAP_HANDLER: 0
; COMPUTE_PGM_RSRC2:TGID_X_EN: 1
; COMPUTE_PGM_RSRC2:TGID_Y_EN: 0
; COMPUTE_PGM_RSRC2:TGID_Z_EN: 0
; COMPUTE_PGM_RSRC2:TIDIG_COMP_CNT: 0
	.section	.text._ZN2at6native29vectorized_elementwise_kernelILi2ENS0_13BinaryFunctorIN3c104HalfES4_bNS0_12_GLOBAL__N_116CompareEqFunctorIS4_EEEESt5arrayIPcLm3EEEEviT0_T1_,"axG",@progbits,_ZN2at6native29vectorized_elementwise_kernelILi2ENS0_13BinaryFunctorIN3c104HalfES4_bNS0_12_GLOBAL__N_116CompareEqFunctorIS4_EEEESt5arrayIPcLm3EEEEviT0_T1_,comdat
	.globl	_ZN2at6native29vectorized_elementwise_kernelILi2ENS0_13BinaryFunctorIN3c104HalfES4_bNS0_12_GLOBAL__N_116CompareEqFunctorIS4_EEEESt5arrayIPcLm3EEEEviT0_T1_ ; -- Begin function _ZN2at6native29vectorized_elementwise_kernelILi2ENS0_13BinaryFunctorIN3c104HalfES4_bNS0_12_GLOBAL__N_116CompareEqFunctorIS4_EEEESt5arrayIPcLm3EEEEviT0_T1_
	.p2align	8
	.type	_ZN2at6native29vectorized_elementwise_kernelILi2ENS0_13BinaryFunctorIN3c104HalfES4_bNS0_12_GLOBAL__N_116CompareEqFunctorIS4_EEEESt5arrayIPcLm3EEEEviT0_T1_,@function
_ZN2at6native29vectorized_elementwise_kernelILi2ENS0_13BinaryFunctorIN3c104HalfES4_bNS0_12_GLOBAL__N_116CompareEqFunctorIS4_EEEESt5arrayIPcLm3EEEEviT0_T1_: ; @_ZN2at6native29vectorized_elementwise_kernelILi2ENS0_13BinaryFunctorIN3c104HalfES4_bNS0_12_GLOBAL__N_116CompareEqFunctorIS4_EEEESt5arrayIPcLm3EEEEviT0_T1_
; %bb.0:
	s_clause 0x2
	s_load_b64 s[8:9], s[0:1], 0x0
	s_load_b128 s[4:7], s[0:1], 0x8
	s_load_b64 s[10:11], s[0:1], 0x18
	s_wait_xcnt 0x0
	s_bfe_u32 s0, ttmp6, 0x4000c
	s_and_b32 s1, ttmp6, 15
	s_add_co_i32 s0, s0, 1
	s_getreg_b32 s2, hwreg(HW_REG_IB_STS2, 6, 4)
	s_mul_i32 s0, ttmp9, s0
	s_delay_alu instid0(SALU_CYCLE_1) | instskip(SKIP_2) | instid1(SALU_CYCLE_1)
	s_add_co_i32 s1, s1, s0
	s_cmp_eq_u32 s2, 0
	s_cselect_b32 s0, ttmp9, s1
	s_lshl_b32 s2, s0, 12
	s_wait_kmcnt 0x0
	s_sub_co_i32 s1, s8, s2
	s_mov_b32 s8, -1
	s_cmp_gt_i32 s1, 0xfff
	s_cbranch_scc0 .LBB179_2
; %bb.1:
	s_ashr_i32 s3, s2, 31
	s_mov_b32 s8, 0
	s_lshl_b64 s[12:13], s[2:3], 1
	s_cmp_eq_u32 s9, 0
	s_add_nc_u64 s[14:15], s[10:11], s[12:13]
	s_add_nc_u64 s[12:13], s[6:7], s[12:13]
	s_clause 0xf
	global_load_b32 v1, v0, s[14:15] scale_offset
	global_load_b32 v2, v0, s[12:13] scale_offset
	global_load_b32 v3, v0, s[12:13] offset:1024 scale_offset
	global_load_b32 v4, v0, s[14:15] offset:1024 scale_offset
	global_load_b32 v5, v0, s[14:15] offset:2048 scale_offset
	global_load_b32 v6, v0, s[12:13] offset:2048 scale_offset
	global_load_b32 v7, v0, s[12:13] offset:3072 scale_offset
	global_load_b32 v8, v0, s[14:15] offset:3072 scale_offset
	global_load_b32 v9, v0, s[14:15] offset:4096 scale_offset
	global_load_b32 v10, v0, s[12:13] offset:4096 scale_offset
	global_load_b32 v11, v0, s[12:13] offset:5120 scale_offset
	global_load_b32 v12, v0, s[14:15] offset:5120 scale_offset
	global_load_b32 v13, v0, s[14:15] offset:6144 scale_offset
	global_load_b32 v14, v0, s[12:13] offset:6144 scale_offset
	global_load_b32 v15, v0, s[12:13] offset:7168 scale_offset
	; meta instruction
	global_load_b32 v16, v0, s[14:15] offset:7168 scale_offset
	s_wait_xcnt 0x1
	s_add_nc_u64 s[12:13], s[4:5], s[2:3]
	s_wait_loadcnt 0xe
	v_cmp_eq_f16_e32 vcc_lo, v2, v1
	v_cndmask_b32_e64 v17, 0, 1, vcc_lo
	v_cmp_neq_f16_e32 vcc_lo, v2, v1
	v_dual_lshrrev_b32 v2, 16, v2 :: v_dual_lshrrev_b32 v1, 16, v1
	v_cndmask_b32_e64 v18, 0, 1, vcc_lo
	s_wait_loadcnt 0xc
	v_cmp_eq_f16_e32 vcc_lo, v3, v4
	s_delay_alu instid0(VALU_DEP_3)
	v_cmp_eq_f16_e64 s0, v2, v1
	v_cndmask_b32_e64 v19, 0, 1, vcc_lo
	v_cmp_neq_f16_e32 vcc_lo, v3, v4
	v_dual_lshrrev_b32 v3, 16, v3 :: v_dual_lshrrev_b32 v4, 16, v4
	v_cndmask_b32_e64 v20, 0, 1, vcc_lo
	s_wait_loadcnt 0xa
	v_cmp_eq_f16_e32 vcc_lo, v6, v5
	v_cndmask_b32_e64 v21, 0, 1, vcc_lo
	v_cmp_neq_f16_e32 vcc_lo, v6, v5
	v_dual_lshrrev_b32 v6, 16, v6 :: v_dual_lshrrev_b32 v5, 16, v5
	v_cndmask_b32_e64 v22, 0, 1, vcc_lo
	s_wait_loadcnt 0x8
	v_cmp_eq_f16_e32 vcc_lo, v7, v8
	;; [unrolled: 6-line block ×6, first 2 shown]
	v_cndmask_b32_e64 v31, 0, 1, vcc_lo
	v_cmp_neq_f16_e32 vcc_lo, v15, v16
	v_dual_lshrrev_b32 v15, 16, v15 :: v_dual_lshrrev_b32 v16, 16, v16
	v_cndmask_b32_e64 v32, 0, 1, vcc_lo
	s_cselect_b32 vcc_lo, -1, 0
	v_cndmask_b32_e32 v17, v18, v17, vcc_lo
	v_cndmask_b32_e64 v18, 0, 1, s0
	v_cmp_neq_f16_e64 s0, v2, v1
	v_cndmask_b32_e32 v2, v20, v19, vcc_lo
	s_delay_alu instid0(VALU_DEP_2) | instskip(SKIP_1) | instid1(VALU_DEP_1)
	v_cndmask_b32_e64 v1, 0, 1, s0
	v_cmp_eq_f16_e64 s0, v3, v4
	v_cndmask_b32_e64 v19, 0, 1, s0
	v_cmp_neq_f16_e64 s0, v3, v4
	v_cndmask_b32_e32 v4, v22, v21, vcc_lo
	s_delay_alu instid0(VALU_DEP_2) | instskip(SKIP_1) | instid1(VALU_DEP_2)
	v_cndmask_b32_e64 v3, 0, 1, s0
	v_cmp_eq_f16_e64 s0, v6, v5
	v_dual_cndmask_b32 v1, v1, v18, vcc_lo :: v_dual_cndmask_b32 v3, v3, v19, vcc_lo
	s_delay_alu instid0(VALU_DEP_2) | instskip(SKIP_1) | instid1(VALU_DEP_3)
	v_cndmask_b32_e64 v20, 0, 1, s0
	v_cmp_neq_f16_e64 s0, v6, v5
	v_dual_cndmask_b32 v6, v24, v23, vcc_lo :: v_dual_bitop2_b32 v1, 1, v1 bitop3:0x40
	s_delay_alu instid0(VALU_DEP_4) | instskip(NEXT) | instid1(VALU_DEP_3)
	v_and_b32_e32 v3, 1, v3
	v_cndmask_b32_e64 v5, 0, 1, s0
	v_cmp_eq_f16_e64 s0, v7, v8
	s_delay_alu instid0(VALU_DEP_1) | instskip(SKIP_2) | instid1(VALU_DEP_2)
	v_cndmask_b32_e64 v21, 0, 1, s0
	v_cmp_neq_f16_e64 s0, v7, v8
	v_cndmask_b32_e32 v8, v26, v25, vcc_lo
	v_cndmask_b32_e64 v7, 0, 1, s0
	v_cmp_eq_f16_e64 s0, v10, v9
	s_delay_alu instid0(VALU_DEP_2) | instskip(NEXT) | instid1(VALU_DEP_2)
	v_dual_cndmask_b32 v5, v5, v20, vcc_lo :: v_dual_cndmask_b32 v7, v7, v21, vcc_lo
	v_cndmask_b32_e64 v22, 0, 1, s0
	v_cmp_neq_f16_e64 s0, v10, v9
	s_delay_alu instid0(VALU_DEP_3) | instskip(NEXT) | instid1(VALU_DEP_4)
	v_dual_cndmask_b32 v10, v28, v27, vcc_lo :: v_dual_bitop2_b32 v5, 1, v5 bitop3:0x40
	v_and_b32_e32 v7, 1, v7
	s_delay_alu instid0(VALU_DEP_3) | instskip(SKIP_1) | instid1(VALU_DEP_1)
	v_cndmask_b32_e64 v9, 0, 1, s0
	v_cmp_eq_f16_e64 s0, v11, v12
	v_cndmask_b32_e64 v23, 0, 1, s0
	v_cmp_neq_f16_e64 s0, v11, v12
	v_cndmask_b32_e32 v12, v30, v29, vcc_lo
	s_delay_alu instid0(VALU_DEP_2) | instskip(SKIP_1) | instid1(VALU_DEP_2)
	v_cndmask_b32_e64 v11, 0, 1, s0
	v_cmp_eq_f16_e64 s0, v14, v13
	v_dual_cndmask_b32 v9, v9, v22, vcc_lo :: v_dual_cndmask_b32 v11, v11, v23, vcc_lo
	s_delay_alu instid0(VALU_DEP_2) | instskip(SKIP_1) | instid1(VALU_DEP_3)
	v_cndmask_b32_e64 v24, 0, 1, s0
	v_cmp_neq_f16_e64 s0, v14, v13
	v_dual_cndmask_b32 v14, v32, v31, vcc_lo :: v_dual_bitop2_b32 v9, 1, v9 bitop3:0x40
	s_delay_alu instid0(VALU_DEP_4) | instskip(NEXT) | instid1(VALU_DEP_3)
	v_and_b32_e32 v11, 1, v11
	v_cndmask_b32_e64 v13, 0, 1, s0
	v_cmp_eq_f16_e64 s0, v15, v16
	s_delay_alu instid0(VALU_DEP_1) | instskip(SKIP_1) | instid1(VALU_DEP_1)
	v_cndmask_b32_e64 v25, 0, 1, s0
	v_cmp_neq_f16_e64 s0, v15, v16
	v_cndmask_b32_e64 v15, 0, 1, s0
	s_delay_alu instid0(VALU_DEP_1) | instskip(SKIP_1) | instid1(VALU_DEP_2)
	v_dual_cndmask_b32 v13, v13, v24, vcc_lo :: v_dual_cndmask_b32 v15, v15, v25, vcc_lo
	v_cmp_eq_u32_e32 vcc_lo, 1, v1
	v_and_b32_e32 v13, 1, v13
	s_delay_alu instid0(VALU_DEP_3) | instskip(SKIP_2) | instid1(VALU_DEP_2)
	v_and_b32_e32 v15, 1, v15
	v_cndmask_b32_e64 v1, 0, 0x100, vcc_lo
	v_cmp_eq_u32_e32 vcc_lo, 1, v3
	v_bitop3_b16 v1, v1, v17, 1 bitop3:0xf8
	v_cndmask_b32_e64 v3, 0, 0x100, vcc_lo
	v_cmp_eq_u32_e32 vcc_lo, 1, v5
	s_delay_alu instid0(VALU_DEP_2) | instskip(SKIP_2) | instid1(VALU_DEP_2)
	v_bitop3_b16 v2, v3, v2, 1 bitop3:0xf8
	v_cndmask_b32_e64 v5, 0, 0x100, vcc_lo
	v_cmp_eq_u32_e32 vcc_lo, 1, v7
	v_bitop3_b16 v3, v5, v4, 1 bitop3:0xf8
	v_cndmask_b32_e64 v7, 0, 0x100, vcc_lo
	v_cmp_eq_u32_e32 vcc_lo, 1, v9
	s_delay_alu instid0(VALU_DEP_2) | instskip(SKIP_2) | instid1(VALU_DEP_2)
	v_bitop3_b16 v4, v7, v6, 1 bitop3:0xf8
	;; [unrolled: 7-line block ×3, first 2 shown]
	v_cndmask_b32_e64 v13, 0, 0x100, vcc_lo
	v_cmp_eq_u32_e32 vcc_lo, 1, v15
	v_bitop3_b16 v7, v13, v12, 1 bitop3:0xf8
	v_cndmask_b32_e64 v15, 0, 0x100, vcc_lo
	s_delay_alu instid0(VALU_DEP_1)
	v_bitop3_b16 v8, v15, v14, 1 bitop3:0xf8
	s_clause 0x7
	global_store_b16 v0, v1, s[12:13] scale_offset
	global_store_b16 v0, v2, s[12:13] offset:512 scale_offset
	global_store_b16 v0, v3, s[12:13] offset:1024 scale_offset
	;; [unrolled: 1-line block ×7, first 2 shown]
.LBB179_2:
	s_and_not1_b32 vcc_lo, exec_lo, s8
	s_cbranch_vccnz .LBB179_52
; %bb.3:
	v_cmp_gt_i32_e32 vcc_lo, s1, v0
	s_wait_xcnt 0x4
	v_dual_mov_b32 v1, 0 :: v_dual_bitop2_b32 v4, s2, v0 bitop3:0x54
	s_wait_xcnt 0x3
	v_or_b32_e32 v5, 0x100, v0
	s_wait_xcnt 0x0
	v_dual_mov_b32 v8, 0 :: v_dual_mov_b32 v9, 0
	v_mov_b32_e32 v35, v0
	s_and_saveexec_b32 s0, vcc_lo
	s_cbranch_execz .LBB179_5
; %bb.4:
	s_clause 0x1
	global_load_u16 v8, v4, s[6:7] scale_offset
	global_load_u16 v9, v4, s[10:11] scale_offset
	v_or_b32_e32 v35, 0x100, v0
.LBB179_5:
	s_wait_xcnt 0x0
	s_or_b32 exec_lo, exec_lo, s0
	v_mov_b32_e32 v11, 0
	s_mov_b32 s3, exec_lo
	v_cmpx_gt_i32_e64 s1, v35
	s_cbranch_execz .LBB179_7
; %bb.6:
	v_add_nc_u32_e32 v2, s2, v35
	v_add_nc_u32_e32 v35, 0x100, v35
	s_clause 0x1
	global_load_u16 v1, v2, s[6:7] scale_offset
	global_load_u16 v11, v2, s[10:11] scale_offset
.LBB179_7:
	s_wait_xcnt 0x0
	s_or_b32 exec_lo, exec_lo, s3
	v_dual_mov_b32 v2, 0 :: v_dual_mov_b32 v12, 0
	v_mov_b32_e32 v13, 0
	s_mov_b32 s3, exec_lo
	v_cmpx_gt_i32_e64 s1, v35
	s_cbranch_execz .LBB179_9
; %bb.8:
	v_add_nc_u32_e32 v3, s2, v35
	v_add_nc_u32_e32 v35, 0x100, v35
	s_clause 0x1
	global_load_u16 v12, v3, s[6:7] scale_offset
	global_load_u16 v13, v3, s[10:11] scale_offset
.LBB179_9:
	s_wait_xcnt 0x0
	s_or_b32 exec_lo, exec_lo, s3
	v_mov_b32_e32 v15, 0
	s_mov_b32 s3, exec_lo
	v_cmpx_gt_i32_e64 s1, v35
	s_cbranch_execz .LBB179_11
; %bb.10:
	v_add_nc_u32_e32 v3, s2, v35
	v_add_nc_u32_e32 v35, 0x100, v35
	s_clause 0x1
	global_load_u16 v2, v3, s[6:7] scale_offset
	global_load_u16 v15, v3, s[10:11] scale_offset
.LBB179_11:
	s_wait_xcnt 0x0
	s_or_b32 exec_lo, exec_lo, s3
	v_dual_mov_b32 v3, 0 :: v_dual_mov_b32 v16, 0
	v_mov_b32_e32 v17, 0
	s_mov_b32 s3, exec_lo
	v_cmpx_gt_i32_e64 s1, v35
	s_cbranch_execz .LBB179_13
; %bb.12:
	v_add_nc_u32_e32 v6, s2, v35
	v_add_nc_u32_e32 v35, 0x100, v35
	s_clause 0x1
	global_load_u16 v16, v6, s[6:7] scale_offset
	global_load_u16 v17, v6, s[10:11] scale_offset
.LBB179_13:
	;; [unrolled: 27-line block ×7, first 2 shown]
	s_wait_xcnt 0x0
	s_or_b32 exec_lo, exec_lo, s3
	v_mov_b32_e32 v34, 0
	s_mov_b32 s3, exec_lo
	v_cmpx_gt_i32_e64 s1, v35
	s_cbranch_execz .LBB179_35
; %bb.34:
	v_add_nc_u32_e32 v35, s2, v35
	s_clause 0x1
	global_load_u16 v18, v35, s[6:7] scale_offset
	global_load_u16 v34, v35, s[10:11] scale_offset
.LBB179_35:
	s_wait_xcnt 0x0
	s_or_b32 exec_lo, exec_lo, s3
	s_cmp_eq_u32 s9, 0
	s_cselect_b32 s0, -1, 0
	s_and_saveexec_b32 s3, vcc_lo
	s_cbranch_execnz .LBB179_53
; %bb.36:
	s_or_b32 exec_lo, exec_lo, s3
	s_delay_alu instid0(SALU_CYCLE_1)
	s_mov_b32 s3, exec_lo
	v_cmpx_gt_i32_e64 s1, v0
	s_cbranch_execnz .LBB179_54
.LBB179_37:
	s_or_b32 exec_lo, exec_lo, s3
	s_delay_alu instid0(SALU_CYCLE_1)
	s_mov_b32 s3, exec_lo
	v_cmpx_gt_i32_e64 s1, v0
	s_cbranch_execnz .LBB179_55
.LBB179_38:
	s_or_b32 exec_lo, exec_lo, s3
	s_delay_alu instid0(SALU_CYCLE_1)
	s_mov_b32 s3, exec_lo
	v_cmpx_gt_i32_e64 s1, v0
	s_cbranch_execnz .LBB179_56
.LBB179_39:
	s_or_b32 exec_lo, exec_lo, s3
	s_delay_alu instid0(SALU_CYCLE_1)
	s_mov_b32 s3, exec_lo
	v_cmpx_gt_i32_e64 s1, v0
	s_cbranch_execnz .LBB179_57
.LBB179_40:
	s_or_b32 exec_lo, exec_lo, s3
	s_delay_alu instid0(SALU_CYCLE_1)
	s_mov_b32 s3, exec_lo
	v_cmpx_gt_i32_e64 s1, v0
	s_cbranch_execnz .LBB179_58
.LBB179_41:
	s_or_b32 exec_lo, exec_lo, s3
	s_delay_alu instid0(SALU_CYCLE_1)
	s_mov_b32 s3, exec_lo
	v_cmpx_gt_i32_e64 s1, v0
	s_cbranch_execnz .LBB179_59
.LBB179_42:
	s_or_b32 exec_lo, exec_lo, s3
	s_delay_alu instid0(SALU_CYCLE_1)
	s_mov_b32 s3, exec_lo
	v_cmpx_gt_i32_e64 s1, v0
	s_cbranch_execnz .LBB179_60
.LBB179_43:
	s_or_b32 exec_lo, exec_lo, s3
	s_delay_alu instid0(SALU_CYCLE_1)
	s_mov_b32 s3, exec_lo
	v_cmpx_gt_i32_e64 s1, v0
	s_cbranch_execnz .LBB179_61
.LBB179_44:
	s_or_b32 exec_lo, exec_lo, s3
	s_delay_alu instid0(SALU_CYCLE_1)
	s_mov_b32 s3, exec_lo
	v_cmpx_gt_i32_e64 s1, v0
	s_cbranch_execnz .LBB179_62
.LBB179_45:
	s_or_b32 exec_lo, exec_lo, s3
	s_delay_alu instid0(SALU_CYCLE_1)
	s_mov_b32 s3, exec_lo
	v_cmpx_gt_i32_e64 s1, v0
	s_cbranch_execnz .LBB179_63
.LBB179_46:
	s_or_b32 exec_lo, exec_lo, s3
	s_delay_alu instid0(SALU_CYCLE_1)
	s_mov_b32 s3, exec_lo
	v_cmpx_gt_i32_e64 s1, v0
	s_cbranch_execnz .LBB179_64
.LBB179_47:
	s_or_b32 exec_lo, exec_lo, s3
	s_delay_alu instid0(SALU_CYCLE_1)
	s_mov_b32 s3, exec_lo
	v_cmpx_gt_i32_e64 s1, v0
	s_cbranch_execnz .LBB179_65
.LBB179_48:
	s_or_b32 exec_lo, exec_lo, s3
	s_delay_alu instid0(SALU_CYCLE_1)
	s_mov_b32 s3, exec_lo
	v_cmpx_gt_i32_e64 s1, v0
	s_cbranch_execnz .LBB179_66
.LBB179_49:
	s_or_b32 exec_lo, exec_lo, s3
	s_delay_alu instid0(SALU_CYCLE_1)
	s_mov_b32 s3, exec_lo
	v_cmpx_gt_i32_e64 s1, v0
	s_cbranch_execnz .LBB179_67
.LBB179_50:
	s_or_b32 exec_lo, exec_lo, s3
	v_cmp_gt_i32_e32 vcc_lo, s1, v0
	s_and_saveexec_b32 s1, vcc_lo
	s_cbranch_execz .LBB179_52
.LBB179_51:
	s_wait_loadcnt 0x0
	v_cmp_eq_f16_e32 vcc_lo, v18, v34
	v_add_nc_u32_e32 v0, s2, v0
	v_cndmask_b32_e64 v1, 0, 1, vcc_lo
	v_cmp_neq_f16_e32 vcc_lo, v18, v34
	v_cndmask_b32_e64 v2, 0, 1, vcc_lo
	s_delay_alu instid0(VALU_DEP_1) | instskip(NEXT) | instid1(VALU_DEP_1)
	v_cndmask_b32_e64 v1, v2, v1, s0
	v_and_b32_e32 v1, 1, v1
	global_store_b8 v0, v1, s[4:5]
.LBB179_52:
	s_endpgm
.LBB179_53:
	s_wait_loadcnt 0x0
	v_cmp_eq_f16_e32 vcc_lo, v8, v9
	v_cndmask_b32_e64 v0, 0, 1, vcc_lo
	v_cmp_neq_f16_e32 vcc_lo, v8, v9
	v_cndmask_b32_e64 v8, 0, 1, vcc_lo
	s_delay_alu instid0(VALU_DEP_1) | instskip(NEXT) | instid1(VALU_DEP_1)
	v_cndmask_b32_e64 v0, v8, v0, s0
	v_dual_mov_b32 v0, v5 :: v_dual_bitop2_b32 v8, 1, v0 bitop3:0x40
	global_store_b8 v4, v8, s[4:5]
	s_wait_xcnt 0x0
	s_or_b32 exec_lo, exec_lo, s3
	s_delay_alu instid0(SALU_CYCLE_1)
	s_mov_b32 s3, exec_lo
	v_cmpx_gt_i32_e64 s1, v0
	s_cbranch_execz .LBB179_37
.LBB179_54:
	s_wait_loadcnt 0x0
	v_cmp_eq_f16_e32 vcc_lo, v1, v11
	v_cndmask_b32_e64 v4, 0, 1, vcc_lo
	v_cmp_neq_f16_e32 vcc_lo, v1, v11
	v_cndmask_b32_e64 v1, 0, 1, vcc_lo
	s_delay_alu instid0(VALU_DEP_1) | instskip(SKIP_2) | instid1(VALU_DEP_3)
	v_cndmask_b32_e64 v1, v1, v4, s0
	v_add_nc_u32_e32 v4, s2, v0
	v_add_nc_u32_e32 v0, 0x100, v0
	v_and_b32_e32 v1, 1, v1
	global_store_b8 v4, v1, s[4:5]
	s_wait_xcnt 0x0
	s_or_b32 exec_lo, exec_lo, s3
	s_delay_alu instid0(SALU_CYCLE_1)
	s_mov_b32 s3, exec_lo
	v_cmpx_gt_i32_e64 s1, v0
	s_cbranch_execz .LBB179_38
.LBB179_55:
	s_wait_loadcnt 0x0
	v_cmp_eq_f16_e32 vcc_lo, v12, v13
	v_cndmask_b32_e64 v1, 0, 1, vcc_lo
	v_cmp_neq_f16_e32 vcc_lo, v12, v13
	v_cndmask_b32_e64 v4, 0, 1, vcc_lo
	s_delay_alu instid0(VALU_DEP_1) | instskip(SKIP_1) | instid1(VALU_DEP_2)
	v_dual_cndmask_b32 v1, v4, v1, s0 :: v_dual_add_nc_u32 v4, s2, v0
	v_add_nc_u32_e32 v0, 0x100, v0
	v_and_b32_e32 v1, 1, v1
	global_store_b8 v4, v1, s[4:5]
	s_wait_xcnt 0x0
	s_or_b32 exec_lo, exec_lo, s3
	s_delay_alu instid0(SALU_CYCLE_1)
	s_mov_b32 s3, exec_lo
	v_cmpx_gt_i32_e64 s1, v0
	s_cbranch_execz .LBB179_39
.LBB179_56:
	s_wait_loadcnt 0x0
	v_cmp_eq_f16_e32 vcc_lo, v2, v15
	v_cndmask_b32_e64 v1, 0, 1, vcc_lo
	v_cmp_neq_f16_e32 vcc_lo, v2, v15
	v_cndmask_b32_e64 v2, 0, 1, vcc_lo
	s_delay_alu instid0(VALU_DEP_1) | instskip(SKIP_1) | instid1(VALU_DEP_2)
	v_dual_cndmask_b32 v1, v2, v1, s0 :: v_dual_add_nc_u32 v2, s2, v0
	v_add_nc_u32_e32 v0, 0x100, v0
	v_and_b32_e32 v1, 1, v1
	global_store_b8 v2, v1, s[4:5]
	s_wait_xcnt 0x0
	s_or_b32 exec_lo, exec_lo, s3
	s_delay_alu instid0(SALU_CYCLE_1)
	s_mov_b32 s3, exec_lo
	v_cmpx_gt_i32_e64 s1, v0
	s_cbranch_execz .LBB179_40
.LBB179_57:
	s_wait_loadcnt 0x0
	v_cmp_eq_f16_e32 vcc_lo, v16, v17
	v_cndmask_b32_e64 v1, 0, 1, vcc_lo
	v_cmp_neq_f16_e32 vcc_lo, v16, v17
	v_cndmask_b32_e64 v2, 0, 1, vcc_lo
	s_delay_alu instid0(VALU_DEP_1) | instskip(SKIP_1) | instid1(VALU_DEP_2)
	v_dual_cndmask_b32 v1, v2, v1, s0 :: v_dual_add_nc_u32 v2, s2, v0
	v_add_nc_u32_e32 v0, 0x100, v0
	v_and_b32_e32 v1, 1, v1
	global_store_b8 v2, v1, s[4:5]
	s_wait_xcnt 0x0
	s_or_b32 exec_lo, exec_lo, s3
	s_delay_alu instid0(SALU_CYCLE_1)
	s_mov_b32 s3, exec_lo
	v_cmpx_gt_i32_e64 s1, v0
	s_cbranch_execz .LBB179_41
.LBB179_58:
	s_wait_loadcnt 0x0
	v_cmp_eq_f16_e32 vcc_lo, v3, v19
	v_cndmask_b32_e64 v1, 0, 1, vcc_lo
	v_cmp_neq_f16_e32 vcc_lo, v3, v19
	v_cndmask_b32_e64 v2, 0, 1, vcc_lo
	s_delay_alu instid0(VALU_DEP_1) | instskip(SKIP_1) | instid1(VALU_DEP_2)
	v_dual_cndmask_b32 v1, v2, v1, s0 :: v_dual_add_nc_u32 v2, s2, v0
	v_add_nc_u32_e32 v0, 0x100, v0
	v_and_b32_e32 v1, 1, v1
	global_store_b8 v2, v1, s[4:5]
	s_wait_xcnt 0x0
	s_or_b32 exec_lo, exec_lo, s3
	s_delay_alu instid0(SALU_CYCLE_1)
	s_mov_b32 s3, exec_lo
	v_cmpx_gt_i32_e64 s1, v0
	s_cbranch_execz .LBB179_42
.LBB179_59:
	s_wait_loadcnt 0x0
	v_cmp_eq_f16_e32 vcc_lo, v20, v21
	v_cndmask_b32_e64 v1, 0, 1, vcc_lo
	v_cmp_neq_f16_e32 vcc_lo, v20, v21
	v_cndmask_b32_e64 v2, 0, 1, vcc_lo
	s_delay_alu instid0(VALU_DEP_1) | instskip(SKIP_1) | instid1(VALU_DEP_2)
	v_dual_cndmask_b32 v1, v2, v1, s0 :: v_dual_add_nc_u32 v2, s2, v0
	v_add_nc_u32_e32 v0, 0x100, v0
	v_and_b32_e32 v1, 1, v1
	global_store_b8 v2, v1, s[4:5]
	s_wait_xcnt 0x0
	s_or_b32 exec_lo, exec_lo, s3
	s_delay_alu instid0(SALU_CYCLE_1)
	s_mov_b32 s3, exec_lo
	v_cmpx_gt_i32_e64 s1, v0
	s_cbranch_execz .LBB179_43
.LBB179_60:
	s_wait_loadcnt 0x0
	v_cmp_eq_f16_e32 vcc_lo, v6, v22
	v_cndmask_b32_e64 v1, 0, 1, vcc_lo
	v_cmp_neq_f16_e32 vcc_lo, v6, v22
	v_cndmask_b32_e64 v2, 0, 1, vcc_lo
	s_delay_alu instid0(VALU_DEP_1) | instskip(SKIP_1) | instid1(VALU_DEP_2)
	v_dual_cndmask_b32 v1, v2, v1, s0 :: v_dual_add_nc_u32 v2, s2, v0
	v_add_nc_u32_e32 v0, 0x100, v0
	v_and_b32_e32 v1, 1, v1
	global_store_b8 v2, v1, s[4:5]
	s_wait_xcnt 0x0
	s_or_b32 exec_lo, exec_lo, s3
	s_delay_alu instid0(SALU_CYCLE_1)
	s_mov_b32 s3, exec_lo
	v_cmpx_gt_i32_e64 s1, v0
	s_cbranch_execz .LBB179_44
.LBB179_61:
	s_wait_loadcnt 0x0
	v_cmp_eq_f16_e32 vcc_lo, v23, v24
	v_cndmask_b32_e64 v1, 0, 1, vcc_lo
	v_cmp_neq_f16_e32 vcc_lo, v23, v24
	v_cndmask_b32_e64 v2, 0, 1, vcc_lo
	s_delay_alu instid0(VALU_DEP_1) | instskip(SKIP_1) | instid1(VALU_DEP_2)
	v_dual_cndmask_b32 v1, v2, v1, s0 :: v_dual_add_nc_u32 v2, s2, v0
	v_add_nc_u32_e32 v0, 0x100, v0
	v_and_b32_e32 v1, 1, v1
	global_store_b8 v2, v1, s[4:5]
	s_wait_xcnt 0x0
	s_or_b32 exec_lo, exec_lo, s3
	s_delay_alu instid0(SALU_CYCLE_1)
	s_mov_b32 s3, exec_lo
	v_cmpx_gt_i32_e64 s1, v0
	s_cbranch_execz .LBB179_45
.LBB179_62:
	s_wait_loadcnt 0x0
	v_cmp_eq_f16_e32 vcc_lo, v7, v25
	v_cndmask_b32_e64 v1, 0, 1, vcc_lo
	v_cmp_neq_f16_e32 vcc_lo, v7, v25
	v_cndmask_b32_e64 v2, 0, 1, vcc_lo
	s_delay_alu instid0(VALU_DEP_1) | instskip(SKIP_1) | instid1(VALU_DEP_2)
	v_dual_cndmask_b32 v1, v2, v1, s0 :: v_dual_add_nc_u32 v2, s2, v0
	v_add_nc_u32_e32 v0, 0x100, v0
	v_and_b32_e32 v1, 1, v1
	global_store_b8 v2, v1, s[4:5]
	s_wait_xcnt 0x0
	s_or_b32 exec_lo, exec_lo, s3
	s_delay_alu instid0(SALU_CYCLE_1)
	s_mov_b32 s3, exec_lo
	v_cmpx_gt_i32_e64 s1, v0
	s_cbranch_execz .LBB179_46
.LBB179_63:
	s_wait_loadcnt 0x0
	v_cmp_eq_f16_e32 vcc_lo, v26, v27
	v_cndmask_b32_e64 v1, 0, 1, vcc_lo
	v_cmp_neq_f16_e32 vcc_lo, v26, v27
	v_cndmask_b32_e64 v2, 0, 1, vcc_lo
	s_delay_alu instid0(VALU_DEP_1) | instskip(SKIP_1) | instid1(VALU_DEP_2)
	v_dual_cndmask_b32 v1, v2, v1, s0 :: v_dual_add_nc_u32 v2, s2, v0
	v_add_nc_u32_e32 v0, 0x100, v0
	v_and_b32_e32 v1, 1, v1
	global_store_b8 v2, v1, s[4:5]
	s_wait_xcnt 0x0
	s_or_b32 exec_lo, exec_lo, s3
	s_delay_alu instid0(SALU_CYCLE_1)
	s_mov_b32 s3, exec_lo
	v_cmpx_gt_i32_e64 s1, v0
	s_cbranch_execz .LBB179_47
.LBB179_64:
	s_wait_loadcnt 0x0
	v_cmp_eq_f16_e32 vcc_lo, v10, v28
	v_cndmask_b32_e64 v1, 0, 1, vcc_lo
	v_cmp_neq_f16_e32 vcc_lo, v10, v28
	v_cndmask_b32_e64 v2, 0, 1, vcc_lo
	s_delay_alu instid0(VALU_DEP_1) | instskip(SKIP_1) | instid1(VALU_DEP_2)
	v_dual_cndmask_b32 v1, v2, v1, s0 :: v_dual_add_nc_u32 v2, s2, v0
	v_add_nc_u32_e32 v0, 0x100, v0
	v_and_b32_e32 v1, 1, v1
	global_store_b8 v2, v1, s[4:5]
	s_wait_xcnt 0x0
	s_or_b32 exec_lo, exec_lo, s3
	s_delay_alu instid0(SALU_CYCLE_1)
	s_mov_b32 s3, exec_lo
	v_cmpx_gt_i32_e64 s1, v0
	s_cbranch_execz .LBB179_48
.LBB179_65:
	s_wait_loadcnt 0x0
	v_cmp_eq_f16_e32 vcc_lo, v29, v30
	v_cndmask_b32_e64 v1, 0, 1, vcc_lo
	v_cmp_neq_f16_e32 vcc_lo, v29, v30
	v_cndmask_b32_e64 v2, 0, 1, vcc_lo
	s_delay_alu instid0(VALU_DEP_1) | instskip(SKIP_1) | instid1(VALU_DEP_2)
	v_dual_cndmask_b32 v1, v2, v1, s0 :: v_dual_add_nc_u32 v2, s2, v0
	v_add_nc_u32_e32 v0, 0x100, v0
	v_and_b32_e32 v1, 1, v1
	global_store_b8 v2, v1, s[4:5]
	s_wait_xcnt 0x0
	s_or_b32 exec_lo, exec_lo, s3
	s_delay_alu instid0(SALU_CYCLE_1)
	s_mov_b32 s3, exec_lo
	v_cmpx_gt_i32_e64 s1, v0
	s_cbranch_execz .LBB179_49
.LBB179_66:
	s_wait_loadcnt 0x0
	v_cmp_eq_f16_e32 vcc_lo, v14, v31
	v_cndmask_b32_e64 v1, 0, 1, vcc_lo
	v_cmp_neq_f16_e32 vcc_lo, v14, v31
	v_cndmask_b32_e64 v2, 0, 1, vcc_lo
	s_delay_alu instid0(VALU_DEP_1) | instskip(SKIP_1) | instid1(VALU_DEP_2)
	v_dual_cndmask_b32 v1, v2, v1, s0 :: v_dual_add_nc_u32 v2, s2, v0
	v_add_nc_u32_e32 v0, 0x100, v0
	v_and_b32_e32 v1, 1, v1
	global_store_b8 v2, v1, s[4:5]
	s_wait_xcnt 0x0
	s_or_b32 exec_lo, exec_lo, s3
	s_delay_alu instid0(SALU_CYCLE_1)
	s_mov_b32 s3, exec_lo
	v_cmpx_gt_i32_e64 s1, v0
	s_cbranch_execz .LBB179_50
.LBB179_67:
	s_wait_loadcnt 0x0
	v_cmp_eq_f16_e32 vcc_lo, v32, v33
	v_cndmask_b32_e64 v1, 0, 1, vcc_lo
	v_cmp_neq_f16_e32 vcc_lo, v32, v33
	v_cndmask_b32_e64 v2, 0, 1, vcc_lo
	s_delay_alu instid0(VALU_DEP_1) | instskip(SKIP_1) | instid1(VALU_DEP_2)
	v_dual_cndmask_b32 v1, v2, v1, s0 :: v_dual_add_nc_u32 v2, s2, v0
	v_add_nc_u32_e32 v0, 0x100, v0
	v_and_b32_e32 v1, 1, v1
	global_store_b8 v2, v1, s[4:5]
	s_wait_xcnt 0x0
	s_or_b32 exec_lo, exec_lo, s3
	v_cmp_gt_i32_e32 vcc_lo, s1, v0
	s_and_saveexec_b32 s1, vcc_lo
	s_cbranch_execnz .LBB179_51
	s_branch .LBB179_52
	.section	.rodata,"a",@progbits
	.p2align	6, 0x0
	.amdhsa_kernel _ZN2at6native29vectorized_elementwise_kernelILi2ENS0_13BinaryFunctorIN3c104HalfES4_bNS0_12_GLOBAL__N_116CompareEqFunctorIS4_EEEESt5arrayIPcLm3EEEEviT0_T1_
		.amdhsa_group_segment_fixed_size 0
		.amdhsa_private_segment_fixed_size 0
		.amdhsa_kernarg_size 32
		.amdhsa_user_sgpr_count 2
		.amdhsa_user_sgpr_dispatch_ptr 0
		.amdhsa_user_sgpr_queue_ptr 0
		.amdhsa_user_sgpr_kernarg_segment_ptr 1
		.amdhsa_user_sgpr_dispatch_id 0
		.amdhsa_user_sgpr_kernarg_preload_length 0
		.amdhsa_user_sgpr_kernarg_preload_offset 0
		.amdhsa_user_sgpr_private_segment_size 0
		.amdhsa_wavefront_size32 1
		.amdhsa_uses_dynamic_stack 0
		.amdhsa_enable_private_segment 0
		.amdhsa_system_sgpr_workgroup_id_x 1
		.amdhsa_system_sgpr_workgroup_id_y 0
		.amdhsa_system_sgpr_workgroup_id_z 0
		.amdhsa_system_sgpr_workgroup_info 0
		.amdhsa_system_vgpr_workitem_id 0
		.amdhsa_next_free_vgpr 36
		.amdhsa_next_free_sgpr 16
		.amdhsa_named_barrier_count 0
		.amdhsa_reserve_vcc 1
		.amdhsa_float_round_mode_32 0
		.amdhsa_float_round_mode_16_64 0
		.amdhsa_float_denorm_mode_32 3
		.amdhsa_float_denorm_mode_16_64 3
		.amdhsa_fp16_overflow 0
		.amdhsa_memory_ordered 1
		.amdhsa_forward_progress 1
		.amdhsa_inst_pref_size 35
		.amdhsa_round_robin_scheduling 0
		.amdhsa_exception_fp_ieee_invalid_op 0
		.amdhsa_exception_fp_denorm_src 0
		.amdhsa_exception_fp_ieee_div_zero 0
		.amdhsa_exception_fp_ieee_overflow 0
		.amdhsa_exception_fp_ieee_underflow 0
		.amdhsa_exception_fp_ieee_inexact 0
		.amdhsa_exception_int_div_zero 0
	.end_amdhsa_kernel
	.section	.text._ZN2at6native29vectorized_elementwise_kernelILi2ENS0_13BinaryFunctorIN3c104HalfES4_bNS0_12_GLOBAL__N_116CompareEqFunctorIS4_EEEESt5arrayIPcLm3EEEEviT0_T1_,"axG",@progbits,_ZN2at6native29vectorized_elementwise_kernelILi2ENS0_13BinaryFunctorIN3c104HalfES4_bNS0_12_GLOBAL__N_116CompareEqFunctorIS4_EEEESt5arrayIPcLm3EEEEviT0_T1_,comdat
.Lfunc_end179:
	.size	_ZN2at6native29vectorized_elementwise_kernelILi2ENS0_13BinaryFunctorIN3c104HalfES4_bNS0_12_GLOBAL__N_116CompareEqFunctorIS4_EEEESt5arrayIPcLm3EEEEviT0_T1_, .Lfunc_end179-_ZN2at6native29vectorized_elementwise_kernelILi2ENS0_13BinaryFunctorIN3c104HalfES4_bNS0_12_GLOBAL__N_116CompareEqFunctorIS4_EEEESt5arrayIPcLm3EEEEviT0_T1_
                                        ; -- End function
	.set _ZN2at6native29vectorized_elementwise_kernelILi2ENS0_13BinaryFunctorIN3c104HalfES4_bNS0_12_GLOBAL__N_116CompareEqFunctorIS4_EEEESt5arrayIPcLm3EEEEviT0_T1_.num_vgpr, 36
	.set _ZN2at6native29vectorized_elementwise_kernelILi2ENS0_13BinaryFunctorIN3c104HalfES4_bNS0_12_GLOBAL__N_116CompareEqFunctorIS4_EEEESt5arrayIPcLm3EEEEviT0_T1_.num_agpr, 0
	.set _ZN2at6native29vectorized_elementwise_kernelILi2ENS0_13BinaryFunctorIN3c104HalfES4_bNS0_12_GLOBAL__N_116CompareEqFunctorIS4_EEEESt5arrayIPcLm3EEEEviT0_T1_.numbered_sgpr, 16
	.set _ZN2at6native29vectorized_elementwise_kernelILi2ENS0_13BinaryFunctorIN3c104HalfES4_bNS0_12_GLOBAL__N_116CompareEqFunctorIS4_EEEESt5arrayIPcLm3EEEEviT0_T1_.num_named_barrier, 0
	.set _ZN2at6native29vectorized_elementwise_kernelILi2ENS0_13BinaryFunctorIN3c104HalfES4_bNS0_12_GLOBAL__N_116CompareEqFunctorIS4_EEEESt5arrayIPcLm3EEEEviT0_T1_.private_seg_size, 0
	.set _ZN2at6native29vectorized_elementwise_kernelILi2ENS0_13BinaryFunctorIN3c104HalfES4_bNS0_12_GLOBAL__N_116CompareEqFunctorIS4_EEEESt5arrayIPcLm3EEEEviT0_T1_.uses_vcc, 1
	.set _ZN2at6native29vectorized_elementwise_kernelILi2ENS0_13BinaryFunctorIN3c104HalfES4_bNS0_12_GLOBAL__N_116CompareEqFunctorIS4_EEEESt5arrayIPcLm3EEEEviT0_T1_.uses_flat_scratch, 0
	.set _ZN2at6native29vectorized_elementwise_kernelILi2ENS0_13BinaryFunctorIN3c104HalfES4_bNS0_12_GLOBAL__N_116CompareEqFunctorIS4_EEEESt5arrayIPcLm3EEEEviT0_T1_.has_dyn_sized_stack, 0
	.set _ZN2at6native29vectorized_elementwise_kernelILi2ENS0_13BinaryFunctorIN3c104HalfES4_bNS0_12_GLOBAL__N_116CompareEqFunctorIS4_EEEESt5arrayIPcLm3EEEEviT0_T1_.has_recursion, 0
	.set _ZN2at6native29vectorized_elementwise_kernelILi2ENS0_13BinaryFunctorIN3c104HalfES4_bNS0_12_GLOBAL__N_116CompareEqFunctorIS4_EEEESt5arrayIPcLm3EEEEviT0_T1_.has_indirect_call, 0
	.section	.AMDGPU.csdata,"",@progbits
; Kernel info:
; codeLenInByte = 4460
; TotalNumSgprs: 18
; NumVgprs: 36
; ScratchSize: 0
; MemoryBound: 0
; FloatMode: 240
; IeeeMode: 1
; LDSByteSize: 0 bytes/workgroup (compile time only)
; SGPRBlocks: 0
; VGPRBlocks: 2
; NumSGPRsForWavesPerEU: 18
; NumVGPRsForWavesPerEU: 36
; NamedBarCnt: 0
; Occupancy: 16
; WaveLimiterHint : 1
; COMPUTE_PGM_RSRC2:SCRATCH_EN: 0
; COMPUTE_PGM_RSRC2:USER_SGPR: 2
; COMPUTE_PGM_RSRC2:TRAP_HANDLER: 0
; COMPUTE_PGM_RSRC2:TGID_X_EN: 1
; COMPUTE_PGM_RSRC2:TGID_Y_EN: 0
; COMPUTE_PGM_RSRC2:TGID_Z_EN: 0
; COMPUTE_PGM_RSRC2:TIDIG_COMP_CNT: 0
	.section	.text._ZN2at6native27unrolled_elementwise_kernelINS0_13BinaryFunctorIN3c104HalfES4_bNS0_12_GLOBAL__N_116CompareEqFunctorIS4_EEEESt5arrayIPcLm3EELi4E23TrivialOffsetCalculatorILi2EjESC_ILi1EjENS0_6memory15LoadWithoutCastENSF_16StoreWithoutCastEEEviT_T0_T2_T3_T4_T5_,"axG",@progbits,_ZN2at6native27unrolled_elementwise_kernelINS0_13BinaryFunctorIN3c104HalfES4_bNS0_12_GLOBAL__N_116CompareEqFunctorIS4_EEEESt5arrayIPcLm3EELi4E23TrivialOffsetCalculatorILi2EjESC_ILi1EjENS0_6memory15LoadWithoutCastENSF_16StoreWithoutCastEEEviT_T0_T2_T3_T4_T5_,comdat
	.globl	_ZN2at6native27unrolled_elementwise_kernelINS0_13BinaryFunctorIN3c104HalfES4_bNS0_12_GLOBAL__N_116CompareEqFunctorIS4_EEEESt5arrayIPcLm3EELi4E23TrivialOffsetCalculatorILi2EjESC_ILi1EjENS0_6memory15LoadWithoutCastENSF_16StoreWithoutCastEEEviT_T0_T2_T3_T4_T5_ ; -- Begin function _ZN2at6native27unrolled_elementwise_kernelINS0_13BinaryFunctorIN3c104HalfES4_bNS0_12_GLOBAL__N_116CompareEqFunctorIS4_EEEESt5arrayIPcLm3EELi4E23TrivialOffsetCalculatorILi2EjESC_ILi1EjENS0_6memory15LoadWithoutCastENSF_16StoreWithoutCastEEEviT_T0_T2_T3_T4_T5_
	.p2align	8
	.type	_ZN2at6native27unrolled_elementwise_kernelINS0_13BinaryFunctorIN3c104HalfES4_bNS0_12_GLOBAL__N_116CompareEqFunctorIS4_EEEESt5arrayIPcLm3EELi4E23TrivialOffsetCalculatorILi2EjESC_ILi1EjENS0_6memory15LoadWithoutCastENSF_16StoreWithoutCastEEEviT_T0_T2_T3_T4_T5_,@function
_ZN2at6native27unrolled_elementwise_kernelINS0_13BinaryFunctorIN3c104HalfES4_bNS0_12_GLOBAL__N_116CompareEqFunctorIS4_EEEESt5arrayIPcLm3EELi4E23TrivialOffsetCalculatorILi2EjESC_ILi1EjENS0_6memory15LoadWithoutCastENSF_16StoreWithoutCastEEEviT_T0_T2_T3_T4_T5_: ; @_ZN2at6native27unrolled_elementwise_kernelINS0_13BinaryFunctorIN3c104HalfES4_bNS0_12_GLOBAL__N_116CompareEqFunctorIS4_EEEESt5arrayIPcLm3EELi4E23TrivialOffsetCalculatorILi2EjESC_ILi1EjENS0_6memory15LoadWithoutCastENSF_16StoreWithoutCastEEEviT_T0_T2_T3_T4_T5_
; %bb.0:
	s_load_b64 s[2:3], s[0:1], 0x0
	s_bfe_u32 s11, ttmp6, 0x4000c
	s_clause 0x1
	s_load_b128 s[4:7], s[0:1], 0x8
	s_load_b64 s[8:9], s[0:1], 0x18
	s_add_co_i32 s11, s11, 1
	s_and_b32 s10, ttmp6, 15
	s_wait_xcnt 0x0
	s_mul_i32 s1, ttmp9, s11
	s_getreg_b32 s0, hwreg(HW_REG_IB_STS2, 6, 4)
	s_add_co_i32 s10, s10, s1
	s_cmp_eq_u32 s0, 0
	v_dual_mov_b32 v3, 0 :: v_dual_mov_b32 v4, 0
	s_cselect_b32 s0, ttmp9, s10
	v_or_b32_e32 v1, 0x100, v0
	s_lshl_b32 s10, s0, 10
	s_delay_alu instid0(SALU_CYCLE_1) | instskip(SKIP_3) | instid1(SALU_CYCLE_1)
	v_dual_mov_b32 v5, 0 :: v_dual_bitop2_b32 v2, s10, v0 bitop3:0x54
	v_mov_b32_e32 v9, v0
	s_wait_kmcnt 0x0
	s_sub_co_i32 s2, s2, s10
	v_cmp_gt_i32_e32 vcc_lo, s2, v0
	s_and_saveexec_b32 s0, vcc_lo
	s_cbranch_execz .LBB180_2
; %bb.1:
	s_clause 0x1
	global_load_u16 v4, v2, s[6:7] scale_offset
	global_load_u16 v5, v2, s[8:9] scale_offset
	v_or_b32_e32 v9, 0x100, v0
.LBB180_2:
	s_wait_xcnt 0x0
	s_or_b32 exec_lo, exec_lo, s0
	v_mov_b32_e32 v7, 0
	s_mov_b32 s1, exec_lo
	v_cmpx_gt_i32_e64 s2, v9
	s_cbranch_execz .LBB180_4
; %bb.3:
	v_add_nc_u32_e32 v6, s10, v9
	v_add_nc_u32_e32 v9, 0x100, v9
	s_clause 0x1
	global_load_u16 v3, v6, s[6:7] scale_offset
	global_load_u16 v7, v6, s[8:9] scale_offset
.LBB180_4:
	s_wait_xcnt 0x0
	s_or_b32 exec_lo, exec_lo, s1
	v_dual_mov_b32 v6, 0 :: v_dual_mov_b32 v8, 0
	v_mov_b32_e32 v10, 0
	s_mov_b32 s1, exec_lo
	v_cmpx_gt_i32_e64 s2, v9
	s_cbranch_execz .LBB180_6
; %bb.5:
	v_add_nc_u32_e32 v11, s10, v9
	v_add_nc_u32_e32 v9, 0x100, v9
	s_clause 0x1
	global_load_u16 v8, v11, s[6:7] scale_offset
	global_load_u16 v10, v11, s[8:9] scale_offset
.LBB180_6:
	s_wait_xcnt 0x0
	s_or_b32 exec_lo, exec_lo, s1
	v_mov_b32_e32 v11, 0
	s_mov_b32 s1, exec_lo
	v_cmpx_gt_i32_e64 s2, v9
	s_cbranch_execz .LBB180_8
; %bb.7:
	v_add_nc_u32_e32 v9, s10, v9
	s_clause 0x1
	global_load_u16 v6, v9, s[6:7] scale_offset
	global_load_u16 v11, v9, s[8:9] scale_offset
.LBB180_8:
	s_wait_xcnt 0x0
	s_or_b32 exec_lo, exec_lo, s1
	s_wait_loadcnt 0x0
	v_cmp_eq_f16_e64 s0, v4, v5
	s_cmp_eq_u32 s3, 0
	v_cmp_eq_f16_e64 s1, v8, v10
	v_cndmask_b32_e64 v9, 0, 1, s0
	v_cmp_neq_f16_e64 s0, v4, v5
	s_delay_alu instid0(VALU_DEP_1) | instskip(SKIP_1) | instid1(VALU_DEP_1)
	v_cndmask_b32_e64 v4, 0, 1, s0
	v_cmp_eq_f16_e64 s0, v3, v7
	v_cndmask_b32_e64 v5, 0, 1, s0
	v_cmp_neq_f16_e64 s0, v3, v7
	v_cndmask_b32_e64 v7, 0, 1, s1
	v_cmp_neq_f16_e64 s1, v8, v10
	s_delay_alu instid0(VALU_DEP_3) | instskip(SKIP_3) | instid1(VALU_DEP_3)
	v_cndmask_b32_e64 v3, 0, 1, s0
	s_cselect_b32 s0, -1, 0
	v_cndmask_b32_e64 v8, 0, 1, s1
	v_cmp_eq_f16_e64 s1, v6, v11
	v_cndmask_b32_e64 v3, v3, v5, s0
	v_cndmask_b32_e64 v4, v4, v9, s0
	v_cndmask_b32_e64 v5, 0, 1, vcc_lo
	s_delay_alu instid0(VALU_DEP_3) | instskip(NEXT) | instid1(VALU_DEP_2)
	v_and_b32_e32 v3, 1, v3
	v_dual_cndmask_b32 v5, v8, v7, s0 :: v_dual_bitop2_b32 v4, v5, v4 bitop3:0x40
	v_cndmask_b32_e64 v7, 0, 1, s1
	s_delay_alu instid0(VALU_DEP_3) | instskip(SKIP_1) | instid1(VALU_DEP_2)
	v_lshlrev_b16 v3, 8, v3
	v_cmp_gt_i32_e64 s1, s2, v1
	v_or_b32_e32 v3, v4, v3
	s_delay_alu instid0(VALU_DEP_1) | instskip(NEXT) | instid1(VALU_DEP_1)
	v_and_b32_e32 v3, 0xffff, v3
	v_cndmask_b32_e64 v3, v4, v3, s1
	v_cmp_neq_f16_e64 s1, v6, v11
	v_or_b32_e32 v6, 0x200, v0
	s_delay_alu instid0(VALU_DEP_2) | instskip(NEXT) | instid1(VALU_DEP_1)
	v_cndmask_b32_e64 v4, 0, 1, s1
	v_cndmask_b32_e64 v4, v4, v7, s0
	s_delay_alu instid0(VALU_DEP_3) | instskip(NEXT) | instid1(VALU_DEP_2)
	v_cmp_gt_i32_e64 s0, s2, v6
	v_and_b32_e32 v4, 1, v4
	v_and_b32_e32 v5, 1, v5
	s_delay_alu instid0(VALU_DEP_2) | instskip(NEXT) | instid1(VALU_DEP_2)
	v_lshlrev_b16 v4, 8, v4
	v_lshlrev_b32_e32 v5, 16, v5
	s_delay_alu instid0(VALU_DEP_1) | instskip(NEXT) | instid1(VALU_DEP_1)
	v_or_b32_e32 v5, v3, v5
	v_cndmask_b32_e64 v3, v3, v5, s0
	s_delay_alu instid0(VALU_DEP_1) | instskip(NEXT) | instid1(VALU_DEP_1)
	v_lshrrev_b32_e32 v5, 16, v3
	v_bitop3_b16 v4, v5, v4, 0xff bitop3:0xec
	v_or_b32_e32 v5, 0x300, v0
	s_delay_alu instid0(VALU_DEP_2) | instskip(NEXT) | instid1(VALU_DEP_2)
	v_lshlrev_b32_e32 v4, 16, v4
	v_cmp_gt_i32_e64 s0, s2, v5
	s_delay_alu instid0(VALU_DEP_2) | instskip(NEXT) | instid1(VALU_DEP_1)
	v_and_or_b32 v4, 0xffff, v3, v4
	v_cndmask_b32_e64 v3, v3, v4, s0
	s_and_saveexec_b32 s0, vcc_lo
	s_cbranch_execnz .LBB180_13
; %bb.9:
	s_or_b32 exec_lo, exec_lo, s0
	s_delay_alu instid0(SALU_CYCLE_1)
	s_mov_b32 s0, exec_lo
	v_cmpx_gt_i32_e64 s2, v0
	s_cbranch_execnz .LBB180_14
.LBB180_10:
	s_or_b32 exec_lo, exec_lo, s0
	s_delay_alu instid0(SALU_CYCLE_1)
	s_mov_b32 s0, exec_lo
	v_cmpx_gt_i32_e64 s2, v0
	s_cbranch_execnz .LBB180_15
.LBB180_11:
	s_or_b32 exec_lo, exec_lo, s0
	s_delay_alu instid0(SALU_CYCLE_1)
	s_mov_b32 s0, exec_lo
	v_cmpx_gt_i32_e64 s2, v0
	s_cbranch_execnz .LBB180_16
.LBB180_12:
	s_endpgm
.LBB180_13:
	v_mov_b32_e32 v0, v1
	global_store_b8 v2, v3, s[4:5]
	s_wait_xcnt 0x0
	s_or_b32 exec_lo, exec_lo, s0
	s_delay_alu instid0(SALU_CYCLE_1)
	s_mov_b32 s0, exec_lo
	v_cmpx_gt_i32_e64 s2, v0
	s_cbranch_execz .LBB180_10
.LBB180_14:
	v_add_nc_u32_e32 v1, 0x100, v0
	v_dual_add_nc_u32 v2, s10, v0 :: v_dual_lshrrev_b32 v4, 8, v3
	s_delay_alu instid0(VALU_DEP_2) | instskip(SKIP_3) | instid1(SALU_CYCLE_1)
	v_mov_b32_e32 v0, v1
	global_store_b8 v2, v4, s[4:5]
	s_wait_xcnt 0x0
	s_or_b32 exec_lo, exec_lo, s0
	s_mov_b32 s0, exec_lo
	v_cmpx_gt_i32_e64 s2, v0
	s_cbranch_execz .LBB180_11
.LBB180_15:
	v_add_nc_u32_e32 v1, 0x100, v0
	s_delay_alu instid0(VALU_DEP_1) | instskip(SKIP_3) | instid1(SALU_CYCLE_1)
	v_dual_add_nc_u32 v2, s10, v0 :: v_dual_mov_b32 v0, v1
	global_store_d16_hi_b8 v2, v3, s[4:5]
	s_wait_xcnt 0x0
	s_or_b32 exec_lo, exec_lo, s0
	s_mov_b32 s0, exec_lo
	v_cmpx_gt_i32_e64 s2, v0
	s_cbranch_execz .LBB180_12
.LBB180_16:
	v_dual_add_nc_u32 v0, s10, v0 :: v_dual_lshrrev_b32 v1, 24, v3
	global_store_b8 v0, v1, s[4:5]
	s_endpgm
	.section	.rodata,"a",@progbits
	.p2align	6, 0x0
	.amdhsa_kernel _ZN2at6native27unrolled_elementwise_kernelINS0_13BinaryFunctorIN3c104HalfES4_bNS0_12_GLOBAL__N_116CompareEqFunctorIS4_EEEESt5arrayIPcLm3EELi4E23TrivialOffsetCalculatorILi2EjESC_ILi1EjENS0_6memory15LoadWithoutCastENSF_16StoreWithoutCastEEEviT_T0_T2_T3_T4_T5_
		.amdhsa_group_segment_fixed_size 0
		.amdhsa_private_segment_fixed_size 0
		.amdhsa_kernarg_size 36
		.amdhsa_user_sgpr_count 2
		.amdhsa_user_sgpr_dispatch_ptr 0
		.amdhsa_user_sgpr_queue_ptr 0
		.amdhsa_user_sgpr_kernarg_segment_ptr 1
		.amdhsa_user_sgpr_dispatch_id 0
		.amdhsa_user_sgpr_kernarg_preload_length 0
		.amdhsa_user_sgpr_kernarg_preload_offset 0
		.amdhsa_user_sgpr_private_segment_size 0
		.amdhsa_wavefront_size32 1
		.amdhsa_uses_dynamic_stack 0
		.amdhsa_enable_private_segment 0
		.amdhsa_system_sgpr_workgroup_id_x 1
		.amdhsa_system_sgpr_workgroup_id_y 0
		.amdhsa_system_sgpr_workgroup_id_z 0
		.amdhsa_system_sgpr_workgroup_info 0
		.amdhsa_system_vgpr_workitem_id 0
		.amdhsa_next_free_vgpr 12
		.amdhsa_next_free_sgpr 12
		.amdhsa_named_barrier_count 0
		.amdhsa_reserve_vcc 1
		.amdhsa_float_round_mode_32 0
		.amdhsa_float_round_mode_16_64 0
		.amdhsa_float_denorm_mode_32 3
		.amdhsa_float_denorm_mode_16_64 3
		.amdhsa_fp16_overflow 0
		.amdhsa_memory_ordered 1
		.amdhsa_forward_progress 1
		.amdhsa_inst_pref_size 9
		.amdhsa_round_robin_scheduling 0
		.amdhsa_exception_fp_ieee_invalid_op 0
		.amdhsa_exception_fp_denorm_src 0
		.amdhsa_exception_fp_ieee_div_zero 0
		.amdhsa_exception_fp_ieee_overflow 0
		.amdhsa_exception_fp_ieee_underflow 0
		.amdhsa_exception_fp_ieee_inexact 0
		.amdhsa_exception_int_div_zero 0
	.end_amdhsa_kernel
	.section	.text._ZN2at6native27unrolled_elementwise_kernelINS0_13BinaryFunctorIN3c104HalfES4_bNS0_12_GLOBAL__N_116CompareEqFunctorIS4_EEEESt5arrayIPcLm3EELi4E23TrivialOffsetCalculatorILi2EjESC_ILi1EjENS0_6memory15LoadWithoutCastENSF_16StoreWithoutCastEEEviT_T0_T2_T3_T4_T5_,"axG",@progbits,_ZN2at6native27unrolled_elementwise_kernelINS0_13BinaryFunctorIN3c104HalfES4_bNS0_12_GLOBAL__N_116CompareEqFunctorIS4_EEEESt5arrayIPcLm3EELi4E23TrivialOffsetCalculatorILi2EjESC_ILi1EjENS0_6memory15LoadWithoutCastENSF_16StoreWithoutCastEEEviT_T0_T2_T3_T4_T5_,comdat
.Lfunc_end180:
	.size	_ZN2at6native27unrolled_elementwise_kernelINS0_13BinaryFunctorIN3c104HalfES4_bNS0_12_GLOBAL__N_116CompareEqFunctorIS4_EEEESt5arrayIPcLm3EELi4E23TrivialOffsetCalculatorILi2EjESC_ILi1EjENS0_6memory15LoadWithoutCastENSF_16StoreWithoutCastEEEviT_T0_T2_T3_T4_T5_, .Lfunc_end180-_ZN2at6native27unrolled_elementwise_kernelINS0_13BinaryFunctorIN3c104HalfES4_bNS0_12_GLOBAL__N_116CompareEqFunctorIS4_EEEESt5arrayIPcLm3EELi4E23TrivialOffsetCalculatorILi2EjESC_ILi1EjENS0_6memory15LoadWithoutCastENSF_16StoreWithoutCastEEEviT_T0_T2_T3_T4_T5_
                                        ; -- End function
	.set _ZN2at6native27unrolled_elementwise_kernelINS0_13BinaryFunctorIN3c104HalfES4_bNS0_12_GLOBAL__N_116CompareEqFunctorIS4_EEEESt5arrayIPcLm3EELi4E23TrivialOffsetCalculatorILi2EjESC_ILi1EjENS0_6memory15LoadWithoutCastENSF_16StoreWithoutCastEEEviT_T0_T2_T3_T4_T5_.num_vgpr, 12
	.set _ZN2at6native27unrolled_elementwise_kernelINS0_13BinaryFunctorIN3c104HalfES4_bNS0_12_GLOBAL__N_116CompareEqFunctorIS4_EEEESt5arrayIPcLm3EELi4E23TrivialOffsetCalculatorILi2EjESC_ILi1EjENS0_6memory15LoadWithoutCastENSF_16StoreWithoutCastEEEviT_T0_T2_T3_T4_T5_.num_agpr, 0
	.set _ZN2at6native27unrolled_elementwise_kernelINS0_13BinaryFunctorIN3c104HalfES4_bNS0_12_GLOBAL__N_116CompareEqFunctorIS4_EEEESt5arrayIPcLm3EELi4E23TrivialOffsetCalculatorILi2EjESC_ILi1EjENS0_6memory15LoadWithoutCastENSF_16StoreWithoutCastEEEviT_T0_T2_T3_T4_T5_.numbered_sgpr, 12
	.set _ZN2at6native27unrolled_elementwise_kernelINS0_13BinaryFunctorIN3c104HalfES4_bNS0_12_GLOBAL__N_116CompareEqFunctorIS4_EEEESt5arrayIPcLm3EELi4E23TrivialOffsetCalculatorILi2EjESC_ILi1EjENS0_6memory15LoadWithoutCastENSF_16StoreWithoutCastEEEviT_T0_T2_T3_T4_T5_.num_named_barrier, 0
	.set _ZN2at6native27unrolled_elementwise_kernelINS0_13BinaryFunctorIN3c104HalfES4_bNS0_12_GLOBAL__N_116CompareEqFunctorIS4_EEEESt5arrayIPcLm3EELi4E23TrivialOffsetCalculatorILi2EjESC_ILi1EjENS0_6memory15LoadWithoutCastENSF_16StoreWithoutCastEEEviT_T0_T2_T3_T4_T5_.private_seg_size, 0
	.set _ZN2at6native27unrolled_elementwise_kernelINS0_13BinaryFunctorIN3c104HalfES4_bNS0_12_GLOBAL__N_116CompareEqFunctorIS4_EEEESt5arrayIPcLm3EELi4E23TrivialOffsetCalculatorILi2EjESC_ILi1EjENS0_6memory15LoadWithoutCastENSF_16StoreWithoutCastEEEviT_T0_T2_T3_T4_T5_.uses_vcc, 1
	.set _ZN2at6native27unrolled_elementwise_kernelINS0_13BinaryFunctorIN3c104HalfES4_bNS0_12_GLOBAL__N_116CompareEqFunctorIS4_EEEESt5arrayIPcLm3EELi4E23TrivialOffsetCalculatorILi2EjESC_ILi1EjENS0_6memory15LoadWithoutCastENSF_16StoreWithoutCastEEEviT_T0_T2_T3_T4_T5_.uses_flat_scratch, 0
	.set _ZN2at6native27unrolled_elementwise_kernelINS0_13BinaryFunctorIN3c104HalfES4_bNS0_12_GLOBAL__N_116CompareEqFunctorIS4_EEEESt5arrayIPcLm3EELi4E23TrivialOffsetCalculatorILi2EjESC_ILi1EjENS0_6memory15LoadWithoutCastENSF_16StoreWithoutCastEEEviT_T0_T2_T3_T4_T5_.has_dyn_sized_stack, 0
	.set _ZN2at6native27unrolled_elementwise_kernelINS0_13BinaryFunctorIN3c104HalfES4_bNS0_12_GLOBAL__N_116CompareEqFunctorIS4_EEEESt5arrayIPcLm3EELi4E23TrivialOffsetCalculatorILi2EjESC_ILi1EjENS0_6memory15LoadWithoutCastENSF_16StoreWithoutCastEEEviT_T0_T2_T3_T4_T5_.has_recursion, 0
	.set _ZN2at6native27unrolled_elementwise_kernelINS0_13BinaryFunctorIN3c104HalfES4_bNS0_12_GLOBAL__N_116CompareEqFunctorIS4_EEEESt5arrayIPcLm3EELi4E23TrivialOffsetCalculatorILi2EjESC_ILi1EjENS0_6memory15LoadWithoutCastENSF_16StoreWithoutCastEEEviT_T0_T2_T3_T4_T5_.has_indirect_call, 0
	.section	.AMDGPU.csdata,"",@progbits
; Kernel info:
; codeLenInByte = 1036
; TotalNumSgprs: 14
; NumVgprs: 12
; ScratchSize: 0
; MemoryBound: 0
; FloatMode: 240
; IeeeMode: 1
; LDSByteSize: 0 bytes/workgroup (compile time only)
; SGPRBlocks: 0
; VGPRBlocks: 0
; NumSGPRsForWavesPerEU: 14
; NumVGPRsForWavesPerEU: 12
; NamedBarCnt: 0
; Occupancy: 16
; WaveLimiterHint : 0
; COMPUTE_PGM_RSRC2:SCRATCH_EN: 0
; COMPUTE_PGM_RSRC2:USER_SGPR: 2
; COMPUTE_PGM_RSRC2:TRAP_HANDLER: 0
; COMPUTE_PGM_RSRC2:TGID_X_EN: 1
; COMPUTE_PGM_RSRC2:TGID_Y_EN: 0
; COMPUTE_PGM_RSRC2:TGID_Z_EN: 0
; COMPUTE_PGM_RSRC2:TIDIG_COMP_CNT: 0
	.section	.text._ZN2at6native32elementwise_kernel_manual_unrollILi128ELi8EZNS0_22gpu_kernel_impl_nocastINS0_13BinaryFunctorIN3c104HalfES5_bNS0_12_GLOBAL__N_116CompareEqFunctorIS5_EEEEEEvRNS_18TensorIteratorBaseERKT_EUlibE_EEviT1_,"axG",@progbits,_ZN2at6native32elementwise_kernel_manual_unrollILi128ELi8EZNS0_22gpu_kernel_impl_nocastINS0_13BinaryFunctorIN3c104HalfES5_bNS0_12_GLOBAL__N_116CompareEqFunctorIS5_EEEEEEvRNS_18TensorIteratorBaseERKT_EUlibE_EEviT1_,comdat
	.globl	_ZN2at6native32elementwise_kernel_manual_unrollILi128ELi8EZNS0_22gpu_kernel_impl_nocastINS0_13BinaryFunctorIN3c104HalfES5_bNS0_12_GLOBAL__N_116CompareEqFunctorIS5_EEEEEEvRNS_18TensorIteratorBaseERKT_EUlibE_EEviT1_ ; -- Begin function _ZN2at6native32elementwise_kernel_manual_unrollILi128ELi8EZNS0_22gpu_kernel_impl_nocastINS0_13BinaryFunctorIN3c104HalfES5_bNS0_12_GLOBAL__N_116CompareEqFunctorIS5_EEEEEEvRNS_18TensorIteratorBaseERKT_EUlibE_EEviT1_
	.p2align	8
	.type	_ZN2at6native32elementwise_kernel_manual_unrollILi128ELi8EZNS0_22gpu_kernel_impl_nocastINS0_13BinaryFunctorIN3c104HalfES5_bNS0_12_GLOBAL__N_116CompareEqFunctorIS5_EEEEEEvRNS_18TensorIteratorBaseERKT_EUlibE_EEviT1_,@function
_ZN2at6native32elementwise_kernel_manual_unrollILi128ELi8EZNS0_22gpu_kernel_impl_nocastINS0_13BinaryFunctorIN3c104HalfES5_bNS0_12_GLOBAL__N_116CompareEqFunctorIS5_EEEEEEvRNS_18TensorIteratorBaseERKT_EUlibE_EEviT1_: ; @_ZN2at6native32elementwise_kernel_manual_unrollILi128ELi8EZNS0_22gpu_kernel_impl_nocastINS0_13BinaryFunctorIN3c104HalfES5_bNS0_12_GLOBAL__N_116CompareEqFunctorIS5_EEEEEEvRNS_18TensorIteratorBaseERKT_EUlibE_EEviT1_
; %bb.0:
	s_clause 0x1
	s_load_b32 s26, s[0:1], 0x8
	s_load_b32 s33, s[0:1], 0x0
	s_bfe_u32 s2, ttmp6, 0x4000c
	s_and_b32 s3, ttmp6, 15
	s_add_co_i32 s2, s2, 1
	s_getreg_b32 s4, hwreg(HW_REG_IB_STS2, 6, 4)
	s_mul_i32 s2, ttmp9, s2
	s_add_nc_u64 s[20:21], s[0:1], 8
	s_add_co_i32 s3, s3, s2
	s_cmp_eq_u32 s4, 0
	s_wait_xcnt 0x0
	s_mov_b32 s0, exec_lo
	s_cselect_b32 s2, ttmp9, s3
	s_mov_b32 s3, 0
	v_lshl_or_b32 v0, s2, 10, v0
	s_delay_alu instid0(VALU_DEP_1) | instskip(SKIP_2) | instid1(SALU_CYCLE_1)
	v_or_b32_e32 v4, 0x380, v0
	s_wait_kmcnt 0x0
	s_add_co_i32 s27, s26, -1
	s_cmp_gt_u32 s27, 1
	s_cselect_b32 s28, -1, 0
	v_cmpx_le_i32_e64 s33, v4
	s_xor_b32 s29, exec_lo, s0
	s_cbranch_execz .LBB181_106
; %bb.1:
	s_clause 0x5
	s_load_b128 s[8:11], s[20:21], 0x4
	s_load_b64 s[0:1], s[20:21], 0x14
	s_load_b96 s[16:18], s[20:21], 0x198
	s_load_b128 s[12:15], s[20:21], 0xc4
	s_load_b64 s[22:23], s[20:21], 0xd4
	s_load_b128 s[4:7], s[20:21], 0x188
	s_cmp_lg_u32 s26, 0
	s_mov_b32 s25, s3
	s_cselect_b32 s34, -1, 0
	s_min_u32 s31, s27, 15
	s_cmp_gt_u32 s26, 1
	s_cselect_b32 s30, -1, 0
	s_wait_kmcnt 0x0
	s_mov_b32 s2, s9
	s_mov_b32 s24, s0
	s_cmp_eq_u32 s18, 0
	s_mov_b32 s9, exec_lo
	s_cselect_b32 s0, -1, 0
	v_cmpx_gt_i32_e64 s33, v0
	s_cbranch_execnz .LBB181_9
; %bb.2:
	s_or_b32 exec_lo, exec_lo, s9
	s_delay_alu instid0(SALU_CYCLE_1)
	s_mov_b32 s9, exec_lo
	v_cmpx_gt_i32_e64 s33, v0
	s_cbranch_execnz .LBB181_21
.LBB181_3:
	s_or_b32 exec_lo, exec_lo, s9
	s_delay_alu instid0(SALU_CYCLE_1)
	s_mov_b32 s9, exec_lo
	v_cmpx_gt_i32_e64 s33, v0
	s_cbranch_execnz .LBB181_33
.LBB181_4:
	s_or_b32 exec_lo, exec_lo, s9
	s_delay_alu instid0(SALU_CYCLE_1)
	s_mov_b32 s9, exec_lo
	v_cmpx_gt_i32_e64 s33, v0
	s_cbranch_execnz .LBB181_45
.LBB181_5:
	s_or_b32 exec_lo, exec_lo, s9
	s_delay_alu instid0(SALU_CYCLE_1)
	s_mov_b32 s9, exec_lo
	v_cmpx_gt_i32_e64 s33, v0
	s_cbranch_execnz .LBB181_57
.LBB181_6:
	s_or_b32 exec_lo, exec_lo, s9
	s_delay_alu instid0(SALU_CYCLE_1)
	s_mov_b32 s9, exec_lo
	v_cmpx_gt_i32_e64 s33, v0
	s_cbranch_execnz .LBB181_69
.LBB181_7:
	s_or_b32 exec_lo, exec_lo, s9
	s_delay_alu instid0(SALU_CYCLE_1)
	s_mov_b32 s9, exec_lo
	v_cmpx_gt_i32_e64 s33, v0
	s_cbranch_execnz .LBB181_81
.LBB181_8:
	s_or_b32 exec_lo, exec_lo, s9
	s_delay_alu instid0(SALU_CYCLE_1)
	s_mov_b32 s9, exec_lo
	v_cmpx_gt_i32_e64 s33, v0
	s_cbranch_execnz .LBB181_93
	s_branch .LBB181_105
.LBB181_9:
	s_and_not1_b32 vcc_lo, exec_lo, s28
	s_cbranch_vccnz .LBB181_15
; %bb.10:
	s_and_not1_b32 vcc_lo, exec_lo, s34
	s_cbranch_vccnz .LBB181_16
; %bb.11:
	v_dual_mov_b32 v4, 0 :: v_dual_mov_b32 v1, v0
	v_dual_mov_b32 v6, 0 :: v_dual_mov_b32 v5, 0
	s_add_co_i32 s35, s31, 1
	s_mov_b64 s[18:19], 0xffffffffffffffe8
	s_and_b32 s35, s35, 30
	s_add_nc_u64 s[18:19], s[20:21], s[18:19]
.LBB181_12:                             ; =>This Inner Loop Header: Depth=1
	s_clause 0x1
	s_load_b128 s[36:39], s[18:19], 0x1c
	s_load_b64 s[44:45], s[18:19], 0x2c
	s_add_co_i32 s35, s35, -2
	s_delay_alu instid0(SALU_CYCLE_1) | instskip(SKIP_2) | instid1(VALU_DEP_1)
	s_cmp_lg_u32 s35, 0
	s_wait_kmcnt 0x0
	v_mul_hi_u32 v2, s37, v1
	v_add_nc_u32_e32 v2, v1, v2
	s_delay_alu instid0(VALU_DEP_1) | instskip(NEXT) | instid1(VALU_DEP_1)
	v_lshrrev_b32_e32 v2, s38, v2
	v_mul_hi_u32 v3, s44, v2
	v_mul_lo_u32 v7, v2, s36
	s_clause 0x1
	s_load_b128 s[40:43], s[18:19], 0xdc
	s_load_b64 s[36:37], s[18:19], 0xec
	s_wait_xcnt 0x0
	s_add_nc_u64 s[18:19], s[18:19], 24
	s_delay_alu instid0(VALU_DEP_2) | instskip(NEXT) | instid1(VALU_DEP_2)
	v_add_nc_u32_e32 v3, v2, v3
	v_sub_nc_u32_e32 v7, v1, v7
	s_delay_alu instid0(VALU_DEP_2) | instskip(SKIP_1) | instid1(VALU_DEP_2)
	v_lshrrev_b32_e32 v1, s45, v3
	s_wait_kmcnt 0x0
	v_mad_u32 v4, v7, s40, v4
	s_delay_alu instid0(VALU_DEP_2) | instskip(SKIP_2) | instid1(VALU_DEP_3)
	v_mul_lo_u32 v3, v1, s39
	v_mad_u32 v5, v7, s42, v5
	v_mad_u32 v6, v7, s41, v6
	v_sub_nc_u32_e32 v2, v2, v3
	s_delay_alu instid0(VALU_DEP_1) | instskip(NEXT) | instid1(VALU_DEP_4)
	v_mad_u32 v4, v2, s43, v4
	v_mad_u32 v5, v2, s37, v5
	s_delay_alu instid0(VALU_DEP_4)
	v_mad_u32 v6, v2, s36, v6
	s_cbranch_scc1 .LBB181_12
; %bb.13:
	s_bitcmp1_b32 s31, 0
	s_cselect_b32 s35, -1, 0
	s_delay_alu instid0(SALU_CYCLE_1)
	s_and_b32 vcc_lo, exec_lo, s35
	s_cbranch_vccnz .LBB181_17
; %bb.14:
	s_clause 0x1
	s_load_b96 s[36:38], s[18:19], 0x1c
	s_load_b96 s[40:42], s[18:19], 0xdc
	s_wait_xcnt 0x0
	s_wait_kmcnt 0x0
	v_mul_hi_u32 v2, s37, v1
	s_delay_alu instid0(VALU_DEP_1) | instskip(NEXT) | instid1(VALU_DEP_1)
	v_add_nc_u32_e32 v2, v1, v2
	v_lshrrev_b32_e32 v2, s38, v2
	s_delay_alu instid0(VALU_DEP_1) | instskip(NEXT) | instid1(VALU_DEP_1)
	v_mul_lo_u32 v2, v2, s36
	v_sub_nc_u32_e32 v1, v1, v2
	s_delay_alu instid0(VALU_DEP_1)
	v_mad_u32 v4, v1, s40, v4
	v_mad_u32 v6, v1, s41, v6
	;; [unrolled: 1-line block ×3, first 2 shown]
	s_cbranch_execz .LBB181_18
	s_branch .LBB181_20
.LBB181_15:
                                        ; implicit-def: $vgpr5
                                        ; implicit-def: $vgpr6
                                        ; implicit-def: $vgpr4
	s_branch .LBB181_18
.LBB181_16:
	v_dual_mov_b32 v5, 0 :: v_dual_mov_b32 v6, 0
	v_mov_b32_e32 v4, 0
.LBB181_17:
	s_cbranch_execnz .LBB181_20
.LBB181_18:
	v_mov_b32_e32 v1, 0
	s_and_not1_b32 vcc_lo, exec_lo, s30
	s_delay_alu instid0(VALU_DEP_1) | instskip(NEXT) | instid1(VALU_DEP_1)
	v_mul_u64_e32 v[2:3], s[2:3], v[0:1]
	v_add_nc_u32_e32 v2, v0, v3
	s_delay_alu instid0(VALU_DEP_1) | instskip(NEXT) | instid1(VALU_DEP_1)
	v_lshrrev_b32_e32 v2, s10, v2
	v_mul_lo_u32 v3, v2, s8
	s_delay_alu instid0(VALU_DEP_1) | instskip(NEXT) | instid1(VALU_DEP_1)
	v_sub_nc_u32_e32 v3, v0, v3
	v_mul_lo_u32 v4, v3, s12
	v_mul_lo_u32 v5, v3, s14
	;; [unrolled: 1-line block ×3, first 2 shown]
	s_cbranch_vccnz .LBB181_20
; %bb.19:
	v_mov_b32_e32 v3, v1
	s_delay_alu instid0(VALU_DEP_1) | instskip(NEXT) | instid1(VALU_DEP_1)
	v_mul_u64_e32 v[8:9], s[24:25], v[2:3]
	v_add_nc_u32_e32 v1, v2, v9
	s_delay_alu instid0(VALU_DEP_1) | instskip(NEXT) | instid1(VALU_DEP_1)
	v_lshrrev_b32_e32 v1, s1, v1
	v_mul_lo_u32 v1, v1, s11
	s_delay_alu instid0(VALU_DEP_1) | instskip(NEXT) | instid1(VALU_DEP_1)
	v_sub_nc_u32_e32 v1, v2, v1
	v_mad_u32 v4, v1, s15, v4
	v_mad_u32 v6, v1, s22, v6
	;; [unrolled: 1-line block ×3, first 2 shown]
.LBB181_20:
	global_load_u16 v1, v6, s[6:7]
	global_load_u16 v2, v5, s[16:17]
	v_add_nc_u32_e32 v0, 0x80, v0
	s_wait_loadcnt 0x0
	v_cmp_eq_f16_e32 vcc_lo, v1, v2
	v_cndmask_b32_e64 v3, 0, 1, vcc_lo
	v_cmp_neq_f16_e32 vcc_lo, v1, v2
	v_cndmask_b32_e64 v1, 0, 1, vcc_lo
	s_delay_alu instid0(VALU_DEP_1) | instskip(NEXT) | instid1(VALU_DEP_1)
	v_cndmask_b32_e64 v1, v1, v3, s0
	v_and_b32_e32 v1, 1, v1
	global_store_b8 v4, v1, s[4:5]
	s_wait_xcnt 0x0
	s_or_b32 exec_lo, exec_lo, s9
	s_delay_alu instid0(SALU_CYCLE_1)
	s_mov_b32 s9, exec_lo
	v_cmpx_gt_i32_e64 s33, v0
	s_cbranch_execz .LBB181_3
.LBB181_21:
	s_and_not1_b32 vcc_lo, exec_lo, s28
	s_cbranch_vccnz .LBB181_27
; %bb.22:
	s_and_not1_b32 vcc_lo, exec_lo, s34
	s_cbranch_vccnz .LBB181_28
; %bb.23:
	v_dual_mov_b32 v4, 0 :: v_dual_mov_b32 v1, v0
	v_dual_mov_b32 v6, 0 :: v_dual_mov_b32 v5, 0
	s_add_co_i32 s35, s31, 1
	s_mov_b64 s[18:19], 0xffffffffffffffe8
	s_and_b32 s35, s35, 30
	s_add_nc_u64 s[18:19], s[20:21], s[18:19]
.LBB181_24:                             ; =>This Inner Loop Header: Depth=1
	s_clause 0x1
	s_load_b128 s[36:39], s[18:19], 0x1c
	s_load_b64 s[44:45], s[18:19], 0x2c
	s_add_co_i32 s35, s35, -2
	s_delay_alu instid0(SALU_CYCLE_1) | instskip(SKIP_2) | instid1(VALU_DEP_1)
	s_cmp_eq_u32 s35, 0
	s_wait_kmcnt 0x0
	v_mul_hi_u32 v2, s37, v1
	v_add_nc_u32_e32 v2, v1, v2
	s_delay_alu instid0(VALU_DEP_1) | instskip(NEXT) | instid1(VALU_DEP_1)
	v_lshrrev_b32_e32 v2, s38, v2
	v_mul_hi_u32 v3, s44, v2
	v_mul_lo_u32 v7, v2, s36
	s_clause 0x1
	s_load_b128 s[40:43], s[18:19], 0xdc
	s_load_b64 s[36:37], s[18:19], 0xec
	s_wait_xcnt 0x0
	s_add_nc_u64 s[18:19], s[18:19], 24
	s_delay_alu instid0(VALU_DEP_2) | instskip(NEXT) | instid1(VALU_DEP_2)
	v_add_nc_u32_e32 v3, v2, v3
	v_sub_nc_u32_e32 v7, v1, v7
	s_delay_alu instid0(VALU_DEP_2) | instskip(SKIP_1) | instid1(VALU_DEP_2)
	v_lshrrev_b32_e32 v1, s45, v3
	s_wait_kmcnt 0x0
	v_mad_u32 v4, v7, s40, v4
	s_delay_alu instid0(VALU_DEP_2) | instskip(SKIP_2) | instid1(VALU_DEP_3)
	v_mul_lo_u32 v3, v1, s39
	v_mad_u32 v5, v7, s42, v5
	v_mad_u32 v6, v7, s41, v6
	v_sub_nc_u32_e32 v2, v2, v3
	s_delay_alu instid0(VALU_DEP_1) | instskip(NEXT) | instid1(VALU_DEP_4)
	v_mad_u32 v4, v2, s43, v4
	v_mad_u32 v5, v2, s37, v5
	s_delay_alu instid0(VALU_DEP_4)
	v_mad_u32 v6, v2, s36, v6
	s_cbranch_scc0 .LBB181_24
; %bb.25:
	s_bitcmp1_b32 s31, 0
	s_cselect_b32 s35, -1, 0
	s_delay_alu instid0(SALU_CYCLE_1)
	s_and_b32 vcc_lo, exec_lo, s35
	s_cbranch_vccnz .LBB181_29
; %bb.26:
	s_clause 0x1
	s_load_b96 s[36:38], s[18:19], 0x1c
	s_load_b96 s[40:42], s[18:19], 0xdc
	s_wait_kmcnt 0x0
	v_mul_hi_u32 v2, s37, v1
	s_delay_alu instid0(VALU_DEP_1) | instskip(NEXT) | instid1(VALU_DEP_1)
	v_add_nc_u32_e32 v2, v1, v2
	v_lshrrev_b32_e32 v2, s38, v2
	s_delay_alu instid0(VALU_DEP_1) | instskip(NEXT) | instid1(VALU_DEP_1)
	v_mul_lo_u32 v2, v2, s36
	v_sub_nc_u32_e32 v1, v1, v2
	s_delay_alu instid0(VALU_DEP_1)
	v_mad_u32 v4, v1, s40, v4
	v_mad_u32 v6, v1, s41, v6
	;; [unrolled: 1-line block ×3, first 2 shown]
	s_branch .LBB181_29
.LBB181_27:
                                        ; implicit-def: $vgpr5
                                        ; implicit-def: $vgpr6
                                        ; implicit-def: $vgpr4
	s_branch .LBB181_30
.LBB181_28:
	v_dual_mov_b32 v5, 0 :: v_dual_mov_b32 v6, 0
	v_mov_b32_e32 v4, 0
.LBB181_29:
	s_cbranch_execnz .LBB181_32
.LBB181_30:
	v_mov_b32_e32 v1, 0
	s_and_not1_b32 vcc_lo, exec_lo, s30
	s_delay_alu instid0(VALU_DEP_1) | instskip(NEXT) | instid1(VALU_DEP_1)
	v_mul_u64_e32 v[2:3], s[2:3], v[0:1]
	v_add_nc_u32_e32 v2, v0, v3
	s_delay_alu instid0(VALU_DEP_1) | instskip(NEXT) | instid1(VALU_DEP_1)
	v_lshrrev_b32_e32 v2, s10, v2
	v_mul_lo_u32 v3, v2, s8
	s_delay_alu instid0(VALU_DEP_1) | instskip(NEXT) | instid1(VALU_DEP_1)
	v_sub_nc_u32_e32 v3, v0, v3
	v_mul_lo_u32 v4, v3, s12
	v_mul_lo_u32 v5, v3, s14
	;; [unrolled: 1-line block ×3, first 2 shown]
	s_cbranch_vccnz .LBB181_32
; %bb.31:
	v_mov_b32_e32 v3, v1
	s_delay_alu instid0(VALU_DEP_1) | instskip(NEXT) | instid1(VALU_DEP_1)
	v_mul_u64_e32 v[8:9], s[24:25], v[2:3]
	v_add_nc_u32_e32 v1, v2, v9
	s_delay_alu instid0(VALU_DEP_1) | instskip(NEXT) | instid1(VALU_DEP_1)
	v_lshrrev_b32_e32 v1, s1, v1
	v_mul_lo_u32 v1, v1, s11
	s_delay_alu instid0(VALU_DEP_1) | instskip(NEXT) | instid1(VALU_DEP_1)
	v_sub_nc_u32_e32 v1, v2, v1
	v_mad_u32 v4, v1, s15, v4
	v_mad_u32 v6, v1, s22, v6
	;; [unrolled: 1-line block ×3, first 2 shown]
.LBB181_32:
	global_load_u16 v1, v6, s[6:7]
	global_load_u16 v2, v5, s[16:17]
	v_add_nc_u32_e32 v0, 0x80, v0
	s_wait_loadcnt 0x0
	v_cmp_eq_f16_e32 vcc_lo, v1, v2
	v_cndmask_b32_e64 v3, 0, 1, vcc_lo
	v_cmp_neq_f16_e32 vcc_lo, v1, v2
	v_cndmask_b32_e64 v1, 0, 1, vcc_lo
	s_delay_alu instid0(VALU_DEP_1) | instskip(NEXT) | instid1(VALU_DEP_1)
	v_cndmask_b32_e64 v1, v1, v3, s0
	v_and_b32_e32 v1, 1, v1
	global_store_b8 v4, v1, s[4:5]
	s_wait_xcnt 0x0
	s_or_b32 exec_lo, exec_lo, s9
	s_delay_alu instid0(SALU_CYCLE_1)
	s_mov_b32 s9, exec_lo
	v_cmpx_gt_i32_e64 s33, v0
	s_cbranch_execz .LBB181_4
.LBB181_33:
	s_and_not1_b32 vcc_lo, exec_lo, s28
	s_cbranch_vccnz .LBB181_39
; %bb.34:
	s_and_not1_b32 vcc_lo, exec_lo, s34
	s_cbranch_vccnz .LBB181_40
; %bb.35:
	v_dual_mov_b32 v4, 0 :: v_dual_mov_b32 v1, v0
	v_dual_mov_b32 v6, 0 :: v_dual_mov_b32 v5, 0
	s_add_co_i32 s35, s31, 1
	s_mov_b64 s[18:19], 0xffffffffffffffe8
	s_and_b32 s35, s35, 30
	s_add_nc_u64 s[18:19], s[20:21], s[18:19]
.LBB181_36:                             ; =>This Inner Loop Header: Depth=1
	s_clause 0x1
	s_load_b128 s[36:39], s[18:19], 0x1c
	s_load_b64 s[44:45], s[18:19], 0x2c
	s_add_co_i32 s35, s35, -2
	s_delay_alu instid0(SALU_CYCLE_1) | instskip(SKIP_2) | instid1(VALU_DEP_1)
	s_cmp_eq_u32 s35, 0
	s_wait_kmcnt 0x0
	v_mul_hi_u32 v2, s37, v1
	v_add_nc_u32_e32 v2, v1, v2
	s_delay_alu instid0(VALU_DEP_1) | instskip(NEXT) | instid1(VALU_DEP_1)
	v_lshrrev_b32_e32 v2, s38, v2
	v_mul_hi_u32 v3, s44, v2
	v_mul_lo_u32 v7, v2, s36
	s_clause 0x1
	s_load_b128 s[40:43], s[18:19], 0xdc
	s_load_b64 s[36:37], s[18:19], 0xec
	s_wait_xcnt 0x0
	s_add_nc_u64 s[18:19], s[18:19], 24
	s_delay_alu instid0(VALU_DEP_2) | instskip(NEXT) | instid1(VALU_DEP_2)
	v_add_nc_u32_e32 v3, v2, v3
	v_sub_nc_u32_e32 v7, v1, v7
	s_delay_alu instid0(VALU_DEP_2) | instskip(SKIP_1) | instid1(VALU_DEP_2)
	v_lshrrev_b32_e32 v1, s45, v3
	s_wait_kmcnt 0x0
	v_mad_u32 v4, v7, s40, v4
	s_delay_alu instid0(VALU_DEP_2) | instskip(SKIP_2) | instid1(VALU_DEP_3)
	v_mul_lo_u32 v3, v1, s39
	v_mad_u32 v5, v7, s42, v5
	v_mad_u32 v6, v7, s41, v6
	v_sub_nc_u32_e32 v2, v2, v3
	s_delay_alu instid0(VALU_DEP_1) | instskip(NEXT) | instid1(VALU_DEP_4)
	v_mad_u32 v4, v2, s43, v4
	v_mad_u32 v5, v2, s37, v5
	s_delay_alu instid0(VALU_DEP_4)
	v_mad_u32 v6, v2, s36, v6
	s_cbranch_scc0 .LBB181_36
; %bb.37:
	s_bitcmp1_b32 s31, 0
	s_cselect_b32 s35, -1, 0
	s_delay_alu instid0(SALU_CYCLE_1)
	s_and_b32 vcc_lo, exec_lo, s35
	s_cbranch_vccnz .LBB181_41
; %bb.38:
	s_clause 0x1
	s_load_b96 s[36:38], s[18:19], 0x1c
	s_load_b96 s[40:42], s[18:19], 0xdc
	s_wait_kmcnt 0x0
	v_mul_hi_u32 v2, s37, v1
	s_delay_alu instid0(VALU_DEP_1) | instskip(NEXT) | instid1(VALU_DEP_1)
	v_add_nc_u32_e32 v2, v1, v2
	v_lshrrev_b32_e32 v2, s38, v2
	s_delay_alu instid0(VALU_DEP_1) | instskip(NEXT) | instid1(VALU_DEP_1)
	v_mul_lo_u32 v2, v2, s36
	v_sub_nc_u32_e32 v1, v1, v2
	s_delay_alu instid0(VALU_DEP_1)
	v_mad_u32 v4, v1, s40, v4
	v_mad_u32 v6, v1, s41, v6
	;; [unrolled: 1-line block ×3, first 2 shown]
	s_branch .LBB181_41
.LBB181_39:
                                        ; implicit-def: $vgpr5
                                        ; implicit-def: $vgpr6
                                        ; implicit-def: $vgpr4
	s_branch .LBB181_42
.LBB181_40:
	v_dual_mov_b32 v5, 0 :: v_dual_mov_b32 v6, 0
	v_mov_b32_e32 v4, 0
.LBB181_41:
	s_cbranch_execnz .LBB181_44
.LBB181_42:
	v_mov_b32_e32 v1, 0
	s_and_not1_b32 vcc_lo, exec_lo, s30
	s_delay_alu instid0(VALU_DEP_1) | instskip(NEXT) | instid1(VALU_DEP_1)
	v_mul_u64_e32 v[2:3], s[2:3], v[0:1]
	v_add_nc_u32_e32 v2, v0, v3
	s_delay_alu instid0(VALU_DEP_1) | instskip(NEXT) | instid1(VALU_DEP_1)
	v_lshrrev_b32_e32 v2, s10, v2
	v_mul_lo_u32 v3, v2, s8
	s_delay_alu instid0(VALU_DEP_1) | instskip(NEXT) | instid1(VALU_DEP_1)
	v_sub_nc_u32_e32 v3, v0, v3
	v_mul_lo_u32 v4, v3, s12
	v_mul_lo_u32 v5, v3, s14
	;; [unrolled: 1-line block ×3, first 2 shown]
	s_cbranch_vccnz .LBB181_44
; %bb.43:
	v_mov_b32_e32 v3, v1
	s_delay_alu instid0(VALU_DEP_1) | instskip(NEXT) | instid1(VALU_DEP_1)
	v_mul_u64_e32 v[8:9], s[24:25], v[2:3]
	v_add_nc_u32_e32 v1, v2, v9
	s_delay_alu instid0(VALU_DEP_1) | instskip(NEXT) | instid1(VALU_DEP_1)
	v_lshrrev_b32_e32 v1, s1, v1
	v_mul_lo_u32 v1, v1, s11
	s_delay_alu instid0(VALU_DEP_1) | instskip(NEXT) | instid1(VALU_DEP_1)
	v_sub_nc_u32_e32 v1, v2, v1
	v_mad_u32 v4, v1, s15, v4
	v_mad_u32 v6, v1, s22, v6
	;; [unrolled: 1-line block ×3, first 2 shown]
.LBB181_44:
	global_load_u16 v1, v6, s[6:7]
	global_load_u16 v2, v5, s[16:17]
	v_add_nc_u32_e32 v0, 0x80, v0
	s_wait_loadcnt 0x0
	v_cmp_eq_f16_e32 vcc_lo, v1, v2
	v_cndmask_b32_e64 v3, 0, 1, vcc_lo
	v_cmp_neq_f16_e32 vcc_lo, v1, v2
	v_cndmask_b32_e64 v1, 0, 1, vcc_lo
	s_delay_alu instid0(VALU_DEP_1) | instskip(NEXT) | instid1(VALU_DEP_1)
	v_cndmask_b32_e64 v1, v1, v3, s0
	v_and_b32_e32 v1, 1, v1
	global_store_b8 v4, v1, s[4:5]
	s_wait_xcnt 0x0
	s_or_b32 exec_lo, exec_lo, s9
	s_delay_alu instid0(SALU_CYCLE_1)
	s_mov_b32 s9, exec_lo
	v_cmpx_gt_i32_e64 s33, v0
	s_cbranch_execz .LBB181_5
.LBB181_45:
	s_and_not1_b32 vcc_lo, exec_lo, s28
	s_cbranch_vccnz .LBB181_51
; %bb.46:
	s_and_not1_b32 vcc_lo, exec_lo, s34
	s_cbranch_vccnz .LBB181_52
; %bb.47:
	v_dual_mov_b32 v4, 0 :: v_dual_mov_b32 v1, v0
	v_dual_mov_b32 v6, 0 :: v_dual_mov_b32 v5, 0
	s_add_co_i32 s35, s31, 1
	s_mov_b64 s[18:19], 0xffffffffffffffe8
	s_and_b32 s35, s35, 30
	s_add_nc_u64 s[18:19], s[20:21], s[18:19]
.LBB181_48:                             ; =>This Inner Loop Header: Depth=1
	s_clause 0x1
	s_load_b128 s[36:39], s[18:19], 0x1c
	s_load_b64 s[44:45], s[18:19], 0x2c
	s_add_co_i32 s35, s35, -2
	s_delay_alu instid0(SALU_CYCLE_1) | instskip(SKIP_2) | instid1(VALU_DEP_1)
	s_cmp_eq_u32 s35, 0
	s_wait_kmcnt 0x0
	v_mul_hi_u32 v2, s37, v1
	v_add_nc_u32_e32 v2, v1, v2
	s_delay_alu instid0(VALU_DEP_1) | instskip(NEXT) | instid1(VALU_DEP_1)
	v_lshrrev_b32_e32 v2, s38, v2
	v_mul_hi_u32 v3, s44, v2
	v_mul_lo_u32 v7, v2, s36
	s_clause 0x1
	s_load_b128 s[40:43], s[18:19], 0xdc
	s_load_b64 s[36:37], s[18:19], 0xec
	s_wait_xcnt 0x0
	s_add_nc_u64 s[18:19], s[18:19], 24
	s_delay_alu instid0(VALU_DEP_2) | instskip(NEXT) | instid1(VALU_DEP_2)
	v_add_nc_u32_e32 v3, v2, v3
	v_sub_nc_u32_e32 v7, v1, v7
	s_delay_alu instid0(VALU_DEP_2) | instskip(SKIP_1) | instid1(VALU_DEP_2)
	v_lshrrev_b32_e32 v1, s45, v3
	s_wait_kmcnt 0x0
	v_mad_u32 v4, v7, s40, v4
	s_delay_alu instid0(VALU_DEP_2) | instskip(SKIP_2) | instid1(VALU_DEP_3)
	v_mul_lo_u32 v3, v1, s39
	v_mad_u32 v5, v7, s42, v5
	v_mad_u32 v6, v7, s41, v6
	v_sub_nc_u32_e32 v2, v2, v3
	s_delay_alu instid0(VALU_DEP_1) | instskip(NEXT) | instid1(VALU_DEP_4)
	v_mad_u32 v4, v2, s43, v4
	v_mad_u32 v5, v2, s37, v5
	s_delay_alu instid0(VALU_DEP_4)
	v_mad_u32 v6, v2, s36, v6
	s_cbranch_scc0 .LBB181_48
; %bb.49:
	s_bitcmp1_b32 s31, 0
	s_cselect_b32 s35, -1, 0
	s_delay_alu instid0(SALU_CYCLE_1)
	s_and_b32 vcc_lo, exec_lo, s35
	s_cbranch_vccnz .LBB181_53
; %bb.50:
	s_clause 0x1
	s_load_b96 s[36:38], s[18:19], 0x1c
	s_load_b96 s[40:42], s[18:19], 0xdc
	s_wait_kmcnt 0x0
	v_mul_hi_u32 v2, s37, v1
	s_delay_alu instid0(VALU_DEP_1) | instskip(NEXT) | instid1(VALU_DEP_1)
	v_add_nc_u32_e32 v2, v1, v2
	v_lshrrev_b32_e32 v2, s38, v2
	s_delay_alu instid0(VALU_DEP_1) | instskip(NEXT) | instid1(VALU_DEP_1)
	v_mul_lo_u32 v2, v2, s36
	v_sub_nc_u32_e32 v1, v1, v2
	s_delay_alu instid0(VALU_DEP_1)
	v_mad_u32 v4, v1, s40, v4
	v_mad_u32 v6, v1, s41, v6
	;; [unrolled: 1-line block ×3, first 2 shown]
	s_branch .LBB181_53
.LBB181_51:
                                        ; implicit-def: $vgpr5
                                        ; implicit-def: $vgpr6
                                        ; implicit-def: $vgpr4
	s_branch .LBB181_54
.LBB181_52:
	v_dual_mov_b32 v5, 0 :: v_dual_mov_b32 v6, 0
	v_mov_b32_e32 v4, 0
.LBB181_53:
	s_cbranch_execnz .LBB181_56
.LBB181_54:
	v_mov_b32_e32 v1, 0
	s_and_not1_b32 vcc_lo, exec_lo, s30
	s_delay_alu instid0(VALU_DEP_1) | instskip(NEXT) | instid1(VALU_DEP_1)
	v_mul_u64_e32 v[2:3], s[2:3], v[0:1]
	v_add_nc_u32_e32 v2, v0, v3
	s_delay_alu instid0(VALU_DEP_1) | instskip(NEXT) | instid1(VALU_DEP_1)
	v_lshrrev_b32_e32 v2, s10, v2
	v_mul_lo_u32 v3, v2, s8
	s_delay_alu instid0(VALU_DEP_1) | instskip(NEXT) | instid1(VALU_DEP_1)
	v_sub_nc_u32_e32 v3, v0, v3
	v_mul_lo_u32 v4, v3, s12
	v_mul_lo_u32 v5, v3, s14
	;; [unrolled: 1-line block ×3, first 2 shown]
	s_cbranch_vccnz .LBB181_56
; %bb.55:
	v_mov_b32_e32 v3, v1
	s_delay_alu instid0(VALU_DEP_1) | instskip(NEXT) | instid1(VALU_DEP_1)
	v_mul_u64_e32 v[8:9], s[24:25], v[2:3]
	v_add_nc_u32_e32 v1, v2, v9
	s_delay_alu instid0(VALU_DEP_1) | instskip(NEXT) | instid1(VALU_DEP_1)
	v_lshrrev_b32_e32 v1, s1, v1
	v_mul_lo_u32 v1, v1, s11
	s_delay_alu instid0(VALU_DEP_1) | instskip(NEXT) | instid1(VALU_DEP_1)
	v_sub_nc_u32_e32 v1, v2, v1
	v_mad_u32 v4, v1, s15, v4
	v_mad_u32 v6, v1, s22, v6
	;; [unrolled: 1-line block ×3, first 2 shown]
.LBB181_56:
	global_load_u16 v1, v6, s[6:7]
	global_load_u16 v2, v5, s[16:17]
	v_add_nc_u32_e32 v0, 0x80, v0
	s_wait_loadcnt 0x0
	v_cmp_eq_f16_e32 vcc_lo, v1, v2
	v_cndmask_b32_e64 v3, 0, 1, vcc_lo
	v_cmp_neq_f16_e32 vcc_lo, v1, v2
	v_cndmask_b32_e64 v1, 0, 1, vcc_lo
	s_delay_alu instid0(VALU_DEP_1) | instskip(NEXT) | instid1(VALU_DEP_1)
	v_cndmask_b32_e64 v1, v1, v3, s0
	v_and_b32_e32 v1, 1, v1
	global_store_b8 v4, v1, s[4:5]
	s_wait_xcnt 0x0
	s_or_b32 exec_lo, exec_lo, s9
	s_delay_alu instid0(SALU_CYCLE_1)
	s_mov_b32 s9, exec_lo
	v_cmpx_gt_i32_e64 s33, v0
	s_cbranch_execz .LBB181_6
.LBB181_57:
	s_and_not1_b32 vcc_lo, exec_lo, s28
	s_cbranch_vccnz .LBB181_63
; %bb.58:
	s_and_not1_b32 vcc_lo, exec_lo, s34
	s_cbranch_vccnz .LBB181_64
; %bb.59:
	v_dual_mov_b32 v4, 0 :: v_dual_mov_b32 v1, v0
	v_dual_mov_b32 v6, 0 :: v_dual_mov_b32 v5, 0
	s_add_co_i32 s35, s31, 1
	s_mov_b64 s[18:19], 0xffffffffffffffe8
	s_and_b32 s35, s35, 30
	s_add_nc_u64 s[18:19], s[20:21], s[18:19]
.LBB181_60:                             ; =>This Inner Loop Header: Depth=1
	s_clause 0x1
	s_load_b128 s[36:39], s[18:19], 0x1c
	s_load_b64 s[44:45], s[18:19], 0x2c
	s_add_co_i32 s35, s35, -2
	s_delay_alu instid0(SALU_CYCLE_1) | instskip(SKIP_2) | instid1(VALU_DEP_1)
	s_cmp_eq_u32 s35, 0
	s_wait_kmcnt 0x0
	v_mul_hi_u32 v2, s37, v1
	v_add_nc_u32_e32 v2, v1, v2
	s_delay_alu instid0(VALU_DEP_1) | instskip(NEXT) | instid1(VALU_DEP_1)
	v_lshrrev_b32_e32 v2, s38, v2
	v_mul_hi_u32 v3, s44, v2
	v_mul_lo_u32 v7, v2, s36
	s_clause 0x1
	s_load_b128 s[40:43], s[18:19], 0xdc
	s_load_b64 s[36:37], s[18:19], 0xec
	s_wait_xcnt 0x0
	s_add_nc_u64 s[18:19], s[18:19], 24
	s_delay_alu instid0(VALU_DEP_2) | instskip(NEXT) | instid1(VALU_DEP_2)
	v_add_nc_u32_e32 v3, v2, v3
	v_sub_nc_u32_e32 v7, v1, v7
	s_delay_alu instid0(VALU_DEP_2) | instskip(SKIP_1) | instid1(VALU_DEP_2)
	v_lshrrev_b32_e32 v1, s45, v3
	s_wait_kmcnt 0x0
	v_mad_u32 v4, v7, s40, v4
	s_delay_alu instid0(VALU_DEP_2) | instskip(SKIP_2) | instid1(VALU_DEP_3)
	v_mul_lo_u32 v3, v1, s39
	v_mad_u32 v5, v7, s42, v5
	v_mad_u32 v6, v7, s41, v6
	v_sub_nc_u32_e32 v2, v2, v3
	s_delay_alu instid0(VALU_DEP_1) | instskip(NEXT) | instid1(VALU_DEP_4)
	v_mad_u32 v4, v2, s43, v4
	v_mad_u32 v5, v2, s37, v5
	s_delay_alu instid0(VALU_DEP_4)
	v_mad_u32 v6, v2, s36, v6
	s_cbranch_scc0 .LBB181_60
; %bb.61:
	s_bitcmp1_b32 s31, 0
	s_cselect_b32 s35, -1, 0
	s_delay_alu instid0(SALU_CYCLE_1)
	s_and_b32 vcc_lo, exec_lo, s35
	s_cbranch_vccnz .LBB181_65
; %bb.62:
	s_clause 0x1
	s_load_b96 s[36:38], s[18:19], 0x1c
	s_load_b96 s[40:42], s[18:19], 0xdc
	s_wait_kmcnt 0x0
	v_mul_hi_u32 v2, s37, v1
	s_delay_alu instid0(VALU_DEP_1) | instskip(NEXT) | instid1(VALU_DEP_1)
	v_add_nc_u32_e32 v2, v1, v2
	v_lshrrev_b32_e32 v2, s38, v2
	s_delay_alu instid0(VALU_DEP_1) | instskip(NEXT) | instid1(VALU_DEP_1)
	v_mul_lo_u32 v2, v2, s36
	v_sub_nc_u32_e32 v1, v1, v2
	s_delay_alu instid0(VALU_DEP_1)
	v_mad_u32 v4, v1, s40, v4
	v_mad_u32 v6, v1, s41, v6
	;; [unrolled: 1-line block ×3, first 2 shown]
	s_branch .LBB181_65
.LBB181_63:
                                        ; implicit-def: $vgpr5
                                        ; implicit-def: $vgpr6
                                        ; implicit-def: $vgpr4
	s_branch .LBB181_66
.LBB181_64:
	v_dual_mov_b32 v5, 0 :: v_dual_mov_b32 v6, 0
	v_mov_b32_e32 v4, 0
.LBB181_65:
	s_cbranch_execnz .LBB181_68
.LBB181_66:
	v_mov_b32_e32 v1, 0
	s_and_not1_b32 vcc_lo, exec_lo, s30
	s_delay_alu instid0(VALU_DEP_1) | instskip(NEXT) | instid1(VALU_DEP_1)
	v_mul_u64_e32 v[2:3], s[2:3], v[0:1]
	v_add_nc_u32_e32 v2, v0, v3
	s_delay_alu instid0(VALU_DEP_1) | instskip(NEXT) | instid1(VALU_DEP_1)
	v_lshrrev_b32_e32 v2, s10, v2
	v_mul_lo_u32 v3, v2, s8
	s_delay_alu instid0(VALU_DEP_1) | instskip(NEXT) | instid1(VALU_DEP_1)
	v_sub_nc_u32_e32 v3, v0, v3
	v_mul_lo_u32 v4, v3, s12
	v_mul_lo_u32 v5, v3, s14
	;; [unrolled: 1-line block ×3, first 2 shown]
	s_cbranch_vccnz .LBB181_68
; %bb.67:
	v_mov_b32_e32 v3, v1
	s_delay_alu instid0(VALU_DEP_1) | instskip(NEXT) | instid1(VALU_DEP_1)
	v_mul_u64_e32 v[8:9], s[24:25], v[2:3]
	v_add_nc_u32_e32 v1, v2, v9
	s_delay_alu instid0(VALU_DEP_1) | instskip(NEXT) | instid1(VALU_DEP_1)
	v_lshrrev_b32_e32 v1, s1, v1
	v_mul_lo_u32 v1, v1, s11
	s_delay_alu instid0(VALU_DEP_1) | instskip(NEXT) | instid1(VALU_DEP_1)
	v_sub_nc_u32_e32 v1, v2, v1
	v_mad_u32 v4, v1, s15, v4
	v_mad_u32 v6, v1, s22, v6
	;; [unrolled: 1-line block ×3, first 2 shown]
.LBB181_68:
	global_load_u16 v1, v6, s[6:7]
	global_load_u16 v2, v5, s[16:17]
	v_add_nc_u32_e32 v0, 0x80, v0
	s_wait_loadcnt 0x0
	v_cmp_eq_f16_e32 vcc_lo, v1, v2
	v_cndmask_b32_e64 v3, 0, 1, vcc_lo
	v_cmp_neq_f16_e32 vcc_lo, v1, v2
	v_cndmask_b32_e64 v1, 0, 1, vcc_lo
	s_delay_alu instid0(VALU_DEP_1) | instskip(NEXT) | instid1(VALU_DEP_1)
	v_cndmask_b32_e64 v1, v1, v3, s0
	v_and_b32_e32 v1, 1, v1
	global_store_b8 v4, v1, s[4:5]
	s_wait_xcnt 0x0
	s_or_b32 exec_lo, exec_lo, s9
	s_delay_alu instid0(SALU_CYCLE_1)
	s_mov_b32 s9, exec_lo
	v_cmpx_gt_i32_e64 s33, v0
	s_cbranch_execz .LBB181_7
.LBB181_69:
	s_and_not1_b32 vcc_lo, exec_lo, s28
	s_cbranch_vccnz .LBB181_75
; %bb.70:
	s_and_not1_b32 vcc_lo, exec_lo, s34
	s_cbranch_vccnz .LBB181_76
; %bb.71:
	v_dual_mov_b32 v4, 0 :: v_dual_mov_b32 v1, v0
	v_dual_mov_b32 v6, 0 :: v_dual_mov_b32 v5, 0
	s_add_co_i32 s35, s31, 1
	s_mov_b64 s[18:19], 0xffffffffffffffe8
	s_and_b32 s35, s35, 30
	s_add_nc_u64 s[18:19], s[20:21], s[18:19]
.LBB181_72:                             ; =>This Inner Loop Header: Depth=1
	s_clause 0x1
	s_load_b128 s[36:39], s[18:19], 0x1c
	s_load_b64 s[44:45], s[18:19], 0x2c
	s_add_co_i32 s35, s35, -2
	s_delay_alu instid0(SALU_CYCLE_1) | instskip(SKIP_2) | instid1(VALU_DEP_1)
	s_cmp_eq_u32 s35, 0
	s_wait_kmcnt 0x0
	v_mul_hi_u32 v2, s37, v1
	v_add_nc_u32_e32 v2, v1, v2
	s_delay_alu instid0(VALU_DEP_1) | instskip(NEXT) | instid1(VALU_DEP_1)
	v_lshrrev_b32_e32 v2, s38, v2
	v_mul_hi_u32 v3, s44, v2
	v_mul_lo_u32 v7, v2, s36
	s_clause 0x1
	s_load_b128 s[40:43], s[18:19], 0xdc
	s_load_b64 s[36:37], s[18:19], 0xec
	s_wait_xcnt 0x0
	s_add_nc_u64 s[18:19], s[18:19], 24
	s_delay_alu instid0(VALU_DEP_2) | instskip(NEXT) | instid1(VALU_DEP_2)
	v_add_nc_u32_e32 v3, v2, v3
	v_sub_nc_u32_e32 v7, v1, v7
	s_delay_alu instid0(VALU_DEP_2) | instskip(SKIP_1) | instid1(VALU_DEP_2)
	v_lshrrev_b32_e32 v1, s45, v3
	s_wait_kmcnt 0x0
	v_mad_u32 v4, v7, s40, v4
	s_delay_alu instid0(VALU_DEP_2) | instskip(SKIP_2) | instid1(VALU_DEP_3)
	v_mul_lo_u32 v3, v1, s39
	v_mad_u32 v5, v7, s42, v5
	v_mad_u32 v6, v7, s41, v6
	v_sub_nc_u32_e32 v2, v2, v3
	s_delay_alu instid0(VALU_DEP_1) | instskip(NEXT) | instid1(VALU_DEP_4)
	v_mad_u32 v4, v2, s43, v4
	v_mad_u32 v5, v2, s37, v5
	s_delay_alu instid0(VALU_DEP_4)
	v_mad_u32 v6, v2, s36, v6
	s_cbranch_scc0 .LBB181_72
; %bb.73:
	s_bitcmp1_b32 s31, 0
	s_cselect_b32 s35, -1, 0
	s_delay_alu instid0(SALU_CYCLE_1)
	s_and_b32 vcc_lo, exec_lo, s35
	s_cbranch_vccnz .LBB181_77
; %bb.74:
	s_clause 0x1
	s_load_b96 s[36:38], s[18:19], 0x1c
	s_load_b96 s[40:42], s[18:19], 0xdc
	s_wait_kmcnt 0x0
	v_mul_hi_u32 v2, s37, v1
	s_delay_alu instid0(VALU_DEP_1) | instskip(NEXT) | instid1(VALU_DEP_1)
	v_add_nc_u32_e32 v2, v1, v2
	v_lshrrev_b32_e32 v2, s38, v2
	s_delay_alu instid0(VALU_DEP_1) | instskip(NEXT) | instid1(VALU_DEP_1)
	v_mul_lo_u32 v2, v2, s36
	v_sub_nc_u32_e32 v1, v1, v2
	s_delay_alu instid0(VALU_DEP_1)
	v_mad_u32 v4, v1, s40, v4
	v_mad_u32 v6, v1, s41, v6
	v_mad_u32 v5, v1, s42, v5
	s_branch .LBB181_77
.LBB181_75:
                                        ; implicit-def: $vgpr5
                                        ; implicit-def: $vgpr6
                                        ; implicit-def: $vgpr4
	s_branch .LBB181_78
.LBB181_76:
	v_dual_mov_b32 v5, 0 :: v_dual_mov_b32 v6, 0
	v_mov_b32_e32 v4, 0
.LBB181_77:
	s_cbranch_execnz .LBB181_80
.LBB181_78:
	v_mov_b32_e32 v1, 0
	s_and_not1_b32 vcc_lo, exec_lo, s30
	s_delay_alu instid0(VALU_DEP_1) | instskip(NEXT) | instid1(VALU_DEP_1)
	v_mul_u64_e32 v[2:3], s[2:3], v[0:1]
	v_add_nc_u32_e32 v2, v0, v3
	s_delay_alu instid0(VALU_DEP_1) | instskip(NEXT) | instid1(VALU_DEP_1)
	v_lshrrev_b32_e32 v2, s10, v2
	v_mul_lo_u32 v3, v2, s8
	s_delay_alu instid0(VALU_DEP_1) | instskip(NEXT) | instid1(VALU_DEP_1)
	v_sub_nc_u32_e32 v3, v0, v3
	v_mul_lo_u32 v4, v3, s12
	v_mul_lo_u32 v5, v3, s14
	;; [unrolled: 1-line block ×3, first 2 shown]
	s_cbranch_vccnz .LBB181_80
; %bb.79:
	v_mov_b32_e32 v3, v1
	s_delay_alu instid0(VALU_DEP_1) | instskip(NEXT) | instid1(VALU_DEP_1)
	v_mul_u64_e32 v[8:9], s[24:25], v[2:3]
	v_add_nc_u32_e32 v1, v2, v9
	s_delay_alu instid0(VALU_DEP_1) | instskip(NEXT) | instid1(VALU_DEP_1)
	v_lshrrev_b32_e32 v1, s1, v1
	v_mul_lo_u32 v1, v1, s11
	s_delay_alu instid0(VALU_DEP_1) | instskip(NEXT) | instid1(VALU_DEP_1)
	v_sub_nc_u32_e32 v1, v2, v1
	v_mad_u32 v4, v1, s15, v4
	v_mad_u32 v6, v1, s22, v6
	;; [unrolled: 1-line block ×3, first 2 shown]
.LBB181_80:
	global_load_u16 v1, v6, s[6:7]
	global_load_u16 v2, v5, s[16:17]
	v_add_nc_u32_e32 v0, 0x80, v0
	s_wait_loadcnt 0x0
	v_cmp_eq_f16_e32 vcc_lo, v1, v2
	v_cndmask_b32_e64 v3, 0, 1, vcc_lo
	v_cmp_neq_f16_e32 vcc_lo, v1, v2
	v_cndmask_b32_e64 v1, 0, 1, vcc_lo
	s_delay_alu instid0(VALU_DEP_1) | instskip(NEXT) | instid1(VALU_DEP_1)
	v_cndmask_b32_e64 v1, v1, v3, s0
	v_and_b32_e32 v1, 1, v1
	global_store_b8 v4, v1, s[4:5]
	s_wait_xcnt 0x0
	s_or_b32 exec_lo, exec_lo, s9
	s_delay_alu instid0(SALU_CYCLE_1)
	s_mov_b32 s9, exec_lo
	v_cmpx_gt_i32_e64 s33, v0
	s_cbranch_execz .LBB181_8
.LBB181_81:
	s_and_not1_b32 vcc_lo, exec_lo, s28
	s_cbranch_vccnz .LBB181_87
; %bb.82:
	s_and_not1_b32 vcc_lo, exec_lo, s34
	s_cbranch_vccnz .LBB181_88
; %bb.83:
	v_dual_mov_b32 v4, 0 :: v_dual_mov_b32 v1, v0
	v_dual_mov_b32 v6, 0 :: v_dual_mov_b32 v5, 0
	s_add_co_i32 s35, s31, 1
	s_mov_b64 s[18:19], 0xffffffffffffffe8
	s_and_b32 s35, s35, 30
	s_add_nc_u64 s[18:19], s[20:21], s[18:19]
.LBB181_84:                             ; =>This Inner Loop Header: Depth=1
	s_clause 0x1
	s_load_b128 s[36:39], s[18:19], 0x1c
	s_load_b64 s[44:45], s[18:19], 0x2c
	s_add_co_i32 s35, s35, -2
	s_delay_alu instid0(SALU_CYCLE_1) | instskip(SKIP_2) | instid1(VALU_DEP_1)
	s_cmp_eq_u32 s35, 0
	s_wait_kmcnt 0x0
	v_mul_hi_u32 v2, s37, v1
	v_add_nc_u32_e32 v2, v1, v2
	s_delay_alu instid0(VALU_DEP_1) | instskip(NEXT) | instid1(VALU_DEP_1)
	v_lshrrev_b32_e32 v2, s38, v2
	v_mul_hi_u32 v3, s44, v2
	v_mul_lo_u32 v7, v2, s36
	s_clause 0x1
	s_load_b128 s[40:43], s[18:19], 0xdc
	s_load_b64 s[36:37], s[18:19], 0xec
	s_wait_xcnt 0x0
	s_add_nc_u64 s[18:19], s[18:19], 24
	s_delay_alu instid0(VALU_DEP_2) | instskip(NEXT) | instid1(VALU_DEP_2)
	v_add_nc_u32_e32 v3, v2, v3
	v_sub_nc_u32_e32 v7, v1, v7
	s_delay_alu instid0(VALU_DEP_2) | instskip(SKIP_1) | instid1(VALU_DEP_2)
	v_lshrrev_b32_e32 v1, s45, v3
	s_wait_kmcnt 0x0
	v_mad_u32 v4, v7, s40, v4
	s_delay_alu instid0(VALU_DEP_2) | instskip(SKIP_2) | instid1(VALU_DEP_3)
	v_mul_lo_u32 v3, v1, s39
	v_mad_u32 v5, v7, s42, v5
	v_mad_u32 v6, v7, s41, v6
	v_sub_nc_u32_e32 v2, v2, v3
	s_delay_alu instid0(VALU_DEP_1) | instskip(NEXT) | instid1(VALU_DEP_4)
	v_mad_u32 v4, v2, s43, v4
	v_mad_u32 v5, v2, s37, v5
	s_delay_alu instid0(VALU_DEP_4)
	v_mad_u32 v6, v2, s36, v6
	s_cbranch_scc0 .LBB181_84
; %bb.85:
	s_bitcmp1_b32 s31, 0
	s_cselect_b32 s35, -1, 0
	s_delay_alu instid0(SALU_CYCLE_1)
	s_and_b32 vcc_lo, exec_lo, s35
	s_cbranch_vccnz .LBB181_89
; %bb.86:
	s_clause 0x1
	s_load_b96 s[36:38], s[18:19], 0x1c
	s_load_b96 s[40:42], s[18:19], 0xdc
	s_wait_kmcnt 0x0
	v_mul_hi_u32 v2, s37, v1
	s_delay_alu instid0(VALU_DEP_1) | instskip(NEXT) | instid1(VALU_DEP_1)
	v_add_nc_u32_e32 v2, v1, v2
	v_lshrrev_b32_e32 v2, s38, v2
	s_delay_alu instid0(VALU_DEP_1) | instskip(NEXT) | instid1(VALU_DEP_1)
	v_mul_lo_u32 v2, v2, s36
	v_sub_nc_u32_e32 v1, v1, v2
	s_delay_alu instid0(VALU_DEP_1)
	v_mad_u32 v4, v1, s40, v4
	v_mad_u32 v6, v1, s41, v6
	;; [unrolled: 1-line block ×3, first 2 shown]
	s_branch .LBB181_89
.LBB181_87:
                                        ; implicit-def: $vgpr5
                                        ; implicit-def: $vgpr6
                                        ; implicit-def: $vgpr4
	s_branch .LBB181_90
.LBB181_88:
	v_dual_mov_b32 v5, 0 :: v_dual_mov_b32 v6, 0
	v_mov_b32_e32 v4, 0
.LBB181_89:
	s_cbranch_execnz .LBB181_92
.LBB181_90:
	v_mov_b32_e32 v1, 0
	s_and_not1_b32 vcc_lo, exec_lo, s30
	s_delay_alu instid0(VALU_DEP_1) | instskip(NEXT) | instid1(VALU_DEP_1)
	v_mul_u64_e32 v[2:3], s[2:3], v[0:1]
	v_add_nc_u32_e32 v2, v0, v3
	s_delay_alu instid0(VALU_DEP_1) | instskip(NEXT) | instid1(VALU_DEP_1)
	v_lshrrev_b32_e32 v2, s10, v2
	v_mul_lo_u32 v3, v2, s8
	s_delay_alu instid0(VALU_DEP_1) | instskip(NEXT) | instid1(VALU_DEP_1)
	v_sub_nc_u32_e32 v3, v0, v3
	v_mul_lo_u32 v4, v3, s12
	v_mul_lo_u32 v5, v3, s14
	;; [unrolled: 1-line block ×3, first 2 shown]
	s_cbranch_vccnz .LBB181_92
; %bb.91:
	v_mov_b32_e32 v3, v1
	s_delay_alu instid0(VALU_DEP_1) | instskip(NEXT) | instid1(VALU_DEP_1)
	v_mul_u64_e32 v[8:9], s[24:25], v[2:3]
	v_add_nc_u32_e32 v1, v2, v9
	s_delay_alu instid0(VALU_DEP_1) | instskip(NEXT) | instid1(VALU_DEP_1)
	v_lshrrev_b32_e32 v1, s1, v1
	v_mul_lo_u32 v1, v1, s11
	s_delay_alu instid0(VALU_DEP_1) | instskip(NEXT) | instid1(VALU_DEP_1)
	v_sub_nc_u32_e32 v1, v2, v1
	v_mad_u32 v4, v1, s15, v4
	v_mad_u32 v6, v1, s22, v6
	;; [unrolled: 1-line block ×3, first 2 shown]
.LBB181_92:
	global_load_u16 v1, v6, s[6:7]
	global_load_u16 v2, v5, s[16:17]
	v_add_nc_u32_e32 v0, 0x80, v0
	s_wait_loadcnt 0x0
	v_cmp_eq_f16_e32 vcc_lo, v1, v2
	v_cndmask_b32_e64 v3, 0, 1, vcc_lo
	v_cmp_neq_f16_e32 vcc_lo, v1, v2
	v_cndmask_b32_e64 v1, 0, 1, vcc_lo
	s_delay_alu instid0(VALU_DEP_1) | instskip(NEXT) | instid1(VALU_DEP_1)
	v_cndmask_b32_e64 v1, v1, v3, s0
	v_and_b32_e32 v1, 1, v1
	global_store_b8 v4, v1, s[4:5]
	s_wait_xcnt 0x0
	s_or_b32 exec_lo, exec_lo, s9
	s_delay_alu instid0(SALU_CYCLE_1)
	s_mov_b32 s9, exec_lo
	v_cmpx_gt_i32_e64 s33, v0
	s_cbranch_execz .LBB181_105
.LBB181_93:
	s_and_not1_b32 vcc_lo, exec_lo, s28
	s_cbranch_vccnz .LBB181_99
; %bb.94:
	s_and_not1_b32 vcc_lo, exec_lo, s34
	s_cbranch_vccnz .LBB181_100
; %bb.95:
	v_dual_mov_b32 v4, 0 :: v_dual_mov_b32 v1, v0
	v_dual_mov_b32 v6, 0 :: v_dual_mov_b32 v5, 0
	s_add_co_i32 s33, s31, 1
	s_mov_b64 s[18:19], 0xffffffffffffffe8
	s_and_b32 s33, s33, 30
	s_add_nc_u64 s[18:19], s[20:21], s[18:19]
.LBB181_96:                             ; =>This Inner Loop Header: Depth=1
	s_clause 0x1
	s_load_b128 s[36:39], s[18:19], 0x1c
	s_load_b64 s[34:35], s[18:19], 0x2c
	s_add_co_i32 s33, s33, -2
	s_delay_alu instid0(SALU_CYCLE_1) | instskip(SKIP_2) | instid1(VALU_DEP_1)
	s_cmp_eq_u32 s33, 0
	s_wait_kmcnt 0x0
	v_mul_hi_u32 v2, s37, v1
	v_add_nc_u32_e32 v2, v1, v2
	s_delay_alu instid0(VALU_DEP_1) | instskip(NEXT) | instid1(VALU_DEP_1)
	v_lshrrev_b32_e32 v2, s38, v2
	v_mul_hi_u32 v3, s34, v2
	v_mul_lo_u32 v7, v2, s36
	s_clause 0x1
	s_load_b128 s[40:43], s[18:19], 0xdc
	s_load_b64 s[36:37], s[18:19], 0xec
	s_wait_xcnt 0x0
	s_add_nc_u64 s[18:19], s[18:19], 24
	s_delay_alu instid0(VALU_DEP_2) | instskip(NEXT) | instid1(VALU_DEP_2)
	v_add_nc_u32_e32 v3, v2, v3
	v_sub_nc_u32_e32 v7, v1, v7
	s_delay_alu instid0(VALU_DEP_2) | instskip(SKIP_1) | instid1(VALU_DEP_2)
	v_lshrrev_b32_e32 v1, s35, v3
	s_wait_kmcnt 0x0
	v_mad_u32 v4, v7, s40, v4
	s_delay_alu instid0(VALU_DEP_2) | instskip(SKIP_2) | instid1(VALU_DEP_3)
	v_mul_lo_u32 v3, v1, s39
	v_mad_u32 v5, v7, s42, v5
	v_mad_u32 v6, v7, s41, v6
	v_sub_nc_u32_e32 v2, v2, v3
	s_delay_alu instid0(VALU_DEP_1) | instskip(NEXT) | instid1(VALU_DEP_4)
	v_mad_u32 v4, v2, s43, v4
	v_mad_u32 v5, v2, s37, v5
	s_delay_alu instid0(VALU_DEP_4)
	v_mad_u32 v6, v2, s36, v6
	s_cbranch_scc0 .LBB181_96
; %bb.97:
	s_bitcmp1_b32 s31, 0
	s_cselect_b32 s31, -1, 0
	s_delay_alu instid0(SALU_CYCLE_1)
	s_and_b32 vcc_lo, exec_lo, s31
	s_cbranch_vccnz .LBB181_101
; %bb.98:
	s_clause 0x1
	s_load_b96 s[36:38], s[18:19], 0x1c
	s_load_b96 s[40:42], s[18:19], 0xdc
	s_wait_kmcnt 0x0
	v_mul_hi_u32 v2, s37, v1
	s_delay_alu instid0(VALU_DEP_1) | instskip(NEXT) | instid1(VALU_DEP_1)
	v_add_nc_u32_e32 v2, v1, v2
	v_lshrrev_b32_e32 v2, s38, v2
	s_delay_alu instid0(VALU_DEP_1) | instskip(NEXT) | instid1(VALU_DEP_1)
	v_mul_lo_u32 v2, v2, s36
	v_sub_nc_u32_e32 v1, v1, v2
	s_delay_alu instid0(VALU_DEP_1)
	v_mad_u32 v4, v1, s40, v4
	v_mad_u32 v6, v1, s41, v6
	;; [unrolled: 1-line block ×3, first 2 shown]
	s_branch .LBB181_101
.LBB181_99:
                                        ; implicit-def: $vgpr5
                                        ; implicit-def: $vgpr6
                                        ; implicit-def: $vgpr4
	s_branch .LBB181_102
.LBB181_100:
	v_dual_mov_b32 v5, 0 :: v_dual_mov_b32 v6, 0
	v_mov_b32_e32 v4, 0
.LBB181_101:
	s_cbranch_execnz .LBB181_104
.LBB181_102:
	v_mov_b32_e32 v1, 0
	s_and_not1_b32 vcc_lo, exec_lo, s30
	s_delay_alu instid0(VALU_DEP_1) | instskip(NEXT) | instid1(VALU_DEP_1)
	v_mul_u64_e32 v[2:3], s[2:3], v[0:1]
	v_add_nc_u32_e32 v2, v0, v3
	s_delay_alu instid0(VALU_DEP_1) | instskip(NEXT) | instid1(VALU_DEP_1)
	v_lshrrev_b32_e32 v2, s10, v2
	v_mul_lo_u32 v3, v2, s8
	s_delay_alu instid0(VALU_DEP_1) | instskip(NEXT) | instid1(VALU_DEP_1)
	v_sub_nc_u32_e32 v0, v0, v3
	v_mul_lo_u32 v4, v0, s12
	v_mul_lo_u32 v5, v0, s14
	;; [unrolled: 1-line block ×3, first 2 shown]
	s_cbranch_vccnz .LBB181_104
; %bb.103:
	v_mov_b32_e32 v3, v1
	s_delay_alu instid0(VALU_DEP_1) | instskip(NEXT) | instid1(VALU_DEP_1)
	v_mul_u64_e32 v[0:1], s[24:25], v[2:3]
	v_add_nc_u32_e32 v0, v2, v1
	s_delay_alu instid0(VALU_DEP_1) | instskip(NEXT) | instid1(VALU_DEP_1)
	v_lshrrev_b32_e32 v0, s1, v0
	v_mul_lo_u32 v0, v0, s11
	s_delay_alu instid0(VALU_DEP_1) | instskip(NEXT) | instid1(VALU_DEP_1)
	v_sub_nc_u32_e32 v0, v2, v0
	v_mad_u32 v4, v0, s15, v4
	v_mad_u32 v6, v0, s22, v6
	;; [unrolled: 1-line block ×3, first 2 shown]
.LBB181_104:
	global_load_u16 v0, v6, s[6:7]
	global_load_u16 v1, v5, s[16:17]
	s_wait_loadcnt 0x0
	v_cmp_eq_f16_e32 vcc_lo, v0, v1
	v_cndmask_b32_e64 v2, 0, 1, vcc_lo
	v_cmp_neq_f16_e32 vcc_lo, v0, v1
	v_cndmask_b32_e64 v0, 0, 1, vcc_lo
	s_delay_alu instid0(VALU_DEP_1) | instskip(NEXT) | instid1(VALU_DEP_1)
	v_cndmask_b32_e64 v0, v0, v2, s0
	v_and_b32_e32 v0, 1, v0
	global_store_b8 v4, v0, s[4:5]
.LBB181_105:
	s_wait_xcnt 0x0
	s_or_b32 exec_lo, exec_lo, s9
                                        ; implicit-def: $vgpr4
                                        ; implicit-def: $vgpr0
.LBB181_106:
	s_and_not1_saveexec_b32 s0, s29
	s_cbranch_execz .LBB181_113
; %bb.107:
	v_cndmask_b32_e64 v8, 0, 1, s28
	s_and_not1_b32 vcc_lo, exec_lo, s28
	s_cbranch_vccnz .LBB181_114
; %bb.108:
	s_cmp_lg_u32 s26, 0
	s_mov_b32 s2, 0
	s_cbranch_scc0 .LBB181_118
; %bb.109:
	s_min_u32 s3, s27, 15
	v_dual_mov_b32 v1, 0 :: v_dual_mov_b32 v5, v0
	v_dual_mov_b32 v2, 0 :: v_dual_mov_b32 v3, 0
	s_add_co_i32 s4, s3, 1
	s_mov_b64 s[0:1], 0xffffffffffffffe8
	s_and_b32 s4, s4, 30
	s_add_nc_u64 s[0:1], s[20:21], s[0:1]
.LBB181_110:                            ; =>This Inner Loop Header: Depth=1
	s_clause 0x1
	s_load_b128 s[8:11], s[0:1], 0x1c
	s_load_b64 s[6:7], s[0:1], 0x2c
	s_add_co_i32 s4, s4, -2
	s_delay_alu instid0(SALU_CYCLE_1) | instskip(SKIP_2) | instid1(VALU_DEP_1)
	s_cmp_lg_u32 s4, 0
	s_wait_kmcnt 0x0
	v_mul_hi_u32 v6, s9, v5
	v_add_nc_u32_e32 v6, v5, v6
	s_delay_alu instid0(VALU_DEP_1) | instskip(NEXT) | instid1(VALU_DEP_1)
	v_lshrrev_b32_e32 v6, s10, v6
	v_mul_hi_u32 v7, s6, v6
	v_mul_lo_u32 v9, v6, s8
	s_clause 0x1
	s_load_b128 s[12:15], s[0:1], 0xdc
	s_load_b64 s[8:9], s[0:1], 0xec
	s_wait_xcnt 0x0
	s_add_nc_u64 s[0:1], s[0:1], 24
	s_delay_alu instid0(VALU_DEP_1) | instskip(NEXT) | instid1(VALU_DEP_1)
	v_dual_add_nc_u32 v7, v6, v7 :: v_dual_sub_nc_u32 v9, v5, v9
	v_lshrrev_b32_e32 v5, s7, v7
	s_wait_kmcnt 0x0
	s_delay_alu instid0(VALU_DEP_2) | instskip(NEXT) | instid1(VALU_DEP_2)
	v_mad_u32 v1, v9, s12, v1
	v_mul_lo_u32 v7, v5, s11
	v_mad_u32 v3, v9, s14, v3
	v_mad_u32 v2, v9, s13, v2
	s_delay_alu instid0(VALU_DEP_3) | instskip(NEXT) | instid1(VALU_DEP_1)
	v_sub_nc_u32_e32 v6, v6, v7
	v_mad_u32 v1, v6, s15, v1
	s_delay_alu instid0(VALU_DEP_4) | instskip(NEXT) | instid1(VALU_DEP_4)
	v_mad_u32 v3, v6, s9, v3
	v_mad_u32 v2, v6, s8, v2
	s_cbranch_scc1 .LBB181_110
; %bb.111:
	s_bitcmp1_b32 s3, 0
	s_cselect_b32 s3, -1, 0
	s_delay_alu instid0(SALU_CYCLE_1)
	s_and_b32 vcc_lo, exec_lo, s3
	s_cbranch_vccnz .LBB181_115
; %bb.112:
	s_clause 0x1
	s_load_b96 s[4:6], s[0:1], 0x1c
	s_load_b96 s[8:10], s[0:1], 0xdc
	s_wait_kmcnt 0x0
	v_mul_hi_u32 v6, s5, v5
	s_delay_alu instid0(VALU_DEP_1) | instskip(NEXT) | instid1(VALU_DEP_1)
	v_add_nc_u32_e32 v6, v5, v6
	v_lshrrev_b32_e32 v6, s6, v6
	s_delay_alu instid0(VALU_DEP_1) | instskip(NEXT) | instid1(VALU_DEP_1)
	v_mul_lo_u32 v6, v6, s4
	v_sub_nc_u32_e32 v5, v5, v6
	s_delay_alu instid0(VALU_DEP_1)
	v_mad_u32 v1, v5, s8, v1
	v_mad_u32 v2, v5, s9, v2
	;; [unrolled: 1-line block ×3, first 2 shown]
	s_and_not1_b32 vcc_lo, exec_lo, s2
	s_cbranch_vccz .LBB181_116
	s_branch .LBB181_119
.LBB181_113:
	s_endpgm
.LBB181_114:
	s_mov_b32 s2, -1
                                        ; implicit-def: $vgpr3
                                        ; implicit-def: $vgpr2
                                        ; implicit-def: $vgpr1
.LBB181_115:
	s_delay_alu instid0(SALU_CYCLE_1)
	s_and_not1_b32 vcc_lo, exec_lo, s2
	s_cbranch_vccnz .LBB181_119
.LBB181_116:
	s_clause 0x1
	s_load_b96 s[0:2], s[20:21], 0x4
	s_load_b96 s[4:6], s[20:21], 0xc4
	s_cmp_lt_u32 s26, 2
	s_wait_kmcnt 0x0
	v_mul_hi_u32 v1, s1, v0
	s_delay_alu instid0(VALU_DEP_1) | instskip(NEXT) | instid1(VALU_DEP_1)
	v_add_nc_u32_e32 v1, v0, v1
	v_lshrrev_b32_e32 v5, s2, v1
	s_delay_alu instid0(VALU_DEP_1) | instskip(NEXT) | instid1(VALU_DEP_1)
	v_mul_lo_u32 v1, v5, s0
	v_sub_nc_u32_e32 v2, v0, v1
	s_delay_alu instid0(VALU_DEP_1)
	v_mul_lo_u32 v1, v2, s4
	v_mul_lo_u32 v3, v2, s6
	;; [unrolled: 1-line block ×3, first 2 shown]
	s_cbranch_scc1 .LBB181_119
; %bb.117:
	s_clause 0x1
	s_load_b96 s[0:2], s[20:21], 0x10
	s_load_b96 s[4:6], s[20:21], 0xd0
	s_wait_kmcnt 0x0
	v_mul_hi_u32 v6, s1, v5
	s_delay_alu instid0(VALU_DEP_1) | instskip(NEXT) | instid1(VALU_DEP_1)
	v_add_nc_u32_e32 v6, v5, v6
	v_lshrrev_b32_e32 v6, s2, v6
	s_delay_alu instid0(VALU_DEP_1) | instskip(NEXT) | instid1(VALU_DEP_1)
	v_mul_lo_u32 v6, v6, s0
	v_sub_nc_u32_e32 v5, v5, v6
	s_delay_alu instid0(VALU_DEP_1)
	v_mad_u32 v1, v5, s4, v1
	v_mad_u32 v2, v5, s5, v2
	;; [unrolled: 1-line block ×3, first 2 shown]
	s_branch .LBB181_119
.LBB181_118:
	v_dual_mov_b32 v3, 0 :: v_dual_mov_b32 v2, 0
	v_mov_b32_e32 v1, 0
	s_and_not1_b32 vcc_lo, exec_lo, s2
	s_cbranch_vccz .LBB181_116
.LBB181_119:
	v_cmp_ne_u32_e32 vcc_lo, 1, v8
	v_add_nc_u32_e32 v9, 0x80, v0
	s_cbranch_vccnz .LBB181_125
; %bb.120:
	s_cmp_lg_u32 s26, 0
	s_mov_b32 s2, 0
	s_cbranch_scc0 .LBB181_129
; %bb.121:
	s_min_u32 s3, s27, 15
	v_dual_mov_b32 v5, 0 :: v_dual_mov_b32 v10, v9
	v_dual_mov_b32 v6, 0 :: v_dual_mov_b32 v7, 0
	s_add_co_i32 s4, s3, 1
	s_mov_b64 s[0:1], 0xffffffffffffffe8
	s_and_b32 s4, s4, 30
	s_add_nc_u64 s[0:1], s[20:21], s[0:1]
.LBB181_122:                            ; =>This Inner Loop Header: Depth=1
	s_clause 0x1
	s_load_b128 s[8:11], s[0:1], 0x1c
	s_load_b64 s[6:7], s[0:1], 0x2c
	s_add_co_i32 s4, s4, -2
	s_delay_alu instid0(SALU_CYCLE_1) | instskip(SKIP_2) | instid1(VALU_DEP_1)
	s_cmp_lg_u32 s4, 0
	s_wait_kmcnt 0x0
	v_mul_hi_u32 v11, s9, v10
	v_add_nc_u32_e32 v11, v10, v11
	s_delay_alu instid0(VALU_DEP_1) | instskip(NEXT) | instid1(VALU_DEP_1)
	v_lshrrev_b32_e32 v11, s10, v11
	v_mul_hi_u32 v12, s6, v11
	v_mul_lo_u32 v13, v11, s8
	s_clause 0x1
	s_load_b128 s[12:15], s[0:1], 0xdc
	s_load_b64 s[8:9], s[0:1], 0xec
	s_wait_xcnt 0x0
	s_add_nc_u64 s[0:1], s[0:1], 24
	s_delay_alu instid0(VALU_DEP_1) | instskip(NEXT) | instid1(VALU_DEP_1)
	v_dual_add_nc_u32 v12, v11, v12 :: v_dual_sub_nc_u32 v13, v10, v13
	v_lshrrev_b32_e32 v10, s7, v12
	s_wait_kmcnt 0x0
	s_delay_alu instid0(VALU_DEP_2) | instskip(NEXT) | instid1(VALU_DEP_2)
	v_mad_u32 v5, v13, s12, v5
	v_mul_lo_u32 v12, v10, s11
	v_mad_u32 v7, v13, s14, v7
	v_mad_u32 v6, v13, s13, v6
	s_delay_alu instid0(VALU_DEP_3) | instskip(NEXT) | instid1(VALU_DEP_1)
	v_sub_nc_u32_e32 v11, v11, v12
	v_mad_u32 v5, v11, s15, v5
	s_delay_alu instid0(VALU_DEP_4) | instskip(NEXT) | instid1(VALU_DEP_4)
	v_mad_u32 v7, v11, s9, v7
	v_mad_u32 v6, v11, s8, v6
	s_cbranch_scc1 .LBB181_122
; %bb.123:
	s_bitcmp1_b32 s3, 0
	s_cselect_b32 s3, -1, 0
	s_delay_alu instid0(SALU_CYCLE_1)
	s_and_b32 vcc_lo, exec_lo, s3
	s_cbranch_vccnz .LBB181_126
; %bb.124:
	s_clause 0x1
	s_load_b96 s[4:6], s[0:1], 0x1c
	s_load_b96 s[8:10], s[0:1], 0xdc
	s_wait_kmcnt 0x0
	v_mul_hi_u32 v11, s5, v10
	s_delay_alu instid0(VALU_DEP_1) | instskip(NEXT) | instid1(VALU_DEP_1)
	v_add_nc_u32_e32 v11, v10, v11
	v_lshrrev_b32_e32 v11, s6, v11
	s_delay_alu instid0(VALU_DEP_1) | instskip(NEXT) | instid1(VALU_DEP_1)
	v_mul_lo_u32 v11, v11, s4
	v_sub_nc_u32_e32 v10, v10, v11
	s_delay_alu instid0(VALU_DEP_1)
	v_mad_u32 v5, v10, s8, v5
	v_mad_u32 v6, v10, s9, v6
	;; [unrolled: 1-line block ×3, first 2 shown]
	s_and_not1_b32 vcc_lo, exec_lo, s2
	s_cbranch_vccz .LBB181_127
	s_branch .LBB181_130
.LBB181_125:
	s_mov_b32 s2, -1
                                        ; implicit-def: $vgpr7
                                        ; implicit-def: $vgpr6
                                        ; implicit-def: $vgpr5
.LBB181_126:
	s_delay_alu instid0(SALU_CYCLE_1)
	s_and_not1_b32 vcc_lo, exec_lo, s2
	s_cbranch_vccnz .LBB181_130
.LBB181_127:
	s_clause 0x1
	s_load_b96 s[0:2], s[20:21], 0x4
	s_load_b96 s[4:6], s[20:21], 0xc4
	s_cmp_lt_u32 s26, 2
	s_wait_kmcnt 0x0
	v_mul_hi_u32 v5, s1, v9
	s_delay_alu instid0(VALU_DEP_1) | instskip(NEXT) | instid1(VALU_DEP_1)
	v_add_nc_u32_e32 v5, v9, v5
	v_lshrrev_b32_e32 v10, s2, v5
	s_delay_alu instid0(VALU_DEP_1) | instskip(NEXT) | instid1(VALU_DEP_1)
	v_mul_lo_u32 v5, v10, s0
	v_sub_nc_u32_e32 v6, v9, v5
	s_delay_alu instid0(VALU_DEP_1)
	v_mul_lo_u32 v5, v6, s4
	v_mul_lo_u32 v7, v6, s6
	;; [unrolled: 1-line block ×3, first 2 shown]
	s_cbranch_scc1 .LBB181_130
; %bb.128:
	s_clause 0x1
	s_load_b96 s[0:2], s[20:21], 0x10
	s_load_b96 s[4:6], s[20:21], 0xd0
	s_wait_kmcnt 0x0
	v_mul_hi_u32 v9, s1, v10
	s_delay_alu instid0(VALU_DEP_1) | instskip(NEXT) | instid1(VALU_DEP_1)
	v_add_nc_u32_e32 v9, v10, v9
	v_lshrrev_b32_e32 v9, s2, v9
	s_delay_alu instid0(VALU_DEP_1) | instskip(NEXT) | instid1(VALU_DEP_1)
	v_mul_lo_u32 v9, v9, s0
	v_sub_nc_u32_e32 v9, v10, v9
	s_delay_alu instid0(VALU_DEP_1)
	v_mad_u32 v5, v9, s4, v5
	v_mad_u32 v6, v9, s5, v6
	;; [unrolled: 1-line block ×3, first 2 shown]
	s_branch .LBB181_130
.LBB181_129:
	v_dual_mov_b32 v7, 0 :: v_dual_mov_b32 v6, 0
	v_mov_b32_e32 v5, 0
	s_and_not1_b32 vcc_lo, exec_lo, s2
	s_cbranch_vccz .LBB181_127
.LBB181_130:
	v_cmp_ne_u32_e32 vcc_lo, 1, v8
	v_add_nc_u32_e32 v12, 0x100, v0
	s_cbranch_vccnz .LBB181_136
; %bb.131:
	s_cmp_lg_u32 s26, 0
	s_mov_b32 s2, 0
	s_cbranch_scc0 .LBB181_140
; %bb.132:
	s_min_u32 s3, s27, 15
	v_dual_mov_b32 v9, 0 :: v_dual_mov_b32 v13, v12
	v_dual_mov_b32 v11, 0 :: v_dual_mov_b32 v10, 0
	s_add_co_i32 s4, s3, 1
	s_mov_b64 s[0:1], 0xffffffffffffffe8
	s_and_b32 s4, s4, 30
	s_add_nc_u64 s[0:1], s[20:21], s[0:1]
.LBB181_133:                            ; =>This Inner Loop Header: Depth=1
	s_clause 0x1
	s_load_b128 s[8:11], s[0:1], 0x1c
	s_load_b64 s[6:7], s[0:1], 0x2c
	s_add_co_i32 s4, s4, -2
	s_delay_alu instid0(SALU_CYCLE_1) | instskip(SKIP_2) | instid1(VALU_DEP_1)
	s_cmp_lg_u32 s4, 0
	s_wait_kmcnt 0x0
	v_mul_hi_u32 v14, s9, v13
	v_add_nc_u32_e32 v14, v13, v14
	s_delay_alu instid0(VALU_DEP_1) | instskip(NEXT) | instid1(VALU_DEP_1)
	v_lshrrev_b32_e32 v14, s10, v14
	v_mul_hi_u32 v15, s6, v14
	v_mul_lo_u32 v16, v14, s8
	s_clause 0x1
	s_load_b128 s[12:15], s[0:1], 0xdc
	s_load_b64 s[8:9], s[0:1], 0xec
	s_wait_xcnt 0x0
	s_add_nc_u64 s[0:1], s[0:1], 24
	s_delay_alu instid0(VALU_DEP_1) | instskip(NEXT) | instid1(VALU_DEP_1)
	v_dual_add_nc_u32 v15, v14, v15 :: v_dual_sub_nc_u32 v16, v13, v16
	v_lshrrev_b32_e32 v13, s7, v15
	s_wait_kmcnt 0x0
	s_delay_alu instid0(VALU_DEP_2) | instskip(NEXT) | instid1(VALU_DEP_2)
	v_mad_u32 v9, v16, s12, v9
	v_mul_lo_u32 v15, v13, s11
	v_mad_u32 v10, v16, s14, v10
	v_mad_u32 v11, v16, s13, v11
	s_delay_alu instid0(VALU_DEP_3) | instskip(NEXT) | instid1(VALU_DEP_1)
	v_sub_nc_u32_e32 v14, v14, v15
	v_mad_u32 v9, v14, s15, v9
	s_delay_alu instid0(VALU_DEP_4) | instskip(NEXT) | instid1(VALU_DEP_4)
	v_mad_u32 v10, v14, s9, v10
	v_mad_u32 v11, v14, s8, v11
	s_cbranch_scc1 .LBB181_133
; %bb.134:
	s_bitcmp1_b32 s3, 0
	s_cselect_b32 s3, -1, 0
	s_delay_alu instid0(SALU_CYCLE_1)
	s_and_b32 vcc_lo, exec_lo, s3
	s_cbranch_vccnz .LBB181_137
; %bb.135:
	s_clause 0x1
	s_load_b96 s[4:6], s[0:1], 0x1c
	s_load_b96 s[8:10], s[0:1], 0xdc
	s_wait_kmcnt 0x0
	v_mul_hi_u32 v14, s5, v13
	s_delay_alu instid0(VALU_DEP_1) | instskip(NEXT) | instid1(VALU_DEP_1)
	v_add_nc_u32_e32 v14, v13, v14
	v_lshrrev_b32_e32 v14, s6, v14
	s_delay_alu instid0(VALU_DEP_1) | instskip(NEXT) | instid1(VALU_DEP_1)
	v_mul_lo_u32 v14, v14, s4
	v_sub_nc_u32_e32 v13, v13, v14
	s_delay_alu instid0(VALU_DEP_1)
	v_mad_u32 v9, v13, s8, v9
	v_mad_u32 v11, v13, s9, v11
	;; [unrolled: 1-line block ×3, first 2 shown]
	s_and_not1_b32 vcc_lo, exec_lo, s2
	s_cbranch_vccz .LBB181_138
	s_branch .LBB181_141
.LBB181_136:
	s_mov_b32 s2, -1
                                        ; implicit-def: $vgpr10
                                        ; implicit-def: $vgpr11
                                        ; implicit-def: $vgpr9
.LBB181_137:
	s_delay_alu instid0(SALU_CYCLE_1)
	s_and_not1_b32 vcc_lo, exec_lo, s2
	s_cbranch_vccnz .LBB181_141
.LBB181_138:
	s_clause 0x1
	s_load_b96 s[0:2], s[20:21], 0x4
	s_load_b96 s[4:6], s[20:21], 0xc4
	s_cmp_lt_u32 s26, 2
	s_wait_kmcnt 0x0
	v_mul_hi_u32 v9, s1, v12
	s_delay_alu instid0(VALU_DEP_1) | instskip(NEXT) | instid1(VALU_DEP_1)
	v_add_nc_u32_e32 v9, v12, v9
	v_lshrrev_b32_e32 v13, s2, v9
	s_delay_alu instid0(VALU_DEP_1) | instskip(NEXT) | instid1(VALU_DEP_1)
	v_mul_lo_u32 v9, v13, s0
	v_sub_nc_u32_e32 v11, v12, v9
	s_delay_alu instid0(VALU_DEP_1)
	v_mul_lo_u32 v9, v11, s4
	v_mul_lo_u32 v10, v11, s6
	v_mul_lo_u32 v11, v11, s5
	s_cbranch_scc1 .LBB181_141
; %bb.139:
	s_clause 0x1
	s_load_b96 s[0:2], s[20:21], 0x10
	s_load_b96 s[4:6], s[20:21], 0xd0
	s_wait_kmcnt 0x0
	v_mul_hi_u32 v12, s1, v13
	s_delay_alu instid0(VALU_DEP_1) | instskip(NEXT) | instid1(VALU_DEP_1)
	v_add_nc_u32_e32 v12, v13, v12
	v_lshrrev_b32_e32 v12, s2, v12
	s_delay_alu instid0(VALU_DEP_1) | instskip(NEXT) | instid1(VALU_DEP_1)
	v_mul_lo_u32 v12, v12, s0
	v_sub_nc_u32_e32 v12, v13, v12
	s_delay_alu instid0(VALU_DEP_1)
	v_mad_u32 v9, v12, s4, v9
	v_mad_u32 v11, v12, s5, v11
	;; [unrolled: 1-line block ×3, first 2 shown]
	s_branch .LBB181_141
.LBB181_140:
	v_dual_mov_b32 v10, 0 :: v_dual_mov_b32 v11, 0
	v_mov_b32_e32 v9, 0
	s_and_not1_b32 vcc_lo, exec_lo, s2
	s_cbranch_vccz .LBB181_138
.LBB181_141:
	v_cmp_ne_u32_e32 vcc_lo, 1, v8
	v_add_nc_u32_e32 v15, 0x180, v0
	s_cbranch_vccnz .LBB181_147
; %bb.142:
	s_cmp_lg_u32 s26, 0
	s_mov_b32 s2, 0
	s_cbranch_scc0 .LBB181_151
; %bb.143:
	s_min_u32 s3, s27, 15
	v_dual_mov_b32 v12, 0 :: v_dual_mov_b32 v16, v15
	v_dual_mov_b32 v14, 0 :: v_dual_mov_b32 v13, 0
	s_add_co_i32 s4, s3, 1
	s_mov_b64 s[0:1], 0xffffffffffffffe8
	s_and_b32 s4, s4, 30
	s_add_nc_u64 s[0:1], s[20:21], s[0:1]
.LBB181_144:                            ; =>This Inner Loop Header: Depth=1
	s_clause 0x1
	s_load_b128 s[8:11], s[0:1], 0x1c
	s_load_b64 s[6:7], s[0:1], 0x2c
	s_add_co_i32 s4, s4, -2
	s_delay_alu instid0(SALU_CYCLE_1) | instskip(SKIP_2) | instid1(VALU_DEP_1)
	s_cmp_lg_u32 s4, 0
	s_wait_kmcnt 0x0
	v_mul_hi_u32 v17, s9, v16
	v_add_nc_u32_e32 v17, v16, v17
	s_delay_alu instid0(VALU_DEP_1) | instskip(NEXT) | instid1(VALU_DEP_1)
	v_lshrrev_b32_e32 v17, s10, v17
	v_mul_hi_u32 v18, s6, v17
	v_mul_lo_u32 v19, v17, s8
	s_clause 0x1
	s_load_b128 s[12:15], s[0:1], 0xdc
	s_load_b64 s[8:9], s[0:1], 0xec
	s_wait_xcnt 0x0
	s_add_nc_u64 s[0:1], s[0:1], 24
	s_delay_alu instid0(VALU_DEP_1) | instskip(NEXT) | instid1(VALU_DEP_1)
	v_dual_add_nc_u32 v18, v17, v18 :: v_dual_sub_nc_u32 v19, v16, v19
	v_lshrrev_b32_e32 v16, s7, v18
	s_wait_kmcnt 0x0
	s_delay_alu instid0(VALU_DEP_2) | instskip(NEXT) | instid1(VALU_DEP_2)
	v_mad_u32 v12, v19, s12, v12
	v_mul_lo_u32 v18, v16, s11
	v_mad_u32 v13, v19, s14, v13
	v_mad_u32 v14, v19, s13, v14
	s_delay_alu instid0(VALU_DEP_3) | instskip(NEXT) | instid1(VALU_DEP_1)
	v_sub_nc_u32_e32 v17, v17, v18
	v_mad_u32 v12, v17, s15, v12
	s_delay_alu instid0(VALU_DEP_4) | instskip(NEXT) | instid1(VALU_DEP_4)
	v_mad_u32 v13, v17, s9, v13
	v_mad_u32 v14, v17, s8, v14
	s_cbranch_scc1 .LBB181_144
; %bb.145:
	s_bitcmp1_b32 s3, 0
	s_cselect_b32 s3, -1, 0
	s_delay_alu instid0(SALU_CYCLE_1)
	s_and_b32 vcc_lo, exec_lo, s3
	s_cbranch_vccnz .LBB181_148
; %bb.146:
	s_clause 0x1
	s_load_b96 s[4:6], s[0:1], 0x1c
	s_load_b96 s[8:10], s[0:1], 0xdc
	s_wait_kmcnt 0x0
	v_mul_hi_u32 v17, s5, v16
	s_delay_alu instid0(VALU_DEP_1) | instskip(NEXT) | instid1(VALU_DEP_1)
	v_add_nc_u32_e32 v17, v16, v17
	v_lshrrev_b32_e32 v17, s6, v17
	s_delay_alu instid0(VALU_DEP_1) | instskip(NEXT) | instid1(VALU_DEP_1)
	v_mul_lo_u32 v17, v17, s4
	v_sub_nc_u32_e32 v16, v16, v17
	s_delay_alu instid0(VALU_DEP_1)
	v_mad_u32 v12, v16, s8, v12
	v_mad_u32 v14, v16, s9, v14
	;; [unrolled: 1-line block ×3, first 2 shown]
	s_and_not1_b32 vcc_lo, exec_lo, s2
	s_cbranch_vccz .LBB181_149
	s_branch .LBB181_152
.LBB181_147:
	s_mov_b32 s2, -1
                                        ; implicit-def: $vgpr13
                                        ; implicit-def: $vgpr14
                                        ; implicit-def: $vgpr12
.LBB181_148:
	s_delay_alu instid0(SALU_CYCLE_1)
	s_and_not1_b32 vcc_lo, exec_lo, s2
	s_cbranch_vccnz .LBB181_152
.LBB181_149:
	s_clause 0x1
	s_load_b96 s[0:2], s[20:21], 0x4
	s_load_b96 s[4:6], s[20:21], 0xc4
	s_cmp_lt_u32 s26, 2
	s_wait_kmcnt 0x0
	v_mul_hi_u32 v12, s1, v15
	s_delay_alu instid0(VALU_DEP_1) | instskip(NEXT) | instid1(VALU_DEP_1)
	v_add_nc_u32_e32 v12, v15, v12
	v_lshrrev_b32_e32 v16, s2, v12
	s_delay_alu instid0(VALU_DEP_1) | instskip(NEXT) | instid1(VALU_DEP_1)
	v_mul_lo_u32 v12, v16, s0
	v_sub_nc_u32_e32 v14, v15, v12
	s_delay_alu instid0(VALU_DEP_1)
	v_mul_lo_u32 v12, v14, s4
	v_mul_lo_u32 v13, v14, s6
	;; [unrolled: 1-line block ×3, first 2 shown]
	s_cbranch_scc1 .LBB181_152
; %bb.150:
	s_clause 0x1
	s_load_b96 s[0:2], s[20:21], 0x10
	s_load_b96 s[4:6], s[20:21], 0xd0
	s_wait_kmcnt 0x0
	v_mul_hi_u32 v15, s1, v16
	s_delay_alu instid0(VALU_DEP_1) | instskip(NEXT) | instid1(VALU_DEP_1)
	v_add_nc_u32_e32 v15, v16, v15
	v_lshrrev_b32_e32 v15, s2, v15
	s_delay_alu instid0(VALU_DEP_1) | instskip(NEXT) | instid1(VALU_DEP_1)
	v_mul_lo_u32 v15, v15, s0
	v_sub_nc_u32_e32 v15, v16, v15
	s_delay_alu instid0(VALU_DEP_1)
	v_mad_u32 v12, v15, s4, v12
	v_mad_u32 v14, v15, s5, v14
	;; [unrolled: 1-line block ×3, first 2 shown]
	s_branch .LBB181_152
.LBB181_151:
	v_dual_mov_b32 v13, 0 :: v_dual_mov_b32 v14, 0
	v_mov_b32_e32 v12, 0
	s_and_not1_b32 vcc_lo, exec_lo, s2
	s_cbranch_vccz .LBB181_149
.LBB181_152:
	v_cmp_ne_u32_e32 vcc_lo, 1, v8
	v_add_nc_u32_e32 v18, 0x200, v0
	s_cbranch_vccnz .LBB181_158
; %bb.153:
	s_cmp_lg_u32 s26, 0
	s_mov_b32 s2, 0
	s_cbranch_scc0 .LBB181_162
; %bb.154:
	s_min_u32 s3, s27, 15
	v_dual_mov_b32 v15, 0 :: v_dual_mov_b32 v19, v18
	v_dual_mov_b32 v16, 0 :: v_dual_mov_b32 v17, 0
	s_add_co_i32 s4, s3, 1
	s_mov_b64 s[0:1], 0xffffffffffffffe8
	s_and_b32 s4, s4, 30
	s_add_nc_u64 s[0:1], s[20:21], s[0:1]
.LBB181_155:                            ; =>This Inner Loop Header: Depth=1
	s_clause 0x1
	s_load_b128 s[8:11], s[0:1], 0x1c
	s_load_b64 s[6:7], s[0:1], 0x2c
	s_add_co_i32 s4, s4, -2
	s_delay_alu instid0(SALU_CYCLE_1) | instskip(SKIP_2) | instid1(VALU_DEP_1)
	s_cmp_lg_u32 s4, 0
	s_wait_kmcnt 0x0
	v_mul_hi_u32 v20, s9, v19
	v_add_nc_u32_e32 v20, v19, v20
	s_delay_alu instid0(VALU_DEP_1) | instskip(NEXT) | instid1(VALU_DEP_1)
	v_lshrrev_b32_e32 v20, s10, v20
	v_mul_hi_u32 v21, s6, v20
	v_mul_lo_u32 v22, v20, s8
	s_clause 0x1
	s_load_b128 s[12:15], s[0:1], 0xdc
	s_load_b64 s[8:9], s[0:1], 0xec
	s_wait_xcnt 0x0
	s_add_nc_u64 s[0:1], s[0:1], 24
	s_delay_alu instid0(VALU_DEP_1) | instskip(NEXT) | instid1(VALU_DEP_1)
	v_dual_add_nc_u32 v21, v20, v21 :: v_dual_sub_nc_u32 v22, v19, v22
	v_lshrrev_b32_e32 v19, s7, v21
	s_wait_kmcnt 0x0
	s_delay_alu instid0(VALU_DEP_2) | instskip(NEXT) | instid1(VALU_DEP_2)
	v_mad_u32 v15, v22, s12, v15
	v_mul_lo_u32 v21, v19, s11
	v_mad_u32 v17, v22, s14, v17
	v_mad_u32 v16, v22, s13, v16
	s_delay_alu instid0(VALU_DEP_3) | instskip(NEXT) | instid1(VALU_DEP_1)
	v_sub_nc_u32_e32 v20, v20, v21
	v_mad_u32 v15, v20, s15, v15
	s_delay_alu instid0(VALU_DEP_4) | instskip(NEXT) | instid1(VALU_DEP_4)
	v_mad_u32 v17, v20, s9, v17
	v_mad_u32 v16, v20, s8, v16
	s_cbranch_scc1 .LBB181_155
; %bb.156:
	s_bitcmp1_b32 s3, 0
	s_cselect_b32 s3, -1, 0
	s_delay_alu instid0(SALU_CYCLE_1)
	s_and_b32 vcc_lo, exec_lo, s3
	s_cbranch_vccnz .LBB181_159
; %bb.157:
	s_clause 0x1
	s_load_b96 s[4:6], s[0:1], 0x1c
	s_load_b96 s[8:10], s[0:1], 0xdc
	s_wait_kmcnt 0x0
	v_mul_hi_u32 v20, s5, v19
	s_delay_alu instid0(VALU_DEP_1) | instskip(NEXT) | instid1(VALU_DEP_1)
	v_add_nc_u32_e32 v20, v19, v20
	v_lshrrev_b32_e32 v20, s6, v20
	s_delay_alu instid0(VALU_DEP_1) | instskip(NEXT) | instid1(VALU_DEP_1)
	v_mul_lo_u32 v20, v20, s4
	v_sub_nc_u32_e32 v19, v19, v20
	s_delay_alu instid0(VALU_DEP_1)
	v_mad_u32 v15, v19, s8, v15
	v_mad_u32 v16, v19, s9, v16
	;; [unrolled: 1-line block ×3, first 2 shown]
	s_and_not1_b32 vcc_lo, exec_lo, s2
	s_cbranch_vccz .LBB181_160
	s_branch .LBB181_163
.LBB181_158:
	s_mov_b32 s2, -1
                                        ; implicit-def: $vgpr17
                                        ; implicit-def: $vgpr16
                                        ; implicit-def: $vgpr15
.LBB181_159:
	s_delay_alu instid0(SALU_CYCLE_1)
	s_and_not1_b32 vcc_lo, exec_lo, s2
	s_cbranch_vccnz .LBB181_163
.LBB181_160:
	s_clause 0x1
	s_load_b96 s[0:2], s[20:21], 0x4
	s_load_b96 s[4:6], s[20:21], 0xc4
	s_cmp_lt_u32 s26, 2
	s_wait_kmcnt 0x0
	v_mul_hi_u32 v15, s1, v18
	s_delay_alu instid0(VALU_DEP_1) | instskip(NEXT) | instid1(VALU_DEP_1)
	v_add_nc_u32_e32 v15, v18, v15
	v_lshrrev_b32_e32 v19, s2, v15
	s_delay_alu instid0(VALU_DEP_1) | instskip(NEXT) | instid1(VALU_DEP_1)
	v_mul_lo_u32 v15, v19, s0
	v_sub_nc_u32_e32 v16, v18, v15
	s_delay_alu instid0(VALU_DEP_1)
	v_mul_lo_u32 v15, v16, s4
	v_mul_lo_u32 v17, v16, s6
	;; [unrolled: 1-line block ×3, first 2 shown]
	s_cbranch_scc1 .LBB181_163
; %bb.161:
	s_clause 0x1
	s_load_b96 s[0:2], s[20:21], 0x10
	s_load_b96 s[4:6], s[20:21], 0xd0
	s_wait_kmcnt 0x0
	v_mul_hi_u32 v18, s1, v19
	s_delay_alu instid0(VALU_DEP_1) | instskip(NEXT) | instid1(VALU_DEP_1)
	v_add_nc_u32_e32 v18, v19, v18
	v_lshrrev_b32_e32 v18, s2, v18
	s_delay_alu instid0(VALU_DEP_1) | instskip(NEXT) | instid1(VALU_DEP_1)
	v_mul_lo_u32 v18, v18, s0
	v_sub_nc_u32_e32 v18, v19, v18
	s_delay_alu instid0(VALU_DEP_1)
	v_mad_u32 v15, v18, s4, v15
	v_mad_u32 v16, v18, s5, v16
	;; [unrolled: 1-line block ×3, first 2 shown]
	s_branch .LBB181_163
.LBB181_162:
	v_dual_mov_b32 v17, 0 :: v_dual_mov_b32 v16, 0
	v_mov_b32_e32 v15, 0
	s_and_not1_b32 vcc_lo, exec_lo, s2
	s_cbranch_vccz .LBB181_160
.LBB181_163:
	v_cmp_ne_u32_e32 vcc_lo, 1, v8
	v_add_nc_u32_e32 v21, 0x280, v0
	s_cbranch_vccnz .LBB181_169
; %bb.164:
	s_cmp_lg_u32 s26, 0
	s_mov_b32 s2, 0
	s_cbranch_scc0 .LBB181_173
; %bb.165:
	s_min_u32 s3, s27, 15
	v_dual_mov_b32 v18, 0 :: v_dual_mov_b32 v22, v21
	v_dual_mov_b32 v20, 0 :: v_dual_mov_b32 v19, 0
	s_add_co_i32 s4, s3, 1
	s_mov_b64 s[0:1], 0xffffffffffffffe8
	s_and_b32 s4, s4, 30
	s_add_nc_u64 s[0:1], s[20:21], s[0:1]
.LBB181_166:                            ; =>This Inner Loop Header: Depth=1
	s_clause 0x1
	s_load_b128 s[8:11], s[0:1], 0x1c
	s_load_b64 s[6:7], s[0:1], 0x2c
	s_add_co_i32 s4, s4, -2
	s_delay_alu instid0(SALU_CYCLE_1) | instskip(SKIP_2) | instid1(VALU_DEP_1)
	s_cmp_lg_u32 s4, 0
	s_wait_kmcnt 0x0
	v_mul_hi_u32 v23, s9, v22
	v_add_nc_u32_e32 v23, v22, v23
	s_delay_alu instid0(VALU_DEP_1) | instskip(NEXT) | instid1(VALU_DEP_1)
	v_lshrrev_b32_e32 v23, s10, v23
	v_mul_hi_u32 v24, s6, v23
	v_mul_lo_u32 v25, v23, s8
	s_clause 0x1
	s_load_b128 s[12:15], s[0:1], 0xdc
	s_load_b64 s[8:9], s[0:1], 0xec
	s_wait_xcnt 0x0
	s_add_nc_u64 s[0:1], s[0:1], 24
	s_delay_alu instid0(VALU_DEP_1) | instskip(NEXT) | instid1(VALU_DEP_1)
	v_dual_add_nc_u32 v24, v23, v24 :: v_dual_sub_nc_u32 v25, v22, v25
	v_lshrrev_b32_e32 v22, s7, v24
	s_wait_kmcnt 0x0
	s_delay_alu instid0(VALU_DEP_2) | instskip(NEXT) | instid1(VALU_DEP_2)
	v_mad_u32 v18, v25, s12, v18
	v_mul_lo_u32 v24, v22, s11
	v_mad_u32 v19, v25, s14, v19
	v_mad_u32 v20, v25, s13, v20
	s_delay_alu instid0(VALU_DEP_3) | instskip(NEXT) | instid1(VALU_DEP_1)
	v_sub_nc_u32_e32 v23, v23, v24
	v_mad_u32 v18, v23, s15, v18
	s_delay_alu instid0(VALU_DEP_4) | instskip(NEXT) | instid1(VALU_DEP_4)
	v_mad_u32 v19, v23, s9, v19
	v_mad_u32 v20, v23, s8, v20
	s_cbranch_scc1 .LBB181_166
; %bb.167:
	s_bitcmp1_b32 s3, 0
	s_cselect_b32 s3, -1, 0
	s_delay_alu instid0(SALU_CYCLE_1)
	s_and_b32 vcc_lo, exec_lo, s3
	s_cbranch_vccnz .LBB181_170
; %bb.168:
	s_clause 0x1
	s_load_b96 s[4:6], s[0:1], 0x1c
	s_load_b96 s[8:10], s[0:1], 0xdc
	s_wait_kmcnt 0x0
	v_mul_hi_u32 v23, s5, v22
	s_delay_alu instid0(VALU_DEP_1) | instskip(NEXT) | instid1(VALU_DEP_1)
	v_add_nc_u32_e32 v23, v22, v23
	v_lshrrev_b32_e32 v23, s6, v23
	s_delay_alu instid0(VALU_DEP_1) | instskip(NEXT) | instid1(VALU_DEP_1)
	v_mul_lo_u32 v23, v23, s4
	v_sub_nc_u32_e32 v22, v22, v23
	s_delay_alu instid0(VALU_DEP_1)
	v_mad_u32 v18, v22, s8, v18
	v_mad_u32 v20, v22, s9, v20
	;; [unrolled: 1-line block ×3, first 2 shown]
	s_and_not1_b32 vcc_lo, exec_lo, s2
	s_cbranch_vccz .LBB181_171
	s_branch .LBB181_174
.LBB181_169:
	s_mov_b32 s2, -1
                                        ; implicit-def: $vgpr19
                                        ; implicit-def: $vgpr20
                                        ; implicit-def: $vgpr18
.LBB181_170:
	s_delay_alu instid0(SALU_CYCLE_1)
	s_and_not1_b32 vcc_lo, exec_lo, s2
	s_cbranch_vccnz .LBB181_174
.LBB181_171:
	s_clause 0x1
	s_load_b96 s[0:2], s[20:21], 0x4
	s_load_b96 s[4:6], s[20:21], 0xc4
	s_cmp_lt_u32 s26, 2
	s_wait_kmcnt 0x0
	v_mul_hi_u32 v18, s1, v21
	s_delay_alu instid0(VALU_DEP_1) | instskip(NEXT) | instid1(VALU_DEP_1)
	v_add_nc_u32_e32 v18, v21, v18
	v_lshrrev_b32_e32 v22, s2, v18
	s_delay_alu instid0(VALU_DEP_1) | instskip(NEXT) | instid1(VALU_DEP_1)
	v_mul_lo_u32 v18, v22, s0
	v_sub_nc_u32_e32 v20, v21, v18
	s_delay_alu instid0(VALU_DEP_1)
	v_mul_lo_u32 v18, v20, s4
	v_mul_lo_u32 v19, v20, s6
	;; [unrolled: 1-line block ×3, first 2 shown]
	s_cbranch_scc1 .LBB181_174
; %bb.172:
	s_clause 0x1
	s_load_b96 s[0:2], s[20:21], 0x10
	s_load_b96 s[4:6], s[20:21], 0xd0
	s_wait_kmcnt 0x0
	v_mul_hi_u32 v21, s1, v22
	s_delay_alu instid0(VALU_DEP_1) | instskip(NEXT) | instid1(VALU_DEP_1)
	v_add_nc_u32_e32 v21, v22, v21
	v_lshrrev_b32_e32 v21, s2, v21
	s_delay_alu instid0(VALU_DEP_1) | instskip(NEXT) | instid1(VALU_DEP_1)
	v_mul_lo_u32 v21, v21, s0
	v_sub_nc_u32_e32 v21, v22, v21
	s_delay_alu instid0(VALU_DEP_1)
	v_mad_u32 v18, v21, s4, v18
	v_mad_u32 v20, v21, s5, v20
	;; [unrolled: 1-line block ×3, first 2 shown]
	s_branch .LBB181_174
.LBB181_173:
	v_dual_mov_b32 v19, 0 :: v_dual_mov_b32 v20, 0
	v_mov_b32_e32 v18, 0
	s_and_not1_b32 vcc_lo, exec_lo, s2
	s_cbranch_vccz .LBB181_171
.LBB181_174:
	v_cmp_ne_u32_e32 vcc_lo, 1, v8
	v_add_nc_u32_e32 v23, 0x300, v0
	s_cbranch_vccnz .LBB181_180
; %bb.175:
	s_cmp_lg_u32 s26, 0
	s_mov_b32 s2, 0
	s_cbranch_scc0 .LBB181_184
; %bb.176:
	s_min_u32 s3, s27, 15
	v_dual_mov_b32 v0, 0 :: v_dual_mov_b32 v24, v23
	v_dual_mov_b32 v22, 0 :: v_dual_mov_b32 v21, 0
	s_add_co_i32 s4, s3, 1
	s_mov_b64 s[0:1], 0xffffffffffffffe8
	s_and_b32 s4, s4, 30
	s_add_nc_u64 s[0:1], s[20:21], s[0:1]
.LBB181_177:                            ; =>This Inner Loop Header: Depth=1
	s_clause 0x1
	s_load_b128 s[8:11], s[0:1], 0x1c
	s_load_b64 s[6:7], s[0:1], 0x2c
	s_add_co_i32 s4, s4, -2
	s_delay_alu instid0(SALU_CYCLE_1) | instskip(SKIP_2) | instid1(VALU_DEP_1)
	s_cmp_lg_u32 s4, 0
	s_wait_kmcnt 0x0
	v_mul_hi_u32 v25, s9, v24
	v_add_nc_u32_e32 v25, v24, v25
	s_delay_alu instid0(VALU_DEP_1) | instskip(NEXT) | instid1(VALU_DEP_1)
	v_lshrrev_b32_e32 v25, s10, v25
	v_mul_hi_u32 v26, s6, v25
	v_mul_lo_u32 v27, v25, s8
	s_clause 0x1
	s_load_b128 s[12:15], s[0:1], 0xdc
	s_load_b64 s[8:9], s[0:1], 0xec
	s_wait_xcnt 0x0
	s_add_nc_u64 s[0:1], s[0:1], 24
	s_delay_alu instid0(VALU_DEP_1) | instskip(NEXT) | instid1(VALU_DEP_1)
	v_dual_add_nc_u32 v26, v25, v26 :: v_dual_sub_nc_u32 v27, v24, v27
	v_lshrrev_b32_e32 v24, s7, v26
	s_wait_kmcnt 0x0
	s_delay_alu instid0(VALU_DEP_2) | instskip(NEXT) | instid1(VALU_DEP_2)
	v_mad_u32 v0, v27, s12, v0
	v_mul_lo_u32 v26, v24, s11
	v_mad_u32 v21, v27, s14, v21
	v_mad_u32 v22, v27, s13, v22
	s_delay_alu instid0(VALU_DEP_3) | instskip(NEXT) | instid1(VALU_DEP_1)
	v_sub_nc_u32_e32 v25, v25, v26
	v_mad_u32 v0, v25, s15, v0
	s_delay_alu instid0(VALU_DEP_4) | instskip(NEXT) | instid1(VALU_DEP_4)
	v_mad_u32 v21, v25, s9, v21
	v_mad_u32 v22, v25, s8, v22
	s_cbranch_scc1 .LBB181_177
; %bb.178:
	s_bitcmp1_b32 s3, 0
	s_cselect_b32 s3, -1, 0
	s_delay_alu instid0(SALU_CYCLE_1)
	s_and_b32 vcc_lo, exec_lo, s3
	s_cbranch_vccnz .LBB181_181
; %bb.179:
	s_clause 0x1
	s_load_b96 s[4:6], s[0:1], 0x1c
	s_load_b96 s[8:10], s[0:1], 0xdc
	s_wait_kmcnt 0x0
	v_mul_hi_u32 v25, s5, v24
	s_delay_alu instid0(VALU_DEP_1) | instskip(NEXT) | instid1(VALU_DEP_1)
	v_add_nc_u32_e32 v25, v24, v25
	v_lshrrev_b32_e32 v25, s6, v25
	s_delay_alu instid0(VALU_DEP_1) | instskip(NEXT) | instid1(VALU_DEP_1)
	v_mul_lo_u32 v25, v25, s4
	v_sub_nc_u32_e32 v24, v24, v25
	s_delay_alu instid0(VALU_DEP_1)
	v_mad_u32 v0, v24, s8, v0
	v_mad_u32 v22, v24, s9, v22
	;; [unrolled: 1-line block ×3, first 2 shown]
	s_and_not1_b32 vcc_lo, exec_lo, s2
	s_cbranch_vccz .LBB181_182
	s_branch .LBB181_185
.LBB181_180:
	s_mov_b32 s2, -1
                                        ; implicit-def: $vgpr21
                                        ; implicit-def: $vgpr22
                                        ; implicit-def: $vgpr0
.LBB181_181:
	s_delay_alu instid0(SALU_CYCLE_1)
	s_and_not1_b32 vcc_lo, exec_lo, s2
	s_cbranch_vccnz .LBB181_185
.LBB181_182:
	s_clause 0x1
	s_load_b96 s[0:2], s[20:21], 0x4
	s_load_b96 s[4:6], s[20:21], 0xc4
	s_cmp_lt_u32 s26, 2
	s_wait_kmcnt 0x0
	v_mul_hi_u32 v0, s1, v23
	s_delay_alu instid0(VALU_DEP_1) | instskip(NEXT) | instid1(VALU_DEP_1)
	v_add_nc_u32_e32 v0, v23, v0
	v_lshrrev_b32_e32 v24, s2, v0
	s_delay_alu instid0(VALU_DEP_1) | instskip(NEXT) | instid1(VALU_DEP_1)
	v_mul_lo_u32 v0, v24, s0
	v_sub_nc_u32_e32 v22, v23, v0
	s_delay_alu instid0(VALU_DEP_1)
	v_mul_lo_u32 v0, v22, s4
	v_mul_lo_u32 v21, v22, s6
	;; [unrolled: 1-line block ×3, first 2 shown]
	s_cbranch_scc1 .LBB181_185
; %bb.183:
	s_clause 0x1
	s_load_b96 s[0:2], s[20:21], 0x10
	s_load_b96 s[4:6], s[20:21], 0xd0
	s_wait_kmcnt 0x0
	v_mul_hi_u32 v23, s1, v24
	s_delay_alu instid0(VALU_DEP_1) | instskip(NEXT) | instid1(VALU_DEP_1)
	v_add_nc_u32_e32 v23, v24, v23
	v_lshrrev_b32_e32 v23, s2, v23
	s_delay_alu instid0(VALU_DEP_1) | instskip(NEXT) | instid1(VALU_DEP_1)
	v_mul_lo_u32 v23, v23, s0
	v_sub_nc_u32_e32 v23, v24, v23
	s_delay_alu instid0(VALU_DEP_1)
	v_mad_u32 v0, v23, s4, v0
	v_mad_u32 v22, v23, s5, v22
	;; [unrolled: 1-line block ×3, first 2 shown]
	s_branch .LBB181_185
.LBB181_184:
	v_dual_mov_b32 v21, 0 :: v_dual_mov_b32 v22, 0
	v_mov_b32_e32 v0, 0
	s_and_not1_b32 vcc_lo, exec_lo, s2
	s_cbranch_vccz .LBB181_182
.LBB181_185:
	v_cmp_ne_u32_e32 vcc_lo, 1, v8
	s_cbranch_vccnz .LBB181_191
; %bb.186:
	s_cmp_lg_u32 s26, 0
	s_mov_b32 s2, 0
	s_cbranch_scc0 .LBB181_195
; %bb.187:
	s_min_u32 s3, s27, 15
	v_dual_mov_b32 v8, 0 :: v_dual_mov_b32 v25, v4
	v_dual_mov_b32 v24, 0 :: v_dual_mov_b32 v23, 0
	s_add_co_i32 s4, s3, 1
	s_mov_b64 s[0:1], 0xffffffffffffffe8
	s_and_b32 s4, s4, 30
	s_add_nc_u64 s[0:1], s[20:21], s[0:1]
.LBB181_188:                            ; =>This Inner Loop Header: Depth=1
	s_clause 0x1
	s_load_b128 s[8:11], s[0:1], 0x1c
	s_load_b64 s[6:7], s[0:1], 0x2c
	s_add_co_i32 s4, s4, -2
	s_delay_alu instid0(SALU_CYCLE_1) | instskip(SKIP_2) | instid1(VALU_DEP_1)
	s_cmp_lg_u32 s4, 0
	s_wait_kmcnt 0x0
	v_mul_hi_u32 v26, s9, v25
	v_add_nc_u32_e32 v26, v25, v26
	s_delay_alu instid0(VALU_DEP_1) | instskip(NEXT) | instid1(VALU_DEP_1)
	v_lshrrev_b32_e32 v26, s10, v26
	v_mul_hi_u32 v27, s6, v26
	v_mul_lo_u32 v28, v26, s8
	s_clause 0x1
	s_load_b128 s[12:15], s[0:1], 0xdc
	s_load_b64 s[8:9], s[0:1], 0xec
	s_wait_xcnt 0x0
	s_add_nc_u64 s[0:1], s[0:1], 24
	s_delay_alu instid0(VALU_DEP_1) | instskip(NEXT) | instid1(VALU_DEP_1)
	v_dual_add_nc_u32 v27, v26, v27 :: v_dual_sub_nc_u32 v28, v25, v28
	v_lshrrev_b32_e32 v25, s7, v27
	s_wait_kmcnt 0x0
	s_delay_alu instid0(VALU_DEP_2) | instskip(NEXT) | instid1(VALU_DEP_2)
	v_mad_u32 v8, v28, s12, v8
	v_mul_lo_u32 v27, v25, s11
	v_mad_u32 v23, v28, s14, v23
	v_mad_u32 v24, v28, s13, v24
	s_delay_alu instid0(VALU_DEP_3) | instskip(NEXT) | instid1(VALU_DEP_1)
	v_sub_nc_u32_e32 v26, v26, v27
	v_mad_u32 v8, v26, s15, v8
	s_delay_alu instid0(VALU_DEP_4) | instskip(NEXT) | instid1(VALU_DEP_4)
	v_mad_u32 v23, v26, s9, v23
	v_mad_u32 v24, v26, s8, v24
	s_cbranch_scc1 .LBB181_188
; %bb.189:
	s_bitcmp1_b32 s3, 0
	s_cselect_b32 s3, -1, 0
	s_delay_alu instid0(SALU_CYCLE_1)
	s_and_b32 vcc_lo, exec_lo, s3
	s_cbranch_vccnz .LBB181_192
; %bb.190:
	s_clause 0x1
	s_load_b96 s[4:6], s[0:1], 0x1c
	s_load_b96 s[8:10], s[0:1], 0xdc
	s_wait_kmcnt 0x0
	v_mul_hi_u32 v26, s5, v25
	s_delay_alu instid0(VALU_DEP_1) | instskip(NEXT) | instid1(VALU_DEP_1)
	v_add_nc_u32_e32 v26, v25, v26
	v_lshrrev_b32_e32 v26, s6, v26
	s_delay_alu instid0(VALU_DEP_1) | instskip(NEXT) | instid1(VALU_DEP_1)
	v_mul_lo_u32 v26, v26, s4
	v_sub_nc_u32_e32 v25, v25, v26
	s_delay_alu instid0(VALU_DEP_1)
	v_mad_u32 v8, v25, s8, v8
	v_mad_u32 v24, v25, s9, v24
	;; [unrolled: 1-line block ×3, first 2 shown]
	s_and_not1_b32 vcc_lo, exec_lo, s2
	s_cbranch_vccz .LBB181_193
	s_branch .LBB181_196
.LBB181_191:
	s_mov_b32 s2, -1
                                        ; implicit-def: $vgpr23
                                        ; implicit-def: $vgpr24
                                        ; implicit-def: $vgpr8
.LBB181_192:
	s_delay_alu instid0(SALU_CYCLE_1)
	s_and_not1_b32 vcc_lo, exec_lo, s2
	s_cbranch_vccnz .LBB181_196
.LBB181_193:
	s_clause 0x1
	s_load_b96 s[0:2], s[20:21], 0x4
	s_load_b96 s[4:6], s[20:21], 0xc4
	s_cmp_lt_u32 s26, 2
	s_wait_kmcnt 0x0
	v_mul_hi_u32 v8, s1, v4
	s_delay_alu instid0(VALU_DEP_1) | instskip(NEXT) | instid1(VALU_DEP_1)
	v_add_nc_u32_e32 v8, v4, v8
	v_lshrrev_b32_e32 v25, s2, v8
	s_delay_alu instid0(VALU_DEP_1) | instskip(NEXT) | instid1(VALU_DEP_1)
	v_mul_lo_u32 v8, v25, s0
	v_sub_nc_u32_e32 v4, v4, v8
	s_delay_alu instid0(VALU_DEP_1)
	v_mul_lo_u32 v8, v4, s4
	v_mul_lo_u32 v23, v4, s6
	;; [unrolled: 1-line block ×3, first 2 shown]
	s_cbranch_scc1 .LBB181_196
; %bb.194:
	s_clause 0x1
	s_load_b96 s[0:2], s[20:21], 0x10
	s_load_b96 s[4:6], s[20:21], 0xd0
	s_wait_kmcnt 0x0
	v_mul_hi_u32 v4, s1, v25
	s_delay_alu instid0(VALU_DEP_1) | instskip(NEXT) | instid1(VALU_DEP_1)
	v_add_nc_u32_e32 v4, v25, v4
	v_lshrrev_b32_e32 v4, s2, v4
	s_delay_alu instid0(VALU_DEP_1) | instskip(NEXT) | instid1(VALU_DEP_1)
	v_mul_lo_u32 v4, v4, s0
	v_sub_nc_u32_e32 v4, v25, v4
	s_delay_alu instid0(VALU_DEP_1)
	v_mad_u32 v8, v4, s4, v8
	v_mad_u32 v24, v4, s5, v24
	;; [unrolled: 1-line block ×3, first 2 shown]
	s_branch .LBB181_196
.LBB181_195:
	v_dual_mov_b32 v23, 0 :: v_dual_mov_b32 v24, 0
	v_mov_b32_e32 v8, 0
	s_and_not1_b32 vcc_lo, exec_lo, s2
	s_cbranch_vccz .LBB181_193
.LBB181_196:
	s_clause 0x1
	s_load_b128 s[0:3], s[20:21], 0x188
	s_load_b96 s[4:6], s[20:21], 0x198
	s_wait_kmcnt 0x0
	global_load_u16 v4, v2, s[2:3]
	global_load_u16 v25, v3, s[4:5]
	;; [unrolled: 1-line block ×15, first 2 shown]
                                        ; kill: killed $vgpr20
                                        ; kill: killed $vgpr3
                                        ; kill: killed $vgpr17
                                        ; kill: killed $vgpr11
                                        ; kill: killed $vgpr22
                                        ; kill: killed $vgpr7
                                        ; kill: killed $vgpr19
                                        ; kill: killed $vgpr14
                                        ; kill: killed $sgpr2_sgpr3
                                        ; kill: killed $vgpr24
                                        ; kill: killed $vgpr10
                                        ; kill: killed $vgpr2
                                        ; kill: killed $vgpr21
                                        ; kill: killed $vgpr16
                                        ; kill: killed $vgpr13
                                        ; kill: killed $vgpr6
	global_load_u16 v2, v23, s[4:5]
	s_cmp_eq_u32 s6, 0
	s_wait_loadcnt 0xe
	v_cmp_eq_f16_e32 vcc_lo, v4, v25
	s_wait_xcnt 0xe
	v_cndmask_b32_e64 v3, 0, 1, vcc_lo
	v_cmp_neq_f16_e32 vcc_lo, v4, v25
	v_cndmask_b32_e64 v4, 0, 1, vcc_lo
	s_wait_loadcnt 0xc
	v_cmp_eq_f16_e32 vcc_lo, v26, v27
	s_wait_xcnt 0xd
	v_cndmask_b32_e64 v6, 0, 1, vcc_lo
	v_cmp_neq_f16_e32 vcc_lo, v26, v27
	s_wait_xcnt 0xc
	v_cndmask_b32_e64 v7, 0, 1, vcc_lo
	s_wait_loadcnt 0xa
	v_cmp_eq_f16_e32 vcc_lo, v28, v29
	s_wait_xcnt 0xa
	v_cndmask_b32_e64 v10, 0, 1, vcc_lo
	v_cmp_neq_f16_e32 vcc_lo, v28, v29
	v_cndmask_b32_e64 v11, 0, 1, vcc_lo
	s_wait_loadcnt 0x8
	v_cmp_eq_f16_e32 vcc_lo, v30, v31
	s_wait_xcnt 0x8
	v_cndmask_b32_e64 v13, 0, 1, vcc_lo
	v_cmp_neq_f16_e32 vcc_lo, v30, v31
	;; [unrolled: 6-line block ×3, first 2 shown]
	s_wait_xcnt 0x6
	v_cndmask_b32_e64 v17, 0, 1, vcc_lo
	s_wait_loadcnt 0x4
	v_cmp_eq_f16_e32 vcc_lo, v34, v35
	s_wait_xcnt 0x4
	v_cndmask_b32_e64 v19, 0, 1, vcc_lo
	v_cmp_neq_f16_e32 vcc_lo, v34, v35
	v_cndmask_b32_e64 v20, 0, 1, vcc_lo
	s_wait_loadcnt 0x2
	v_cmp_eq_f16_e32 vcc_lo, v36, v37
	s_wait_xcnt 0x2
	v_cndmask_b32_e64 v21, 0, 1, vcc_lo
	v_cmp_neq_f16_e32 vcc_lo, v36, v37
	;; [unrolled: 6-line block ×3, first 2 shown]
	v_cndmask_b32_e64 v2, 0, 1, vcc_lo
	s_cselect_b32 vcc_lo, -1, 0
	v_dual_cndmask_b32 v3, v4, v3 :: v_dual_cndmask_b32 v4, v7, v6
	v_dual_cndmask_b32 v6, v11, v10 :: v_dual_cndmask_b32 v7, v14, v13
	;; [unrolled: 1-line block ×3, first 2 shown]
	s_delay_alu instid0(VALU_DEP_3) | instskip(NEXT) | instid1(VALU_DEP_4)
	v_dual_cndmask_b32 v13, v22, v21, vcc_lo :: v_dual_bitop2_b32 v3, 1, v3 bitop3:0x40
	v_dual_cndmask_b32 v2, v2, v23, vcc_lo :: v_dual_bitop2_b32 v4, 1, v4 bitop3:0x40
	s_delay_alu instid0(VALU_DEP_4)
	v_and_b32_e32 v6, 1, v6
	v_and_b32_e32 v7, 1, v7
	;; [unrolled: 1-line block ×6, first 2 shown]
	s_clause 0x7
	global_store_b8 v1, v3, s[0:1]
	global_store_b8 v5, v4, s[0:1]
	;; [unrolled: 1-line block ×8, first 2 shown]
	s_endpgm
	.section	.rodata,"a",@progbits
	.p2align	6, 0x0
	.amdhsa_kernel _ZN2at6native32elementwise_kernel_manual_unrollILi128ELi8EZNS0_22gpu_kernel_impl_nocastINS0_13BinaryFunctorIN3c104HalfES5_bNS0_12_GLOBAL__N_116CompareEqFunctorIS5_EEEEEEvRNS_18TensorIteratorBaseERKT_EUlibE_EEviT1_
		.amdhsa_group_segment_fixed_size 0
		.amdhsa_private_segment_fixed_size 0
		.amdhsa_kernarg_size 432
		.amdhsa_user_sgpr_count 2
		.amdhsa_user_sgpr_dispatch_ptr 0
		.amdhsa_user_sgpr_queue_ptr 0
		.amdhsa_user_sgpr_kernarg_segment_ptr 1
		.amdhsa_user_sgpr_dispatch_id 0
		.amdhsa_user_sgpr_kernarg_preload_length 0
		.amdhsa_user_sgpr_kernarg_preload_offset 0
		.amdhsa_user_sgpr_private_segment_size 0
		.amdhsa_wavefront_size32 1
		.amdhsa_uses_dynamic_stack 0
		.amdhsa_enable_private_segment 0
		.amdhsa_system_sgpr_workgroup_id_x 1
		.amdhsa_system_sgpr_workgroup_id_y 0
		.amdhsa_system_sgpr_workgroup_id_z 0
		.amdhsa_system_sgpr_workgroup_info 0
		.amdhsa_system_vgpr_workitem_id 0
		.amdhsa_next_free_vgpr 39
		.amdhsa_next_free_sgpr 46
		.amdhsa_named_barrier_count 0
		.amdhsa_reserve_vcc 1
		.amdhsa_float_round_mode_32 0
		.amdhsa_float_round_mode_16_64 0
		.amdhsa_float_denorm_mode_32 3
		.amdhsa_float_denorm_mode_16_64 3
		.amdhsa_fp16_overflow 0
		.amdhsa_memory_ordered 1
		.amdhsa_forward_progress 1
		.amdhsa_inst_pref_size 87
		.amdhsa_round_robin_scheduling 0
		.amdhsa_exception_fp_ieee_invalid_op 0
		.amdhsa_exception_fp_denorm_src 0
		.amdhsa_exception_fp_ieee_div_zero 0
		.amdhsa_exception_fp_ieee_overflow 0
		.amdhsa_exception_fp_ieee_underflow 0
		.amdhsa_exception_fp_ieee_inexact 0
		.amdhsa_exception_int_div_zero 0
	.end_amdhsa_kernel
	.section	.text._ZN2at6native32elementwise_kernel_manual_unrollILi128ELi8EZNS0_22gpu_kernel_impl_nocastINS0_13BinaryFunctorIN3c104HalfES5_bNS0_12_GLOBAL__N_116CompareEqFunctorIS5_EEEEEEvRNS_18TensorIteratorBaseERKT_EUlibE_EEviT1_,"axG",@progbits,_ZN2at6native32elementwise_kernel_manual_unrollILi128ELi8EZNS0_22gpu_kernel_impl_nocastINS0_13BinaryFunctorIN3c104HalfES5_bNS0_12_GLOBAL__N_116CompareEqFunctorIS5_EEEEEEvRNS_18TensorIteratorBaseERKT_EUlibE_EEviT1_,comdat
.Lfunc_end181:
	.size	_ZN2at6native32elementwise_kernel_manual_unrollILi128ELi8EZNS0_22gpu_kernel_impl_nocastINS0_13BinaryFunctorIN3c104HalfES5_bNS0_12_GLOBAL__N_116CompareEqFunctorIS5_EEEEEEvRNS_18TensorIteratorBaseERKT_EUlibE_EEviT1_, .Lfunc_end181-_ZN2at6native32elementwise_kernel_manual_unrollILi128ELi8EZNS0_22gpu_kernel_impl_nocastINS0_13BinaryFunctorIN3c104HalfES5_bNS0_12_GLOBAL__N_116CompareEqFunctorIS5_EEEEEEvRNS_18TensorIteratorBaseERKT_EUlibE_EEviT1_
                                        ; -- End function
	.set _ZN2at6native32elementwise_kernel_manual_unrollILi128ELi8EZNS0_22gpu_kernel_impl_nocastINS0_13BinaryFunctorIN3c104HalfES5_bNS0_12_GLOBAL__N_116CompareEqFunctorIS5_EEEEEEvRNS_18TensorIteratorBaseERKT_EUlibE_EEviT1_.num_vgpr, 39
	.set _ZN2at6native32elementwise_kernel_manual_unrollILi128ELi8EZNS0_22gpu_kernel_impl_nocastINS0_13BinaryFunctorIN3c104HalfES5_bNS0_12_GLOBAL__N_116CompareEqFunctorIS5_EEEEEEvRNS_18TensorIteratorBaseERKT_EUlibE_EEviT1_.num_agpr, 0
	.set _ZN2at6native32elementwise_kernel_manual_unrollILi128ELi8EZNS0_22gpu_kernel_impl_nocastINS0_13BinaryFunctorIN3c104HalfES5_bNS0_12_GLOBAL__N_116CompareEqFunctorIS5_EEEEEEvRNS_18TensorIteratorBaseERKT_EUlibE_EEviT1_.numbered_sgpr, 46
	.set _ZN2at6native32elementwise_kernel_manual_unrollILi128ELi8EZNS0_22gpu_kernel_impl_nocastINS0_13BinaryFunctorIN3c104HalfES5_bNS0_12_GLOBAL__N_116CompareEqFunctorIS5_EEEEEEvRNS_18TensorIteratorBaseERKT_EUlibE_EEviT1_.num_named_barrier, 0
	.set _ZN2at6native32elementwise_kernel_manual_unrollILi128ELi8EZNS0_22gpu_kernel_impl_nocastINS0_13BinaryFunctorIN3c104HalfES5_bNS0_12_GLOBAL__N_116CompareEqFunctorIS5_EEEEEEvRNS_18TensorIteratorBaseERKT_EUlibE_EEviT1_.private_seg_size, 0
	.set _ZN2at6native32elementwise_kernel_manual_unrollILi128ELi8EZNS0_22gpu_kernel_impl_nocastINS0_13BinaryFunctorIN3c104HalfES5_bNS0_12_GLOBAL__N_116CompareEqFunctorIS5_EEEEEEvRNS_18TensorIteratorBaseERKT_EUlibE_EEviT1_.uses_vcc, 1
	.set _ZN2at6native32elementwise_kernel_manual_unrollILi128ELi8EZNS0_22gpu_kernel_impl_nocastINS0_13BinaryFunctorIN3c104HalfES5_bNS0_12_GLOBAL__N_116CompareEqFunctorIS5_EEEEEEvRNS_18TensorIteratorBaseERKT_EUlibE_EEviT1_.uses_flat_scratch, 0
	.set _ZN2at6native32elementwise_kernel_manual_unrollILi128ELi8EZNS0_22gpu_kernel_impl_nocastINS0_13BinaryFunctorIN3c104HalfES5_bNS0_12_GLOBAL__N_116CompareEqFunctorIS5_EEEEEEvRNS_18TensorIteratorBaseERKT_EUlibE_EEviT1_.has_dyn_sized_stack, 0
	.set _ZN2at6native32elementwise_kernel_manual_unrollILi128ELi8EZNS0_22gpu_kernel_impl_nocastINS0_13BinaryFunctorIN3c104HalfES5_bNS0_12_GLOBAL__N_116CompareEqFunctorIS5_EEEEEEvRNS_18TensorIteratorBaseERKT_EUlibE_EEviT1_.has_recursion, 0
	.set _ZN2at6native32elementwise_kernel_manual_unrollILi128ELi8EZNS0_22gpu_kernel_impl_nocastINS0_13BinaryFunctorIN3c104HalfES5_bNS0_12_GLOBAL__N_116CompareEqFunctorIS5_EEEEEEvRNS_18TensorIteratorBaseERKT_EUlibE_EEviT1_.has_indirect_call, 0
	.section	.AMDGPU.csdata,"",@progbits
; Kernel info:
; codeLenInByte = 11072
; TotalNumSgprs: 48
; NumVgprs: 39
; ScratchSize: 0
; MemoryBound: 0
; FloatMode: 240
; IeeeMode: 1
; LDSByteSize: 0 bytes/workgroup (compile time only)
; SGPRBlocks: 0
; VGPRBlocks: 2
; NumSGPRsForWavesPerEU: 48
; NumVGPRsForWavesPerEU: 39
; NamedBarCnt: 0
; Occupancy: 16
; WaveLimiterHint : 1
; COMPUTE_PGM_RSRC2:SCRATCH_EN: 0
; COMPUTE_PGM_RSRC2:USER_SGPR: 2
; COMPUTE_PGM_RSRC2:TRAP_HANDLER: 0
; COMPUTE_PGM_RSRC2:TGID_X_EN: 1
; COMPUTE_PGM_RSRC2:TGID_Y_EN: 0
; COMPUTE_PGM_RSRC2:TGID_Z_EN: 0
; COMPUTE_PGM_RSRC2:TIDIG_COMP_CNT: 0
	.section	.text._ZN2at6native32elementwise_kernel_manual_unrollILi128ELi4EZNS0_15gpu_kernel_implINS0_13BinaryFunctorIN3c104HalfES5_bNS0_12_GLOBAL__N_116CompareEqFunctorIS5_EEEEEEvRNS_18TensorIteratorBaseERKT_EUlibE_EEviT1_,"axG",@progbits,_ZN2at6native32elementwise_kernel_manual_unrollILi128ELi4EZNS0_15gpu_kernel_implINS0_13BinaryFunctorIN3c104HalfES5_bNS0_12_GLOBAL__N_116CompareEqFunctorIS5_EEEEEEvRNS_18TensorIteratorBaseERKT_EUlibE_EEviT1_,comdat
	.globl	_ZN2at6native32elementwise_kernel_manual_unrollILi128ELi4EZNS0_15gpu_kernel_implINS0_13BinaryFunctorIN3c104HalfES5_bNS0_12_GLOBAL__N_116CompareEqFunctorIS5_EEEEEEvRNS_18TensorIteratorBaseERKT_EUlibE_EEviT1_ ; -- Begin function _ZN2at6native32elementwise_kernel_manual_unrollILi128ELi4EZNS0_15gpu_kernel_implINS0_13BinaryFunctorIN3c104HalfES5_bNS0_12_GLOBAL__N_116CompareEqFunctorIS5_EEEEEEvRNS_18TensorIteratorBaseERKT_EUlibE_EEviT1_
	.p2align	8
	.type	_ZN2at6native32elementwise_kernel_manual_unrollILi128ELi4EZNS0_15gpu_kernel_implINS0_13BinaryFunctorIN3c104HalfES5_bNS0_12_GLOBAL__N_116CompareEqFunctorIS5_EEEEEEvRNS_18TensorIteratorBaseERKT_EUlibE_EEviT1_,@function
_ZN2at6native32elementwise_kernel_manual_unrollILi128ELi4EZNS0_15gpu_kernel_implINS0_13BinaryFunctorIN3c104HalfES5_bNS0_12_GLOBAL__N_116CompareEqFunctorIS5_EEEEEEvRNS_18TensorIteratorBaseERKT_EUlibE_EEviT1_: ; @_ZN2at6native32elementwise_kernel_manual_unrollILi128ELi4EZNS0_15gpu_kernel_implINS0_13BinaryFunctorIN3c104HalfES5_bNS0_12_GLOBAL__N_116CompareEqFunctorIS5_EEEEEEvRNS_18TensorIteratorBaseERKT_EUlibE_EEviT1_
; %bb.0:
	s_load_b32 s3, s[0:1], 0x30
	s_bfe_u32 s8, ttmp6, 0x4000c
	s_clause 0x1
	s_load_b32 s19, s[0:1], 0x0
	s_load_b128 s[4:7], s[0:1], 0x8
	s_add_co_i32 s14, s8, 1
	s_clause 0x1
	s_load_b64 s[12:13], s[0:1], 0x18
	s_load_b128 s[8:11], s[0:1], 0x20
	s_and_b32 s2, ttmp6, 15
	s_wait_xcnt 0x0
	s_mul_i32 s0, ttmp9, s14
	s_getreg_b32 s15, hwreg(HW_REG_IB_STS2, 6, 4)
	s_add_co_i32 s2, s2, s0
	s_mov_b32 s18, 0
	s_wait_kmcnt 0x0
	s_lshr_b32 s16, s3, 8
	s_lshr_b32 s14, s3, 16
	s_cmp_eq_u32 s15, 0
	s_mov_b32 s15, 0
	s_cselect_b32 s0, ttmp9, s2
	s_delay_alu instid0(SALU_CYCLE_1) | instskip(SKIP_1) | instid1(VALU_DEP_1)
	v_lshl_or_b32 v6, s0, 9, v0
	s_mov_b32 s0, exec_lo
	v_or_b32_e32 v0, 0x180, v6
	s_delay_alu instid0(VALU_DEP_1)
	v_cmpx_le_i32_e64 s19, v0
	s_xor_b32 s17, exec_lo, s0
	s_cbranch_execz .LBB182_1547
; %bb.1:
	s_cmp_eq_u32 s11, 0
	s_mov_b32 s23, 0
	s_cselect_b32 s0, -1, 0
	s_mov_b32 s1, -1
	s_mov_b32 s21, 0
	s_mov_b32 s20, 0
	s_mov_b32 s22, exec_lo
	v_cmpx_gt_i32_e64 s19, v6
	s_cbranch_execz .LBB182_382
; %bb.2:
	v_mul_lo_u32 v0, v6, s9
	s_and_b32 s1, s16, 0xff
	s_delay_alu instid0(SALU_CYCLE_1) | instskip(NEXT) | instid1(VALU_DEP_1)
	s_cmp_lt_i32 s1, 11
	v_ashrrev_i32_e32 v1, 31, v0
	s_delay_alu instid0(VALU_DEP_1)
	v_add_nc_u64_e32 v[0:1], s[6:7], v[0:1]
	s_cbranch_scc1 .LBB182_9
; %bb.3:
	s_and_b32 s2, 0xffff, s1
	s_delay_alu instid0(SALU_CYCLE_1)
	s_cmp_gt_i32 s2, 25
	s_cbranch_scc0 .LBB182_18
; %bb.4:
	s_cmp_gt_i32 s2, 28
	s_cbranch_scc0 .LBB182_28
; %bb.5:
	;; [unrolled: 3-line block ×4, first 2 shown]
	s_cmp_eq_u32 s2, 46
	s_cbranch_scc0 .LBB182_37
; %bb.8:
	global_load_b32 v2, v[0:1], off
	s_mov_b32 s18, -1
	s_wait_loadcnt 0x0
	v_lshlrev_b32_e32 v2, 16, v2
	s_delay_alu instid0(VALU_DEP_1)
	v_cvt_f16_f32_e32 v2, v2
	s_branch .LBB182_39
.LBB182_9:
                                        ; implicit-def: $vgpr2
	s_cbranch_execnz .LBB182_105
.LBB182_10:
	s_and_not1_b32 vcc_lo, exec_lo, s18
	s_cbranch_vccnz .LBB182_152
.LBB182_11:
	s_wait_xcnt 0x0
	v_mul_lo_u32 v0, v6, s10
	s_and_b32 s1, s14, 0xff
	s_delay_alu instid0(SALU_CYCLE_1) | instskip(NEXT) | instid1(VALU_DEP_1)
	s_cmp_lt_i32 s1, 11
	v_ashrrev_i32_e32 v1, 31, v0
	s_delay_alu instid0(VALU_DEP_1)
	v_add_nc_u64_e32 v[0:1], s[12:13], v[0:1]
	s_cbranch_scc1 .LBB182_19
; %bb.12:
	s_and_b32 s2, 0xffff, s1
	s_delay_alu instid0(SALU_CYCLE_1)
	s_cmp_gt_i32 s2, 25
	s_cbranch_scc0 .LBB182_29
; %bb.13:
	s_cmp_gt_i32 s2, 28
	s_cbranch_scc0 .LBB182_32
; %bb.14:
	;; [unrolled: 3-line block ×4, first 2 shown]
	s_cmp_eq_u32 s2, 46
	s_mov_b32 s24, 0
	s_cbranch_scc0 .LBB182_153
; %bb.17:
	global_load_b32 v3, v[0:1], off
	s_mov_b32 s18, -1
	s_mov_b32 s20, 0
	s_wait_loadcnt 0x0
	v_lshlrev_b32_e32 v3, 16, v3
	s_delay_alu instid0(VALU_DEP_1)
	v_cvt_f16_f32_e32 v3, v3
	s_branch .LBB182_155
.LBB182_18:
                                        ; implicit-def: $vgpr2
	s_cbranch_execnz .LBB182_70
	s_branch .LBB182_104
.LBB182_19:
	s_mov_b32 s20, 0
	s_mov_b32 s18, 0
                                        ; implicit-def: $vgpr3
	s_cbranch_execnz .LBB182_331
.LBB182_20:
	s_and_not1_b32 vcc_lo, exec_lo, s18
	s_cbranch_vccnz .LBB182_379
.LBB182_21:
	s_wait_loadcnt 0x0
	s_delay_alu instid0(VALU_DEP_1) | instskip(SKIP_2) | instid1(SALU_CYCLE_1)
	v_cmp_eq_f16_e32 vcc_lo, v2, v3
	v_mul_lo_u32 v0, v6, s8
	s_and_b32 s18, s3, 0xff
	s_cmp_lt_i32 s18, 11
	v_cndmask_b32_e64 v1, 0, 1, vcc_lo
	v_cmp_neq_f16_e32 vcc_lo, v2, v3
	v_cndmask_b32_e64 v2, 0, 1, vcc_lo
	s_delay_alu instid0(VALU_DEP_1) | instskip(NEXT) | instid1(VALU_DEP_1)
	v_dual_cndmask_b32 v2, v2, v1, s0 :: v_dual_ashrrev_i32 v1, 31, v0
	v_and_b32_e32 v2, 1, v2
	s_delay_alu instid0(VALU_DEP_2) | instskip(NEXT) | instid1(VALU_DEP_2)
	v_add_nc_u64_e32 v[0:1], s[4:5], v[0:1]
	v_cmp_eq_u32_e64 s1, 1, v2
	s_cbranch_scc1 .LBB182_30
; %bb.22:
	s_and_b32 s24, 0xffff, s18
	s_delay_alu instid0(SALU_CYCLE_1)
	s_cmp_gt_i32 s24, 25
	s_cbranch_scc0 .LBB182_33
; %bb.23:
	s_cmp_gt_i32 s24, 28
	s_cbranch_scc0 .LBB182_36
; %bb.24:
	;; [unrolled: 3-line block ×4, first 2 shown]
	s_mov_b32 s26, 0
	s_mov_b32 s2, -1
	s_cmp_eq_u32 s24, 46
	s_mov_b32 s25, 0
	s_cbranch_scc0 .LBB182_159
; %bb.27:
	v_cndmask_b32_e64 v2, 0, 1.0, s1
	s_mov_b32 s25, -1
	s_mov_b32 s2, 0
	s_delay_alu instid0(VALU_DEP_1) | instskip(NEXT) | instid1(VALU_DEP_1)
	v_bfe_u32 v3, v2, 16, 1
	v_add3_u32 v2, v2, v3, 0x7fff
	s_delay_alu instid0(VALU_DEP_1)
	v_lshrrev_b32_e32 v2, 16, v2
	global_store_b32 v[0:1], v2, off
	s_branch .LBB182_159
.LBB182_28:
	s_mov_b32 s20, -1
                                        ; implicit-def: $vgpr2
	s_branch .LBB182_51
.LBB182_29:
	s_mov_b32 s24, -1
	s_mov_b32 s20, 0
	s_mov_b32 s18, 0
                                        ; implicit-def: $vgpr3
	s_branch .LBB182_295
.LBB182_30:
	s_mov_b32 s24, -1
	s_mov_b32 s2, 0
	s_mov_b32 s25, 0
	s_branch .LBB182_228
.LBB182_31:
	s_mov_b32 s20, -1
                                        ; implicit-def: $vgpr2
	s_branch .LBB182_46
.LBB182_32:
	s_mov_b32 s24, -1
	s_mov_b32 s20, 0
	s_mov_b32 s18, 0
                                        ; implicit-def: $vgpr3
	s_branch .LBB182_276
.LBB182_33:
	s_mov_b32 s26, -1
	s_mov_b32 s2, 0
	s_mov_b32 s25, 0
	s_branch .LBB182_186
.LBB182_34:
	s_mov_b32 s20, -1
	s_branch .LBB182_38
.LBB182_35:
	s_mov_b32 s24, -1
	s_mov_b32 s20, 0
	s_mov_b32 s18, 0
                                        ; implicit-def: $vgpr3
	s_branch .LBB182_271
.LBB182_36:
	s_mov_b32 s26, -1
	s_mov_b32 s2, 0
	s_mov_b32 s25, 0
	s_branch .LBB182_169
.LBB182_37:
	s_mov_b32 s21, -1
.LBB182_38:
                                        ; implicit-def: $vgpr2
.LBB182_39:
	s_and_b32 vcc_lo, exec_lo, s20
	s_cbranch_vccz .LBB182_45
; %bb.40:
	s_cmp_eq_u32 s2, 44
	s_cbranch_scc0 .LBB182_44
; %bb.41:
	global_load_u8 v2, v[0:1], off
	s_mov_b32 s21, 0
	s_mov_b32 s18, -1
	s_wait_loadcnt 0x0
	v_lshlrev_b32_e32 v3, 23, v2
	v_cmp_ne_u32_e32 vcc_lo, 0xff, v2
	s_delay_alu instid0(VALU_DEP_2) | instskip(NEXT) | instid1(VALU_DEP_1)
	v_cvt_f16_f32_e32 v3, v3
	v_cndmask_b32_e32 v3, 0x7e00, v3, vcc_lo
	v_cmp_ne_u32_e32 vcc_lo, 0, v2
	s_delay_alu instid0(VALU_DEP_2)
	v_cndmask_b32_e32 v2, 0, v3, vcc_lo
	s_branch .LBB182_45
.LBB182_42:
	s_mov_b32 s24, -1
	s_mov_b32 s20, 0
	s_branch .LBB182_154
.LBB182_43:
	s_mov_b32 s26, -1
	s_mov_b32 s2, 0
	s_mov_b32 s25, 0
	s_branch .LBB182_165
.LBB182_44:
	s_mov_b32 s21, -1
                                        ; implicit-def: $vgpr2
.LBB182_45:
	s_mov_b32 s20, 0
.LBB182_46:
	s_delay_alu instid0(SALU_CYCLE_1)
	s_and_b32 vcc_lo, exec_lo, s20
	s_cbranch_vccz .LBB182_50
; %bb.47:
	s_cmp_eq_u32 s2, 29
	s_cbranch_scc0 .LBB182_49
; %bb.48:
	global_load_b64 v[2:3], v[0:1], off
	s_mov_b32 s18, -1
	s_mov_b32 s21, 0
	s_mov_b32 s20, 0
	s_wait_loadcnt 0x0
	v_clz_i32_u32_e32 v4, v3
	s_delay_alu instid0(VALU_DEP_1) | instskip(NEXT) | instid1(VALU_DEP_1)
	v_min_u32_e32 v4, 32, v4
	v_lshlrev_b64_e32 v[2:3], v4, v[2:3]
	s_delay_alu instid0(VALU_DEP_1) | instskip(NEXT) | instid1(VALU_DEP_1)
	v_min_u32_e32 v2, 1, v2
	v_dual_sub_nc_u32 v3, 32, v4 :: v_dual_bitop2_b32 v2, v3, v2 bitop3:0x54
	s_delay_alu instid0(VALU_DEP_1) | instskip(NEXT) | instid1(VALU_DEP_1)
	v_cvt_f32_u32_e32 v2, v2
	v_ldexp_f32 v2, v2, v3
	s_delay_alu instid0(VALU_DEP_1)
	v_cvt_f16_f32_e32 v2, v2
	s_branch .LBB182_51
.LBB182_49:
	s_mov_b32 s21, -1
                                        ; implicit-def: $vgpr2
.LBB182_50:
	s_mov_b32 s20, 0
.LBB182_51:
	s_delay_alu instid0(SALU_CYCLE_1)
	s_and_b32 vcc_lo, exec_lo, s20
	s_cbranch_vccz .LBB182_69
; %bb.52:
	s_cmp_lt_i32 s2, 27
	s_cbranch_scc1 .LBB182_55
; %bb.53:
	s_cmp_gt_i32 s2, 27
	s_cbranch_scc0 .LBB182_56
; %bb.54:
	global_load_b32 v2, v[0:1], off
	s_mov_b32 s18, 0
	s_wait_loadcnt 0x0
	v_cvt_f32_u32_e32 v2, v2
	s_delay_alu instid0(VALU_DEP_1)
	v_cvt_f16_f32_e32 v2, v2
	s_branch .LBB182_57
.LBB182_55:
	s_mov_b32 s18, -1
                                        ; implicit-def: $vgpr2
	s_branch .LBB182_60
.LBB182_56:
	s_mov_b32 s18, -1
                                        ; implicit-def: $vgpr2
.LBB182_57:
	s_delay_alu instid0(SALU_CYCLE_1)
	s_and_not1_b32 vcc_lo, exec_lo, s18
	s_cbranch_vccnz .LBB182_59
; %bb.58:
	global_load_u16 v2, v[0:1], off
	s_wait_loadcnt 0x0
	v_cvt_f16_u16_e32 v2, v2
.LBB182_59:
	s_mov_b32 s18, 0
.LBB182_60:
	s_delay_alu instid0(SALU_CYCLE_1)
	s_and_not1_b32 vcc_lo, exec_lo, s18
	s_cbranch_vccnz .LBB182_68
; %bb.61:
	global_load_u8 v3, v[0:1], off
	s_mov_b32 s18, 0
	s_mov_b32 s20, exec_lo
	s_wait_loadcnt 0x0
	v_cmpx_lt_i16_e32 0x7f, v3
	s_xor_b32 s20, exec_lo, s20
	s_cbranch_execz .LBB182_81
; %bb.62:
	s_mov_b32 s18, -1
	s_mov_b32 s24, exec_lo
	v_cmpx_eq_u16_e32 0x80, v3
; %bb.63:
	s_xor_b32 s18, exec_lo, -1
; %bb.64:
	s_or_b32 exec_lo, exec_lo, s24
	s_delay_alu instid0(SALU_CYCLE_1)
	s_and_b32 s18, s18, exec_lo
	s_or_saveexec_b32 s20, s20
	v_mov_b32_e32 v2, 0x7e00
	s_xor_b32 exec_lo, exec_lo, s20
	s_cbranch_execnz .LBB182_82
.LBB182_65:
	s_or_b32 exec_lo, exec_lo, s20
	s_and_saveexec_b32 s20, s18
	s_cbranch_execz .LBB182_67
.LBB182_66:
	v_and_b32_e32 v2, 0xffff, v3
	s_delay_alu instid0(VALU_DEP_1) | instskip(SKIP_1) | instid1(VALU_DEP_2)
	v_and_b32_e32 v4, 7, v2
	v_bfe_u32 v8, v2, 3, 4
	v_clz_i32_u32_e32 v5, v4
	s_delay_alu instid0(VALU_DEP_2) | instskip(NEXT) | instid1(VALU_DEP_2)
	v_cmp_eq_u32_e32 vcc_lo, 0, v8
	v_min_u32_e32 v5, 32, v5
	s_delay_alu instid0(VALU_DEP_1) | instskip(NEXT) | instid1(VALU_DEP_1)
	v_subrev_nc_u32_e32 v7, 28, v5
	v_dual_lshlrev_b32 v2, v7, v2 :: v_dual_sub_nc_u32 v5, 29, v5
	s_delay_alu instid0(VALU_DEP_1) | instskip(NEXT) | instid1(VALU_DEP_2)
	v_dual_lshlrev_b32 v3, 24, v3 :: v_dual_bitop2_b32 v2, 7, v2 bitop3:0x40
	v_cndmask_b32_e32 v5, v8, v5, vcc_lo
	s_delay_alu instid0(VALU_DEP_2) | instskip(NEXT) | instid1(VALU_DEP_3)
	v_cndmask_b32_e32 v2, v4, v2, vcc_lo
	v_and_b32_e32 v3, 0x80000000, v3
	s_delay_alu instid0(VALU_DEP_3) | instskip(NEXT) | instid1(VALU_DEP_3)
	v_lshl_add_u32 v4, v5, 23, 0x3b800000
	v_lshlrev_b32_e32 v2, 20, v2
	s_delay_alu instid0(VALU_DEP_1) | instskip(NEXT) | instid1(VALU_DEP_1)
	v_or3_b32 v2, v3, v4, v2
	v_cvt_f16_f32_e32 v2, v2
.LBB182_67:
	s_or_b32 exec_lo, exec_lo, s20
.LBB182_68:
	s_mov_b32 s18, -1
.LBB182_69:
	s_branch .LBB182_104
.LBB182_70:
	s_cmp_gt_i32 s2, 22
	s_cbranch_scc0 .LBB182_80
; %bb.71:
	s_cmp_lt_i32 s2, 24
	s_cbranch_scc1 .LBB182_83
; %bb.72:
	s_cmp_gt_i32 s2, 24
	s_cbranch_scc0 .LBB182_84
; %bb.73:
	global_load_u8 v3, v[0:1], off
	s_mov_b32 s18, 0
	s_mov_b32 s20, exec_lo
	s_wait_loadcnt 0x0
	v_cmpx_lt_i16_e32 0x7f, v3
	s_xor_b32 s20, exec_lo, s20
	s_cbranch_execz .LBB182_96
; %bb.74:
	s_mov_b32 s18, -1
	s_mov_b32 s24, exec_lo
	v_cmpx_eq_u16_e32 0x80, v3
; %bb.75:
	s_xor_b32 s18, exec_lo, -1
; %bb.76:
	s_or_b32 exec_lo, exec_lo, s24
	s_delay_alu instid0(SALU_CYCLE_1)
	s_and_b32 s18, s18, exec_lo
	s_or_saveexec_b32 s20, s20
	v_mov_b32_e32 v2, 0x7e00
	s_xor_b32 exec_lo, exec_lo, s20
	s_cbranch_execnz .LBB182_97
.LBB182_77:
	s_or_b32 exec_lo, exec_lo, s20
	s_and_saveexec_b32 s20, s18
	s_cbranch_execz .LBB182_79
.LBB182_78:
	v_and_b32_e32 v2, 0xffff, v3
	s_delay_alu instid0(VALU_DEP_1) | instskip(SKIP_1) | instid1(VALU_DEP_2)
	v_and_b32_e32 v4, 3, v2
	v_bfe_u32 v8, v2, 2, 5
	v_clz_i32_u32_e32 v5, v4
	s_delay_alu instid0(VALU_DEP_2) | instskip(NEXT) | instid1(VALU_DEP_2)
	v_cmp_eq_u32_e32 vcc_lo, 0, v8
	v_min_u32_e32 v5, 32, v5
	s_delay_alu instid0(VALU_DEP_1) | instskip(NEXT) | instid1(VALU_DEP_1)
	v_subrev_nc_u32_e32 v7, 29, v5
	v_dual_lshlrev_b32 v2, v7, v2 :: v_dual_sub_nc_u32 v5, 30, v5
	s_delay_alu instid0(VALU_DEP_1) | instskip(NEXT) | instid1(VALU_DEP_2)
	v_dual_lshlrev_b32 v3, 24, v3 :: v_dual_bitop2_b32 v2, 3, v2 bitop3:0x40
	v_cndmask_b32_e32 v5, v8, v5, vcc_lo
	s_delay_alu instid0(VALU_DEP_2) | instskip(NEXT) | instid1(VALU_DEP_3)
	v_cndmask_b32_e32 v2, v4, v2, vcc_lo
	v_and_b32_e32 v3, 0x80000000, v3
	s_delay_alu instid0(VALU_DEP_3) | instskip(NEXT) | instid1(VALU_DEP_3)
	v_lshl_add_u32 v4, v5, 23, 0x37800000
	v_lshlrev_b32_e32 v2, 21, v2
	s_delay_alu instid0(VALU_DEP_1) | instskip(NEXT) | instid1(VALU_DEP_1)
	v_or3_b32 v2, v3, v4, v2
	v_cvt_f16_f32_e32 v2, v2
.LBB182_79:
	s_or_b32 exec_lo, exec_lo, s20
	s_mov_b32 s18, 0
	s_branch .LBB182_85
.LBB182_80:
	s_mov_b32 s20, -1
                                        ; implicit-def: $vgpr2
	s_branch .LBB182_91
.LBB182_81:
	s_or_saveexec_b32 s20, s20
	v_mov_b32_e32 v2, 0x7e00
	s_xor_b32 exec_lo, exec_lo, s20
	s_cbranch_execz .LBB182_65
.LBB182_82:
	v_cmp_ne_u16_e32 vcc_lo, 0, v3
	v_mov_b32_e32 v2, v3
	s_and_not1_b32 s18, s18, exec_lo
	s_and_b32 s24, vcc_lo, exec_lo
	s_delay_alu instid0(SALU_CYCLE_1)
	s_or_b32 s18, s18, s24
	s_or_b32 exec_lo, exec_lo, s20
	s_and_saveexec_b32 s20, s18
	s_cbranch_execnz .LBB182_66
	s_branch .LBB182_67
.LBB182_83:
	s_mov_b32 s18, -1
                                        ; implicit-def: $vgpr2
	s_branch .LBB182_88
.LBB182_84:
	s_mov_b32 s18, -1
                                        ; implicit-def: $vgpr2
.LBB182_85:
	s_delay_alu instid0(SALU_CYCLE_1)
	s_and_b32 vcc_lo, exec_lo, s18
	s_cbranch_vccz .LBB182_87
; %bb.86:
	global_load_u8 v2, v[0:1], off
	s_wait_loadcnt 0x0
	v_lshlrev_b32_e32 v2, 24, v2
	s_delay_alu instid0(VALU_DEP_1) | instskip(NEXT) | instid1(VALU_DEP_1)
	v_and_b32_e32 v3, 0x7f000000, v2
	v_clz_i32_u32_e32 v4, v3
	v_add_nc_u32_e32 v7, 0x1000000, v3
	v_cmp_ne_u32_e32 vcc_lo, 0, v3
	s_delay_alu instid0(VALU_DEP_3) | instskip(NEXT) | instid1(VALU_DEP_1)
	v_min_u32_e32 v4, 32, v4
	v_sub_nc_u32_e64 v4, v4, 4 clamp
	s_delay_alu instid0(VALU_DEP_1) | instskip(NEXT) | instid1(VALU_DEP_1)
	v_dual_lshlrev_b32 v5, v4, v3 :: v_dual_lshlrev_b32 v4, 23, v4
	v_lshrrev_b32_e32 v5, 4, v5
	s_delay_alu instid0(VALU_DEP_1) | instskip(NEXT) | instid1(VALU_DEP_1)
	v_dual_sub_nc_u32 v4, v5, v4 :: v_dual_ashrrev_i32 v5, 8, v7
	v_add_nc_u32_e32 v4, 0x3c000000, v4
	s_delay_alu instid0(VALU_DEP_1) | instskip(NEXT) | instid1(VALU_DEP_1)
	v_and_or_b32 v4, 0x7f800000, v5, v4
	v_cndmask_b32_e32 v3, 0, v4, vcc_lo
	s_delay_alu instid0(VALU_DEP_1) | instskip(NEXT) | instid1(VALU_DEP_1)
	v_and_or_b32 v2, 0x80000000, v2, v3
	v_cvt_f16_f32_e32 v2, v2
.LBB182_87:
	s_mov_b32 s18, 0
.LBB182_88:
	s_delay_alu instid0(SALU_CYCLE_1)
	s_and_not1_b32 vcc_lo, exec_lo, s18
	s_cbranch_vccnz .LBB182_90
; %bb.89:
	global_load_u8 v2, v[0:1], off
	s_wait_loadcnt 0x0
	v_lshlrev_b32_e32 v3, 25, v2
	v_lshlrev_b16 v2, 8, v2
	s_delay_alu instid0(VALU_DEP_1) | instskip(SKIP_1) | instid1(VALU_DEP_2)
	v_and_or_b32 v5, 0x7f00, v2, 0.5
	v_bfe_i32 v2, v2, 0, 16
	v_dual_add_f32 v5, -0.5, v5 :: v_dual_lshrrev_b32 v4, 4, v3
	v_cmp_gt_u32_e32 vcc_lo, 0x8000000, v3
	s_delay_alu instid0(VALU_DEP_2) | instskip(NEXT) | instid1(VALU_DEP_1)
	v_or_b32_e32 v4, 0x70000000, v4
	v_mul_f32_e32 v4, 0x7800000, v4
	s_delay_alu instid0(VALU_DEP_1) | instskip(NEXT) | instid1(VALU_DEP_1)
	v_cndmask_b32_e32 v3, v4, v5, vcc_lo
	v_and_or_b32 v2, 0x80000000, v2, v3
	s_delay_alu instid0(VALU_DEP_1)
	v_cvt_f16_f32_e32 v2, v2
.LBB182_90:
	s_mov_b32 s20, 0
	s_mov_b32 s18, -1
.LBB182_91:
	s_and_not1_b32 vcc_lo, exec_lo, s20
	s_cbranch_vccnz .LBB182_104
; %bb.92:
	s_cmp_gt_i32 s2, 14
	s_cbranch_scc0 .LBB182_95
; %bb.93:
	s_cmp_eq_u32 s2, 15
	s_cbranch_scc0 .LBB182_98
; %bb.94:
	global_load_u16 v2, v[0:1], off
	s_mov_b32 s18, -1
	s_mov_b32 s21, 0
	s_wait_loadcnt 0x0
	v_lshlrev_b32_e32 v2, 16, v2
	s_delay_alu instid0(VALU_DEP_1)
	v_cvt_f16_f32_e32 v2, v2
	s_branch .LBB182_99
.LBB182_95:
	s_mov_b32 s20, -1
                                        ; implicit-def: $vgpr2
	s_branch .LBB182_100
.LBB182_96:
	s_or_saveexec_b32 s20, s20
	v_mov_b32_e32 v2, 0x7e00
	s_xor_b32 exec_lo, exec_lo, s20
	s_cbranch_execz .LBB182_77
.LBB182_97:
	v_cmp_ne_u16_e32 vcc_lo, 0, v3
	v_mov_b32_e32 v2, v3
	s_and_not1_b32 s18, s18, exec_lo
	s_and_b32 s24, vcc_lo, exec_lo
	s_delay_alu instid0(SALU_CYCLE_1)
	s_or_b32 s18, s18, s24
	s_or_b32 exec_lo, exec_lo, s20
	s_and_saveexec_b32 s20, s18
	s_cbranch_execnz .LBB182_78
	s_branch .LBB182_79
.LBB182_98:
	s_mov_b32 s21, -1
                                        ; implicit-def: $vgpr2
.LBB182_99:
	s_mov_b32 s20, 0
.LBB182_100:
	s_delay_alu instid0(SALU_CYCLE_1)
	s_and_b32 vcc_lo, exec_lo, s20
	s_cbranch_vccz .LBB182_104
; %bb.101:
	s_cmp_eq_u32 s2, 11
	s_cbranch_scc0 .LBB182_103
; %bb.102:
	global_load_u8 v2, v[0:1], off
	s_mov_b32 s21, 0
	s_mov_b32 s18, -1
	s_wait_loadcnt 0x0
	v_cmp_ne_u16_e32 vcc_lo, 0, v2
	v_cndmask_b32_e64 v2, 0, 0x3c00, vcc_lo
	s_branch .LBB182_104
.LBB182_103:
	s_mov_b32 s21, -1
                                        ; implicit-def: $vgpr2
.LBB182_104:
	s_branch .LBB182_10
.LBB182_105:
	s_and_b32 s1, 0xffff, s1
	s_delay_alu instid0(SALU_CYCLE_1)
	s_cmp_lt_i32 s1, 5
	s_cbranch_scc1 .LBB182_110
; %bb.106:
	s_cmp_lt_i32 s1, 8
	s_cbranch_scc1 .LBB182_111
; %bb.107:
	;; [unrolled: 3-line block ×3, first 2 shown]
	s_cmp_gt_i32 s1, 9
	s_cbranch_scc0 .LBB182_113
; %bb.109:
	global_load_b64 v[2:3], v[0:1], off
	s_mov_b32 s2, 0
	s_wait_loadcnt 0x0
	v_and_or_b32 v2, 0x1ff, v3, v2
	v_lshrrev_b32_e32 v4, 8, v3
	v_bfe_u32 v5, v3, 20, 11
	v_lshrrev_b32_e32 v3, 16, v3
	s_delay_alu instid0(VALU_DEP_4) | instskip(NEXT) | instid1(VALU_DEP_3)
	v_cmp_ne_u32_e32 vcc_lo, 0, v2
	v_sub_nc_u32_e32 v7, 0x3f1, v5
	v_add_nc_u32_e32 v5, 0xfffffc10, v5
	v_cndmask_b32_e64 v2, 0, 1, vcc_lo
	s_delay_alu instid0(VALU_DEP_1) | instskip(NEXT) | instid1(VALU_DEP_4)
	v_and_or_b32 v2, 0xffe, v4, v2
	v_med3_i32 v4, v7, 0, 13
	s_delay_alu instid0(VALU_DEP_2) | instskip(NEXT) | instid1(VALU_DEP_1)
	v_or_b32_e32 v7, 0x1000, v2
	v_lshrrev_b32_e32 v8, v4, v7
	s_delay_alu instid0(VALU_DEP_1) | instskip(NEXT) | instid1(VALU_DEP_1)
	v_lshlrev_b32_e32 v4, v4, v8
	v_cmp_ne_u32_e32 vcc_lo, v4, v7
	v_lshl_or_b32 v7, v5, 12, v2
	v_cndmask_b32_e64 v4, 0, 1, vcc_lo
	v_cmp_gt_i32_e32 vcc_lo, 1, v5
	s_delay_alu instid0(VALU_DEP_2) | instskip(NEXT) | instid1(VALU_DEP_1)
	v_or_b32_e32 v4, v8, v4
	v_cndmask_b32_e32 v4, v7, v4, vcc_lo
	s_delay_alu instid0(VALU_DEP_1) | instskip(NEXT) | instid1(VALU_DEP_1)
	v_dual_lshrrev_b32 v4, 2, v4 :: v_dual_bitop2_b32 v7, 7, v4 bitop3:0x40
	v_cmp_lt_i32_e32 vcc_lo, 5, v7
	v_cndmask_b32_e64 v8, 0, 1, vcc_lo
	v_cmp_eq_u32_e32 vcc_lo, 3, v7
	v_cndmask_b32_e64 v7, 0, 1, vcc_lo
	v_cmp_ne_u32_e32 vcc_lo, 0, v2
	s_delay_alu instid0(VALU_DEP_2) | instskip(SKIP_1) | instid1(VALU_DEP_2)
	v_or_b32_e32 v7, v7, v8
	v_mov_b32_e32 v8, 0x7e00
	v_add_nc_u32_e32 v4, v4, v7
	s_delay_alu instid0(VALU_DEP_2) | instskip(SKIP_1) | instid1(VALU_DEP_3)
	v_cndmask_b32_e32 v2, 0x7c00, v8, vcc_lo
	v_cmp_gt_i32_e32 vcc_lo, 31, v5
	v_cndmask_b32_e32 v4, 0x7c00, v4, vcc_lo
	v_cmp_eq_u32_e32 vcc_lo, 0x40f, v5
	s_delay_alu instid0(VALU_DEP_2) | instskip(NEXT) | instid1(VALU_DEP_1)
	v_cndmask_b32_e32 v2, v4, v2, vcc_lo
	v_and_or_b32 v2, 0x8000, v3, v2
	s_branch .LBB182_114
.LBB182_110:
                                        ; implicit-def: $vgpr2
	s_branch .LBB182_132
.LBB182_111:
	s_mov_b32 s2, -1
                                        ; implicit-def: $vgpr2
	s_branch .LBB182_120
.LBB182_112:
	s_mov_b32 s2, -1
                                        ; implicit-def: $vgpr2
	s_branch .LBB182_117
.LBB182_113:
	s_mov_b32 s2, -1
                                        ; implicit-def: $vgpr2
.LBB182_114:
	s_delay_alu instid0(SALU_CYCLE_1)
	s_and_not1_b32 vcc_lo, exec_lo, s2
	s_cbranch_vccnz .LBB182_116
; %bb.115:
	global_load_b32 v2, v[0:1], off
	s_wait_loadcnt 0x0
	v_cvt_f16_f32_e32 v2, v2
.LBB182_116:
	s_mov_b32 s2, 0
.LBB182_117:
	s_delay_alu instid0(SALU_CYCLE_1)
	s_and_not1_b32 vcc_lo, exec_lo, s2
	s_cbranch_vccnz .LBB182_119
; %bb.118:
	global_load_b32 v2, v[0:1], off
.LBB182_119:
	s_mov_b32 s2, 0
.LBB182_120:
	s_delay_alu instid0(SALU_CYCLE_1)
	s_and_not1_b32 vcc_lo, exec_lo, s2
	s_cbranch_vccnz .LBB182_131
; %bb.121:
	s_cmp_lt_i32 s1, 6
	s_cbranch_scc1 .LBB182_124
; %bb.122:
	s_cmp_gt_i32 s1, 6
	s_cbranch_scc0 .LBB182_125
; %bb.123:
	s_wait_loadcnt 0x0
	global_load_b64 v[2:3], v[0:1], off
	s_mov_b32 s2, 0
	s_wait_loadcnt 0x0
	v_and_or_b32 v2, 0x1ff, v3, v2
	v_lshrrev_b32_e32 v4, 8, v3
	v_bfe_u32 v5, v3, 20, 11
	v_lshrrev_b32_e32 v3, 16, v3
	s_delay_alu instid0(VALU_DEP_4) | instskip(NEXT) | instid1(VALU_DEP_3)
	v_cmp_ne_u32_e32 vcc_lo, 0, v2
	v_sub_nc_u32_e32 v7, 0x3f1, v5
	v_add_nc_u32_e32 v5, 0xfffffc10, v5
	v_cndmask_b32_e64 v2, 0, 1, vcc_lo
	s_delay_alu instid0(VALU_DEP_1) | instskip(NEXT) | instid1(VALU_DEP_4)
	v_and_or_b32 v2, 0xffe, v4, v2
	v_med3_i32 v4, v7, 0, 13
	s_delay_alu instid0(VALU_DEP_2) | instskip(NEXT) | instid1(VALU_DEP_1)
	v_or_b32_e32 v7, 0x1000, v2
	v_lshrrev_b32_e32 v8, v4, v7
	s_delay_alu instid0(VALU_DEP_1) | instskip(NEXT) | instid1(VALU_DEP_1)
	v_lshlrev_b32_e32 v4, v4, v8
	v_cmp_ne_u32_e32 vcc_lo, v4, v7
	v_lshl_or_b32 v7, v5, 12, v2
	v_cndmask_b32_e64 v4, 0, 1, vcc_lo
	v_cmp_gt_i32_e32 vcc_lo, 1, v5
	s_delay_alu instid0(VALU_DEP_2) | instskip(NEXT) | instid1(VALU_DEP_1)
	v_or_b32_e32 v4, v8, v4
	v_cndmask_b32_e32 v4, v7, v4, vcc_lo
	s_delay_alu instid0(VALU_DEP_1) | instskip(NEXT) | instid1(VALU_DEP_1)
	v_dual_lshrrev_b32 v4, 2, v4 :: v_dual_bitop2_b32 v7, 7, v4 bitop3:0x40
	v_cmp_lt_i32_e32 vcc_lo, 5, v7
	v_cndmask_b32_e64 v8, 0, 1, vcc_lo
	v_cmp_eq_u32_e32 vcc_lo, 3, v7
	v_cndmask_b32_e64 v7, 0, 1, vcc_lo
	v_cmp_ne_u32_e32 vcc_lo, 0, v2
	s_delay_alu instid0(VALU_DEP_2) | instskip(SKIP_1) | instid1(VALU_DEP_2)
	v_or_b32_e32 v7, v7, v8
	v_mov_b32_e32 v8, 0x7e00
	v_add_nc_u32_e32 v4, v4, v7
	s_delay_alu instid0(VALU_DEP_2) | instskip(SKIP_1) | instid1(VALU_DEP_3)
	v_cndmask_b32_e32 v2, 0x7c00, v8, vcc_lo
	v_cmp_gt_i32_e32 vcc_lo, 31, v5
	v_cndmask_b32_e32 v4, 0x7c00, v4, vcc_lo
	v_cmp_eq_u32_e32 vcc_lo, 0x40f, v5
	s_delay_alu instid0(VALU_DEP_2) | instskip(NEXT) | instid1(VALU_DEP_1)
	v_cndmask_b32_e32 v2, v4, v2, vcc_lo
	v_and_or_b32 v2, 0x8000, v3, v2
	s_branch .LBB182_126
.LBB182_124:
	s_mov_b32 s2, -1
                                        ; implicit-def: $vgpr2
	s_branch .LBB182_129
.LBB182_125:
	s_mov_b32 s2, -1
                                        ; implicit-def: $vgpr2
.LBB182_126:
	s_delay_alu instid0(SALU_CYCLE_1)
	s_and_not1_b32 vcc_lo, exec_lo, s2
	s_cbranch_vccnz .LBB182_128
; %bb.127:
	s_wait_loadcnt 0x0
	global_load_b32 v2, v[0:1], off
	s_wait_loadcnt 0x0
	v_cvt_f16_f32_e32 v2, v2
.LBB182_128:
	s_mov_b32 s2, 0
.LBB182_129:
	s_delay_alu instid0(SALU_CYCLE_1)
	s_and_not1_b32 vcc_lo, exec_lo, s2
	s_cbranch_vccnz .LBB182_131
; %bb.130:
	s_wait_loadcnt 0x0
	global_load_u16 v2, v[0:1], off
.LBB182_131:
	s_cbranch_execnz .LBB182_151
.LBB182_132:
	s_cmp_lt_i32 s1, 2
	s_cbranch_scc1 .LBB182_136
; %bb.133:
	s_cmp_lt_i32 s1, 3
	s_cbranch_scc1 .LBB182_137
; %bb.134:
	s_cmp_gt_i32 s1, 3
	s_cbranch_scc0 .LBB182_138
; %bb.135:
	s_wait_loadcnt 0x0
	global_load_b64 v[2:3], v[0:1], off
	s_mov_b32 s2, 0
	s_wait_loadcnt 0x0
	v_xor_b32_e32 v4, v2, v3
	v_cls_i32_e32 v5, v3
	s_delay_alu instid0(VALU_DEP_2) | instskip(NEXT) | instid1(VALU_DEP_1)
	v_ashrrev_i32_e32 v4, 31, v4
	v_add_nc_u32_e32 v4, 32, v4
	s_delay_alu instid0(VALU_DEP_1) | instskip(NEXT) | instid1(VALU_DEP_1)
	v_add_min_u32_e64 v4, v5, -1, v4
	v_lshlrev_b64_e32 v[2:3], v4, v[2:3]
	s_delay_alu instid0(VALU_DEP_1) | instskip(NEXT) | instid1(VALU_DEP_1)
	v_min_u32_e32 v2, 1, v2
	v_dual_sub_nc_u32 v3, 32, v4 :: v_dual_bitop2_b32 v2, v3, v2 bitop3:0x54
	s_delay_alu instid0(VALU_DEP_1) | instskip(NEXT) | instid1(VALU_DEP_1)
	v_cvt_f32_i32_e32 v2, v2
	v_ldexp_f32 v2, v2, v3
	s_delay_alu instid0(VALU_DEP_1)
	v_cvt_f16_f32_e32 v2, v2
	s_branch .LBB182_139
.LBB182_136:
	s_mov_b32 s2, -1
                                        ; implicit-def: $vgpr2
	s_branch .LBB182_145
.LBB182_137:
	s_mov_b32 s2, -1
                                        ; implicit-def: $vgpr2
	s_branch .LBB182_142
.LBB182_138:
	s_mov_b32 s2, -1
                                        ; implicit-def: $vgpr2
.LBB182_139:
	s_delay_alu instid0(SALU_CYCLE_1)
	s_and_not1_b32 vcc_lo, exec_lo, s2
	s_cbranch_vccnz .LBB182_141
; %bb.140:
	s_wait_loadcnt 0x0
	global_load_b32 v2, v[0:1], off
	s_wait_loadcnt 0x0
	v_cvt_f32_i32_e32 v2, v2
	s_delay_alu instid0(VALU_DEP_1)
	v_cvt_f16_f32_e32 v2, v2
.LBB182_141:
	s_mov_b32 s2, 0
.LBB182_142:
	s_delay_alu instid0(SALU_CYCLE_1)
	s_and_not1_b32 vcc_lo, exec_lo, s2
	s_cbranch_vccnz .LBB182_144
; %bb.143:
	s_wait_loadcnt 0x0
	global_load_u16 v2, v[0:1], off
	s_wait_loadcnt 0x0
	v_cvt_f16_i16_e32 v2, v2
.LBB182_144:
	s_mov_b32 s2, 0
.LBB182_145:
	s_delay_alu instid0(SALU_CYCLE_1)
	s_and_not1_b32 vcc_lo, exec_lo, s2
	s_cbranch_vccnz .LBB182_151
; %bb.146:
	s_cmp_gt_i32 s1, 0
	s_mov_b32 s1, 0
	s_cbranch_scc0 .LBB182_148
; %bb.147:
	s_wait_loadcnt 0x0
	global_load_i8 v2, v[0:1], off
	s_wait_loadcnt 0x0
	v_cvt_f16_i16_e32 v2, v2
	s_branch .LBB182_149
.LBB182_148:
	s_mov_b32 s1, -1
                                        ; implicit-def: $vgpr2
.LBB182_149:
	s_delay_alu instid0(SALU_CYCLE_1)
	s_and_not1_b32 vcc_lo, exec_lo, s1
	s_cbranch_vccnz .LBB182_151
; %bb.150:
	global_load_u8 v0, v[0:1], off
	s_wait_loadcnt 0x0
	v_cvt_f16_u16_e32 v2, v0
.LBB182_151:
	s_branch .LBB182_11
.LBB182_152:
	s_mov_b32 s2, 0
	s_mov_b32 s20, 0
	s_branch .LBB182_380
.LBB182_153:
	s_mov_b32 s20, -1
.LBB182_154:
	s_mov_b32 s18, 0
                                        ; implicit-def: $vgpr3
.LBB182_155:
	s_and_b32 vcc_lo, exec_lo, s24
	s_cbranch_vccz .LBB182_270
; %bb.156:
	s_cmp_eq_u32 s2, 44
	s_cbranch_scc0 .LBB182_269
; %bb.157:
	global_load_u8 v3, v[0:1], off
	s_mov_b32 s20, 0
	s_mov_b32 s18, -1
	s_wait_loadcnt 0x0
	v_lshlrev_b32_e32 v4, 23, v3
	v_cmp_ne_u32_e32 vcc_lo, 0xff, v3
	s_delay_alu instid0(VALU_DEP_2) | instskip(NEXT) | instid1(VALU_DEP_1)
	v_cvt_f16_f32_e32 v4, v4
	v_cndmask_b32_e32 v4, 0x7e00, v4, vcc_lo
	v_cmp_ne_u32_e32 vcc_lo, 0, v3
	s_delay_alu instid0(VALU_DEP_2)
	v_cndmask_b32_e32 v3, 0, v4, vcc_lo
	s_branch .LBB182_270
.LBB182_158:
	s_mov_b32 s26, -1
	s_mov_b32 s2, 0
	s_mov_b32 s25, 0
.LBB182_159:
	s_and_b32 vcc_lo, exec_lo, s26
	s_cbranch_vccz .LBB182_164
; %bb.160:
	s_cmp_eq_u32 s24, 44
	s_mov_b32 s2, -1
	s_cbranch_scc0 .LBB182_164
; %bb.161:
	v_cndmask_b32_e64 v4, 0, 1.0, s1
	s_mov_b32 s25, exec_lo
	s_wait_xcnt 0x0
	s_delay_alu instid0(VALU_DEP_1) | instskip(NEXT) | instid1(VALU_DEP_1)
	v_dual_mov_b32 v3, 0xff :: v_dual_lshrrev_b32 v2, 23, v4
	v_cmpx_ne_u32_e32 0xff, v2
; %bb.162:
	v_and_b32_e32 v3, 0x400000, v4
	v_and_or_b32 v4, 0x3fffff, v4, v2
	s_delay_alu instid0(VALU_DEP_2) | instskip(NEXT) | instid1(VALU_DEP_2)
	v_cmp_ne_u32_e32 vcc_lo, 0, v3
	v_cmp_ne_u32_e64 s2, 0, v4
	s_and_b32 s2, vcc_lo, s2
	s_delay_alu instid0(SALU_CYCLE_1) | instskip(NEXT) | instid1(VALU_DEP_1)
	v_cndmask_b32_e64 v3, 0, 1, s2
	v_add_nc_u32_e32 v3, v2, v3
; %bb.163:
	s_or_b32 exec_lo, exec_lo, s25
	s_mov_b32 s25, -1
	s_mov_b32 s2, 0
	global_store_b8 v[0:1], v3, off
.LBB182_164:
	s_mov_b32 s26, 0
.LBB182_165:
	s_delay_alu instid0(SALU_CYCLE_1)
	s_and_b32 vcc_lo, exec_lo, s26
	s_cbranch_vccz .LBB182_168
; %bb.166:
	s_cmp_eq_u32 s24, 29
	s_mov_b32 s2, -1
	s_cbranch_scc0 .LBB182_168
; %bb.167:
	s_mov_b32 s2, 0
	s_wait_xcnt 0x0
	v_cndmask_b32_e64 v2, 0, 1, s1
	v_mov_b32_e32 v3, s2
	s_mov_b32 s25, -1
	s_mov_b32 s26, 0
	global_store_b64 v[0:1], v[2:3], off
	s_branch .LBB182_169
.LBB182_168:
	s_mov_b32 s26, 0
.LBB182_169:
	s_delay_alu instid0(SALU_CYCLE_1)
	s_and_b32 vcc_lo, exec_lo, s26
	s_cbranch_vccz .LBB182_185
; %bb.170:
	s_cmp_lt_i32 s24, 27
	s_mov_b32 s25, -1
	s_cbranch_scc1 .LBB182_176
; %bb.171:
	s_cmp_gt_i32 s24, 27
	s_cbranch_scc0 .LBB182_173
; %bb.172:
	s_wait_xcnt 0x0
	v_cndmask_b32_e64 v2, 0, 1, s1
	s_mov_b32 s25, 0
	global_store_b32 v[0:1], v2, off
.LBB182_173:
	s_and_not1_b32 vcc_lo, exec_lo, s25
	s_cbranch_vccnz .LBB182_175
; %bb.174:
	s_wait_xcnt 0x0
	v_cndmask_b32_e64 v2, 0, 1, s1
	global_store_b16 v[0:1], v2, off
.LBB182_175:
	s_mov_b32 s25, 0
.LBB182_176:
	s_delay_alu instid0(SALU_CYCLE_1)
	s_and_not1_b32 vcc_lo, exec_lo, s25
	s_cbranch_vccnz .LBB182_184
; %bb.177:
	s_wait_xcnt 0x0
	v_cndmask_b32_e64 v3, 0, 1.0, s1
	v_mov_b32_e32 v4, 0x80
	s_mov_b32 s25, exec_lo
	s_delay_alu instid0(VALU_DEP_2)
	v_cmpx_gt_u32_e32 0x43800000, v3
	s_cbranch_execz .LBB182_183
; %bb.178:
	s_mov_b32 s26, 0
	s_mov_b32 s27, exec_lo
                                        ; implicit-def: $vgpr2
	v_cmpx_lt_u32_e32 0x3bffffff, v3
	s_xor_b32 s27, exec_lo, s27
	s_cbranch_execz .LBB182_411
; %bb.179:
	v_bfe_u32 v2, v3, 20, 1
	s_mov_b32 s26, exec_lo
	s_delay_alu instid0(VALU_DEP_1) | instskip(NEXT) | instid1(VALU_DEP_1)
	v_add3_u32 v2, v3, v2, 0x487ffff
                                        ; implicit-def: $vgpr3
	v_lshrrev_b32_e32 v2, 20, v2
	s_and_not1_saveexec_b32 s27, s27
	s_cbranch_execnz .LBB182_412
.LBB182_180:
	s_or_b32 exec_lo, exec_lo, s27
	v_mov_b32_e32 v4, 0
	s_and_saveexec_b32 s27, s26
.LBB182_181:
	v_mov_b32_e32 v4, v2
.LBB182_182:
	s_or_b32 exec_lo, exec_lo, s27
.LBB182_183:
	s_delay_alu instid0(SALU_CYCLE_1)
	s_or_b32 exec_lo, exec_lo, s25
	global_store_b8 v[0:1], v4, off
.LBB182_184:
	s_mov_b32 s25, -1
.LBB182_185:
	s_mov_b32 s26, 0
.LBB182_186:
	s_delay_alu instid0(SALU_CYCLE_1)
	s_and_b32 vcc_lo, exec_lo, s26
	s_cbranch_vccz .LBB182_227
; %bb.187:
	s_cmp_gt_i32 s24, 22
	s_mov_b32 s26, -1
	s_cbranch_scc0 .LBB182_219
; %bb.188:
	s_cmp_lt_i32 s24, 24
	s_mov_b32 s25, -1
	s_cbranch_scc1 .LBB182_208
; %bb.189:
	s_cmp_gt_i32 s24, 24
	s_cbranch_scc0 .LBB182_197
; %bb.190:
	s_wait_xcnt 0x0
	v_cndmask_b32_e64 v3, 0, 1.0, s1
	v_mov_b32_e32 v4, 0x80
	s_mov_b32 s25, exec_lo
	s_delay_alu instid0(VALU_DEP_2)
	v_cmpx_gt_u32_e32 0x47800000, v3
	s_cbranch_execz .LBB182_196
; %bb.191:
	s_mov_b32 s26, 0
	s_mov_b32 s27, exec_lo
                                        ; implicit-def: $vgpr2
	v_cmpx_lt_u32_e32 0x37ffffff, v3
	s_xor_b32 s27, exec_lo, s27
	s_cbranch_execz .LBB182_530
; %bb.192:
	v_bfe_u32 v2, v3, 21, 1
	s_mov_b32 s26, exec_lo
	s_delay_alu instid0(VALU_DEP_1) | instskip(NEXT) | instid1(VALU_DEP_1)
	v_add3_u32 v2, v3, v2, 0x88fffff
                                        ; implicit-def: $vgpr3
	v_lshrrev_b32_e32 v2, 21, v2
	s_and_not1_saveexec_b32 s27, s27
	s_cbranch_execnz .LBB182_531
.LBB182_193:
	s_or_b32 exec_lo, exec_lo, s27
	v_mov_b32_e32 v4, 0
	s_and_saveexec_b32 s27, s26
.LBB182_194:
	v_mov_b32_e32 v4, v2
.LBB182_195:
	s_or_b32 exec_lo, exec_lo, s27
.LBB182_196:
	s_delay_alu instid0(SALU_CYCLE_1)
	s_or_b32 exec_lo, exec_lo, s25
	s_mov_b32 s25, 0
	global_store_b8 v[0:1], v4, off
.LBB182_197:
	s_and_b32 vcc_lo, exec_lo, s25
	s_cbranch_vccz .LBB182_207
; %bb.198:
	s_wait_xcnt 0x0
	v_cndmask_b32_e64 v3, 0, 1.0, s1
	s_mov_b32 s25, exec_lo
                                        ; implicit-def: $vgpr2
	s_delay_alu instid0(VALU_DEP_1)
	v_cmpx_gt_u32_e32 0x43f00000, v3
	s_xor_b32 s25, exec_lo, s25
	s_cbranch_execz .LBB182_204
; %bb.199:
	s_mov_b32 s26, exec_lo
                                        ; implicit-def: $vgpr2
	v_cmpx_lt_u32_e32 0x3c7fffff, v3
	s_xor_b32 s26, exec_lo, s26
; %bb.200:
	v_bfe_u32 v2, v3, 20, 1
	s_delay_alu instid0(VALU_DEP_1) | instskip(NEXT) | instid1(VALU_DEP_1)
	v_add3_u32 v2, v3, v2, 0x407ffff
	v_and_b32_e32 v3, 0xff00000, v2
	v_lshrrev_b32_e32 v2, 20, v2
	s_delay_alu instid0(VALU_DEP_2) | instskip(NEXT) | instid1(VALU_DEP_2)
	v_cmp_ne_u32_e32 vcc_lo, 0x7f00000, v3
                                        ; implicit-def: $vgpr3
	v_cndmask_b32_e32 v2, 0x7e, v2, vcc_lo
; %bb.201:
	s_and_not1_saveexec_b32 s26, s26
; %bb.202:
	v_add_f32_e32 v2, 0x46800000, v3
; %bb.203:
	s_or_b32 exec_lo, exec_lo, s26
                                        ; implicit-def: $vgpr3
.LBB182_204:
	s_and_not1_saveexec_b32 s25, s25
; %bb.205:
	v_mov_b32_e32 v2, 0x7f
	v_cmp_lt_u32_e32 vcc_lo, 0x7f800000, v3
	s_delay_alu instid0(VALU_DEP_2)
	v_cndmask_b32_e32 v2, 0x7e, v2, vcc_lo
; %bb.206:
	s_or_b32 exec_lo, exec_lo, s25
	global_store_b8 v[0:1], v2, off
.LBB182_207:
	s_mov_b32 s25, 0
.LBB182_208:
	s_delay_alu instid0(SALU_CYCLE_1)
	s_and_not1_b32 vcc_lo, exec_lo, s25
	s_cbranch_vccnz .LBB182_218
; %bb.209:
	s_wait_xcnt 0x0
	v_cndmask_b32_e64 v3, 0, 1.0, s1
	s_mov_b32 s25, exec_lo
                                        ; implicit-def: $vgpr2
	s_delay_alu instid0(VALU_DEP_1)
	v_cmpx_gt_u32_e32 0x47800000, v3
	s_xor_b32 s25, exec_lo, s25
	s_cbranch_execz .LBB182_215
; %bb.210:
	s_mov_b32 s26, exec_lo
                                        ; implicit-def: $vgpr2
	v_cmpx_lt_u32_e32 0x387fffff, v3
	s_xor_b32 s26, exec_lo, s26
; %bb.211:
	v_bfe_u32 v2, v3, 21, 1
	s_delay_alu instid0(VALU_DEP_1) | instskip(NEXT) | instid1(VALU_DEP_1)
	v_add3_u32 v2, v3, v2, 0x80fffff
                                        ; implicit-def: $vgpr3
	v_lshrrev_b32_e32 v2, 21, v2
; %bb.212:
	s_and_not1_saveexec_b32 s26, s26
; %bb.213:
	v_add_f32_e32 v2, 0x43000000, v3
; %bb.214:
	s_or_b32 exec_lo, exec_lo, s26
                                        ; implicit-def: $vgpr3
.LBB182_215:
	s_and_not1_saveexec_b32 s25, s25
; %bb.216:
	v_mov_b32_e32 v2, 0x7f
	v_cmp_lt_u32_e32 vcc_lo, 0x7f800000, v3
	s_delay_alu instid0(VALU_DEP_2)
	v_cndmask_b32_e32 v2, 0x7c, v2, vcc_lo
; %bb.217:
	s_or_b32 exec_lo, exec_lo, s25
	global_store_b8 v[0:1], v2, off
.LBB182_218:
	s_mov_b32 s26, 0
	s_mov_b32 s25, -1
.LBB182_219:
	s_and_not1_b32 vcc_lo, exec_lo, s26
	s_cbranch_vccnz .LBB182_227
; %bb.220:
	s_cmp_gt_i32 s24, 14
	s_mov_b32 s26, -1
	s_cbranch_scc0 .LBB182_224
; %bb.221:
	s_cmp_eq_u32 s24, 15
	s_mov_b32 s2, -1
	s_cbranch_scc0 .LBB182_223
; %bb.222:
	s_wait_xcnt 0x0
	v_cndmask_b32_e64 v2, 0, 1.0, s1
	s_mov_b32 s25, -1
	s_mov_b32 s2, 0
	s_delay_alu instid0(VALU_DEP_1) | instskip(NEXT) | instid1(VALU_DEP_1)
	v_bfe_u32 v3, v2, 16, 1
	v_add3_u32 v2, v2, v3, 0x7fff
	global_store_d16_hi_b16 v[0:1], v2, off
.LBB182_223:
	s_mov_b32 s26, 0
.LBB182_224:
	s_delay_alu instid0(SALU_CYCLE_1)
	s_and_b32 vcc_lo, exec_lo, s26
	s_cbranch_vccz .LBB182_227
; %bb.225:
	s_cmp_eq_u32 s24, 11
	s_mov_b32 s2, -1
	s_cbranch_scc0 .LBB182_227
; %bb.226:
	s_wait_xcnt 0x0
	v_cndmask_b32_e64 v2, 0, 1, s1
	s_mov_b32 s25, -1
	s_mov_b32 s2, 0
	global_store_b8 v[0:1], v2, off
.LBB182_227:
	s_mov_b32 s24, 0
.LBB182_228:
	s_delay_alu instid0(SALU_CYCLE_1)
	s_and_b32 vcc_lo, exec_lo, s24
	s_cbranch_vccz .LBB182_267
; %bb.229:
	s_and_b32 s18, 0xffff, s18
	s_mov_b32 s24, -1
	s_cmp_lt_i32 s18, 5
	s_cbranch_scc1 .LBB182_250
; %bb.230:
	s_cmp_lt_i32 s18, 8
	s_cbranch_scc1 .LBB182_240
; %bb.231:
	;; [unrolled: 3-line block ×3, first 2 shown]
	s_cmp_gt_i32 s18, 9
	s_cbranch_scc0 .LBB182_234
; %bb.233:
	s_wait_xcnt 0x0
	v_cndmask_b32_e64 v2, 0, 1, s1
	v_mov_b32_e32 v4, 0
	s_mov_b32 s24, 0
	s_delay_alu instid0(VALU_DEP_2) | instskip(NEXT) | instid1(VALU_DEP_2)
	v_cvt_f64_u32_e32 v[2:3], v2
	v_mov_b32_e32 v5, v4
	global_store_b128 v[0:1], v[2:5], off
.LBB182_234:
	s_and_not1_b32 vcc_lo, exec_lo, s24
	s_cbranch_vccnz .LBB182_236
; %bb.235:
	s_wait_xcnt 0x0
	v_cndmask_b32_e64 v2, 0, 1.0, s1
	v_mov_b32_e32 v3, 0
	global_store_b64 v[0:1], v[2:3], off
.LBB182_236:
	s_mov_b32 s24, 0
.LBB182_237:
	s_delay_alu instid0(SALU_CYCLE_1)
	s_and_not1_b32 vcc_lo, exec_lo, s24
	s_cbranch_vccnz .LBB182_239
; %bb.238:
	s_wait_xcnt 0x0
	v_cndmask_b32_e64 v2, 0, 1.0, s1
	s_delay_alu instid0(VALU_DEP_1) | instskip(NEXT) | instid1(VALU_DEP_1)
	v_cvt_f16_f32_e32 v2, v2
	v_and_b32_e32 v2, 0xffff, v2
	global_store_b32 v[0:1], v2, off
.LBB182_239:
	s_mov_b32 s24, 0
.LBB182_240:
	s_delay_alu instid0(SALU_CYCLE_1)
	s_and_not1_b32 vcc_lo, exec_lo, s24
	s_cbranch_vccnz .LBB182_249
; %bb.241:
	s_cmp_lt_i32 s18, 6
	s_mov_b32 s24, -1
	s_cbranch_scc1 .LBB182_247
; %bb.242:
	s_cmp_gt_i32 s18, 6
	s_cbranch_scc0 .LBB182_244
; %bb.243:
	s_wait_xcnt 0x0
	v_cndmask_b32_e64 v2, 0, 1, s1
	s_mov_b32 s24, 0
	s_delay_alu instid0(VALU_DEP_1)
	v_cvt_f64_u32_e32 v[2:3], v2
	global_store_b64 v[0:1], v[2:3], off
.LBB182_244:
	s_and_not1_b32 vcc_lo, exec_lo, s24
	s_cbranch_vccnz .LBB182_246
; %bb.245:
	s_wait_xcnt 0x0
	v_cndmask_b32_e64 v2, 0, 1.0, s1
	global_store_b32 v[0:1], v2, off
.LBB182_246:
	s_mov_b32 s24, 0
.LBB182_247:
	s_delay_alu instid0(SALU_CYCLE_1)
	s_and_not1_b32 vcc_lo, exec_lo, s24
	s_cbranch_vccnz .LBB182_249
; %bb.248:
	s_wait_xcnt 0x0
	v_cndmask_b32_e64 v2, 0, 1.0, s1
	s_delay_alu instid0(VALU_DEP_1)
	v_cvt_f16_f32_e32 v2, v2
	global_store_b16 v[0:1], v2, off
.LBB182_249:
	s_mov_b32 s24, 0
.LBB182_250:
	s_delay_alu instid0(SALU_CYCLE_1)
	s_and_not1_b32 vcc_lo, exec_lo, s24
	s_cbranch_vccnz .LBB182_266
; %bb.251:
	s_cmp_lt_i32 s18, 2
	s_mov_b32 s24, -1
	s_cbranch_scc1 .LBB182_261
; %bb.252:
	s_cmp_lt_i32 s18, 3
	s_cbranch_scc1 .LBB182_258
; %bb.253:
	s_cmp_gt_i32 s18, 3
	s_cbranch_scc0 .LBB182_255
; %bb.254:
	s_mov_b32 s24, 0
	s_wait_xcnt 0x0
	v_cndmask_b32_e64 v2, 0, 1, s1
	v_mov_b32_e32 v3, s24
	global_store_b64 v[0:1], v[2:3], off
.LBB182_255:
	s_and_not1_b32 vcc_lo, exec_lo, s24
	s_cbranch_vccnz .LBB182_257
; %bb.256:
	s_wait_xcnt 0x0
	v_cndmask_b32_e64 v2, 0, 1, s1
	global_store_b32 v[0:1], v2, off
.LBB182_257:
	s_mov_b32 s24, 0
.LBB182_258:
	s_delay_alu instid0(SALU_CYCLE_1)
	s_and_not1_b32 vcc_lo, exec_lo, s24
	s_cbranch_vccnz .LBB182_260
; %bb.259:
	s_wait_xcnt 0x0
	v_cndmask_b32_e64 v2, 0, 1, s1
	global_store_b16 v[0:1], v2, off
.LBB182_260:
	s_mov_b32 s24, 0
.LBB182_261:
	s_delay_alu instid0(SALU_CYCLE_1)
	s_and_not1_b32 vcc_lo, exec_lo, s24
	s_cbranch_vccnz .LBB182_266
; %bb.262:
	s_wait_xcnt 0x0
	v_cndmask_b32_e64 v2, 0, 1, s1
	s_cmp_gt_i32 s18, 0
	s_mov_b32 s1, -1
	s_cbranch_scc0 .LBB182_264
; %bb.263:
	s_mov_b32 s1, 0
	global_store_b8 v[0:1], v2, off
.LBB182_264:
	s_and_not1_b32 vcc_lo, exec_lo, s1
	s_cbranch_vccnz .LBB182_266
; %bb.265:
	global_store_b8 v[0:1], v2, off
.LBB182_266:
	s_mov_b32 s25, -1
.LBB182_267:
	s_delay_alu instid0(SALU_CYCLE_1)
	s_and_not1_b32 vcc_lo, exec_lo, s25
	s_cbranch_vccnz .LBB182_380
; %bb.268:
	v_add_nc_u32_e32 v6, 0x80, v6
	s_mov_b32 s1, -1
	s_branch .LBB182_381
.LBB182_269:
	s_mov_b32 s20, -1
                                        ; implicit-def: $vgpr3
.LBB182_270:
	s_mov_b32 s24, 0
.LBB182_271:
	s_delay_alu instid0(SALU_CYCLE_1)
	s_and_b32 vcc_lo, exec_lo, s24
	s_cbranch_vccz .LBB182_275
; %bb.272:
	s_cmp_eq_u32 s2, 29
	s_cbranch_scc0 .LBB182_274
; %bb.273:
	global_load_b64 v[4:5], v[0:1], off
	s_mov_b32 s18, -1
	s_mov_b32 s20, 0
	s_mov_b32 s24, 0
	s_wait_loadcnt 0x0
	v_clz_i32_u32_e32 v3, v5
	s_delay_alu instid0(VALU_DEP_1) | instskip(NEXT) | instid1(VALU_DEP_1)
	v_min_u32_e32 v3, 32, v3
	v_lshlrev_b64_e32 v[4:5], v3, v[4:5]
	v_sub_nc_u32_e32 v3, 32, v3
	s_delay_alu instid0(VALU_DEP_2) | instskip(NEXT) | instid1(VALU_DEP_1)
	v_min_u32_e32 v4, 1, v4
	v_or_b32_e32 v4, v5, v4
	s_delay_alu instid0(VALU_DEP_1) | instskip(NEXT) | instid1(VALU_DEP_1)
	v_cvt_f32_u32_e32 v4, v4
	v_ldexp_f32 v3, v4, v3
	s_delay_alu instid0(VALU_DEP_1)
	v_cvt_f16_f32_e32 v3, v3
	s_branch .LBB182_276
.LBB182_274:
	s_mov_b32 s20, -1
                                        ; implicit-def: $vgpr3
.LBB182_275:
	s_mov_b32 s24, 0
.LBB182_276:
	s_delay_alu instid0(SALU_CYCLE_1)
	s_and_b32 vcc_lo, exec_lo, s24
	s_cbranch_vccz .LBB182_294
; %bb.277:
	s_cmp_lt_i32 s2, 27
	s_cbranch_scc1 .LBB182_280
; %bb.278:
	s_cmp_gt_i32 s2, 27
	s_cbranch_scc0 .LBB182_281
; %bb.279:
	global_load_b32 v3, v[0:1], off
	s_mov_b32 s18, 0
	s_wait_loadcnt 0x0
	v_cvt_f32_u32_e32 v3, v3
	s_delay_alu instid0(VALU_DEP_1)
	v_cvt_f16_f32_e32 v3, v3
	s_branch .LBB182_282
.LBB182_280:
	s_mov_b32 s18, -1
                                        ; implicit-def: $vgpr3
	s_branch .LBB182_285
.LBB182_281:
	s_mov_b32 s18, -1
                                        ; implicit-def: $vgpr3
.LBB182_282:
	s_delay_alu instid0(SALU_CYCLE_1)
	s_and_not1_b32 vcc_lo, exec_lo, s18
	s_cbranch_vccnz .LBB182_284
; %bb.283:
	global_load_u16 v3, v[0:1], off
	s_wait_loadcnt 0x0
	v_cvt_f16_u16_e32 v3, v3
.LBB182_284:
	s_mov_b32 s18, 0
.LBB182_285:
	s_delay_alu instid0(SALU_CYCLE_1)
	s_and_not1_b32 vcc_lo, exec_lo, s18
	s_cbranch_vccnz .LBB182_293
; %bb.286:
	global_load_u8 v4, v[0:1], off
	s_mov_b32 s18, 0
	s_mov_b32 s24, exec_lo
	s_wait_loadcnt 0x0
	v_cmpx_lt_i16_e32 0x7f, v4
	s_xor_b32 s24, exec_lo, s24
	s_cbranch_execz .LBB182_307
; %bb.287:
	s_mov_b32 s18, -1
	s_mov_b32 s25, exec_lo
	v_cmpx_eq_u16_e32 0x80, v4
; %bb.288:
	s_xor_b32 s18, exec_lo, -1
; %bb.289:
	s_or_b32 exec_lo, exec_lo, s25
	s_delay_alu instid0(SALU_CYCLE_1)
	s_and_b32 s18, s18, exec_lo
	s_or_saveexec_b32 s24, s24
	v_mov_b32_e32 v3, 0x7e00
	s_xor_b32 exec_lo, exec_lo, s24
	s_cbranch_execnz .LBB182_308
.LBB182_290:
	s_or_b32 exec_lo, exec_lo, s24
	s_and_saveexec_b32 s24, s18
	s_cbranch_execz .LBB182_292
.LBB182_291:
	v_and_b32_e32 v3, 0xffff, v4
	s_delay_alu instid0(VALU_DEP_1) | instskip(SKIP_1) | instid1(VALU_DEP_2)
	v_dual_lshlrev_b32 v4, 24, v4 :: v_dual_bitop2_b32 v5, 7, v3 bitop3:0x40
	v_bfe_u32 v9, v3, 3, 4
	v_and_b32_e32 v4, 0x80000000, v4
	s_delay_alu instid0(VALU_DEP_3) | instskip(NEXT) | instid1(VALU_DEP_3)
	v_clz_i32_u32_e32 v7, v5
	v_cmp_eq_u32_e32 vcc_lo, 0, v9
	s_delay_alu instid0(VALU_DEP_2) | instskip(NEXT) | instid1(VALU_DEP_1)
	v_min_u32_e32 v7, 32, v7
	v_subrev_nc_u32_e32 v8, 28, v7
	v_sub_nc_u32_e32 v7, 29, v7
	s_delay_alu instid0(VALU_DEP_2) | instskip(NEXT) | instid1(VALU_DEP_2)
	v_lshlrev_b32_e32 v3, v8, v3
	v_cndmask_b32_e32 v7, v9, v7, vcc_lo
	s_delay_alu instid0(VALU_DEP_2) | instskip(NEXT) | instid1(VALU_DEP_1)
	v_and_b32_e32 v3, 7, v3
	v_cndmask_b32_e32 v3, v5, v3, vcc_lo
	s_delay_alu instid0(VALU_DEP_3) | instskip(NEXT) | instid1(VALU_DEP_2)
	v_lshl_add_u32 v5, v7, 23, 0x3b800000
	v_lshlrev_b32_e32 v3, 20, v3
	s_delay_alu instid0(VALU_DEP_1) | instskip(NEXT) | instid1(VALU_DEP_1)
	v_or3_b32 v3, v4, v5, v3
	v_cvt_f16_f32_e32 v3, v3
.LBB182_292:
	s_or_b32 exec_lo, exec_lo, s24
.LBB182_293:
	s_mov_b32 s18, -1
.LBB182_294:
	s_mov_b32 s24, 0
.LBB182_295:
	s_delay_alu instid0(SALU_CYCLE_1)
	s_and_b32 vcc_lo, exec_lo, s24
	s_cbranch_vccz .LBB182_330
; %bb.296:
	s_cmp_gt_i32 s2, 22
	s_cbranch_scc0 .LBB182_306
; %bb.297:
	s_cmp_lt_i32 s2, 24
	s_cbranch_scc1 .LBB182_309
; %bb.298:
	s_cmp_gt_i32 s2, 24
	s_cbranch_scc0 .LBB182_310
; %bb.299:
	global_load_u8 v4, v[0:1], off
	s_mov_b32 s18, 0
	s_mov_b32 s24, exec_lo
	s_wait_loadcnt 0x0
	v_cmpx_lt_i16_e32 0x7f, v4
	s_xor_b32 s24, exec_lo, s24
	s_cbranch_execz .LBB182_322
; %bb.300:
	s_mov_b32 s18, -1
	s_mov_b32 s25, exec_lo
	v_cmpx_eq_u16_e32 0x80, v4
; %bb.301:
	s_xor_b32 s18, exec_lo, -1
; %bb.302:
	s_or_b32 exec_lo, exec_lo, s25
	s_delay_alu instid0(SALU_CYCLE_1)
	s_and_b32 s18, s18, exec_lo
	s_or_saveexec_b32 s24, s24
	v_mov_b32_e32 v3, 0x7e00
	s_xor_b32 exec_lo, exec_lo, s24
	s_cbranch_execnz .LBB182_323
.LBB182_303:
	s_or_b32 exec_lo, exec_lo, s24
	s_and_saveexec_b32 s24, s18
	s_cbranch_execz .LBB182_305
.LBB182_304:
	v_and_b32_e32 v3, 0xffff, v4
	s_delay_alu instid0(VALU_DEP_1) | instskip(SKIP_1) | instid1(VALU_DEP_2)
	v_dual_lshlrev_b32 v4, 24, v4 :: v_dual_bitop2_b32 v5, 3, v3 bitop3:0x40
	v_bfe_u32 v9, v3, 2, 5
	v_and_b32_e32 v4, 0x80000000, v4
	s_delay_alu instid0(VALU_DEP_3) | instskip(NEXT) | instid1(VALU_DEP_3)
	v_clz_i32_u32_e32 v7, v5
	v_cmp_eq_u32_e32 vcc_lo, 0, v9
	s_delay_alu instid0(VALU_DEP_2) | instskip(NEXT) | instid1(VALU_DEP_1)
	v_min_u32_e32 v7, 32, v7
	v_subrev_nc_u32_e32 v8, 29, v7
	v_sub_nc_u32_e32 v7, 30, v7
	s_delay_alu instid0(VALU_DEP_2) | instskip(NEXT) | instid1(VALU_DEP_2)
	v_lshlrev_b32_e32 v3, v8, v3
	v_cndmask_b32_e32 v7, v9, v7, vcc_lo
	s_delay_alu instid0(VALU_DEP_2) | instskip(NEXT) | instid1(VALU_DEP_1)
	v_and_b32_e32 v3, 3, v3
	v_cndmask_b32_e32 v3, v5, v3, vcc_lo
	s_delay_alu instid0(VALU_DEP_3) | instskip(NEXT) | instid1(VALU_DEP_2)
	v_lshl_add_u32 v5, v7, 23, 0x37800000
	v_lshlrev_b32_e32 v3, 21, v3
	s_delay_alu instid0(VALU_DEP_1) | instskip(NEXT) | instid1(VALU_DEP_1)
	v_or3_b32 v3, v4, v5, v3
	v_cvt_f16_f32_e32 v3, v3
.LBB182_305:
	s_or_b32 exec_lo, exec_lo, s24
	s_mov_b32 s18, 0
	s_branch .LBB182_311
.LBB182_306:
	s_mov_b32 s24, -1
                                        ; implicit-def: $vgpr3
	s_branch .LBB182_317
.LBB182_307:
	s_or_saveexec_b32 s24, s24
	v_mov_b32_e32 v3, 0x7e00
	s_xor_b32 exec_lo, exec_lo, s24
	s_cbranch_execz .LBB182_290
.LBB182_308:
	v_cmp_ne_u16_e32 vcc_lo, 0, v4
	v_mov_b32_e32 v3, v4
	s_and_not1_b32 s18, s18, exec_lo
	s_and_b32 s25, vcc_lo, exec_lo
	s_delay_alu instid0(SALU_CYCLE_1)
	s_or_b32 s18, s18, s25
	s_or_b32 exec_lo, exec_lo, s24
	s_and_saveexec_b32 s24, s18
	s_cbranch_execnz .LBB182_291
	s_branch .LBB182_292
.LBB182_309:
	s_mov_b32 s18, -1
                                        ; implicit-def: $vgpr3
	s_branch .LBB182_314
.LBB182_310:
	s_mov_b32 s18, -1
                                        ; implicit-def: $vgpr3
.LBB182_311:
	s_delay_alu instid0(SALU_CYCLE_1)
	s_and_b32 vcc_lo, exec_lo, s18
	s_cbranch_vccz .LBB182_313
; %bb.312:
	global_load_u8 v3, v[0:1], off
	s_wait_loadcnt 0x0
	v_lshlrev_b32_e32 v3, 24, v3
	s_delay_alu instid0(VALU_DEP_1) | instskip(NEXT) | instid1(VALU_DEP_1)
	v_and_b32_e32 v4, 0x7f000000, v3
	v_clz_i32_u32_e32 v5, v4
	v_add_nc_u32_e32 v8, 0x1000000, v4
	v_cmp_ne_u32_e32 vcc_lo, 0, v4
	s_delay_alu instid0(VALU_DEP_3) | instskip(NEXT) | instid1(VALU_DEP_1)
	v_min_u32_e32 v5, 32, v5
	v_sub_nc_u32_e64 v5, v5, 4 clamp
	s_delay_alu instid0(VALU_DEP_1) | instskip(NEXT) | instid1(VALU_DEP_1)
	v_dual_lshlrev_b32 v7, v5, v4 :: v_dual_lshlrev_b32 v5, 23, v5
	v_lshrrev_b32_e32 v7, 4, v7
	s_delay_alu instid0(VALU_DEP_1) | instskip(NEXT) | instid1(VALU_DEP_1)
	v_dual_sub_nc_u32 v5, v7, v5 :: v_dual_ashrrev_i32 v7, 8, v8
	v_add_nc_u32_e32 v5, 0x3c000000, v5
	s_delay_alu instid0(VALU_DEP_1) | instskip(NEXT) | instid1(VALU_DEP_1)
	v_and_or_b32 v5, 0x7f800000, v7, v5
	v_cndmask_b32_e32 v4, 0, v5, vcc_lo
	s_delay_alu instid0(VALU_DEP_1) | instskip(NEXT) | instid1(VALU_DEP_1)
	v_and_or_b32 v3, 0x80000000, v3, v4
	v_cvt_f16_f32_e32 v3, v3
.LBB182_313:
	s_mov_b32 s18, 0
.LBB182_314:
	s_delay_alu instid0(SALU_CYCLE_1)
	s_and_not1_b32 vcc_lo, exec_lo, s18
	s_cbranch_vccnz .LBB182_316
; %bb.315:
	global_load_u8 v3, v[0:1], off
	s_wait_loadcnt 0x0
	v_lshlrev_b32_e32 v4, 25, v3
	v_lshlrev_b16 v3, 8, v3
	s_delay_alu instid0(VALU_DEP_1) | instskip(NEXT) | instid1(VALU_DEP_3)
	v_and_or_b32 v7, 0x7f00, v3, 0.5
	v_lshrrev_b32_e32 v5, 4, v4
	v_bfe_i32 v3, v3, 0, 16
	s_delay_alu instid0(VALU_DEP_3) | instskip(NEXT) | instid1(VALU_DEP_3)
	v_add_f32_e32 v7, -0.5, v7
	v_or_b32_e32 v5, 0x70000000, v5
	s_delay_alu instid0(VALU_DEP_1) | instskip(SKIP_1) | instid1(VALU_DEP_2)
	v_mul_f32_e32 v5, 0x7800000, v5
	v_cmp_gt_u32_e32 vcc_lo, 0x8000000, v4
	v_cndmask_b32_e32 v4, v5, v7, vcc_lo
	s_delay_alu instid0(VALU_DEP_1) | instskip(NEXT) | instid1(VALU_DEP_1)
	v_and_or_b32 v3, 0x80000000, v3, v4
	v_cvt_f16_f32_e32 v3, v3
.LBB182_316:
	s_mov_b32 s24, 0
	s_mov_b32 s18, -1
.LBB182_317:
	s_and_not1_b32 vcc_lo, exec_lo, s24
	s_cbranch_vccnz .LBB182_330
; %bb.318:
	s_cmp_gt_i32 s2, 14
	s_cbranch_scc0 .LBB182_321
; %bb.319:
	s_cmp_eq_u32 s2, 15
	s_cbranch_scc0 .LBB182_324
; %bb.320:
	global_load_u16 v3, v[0:1], off
	s_mov_b32 s18, -1
	s_mov_b32 s20, 0
	s_wait_loadcnt 0x0
	v_lshlrev_b32_e32 v3, 16, v3
	s_delay_alu instid0(VALU_DEP_1)
	v_cvt_f16_f32_e32 v3, v3
	s_branch .LBB182_325
.LBB182_321:
	s_mov_b32 s24, -1
                                        ; implicit-def: $vgpr3
	s_branch .LBB182_326
.LBB182_322:
	s_or_saveexec_b32 s24, s24
	v_mov_b32_e32 v3, 0x7e00
	s_xor_b32 exec_lo, exec_lo, s24
	s_cbranch_execz .LBB182_303
.LBB182_323:
	v_cmp_ne_u16_e32 vcc_lo, 0, v4
	v_mov_b32_e32 v3, v4
	s_and_not1_b32 s18, s18, exec_lo
	s_and_b32 s25, vcc_lo, exec_lo
	s_delay_alu instid0(SALU_CYCLE_1)
	s_or_b32 s18, s18, s25
	s_or_b32 exec_lo, exec_lo, s24
	s_and_saveexec_b32 s24, s18
	s_cbranch_execnz .LBB182_304
	s_branch .LBB182_305
.LBB182_324:
	s_mov_b32 s20, -1
                                        ; implicit-def: $vgpr3
.LBB182_325:
	s_mov_b32 s24, 0
.LBB182_326:
	s_delay_alu instid0(SALU_CYCLE_1)
	s_and_b32 vcc_lo, exec_lo, s24
	s_cbranch_vccz .LBB182_330
; %bb.327:
	s_cmp_eq_u32 s2, 11
	s_cbranch_scc0 .LBB182_329
; %bb.328:
	global_load_u8 v3, v[0:1], off
	s_mov_b32 s20, 0
	s_mov_b32 s18, -1
	s_wait_loadcnt 0x0
	v_cmp_ne_u16_e32 vcc_lo, 0, v3
	v_cndmask_b32_e64 v3, 0, 0x3c00, vcc_lo
	s_branch .LBB182_330
.LBB182_329:
	s_mov_b32 s20, -1
                                        ; implicit-def: $vgpr3
.LBB182_330:
	s_branch .LBB182_20
.LBB182_331:
	s_and_b32 s1, 0xffff, s1
	s_delay_alu instid0(SALU_CYCLE_1)
	s_cmp_lt_i32 s1, 5
	s_cbranch_scc1 .LBB182_336
; %bb.332:
	s_cmp_lt_i32 s1, 8
	s_cbranch_scc1 .LBB182_337
; %bb.333:
	;; [unrolled: 3-line block ×3, first 2 shown]
	s_cmp_gt_i32 s1, 9
	s_cbranch_scc0 .LBB182_339
; %bb.335:
	global_load_b64 v[4:5], v[0:1], off
	s_mov_b32 s2, 0
	s_wait_loadcnt 0x0
	v_and_or_b32 v3, 0x1ff, v5, v4
	v_lshrrev_b32_e32 v4, 8, v5
	v_bfe_u32 v7, v5, 20, 11
	s_delay_alu instid0(VALU_DEP_3) | instskip(NEXT) | instid1(VALU_DEP_2)
	v_cmp_ne_u32_e32 vcc_lo, 0, v3
	v_sub_nc_u32_e32 v8, 0x3f1, v7
	v_cndmask_b32_e64 v3, 0, 1, vcc_lo
	s_delay_alu instid0(VALU_DEP_1) | instskip(NEXT) | instid1(VALU_DEP_3)
	v_and_or_b32 v3, 0xffe, v4, v3
	v_med3_i32 v4, v8, 0, 13
	s_delay_alu instid0(VALU_DEP_2) | instskip(NEXT) | instid1(VALU_DEP_1)
	v_or_b32_e32 v8, 0x1000, v3
	v_lshrrev_b32_e32 v9, v4, v8
	s_delay_alu instid0(VALU_DEP_1) | instskip(NEXT) | instid1(VALU_DEP_1)
	v_lshlrev_b32_e32 v4, v4, v9
	v_cmp_ne_u32_e32 vcc_lo, v4, v8
	v_cndmask_b32_e64 v4, 0, 1, vcc_lo
	s_delay_alu instid0(VALU_DEP_1) | instskip(SKIP_1) | instid1(VALU_DEP_1)
	v_or_b32_e32 v4, v9, v4
	v_add_nc_u32_e32 v7, 0xfffffc10, v7
	v_lshl_or_b32 v8, v7, 12, v3
	v_cmp_gt_i32_e32 vcc_lo, 1, v7
	s_delay_alu instid0(VALU_DEP_2) | instskip(NEXT) | instid1(VALU_DEP_1)
	v_cndmask_b32_e32 v4, v8, v4, vcc_lo
	v_dual_lshrrev_b32 v4, 2, v4 :: v_dual_bitop2_b32 v8, 7, v4 bitop3:0x40
	s_delay_alu instid0(VALU_DEP_1) | instskip(SKIP_4) | instid1(VALU_DEP_2)
	v_cmp_lt_i32_e32 vcc_lo, 5, v8
	v_cndmask_b32_e64 v9, 0, 1, vcc_lo
	v_cmp_eq_u32_e32 vcc_lo, 3, v8
	v_cndmask_b32_e64 v8, 0, 1, vcc_lo
	v_cmp_ne_u32_e32 vcc_lo, 0, v3
	v_or_b32_e32 v8, v8, v9
	s_delay_alu instid0(VALU_DEP_1) | instskip(NEXT) | instid1(VALU_DEP_1)
	v_dual_mov_b32 v9, 0x7e00 :: v_dual_add_nc_u32 v4, v4, v8
	v_cndmask_b32_e32 v3, 0x7c00, v9, vcc_lo
	v_cmp_gt_i32_e32 vcc_lo, 31, v7
	s_delay_alu instid0(VALU_DEP_3) | instskip(SKIP_1) | instid1(VALU_DEP_2)
	v_cndmask_b32_e32 v4, 0x7c00, v4, vcc_lo
	v_cmp_eq_u32_e32 vcc_lo, 0x40f, v7
	v_dual_cndmask_b32 v3, v4, v3 :: v_dual_lshrrev_b32 v4, 16, v5
	s_delay_alu instid0(VALU_DEP_1)
	v_and_or_b32 v3, 0x8000, v4, v3
	s_branch .LBB182_340
.LBB182_336:
	s_mov_b32 s2, -1
                                        ; implicit-def: $vgpr3
	s_branch .LBB182_358
.LBB182_337:
	s_mov_b32 s2, -1
                                        ; implicit-def: $vgpr3
	s_branch .LBB182_346
.LBB182_338:
	s_mov_b32 s2, -1
                                        ; implicit-def: $vgpr3
	s_branch .LBB182_343
.LBB182_339:
	s_mov_b32 s2, -1
                                        ; implicit-def: $vgpr3
.LBB182_340:
	s_delay_alu instid0(SALU_CYCLE_1)
	s_and_not1_b32 vcc_lo, exec_lo, s2
	s_cbranch_vccnz .LBB182_342
; %bb.341:
	global_load_b32 v3, v[0:1], off
	s_wait_loadcnt 0x0
	v_cvt_f16_f32_e32 v3, v3
.LBB182_342:
	s_mov_b32 s2, 0
.LBB182_343:
	s_delay_alu instid0(SALU_CYCLE_1)
	s_and_not1_b32 vcc_lo, exec_lo, s2
	s_cbranch_vccnz .LBB182_345
; %bb.344:
	global_load_b32 v3, v[0:1], off
.LBB182_345:
	s_mov_b32 s2, 0
.LBB182_346:
	s_delay_alu instid0(SALU_CYCLE_1)
	s_and_not1_b32 vcc_lo, exec_lo, s2
	s_cbranch_vccnz .LBB182_357
; %bb.347:
	s_cmp_lt_i32 s1, 6
	s_cbranch_scc1 .LBB182_350
; %bb.348:
	s_cmp_gt_i32 s1, 6
	s_cbranch_scc0 .LBB182_351
; %bb.349:
	global_load_b64 v[4:5], v[0:1], off
	s_mov_b32 s2, 0
	s_wait_loadcnt 0x0
	v_and_or_b32 v3, 0x1ff, v5, v4
	v_lshrrev_b32_e32 v4, 8, v5
	v_bfe_u32 v7, v5, 20, 11
	s_delay_alu instid0(VALU_DEP_3) | instskip(NEXT) | instid1(VALU_DEP_2)
	v_cmp_ne_u32_e32 vcc_lo, 0, v3
	v_sub_nc_u32_e32 v8, 0x3f1, v7
	v_cndmask_b32_e64 v3, 0, 1, vcc_lo
	s_delay_alu instid0(VALU_DEP_1) | instskip(NEXT) | instid1(VALU_DEP_3)
	v_and_or_b32 v3, 0xffe, v4, v3
	v_med3_i32 v4, v8, 0, 13
	s_delay_alu instid0(VALU_DEP_2) | instskip(NEXT) | instid1(VALU_DEP_1)
	v_or_b32_e32 v8, 0x1000, v3
	v_lshrrev_b32_e32 v9, v4, v8
	s_delay_alu instid0(VALU_DEP_1) | instskip(NEXT) | instid1(VALU_DEP_1)
	v_lshlrev_b32_e32 v4, v4, v9
	v_cmp_ne_u32_e32 vcc_lo, v4, v8
	v_cndmask_b32_e64 v4, 0, 1, vcc_lo
	s_delay_alu instid0(VALU_DEP_1) | instskip(SKIP_1) | instid1(VALU_DEP_1)
	v_or_b32_e32 v4, v9, v4
	v_add_nc_u32_e32 v7, 0xfffffc10, v7
	v_lshl_or_b32 v8, v7, 12, v3
	v_cmp_gt_i32_e32 vcc_lo, 1, v7
	s_delay_alu instid0(VALU_DEP_2) | instskip(NEXT) | instid1(VALU_DEP_1)
	v_cndmask_b32_e32 v4, v8, v4, vcc_lo
	v_dual_lshrrev_b32 v4, 2, v4 :: v_dual_bitop2_b32 v8, 7, v4 bitop3:0x40
	s_delay_alu instid0(VALU_DEP_1) | instskip(SKIP_4) | instid1(VALU_DEP_2)
	v_cmp_lt_i32_e32 vcc_lo, 5, v8
	v_cndmask_b32_e64 v9, 0, 1, vcc_lo
	v_cmp_eq_u32_e32 vcc_lo, 3, v8
	v_cndmask_b32_e64 v8, 0, 1, vcc_lo
	v_cmp_ne_u32_e32 vcc_lo, 0, v3
	v_or_b32_e32 v8, v8, v9
	s_delay_alu instid0(VALU_DEP_1) | instskip(NEXT) | instid1(VALU_DEP_1)
	v_dual_mov_b32 v9, 0x7e00 :: v_dual_add_nc_u32 v4, v4, v8
	v_cndmask_b32_e32 v3, 0x7c00, v9, vcc_lo
	v_cmp_gt_i32_e32 vcc_lo, 31, v7
	s_delay_alu instid0(VALU_DEP_3) | instskip(SKIP_1) | instid1(VALU_DEP_2)
	v_cndmask_b32_e32 v4, 0x7c00, v4, vcc_lo
	v_cmp_eq_u32_e32 vcc_lo, 0x40f, v7
	v_dual_cndmask_b32 v3, v4, v3 :: v_dual_lshrrev_b32 v4, 16, v5
	s_delay_alu instid0(VALU_DEP_1)
	v_and_or_b32 v3, 0x8000, v4, v3
	s_branch .LBB182_352
.LBB182_350:
	s_mov_b32 s2, -1
                                        ; implicit-def: $vgpr3
	s_branch .LBB182_355
.LBB182_351:
	s_mov_b32 s2, -1
                                        ; implicit-def: $vgpr3
.LBB182_352:
	s_delay_alu instid0(SALU_CYCLE_1)
	s_and_not1_b32 vcc_lo, exec_lo, s2
	s_cbranch_vccnz .LBB182_354
; %bb.353:
	s_wait_loadcnt 0x0
	global_load_b32 v3, v[0:1], off
	s_wait_loadcnt 0x0
	v_cvt_f16_f32_e32 v3, v3
.LBB182_354:
	s_mov_b32 s2, 0
.LBB182_355:
	s_delay_alu instid0(SALU_CYCLE_1)
	s_and_not1_b32 vcc_lo, exec_lo, s2
	s_cbranch_vccnz .LBB182_357
; %bb.356:
	s_wait_loadcnt 0x0
	global_load_u16 v3, v[0:1], off
.LBB182_357:
	s_mov_b32 s2, 0
.LBB182_358:
	s_delay_alu instid0(SALU_CYCLE_1)
	s_and_not1_b32 vcc_lo, exec_lo, s2
	s_cbranch_vccnz .LBB182_378
; %bb.359:
	s_cmp_lt_i32 s1, 2
	s_cbranch_scc1 .LBB182_363
; %bb.360:
	s_cmp_lt_i32 s1, 3
	s_cbranch_scc1 .LBB182_364
; %bb.361:
	s_cmp_gt_i32 s1, 3
	s_cbranch_scc0 .LBB182_365
; %bb.362:
	global_load_b64 v[4:5], v[0:1], off
	s_mov_b32 s2, 0
	s_wait_loadcnt 0x0
	v_xor_b32_e32 v3, v4, v5
	v_cls_i32_e32 v7, v5
	s_delay_alu instid0(VALU_DEP_2) | instskip(NEXT) | instid1(VALU_DEP_1)
	v_ashrrev_i32_e32 v3, 31, v3
	v_add_nc_u32_e32 v3, 32, v3
	s_delay_alu instid0(VALU_DEP_1) | instskip(NEXT) | instid1(VALU_DEP_1)
	v_add_min_u32_e64 v3, v7, -1, v3
	v_lshlrev_b64_e32 v[4:5], v3, v[4:5]
	v_sub_nc_u32_e32 v3, 32, v3
	s_delay_alu instid0(VALU_DEP_2) | instskip(NEXT) | instid1(VALU_DEP_1)
	v_min_u32_e32 v4, 1, v4
	v_or_b32_e32 v4, v5, v4
	s_delay_alu instid0(VALU_DEP_1) | instskip(NEXT) | instid1(VALU_DEP_1)
	v_cvt_f32_i32_e32 v4, v4
	v_ldexp_f32 v3, v4, v3
	s_delay_alu instid0(VALU_DEP_1)
	v_cvt_f16_f32_e32 v3, v3
	s_branch .LBB182_366
.LBB182_363:
	s_mov_b32 s2, -1
                                        ; implicit-def: $vgpr3
	s_branch .LBB182_372
.LBB182_364:
	s_mov_b32 s2, -1
                                        ; implicit-def: $vgpr3
	s_branch .LBB182_369
.LBB182_365:
	s_mov_b32 s2, -1
                                        ; implicit-def: $vgpr3
.LBB182_366:
	s_delay_alu instid0(SALU_CYCLE_1)
	s_and_not1_b32 vcc_lo, exec_lo, s2
	s_cbranch_vccnz .LBB182_368
; %bb.367:
	s_wait_loadcnt 0x0
	global_load_b32 v3, v[0:1], off
	s_wait_loadcnt 0x0
	v_cvt_f32_i32_e32 v3, v3
	s_delay_alu instid0(VALU_DEP_1)
	v_cvt_f16_f32_e32 v3, v3
.LBB182_368:
	s_mov_b32 s2, 0
.LBB182_369:
	s_delay_alu instid0(SALU_CYCLE_1)
	s_and_not1_b32 vcc_lo, exec_lo, s2
	s_cbranch_vccnz .LBB182_371
; %bb.370:
	s_wait_loadcnt 0x0
	global_load_u16 v3, v[0:1], off
	s_wait_loadcnt 0x0
	v_cvt_f16_i16_e32 v3, v3
.LBB182_371:
	s_mov_b32 s2, 0
.LBB182_372:
	s_delay_alu instid0(SALU_CYCLE_1)
	s_and_not1_b32 vcc_lo, exec_lo, s2
	s_cbranch_vccnz .LBB182_378
; %bb.373:
	s_cmp_gt_i32 s1, 0
	s_mov_b32 s1, 0
	s_cbranch_scc0 .LBB182_375
; %bb.374:
	s_wait_loadcnt 0x0
	global_load_i8 v3, v[0:1], off
	s_wait_loadcnt 0x0
	v_cvt_f16_i16_e32 v3, v3
	s_branch .LBB182_376
.LBB182_375:
	s_mov_b32 s1, -1
                                        ; implicit-def: $vgpr3
.LBB182_376:
	s_delay_alu instid0(SALU_CYCLE_1)
	s_and_not1_b32 vcc_lo, exec_lo, s1
	s_cbranch_vccnz .LBB182_378
; %bb.377:
	global_load_u8 v0, v[0:1], off
	s_wait_loadcnt 0x0
	v_cvt_f16_u16_e32 v3, v0
.LBB182_378:
	s_branch .LBB182_21
.LBB182_379:
	s_mov_b32 s2, 0
.LBB182_380:
	s_mov_b32 s1, 0
                                        ; implicit-def: $vgpr6
.LBB182_381:
	s_and_b32 s18, s2, exec_lo
	s_and_b32 s20, s20, exec_lo
	;; [unrolled: 1-line block ×3, first 2 shown]
	s_or_not1_b32 s1, s1, exec_lo
.LBB182_382:
	s_wait_xcnt 0x0
	s_or_b32 exec_lo, exec_lo, s22
	s_mov_b32 s25, 0
	s_mov_b32 s24, 0
                                        ; implicit-def: $sgpr2
                                        ; implicit-def: $vgpr0_vgpr1
                                        ; implicit-def: $vgpr2
	s_and_saveexec_b32 s22, s1
	s_cbranch_execz .LBB182_391
; %bb.383:
	s_mov_b32 s29, -1
	s_mov_b32 s23, s21
	s_mov_b32 s25, s20
	;; [unrolled: 1-line block ×3, first 2 shown]
	s_mov_b32 s26, exec_lo
	v_cmpx_gt_i32_e64 s19, v6
	s_cbranch_execz .LBB182_775
; %bb.384:
	v_mul_lo_u32 v0, v6, s9
	s_and_b32 s1, s16, 0xff
	s_delay_alu instid0(SALU_CYCLE_1) | instskip(NEXT) | instid1(VALU_DEP_1)
	s_cmp_lt_i32 s1, 11
	v_ashrrev_i32_e32 v1, 31, v0
	s_delay_alu instid0(VALU_DEP_1)
	v_add_nc_u64_e32 v[0:1], s[6:7], v[0:1]
	s_cbranch_scc1 .LBB182_394
; %bb.385:
	s_and_b32 s2, 0xffff, s1
	s_delay_alu instid0(SALU_CYCLE_1)
	s_cmp_gt_i32 s2, 25
	s_cbranch_scc0 .LBB182_403
; %bb.386:
	s_cmp_gt_i32 s2, 28
	s_cbranch_scc0 .LBB182_405
; %bb.387:
	;; [unrolled: 3-line block ×4, first 2 shown]
	s_cmp_eq_u32 s2, 46
	s_mov_b32 s25, 0
	s_cbranch_scc0 .LBB182_413
; %bb.390:
	s_wait_loadcnt 0x0
	global_load_b32 v2, v[0:1], off
	s_mov_b32 s24, -1
	s_mov_b32 s23, 0
	s_wait_loadcnt 0x0
	v_lshlrev_b32_e32 v2, 16, v2
	s_delay_alu instid0(VALU_DEP_1)
	v_cvt_f16_f32_e32 v2, v2
	s_branch .LBB182_415
.LBB182_391:
	s_or_b32 exec_lo, exec_lo, s22
	s_mov_b32 s1, 0
	s_and_saveexec_b32 s19, s21
	s_cbranch_execnz .LBB182_1251
.LBB182_392:
	s_or_b32 exec_lo, exec_lo, s19
	s_and_saveexec_b32 s19, s23
	s_delay_alu instid0(SALU_CYCLE_1)
	s_xor_b32 s19, exec_lo, s19
	s_cbranch_execz .LBB182_1252
.LBB182_393:
	s_wait_loadcnt 0x0
	global_load_u8 v2, v[0:1], off
	s_or_b32 s24, s24, exec_lo
	s_wait_loadcnt 0x0
	v_cmp_ne_u16_e32 vcc_lo, 0, v2
	v_cndmask_b32_e64 v2, 0, 0x3c00, vcc_lo
	s_wait_xcnt 0x0
	s_or_b32 exec_lo, exec_lo, s19
	s_and_saveexec_b32 s19, s25
	s_cbranch_execz .LBB182_1298
	s_branch .LBB182_1253
.LBB182_394:
	s_mov_b32 s24, 0
	s_mov_b32 s23, s21
                                        ; implicit-def: $vgpr2
	s_cbranch_execnz .LBB182_481
.LBB182_395:
	s_and_not1_b32 vcc_lo, exec_lo, s24
	s_cbranch_vccnz .LBB182_529
.LBB182_396:
	s_wait_xcnt 0x0
	v_mul_lo_u32 v0, v6, s10
	s_and_b32 s1, s14, 0xff
	s_delay_alu instid0(SALU_CYCLE_1) | instskip(NEXT) | instid1(VALU_DEP_1)
	s_cmp_lt_i32 s1, 11
	v_ashrrev_i32_e32 v1, 31, v0
	s_delay_alu instid0(VALU_DEP_1)
	v_add_nc_u64_e32 v[0:1], s[12:13], v[0:1]
	s_cbranch_scc1 .LBB182_404
; %bb.397:
	s_and_b32 s2, 0xffff, s1
	s_delay_alu instid0(SALU_CYCLE_1)
	s_cmp_gt_i32 s2, 25
	s_cbranch_scc0 .LBB182_406
; %bb.398:
	s_cmp_gt_i32 s2, 28
	s_cbranch_scc0 .LBB182_408
; %bb.399:
	s_cmp_gt_i32 s2, 43
	s_cbranch_scc0 .LBB182_410
; %bb.400:
	s_cmp_gt_i32 s2, 45
	s_cbranch_scc0 .LBB182_418
; %bb.401:
	s_cmp_eq_u32 s2, 46
	s_mov_b32 s27, 0
	s_cbranch_scc0 .LBB182_532
; %bb.402:
	s_wait_loadcnt 0x0
	global_load_b32 v3, v[0:1], off
	s_mov_b32 s24, -1
	s_mov_b32 s25, 0
	s_wait_loadcnt 0x0
	v_lshlrev_b32_e32 v3, 16, v3
	s_delay_alu instid0(VALU_DEP_1)
	v_cvt_f16_f32_e32 v3, v3
	s_branch .LBB182_534
.LBB182_403:
	s_mov_b32 s25, -1
	s_mov_b32 s24, 0
	s_mov_b32 s23, s21
                                        ; implicit-def: $vgpr2
	s_branch .LBB182_445
.LBB182_404:
	s_mov_b32 s2, -1
	s_mov_b32 s24, 0
	s_mov_b32 s25, s20
                                        ; implicit-def: $vgpr3
	s_branch .LBB182_599
.LBB182_405:
	s_mov_b32 s25, -1
	s_mov_b32 s24, 0
	s_mov_b32 s23, s21
                                        ; implicit-def: $vgpr2
	s_branch .LBB182_426
.LBB182_406:
	s_mov_b32 s27, -1
	s_mov_b32 s24, 0
	s_mov_b32 s25, s20
                                        ; implicit-def: $vgpr3
	s_branch .LBB182_563
.LBB182_407:
	s_mov_b32 s25, -1
	s_mov_b32 s24, 0
	s_mov_b32 s23, s21
                                        ; implicit-def: $vgpr2
	s_branch .LBB182_421
.LBB182_408:
	s_mov_b32 s27, -1
	s_mov_b32 s24, 0
	s_mov_b32 s25, s20
                                        ; implicit-def: $vgpr3
	s_branch .LBB182_544
.LBB182_409:
	s_mov_b32 s25, -1
	s_mov_b32 s24, 0
	s_mov_b32 s23, s21
	s_branch .LBB182_414
.LBB182_410:
	s_mov_b32 s27, -1
	s_mov_b32 s24, 0
	s_mov_b32 s25, s20
                                        ; implicit-def: $vgpr3
	s_branch .LBB182_539
.LBB182_411:
	s_and_not1_saveexec_b32 s27, s27
	s_cbranch_execz .LBB182_180
.LBB182_412:
	v_add_f32_e32 v2, 0x46000000, v3
	s_and_not1_b32 s26, s26, exec_lo
	s_delay_alu instid0(VALU_DEP_1) | instskip(NEXT) | instid1(VALU_DEP_1)
	v_and_b32_e32 v2, 0xff, v2
	v_cmp_ne_u32_e32 vcc_lo, 0, v2
	s_and_b32 s28, vcc_lo, exec_lo
	s_delay_alu instid0(SALU_CYCLE_1)
	s_or_b32 s26, s26, s28
	s_or_b32 exec_lo, exec_lo, s27
	v_mov_b32_e32 v4, 0
	s_and_saveexec_b32 s27, s26
	s_cbranch_execnz .LBB182_181
	s_branch .LBB182_182
.LBB182_413:
	s_mov_b32 s23, -1
	s_mov_b32 s24, 0
.LBB182_414:
                                        ; implicit-def: $vgpr2
.LBB182_415:
	s_and_b32 vcc_lo, exec_lo, s25
	s_cbranch_vccz .LBB182_420
; %bb.416:
	s_cmp_eq_u32 s2, 44
	s_cbranch_scc0 .LBB182_419
; %bb.417:
	s_wait_loadcnt 0x0
	global_load_u8 v2, v[0:1], off
	s_mov_b32 s23, 0
	s_mov_b32 s24, -1
	s_wait_loadcnt 0x0
	v_lshlrev_b32_e32 v3, 23, v2
	v_cmp_ne_u32_e32 vcc_lo, 0xff, v2
	s_delay_alu instid0(VALU_DEP_2) | instskip(NEXT) | instid1(VALU_DEP_1)
	v_cvt_f16_f32_e32 v3, v3
	v_cndmask_b32_e32 v3, 0x7e00, v3, vcc_lo
	v_cmp_ne_u32_e32 vcc_lo, 0, v2
	s_delay_alu instid0(VALU_DEP_2)
	v_cndmask_b32_e32 v2, 0, v3, vcc_lo
	s_branch .LBB182_420
.LBB182_418:
	s_mov_b32 s27, -1
	s_mov_b32 s24, 0
	s_mov_b32 s25, s20
	s_branch .LBB182_533
.LBB182_419:
	s_mov_b32 s23, -1
                                        ; implicit-def: $vgpr2
.LBB182_420:
	s_mov_b32 s25, 0
.LBB182_421:
	s_delay_alu instid0(SALU_CYCLE_1)
	s_and_b32 vcc_lo, exec_lo, s25
	s_cbranch_vccz .LBB182_425
; %bb.422:
	s_cmp_eq_u32 s2, 29
	s_cbranch_scc0 .LBB182_424
; %bb.423:
	s_wait_loadcnt 0x0
	global_load_b64 v[2:3], v[0:1], off
	s_mov_b32 s24, -1
	s_mov_b32 s23, 0
	s_mov_b32 s25, 0
	s_wait_loadcnt 0x0
	v_clz_i32_u32_e32 v4, v3
	s_delay_alu instid0(VALU_DEP_1) | instskip(NEXT) | instid1(VALU_DEP_1)
	v_min_u32_e32 v4, 32, v4
	v_lshlrev_b64_e32 v[2:3], v4, v[2:3]
	s_delay_alu instid0(VALU_DEP_1) | instskip(NEXT) | instid1(VALU_DEP_1)
	v_min_u32_e32 v2, 1, v2
	v_dual_sub_nc_u32 v3, 32, v4 :: v_dual_bitop2_b32 v2, v3, v2 bitop3:0x54
	s_delay_alu instid0(VALU_DEP_1) | instskip(NEXT) | instid1(VALU_DEP_1)
	v_cvt_f32_u32_e32 v2, v2
	v_ldexp_f32 v2, v2, v3
	s_delay_alu instid0(VALU_DEP_1)
	v_cvt_f16_f32_e32 v2, v2
	s_branch .LBB182_426
.LBB182_424:
	s_mov_b32 s23, -1
                                        ; implicit-def: $vgpr2
.LBB182_425:
	s_mov_b32 s25, 0
.LBB182_426:
	s_delay_alu instid0(SALU_CYCLE_1)
	s_and_b32 vcc_lo, exec_lo, s25
	s_cbranch_vccz .LBB182_444
; %bb.427:
	s_cmp_lt_i32 s2, 27
	s_cbranch_scc1 .LBB182_430
; %bb.428:
	s_cmp_gt_i32 s2, 27
	s_cbranch_scc0 .LBB182_431
; %bb.429:
	s_wait_loadcnt 0x0
	global_load_b32 v2, v[0:1], off
	s_mov_b32 s24, 0
	s_wait_loadcnt 0x0
	v_cvt_f32_u32_e32 v2, v2
	s_delay_alu instid0(VALU_DEP_1)
	v_cvt_f16_f32_e32 v2, v2
	s_branch .LBB182_432
.LBB182_430:
	s_mov_b32 s24, -1
                                        ; implicit-def: $vgpr2
	s_branch .LBB182_435
.LBB182_431:
	s_mov_b32 s24, -1
                                        ; implicit-def: $vgpr2
.LBB182_432:
	s_delay_alu instid0(SALU_CYCLE_1)
	s_and_not1_b32 vcc_lo, exec_lo, s24
	s_cbranch_vccnz .LBB182_434
; %bb.433:
	s_wait_loadcnt 0x0
	global_load_u16 v2, v[0:1], off
	s_wait_loadcnt 0x0
	v_cvt_f16_u16_e32 v2, v2
.LBB182_434:
	s_mov_b32 s24, 0
.LBB182_435:
	s_delay_alu instid0(SALU_CYCLE_1)
	s_and_not1_b32 vcc_lo, exec_lo, s24
	s_cbranch_vccnz .LBB182_443
; %bb.436:
	s_wait_loadcnt 0x0
	global_load_u8 v3, v[0:1], off
	s_mov_b32 s24, 0
	s_mov_b32 s25, exec_lo
	s_wait_loadcnt 0x0
	v_cmpx_lt_i16_e32 0x7f, v3
	s_xor_b32 s25, exec_lo, s25
	s_cbranch_execz .LBB182_457
; %bb.437:
	s_mov_b32 s24, -1
	s_mov_b32 s27, exec_lo
	v_cmpx_eq_u16_e32 0x80, v3
; %bb.438:
	s_xor_b32 s24, exec_lo, -1
; %bb.439:
	s_or_b32 exec_lo, exec_lo, s27
	s_delay_alu instid0(SALU_CYCLE_1)
	s_and_b32 s24, s24, exec_lo
	s_or_saveexec_b32 s25, s25
	v_mov_b32_e32 v2, 0x7e00
	s_xor_b32 exec_lo, exec_lo, s25
	s_cbranch_execnz .LBB182_458
.LBB182_440:
	s_or_b32 exec_lo, exec_lo, s25
	s_and_saveexec_b32 s25, s24
	s_cbranch_execz .LBB182_442
.LBB182_441:
	v_and_b32_e32 v2, 0xffff, v3
	s_delay_alu instid0(VALU_DEP_1) | instskip(SKIP_1) | instid1(VALU_DEP_2)
	v_and_b32_e32 v4, 7, v2
	v_bfe_u32 v8, v2, 3, 4
	v_clz_i32_u32_e32 v5, v4
	s_delay_alu instid0(VALU_DEP_2) | instskip(NEXT) | instid1(VALU_DEP_2)
	v_cmp_eq_u32_e32 vcc_lo, 0, v8
	v_min_u32_e32 v5, 32, v5
	s_delay_alu instid0(VALU_DEP_1) | instskip(NEXT) | instid1(VALU_DEP_1)
	v_subrev_nc_u32_e32 v7, 28, v5
	v_dual_lshlrev_b32 v2, v7, v2 :: v_dual_sub_nc_u32 v5, 29, v5
	s_delay_alu instid0(VALU_DEP_1) | instskip(NEXT) | instid1(VALU_DEP_2)
	v_dual_lshlrev_b32 v3, 24, v3 :: v_dual_bitop2_b32 v2, 7, v2 bitop3:0x40
	v_cndmask_b32_e32 v5, v8, v5, vcc_lo
	s_delay_alu instid0(VALU_DEP_2) | instskip(NEXT) | instid1(VALU_DEP_3)
	v_cndmask_b32_e32 v2, v4, v2, vcc_lo
	v_and_b32_e32 v3, 0x80000000, v3
	s_delay_alu instid0(VALU_DEP_3) | instskip(NEXT) | instid1(VALU_DEP_3)
	v_lshl_add_u32 v4, v5, 23, 0x3b800000
	v_lshlrev_b32_e32 v2, 20, v2
	s_delay_alu instid0(VALU_DEP_1) | instskip(NEXT) | instid1(VALU_DEP_1)
	v_or3_b32 v2, v3, v4, v2
	v_cvt_f16_f32_e32 v2, v2
.LBB182_442:
	s_or_b32 exec_lo, exec_lo, s25
.LBB182_443:
	s_mov_b32 s24, -1
.LBB182_444:
	s_mov_b32 s25, 0
.LBB182_445:
	s_delay_alu instid0(SALU_CYCLE_1)
	s_and_b32 vcc_lo, exec_lo, s25
	s_cbranch_vccz .LBB182_480
; %bb.446:
	s_cmp_gt_i32 s2, 22
	s_cbranch_scc0 .LBB182_456
; %bb.447:
	s_cmp_lt_i32 s2, 24
	s_cbranch_scc1 .LBB182_459
; %bb.448:
	s_cmp_gt_i32 s2, 24
	s_cbranch_scc0 .LBB182_460
; %bb.449:
	s_wait_loadcnt 0x0
	global_load_u8 v3, v[0:1], off
	s_mov_b32 s24, 0
	s_mov_b32 s25, exec_lo
	s_wait_loadcnt 0x0
	v_cmpx_lt_i16_e32 0x7f, v3
	s_xor_b32 s25, exec_lo, s25
	s_cbranch_execz .LBB182_472
; %bb.450:
	s_mov_b32 s24, -1
	s_mov_b32 s27, exec_lo
	v_cmpx_eq_u16_e32 0x80, v3
; %bb.451:
	s_xor_b32 s24, exec_lo, -1
; %bb.452:
	s_or_b32 exec_lo, exec_lo, s27
	s_delay_alu instid0(SALU_CYCLE_1)
	s_and_b32 s24, s24, exec_lo
	s_or_saveexec_b32 s25, s25
	v_mov_b32_e32 v2, 0x7e00
	s_xor_b32 exec_lo, exec_lo, s25
	s_cbranch_execnz .LBB182_473
.LBB182_453:
	s_or_b32 exec_lo, exec_lo, s25
	s_and_saveexec_b32 s25, s24
	s_cbranch_execz .LBB182_455
.LBB182_454:
	v_and_b32_e32 v2, 0xffff, v3
	s_delay_alu instid0(VALU_DEP_1) | instskip(SKIP_1) | instid1(VALU_DEP_2)
	v_and_b32_e32 v4, 3, v2
	v_bfe_u32 v8, v2, 2, 5
	v_clz_i32_u32_e32 v5, v4
	s_delay_alu instid0(VALU_DEP_2) | instskip(NEXT) | instid1(VALU_DEP_2)
	v_cmp_eq_u32_e32 vcc_lo, 0, v8
	v_min_u32_e32 v5, 32, v5
	s_delay_alu instid0(VALU_DEP_1) | instskip(NEXT) | instid1(VALU_DEP_1)
	v_subrev_nc_u32_e32 v7, 29, v5
	v_dual_lshlrev_b32 v2, v7, v2 :: v_dual_sub_nc_u32 v5, 30, v5
	s_delay_alu instid0(VALU_DEP_1) | instskip(NEXT) | instid1(VALU_DEP_2)
	v_dual_lshlrev_b32 v3, 24, v3 :: v_dual_bitop2_b32 v2, 3, v2 bitop3:0x40
	v_cndmask_b32_e32 v5, v8, v5, vcc_lo
	s_delay_alu instid0(VALU_DEP_2) | instskip(NEXT) | instid1(VALU_DEP_3)
	v_cndmask_b32_e32 v2, v4, v2, vcc_lo
	v_and_b32_e32 v3, 0x80000000, v3
	s_delay_alu instid0(VALU_DEP_3) | instskip(NEXT) | instid1(VALU_DEP_3)
	v_lshl_add_u32 v4, v5, 23, 0x37800000
	v_lshlrev_b32_e32 v2, 21, v2
	s_delay_alu instid0(VALU_DEP_1) | instskip(NEXT) | instid1(VALU_DEP_1)
	v_or3_b32 v2, v3, v4, v2
	v_cvt_f16_f32_e32 v2, v2
.LBB182_455:
	s_or_b32 exec_lo, exec_lo, s25
	s_mov_b32 s24, 0
	s_branch .LBB182_461
.LBB182_456:
	s_mov_b32 s25, -1
                                        ; implicit-def: $vgpr2
	s_branch .LBB182_467
.LBB182_457:
	s_or_saveexec_b32 s25, s25
	v_mov_b32_e32 v2, 0x7e00
	s_xor_b32 exec_lo, exec_lo, s25
	s_cbranch_execz .LBB182_440
.LBB182_458:
	v_cmp_ne_u16_e32 vcc_lo, 0, v3
	v_mov_b32_e32 v2, v3
	s_and_not1_b32 s24, s24, exec_lo
	s_and_b32 s27, vcc_lo, exec_lo
	s_delay_alu instid0(SALU_CYCLE_1)
	s_or_b32 s24, s24, s27
	s_or_b32 exec_lo, exec_lo, s25
	s_and_saveexec_b32 s25, s24
	s_cbranch_execnz .LBB182_441
	s_branch .LBB182_442
.LBB182_459:
	s_mov_b32 s24, -1
                                        ; implicit-def: $vgpr2
	s_branch .LBB182_464
.LBB182_460:
	s_mov_b32 s24, -1
                                        ; implicit-def: $vgpr2
.LBB182_461:
	s_delay_alu instid0(SALU_CYCLE_1)
	s_and_b32 vcc_lo, exec_lo, s24
	s_cbranch_vccz .LBB182_463
; %bb.462:
	s_wait_loadcnt 0x0
	global_load_u8 v2, v[0:1], off
	s_wait_loadcnt 0x0
	v_lshlrev_b32_e32 v2, 24, v2
	s_delay_alu instid0(VALU_DEP_1) | instskip(NEXT) | instid1(VALU_DEP_1)
	v_and_b32_e32 v3, 0x7f000000, v2
	v_clz_i32_u32_e32 v4, v3
	v_add_nc_u32_e32 v7, 0x1000000, v3
	v_cmp_ne_u32_e32 vcc_lo, 0, v3
	s_delay_alu instid0(VALU_DEP_3) | instskip(NEXT) | instid1(VALU_DEP_1)
	v_min_u32_e32 v4, 32, v4
	v_sub_nc_u32_e64 v4, v4, 4 clamp
	s_delay_alu instid0(VALU_DEP_1) | instskip(NEXT) | instid1(VALU_DEP_1)
	v_dual_lshlrev_b32 v5, v4, v3 :: v_dual_lshlrev_b32 v4, 23, v4
	v_lshrrev_b32_e32 v5, 4, v5
	s_delay_alu instid0(VALU_DEP_1) | instskip(NEXT) | instid1(VALU_DEP_1)
	v_dual_sub_nc_u32 v4, v5, v4 :: v_dual_ashrrev_i32 v5, 8, v7
	v_add_nc_u32_e32 v4, 0x3c000000, v4
	s_delay_alu instid0(VALU_DEP_1) | instskip(NEXT) | instid1(VALU_DEP_1)
	v_and_or_b32 v4, 0x7f800000, v5, v4
	v_cndmask_b32_e32 v3, 0, v4, vcc_lo
	s_delay_alu instid0(VALU_DEP_1) | instskip(NEXT) | instid1(VALU_DEP_1)
	v_and_or_b32 v2, 0x80000000, v2, v3
	v_cvt_f16_f32_e32 v2, v2
.LBB182_463:
	s_mov_b32 s24, 0
.LBB182_464:
	s_delay_alu instid0(SALU_CYCLE_1)
	s_and_not1_b32 vcc_lo, exec_lo, s24
	s_cbranch_vccnz .LBB182_466
; %bb.465:
	s_wait_loadcnt 0x0
	global_load_u8 v2, v[0:1], off
	s_wait_loadcnt 0x0
	v_lshlrev_b32_e32 v3, 25, v2
	v_lshlrev_b16 v2, 8, v2
	s_delay_alu instid0(VALU_DEP_1) | instskip(SKIP_1) | instid1(VALU_DEP_2)
	v_and_or_b32 v5, 0x7f00, v2, 0.5
	v_bfe_i32 v2, v2, 0, 16
	v_dual_add_f32 v5, -0.5, v5 :: v_dual_lshrrev_b32 v4, 4, v3
	v_cmp_gt_u32_e32 vcc_lo, 0x8000000, v3
	s_delay_alu instid0(VALU_DEP_2) | instskip(NEXT) | instid1(VALU_DEP_1)
	v_or_b32_e32 v4, 0x70000000, v4
	v_mul_f32_e32 v4, 0x7800000, v4
	s_delay_alu instid0(VALU_DEP_1) | instskip(NEXT) | instid1(VALU_DEP_1)
	v_cndmask_b32_e32 v3, v4, v5, vcc_lo
	v_and_or_b32 v2, 0x80000000, v2, v3
	s_delay_alu instid0(VALU_DEP_1)
	v_cvt_f16_f32_e32 v2, v2
.LBB182_466:
	s_mov_b32 s25, 0
	s_mov_b32 s24, -1
.LBB182_467:
	s_and_not1_b32 vcc_lo, exec_lo, s25
	s_cbranch_vccnz .LBB182_480
; %bb.468:
	s_cmp_gt_i32 s2, 14
	s_cbranch_scc0 .LBB182_471
; %bb.469:
	s_cmp_eq_u32 s2, 15
	s_cbranch_scc0 .LBB182_474
; %bb.470:
	s_wait_loadcnt 0x0
	global_load_u16 v2, v[0:1], off
	s_mov_b32 s24, -1
	s_mov_b32 s23, 0
	s_wait_loadcnt 0x0
	v_lshlrev_b32_e32 v2, 16, v2
	s_delay_alu instid0(VALU_DEP_1)
	v_cvt_f16_f32_e32 v2, v2
	s_branch .LBB182_475
.LBB182_471:
	s_mov_b32 s25, -1
                                        ; implicit-def: $vgpr2
	s_branch .LBB182_476
.LBB182_472:
	s_or_saveexec_b32 s25, s25
	v_mov_b32_e32 v2, 0x7e00
	s_xor_b32 exec_lo, exec_lo, s25
	s_cbranch_execz .LBB182_453
.LBB182_473:
	v_cmp_ne_u16_e32 vcc_lo, 0, v3
	v_mov_b32_e32 v2, v3
	s_and_not1_b32 s24, s24, exec_lo
	s_and_b32 s27, vcc_lo, exec_lo
	s_delay_alu instid0(SALU_CYCLE_1)
	s_or_b32 s24, s24, s27
	s_or_b32 exec_lo, exec_lo, s25
	s_and_saveexec_b32 s25, s24
	s_cbranch_execnz .LBB182_454
	s_branch .LBB182_455
.LBB182_474:
	s_mov_b32 s23, -1
                                        ; implicit-def: $vgpr2
.LBB182_475:
	s_mov_b32 s25, 0
.LBB182_476:
	s_delay_alu instid0(SALU_CYCLE_1)
	s_and_b32 vcc_lo, exec_lo, s25
	s_cbranch_vccz .LBB182_480
; %bb.477:
	s_cmp_eq_u32 s2, 11
	s_cbranch_scc0 .LBB182_479
; %bb.478:
	s_wait_loadcnt 0x0
	global_load_u8 v2, v[0:1], off
	s_mov_b32 s23, 0
	s_mov_b32 s24, -1
	s_wait_loadcnt 0x0
	v_cmp_ne_u16_e32 vcc_lo, 0, v2
	v_cndmask_b32_e64 v2, 0, 0x3c00, vcc_lo
	s_branch .LBB182_480
.LBB182_479:
	s_mov_b32 s23, -1
                                        ; implicit-def: $vgpr2
.LBB182_480:
	s_branch .LBB182_395
.LBB182_481:
	s_and_b32 s1, 0xffff, s1
	s_delay_alu instid0(SALU_CYCLE_1)
	s_cmp_lt_i32 s1, 5
	s_cbranch_scc1 .LBB182_486
; %bb.482:
	s_cmp_lt_i32 s1, 8
	s_cbranch_scc1 .LBB182_487
; %bb.483:
	;; [unrolled: 3-line block ×3, first 2 shown]
	s_cmp_gt_i32 s1, 9
	s_cbranch_scc0 .LBB182_489
; %bb.485:
	s_wait_loadcnt 0x0
	global_load_b64 v[2:3], v[0:1], off
	s_mov_b32 s2, 0
	s_wait_loadcnt 0x0
	v_and_or_b32 v2, 0x1ff, v3, v2
	v_lshrrev_b32_e32 v4, 8, v3
	v_bfe_u32 v5, v3, 20, 11
	v_lshrrev_b32_e32 v3, 16, v3
	s_delay_alu instid0(VALU_DEP_4) | instskip(NEXT) | instid1(VALU_DEP_3)
	v_cmp_ne_u32_e32 vcc_lo, 0, v2
	v_sub_nc_u32_e32 v7, 0x3f1, v5
	v_add_nc_u32_e32 v5, 0xfffffc10, v5
	v_cndmask_b32_e64 v2, 0, 1, vcc_lo
	s_delay_alu instid0(VALU_DEP_1) | instskip(NEXT) | instid1(VALU_DEP_4)
	v_and_or_b32 v2, 0xffe, v4, v2
	v_med3_i32 v4, v7, 0, 13
	s_delay_alu instid0(VALU_DEP_2) | instskip(NEXT) | instid1(VALU_DEP_1)
	v_or_b32_e32 v7, 0x1000, v2
	v_lshrrev_b32_e32 v8, v4, v7
	s_delay_alu instid0(VALU_DEP_1) | instskip(NEXT) | instid1(VALU_DEP_1)
	v_lshlrev_b32_e32 v4, v4, v8
	v_cmp_ne_u32_e32 vcc_lo, v4, v7
	v_lshl_or_b32 v7, v5, 12, v2
	v_cndmask_b32_e64 v4, 0, 1, vcc_lo
	v_cmp_gt_i32_e32 vcc_lo, 1, v5
	s_delay_alu instid0(VALU_DEP_2) | instskip(NEXT) | instid1(VALU_DEP_1)
	v_or_b32_e32 v4, v8, v4
	v_cndmask_b32_e32 v4, v7, v4, vcc_lo
	s_delay_alu instid0(VALU_DEP_1) | instskip(NEXT) | instid1(VALU_DEP_1)
	v_dual_lshrrev_b32 v4, 2, v4 :: v_dual_bitop2_b32 v7, 7, v4 bitop3:0x40
	v_cmp_lt_i32_e32 vcc_lo, 5, v7
	v_cndmask_b32_e64 v8, 0, 1, vcc_lo
	v_cmp_eq_u32_e32 vcc_lo, 3, v7
	v_cndmask_b32_e64 v7, 0, 1, vcc_lo
	v_cmp_ne_u32_e32 vcc_lo, 0, v2
	s_delay_alu instid0(VALU_DEP_2) | instskip(SKIP_1) | instid1(VALU_DEP_2)
	v_or_b32_e32 v7, v7, v8
	v_mov_b32_e32 v8, 0x7e00
	v_add_nc_u32_e32 v4, v4, v7
	s_delay_alu instid0(VALU_DEP_2) | instskip(SKIP_1) | instid1(VALU_DEP_3)
	v_cndmask_b32_e32 v2, 0x7c00, v8, vcc_lo
	v_cmp_gt_i32_e32 vcc_lo, 31, v5
	v_cndmask_b32_e32 v4, 0x7c00, v4, vcc_lo
	v_cmp_eq_u32_e32 vcc_lo, 0x40f, v5
	s_delay_alu instid0(VALU_DEP_2) | instskip(NEXT) | instid1(VALU_DEP_1)
	v_cndmask_b32_e32 v2, v4, v2, vcc_lo
	v_and_or_b32 v2, 0x8000, v3, v2
	s_branch .LBB182_490
.LBB182_486:
	s_mov_b32 s2, -1
                                        ; implicit-def: $vgpr2
	s_branch .LBB182_508
.LBB182_487:
	s_mov_b32 s2, -1
                                        ; implicit-def: $vgpr2
	s_branch .LBB182_496
.LBB182_488:
	s_mov_b32 s2, -1
                                        ; implicit-def: $vgpr2
	s_branch .LBB182_493
.LBB182_489:
	s_mov_b32 s2, -1
                                        ; implicit-def: $vgpr2
.LBB182_490:
	s_delay_alu instid0(SALU_CYCLE_1)
	s_and_not1_b32 vcc_lo, exec_lo, s2
	s_cbranch_vccnz .LBB182_492
; %bb.491:
	s_wait_loadcnt 0x0
	global_load_b32 v2, v[0:1], off
	s_wait_loadcnt 0x0
	v_cvt_f16_f32_e32 v2, v2
.LBB182_492:
	s_mov_b32 s2, 0
.LBB182_493:
	s_delay_alu instid0(SALU_CYCLE_1)
	s_and_not1_b32 vcc_lo, exec_lo, s2
	s_cbranch_vccnz .LBB182_495
; %bb.494:
	s_wait_loadcnt 0x0
	global_load_b32 v2, v[0:1], off
.LBB182_495:
	s_mov_b32 s2, 0
.LBB182_496:
	s_delay_alu instid0(SALU_CYCLE_1)
	s_and_not1_b32 vcc_lo, exec_lo, s2
	s_cbranch_vccnz .LBB182_507
; %bb.497:
	s_cmp_lt_i32 s1, 6
	s_cbranch_scc1 .LBB182_500
; %bb.498:
	s_cmp_gt_i32 s1, 6
	s_cbranch_scc0 .LBB182_501
; %bb.499:
	s_wait_loadcnt 0x0
	global_load_b64 v[2:3], v[0:1], off
	s_mov_b32 s2, 0
	s_wait_loadcnt 0x0
	v_and_or_b32 v2, 0x1ff, v3, v2
	v_lshrrev_b32_e32 v4, 8, v3
	v_bfe_u32 v5, v3, 20, 11
	v_lshrrev_b32_e32 v3, 16, v3
	s_delay_alu instid0(VALU_DEP_4) | instskip(NEXT) | instid1(VALU_DEP_3)
	v_cmp_ne_u32_e32 vcc_lo, 0, v2
	v_sub_nc_u32_e32 v7, 0x3f1, v5
	v_add_nc_u32_e32 v5, 0xfffffc10, v5
	v_cndmask_b32_e64 v2, 0, 1, vcc_lo
	s_delay_alu instid0(VALU_DEP_1) | instskip(NEXT) | instid1(VALU_DEP_4)
	v_and_or_b32 v2, 0xffe, v4, v2
	v_med3_i32 v4, v7, 0, 13
	s_delay_alu instid0(VALU_DEP_2) | instskip(NEXT) | instid1(VALU_DEP_1)
	v_or_b32_e32 v7, 0x1000, v2
	v_lshrrev_b32_e32 v8, v4, v7
	s_delay_alu instid0(VALU_DEP_1) | instskip(NEXT) | instid1(VALU_DEP_1)
	v_lshlrev_b32_e32 v4, v4, v8
	v_cmp_ne_u32_e32 vcc_lo, v4, v7
	v_lshl_or_b32 v7, v5, 12, v2
	v_cndmask_b32_e64 v4, 0, 1, vcc_lo
	v_cmp_gt_i32_e32 vcc_lo, 1, v5
	s_delay_alu instid0(VALU_DEP_2) | instskip(NEXT) | instid1(VALU_DEP_1)
	v_or_b32_e32 v4, v8, v4
	v_cndmask_b32_e32 v4, v7, v4, vcc_lo
	s_delay_alu instid0(VALU_DEP_1) | instskip(NEXT) | instid1(VALU_DEP_1)
	v_dual_lshrrev_b32 v4, 2, v4 :: v_dual_bitop2_b32 v7, 7, v4 bitop3:0x40
	v_cmp_lt_i32_e32 vcc_lo, 5, v7
	v_cndmask_b32_e64 v8, 0, 1, vcc_lo
	v_cmp_eq_u32_e32 vcc_lo, 3, v7
	v_cndmask_b32_e64 v7, 0, 1, vcc_lo
	v_cmp_ne_u32_e32 vcc_lo, 0, v2
	s_delay_alu instid0(VALU_DEP_2) | instskip(SKIP_1) | instid1(VALU_DEP_2)
	v_or_b32_e32 v7, v7, v8
	v_mov_b32_e32 v8, 0x7e00
	v_add_nc_u32_e32 v4, v4, v7
	s_delay_alu instid0(VALU_DEP_2) | instskip(SKIP_1) | instid1(VALU_DEP_3)
	v_cndmask_b32_e32 v2, 0x7c00, v8, vcc_lo
	v_cmp_gt_i32_e32 vcc_lo, 31, v5
	v_cndmask_b32_e32 v4, 0x7c00, v4, vcc_lo
	v_cmp_eq_u32_e32 vcc_lo, 0x40f, v5
	s_delay_alu instid0(VALU_DEP_2) | instskip(NEXT) | instid1(VALU_DEP_1)
	v_cndmask_b32_e32 v2, v4, v2, vcc_lo
	v_and_or_b32 v2, 0x8000, v3, v2
	s_branch .LBB182_502
.LBB182_500:
	s_mov_b32 s2, -1
                                        ; implicit-def: $vgpr2
	s_branch .LBB182_505
.LBB182_501:
	s_mov_b32 s2, -1
                                        ; implicit-def: $vgpr2
.LBB182_502:
	s_delay_alu instid0(SALU_CYCLE_1)
	s_and_not1_b32 vcc_lo, exec_lo, s2
	s_cbranch_vccnz .LBB182_504
; %bb.503:
	s_wait_loadcnt 0x0
	global_load_b32 v2, v[0:1], off
	s_wait_loadcnt 0x0
	v_cvt_f16_f32_e32 v2, v2
.LBB182_504:
	s_mov_b32 s2, 0
.LBB182_505:
	s_delay_alu instid0(SALU_CYCLE_1)
	s_and_not1_b32 vcc_lo, exec_lo, s2
	s_cbranch_vccnz .LBB182_507
; %bb.506:
	s_wait_loadcnt 0x0
	global_load_u16 v2, v[0:1], off
.LBB182_507:
	s_mov_b32 s2, 0
.LBB182_508:
	s_delay_alu instid0(SALU_CYCLE_1)
	s_and_not1_b32 vcc_lo, exec_lo, s2
	s_cbranch_vccnz .LBB182_528
; %bb.509:
	s_cmp_lt_i32 s1, 2
	s_cbranch_scc1 .LBB182_513
; %bb.510:
	s_cmp_lt_i32 s1, 3
	s_cbranch_scc1 .LBB182_514
; %bb.511:
	s_cmp_gt_i32 s1, 3
	s_cbranch_scc0 .LBB182_515
; %bb.512:
	s_wait_loadcnt 0x0
	global_load_b64 v[2:3], v[0:1], off
	s_mov_b32 s2, 0
	s_wait_loadcnt 0x0
	v_xor_b32_e32 v4, v2, v3
	v_cls_i32_e32 v5, v3
	s_delay_alu instid0(VALU_DEP_2) | instskip(NEXT) | instid1(VALU_DEP_1)
	v_ashrrev_i32_e32 v4, 31, v4
	v_add_nc_u32_e32 v4, 32, v4
	s_delay_alu instid0(VALU_DEP_1) | instskip(NEXT) | instid1(VALU_DEP_1)
	v_add_min_u32_e64 v4, v5, -1, v4
	v_lshlrev_b64_e32 v[2:3], v4, v[2:3]
	s_delay_alu instid0(VALU_DEP_1) | instskip(NEXT) | instid1(VALU_DEP_1)
	v_min_u32_e32 v2, 1, v2
	v_dual_sub_nc_u32 v3, 32, v4 :: v_dual_bitop2_b32 v2, v3, v2 bitop3:0x54
	s_delay_alu instid0(VALU_DEP_1) | instskip(NEXT) | instid1(VALU_DEP_1)
	v_cvt_f32_i32_e32 v2, v2
	v_ldexp_f32 v2, v2, v3
	s_delay_alu instid0(VALU_DEP_1)
	v_cvt_f16_f32_e32 v2, v2
	s_branch .LBB182_516
.LBB182_513:
	s_mov_b32 s2, -1
                                        ; implicit-def: $vgpr2
	s_branch .LBB182_522
.LBB182_514:
	s_mov_b32 s2, -1
                                        ; implicit-def: $vgpr2
	s_branch .LBB182_519
.LBB182_515:
	s_mov_b32 s2, -1
                                        ; implicit-def: $vgpr2
.LBB182_516:
	s_delay_alu instid0(SALU_CYCLE_1)
	s_and_not1_b32 vcc_lo, exec_lo, s2
	s_cbranch_vccnz .LBB182_518
; %bb.517:
	s_wait_loadcnt 0x0
	global_load_b32 v2, v[0:1], off
	s_wait_loadcnt 0x0
	v_cvt_f32_i32_e32 v2, v2
	s_delay_alu instid0(VALU_DEP_1)
	v_cvt_f16_f32_e32 v2, v2
.LBB182_518:
	s_mov_b32 s2, 0
.LBB182_519:
	s_delay_alu instid0(SALU_CYCLE_1)
	s_and_not1_b32 vcc_lo, exec_lo, s2
	s_cbranch_vccnz .LBB182_521
; %bb.520:
	s_wait_loadcnt 0x0
	global_load_u16 v2, v[0:1], off
	s_wait_loadcnt 0x0
	v_cvt_f16_i16_e32 v2, v2
.LBB182_521:
	s_mov_b32 s2, 0
.LBB182_522:
	s_delay_alu instid0(SALU_CYCLE_1)
	s_and_not1_b32 vcc_lo, exec_lo, s2
	s_cbranch_vccnz .LBB182_528
; %bb.523:
	s_cmp_gt_i32 s1, 0
	s_mov_b32 s1, 0
	s_cbranch_scc0 .LBB182_525
; %bb.524:
	s_wait_loadcnt 0x0
	global_load_i8 v2, v[0:1], off
	s_wait_loadcnt 0x0
	v_cvt_f16_i16_e32 v2, v2
	s_branch .LBB182_526
.LBB182_525:
	s_mov_b32 s1, -1
                                        ; implicit-def: $vgpr2
.LBB182_526:
	s_delay_alu instid0(SALU_CYCLE_1)
	s_and_not1_b32 vcc_lo, exec_lo, s1
	s_cbranch_vccnz .LBB182_528
; %bb.527:
	global_load_u8 v0, v[0:1], off
	s_wait_loadcnt 0x0
	v_cvt_f16_u16_e32 v2, v0
.LBB182_528:
	s_branch .LBB182_396
.LBB182_529:
	s_mov_b32 s1, 0
	s_mov_b32 s2, s18
	;; [unrolled: 1-line block ×3, first 2 shown]
	s_branch .LBB182_773
.LBB182_530:
	s_and_not1_saveexec_b32 s27, s27
	s_cbranch_execz .LBB182_193
.LBB182_531:
	v_add_f32_e32 v2, 0x42800000, v3
	s_and_not1_b32 s26, s26, exec_lo
	s_delay_alu instid0(VALU_DEP_1) | instskip(NEXT) | instid1(VALU_DEP_1)
	v_and_b32_e32 v2, 0xff, v2
	v_cmp_ne_u32_e32 vcc_lo, 0, v2
	s_and_b32 s28, vcc_lo, exec_lo
	s_delay_alu instid0(SALU_CYCLE_1)
	s_or_b32 s26, s26, s28
	s_or_b32 exec_lo, exec_lo, s27
	v_mov_b32_e32 v4, 0
	s_and_saveexec_b32 s27, s26
	s_cbranch_execnz .LBB182_194
	s_branch .LBB182_195
.LBB182_532:
	s_mov_b32 s25, -1
	s_mov_b32 s24, 0
.LBB182_533:
                                        ; implicit-def: $vgpr3
.LBB182_534:
	s_and_b32 vcc_lo, exec_lo, s27
	s_cbranch_vccz .LBB182_538
; %bb.535:
	s_cmp_eq_u32 s2, 44
	s_cbranch_scc0 .LBB182_537
; %bb.536:
	s_wait_loadcnt 0x0
	global_load_u8 v3, v[0:1], off
	s_mov_b32 s25, 0
	s_mov_b32 s24, -1
	s_wait_loadcnt 0x0
	v_lshlrev_b32_e32 v4, 23, v3
	v_cmp_ne_u32_e32 vcc_lo, 0xff, v3
	s_delay_alu instid0(VALU_DEP_2) | instskip(NEXT) | instid1(VALU_DEP_1)
	v_cvt_f16_f32_e32 v4, v4
	v_cndmask_b32_e32 v4, 0x7e00, v4, vcc_lo
	v_cmp_ne_u32_e32 vcc_lo, 0, v3
	s_delay_alu instid0(VALU_DEP_2)
	v_cndmask_b32_e32 v3, 0, v4, vcc_lo
	s_branch .LBB182_538
.LBB182_537:
	s_mov_b32 s25, -1
                                        ; implicit-def: $vgpr3
.LBB182_538:
	s_mov_b32 s27, 0
.LBB182_539:
	s_delay_alu instid0(SALU_CYCLE_1)
	s_and_b32 vcc_lo, exec_lo, s27
	s_cbranch_vccz .LBB182_543
; %bb.540:
	s_cmp_eq_u32 s2, 29
	s_cbranch_scc0 .LBB182_542
; %bb.541:
	global_load_b64 v[4:5], v[0:1], off
	s_mov_b32 s24, -1
	s_mov_b32 s25, 0
	s_mov_b32 s27, 0
	s_wait_loadcnt 0x0
	v_clz_i32_u32_e32 v3, v5
	s_delay_alu instid0(VALU_DEP_1) | instskip(NEXT) | instid1(VALU_DEP_1)
	v_min_u32_e32 v3, 32, v3
	v_lshlrev_b64_e32 v[4:5], v3, v[4:5]
	v_sub_nc_u32_e32 v3, 32, v3
	s_delay_alu instid0(VALU_DEP_2) | instskip(NEXT) | instid1(VALU_DEP_1)
	v_min_u32_e32 v4, 1, v4
	v_or_b32_e32 v4, v5, v4
	s_delay_alu instid0(VALU_DEP_1) | instskip(NEXT) | instid1(VALU_DEP_1)
	v_cvt_f32_u32_e32 v4, v4
	v_ldexp_f32 v3, v4, v3
	s_delay_alu instid0(VALU_DEP_1)
	v_cvt_f16_f32_e32 v3, v3
	s_branch .LBB182_544
.LBB182_542:
	s_mov_b32 s25, -1
                                        ; implicit-def: $vgpr3
.LBB182_543:
	s_mov_b32 s27, 0
.LBB182_544:
	s_delay_alu instid0(SALU_CYCLE_1)
	s_and_b32 vcc_lo, exec_lo, s27
	s_cbranch_vccz .LBB182_562
; %bb.545:
	s_cmp_lt_i32 s2, 27
	s_cbranch_scc1 .LBB182_548
; %bb.546:
	s_cmp_gt_i32 s2, 27
	s_cbranch_scc0 .LBB182_549
; %bb.547:
	s_wait_loadcnt 0x0
	global_load_b32 v3, v[0:1], off
	s_mov_b32 s24, 0
	s_wait_loadcnt 0x0
	v_cvt_f32_u32_e32 v3, v3
	s_delay_alu instid0(VALU_DEP_1)
	v_cvt_f16_f32_e32 v3, v3
	s_branch .LBB182_550
.LBB182_548:
	s_mov_b32 s24, -1
                                        ; implicit-def: $vgpr3
	s_branch .LBB182_553
.LBB182_549:
	s_mov_b32 s24, -1
                                        ; implicit-def: $vgpr3
.LBB182_550:
	s_delay_alu instid0(SALU_CYCLE_1)
	s_and_not1_b32 vcc_lo, exec_lo, s24
	s_cbranch_vccnz .LBB182_552
; %bb.551:
	s_wait_loadcnt 0x0
	global_load_u16 v3, v[0:1], off
	s_wait_loadcnt 0x0
	v_cvt_f16_u16_e32 v3, v3
.LBB182_552:
	s_mov_b32 s24, 0
.LBB182_553:
	s_delay_alu instid0(SALU_CYCLE_1)
	s_and_not1_b32 vcc_lo, exec_lo, s24
	s_cbranch_vccnz .LBB182_561
; %bb.554:
	global_load_u8 v4, v[0:1], off
	s_mov_b32 s24, 0
	s_mov_b32 s27, exec_lo
	s_wait_loadcnt 0x0
	v_cmpx_lt_i16_e32 0x7f, v4
	s_xor_b32 s27, exec_lo, s27
	s_cbranch_execz .LBB182_575
; %bb.555:
	s_mov_b32 s24, -1
	s_mov_b32 s28, exec_lo
	v_cmpx_eq_u16_e32 0x80, v4
; %bb.556:
	s_xor_b32 s24, exec_lo, -1
; %bb.557:
	s_or_b32 exec_lo, exec_lo, s28
	s_delay_alu instid0(SALU_CYCLE_1)
	s_and_b32 s24, s24, exec_lo
	s_or_saveexec_b32 s27, s27
	v_mov_b32_e32 v3, 0x7e00
	s_xor_b32 exec_lo, exec_lo, s27
	s_cbranch_execnz .LBB182_576
.LBB182_558:
	s_or_b32 exec_lo, exec_lo, s27
	s_and_saveexec_b32 s27, s24
	s_cbranch_execz .LBB182_560
.LBB182_559:
	v_and_b32_e32 v3, 0xffff, v4
	s_delay_alu instid0(VALU_DEP_1) | instskip(SKIP_1) | instid1(VALU_DEP_2)
	v_dual_lshlrev_b32 v4, 24, v4 :: v_dual_bitop2_b32 v5, 7, v3 bitop3:0x40
	v_bfe_u32 v9, v3, 3, 4
	v_and_b32_e32 v4, 0x80000000, v4
	s_delay_alu instid0(VALU_DEP_3) | instskip(NEXT) | instid1(VALU_DEP_3)
	v_clz_i32_u32_e32 v7, v5
	v_cmp_eq_u32_e32 vcc_lo, 0, v9
	s_delay_alu instid0(VALU_DEP_2) | instskip(NEXT) | instid1(VALU_DEP_1)
	v_min_u32_e32 v7, 32, v7
	v_subrev_nc_u32_e32 v8, 28, v7
	v_sub_nc_u32_e32 v7, 29, v7
	s_delay_alu instid0(VALU_DEP_2) | instskip(NEXT) | instid1(VALU_DEP_2)
	v_lshlrev_b32_e32 v3, v8, v3
	v_cndmask_b32_e32 v7, v9, v7, vcc_lo
	s_delay_alu instid0(VALU_DEP_2) | instskip(NEXT) | instid1(VALU_DEP_1)
	v_and_b32_e32 v3, 7, v3
	v_cndmask_b32_e32 v3, v5, v3, vcc_lo
	s_delay_alu instid0(VALU_DEP_3) | instskip(NEXT) | instid1(VALU_DEP_2)
	v_lshl_add_u32 v5, v7, 23, 0x3b800000
	v_lshlrev_b32_e32 v3, 20, v3
	s_delay_alu instid0(VALU_DEP_1) | instskip(NEXT) | instid1(VALU_DEP_1)
	v_or3_b32 v3, v4, v5, v3
	v_cvt_f16_f32_e32 v3, v3
.LBB182_560:
	s_or_b32 exec_lo, exec_lo, s27
.LBB182_561:
	s_mov_b32 s24, -1
.LBB182_562:
	s_mov_b32 s27, 0
.LBB182_563:
	s_delay_alu instid0(SALU_CYCLE_1)
	s_and_b32 vcc_lo, exec_lo, s27
	s_cbranch_vccz .LBB182_598
; %bb.564:
	s_cmp_gt_i32 s2, 22
	s_cbranch_scc0 .LBB182_574
; %bb.565:
	s_cmp_lt_i32 s2, 24
	s_cbranch_scc1 .LBB182_577
; %bb.566:
	s_cmp_gt_i32 s2, 24
	s_cbranch_scc0 .LBB182_578
; %bb.567:
	global_load_u8 v4, v[0:1], off
	s_mov_b32 s24, 0
	s_mov_b32 s27, exec_lo
	s_wait_loadcnt 0x0
	v_cmpx_lt_i16_e32 0x7f, v4
	s_xor_b32 s27, exec_lo, s27
	s_cbranch_execz .LBB182_590
; %bb.568:
	s_mov_b32 s24, -1
	s_mov_b32 s28, exec_lo
	v_cmpx_eq_u16_e32 0x80, v4
; %bb.569:
	s_xor_b32 s24, exec_lo, -1
; %bb.570:
	s_or_b32 exec_lo, exec_lo, s28
	s_delay_alu instid0(SALU_CYCLE_1)
	s_and_b32 s24, s24, exec_lo
	s_or_saveexec_b32 s27, s27
	v_mov_b32_e32 v3, 0x7e00
	s_xor_b32 exec_lo, exec_lo, s27
	s_cbranch_execnz .LBB182_591
.LBB182_571:
	s_or_b32 exec_lo, exec_lo, s27
	s_and_saveexec_b32 s27, s24
	s_cbranch_execz .LBB182_573
.LBB182_572:
	v_and_b32_e32 v3, 0xffff, v4
	s_delay_alu instid0(VALU_DEP_1) | instskip(SKIP_1) | instid1(VALU_DEP_2)
	v_dual_lshlrev_b32 v4, 24, v4 :: v_dual_bitop2_b32 v5, 3, v3 bitop3:0x40
	v_bfe_u32 v9, v3, 2, 5
	v_and_b32_e32 v4, 0x80000000, v4
	s_delay_alu instid0(VALU_DEP_3) | instskip(NEXT) | instid1(VALU_DEP_3)
	v_clz_i32_u32_e32 v7, v5
	v_cmp_eq_u32_e32 vcc_lo, 0, v9
	s_delay_alu instid0(VALU_DEP_2) | instskip(NEXT) | instid1(VALU_DEP_1)
	v_min_u32_e32 v7, 32, v7
	v_subrev_nc_u32_e32 v8, 29, v7
	v_sub_nc_u32_e32 v7, 30, v7
	s_delay_alu instid0(VALU_DEP_2) | instskip(NEXT) | instid1(VALU_DEP_2)
	v_lshlrev_b32_e32 v3, v8, v3
	v_cndmask_b32_e32 v7, v9, v7, vcc_lo
	s_delay_alu instid0(VALU_DEP_2) | instskip(NEXT) | instid1(VALU_DEP_1)
	v_and_b32_e32 v3, 3, v3
	v_cndmask_b32_e32 v3, v5, v3, vcc_lo
	s_delay_alu instid0(VALU_DEP_3) | instskip(NEXT) | instid1(VALU_DEP_2)
	v_lshl_add_u32 v5, v7, 23, 0x37800000
	v_lshlrev_b32_e32 v3, 21, v3
	s_delay_alu instid0(VALU_DEP_1) | instskip(NEXT) | instid1(VALU_DEP_1)
	v_or3_b32 v3, v4, v5, v3
	v_cvt_f16_f32_e32 v3, v3
.LBB182_573:
	s_or_b32 exec_lo, exec_lo, s27
	s_mov_b32 s24, 0
	s_branch .LBB182_579
.LBB182_574:
	s_mov_b32 s27, -1
                                        ; implicit-def: $vgpr3
	s_branch .LBB182_585
.LBB182_575:
	s_or_saveexec_b32 s27, s27
	v_mov_b32_e32 v3, 0x7e00
	s_xor_b32 exec_lo, exec_lo, s27
	s_cbranch_execz .LBB182_558
.LBB182_576:
	v_cmp_ne_u16_e32 vcc_lo, 0, v4
	v_mov_b32_e32 v3, v4
	s_and_not1_b32 s24, s24, exec_lo
	s_and_b32 s28, vcc_lo, exec_lo
	s_delay_alu instid0(SALU_CYCLE_1)
	s_or_b32 s24, s24, s28
	s_or_b32 exec_lo, exec_lo, s27
	s_and_saveexec_b32 s27, s24
	s_cbranch_execnz .LBB182_559
	s_branch .LBB182_560
.LBB182_577:
	s_mov_b32 s24, -1
                                        ; implicit-def: $vgpr3
	s_branch .LBB182_582
.LBB182_578:
	s_mov_b32 s24, -1
                                        ; implicit-def: $vgpr3
.LBB182_579:
	s_delay_alu instid0(SALU_CYCLE_1)
	s_and_b32 vcc_lo, exec_lo, s24
	s_cbranch_vccz .LBB182_581
; %bb.580:
	s_wait_loadcnt 0x0
	global_load_u8 v3, v[0:1], off
	s_wait_loadcnt 0x0
	v_lshlrev_b32_e32 v3, 24, v3
	s_delay_alu instid0(VALU_DEP_1) | instskip(NEXT) | instid1(VALU_DEP_1)
	v_and_b32_e32 v4, 0x7f000000, v3
	v_clz_i32_u32_e32 v5, v4
	v_add_nc_u32_e32 v8, 0x1000000, v4
	v_cmp_ne_u32_e32 vcc_lo, 0, v4
	s_delay_alu instid0(VALU_DEP_3) | instskip(NEXT) | instid1(VALU_DEP_1)
	v_min_u32_e32 v5, 32, v5
	v_sub_nc_u32_e64 v5, v5, 4 clamp
	s_delay_alu instid0(VALU_DEP_1) | instskip(NEXT) | instid1(VALU_DEP_1)
	v_dual_lshlrev_b32 v7, v5, v4 :: v_dual_lshlrev_b32 v5, 23, v5
	v_lshrrev_b32_e32 v7, 4, v7
	s_delay_alu instid0(VALU_DEP_1) | instskip(NEXT) | instid1(VALU_DEP_1)
	v_dual_sub_nc_u32 v5, v7, v5 :: v_dual_ashrrev_i32 v7, 8, v8
	v_add_nc_u32_e32 v5, 0x3c000000, v5
	s_delay_alu instid0(VALU_DEP_1) | instskip(NEXT) | instid1(VALU_DEP_1)
	v_and_or_b32 v5, 0x7f800000, v7, v5
	v_cndmask_b32_e32 v4, 0, v5, vcc_lo
	s_delay_alu instid0(VALU_DEP_1) | instskip(NEXT) | instid1(VALU_DEP_1)
	v_and_or_b32 v3, 0x80000000, v3, v4
	v_cvt_f16_f32_e32 v3, v3
.LBB182_581:
	s_mov_b32 s24, 0
.LBB182_582:
	s_delay_alu instid0(SALU_CYCLE_1)
	s_and_not1_b32 vcc_lo, exec_lo, s24
	s_cbranch_vccnz .LBB182_584
; %bb.583:
	s_wait_loadcnt 0x0
	global_load_u8 v3, v[0:1], off
	s_wait_loadcnt 0x0
	v_lshlrev_b32_e32 v4, 25, v3
	v_lshlrev_b16 v3, 8, v3
	s_delay_alu instid0(VALU_DEP_1) | instskip(NEXT) | instid1(VALU_DEP_3)
	v_and_or_b32 v7, 0x7f00, v3, 0.5
	v_lshrrev_b32_e32 v5, 4, v4
	v_bfe_i32 v3, v3, 0, 16
	s_delay_alu instid0(VALU_DEP_3) | instskip(NEXT) | instid1(VALU_DEP_3)
	v_add_f32_e32 v7, -0.5, v7
	v_or_b32_e32 v5, 0x70000000, v5
	s_delay_alu instid0(VALU_DEP_1) | instskip(SKIP_1) | instid1(VALU_DEP_2)
	v_mul_f32_e32 v5, 0x7800000, v5
	v_cmp_gt_u32_e32 vcc_lo, 0x8000000, v4
	v_cndmask_b32_e32 v4, v5, v7, vcc_lo
	s_delay_alu instid0(VALU_DEP_1) | instskip(NEXT) | instid1(VALU_DEP_1)
	v_and_or_b32 v3, 0x80000000, v3, v4
	v_cvt_f16_f32_e32 v3, v3
.LBB182_584:
	s_mov_b32 s27, 0
	s_mov_b32 s24, -1
.LBB182_585:
	s_and_not1_b32 vcc_lo, exec_lo, s27
	s_cbranch_vccnz .LBB182_598
; %bb.586:
	s_cmp_gt_i32 s2, 14
	s_cbranch_scc0 .LBB182_589
; %bb.587:
	s_cmp_eq_u32 s2, 15
	s_cbranch_scc0 .LBB182_592
; %bb.588:
	s_wait_loadcnt 0x0
	global_load_u16 v3, v[0:1], off
	s_mov_b32 s24, -1
	s_mov_b32 s25, 0
	s_wait_loadcnt 0x0
	v_lshlrev_b32_e32 v3, 16, v3
	s_delay_alu instid0(VALU_DEP_1)
	v_cvt_f16_f32_e32 v3, v3
	s_branch .LBB182_593
.LBB182_589:
	s_mov_b32 s27, -1
                                        ; implicit-def: $vgpr3
	s_branch .LBB182_594
.LBB182_590:
	s_or_saveexec_b32 s27, s27
	v_mov_b32_e32 v3, 0x7e00
	s_xor_b32 exec_lo, exec_lo, s27
	s_cbranch_execz .LBB182_571
.LBB182_591:
	v_cmp_ne_u16_e32 vcc_lo, 0, v4
	v_mov_b32_e32 v3, v4
	s_and_not1_b32 s24, s24, exec_lo
	s_and_b32 s28, vcc_lo, exec_lo
	s_delay_alu instid0(SALU_CYCLE_1)
	s_or_b32 s24, s24, s28
	s_or_b32 exec_lo, exec_lo, s27
	s_and_saveexec_b32 s27, s24
	s_cbranch_execnz .LBB182_572
	s_branch .LBB182_573
.LBB182_592:
	s_mov_b32 s25, -1
                                        ; implicit-def: $vgpr3
.LBB182_593:
	s_mov_b32 s27, 0
.LBB182_594:
	s_delay_alu instid0(SALU_CYCLE_1)
	s_and_b32 vcc_lo, exec_lo, s27
	s_cbranch_vccz .LBB182_598
; %bb.595:
	s_cmp_eq_u32 s2, 11
	s_cbranch_scc0 .LBB182_597
; %bb.596:
	s_wait_loadcnt 0x0
	global_load_u8 v3, v[0:1], off
	s_mov_b32 s25, 0
	s_mov_b32 s24, -1
	s_wait_loadcnt 0x0
	v_cmp_ne_u16_e32 vcc_lo, 0, v3
	v_cndmask_b32_e64 v3, 0, 0x3c00, vcc_lo
	s_branch .LBB182_598
.LBB182_597:
	s_mov_b32 s25, -1
                                        ; implicit-def: $vgpr3
.LBB182_598:
	s_mov_b32 s2, 0
.LBB182_599:
	s_delay_alu instid0(SALU_CYCLE_1)
	s_and_b32 vcc_lo, exec_lo, s2
	s_cbranch_vccz .LBB182_648
; %bb.600:
	s_and_b32 s1, 0xffff, s1
	s_delay_alu instid0(SALU_CYCLE_1)
	s_cmp_lt_i32 s1, 5
	s_cbranch_scc1 .LBB182_605
; %bb.601:
	s_cmp_lt_i32 s1, 8
	s_cbranch_scc1 .LBB182_606
; %bb.602:
	;; [unrolled: 3-line block ×3, first 2 shown]
	s_cmp_gt_i32 s1, 9
	s_cbranch_scc0 .LBB182_608
; %bb.604:
	global_load_b64 v[4:5], v[0:1], off
	s_mov_b32 s2, 0
	s_wait_loadcnt 0x0
	v_and_or_b32 v3, 0x1ff, v5, v4
	v_lshrrev_b32_e32 v4, 8, v5
	v_bfe_u32 v7, v5, 20, 11
	s_delay_alu instid0(VALU_DEP_3) | instskip(NEXT) | instid1(VALU_DEP_2)
	v_cmp_ne_u32_e32 vcc_lo, 0, v3
	v_sub_nc_u32_e32 v8, 0x3f1, v7
	v_cndmask_b32_e64 v3, 0, 1, vcc_lo
	s_delay_alu instid0(VALU_DEP_1) | instskip(NEXT) | instid1(VALU_DEP_3)
	v_and_or_b32 v3, 0xffe, v4, v3
	v_med3_i32 v4, v8, 0, 13
	s_delay_alu instid0(VALU_DEP_2) | instskip(NEXT) | instid1(VALU_DEP_1)
	v_or_b32_e32 v8, 0x1000, v3
	v_lshrrev_b32_e32 v9, v4, v8
	s_delay_alu instid0(VALU_DEP_1) | instskip(NEXT) | instid1(VALU_DEP_1)
	v_lshlrev_b32_e32 v4, v4, v9
	v_cmp_ne_u32_e32 vcc_lo, v4, v8
	v_cndmask_b32_e64 v4, 0, 1, vcc_lo
	s_delay_alu instid0(VALU_DEP_1) | instskip(SKIP_1) | instid1(VALU_DEP_1)
	v_or_b32_e32 v4, v9, v4
	v_add_nc_u32_e32 v7, 0xfffffc10, v7
	v_lshl_or_b32 v8, v7, 12, v3
	v_cmp_gt_i32_e32 vcc_lo, 1, v7
	s_delay_alu instid0(VALU_DEP_2) | instskip(NEXT) | instid1(VALU_DEP_1)
	v_cndmask_b32_e32 v4, v8, v4, vcc_lo
	v_dual_lshrrev_b32 v4, 2, v4 :: v_dual_bitop2_b32 v8, 7, v4 bitop3:0x40
	s_delay_alu instid0(VALU_DEP_1) | instskip(SKIP_4) | instid1(VALU_DEP_2)
	v_cmp_lt_i32_e32 vcc_lo, 5, v8
	v_cndmask_b32_e64 v9, 0, 1, vcc_lo
	v_cmp_eq_u32_e32 vcc_lo, 3, v8
	v_cndmask_b32_e64 v8, 0, 1, vcc_lo
	v_cmp_ne_u32_e32 vcc_lo, 0, v3
	v_or_b32_e32 v8, v8, v9
	s_delay_alu instid0(VALU_DEP_1) | instskip(NEXT) | instid1(VALU_DEP_1)
	v_dual_mov_b32 v9, 0x7e00 :: v_dual_add_nc_u32 v4, v4, v8
	v_cndmask_b32_e32 v3, 0x7c00, v9, vcc_lo
	v_cmp_gt_i32_e32 vcc_lo, 31, v7
	s_delay_alu instid0(VALU_DEP_3) | instskip(SKIP_1) | instid1(VALU_DEP_2)
	v_cndmask_b32_e32 v4, 0x7c00, v4, vcc_lo
	v_cmp_eq_u32_e32 vcc_lo, 0x40f, v7
	v_dual_cndmask_b32 v3, v4, v3 :: v_dual_lshrrev_b32 v4, 16, v5
	s_delay_alu instid0(VALU_DEP_1)
	v_and_or_b32 v3, 0x8000, v4, v3
	s_branch .LBB182_609
.LBB182_605:
	s_mov_b32 s2, -1
                                        ; implicit-def: $vgpr3
	s_branch .LBB182_627
.LBB182_606:
	s_mov_b32 s2, -1
                                        ; implicit-def: $vgpr3
	s_branch .LBB182_615
.LBB182_607:
	s_mov_b32 s2, -1
                                        ; implicit-def: $vgpr3
	s_branch .LBB182_612
.LBB182_608:
	s_mov_b32 s2, -1
                                        ; implicit-def: $vgpr3
.LBB182_609:
	s_delay_alu instid0(SALU_CYCLE_1)
	s_and_not1_b32 vcc_lo, exec_lo, s2
	s_cbranch_vccnz .LBB182_611
; %bb.610:
	s_wait_loadcnt 0x0
	global_load_b32 v3, v[0:1], off
	s_wait_loadcnt 0x0
	v_cvt_f16_f32_e32 v3, v3
.LBB182_611:
	s_mov_b32 s2, 0
.LBB182_612:
	s_delay_alu instid0(SALU_CYCLE_1)
	s_and_not1_b32 vcc_lo, exec_lo, s2
	s_cbranch_vccnz .LBB182_614
; %bb.613:
	s_wait_loadcnt 0x0
	global_load_b32 v3, v[0:1], off
.LBB182_614:
	s_mov_b32 s2, 0
.LBB182_615:
	s_delay_alu instid0(SALU_CYCLE_1)
	s_and_not1_b32 vcc_lo, exec_lo, s2
	s_cbranch_vccnz .LBB182_626
; %bb.616:
	s_cmp_lt_i32 s1, 6
	s_cbranch_scc1 .LBB182_619
; %bb.617:
	s_cmp_gt_i32 s1, 6
	s_cbranch_scc0 .LBB182_620
; %bb.618:
	global_load_b64 v[4:5], v[0:1], off
	s_mov_b32 s2, 0
	s_wait_loadcnt 0x0
	v_and_or_b32 v3, 0x1ff, v5, v4
	v_lshrrev_b32_e32 v4, 8, v5
	v_bfe_u32 v7, v5, 20, 11
	s_delay_alu instid0(VALU_DEP_3) | instskip(NEXT) | instid1(VALU_DEP_2)
	v_cmp_ne_u32_e32 vcc_lo, 0, v3
	v_sub_nc_u32_e32 v8, 0x3f1, v7
	v_cndmask_b32_e64 v3, 0, 1, vcc_lo
	s_delay_alu instid0(VALU_DEP_1) | instskip(NEXT) | instid1(VALU_DEP_3)
	v_and_or_b32 v3, 0xffe, v4, v3
	v_med3_i32 v4, v8, 0, 13
	s_delay_alu instid0(VALU_DEP_2) | instskip(NEXT) | instid1(VALU_DEP_1)
	v_or_b32_e32 v8, 0x1000, v3
	v_lshrrev_b32_e32 v9, v4, v8
	s_delay_alu instid0(VALU_DEP_1) | instskip(NEXT) | instid1(VALU_DEP_1)
	v_lshlrev_b32_e32 v4, v4, v9
	v_cmp_ne_u32_e32 vcc_lo, v4, v8
	v_cndmask_b32_e64 v4, 0, 1, vcc_lo
	s_delay_alu instid0(VALU_DEP_1) | instskip(SKIP_1) | instid1(VALU_DEP_1)
	v_or_b32_e32 v4, v9, v4
	v_add_nc_u32_e32 v7, 0xfffffc10, v7
	v_lshl_or_b32 v8, v7, 12, v3
	v_cmp_gt_i32_e32 vcc_lo, 1, v7
	s_delay_alu instid0(VALU_DEP_2) | instskip(NEXT) | instid1(VALU_DEP_1)
	v_cndmask_b32_e32 v4, v8, v4, vcc_lo
	v_dual_lshrrev_b32 v4, 2, v4 :: v_dual_bitop2_b32 v8, 7, v4 bitop3:0x40
	s_delay_alu instid0(VALU_DEP_1) | instskip(SKIP_4) | instid1(VALU_DEP_2)
	v_cmp_lt_i32_e32 vcc_lo, 5, v8
	v_cndmask_b32_e64 v9, 0, 1, vcc_lo
	v_cmp_eq_u32_e32 vcc_lo, 3, v8
	v_cndmask_b32_e64 v8, 0, 1, vcc_lo
	v_cmp_ne_u32_e32 vcc_lo, 0, v3
	v_or_b32_e32 v8, v8, v9
	s_delay_alu instid0(VALU_DEP_1) | instskip(NEXT) | instid1(VALU_DEP_1)
	v_dual_mov_b32 v9, 0x7e00 :: v_dual_add_nc_u32 v4, v4, v8
	v_cndmask_b32_e32 v3, 0x7c00, v9, vcc_lo
	v_cmp_gt_i32_e32 vcc_lo, 31, v7
	s_delay_alu instid0(VALU_DEP_3) | instskip(SKIP_1) | instid1(VALU_DEP_2)
	v_cndmask_b32_e32 v4, 0x7c00, v4, vcc_lo
	v_cmp_eq_u32_e32 vcc_lo, 0x40f, v7
	v_dual_cndmask_b32 v3, v4, v3 :: v_dual_lshrrev_b32 v4, 16, v5
	s_delay_alu instid0(VALU_DEP_1)
	v_and_or_b32 v3, 0x8000, v4, v3
	s_branch .LBB182_621
.LBB182_619:
	s_mov_b32 s2, -1
                                        ; implicit-def: $vgpr3
	s_branch .LBB182_624
.LBB182_620:
	s_mov_b32 s2, -1
                                        ; implicit-def: $vgpr3
.LBB182_621:
	s_delay_alu instid0(SALU_CYCLE_1)
	s_and_not1_b32 vcc_lo, exec_lo, s2
	s_cbranch_vccnz .LBB182_623
; %bb.622:
	s_wait_loadcnt 0x0
	global_load_b32 v3, v[0:1], off
	s_wait_loadcnt 0x0
	v_cvt_f16_f32_e32 v3, v3
.LBB182_623:
	s_mov_b32 s2, 0
.LBB182_624:
	s_delay_alu instid0(SALU_CYCLE_1)
	s_and_not1_b32 vcc_lo, exec_lo, s2
	s_cbranch_vccnz .LBB182_626
; %bb.625:
	s_wait_loadcnt 0x0
	global_load_u16 v3, v[0:1], off
.LBB182_626:
	s_mov_b32 s2, 0
.LBB182_627:
	s_delay_alu instid0(SALU_CYCLE_1)
	s_and_not1_b32 vcc_lo, exec_lo, s2
	s_cbranch_vccnz .LBB182_647
; %bb.628:
	s_cmp_lt_i32 s1, 2
	s_cbranch_scc1 .LBB182_632
; %bb.629:
	s_cmp_lt_i32 s1, 3
	s_cbranch_scc1 .LBB182_633
; %bb.630:
	s_cmp_gt_i32 s1, 3
	s_cbranch_scc0 .LBB182_634
; %bb.631:
	global_load_b64 v[4:5], v[0:1], off
	s_mov_b32 s2, 0
	s_wait_loadcnt 0x0
	v_xor_b32_e32 v3, v4, v5
	v_cls_i32_e32 v7, v5
	s_delay_alu instid0(VALU_DEP_2) | instskip(NEXT) | instid1(VALU_DEP_1)
	v_ashrrev_i32_e32 v3, 31, v3
	v_add_nc_u32_e32 v3, 32, v3
	s_delay_alu instid0(VALU_DEP_1) | instskip(NEXT) | instid1(VALU_DEP_1)
	v_add_min_u32_e64 v3, v7, -1, v3
	v_lshlrev_b64_e32 v[4:5], v3, v[4:5]
	v_sub_nc_u32_e32 v3, 32, v3
	s_delay_alu instid0(VALU_DEP_2) | instskip(NEXT) | instid1(VALU_DEP_1)
	v_min_u32_e32 v4, 1, v4
	v_or_b32_e32 v4, v5, v4
	s_delay_alu instid0(VALU_DEP_1) | instskip(NEXT) | instid1(VALU_DEP_1)
	v_cvt_f32_i32_e32 v4, v4
	v_ldexp_f32 v3, v4, v3
	s_delay_alu instid0(VALU_DEP_1)
	v_cvt_f16_f32_e32 v3, v3
	s_branch .LBB182_635
.LBB182_632:
	s_mov_b32 s2, -1
                                        ; implicit-def: $vgpr3
	s_branch .LBB182_641
.LBB182_633:
	s_mov_b32 s2, -1
                                        ; implicit-def: $vgpr3
	s_branch .LBB182_638
.LBB182_634:
	s_mov_b32 s2, -1
                                        ; implicit-def: $vgpr3
.LBB182_635:
	s_delay_alu instid0(SALU_CYCLE_1)
	s_and_not1_b32 vcc_lo, exec_lo, s2
	s_cbranch_vccnz .LBB182_637
; %bb.636:
	s_wait_loadcnt 0x0
	global_load_b32 v3, v[0:1], off
	s_wait_loadcnt 0x0
	v_cvt_f32_i32_e32 v3, v3
	s_delay_alu instid0(VALU_DEP_1)
	v_cvt_f16_f32_e32 v3, v3
.LBB182_637:
	s_mov_b32 s2, 0
.LBB182_638:
	s_delay_alu instid0(SALU_CYCLE_1)
	s_and_not1_b32 vcc_lo, exec_lo, s2
	s_cbranch_vccnz .LBB182_640
; %bb.639:
	s_wait_loadcnt 0x0
	global_load_u16 v3, v[0:1], off
	s_wait_loadcnt 0x0
	v_cvt_f16_i16_e32 v3, v3
.LBB182_640:
	s_mov_b32 s2, 0
.LBB182_641:
	s_delay_alu instid0(SALU_CYCLE_1)
	s_and_not1_b32 vcc_lo, exec_lo, s2
	s_cbranch_vccnz .LBB182_647
; %bb.642:
	s_cmp_gt_i32 s1, 0
	s_mov_b32 s1, 0
	s_cbranch_scc0 .LBB182_644
; %bb.643:
	s_wait_loadcnt 0x0
	global_load_i8 v3, v[0:1], off
	s_wait_loadcnt 0x0
	v_cvt_f16_i16_e32 v3, v3
	s_branch .LBB182_645
.LBB182_644:
	s_mov_b32 s1, -1
                                        ; implicit-def: $vgpr3
.LBB182_645:
	s_delay_alu instid0(SALU_CYCLE_1)
	s_and_not1_b32 vcc_lo, exec_lo, s1
	s_cbranch_vccnz .LBB182_647
; %bb.646:
	global_load_u8 v0, v[0:1], off
	s_wait_loadcnt 0x0
	v_cvt_f16_u16_e32 v3, v0
.LBB182_647:
	s_mov_b32 s24, -1
.LBB182_648:
	s_delay_alu instid0(SALU_CYCLE_1)
	s_and_not1_b32 vcc_lo, exec_lo, s24
	s_cbranch_vccnz .LBB182_656
; %bb.649:
	s_wait_loadcnt 0x0
	v_cmp_eq_f16_e32 vcc_lo, v2, v3
	s_wait_xcnt 0x0
	v_mul_lo_u32 v0, v6, s8
	s_and_b32 s24, s3, 0xff
	s_delay_alu instid0(SALU_CYCLE_1) | instskip(SKIP_3) | instid1(VALU_DEP_1)
	s_cmp_lt_i32 s24, 11
	v_cndmask_b32_e64 v1, 0, 1, vcc_lo
	v_cmp_neq_f16_e32 vcc_lo, v2, v3
	v_cndmask_b32_e64 v2, 0, 1, vcc_lo
	v_dual_cndmask_b32 v2, v2, v1, s0 :: v_dual_ashrrev_i32 v1, 31, v0
	s_delay_alu instid0(VALU_DEP_1) | instskip(NEXT) | instid1(VALU_DEP_2)
	v_and_b32_e32 v2, 1, v2
	v_add_nc_u64_e32 v[0:1], s[4:5], v[0:1]
	s_delay_alu instid0(VALU_DEP_2)
	v_cmp_eq_u32_e64 s1, 1, v2
	s_cbranch_scc1 .LBB182_657
; %bb.650:
	s_and_b32 s27, 0xffff, s24
	s_delay_alu instid0(SALU_CYCLE_1)
	s_cmp_gt_i32 s27, 25
	s_cbranch_scc0 .LBB182_658
; %bb.651:
	s_cmp_gt_i32 s27, 28
	s_cbranch_scc0 .LBB182_659
; %bb.652:
	;; [unrolled: 3-line block ×4, first 2 shown]
	s_mov_b32 s29, 0
	s_mov_b32 s2, -1
	s_cmp_eq_u32 s27, 46
	s_mov_b32 s28, 0
	s_cbranch_scc0 .LBB182_662
; %bb.655:
	v_cndmask_b32_e64 v2, 0, 1.0, s1
	s_mov_b32 s28, -1
	s_mov_b32 s2, 0
	s_delay_alu instid0(VALU_DEP_1) | instskip(NEXT) | instid1(VALU_DEP_1)
	v_bfe_u32 v3, v2, 16, 1
	v_add3_u32 v2, v2, v3, 0x7fff
	s_delay_alu instid0(VALU_DEP_1)
	v_lshrrev_b32_e32 v2, 16, v2
	global_store_b32 v[0:1], v2, off
	s_branch .LBB182_662
.LBB182_656:
	s_mov_b32 s1, 0
	s_mov_b32 s2, s18
	s_branch .LBB182_773
.LBB182_657:
	s_mov_b32 s27, -1
	s_mov_b32 s28, 0
	s_mov_b32 s2, s18
	s_branch .LBB182_731
.LBB182_658:
	s_mov_b32 s28, 0
	s_mov_b32 s2, s18
	s_branch .LBB182_689
.LBB182_659:
	s_mov_b32 s28, 0
	s_mov_b32 s2, s18
	s_branch .LBB182_672
.LBB182_660:
	s_mov_b32 s28, 0
	s_mov_b32 s2, s18
	s_branch .LBB182_668
.LBB182_661:
	s_mov_b32 s28, 0
	s_mov_b32 s2, s18
.LBB182_662:
	s_and_b32 vcc_lo, exec_lo, s29
	s_cbranch_vccz .LBB182_667
; %bb.663:
	s_cmp_eq_u32 s27, 44
	s_mov_b32 s2, -1
	s_cbranch_scc0 .LBB182_667
; %bb.664:
	v_cndmask_b32_e64 v4, 0, 1.0, s1
	s_mov_b32 s28, exec_lo
	s_wait_xcnt 0x0
	s_delay_alu instid0(VALU_DEP_1) | instskip(NEXT) | instid1(VALU_DEP_1)
	v_dual_mov_b32 v3, 0xff :: v_dual_lshrrev_b32 v2, 23, v4
	v_cmpx_ne_u32_e32 0xff, v2
; %bb.665:
	v_and_b32_e32 v3, 0x400000, v4
	v_and_or_b32 v4, 0x3fffff, v4, v2
	s_delay_alu instid0(VALU_DEP_2) | instskip(NEXT) | instid1(VALU_DEP_2)
	v_cmp_ne_u32_e32 vcc_lo, 0, v3
	v_cmp_ne_u32_e64 s2, 0, v4
	s_and_b32 s2, vcc_lo, s2
	s_delay_alu instid0(SALU_CYCLE_1) | instskip(NEXT) | instid1(VALU_DEP_1)
	v_cndmask_b32_e64 v3, 0, 1, s2
	v_add_nc_u32_e32 v3, v2, v3
; %bb.666:
	s_or_b32 exec_lo, exec_lo, s28
	s_mov_b32 s28, -1
	s_mov_b32 s2, 0
	global_store_b8 v[0:1], v3, off
.LBB182_667:
	s_mov_b32 s29, 0
.LBB182_668:
	s_delay_alu instid0(SALU_CYCLE_1)
	s_and_b32 vcc_lo, exec_lo, s29
	s_cbranch_vccz .LBB182_671
; %bb.669:
	s_cmp_eq_u32 s27, 29
	s_mov_b32 s2, -1
	s_cbranch_scc0 .LBB182_671
; %bb.670:
	s_mov_b32 s2, 0
	s_wait_xcnt 0x0
	v_cndmask_b32_e64 v2, 0, 1, s1
	v_mov_b32_e32 v3, s2
	s_mov_b32 s28, -1
	s_mov_b32 s29, 0
	global_store_b64 v[0:1], v[2:3], off
	s_branch .LBB182_672
.LBB182_671:
	s_mov_b32 s29, 0
.LBB182_672:
	s_delay_alu instid0(SALU_CYCLE_1)
	s_and_b32 vcc_lo, exec_lo, s29
	s_cbranch_vccz .LBB182_688
; %bb.673:
	s_cmp_lt_i32 s27, 27
	s_mov_b32 s28, -1
	s_cbranch_scc1 .LBB182_679
; %bb.674:
	s_cmp_gt_i32 s27, 27
	s_cbranch_scc0 .LBB182_676
; %bb.675:
	s_wait_xcnt 0x0
	v_cndmask_b32_e64 v2, 0, 1, s1
	s_mov_b32 s28, 0
	global_store_b32 v[0:1], v2, off
.LBB182_676:
	s_and_not1_b32 vcc_lo, exec_lo, s28
	s_cbranch_vccnz .LBB182_678
; %bb.677:
	s_wait_xcnt 0x0
	v_cndmask_b32_e64 v2, 0, 1, s1
	global_store_b16 v[0:1], v2, off
.LBB182_678:
	s_mov_b32 s28, 0
.LBB182_679:
	s_delay_alu instid0(SALU_CYCLE_1)
	s_and_not1_b32 vcc_lo, exec_lo, s28
	s_cbranch_vccnz .LBB182_687
; %bb.680:
	s_wait_xcnt 0x0
	v_cndmask_b32_e64 v3, 0, 1.0, s1
	v_mov_b32_e32 v4, 0x80
	s_mov_b32 s28, exec_lo
	s_delay_alu instid0(VALU_DEP_2)
	v_cmpx_gt_u32_e32 0x43800000, v3
	s_cbranch_execz .LBB182_686
; %bb.681:
	s_mov_b32 s29, 0
	s_mov_b32 s30, exec_lo
                                        ; implicit-def: $vgpr2
	v_cmpx_lt_u32_e32 0x3bffffff, v3
	s_xor_b32 s30, exec_lo, s30
	s_cbranch_execz .LBB182_789
; %bb.682:
	v_bfe_u32 v2, v3, 20, 1
	s_mov_b32 s29, exec_lo
	s_delay_alu instid0(VALU_DEP_1) | instskip(NEXT) | instid1(VALU_DEP_1)
	v_add3_u32 v2, v3, v2, 0x487ffff
                                        ; implicit-def: $vgpr3
	v_lshrrev_b32_e32 v2, 20, v2
	s_and_not1_saveexec_b32 s30, s30
	s_cbranch_execnz .LBB182_790
.LBB182_683:
	s_or_b32 exec_lo, exec_lo, s30
	v_mov_b32_e32 v4, 0
	s_and_saveexec_b32 s30, s29
.LBB182_684:
	v_mov_b32_e32 v4, v2
.LBB182_685:
	s_or_b32 exec_lo, exec_lo, s30
.LBB182_686:
	s_delay_alu instid0(SALU_CYCLE_1)
	s_or_b32 exec_lo, exec_lo, s28
	global_store_b8 v[0:1], v4, off
.LBB182_687:
	s_mov_b32 s28, -1
.LBB182_688:
	s_mov_b32 s29, 0
.LBB182_689:
	s_delay_alu instid0(SALU_CYCLE_1)
	s_and_b32 vcc_lo, exec_lo, s29
	s_cbranch_vccz .LBB182_730
; %bb.690:
	s_cmp_gt_i32 s27, 22
	s_mov_b32 s29, -1
	s_cbranch_scc0 .LBB182_722
; %bb.691:
	s_cmp_lt_i32 s27, 24
	s_mov_b32 s28, -1
	s_cbranch_scc1 .LBB182_711
; %bb.692:
	s_cmp_gt_i32 s27, 24
	s_cbranch_scc0 .LBB182_700
; %bb.693:
	s_wait_xcnt 0x0
	v_cndmask_b32_e64 v3, 0, 1.0, s1
	v_mov_b32_e32 v4, 0x80
	s_mov_b32 s28, exec_lo
	s_delay_alu instid0(VALU_DEP_2)
	v_cmpx_gt_u32_e32 0x47800000, v3
	s_cbranch_execz .LBB182_699
; %bb.694:
	s_mov_b32 s29, 0
	s_mov_b32 s30, exec_lo
                                        ; implicit-def: $vgpr2
	v_cmpx_lt_u32_e32 0x37ffffff, v3
	s_xor_b32 s30, exec_lo, s30
	s_cbranch_execz .LBB182_921
; %bb.695:
	v_bfe_u32 v2, v3, 21, 1
	s_mov_b32 s29, exec_lo
	s_delay_alu instid0(VALU_DEP_1) | instskip(NEXT) | instid1(VALU_DEP_1)
	v_add3_u32 v2, v3, v2, 0x88fffff
                                        ; implicit-def: $vgpr3
	v_lshrrev_b32_e32 v2, 21, v2
	s_and_not1_saveexec_b32 s30, s30
	s_cbranch_execnz .LBB182_922
.LBB182_696:
	s_or_b32 exec_lo, exec_lo, s30
	v_mov_b32_e32 v4, 0
	s_and_saveexec_b32 s30, s29
.LBB182_697:
	v_mov_b32_e32 v4, v2
.LBB182_698:
	s_or_b32 exec_lo, exec_lo, s30
.LBB182_699:
	s_delay_alu instid0(SALU_CYCLE_1)
	s_or_b32 exec_lo, exec_lo, s28
	s_mov_b32 s28, 0
	global_store_b8 v[0:1], v4, off
.LBB182_700:
	s_and_b32 vcc_lo, exec_lo, s28
	s_cbranch_vccz .LBB182_710
; %bb.701:
	s_wait_xcnt 0x0
	v_cndmask_b32_e64 v3, 0, 1.0, s1
	s_mov_b32 s28, exec_lo
                                        ; implicit-def: $vgpr2
	s_delay_alu instid0(VALU_DEP_1)
	v_cmpx_gt_u32_e32 0x43f00000, v3
	s_xor_b32 s28, exec_lo, s28
	s_cbranch_execz .LBB182_707
; %bb.702:
	s_mov_b32 s29, exec_lo
                                        ; implicit-def: $vgpr2
	v_cmpx_lt_u32_e32 0x3c7fffff, v3
	s_xor_b32 s29, exec_lo, s29
; %bb.703:
	v_bfe_u32 v2, v3, 20, 1
	s_delay_alu instid0(VALU_DEP_1) | instskip(NEXT) | instid1(VALU_DEP_1)
	v_add3_u32 v2, v3, v2, 0x407ffff
	v_and_b32_e32 v3, 0xff00000, v2
	v_lshrrev_b32_e32 v2, 20, v2
	s_delay_alu instid0(VALU_DEP_2) | instskip(NEXT) | instid1(VALU_DEP_2)
	v_cmp_ne_u32_e32 vcc_lo, 0x7f00000, v3
                                        ; implicit-def: $vgpr3
	v_cndmask_b32_e32 v2, 0x7e, v2, vcc_lo
; %bb.704:
	s_and_not1_saveexec_b32 s29, s29
; %bb.705:
	v_add_f32_e32 v2, 0x46800000, v3
; %bb.706:
	s_or_b32 exec_lo, exec_lo, s29
                                        ; implicit-def: $vgpr3
.LBB182_707:
	s_and_not1_saveexec_b32 s28, s28
; %bb.708:
	v_mov_b32_e32 v2, 0x7f
	v_cmp_lt_u32_e32 vcc_lo, 0x7f800000, v3
	s_delay_alu instid0(VALU_DEP_2)
	v_cndmask_b32_e32 v2, 0x7e, v2, vcc_lo
; %bb.709:
	s_or_b32 exec_lo, exec_lo, s28
	global_store_b8 v[0:1], v2, off
.LBB182_710:
	s_mov_b32 s28, 0
.LBB182_711:
	s_delay_alu instid0(SALU_CYCLE_1)
	s_and_not1_b32 vcc_lo, exec_lo, s28
	s_cbranch_vccnz .LBB182_721
; %bb.712:
	s_wait_xcnt 0x0
	v_cndmask_b32_e64 v3, 0, 1.0, s1
	s_mov_b32 s28, exec_lo
                                        ; implicit-def: $vgpr2
	s_delay_alu instid0(VALU_DEP_1)
	v_cmpx_gt_u32_e32 0x47800000, v3
	s_xor_b32 s28, exec_lo, s28
	s_cbranch_execz .LBB182_718
; %bb.713:
	s_mov_b32 s29, exec_lo
                                        ; implicit-def: $vgpr2
	v_cmpx_lt_u32_e32 0x387fffff, v3
	s_xor_b32 s29, exec_lo, s29
; %bb.714:
	v_bfe_u32 v2, v3, 21, 1
	s_delay_alu instid0(VALU_DEP_1) | instskip(NEXT) | instid1(VALU_DEP_1)
	v_add3_u32 v2, v3, v2, 0x80fffff
                                        ; implicit-def: $vgpr3
	v_lshrrev_b32_e32 v2, 21, v2
; %bb.715:
	s_and_not1_saveexec_b32 s29, s29
; %bb.716:
	v_add_f32_e32 v2, 0x43000000, v3
; %bb.717:
	s_or_b32 exec_lo, exec_lo, s29
                                        ; implicit-def: $vgpr3
.LBB182_718:
	s_and_not1_saveexec_b32 s28, s28
; %bb.719:
	v_mov_b32_e32 v2, 0x7f
	v_cmp_lt_u32_e32 vcc_lo, 0x7f800000, v3
	s_delay_alu instid0(VALU_DEP_2)
	v_cndmask_b32_e32 v2, 0x7c, v2, vcc_lo
; %bb.720:
	s_or_b32 exec_lo, exec_lo, s28
	global_store_b8 v[0:1], v2, off
.LBB182_721:
	s_mov_b32 s29, 0
	s_mov_b32 s28, -1
.LBB182_722:
	s_and_not1_b32 vcc_lo, exec_lo, s29
	s_cbranch_vccnz .LBB182_730
; %bb.723:
	s_cmp_gt_i32 s27, 14
	s_mov_b32 s29, -1
	s_cbranch_scc0 .LBB182_727
; %bb.724:
	s_cmp_eq_u32 s27, 15
	s_mov_b32 s2, -1
	s_cbranch_scc0 .LBB182_726
; %bb.725:
	s_wait_xcnt 0x0
	v_cndmask_b32_e64 v2, 0, 1.0, s1
	s_mov_b32 s28, -1
	s_mov_b32 s2, 0
	s_delay_alu instid0(VALU_DEP_1) | instskip(NEXT) | instid1(VALU_DEP_1)
	v_bfe_u32 v3, v2, 16, 1
	v_add3_u32 v2, v2, v3, 0x7fff
	global_store_d16_hi_b16 v[0:1], v2, off
.LBB182_726:
	s_mov_b32 s29, 0
.LBB182_727:
	s_delay_alu instid0(SALU_CYCLE_1)
	s_and_b32 vcc_lo, exec_lo, s29
	s_cbranch_vccz .LBB182_730
; %bb.728:
	s_cmp_eq_u32 s27, 11
	s_mov_b32 s2, -1
	s_cbranch_scc0 .LBB182_730
; %bb.729:
	s_wait_xcnt 0x0
	v_cndmask_b32_e64 v2, 0, 1, s1
	s_mov_b32 s28, -1
	s_mov_b32 s2, 0
	global_store_b8 v[0:1], v2, off
.LBB182_730:
	s_mov_b32 s27, 0
.LBB182_731:
	s_delay_alu instid0(SALU_CYCLE_1)
	s_and_b32 vcc_lo, exec_lo, s27
	s_cbranch_vccz .LBB182_770
; %bb.732:
	s_and_b32 s24, 0xffff, s24
	s_mov_b32 s27, -1
	s_cmp_lt_i32 s24, 5
	s_cbranch_scc1 .LBB182_753
; %bb.733:
	s_cmp_lt_i32 s24, 8
	s_cbranch_scc1 .LBB182_743
; %bb.734:
	;; [unrolled: 3-line block ×3, first 2 shown]
	s_cmp_gt_i32 s24, 9
	s_cbranch_scc0 .LBB182_737
; %bb.736:
	s_wait_xcnt 0x0
	v_cndmask_b32_e64 v2, 0, 1, s1
	v_mov_b32_e32 v4, 0
	s_mov_b32 s27, 0
	s_delay_alu instid0(VALU_DEP_2) | instskip(NEXT) | instid1(VALU_DEP_2)
	v_cvt_f64_u32_e32 v[2:3], v2
	v_mov_b32_e32 v5, v4
	global_store_b128 v[0:1], v[2:5], off
.LBB182_737:
	s_and_not1_b32 vcc_lo, exec_lo, s27
	s_cbranch_vccnz .LBB182_739
; %bb.738:
	s_wait_xcnt 0x0
	v_cndmask_b32_e64 v2, 0, 1.0, s1
	v_mov_b32_e32 v3, 0
	global_store_b64 v[0:1], v[2:3], off
.LBB182_739:
	s_mov_b32 s27, 0
.LBB182_740:
	s_delay_alu instid0(SALU_CYCLE_1)
	s_and_not1_b32 vcc_lo, exec_lo, s27
	s_cbranch_vccnz .LBB182_742
; %bb.741:
	s_wait_xcnt 0x0
	v_cndmask_b32_e64 v2, 0, 1.0, s1
	s_delay_alu instid0(VALU_DEP_1) | instskip(NEXT) | instid1(VALU_DEP_1)
	v_cvt_f16_f32_e32 v2, v2
	v_and_b32_e32 v2, 0xffff, v2
	global_store_b32 v[0:1], v2, off
.LBB182_742:
	s_mov_b32 s27, 0
.LBB182_743:
	s_delay_alu instid0(SALU_CYCLE_1)
	s_and_not1_b32 vcc_lo, exec_lo, s27
	s_cbranch_vccnz .LBB182_752
; %bb.744:
	s_cmp_lt_i32 s24, 6
	s_mov_b32 s27, -1
	s_cbranch_scc1 .LBB182_750
; %bb.745:
	s_cmp_gt_i32 s24, 6
	s_cbranch_scc0 .LBB182_747
; %bb.746:
	s_wait_xcnt 0x0
	v_cndmask_b32_e64 v2, 0, 1, s1
	s_mov_b32 s27, 0
	s_delay_alu instid0(VALU_DEP_1)
	v_cvt_f64_u32_e32 v[2:3], v2
	global_store_b64 v[0:1], v[2:3], off
.LBB182_747:
	s_and_not1_b32 vcc_lo, exec_lo, s27
	s_cbranch_vccnz .LBB182_749
; %bb.748:
	s_wait_xcnt 0x0
	v_cndmask_b32_e64 v2, 0, 1.0, s1
	global_store_b32 v[0:1], v2, off
.LBB182_749:
	s_mov_b32 s27, 0
.LBB182_750:
	s_delay_alu instid0(SALU_CYCLE_1)
	s_and_not1_b32 vcc_lo, exec_lo, s27
	s_cbranch_vccnz .LBB182_752
; %bb.751:
	s_wait_xcnt 0x0
	v_cndmask_b32_e64 v2, 0, 1.0, s1
	s_delay_alu instid0(VALU_DEP_1)
	v_cvt_f16_f32_e32 v2, v2
	global_store_b16 v[0:1], v2, off
.LBB182_752:
	s_mov_b32 s27, 0
.LBB182_753:
	s_delay_alu instid0(SALU_CYCLE_1)
	s_and_not1_b32 vcc_lo, exec_lo, s27
	s_cbranch_vccnz .LBB182_769
; %bb.754:
	s_cmp_lt_i32 s24, 2
	s_mov_b32 s27, -1
	s_cbranch_scc1 .LBB182_764
; %bb.755:
	s_cmp_lt_i32 s24, 3
	s_cbranch_scc1 .LBB182_761
; %bb.756:
	s_cmp_gt_i32 s24, 3
	s_cbranch_scc0 .LBB182_758
; %bb.757:
	s_mov_b32 s27, 0
	s_wait_xcnt 0x0
	v_cndmask_b32_e64 v2, 0, 1, s1
	v_mov_b32_e32 v3, s27
	global_store_b64 v[0:1], v[2:3], off
.LBB182_758:
	s_and_not1_b32 vcc_lo, exec_lo, s27
	s_cbranch_vccnz .LBB182_760
; %bb.759:
	s_wait_xcnt 0x0
	v_cndmask_b32_e64 v2, 0, 1, s1
	global_store_b32 v[0:1], v2, off
.LBB182_760:
	s_mov_b32 s27, 0
.LBB182_761:
	s_delay_alu instid0(SALU_CYCLE_1)
	s_and_not1_b32 vcc_lo, exec_lo, s27
	s_cbranch_vccnz .LBB182_763
; %bb.762:
	s_wait_xcnt 0x0
	v_cndmask_b32_e64 v2, 0, 1, s1
	global_store_b16 v[0:1], v2, off
.LBB182_763:
	s_mov_b32 s27, 0
.LBB182_764:
	s_delay_alu instid0(SALU_CYCLE_1)
	s_and_not1_b32 vcc_lo, exec_lo, s27
	s_cbranch_vccnz .LBB182_769
; %bb.765:
	s_wait_xcnt 0x0
	v_cndmask_b32_e64 v2, 0, 1, s1
	s_cmp_gt_i32 s24, 0
	s_mov_b32 s1, -1
	s_cbranch_scc0 .LBB182_767
; %bb.766:
	s_mov_b32 s1, 0
	global_store_b8 v[0:1], v2, off
.LBB182_767:
	s_and_not1_b32 vcc_lo, exec_lo, s1
	s_cbranch_vccnz .LBB182_769
; %bb.768:
	global_store_b8 v[0:1], v2, off
.LBB182_769:
	s_mov_b32 s28, -1
.LBB182_770:
	s_delay_alu instid0(SALU_CYCLE_1)
	s_and_not1_b32 vcc_lo, exec_lo, s28
	s_cbranch_vccnz .LBB182_772
; %bb.771:
	v_add_nc_u32_e32 v6, 0x80, v6
	s_mov_b32 s1, -1
	s_branch .LBB182_774
.LBB182_772:
	s_mov_b32 s1, 0
.LBB182_773:
                                        ; implicit-def: $vgpr6
.LBB182_774:
	s_and_not1_b32 s24, s18, exec_lo
	s_and_b32 s2, s2, exec_lo
	s_and_b32 s25, s25, exec_lo
	s_or_b32 s24, s24, s2
	s_and_not1_b32 s2, s20, exec_lo
	s_and_not1_b32 s27, s21, exec_lo
	s_and_b32 s23, s23, exec_lo
	s_or_b32 s25, s2, s25
	s_or_b32 s23, s27, s23
	s_or_not1_b32 s29, s1, exec_lo
.LBB182_775:
	s_wait_xcnt 0x0
	s_or_b32 exec_lo, exec_lo, s26
	s_mov_b32 s1, 0
	s_mov_b32 s27, 0
	;; [unrolled: 1-line block ×3, first 2 shown]
                                        ; implicit-def: $sgpr2
                                        ; implicit-def: $vgpr0_vgpr1
                                        ; implicit-def: $vgpr2
	s_and_saveexec_b32 s26, s29
	s_cbranch_execz .LBB182_1250
; %bb.776:
	s_mov_b32 s34, -1
	s_mov_b32 s1, s23
	s_mov_b32 s28, s25
	;; [unrolled: 1-line block ×3, first 2 shown]
	s_mov_b32 s27, exec_lo
	v_cmpx_gt_i32_e64 s19, v6
	s_cbranch_execz .LBB182_1166
; %bb.777:
	v_mul_lo_u32 v0, v6, s9
	s_and_b32 s1, s16, 0xff
	s_delay_alu instid0(SALU_CYCLE_1) | instskip(NEXT) | instid1(VALU_DEP_1)
	s_cmp_lt_i32 s1, 11
	v_ashrrev_i32_e32 v1, 31, v0
	s_delay_alu instid0(VALU_DEP_1)
	v_add_nc_u64_e32 v[0:1], s[6:7], v[0:1]
	s_cbranch_scc1 .LBB182_784
; %bb.778:
	s_and_b32 s2, 0xffff, s1
	s_delay_alu instid0(SALU_CYCLE_1)
	s_cmp_gt_i32 s2, 25
	s_cbranch_scc0 .LBB182_785
; %bb.779:
	s_cmp_gt_i32 s2, 28
	s_cbranch_scc0 .LBB182_786
; %bb.780:
	;; [unrolled: 3-line block ×4, first 2 shown]
	s_cmp_eq_u32 s2, 46
	s_mov_b32 s30, 0
	s_cbranch_scc0 .LBB182_791
; %bb.783:
	s_wait_loadcnt 0x0
	global_load_b32 v2, v[0:1], off
	s_mov_b32 s29, -1
	s_mov_b32 s28, 0
	s_wait_loadcnt 0x0
	v_lshlrev_b32_e32 v2, 16, v2
	s_delay_alu instid0(VALU_DEP_1)
	v_cvt_f16_f32_e32 v2, v2
	s_branch .LBB182_793
.LBB182_784:
	s_mov_b32 s2, -1
	s_mov_b32 s29, 0
	s_mov_b32 s28, s23
                                        ; implicit-def: $vgpr2
	s_branch .LBB182_858
.LBB182_785:
	s_mov_b32 s30, -1
	s_mov_b32 s29, 0
	s_mov_b32 s28, s23
                                        ; implicit-def: $vgpr2
	s_branch .LBB182_822
.LBB182_786:
	s_mov_b32 s30, -1
	s_mov_b32 s29, 0
	s_mov_b32 s28, s23
                                        ; implicit-def: $vgpr2
	s_branch .LBB182_803
.LBB182_787:
	s_mov_b32 s30, -1
	s_mov_b32 s29, 0
	s_mov_b32 s28, s23
                                        ; implicit-def: $vgpr2
	s_branch .LBB182_798
.LBB182_788:
	s_mov_b32 s30, -1
	s_mov_b32 s29, 0
	s_mov_b32 s28, s23
	s_branch .LBB182_792
.LBB182_789:
	s_and_not1_saveexec_b32 s30, s30
	s_cbranch_execz .LBB182_683
.LBB182_790:
	v_add_f32_e32 v2, 0x46000000, v3
	s_and_not1_b32 s29, s29, exec_lo
	s_delay_alu instid0(VALU_DEP_1) | instskip(NEXT) | instid1(VALU_DEP_1)
	v_and_b32_e32 v2, 0xff, v2
	v_cmp_ne_u32_e32 vcc_lo, 0, v2
	s_and_b32 s31, vcc_lo, exec_lo
	s_delay_alu instid0(SALU_CYCLE_1)
	s_or_b32 s29, s29, s31
	s_or_b32 exec_lo, exec_lo, s30
	v_mov_b32_e32 v4, 0
	s_and_saveexec_b32 s30, s29
	s_cbranch_execnz .LBB182_684
	s_branch .LBB182_685
.LBB182_791:
	s_mov_b32 s28, -1
	s_mov_b32 s29, 0
.LBB182_792:
                                        ; implicit-def: $vgpr2
.LBB182_793:
	s_and_b32 vcc_lo, exec_lo, s30
	s_cbranch_vccz .LBB182_797
; %bb.794:
	s_cmp_eq_u32 s2, 44
	s_cbranch_scc0 .LBB182_796
; %bb.795:
	s_wait_loadcnt 0x0
	global_load_u8 v2, v[0:1], off
	s_mov_b32 s28, 0
	s_mov_b32 s29, -1
	s_wait_loadcnt 0x0
	v_lshlrev_b32_e32 v3, 23, v2
	v_cmp_ne_u32_e32 vcc_lo, 0xff, v2
	s_delay_alu instid0(VALU_DEP_2) | instskip(NEXT) | instid1(VALU_DEP_1)
	v_cvt_f16_f32_e32 v3, v3
	v_cndmask_b32_e32 v3, 0x7e00, v3, vcc_lo
	v_cmp_ne_u32_e32 vcc_lo, 0, v2
	s_delay_alu instid0(VALU_DEP_2)
	v_cndmask_b32_e32 v2, 0, v3, vcc_lo
	s_branch .LBB182_797
.LBB182_796:
	s_mov_b32 s28, -1
                                        ; implicit-def: $vgpr2
.LBB182_797:
	s_mov_b32 s30, 0
.LBB182_798:
	s_delay_alu instid0(SALU_CYCLE_1)
	s_and_b32 vcc_lo, exec_lo, s30
	s_cbranch_vccz .LBB182_802
; %bb.799:
	s_cmp_eq_u32 s2, 29
	s_cbranch_scc0 .LBB182_801
; %bb.800:
	s_wait_loadcnt 0x0
	global_load_b64 v[2:3], v[0:1], off
	s_mov_b32 s29, -1
	s_mov_b32 s28, 0
	s_mov_b32 s30, 0
	s_wait_loadcnt 0x0
	v_clz_i32_u32_e32 v4, v3
	s_delay_alu instid0(VALU_DEP_1) | instskip(NEXT) | instid1(VALU_DEP_1)
	v_min_u32_e32 v4, 32, v4
	v_lshlrev_b64_e32 v[2:3], v4, v[2:3]
	s_delay_alu instid0(VALU_DEP_1) | instskip(NEXT) | instid1(VALU_DEP_1)
	v_min_u32_e32 v2, 1, v2
	v_dual_sub_nc_u32 v3, 32, v4 :: v_dual_bitop2_b32 v2, v3, v2 bitop3:0x54
	s_delay_alu instid0(VALU_DEP_1) | instskip(NEXT) | instid1(VALU_DEP_1)
	v_cvt_f32_u32_e32 v2, v2
	v_ldexp_f32 v2, v2, v3
	s_delay_alu instid0(VALU_DEP_1)
	v_cvt_f16_f32_e32 v2, v2
	s_branch .LBB182_803
.LBB182_801:
	s_mov_b32 s28, -1
                                        ; implicit-def: $vgpr2
.LBB182_802:
	s_mov_b32 s30, 0
.LBB182_803:
	s_delay_alu instid0(SALU_CYCLE_1)
	s_and_b32 vcc_lo, exec_lo, s30
	s_cbranch_vccz .LBB182_821
; %bb.804:
	s_cmp_lt_i32 s2, 27
	s_cbranch_scc1 .LBB182_807
; %bb.805:
	s_cmp_gt_i32 s2, 27
	s_cbranch_scc0 .LBB182_808
; %bb.806:
	s_wait_loadcnt 0x0
	global_load_b32 v2, v[0:1], off
	s_mov_b32 s29, 0
	s_wait_loadcnt 0x0
	v_cvt_f32_u32_e32 v2, v2
	s_delay_alu instid0(VALU_DEP_1)
	v_cvt_f16_f32_e32 v2, v2
	s_branch .LBB182_809
.LBB182_807:
	s_mov_b32 s29, -1
                                        ; implicit-def: $vgpr2
	s_branch .LBB182_812
.LBB182_808:
	s_mov_b32 s29, -1
                                        ; implicit-def: $vgpr2
.LBB182_809:
	s_delay_alu instid0(SALU_CYCLE_1)
	s_and_not1_b32 vcc_lo, exec_lo, s29
	s_cbranch_vccnz .LBB182_811
; %bb.810:
	s_wait_loadcnt 0x0
	global_load_u16 v2, v[0:1], off
	s_wait_loadcnt 0x0
	v_cvt_f16_u16_e32 v2, v2
.LBB182_811:
	s_mov_b32 s29, 0
.LBB182_812:
	s_delay_alu instid0(SALU_CYCLE_1)
	s_and_not1_b32 vcc_lo, exec_lo, s29
	s_cbranch_vccnz .LBB182_820
; %bb.813:
	s_wait_loadcnt 0x0
	global_load_u8 v3, v[0:1], off
	s_mov_b32 s29, 0
	s_mov_b32 s30, exec_lo
	s_wait_loadcnt 0x0
	v_cmpx_lt_i16_e32 0x7f, v3
	s_xor_b32 s30, exec_lo, s30
	s_cbranch_execz .LBB182_834
; %bb.814:
	s_mov_b32 s29, -1
	s_mov_b32 s31, exec_lo
	v_cmpx_eq_u16_e32 0x80, v3
; %bb.815:
	s_xor_b32 s29, exec_lo, -1
; %bb.816:
	s_or_b32 exec_lo, exec_lo, s31
	s_delay_alu instid0(SALU_CYCLE_1)
	s_and_b32 s29, s29, exec_lo
	s_or_saveexec_b32 s30, s30
	v_mov_b32_e32 v2, 0x7e00
	s_xor_b32 exec_lo, exec_lo, s30
	s_cbranch_execnz .LBB182_835
.LBB182_817:
	s_or_b32 exec_lo, exec_lo, s30
	s_and_saveexec_b32 s30, s29
	s_cbranch_execz .LBB182_819
.LBB182_818:
	v_and_b32_e32 v2, 0xffff, v3
	s_delay_alu instid0(VALU_DEP_1) | instskip(SKIP_1) | instid1(VALU_DEP_2)
	v_and_b32_e32 v4, 7, v2
	v_bfe_u32 v8, v2, 3, 4
	v_clz_i32_u32_e32 v5, v4
	s_delay_alu instid0(VALU_DEP_2) | instskip(NEXT) | instid1(VALU_DEP_2)
	v_cmp_eq_u32_e32 vcc_lo, 0, v8
	v_min_u32_e32 v5, 32, v5
	s_delay_alu instid0(VALU_DEP_1) | instskip(NEXT) | instid1(VALU_DEP_1)
	v_subrev_nc_u32_e32 v7, 28, v5
	v_dual_lshlrev_b32 v2, v7, v2 :: v_dual_sub_nc_u32 v5, 29, v5
	s_delay_alu instid0(VALU_DEP_1) | instskip(NEXT) | instid1(VALU_DEP_2)
	v_dual_lshlrev_b32 v3, 24, v3 :: v_dual_bitop2_b32 v2, 7, v2 bitop3:0x40
	v_cndmask_b32_e32 v5, v8, v5, vcc_lo
	s_delay_alu instid0(VALU_DEP_2) | instskip(NEXT) | instid1(VALU_DEP_3)
	v_cndmask_b32_e32 v2, v4, v2, vcc_lo
	v_and_b32_e32 v3, 0x80000000, v3
	s_delay_alu instid0(VALU_DEP_3) | instskip(NEXT) | instid1(VALU_DEP_3)
	v_lshl_add_u32 v4, v5, 23, 0x3b800000
	v_lshlrev_b32_e32 v2, 20, v2
	s_delay_alu instid0(VALU_DEP_1) | instskip(NEXT) | instid1(VALU_DEP_1)
	v_or3_b32 v2, v3, v4, v2
	v_cvt_f16_f32_e32 v2, v2
.LBB182_819:
	s_or_b32 exec_lo, exec_lo, s30
.LBB182_820:
	s_mov_b32 s29, -1
.LBB182_821:
	s_mov_b32 s30, 0
.LBB182_822:
	s_delay_alu instid0(SALU_CYCLE_1)
	s_and_b32 vcc_lo, exec_lo, s30
	s_cbranch_vccz .LBB182_857
; %bb.823:
	s_cmp_gt_i32 s2, 22
	s_cbranch_scc0 .LBB182_833
; %bb.824:
	s_cmp_lt_i32 s2, 24
	s_cbranch_scc1 .LBB182_836
; %bb.825:
	s_cmp_gt_i32 s2, 24
	s_cbranch_scc0 .LBB182_837
; %bb.826:
	s_wait_loadcnt 0x0
	global_load_u8 v3, v[0:1], off
	s_mov_b32 s29, 0
	s_mov_b32 s30, exec_lo
	s_wait_loadcnt 0x0
	v_cmpx_lt_i16_e32 0x7f, v3
	s_xor_b32 s30, exec_lo, s30
	s_cbranch_execz .LBB182_849
; %bb.827:
	s_mov_b32 s29, -1
	s_mov_b32 s31, exec_lo
	v_cmpx_eq_u16_e32 0x80, v3
; %bb.828:
	s_xor_b32 s29, exec_lo, -1
; %bb.829:
	s_or_b32 exec_lo, exec_lo, s31
	s_delay_alu instid0(SALU_CYCLE_1)
	s_and_b32 s29, s29, exec_lo
	s_or_saveexec_b32 s30, s30
	v_mov_b32_e32 v2, 0x7e00
	s_xor_b32 exec_lo, exec_lo, s30
	s_cbranch_execnz .LBB182_850
.LBB182_830:
	s_or_b32 exec_lo, exec_lo, s30
	s_and_saveexec_b32 s30, s29
	s_cbranch_execz .LBB182_832
.LBB182_831:
	v_and_b32_e32 v2, 0xffff, v3
	s_delay_alu instid0(VALU_DEP_1) | instskip(SKIP_1) | instid1(VALU_DEP_2)
	v_and_b32_e32 v4, 3, v2
	v_bfe_u32 v8, v2, 2, 5
	v_clz_i32_u32_e32 v5, v4
	s_delay_alu instid0(VALU_DEP_2) | instskip(NEXT) | instid1(VALU_DEP_2)
	v_cmp_eq_u32_e32 vcc_lo, 0, v8
	v_min_u32_e32 v5, 32, v5
	s_delay_alu instid0(VALU_DEP_1) | instskip(NEXT) | instid1(VALU_DEP_1)
	v_subrev_nc_u32_e32 v7, 29, v5
	v_dual_lshlrev_b32 v2, v7, v2 :: v_dual_sub_nc_u32 v5, 30, v5
	s_delay_alu instid0(VALU_DEP_1) | instskip(NEXT) | instid1(VALU_DEP_2)
	v_dual_lshlrev_b32 v3, 24, v3 :: v_dual_bitop2_b32 v2, 3, v2 bitop3:0x40
	v_cndmask_b32_e32 v5, v8, v5, vcc_lo
	s_delay_alu instid0(VALU_DEP_2) | instskip(NEXT) | instid1(VALU_DEP_3)
	v_cndmask_b32_e32 v2, v4, v2, vcc_lo
	v_and_b32_e32 v3, 0x80000000, v3
	s_delay_alu instid0(VALU_DEP_3) | instskip(NEXT) | instid1(VALU_DEP_3)
	v_lshl_add_u32 v4, v5, 23, 0x37800000
	v_lshlrev_b32_e32 v2, 21, v2
	s_delay_alu instid0(VALU_DEP_1) | instskip(NEXT) | instid1(VALU_DEP_1)
	v_or3_b32 v2, v3, v4, v2
	v_cvt_f16_f32_e32 v2, v2
.LBB182_832:
	s_or_b32 exec_lo, exec_lo, s30
	s_mov_b32 s29, 0
	s_branch .LBB182_838
.LBB182_833:
	s_mov_b32 s30, -1
                                        ; implicit-def: $vgpr2
	s_branch .LBB182_844
.LBB182_834:
	s_or_saveexec_b32 s30, s30
	v_mov_b32_e32 v2, 0x7e00
	s_xor_b32 exec_lo, exec_lo, s30
	s_cbranch_execz .LBB182_817
.LBB182_835:
	v_cmp_ne_u16_e32 vcc_lo, 0, v3
	v_mov_b32_e32 v2, v3
	s_and_not1_b32 s29, s29, exec_lo
	s_and_b32 s31, vcc_lo, exec_lo
	s_delay_alu instid0(SALU_CYCLE_1)
	s_or_b32 s29, s29, s31
	s_or_b32 exec_lo, exec_lo, s30
	s_and_saveexec_b32 s30, s29
	s_cbranch_execnz .LBB182_818
	s_branch .LBB182_819
.LBB182_836:
	s_mov_b32 s29, -1
                                        ; implicit-def: $vgpr2
	s_branch .LBB182_841
.LBB182_837:
	s_mov_b32 s29, -1
                                        ; implicit-def: $vgpr2
.LBB182_838:
	s_delay_alu instid0(SALU_CYCLE_1)
	s_and_b32 vcc_lo, exec_lo, s29
	s_cbranch_vccz .LBB182_840
; %bb.839:
	s_wait_loadcnt 0x0
	global_load_u8 v2, v[0:1], off
	s_wait_loadcnt 0x0
	v_lshlrev_b32_e32 v2, 24, v2
	s_delay_alu instid0(VALU_DEP_1) | instskip(NEXT) | instid1(VALU_DEP_1)
	v_and_b32_e32 v3, 0x7f000000, v2
	v_clz_i32_u32_e32 v4, v3
	v_add_nc_u32_e32 v7, 0x1000000, v3
	v_cmp_ne_u32_e32 vcc_lo, 0, v3
	s_delay_alu instid0(VALU_DEP_3) | instskip(NEXT) | instid1(VALU_DEP_1)
	v_min_u32_e32 v4, 32, v4
	v_sub_nc_u32_e64 v4, v4, 4 clamp
	s_delay_alu instid0(VALU_DEP_1) | instskip(NEXT) | instid1(VALU_DEP_1)
	v_dual_lshlrev_b32 v5, v4, v3 :: v_dual_lshlrev_b32 v4, 23, v4
	v_lshrrev_b32_e32 v5, 4, v5
	s_delay_alu instid0(VALU_DEP_1) | instskip(NEXT) | instid1(VALU_DEP_1)
	v_dual_sub_nc_u32 v4, v5, v4 :: v_dual_ashrrev_i32 v5, 8, v7
	v_add_nc_u32_e32 v4, 0x3c000000, v4
	s_delay_alu instid0(VALU_DEP_1) | instskip(NEXT) | instid1(VALU_DEP_1)
	v_and_or_b32 v4, 0x7f800000, v5, v4
	v_cndmask_b32_e32 v3, 0, v4, vcc_lo
	s_delay_alu instid0(VALU_DEP_1) | instskip(NEXT) | instid1(VALU_DEP_1)
	v_and_or_b32 v2, 0x80000000, v2, v3
	v_cvt_f16_f32_e32 v2, v2
.LBB182_840:
	s_mov_b32 s29, 0
.LBB182_841:
	s_delay_alu instid0(SALU_CYCLE_1)
	s_and_not1_b32 vcc_lo, exec_lo, s29
	s_cbranch_vccnz .LBB182_843
; %bb.842:
	s_wait_loadcnt 0x0
	global_load_u8 v2, v[0:1], off
	s_wait_loadcnt 0x0
	v_lshlrev_b32_e32 v3, 25, v2
	v_lshlrev_b16 v2, 8, v2
	s_delay_alu instid0(VALU_DEP_1) | instskip(SKIP_1) | instid1(VALU_DEP_2)
	v_and_or_b32 v5, 0x7f00, v2, 0.5
	v_bfe_i32 v2, v2, 0, 16
	v_dual_add_f32 v5, -0.5, v5 :: v_dual_lshrrev_b32 v4, 4, v3
	v_cmp_gt_u32_e32 vcc_lo, 0x8000000, v3
	s_delay_alu instid0(VALU_DEP_2) | instskip(NEXT) | instid1(VALU_DEP_1)
	v_or_b32_e32 v4, 0x70000000, v4
	v_mul_f32_e32 v4, 0x7800000, v4
	s_delay_alu instid0(VALU_DEP_1) | instskip(NEXT) | instid1(VALU_DEP_1)
	v_cndmask_b32_e32 v3, v4, v5, vcc_lo
	v_and_or_b32 v2, 0x80000000, v2, v3
	s_delay_alu instid0(VALU_DEP_1)
	v_cvt_f16_f32_e32 v2, v2
.LBB182_843:
	s_mov_b32 s30, 0
	s_mov_b32 s29, -1
.LBB182_844:
	s_and_not1_b32 vcc_lo, exec_lo, s30
	s_cbranch_vccnz .LBB182_857
; %bb.845:
	s_cmp_gt_i32 s2, 14
	s_cbranch_scc0 .LBB182_848
; %bb.846:
	s_cmp_eq_u32 s2, 15
	s_cbranch_scc0 .LBB182_851
; %bb.847:
	s_wait_loadcnt 0x0
	global_load_u16 v2, v[0:1], off
	s_mov_b32 s29, -1
	s_mov_b32 s28, 0
	s_wait_loadcnt 0x0
	v_lshlrev_b32_e32 v2, 16, v2
	s_delay_alu instid0(VALU_DEP_1)
	v_cvt_f16_f32_e32 v2, v2
	s_branch .LBB182_852
.LBB182_848:
	s_mov_b32 s30, -1
                                        ; implicit-def: $vgpr2
	s_branch .LBB182_853
.LBB182_849:
	s_or_saveexec_b32 s30, s30
	v_mov_b32_e32 v2, 0x7e00
	s_xor_b32 exec_lo, exec_lo, s30
	s_cbranch_execz .LBB182_830
.LBB182_850:
	v_cmp_ne_u16_e32 vcc_lo, 0, v3
	v_mov_b32_e32 v2, v3
	s_and_not1_b32 s29, s29, exec_lo
	s_and_b32 s31, vcc_lo, exec_lo
	s_delay_alu instid0(SALU_CYCLE_1)
	s_or_b32 s29, s29, s31
	s_or_b32 exec_lo, exec_lo, s30
	s_and_saveexec_b32 s30, s29
	s_cbranch_execnz .LBB182_831
	s_branch .LBB182_832
.LBB182_851:
	s_mov_b32 s28, -1
                                        ; implicit-def: $vgpr2
.LBB182_852:
	s_mov_b32 s30, 0
.LBB182_853:
	s_delay_alu instid0(SALU_CYCLE_1)
	s_and_b32 vcc_lo, exec_lo, s30
	s_cbranch_vccz .LBB182_857
; %bb.854:
	s_cmp_eq_u32 s2, 11
	s_cbranch_scc0 .LBB182_856
; %bb.855:
	s_wait_loadcnt 0x0
	global_load_u8 v2, v[0:1], off
	s_mov_b32 s28, 0
	s_mov_b32 s29, -1
	s_wait_loadcnt 0x0
	v_cmp_ne_u16_e32 vcc_lo, 0, v2
	v_cndmask_b32_e64 v2, 0, 0x3c00, vcc_lo
	s_branch .LBB182_857
.LBB182_856:
	s_mov_b32 s28, -1
                                        ; implicit-def: $vgpr2
.LBB182_857:
	s_mov_b32 s2, 0
.LBB182_858:
	s_delay_alu instid0(SALU_CYCLE_1)
	s_and_b32 vcc_lo, exec_lo, s2
	s_cbranch_vccz .LBB182_907
; %bb.859:
	s_and_b32 s1, 0xffff, s1
	s_delay_alu instid0(SALU_CYCLE_1)
	s_cmp_lt_i32 s1, 5
	s_cbranch_scc1 .LBB182_864
; %bb.860:
	s_cmp_lt_i32 s1, 8
	s_cbranch_scc1 .LBB182_865
; %bb.861:
	;; [unrolled: 3-line block ×3, first 2 shown]
	s_cmp_gt_i32 s1, 9
	s_cbranch_scc0 .LBB182_867
; %bb.863:
	s_wait_loadcnt 0x0
	global_load_b64 v[2:3], v[0:1], off
	s_mov_b32 s2, 0
	s_wait_loadcnt 0x0
	v_and_or_b32 v2, 0x1ff, v3, v2
	v_lshrrev_b32_e32 v4, 8, v3
	v_bfe_u32 v5, v3, 20, 11
	v_lshrrev_b32_e32 v3, 16, v3
	s_delay_alu instid0(VALU_DEP_4) | instskip(NEXT) | instid1(VALU_DEP_3)
	v_cmp_ne_u32_e32 vcc_lo, 0, v2
	v_sub_nc_u32_e32 v7, 0x3f1, v5
	v_add_nc_u32_e32 v5, 0xfffffc10, v5
	v_cndmask_b32_e64 v2, 0, 1, vcc_lo
	s_delay_alu instid0(VALU_DEP_1) | instskip(NEXT) | instid1(VALU_DEP_4)
	v_and_or_b32 v2, 0xffe, v4, v2
	v_med3_i32 v4, v7, 0, 13
	s_delay_alu instid0(VALU_DEP_2) | instskip(NEXT) | instid1(VALU_DEP_1)
	v_or_b32_e32 v7, 0x1000, v2
	v_lshrrev_b32_e32 v8, v4, v7
	s_delay_alu instid0(VALU_DEP_1) | instskip(NEXT) | instid1(VALU_DEP_1)
	v_lshlrev_b32_e32 v4, v4, v8
	v_cmp_ne_u32_e32 vcc_lo, v4, v7
	v_lshl_or_b32 v7, v5, 12, v2
	v_cndmask_b32_e64 v4, 0, 1, vcc_lo
	v_cmp_gt_i32_e32 vcc_lo, 1, v5
	s_delay_alu instid0(VALU_DEP_2) | instskip(NEXT) | instid1(VALU_DEP_1)
	v_or_b32_e32 v4, v8, v4
	v_cndmask_b32_e32 v4, v7, v4, vcc_lo
	s_delay_alu instid0(VALU_DEP_1) | instskip(NEXT) | instid1(VALU_DEP_1)
	v_dual_lshrrev_b32 v4, 2, v4 :: v_dual_bitop2_b32 v7, 7, v4 bitop3:0x40
	v_cmp_lt_i32_e32 vcc_lo, 5, v7
	v_cndmask_b32_e64 v8, 0, 1, vcc_lo
	v_cmp_eq_u32_e32 vcc_lo, 3, v7
	v_cndmask_b32_e64 v7, 0, 1, vcc_lo
	v_cmp_ne_u32_e32 vcc_lo, 0, v2
	s_delay_alu instid0(VALU_DEP_2) | instskip(SKIP_1) | instid1(VALU_DEP_2)
	v_or_b32_e32 v7, v7, v8
	v_mov_b32_e32 v8, 0x7e00
	v_add_nc_u32_e32 v4, v4, v7
	s_delay_alu instid0(VALU_DEP_2) | instskip(SKIP_1) | instid1(VALU_DEP_3)
	v_cndmask_b32_e32 v2, 0x7c00, v8, vcc_lo
	v_cmp_gt_i32_e32 vcc_lo, 31, v5
	v_cndmask_b32_e32 v4, 0x7c00, v4, vcc_lo
	v_cmp_eq_u32_e32 vcc_lo, 0x40f, v5
	s_delay_alu instid0(VALU_DEP_2) | instskip(NEXT) | instid1(VALU_DEP_1)
	v_cndmask_b32_e32 v2, v4, v2, vcc_lo
	v_and_or_b32 v2, 0x8000, v3, v2
	s_branch .LBB182_868
.LBB182_864:
	s_mov_b32 s2, -1
                                        ; implicit-def: $vgpr2
	s_branch .LBB182_886
.LBB182_865:
	s_mov_b32 s2, -1
                                        ; implicit-def: $vgpr2
	s_branch .LBB182_874
.LBB182_866:
	s_mov_b32 s2, -1
                                        ; implicit-def: $vgpr2
	s_branch .LBB182_871
.LBB182_867:
	s_mov_b32 s2, -1
                                        ; implicit-def: $vgpr2
.LBB182_868:
	s_delay_alu instid0(SALU_CYCLE_1)
	s_and_not1_b32 vcc_lo, exec_lo, s2
	s_cbranch_vccnz .LBB182_870
; %bb.869:
	s_wait_loadcnt 0x0
	global_load_b32 v2, v[0:1], off
	s_wait_loadcnt 0x0
	v_cvt_f16_f32_e32 v2, v2
.LBB182_870:
	s_mov_b32 s2, 0
.LBB182_871:
	s_delay_alu instid0(SALU_CYCLE_1)
	s_and_not1_b32 vcc_lo, exec_lo, s2
	s_cbranch_vccnz .LBB182_873
; %bb.872:
	s_wait_loadcnt 0x0
	global_load_b32 v2, v[0:1], off
.LBB182_873:
	s_mov_b32 s2, 0
.LBB182_874:
	s_delay_alu instid0(SALU_CYCLE_1)
	s_and_not1_b32 vcc_lo, exec_lo, s2
	s_cbranch_vccnz .LBB182_885
; %bb.875:
	s_cmp_lt_i32 s1, 6
	s_cbranch_scc1 .LBB182_878
; %bb.876:
	s_cmp_gt_i32 s1, 6
	s_cbranch_scc0 .LBB182_879
; %bb.877:
	s_wait_loadcnt 0x0
	global_load_b64 v[2:3], v[0:1], off
	s_mov_b32 s2, 0
	s_wait_loadcnt 0x0
	v_and_or_b32 v2, 0x1ff, v3, v2
	v_lshrrev_b32_e32 v4, 8, v3
	v_bfe_u32 v5, v3, 20, 11
	v_lshrrev_b32_e32 v3, 16, v3
	s_delay_alu instid0(VALU_DEP_4) | instskip(NEXT) | instid1(VALU_DEP_3)
	v_cmp_ne_u32_e32 vcc_lo, 0, v2
	v_sub_nc_u32_e32 v7, 0x3f1, v5
	v_add_nc_u32_e32 v5, 0xfffffc10, v5
	v_cndmask_b32_e64 v2, 0, 1, vcc_lo
	s_delay_alu instid0(VALU_DEP_1) | instskip(NEXT) | instid1(VALU_DEP_4)
	v_and_or_b32 v2, 0xffe, v4, v2
	v_med3_i32 v4, v7, 0, 13
	s_delay_alu instid0(VALU_DEP_2) | instskip(NEXT) | instid1(VALU_DEP_1)
	v_or_b32_e32 v7, 0x1000, v2
	v_lshrrev_b32_e32 v8, v4, v7
	s_delay_alu instid0(VALU_DEP_1) | instskip(NEXT) | instid1(VALU_DEP_1)
	v_lshlrev_b32_e32 v4, v4, v8
	v_cmp_ne_u32_e32 vcc_lo, v4, v7
	v_lshl_or_b32 v7, v5, 12, v2
	v_cndmask_b32_e64 v4, 0, 1, vcc_lo
	v_cmp_gt_i32_e32 vcc_lo, 1, v5
	s_delay_alu instid0(VALU_DEP_2) | instskip(NEXT) | instid1(VALU_DEP_1)
	v_or_b32_e32 v4, v8, v4
	v_cndmask_b32_e32 v4, v7, v4, vcc_lo
	s_delay_alu instid0(VALU_DEP_1) | instskip(NEXT) | instid1(VALU_DEP_1)
	v_dual_lshrrev_b32 v4, 2, v4 :: v_dual_bitop2_b32 v7, 7, v4 bitop3:0x40
	v_cmp_lt_i32_e32 vcc_lo, 5, v7
	v_cndmask_b32_e64 v8, 0, 1, vcc_lo
	v_cmp_eq_u32_e32 vcc_lo, 3, v7
	v_cndmask_b32_e64 v7, 0, 1, vcc_lo
	v_cmp_ne_u32_e32 vcc_lo, 0, v2
	s_delay_alu instid0(VALU_DEP_2) | instskip(SKIP_1) | instid1(VALU_DEP_2)
	v_or_b32_e32 v7, v7, v8
	v_mov_b32_e32 v8, 0x7e00
	v_add_nc_u32_e32 v4, v4, v7
	s_delay_alu instid0(VALU_DEP_2) | instskip(SKIP_1) | instid1(VALU_DEP_3)
	v_cndmask_b32_e32 v2, 0x7c00, v8, vcc_lo
	v_cmp_gt_i32_e32 vcc_lo, 31, v5
	v_cndmask_b32_e32 v4, 0x7c00, v4, vcc_lo
	v_cmp_eq_u32_e32 vcc_lo, 0x40f, v5
	s_delay_alu instid0(VALU_DEP_2) | instskip(NEXT) | instid1(VALU_DEP_1)
	v_cndmask_b32_e32 v2, v4, v2, vcc_lo
	v_and_or_b32 v2, 0x8000, v3, v2
	s_branch .LBB182_880
.LBB182_878:
	s_mov_b32 s2, -1
                                        ; implicit-def: $vgpr2
	s_branch .LBB182_883
.LBB182_879:
	s_mov_b32 s2, -1
                                        ; implicit-def: $vgpr2
.LBB182_880:
	s_delay_alu instid0(SALU_CYCLE_1)
	s_and_not1_b32 vcc_lo, exec_lo, s2
	s_cbranch_vccnz .LBB182_882
; %bb.881:
	s_wait_loadcnt 0x0
	global_load_b32 v2, v[0:1], off
	s_wait_loadcnt 0x0
	v_cvt_f16_f32_e32 v2, v2
.LBB182_882:
	s_mov_b32 s2, 0
.LBB182_883:
	s_delay_alu instid0(SALU_CYCLE_1)
	s_and_not1_b32 vcc_lo, exec_lo, s2
	s_cbranch_vccnz .LBB182_885
; %bb.884:
	s_wait_loadcnt 0x0
	global_load_u16 v2, v[0:1], off
.LBB182_885:
	s_mov_b32 s2, 0
.LBB182_886:
	s_delay_alu instid0(SALU_CYCLE_1)
	s_and_not1_b32 vcc_lo, exec_lo, s2
	s_cbranch_vccnz .LBB182_906
; %bb.887:
	s_cmp_lt_i32 s1, 2
	s_cbranch_scc1 .LBB182_891
; %bb.888:
	s_cmp_lt_i32 s1, 3
	s_cbranch_scc1 .LBB182_892
; %bb.889:
	s_cmp_gt_i32 s1, 3
	s_cbranch_scc0 .LBB182_893
; %bb.890:
	s_wait_loadcnt 0x0
	global_load_b64 v[2:3], v[0:1], off
	s_mov_b32 s2, 0
	s_wait_loadcnt 0x0
	v_xor_b32_e32 v4, v2, v3
	v_cls_i32_e32 v5, v3
	s_delay_alu instid0(VALU_DEP_2) | instskip(NEXT) | instid1(VALU_DEP_1)
	v_ashrrev_i32_e32 v4, 31, v4
	v_add_nc_u32_e32 v4, 32, v4
	s_delay_alu instid0(VALU_DEP_1) | instskip(NEXT) | instid1(VALU_DEP_1)
	v_add_min_u32_e64 v4, v5, -1, v4
	v_lshlrev_b64_e32 v[2:3], v4, v[2:3]
	s_delay_alu instid0(VALU_DEP_1) | instskip(NEXT) | instid1(VALU_DEP_1)
	v_min_u32_e32 v2, 1, v2
	v_dual_sub_nc_u32 v3, 32, v4 :: v_dual_bitop2_b32 v2, v3, v2 bitop3:0x54
	s_delay_alu instid0(VALU_DEP_1) | instskip(NEXT) | instid1(VALU_DEP_1)
	v_cvt_f32_i32_e32 v2, v2
	v_ldexp_f32 v2, v2, v3
	s_delay_alu instid0(VALU_DEP_1)
	v_cvt_f16_f32_e32 v2, v2
	s_branch .LBB182_894
.LBB182_891:
	s_mov_b32 s2, -1
                                        ; implicit-def: $vgpr2
	s_branch .LBB182_900
.LBB182_892:
	s_mov_b32 s2, -1
                                        ; implicit-def: $vgpr2
	s_branch .LBB182_897
.LBB182_893:
	s_mov_b32 s2, -1
                                        ; implicit-def: $vgpr2
.LBB182_894:
	s_delay_alu instid0(SALU_CYCLE_1)
	s_and_not1_b32 vcc_lo, exec_lo, s2
	s_cbranch_vccnz .LBB182_896
; %bb.895:
	s_wait_loadcnt 0x0
	global_load_b32 v2, v[0:1], off
	s_wait_loadcnt 0x0
	v_cvt_f32_i32_e32 v2, v2
	s_delay_alu instid0(VALU_DEP_1)
	v_cvt_f16_f32_e32 v2, v2
.LBB182_896:
	s_mov_b32 s2, 0
.LBB182_897:
	s_delay_alu instid0(SALU_CYCLE_1)
	s_and_not1_b32 vcc_lo, exec_lo, s2
	s_cbranch_vccnz .LBB182_899
; %bb.898:
	s_wait_loadcnt 0x0
	global_load_u16 v2, v[0:1], off
	s_wait_loadcnt 0x0
	v_cvt_f16_i16_e32 v2, v2
.LBB182_899:
	s_mov_b32 s2, 0
.LBB182_900:
	s_delay_alu instid0(SALU_CYCLE_1)
	s_and_not1_b32 vcc_lo, exec_lo, s2
	s_cbranch_vccnz .LBB182_906
; %bb.901:
	s_cmp_gt_i32 s1, 0
	s_mov_b32 s1, 0
	s_cbranch_scc0 .LBB182_903
; %bb.902:
	s_wait_loadcnt 0x0
	global_load_i8 v2, v[0:1], off
	s_wait_loadcnt 0x0
	v_cvt_f16_i16_e32 v2, v2
	s_branch .LBB182_904
.LBB182_903:
	s_mov_b32 s1, -1
                                        ; implicit-def: $vgpr2
.LBB182_904:
	s_delay_alu instid0(SALU_CYCLE_1)
	s_and_not1_b32 vcc_lo, exec_lo, s1
	s_cbranch_vccnz .LBB182_906
; %bb.905:
	global_load_u8 v0, v[0:1], off
	s_wait_loadcnt 0x0
	v_cvt_f16_u16_e32 v2, v0
.LBB182_906:
	s_mov_b32 s29, -1
.LBB182_907:
	s_delay_alu instid0(SALU_CYCLE_1)
	s_and_not1_b32 vcc_lo, exec_lo, s29
	s_cbranch_vccnz .LBB182_915
; %bb.908:
	s_wait_xcnt 0x0
	v_mul_lo_u32 v0, v6, s10
	s_and_b32 s1, s14, 0xff
	s_delay_alu instid0(SALU_CYCLE_1) | instskip(NEXT) | instid1(VALU_DEP_1)
	s_cmp_lt_i32 s1, 11
	v_ashrrev_i32_e32 v1, 31, v0
	s_delay_alu instid0(VALU_DEP_1)
	v_add_nc_u64_e32 v[0:1], s[12:13], v[0:1]
	s_cbranch_scc1 .LBB182_916
; %bb.909:
	s_and_b32 s2, 0xffff, s1
	s_delay_alu instid0(SALU_CYCLE_1)
	s_cmp_gt_i32 s2, 25
	s_cbranch_scc0 .LBB182_917
; %bb.910:
	s_cmp_gt_i32 s2, 28
	s_cbranch_scc0 .LBB182_918
; %bb.911:
	;; [unrolled: 3-line block ×4, first 2 shown]
	s_cmp_eq_u32 s2, 46
	s_mov_b32 s31, 0
	s_cbranch_scc0 .LBB182_923
; %bb.914:
	s_wait_loadcnt 0x0
	global_load_b32 v3, v[0:1], off
	s_mov_b32 s30, -1
	s_mov_b32 s29, 0
	s_wait_loadcnt 0x0
	v_lshlrev_b32_e32 v3, 16, v3
	s_delay_alu instid0(VALU_DEP_1)
	v_cvt_f16_f32_e32 v3, v3
	s_branch .LBB182_925
.LBB182_915:
	s_mov_b32 s31, 0
	s_mov_b32 s2, s24
	;; [unrolled: 1-line block ×3, first 2 shown]
	s_branch .LBB182_1164
.LBB182_916:
	s_mov_b32 s2, -1
	s_mov_b32 s30, 0
	s_mov_b32 s29, s25
                                        ; implicit-def: $vgpr3
	s_branch .LBB182_990
.LBB182_917:
	s_mov_b32 s31, -1
	s_mov_b32 s30, 0
	s_mov_b32 s29, s25
                                        ; implicit-def: $vgpr3
	s_branch .LBB182_954
.LBB182_918:
	s_mov_b32 s31, -1
	s_mov_b32 s30, 0
	s_mov_b32 s29, s25
                                        ; implicit-def: $vgpr3
	s_branch .LBB182_935
.LBB182_919:
	s_mov_b32 s31, -1
	s_mov_b32 s30, 0
	s_mov_b32 s29, s25
                                        ; implicit-def: $vgpr3
	s_branch .LBB182_930
.LBB182_920:
	s_mov_b32 s31, -1
	s_mov_b32 s30, 0
	s_mov_b32 s29, s25
	s_branch .LBB182_924
.LBB182_921:
	s_and_not1_saveexec_b32 s30, s30
	s_cbranch_execz .LBB182_696
.LBB182_922:
	v_add_f32_e32 v2, 0x42800000, v3
	s_and_not1_b32 s29, s29, exec_lo
	s_delay_alu instid0(VALU_DEP_1) | instskip(NEXT) | instid1(VALU_DEP_1)
	v_and_b32_e32 v2, 0xff, v2
	v_cmp_ne_u32_e32 vcc_lo, 0, v2
	s_and_b32 s31, vcc_lo, exec_lo
	s_delay_alu instid0(SALU_CYCLE_1)
	s_or_b32 s29, s29, s31
	s_or_b32 exec_lo, exec_lo, s30
	v_mov_b32_e32 v4, 0
	s_and_saveexec_b32 s30, s29
	s_cbranch_execnz .LBB182_697
	s_branch .LBB182_698
.LBB182_923:
	s_mov_b32 s29, -1
	s_mov_b32 s30, 0
.LBB182_924:
                                        ; implicit-def: $vgpr3
.LBB182_925:
	s_and_b32 vcc_lo, exec_lo, s31
	s_cbranch_vccz .LBB182_929
; %bb.926:
	s_cmp_eq_u32 s2, 44
	s_cbranch_scc0 .LBB182_928
; %bb.927:
	s_wait_loadcnt 0x0
	global_load_u8 v3, v[0:1], off
	s_mov_b32 s29, 0
	s_mov_b32 s30, -1
	s_wait_loadcnt 0x0
	v_lshlrev_b32_e32 v4, 23, v3
	v_cmp_ne_u32_e32 vcc_lo, 0xff, v3
	s_delay_alu instid0(VALU_DEP_2) | instskip(NEXT) | instid1(VALU_DEP_1)
	v_cvt_f16_f32_e32 v4, v4
	v_cndmask_b32_e32 v4, 0x7e00, v4, vcc_lo
	v_cmp_ne_u32_e32 vcc_lo, 0, v3
	s_delay_alu instid0(VALU_DEP_2)
	v_cndmask_b32_e32 v3, 0, v4, vcc_lo
	s_branch .LBB182_929
.LBB182_928:
	s_mov_b32 s29, -1
                                        ; implicit-def: $vgpr3
.LBB182_929:
	s_mov_b32 s31, 0
.LBB182_930:
	s_delay_alu instid0(SALU_CYCLE_1)
	s_and_b32 vcc_lo, exec_lo, s31
	s_cbranch_vccz .LBB182_934
; %bb.931:
	s_cmp_eq_u32 s2, 29
	s_cbranch_scc0 .LBB182_933
; %bb.932:
	global_load_b64 v[4:5], v[0:1], off
	s_mov_b32 s30, -1
	s_mov_b32 s29, 0
	s_mov_b32 s31, 0
	s_wait_loadcnt 0x0
	v_clz_i32_u32_e32 v3, v5
	s_delay_alu instid0(VALU_DEP_1) | instskip(NEXT) | instid1(VALU_DEP_1)
	v_min_u32_e32 v3, 32, v3
	v_lshlrev_b64_e32 v[4:5], v3, v[4:5]
	v_sub_nc_u32_e32 v3, 32, v3
	s_delay_alu instid0(VALU_DEP_2) | instskip(NEXT) | instid1(VALU_DEP_1)
	v_min_u32_e32 v4, 1, v4
	v_or_b32_e32 v4, v5, v4
	s_delay_alu instid0(VALU_DEP_1) | instskip(NEXT) | instid1(VALU_DEP_1)
	v_cvt_f32_u32_e32 v4, v4
	v_ldexp_f32 v3, v4, v3
	s_delay_alu instid0(VALU_DEP_1)
	v_cvt_f16_f32_e32 v3, v3
	s_branch .LBB182_935
.LBB182_933:
	s_mov_b32 s29, -1
                                        ; implicit-def: $vgpr3
.LBB182_934:
	s_mov_b32 s31, 0
.LBB182_935:
	s_delay_alu instid0(SALU_CYCLE_1)
	s_and_b32 vcc_lo, exec_lo, s31
	s_cbranch_vccz .LBB182_953
; %bb.936:
	s_cmp_lt_i32 s2, 27
	s_cbranch_scc1 .LBB182_939
; %bb.937:
	s_cmp_gt_i32 s2, 27
	s_cbranch_scc0 .LBB182_940
; %bb.938:
	s_wait_loadcnt 0x0
	global_load_b32 v3, v[0:1], off
	s_mov_b32 s30, 0
	s_wait_loadcnt 0x0
	v_cvt_f32_u32_e32 v3, v3
	s_delay_alu instid0(VALU_DEP_1)
	v_cvt_f16_f32_e32 v3, v3
	s_branch .LBB182_941
.LBB182_939:
	s_mov_b32 s30, -1
                                        ; implicit-def: $vgpr3
	s_branch .LBB182_944
.LBB182_940:
	s_mov_b32 s30, -1
                                        ; implicit-def: $vgpr3
.LBB182_941:
	s_delay_alu instid0(SALU_CYCLE_1)
	s_and_not1_b32 vcc_lo, exec_lo, s30
	s_cbranch_vccnz .LBB182_943
; %bb.942:
	s_wait_loadcnt 0x0
	global_load_u16 v3, v[0:1], off
	s_wait_loadcnt 0x0
	v_cvt_f16_u16_e32 v3, v3
.LBB182_943:
	s_mov_b32 s30, 0
.LBB182_944:
	s_delay_alu instid0(SALU_CYCLE_1)
	s_and_not1_b32 vcc_lo, exec_lo, s30
	s_cbranch_vccnz .LBB182_952
; %bb.945:
	global_load_u8 v4, v[0:1], off
	s_mov_b32 s30, 0
	s_mov_b32 s31, exec_lo
	s_wait_loadcnt 0x0
	v_cmpx_lt_i16_e32 0x7f, v4
	s_xor_b32 s31, exec_lo, s31
	s_cbranch_execz .LBB182_966
; %bb.946:
	s_mov_b32 s30, -1
	s_mov_b32 s33, exec_lo
	v_cmpx_eq_u16_e32 0x80, v4
; %bb.947:
	s_xor_b32 s30, exec_lo, -1
; %bb.948:
	s_or_b32 exec_lo, exec_lo, s33
	s_delay_alu instid0(SALU_CYCLE_1)
	s_and_b32 s30, s30, exec_lo
	s_or_saveexec_b32 s31, s31
	v_mov_b32_e32 v3, 0x7e00
	s_xor_b32 exec_lo, exec_lo, s31
	s_cbranch_execnz .LBB182_967
.LBB182_949:
	s_or_b32 exec_lo, exec_lo, s31
	s_and_saveexec_b32 s31, s30
	s_cbranch_execz .LBB182_951
.LBB182_950:
	v_and_b32_e32 v3, 0xffff, v4
	s_delay_alu instid0(VALU_DEP_1) | instskip(SKIP_1) | instid1(VALU_DEP_2)
	v_dual_lshlrev_b32 v4, 24, v4 :: v_dual_bitop2_b32 v5, 7, v3 bitop3:0x40
	v_bfe_u32 v9, v3, 3, 4
	v_and_b32_e32 v4, 0x80000000, v4
	s_delay_alu instid0(VALU_DEP_3) | instskip(NEXT) | instid1(VALU_DEP_3)
	v_clz_i32_u32_e32 v7, v5
	v_cmp_eq_u32_e32 vcc_lo, 0, v9
	s_delay_alu instid0(VALU_DEP_2) | instskip(NEXT) | instid1(VALU_DEP_1)
	v_min_u32_e32 v7, 32, v7
	v_subrev_nc_u32_e32 v8, 28, v7
	v_sub_nc_u32_e32 v7, 29, v7
	s_delay_alu instid0(VALU_DEP_2) | instskip(NEXT) | instid1(VALU_DEP_2)
	v_lshlrev_b32_e32 v3, v8, v3
	v_cndmask_b32_e32 v7, v9, v7, vcc_lo
	s_delay_alu instid0(VALU_DEP_2) | instskip(NEXT) | instid1(VALU_DEP_1)
	v_and_b32_e32 v3, 7, v3
	v_cndmask_b32_e32 v3, v5, v3, vcc_lo
	s_delay_alu instid0(VALU_DEP_3) | instskip(NEXT) | instid1(VALU_DEP_2)
	v_lshl_add_u32 v5, v7, 23, 0x3b800000
	v_lshlrev_b32_e32 v3, 20, v3
	s_delay_alu instid0(VALU_DEP_1) | instskip(NEXT) | instid1(VALU_DEP_1)
	v_or3_b32 v3, v4, v5, v3
	v_cvt_f16_f32_e32 v3, v3
.LBB182_951:
	s_or_b32 exec_lo, exec_lo, s31
.LBB182_952:
	s_mov_b32 s30, -1
.LBB182_953:
	s_mov_b32 s31, 0
.LBB182_954:
	s_delay_alu instid0(SALU_CYCLE_1)
	s_and_b32 vcc_lo, exec_lo, s31
	s_cbranch_vccz .LBB182_989
; %bb.955:
	s_cmp_gt_i32 s2, 22
	s_cbranch_scc0 .LBB182_965
; %bb.956:
	s_cmp_lt_i32 s2, 24
	s_cbranch_scc1 .LBB182_968
; %bb.957:
	s_cmp_gt_i32 s2, 24
	s_cbranch_scc0 .LBB182_969
; %bb.958:
	global_load_u8 v4, v[0:1], off
	s_mov_b32 s30, 0
	s_mov_b32 s31, exec_lo
	s_wait_loadcnt 0x0
	v_cmpx_lt_i16_e32 0x7f, v4
	s_xor_b32 s31, exec_lo, s31
	s_cbranch_execz .LBB182_981
; %bb.959:
	s_mov_b32 s30, -1
	s_mov_b32 s33, exec_lo
	v_cmpx_eq_u16_e32 0x80, v4
; %bb.960:
	s_xor_b32 s30, exec_lo, -1
; %bb.961:
	s_or_b32 exec_lo, exec_lo, s33
	s_delay_alu instid0(SALU_CYCLE_1)
	s_and_b32 s30, s30, exec_lo
	s_or_saveexec_b32 s31, s31
	v_mov_b32_e32 v3, 0x7e00
	s_xor_b32 exec_lo, exec_lo, s31
	s_cbranch_execnz .LBB182_982
.LBB182_962:
	s_or_b32 exec_lo, exec_lo, s31
	s_and_saveexec_b32 s31, s30
	s_cbranch_execz .LBB182_964
.LBB182_963:
	v_and_b32_e32 v3, 0xffff, v4
	s_delay_alu instid0(VALU_DEP_1) | instskip(SKIP_1) | instid1(VALU_DEP_2)
	v_dual_lshlrev_b32 v4, 24, v4 :: v_dual_bitop2_b32 v5, 3, v3 bitop3:0x40
	v_bfe_u32 v9, v3, 2, 5
	v_and_b32_e32 v4, 0x80000000, v4
	s_delay_alu instid0(VALU_DEP_3) | instskip(NEXT) | instid1(VALU_DEP_3)
	v_clz_i32_u32_e32 v7, v5
	v_cmp_eq_u32_e32 vcc_lo, 0, v9
	s_delay_alu instid0(VALU_DEP_2) | instskip(NEXT) | instid1(VALU_DEP_1)
	v_min_u32_e32 v7, 32, v7
	v_subrev_nc_u32_e32 v8, 29, v7
	v_sub_nc_u32_e32 v7, 30, v7
	s_delay_alu instid0(VALU_DEP_2) | instskip(NEXT) | instid1(VALU_DEP_2)
	v_lshlrev_b32_e32 v3, v8, v3
	v_cndmask_b32_e32 v7, v9, v7, vcc_lo
	s_delay_alu instid0(VALU_DEP_2) | instskip(NEXT) | instid1(VALU_DEP_1)
	v_and_b32_e32 v3, 3, v3
	v_cndmask_b32_e32 v3, v5, v3, vcc_lo
	s_delay_alu instid0(VALU_DEP_3) | instskip(NEXT) | instid1(VALU_DEP_2)
	v_lshl_add_u32 v5, v7, 23, 0x37800000
	v_lshlrev_b32_e32 v3, 21, v3
	s_delay_alu instid0(VALU_DEP_1) | instskip(NEXT) | instid1(VALU_DEP_1)
	v_or3_b32 v3, v4, v5, v3
	v_cvt_f16_f32_e32 v3, v3
.LBB182_964:
	s_or_b32 exec_lo, exec_lo, s31
	s_mov_b32 s30, 0
	s_branch .LBB182_970
.LBB182_965:
	s_mov_b32 s31, -1
                                        ; implicit-def: $vgpr3
	s_branch .LBB182_976
.LBB182_966:
	s_or_saveexec_b32 s31, s31
	v_mov_b32_e32 v3, 0x7e00
	s_xor_b32 exec_lo, exec_lo, s31
	s_cbranch_execz .LBB182_949
.LBB182_967:
	v_cmp_ne_u16_e32 vcc_lo, 0, v4
	v_mov_b32_e32 v3, v4
	s_and_not1_b32 s30, s30, exec_lo
	s_and_b32 s33, vcc_lo, exec_lo
	s_delay_alu instid0(SALU_CYCLE_1)
	s_or_b32 s30, s30, s33
	s_or_b32 exec_lo, exec_lo, s31
	s_and_saveexec_b32 s31, s30
	s_cbranch_execnz .LBB182_950
	s_branch .LBB182_951
.LBB182_968:
	s_mov_b32 s30, -1
                                        ; implicit-def: $vgpr3
	s_branch .LBB182_973
.LBB182_969:
	s_mov_b32 s30, -1
                                        ; implicit-def: $vgpr3
.LBB182_970:
	s_delay_alu instid0(SALU_CYCLE_1)
	s_and_b32 vcc_lo, exec_lo, s30
	s_cbranch_vccz .LBB182_972
; %bb.971:
	s_wait_loadcnt 0x0
	global_load_u8 v3, v[0:1], off
	s_wait_loadcnt 0x0
	v_lshlrev_b32_e32 v3, 24, v3
	s_delay_alu instid0(VALU_DEP_1) | instskip(NEXT) | instid1(VALU_DEP_1)
	v_and_b32_e32 v4, 0x7f000000, v3
	v_clz_i32_u32_e32 v5, v4
	v_add_nc_u32_e32 v8, 0x1000000, v4
	v_cmp_ne_u32_e32 vcc_lo, 0, v4
	s_delay_alu instid0(VALU_DEP_3) | instskip(NEXT) | instid1(VALU_DEP_1)
	v_min_u32_e32 v5, 32, v5
	v_sub_nc_u32_e64 v5, v5, 4 clamp
	s_delay_alu instid0(VALU_DEP_1) | instskip(NEXT) | instid1(VALU_DEP_1)
	v_dual_lshlrev_b32 v7, v5, v4 :: v_dual_lshlrev_b32 v5, 23, v5
	v_lshrrev_b32_e32 v7, 4, v7
	s_delay_alu instid0(VALU_DEP_1) | instskip(NEXT) | instid1(VALU_DEP_1)
	v_dual_sub_nc_u32 v5, v7, v5 :: v_dual_ashrrev_i32 v7, 8, v8
	v_add_nc_u32_e32 v5, 0x3c000000, v5
	s_delay_alu instid0(VALU_DEP_1) | instskip(NEXT) | instid1(VALU_DEP_1)
	v_and_or_b32 v5, 0x7f800000, v7, v5
	v_cndmask_b32_e32 v4, 0, v5, vcc_lo
	s_delay_alu instid0(VALU_DEP_1) | instskip(NEXT) | instid1(VALU_DEP_1)
	v_and_or_b32 v3, 0x80000000, v3, v4
	v_cvt_f16_f32_e32 v3, v3
.LBB182_972:
	s_mov_b32 s30, 0
.LBB182_973:
	s_delay_alu instid0(SALU_CYCLE_1)
	s_and_not1_b32 vcc_lo, exec_lo, s30
	s_cbranch_vccnz .LBB182_975
; %bb.974:
	s_wait_loadcnt 0x0
	global_load_u8 v3, v[0:1], off
	s_wait_loadcnt 0x0
	v_lshlrev_b32_e32 v4, 25, v3
	v_lshlrev_b16 v3, 8, v3
	s_delay_alu instid0(VALU_DEP_1) | instskip(NEXT) | instid1(VALU_DEP_3)
	v_and_or_b32 v7, 0x7f00, v3, 0.5
	v_lshrrev_b32_e32 v5, 4, v4
	v_bfe_i32 v3, v3, 0, 16
	s_delay_alu instid0(VALU_DEP_3) | instskip(NEXT) | instid1(VALU_DEP_3)
	v_add_f32_e32 v7, -0.5, v7
	v_or_b32_e32 v5, 0x70000000, v5
	s_delay_alu instid0(VALU_DEP_1) | instskip(SKIP_1) | instid1(VALU_DEP_2)
	v_mul_f32_e32 v5, 0x7800000, v5
	v_cmp_gt_u32_e32 vcc_lo, 0x8000000, v4
	v_cndmask_b32_e32 v4, v5, v7, vcc_lo
	s_delay_alu instid0(VALU_DEP_1) | instskip(NEXT) | instid1(VALU_DEP_1)
	v_and_or_b32 v3, 0x80000000, v3, v4
	v_cvt_f16_f32_e32 v3, v3
.LBB182_975:
	s_mov_b32 s31, 0
	s_mov_b32 s30, -1
.LBB182_976:
	s_and_not1_b32 vcc_lo, exec_lo, s31
	s_cbranch_vccnz .LBB182_989
; %bb.977:
	s_cmp_gt_i32 s2, 14
	s_cbranch_scc0 .LBB182_980
; %bb.978:
	s_cmp_eq_u32 s2, 15
	s_cbranch_scc0 .LBB182_983
; %bb.979:
	s_wait_loadcnt 0x0
	global_load_u16 v3, v[0:1], off
	s_mov_b32 s30, -1
	s_mov_b32 s29, 0
	s_wait_loadcnt 0x0
	v_lshlrev_b32_e32 v3, 16, v3
	s_delay_alu instid0(VALU_DEP_1)
	v_cvt_f16_f32_e32 v3, v3
	s_branch .LBB182_984
.LBB182_980:
	s_mov_b32 s31, -1
                                        ; implicit-def: $vgpr3
	s_branch .LBB182_985
.LBB182_981:
	s_or_saveexec_b32 s31, s31
	v_mov_b32_e32 v3, 0x7e00
	s_xor_b32 exec_lo, exec_lo, s31
	s_cbranch_execz .LBB182_962
.LBB182_982:
	v_cmp_ne_u16_e32 vcc_lo, 0, v4
	v_mov_b32_e32 v3, v4
	s_and_not1_b32 s30, s30, exec_lo
	s_and_b32 s33, vcc_lo, exec_lo
	s_delay_alu instid0(SALU_CYCLE_1)
	s_or_b32 s30, s30, s33
	s_or_b32 exec_lo, exec_lo, s31
	s_and_saveexec_b32 s31, s30
	s_cbranch_execnz .LBB182_963
	s_branch .LBB182_964
.LBB182_983:
	s_mov_b32 s29, -1
                                        ; implicit-def: $vgpr3
.LBB182_984:
	s_mov_b32 s31, 0
.LBB182_985:
	s_delay_alu instid0(SALU_CYCLE_1)
	s_and_b32 vcc_lo, exec_lo, s31
	s_cbranch_vccz .LBB182_989
; %bb.986:
	s_cmp_eq_u32 s2, 11
	s_cbranch_scc0 .LBB182_988
; %bb.987:
	s_wait_loadcnt 0x0
	global_load_u8 v3, v[0:1], off
	s_mov_b32 s29, 0
	s_mov_b32 s30, -1
	s_wait_loadcnt 0x0
	v_cmp_ne_u16_e32 vcc_lo, 0, v3
	v_cndmask_b32_e64 v3, 0, 0x3c00, vcc_lo
	s_branch .LBB182_989
.LBB182_988:
	s_mov_b32 s29, -1
                                        ; implicit-def: $vgpr3
.LBB182_989:
	s_mov_b32 s2, 0
.LBB182_990:
	s_delay_alu instid0(SALU_CYCLE_1)
	s_and_b32 vcc_lo, exec_lo, s2
	s_cbranch_vccz .LBB182_1039
; %bb.991:
	s_and_b32 s1, 0xffff, s1
	s_delay_alu instid0(SALU_CYCLE_1)
	s_cmp_lt_i32 s1, 5
	s_cbranch_scc1 .LBB182_996
; %bb.992:
	s_cmp_lt_i32 s1, 8
	s_cbranch_scc1 .LBB182_997
; %bb.993:
	;; [unrolled: 3-line block ×3, first 2 shown]
	s_cmp_gt_i32 s1, 9
	s_cbranch_scc0 .LBB182_999
; %bb.995:
	global_load_b64 v[4:5], v[0:1], off
	s_mov_b32 s2, 0
	s_wait_loadcnt 0x0
	v_and_or_b32 v3, 0x1ff, v5, v4
	v_lshrrev_b32_e32 v4, 8, v5
	v_bfe_u32 v7, v5, 20, 11
	s_delay_alu instid0(VALU_DEP_3) | instskip(NEXT) | instid1(VALU_DEP_2)
	v_cmp_ne_u32_e32 vcc_lo, 0, v3
	v_sub_nc_u32_e32 v8, 0x3f1, v7
	v_cndmask_b32_e64 v3, 0, 1, vcc_lo
	s_delay_alu instid0(VALU_DEP_1) | instskip(NEXT) | instid1(VALU_DEP_3)
	v_and_or_b32 v3, 0xffe, v4, v3
	v_med3_i32 v4, v8, 0, 13
	s_delay_alu instid0(VALU_DEP_2) | instskip(NEXT) | instid1(VALU_DEP_1)
	v_or_b32_e32 v8, 0x1000, v3
	v_lshrrev_b32_e32 v9, v4, v8
	s_delay_alu instid0(VALU_DEP_1) | instskip(NEXT) | instid1(VALU_DEP_1)
	v_lshlrev_b32_e32 v4, v4, v9
	v_cmp_ne_u32_e32 vcc_lo, v4, v8
	v_cndmask_b32_e64 v4, 0, 1, vcc_lo
	s_delay_alu instid0(VALU_DEP_1) | instskip(SKIP_1) | instid1(VALU_DEP_1)
	v_or_b32_e32 v4, v9, v4
	v_add_nc_u32_e32 v7, 0xfffffc10, v7
	v_lshl_or_b32 v8, v7, 12, v3
	v_cmp_gt_i32_e32 vcc_lo, 1, v7
	s_delay_alu instid0(VALU_DEP_2) | instskip(NEXT) | instid1(VALU_DEP_1)
	v_cndmask_b32_e32 v4, v8, v4, vcc_lo
	v_dual_lshrrev_b32 v4, 2, v4 :: v_dual_bitop2_b32 v8, 7, v4 bitop3:0x40
	s_delay_alu instid0(VALU_DEP_1) | instskip(SKIP_4) | instid1(VALU_DEP_2)
	v_cmp_lt_i32_e32 vcc_lo, 5, v8
	v_cndmask_b32_e64 v9, 0, 1, vcc_lo
	v_cmp_eq_u32_e32 vcc_lo, 3, v8
	v_cndmask_b32_e64 v8, 0, 1, vcc_lo
	v_cmp_ne_u32_e32 vcc_lo, 0, v3
	v_or_b32_e32 v8, v8, v9
	s_delay_alu instid0(VALU_DEP_1) | instskip(NEXT) | instid1(VALU_DEP_1)
	v_dual_mov_b32 v9, 0x7e00 :: v_dual_add_nc_u32 v4, v4, v8
	v_cndmask_b32_e32 v3, 0x7c00, v9, vcc_lo
	v_cmp_gt_i32_e32 vcc_lo, 31, v7
	s_delay_alu instid0(VALU_DEP_3) | instskip(SKIP_1) | instid1(VALU_DEP_2)
	v_cndmask_b32_e32 v4, 0x7c00, v4, vcc_lo
	v_cmp_eq_u32_e32 vcc_lo, 0x40f, v7
	v_dual_cndmask_b32 v3, v4, v3 :: v_dual_lshrrev_b32 v4, 16, v5
	s_delay_alu instid0(VALU_DEP_1)
	v_and_or_b32 v3, 0x8000, v4, v3
	s_branch .LBB182_1000
.LBB182_996:
	s_mov_b32 s2, -1
                                        ; implicit-def: $vgpr3
	s_branch .LBB182_1018
.LBB182_997:
	s_mov_b32 s2, -1
                                        ; implicit-def: $vgpr3
	s_branch .LBB182_1006
.LBB182_998:
	s_mov_b32 s2, -1
                                        ; implicit-def: $vgpr3
	s_branch .LBB182_1003
.LBB182_999:
	s_mov_b32 s2, -1
                                        ; implicit-def: $vgpr3
.LBB182_1000:
	s_delay_alu instid0(SALU_CYCLE_1)
	s_and_not1_b32 vcc_lo, exec_lo, s2
	s_cbranch_vccnz .LBB182_1002
; %bb.1001:
	s_wait_loadcnt 0x0
	global_load_b32 v3, v[0:1], off
	s_wait_loadcnt 0x0
	v_cvt_f16_f32_e32 v3, v3
.LBB182_1002:
	s_mov_b32 s2, 0
.LBB182_1003:
	s_delay_alu instid0(SALU_CYCLE_1)
	s_and_not1_b32 vcc_lo, exec_lo, s2
	s_cbranch_vccnz .LBB182_1005
; %bb.1004:
	s_wait_loadcnt 0x0
	global_load_b32 v3, v[0:1], off
.LBB182_1005:
	s_mov_b32 s2, 0
.LBB182_1006:
	s_delay_alu instid0(SALU_CYCLE_1)
	s_and_not1_b32 vcc_lo, exec_lo, s2
	s_cbranch_vccnz .LBB182_1017
; %bb.1007:
	s_cmp_lt_i32 s1, 6
	s_cbranch_scc1 .LBB182_1010
; %bb.1008:
	s_cmp_gt_i32 s1, 6
	s_cbranch_scc0 .LBB182_1011
; %bb.1009:
	global_load_b64 v[4:5], v[0:1], off
	s_mov_b32 s2, 0
	s_wait_loadcnt 0x0
	v_and_or_b32 v3, 0x1ff, v5, v4
	v_lshrrev_b32_e32 v4, 8, v5
	v_bfe_u32 v7, v5, 20, 11
	s_delay_alu instid0(VALU_DEP_3) | instskip(NEXT) | instid1(VALU_DEP_2)
	v_cmp_ne_u32_e32 vcc_lo, 0, v3
	v_sub_nc_u32_e32 v8, 0x3f1, v7
	v_cndmask_b32_e64 v3, 0, 1, vcc_lo
	s_delay_alu instid0(VALU_DEP_1) | instskip(NEXT) | instid1(VALU_DEP_3)
	v_and_or_b32 v3, 0xffe, v4, v3
	v_med3_i32 v4, v8, 0, 13
	s_delay_alu instid0(VALU_DEP_2) | instskip(NEXT) | instid1(VALU_DEP_1)
	v_or_b32_e32 v8, 0x1000, v3
	v_lshrrev_b32_e32 v9, v4, v8
	s_delay_alu instid0(VALU_DEP_1) | instskip(NEXT) | instid1(VALU_DEP_1)
	v_lshlrev_b32_e32 v4, v4, v9
	v_cmp_ne_u32_e32 vcc_lo, v4, v8
	v_cndmask_b32_e64 v4, 0, 1, vcc_lo
	s_delay_alu instid0(VALU_DEP_1) | instskip(SKIP_1) | instid1(VALU_DEP_1)
	v_or_b32_e32 v4, v9, v4
	v_add_nc_u32_e32 v7, 0xfffffc10, v7
	v_lshl_or_b32 v8, v7, 12, v3
	v_cmp_gt_i32_e32 vcc_lo, 1, v7
	s_delay_alu instid0(VALU_DEP_2) | instskip(NEXT) | instid1(VALU_DEP_1)
	v_cndmask_b32_e32 v4, v8, v4, vcc_lo
	v_dual_lshrrev_b32 v4, 2, v4 :: v_dual_bitop2_b32 v8, 7, v4 bitop3:0x40
	s_delay_alu instid0(VALU_DEP_1) | instskip(SKIP_4) | instid1(VALU_DEP_2)
	v_cmp_lt_i32_e32 vcc_lo, 5, v8
	v_cndmask_b32_e64 v9, 0, 1, vcc_lo
	v_cmp_eq_u32_e32 vcc_lo, 3, v8
	v_cndmask_b32_e64 v8, 0, 1, vcc_lo
	v_cmp_ne_u32_e32 vcc_lo, 0, v3
	v_or_b32_e32 v8, v8, v9
	s_delay_alu instid0(VALU_DEP_1) | instskip(NEXT) | instid1(VALU_DEP_1)
	v_dual_mov_b32 v9, 0x7e00 :: v_dual_add_nc_u32 v4, v4, v8
	v_cndmask_b32_e32 v3, 0x7c00, v9, vcc_lo
	v_cmp_gt_i32_e32 vcc_lo, 31, v7
	s_delay_alu instid0(VALU_DEP_3) | instskip(SKIP_1) | instid1(VALU_DEP_2)
	v_cndmask_b32_e32 v4, 0x7c00, v4, vcc_lo
	v_cmp_eq_u32_e32 vcc_lo, 0x40f, v7
	v_dual_cndmask_b32 v3, v4, v3 :: v_dual_lshrrev_b32 v4, 16, v5
	s_delay_alu instid0(VALU_DEP_1)
	v_and_or_b32 v3, 0x8000, v4, v3
	s_branch .LBB182_1012
.LBB182_1010:
	s_mov_b32 s2, -1
                                        ; implicit-def: $vgpr3
	s_branch .LBB182_1015
.LBB182_1011:
	s_mov_b32 s2, -1
                                        ; implicit-def: $vgpr3
.LBB182_1012:
	s_delay_alu instid0(SALU_CYCLE_1)
	s_and_not1_b32 vcc_lo, exec_lo, s2
	s_cbranch_vccnz .LBB182_1014
; %bb.1013:
	s_wait_loadcnt 0x0
	global_load_b32 v3, v[0:1], off
	s_wait_loadcnt 0x0
	v_cvt_f16_f32_e32 v3, v3
.LBB182_1014:
	s_mov_b32 s2, 0
.LBB182_1015:
	s_delay_alu instid0(SALU_CYCLE_1)
	s_and_not1_b32 vcc_lo, exec_lo, s2
	s_cbranch_vccnz .LBB182_1017
; %bb.1016:
	s_wait_loadcnt 0x0
	global_load_u16 v3, v[0:1], off
.LBB182_1017:
	s_mov_b32 s2, 0
.LBB182_1018:
	s_delay_alu instid0(SALU_CYCLE_1)
	s_and_not1_b32 vcc_lo, exec_lo, s2
	s_cbranch_vccnz .LBB182_1038
; %bb.1019:
	s_cmp_lt_i32 s1, 2
	s_cbranch_scc1 .LBB182_1023
; %bb.1020:
	s_cmp_lt_i32 s1, 3
	s_cbranch_scc1 .LBB182_1024
; %bb.1021:
	s_cmp_gt_i32 s1, 3
	s_cbranch_scc0 .LBB182_1025
; %bb.1022:
	global_load_b64 v[4:5], v[0:1], off
	s_mov_b32 s2, 0
	s_wait_loadcnt 0x0
	v_xor_b32_e32 v3, v4, v5
	v_cls_i32_e32 v7, v5
	s_delay_alu instid0(VALU_DEP_2) | instskip(NEXT) | instid1(VALU_DEP_1)
	v_ashrrev_i32_e32 v3, 31, v3
	v_add_nc_u32_e32 v3, 32, v3
	s_delay_alu instid0(VALU_DEP_1) | instskip(NEXT) | instid1(VALU_DEP_1)
	v_add_min_u32_e64 v3, v7, -1, v3
	v_lshlrev_b64_e32 v[4:5], v3, v[4:5]
	v_sub_nc_u32_e32 v3, 32, v3
	s_delay_alu instid0(VALU_DEP_2) | instskip(NEXT) | instid1(VALU_DEP_1)
	v_min_u32_e32 v4, 1, v4
	v_or_b32_e32 v4, v5, v4
	s_delay_alu instid0(VALU_DEP_1) | instskip(NEXT) | instid1(VALU_DEP_1)
	v_cvt_f32_i32_e32 v4, v4
	v_ldexp_f32 v3, v4, v3
	s_delay_alu instid0(VALU_DEP_1)
	v_cvt_f16_f32_e32 v3, v3
	s_branch .LBB182_1026
.LBB182_1023:
	s_mov_b32 s2, -1
                                        ; implicit-def: $vgpr3
	s_branch .LBB182_1032
.LBB182_1024:
	s_mov_b32 s2, -1
                                        ; implicit-def: $vgpr3
	s_branch .LBB182_1029
.LBB182_1025:
	s_mov_b32 s2, -1
                                        ; implicit-def: $vgpr3
.LBB182_1026:
	s_delay_alu instid0(SALU_CYCLE_1)
	s_and_not1_b32 vcc_lo, exec_lo, s2
	s_cbranch_vccnz .LBB182_1028
; %bb.1027:
	s_wait_loadcnt 0x0
	global_load_b32 v3, v[0:1], off
	s_wait_loadcnt 0x0
	v_cvt_f32_i32_e32 v3, v3
	s_delay_alu instid0(VALU_DEP_1)
	v_cvt_f16_f32_e32 v3, v3
.LBB182_1028:
	s_mov_b32 s2, 0
.LBB182_1029:
	s_delay_alu instid0(SALU_CYCLE_1)
	s_and_not1_b32 vcc_lo, exec_lo, s2
	s_cbranch_vccnz .LBB182_1031
; %bb.1030:
	s_wait_loadcnt 0x0
	global_load_u16 v3, v[0:1], off
	s_wait_loadcnt 0x0
	v_cvt_f16_i16_e32 v3, v3
.LBB182_1031:
	s_mov_b32 s2, 0
.LBB182_1032:
	s_delay_alu instid0(SALU_CYCLE_1)
	s_and_not1_b32 vcc_lo, exec_lo, s2
	s_cbranch_vccnz .LBB182_1038
; %bb.1033:
	s_cmp_gt_i32 s1, 0
	s_mov_b32 s1, 0
	s_cbranch_scc0 .LBB182_1035
; %bb.1034:
	s_wait_loadcnt 0x0
	global_load_i8 v3, v[0:1], off
	s_wait_loadcnt 0x0
	v_cvt_f16_i16_e32 v3, v3
	s_branch .LBB182_1036
.LBB182_1035:
	s_mov_b32 s1, -1
                                        ; implicit-def: $vgpr3
.LBB182_1036:
	s_delay_alu instid0(SALU_CYCLE_1)
	s_and_not1_b32 vcc_lo, exec_lo, s1
	s_cbranch_vccnz .LBB182_1038
; %bb.1037:
	global_load_u8 v0, v[0:1], off
	s_wait_loadcnt 0x0
	v_cvt_f16_u16_e32 v3, v0
.LBB182_1038:
	s_mov_b32 s30, -1
.LBB182_1039:
	s_delay_alu instid0(SALU_CYCLE_1)
	s_and_not1_b32 vcc_lo, exec_lo, s30
	s_cbranch_vccnz .LBB182_1047
; %bb.1040:
	s_wait_loadcnt 0x0
	v_cmp_eq_f16_e32 vcc_lo, v2, v3
	s_wait_xcnt 0x0
	v_mul_lo_u32 v0, v6, s8
	s_and_b32 s30, s3, 0xff
	s_delay_alu instid0(SALU_CYCLE_1) | instskip(SKIP_3) | instid1(VALU_DEP_1)
	s_cmp_lt_i32 s30, 11
	v_cndmask_b32_e64 v1, 0, 1, vcc_lo
	v_cmp_neq_f16_e32 vcc_lo, v2, v3
	v_cndmask_b32_e64 v2, 0, 1, vcc_lo
	v_dual_cndmask_b32 v2, v2, v1, s0 :: v_dual_ashrrev_i32 v1, 31, v0
	s_delay_alu instid0(VALU_DEP_1) | instskip(NEXT) | instid1(VALU_DEP_2)
	v_and_b32_e32 v2, 1, v2
	v_add_nc_u64_e32 v[0:1], s[4:5], v[0:1]
	s_delay_alu instid0(VALU_DEP_2)
	v_cmp_eq_u32_e64 s1, 1, v2
	s_cbranch_scc1 .LBB182_1048
; %bb.1041:
	s_and_b32 s31, 0xffff, s30
	s_delay_alu instid0(SALU_CYCLE_1)
	s_cmp_gt_i32 s31, 25
	s_cbranch_scc0 .LBB182_1049
; %bb.1042:
	s_cmp_gt_i32 s31, 28
	s_cbranch_scc0 .LBB182_1050
; %bb.1043:
	;; [unrolled: 3-line block ×4, first 2 shown]
	s_mov_b32 s34, 0
	s_mov_b32 s2, -1
	s_cmp_eq_u32 s31, 46
	s_mov_b32 s33, 0
	s_cbranch_scc0 .LBB182_1053
; %bb.1046:
	v_cndmask_b32_e64 v2, 0, 1.0, s1
	s_mov_b32 s33, -1
	s_mov_b32 s2, 0
	s_delay_alu instid0(VALU_DEP_1) | instskip(NEXT) | instid1(VALU_DEP_1)
	v_bfe_u32 v3, v2, 16, 1
	v_add3_u32 v2, v2, v3, 0x7fff
	s_delay_alu instid0(VALU_DEP_1)
	v_lshrrev_b32_e32 v2, 16, v2
	global_store_b32 v[0:1], v2, off
	s_branch .LBB182_1053
.LBB182_1047:
	s_mov_b32 s31, 0
	s_mov_b32 s2, s24
	s_branch .LBB182_1164
.LBB182_1048:
	s_mov_b32 s31, -1
	s_mov_b32 s33, 0
	s_mov_b32 s2, s24
	s_branch .LBB182_1122
.LBB182_1049:
	s_mov_b32 s33, 0
	s_mov_b32 s2, s24
	s_branch .LBB182_1080
.LBB182_1050:
	s_mov_b32 s33, 0
	s_mov_b32 s2, s24
	s_branch .LBB182_1063
.LBB182_1051:
	s_mov_b32 s33, 0
	s_mov_b32 s2, s24
	s_branch .LBB182_1059
.LBB182_1052:
	s_mov_b32 s33, 0
	s_mov_b32 s2, s24
.LBB182_1053:
	s_and_b32 vcc_lo, exec_lo, s34
	s_cbranch_vccz .LBB182_1058
; %bb.1054:
	s_cmp_eq_u32 s31, 44
	s_mov_b32 s2, -1
	s_cbranch_scc0 .LBB182_1058
; %bb.1055:
	v_cndmask_b32_e64 v4, 0, 1.0, s1
	s_mov_b32 s33, exec_lo
	s_wait_xcnt 0x0
	s_delay_alu instid0(VALU_DEP_1) | instskip(NEXT) | instid1(VALU_DEP_1)
	v_dual_mov_b32 v3, 0xff :: v_dual_lshrrev_b32 v2, 23, v4
	v_cmpx_ne_u32_e32 0xff, v2
; %bb.1056:
	v_and_b32_e32 v3, 0x400000, v4
	v_and_or_b32 v4, 0x3fffff, v4, v2
	s_delay_alu instid0(VALU_DEP_2) | instskip(NEXT) | instid1(VALU_DEP_2)
	v_cmp_ne_u32_e32 vcc_lo, 0, v3
	v_cmp_ne_u32_e64 s2, 0, v4
	s_and_b32 s2, vcc_lo, s2
	s_delay_alu instid0(SALU_CYCLE_1) | instskip(NEXT) | instid1(VALU_DEP_1)
	v_cndmask_b32_e64 v3, 0, 1, s2
	v_add_nc_u32_e32 v3, v2, v3
; %bb.1057:
	s_or_b32 exec_lo, exec_lo, s33
	s_mov_b32 s33, -1
	s_mov_b32 s2, 0
	global_store_b8 v[0:1], v3, off
.LBB182_1058:
	s_mov_b32 s34, 0
.LBB182_1059:
	s_delay_alu instid0(SALU_CYCLE_1)
	s_and_b32 vcc_lo, exec_lo, s34
	s_cbranch_vccz .LBB182_1062
; %bb.1060:
	s_cmp_eq_u32 s31, 29
	s_mov_b32 s2, -1
	s_cbranch_scc0 .LBB182_1062
; %bb.1061:
	s_mov_b32 s2, 0
	s_wait_xcnt 0x0
	v_cndmask_b32_e64 v2, 0, 1, s1
	v_mov_b32_e32 v3, s2
	s_mov_b32 s33, -1
	s_mov_b32 s34, 0
	global_store_b64 v[0:1], v[2:3], off
	s_branch .LBB182_1063
.LBB182_1062:
	s_mov_b32 s34, 0
.LBB182_1063:
	s_delay_alu instid0(SALU_CYCLE_1)
	s_and_b32 vcc_lo, exec_lo, s34
	s_cbranch_vccz .LBB182_1079
; %bb.1064:
	s_cmp_lt_i32 s31, 27
	s_mov_b32 s33, -1
	s_cbranch_scc1 .LBB182_1070
; %bb.1065:
	s_cmp_gt_i32 s31, 27
	s_cbranch_scc0 .LBB182_1067
; %bb.1066:
	s_wait_xcnt 0x0
	v_cndmask_b32_e64 v2, 0, 1, s1
	s_mov_b32 s33, 0
	global_store_b32 v[0:1], v2, off
.LBB182_1067:
	s_and_not1_b32 vcc_lo, exec_lo, s33
	s_cbranch_vccnz .LBB182_1069
; %bb.1068:
	s_wait_xcnt 0x0
	v_cndmask_b32_e64 v2, 0, 1, s1
	global_store_b16 v[0:1], v2, off
.LBB182_1069:
	s_mov_b32 s33, 0
.LBB182_1070:
	s_delay_alu instid0(SALU_CYCLE_1)
	s_and_not1_b32 vcc_lo, exec_lo, s33
	s_cbranch_vccnz .LBB182_1078
; %bb.1071:
	s_wait_xcnt 0x0
	v_cndmask_b32_e64 v3, 0, 1.0, s1
	v_mov_b32_e32 v4, 0x80
	s_mov_b32 s33, exec_lo
	s_delay_alu instid0(VALU_DEP_2)
	v_cmpx_gt_u32_e32 0x43800000, v3
	s_cbranch_execz .LBB182_1077
; %bb.1072:
	s_mov_b32 s34, 0
	s_mov_b32 s35, exec_lo
                                        ; implicit-def: $vgpr2
	v_cmpx_lt_u32_e32 0x3bffffff, v3
	s_xor_b32 s35, exec_lo, s35
	s_cbranch_execz .LBB182_1180
; %bb.1073:
	v_bfe_u32 v2, v3, 20, 1
	s_mov_b32 s34, exec_lo
	s_delay_alu instid0(VALU_DEP_1) | instskip(NEXT) | instid1(VALU_DEP_1)
	v_add3_u32 v2, v3, v2, 0x487ffff
                                        ; implicit-def: $vgpr3
	v_lshrrev_b32_e32 v2, 20, v2
	s_and_not1_saveexec_b32 s35, s35
	s_cbranch_execnz .LBB182_1181
.LBB182_1074:
	s_or_b32 exec_lo, exec_lo, s35
	v_mov_b32_e32 v4, 0
	s_and_saveexec_b32 s35, s34
.LBB182_1075:
	v_mov_b32_e32 v4, v2
.LBB182_1076:
	s_or_b32 exec_lo, exec_lo, s35
.LBB182_1077:
	s_delay_alu instid0(SALU_CYCLE_1)
	s_or_b32 exec_lo, exec_lo, s33
	global_store_b8 v[0:1], v4, off
.LBB182_1078:
	s_mov_b32 s33, -1
.LBB182_1079:
	s_mov_b32 s34, 0
.LBB182_1080:
	s_delay_alu instid0(SALU_CYCLE_1)
	s_and_b32 vcc_lo, exec_lo, s34
	s_cbranch_vccz .LBB182_1121
; %bb.1081:
	s_cmp_gt_i32 s31, 22
	s_mov_b32 s34, -1
	s_cbranch_scc0 .LBB182_1113
; %bb.1082:
	s_cmp_lt_i32 s31, 24
	s_mov_b32 s33, -1
	s_cbranch_scc1 .LBB182_1102
; %bb.1083:
	s_cmp_gt_i32 s31, 24
	s_cbranch_scc0 .LBB182_1091
; %bb.1084:
	s_wait_xcnt 0x0
	v_cndmask_b32_e64 v3, 0, 1.0, s1
	v_mov_b32_e32 v4, 0x80
	s_mov_b32 s33, exec_lo
	s_delay_alu instid0(VALU_DEP_2)
	v_cmpx_gt_u32_e32 0x47800000, v3
	s_cbranch_execz .LBB182_1090
; %bb.1085:
	s_mov_b32 s34, 0
	s_mov_b32 s35, exec_lo
                                        ; implicit-def: $vgpr2
	v_cmpx_lt_u32_e32 0x37ffffff, v3
	s_xor_b32 s35, exec_lo, s35
	s_cbranch_execz .LBB182_2208
; %bb.1086:
	v_bfe_u32 v2, v3, 21, 1
	s_mov_b32 s34, exec_lo
	s_delay_alu instid0(VALU_DEP_1) | instskip(NEXT) | instid1(VALU_DEP_1)
	v_add3_u32 v2, v3, v2, 0x88fffff
                                        ; implicit-def: $vgpr3
	v_lshrrev_b32_e32 v2, 21, v2
	s_and_not1_saveexec_b32 s35, s35
	s_cbranch_execnz .LBB182_2209
.LBB182_1087:
	s_or_b32 exec_lo, exec_lo, s35
	v_mov_b32_e32 v4, 0
	s_and_saveexec_b32 s35, s34
.LBB182_1088:
	v_mov_b32_e32 v4, v2
.LBB182_1089:
	s_or_b32 exec_lo, exec_lo, s35
.LBB182_1090:
	s_delay_alu instid0(SALU_CYCLE_1)
	s_or_b32 exec_lo, exec_lo, s33
	s_mov_b32 s33, 0
	global_store_b8 v[0:1], v4, off
.LBB182_1091:
	s_and_b32 vcc_lo, exec_lo, s33
	s_cbranch_vccz .LBB182_1101
; %bb.1092:
	s_wait_xcnt 0x0
	v_cndmask_b32_e64 v3, 0, 1.0, s1
	s_mov_b32 s33, exec_lo
                                        ; implicit-def: $vgpr2
	s_delay_alu instid0(VALU_DEP_1)
	v_cmpx_gt_u32_e32 0x43f00000, v3
	s_xor_b32 s33, exec_lo, s33
	s_cbranch_execz .LBB182_1098
; %bb.1093:
	s_mov_b32 s34, exec_lo
                                        ; implicit-def: $vgpr2
	v_cmpx_lt_u32_e32 0x3c7fffff, v3
	s_xor_b32 s34, exec_lo, s34
; %bb.1094:
	v_bfe_u32 v2, v3, 20, 1
	s_delay_alu instid0(VALU_DEP_1) | instskip(NEXT) | instid1(VALU_DEP_1)
	v_add3_u32 v2, v3, v2, 0x407ffff
	v_and_b32_e32 v3, 0xff00000, v2
	v_lshrrev_b32_e32 v2, 20, v2
	s_delay_alu instid0(VALU_DEP_2) | instskip(NEXT) | instid1(VALU_DEP_2)
	v_cmp_ne_u32_e32 vcc_lo, 0x7f00000, v3
                                        ; implicit-def: $vgpr3
	v_cndmask_b32_e32 v2, 0x7e, v2, vcc_lo
; %bb.1095:
	s_and_not1_saveexec_b32 s34, s34
; %bb.1096:
	v_add_f32_e32 v2, 0x46800000, v3
; %bb.1097:
	s_or_b32 exec_lo, exec_lo, s34
                                        ; implicit-def: $vgpr3
.LBB182_1098:
	s_and_not1_saveexec_b32 s33, s33
; %bb.1099:
	v_mov_b32_e32 v2, 0x7f
	v_cmp_lt_u32_e32 vcc_lo, 0x7f800000, v3
	s_delay_alu instid0(VALU_DEP_2)
	v_cndmask_b32_e32 v2, 0x7e, v2, vcc_lo
; %bb.1100:
	s_or_b32 exec_lo, exec_lo, s33
	global_store_b8 v[0:1], v2, off
.LBB182_1101:
	s_mov_b32 s33, 0
.LBB182_1102:
	s_delay_alu instid0(SALU_CYCLE_1)
	s_and_not1_b32 vcc_lo, exec_lo, s33
	s_cbranch_vccnz .LBB182_1112
; %bb.1103:
	s_wait_xcnt 0x0
	v_cndmask_b32_e64 v3, 0, 1.0, s1
	s_mov_b32 s33, exec_lo
                                        ; implicit-def: $vgpr2
	s_delay_alu instid0(VALU_DEP_1)
	v_cmpx_gt_u32_e32 0x47800000, v3
	s_xor_b32 s33, exec_lo, s33
	s_cbranch_execz .LBB182_1109
; %bb.1104:
	s_mov_b32 s34, exec_lo
                                        ; implicit-def: $vgpr2
	v_cmpx_lt_u32_e32 0x387fffff, v3
	s_xor_b32 s34, exec_lo, s34
; %bb.1105:
	v_bfe_u32 v2, v3, 21, 1
	s_delay_alu instid0(VALU_DEP_1) | instskip(NEXT) | instid1(VALU_DEP_1)
	v_add3_u32 v2, v3, v2, 0x80fffff
                                        ; implicit-def: $vgpr3
	v_lshrrev_b32_e32 v2, 21, v2
; %bb.1106:
	s_and_not1_saveexec_b32 s34, s34
; %bb.1107:
	v_add_f32_e32 v2, 0x43000000, v3
; %bb.1108:
	s_or_b32 exec_lo, exec_lo, s34
                                        ; implicit-def: $vgpr3
.LBB182_1109:
	s_and_not1_saveexec_b32 s33, s33
; %bb.1110:
	v_mov_b32_e32 v2, 0x7f
	v_cmp_lt_u32_e32 vcc_lo, 0x7f800000, v3
	s_delay_alu instid0(VALU_DEP_2)
	v_cndmask_b32_e32 v2, 0x7c, v2, vcc_lo
; %bb.1111:
	s_or_b32 exec_lo, exec_lo, s33
	global_store_b8 v[0:1], v2, off
.LBB182_1112:
	s_mov_b32 s34, 0
	s_mov_b32 s33, -1
.LBB182_1113:
	s_and_not1_b32 vcc_lo, exec_lo, s34
	s_cbranch_vccnz .LBB182_1121
; %bb.1114:
	s_cmp_gt_i32 s31, 14
	s_mov_b32 s34, -1
	s_cbranch_scc0 .LBB182_1118
; %bb.1115:
	s_cmp_eq_u32 s31, 15
	s_mov_b32 s2, -1
	s_cbranch_scc0 .LBB182_1117
; %bb.1116:
	s_wait_xcnt 0x0
	v_cndmask_b32_e64 v2, 0, 1.0, s1
	s_mov_b32 s33, -1
	s_mov_b32 s2, 0
	s_delay_alu instid0(VALU_DEP_1) | instskip(NEXT) | instid1(VALU_DEP_1)
	v_bfe_u32 v3, v2, 16, 1
	v_add3_u32 v2, v2, v3, 0x7fff
	global_store_d16_hi_b16 v[0:1], v2, off
.LBB182_1117:
	s_mov_b32 s34, 0
.LBB182_1118:
	s_delay_alu instid0(SALU_CYCLE_1)
	s_and_b32 vcc_lo, exec_lo, s34
	s_cbranch_vccz .LBB182_1121
; %bb.1119:
	s_cmp_eq_u32 s31, 11
	s_mov_b32 s2, -1
	s_cbranch_scc0 .LBB182_1121
; %bb.1120:
	s_wait_xcnt 0x0
	v_cndmask_b32_e64 v2, 0, 1, s1
	s_mov_b32 s33, -1
	s_mov_b32 s2, 0
	global_store_b8 v[0:1], v2, off
.LBB182_1121:
	s_mov_b32 s31, 0
.LBB182_1122:
	s_delay_alu instid0(SALU_CYCLE_1)
	s_and_b32 vcc_lo, exec_lo, s31
	s_cbranch_vccz .LBB182_1161
; %bb.1123:
	s_and_b32 s30, 0xffff, s30
	s_mov_b32 s31, -1
	s_cmp_lt_i32 s30, 5
	s_cbranch_scc1 .LBB182_1144
; %bb.1124:
	s_cmp_lt_i32 s30, 8
	s_cbranch_scc1 .LBB182_1134
; %bb.1125:
	;; [unrolled: 3-line block ×3, first 2 shown]
	s_cmp_gt_i32 s30, 9
	s_cbranch_scc0 .LBB182_1128
; %bb.1127:
	s_wait_xcnt 0x0
	v_cndmask_b32_e64 v2, 0, 1, s1
	v_mov_b32_e32 v4, 0
	s_mov_b32 s31, 0
	s_delay_alu instid0(VALU_DEP_2) | instskip(NEXT) | instid1(VALU_DEP_2)
	v_cvt_f64_u32_e32 v[2:3], v2
	v_mov_b32_e32 v5, v4
	global_store_b128 v[0:1], v[2:5], off
.LBB182_1128:
	s_and_not1_b32 vcc_lo, exec_lo, s31
	s_cbranch_vccnz .LBB182_1130
; %bb.1129:
	s_wait_xcnt 0x0
	v_cndmask_b32_e64 v2, 0, 1.0, s1
	v_mov_b32_e32 v3, 0
	global_store_b64 v[0:1], v[2:3], off
.LBB182_1130:
	s_mov_b32 s31, 0
.LBB182_1131:
	s_delay_alu instid0(SALU_CYCLE_1)
	s_and_not1_b32 vcc_lo, exec_lo, s31
	s_cbranch_vccnz .LBB182_1133
; %bb.1132:
	s_wait_xcnt 0x0
	v_cndmask_b32_e64 v2, 0, 1.0, s1
	s_delay_alu instid0(VALU_DEP_1) | instskip(NEXT) | instid1(VALU_DEP_1)
	v_cvt_f16_f32_e32 v2, v2
	v_and_b32_e32 v2, 0xffff, v2
	global_store_b32 v[0:1], v2, off
.LBB182_1133:
	s_mov_b32 s31, 0
.LBB182_1134:
	s_delay_alu instid0(SALU_CYCLE_1)
	s_and_not1_b32 vcc_lo, exec_lo, s31
	s_cbranch_vccnz .LBB182_1143
; %bb.1135:
	s_cmp_lt_i32 s30, 6
	s_mov_b32 s31, -1
	s_cbranch_scc1 .LBB182_1141
; %bb.1136:
	s_cmp_gt_i32 s30, 6
	s_cbranch_scc0 .LBB182_1138
; %bb.1137:
	s_wait_xcnt 0x0
	v_cndmask_b32_e64 v2, 0, 1, s1
	s_mov_b32 s31, 0
	s_delay_alu instid0(VALU_DEP_1)
	v_cvt_f64_u32_e32 v[2:3], v2
	global_store_b64 v[0:1], v[2:3], off
.LBB182_1138:
	s_and_not1_b32 vcc_lo, exec_lo, s31
	s_cbranch_vccnz .LBB182_1140
; %bb.1139:
	s_wait_xcnt 0x0
	v_cndmask_b32_e64 v2, 0, 1.0, s1
	global_store_b32 v[0:1], v2, off
.LBB182_1140:
	s_mov_b32 s31, 0
.LBB182_1141:
	s_delay_alu instid0(SALU_CYCLE_1)
	s_and_not1_b32 vcc_lo, exec_lo, s31
	s_cbranch_vccnz .LBB182_1143
; %bb.1142:
	s_wait_xcnt 0x0
	v_cndmask_b32_e64 v2, 0, 1.0, s1
	s_delay_alu instid0(VALU_DEP_1)
	v_cvt_f16_f32_e32 v2, v2
	global_store_b16 v[0:1], v2, off
.LBB182_1143:
	s_mov_b32 s31, 0
.LBB182_1144:
	s_delay_alu instid0(SALU_CYCLE_1)
	s_and_not1_b32 vcc_lo, exec_lo, s31
	s_cbranch_vccnz .LBB182_1160
; %bb.1145:
	s_cmp_lt_i32 s30, 2
	s_mov_b32 s31, -1
	s_cbranch_scc1 .LBB182_1155
; %bb.1146:
	s_cmp_lt_i32 s30, 3
	s_cbranch_scc1 .LBB182_1152
; %bb.1147:
	s_cmp_gt_i32 s30, 3
	s_cbranch_scc0 .LBB182_1149
; %bb.1148:
	s_mov_b32 s31, 0
	s_wait_xcnt 0x0
	v_cndmask_b32_e64 v2, 0, 1, s1
	v_mov_b32_e32 v3, s31
	global_store_b64 v[0:1], v[2:3], off
.LBB182_1149:
	s_and_not1_b32 vcc_lo, exec_lo, s31
	s_cbranch_vccnz .LBB182_1151
; %bb.1150:
	s_wait_xcnt 0x0
	v_cndmask_b32_e64 v2, 0, 1, s1
	global_store_b32 v[0:1], v2, off
.LBB182_1151:
	s_mov_b32 s31, 0
.LBB182_1152:
	s_delay_alu instid0(SALU_CYCLE_1)
	s_and_not1_b32 vcc_lo, exec_lo, s31
	s_cbranch_vccnz .LBB182_1154
; %bb.1153:
	s_wait_xcnt 0x0
	v_cndmask_b32_e64 v2, 0, 1, s1
	global_store_b16 v[0:1], v2, off
.LBB182_1154:
	s_mov_b32 s31, 0
.LBB182_1155:
	s_delay_alu instid0(SALU_CYCLE_1)
	s_and_not1_b32 vcc_lo, exec_lo, s31
	s_cbranch_vccnz .LBB182_1160
; %bb.1156:
	s_wait_xcnt 0x0
	v_cndmask_b32_e64 v2, 0, 1, s1
	s_cmp_gt_i32 s30, 0
	s_mov_b32 s1, -1
	s_cbranch_scc0 .LBB182_1158
; %bb.1157:
	s_mov_b32 s1, 0
	global_store_b8 v[0:1], v2, off
.LBB182_1158:
	s_and_not1_b32 vcc_lo, exec_lo, s1
	s_cbranch_vccnz .LBB182_1160
; %bb.1159:
	global_store_b8 v[0:1], v2, off
.LBB182_1160:
	s_mov_b32 s33, -1
.LBB182_1161:
	s_delay_alu instid0(SALU_CYCLE_1)
	s_and_not1_b32 vcc_lo, exec_lo, s33
	s_cbranch_vccnz .LBB182_1163
; %bb.1162:
	v_add_nc_u32_e32 v6, 0x80, v6
	s_mov_b32 s31, -1
	s_branch .LBB182_1165
.LBB182_1163:
	s_mov_b32 s31, 0
.LBB182_1164:
                                        ; implicit-def: $vgpr6
.LBB182_1165:
	s_and_not1_b32 s1, s24, exec_lo
	s_and_b32 s2, s2, exec_lo
	s_and_b32 s33, s28, exec_lo
	s_or_b32 s30, s1, s2
	s_and_not1_b32 s1, s25, exec_lo
	s_and_b32 s2, s29, exec_lo
	s_and_not1_b32 s29, s23, exec_lo
	s_or_b32 s28, s1, s2
	s_or_b32 s1, s29, s33
	s_or_not1_b32 s34, s31, exec_lo
.LBB182_1166:
	s_wait_xcnt 0x0
	s_or_b32 exec_lo, exec_lo, s27
	s_mov_b32 s29, 0
	s_mov_b32 s31, 0
	;; [unrolled: 1-line block ×3, first 2 shown]
                                        ; implicit-def: $sgpr2
                                        ; implicit-def: $vgpr0_vgpr1
                                        ; implicit-def: $vgpr2
	s_and_saveexec_b32 s27, s34
	s_cbranch_execz .LBB182_1249
; %bb.1167:
	v_cmp_gt_i32_e32 vcc_lo, s19, v6
	s_mov_b32 s35, s1
	s_mov_b32 s34, 0
	;; [unrolled: 1-line block ×3, first 2 shown]
                                        ; implicit-def: $sgpr2
                                        ; implicit-def: $vgpr0_vgpr1
                                        ; implicit-def: $vgpr2
	s_and_saveexec_b32 s19, vcc_lo
	s_cbranch_execz .LBB182_1248
; %bb.1168:
	v_mul_lo_u32 v0, v6, s9
	s_and_b32 s2, s16, 0xff
	s_delay_alu instid0(SALU_CYCLE_1) | instskip(NEXT) | instid1(VALU_DEP_1)
	s_cmp_lt_i32 s2, 11
	v_ashrrev_i32_e32 v1, 31, v0
	s_delay_alu instid0(VALU_DEP_1)
	v_add_nc_u64_e32 v[0:1], s[6:7], v[0:1]
	s_cbranch_scc1 .LBB182_1175
; %bb.1169:
	s_and_b32 s29, 0xffff, s2
	s_delay_alu instid0(SALU_CYCLE_1)
	s_cmp_gt_i32 s29, 25
	s_cbranch_scc0 .LBB182_1176
; %bb.1170:
	s_cmp_gt_i32 s29, 28
	s_cbranch_scc0 .LBB182_1177
; %bb.1171:
	s_cmp_gt_i32 s29, 43
	s_cbranch_scc0 .LBB182_1178
; %bb.1172:
	s_cmp_gt_i32 s29, 45
	s_cbranch_scc0 .LBB182_1179
; %bb.1173:
	s_cmp_eq_u32 s29, 46
	s_mov_b32 s35, 0
	s_cbranch_scc0 .LBB182_1182
; %bb.1174:
	s_wait_loadcnt 0x0
	global_load_b32 v2, v[0:1], off
	s_mov_b32 s34, -1
	s_wait_loadcnt 0x0
	v_lshlrev_b32_e32 v2, 16, v2
	s_delay_alu instid0(VALU_DEP_1)
	v_cvt_f16_f32_e32 v2, v2
	s_branch .LBB182_1184
.LBB182_1175:
	s_mov_b32 s29, -1
	s_mov_b32 s31, s1
                                        ; implicit-def: $vgpr2
	s_branch .LBB182_1247
.LBB182_1176:
	s_mov_b32 s35, -1
	s_mov_b32 s31, s1
                                        ; implicit-def: $vgpr2
	s_branch .LBB182_1213
.LBB182_1177:
	s_mov_b32 s35, -1
	s_mov_b32 s31, s1
                                        ; implicit-def: $vgpr2
	s_branch .LBB182_1194
.LBB182_1178:
	s_mov_b32 s35, -1
	s_mov_b32 s31, s1
                                        ; implicit-def: $vgpr2
	s_branch .LBB182_1189
.LBB182_1179:
	s_mov_b32 s35, -1
	s_mov_b32 s31, s1
	s_branch .LBB182_1183
.LBB182_1180:
	s_and_not1_saveexec_b32 s35, s35
	s_cbranch_execz .LBB182_1074
.LBB182_1181:
	v_add_f32_e32 v2, 0x46000000, v3
	s_and_not1_b32 s34, s34, exec_lo
	s_delay_alu instid0(VALU_DEP_1) | instskip(NEXT) | instid1(VALU_DEP_1)
	v_and_b32_e32 v2, 0xff, v2
	v_cmp_ne_u32_e32 vcc_lo, 0, v2
	s_and_b32 s36, vcc_lo, exec_lo
	s_delay_alu instid0(SALU_CYCLE_1)
	s_or_b32 s34, s34, s36
	s_or_b32 exec_lo, exec_lo, s35
	v_mov_b32_e32 v4, 0
	s_and_saveexec_b32 s35, s34
	s_cbranch_execnz .LBB182_1075
	s_branch .LBB182_1076
.LBB182_1182:
	s_mov_b32 s31, -1
.LBB182_1183:
                                        ; implicit-def: $vgpr2
.LBB182_1184:
	s_and_b32 vcc_lo, exec_lo, s35
	s_cbranch_vccz .LBB182_1188
; %bb.1185:
	s_cmp_eq_u32 s29, 44
	s_cbranch_scc0 .LBB182_1187
; %bb.1186:
	s_wait_loadcnt 0x0
	global_load_u8 v2, v[0:1], off
	s_mov_b32 s31, 0
	s_mov_b32 s34, -1
	s_wait_loadcnt 0x0
	v_lshlrev_b32_e32 v3, 23, v2
	v_cmp_ne_u32_e32 vcc_lo, 0xff, v2
	s_delay_alu instid0(VALU_DEP_2) | instskip(NEXT) | instid1(VALU_DEP_1)
	v_cvt_f16_f32_e32 v3, v3
	v_cndmask_b32_e32 v3, 0x7e00, v3, vcc_lo
	v_cmp_ne_u32_e32 vcc_lo, 0, v2
	s_delay_alu instid0(VALU_DEP_2)
	v_cndmask_b32_e32 v2, 0, v3, vcc_lo
	s_branch .LBB182_1188
.LBB182_1187:
	s_mov_b32 s31, -1
                                        ; implicit-def: $vgpr2
.LBB182_1188:
	s_mov_b32 s35, 0
.LBB182_1189:
	s_delay_alu instid0(SALU_CYCLE_1)
	s_and_b32 vcc_lo, exec_lo, s35
	s_cbranch_vccz .LBB182_1193
; %bb.1190:
	s_cmp_eq_u32 s29, 29
	s_cbranch_scc0 .LBB182_1192
; %bb.1191:
	s_wait_loadcnt 0x0
	global_load_b64 v[2:3], v[0:1], off
	s_mov_b32 s31, 0
	s_mov_b32 s34, -1
	s_mov_b32 s35, 0
	s_wait_loadcnt 0x0
	v_clz_i32_u32_e32 v4, v3
	s_delay_alu instid0(VALU_DEP_1) | instskip(NEXT) | instid1(VALU_DEP_1)
	v_min_u32_e32 v4, 32, v4
	v_lshlrev_b64_e32 v[2:3], v4, v[2:3]
	s_delay_alu instid0(VALU_DEP_1) | instskip(NEXT) | instid1(VALU_DEP_1)
	v_min_u32_e32 v2, 1, v2
	v_dual_sub_nc_u32 v3, 32, v4 :: v_dual_bitop2_b32 v2, v3, v2 bitop3:0x54
	s_delay_alu instid0(VALU_DEP_1) | instskip(NEXT) | instid1(VALU_DEP_1)
	v_cvt_f32_u32_e32 v2, v2
	v_ldexp_f32 v2, v2, v3
	s_delay_alu instid0(VALU_DEP_1)
	v_cvt_f16_f32_e32 v2, v2
	s_branch .LBB182_1194
.LBB182_1192:
	s_mov_b32 s31, -1
                                        ; implicit-def: $vgpr2
.LBB182_1193:
	s_mov_b32 s35, 0
.LBB182_1194:
	s_delay_alu instid0(SALU_CYCLE_1)
	s_and_b32 vcc_lo, exec_lo, s35
	s_cbranch_vccz .LBB182_1212
; %bb.1195:
	s_cmp_lt_i32 s29, 27
	s_cbranch_scc1 .LBB182_1198
; %bb.1196:
	s_cmp_gt_i32 s29, 27
	s_cbranch_scc0 .LBB182_1199
; %bb.1197:
	s_wait_loadcnt 0x0
	global_load_b32 v2, v[0:1], off
	s_mov_b32 s34, 0
	s_wait_loadcnt 0x0
	v_cvt_f32_u32_e32 v2, v2
	s_delay_alu instid0(VALU_DEP_1)
	v_cvt_f16_f32_e32 v2, v2
	s_branch .LBB182_1200
.LBB182_1198:
	s_mov_b32 s34, -1
                                        ; implicit-def: $vgpr2
	s_branch .LBB182_1203
.LBB182_1199:
	s_mov_b32 s34, -1
                                        ; implicit-def: $vgpr2
.LBB182_1200:
	s_delay_alu instid0(SALU_CYCLE_1)
	s_and_not1_b32 vcc_lo, exec_lo, s34
	s_cbranch_vccnz .LBB182_1202
; %bb.1201:
	s_wait_loadcnt 0x0
	global_load_u16 v2, v[0:1], off
	s_wait_loadcnt 0x0
	v_cvt_f16_u16_e32 v2, v2
.LBB182_1202:
	s_mov_b32 s34, 0
.LBB182_1203:
	s_delay_alu instid0(SALU_CYCLE_1)
	s_and_not1_b32 vcc_lo, exec_lo, s34
	s_cbranch_vccnz .LBB182_1211
; %bb.1204:
	s_wait_loadcnt 0x0
	global_load_u8 v3, v[0:1], off
	s_mov_b32 s34, 0
	s_mov_b32 s35, exec_lo
	s_wait_loadcnt 0x0
	v_cmpx_lt_i16_e32 0x7f, v3
	s_xor_b32 s35, exec_lo, s35
	s_cbranch_execz .LBB182_1225
; %bb.1205:
	s_mov_b32 s34, -1
	s_mov_b32 s36, exec_lo
	v_cmpx_eq_u16_e32 0x80, v3
; %bb.1206:
	s_xor_b32 s34, exec_lo, -1
; %bb.1207:
	s_or_b32 exec_lo, exec_lo, s36
	s_delay_alu instid0(SALU_CYCLE_1)
	s_and_b32 s34, s34, exec_lo
	s_or_saveexec_b32 s35, s35
	v_mov_b32_e32 v2, 0x7e00
	s_xor_b32 exec_lo, exec_lo, s35
	s_cbranch_execnz .LBB182_1226
.LBB182_1208:
	s_or_b32 exec_lo, exec_lo, s35
	s_and_saveexec_b32 s35, s34
	s_cbranch_execz .LBB182_1210
.LBB182_1209:
	v_and_b32_e32 v2, 0xffff, v3
	s_delay_alu instid0(VALU_DEP_1) | instskip(SKIP_1) | instid1(VALU_DEP_2)
	v_and_b32_e32 v4, 7, v2
	v_bfe_u32 v8, v2, 3, 4
	v_clz_i32_u32_e32 v5, v4
	s_delay_alu instid0(VALU_DEP_2) | instskip(NEXT) | instid1(VALU_DEP_2)
	v_cmp_eq_u32_e32 vcc_lo, 0, v8
	v_min_u32_e32 v5, 32, v5
	s_delay_alu instid0(VALU_DEP_1) | instskip(NEXT) | instid1(VALU_DEP_1)
	v_subrev_nc_u32_e32 v7, 28, v5
	v_dual_lshlrev_b32 v2, v7, v2 :: v_dual_sub_nc_u32 v5, 29, v5
	s_delay_alu instid0(VALU_DEP_1) | instskip(NEXT) | instid1(VALU_DEP_2)
	v_dual_lshlrev_b32 v3, 24, v3 :: v_dual_bitop2_b32 v2, 7, v2 bitop3:0x40
	v_cndmask_b32_e32 v5, v8, v5, vcc_lo
	s_delay_alu instid0(VALU_DEP_2) | instskip(NEXT) | instid1(VALU_DEP_3)
	v_cndmask_b32_e32 v2, v4, v2, vcc_lo
	v_and_b32_e32 v3, 0x80000000, v3
	s_delay_alu instid0(VALU_DEP_3) | instskip(NEXT) | instid1(VALU_DEP_3)
	v_lshl_add_u32 v4, v5, 23, 0x3b800000
	v_lshlrev_b32_e32 v2, 20, v2
	s_delay_alu instid0(VALU_DEP_1) | instskip(NEXT) | instid1(VALU_DEP_1)
	v_or3_b32 v2, v3, v4, v2
	v_cvt_f16_f32_e32 v2, v2
.LBB182_1210:
	s_or_b32 exec_lo, exec_lo, s35
.LBB182_1211:
	s_mov_b32 s34, -1
.LBB182_1212:
	s_mov_b32 s35, 0
.LBB182_1213:
	s_delay_alu instid0(SALU_CYCLE_1)
	s_and_b32 vcc_lo, exec_lo, s35
	s_cbranch_vccz .LBB182_1246
; %bb.1214:
	s_cmp_gt_i32 s29, 22
	s_cbranch_scc0 .LBB182_1224
; %bb.1215:
	s_cmp_lt_i32 s29, 24
	s_cbranch_scc1 .LBB182_1227
; %bb.1216:
	s_cmp_gt_i32 s29, 24
	s_cbranch_scc0 .LBB182_1228
; %bb.1217:
	s_wait_loadcnt 0x0
	global_load_u8 v3, v[0:1], off
	s_mov_b32 s34, exec_lo
	s_wait_loadcnt 0x0
	v_cmpx_lt_i16_e32 0x7f, v3
	s_xor_b32 s34, exec_lo, s34
	s_cbranch_execz .LBB182_1240
; %bb.1218:
	s_mov_b32 s33, -1
	s_mov_b32 s35, exec_lo
	v_cmpx_eq_u16_e32 0x80, v3
; %bb.1219:
	s_xor_b32 s33, exec_lo, -1
; %bb.1220:
	s_or_b32 exec_lo, exec_lo, s35
	s_delay_alu instid0(SALU_CYCLE_1)
	s_and_b32 s33, s33, exec_lo
	s_or_saveexec_b32 s34, s34
	v_mov_b32_e32 v2, 0x7e00
	s_xor_b32 exec_lo, exec_lo, s34
	s_cbranch_execnz .LBB182_1241
.LBB182_1221:
	s_or_b32 exec_lo, exec_lo, s34
	s_and_saveexec_b32 s34, s33
	s_cbranch_execz .LBB182_1223
.LBB182_1222:
	v_and_b32_e32 v2, 0xffff, v3
	s_delay_alu instid0(VALU_DEP_1) | instskip(SKIP_1) | instid1(VALU_DEP_2)
	v_and_b32_e32 v4, 3, v2
	v_bfe_u32 v8, v2, 2, 5
	v_clz_i32_u32_e32 v5, v4
	s_delay_alu instid0(VALU_DEP_2) | instskip(NEXT) | instid1(VALU_DEP_2)
	v_cmp_eq_u32_e32 vcc_lo, 0, v8
	v_min_u32_e32 v5, 32, v5
	s_delay_alu instid0(VALU_DEP_1) | instskip(NEXT) | instid1(VALU_DEP_1)
	v_subrev_nc_u32_e32 v7, 29, v5
	v_dual_lshlrev_b32 v2, v7, v2 :: v_dual_sub_nc_u32 v5, 30, v5
	s_delay_alu instid0(VALU_DEP_1) | instskip(NEXT) | instid1(VALU_DEP_2)
	v_dual_lshlrev_b32 v3, 24, v3 :: v_dual_bitop2_b32 v2, 3, v2 bitop3:0x40
	v_cndmask_b32_e32 v5, v8, v5, vcc_lo
	s_delay_alu instid0(VALU_DEP_2) | instskip(NEXT) | instid1(VALU_DEP_3)
	v_cndmask_b32_e32 v2, v4, v2, vcc_lo
	v_and_b32_e32 v3, 0x80000000, v3
	s_delay_alu instid0(VALU_DEP_3) | instskip(NEXT) | instid1(VALU_DEP_3)
	v_lshl_add_u32 v4, v5, 23, 0x37800000
	v_lshlrev_b32_e32 v2, 21, v2
	s_delay_alu instid0(VALU_DEP_1) | instskip(NEXT) | instid1(VALU_DEP_1)
	v_or3_b32 v2, v3, v4, v2
	v_cvt_f16_f32_e32 v2, v2
.LBB182_1223:
	s_or_b32 exec_lo, exec_lo, s34
	s_mov_b32 s33, 0
	s_branch .LBB182_1229
.LBB182_1224:
	s_mov_b32 s33, -1
                                        ; implicit-def: $vgpr2
	s_branch .LBB182_1235
.LBB182_1225:
	s_or_saveexec_b32 s35, s35
	v_mov_b32_e32 v2, 0x7e00
	s_xor_b32 exec_lo, exec_lo, s35
	s_cbranch_execz .LBB182_1208
.LBB182_1226:
	v_cmp_ne_u16_e32 vcc_lo, 0, v3
	v_mov_b32_e32 v2, v3
	s_and_not1_b32 s34, s34, exec_lo
	s_and_b32 s36, vcc_lo, exec_lo
	s_delay_alu instid0(SALU_CYCLE_1)
	s_or_b32 s34, s34, s36
	s_or_b32 exec_lo, exec_lo, s35
	s_and_saveexec_b32 s35, s34
	s_cbranch_execnz .LBB182_1209
	s_branch .LBB182_1210
.LBB182_1227:
	s_mov_b32 s33, -1
                                        ; implicit-def: $vgpr2
	s_branch .LBB182_1232
.LBB182_1228:
	s_mov_b32 s33, -1
                                        ; implicit-def: $vgpr2
.LBB182_1229:
	s_delay_alu instid0(SALU_CYCLE_1)
	s_and_b32 vcc_lo, exec_lo, s33
	s_cbranch_vccz .LBB182_1231
; %bb.1230:
	s_wait_loadcnt 0x0
	global_load_u8 v2, v[0:1], off
	s_wait_loadcnt 0x0
	v_lshlrev_b32_e32 v2, 24, v2
	s_delay_alu instid0(VALU_DEP_1) | instskip(NEXT) | instid1(VALU_DEP_1)
	v_and_b32_e32 v3, 0x7f000000, v2
	v_clz_i32_u32_e32 v4, v3
	v_add_nc_u32_e32 v7, 0x1000000, v3
	v_cmp_ne_u32_e32 vcc_lo, 0, v3
	s_delay_alu instid0(VALU_DEP_3) | instskip(NEXT) | instid1(VALU_DEP_1)
	v_min_u32_e32 v4, 32, v4
	v_sub_nc_u32_e64 v4, v4, 4 clamp
	s_delay_alu instid0(VALU_DEP_1) | instskip(NEXT) | instid1(VALU_DEP_1)
	v_dual_lshlrev_b32 v5, v4, v3 :: v_dual_lshlrev_b32 v4, 23, v4
	v_lshrrev_b32_e32 v5, 4, v5
	s_delay_alu instid0(VALU_DEP_1) | instskip(NEXT) | instid1(VALU_DEP_1)
	v_dual_sub_nc_u32 v4, v5, v4 :: v_dual_ashrrev_i32 v5, 8, v7
	v_add_nc_u32_e32 v4, 0x3c000000, v4
	s_delay_alu instid0(VALU_DEP_1) | instskip(NEXT) | instid1(VALU_DEP_1)
	v_and_or_b32 v4, 0x7f800000, v5, v4
	v_cndmask_b32_e32 v3, 0, v4, vcc_lo
	s_delay_alu instid0(VALU_DEP_1) | instskip(NEXT) | instid1(VALU_DEP_1)
	v_and_or_b32 v2, 0x80000000, v2, v3
	v_cvt_f16_f32_e32 v2, v2
.LBB182_1231:
	s_mov_b32 s33, 0
.LBB182_1232:
	s_delay_alu instid0(SALU_CYCLE_1)
	s_and_not1_b32 vcc_lo, exec_lo, s33
	s_cbranch_vccnz .LBB182_1234
; %bb.1233:
	s_wait_loadcnt 0x0
	global_load_u8 v2, v[0:1], off
	s_wait_loadcnt 0x0
	v_lshlrev_b32_e32 v3, 25, v2
	v_lshlrev_b16 v2, 8, v2
	s_delay_alu instid0(VALU_DEP_1) | instskip(SKIP_1) | instid1(VALU_DEP_2)
	v_and_or_b32 v5, 0x7f00, v2, 0.5
	v_bfe_i32 v2, v2, 0, 16
	v_dual_add_f32 v5, -0.5, v5 :: v_dual_lshrrev_b32 v4, 4, v3
	v_cmp_gt_u32_e32 vcc_lo, 0x8000000, v3
	s_delay_alu instid0(VALU_DEP_2) | instskip(NEXT) | instid1(VALU_DEP_1)
	v_or_b32_e32 v4, 0x70000000, v4
	v_mul_f32_e32 v4, 0x7800000, v4
	s_delay_alu instid0(VALU_DEP_1) | instskip(NEXT) | instid1(VALU_DEP_1)
	v_cndmask_b32_e32 v3, v4, v5, vcc_lo
	v_and_or_b32 v2, 0x80000000, v2, v3
	s_delay_alu instid0(VALU_DEP_1)
	v_cvt_f16_f32_e32 v2, v2
.LBB182_1234:
	s_mov_b32 s33, 0
	s_mov_b32 s34, -1
.LBB182_1235:
	s_and_not1_b32 vcc_lo, exec_lo, s33
	s_mov_b32 s33, 0
	s_cbranch_vccnz .LBB182_1246
; %bb.1236:
	s_cmp_gt_i32 s29, 14
	s_cbranch_scc0 .LBB182_1239
; %bb.1237:
	s_cmp_eq_u32 s29, 15
	s_cbranch_scc0 .LBB182_1242
; %bb.1238:
	s_wait_loadcnt 0x0
	global_load_u16 v2, v[0:1], off
	s_mov_b32 s31, 0
	s_mov_b32 s34, -1
	s_wait_loadcnt 0x0
	v_lshlrev_b32_e32 v2, 16, v2
	s_delay_alu instid0(VALU_DEP_1)
	v_cvt_f16_f32_e32 v2, v2
	s_branch .LBB182_1244
.LBB182_1239:
	s_mov_b32 s33, -1
	s_branch .LBB182_1243
.LBB182_1240:
	s_or_saveexec_b32 s34, s34
	v_mov_b32_e32 v2, 0x7e00
	s_xor_b32 exec_lo, exec_lo, s34
	s_cbranch_execz .LBB182_1221
.LBB182_1241:
	v_cmp_ne_u16_e32 vcc_lo, 0, v3
	v_mov_b32_e32 v2, v3
	s_and_not1_b32 s33, s33, exec_lo
	s_and_b32 s35, vcc_lo, exec_lo
	s_delay_alu instid0(SALU_CYCLE_1)
	s_or_b32 s33, s33, s35
	s_or_b32 exec_lo, exec_lo, s34
	s_and_saveexec_b32 s34, s33
	s_cbranch_execnz .LBB182_1222
	s_branch .LBB182_1223
.LBB182_1242:
	s_mov_b32 s31, -1
.LBB182_1243:
                                        ; implicit-def: $vgpr2
.LBB182_1244:
	s_and_b32 vcc_lo, exec_lo, s33
	s_mov_b32 s33, 0
	s_cbranch_vccz .LBB182_1246
; %bb.1245:
	s_cmp_lg_u32 s29, 11
	s_mov_b32 s33, -1
	s_cselect_b32 s29, -1, 0
	s_and_not1_b32 s31, s31, exec_lo
	s_and_b32 s29, s29, exec_lo
	s_delay_alu instid0(SALU_CYCLE_1)
	s_or_b32 s31, s31, s29
.LBB182_1246:
	s_mov_b32 s29, 0
.LBB182_1247:
	s_and_not1_b32 s35, s1, exec_lo
	s_and_b32 s31, s31, exec_lo
	s_and_b32 s36, s34, exec_lo
	;; [unrolled: 1-line block ×4, first 2 shown]
	s_or_b32 s35, s35, s31
.LBB182_1248:
	s_wait_xcnt 0x0
	s_or_b32 exec_lo, exec_lo, s19
	s_delay_alu instid0(SALU_CYCLE_1)
	s_and_not1_b32 s1, s1, exec_lo
	s_and_b32 s19, s35, exec_lo
	s_and_b32 s33, s36, exec_lo
	s_and_b32 s31, s34, exec_lo
	s_and_b32 s29, s29, exec_lo
	s_or_b32 s1, s1, s19
.LBB182_1249:
	s_or_b32 exec_lo, exec_lo, s27
	s_delay_alu instid0(SALU_CYCLE_1)
	s_and_not1_b32 s19, s24, exec_lo
	s_and_b32 s24, s30, exec_lo
	s_and_not1_b32 s25, s25, exec_lo
	s_and_b32 s27, s28, exec_lo
	s_or_b32 s24, s19, s24
	s_and_not1_b32 s19, s23, exec_lo
	s_and_b32 s23, s1, exec_lo
	s_or_b32 s25, s25, s27
	s_and_b32 s28, s33, exec_lo
	s_and_b32 s27, s31, exec_lo
	;; [unrolled: 1-line block ×3, first 2 shown]
	s_or_b32 s23, s19, s23
.LBB182_1250:
	s_or_b32 exec_lo, exec_lo, s26
	s_delay_alu instid0(SALU_CYCLE_1)
	s_and_not1_b32 s18, s18, exec_lo
	s_and_b32 s19, s24, exec_lo
	s_and_not1_b32 s20, s20, exec_lo
	s_and_b32 s24, s25, exec_lo
	s_or_b32 s18, s18, s19
	s_and_not1_b32 s19, s21, exec_lo
	s_and_b32 s21, s23, exec_lo
	s_or_b32 s20, s20, s24
	s_and_b32 s24, s28, exec_lo
	s_and_b32 s25, s27, exec_lo
	;; [unrolled: 1-line block ×3, first 2 shown]
	s_or_b32 s21, s19, s21
	s_or_b32 exec_lo, exec_lo, s22
	s_mov_b32 s1, 0
	s_and_saveexec_b32 s19, s21
	s_cbranch_execz .LBB182_392
.LBB182_1251:
	s_mov_b32 s1, exec_lo
	s_and_not1_b32 s23, s23, exec_lo
	s_trap 2
	s_or_b32 exec_lo, exec_lo, s19
	s_and_saveexec_b32 s19, s23
	s_delay_alu instid0(SALU_CYCLE_1)
	s_xor_b32 s19, exec_lo, s19
	s_cbranch_execnz .LBB182_393
.LBB182_1252:
	s_or_b32 exec_lo, exec_lo, s19
	s_and_saveexec_b32 s19, s25
	s_cbranch_execz .LBB182_1298
.LBB182_1253:
	s_sext_i32_i16 s21, s2
	s_delay_alu instid0(SALU_CYCLE_1)
	s_cmp_lt_i32 s21, 5
	s_cbranch_scc1 .LBB182_1258
; %bb.1254:
	s_cmp_lt_i32 s21, 8
	s_cbranch_scc1 .LBB182_1259
; %bb.1255:
	;; [unrolled: 3-line block ×3, first 2 shown]
	s_cmp_gt_i32 s21, 9
	s_cbranch_scc0 .LBB182_1261
; %bb.1257:
	s_wait_loadcnt 0x0
	global_load_b64 v[2:3], v[0:1], off
	s_mov_b32 s21, 0
	s_wait_loadcnt 0x0
	v_and_or_b32 v2, 0x1ff, v3, v2
	v_lshrrev_b32_e32 v4, 8, v3
	v_bfe_u32 v5, v3, 20, 11
	v_lshrrev_b32_e32 v3, 16, v3
	s_delay_alu instid0(VALU_DEP_4) | instskip(NEXT) | instid1(VALU_DEP_3)
	v_cmp_ne_u32_e32 vcc_lo, 0, v2
	v_sub_nc_u32_e32 v7, 0x3f1, v5
	v_add_nc_u32_e32 v5, 0xfffffc10, v5
	v_cndmask_b32_e64 v2, 0, 1, vcc_lo
	s_delay_alu instid0(VALU_DEP_1) | instskip(NEXT) | instid1(VALU_DEP_4)
	v_and_or_b32 v2, 0xffe, v4, v2
	v_med3_i32 v4, v7, 0, 13
	s_delay_alu instid0(VALU_DEP_2) | instskip(NEXT) | instid1(VALU_DEP_1)
	v_or_b32_e32 v7, 0x1000, v2
	v_lshrrev_b32_e32 v8, v4, v7
	s_delay_alu instid0(VALU_DEP_1) | instskip(NEXT) | instid1(VALU_DEP_1)
	v_lshlrev_b32_e32 v4, v4, v8
	v_cmp_ne_u32_e32 vcc_lo, v4, v7
	v_lshl_or_b32 v7, v5, 12, v2
	v_cndmask_b32_e64 v4, 0, 1, vcc_lo
	v_cmp_gt_i32_e32 vcc_lo, 1, v5
	s_delay_alu instid0(VALU_DEP_2) | instskip(NEXT) | instid1(VALU_DEP_1)
	v_or_b32_e32 v4, v8, v4
	v_cndmask_b32_e32 v4, v7, v4, vcc_lo
	s_delay_alu instid0(VALU_DEP_1) | instskip(NEXT) | instid1(VALU_DEP_1)
	v_dual_lshrrev_b32 v4, 2, v4 :: v_dual_bitop2_b32 v7, 7, v4 bitop3:0x40
	v_cmp_lt_i32_e32 vcc_lo, 5, v7
	v_cndmask_b32_e64 v8, 0, 1, vcc_lo
	v_cmp_eq_u32_e32 vcc_lo, 3, v7
	v_cndmask_b32_e64 v7, 0, 1, vcc_lo
	v_cmp_ne_u32_e32 vcc_lo, 0, v2
	s_delay_alu instid0(VALU_DEP_2) | instskip(SKIP_1) | instid1(VALU_DEP_2)
	v_or_b32_e32 v7, v7, v8
	v_mov_b32_e32 v8, 0x7e00
	v_add_nc_u32_e32 v4, v4, v7
	s_delay_alu instid0(VALU_DEP_2) | instskip(SKIP_1) | instid1(VALU_DEP_3)
	v_cndmask_b32_e32 v2, 0x7c00, v8, vcc_lo
	v_cmp_gt_i32_e32 vcc_lo, 31, v5
	v_cndmask_b32_e32 v4, 0x7c00, v4, vcc_lo
	v_cmp_eq_u32_e32 vcc_lo, 0x40f, v5
	s_delay_alu instid0(VALU_DEP_2) | instskip(NEXT) | instid1(VALU_DEP_1)
	v_cndmask_b32_e32 v2, v4, v2, vcc_lo
	v_and_or_b32 v2, 0x8000, v3, v2
	s_branch .LBB182_1262
.LBB182_1258:
                                        ; implicit-def: $vgpr2
	s_branch .LBB182_1279
.LBB182_1259:
                                        ; implicit-def: $vgpr2
	s_branch .LBB182_1268
.LBB182_1260:
	s_mov_b32 s21, -1
                                        ; implicit-def: $vgpr2
	s_branch .LBB182_1265
.LBB182_1261:
	s_mov_b32 s21, -1
                                        ; implicit-def: $vgpr2
.LBB182_1262:
	s_delay_alu instid0(SALU_CYCLE_1)
	s_and_not1_b32 vcc_lo, exec_lo, s21
	s_cbranch_vccnz .LBB182_1264
; %bb.1263:
	s_wait_loadcnt 0x0
	global_load_b32 v2, v[0:1], off
	s_wait_loadcnt 0x0
	v_cvt_f16_f32_e32 v2, v2
.LBB182_1264:
	s_mov_b32 s21, 0
.LBB182_1265:
	s_delay_alu instid0(SALU_CYCLE_1)
	s_and_not1_b32 vcc_lo, exec_lo, s21
	s_cbranch_vccnz .LBB182_1267
; %bb.1266:
	s_wait_loadcnt 0x0
	global_load_b32 v2, v[0:1], off
.LBB182_1267:
	s_cbranch_execnz .LBB182_1278
.LBB182_1268:
	s_sext_i32_i16 s21, s2
	s_delay_alu instid0(SALU_CYCLE_1)
	s_cmp_lt_i32 s21, 6
	s_cbranch_scc1 .LBB182_1271
; %bb.1269:
	s_cmp_gt_i32 s21, 6
	s_cbranch_scc0 .LBB182_1272
; %bb.1270:
	s_wait_loadcnt 0x0
	global_load_b64 v[2:3], v[0:1], off
	s_mov_b32 s21, 0
	s_wait_loadcnt 0x0
	v_and_or_b32 v2, 0x1ff, v3, v2
	v_lshrrev_b32_e32 v4, 8, v3
	v_bfe_u32 v5, v3, 20, 11
	v_lshrrev_b32_e32 v3, 16, v3
	s_delay_alu instid0(VALU_DEP_4) | instskip(NEXT) | instid1(VALU_DEP_3)
	v_cmp_ne_u32_e32 vcc_lo, 0, v2
	v_sub_nc_u32_e32 v7, 0x3f1, v5
	v_add_nc_u32_e32 v5, 0xfffffc10, v5
	v_cndmask_b32_e64 v2, 0, 1, vcc_lo
	s_delay_alu instid0(VALU_DEP_1) | instskip(NEXT) | instid1(VALU_DEP_4)
	v_and_or_b32 v2, 0xffe, v4, v2
	v_med3_i32 v4, v7, 0, 13
	s_delay_alu instid0(VALU_DEP_2) | instskip(NEXT) | instid1(VALU_DEP_1)
	v_or_b32_e32 v7, 0x1000, v2
	v_lshrrev_b32_e32 v8, v4, v7
	s_delay_alu instid0(VALU_DEP_1) | instskip(NEXT) | instid1(VALU_DEP_1)
	v_lshlrev_b32_e32 v4, v4, v8
	v_cmp_ne_u32_e32 vcc_lo, v4, v7
	v_lshl_or_b32 v7, v5, 12, v2
	v_cndmask_b32_e64 v4, 0, 1, vcc_lo
	v_cmp_gt_i32_e32 vcc_lo, 1, v5
	s_delay_alu instid0(VALU_DEP_2) | instskip(NEXT) | instid1(VALU_DEP_1)
	v_or_b32_e32 v4, v8, v4
	v_cndmask_b32_e32 v4, v7, v4, vcc_lo
	s_delay_alu instid0(VALU_DEP_1) | instskip(NEXT) | instid1(VALU_DEP_1)
	v_dual_lshrrev_b32 v4, 2, v4 :: v_dual_bitop2_b32 v7, 7, v4 bitop3:0x40
	v_cmp_lt_i32_e32 vcc_lo, 5, v7
	v_cndmask_b32_e64 v8, 0, 1, vcc_lo
	v_cmp_eq_u32_e32 vcc_lo, 3, v7
	v_cndmask_b32_e64 v7, 0, 1, vcc_lo
	v_cmp_ne_u32_e32 vcc_lo, 0, v2
	s_delay_alu instid0(VALU_DEP_2) | instskip(SKIP_1) | instid1(VALU_DEP_2)
	v_or_b32_e32 v7, v7, v8
	v_mov_b32_e32 v8, 0x7e00
	v_add_nc_u32_e32 v4, v4, v7
	s_delay_alu instid0(VALU_DEP_2) | instskip(SKIP_1) | instid1(VALU_DEP_3)
	v_cndmask_b32_e32 v2, 0x7c00, v8, vcc_lo
	v_cmp_gt_i32_e32 vcc_lo, 31, v5
	v_cndmask_b32_e32 v4, 0x7c00, v4, vcc_lo
	v_cmp_eq_u32_e32 vcc_lo, 0x40f, v5
	s_delay_alu instid0(VALU_DEP_2) | instskip(NEXT) | instid1(VALU_DEP_1)
	v_cndmask_b32_e32 v2, v4, v2, vcc_lo
	v_and_or_b32 v2, 0x8000, v3, v2
	s_branch .LBB182_1273
.LBB182_1271:
	s_mov_b32 s21, -1
                                        ; implicit-def: $vgpr2
	s_branch .LBB182_1276
.LBB182_1272:
	s_mov_b32 s21, -1
                                        ; implicit-def: $vgpr2
.LBB182_1273:
	s_delay_alu instid0(SALU_CYCLE_1)
	s_and_not1_b32 vcc_lo, exec_lo, s21
	s_cbranch_vccnz .LBB182_1275
; %bb.1274:
	s_wait_loadcnt 0x0
	global_load_b32 v2, v[0:1], off
	s_wait_loadcnt 0x0
	v_cvt_f16_f32_e32 v2, v2
.LBB182_1275:
	s_mov_b32 s21, 0
.LBB182_1276:
	s_delay_alu instid0(SALU_CYCLE_1)
	s_and_not1_b32 vcc_lo, exec_lo, s21
	s_cbranch_vccnz .LBB182_1278
; %bb.1277:
	s_wait_loadcnt 0x0
	global_load_u16 v2, v[0:1], off
.LBB182_1278:
	s_cbranch_execnz .LBB182_1297
.LBB182_1279:
	s_sext_i32_i16 s21, s2
	s_delay_alu instid0(SALU_CYCLE_1)
	s_cmp_lt_i32 s21, 2
	s_cbranch_scc1 .LBB182_1283
; %bb.1280:
	s_cmp_lt_i32 s21, 3
	s_cbranch_scc1 .LBB182_1284
; %bb.1281:
	s_cmp_gt_i32 s21, 3
	s_cbranch_scc0 .LBB182_1285
; %bb.1282:
	s_wait_loadcnt 0x0
	global_load_b64 v[2:3], v[0:1], off
	s_mov_b32 s21, 0
	s_wait_loadcnt 0x0
	v_xor_b32_e32 v4, v2, v3
	v_cls_i32_e32 v5, v3
	s_delay_alu instid0(VALU_DEP_2) | instskip(NEXT) | instid1(VALU_DEP_1)
	v_ashrrev_i32_e32 v4, 31, v4
	v_add_nc_u32_e32 v4, 32, v4
	s_delay_alu instid0(VALU_DEP_1) | instskip(NEXT) | instid1(VALU_DEP_1)
	v_add_min_u32_e64 v4, v5, -1, v4
	v_lshlrev_b64_e32 v[2:3], v4, v[2:3]
	s_delay_alu instid0(VALU_DEP_1) | instskip(NEXT) | instid1(VALU_DEP_1)
	v_min_u32_e32 v2, 1, v2
	v_dual_sub_nc_u32 v3, 32, v4 :: v_dual_bitop2_b32 v2, v3, v2 bitop3:0x54
	s_delay_alu instid0(VALU_DEP_1) | instskip(NEXT) | instid1(VALU_DEP_1)
	v_cvt_f32_i32_e32 v2, v2
	v_ldexp_f32 v2, v2, v3
	s_delay_alu instid0(VALU_DEP_1)
	v_cvt_f16_f32_e32 v2, v2
	s_branch .LBB182_1286
.LBB182_1283:
                                        ; implicit-def: $vgpr2
	s_branch .LBB182_1292
.LBB182_1284:
	s_mov_b32 s21, -1
                                        ; implicit-def: $vgpr2
	s_branch .LBB182_1289
.LBB182_1285:
	s_mov_b32 s21, -1
                                        ; implicit-def: $vgpr2
.LBB182_1286:
	s_delay_alu instid0(SALU_CYCLE_1)
	s_and_not1_b32 vcc_lo, exec_lo, s21
	s_cbranch_vccnz .LBB182_1288
; %bb.1287:
	s_wait_loadcnt 0x0
	global_load_b32 v2, v[0:1], off
	s_wait_loadcnt 0x0
	v_cvt_f32_i32_e32 v2, v2
	s_delay_alu instid0(VALU_DEP_1)
	v_cvt_f16_f32_e32 v2, v2
.LBB182_1288:
	s_mov_b32 s21, 0
.LBB182_1289:
	s_delay_alu instid0(SALU_CYCLE_1)
	s_and_not1_b32 vcc_lo, exec_lo, s21
	s_cbranch_vccnz .LBB182_1291
; %bb.1290:
	s_wait_loadcnt 0x0
	global_load_u16 v2, v[0:1], off
	s_wait_loadcnt 0x0
	v_cvt_f16_i16_e32 v2, v2
.LBB182_1291:
	s_cbranch_execnz .LBB182_1297
.LBB182_1292:
	s_sext_i32_i16 s2, s2
	s_delay_alu instid0(SALU_CYCLE_1)
	s_cmp_gt_i32 s2, 0
	s_mov_b32 s2, 0
	s_cbranch_scc0 .LBB182_1294
; %bb.1293:
	s_wait_loadcnt 0x0
	global_load_i8 v2, v[0:1], off
	s_wait_loadcnt 0x0
	v_cvt_f16_i16_e32 v2, v2
	s_branch .LBB182_1295
.LBB182_1294:
	s_mov_b32 s2, -1
                                        ; implicit-def: $vgpr2
.LBB182_1295:
	s_delay_alu instid0(SALU_CYCLE_1)
	s_and_not1_b32 vcc_lo, exec_lo, s2
	s_cbranch_vccnz .LBB182_1297
; %bb.1296:
	global_load_u8 v0, v[0:1], off
	s_wait_loadcnt 0x0
	v_cvt_f16_u16_e32 v2, v0
.LBB182_1297:
	s_or_b32 s24, s24, exec_lo
.LBB182_1298:
	s_wait_xcnt 0x0
	s_or_b32 exec_lo, exec_lo, s19
	s_mov_b32 s22, 0
	s_mov_b32 s25, 0
	;; [unrolled: 1-line block ×3, first 2 shown]
                                        ; implicit-def: $sgpr2
                                        ; implicit-def: $vgpr0_vgpr1
                                        ; implicit-def: $vgpr3
	s_and_saveexec_b32 s19, s24
	s_cbranch_execz .LBB182_1306
; %bb.1299:
	v_mul_lo_u32 v0, v6, s10
	s_and_b32 s2, s14, 0xff
	s_delay_alu instid0(SALU_CYCLE_1) | instskip(NEXT) | instid1(VALU_DEP_1)
	s_cmp_lt_i32 s2, 11
	v_ashrrev_i32_e32 v1, 31, v0
	s_delay_alu instid0(VALU_DEP_1)
	v_add_nc_u64_e32 v[0:1], s[12:13], v[0:1]
	s_cbranch_scc1 .LBB182_1309
; %bb.1300:
	s_and_b32 s21, 0xffff, s2
	s_mov_b32 s23, 0
	s_cmp_gt_i32 s21, 25
	s_cbranch_scc0 .LBB182_1310
; %bb.1301:
	s_cmp_gt_i32 s21, 28
	s_cbranch_scc0 .LBB182_1311
; %bb.1302:
	;; [unrolled: 3-line block ×4, first 2 shown]
	s_cmp_eq_u32 s21, 46
	s_cbranch_scc0 .LBB182_1314
; %bb.1305:
	s_wait_loadcnt 0x0
	global_load_b32 v3, v[0:1], off
	s_mov_b32 s24, -1
	s_wait_loadcnt 0x0
	v_lshlrev_b32_e32 v3, 16, v3
	s_delay_alu instid0(VALU_DEP_1)
	v_cvt_f16_f32_e32 v3, v3
	s_branch .LBB182_1316
.LBB182_1306:
	s_or_b32 exec_lo, exec_lo, s19
	s_and_saveexec_b32 s19, s20
	s_cbranch_execnz .LBB182_1379
.LBB182_1307:
	s_or_b32 exec_lo, exec_lo, s19
	s_and_saveexec_b32 s19, s22
	s_delay_alu instid0(SALU_CYCLE_1)
	s_xor_b32 s19, exec_lo, s19
	s_cbranch_execz .LBB182_1380
.LBB182_1308:
	s_wait_loadcnt 0x0
	global_load_u8 v3, v[0:1], off
	s_or_b32 s21, s21, exec_lo
	s_wait_loadcnt 0x0
	v_cmp_ne_u16_e32 vcc_lo, 0, v3
	v_cndmask_b32_e64 v3, 0, 0x3c00, vcc_lo
	s_wait_xcnt 0x0
	s_or_b32 exec_lo, exec_lo, s19
	s_and_saveexec_b32 s19, s25
	s_cbranch_execz .LBB182_1426
	s_branch .LBB182_1381
.LBB182_1309:
	s_mov_b32 s25, -1
	s_mov_b32 s24, 0
	s_mov_b32 s23, 0
	;; [unrolled: 1-line block ×3, first 2 shown]
                                        ; implicit-def: $vgpr3
	s_branch .LBB182_1378
.LBB182_1310:
	s_mov_b32 s24, 0
	s_mov_b32 s22, s20
                                        ; implicit-def: $vgpr3
	s_cbranch_execnz .LBB182_1345
	s_branch .LBB182_1377
.LBB182_1311:
	s_mov_b32 s25, -1
	s_mov_b32 s24, 0
	s_mov_b32 s22, s20
                                        ; implicit-def: $vgpr3
	s_branch .LBB182_1326
.LBB182_1312:
	s_mov_b32 s25, -1
	s_mov_b32 s24, 0
	s_mov_b32 s22, s20
                                        ; implicit-def: $vgpr3
	s_branch .LBB182_1321
.LBB182_1313:
	s_mov_b32 s25, -1
	s_mov_b32 s24, 0
	s_mov_b32 s22, s20
	s_branch .LBB182_1315
.LBB182_1314:
	s_mov_b32 s22, -1
	s_mov_b32 s24, 0
.LBB182_1315:
                                        ; implicit-def: $vgpr3
.LBB182_1316:
	s_and_b32 vcc_lo, exec_lo, s25
	s_cbranch_vccz .LBB182_1320
; %bb.1317:
	s_cmp_eq_u32 s21, 44
	s_cbranch_scc0 .LBB182_1319
; %bb.1318:
	s_wait_loadcnt 0x0
	global_load_u8 v3, v[0:1], off
	s_mov_b32 s22, 0
	s_mov_b32 s24, -1
	s_wait_loadcnt 0x0
	v_lshlrev_b32_e32 v4, 23, v3
	v_cmp_ne_u32_e32 vcc_lo, 0xff, v3
	s_delay_alu instid0(VALU_DEP_2) | instskip(NEXT) | instid1(VALU_DEP_1)
	v_cvt_f16_f32_e32 v4, v4
	v_cndmask_b32_e32 v4, 0x7e00, v4, vcc_lo
	v_cmp_ne_u32_e32 vcc_lo, 0, v3
	s_delay_alu instid0(VALU_DEP_2)
	v_cndmask_b32_e32 v3, 0, v4, vcc_lo
	s_branch .LBB182_1320
.LBB182_1319:
	s_mov_b32 s22, -1
                                        ; implicit-def: $vgpr3
.LBB182_1320:
	s_mov_b32 s25, 0
.LBB182_1321:
	s_delay_alu instid0(SALU_CYCLE_1)
	s_and_b32 vcc_lo, exec_lo, s25
	s_cbranch_vccz .LBB182_1325
; %bb.1322:
	s_cmp_eq_u32 s21, 29
	s_cbranch_scc0 .LBB182_1324
; %bb.1323:
	global_load_b64 v[4:5], v[0:1], off
	s_mov_b32 s22, 0
	s_mov_b32 s24, -1
	s_mov_b32 s25, 0
	s_wait_loadcnt 0x0
	v_clz_i32_u32_e32 v3, v5
	s_delay_alu instid0(VALU_DEP_1) | instskip(NEXT) | instid1(VALU_DEP_1)
	v_min_u32_e32 v3, 32, v3
	v_lshlrev_b64_e32 v[4:5], v3, v[4:5]
	v_sub_nc_u32_e32 v3, 32, v3
	s_delay_alu instid0(VALU_DEP_2) | instskip(NEXT) | instid1(VALU_DEP_1)
	v_min_u32_e32 v4, 1, v4
	v_or_b32_e32 v4, v5, v4
	s_delay_alu instid0(VALU_DEP_1) | instskip(NEXT) | instid1(VALU_DEP_1)
	v_cvt_f32_u32_e32 v4, v4
	v_ldexp_f32 v3, v4, v3
	s_delay_alu instid0(VALU_DEP_1)
	v_cvt_f16_f32_e32 v3, v3
	s_branch .LBB182_1326
.LBB182_1324:
	s_mov_b32 s22, -1
                                        ; implicit-def: $vgpr3
.LBB182_1325:
	s_mov_b32 s25, 0
.LBB182_1326:
	s_delay_alu instid0(SALU_CYCLE_1)
	s_and_b32 vcc_lo, exec_lo, s25
	s_cbranch_vccz .LBB182_1344
; %bb.1327:
	s_cmp_lt_i32 s21, 27
	s_cbranch_scc1 .LBB182_1330
; %bb.1328:
	s_cmp_gt_i32 s21, 27
	s_cbranch_scc0 .LBB182_1331
; %bb.1329:
	s_wait_loadcnt 0x0
	global_load_b32 v3, v[0:1], off
	s_mov_b32 s24, 0
	s_wait_loadcnt 0x0
	v_cvt_f32_u32_e32 v3, v3
	s_delay_alu instid0(VALU_DEP_1)
	v_cvt_f16_f32_e32 v3, v3
	s_branch .LBB182_1332
.LBB182_1330:
	s_mov_b32 s24, -1
                                        ; implicit-def: $vgpr3
	s_branch .LBB182_1335
.LBB182_1331:
	s_mov_b32 s24, -1
                                        ; implicit-def: $vgpr3
.LBB182_1332:
	s_delay_alu instid0(SALU_CYCLE_1)
	s_and_not1_b32 vcc_lo, exec_lo, s24
	s_cbranch_vccnz .LBB182_1334
; %bb.1333:
	s_wait_loadcnt 0x0
	global_load_u16 v3, v[0:1], off
	s_wait_loadcnt 0x0
	v_cvt_f16_u16_e32 v3, v3
.LBB182_1334:
	s_mov_b32 s24, 0
.LBB182_1335:
	s_delay_alu instid0(SALU_CYCLE_1)
	s_and_not1_b32 vcc_lo, exec_lo, s24
	s_cbranch_vccnz .LBB182_1343
; %bb.1336:
	global_load_u8 v4, v[0:1], off
	s_mov_b32 s24, 0
	s_mov_b32 s25, exec_lo
	s_wait_loadcnt 0x0
	v_cmpx_lt_i16_e32 0x7f, v4
	s_xor_b32 s25, exec_lo, s25
	s_cbranch_execz .LBB182_1356
; %bb.1337:
	s_mov_b32 s24, -1
	s_mov_b32 s26, exec_lo
	v_cmpx_eq_u16_e32 0x80, v4
; %bb.1338:
	s_xor_b32 s24, exec_lo, -1
; %bb.1339:
	s_or_b32 exec_lo, exec_lo, s26
	s_delay_alu instid0(SALU_CYCLE_1)
	s_and_b32 s24, s24, exec_lo
	s_or_saveexec_b32 s25, s25
	v_mov_b32_e32 v3, 0x7e00
	s_xor_b32 exec_lo, exec_lo, s25
	s_cbranch_execnz .LBB182_1357
.LBB182_1340:
	s_or_b32 exec_lo, exec_lo, s25
	s_and_saveexec_b32 s25, s24
	s_cbranch_execz .LBB182_1342
.LBB182_1341:
	v_and_b32_e32 v3, 0xffff, v4
	s_delay_alu instid0(VALU_DEP_1) | instskip(SKIP_1) | instid1(VALU_DEP_2)
	v_dual_lshlrev_b32 v4, 24, v4 :: v_dual_bitop2_b32 v5, 7, v3 bitop3:0x40
	v_bfe_u32 v9, v3, 3, 4
	v_and_b32_e32 v4, 0x80000000, v4
	s_delay_alu instid0(VALU_DEP_3) | instskip(NEXT) | instid1(VALU_DEP_3)
	v_clz_i32_u32_e32 v7, v5
	v_cmp_eq_u32_e32 vcc_lo, 0, v9
	s_delay_alu instid0(VALU_DEP_2) | instskip(NEXT) | instid1(VALU_DEP_1)
	v_min_u32_e32 v7, 32, v7
	v_subrev_nc_u32_e32 v8, 28, v7
	v_sub_nc_u32_e32 v7, 29, v7
	s_delay_alu instid0(VALU_DEP_2) | instskip(NEXT) | instid1(VALU_DEP_2)
	v_lshlrev_b32_e32 v3, v8, v3
	v_cndmask_b32_e32 v7, v9, v7, vcc_lo
	s_delay_alu instid0(VALU_DEP_2) | instskip(NEXT) | instid1(VALU_DEP_1)
	v_and_b32_e32 v3, 7, v3
	v_cndmask_b32_e32 v3, v5, v3, vcc_lo
	s_delay_alu instid0(VALU_DEP_3) | instskip(NEXT) | instid1(VALU_DEP_2)
	v_lshl_add_u32 v5, v7, 23, 0x3b800000
	v_lshlrev_b32_e32 v3, 20, v3
	s_delay_alu instid0(VALU_DEP_1) | instskip(NEXT) | instid1(VALU_DEP_1)
	v_or3_b32 v3, v4, v5, v3
	v_cvt_f16_f32_e32 v3, v3
.LBB182_1342:
	s_or_b32 exec_lo, exec_lo, s25
.LBB182_1343:
	s_mov_b32 s24, -1
.LBB182_1344:
	s_branch .LBB182_1377
.LBB182_1345:
	s_cmp_gt_i32 s21, 22
	s_cbranch_scc0 .LBB182_1355
; %bb.1346:
	s_cmp_lt_i32 s21, 24
	s_cbranch_scc1 .LBB182_1358
; %bb.1347:
	s_cmp_gt_i32 s21, 24
	s_cbranch_scc0 .LBB182_1359
; %bb.1348:
	global_load_u8 v4, v[0:1], off
	s_mov_b32 s24, exec_lo
	s_wait_loadcnt 0x0
	v_cmpx_lt_i16_e32 0x7f, v4
	s_xor_b32 s24, exec_lo, s24
	s_cbranch_execz .LBB182_1371
; %bb.1349:
	s_mov_b32 s23, -1
	s_mov_b32 s25, exec_lo
	v_cmpx_eq_u16_e32 0x80, v4
; %bb.1350:
	s_xor_b32 s23, exec_lo, -1
; %bb.1351:
	s_or_b32 exec_lo, exec_lo, s25
	s_delay_alu instid0(SALU_CYCLE_1)
	s_and_b32 s23, s23, exec_lo
	s_or_saveexec_b32 s24, s24
	v_mov_b32_e32 v3, 0x7e00
	s_xor_b32 exec_lo, exec_lo, s24
	s_cbranch_execnz .LBB182_1372
.LBB182_1352:
	s_or_b32 exec_lo, exec_lo, s24
	s_and_saveexec_b32 s24, s23
	s_cbranch_execz .LBB182_1354
.LBB182_1353:
	v_and_b32_e32 v3, 0xffff, v4
	s_delay_alu instid0(VALU_DEP_1) | instskip(SKIP_1) | instid1(VALU_DEP_2)
	v_dual_lshlrev_b32 v4, 24, v4 :: v_dual_bitop2_b32 v5, 3, v3 bitop3:0x40
	v_bfe_u32 v9, v3, 2, 5
	v_and_b32_e32 v4, 0x80000000, v4
	s_delay_alu instid0(VALU_DEP_3) | instskip(NEXT) | instid1(VALU_DEP_3)
	v_clz_i32_u32_e32 v7, v5
	v_cmp_eq_u32_e32 vcc_lo, 0, v9
	s_delay_alu instid0(VALU_DEP_2) | instskip(NEXT) | instid1(VALU_DEP_1)
	v_min_u32_e32 v7, 32, v7
	v_subrev_nc_u32_e32 v8, 29, v7
	v_sub_nc_u32_e32 v7, 30, v7
	s_delay_alu instid0(VALU_DEP_2) | instskip(NEXT) | instid1(VALU_DEP_2)
	v_lshlrev_b32_e32 v3, v8, v3
	v_cndmask_b32_e32 v7, v9, v7, vcc_lo
	s_delay_alu instid0(VALU_DEP_2) | instskip(NEXT) | instid1(VALU_DEP_1)
	v_and_b32_e32 v3, 3, v3
	v_cndmask_b32_e32 v3, v5, v3, vcc_lo
	s_delay_alu instid0(VALU_DEP_3) | instskip(NEXT) | instid1(VALU_DEP_2)
	v_lshl_add_u32 v5, v7, 23, 0x37800000
	v_lshlrev_b32_e32 v3, 21, v3
	s_delay_alu instid0(VALU_DEP_1) | instskip(NEXT) | instid1(VALU_DEP_1)
	v_or3_b32 v3, v4, v5, v3
	v_cvt_f16_f32_e32 v3, v3
.LBB182_1354:
	s_or_b32 exec_lo, exec_lo, s24
	s_mov_b32 s23, 0
	s_branch .LBB182_1360
.LBB182_1355:
	s_mov_b32 s23, -1
                                        ; implicit-def: $vgpr3
	s_branch .LBB182_1366
.LBB182_1356:
	s_or_saveexec_b32 s25, s25
	v_mov_b32_e32 v3, 0x7e00
	s_xor_b32 exec_lo, exec_lo, s25
	s_cbranch_execz .LBB182_1340
.LBB182_1357:
	v_cmp_ne_u16_e32 vcc_lo, 0, v4
	v_mov_b32_e32 v3, v4
	s_and_not1_b32 s24, s24, exec_lo
	s_and_b32 s26, vcc_lo, exec_lo
	s_delay_alu instid0(SALU_CYCLE_1)
	s_or_b32 s24, s24, s26
	s_or_b32 exec_lo, exec_lo, s25
	s_and_saveexec_b32 s25, s24
	s_cbranch_execnz .LBB182_1341
	s_branch .LBB182_1342
.LBB182_1358:
	s_mov_b32 s23, -1
                                        ; implicit-def: $vgpr3
	s_branch .LBB182_1363
.LBB182_1359:
	s_mov_b32 s23, -1
                                        ; implicit-def: $vgpr3
.LBB182_1360:
	s_delay_alu instid0(SALU_CYCLE_1)
	s_and_b32 vcc_lo, exec_lo, s23
	s_cbranch_vccz .LBB182_1362
; %bb.1361:
	s_wait_loadcnt 0x0
	global_load_u8 v3, v[0:1], off
	s_wait_loadcnt 0x0
	v_lshlrev_b32_e32 v3, 24, v3
	s_delay_alu instid0(VALU_DEP_1) | instskip(NEXT) | instid1(VALU_DEP_1)
	v_and_b32_e32 v4, 0x7f000000, v3
	v_clz_i32_u32_e32 v5, v4
	v_add_nc_u32_e32 v8, 0x1000000, v4
	v_cmp_ne_u32_e32 vcc_lo, 0, v4
	s_delay_alu instid0(VALU_DEP_3) | instskip(NEXT) | instid1(VALU_DEP_1)
	v_min_u32_e32 v5, 32, v5
	v_sub_nc_u32_e64 v5, v5, 4 clamp
	s_delay_alu instid0(VALU_DEP_1) | instskip(NEXT) | instid1(VALU_DEP_1)
	v_dual_lshlrev_b32 v7, v5, v4 :: v_dual_lshlrev_b32 v5, 23, v5
	v_lshrrev_b32_e32 v7, 4, v7
	s_delay_alu instid0(VALU_DEP_1) | instskip(NEXT) | instid1(VALU_DEP_1)
	v_dual_sub_nc_u32 v5, v7, v5 :: v_dual_ashrrev_i32 v7, 8, v8
	v_add_nc_u32_e32 v5, 0x3c000000, v5
	s_delay_alu instid0(VALU_DEP_1) | instskip(NEXT) | instid1(VALU_DEP_1)
	v_and_or_b32 v5, 0x7f800000, v7, v5
	v_cndmask_b32_e32 v4, 0, v5, vcc_lo
	s_delay_alu instid0(VALU_DEP_1) | instskip(NEXT) | instid1(VALU_DEP_1)
	v_and_or_b32 v3, 0x80000000, v3, v4
	v_cvt_f16_f32_e32 v3, v3
.LBB182_1362:
	s_mov_b32 s23, 0
.LBB182_1363:
	s_delay_alu instid0(SALU_CYCLE_1)
	s_and_not1_b32 vcc_lo, exec_lo, s23
	s_cbranch_vccnz .LBB182_1365
; %bb.1364:
	s_wait_loadcnt 0x0
	global_load_u8 v3, v[0:1], off
	s_wait_loadcnt 0x0
	v_lshlrev_b32_e32 v4, 25, v3
	v_lshlrev_b16 v3, 8, v3
	s_delay_alu instid0(VALU_DEP_1) | instskip(NEXT) | instid1(VALU_DEP_3)
	v_and_or_b32 v7, 0x7f00, v3, 0.5
	v_lshrrev_b32_e32 v5, 4, v4
	v_bfe_i32 v3, v3, 0, 16
	s_delay_alu instid0(VALU_DEP_3) | instskip(NEXT) | instid1(VALU_DEP_3)
	v_add_f32_e32 v7, -0.5, v7
	v_or_b32_e32 v5, 0x70000000, v5
	s_delay_alu instid0(VALU_DEP_1) | instskip(SKIP_1) | instid1(VALU_DEP_2)
	v_mul_f32_e32 v5, 0x7800000, v5
	v_cmp_gt_u32_e32 vcc_lo, 0x8000000, v4
	v_cndmask_b32_e32 v4, v5, v7, vcc_lo
	s_delay_alu instid0(VALU_DEP_1) | instskip(NEXT) | instid1(VALU_DEP_1)
	v_and_or_b32 v3, 0x80000000, v3, v4
	v_cvt_f16_f32_e32 v3, v3
.LBB182_1365:
	s_mov_b32 s23, 0
	s_mov_b32 s24, -1
.LBB182_1366:
	s_and_not1_b32 vcc_lo, exec_lo, s23
	s_mov_b32 s23, 0
	s_cbranch_vccnz .LBB182_1377
; %bb.1367:
	s_cmp_gt_i32 s21, 14
	s_cbranch_scc0 .LBB182_1370
; %bb.1368:
	s_cmp_eq_u32 s21, 15
	s_cbranch_scc0 .LBB182_1373
; %bb.1369:
	s_wait_loadcnt 0x0
	global_load_u16 v3, v[0:1], off
	s_mov_b32 s22, 0
	s_mov_b32 s24, -1
	s_wait_loadcnt 0x0
	v_lshlrev_b32_e32 v3, 16, v3
	s_delay_alu instid0(VALU_DEP_1)
	v_cvt_f16_f32_e32 v3, v3
	s_branch .LBB182_1375
.LBB182_1370:
	s_mov_b32 s23, -1
	s_branch .LBB182_1374
.LBB182_1371:
	s_or_saveexec_b32 s24, s24
	v_mov_b32_e32 v3, 0x7e00
	s_xor_b32 exec_lo, exec_lo, s24
	s_cbranch_execz .LBB182_1352
.LBB182_1372:
	v_cmp_ne_u16_e32 vcc_lo, 0, v4
	v_mov_b32_e32 v3, v4
	s_and_not1_b32 s23, s23, exec_lo
	s_and_b32 s25, vcc_lo, exec_lo
	s_delay_alu instid0(SALU_CYCLE_1)
	s_or_b32 s23, s23, s25
	s_or_b32 exec_lo, exec_lo, s24
	s_and_saveexec_b32 s24, s23
	s_cbranch_execnz .LBB182_1353
	s_branch .LBB182_1354
.LBB182_1373:
	s_mov_b32 s22, -1
.LBB182_1374:
                                        ; implicit-def: $vgpr3
.LBB182_1375:
	s_and_b32 vcc_lo, exec_lo, s23
	s_mov_b32 s23, 0
	s_cbranch_vccz .LBB182_1377
; %bb.1376:
	s_cmp_lg_u32 s21, 11
	s_mov_b32 s23, -1
	s_cselect_b32 s21, -1, 0
	s_and_not1_b32 s22, s22, exec_lo
	s_and_b32 s21, s21, exec_lo
	s_delay_alu instid0(SALU_CYCLE_1)
	s_or_b32 s22, s22, s21
.LBB182_1377:
	s_mov_b32 s25, 0
.LBB182_1378:
	s_and_b32 s21, s24, exec_lo
	s_and_not1_b32 s20, s20, exec_lo
	s_and_b32 s24, s22, exec_lo
	s_and_b32 s25, s25, exec_lo
	;; [unrolled: 1-line block ×3, first 2 shown]
	s_or_b32 s20, s20, s24
	s_wait_xcnt 0x0
	s_or_b32 exec_lo, exec_lo, s19
	s_and_saveexec_b32 s19, s20
	s_cbranch_execz .LBB182_1307
.LBB182_1379:
	s_or_b32 s1, s1, exec_lo
	s_and_not1_b32 s22, s22, exec_lo
	s_trap 2
	s_or_b32 exec_lo, exec_lo, s19
	s_and_saveexec_b32 s19, s22
	s_delay_alu instid0(SALU_CYCLE_1)
	s_xor_b32 s19, exec_lo, s19
	s_cbranch_execnz .LBB182_1308
.LBB182_1380:
	s_or_b32 exec_lo, exec_lo, s19
	s_and_saveexec_b32 s19, s25
	s_cbranch_execz .LBB182_1426
.LBB182_1381:
	s_sext_i32_i16 s20, s2
	s_delay_alu instid0(SALU_CYCLE_1)
	s_cmp_lt_i32 s20, 5
	s_cbranch_scc1 .LBB182_1386
; %bb.1382:
	s_cmp_lt_i32 s20, 8
	s_cbranch_scc1 .LBB182_1387
; %bb.1383:
	;; [unrolled: 3-line block ×3, first 2 shown]
	s_cmp_gt_i32 s20, 9
	s_cbranch_scc0 .LBB182_1389
; %bb.1385:
	global_load_b64 v[4:5], v[0:1], off
	s_mov_b32 s20, 0
	s_wait_loadcnt 0x0
	v_and_or_b32 v3, 0x1ff, v5, v4
	v_lshrrev_b32_e32 v4, 8, v5
	v_bfe_u32 v7, v5, 20, 11
	s_delay_alu instid0(VALU_DEP_3) | instskip(NEXT) | instid1(VALU_DEP_2)
	v_cmp_ne_u32_e32 vcc_lo, 0, v3
	v_sub_nc_u32_e32 v8, 0x3f1, v7
	v_cndmask_b32_e64 v3, 0, 1, vcc_lo
	s_delay_alu instid0(VALU_DEP_1) | instskip(NEXT) | instid1(VALU_DEP_3)
	v_and_or_b32 v3, 0xffe, v4, v3
	v_med3_i32 v4, v8, 0, 13
	s_delay_alu instid0(VALU_DEP_2) | instskip(NEXT) | instid1(VALU_DEP_1)
	v_or_b32_e32 v8, 0x1000, v3
	v_lshrrev_b32_e32 v9, v4, v8
	s_delay_alu instid0(VALU_DEP_1) | instskip(NEXT) | instid1(VALU_DEP_1)
	v_lshlrev_b32_e32 v4, v4, v9
	v_cmp_ne_u32_e32 vcc_lo, v4, v8
	v_cndmask_b32_e64 v4, 0, 1, vcc_lo
	s_delay_alu instid0(VALU_DEP_1) | instskip(SKIP_1) | instid1(VALU_DEP_1)
	v_or_b32_e32 v4, v9, v4
	v_add_nc_u32_e32 v7, 0xfffffc10, v7
	v_lshl_or_b32 v8, v7, 12, v3
	v_cmp_gt_i32_e32 vcc_lo, 1, v7
	s_delay_alu instid0(VALU_DEP_2) | instskip(NEXT) | instid1(VALU_DEP_1)
	v_cndmask_b32_e32 v4, v8, v4, vcc_lo
	v_dual_lshrrev_b32 v4, 2, v4 :: v_dual_bitop2_b32 v8, 7, v4 bitop3:0x40
	s_delay_alu instid0(VALU_DEP_1) | instskip(SKIP_4) | instid1(VALU_DEP_2)
	v_cmp_lt_i32_e32 vcc_lo, 5, v8
	v_cndmask_b32_e64 v9, 0, 1, vcc_lo
	v_cmp_eq_u32_e32 vcc_lo, 3, v8
	v_cndmask_b32_e64 v8, 0, 1, vcc_lo
	v_cmp_ne_u32_e32 vcc_lo, 0, v3
	v_or_b32_e32 v8, v8, v9
	s_delay_alu instid0(VALU_DEP_1) | instskip(NEXT) | instid1(VALU_DEP_1)
	v_dual_mov_b32 v9, 0x7e00 :: v_dual_add_nc_u32 v4, v4, v8
	v_cndmask_b32_e32 v3, 0x7c00, v9, vcc_lo
	v_cmp_gt_i32_e32 vcc_lo, 31, v7
	s_delay_alu instid0(VALU_DEP_3) | instskip(SKIP_1) | instid1(VALU_DEP_2)
	v_cndmask_b32_e32 v4, 0x7c00, v4, vcc_lo
	v_cmp_eq_u32_e32 vcc_lo, 0x40f, v7
	v_dual_cndmask_b32 v3, v4, v3 :: v_dual_lshrrev_b32 v4, 16, v5
	s_delay_alu instid0(VALU_DEP_1)
	v_and_or_b32 v3, 0x8000, v4, v3
	s_branch .LBB182_1390
.LBB182_1386:
                                        ; implicit-def: $vgpr3
	s_branch .LBB182_1407
.LBB182_1387:
                                        ; implicit-def: $vgpr3
	s_branch .LBB182_1396
.LBB182_1388:
	s_mov_b32 s20, -1
                                        ; implicit-def: $vgpr3
	s_branch .LBB182_1393
.LBB182_1389:
	s_mov_b32 s20, -1
                                        ; implicit-def: $vgpr3
.LBB182_1390:
	s_delay_alu instid0(SALU_CYCLE_1)
	s_and_not1_b32 vcc_lo, exec_lo, s20
	s_cbranch_vccnz .LBB182_1392
; %bb.1391:
	s_wait_loadcnt 0x0
	global_load_b32 v3, v[0:1], off
	s_wait_loadcnt 0x0
	v_cvt_f16_f32_e32 v3, v3
.LBB182_1392:
	s_mov_b32 s20, 0
.LBB182_1393:
	s_delay_alu instid0(SALU_CYCLE_1)
	s_and_not1_b32 vcc_lo, exec_lo, s20
	s_cbranch_vccnz .LBB182_1395
; %bb.1394:
	s_wait_loadcnt 0x0
	global_load_b32 v3, v[0:1], off
.LBB182_1395:
	s_cbranch_execnz .LBB182_1406
.LBB182_1396:
	s_sext_i32_i16 s20, s2
	s_delay_alu instid0(SALU_CYCLE_1)
	s_cmp_lt_i32 s20, 6
	s_cbranch_scc1 .LBB182_1399
; %bb.1397:
	s_cmp_gt_i32 s20, 6
	s_cbranch_scc0 .LBB182_1400
; %bb.1398:
	global_load_b64 v[4:5], v[0:1], off
	s_mov_b32 s20, 0
	s_wait_loadcnt 0x0
	v_and_or_b32 v3, 0x1ff, v5, v4
	v_lshrrev_b32_e32 v4, 8, v5
	v_bfe_u32 v7, v5, 20, 11
	s_delay_alu instid0(VALU_DEP_3) | instskip(NEXT) | instid1(VALU_DEP_2)
	v_cmp_ne_u32_e32 vcc_lo, 0, v3
	v_sub_nc_u32_e32 v8, 0x3f1, v7
	v_cndmask_b32_e64 v3, 0, 1, vcc_lo
	s_delay_alu instid0(VALU_DEP_1) | instskip(NEXT) | instid1(VALU_DEP_3)
	v_and_or_b32 v3, 0xffe, v4, v3
	v_med3_i32 v4, v8, 0, 13
	s_delay_alu instid0(VALU_DEP_2) | instskip(NEXT) | instid1(VALU_DEP_1)
	v_or_b32_e32 v8, 0x1000, v3
	v_lshrrev_b32_e32 v9, v4, v8
	s_delay_alu instid0(VALU_DEP_1) | instskip(NEXT) | instid1(VALU_DEP_1)
	v_lshlrev_b32_e32 v4, v4, v9
	v_cmp_ne_u32_e32 vcc_lo, v4, v8
	v_cndmask_b32_e64 v4, 0, 1, vcc_lo
	s_delay_alu instid0(VALU_DEP_1) | instskip(SKIP_1) | instid1(VALU_DEP_1)
	v_or_b32_e32 v4, v9, v4
	v_add_nc_u32_e32 v7, 0xfffffc10, v7
	v_lshl_or_b32 v8, v7, 12, v3
	v_cmp_gt_i32_e32 vcc_lo, 1, v7
	s_delay_alu instid0(VALU_DEP_2) | instskip(NEXT) | instid1(VALU_DEP_1)
	v_cndmask_b32_e32 v4, v8, v4, vcc_lo
	v_dual_lshrrev_b32 v4, 2, v4 :: v_dual_bitop2_b32 v8, 7, v4 bitop3:0x40
	s_delay_alu instid0(VALU_DEP_1) | instskip(SKIP_4) | instid1(VALU_DEP_2)
	v_cmp_lt_i32_e32 vcc_lo, 5, v8
	v_cndmask_b32_e64 v9, 0, 1, vcc_lo
	v_cmp_eq_u32_e32 vcc_lo, 3, v8
	v_cndmask_b32_e64 v8, 0, 1, vcc_lo
	v_cmp_ne_u32_e32 vcc_lo, 0, v3
	v_or_b32_e32 v8, v8, v9
	s_delay_alu instid0(VALU_DEP_1) | instskip(NEXT) | instid1(VALU_DEP_1)
	v_dual_mov_b32 v9, 0x7e00 :: v_dual_add_nc_u32 v4, v4, v8
	v_cndmask_b32_e32 v3, 0x7c00, v9, vcc_lo
	v_cmp_gt_i32_e32 vcc_lo, 31, v7
	s_delay_alu instid0(VALU_DEP_3) | instskip(SKIP_1) | instid1(VALU_DEP_2)
	v_cndmask_b32_e32 v4, 0x7c00, v4, vcc_lo
	v_cmp_eq_u32_e32 vcc_lo, 0x40f, v7
	v_dual_cndmask_b32 v3, v4, v3 :: v_dual_lshrrev_b32 v4, 16, v5
	s_delay_alu instid0(VALU_DEP_1)
	v_and_or_b32 v3, 0x8000, v4, v3
	s_branch .LBB182_1401
.LBB182_1399:
	s_mov_b32 s20, -1
                                        ; implicit-def: $vgpr3
	s_branch .LBB182_1404
.LBB182_1400:
	s_mov_b32 s20, -1
                                        ; implicit-def: $vgpr3
.LBB182_1401:
	s_delay_alu instid0(SALU_CYCLE_1)
	s_and_not1_b32 vcc_lo, exec_lo, s20
	s_cbranch_vccnz .LBB182_1403
; %bb.1402:
	s_wait_loadcnt 0x0
	global_load_b32 v3, v[0:1], off
	s_wait_loadcnt 0x0
	v_cvt_f16_f32_e32 v3, v3
.LBB182_1403:
	s_mov_b32 s20, 0
.LBB182_1404:
	s_delay_alu instid0(SALU_CYCLE_1)
	s_and_not1_b32 vcc_lo, exec_lo, s20
	s_cbranch_vccnz .LBB182_1406
; %bb.1405:
	s_wait_loadcnt 0x0
	global_load_u16 v3, v[0:1], off
.LBB182_1406:
	s_cbranch_execnz .LBB182_1425
.LBB182_1407:
	s_sext_i32_i16 s20, s2
	s_delay_alu instid0(SALU_CYCLE_1)
	s_cmp_lt_i32 s20, 2
	s_cbranch_scc1 .LBB182_1411
; %bb.1408:
	s_cmp_lt_i32 s20, 3
	s_cbranch_scc1 .LBB182_1412
; %bb.1409:
	s_cmp_gt_i32 s20, 3
	s_cbranch_scc0 .LBB182_1413
; %bb.1410:
	global_load_b64 v[4:5], v[0:1], off
	s_mov_b32 s20, 0
	s_wait_loadcnt 0x0
	v_xor_b32_e32 v3, v4, v5
	v_cls_i32_e32 v7, v5
	s_delay_alu instid0(VALU_DEP_2) | instskip(NEXT) | instid1(VALU_DEP_1)
	v_ashrrev_i32_e32 v3, 31, v3
	v_add_nc_u32_e32 v3, 32, v3
	s_delay_alu instid0(VALU_DEP_1) | instskip(NEXT) | instid1(VALU_DEP_1)
	v_add_min_u32_e64 v3, v7, -1, v3
	v_lshlrev_b64_e32 v[4:5], v3, v[4:5]
	v_sub_nc_u32_e32 v3, 32, v3
	s_delay_alu instid0(VALU_DEP_2) | instskip(NEXT) | instid1(VALU_DEP_1)
	v_min_u32_e32 v4, 1, v4
	v_or_b32_e32 v4, v5, v4
	s_delay_alu instid0(VALU_DEP_1) | instskip(NEXT) | instid1(VALU_DEP_1)
	v_cvt_f32_i32_e32 v4, v4
	v_ldexp_f32 v3, v4, v3
	s_delay_alu instid0(VALU_DEP_1)
	v_cvt_f16_f32_e32 v3, v3
	s_branch .LBB182_1414
.LBB182_1411:
                                        ; implicit-def: $vgpr3
	s_branch .LBB182_1420
.LBB182_1412:
	s_mov_b32 s20, -1
                                        ; implicit-def: $vgpr3
	s_branch .LBB182_1417
.LBB182_1413:
	s_mov_b32 s20, -1
                                        ; implicit-def: $vgpr3
.LBB182_1414:
	s_delay_alu instid0(SALU_CYCLE_1)
	s_and_not1_b32 vcc_lo, exec_lo, s20
	s_cbranch_vccnz .LBB182_1416
; %bb.1415:
	s_wait_loadcnt 0x0
	global_load_b32 v3, v[0:1], off
	s_wait_loadcnt 0x0
	v_cvt_f32_i32_e32 v3, v3
	s_delay_alu instid0(VALU_DEP_1)
	v_cvt_f16_f32_e32 v3, v3
.LBB182_1416:
	s_mov_b32 s20, 0
.LBB182_1417:
	s_delay_alu instid0(SALU_CYCLE_1)
	s_and_not1_b32 vcc_lo, exec_lo, s20
	s_cbranch_vccnz .LBB182_1419
; %bb.1418:
	s_wait_loadcnt 0x0
	global_load_u16 v3, v[0:1], off
	s_wait_loadcnt 0x0
	v_cvt_f16_i16_e32 v3, v3
.LBB182_1419:
	s_cbranch_execnz .LBB182_1425
.LBB182_1420:
	s_sext_i32_i16 s2, s2
	s_delay_alu instid0(SALU_CYCLE_1)
	s_cmp_gt_i32 s2, 0
	s_mov_b32 s2, 0
	s_cbranch_scc0 .LBB182_1422
; %bb.1421:
	s_wait_loadcnt 0x0
	global_load_i8 v3, v[0:1], off
	s_wait_loadcnt 0x0
	v_cvt_f16_i16_e32 v3, v3
	s_branch .LBB182_1423
.LBB182_1422:
	s_mov_b32 s2, -1
                                        ; implicit-def: $vgpr3
.LBB182_1423:
	s_delay_alu instid0(SALU_CYCLE_1)
	s_and_not1_b32 vcc_lo, exec_lo, s2
	s_cbranch_vccnz .LBB182_1425
; %bb.1424:
	global_load_u8 v0, v[0:1], off
	s_wait_loadcnt 0x0
	v_cvt_f16_u16_e32 v3, v0
.LBB182_1425:
	s_or_b32 s21, s21, exec_lo
.LBB182_1426:
	s_wait_xcnt 0x0
	s_or_b32 exec_lo, exec_lo, s19
	s_mov_b32 s23, 0
	s_mov_b32 s22, 0
                                        ; implicit-def: $sgpr2
                                        ; implicit-def: $sgpr19
                                        ; implicit-def: $vgpr0_vgpr1
	s_and_saveexec_b32 s20, s21
	s_cbranch_execz .LBB182_1434
; %bb.1427:
	s_wait_loadcnt 0x0
	v_cmp_eq_f16_e32 vcc_lo, v2, v3
	v_mul_lo_u32 v0, v6, s8
	s_and_b32 s19, s3, 0xff
	s_delay_alu instid0(SALU_CYCLE_1) | instskip(SKIP_3) | instid1(VALU_DEP_1)
	s_cmp_lt_i32 s19, 11
	v_cndmask_b32_e64 v1, 0, 1, vcc_lo
	v_cmp_neq_f16_e32 vcc_lo, v2, v3
	v_cndmask_b32_e64 v2, 0, 1, vcc_lo
	v_dual_cndmask_b32 v2, v2, v1, s0 :: v_dual_ashrrev_i32 v1, 31, v0
	s_delay_alu instid0(VALU_DEP_1) | instskip(NEXT) | instid1(VALU_DEP_2)
	v_and_b32_e32 v2, 1, v2
	v_add_nc_u64_e32 v[0:1], s[4:5], v[0:1]
	s_delay_alu instid0(VALU_DEP_2)
	v_cmp_eq_u32_e64 s2, 1, v2
	s_cbranch_scc1 .LBB182_1437
; %bb.1428:
	s_and_b32 s21, 0xffff, s19
	s_mov_b32 s22, -1
	s_cmp_gt_i32 s21, 25
	s_mov_b32 s0, s18
	s_cbranch_scc0 .LBB182_1465
; %bb.1429:
	s_cmp_gt_i32 s21, 28
	s_mov_b32 s0, s18
	s_cbranch_scc0 .LBB182_1449
; %bb.1430:
	;; [unrolled: 4-line block ×4, first 2 shown]
	s_cmp_eq_u32 s21, 46
	s_mov_b32 s0, -1
	s_cbranch_scc0 .LBB182_1438
; %bb.1433:
	v_cndmask_b32_e64 v2, 0, 1.0, s2
	s_mov_b32 s0, 0
	s_mov_b32 s22, 0
	s_delay_alu instid0(VALU_DEP_1) | instskip(NEXT) | instid1(VALU_DEP_1)
	v_bfe_u32 v3, v2, 16, 1
	v_add3_u32 v2, v2, v3, 0x7fff
	s_delay_alu instid0(VALU_DEP_1)
	v_lshrrev_b32_e32 v2, 16, v2
	global_store_b32 v[0:1], v2, off
	s_branch .LBB182_1439
.LBB182_1434:
	s_or_b32 exec_lo, exec_lo, s20
	s_and_saveexec_b32 s0, s18
	s_cbranch_execnz .LBB182_1507
.LBB182_1435:
	s_or_b32 exec_lo, exec_lo, s0
	s_and_saveexec_b32 s0, s23
	s_delay_alu instid0(SALU_CYCLE_1)
	s_xor_b32 s0, exec_lo, s0
	s_cbranch_execz .LBB182_1508
.LBB182_1436:
	s_wait_loadcnt 0x0
	v_cndmask_b32_e64 v2, 0, 1, s2
	global_store_b8 v[0:1], v2, off
	s_wait_xcnt 0x0
	s_or_b32 exec_lo, exec_lo, s0
	s_and_saveexec_b32 s0, s22
	s_delay_alu instid0(SALU_CYCLE_1)
	s_xor_b32 s0, exec_lo, s0
	s_cbranch_execz .LBB182_1546
	s_branch .LBB182_1509
.LBB182_1437:
	s_mov_b32 s22, -1
	s_mov_b32 s0, s18
	s_branch .LBB182_1506
.LBB182_1438:
	s_mov_b32 s22, 0
.LBB182_1439:
	s_delay_alu instid0(SALU_CYCLE_1)
	s_and_b32 vcc_lo, exec_lo, s22
	s_cbranch_vccz .LBB182_1444
; %bb.1440:
	s_cmp_eq_u32 s21, 44
	s_mov_b32 s0, -1
	s_cbranch_scc0 .LBB182_1444
; %bb.1441:
	v_cndmask_b32_e64 v4, 0, 1.0, s2
	s_mov_b32 s22, exec_lo
	s_wait_xcnt 0x0
	s_delay_alu instid0(VALU_DEP_1) | instskip(NEXT) | instid1(VALU_DEP_1)
	v_dual_mov_b32 v3, 0xff :: v_dual_lshrrev_b32 v2, 23, v4
	v_cmpx_ne_u32_e32 0xff, v2
; %bb.1442:
	v_and_b32_e32 v3, 0x400000, v4
	v_and_or_b32 v4, 0x3fffff, v4, v2
	s_delay_alu instid0(VALU_DEP_2) | instskip(NEXT) | instid1(VALU_DEP_2)
	v_cmp_ne_u32_e32 vcc_lo, 0, v3
	v_cmp_ne_u32_e64 s0, 0, v4
	s_and_b32 s0, vcc_lo, s0
	s_delay_alu instid0(SALU_CYCLE_1) | instskip(NEXT) | instid1(VALU_DEP_1)
	v_cndmask_b32_e64 v3, 0, 1, s0
	v_add_nc_u32_e32 v3, v2, v3
; %bb.1443:
	s_or_b32 exec_lo, exec_lo, s22
	s_mov_b32 s0, 0
	global_store_b8 v[0:1], v3, off
.LBB182_1444:
	s_mov_b32 s22, 0
.LBB182_1445:
	s_delay_alu instid0(SALU_CYCLE_1)
	s_and_b32 vcc_lo, exec_lo, s22
	s_cbranch_vccz .LBB182_1448
; %bb.1446:
	s_cmp_eq_u32 s21, 29
	s_mov_b32 s0, -1
	s_cbranch_scc0 .LBB182_1448
; %bb.1447:
	s_mov_b32 s0, 0
	s_wait_xcnt 0x0
	v_cndmask_b32_e64 v2, 0, 1, s2
	v_mov_b32_e32 v3, s0
	s_mov_b32 s22, 0
	global_store_b64 v[0:1], v[2:3], off
	s_branch .LBB182_1449
.LBB182_1448:
	s_mov_b32 s22, 0
.LBB182_1449:
	s_delay_alu instid0(SALU_CYCLE_1)
	s_and_b32 vcc_lo, exec_lo, s22
	s_cbranch_vccz .LBB182_1464
; %bb.1450:
	s_cmp_lt_i32 s21, 27
	s_mov_b32 s22, -1
	s_cbranch_scc1 .LBB182_1456
; %bb.1451:
	s_wait_xcnt 0x0
	v_cndmask_b32_e64 v2, 0, 1, s2
	s_cmp_gt_i32 s21, 27
	s_cbranch_scc0 .LBB182_1453
; %bb.1452:
	s_mov_b32 s22, 0
	global_store_b32 v[0:1], v2, off
.LBB182_1453:
	s_and_not1_b32 vcc_lo, exec_lo, s22
	s_cbranch_vccnz .LBB182_1455
; %bb.1454:
	global_store_b16 v[0:1], v2, off
.LBB182_1455:
	s_mov_b32 s22, 0
.LBB182_1456:
	s_delay_alu instid0(SALU_CYCLE_1)
	s_and_not1_b32 vcc_lo, exec_lo, s22
	s_cbranch_vccnz .LBB182_1464
; %bb.1457:
	s_wait_xcnt 0x0
	v_cndmask_b32_e64 v3, 0, 1.0, s2
	v_mov_b32_e32 v4, 0x80
	s_mov_b32 s22, exec_lo
	s_delay_alu instid0(VALU_DEP_2)
	v_cmpx_gt_u32_e32 0x43800000, v3
	s_cbranch_execz .LBB182_1463
; %bb.1458:
	s_mov_b32 s24, exec_lo
                                        ; implicit-def: $vgpr2
	v_cmpx_lt_u32_e32 0x3bffffff, v3
	s_xor_b32 s24, exec_lo, s24
	s_cbranch_execz .LBB182_1561
; %bb.1459:
	v_bfe_u32 v2, v3, 20, 1
	s_mov_b32 s23, exec_lo
	s_delay_alu instid0(VALU_DEP_1) | instskip(NEXT) | instid1(VALU_DEP_1)
	v_add3_u32 v2, v3, v2, 0x487ffff
                                        ; implicit-def: $vgpr3
	v_lshrrev_b32_e32 v2, 20, v2
	s_and_not1_saveexec_b32 s24, s24
	s_cbranch_execnz .LBB182_1562
.LBB182_1460:
	s_or_b32 exec_lo, exec_lo, s24
	v_mov_b32_e32 v4, 0
	s_and_saveexec_b32 s24, s23
.LBB182_1461:
	v_mov_b32_e32 v4, v2
.LBB182_1462:
	s_or_b32 exec_lo, exec_lo, s24
.LBB182_1463:
	s_delay_alu instid0(SALU_CYCLE_1)
	s_or_b32 exec_lo, exec_lo, s22
	global_store_b8 v[0:1], v4, off
.LBB182_1464:
	s_mov_b32 s22, 0
.LBB182_1465:
	s_delay_alu instid0(SALU_CYCLE_1)
	s_and_b32 vcc_lo, exec_lo, s22
	s_mov_b32 s22, 0
	s_cbranch_vccz .LBB182_1505
; %bb.1466:
	s_cmp_gt_i32 s21, 22
	s_mov_b32 s23, -1
	s_cbranch_scc0 .LBB182_1498
; %bb.1467:
	s_cmp_lt_i32 s21, 24
	s_cbranch_scc1 .LBB182_1487
; %bb.1468:
	s_cmp_gt_i32 s21, 24
	s_cbranch_scc0 .LBB182_1476
; %bb.1469:
	s_wait_xcnt 0x0
	v_cndmask_b32_e64 v3, 0, 1.0, s2
	v_mov_b32_e32 v4, 0x80
	s_mov_b32 s23, exec_lo
	s_delay_alu instid0(VALU_DEP_2)
	v_cmpx_gt_u32_e32 0x47800000, v3
	s_cbranch_execz .LBB182_1475
; %bb.1470:
	s_mov_b32 s24, 0
	s_mov_b32 s25, exec_lo
                                        ; implicit-def: $vgpr2
	v_cmpx_lt_u32_e32 0x37ffffff, v3
	s_xor_b32 s25, exec_lo, s25
	s_cbranch_execz .LBB182_1687
; %bb.1471:
	v_bfe_u32 v2, v3, 21, 1
	s_mov_b32 s24, exec_lo
	s_delay_alu instid0(VALU_DEP_1) | instskip(NEXT) | instid1(VALU_DEP_1)
	v_add3_u32 v2, v3, v2, 0x88fffff
                                        ; implicit-def: $vgpr3
	v_lshrrev_b32_e32 v2, 21, v2
	s_and_not1_saveexec_b32 s25, s25
	s_cbranch_execnz .LBB182_1688
.LBB182_1472:
	s_or_b32 exec_lo, exec_lo, s25
	v_mov_b32_e32 v4, 0
	s_and_saveexec_b32 s25, s24
.LBB182_1473:
	v_mov_b32_e32 v4, v2
.LBB182_1474:
	s_or_b32 exec_lo, exec_lo, s25
.LBB182_1475:
	s_delay_alu instid0(SALU_CYCLE_1)
	s_or_b32 exec_lo, exec_lo, s23
	s_mov_b32 s23, 0
	global_store_b8 v[0:1], v4, off
.LBB182_1476:
	s_and_b32 vcc_lo, exec_lo, s23
	s_cbranch_vccz .LBB182_1486
; %bb.1477:
	s_wait_xcnt 0x0
	v_cndmask_b32_e64 v3, 0, 1.0, s2
	s_mov_b32 s23, exec_lo
                                        ; implicit-def: $vgpr2
	s_delay_alu instid0(VALU_DEP_1)
	v_cmpx_gt_u32_e32 0x43f00000, v3
	s_xor_b32 s23, exec_lo, s23
	s_cbranch_execz .LBB182_1483
; %bb.1478:
	s_mov_b32 s24, exec_lo
                                        ; implicit-def: $vgpr2
	v_cmpx_lt_u32_e32 0x3c7fffff, v3
	s_xor_b32 s24, exec_lo, s24
; %bb.1479:
	v_bfe_u32 v2, v3, 20, 1
	s_delay_alu instid0(VALU_DEP_1) | instskip(NEXT) | instid1(VALU_DEP_1)
	v_add3_u32 v2, v3, v2, 0x407ffff
	v_and_b32_e32 v3, 0xff00000, v2
	v_lshrrev_b32_e32 v2, 20, v2
	s_delay_alu instid0(VALU_DEP_2) | instskip(NEXT) | instid1(VALU_DEP_2)
	v_cmp_ne_u32_e32 vcc_lo, 0x7f00000, v3
                                        ; implicit-def: $vgpr3
	v_cndmask_b32_e32 v2, 0x7e, v2, vcc_lo
; %bb.1480:
	s_and_not1_saveexec_b32 s24, s24
; %bb.1481:
	v_add_f32_e32 v2, 0x46800000, v3
; %bb.1482:
	s_or_b32 exec_lo, exec_lo, s24
                                        ; implicit-def: $vgpr3
.LBB182_1483:
	s_and_not1_saveexec_b32 s23, s23
; %bb.1484:
	v_mov_b32_e32 v2, 0x7f
	v_cmp_lt_u32_e32 vcc_lo, 0x7f800000, v3
	s_delay_alu instid0(VALU_DEP_2)
	v_cndmask_b32_e32 v2, 0x7e, v2, vcc_lo
; %bb.1485:
	s_or_b32 exec_lo, exec_lo, s23
	global_store_b8 v[0:1], v2, off
.LBB182_1486:
	s_mov_b32 s23, 0
.LBB182_1487:
	s_delay_alu instid0(SALU_CYCLE_1)
	s_and_not1_b32 vcc_lo, exec_lo, s23
	s_cbranch_vccnz .LBB182_1497
; %bb.1488:
	s_wait_xcnt 0x0
	v_cndmask_b32_e64 v3, 0, 1.0, s2
	s_mov_b32 s23, exec_lo
                                        ; implicit-def: $vgpr2
	s_delay_alu instid0(VALU_DEP_1)
	v_cmpx_gt_u32_e32 0x47800000, v3
	s_xor_b32 s23, exec_lo, s23
	s_cbranch_execz .LBB182_1494
; %bb.1489:
	s_mov_b32 s24, exec_lo
                                        ; implicit-def: $vgpr2
	v_cmpx_lt_u32_e32 0x387fffff, v3
	s_xor_b32 s24, exec_lo, s24
; %bb.1490:
	v_bfe_u32 v2, v3, 21, 1
	s_delay_alu instid0(VALU_DEP_1) | instskip(NEXT) | instid1(VALU_DEP_1)
	v_add3_u32 v2, v3, v2, 0x80fffff
                                        ; implicit-def: $vgpr3
	v_lshrrev_b32_e32 v2, 21, v2
; %bb.1491:
	s_and_not1_saveexec_b32 s24, s24
; %bb.1492:
	v_add_f32_e32 v2, 0x43000000, v3
; %bb.1493:
	s_or_b32 exec_lo, exec_lo, s24
                                        ; implicit-def: $vgpr3
.LBB182_1494:
	s_and_not1_saveexec_b32 s23, s23
; %bb.1495:
	v_mov_b32_e32 v2, 0x7f
	v_cmp_lt_u32_e32 vcc_lo, 0x7f800000, v3
	s_delay_alu instid0(VALU_DEP_2)
	v_cndmask_b32_e32 v2, 0x7c, v2, vcc_lo
; %bb.1496:
	s_or_b32 exec_lo, exec_lo, s23
	global_store_b8 v[0:1], v2, off
.LBB182_1497:
	s_mov_b32 s23, 0
.LBB182_1498:
	s_delay_alu instid0(SALU_CYCLE_1)
	s_and_not1_b32 vcc_lo, exec_lo, s23
	s_mov_b32 s23, 0
	s_cbranch_vccnz .LBB182_1506
; %bb.1499:
	s_cmp_gt_i32 s21, 14
	s_mov_b32 s23, -1
	s_cbranch_scc0 .LBB182_1503
; %bb.1500:
	s_cmp_eq_u32 s21, 15
	s_mov_b32 s0, -1
	s_cbranch_scc0 .LBB182_1502
; %bb.1501:
	s_wait_xcnt 0x0
	v_cndmask_b32_e64 v2, 0, 1.0, s2
	s_mov_b32 s0, 0
	s_delay_alu instid0(VALU_DEP_1) | instskip(NEXT) | instid1(VALU_DEP_1)
	v_bfe_u32 v3, v2, 16, 1
	v_add3_u32 v2, v2, v3, 0x7fff
	global_store_d16_hi_b16 v[0:1], v2, off
.LBB182_1502:
	s_mov_b32 s23, 0
.LBB182_1503:
	s_delay_alu instid0(SALU_CYCLE_1)
	s_and_b32 vcc_lo, exec_lo, s23
	s_mov_b32 s23, 0
	s_cbranch_vccz .LBB182_1506
; %bb.1504:
	s_cmp_lg_u32 s21, 11
	s_mov_b32 s23, -1
	s_cselect_b32 s21, -1, 0
	s_and_not1_b32 s0, s0, exec_lo
	s_and_b32 s21, s21, exec_lo
	s_delay_alu instid0(SALU_CYCLE_1)
	s_or_b32 s0, s0, s21
	s_branch .LBB182_1506
.LBB182_1505:
	s_mov_b32 s23, 0
.LBB182_1506:
	s_and_not1_b32 s18, s18, exec_lo
	s_and_b32 s0, s0, exec_lo
	s_and_b32 s22, s22, exec_lo
	;; [unrolled: 1-line block ×3, first 2 shown]
	s_or_b32 s18, s18, s0
	s_wait_xcnt 0x0
	s_or_b32 exec_lo, exec_lo, s20
	s_and_saveexec_b32 s0, s18
	s_cbranch_execz .LBB182_1435
.LBB182_1507:
	s_or_b32 s1, s1, exec_lo
	s_and_not1_b32 s23, s23, exec_lo
	s_trap 2
	s_or_b32 exec_lo, exec_lo, s0
	s_and_saveexec_b32 s0, s23
	s_delay_alu instid0(SALU_CYCLE_1)
	s_xor_b32 s0, exec_lo, s0
	s_cbranch_execnz .LBB182_1436
.LBB182_1508:
	s_or_b32 exec_lo, exec_lo, s0
	s_and_saveexec_b32 s0, s22
	s_delay_alu instid0(SALU_CYCLE_1)
	s_xor_b32 s0, exec_lo, s0
	s_cbranch_execz .LBB182_1546
.LBB182_1509:
	s_sext_i32_i16 s20, s19
	s_mov_b32 s18, -1
	s_cmp_lt_i32 s20, 5
	s_cbranch_scc1 .LBB182_1530
; %bb.1510:
	s_cmp_lt_i32 s20, 8
	s_cbranch_scc1 .LBB182_1520
; %bb.1511:
	;; [unrolled: 3-line block ×3, first 2 shown]
	s_cmp_gt_i32 s20, 9
	s_cbranch_scc0 .LBB182_1514
; %bb.1513:
	s_wait_loadcnt 0x0
	v_cndmask_b32_e64 v2, 0, 1, s2
	v_mov_b32_e32 v4, 0
	s_mov_b32 s18, 0
	s_delay_alu instid0(VALU_DEP_2) | instskip(NEXT) | instid1(VALU_DEP_2)
	v_cvt_f64_u32_e32 v[2:3], v2
	v_mov_b32_e32 v5, v4
	global_store_b128 v[0:1], v[2:5], off
.LBB182_1514:
	s_and_not1_b32 vcc_lo, exec_lo, s18
	s_cbranch_vccnz .LBB182_1516
; %bb.1515:
	s_wait_loadcnt 0x0
	v_cndmask_b32_e64 v2, 0, 1.0, s2
	v_mov_b32_e32 v3, 0
	global_store_b64 v[0:1], v[2:3], off
.LBB182_1516:
	s_mov_b32 s18, 0
.LBB182_1517:
	s_delay_alu instid0(SALU_CYCLE_1)
	s_and_not1_b32 vcc_lo, exec_lo, s18
	s_cbranch_vccnz .LBB182_1519
; %bb.1518:
	s_wait_loadcnt 0x0
	v_cndmask_b32_e64 v2, 0, 1.0, s2
	s_delay_alu instid0(VALU_DEP_1) | instskip(NEXT) | instid1(VALU_DEP_1)
	v_cvt_f16_f32_e32 v2, v2
	v_and_b32_e32 v2, 0xffff, v2
	global_store_b32 v[0:1], v2, off
.LBB182_1519:
	s_mov_b32 s18, 0
.LBB182_1520:
	s_delay_alu instid0(SALU_CYCLE_1)
	s_and_not1_b32 vcc_lo, exec_lo, s18
	s_cbranch_vccnz .LBB182_1529
; %bb.1521:
	s_sext_i32_i16 s20, s19
	s_mov_b32 s18, -1
	s_cmp_lt_i32 s20, 6
	s_cbranch_scc1 .LBB182_1527
; %bb.1522:
	s_cmp_gt_i32 s20, 6
	s_cbranch_scc0 .LBB182_1524
; %bb.1523:
	s_wait_loadcnt 0x0
	v_cndmask_b32_e64 v2, 0, 1, s2
	s_mov_b32 s18, 0
	s_delay_alu instid0(VALU_DEP_1)
	v_cvt_f64_u32_e32 v[2:3], v2
	global_store_b64 v[0:1], v[2:3], off
.LBB182_1524:
	s_and_not1_b32 vcc_lo, exec_lo, s18
	s_cbranch_vccnz .LBB182_1526
; %bb.1525:
	s_wait_loadcnt 0x0
	v_cndmask_b32_e64 v2, 0, 1.0, s2
	global_store_b32 v[0:1], v2, off
.LBB182_1526:
	s_mov_b32 s18, 0
.LBB182_1527:
	s_delay_alu instid0(SALU_CYCLE_1)
	s_and_not1_b32 vcc_lo, exec_lo, s18
	s_cbranch_vccnz .LBB182_1529
; %bb.1528:
	s_wait_loadcnt 0x0
	v_cndmask_b32_e64 v2, 0, 1.0, s2
	s_delay_alu instid0(VALU_DEP_1)
	v_cvt_f16_f32_e32 v2, v2
	global_store_b16 v[0:1], v2, off
.LBB182_1529:
	s_mov_b32 s18, 0
.LBB182_1530:
	s_delay_alu instid0(SALU_CYCLE_1)
	s_and_not1_b32 vcc_lo, exec_lo, s18
	s_cbranch_vccnz .LBB182_1546
; %bb.1531:
	s_sext_i32_i16 s20, s19
	s_mov_b32 s18, -1
	s_cmp_lt_i32 s20, 2
	s_cbranch_scc1 .LBB182_1541
; %bb.1532:
	s_cmp_lt_i32 s20, 3
	s_cbranch_scc1 .LBB182_1538
; %bb.1533:
	s_cmp_gt_i32 s20, 3
	s_cbranch_scc0 .LBB182_1535
; %bb.1534:
	s_mov_b32 s18, 0
	s_wait_loadcnt 0x0
	v_cndmask_b32_e64 v2, 0, 1, s2
	v_mov_b32_e32 v3, s18
	global_store_b64 v[0:1], v[2:3], off
.LBB182_1535:
	s_and_not1_b32 vcc_lo, exec_lo, s18
	s_cbranch_vccnz .LBB182_1537
; %bb.1536:
	s_wait_loadcnt 0x0
	v_cndmask_b32_e64 v2, 0, 1, s2
	global_store_b32 v[0:1], v2, off
.LBB182_1537:
	s_mov_b32 s18, 0
.LBB182_1538:
	s_delay_alu instid0(SALU_CYCLE_1)
	s_and_not1_b32 vcc_lo, exec_lo, s18
	s_cbranch_vccnz .LBB182_1540
; %bb.1539:
	s_wait_loadcnt 0x0
	v_cndmask_b32_e64 v2, 0, 1, s2
	global_store_b16 v[0:1], v2, off
.LBB182_1540:
	s_mov_b32 s18, 0
.LBB182_1541:
	s_delay_alu instid0(SALU_CYCLE_1)
	s_and_not1_b32 vcc_lo, exec_lo, s18
	s_cbranch_vccnz .LBB182_1546
; %bb.1542:
	s_wait_loadcnt 0x0
	v_cndmask_b32_e64 v2, 0, 1, s2
	s_sext_i32_i16 s18, s19
	s_mov_b32 s2, -1
	s_cmp_gt_i32 s18, 0
	s_cbranch_scc0 .LBB182_1544
; %bb.1543:
	s_mov_b32 s2, 0
	global_store_b8 v[0:1], v2, off
.LBB182_1544:
	s_and_not1_b32 vcc_lo, exec_lo, s2
	s_cbranch_vccnz .LBB182_1546
; %bb.1545:
	global_store_b8 v[0:1], v2, off
.LBB182_1546:
	s_wait_xcnt 0x0
	s_or_b32 exec_lo, exec_lo, s0
	s_delay_alu instid0(SALU_CYCLE_1)
	s_and_b32 s18, s1, exec_lo
                                        ; implicit-def: $vgpr6
.LBB182_1547:
	s_or_saveexec_b32 s17, s17
	s_mov_b32 s0, 0
                                        ; implicit-def: $sgpr1
                                        ; implicit-def: $sgpr19
                                        ; implicit-def: $vgpr0_vgpr1
	s_xor_b32 exec_lo, exec_lo, s17
	s_cbranch_execz .LBB182_3024
; %bb.1548:
	v_mul_lo_u32 v0, s9, v6
	s_and_b32 s0, s16, 0xff
	s_delay_alu instid0(SALU_CYCLE_1) | instskip(NEXT) | instid1(VALU_DEP_1)
	s_cmp_lt_i32 s0, 11
	v_ashrrev_i32_e32 v1, 31, v0
	s_wait_loadcnt 0x0
	s_delay_alu instid0(VALU_DEP_1)
	v_add_nc_u64_e32 v[2:3], s[6:7], v[0:1]
	s_cbranch_scc1 .LBB182_1555
; %bb.1549:
	s_and_b32 s1, 0xffff, s0
	s_mov_b32 s16, 0
	s_cmp_gt_i32 s1, 25
	s_cbranch_scc0 .LBB182_1557
; %bb.1550:
	s_cmp_gt_i32 s1, 28
	s_cbranch_scc0 .LBB182_1558
; %bb.1551:
	;; [unrolled: 3-line block ×4, first 2 shown]
	s_cmp_eq_u32 s1, 46
	s_cbranch_scc0 .LBB182_1563
; %bb.1554:
	global_load_b32 v1, v[2:3], off
	s_mov_b32 s2, 0
	s_mov_b32 s19, -1
	s_wait_loadcnt 0x0
	v_lshlrev_b32_e32 v1, 16, v1
	s_delay_alu instid0(VALU_DEP_1)
	v_cvt_f16_f32_e32 v7, v1
	s_branch .LBB182_1565
.LBB182_1555:
	s_mov_b32 s19, 0
	s_mov_b32 s15, s18
                                        ; implicit-def: $vgpr7
	s_cbranch_execnz .LBB182_1628
.LBB182_1556:
	s_and_not1_b32 vcc_lo, exec_lo, s19
	s_cbranch_vccz .LBB182_1673
	s_branch .LBB182_3022
.LBB182_1557:
	s_mov_b32 s19, 0
	s_mov_b32 s2, 0
                                        ; implicit-def: $vgpr7
	s_cbranch_execnz .LBB182_1593
	s_branch .LBB182_1624
.LBB182_1558:
	s_mov_b32 s15, -1
	s_mov_b32 s19, 0
	s_mov_b32 s2, 0
                                        ; implicit-def: $vgpr7
	s_branch .LBB182_1574
.LBB182_1559:
	s_mov_b32 s19, 0
	s_mov_b32 s2, 0
                                        ; implicit-def: $vgpr7
	s_cbranch_execnz .LBB182_1570
	s_branch .LBB182_1573
.LBB182_1560:
	s_mov_b32 s15, -1
	s_mov_b32 s19, 0
	s_mov_b32 s2, 0
	s_branch .LBB182_1564
.LBB182_1561:
	s_and_not1_saveexec_b32 s24, s24
	s_cbranch_execz .LBB182_1460
.LBB182_1562:
	v_add_f32_e32 v2, 0x46000000, v3
	s_and_not1_b32 s23, s23, exec_lo
	s_delay_alu instid0(VALU_DEP_1) | instskip(NEXT) | instid1(VALU_DEP_1)
	v_and_b32_e32 v2, 0xff, v2
	v_cmp_ne_u32_e32 vcc_lo, 0, v2
	s_and_b32 s25, vcc_lo, exec_lo
	s_delay_alu instid0(SALU_CYCLE_1)
	s_or_b32 s23, s23, s25
	s_or_b32 exec_lo, exec_lo, s24
	v_mov_b32_e32 v4, 0
	s_and_saveexec_b32 s24, s23
	s_cbranch_execnz .LBB182_1461
	s_branch .LBB182_1462
.LBB182_1563:
	s_mov_b32 s2, -1
	s_mov_b32 s19, 0
.LBB182_1564:
                                        ; implicit-def: $vgpr7
.LBB182_1565:
	s_and_b32 vcc_lo, exec_lo, s15
	s_cbranch_vccz .LBB182_1568
; %bb.1566:
	s_cmp_eq_u32 s1, 44
	s_cbranch_scc0 .LBB182_1569
; %bb.1567:
	global_load_u8 v1, v[2:3], off
	s_mov_b32 s2, 0
	s_mov_b32 s19, -1
	s_wait_loadcnt 0x0
	v_lshlrev_b32_e32 v4, 23, v1
	v_cmp_ne_u32_e32 vcc_lo, 0xff, v1
	s_delay_alu instid0(VALU_DEP_2) | instskip(NEXT) | instid1(VALU_DEP_1)
	v_cvt_f16_f32_e32 v4, v4
	v_cndmask_b32_e32 v4, 0x7e00, v4, vcc_lo
	v_cmp_ne_u32_e32 vcc_lo, 0, v1
	s_delay_alu instid0(VALU_DEP_2)
	v_cndmask_b32_e32 v7, 0, v4, vcc_lo
.LBB182_1568:
	s_branch .LBB182_1573
.LBB182_1569:
	s_mov_b32 s2, -1
                                        ; implicit-def: $vgpr7
	s_branch .LBB182_1573
.LBB182_1570:
	s_cmp_eq_u32 s1, 29
	s_cbranch_scc0 .LBB182_1572
; %bb.1571:
	global_load_b64 v[4:5], v[2:3], off
	s_mov_b32 s2, 0
	s_mov_b32 s19, -1
	s_mov_b32 s15, 0
	s_wait_loadcnt 0x0
	v_clz_i32_u32_e32 v1, v5
	s_delay_alu instid0(VALU_DEP_1) | instskip(NEXT) | instid1(VALU_DEP_1)
	v_min_u32_e32 v1, 32, v1
	v_lshlrev_b64_e32 v[4:5], v1, v[4:5]
	v_sub_nc_u32_e32 v1, 32, v1
	s_delay_alu instid0(VALU_DEP_2) | instskip(NEXT) | instid1(VALU_DEP_1)
	v_min_u32_e32 v4, 1, v4
	v_or_b32_e32 v4, v5, v4
	s_delay_alu instid0(VALU_DEP_1) | instskip(NEXT) | instid1(VALU_DEP_1)
	v_cvt_f32_u32_e32 v4, v4
	v_ldexp_f32 v1, v4, v1
	s_delay_alu instid0(VALU_DEP_1)
	v_cvt_f16_f32_e32 v7, v1
	s_branch .LBB182_1574
.LBB182_1572:
	s_mov_b32 s2, -1
                                        ; implicit-def: $vgpr7
.LBB182_1573:
	s_mov_b32 s15, 0
.LBB182_1574:
	s_delay_alu instid0(SALU_CYCLE_1)
	s_and_b32 vcc_lo, exec_lo, s15
	s_cbranch_vccz .LBB182_1592
; %bb.1575:
	s_cmp_lt_i32 s1, 27
	s_cbranch_scc1 .LBB182_1578
; %bb.1576:
	s_cmp_gt_i32 s1, 27
	s_cbranch_scc0 .LBB182_1579
; %bb.1577:
	global_load_b32 v1, v[2:3], off
	s_mov_b32 s15, 0
	s_wait_loadcnt 0x0
	v_cvt_f32_u32_e32 v1, v1
	s_delay_alu instid0(VALU_DEP_1)
	v_cvt_f16_f32_e32 v7, v1
	s_branch .LBB182_1580
.LBB182_1578:
	s_mov_b32 s15, -1
                                        ; implicit-def: $vgpr7
	s_branch .LBB182_1583
.LBB182_1579:
	s_mov_b32 s15, -1
                                        ; implicit-def: $vgpr7
.LBB182_1580:
	s_delay_alu instid0(SALU_CYCLE_1)
	s_and_not1_b32 vcc_lo, exec_lo, s15
	s_cbranch_vccnz .LBB182_1582
; %bb.1581:
	global_load_u16 v1, v[2:3], off
	s_wait_loadcnt 0x0
	v_cvt_f16_u16_e32 v7, v1
.LBB182_1582:
	s_mov_b32 s15, 0
.LBB182_1583:
	s_delay_alu instid0(SALU_CYCLE_1)
	s_and_not1_b32 vcc_lo, exec_lo, s15
	s_cbranch_vccnz .LBB182_1591
; %bb.1584:
	global_load_u8 v1, v[2:3], off
	s_mov_b32 s15, 0
	s_mov_b32 s19, exec_lo
	s_wait_loadcnt 0x0
	v_cmpx_lt_i16_e32 0x7f, v1
	s_xor_b32 s19, exec_lo, s19
	s_cbranch_execz .LBB182_1604
; %bb.1585:
	s_mov_b32 s15, -1
	s_mov_b32 s20, exec_lo
	v_cmpx_eq_u16_e32 0x80, v1
; %bb.1586:
	s_xor_b32 s15, exec_lo, -1
; %bb.1587:
	s_or_b32 exec_lo, exec_lo, s20
	s_delay_alu instid0(SALU_CYCLE_1)
	s_and_b32 s15, s15, exec_lo
	s_or_saveexec_b32 s19, s19
	v_mov_b32_e32 v7, 0x7e00
	s_xor_b32 exec_lo, exec_lo, s19
	s_cbranch_execnz .LBB182_1605
.LBB182_1588:
	s_or_b32 exec_lo, exec_lo, s19
	s_and_saveexec_b32 s19, s15
	s_cbranch_execz .LBB182_1590
.LBB182_1589:
	v_and_b32_e32 v4, 0xffff, v1
	s_delay_alu instid0(VALU_DEP_1) | instskip(SKIP_1) | instid1(VALU_DEP_2)
	v_and_b32_e32 v5, 7, v4
	v_bfe_u32 v9, v4, 3, 4
	v_clz_i32_u32_e32 v7, v5
	s_delay_alu instid0(VALU_DEP_2) | instskip(NEXT) | instid1(VALU_DEP_2)
	v_cmp_eq_u32_e32 vcc_lo, 0, v9
	v_min_u32_e32 v7, 32, v7
	s_delay_alu instid0(VALU_DEP_1) | instskip(NEXT) | instid1(VALU_DEP_1)
	v_subrev_nc_u32_e32 v8, 28, v7
	v_dual_lshlrev_b32 v4, v8, v4 :: v_dual_sub_nc_u32 v7, 29, v7
	s_delay_alu instid0(VALU_DEP_1) | instskip(NEXT) | instid1(VALU_DEP_2)
	v_dual_lshlrev_b32 v1, 24, v1 :: v_dual_bitop2_b32 v4, 7, v4 bitop3:0x40
	v_cndmask_b32_e32 v7, v9, v7, vcc_lo
	s_delay_alu instid0(VALU_DEP_2) | instskip(NEXT) | instid1(VALU_DEP_3)
	v_cndmask_b32_e32 v4, v5, v4, vcc_lo
	v_and_b32_e32 v1, 0x80000000, v1
	s_delay_alu instid0(VALU_DEP_3) | instskip(NEXT) | instid1(VALU_DEP_3)
	v_lshl_add_u32 v5, v7, 23, 0x3b800000
	v_lshlrev_b32_e32 v4, 20, v4
	s_delay_alu instid0(VALU_DEP_1) | instskip(NEXT) | instid1(VALU_DEP_1)
	v_or3_b32 v1, v1, v5, v4
	v_cvt_f16_f32_e32 v7, v1
.LBB182_1590:
	s_or_b32 exec_lo, exec_lo, s19
.LBB182_1591:
	s_mov_b32 s19, -1
.LBB182_1592:
	s_branch .LBB182_1624
.LBB182_1593:
	s_cmp_gt_i32 s1, 22
	s_cbranch_scc0 .LBB182_1603
; %bb.1594:
	s_cmp_lt_i32 s1, 24
	s_cbranch_scc1 .LBB182_1606
; %bb.1595:
	s_cmp_gt_i32 s1, 24
	s_cbranch_scc0 .LBB182_1607
; %bb.1596:
	global_load_u8 v1, v[2:3], off
	s_mov_b32 s15, 0
	s_mov_b32 s16, exec_lo
	s_wait_loadcnt 0x0
	v_cmpx_lt_i16_e32 0x7f, v1
	s_xor_b32 s16, exec_lo, s16
	s_cbranch_execz .LBB182_1618
; %bb.1597:
	s_mov_b32 s15, -1
	s_mov_b32 s19, exec_lo
	v_cmpx_eq_u16_e32 0x80, v1
; %bb.1598:
	s_xor_b32 s15, exec_lo, -1
; %bb.1599:
	s_or_b32 exec_lo, exec_lo, s19
	s_delay_alu instid0(SALU_CYCLE_1)
	s_and_b32 s15, s15, exec_lo
	s_or_saveexec_b32 s16, s16
	v_mov_b32_e32 v7, 0x7e00
	s_xor_b32 exec_lo, exec_lo, s16
	s_cbranch_execnz .LBB182_1619
.LBB182_1600:
	s_or_b32 exec_lo, exec_lo, s16
	s_and_saveexec_b32 s16, s15
	s_cbranch_execz .LBB182_1602
.LBB182_1601:
	v_and_b32_e32 v4, 0xffff, v1
	s_delay_alu instid0(VALU_DEP_1) | instskip(SKIP_1) | instid1(VALU_DEP_2)
	v_and_b32_e32 v5, 3, v4
	v_bfe_u32 v9, v4, 2, 5
	v_clz_i32_u32_e32 v7, v5
	s_delay_alu instid0(VALU_DEP_2) | instskip(NEXT) | instid1(VALU_DEP_2)
	v_cmp_eq_u32_e32 vcc_lo, 0, v9
	v_min_u32_e32 v7, 32, v7
	s_delay_alu instid0(VALU_DEP_1) | instskip(NEXT) | instid1(VALU_DEP_1)
	v_subrev_nc_u32_e32 v8, 29, v7
	v_dual_lshlrev_b32 v4, v8, v4 :: v_dual_sub_nc_u32 v7, 30, v7
	s_delay_alu instid0(VALU_DEP_1) | instskip(NEXT) | instid1(VALU_DEP_2)
	v_dual_lshlrev_b32 v1, 24, v1 :: v_dual_bitop2_b32 v4, 3, v4 bitop3:0x40
	v_cndmask_b32_e32 v7, v9, v7, vcc_lo
	s_delay_alu instid0(VALU_DEP_2) | instskip(NEXT) | instid1(VALU_DEP_3)
	v_cndmask_b32_e32 v4, v5, v4, vcc_lo
	v_and_b32_e32 v1, 0x80000000, v1
	s_delay_alu instid0(VALU_DEP_3) | instskip(NEXT) | instid1(VALU_DEP_3)
	v_lshl_add_u32 v5, v7, 23, 0x37800000
	v_lshlrev_b32_e32 v4, 21, v4
	s_delay_alu instid0(VALU_DEP_1) | instskip(NEXT) | instid1(VALU_DEP_1)
	v_or3_b32 v1, v1, v5, v4
	v_cvt_f16_f32_e32 v7, v1
.LBB182_1602:
	s_or_b32 exec_lo, exec_lo, s16
	s_mov_b32 s15, 0
	s_branch .LBB182_1608
.LBB182_1603:
                                        ; implicit-def: $vgpr7
	s_mov_b32 s16, 0
	s_branch .LBB182_1614
.LBB182_1604:
	s_or_saveexec_b32 s19, s19
	v_mov_b32_e32 v7, 0x7e00
	s_xor_b32 exec_lo, exec_lo, s19
	s_cbranch_execz .LBB182_1588
.LBB182_1605:
	v_cmp_ne_u16_e32 vcc_lo, 0, v1
	v_mov_b32_e32 v7, v1
	s_and_not1_b32 s15, s15, exec_lo
	s_and_b32 s20, vcc_lo, exec_lo
	s_delay_alu instid0(SALU_CYCLE_1)
	s_or_b32 s15, s15, s20
	s_or_b32 exec_lo, exec_lo, s19
	s_and_saveexec_b32 s19, s15
	s_cbranch_execnz .LBB182_1589
	s_branch .LBB182_1590
.LBB182_1606:
	s_mov_b32 s15, -1
                                        ; implicit-def: $vgpr7
	s_branch .LBB182_1611
.LBB182_1607:
	s_mov_b32 s15, -1
                                        ; implicit-def: $vgpr7
.LBB182_1608:
	s_delay_alu instid0(SALU_CYCLE_1)
	s_and_b32 vcc_lo, exec_lo, s15
	s_cbranch_vccz .LBB182_1610
; %bb.1609:
	global_load_u8 v1, v[2:3], off
	s_wait_loadcnt 0x0
	v_lshlrev_b32_e32 v1, 24, v1
	s_delay_alu instid0(VALU_DEP_1) | instskip(NEXT) | instid1(VALU_DEP_1)
	v_and_b32_e32 v4, 0x7f000000, v1
	v_clz_i32_u32_e32 v5, v4
	v_add_nc_u32_e32 v8, 0x1000000, v4
	v_cmp_ne_u32_e32 vcc_lo, 0, v4
	s_delay_alu instid0(VALU_DEP_3) | instskip(NEXT) | instid1(VALU_DEP_1)
	v_min_u32_e32 v5, 32, v5
	v_sub_nc_u32_e64 v5, v5, 4 clamp
	s_delay_alu instid0(VALU_DEP_1) | instskip(NEXT) | instid1(VALU_DEP_1)
	v_dual_lshlrev_b32 v7, v5, v4 :: v_dual_lshlrev_b32 v5, 23, v5
	v_lshrrev_b32_e32 v7, 4, v7
	s_delay_alu instid0(VALU_DEP_1) | instskip(NEXT) | instid1(VALU_DEP_1)
	v_dual_sub_nc_u32 v5, v7, v5 :: v_dual_ashrrev_i32 v7, 8, v8
	v_add_nc_u32_e32 v5, 0x3c000000, v5
	s_delay_alu instid0(VALU_DEP_1) | instskip(NEXT) | instid1(VALU_DEP_1)
	v_and_or_b32 v5, 0x7f800000, v7, v5
	v_cndmask_b32_e32 v4, 0, v5, vcc_lo
	s_delay_alu instid0(VALU_DEP_1) | instskip(NEXT) | instid1(VALU_DEP_1)
	v_and_or_b32 v1, 0x80000000, v1, v4
	v_cvt_f16_f32_e32 v7, v1
.LBB182_1610:
	s_mov_b32 s15, 0
.LBB182_1611:
	s_delay_alu instid0(SALU_CYCLE_1)
	s_and_not1_b32 vcc_lo, exec_lo, s15
	s_cbranch_vccnz .LBB182_1613
; %bb.1612:
	global_load_u8 v1, v[2:3], off
	s_wait_loadcnt 0x0
	v_lshlrev_b32_e32 v4, 25, v1
	v_lshlrev_b16 v1, 8, v1
	s_delay_alu instid0(VALU_DEP_1) | instskip(SKIP_1) | instid1(VALU_DEP_2)
	v_and_or_b32 v7, 0x7f00, v1, 0.5
	v_bfe_i32 v1, v1, 0, 16
	v_dual_add_f32 v7, -0.5, v7 :: v_dual_lshrrev_b32 v5, 4, v4
	v_cmp_gt_u32_e32 vcc_lo, 0x8000000, v4
	s_delay_alu instid0(VALU_DEP_2) | instskip(NEXT) | instid1(VALU_DEP_1)
	v_or_b32_e32 v5, 0x70000000, v5
	v_mul_f32_e32 v5, 0x7800000, v5
	s_delay_alu instid0(VALU_DEP_1) | instskip(NEXT) | instid1(VALU_DEP_1)
	v_cndmask_b32_e32 v4, v5, v7, vcc_lo
	v_and_or_b32 v1, 0x80000000, v1, v4
	s_delay_alu instid0(VALU_DEP_1)
	v_cvt_f16_f32_e32 v7, v1
.LBB182_1613:
	s_mov_b32 s19, -1
	s_mov_b32 s16, 0
	s_cbranch_execnz .LBB182_1624
.LBB182_1614:
	s_cmp_gt_i32 s1, 14
	s_cbranch_scc0 .LBB182_1617
; %bb.1615:
	s_cmp_eq_u32 s1, 15
	s_cbranch_scc0 .LBB182_1620
; %bb.1616:
	global_load_u16 v1, v[2:3], off
	s_mov_b32 s2, 0
	s_mov_b32 s19, -1
	s_wait_loadcnt 0x0
	v_lshlrev_b32_e32 v1, 16, v1
	s_delay_alu instid0(VALU_DEP_1)
	v_cvt_f16_f32_e32 v7, v1
	s_branch .LBB182_1621
.LBB182_1617:
	s_mov_b32 s15, -1
                                        ; implicit-def: $vgpr7
	s_branch .LBB182_1622
.LBB182_1618:
	s_or_saveexec_b32 s16, s16
	v_mov_b32_e32 v7, 0x7e00
	s_xor_b32 exec_lo, exec_lo, s16
	s_cbranch_execz .LBB182_1600
.LBB182_1619:
	v_cmp_ne_u16_e32 vcc_lo, 0, v1
	v_mov_b32_e32 v7, v1
	s_and_not1_b32 s15, s15, exec_lo
	s_and_b32 s19, vcc_lo, exec_lo
	s_delay_alu instid0(SALU_CYCLE_1)
	s_or_b32 s15, s15, s19
	s_or_b32 exec_lo, exec_lo, s16
	s_and_saveexec_b32 s16, s15
	s_cbranch_execnz .LBB182_1601
	s_branch .LBB182_1602
.LBB182_1620:
	s_mov_b32 s2, -1
                                        ; implicit-def: $vgpr7
.LBB182_1621:
	s_mov_b32 s15, 0
.LBB182_1622:
	s_delay_alu instid0(SALU_CYCLE_1)
	s_and_b32 vcc_lo, exec_lo, s15
	s_cbranch_vccz .LBB182_1624
; %bb.1623:
	s_cmp_lg_u32 s1, 11
	s_mov_b32 s16, -1
	s_cselect_b32 s2, -1, 0
.LBB182_1624:
	s_delay_alu instid0(SALU_CYCLE_1)
	s_and_b32 vcc_lo, exec_lo, s2
	s_mov_b32 s15, s18
	s_cbranch_vccnz .LBB182_1685
; %bb.1625:
	s_and_not1_b32 vcc_lo, exec_lo, s16
	s_cbranch_vccnz .LBB182_1627
.LBB182_1626:
	global_load_u8 v1, v[2:3], off
	s_mov_b32 s19, -1
	s_wait_loadcnt 0x0
	v_cmp_ne_u16_e32 vcc_lo, 0, v1
	v_cndmask_b32_e64 v7, 0, 0x3c00, vcc_lo
.LBB182_1627:
	s_branch .LBB182_1556
.LBB182_1628:
	s_and_b32 s1, 0xffff, s0
	s_delay_alu instid0(SALU_CYCLE_1)
	s_cmp_lt_i32 s1, 5
	s_cbranch_scc1 .LBB182_1633
; %bb.1629:
	s_cmp_lt_i32 s1, 8
	s_cbranch_scc1 .LBB182_1634
; %bb.1630:
	;; [unrolled: 3-line block ×3, first 2 shown]
	s_cmp_gt_i32 s1, 9
	s_cbranch_scc0 .LBB182_1636
; %bb.1632:
	global_load_b64 v[4:5], v[2:3], off
	s_mov_b32 s2, 0
	s_wait_loadcnt 0x0
	v_and_or_b32 v1, 0x1ff, v5, v4
	v_lshrrev_b32_e32 v4, 8, v5
	v_bfe_u32 v7, v5, 20, 11
	s_delay_alu instid0(VALU_DEP_3) | instskip(NEXT) | instid1(VALU_DEP_2)
	v_cmp_ne_u32_e32 vcc_lo, 0, v1
	v_sub_nc_u32_e32 v8, 0x3f1, v7
	v_cndmask_b32_e64 v1, 0, 1, vcc_lo
	s_delay_alu instid0(VALU_DEP_1) | instskip(NEXT) | instid1(VALU_DEP_3)
	v_and_or_b32 v1, 0xffe, v4, v1
	v_med3_i32 v4, v8, 0, 13
	s_delay_alu instid0(VALU_DEP_2) | instskip(NEXT) | instid1(VALU_DEP_1)
	v_or_b32_e32 v8, 0x1000, v1
	v_lshrrev_b32_e32 v9, v4, v8
	s_delay_alu instid0(VALU_DEP_1) | instskip(NEXT) | instid1(VALU_DEP_1)
	v_lshlrev_b32_e32 v4, v4, v9
	v_cmp_ne_u32_e32 vcc_lo, v4, v8
	v_cndmask_b32_e64 v4, 0, 1, vcc_lo
	s_delay_alu instid0(VALU_DEP_1) | instskip(SKIP_1) | instid1(VALU_DEP_1)
	v_or_b32_e32 v4, v9, v4
	v_add_nc_u32_e32 v7, 0xfffffc10, v7
	v_lshl_or_b32 v8, v7, 12, v1
	v_cmp_gt_i32_e32 vcc_lo, 1, v7
	s_delay_alu instid0(VALU_DEP_2) | instskip(NEXT) | instid1(VALU_DEP_1)
	v_cndmask_b32_e32 v4, v8, v4, vcc_lo
	v_dual_lshrrev_b32 v4, 2, v4 :: v_dual_bitop2_b32 v8, 7, v4 bitop3:0x40
	s_delay_alu instid0(VALU_DEP_1) | instskip(SKIP_4) | instid1(VALU_DEP_2)
	v_cmp_lt_i32_e32 vcc_lo, 5, v8
	v_cndmask_b32_e64 v9, 0, 1, vcc_lo
	v_cmp_eq_u32_e32 vcc_lo, 3, v8
	v_cndmask_b32_e64 v8, 0, 1, vcc_lo
	v_cmp_ne_u32_e32 vcc_lo, 0, v1
	v_or_b32_e32 v8, v8, v9
	s_delay_alu instid0(VALU_DEP_1) | instskip(NEXT) | instid1(VALU_DEP_1)
	v_dual_mov_b32 v9, 0x7e00 :: v_dual_add_nc_u32 v4, v4, v8
	v_cndmask_b32_e32 v1, 0x7c00, v9, vcc_lo
	v_cmp_gt_i32_e32 vcc_lo, 31, v7
	s_delay_alu instid0(VALU_DEP_3) | instskip(SKIP_1) | instid1(VALU_DEP_2)
	v_cndmask_b32_e32 v4, 0x7c00, v4, vcc_lo
	v_cmp_eq_u32_e32 vcc_lo, 0x40f, v7
	v_cndmask_b32_e32 v1, v4, v1, vcc_lo
	v_lshrrev_b32_e32 v4, 16, v5
	s_delay_alu instid0(VALU_DEP_1)
	v_and_or_b32 v7, 0x8000, v4, v1
	s_branch .LBB182_1637
.LBB182_1633:
                                        ; implicit-def: $vgpr7
	s_branch .LBB182_1654
.LBB182_1634:
                                        ; implicit-def: $vgpr7
	s_branch .LBB182_1643
.LBB182_1635:
	s_mov_b32 s2, -1
                                        ; implicit-def: $vgpr7
	s_branch .LBB182_1640
.LBB182_1636:
	s_mov_b32 s2, -1
                                        ; implicit-def: $vgpr7
.LBB182_1637:
	s_delay_alu instid0(SALU_CYCLE_1)
	s_and_not1_b32 vcc_lo, exec_lo, s2
	s_cbranch_vccnz .LBB182_1639
; %bb.1638:
	global_load_b32 v1, v[2:3], off
	s_wait_loadcnt 0x0
	v_cvt_f16_f32_e32 v7, v1
.LBB182_1639:
	s_mov_b32 s2, 0
.LBB182_1640:
	s_delay_alu instid0(SALU_CYCLE_1)
	s_and_not1_b32 vcc_lo, exec_lo, s2
	s_cbranch_vccnz .LBB182_1642
; %bb.1641:
	global_load_b32 v7, v[2:3], off
.LBB182_1642:
	s_cbranch_execnz .LBB182_1653
.LBB182_1643:
	s_cmp_lt_i32 s1, 6
	s_cbranch_scc1 .LBB182_1646
; %bb.1644:
	s_cmp_gt_i32 s1, 6
	s_cbranch_scc0 .LBB182_1647
; %bb.1645:
	global_load_b64 v[4:5], v[2:3], off
	s_mov_b32 s2, 0
	s_wait_loadcnt 0x0
	v_and_or_b32 v1, 0x1ff, v5, v4
	v_lshrrev_b32_e32 v4, 8, v5
	v_bfe_u32 v7, v5, 20, 11
	s_delay_alu instid0(VALU_DEP_3) | instskip(NEXT) | instid1(VALU_DEP_2)
	v_cmp_ne_u32_e32 vcc_lo, 0, v1
	v_sub_nc_u32_e32 v8, 0x3f1, v7
	v_cndmask_b32_e64 v1, 0, 1, vcc_lo
	s_delay_alu instid0(VALU_DEP_1) | instskip(NEXT) | instid1(VALU_DEP_3)
	v_and_or_b32 v1, 0xffe, v4, v1
	v_med3_i32 v4, v8, 0, 13
	s_delay_alu instid0(VALU_DEP_2) | instskip(NEXT) | instid1(VALU_DEP_1)
	v_or_b32_e32 v8, 0x1000, v1
	v_lshrrev_b32_e32 v9, v4, v8
	s_delay_alu instid0(VALU_DEP_1) | instskip(NEXT) | instid1(VALU_DEP_1)
	v_lshlrev_b32_e32 v4, v4, v9
	v_cmp_ne_u32_e32 vcc_lo, v4, v8
	v_cndmask_b32_e64 v4, 0, 1, vcc_lo
	s_delay_alu instid0(VALU_DEP_1) | instskip(SKIP_1) | instid1(VALU_DEP_1)
	v_or_b32_e32 v4, v9, v4
	v_add_nc_u32_e32 v7, 0xfffffc10, v7
	v_lshl_or_b32 v8, v7, 12, v1
	v_cmp_gt_i32_e32 vcc_lo, 1, v7
	s_delay_alu instid0(VALU_DEP_2) | instskip(NEXT) | instid1(VALU_DEP_1)
	v_cndmask_b32_e32 v4, v8, v4, vcc_lo
	v_dual_lshrrev_b32 v4, 2, v4 :: v_dual_bitop2_b32 v8, 7, v4 bitop3:0x40
	s_delay_alu instid0(VALU_DEP_1) | instskip(SKIP_4) | instid1(VALU_DEP_2)
	v_cmp_lt_i32_e32 vcc_lo, 5, v8
	v_cndmask_b32_e64 v9, 0, 1, vcc_lo
	v_cmp_eq_u32_e32 vcc_lo, 3, v8
	v_cndmask_b32_e64 v8, 0, 1, vcc_lo
	v_cmp_ne_u32_e32 vcc_lo, 0, v1
	v_or_b32_e32 v8, v8, v9
	s_delay_alu instid0(VALU_DEP_1) | instskip(NEXT) | instid1(VALU_DEP_1)
	v_dual_mov_b32 v9, 0x7e00 :: v_dual_add_nc_u32 v4, v4, v8
	v_cndmask_b32_e32 v1, 0x7c00, v9, vcc_lo
	v_cmp_gt_i32_e32 vcc_lo, 31, v7
	s_delay_alu instid0(VALU_DEP_3) | instskip(SKIP_1) | instid1(VALU_DEP_2)
	v_cndmask_b32_e32 v4, 0x7c00, v4, vcc_lo
	v_cmp_eq_u32_e32 vcc_lo, 0x40f, v7
	v_cndmask_b32_e32 v1, v4, v1, vcc_lo
	v_lshrrev_b32_e32 v4, 16, v5
	s_delay_alu instid0(VALU_DEP_1)
	v_and_or_b32 v7, 0x8000, v4, v1
	s_branch .LBB182_1648
.LBB182_1646:
	s_mov_b32 s2, -1
                                        ; implicit-def: $vgpr7
	s_branch .LBB182_1651
.LBB182_1647:
	s_mov_b32 s2, -1
                                        ; implicit-def: $vgpr7
.LBB182_1648:
	s_delay_alu instid0(SALU_CYCLE_1)
	s_and_not1_b32 vcc_lo, exec_lo, s2
	s_cbranch_vccnz .LBB182_1650
; %bb.1649:
	global_load_b32 v1, v[2:3], off
	s_wait_loadcnt 0x0
	v_cvt_f16_f32_e32 v7, v1
.LBB182_1650:
	s_mov_b32 s2, 0
.LBB182_1651:
	s_delay_alu instid0(SALU_CYCLE_1)
	s_and_not1_b32 vcc_lo, exec_lo, s2
	s_cbranch_vccnz .LBB182_1653
; %bb.1652:
	s_wait_loadcnt 0x0
	global_load_u16 v7, v[2:3], off
.LBB182_1653:
	s_cbranch_execnz .LBB182_1672
.LBB182_1654:
	s_cmp_lt_i32 s1, 2
	s_cbranch_scc1 .LBB182_1658
; %bb.1655:
	s_cmp_lt_i32 s1, 3
	s_cbranch_scc1 .LBB182_1659
; %bb.1656:
	s_cmp_gt_i32 s1, 3
	s_cbranch_scc0 .LBB182_1660
; %bb.1657:
	global_load_b64 v[4:5], v[2:3], off
	s_mov_b32 s2, 0
	s_wait_loadcnt 0x0
	v_xor_b32_e32 v1, v4, v5
	v_cls_i32_e32 v7, v5
	s_delay_alu instid0(VALU_DEP_2) | instskip(NEXT) | instid1(VALU_DEP_1)
	v_ashrrev_i32_e32 v1, 31, v1
	v_add_nc_u32_e32 v1, 32, v1
	s_delay_alu instid0(VALU_DEP_1) | instskip(NEXT) | instid1(VALU_DEP_1)
	v_add_min_u32_e64 v1, v7, -1, v1
	v_lshlrev_b64_e32 v[4:5], v1, v[4:5]
	v_sub_nc_u32_e32 v1, 32, v1
	s_delay_alu instid0(VALU_DEP_2) | instskip(NEXT) | instid1(VALU_DEP_1)
	v_min_u32_e32 v4, 1, v4
	v_or_b32_e32 v4, v5, v4
	s_delay_alu instid0(VALU_DEP_1) | instskip(NEXT) | instid1(VALU_DEP_1)
	v_cvt_f32_i32_e32 v4, v4
	v_ldexp_f32 v1, v4, v1
	s_delay_alu instid0(VALU_DEP_1)
	v_cvt_f16_f32_e32 v7, v1
	s_branch .LBB182_1661
.LBB182_1658:
                                        ; implicit-def: $vgpr7
	s_branch .LBB182_1667
.LBB182_1659:
	s_mov_b32 s2, -1
                                        ; implicit-def: $vgpr7
	s_branch .LBB182_1664
.LBB182_1660:
	s_mov_b32 s2, -1
                                        ; implicit-def: $vgpr7
.LBB182_1661:
	s_delay_alu instid0(SALU_CYCLE_1)
	s_and_not1_b32 vcc_lo, exec_lo, s2
	s_cbranch_vccnz .LBB182_1663
; %bb.1662:
	global_load_b32 v1, v[2:3], off
	s_wait_loadcnt 0x0
	v_cvt_f32_i32_e32 v1, v1
	s_delay_alu instid0(VALU_DEP_1)
	v_cvt_f16_f32_e32 v7, v1
.LBB182_1663:
	s_mov_b32 s2, 0
.LBB182_1664:
	s_delay_alu instid0(SALU_CYCLE_1)
	s_and_not1_b32 vcc_lo, exec_lo, s2
	s_cbranch_vccnz .LBB182_1666
; %bb.1665:
	global_load_u16 v1, v[2:3], off
	s_wait_loadcnt 0x0
	v_cvt_f16_i16_e32 v7, v1
.LBB182_1666:
	s_cbranch_execnz .LBB182_1672
.LBB182_1667:
	s_cmp_gt_i32 s1, 0
	s_mov_b32 s1, 0
	s_cbranch_scc0 .LBB182_1669
; %bb.1668:
	global_load_i8 v1, v[2:3], off
	s_wait_loadcnt 0x0
	v_cvt_f16_i16_e32 v7, v1
	s_branch .LBB182_1670
.LBB182_1669:
	s_mov_b32 s1, -1
                                        ; implicit-def: $vgpr7
.LBB182_1670:
	s_delay_alu instid0(SALU_CYCLE_1)
	s_and_not1_b32 vcc_lo, exec_lo, s1
	s_cbranch_vccnz .LBB182_1672
; %bb.1671:
	global_load_u8 v1, v[2:3], off
	s_wait_loadcnt 0x0
	v_cvt_f16_u16_e32 v7, v1
.LBB182_1672:
.LBB182_1673:
	s_wait_xcnt 0x0
	v_mul_lo_u32 v2, s10, v6
	s_and_b32 s1, s14, 0xff
	s_delay_alu instid0(SALU_CYCLE_1) | instskip(NEXT) | instid1(VALU_DEP_1)
	s_cmp_lt_i32 s1, 11
	v_ashrrev_i32_e32 v3, 31, v2
	s_delay_alu instid0(VALU_DEP_1)
	v_add_nc_u64_e32 v[4:5], s[12:13], v[2:3]
	s_cbranch_scc1 .LBB182_1680
; %bb.1674:
	s_and_b32 s2, 0xffff, s1
	s_mov_b32 s16, 0
	s_cmp_gt_i32 s2, 25
	s_cbranch_scc0 .LBB182_1682
; %bb.1675:
	s_cmp_gt_i32 s2, 28
	s_cbranch_scc0 .LBB182_1683
; %bb.1676:
	s_cmp_gt_i32 s2, 43
	s_cbranch_scc0 .LBB182_1684
; %bb.1677:
	s_cmp_gt_i32 s2, 45
	s_cbranch_scc0 .LBB182_1686
; %bb.1678:
	s_cmp_eq_u32 s2, 46
	s_mov_b32 s20, 0
	s_cbranch_scc0 .LBB182_1689
; %bb.1679:
	global_load_b32 v1, v[4:5], off
	s_mov_b32 s14, 0
	s_mov_b32 s19, -1
	s_wait_loadcnt 0x0
	v_lshlrev_b32_e32 v1, 16, v1
	s_delay_alu instid0(VALU_DEP_1)
	v_cvt_f16_f32_e32 v8, v1
	s_branch .LBB182_1691
.LBB182_1680:
	s_mov_b32 s19, 0
                                        ; implicit-def: $vgpr8
	s_cbranch_execnz .LBB182_1756
.LBB182_1681:
	s_and_not1_b32 vcc_lo, exec_lo, s19
	s_cbranch_vccnz .LBB182_3022
	s_branch .LBB182_1803
.LBB182_1682:
	s_mov_b32 s19, 0
	s_mov_b32 s14, 0
                                        ; implicit-def: $vgpr8
	s_cbranch_execnz .LBB182_1720
	s_branch .LBB182_1752
.LBB182_1683:
	s_mov_b32 s20, -1
	s_mov_b32 s19, 0
	s_mov_b32 s14, 0
                                        ; implicit-def: $vgpr8
	s_branch .LBB182_1701
.LBB182_1684:
	s_mov_b32 s20, -1
	s_mov_b32 s19, 0
	s_mov_b32 s14, 0
                                        ; implicit-def: $vgpr8
	s_branch .LBB182_1696
.LBB182_1685:
	s_or_b32 s15, s18, exec_lo
	s_trap 2
	s_cbranch_execz .LBB182_1626
	s_branch .LBB182_1627
.LBB182_1686:
	s_mov_b32 s20, -1
	s_mov_b32 s19, 0
	s_mov_b32 s14, 0
	s_branch .LBB182_1690
.LBB182_1687:
	s_and_not1_saveexec_b32 s25, s25
	s_cbranch_execz .LBB182_1472
.LBB182_1688:
	v_add_f32_e32 v2, 0x42800000, v3
	s_and_not1_b32 s24, s24, exec_lo
	s_delay_alu instid0(VALU_DEP_1) | instskip(NEXT) | instid1(VALU_DEP_1)
	v_and_b32_e32 v2, 0xff, v2
	v_cmp_ne_u32_e32 vcc_lo, 0, v2
	s_and_b32 s26, vcc_lo, exec_lo
	s_delay_alu instid0(SALU_CYCLE_1)
	s_or_b32 s24, s24, s26
	s_or_b32 exec_lo, exec_lo, s25
	v_mov_b32_e32 v4, 0
	s_and_saveexec_b32 s25, s24
	s_cbranch_execnz .LBB182_1473
	s_branch .LBB182_1474
.LBB182_1689:
	s_mov_b32 s14, -1
	s_mov_b32 s19, 0
.LBB182_1690:
                                        ; implicit-def: $vgpr8
.LBB182_1691:
	s_and_b32 vcc_lo, exec_lo, s20
	s_cbranch_vccz .LBB182_1695
; %bb.1692:
	s_cmp_eq_u32 s2, 44
	s_cbranch_scc0 .LBB182_1694
; %bb.1693:
	global_load_u8 v1, v[4:5], off
	s_mov_b32 s14, 0
	s_mov_b32 s19, -1
	s_wait_loadcnt 0x0
	v_lshlrev_b32_e32 v3, 23, v1
	v_cmp_ne_u32_e32 vcc_lo, 0xff, v1
	s_delay_alu instid0(VALU_DEP_2) | instskip(NEXT) | instid1(VALU_DEP_1)
	v_cvt_f16_f32_e32 v3, v3
	v_cndmask_b32_e32 v3, 0x7e00, v3, vcc_lo
	v_cmp_ne_u32_e32 vcc_lo, 0, v1
	s_delay_alu instid0(VALU_DEP_2)
	v_cndmask_b32_e32 v8, 0, v3, vcc_lo
	s_branch .LBB182_1695
.LBB182_1694:
	s_mov_b32 s14, -1
                                        ; implicit-def: $vgpr8
.LBB182_1695:
	s_mov_b32 s20, 0
.LBB182_1696:
	s_delay_alu instid0(SALU_CYCLE_1)
	s_and_b32 vcc_lo, exec_lo, s20
	s_cbranch_vccz .LBB182_1700
; %bb.1697:
	s_cmp_eq_u32 s2, 29
	s_cbranch_scc0 .LBB182_1699
; %bb.1698:
	global_load_b64 v[8:9], v[4:5], off
	s_mov_b32 s14, 0
	s_mov_b32 s19, -1
	s_mov_b32 s20, 0
	s_wait_loadcnt 0x0
	v_clz_i32_u32_e32 v1, v9
	s_delay_alu instid0(VALU_DEP_1) | instskip(NEXT) | instid1(VALU_DEP_1)
	v_min_u32_e32 v1, 32, v1
	v_lshlrev_b64_e32 v[8:9], v1, v[8:9]
	v_sub_nc_u32_e32 v1, 32, v1
	s_delay_alu instid0(VALU_DEP_2) | instskip(NEXT) | instid1(VALU_DEP_1)
	v_min_u32_e32 v3, 1, v8
	v_or_b32_e32 v3, v9, v3
	s_delay_alu instid0(VALU_DEP_1) | instskip(NEXT) | instid1(VALU_DEP_1)
	v_cvt_f32_u32_e32 v3, v3
	v_ldexp_f32 v1, v3, v1
	s_delay_alu instid0(VALU_DEP_1)
	v_cvt_f16_f32_e32 v8, v1
	s_branch .LBB182_1701
.LBB182_1699:
	s_mov_b32 s14, -1
                                        ; implicit-def: $vgpr8
.LBB182_1700:
	s_mov_b32 s20, 0
.LBB182_1701:
	s_delay_alu instid0(SALU_CYCLE_1)
	s_and_b32 vcc_lo, exec_lo, s20
	s_cbranch_vccz .LBB182_1719
; %bb.1702:
	s_cmp_lt_i32 s2, 27
	s_cbranch_scc1 .LBB182_1705
; %bb.1703:
	s_cmp_gt_i32 s2, 27
	s_cbranch_scc0 .LBB182_1706
; %bb.1704:
	global_load_b32 v1, v[4:5], off
	s_mov_b32 s19, 0
	s_wait_loadcnt 0x0
	v_cvt_f32_u32_e32 v1, v1
	s_delay_alu instid0(VALU_DEP_1)
	v_cvt_f16_f32_e32 v8, v1
	s_branch .LBB182_1707
.LBB182_1705:
	s_mov_b32 s19, -1
                                        ; implicit-def: $vgpr8
	s_branch .LBB182_1710
.LBB182_1706:
	s_mov_b32 s19, -1
                                        ; implicit-def: $vgpr8
.LBB182_1707:
	s_delay_alu instid0(SALU_CYCLE_1)
	s_and_not1_b32 vcc_lo, exec_lo, s19
	s_cbranch_vccnz .LBB182_1709
; %bb.1708:
	global_load_u16 v1, v[4:5], off
	s_wait_loadcnt 0x0
	v_cvt_f16_u16_e32 v8, v1
.LBB182_1709:
	s_mov_b32 s19, 0
.LBB182_1710:
	s_delay_alu instid0(SALU_CYCLE_1)
	s_and_not1_b32 vcc_lo, exec_lo, s19
	s_cbranch_vccnz .LBB182_1718
; %bb.1711:
	global_load_u8 v1, v[4:5], off
	s_mov_b32 s19, 0
	s_mov_b32 s20, exec_lo
	s_wait_loadcnt 0x0
	v_cmpx_lt_i16_e32 0x7f, v1
	s_xor_b32 s20, exec_lo, s20
	s_cbranch_execz .LBB182_1731
; %bb.1712:
	s_mov_b32 s19, -1
	s_mov_b32 s21, exec_lo
	v_cmpx_eq_u16_e32 0x80, v1
; %bb.1713:
	s_xor_b32 s19, exec_lo, -1
; %bb.1714:
	s_or_b32 exec_lo, exec_lo, s21
	s_delay_alu instid0(SALU_CYCLE_1)
	s_and_b32 s19, s19, exec_lo
	s_or_saveexec_b32 s20, s20
	v_mov_b32_e32 v8, 0x7e00
	s_xor_b32 exec_lo, exec_lo, s20
	s_cbranch_execnz .LBB182_1732
.LBB182_1715:
	s_or_b32 exec_lo, exec_lo, s20
	s_and_saveexec_b32 s20, s19
	s_cbranch_execz .LBB182_1717
.LBB182_1716:
	v_and_b32_e32 v3, 0xffff, v1
	s_delay_alu instid0(VALU_DEP_1) | instskip(SKIP_1) | instid1(VALU_DEP_2)
	v_and_b32_e32 v8, 7, v3
	v_bfe_u32 v11, v3, 3, 4
	v_clz_i32_u32_e32 v9, v8
	s_delay_alu instid0(VALU_DEP_2) | instskip(NEXT) | instid1(VALU_DEP_2)
	v_cmp_eq_u32_e32 vcc_lo, 0, v11
	v_min_u32_e32 v9, 32, v9
	s_delay_alu instid0(VALU_DEP_1) | instskip(NEXT) | instid1(VALU_DEP_1)
	v_subrev_nc_u32_e32 v10, 28, v9
	v_dual_lshlrev_b32 v3, v10, v3 :: v_dual_sub_nc_u32 v9, 29, v9
	s_delay_alu instid0(VALU_DEP_1) | instskip(NEXT) | instid1(VALU_DEP_1)
	v_dual_lshlrev_b32 v1, 24, v1 :: v_dual_bitop2_b32 v3, 7, v3 bitop3:0x40
	v_dual_cndmask_b32 v3, v8, v3, vcc_lo :: v_dual_cndmask_b32 v9, v11, v9, vcc_lo
	s_delay_alu instid0(VALU_DEP_2) | instskip(NEXT) | instid1(VALU_DEP_2)
	v_and_b32_e32 v1, 0x80000000, v1
	v_lshlrev_b32_e32 v3, 20, v3
	s_delay_alu instid0(VALU_DEP_3) | instskip(NEXT) | instid1(VALU_DEP_1)
	v_lshl_add_u32 v8, v9, 23, 0x3b800000
	v_or3_b32 v1, v1, v8, v3
	s_delay_alu instid0(VALU_DEP_1)
	v_cvt_f16_f32_e32 v8, v1
.LBB182_1717:
	s_or_b32 exec_lo, exec_lo, s20
.LBB182_1718:
	s_mov_b32 s19, -1
.LBB182_1719:
	s_branch .LBB182_1752
.LBB182_1720:
	s_cmp_gt_i32 s2, 22
	s_cbranch_scc0 .LBB182_1730
; %bb.1721:
	s_cmp_lt_i32 s2, 24
	s_cbranch_scc1 .LBB182_1733
; %bb.1722:
	s_cmp_gt_i32 s2, 24
	s_cbranch_scc0 .LBB182_1734
; %bb.1723:
	global_load_u8 v1, v[4:5], off
	s_mov_b32 s19, exec_lo
	s_wait_loadcnt 0x0
	v_cmpx_lt_i16_e32 0x7f, v1
	s_xor_b32 s19, exec_lo, s19
	s_cbranch_execz .LBB182_1746
; %bb.1724:
	s_mov_b32 s16, -1
	s_mov_b32 s20, exec_lo
	v_cmpx_eq_u16_e32 0x80, v1
; %bb.1725:
	s_xor_b32 s16, exec_lo, -1
; %bb.1726:
	s_or_b32 exec_lo, exec_lo, s20
	s_delay_alu instid0(SALU_CYCLE_1)
	s_and_b32 s16, s16, exec_lo
	s_or_saveexec_b32 s19, s19
	v_mov_b32_e32 v8, 0x7e00
	s_xor_b32 exec_lo, exec_lo, s19
	s_cbranch_execnz .LBB182_1747
.LBB182_1727:
	s_or_b32 exec_lo, exec_lo, s19
	s_and_saveexec_b32 s19, s16
	s_cbranch_execz .LBB182_1729
.LBB182_1728:
	v_and_b32_e32 v3, 0xffff, v1
	s_delay_alu instid0(VALU_DEP_1) | instskip(SKIP_1) | instid1(VALU_DEP_2)
	v_and_b32_e32 v8, 3, v3
	v_bfe_u32 v11, v3, 2, 5
	v_clz_i32_u32_e32 v9, v8
	s_delay_alu instid0(VALU_DEP_2) | instskip(NEXT) | instid1(VALU_DEP_2)
	v_cmp_eq_u32_e32 vcc_lo, 0, v11
	v_min_u32_e32 v9, 32, v9
	s_delay_alu instid0(VALU_DEP_1) | instskip(NEXT) | instid1(VALU_DEP_1)
	v_subrev_nc_u32_e32 v10, 29, v9
	v_dual_lshlrev_b32 v3, v10, v3 :: v_dual_sub_nc_u32 v9, 30, v9
	s_delay_alu instid0(VALU_DEP_1) | instskip(NEXT) | instid1(VALU_DEP_1)
	v_dual_lshlrev_b32 v1, 24, v1 :: v_dual_bitop2_b32 v3, 3, v3 bitop3:0x40
	v_dual_cndmask_b32 v3, v8, v3, vcc_lo :: v_dual_cndmask_b32 v9, v11, v9, vcc_lo
	s_delay_alu instid0(VALU_DEP_2) | instskip(NEXT) | instid1(VALU_DEP_2)
	v_and_b32_e32 v1, 0x80000000, v1
	v_lshlrev_b32_e32 v3, 21, v3
	s_delay_alu instid0(VALU_DEP_3) | instskip(NEXT) | instid1(VALU_DEP_1)
	v_lshl_add_u32 v8, v9, 23, 0x37800000
	v_or3_b32 v1, v1, v8, v3
	s_delay_alu instid0(VALU_DEP_1)
	v_cvt_f16_f32_e32 v8, v1
.LBB182_1729:
	s_or_b32 exec_lo, exec_lo, s19
	s_mov_b32 s16, 0
	s_branch .LBB182_1735
.LBB182_1730:
	s_mov_b32 s16, -1
                                        ; implicit-def: $vgpr8
	s_branch .LBB182_1741
.LBB182_1731:
	s_or_saveexec_b32 s20, s20
	v_mov_b32_e32 v8, 0x7e00
	s_xor_b32 exec_lo, exec_lo, s20
	s_cbranch_execz .LBB182_1715
.LBB182_1732:
	v_cmp_ne_u16_e32 vcc_lo, 0, v1
	v_mov_b32_e32 v8, v1
	s_and_not1_b32 s19, s19, exec_lo
	s_and_b32 s21, vcc_lo, exec_lo
	s_delay_alu instid0(SALU_CYCLE_1)
	s_or_b32 s19, s19, s21
	s_or_b32 exec_lo, exec_lo, s20
	s_and_saveexec_b32 s20, s19
	s_cbranch_execnz .LBB182_1716
	s_branch .LBB182_1717
.LBB182_1733:
	s_mov_b32 s16, -1
                                        ; implicit-def: $vgpr8
	s_branch .LBB182_1738
.LBB182_1734:
	s_mov_b32 s16, -1
                                        ; implicit-def: $vgpr8
.LBB182_1735:
	s_delay_alu instid0(SALU_CYCLE_1)
	s_and_b32 vcc_lo, exec_lo, s16
	s_cbranch_vccz .LBB182_1737
; %bb.1736:
	global_load_u8 v1, v[4:5], off
	s_wait_loadcnt 0x0
	v_lshlrev_b32_e32 v1, 24, v1
	s_delay_alu instid0(VALU_DEP_1) | instskip(NEXT) | instid1(VALU_DEP_1)
	v_and_b32_e32 v3, 0x7f000000, v1
	v_clz_i32_u32_e32 v8, v3
	v_cmp_ne_u32_e32 vcc_lo, 0, v3
	v_add_nc_u32_e32 v10, 0x1000000, v3
	s_delay_alu instid0(VALU_DEP_3) | instskip(NEXT) | instid1(VALU_DEP_1)
	v_min_u32_e32 v8, 32, v8
	v_sub_nc_u32_e64 v8, v8, 4 clamp
	s_delay_alu instid0(VALU_DEP_1) | instskip(NEXT) | instid1(VALU_DEP_1)
	v_dual_lshlrev_b32 v9, v8, v3 :: v_dual_lshlrev_b32 v8, 23, v8
	v_lshrrev_b32_e32 v9, 4, v9
	s_delay_alu instid0(VALU_DEP_1) | instskip(NEXT) | instid1(VALU_DEP_1)
	v_dual_sub_nc_u32 v8, v9, v8 :: v_dual_ashrrev_i32 v9, 8, v10
	v_add_nc_u32_e32 v8, 0x3c000000, v8
	s_delay_alu instid0(VALU_DEP_1) | instskip(NEXT) | instid1(VALU_DEP_1)
	v_and_or_b32 v8, 0x7f800000, v9, v8
	v_cndmask_b32_e32 v3, 0, v8, vcc_lo
	s_delay_alu instid0(VALU_DEP_1) | instskip(NEXT) | instid1(VALU_DEP_1)
	v_and_or_b32 v1, 0x80000000, v1, v3
	v_cvt_f16_f32_e32 v8, v1
.LBB182_1737:
	s_mov_b32 s16, 0
.LBB182_1738:
	s_delay_alu instid0(SALU_CYCLE_1)
	s_and_not1_b32 vcc_lo, exec_lo, s16
	s_cbranch_vccnz .LBB182_1740
; %bb.1739:
	global_load_u8 v1, v[4:5], off
	s_wait_loadcnt 0x0
	v_lshlrev_b32_e32 v3, 25, v1
	v_lshlrev_b16 v1, 8, v1
	s_delay_alu instid0(VALU_DEP_1) | instskip(NEXT) | instid1(VALU_DEP_3)
	v_and_or_b32 v9, 0x7f00, v1, 0.5
	v_lshrrev_b32_e32 v8, 4, v3
	v_bfe_i32 v1, v1, 0, 16
	s_delay_alu instid0(VALU_DEP_3) | instskip(NEXT) | instid1(VALU_DEP_3)
	v_add_f32_e32 v9, -0.5, v9
	v_or_b32_e32 v8, 0x70000000, v8
	s_delay_alu instid0(VALU_DEP_1) | instskip(SKIP_1) | instid1(VALU_DEP_2)
	v_mul_f32_e32 v8, 0x7800000, v8
	v_cmp_gt_u32_e32 vcc_lo, 0x8000000, v3
	v_cndmask_b32_e32 v3, v8, v9, vcc_lo
	s_delay_alu instid0(VALU_DEP_1) | instskip(NEXT) | instid1(VALU_DEP_1)
	v_and_or_b32 v1, 0x80000000, v1, v3
	v_cvt_f16_f32_e32 v8, v1
.LBB182_1740:
	s_mov_b32 s16, 0
	s_mov_b32 s19, -1
.LBB182_1741:
	s_and_not1_b32 vcc_lo, exec_lo, s16
	s_mov_b32 s16, 0
	s_cbranch_vccnz .LBB182_1752
; %bb.1742:
	s_cmp_gt_i32 s2, 14
	s_cbranch_scc0 .LBB182_1745
; %bb.1743:
	s_cmp_eq_u32 s2, 15
	s_cbranch_scc0 .LBB182_1748
; %bb.1744:
	global_load_u16 v1, v[4:5], off
	s_mov_b32 s14, 0
	s_mov_b32 s19, -1
	s_wait_loadcnt 0x0
	v_lshlrev_b32_e32 v1, 16, v1
	s_delay_alu instid0(VALU_DEP_1)
	v_cvt_f16_f32_e32 v8, v1
	s_branch .LBB182_1750
.LBB182_1745:
	s_mov_b32 s16, -1
	s_branch .LBB182_1749
.LBB182_1746:
	s_or_saveexec_b32 s19, s19
	v_mov_b32_e32 v8, 0x7e00
	s_xor_b32 exec_lo, exec_lo, s19
	s_cbranch_execz .LBB182_1727
.LBB182_1747:
	v_cmp_ne_u16_e32 vcc_lo, 0, v1
	v_mov_b32_e32 v8, v1
	s_and_not1_b32 s16, s16, exec_lo
	s_and_b32 s20, vcc_lo, exec_lo
	s_delay_alu instid0(SALU_CYCLE_1)
	s_or_b32 s16, s16, s20
	s_or_b32 exec_lo, exec_lo, s19
	s_and_saveexec_b32 s19, s16
	s_cbranch_execnz .LBB182_1728
	s_branch .LBB182_1729
.LBB182_1748:
	s_mov_b32 s14, -1
.LBB182_1749:
                                        ; implicit-def: $vgpr8
.LBB182_1750:
	s_and_b32 vcc_lo, exec_lo, s16
	s_mov_b32 s16, 0
	s_cbranch_vccz .LBB182_1752
; %bb.1751:
	s_cmp_lg_u32 s2, 11
	s_mov_b32 s16, -1
	s_cselect_b32 s14, -1, 0
.LBB182_1752:
	s_delay_alu instid0(SALU_CYCLE_1)
	s_and_b32 vcc_lo, exec_lo, s14
	s_cbranch_vccnz .LBB182_1815
; %bb.1753:
	s_and_not1_b32 vcc_lo, exec_lo, s16
	s_cbranch_vccnz .LBB182_1755
.LBB182_1754:
	global_load_u8 v1, v[4:5], off
	s_mov_b32 s19, -1
	s_wait_loadcnt 0x0
	v_cmp_ne_u16_e32 vcc_lo, 0, v1
	v_cndmask_b32_e64 v8, 0, 0x3c00, vcc_lo
.LBB182_1755:
	s_branch .LBB182_1681
.LBB182_1756:
	s_and_b32 s2, 0xffff, s1
	s_delay_alu instid0(SALU_CYCLE_1)
	s_cmp_lt_i32 s2, 5
	s_cbranch_scc1 .LBB182_1761
; %bb.1757:
	s_cmp_lt_i32 s2, 8
	s_cbranch_scc1 .LBB182_1762
; %bb.1758:
	;; [unrolled: 3-line block ×3, first 2 shown]
	s_cmp_gt_i32 s2, 9
	s_cbranch_scc0 .LBB182_1764
; %bb.1760:
	global_load_b64 v[8:9], v[4:5], off
	s_mov_b32 s14, 0
	s_wait_loadcnt 0x0
	v_and_or_b32 v1, 0x1ff, v9, v8
	v_lshrrev_b32_e32 v3, 8, v9
	v_bfe_u32 v8, v9, 20, 11
	s_delay_alu instid0(VALU_DEP_3) | instskip(NEXT) | instid1(VALU_DEP_2)
	v_cmp_ne_u32_e32 vcc_lo, 0, v1
	v_sub_nc_u32_e32 v10, 0x3f1, v8
	v_add_nc_u32_e32 v8, 0xfffffc10, v8
	v_cndmask_b32_e64 v1, 0, 1, vcc_lo
	s_delay_alu instid0(VALU_DEP_1) | instskip(NEXT) | instid1(VALU_DEP_4)
	v_and_or_b32 v1, 0xffe, v3, v1
	v_med3_i32 v3, v10, 0, 13
	s_delay_alu instid0(VALU_DEP_2) | instskip(NEXT) | instid1(VALU_DEP_1)
	v_or_b32_e32 v10, 0x1000, v1
	v_lshrrev_b32_e32 v11, v3, v10
	s_delay_alu instid0(VALU_DEP_1) | instskip(NEXT) | instid1(VALU_DEP_1)
	v_lshlrev_b32_e32 v3, v3, v11
	v_cmp_ne_u32_e32 vcc_lo, v3, v10
	v_lshl_or_b32 v10, v8, 12, v1
	v_cndmask_b32_e64 v3, 0, 1, vcc_lo
	v_cmp_gt_i32_e32 vcc_lo, 1, v8
	s_delay_alu instid0(VALU_DEP_2) | instskip(NEXT) | instid1(VALU_DEP_1)
	v_or_b32_e32 v3, v11, v3
	v_cndmask_b32_e32 v3, v10, v3, vcc_lo
	s_delay_alu instid0(VALU_DEP_1) | instskip(NEXT) | instid1(VALU_DEP_1)
	v_dual_lshrrev_b32 v3, 2, v3 :: v_dual_bitop2_b32 v10, 7, v3 bitop3:0x40
	v_cmp_lt_i32_e32 vcc_lo, 5, v10
	v_cndmask_b32_e64 v11, 0, 1, vcc_lo
	v_cmp_eq_u32_e32 vcc_lo, 3, v10
	v_cndmask_b32_e64 v10, 0, 1, vcc_lo
	v_cmp_ne_u32_e32 vcc_lo, 0, v1
	s_delay_alu instid0(VALU_DEP_2) | instskip(SKIP_1) | instid1(VALU_DEP_2)
	v_or_b32_e32 v10, v10, v11
	v_mov_b32_e32 v11, 0x7e00
	v_add_nc_u32_e32 v3, v3, v10
	s_delay_alu instid0(VALU_DEP_2) | instskip(SKIP_1) | instid1(VALU_DEP_3)
	v_cndmask_b32_e32 v1, 0x7c00, v11, vcc_lo
	v_cmp_gt_i32_e32 vcc_lo, 31, v8
	v_cndmask_b32_e32 v3, 0x7c00, v3, vcc_lo
	v_cmp_eq_u32_e32 vcc_lo, 0x40f, v8
	s_delay_alu instid0(VALU_DEP_2) | instskip(SKIP_1) | instid1(VALU_DEP_1)
	v_cndmask_b32_e32 v1, v3, v1, vcc_lo
	v_lshrrev_b32_e32 v3, 16, v9
	v_and_or_b32 v8, 0x8000, v3, v1
	s_branch .LBB182_1765
.LBB182_1761:
                                        ; implicit-def: $vgpr8
	s_branch .LBB182_1783
.LBB182_1762:
	s_mov_b32 s14, -1
                                        ; implicit-def: $vgpr8
	s_branch .LBB182_1771
.LBB182_1763:
	s_mov_b32 s14, -1
                                        ; implicit-def: $vgpr8
	s_branch .LBB182_1768
.LBB182_1764:
	s_mov_b32 s14, -1
                                        ; implicit-def: $vgpr8
.LBB182_1765:
	s_delay_alu instid0(SALU_CYCLE_1)
	s_and_not1_b32 vcc_lo, exec_lo, s14
	s_cbranch_vccnz .LBB182_1767
; %bb.1766:
	global_load_b32 v1, v[4:5], off
	s_wait_loadcnt 0x0
	v_cvt_f16_f32_e32 v8, v1
.LBB182_1767:
	s_mov_b32 s14, 0
.LBB182_1768:
	s_delay_alu instid0(SALU_CYCLE_1)
	s_and_not1_b32 vcc_lo, exec_lo, s14
	s_cbranch_vccnz .LBB182_1770
; %bb.1769:
	global_load_b32 v8, v[4:5], off
.LBB182_1770:
	s_mov_b32 s14, 0
.LBB182_1771:
	s_delay_alu instid0(SALU_CYCLE_1)
	s_and_not1_b32 vcc_lo, exec_lo, s14
	s_cbranch_vccnz .LBB182_1782
; %bb.1772:
	s_cmp_lt_i32 s2, 6
	s_cbranch_scc1 .LBB182_1775
; %bb.1773:
	s_cmp_gt_i32 s2, 6
	s_cbranch_scc0 .LBB182_1776
; %bb.1774:
	s_wait_loadcnt 0x0
	global_load_b64 v[8:9], v[4:5], off
	s_mov_b32 s14, 0
	s_wait_loadcnt 0x0
	v_and_or_b32 v1, 0x1ff, v9, v8
	v_lshrrev_b32_e32 v3, 8, v9
	v_bfe_u32 v8, v9, 20, 11
	s_delay_alu instid0(VALU_DEP_3) | instskip(NEXT) | instid1(VALU_DEP_2)
	v_cmp_ne_u32_e32 vcc_lo, 0, v1
	v_sub_nc_u32_e32 v10, 0x3f1, v8
	v_add_nc_u32_e32 v8, 0xfffffc10, v8
	v_cndmask_b32_e64 v1, 0, 1, vcc_lo
	s_delay_alu instid0(VALU_DEP_1) | instskip(NEXT) | instid1(VALU_DEP_4)
	v_and_or_b32 v1, 0xffe, v3, v1
	v_med3_i32 v3, v10, 0, 13
	s_delay_alu instid0(VALU_DEP_2) | instskip(NEXT) | instid1(VALU_DEP_1)
	v_or_b32_e32 v10, 0x1000, v1
	v_lshrrev_b32_e32 v11, v3, v10
	s_delay_alu instid0(VALU_DEP_1) | instskip(NEXT) | instid1(VALU_DEP_1)
	v_lshlrev_b32_e32 v3, v3, v11
	v_cmp_ne_u32_e32 vcc_lo, v3, v10
	v_lshl_or_b32 v10, v8, 12, v1
	v_cndmask_b32_e64 v3, 0, 1, vcc_lo
	v_cmp_gt_i32_e32 vcc_lo, 1, v8
	s_delay_alu instid0(VALU_DEP_2) | instskip(NEXT) | instid1(VALU_DEP_1)
	v_or_b32_e32 v3, v11, v3
	v_cndmask_b32_e32 v3, v10, v3, vcc_lo
	s_delay_alu instid0(VALU_DEP_1) | instskip(NEXT) | instid1(VALU_DEP_1)
	v_dual_lshrrev_b32 v3, 2, v3 :: v_dual_bitop2_b32 v10, 7, v3 bitop3:0x40
	v_cmp_lt_i32_e32 vcc_lo, 5, v10
	v_cndmask_b32_e64 v11, 0, 1, vcc_lo
	v_cmp_eq_u32_e32 vcc_lo, 3, v10
	v_cndmask_b32_e64 v10, 0, 1, vcc_lo
	v_cmp_ne_u32_e32 vcc_lo, 0, v1
	s_delay_alu instid0(VALU_DEP_2) | instskip(SKIP_1) | instid1(VALU_DEP_2)
	v_or_b32_e32 v10, v10, v11
	v_mov_b32_e32 v11, 0x7e00
	v_add_nc_u32_e32 v3, v3, v10
	s_delay_alu instid0(VALU_DEP_2) | instskip(SKIP_1) | instid1(VALU_DEP_3)
	v_cndmask_b32_e32 v1, 0x7c00, v11, vcc_lo
	v_cmp_gt_i32_e32 vcc_lo, 31, v8
	v_cndmask_b32_e32 v3, 0x7c00, v3, vcc_lo
	v_cmp_eq_u32_e32 vcc_lo, 0x40f, v8
	s_delay_alu instid0(VALU_DEP_2) | instskip(SKIP_1) | instid1(VALU_DEP_1)
	v_cndmask_b32_e32 v1, v3, v1, vcc_lo
	v_lshrrev_b32_e32 v3, 16, v9
	v_and_or_b32 v8, 0x8000, v3, v1
	s_branch .LBB182_1777
.LBB182_1775:
	s_mov_b32 s14, -1
                                        ; implicit-def: $vgpr8
	s_branch .LBB182_1780
.LBB182_1776:
	s_mov_b32 s14, -1
                                        ; implicit-def: $vgpr8
.LBB182_1777:
	s_delay_alu instid0(SALU_CYCLE_1)
	s_and_not1_b32 vcc_lo, exec_lo, s14
	s_cbranch_vccnz .LBB182_1779
; %bb.1778:
	global_load_b32 v1, v[4:5], off
	s_wait_loadcnt 0x0
	v_cvt_f16_f32_e32 v8, v1
.LBB182_1779:
	s_mov_b32 s14, 0
.LBB182_1780:
	s_delay_alu instid0(SALU_CYCLE_1)
	s_and_not1_b32 vcc_lo, exec_lo, s14
	s_cbranch_vccnz .LBB182_1782
; %bb.1781:
	s_wait_loadcnt 0x0
	global_load_u16 v8, v[4:5], off
.LBB182_1782:
	s_cbranch_execnz .LBB182_1802
.LBB182_1783:
	s_cmp_lt_i32 s2, 2
	s_cbranch_scc1 .LBB182_1787
; %bb.1784:
	s_cmp_lt_i32 s2, 3
	s_cbranch_scc1 .LBB182_1788
; %bb.1785:
	s_cmp_gt_i32 s2, 3
	s_cbranch_scc0 .LBB182_1789
; %bb.1786:
	s_wait_loadcnt 0x0
	global_load_b64 v[8:9], v[4:5], off
	s_mov_b32 s14, 0
	s_wait_loadcnt 0x0
	v_xor_b32_e32 v1, v8, v9
	v_cls_i32_e32 v3, v9
	s_delay_alu instid0(VALU_DEP_2) | instskip(NEXT) | instid1(VALU_DEP_1)
	v_ashrrev_i32_e32 v1, 31, v1
	v_add_nc_u32_e32 v1, 32, v1
	s_delay_alu instid0(VALU_DEP_1) | instskip(NEXT) | instid1(VALU_DEP_1)
	v_add_min_u32_e64 v1, v3, -1, v1
	v_lshlrev_b64_e32 v[8:9], v1, v[8:9]
	v_sub_nc_u32_e32 v1, 32, v1
	s_delay_alu instid0(VALU_DEP_2) | instskip(NEXT) | instid1(VALU_DEP_1)
	v_min_u32_e32 v3, 1, v8
	v_or_b32_e32 v3, v9, v3
	s_delay_alu instid0(VALU_DEP_1) | instskip(NEXT) | instid1(VALU_DEP_1)
	v_cvt_f32_i32_e32 v3, v3
	v_ldexp_f32 v1, v3, v1
	s_delay_alu instid0(VALU_DEP_1)
	v_cvt_f16_f32_e32 v8, v1
	s_branch .LBB182_1790
.LBB182_1787:
	s_mov_b32 s14, -1
                                        ; implicit-def: $vgpr8
	s_branch .LBB182_1796
.LBB182_1788:
	s_mov_b32 s14, -1
                                        ; implicit-def: $vgpr8
	s_branch .LBB182_1793
.LBB182_1789:
	s_mov_b32 s14, -1
                                        ; implicit-def: $vgpr8
.LBB182_1790:
	s_delay_alu instid0(SALU_CYCLE_1)
	s_and_not1_b32 vcc_lo, exec_lo, s14
	s_cbranch_vccnz .LBB182_1792
; %bb.1791:
	global_load_b32 v1, v[4:5], off
	s_wait_loadcnt 0x0
	v_cvt_f32_i32_e32 v1, v1
	s_delay_alu instid0(VALU_DEP_1)
	v_cvt_f16_f32_e32 v8, v1
.LBB182_1792:
	s_mov_b32 s14, 0
.LBB182_1793:
	s_delay_alu instid0(SALU_CYCLE_1)
	s_and_not1_b32 vcc_lo, exec_lo, s14
	s_cbranch_vccnz .LBB182_1795
; %bb.1794:
	global_load_u16 v1, v[4:5], off
	s_wait_loadcnt 0x0
	v_cvt_f16_i16_e32 v8, v1
.LBB182_1795:
	s_mov_b32 s14, 0
.LBB182_1796:
	s_delay_alu instid0(SALU_CYCLE_1)
	s_and_not1_b32 vcc_lo, exec_lo, s14
	s_cbranch_vccnz .LBB182_1802
; %bb.1797:
	s_cmp_gt_i32 s2, 0
	s_mov_b32 s2, 0
	s_cbranch_scc0 .LBB182_1799
; %bb.1798:
	global_load_i8 v1, v[4:5], off
	s_wait_loadcnt 0x0
	v_cvt_f16_i16_e32 v8, v1
	s_branch .LBB182_1800
.LBB182_1799:
	s_mov_b32 s2, -1
                                        ; implicit-def: $vgpr8
.LBB182_1800:
	s_delay_alu instid0(SALU_CYCLE_1)
	s_and_not1_b32 vcc_lo, exec_lo, s2
	s_cbranch_vccnz .LBB182_1802
; %bb.1801:
	global_load_u8 v1, v[4:5], off
	s_wait_loadcnt 0x0
	v_cvt_f16_u16_e32 v8, v1
.LBB182_1802:
.LBB182_1803:
	s_lshl_b32 s2, s9, 7
	s_cmp_lt_i32 s0, 11
	v_add_nc_u32_e32 v0, s2, v0
	s_delay_alu instid0(VALU_DEP_1) | instskip(SKIP_1) | instid1(VALU_DEP_1)
	v_ashrrev_i32_e32 v1, 31, v0
	s_wait_xcnt 0x0
	v_add_nc_u64_e32 v[4:5], s[6:7], v[0:1]
	s_cbranch_scc1 .LBB182_1810
; %bb.1804:
	s_and_b32 s9, 0xffff, s0
	s_mov_b32 s16, 0
	s_cmp_gt_i32 s9, 25
	s_cbranch_scc0 .LBB182_1812
; %bb.1805:
	s_cmp_gt_i32 s9, 28
	s_cbranch_scc0 .LBB182_1813
; %bb.1806:
	;; [unrolled: 3-line block ×4, first 2 shown]
	s_cmp_eq_u32 s9, 46
	s_mov_b32 s20, 0
	s_cbranch_scc0 .LBB182_1817
; %bb.1809:
	global_load_b32 v1, v[4:5], off
	s_mov_b32 s14, 0
	s_mov_b32 s19, -1
	s_wait_loadcnt 0x0
	v_lshlrev_b32_e32 v1, 16, v1
	s_delay_alu instid0(VALU_DEP_1)
	v_cvt_f16_f32_e32 v9, v1
	s_branch .LBB182_1819
.LBB182_1810:
	s_mov_b32 s19, 0
                                        ; implicit-def: $vgpr9
	s_cbranch_execnz .LBB182_1885
.LBB182_1811:
	s_and_not1_b32 vcc_lo, exec_lo, s19
	s_cbranch_vccnz .LBB182_3022
	s_branch .LBB182_1933
.LBB182_1812:
	s_mov_b32 s20, -1
	s_mov_b32 s19, 0
	s_mov_b32 s14, 0
                                        ; implicit-def: $vgpr9
	s_branch .LBB182_1848
.LBB182_1813:
	s_mov_b32 s20, -1
	s_mov_b32 s19, 0
	s_mov_b32 s14, 0
                                        ; implicit-def: $vgpr9
	s_branch .LBB182_1829
.LBB182_1814:
	s_mov_b32 s20, -1
	s_mov_b32 s19, 0
	s_mov_b32 s14, 0
                                        ; implicit-def: $vgpr9
	s_branch .LBB182_1824
.LBB182_1815:
	s_or_b32 s15, s15, exec_lo
	s_trap 2
	s_cbranch_execz .LBB182_1754
	s_branch .LBB182_1755
.LBB182_1816:
	s_mov_b32 s20, -1
	s_mov_b32 s19, 0
	s_mov_b32 s14, 0
	s_branch .LBB182_1818
.LBB182_1817:
	s_mov_b32 s14, -1
	s_mov_b32 s19, 0
.LBB182_1818:
                                        ; implicit-def: $vgpr9
.LBB182_1819:
	s_and_b32 vcc_lo, exec_lo, s20
	s_cbranch_vccz .LBB182_1823
; %bb.1820:
	s_cmp_eq_u32 s9, 44
	s_cbranch_scc0 .LBB182_1822
; %bb.1821:
	global_load_u8 v1, v[4:5], off
	s_mov_b32 s14, 0
	s_mov_b32 s19, -1
	s_wait_loadcnt 0x0
	v_lshlrev_b32_e32 v3, 23, v1
	v_cmp_ne_u32_e32 vcc_lo, 0xff, v1
	s_delay_alu instid0(VALU_DEP_2) | instskip(NEXT) | instid1(VALU_DEP_1)
	v_cvt_f16_f32_e32 v3, v3
	v_cndmask_b32_e32 v3, 0x7e00, v3, vcc_lo
	v_cmp_ne_u32_e32 vcc_lo, 0, v1
	s_delay_alu instid0(VALU_DEP_2)
	v_cndmask_b32_e32 v9, 0, v3, vcc_lo
	s_branch .LBB182_1823
.LBB182_1822:
	s_mov_b32 s14, -1
                                        ; implicit-def: $vgpr9
.LBB182_1823:
	s_mov_b32 s20, 0
.LBB182_1824:
	s_delay_alu instid0(SALU_CYCLE_1)
	s_and_b32 vcc_lo, exec_lo, s20
	s_cbranch_vccz .LBB182_1828
; %bb.1825:
	s_cmp_eq_u32 s9, 29
	s_cbranch_scc0 .LBB182_1827
; %bb.1826:
	global_load_b64 v[10:11], v[4:5], off
	s_mov_b32 s14, 0
	s_mov_b32 s19, -1
	s_mov_b32 s20, 0
	s_wait_loadcnt 0x0
	v_clz_i32_u32_e32 v1, v11
	s_delay_alu instid0(VALU_DEP_1) | instskip(NEXT) | instid1(VALU_DEP_1)
	v_min_u32_e32 v1, 32, v1
	v_lshlrev_b64_e32 v[10:11], v1, v[10:11]
	v_sub_nc_u32_e32 v1, 32, v1
	s_delay_alu instid0(VALU_DEP_2) | instskip(NEXT) | instid1(VALU_DEP_1)
	v_min_u32_e32 v3, 1, v10
	v_or_b32_e32 v3, v11, v3
	s_delay_alu instid0(VALU_DEP_1) | instskip(NEXT) | instid1(VALU_DEP_1)
	v_cvt_f32_u32_e32 v3, v3
	v_ldexp_f32 v1, v3, v1
	s_delay_alu instid0(VALU_DEP_1)
	v_cvt_f16_f32_e32 v9, v1
	s_branch .LBB182_1829
.LBB182_1827:
	s_mov_b32 s14, -1
                                        ; implicit-def: $vgpr9
.LBB182_1828:
	s_mov_b32 s20, 0
.LBB182_1829:
	s_delay_alu instid0(SALU_CYCLE_1)
	s_and_b32 vcc_lo, exec_lo, s20
	s_cbranch_vccz .LBB182_1847
; %bb.1830:
	s_cmp_lt_i32 s9, 27
	s_cbranch_scc1 .LBB182_1833
; %bb.1831:
	s_cmp_gt_i32 s9, 27
	s_cbranch_scc0 .LBB182_1834
; %bb.1832:
	global_load_b32 v1, v[4:5], off
	s_mov_b32 s19, 0
	s_wait_loadcnt 0x0
	v_cvt_f32_u32_e32 v1, v1
	s_delay_alu instid0(VALU_DEP_1)
	v_cvt_f16_f32_e32 v9, v1
	s_branch .LBB182_1835
.LBB182_1833:
	s_mov_b32 s19, -1
                                        ; implicit-def: $vgpr9
	s_branch .LBB182_1838
.LBB182_1834:
	s_mov_b32 s19, -1
                                        ; implicit-def: $vgpr9
.LBB182_1835:
	s_delay_alu instid0(SALU_CYCLE_1)
	s_and_not1_b32 vcc_lo, exec_lo, s19
	s_cbranch_vccnz .LBB182_1837
; %bb.1836:
	global_load_u16 v1, v[4:5], off
	s_wait_loadcnt 0x0
	v_cvt_f16_u16_e32 v9, v1
.LBB182_1837:
	s_mov_b32 s19, 0
.LBB182_1838:
	s_delay_alu instid0(SALU_CYCLE_1)
	s_and_not1_b32 vcc_lo, exec_lo, s19
	s_cbranch_vccnz .LBB182_1846
; %bb.1839:
	global_load_u8 v1, v[4:5], off
	s_mov_b32 s19, 0
	s_mov_b32 s20, exec_lo
	s_wait_loadcnt 0x0
	v_cmpx_lt_i16_e32 0x7f, v1
	s_xor_b32 s20, exec_lo, s20
	s_cbranch_execz .LBB182_1860
; %bb.1840:
	s_mov_b32 s19, -1
	s_mov_b32 s21, exec_lo
	v_cmpx_eq_u16_e32 0x80, v1
; %bb.1841:
	s_xor_b32 s19, exec_lo, -1
; %bb.1842:
	s_or_b32 exec_lo, exec_lo, s21
	s_delay_alu instid0(SALU_CYCLE_1)
	s_and_b32 s19, s19, exec_lo
	s_or_saveexec_b32 s20, s20
	v_mov_b32_e32 v9, 0x7e00
	s_xor_b32 exec_lo, exec_lo, s20
	s_cbranch_execnz .LBB182_1861
.LBB182_1843:
	s_or_b32 exec_lo, exec_lo, s20
	s_and_saveexec_b32 s20, s19
	s_cbranch_execz .LBB182_1845
.LBB182_1844:
	v_and_b32_e32 v3, 0xffff, v1
	s_delay_alu instid0(VALU_DEP_1) | instskip(SKIP_1) | instid1(VALU_DEP_2)
	v_and_b32_e32 v9, 7, v3
	v_bfe_u32 v12, v3, 3, 4
	v_clz_i32_u32_e32 v10, v9
	s_delay_alu instid0(VALU_DEP_2) | instskip(NEXT) | instid1(VALU_DEP_2)
	v_cmp_eq_u32_e32 vcc_lo, 0, v12
	v_min_u32_e32 v10, 32, v10
	s_delay_alu instid0(VALU_DEP_1) | instskip(NEXT) | instid1(VALU_DEP_1)
	v_subrev_nc_u32_e32 v11, 28, v10
	v_dual_lshlrev_b32 v3, v11, v3 :: v_dual_sub_nc_u32 v10, 29, v10
	s_delay_alu instid0(VALU_DEP_1) | instskip(NEXT) | instid1(VALU_DEP_1)
	v_dual_lshlrev_b32 v1, 24, v1 :: v_dual_bitop2_b32 v3, 7, v3 bitop3:0x40
	v_dual_cndmask_b32 v10, v12, v10 :: v_dual_cndmask_b32 v3, v9, v3
	s_delay_alu instid0(VALU_DEP_2) | instskip(NEXT) | instid1(VALU_DEP_2)
	v_and_b32_e32 v1, 0x80000000, v1
	v_lshl_add_u32 v9, v10, 23, 0x3b800000
	s_delay_alu instid0(VALU_DEP_3) | instskip(NEXT) | instid1(VALU_DEP_1)
	v_lshlrev_b32_e32 v3, 20, v3
	v_or3_b32 v1, v1, v9, v3
	s_delay_alu instid0(VALU_DEP_1)
	v_cvt_f16_f32_e32 v9, v1
.LBB182_1845:
	s_or_b32 exec_lo, exec_lo, s20
.LBB182_1846:
	s_mov_b32 s19, -1
.LBB182_1847:
	s_mov_b32 s20, 0
.LBB182_1848:
	s_delay_alu instid0(SALU_CYCLE_1)
	s_and_b32 vcc_lo, exec_lo, s20
	s_cbranch_vccz .LBB182_1881
; %bb.1849:
	s_cmp_gt_i32 s9, 22
	s_cbranch_scc0 .LBB182_1859
; %bb.1850:
	s_cmp_lt_i32 s9, 24
	s_cbranch_scc1 .LBB182_1862
; %bb.1851:
	s_cmp_gt_i32 s9, 24
	s_cbranch_scc0 .LBB182_1863
; %bb.1852:
	global_load_u8 v1, v[4:5], off
	s_mov_b32 s19, exec_lo
	s_wait_loadcnt 0x0
	v_cmpx_lt_i16_e32 0x7f, v1
	s_xor_b32 s19, exec_lo, s19
	s_cbranch_execz .LBB182_1875
; %bb.1853:
	s_mov_b32 s16, -1
	s_mov_b32 s20, exec_lo
	v_cmpx_eq_u16_e32 0x80, v1
; %bb.1854:
	s_xor_b32 s16, exec_lo, -1
; %bb.1855:
	s_or_b32 exec_lo, exec_lo, s20
	s_delay_alu instid0(SALU_CYCLE_1)
	s_and_b32 s16, s16, exec_lo
	s_or_saveexec_b32 s19, s19
	v_mov_b32_e32 v9, 0x7e00
	s_xor_b32 exec_lo, exec_lo, s19
	s_cbranch_execnz .LBB182_1876
.LBB182_1856:
	s_or_b32 exec_lo, exec_lo, s19
	s_and_saveexec_b32 s19, s16
	s_cbranch_execz .LBB182_1858
.LBB182_1857:
	v_and_b32_e32 v3, 0xffff, v1
	s_delay_alu instid0(VALU_DEP_1) | instskip(SKIP_1) | instid1(VALU_DEP_2)
	v_and_b32_e32 v9, 3, v3
	v_bfe_u32 v12, v3, 2, 5
	v_clz_i32_u32_e32 v10, v9
	s_delay_alu instid0(VALU_DEP_2) | instskip(NEXT) | instid1(VALU_DEP_2)
	v_cmp_eq_u32_e32 vcc_lo, 0, v12
	v_min_u32_e32 v10, 32, v10
	s_delay_alu instid0(VALU_DEP_1) | instskip(NEXT) | instid1(VALU_DEP_1)
	v_subrev_nc_u32_e32 v11, 29, v10
	v_dual_lshlrev_b32 v3, v11, v3 :: v_dual_sub_nc_u32 v10, 30, v10
	s_delay_alu instid0(VALU_DEP_1) | instskip(NEXT) | instid1(VALU_DEP_1)
	v_dual_lshlrev_b32 v1, 24, v1 :: v_dual_bitop2_b32 v3, 3, v3 bitop3:0x40
	v_dual_cndmask_b32 v10, v12, v10 :: v_dual_cndmask_b32 v3, v9, v3
	s_delay_alu instid0(VALU_DEP_2) | instskip(NEXT) | instid1(VALU_DEP_2)
	v_and_b32_e32 v1, 0x80000000, v1
	v_lshl_add_u32 v9, v10, 23, 0x37800000
	s_delay_alu instid0(VALU_DEP_3) | instskip(NEXT) | instid1(VALU_DEP_1)
	v_lshlrev_b32_e32 v3, 21, v3
	v_or3_b32 v1, v1, v9, v3
	s_delay_alu instid0(VALU_DEP_1)
	v_cvt_f16_f32_e32 v9, v1
.LBB182_1858:
	s_or_b32 exec_lo, exec_lo, s19
	s_mov_b32 s16, 0
	s_branch .LBB182_1864
.LBB182_1859:
	s_mov_b32 s16, -1
                                        ; implicit-def: $vgpr9
	s_branch .LBB182_1870
.LBB182_1860:
	s_or_saveexec_b32 s20, s20
	v_mov_b32_e32 v9, 0x7e00
	s_xor_b32 exec_lo, exec_lo, s20
	s_cbranch_execz .LBB182_1843
.LBB182_1861:
	v_cmp_ne_u16_e32 vcc_lo, 0, v1
	v_mov_b32_e32 v9, v1
	s_and_not1_b32 s19, s19, exec_lo
	s_and_b32 s21, vcc_lo, exec_lo
	s_delay_alu instid0(SALU_CYCLE_1)
	s_or_b32 s19, s19, s21
	s_or_b32 exec_lo, exec_lo, s20
	s_and_saveexec_b32 s20, s19
	s_cbranch_execnz .LBB182_1844
	s_branch .LBB182_1845
.LBB182_1862:
	s_mov_b32 s16, -1
                                        ; implicit-def: $vgpr9
	s_branch .LBB182_1867
.LBB182_1863:
	s_mov_b32 s16, -1
                                        ; implicit-def: $vgpr9
.LBB182_1864:
	s_delay_alu instid0(SALU_CYCLE_1)
	s_and_b32 vcc_lo, exec_lo, s16
	s_cbranch_vccz .LBB182_1866
; %bb.1865:
	global_load_u8 v1, v[4:5], off
	s_wait_loadcnt 0x0
	v_lshlrev_b32_e32 v1, 24, v1
	s_delay_alu instid0(VALU_DEP_1) | instskip(NEXT) | instid1(VALU_DEP_1)
	v_and_b32_e32 v3, 0x7f000000, v1
	v_clz_i32_u32_e32 v9, v3
	v_add_nc_u32_e32 v11, 0x1000000, v3
	v_cmp_ne_u32_e32 vcc_lo, 0, v3
	s_delay_alu instid0(VALU_DEP_3) | instskip(NEXT) | instid1(VALU_DEP_1)
	v_min_u32_e32 v9, 32, v9
	v_sub_nc_u32_e64 v9, v9, 4 clamp
	s_delay_alu instid0(VALU_DEP_1) | instskip(NEXT) | instid1(VALU_DEP_1)
	v_dual_lshlrev_b32 v10, v9, v3 :: v_dual_lshlrev_b32 v9, 23, v9
	v_lshrrev_b32_e32 v10, 4, v10
	s_delay_alu instid0(VALU_DEP_1) | instskip(NEXT) | instid1(VALU_DEP_1)
	v_dual_sub_nc_u32 v9, v10, v9 :: v_dual_ashrrev_i32 v10, 8, v11
	v_add_nc_u32_e32 v9, 0x3c000000, v9
	s_delay_alu instid0(VALU_DEP_1) | instskip(NEXT) | instid1(VALU_DEP_1)
	v_and_or_b32 v9, 0x7f800000, v10, v9
	v_cndmask_b32_e32 v3, 0, v9, vcc_lo
	s_delay_alu instid0(VALU_DEP_1) | instskip(NEXT) | instid1(VALU_DEP_1)
	v_and_or_b32 v1, 0x80000000, v1, v3
	v_cvt_f16_f32_e32 v9, v1
.LBB182_1866:
	s_mov_b32 s16, 0
.LBB182_1867:
	s_delay_alu instid0(SALU_CYCLE_1)
	s_and_not1_b32 vcc_lo, exec_lo, s16
	s_cbranch_vccnz .LBB182_1869
; %bb.1868:
	global_load_u8 v1, v[4:5], off
	s_wait_loadcnt 0x0
	v_lshlrev_b32_e32 v3, 25, v1
	v_lshlrev_b16 v1, 8, v1
	s_delay_alu instid0(VALU_DEP_1) | instskip(SKIP_1) | instid1(VALU_DEP_2)
	v_and_or_b32 v10, 0x7f00, v1, 0.5
	v_bfe_i32 v1, v1, 0, 16
	v_dual_add_f32 v10, -0.5, v10 :: v_dual_lshrrev_b32 v9, 4, v3
	v_cmp_gt_u32_e32 vcc_lo, 0x8000000, v3
	s_delay_alu instid0(VALU_DEP_2) | instskip(NEXT) | instid1(VALU_DEP_1)
	v_or_b32_e32 v9, 0x70000000, v9
	v_mul_f32_e32 v9, 0x7800000, v9
	s_delay_alu instid0(VALU_DEP_1) | instskip(NEXT) | instid1(VALU_DEP_1)
	v_cndmask_b32_e32 v3, v9, v10, vcc_lo
	v_and_or_b32 v1, 0x80000000, v1, v3
	s_delay_alu instid0(VALU_DEP_1)
	v_cvt_f16_f32_e32 v9, v1
.LBB182_1869:
	s_mov_b32 s16, 0
	s_mov_b32 s19, -1
.LBB182_1870:
	s_and_not1_b32 vcc_lo, exec_lo, s16
	s_mov_b32 s16, 0
	s_cbranch_vccnz .LBB182_1881
; %bb.1871:
	s_cmp_gt_i32 s9, 14
	s_cbranch_scc0 .LBB182_1874
; %bb.1872:
	s_cmp_eq_u32 s9, 15
	s_cbranch_scc0 .LBB182_1877
; %bb.1873:
	global_load_u16 v1, v[4:5], off
	s_mov_b32 s14, 0
	s_mov_b32 s19, -1
	s_wait_loadcnt 0x0
	v_lshlrev_b32_e32 v1, 16, v1
	s_delay_alu instid0(VALU_DEP_1)
	v_cvt_f16_f32_e32 v9, v1
	s_branch .LBB182_1879
.LBB182_1874:
	s_mov_b32 s16, -1
	s_branch .LBB182_1878
.LBB182_1875:
	s_or_saveexec_b32 s19, s19
	v_mov_b32_e32 v9, 0x7e00
	s_xor_b32 exec_lo, exec_lo, s19
	s_cbranch_execz .LBB182_1856
.LBB182_1876:
	v_cmp_ne_u16_e32 vcc_lo, 0, v1
	v_mov_b32_e32 v9, v1
	s_and_not1_b32 s16, s16, exec_lo
	s_and_b32 s20, vcc_lo, exec_lo
	s_delay_alu instid0(SALU_CYCLE_1)
	s_or_b32 s16, s16, s20
	s_or_b32 exec_lo, exec_lo, s19
	s_and_saveexec_b32 s19, s16
	s_cbranch_execnz .LBB182_1857
	s_branch .LBB182_1858
.LBB182_1877:
	s_mov_b32 s14, -1
.LBB182_1878:
                                        ; implicit-def: $vgpr9
.LBB182_1879:
	s_and_b32 vcc_lo, exec_lo, s16
	s_mov_b32 s16, 0
	s_cbranch_vccz .LBB182_1881
; %bb.1880:
	s_cmp_lg_u32 s9, 11
	s_mov_b32 s16, -1
	s_cselect_b32 s14, -1, 0
.LBB182_1881:
	s_delay_alu instid0(SALU_CYCLE_1)
	s_and_b32 vcc_lo, exec_lo, s14
	s_cbranch_vccnz .LBB182_1944
; %bb.1882:
	s_and_not1_b32 vcc_lo, exec_lo, s16
	s_cbranch_vccnz .LBB182_1884
.LBB182_1883:
	global_load_u8 v1, v[4:5], off
	s_mov_b32 s19, -1
	s_wait_loadcnt 0x0
	v_cmp_ne_u16_e32 vcc_lo, 0, v1
	v_cndmask_b32_e64 v9, 0, 0x3c00, vcc_lo
.LBB182_1884:
	s_branch .LBB182_1811
.LBB182_1885:
	s_and_b32 s9, 0xffff, s0
	s_delay_alu instid0(SALU_CYCLE_1)
	s_cmp_lt_i32 s9, 5
	s_cbranch_scc1 .LBB182_1890
; %bb.1886:
	s_cmp_lt_i32 s9, 8
	s_cbranch_scc1 .LBB182_1891
; %bb.1887:
	;; [unrolled: 3-line block ×3, first 2 shown]
	s_cmp_gt_i32 s9, 9
	s_cbranch_scc0 .LBB182_1893
; %bb.1889:
	global_load_b64 v[10:11], v[4:5], off
	s_mov_b32 s14, 0
	s_wait_loadcnt 0x0
	v_and_or_b32 v1, 0x1ff, v11, v10
	v_lshrrev_b32_e32 v3, 8, v11
	v_bfe_u32 v9, v11, 20, 11
	s_delay_alu instid0(VALU_DEP_3) | instskip(NEXT) | instid1(VALU_DEP_2)
	v_cmp_ne_u32_e32 vcc_lo, 0, v1
	v_sub_nc_u32_e32 v10, 0x3f1, v9
	v_add_nc_u32_e32 v9, 0xfffffc10, v9
	v_cndmask_b32_e64 v1, 0, 1, vcc_lo
	s_delay_alu instid0(VALU_DEP_1) | instskip(NEXT) | instid1(VALU_DEP_4)
	v_and_or_b32 v1, 0xffe, v3, v1
	v_med3_i32 v3, v10, 0, 13
	s_delay_alu instid0(VALU_DEP_2) | instskip(NEXT) | instid1(VALU_DEP_1)
	v_or_b32_e32 v10, 0x1000, v1
	v_lshrrev_b32_e32 v12, v3, v10
	s_delay_alu instid0(VALU_DEP_1) | instskip(NEXT) | instid1(VALU_DEP_1)
	v_lshlrev_b32_e32 v3, v3, v12
	v_cmp_ne_u32_e32 vcc_lo, v3, v10
	v_lshl_or_b32 v10, v9, 12, v1
	v_cndmask_b32_e64 v3, 0, 1, vcc_lo
	v_cmp_gt_i32_e32 vcc_lo, 1, v9
	s_delay_alu instid0(VALU_DEP_2) | instskip(NEXT) | instid1(VALU_DEP_1)
	v_or_b32_e32 v3, v12, v3
	v_cndmask_b32_e32 v3, v10, v3, vcc_lo
	s_delay_alu instid0(VALU_DEP_1) | instskip(NEXT) | instid1(VALU_DEP_1)
	v_dual_lshrrev_b32 v3, 2, v3 :: v_dual_bitop2_b32 v10, 7, v3 bitop3:0x40
	v_cmp_lt_i32_e32 vcc_lo, 5, v10
	v_cndmask_b32_e64 v12, 0, 1, vcc_lo
	v_cmp_eq_u32_e32 vcc_lo, 3, v10
	v_cndmask_b32_e64 v10, 0, 1, vcc_lo
	v_cmp_ne_u32_e32 vcc_lo, 0, v1
	s_delay_alu instid0(VALU_DEP_2) | instskip(NEXT) | instid1(VALU_DEP_1)
	v_or_b32_e32 v10, v10, v12
	v_dual_mov_b32 v12, 0x7e00 :: v_dual_add_nc_u32 v3, v3, v10
	s_delay_alu instid0(VALU_DEP_1) | instskip(SKIP_1) | instid1(VALU_DEP_3)
	v_cndmask_b32_e32 v1, 0x7c00, v12, vcc_lo
	v_cmp_gt_i32_e32 vcc_lo, 31, v9
	v_cndmask_b32_e32 v3, 0x7c00, v3, vcc_lo
	v_cmp_eq_u32_e32 vcc_lo, 0x40f, v9
	s_delay_alu instid0(VALU_DEP_2) | instskip(NEXT) | instid1(VALU_DEP_1)
	v_dual_cndmask_b32 v1, v3, v1, vcc_lo :: v_dual_lshrrev_b32 v3, 16, v11
	v_and_or_b32 v9, 0x8000, v3, v1
	s_branch .LBB182_1894
.LBB182_1890:
	s_mov_b32 s14, -1
                                        ; implicit-def: $vgpr9
	s_branch .LBB182_1912
.LBB182_1891:
	s_mov_b32 s14, -1
                                        ; implicit-def: $vgpr9
	s_branch .LBB182_1900
.LBB182_1892:
	s_mov_b32 s14, -1
                                        ; implicit-def: $vgpr9
	s_branch .LBB182_1897
.LBB182_1893:
	s_mov_b32 s14, -1
                                        ; implicit-def: $vgpr9
.LBB182_1894:
	s_delay_alu instid0(SALU_CYCLE_1)
	s_and_not1_b32 vcc_lo, exec_lo, s14
	s_cbranch_vccnz .LBB182_1896
; %bb.1895:
	global_load_b32 v1, v[4:5], off
	s_wait_loadcnt 0x0
	v_cvt_f16_f32_e32 v9, v1
.LBB182_1896:
	s_mov_b32 s14, 0
.LBB182_1897:
	s_delay_alu instid0(SALU_CYCLE_1)
	s_and_not1_b32 vcc_lo, exec_lo, s14
	s_cbranch_vccnz .LBB182_1899
; %bb.1898:
	global_load_b32 v9, v[4:5], off
.LBB182_1899:
	s_mov_b32 s14, 0
.LBB182_1900:
	s_delay_alu instid0(SALU_CYCLE_1)
	s_and_not1_b32 vcc_lo, exec_lo, s14
	s_cbranch_vccnz .LBB182_1911
; %bb.1901:
	s_cmp_lt_i32 s9, 6
	s_cbranch_scc1 .LBB182_1904
; %bb.1902:
	s_cmp_gt_i32 s9, 6
	s_cbranch_scc0 .LBB182_1905
; %bb.1903:
	global_load_b64 v[10:11], v[4:5], off
	s_mov_b32 s14, 0
	s_wait_loadcnt 0x0
	v_and_or_b32 v1, 0x1ff, v11, v10
	v_lshrrev_b32_e32 v3, 8, v11
	v_bfe_u32 v9, v11, 20, 11
	s_delay_alu instid0(VALU_DEP_3) | instskip(NEXT) | instid1(VALU_DEP_2)
	v_cmp_ne_u32_e32 vcc_lo, 0, v1
	v_sub_nc_u32_e32 v10, 0x3f1, v9
	v_add_nc_u32_e32 v9, 0xfffffc10, v9
	v_cndmask_b32_e64 v1, 0, 1, vcc_lo
	s_delay_alu instid0(VALU_DEP_1) | instskip(NEXT) | instid1(VALU_DEP_4)
	v_and_or_b32 v1, 0xffe, v3, v1
	v_med3_i32 v3, v10, 0, 13
	s_delay_alu instid0(VALU_DEP_2) | instskip(NEXT) | instid1(VALU_DEP_1)
	v_or_b32_e32 v10, 0x1000, v1
	v_lshrrev_b32_e32 v12, v3, v10
	s_delay_alu instid0(VALU_DEP_1) | instskip(NEXT) | instid1(VALU_DEP_1)
	v_lshlrev_b32_e32 v3, v3, v12
	v_cmp_ne_u32_e32 vcc_lo, v3, v10
	v_lshl_or_b32 v10, v9, 12, v1
	v_cndmask_b32_e64 v3, 0, 1, vcc_lo
	v_cmp_gt_i32_e32 vcc_lo, 1, v9
	s_delay_alu instid0(VALU_DEP_2) | instskip(NEXT) | instid1(VALU_DEP_1)
	v_or_b32_e32 v3, v12, v3
	v_cndmask_b32_e32 v3, v10, v3, vcc_lo
	s_delay_alu instid0(VALU_DEP_1) | instskip(NEXT) | instid1(VALU_DEP_1)
	v_dual_lshrrev_b32 v3, 2, v3 :: v_dual_bitop2_b32 v10, 7, v3 bitop3:0x40
	v_cmp_lt_i32_e32 vcc_lo, 5, v10
	v_cndmask_b32_e64 v12, 0, 1, vcc_lo
	v_cmp_eq_u32_e32 vcc_lo, 3, v10
	v_cndmask_b32_e64 v10, 0, 1, vcc_lo
	v_cmp_ne_u32_e32 vcc_lo, 0, v1
	s_delay_alu instid0(VALU_DEP_2) | instskip(NEXT) | instid1(VALU_DEP_1)
	v_or_b32_e32 v10, v10, v12
	v_dual_mov_b32 v12, 0x7e00 :: v_dual_add_nc_u32 v3, v3, v10
	s_delay_alu instid0(VALU_DEP_1) | instskip(SKIP_1) | instid1(VALU_DEP_3)
	v_cndmask_b32_e32 v1, 0x7c00, v12, vcc_lo
	v_cmp_gt_i32_e32 vcc_lo, 31, v9
	v_cndmask_b32_e32 v3, 0x7c00, v3, vcc_lo
	v_cmp_eq_u32_e32 vcc_lo, 0x40f, v9
	s_delay_alu instid0(VALU_DEP_2) | instskip(NEXT) | instid1(VALU_DEP_1)
	v_dual_cndmask_b32 v1, v3, v1, vcc_lo :: v_dual_lshrrev_b32 v3, 16, v11
	v_and_or_b32 v9, 0x8000, v3, v1
	s_branch .LBB182_1906
.LBB182_1904:
	s_mov_b32 s14, -1
                                        ; implicit-def: $vgpr9
	s_branch .LBB182_1909
.LBB182_1905:
	s_mov_b32 s14, -1
                                        ; implicit-def: $vgpr9
.LBB182_1906:
	s_delay_alu instid0(SALU_CYCLE_1)
	s_and_not1_b32 vcc_lo, exec_lo, s14
	s_cbranch_vccnz .LBB182_1908
; %bb.1907:
	global_load_b32 v1, v[4:5], off
	s_wait_loadcnt 0x0
	v_cvt_f16_f32_e32 v9, v1
.LBB182_1908:
	s_mov_b32 s14, 0
.LBB182_1909:
	s_delay_alu instid0(SALU_CYCLE_1)
	s_and_not1_b32 vcc_lo, exec_lo, s14
	s_cbranch_vccnz .LBB182_1911
; %bb.1910:
	s_wait_loadcnt 0x0
	global_load_u16 v9, v[4:5], off
.LBB182_1911:
	s_mov_b32 s14, 0
.LBB182_1912:
	s_delay_alu instid0(SALU_CYCLE_1)
	s_and_not1_b32 vcc_lo, exec_lo, s14
	s_cbranch_vccnz .LBB182_1932
; %bb.1913:
	s_cmp_lt_i32 s9, 2
	s_cbranch_scc1 .LBB182_1917
; %bb.1914:
	s_cmp_lt_i32 s9, 3
	s_cbranch_scc1 .LBB182_1918
; %bb.1915:
	s_cmp_gt_i32 s9, 3
	s_cbranch_scc0 .LBB182_1919
; %bb.1916:
	global_load_b64 v[10:11], v[4:5], off
	s_mov_b32 s14, 0
	s_wait_loadcnt 0x0
	v_xor_b32_e32 v1, v10, v11
	v_cls_i32_e32 v3, v11
	s_delay_alu instid0(VALU_DEP_2) | instskip(NEXT) | instid1(VALU_DEP_1)
	v_ashrrev_i32_e32 v1, 31, v1
	v_add_nc_u32_e32 v1, 32, v1
	s_delay_alu instid0(VALU_DEP_1) | instskip(NEXT) | instid1(VALU_DEP_1)
	v_add_min_u32_e64 v1, v3, -1, v1
	v_lshlrev_b64_e32 v[10:11], v1, v[10:11]
	v_sub_nc_u32_e32 v1, 32, v1
	s_delay_alu instid0(VALU_DEP_2) | instskip(NEXT) | instid1(VALU_DEP_1)
	v_min_u32_e32 v3, 1, v10
	v_or_b32_e32 v3, v11, v3
	s_delay_alu instid0(VALU_DEP_1) | instskip(NEXT) | instid1(VALU_DEP_1)
	v_cvt_f32_i32_e32 v3, v3
	v_ldexp_f32 v1, v3, v1
	s_delay_alu instid0(VALU_DEP_1)
	v_cvt_f16_f32_e32 v9, v1
	s_branch .LBB182_1920
.LBB182_1917:
	s_mov_b32 s14, -1
                                        ; implicit-def: $vgpr9
	s_branch .LBB182_1926
.LBB182_1918:
	s_mov_b32 s14, -1
                                        ; implicit-def: $vgpr9
	s_branch .LBB182_1923
.LBB182_1919:
	s_mov_b32 s14, -1
                                        ; implicit-def: $vgpr9
.LBB182_1920:
	s_delay_alu instid0(SALU_CYCLE_1)
	s_and_not1_b32 vcc_lo, exec_lo, s14
	s_cbranch_vccnz .LBB182_1922
; %bb.1921:
	global_load_b32 v1, v[4:5], off
	s_wait_loadcnt 0x0
	v_cvt_f32_i32_e32 v1, v1
	s_delay_alu instid0(VALU_DEP_1)
	v_cvt_f16_f32_e32 v9, v1
.LBB182_1922:
	s_mov_b32 s14, 0
.LBB182_1923:
	s_delay_alu instid0(SALU_CYCLE_1)
	s_and_not1_b32 vcc_lo, exec_lo, s14
	s_cbranch_vccnz .LBB182_1925
; %bb.1924:
	global_load_u16 v1, v[4:5], off
	s_wait_loadcnt 0x0
	v_cvt_f16_i16_e32 v9, v1
.LBB182_1925:
	s_mov_b32 s14, 0
.LBB182_1926:
	s_delay_alu instid0(SALU_CYCLE_1)
	s_and_not1_b32 vcc_lo, exec_lo, s14
	s_cbranch_vccnz .LBB182_1932
; %bb.1927:
	s_cmp_gt_i32 s9, 0
	s_mov_b32 s9, 0
	s_cbranch_scc0 .LBB182_1929
; %bb.1928:
	global_load_i8 v1, v[4:5], off
	s_wait_loadcnt 0x0
	v_cvt_f16_i16_e32 v9, v1
	s_branch .LBB182_1930
.LBB182_1929:
	s_mov_b32 s9, -1
                                        ; implicit-def: $vgpr9
.LBB182_1930:
	s_delay_alu instid0(SALU_CYCLE_1)
	s_and_not1_b32 vcc_lo, exec_lo, s9
	s_cbranch_vccnz .LBB182_1932
; %bb.1931:
	global_load_u8 v1, v[4:5], off
	s_wait_loadcnt 0x0
	v_cvt_f16_u16_e32 v9, v1
.LBB182_1932:
.LBB182_1933:
	s_lshl_b32 s9, s10, 7
	s_cmp_lt_i32 s1, 11
	v_add_nc_u32_e32 v2, s9, v2
	s_delay_alu instid0(VALU_DEP_1) | instskip(SKIP_1) | instid1(VALU_DEP_1)
	v_ashrrev_i32_e32 v3, 31, v2
	s_wait_xcnt 0x0
	v_add_nc_u64_e32 v[4:5], s[12:13], v[2:3]
	s_cbranch_scc1 .LBB182_1940
; %bb.1934:
	s_and_b32 s10, 0xffff, s1
	s_mov_b32 s16, 0
	s_cmp_gt_i32 s10, 25
	s_cbranch_scc0 .LBB182_1941
; %bb.1935:
	s_cmp_gt_i32 s10, 28
	s_cbranch_scc0 .LBB182_1942
; %bb.1936:
	;; [unrolled: 3-line block ×4, first 2 shown]
	s_cmp_eq_u32 s10, 46
	s_mov_b32 s20, 0
	s_cbranch_scc0 .LBB182_1946
; %bb.1939:
	global_load_b32 v1, v[4:5], off
	s_mov_b32 s14, 0
	s_mov_b32 s19, -1
	s_wait_loadcnt 0x0
	v_lshlrev_b32_e32 v1, 16, v1
	s_delay_alu instid0(VALU_DEP_1)
	v_cvt_f16_f32_e32 v10, v1
	s_branch .LBB182_1948
.LBB182_1940:
	s_mov_b32 s10, -1
	s_mov_b32 s19, 0
                                        ; implicit-def: $vgpr10
	s_branch .LBB182_2014
.LBB182_1941:
	s_mov_b32 s20, -1
	s_mov_b32 s19, 0
	s_mov_b32 s14, 0
                                        ; implicit-def: $vgpr10
	s_branch .LBB182_1977
.LBB182_1942:
	s_mov_b32 s20, -1
	s_mov_b32 s19, 0
	s_mov_b32 s14, 0
                                        ; implicit-def: $vgpr10
	s_branch .LBB182_1958
.LBB182_1943:
	s_mov_b32 s20, -1
	s_mov_b32 s19, 0
	s_mov_b32 s14, 0
                                        ; implicit-def: $vgpr10
	s_branch .LBB182_1953
.LBB182_1944:
	s_or_b32 s15, s15, exec_lo
	s_trap 2
	s_cbranch_execz .LBB182_1883
	s_branch .LBB182_1884
.LBB182_1945:
	s_mov_b32 s20, -1
	s_mov_b32 s19, 0
	s_mov_b32 s14, 0
	s_branch .LBB182_1947
.LBB182_1946:
	s_mov_b32 s14, -1
	s_mov_b32 s19, 0
.LBB182_1947:
                                        ; implicit-def: $vgpr10
.LBB182_1948:
	s_and_b32 vcc_lo, exec_lo, s20
	s_cbranch_vccz .LBB182_1952
; %bb.1949:
	s_cmp_eq_u32 s10, 44
	s_cbranch_scc0 .LBB182_1951
; %bb.1950:
	global_load_u8 v1, v[4:5], off
	s_mov_b32 s14, 0
	s_mov_b32 s19, -1
	s_wait_loadcnt 0x0
	v_lshlrev_b32_e32 v3, 23, v1
	v_cmp_ne_u32_e32 vcc_lo, 0xff, v1
	s_delay_alu instid0(VALU_DEP_2) | instskip(NEXT) | instid1(VALU_DEP_1)
	v_cvt_f16_f32_e32 v3, v3
	v_cndmask_b32_e32 v3, 0x7e00, v3, vcc_lo
	v_cmp_ne_u32_e32 vcc_lo, 0, v1
	s_delay_alu instid0(VALU_DEP_2)
	v_cndmask_b32_e32 v10, 0, v3, vcc_lo
	s_branch .LBB182_1952
.LBB182_1951:
	s_mov_b32 s14, -1
                                        ; implicit-def: $vgpr10
.LBB182_1952:
	s_mov_b32 s20, 0
.LBB182_1953:
	s_delay_alu instid0(SALU_CYCLE_1)
	s_and_b32 vcc_lo, exec_lo, s20
	s_cbranch_vccz .LBB182_1957
; %bb.1954:
	s_cmp_eq_u32 s10, 29
	s_cbranch_scc0 .LBB182_1956
; %bb.1955:
	global_load_b64 v[10:11], v[4:5], off
	s_mov_b32 s14, 0
	s_mov_b32 s19, -1
	s_mov_b32 s20, 0
	s_wait_loadcnt 0x0
	v_clz_i32_u32_e32 v1, v11
	s_delay_alu instid0(VALU_DEP_1) | instskip(NEXT) | instid1(VALU_DEP_1)
	v_min_u32_e32 v1, 32, v1
	v_lshlrev_b64_e32 v[10:11], v1, v[10:11]
	v_sub_nc_u32_e32 v1, 32, v1
	s_delay_alu instid0(VALU_DEP_2) | instskip(NEXT) | instid1(VALU_DEP_1)
	v_min_u32_e32 v3, 1, v10
	v_or_b32_e32 v3, v11, v3
	s_delay_alu instid0(VALU_DEP_1) | instskip(NEXT) | instid1(VALU_DEP_1)
	v_cvt_f32_u32_e32 v3, v3
	v_ldexp_f32 v1, v3, v1
	s_delay_alu instid0(VALU_DEP_1)
	v_cvt_f16_f32_e32 v10, v1
	s_branch .LBB182_1958
.LBB182_1956:
	s_mov_b32 s14, -1
                                        ; implicit-def: $vgpr10
.LBB182_1957:
	s_mov_b32 s20, 0
.LBB182_1958:
	s_delay_alu instid0(SALU_CYCLE_1)
	s_and_b32 vcc_lo, exec_lo, s20
	s_cbranch_vccz .LBB182_1976
; %bb.1959:
	s_cmp_lt_i32 s10, 27
	s_cbranch_scc1 .LBB182_1962
; %bb.1960:
	s_cmp_gt_i32 s10, 27
	s_cbranch_scc0 .LBB182_1963
; %bb.1961:
	global_load_b32 v1, v[4:5], off
	s_mov_b32 s19, 0
	s_wait_loadcnt 0x0
	v_cvt_f32_u32_e32 v1, v1
	s_delay_alu instid0(VALU_DEP_1)
	v_cvt_f16_f32_e32 v10, v1
	s_branch .LBB182_1964
.LBB182_1962:
	s_mov_b32 s19, -1
                                        ; implicit-def: $vgpr10
	s_branch .LBB182_1967
.LBB182_1963:
	s_mov_b32 s19, -1
                                        ; implicit-def: $vgpr10
.LBB182_1964:
	s_delay_alu instid0(SALU_CYCLE_1)
	s_and_not1_b32 vcc_lo, exec_lo, s19
	s_cbranch_vccnz .LBB182_1966
; %bb.1965:
	global_load_u16 v1, v[4:5], off
	s_wait_loadcnt 0x0
	v_cvt_f16_u16_e32 v10, v1
.LBB182_1966:
	s_mov_b32 s19, 0
.LBB182_1967:
	s_delay_alu instid0(SALU_CYCLE_1)
	s_and_not1_b32 vcc_lo, exec_lo, s19
	s_cbranch_vccnz .LBB182_1975
; %bb.1968:
	global_load_u8 v1, v[4:5], off
	s_mov_b32 s19, 0
	s_mov_b32 s20, exec_lo
	s_wait_loadcnt 0x0
	v_cmpx_lt_i16_e32 0x7f, v1
	s_xor_b32 s20, exec_lo, s20
	s_cbranch_execz .LBB182_1989
; %bb.1969:
	s_mov_b32 s19, -1
	s_mov_b32 s21, exec_lo
	v_cmpx_eq_u16_e32 0x80, v1
; %bb.1970:
	s_xor_b32 s19, exec_lo, -1
; %bb.1971:
	s_or_b32 exec_lo, exec_lo, s21
	s_delay_alu instid0(SALU_CYCLE_1)
	s_and_b32 s19, s19, exec_lo
	s_or_saveexec_b32 s20, s20
	v_mov_b32_e32 v10, 0x7e00
	s_xor_b32 exec_lo, exec_lo, s20
	s_cbranch_execnz .LBB182_1990
.LBB182_1972:
	s_or_b32 exec_lo, exec_lo, s20
	s_and_saveexec_b32 s20, s19
	s_cbranch_execz .LBB182_1974
.LBB182_1973:
	v_and_b32_e32 v3, 0xffff, v1
	s_delay_alu instid0(VALU_DEP_1) | instskip(SKIP_1) | instid1(VALU_DEP_2)
	v_dual_lshlrev_b32 v1, 24, v1 :: v_dual_bitop2_b32 v10, 7, v3 bitop3:0x40
	v_bfe_u32 v13, v3, 3, 4
	v_and_b32_e32 v1, 0x80000000, v1
	s_delay_alu instid0(VALU_DEP_3) | instskip(NEXT) | instid1(VALU_DEP_3)
	v_clz_i32_u32_e32 v11, v10
	v_cmp_eq_u32_e32 vcc_lo, 0, v13
	s_delay_alu instid0(VALU_DEP_2) | instskip(NEXT) | instid1(VALU_DEP_1)
	v_min_u32_e32 v11, 32, v11
	v_subrev_nc_u32_e32 v12, 28, v11
	v_sub_nc_u32_e32 v11, 29, v11
	s_delay_alu instid0(VALU_DEP_2) | instskip(NEXT) | instid1(VALU_DEP_2)
	v_lshlrev_b32_e32 v3, v12, v3
	v_cndmask_b32_e32 v11, v13, v11, vcc_lo
	s_delay_alu instid0(VALU_DEP_2) | instskip(NEXT) | instid1(VALU_DEP_1)
	v_and_b32_e32 v3, 7, v3
	v_cndmask_b32_e32 v3, v10, v3, vcc_lo
	s_delay_alu instid0(VALU_DEP_3) | instskip(NEXT) | instid1(VALU_DEP_2)
	v_lshl_add_u32 v10, v11, 23, 0x3b800000
	v_lshlrev_b32_e32 v3, 20, v3
	s_delay_alu instid0(VALU_DEP_1) | instskip(NEXT) | instid1(VALU_DEP_1)
	v_or3_b32 v1, v1, v10, v3
	v_cvt_f16_f32_e32 v10, v1
.LBB182_1974:
	s_or_b32 exec_lo, exec_lo, s20
.LBB182_1975:
	s_mov_b32 s19, -1
.LBB182_1976:
	s_mov_b32 s20, 0
.LBB182_1977:
	s_delay_alu instid0(SALU_CYCLE_1)
	s_and_b32 vcc_lo, exec_lo, s20
	s_cbranch_vccz .LBB182_2010
; %bb.1978:
	s_cmp_gt_i32 s10, 22
	s_cbranch_scc0 .LBB182_1988
; %bb.1979:
	s_cmp_lt_i32 s10, 24
	s_cbranch_scc1 .LBB182_1991
; %bb.1980:
	s_cmp_gt_i32 s10, 24
	s_cbranch_scc0 .LBB182_1992
; %bb.1981:
	global_load_u8 v1, v[4:5], off
	s_mov_b32 s19, exec_lo
	s_wait_loadcnt 0x0
	v_cmpx_lt_i16_e32 0x7f, v1
	s_xor_b32 s19, exec_lo, s19
	s_cbranch_execz .LBB182_2004
; %bb.1982:
	s_mov_b32 s16, -1
	s_mov_b32 s20, exec_lo
	v_cmpx_eq_u16_e32 0x80, v1
; %bb.1983:
	s_xor_b32 s16, exec_lo, -1
; %bb.1984:
	s_or_b32 exec_lo, exec_lo, s20
	s_delay_alu instid0(SALU_CYCLE_1)
	s_and_b32 s16, s16, exec_lo
	s_or_saveexec_b32 s19, s19
	v_mov_b32_e32 v10, 0x7e00
	s_xor_b32 exec_lo, exec_lo, s19
	s_cbranch_execnz .LBB182_2005
.LBB182_1985:
	s_or_b32 exec_lo, exec_lo, s19
	s_and_saveexec_b32 s19, s16
	s_cbranch_execz .LBB182_1987
.LBB182_1986:
	v_and_b32_e32 v3, 0xffff, v1
	s_delay_alu instid0(VALU_DEP_1) | instskip(SKIP_1) | instid1(VALU_DEP_2)
	v_dual_lshlrev_b32 v1, 24, v1 :: v_dual_bitop2_b32 v10, 3, v3 bitop3:0x40
	v_bfe_u32 v13, v3, 2, 5
	v_and_b32_e32 v1, 0x80000000, v1
	s_delay_alu instid0(VALU_DEP_3) | instskip(NEXT) | instid1(VALU_DEP_3)
	v_clz_i32_u32_e32 v11, v10
	v_cmp_eq_u32_e32 vcc_lo, 0, v13
	s_delay_alu instid0(VALU_DEP_2) | instskip(NEXT) | instid1(VALU_DEP_1)
	v_min_u32_e32 v11, 32, v11
	v_subrev_nc_u32_e32 v12, 29, v11
	v_sub_nc_u32_e32 v11, 30, v11
	s_delay_alu instid0(VALU_DEP_2) | instskip(NEXT) | instid1(VALU_DEP_2)
	v_lshlrev_b32_e32 v3, v12, v3
	v_cndmask_b32_e32 v11, v13, v11, vcc_lo
	s_delay_alu instid0(VALU_DEP_2) | instskip(NEXT) | instid1(VALU_DEP_1)
	v_and_b32_e32 v3, 3, v3
	v_cndmask_b32_e32 v3, v10, v3, vcc_lo
	s_delay_alu instid0(VALU_DEP_3) | instskip(NEXT) | instid1(VALU_DEP_2)
	v_lshl_add_u32 v10, v11, 23, 0x37800000
	v_lshlrev_b32_e32 v3, 21, v3
	s_delay_alu instid0(VALU_DEP_1) | instskip(NEXT) | instid1(VALU_DEP_1)
	v_or3_b32 v1, v1, v10, v3
	v_cvt_f16_f32_e32 v10, v1
.LBB182_1987:
	s_or_b32 exec_lo, exec_lo, s19
	s_mov_b32 s16, 0
	s_branch .LBB182_1993
.LBB182_1988:
	s_mov_b32 s16, -1
                                        ; implicit-def: $vgpr10
	s_branch .LBB182_1999
.LBB182_1989:
	s_or_saveexec_b32 s20, s20
	v_mov_b32_e32 v10, 0x7e00
	s_xor_b32 exec_lo, exec_lo, s20
	s_cbranch_execz .LBB182_1972
.LBB182_1990:
	v_cmp_ne_u16_e32 vcc_lo, 0, v1
	v_mov_b32_e32 v10, v1
	s_and_not1_b32 s19, s19, exec_lo
	s_and_b32 s21, vcc_lo, exec_lo
	s_delay_alu instid0(SALU_CYCLE_1)
	s_or_b32 s19, s19, s21
	s_or_b32 exec_lo, exec_lo, s20
	s_and_saveexec_b32 s20, s19
	s_cbranch_execnz .LBB182_1973
	s_branch .LBB182_1974
.LBB182_1991:
	s_mov_b32 s16, -1
                                        ; implicit-def: $vgpr10
	s_branch .LBB182_1996
.LBB182_1992:
	s_mov_b32 s16, -1
                                        ; implicit-def: $vgpr10
.LBB182_1993:
	s_delay_alu instid0(SALU_CYCLE_1)
	s_and_b32 vcc_lo, exec_lo, s16
	s_cbranch_vccz .LBB182_1995
; %bb.1994:
	global_load_u8 v1, v[4:5], off
	s_wait_loadcnt 0x0
	v_lshlrev_b32_e32 v1, 24, v1
	s_delay_alu instid0(VALU_DEP_1) | instskip(NEXT) | instid1(VALU_DEP_1)
	v_and_b32_e32 v3, 0x7f000000, v1
	v_clz_i32_u32_e32 v10, v3
	v_cmp_ne_u32_e32 vcc_lo, 0, v3
	v_add_nc_u32_e32 v12, 0x1000000, v3
	s_delay_alu instid0(VALU_DEP_3) | instskip(NEXT) | instid1(VALU_DEP_1)
	v_min_u32_e32 v10, 32, v10
	v_sub_nc_u32_e64 v10, v10, 4 clamp
	s_delay_alu instid0(VALU_DEP_1) | instskip(NEXT) | instid1(VALU_DEP_1)
	v_dual_lshlrev_b32 v11, v10, v3 :: v_dual_lshlrev_b32 v10, 23, v10
	v_lshrrev_b32_e32 v11, 4, v11
	s_delay_alu instid0(VALU_DEP_1) | instskip(NEXT) | instid1(VALU_DEP_1)
	v_dual_sub_nc_u32 v10, v11, v10 :: v_dual_ashrrev_i32 v11, 8, v12
	v_add_nc_u32_e32 v10, 0x3c000000, v10
	s_delay_alu instid0(VALU_DEP_1) | instskip(NEXT) | instid1(VALU_DEP_1)
	v_and_or_b32 v10, 0x7f800000, v11, v10
	v_cndmask_b32_e32 v3, 0, v10, vcc_lo
	s_delay_alu instid0(VALU_DEP_1) | instskip(NEXT) | instid1(VALU_DEP_1)
	v_and_or_b32 v1, 0x80000000, v1, v3
	v_cvt_f16_f32_e32 v10, v1
.LBB182_1995:
	s_mov_b32 s16, 0
.LBB182_1996:
	s_delay_alu instid0(SALU_CYCLE_1)
	s_and_not1_b32 vcc_lo, exec_lo, s16
	s_cbranch_vccnz .LBB182_1998
; %bb.1997:
	global_load_u8 v1, v[4:5], off
	s_wait_loadcnt 0x0
	v_lshlrev_b32_e32 v3, 25, v1
	v_lshlrev_b16 v1, 8, v1
	s_delay_alu instid0(VALU_DEP_1) | instskip(SKIP_1) | instid1(VALU_DEP_2)
	v_and_or_b32 v11, 0x7f00, v1, 0.5
	v_bfe_i32 v1, v1, 0, 16
	v_add_f32_e32 v11, -0.5, v11
	v_lshrrev_b32_e32 v10, 4, v3
	v_cmp_gt_u32_e32 vcc_lo, 0x8000000, v3
	s_delay_alu instid0(VALU_DEP_2) | instskip(NEXT) | instid1(VALU_DEP_1)
	v_or_b32_e32 v10, 0x70000000, v10
	v_mul_f32_e32 v10, 0x7800000, v10
	s_delay_alu instid0(VALU_DEP_1) | instskip(NEXT) | instid1(VALU_DEP_1)
	v_cndmask_b32_e32 v3, v10, v11, vcc_lo
	v_and_or_b32 v1, 0x80000000, v1, v3
	s_delay_alu instid0(VALU_DEP_1)
	v_cvt_f16_f32_e32 v10, v1
.LBB182_1998:
	s_mov_b32 s16, 0
	s_mov_b32 s19, -1
.LBB182_1999:
	s_and_not1_b32 vcc_lo, exec_lo, s16
	s_mov_b32 s16, 0
	s_cbranch_vccnz .LBB182_2010
; %bb.2000:
	s_cmp_gt_i32 s10, 14
	s_cbranch_scc0 .LBB182_2003
; %bb.2001:
	s_cmp_eq_u32 s10, 15
	s_cbranch_scc0 .LBB182_2006
; %bb.2002:
	global_load_u16 v1, v[4:5], off
	s_mov_b32 s14, 0
	s_mov_b32 s19, -1
	s_wait_loadcnt 0x0
	v_lshlrev_b32_e32 v1, 16, v1
	s_delay_alu instid0(VALU_DEP_1)
	v_cvt_f16_f32_e32 v10, v1
	s_branch .LBB182_2008
.LBB182_2003:
	s_mov_b32 s16, -1
	s_branch .LBB182_2007
.LBB182_2004:
	s_or_saveexec_b32 s19, s19
	v_mov_b32_e32 v10, 0x7e00
	s_xor_b32 exec_lo, exec_lo, s19
	s_cbranch_execz .LBB182_1985
.LBB182_2005:
	v_cmp_ne_u16_e32 vcc_lo, 0, v1
	v_mov_b32_e32 v10, v1
	s_and_not1_b32 s16, s16, exec_lo
	s_and_b32 s20, vcc_lo, exec_lo
	s_delay_alu instid0(SALU_CYCLE_1)
	s_or_b32 s16, s16, s20
	s_or_b32 exec_lo, exec_lo, s19
	s_and_saveexec_b32 s19, s16
	s_cbranch_execnz .LBB182_1986
	s_branch .LBB182_1987
.LBB182_2006:
	s_mov_b32 s14, -1
.LBB182_2007:
                                        ; implicit-def: $vgpr10
.LBB182_2008:
	s_and_b32 vcc_lo, exec_lo, s16
	s_mov_b32 s16, 0
	s_cbranch_vccz .LBB182_2010
; %bb.2009:
	s_cmp_lg_u32 s10, 11
	s_mov_b32 s16, -1
	s_cselect_b32 s14, -1, 0
.LBB182_2010:
	s_delay_alu instid0(SALU_CYCLE_1)
	s_and_b32 vcc_lo, exec_lo, s14
	s_cbranch_vccnz .LBB182_2075
; %bb.2011:
	s_and_not1_b32 vcc_lo, exec_lo, s16
	s_cbranch_vccnz .LBB182_2013
.LBB182_2012:
	global_load_u8 v1, v[4:5], off
	s_mov_b32 s19, -1
	s_wait_loadcnt 0x0
	v_cmp_ne_u16_e32 vcc_lo, 0, v1
	v_cndmask_b32_e64 v10, 0, 0x3c00, vcc_lo
.LBB182_2013:
	s_mov_b32 s10, 0
.LBB182_2014:
	s_delay_alu instid0(SALU_CYCLE_1)
	s_and_b32 vcc_lo, exec_lo, s10
	s_cbranch_vccz .LBB182_2063
; %bb.2015:
	s_and_b32 s10, 0xffff, s1
	s_delay_alu instid0(SALU_CYCLE_1)
	s_cmp_lt_i32 s10, 5
	s_cbranch_scc1 .LBB182_2020
; %bb.2016:
	s_cmp_lt_i32 s10, 8
	s_cbranch_scc1 .LBB182_2021
; %bb.2017:
	;; [unrolled: 3-line block ×3, first 2 shown]
	s_cmp_gt_i32 s10, 9
	s_cbranch_scc0 .LBB182_2023
; %bb.2019:
	global_load_b64 v[10:11], v[4:5], off
	s_mov_b32 s14, 0
	s_wait_loadcnt 0x0
	v_and_or_b32 v1, 0x1ff, v11, v10
	v_lshrrev_b32_e32 v3, 8, v11
	v_bfe_u32 v10, v11, 20, 11
	s_delay_alu instid0(VALU_DEP_3) | instskip(NEXT) | instid1(VALU_DEP_2)
	v_cmp_ne_u32_e32 vcc_lo, 0, v1
	v_sub_nc_u32_e32 v12, 0x3f1, v10
	v_add_nc_u32_e32 v10, 0xfffffc10, v10
	v_cndmask_b32_e64 v1, 0, 1, vcc_lo
	s_delay_alu instid0(VALU_DEP_1) | instskip(NEXT) | instid1(VALU_DEP_4)
	v_and_or_b32 v1, 0xffe, v3, v1
	v_med3_i32 v3, v12, 0, 13
	s_delay_alu instid0(VALU_DEP_2) | instskip(NEXT) | instid1(VALU_DEP_1)
	v_or_b32_e32 v12, 0x1000, v1
	v_lshrrev_b32_e32 v13, v3, v12
	s_delay_alu instid0(VALU_DEP_1) | instskip(NEXT) | instid1(VALU_DEP_1)
	v_lshlrev_b32_e32 v3, v3, v13
	v_cmp_ne_u32_e32 vcc_lo, v3, v12
	v_lshl_or_b32 v12, v10, 12, v1
	v_cndmask_b32_e64 v3, 0, 1, vcc_lo
	v_cmp_gt_i32_e32 vcc_lo, 1, v10
	s_delay_alu instid0(VALU_DEP_2) | instskip(NEXT) | instid1(VALU_DEP_1)
	v_or_b32_e32 v3, v13, v3
	v_cndmask_b32_e32 v3, v12, v3, vcc_lo
	s_delay_alu instid0(VALU_DEP_1) | instskip(NEXT) | instid1(VALU_DEP_1)
	v_dual_lshrrev_b32 v3, 2, v3 :: v_dual_bitop2_b32 v12, 7, v3 bitop3:0x40
	v_cmp_lt_i32_e32 vcc_lo, 5, v12
	v_cndmask_b32_e64 v13, 0, 1, vcc_lo
	v_cmp_eq_u32_e32 vcc_lo, 3, v12
	v_cndmask_b32_e64 v12, 0, 1, vcc_lo
	v_cmp_ne_u32_e32 vcc_lo, 0, v1
	s_delay_alu instid0(VALU_DEP_2) | instskip(SKIP_1) | instid1(VALU_DEP_2)
	v_or_b32_e32 v12, v12, v13
	v_mov_b32_e32 v13, 0x7e00
	v_add_nc_u32_e32 v3, v3, v12
	s_delay_alu instid0(VALU_DEP_2) | instskip(SKIP_1) | instid1(VALU_DEP_3)
	v_cndmask_b32_e32 v1, 0x7c00, v13, vcc_lo
	v_cmp_gt_i32_e32 vcc_lo, 31, v10
	v_cndmask_b32_e32 v3, 0x7c00, v3, vcc_lo
	v_cmp_eq_u32_e32 vcc_lo, 0x40f, v10
	s_delay_alu instid0(VALU_DEP_2) | instskip(NEXT) | instid1(VALU_DEP_1)
	v_dual_cndmask_b32 v1, v3, v1, vcc_lo :: v_dual_lshrrev_b32 v3, 16, v11
	v_and_or_b32 v10, 0x8000, v3, v1
	s_branch .LBB182_2024
.LBB182_2020:
	s_mov_b32 s14, -1
                                        ; implicit-def: $vgpr10
	s_branch .LBB182_2042
.LBB182_2021:
	s_mov_b32 s14, -1
                                        ; implicit-def: $vgpr10
	s_branch .LBB182_2030
.LBB182_2022:
	s_mov_b32 s14, -1
                                        ; implicit-def: $vgpr10
	s_branch .LBB182_2027
.LBB182_2023:
	s_mov_b32 s14, -1
                                        ; implicit-def: $vgpr10
.LBB182_2024:
	s_delay_alu instid0(SALU_CYCLE_1)
	s_and_not1_b32 vcc_lo, exec_lo, s14
	s_cbranch_vccnz .LBB182_2026
; %bb.2025:
	global_load_b32 v1, v[4:5], off
	s_wait_loadcnt 0x0
	v_cvt_f16_f32_e32 v10, v1
.LBB182_2026:
	s_mov_b32 s14, 0
.LBB182_2027:
	s_delay_alu instid0(SALU_CYCLE_1)
	s_and_not1_b32 vcc_lo, exec_lo, s14
	s_cbranch_vccnz .LBB182_2029
; %bb.2028:
	global_load_b32 v10, v[4:5], off
.LBB182_2029:
	s_mov_b32 s14, 0
.LBB182_2030:
	s_delay_alu instid0(SALU_CYCLE_1)
	s_and_not1_b32 vcc_lo, exec_lo, s14
	s_cbranch_vccnz .LBB182_2041
; %bb.2031:
	s_cmp_lt_i32 s10, 6
	s_cbranch_scc1 .LBB182_2034
; %bb.2032:
	s_cmp_gt_i32 s10, 6
	s_cbranch_scc0 .LBB182_2035
; %bb.2033:
	s_wait_loadcnt 0x0
	global_load_b64 v[10:11], v[4:5], off
	s_mov_b32 s14, 0
	s_wait_loadcnt 0x0
	v_and_or_b32 v1, 0x1ff, v11, v10
	v_lshrrev_b32_e32 v3, 8, v11
	v_bfe_u32 v10, v11, 20, 11
	s_delay_alu instid0(VALU_DEP_3) | instskip(NEXT) | instid1(VALU_DEP_2)
	v_cmp_ne_u32_e32 vcc_lo, 0, v1
	v_sub_nc_u32_e32 v12, 0x3f1, v10
	v_add_nc_u32_e32 v10, 0xfffffc10, v10
	v_cndmask_b32_e64 v1, 0, 1, vcc_lo
	s_delay_alu instid0(VALU_DEP_1) | instskip(NEXT) | instid1(VALU_DEP_4)
	v_and_or_b32 v1, 0xffe, v3, v1
	v_med3_i32 v3, v12, 0, 13
	s_delay_alu instid0(VALU_DEP_2) | instskip(NEXT) | instid1(VALU_DEP_1)
	v_or_b32_e32 v12, 0x1000, v1
	v_lshrrev_b32_e32 v13, v3, v12
	s_delay_alu instid0(VALU_DEP_1) | instskip(NEXT) | instid1(VALU_DEP_1)
	v_lshlrev_b32_e32 v3, v3, v13
	v_cmp_ne_u32_e32 vcc_lo, v3, v12
	v_lshl_or_b32 v12, v10, 12, v1
	v_cndmask_b32_e64 v3, 0, 1, vcc_lo
	v_cmp_gt_i32_e32 vcc_lo, 1, v10
	s_delay_alu instid0(VALU_DEP_2) | instskip(NEXT) | instid1(VALU_DEP_1)
	v_or_b32_e32 v3, v13, v3
	v_cndmask_b32_e32 v3, v12, v3, vcc_lo
	s_delay_alu instid0(VALU_DEP_1) | instskip(NEXT) | instid1(VALU_DEP_1)
	v_dual_lshrrev_b32 v3, 2, v3 :: v_dual_bitop2_b32 v12, 7, v3 bitop3:0x40
	v_cmp_lt_i32_e32 vcc_lo, 5, v12
	v_cndmask_b32_e64 v13, 0, 1, vcc_lo
	v_cmp_eq_u32_e32 vcc_lo, 3, v12
	v_cndmask_b32_e64 v12, 0, 1, vcc_lo
	v_cmp_ne_u32_e32 vcc_lo, 0, v1
	s_delay_alu instid0(VALU_DEP_2) | instskip(SKIP_1) | instid1(VALU_DEP_2)
	v_or_b32_e32 v12, v12, v13
	v_mov_b32_e32 v13, 0x7e00
	v_add_nc_u32_e32 v3, v3, v12
	s_delay_alu instid0(VALU_DEP_2) | instskip(SKIP_1) | instid1(VALU_DEP_3)
	v_cndmask_b32_e32 v1, 0x7c00, v13, vcc_lo
	v_cmp_gt_i32_e32 vcc_lo, 31, v10
	v_cndmask_b32_e32 v3, 0x7c00, v3, vcc_lo
	v_cmp_eq_u32_e32 vcc_lo, 0x40f, v10
	s_delay_alu instid0(VALU_DEP_2) | instskip(NEXT) | instid1(VALU_DEP_1)
	v_dual_cndmask_b32 v1, v3, v1, vcc_lo :: v_dual_lshrrev_b32 v3, 16, v11
	v_and_or_b32 v10, 0x8000, v3, v1
	s_branch .LBB182_2036
.LBB182_2034:
	s_mov_b32 s14, -1
                                        ; implicit-def: $vgpr10
	s_branch .LBB182_2039
.LBB182_2035:
	s_mov_b32 s14, -1
                                        ; implicit-def: $vgpr10
.LBB182_2036:
	s_delay_alu instid0(SALU_CYCLE_1)
	s_and_not1_b32 vcc_lo, exec_lo, s14
	s_cbranch_vccnz .LBB182_2038
; %bb.2037:
	global_load_b32 v1, v[4:5], off
	s_wait_loadcnt 0x0
	v_cvt_f16_f32_e32 v10, v1
.LBB182_2038:
	s_mov_b32 s14, 0
.LBB182_2039:
	s_delay_alu instid0(SALU_CYCLE_1)
	s_and_not1_b32 vcc_lo, exec_lo, s14
	s_cbranch_vccnz .LBB182_2041
; %bb.2040:
	s_wait_loadcnt 0x0
	global_load_u16 v10, v[4:5], off
.LBB182_2041:
	s_mov_b32 s14, 0
.LBB182_2042:
	s_delay_alu instid0(SALU_CYCLE_1)
	s_and_not1_b32 vcc_lo, exec_lo, s14
	s_cbranch_vccnz .LBB182_2062
; %bb.2043:
	s_cmp_lt_i32 s10, 2
	s_cbranch_scc1 .LBB182_2047
; %bb.2044:
	s_cmp_lt_i32 s10, 3
	s_cbranch_scc1 .LBB182_2048
; %bb.2045:
	s_cmp_gt_i32 s10, 3
	s_cbranch_scc0 .LBB182_2049
; %bb.2046:
	s_wait_loadcnt 0x0
	global_load_b64 v[10:11], v[4:5], off
	s_mov_b32 s14, 0
	s_wait_loadcnt 0x0
	v_xor_b32_e32 v1, v10, v11
	v_cls_i32_e32 v3, v11
	s_delay_alu instid0(VALU_DEP_2) | instskip(NEXT) | instid1(VALU_DEP_1)
	v_ashrrev_i32_e32 v1, 31, v1
	v_add_nc_u32_e32 v1, 32, v1
	s_delay_alu instid0(VALU_DEP_1) | instskip(NEXT) | instid1(VALU_DEP_1)
	v_add_min_u32_e64 v1, v3, -1, v1
	v_lshlrev_b64_e32 v[10:11], v1, v[10:11]
	v_sub_nc_u32_e32 v1, 32, v1
	s_delay_alu instid0(VALU_DEP_2) | instskip(NEXT) | instid1(VALU_DEP_1)
	v_min_u32_e32 v3, 1, v10
	v_or_b32_e32 v3, v11, v3
	s_delay_alu instid0(VALU_DEP_1) | instskip(NEXT) | instid1(VALU_DEP_1)
	v_cvt_f32_i32_e32 v3, v3
	v_ldexp_f32 v1, v3, v1
	s_delay_alu instid0(VALU_DEP_1)
	v_cvt_f16_f32_e32 v10, v1
	s_branch .LBB182_2050
.LBB182_2047:
	s_mov_b32 s14, -1
                                        ; implicit-def: $vgpr10
	s_branch .LBB182_2056
.LBB182_2048:
	s_mov_b32 s14, -1
                                        ; implicit-def: $vgpr10
	s_branch .LBB182_2053
.LBB182_2049:
	s_mov_b32 s14, -1
                                        ; implicit-def: $vgpr10
.LBB182_2050:
	s_delay_alu instid0(SALU_CYCLE_1)
	s_and_not1_b32 vcc_lo, exec_lo, s14
	s_cbranch_vccnz .LBB182_2052
; %bb.2051:
	global_load_b32 v1, v[4:5], off
	s_wait_loadcnt 0x0
	v_cvt_f32_i32_e32 v1, v1
	s_delay_alu instid0(VALU_DEP_1)
	v_cvt_f16_f32_e32 v10, v1
.LBB182_2052:
	s_mov_b32 s14, 0
.LBB182_2053:
	s_delay_alu instid0(SALU_CYCLE_1)
	s_and_not1_b32 vcc_lo, exec_lo, s14
	s_cbranch_vccnz .LBB182_2055
; %bb.2054:
	global_load_u16 v1, v[4:5], off
	s_wait_loadcnt 0x0
	v_cvt_f16_i16_e32 v10, v1
.LBB182_2055:
	s_mov_b32 s14, 0
.LBB182_2056:
	s_delay_alu instid0(SALU_CYCLE_1)
	s_and_not1_b32 vcc_lo, exec_lo, s14
	s_cbranch_vccnz .LBB182_2062
; %bb.2057:
	s_cmp_gt_i32 s10, 0
	s_mov_b32 s10, 0
	s_cbranch_scc0 .LBB182_2059
; %bb.2058:
	global_load_i8 v1, v[4:5], off
	s_wait_loadcnt 0x0
	v_cvt_f16_i16_e32 v10, v1
	s_branch .LBB182_2060
.LBB182_2059:
	s_mov_b32 s10, -1
                                        ; implicit-def: $vgpr10
.LBB182_2060:
	s_delay_alu instid0(SALU_CYCLE_1)
	s_and_not1_b32 vcc_lo, exec_lo, s10
	s_cbranch_vccnz .LBB182_2062
; %bb.2061:
	global_load_u8 v1, v[4:5], off
	s_wait_loadcnt 0x0
	v_cvt_f16_u16_e32 v10, v1
.LBB182_2062:
	s_mov_b32 s19, -1
.LBB182_2063:
	s_delay_alu instid0(SALU_CYCLE_1)
	s_and_not1_b32 vcc_lo, exec_lo, s19
	s_cbranch_vccnz .LBB182_3022
; %bb.2064:
	v_add_nc_u32_e32 v0, s2, v0
	s_cmp_lt_i32 s0, 11
	s_delay_alu instid0(VALU_DEP_1) | instskip(SKIP_1) | instid1(VALU_DEP_1)
	v_ashrrev_i32_e32 v1, 31, v0
	s_wait_xcnt 0x0
	v_add_nc_u64_e32 v[4:5], s[6:7], v[0:1]
	s_cbranch_scc1 .LBB182_2071
; %bb.2065:
	s_and_b32 s10, 0xffff, s0
	s_mov_b32 s16, 0
	s_cmp_gt_i32 s10, 25
	s_cbranch_scc0 .LBB182_2072
; %bb.2066:
	s_cmp_gt_i32 s10, 28
	s_cbranch_scc0 .LBB182_2073
; %bb.2067:
	;; [unrolled: 3-line block ×4, first 2 shown]
	s_cmp_eq_u32 s10, 46
	s_mov_b32 s20, 0
	s_cbranch_scc0 .LBB182_2077
; %bb.2070:
	global_load_b32 v1, v[4:5], off
	s_mov_b32 s14, 0
	s_mov_b32 s19, -1
	s_wait_loadcnt 0x0
	v_lshlrev_b32_e32 v1, 16, v1
	s_delay_alu instid0(VALU_DEP_1)
	v_cvt_f16_f32_e32 v11, v1
	s_branch .LBB182_2079
.LBB182_2071:
	s_mov_b32 s10, -1
	s_mov_b32 s19, 0
                                        ; implicit-def: $vgpr11
	s_branch .LBB182_2145
.LBB182_2072:
	s_mov_b32 s20, -1
	s_mov_b32 s19, 0
	s_mov_b32 s14, 0
                                        ; implicit-def: $vgpr11
	s_branch .LBB182_2108
.LBB182_2073:
	s_mov_b32 s20, -1
	s_mov_b32 s19, 0
	s_mov_b32 s14, 0
                                        ; implicit-def: $vgpr11
	s_branch .LBB182_2089
.LBB182_2074:
	s_mov_b32 s20, -1
	s_mov_b32 s19, 0
	s_mov_b32 s14, 0
                                        ; implicit-def: $vgpr11
	s_branch .LBB182_2084
.LBB182_2075:
	s_or_b32 s15, s15, exec_lo
	s_trap 2
	s_cbranch_execz .LBB182_2012
	s_branch .LBB182_2013
.LBB182_2076:
	s_mov_b32 s20, -1
	s_mov_b32 s19, 0
	s_mov_b32 s14, 0
	s_branch .LBB182_2078
.LBB182_2077:
	s_mov_b32 s14, -1
	s_mov_b32 s19, 0
.LBB182_2078:
                                        ; implicit-def: $vgpr11
.LBB182_2079:
	s_and_b32 vcc_lo, exec_lo, s20
	s_cbranch_vccz .LBB182_2083
; %bb.2080:
	s_cmp_eq_u32 s10, 44
	s_cbranch_scc0 .LBB182_2082
; %bb.2081:
	global_load_u8 v1, v[4:5], off
	s_mov_b32 s14, 0
	s_mov_b32 s19, -1
	s_wait_loadcnt 0x0
	v_lshlrev_b32_e32 v3, 23, v1
	v_cmp_ne_u32_e32 vcc_lo, 0xff, v1
	s_delay_alu instid0(VALU_DEP_2) | instskip(NEXT) | instid1(VALU_DEP_1)
	v_cvt_f16_f32_e32 v3, v3
	v_cndmask_b32_e32 v3, 0x7e00, v3, vcc_lo
	v_cmp_ne_u32_e32 vcc_lo, 0, v1
	s_delay_alu instid0(VALU_DEP_2)
	v_cndmask_b32_e32 v11, 0, v3, vcc_lo
	s_branch .LBB182_2083
.LBB182_2082:
	s_mov_b32 s14, -1
                                        ; implicit-def: $vgpr11
.LBB182_2083:
	s_mov_b32 s20, 0
.LBB182_2084:
	s_delay_alu instid0(SALU_CYCLE_1)
	s_and_b32 vcc_lo, exec_lo, s20
	s_cbranch_vccz .LBB182_2088
; %bb.2085:
	s_cmp_eq_u32 s10, 29
	s_cbranch_scc0 .LBB182_2087
; %bb.2086:
	global_load_b64 v[12:13], v[4:5], off
	s_mov_b32 s14, 0
	s_mov_b32 s19, -1
	s_mov_b32 s20, 0
	s_wait_loadcnt 0x0
	v_clz_i32_u32_e32 v1, v13
	s_delay_alu instid0(VALU_DEP_1) | instskip(NEXT) | instid1(VALU_DEP_1)
	v_min_u32_e32 v1, 32, v1
	v_lshlrev_b64_e32 v[12:13], v1, v[12:13]
	v_sub_nc_u32_e32 v1, 32, v1
	s_delay_alu instid0(VALU_DEP_2) | instskip(NEXT) | instid1(VALU_DEP_1)
	v_min_u32_e32 v3, 1, v12
	v_or_b32_e32 v3, v13, v3
	s_delay_alu instid0(VALU_DEP_1) | instskip(NEXT) | instid1(VALU_DEP_1)
	v_cvt_f32_u32_e32 v3, v3
	v_ldexp_f32 v1, v3, v1
	s_delay_alu instid0(VALU_DEP_1)
	v_cvt_f16_f32_e32 v11, v1
	s_branch .LBB182_2089
.LBB182_2087:
	s_mov_b32 s14, -1
                                        ; implicit-def: $vgpr11
.LBB182_2088:
	s_mov_b32 s20, 0
.LBB182_2089:
	s_delay_alu instid0(SALU_CYCLE_1)
	s_and_b32 vcc_lo, exec_lo, s20
	s_cbranch_vccz .LBB182_2107
; %bb.2090:
	s_cmp_lt_i32 s10, 27
	s_cbranch_scc1 .LBB182_2093
; %bb.2091:
	s_cmp_gt_i32 s10, 27
	s_cbranch_scc0 .LBB182_2094
; %bb.2092:
	global_load_b32 v1, v[4:5], off
	s_mov_b32 s19, 0
	s_wait_loadcnt 0x0
	v_cvt_f32_u32_e32 v1, v1
	s_delay_alu instid0(VALU_DEP_1)
	v_cvt_f16_f32_e32 v11, v1
	s_branch .LBB182_2095
.LBB182_2093:
	s_mov_b32 s19, -1
                                        ; implicit-def: $vgpr11
	s_branch .LBB182_2098
.LBB182_2094:
	s_mov_b32 s19, -1
                                        ; implicit-def: $vgpr11
.LBB182_2095:
	s_delay_alu instid0(SALU_CYCLE_1)
	s_and_not1_b32 vcc_lo, exec_lo, s19
	s_cbranch_vccnz .LBB182_2097
; %bb.2096:
	global_load_u16 v1, v[4:5], off
	s_wait_loadcnt 0x0
	v_cvt_f16_u16_e32 v11, v1
.LBB182_2097:
	s_mov_b32 s19, 0
.LBB182_2098:
	s_delay_alu instid0(SALU_CYCLE_1)
	s_and_not1_b32 vcc_lo, exec_lo, s19
	s_cbranch_vccnz .LBB182_2106
; %bb.2099:
	global_load_u8 v1, v[4:5], off
	s_mov_b32 s19, 0
	s_mov_b32 s20, exec_lo
	s_wait_loadcnt 0x0
	v_cmpx_lt_i16_e32 0x7f, v1
	s_xor_b32 s20, exec_lo, s20
	s_cbranch_execz .LBB182_2120
; %bb.2100:
	s_mov_b32 s19, -1
	s_mov_b32 s21, exec_lo
	v_cmpx_eq_u16_e32 0x80, v1
; %bb.2101:
	s_xor_b32 s19, exec_lo, -1
; %bb.2102:
	s_or_b32 exec_lo, exec_lo, s21
	s_delay_alu instid0(SALU_CYCLE_1)
	s_and_b32 s19, s19, exec_lo
	s_or_saveexec_b32 s20, s20
	v_mov_b32_e32 v11, 0x7e00
	s_xor_b32 exec_lo, exec_lo, s20
	s_cbranch_execnz .LBB182_2121
.LBB182_2103:
	s_or_b32 exec_lo, exec_lo, s20
	s_and_saveexec_b32 s20, s19
	s_cbranch_execz .LBB182_2105
.LBB182_2104:
	v_and_b32_e32 v3, 0xffff, v1
	s_delay_alu instid0(VALU_DEP_1) | instskip(SKIP_1) | instid1(VALU_DEP_2)
	v_and_b32_e32 v11, 7, v3
	v_bfe_u32 v14, v3, 3, 4
	v_clz_i32_u32_e32 v12, v11
	s_delay_alu instid0(VALU_DEP_2) | instskip(NEXT) | instid1(VALU_DEP_2)
	v_cmp_eq_u32_e32 vcc_lo, 0, v14
	v_min_u32_e32 v12, 32, v12
	s_delay_alu instid0(VALU_DEP_1) | instskip(NEXT) | instid1(VALU_DEP_1)
	v_subrev_nc_u32_e32 v13, 28, v12
	v_dual_lshlrev_b32 v3, v13, v3 :: v_dual_sub_nc_u32 v12, 29, v12
	s_delay_alu instid0(VALU_DEP_1) | instskip(NEXT) | instid1(VALU_DEP_1)
	v_dual_lshlrev_b32 v1, 24, v1 :: v_dual_bitop2_b32 v3, 7, v3 bitop3:0x40
	v_dual_cndmask_b32 v12, v14, v12 :: v_dual_cndmask_b32 v3, v11, v3
	s_delay_alu instid0(VALU_DEP_2) | instskip(NEXT) | instid1(VALU_DEP_2)
	v_and_b32_e32 v1, 0x80000000, v1
	v_lshl_add_u32 v11, v12, 23, 0x3b800000
	s_delay_alu instid0(VALU_DEP_3) | instskip(NEXT) | instid1(VALU_DEP_1)
	v_lshlrev_b32_e32 v3, 20, v3
	v_or3_b32 v1, v1, v11, v3
	s_delay_alu instid0(VALU_DEP_1)
	v_cvt_f16_f32_e32 v11, v1
.LBB182_2105:
	s_or_b32 exec_lo, exec_lo, s20
.LBB182_2106:
	s_mov_b32 s19, -1
.LBB182_2107:
	s_mov_b32 s20, 0
.LBB182_2108:
	s_delay_alu instid0(SALU_CYCLE_1)
	s_and_b32 vcc_lo, exec_lo, s20
	s_cbranch_vccz .LBB182_2141
; %bb.2109:
	s_cmp_gt_i32 s10, 22
	s_cbranch_scc0 .LBB182_2119
; %bb.2110:
	s_cmp_lt_i32 s10, 24
	s_cbranch_scc1 .LBB182_2122
; %bb.2111:
	s_cmp_gt_i32 s10, 24
	s_cbranch_scc0 .LBB182_2123
; %bb.2112:
	global_load_u8 v1, v[4:5], off
	s_mov_b32 s19, exec_lo
	s_wait_loadcnt 0x0
	v_cmpx_lt_i16_e32 0x7f, v1
	s_xor_b32 s19, exec_lo, s19
	s_cbranch_execz .LBB182_2135
; %bb.2113:
	s_mov_b32 s16, -1
	s_mov_b32 s20, exec_lo
	v_cmpx_eq_u16_e32 0x80, v1
; %bb.2114:
	s_xor_b32 s16, exec_lo, -1
; %bb.2115:
	s_or_b32 exec_lo, exec_lo, s20
	s_delay_alu instid0(SALU_CYCLE_1)
	s_and_b32 s16, s16, exec_lo
	s_or_saveexec_b32 s19, s19
	v_mov_b32_e32 v11, 0x7e00
	s_xor_b32 exec_lo, exec_lo, s19
	s_cbranch_execnz .LBB182_2136
.LBB182_2116:
	s_or_b32 exec_lo, exec_lo, s19
	s_and_saveexec_b32 s19, s16
	s_cbranch_execz .LBB182_2118
.LBB182_2117:
	v_and_b32_e32 v3, 0xffff, v1
	s_delay_alu instid0(VALU_DEP_1) | instskip(SKIP_1) | instid1(VALU_DEP_2)
	v_and_b32_e32 v11, 3, v3
	v_bfe_u32 v14, v3, 2, 5
	v_clz_i32_u32_e32 v12, v11
	s_delay_alu instid0(VALU_DEP_2) | instskip(NEXT) | instid1(VALU_DEP_2)
	v_cmp_eq_u32_e32 vcc_lo, 0, v14
	v_min_u32_e32 v12, 32, v12
	s_delay_alu instid0(VALU_DEP_1) | instskip(NEXT) | instid1(VALU_DEP_1)
	v_subrev_nc_u32_e32 v13, 29, v12
	v_dual_lshlrev_b32 v3, v13, v3 :: v_dual_sub_nc_u32 v12, 30, v12
	s_delay_alu instid0(VALU_DEP_1) | instskip(NEXT) | instid1(VALU_DEP_1)
	v_dual_lshlrev_b32 v1, 24, v1 :: v_dual_bitop2_b32 v3, 3, v3 bitop3:0x40
	v_dual_cndmask_b32 v12, v14, v12 :: v_dual_cndmask_b32 v3, v11, v3
	s_delay_alu instid0(VALU_DEP_2) | instskip(NEXT) | instid1(VALU_DEP_2)
	v_and_b32_e32 v1, 0x80000000, v1
	v_lshl_add_u32 v11, v12, 23, 0x37800000
	s_delay_alu instid0(VALU_DEP_3) | instskip(NEXT) | instid1(VALU_DEP_1)
	v_lshlrev_b32_e32 v3, 21, v3
	v_or3_b32 v1, v1, v11, v3
	s_delay_alu instid0(VALU_DEP_1)
	v_cvt_f16_f32_e32 v11, v1
.LBB182_2118:
	s_or_b32 exec_lo, exec_lo, s19
	s_mov_b32 s16, 0
	s_branch .LBB182_2124
.LBB182_2119:
	s_mov_b32 s16, -1
                                        ; implicit-def: $vgpr11
	s_branch .LBB182_2130
.LBB182_2120:
	s_or_saveexec_b32 s20, s20
	v_mov_b32_e32 v11, 0x7e00
	s_xor_b32 exec_lo, exec_lo, s20
	s_cbranch_execz .LBB182_2103
.LBB182_2121:
	v_cmp_ne_u16_e32 vcc_lo, 0, v1
	v_mov_b32_e32 v11, v1
	s_and_not1_b32 s19, s19, exec_lo
	s_and_b32 s21, vcc_lo, exec_lo
	s_delay_alu instid0(SALU_CYCLE_1)
	s_or_b32 s19, s19, s21
	s_or_b32 exec_lo, exec_lo, s20
	s_and_saveexec_b32 s20, s19
	s_cbranch_execnz .LBB182_2104
	s_branch .LBB182_2105
.LBB182_2122:
	s_mov_b32 s16, -1
                                        ; implicit-def: $vgpr11
	s_branch .LBB182_2127
.LBB182_2123:
	s_mov_b32 s16, -1
                                        ; implicit-def: $vgpr11
.LBB182_2124:
	s_delay_alu instid0(SALU_CYCLE_1)
	s_and_b32 vcc_lo, exec_lo, s16
	s_cbranch_vccz .LBB182_2126
; %bb.2125:
	global_load_u8 v1, v[4:5], off
	s_wait_loadcnt 0x0
	v_lshlrev_b32_e32 v1, 24, v1
	s_delay_alu instid0(VALU_DEP_1) | instskip(NEXT) | instid1(VALU_DEP_1)
	v_and_b32_e32 v3, 0x7f000000, v1
	v_clz_i32_u32_e32 v11, v3
	v_add_nc_u32_e32 v13, 0x1000000, v3
	v_cmp_ne_u32_e32 vcc_lo, 0, v3
	s_delay_alu instid0(VALU_DEP_3) | instskip(NEXT) | instid1(VALU_DEP_1)
	v_min_u32_e32 v11, 32, v11
	v_sub_nc_u32_e64 v11, v11, 4 clamp
	s_delay_alu instid0(VALU_DEP_1) | instskip(NEXT) | instid1(VALU_DEP_1)
	v_lshlrev_b32_e32 v12, v11, v3
	v_dual_lshlrev_b32 v11, 23, v11 :: v_dual_lshrrev_b32 v12, 4, v12
	s_delay_alu instid0(VALU_DEP_1) | instskip(NEXT) | instid1(VALU_DEP_1)
	v_dual_sub_nc_u32 v11, v12, v11 :: v_dual_ashrrev_i32 v12, 8, v13
	v_add_nc_u32_e32 v11, 0x3c000000, v11
	s_delay_alu instid0(VALU_DEP_1) | instskip(NEXT) | instid1(VALU_DEP_1)
	v_and_or_b32 v11, 0x7f800000, v12, v11
	v_cndmask_b32_e32 v3, 0, v11, vcc_lo
	s_delay_alu instid0(VALU_DEP_1) | instskip(NEXT) | instid1(VALU_DEP_1)
	v_and_or_b32 v1, 0x80000000, v1, v3
	v_cvt_f16_f32_e32 v11, v1
.LBB182_2126:
	s_mov_b32 s16, 0
.LBB182_2127:
	s_delay_alu instid0(SALU_CYCLE_1)
	s_and_not1_b32 vcc_lo, exec_lo, s16
	s_cbranch_vccnz .LBB182_2129
; %bb.2128:
	global_load_u8 v1, v[4:5], off
	s_wait_loadcnt 0x0
	v_lshlrev_b32_e32 v3, 25, v1
	v_lshlrev_b16 v1, 8, v1
	s_delay_alu instid0(VALU_DEP_1) | instskip(SKIP_1) | instid1(VALU_DEP_2)
	v_and_or_b32 v12, 0x7f00, v1, 0.5
	v_bfe_i32 v1, v1, 0, 16
	v_dual_add_f32 v12, -0.5, v12 :: v_dual_lshrrev_b32 v11, 4, v3
	v_cmp_gt_u32_e32 vcc_lo, 0x8000000, v3
	s_delay_alu instid0(VALU_DEP_2) | instskip(NEXT) | instid1(VALU_DEP_1)
	v_or_b32_e32 v11, 0x70000000, v11
	v_mul_f32_e32 v11, 0x7800000, v11
	s_delay_alu instid0(VALU_DEP_1) | instskip(NEXT) | instid1(VALU_DEP_1)
	v_cndmask_b32_e32 v3, v11, v12, vcc_lo
	v_and_or_b32 v1, 0x80000000, v1, v3
	s_delay_alu instid0(VALU_DEP_1)
	v_cvt_f16_f32_e32 v11, v1
.LBB182_2129:
	s_mov_b32 s16, 0
	s_mov_b32 s19, -1
.LBB182_2130:
	s_and_not1_b32 vcc_lo, exec_lo, s16
	s_mov_b32 s16, 0
	s_cbranch_vccnz .LBB182_2141
; %bb.2131:
	s_cmp_gt_i32 s10, 14
	s_cbranch_scc0 .LBB182_2134
; %bb.2132:
	s_cmp_eq_u32 s10, 15
	s_cbranch_scc0 .LBB182_2137
; %bb.2133:
	global_load_u16 v1, v[4:5], off
	s_mov_b32 s14, 0
	s_mov_b32 s19, -1
	s_wait_loadcnt 0x0
	v_lshlrev_b32_e32 v1, 16, v1
	s_delay_alu instid0(VALU_DEP_1)
	v_cvt_f16_f32_e32 v11, v1
	s_branch .LBB182_2139
.LBB182_2134:
	s_mov_b32 s16, -1
	s_branch .LBB182_2138
.LBB182_2135:
	s_or_saveexec_b32 s19, s19
	v_mov_b32_e32 v11, 0x7e00
	s_xor_b32 exec_lo, exec_lo, s19
	s_cbranch_execz .LBB182_2116
.LBB182_2136:
	v_cmp_ne_u16_e32 vcc_lo, 0, v1
	v_mov_b32_e32 v11, v1
	s_and_not1_b32 s16, s16, exec_lo
	s_and_b32 s20, vcc_lo, exec_lo
	s_delay_alu instid0(SALU_CYCLE_1)
	s_or_b32 s16, s16, s20
	s_or_b32 exec_lo, exec_lo, s19
	s_and_saveexec_b32 s19, s16
	s_cbranch_execnz .LBB182_2117
	s_branch .LBB182_2118
.LBB182_2137:
	s_mov_b32 s14, -1
.LBB182_2138:
                                        ; implicit-def: $vgpr11
.LBB182_2139:
	s_and_b32 vcc_lo, exec_lo, s16
	s_mov_b32 s16, 0
	s_cbranch_vccz .LBB182_2141
; %bb.2140:
	s_cmp_lg_u32 s10, 11
	s_mov_b32 s16, -1
	s_cselect_b32 s14, -1, 0
.LBB182_2141:
	s_delay_alu instid0(SALU_CYCLE_1)
	s_and_b32 vcc_lo, exec_lo, s14
	s_cbranch_vccnz .LBB182_2206
; %bb.2142:
	s_and_not1_b32 vcc_lo, exec_lo, s16
	s_cbranch_vccnz .LBB182_2144
.LBB182_2143:
	global_load_u8 v1, v[4:5], off
	s_mov_b32 s19, -1
	s_wait_loadcnt 0x0
	v_cmp_ne_u16_e32 vcc_lo, 0, v1
	v_cndmask_b32_e64 v11, 0, 0x3c00, vcc_lo
.LBB182_2144:
	s_mov_b32 s10, 0
.LBB182_2145:
	s_delay_alu instid0(SALU_CYCLE_1)
	s_and_b32 vcc_lo, exec_lo, s10
	s_cbranch_vccz .LBB182_2194
; %bb.2146:
	s_and_b32 s10, 0xffff, s0
	s_delay_alu instid0(SALU_CYCLE_1)
	s_cmp_lt_i32 s10, 5
	s_cbranch_scc1 .LBB182_2151
; %bb.2147:
	s_cmp_lt_i32 s10, 8
	s_cbranch_scc1 .LBB182_2152
; %bb.2148:
	;; [unrolled: 3-line block ×3, first 2 shown]
	s_cmp_gt_i32 s10, 9
	s_cbranch_scc0 .LBB182_2154
; %bb.2150:
	global_load_b64 v[12:13], v[4:5], off
	s_mov_b32 s14, 0
	s_wait_loadcnt 0x0
	v_and_or_b32 v1, 0x1ff, v13, v12
	v_lshrrev_b32_e32 v3, 8, v13
	v_bfe_u32 v11, v13, 20, 11
	s_delay_alu instid0(VALU_DEP_3) | instskip(NEXT) | instid1(VALU_DEP_2)
	v_cmp_ne_u32_e32 vcc_lo, 0, v1
	v_sub_nc_u32_e32 v12, 0x3f1, v11
	v_add_nc_u32_e32 v11, 0xfffffc10, v11
	v_cndmask_b32_e64 v1, 0, 1, vcc_lo
	s_delay_alu instid0(VALU_DEP_1) | instskip(NEXT) | instid1(VALU_DEP_4)
	v_and_or_b32 v1, 0xffe, v3, v1
	v_med3_i32 v3, v12, 0, 13
	s_delay_alu instid0(VALU_DEP_2) | instskip(NEXT) | instid1(VALU_DEP_1)
	v_or_b32_e32 v12, 0x1000, v1
	v_lshrrev_b32_e32 v14, v3, v12
	s_delay_alu instid0(VALU_DEP_1) | instskip(NEXT) | instid1(VALU_DEP_1)
	v_lshlrev_b32_e32 v3, v3, v14
	v_cmp_ne_u32_e32 vcc_lo, v3, v12
	v_lshl_or_b32 v12, v11, 12, v1
	v_cndmask_b32_e64 v3, 0, 1, vcc_lo
	v_cmp_gt_i32_e32 vcc_lo, 1, v11
	s_delay_alu instid0(VALU_DEP_2) | instskip(NEXT) | instid1(VALU_DEP_1)
	v_or_b32_e32 v3, v14, v3
	v_cndmask_b32_e32 v3, v12, v3, vcc_lo
	s_delay_alu instid0(VALU_DEP_1) | instskip(NEXT) | instid1(VALU_DEP_1)
	v_dual_lshrrev_b32 v3, 2, v3 :: v_dual_bitop2_b32 v12, 7, v3 bitop3:0x40
	v_cmp_lt_i32_e32 vcc_lo, 5, v12
	v_cndmask_b32_e64 v14, 0, 1, vcc_lo
	v_cmp_eq_u32_e32 vcc_lo, 3, v12
	v_cndmask_b32_e64 v12, 0, 1, vcc_lo
	v_cmp_ne_u32_e32 vcc_lo, 0, v1
	s_delay_alu instid0(VALU_DEP_2) | instskip(NEXT) | instid1(VALU_DEP_1)
	v_or_b32_e32 v12, v12, v14
	v_dual_mov_b32 v14, 0x7e00 :: v_dual_add_nc_u32 v3, v3, v12
	s_delay_alu instid0(VALU_DEP_1) | instskip(SKIP_1) | instid1(VALU_DEP_3)
	v_cndmask_b32_e32 v1, 0x7c00, v14, vcc_lo
	v_cmp_gt_i32_e32 vcc_lo, 31, v11
	v_cndmask_b32_e32 v3, 0x7c00, v3, vcc_lo
	v_cmp_eq_u32_e32 vcc_lo, 0x40f, v11
	s_delay_alu instid0(VALU_DEP_2) | instskip(SKIP_1) | instid1(VALU_DEP_1)
	v_cndmask_b32_e32 v1, v3, v1, vcc_lo
	v_lshrrev_b32_e32 v3, 16, v13
	v_and_or_b32 v11, 0x8000, v3, v1
	s_branch .LBB182_2155
.LBB182_2151:
	s_mov_b32 s14, -1
                                        ; implicit-def: $vgpr11
	s_branch .LBB182_2173
.LBB182_2152:
	s_mov_b32 s14, -1
                                        ; implicit-def: $vgpr11
	s_branch .LBB182_2161
.LBB182_2153:
	s_mov_b32 s14, -1
                                        ; implicit-def: $vgpr11
	s_branch .LBB182_2158
.LBB182_2154:
	s_mov_b32 s14, -1
                                        ; implicit-def: $vgpr11
.LBB182_2155:
	s_delay_alu instid0(SALU_CYCLE_1)
	s_and_not1_b32 vcc_lo, exec_lo, s14
	s_cbranch_vccnz .LBB182_2157
; %bb.2156:
	global_load_b32 v1, v[4:5], off
	s_wait_loadcnt 0x0
	v_cvt_f16_f32_e32 v11, v1
.LBB182_2157:
	s_mov_b32 s14, 0
.LBB182_2158:
	s_delay_alu instid0(SALU_CYCLE_1)
	s_and_not1_b32 vcc_lo, exec_lo, s14
	s_cbranch_vccnz .LBB182_2160
; %bb.2159:
	global_load_b32 v11, v[4:5], off
.LBB182_2160:
	s_mov_b32 s14, 0
.LBB182_2161:
	s_delay_alu instid0(SALU_CYCLE_1)
	s_and_not1_b32 vcc_lo, exec_lo, s14
	s_cbranch_vccnz .LBB182_2172
; %bb.2162:
	s_cmp_lt_i32 s10, 6
	s_cbranch_scc1 .LBB182_2165
; %bb.2163:
	s_cmp_gt_i32 s10, 6
	s_cbranch_scc0 .LBB182_2166
; %bb.2164:
	global_load_b64 v[12:13], v[4:5], off
	s_mov_b32 s14, 0
	s_wait_loadcnt 0x0
	v_and_or_b32 v1, 0x1ff, v13, v12
	v_lshrrev_b32_e32 v3, 8, v13
	v_bfe_u32 v11, v13, 20, 11
	s_delay_alu instid0(VALU_DEP_3) | instskip(NEXT) | instid1(VALU_DEP_2)
	v_cmp_ne_u32_e32 vcc_lo, 0, v1
	v_sub_nc_u32_e32 v12, 0x3f1, v11
	v_add_nc_u32_e32 v11, 0xfffffc10, v11
	v_cndmask_b32_e64 v1, 0, 1, vcc_lo
	s_delay_alu instid0(VALU_DEP_1) | instskip(NEXT) | instid1(VALU_DEP_4)
	v_and_or_b32 v1, 0xffe, v3, v1
	v_med3_i32 v3, v12, 0, 13
	s_delay_alu instid0(VALU_DEP_2) | instskip(NEXT) | instid1(VALU_DEP_1)
	v_or_b32_e32 v12, 0x1000, v1
	v_lshrrev_b32_e32 v14, v3, v12
	s_delay_alu instid0(VALU_DEP_1) | instskip(NEXT) | instid1(VALU_DEP_1)
	v_lshlrev_b32_e32 v3, v3, v14
	v_cmp_ne_u32_e32 vcc_lo, v3, v12
	v_lshl_or_b32 v12, v11, 12, v1
	v_cndmask_b32_e64 v3, 0, 1, vcc_lo
	v_cmp_gt_i32_e32 vcc_lo, 1, v11
	s_delay_alu instid0(VALU_DEP_2) | instskip(NEXT) | instid1(VALU_DEP_1)
	v_or_b32_e32 v3, v14, v3
	v_cndmask_b32_e32 v3, v12, v3, vcc_lo
	s_delay_alu instid0(VALU_DEP_1) | instskip(NEXT) | instid1(VALU_DEP_1)
	v_dual_lshrrev_b32 v3, 2, v3 :: v_dual_bitop2_b32 v12, 7, v3 bitop3:0x40
	v_cmp_lt_i32_e32 vcc_lo, 5, v12
	v_cndmask_b32_e64 v14, 0, 1, vcc_lo
	v_cmp_eq_u32_e32 vcc_lo, 3, v12
	v_cndmask_b32_e64 v12, 0, 1, vcc_lo
	v_cmp_ne_u32_e32 vcc_lo, 0, v1
	s_delay_alu instid0(VALU_DEP_2) | instskip(NEXT) | instid1(VALU_DEP_1)
	v_or_b32_e32 v12, v12, v14
	v_dual_mov_b32 v14, 0x7e00 :: v_dual_add_nc_u32 v3, v3, v12
	s_delay_alu instid0(VALU_DEP_1) | instskip(SKIP_1) | instid1(VALU_DEP_3)
	v_cndmask_b32_e32 v1, 0x7c00, v14, vcc_lo
	v_cmp_gt_i32_e32 vcc_lo, 31, v11
	v_cndmask_b32_e32 v3, 0x7c00, v3, vcc_lo
	v_cmp_eq_u32_e32 vcc_lo, 0x40f, v11
	s_delay_alu instid0(VALU_DEP_2) | instskip(SKIP_1) | instid1(VALU_DEP_1)
	v_cndmask_b32_e32 v1, v3, v1, vcc_lo
	v_lshrrev_b32_e32 v3, 16, v13
	v_and_or_b32 v11, 0x8000, v3, v1
	s_branch .LBB182_2167
.LBB182_2165:
	s_mov_b32 s14, -1
                                        ; implicit-def: $vgpr11
	s_branch .LBB182_2170
.LBB182_2166:
	s_mov_b32 s14, -1
                                        ; implicit-def: $vgpr11
.LBB182_2167:
	s_delay_alu instid0(SALU_CYCLE_1)
	s_and_not1_b32 vcc_lo, exec_lo, s14
	s_cbranch_vccnz .LBB182_2169
; %bb.2168:
	global_load_b32 v1, v[4:5], off
	s_wait_loadcnt 0x0
	v_cvt_f16_f32_e32 v11, v1
.LBB182_2169:
	s_mov_b32 s14, 0
.LBB182_2170:
	s_delay_alu instid0(SALU_CYCLE_1)
	s_and_not1_b32 vcc_lo, exec_lo, s14
	s_cbranch_vccnz .LBB182_2172
; %bb.2171:
	s_wait_loadcnt 0x0
	global_load_u16 v11, v[4:5], off
.LBB182_2172:
	s_mov_b32 s14, 0
.LBB182_2173:
	s_delay_alu instid0(SALU_CYCLE_1)
	s_and_not1_b32 vcc_lo, exec_lo, s14
	s_cbranch_vccnz .LBB182_2193
; %bb.2174:
	s_cmp_lt_i32 s10, 2
	s_cbranch_scc1 .LBB182_2178
; %bb.2175:
	s_cmp_lt_i32 s10, 3
	s_cbranch_scc1 .LBB182_2179
; %bb.2176:
	s_cmp_gt_i32 s10, 3
	s_cbranch_scc0 .LBB182_2180
; %bb.2177:
	global_load_b64 v[12:13], v[4:5], off
	s_mov_b32 s14, 0
	s_wait_loadcnt 0x0
	v_xor_b32_e32 v1, v12, v13
	v_cls_i32_e32 v3, v13
	s_delay_alu instid0(VALU_DEP_2) | instskip(NEXT) | instid1(VALU_DEP_1)
	v_ashrrev_i32_e32 v1, 31, v1
	v_add_nc_u32_e32 v1, 32, v1
	s_delay_alu instid0(VALU_DEP_1) | instskip(NEXT) | instid1(VALU_DEP_1)
	v_add_min_u32_e64 v1, v3, -1, v1
	v_lshlrev_b64_e32 v[12:13], v1, v[12:13]
	v_sub_nc_u32_e32 v1, 32, v1
	s_delay_alu instid0(VALU_DEP_2) | instskip(NEXT) | instid1(VALU_DEP_1)
	v_min_u32_e32 v3, 1, v12
	v_or_b32_e32 v3, v13, v3
	s_delay_alu instid0(VALU_DEP_1) | instskip(NEXT) | instid1(VALU_DEP_1)
	v_cvt_f32_i32_e32 v3, v3
	v_ldexp_f32 v1, v3, v1
	s_delay_alu instid0(VALU_DEP_1)
	v_cvt_f16_f32_e32 v11, v1
	s_branch .LBB182_2181
.LBB182_2178:
	s_mov_b32 s14, -1
                                        ; implicit-def: $vgpr11
	s_branch .LBB182_2187
.LBB182_2179:
	s_mov_b32 s14, -1
                                        ; implicit-def: $vgpr11
	s_branch .LBB182_2184
.LBB182_2180:
	s_mov_b32 s14, -1
                                        ; implicit-def: $vgpr11
.LBB182_2181:
	s_delay_alu instid0(SALU_CYCLE_1)
	s_and_not1_b32 vcc_lo, exec_lo, s14
	s_cbranch_vccnz .LBB182_2183
; %bb.2182:
	global_load_b32 v1, v[4:5], off
	s_wait_loadcnt 0x0
	v_cvt_f32_i32_e32 v1, v1
	s_delay_alu instid0(VALU_DEP_1)
	v_cvt_f16_f32_e32 v11, v1
.LBB182_2183:
	s_mov_b32 s14, 0
.LBB182_2184:
	s_delay_alu instid0(SALU_CYCLE_1)
	s_and_not1_b32 vcc_lo, exec_lo, s14
	s_cbranch_vccnz .LBB182_2186
; %bb.2185:
	global_load_u16 v1, v[4:5], off
	s_wait_loadcnt 0x0
	v_cvt_f16_i16_e32 v11, v1
.LBB182_2186:
	s_mov_b32 s14, 0
.LBB182_2187:
	s_delay_alu instid0(SALU_CYCLE_1)
	s_and_not1_b32 vcc_lo, exec_lo, s14
	s_cbranch_vccnz .LBB182_2193
; %bb.2188:
	s_cmp_gt_i32 s10, 0
	s_mov_b32 s10, 0
	s_cbranch_scc0 .LBB182_2190
; %bb.2189:
	global_load_i8 v1, v[4:5], off
	s_wait_loadcnt 0x0
	v_cvt_f16_i16_e32 v11, v1
	s_branch .LBB182_2191
.LBB182_2190:
	s_mov_b32 s10, -1
                                        ; implicit-def: $vgpr11
.LBB182_2191:
	s_delay_alu instid0(SALU_CYCLE_1)
	s_and_not1_b32 vcc_lo, exec_lo, s10
	s_cbranch_vccnz .LBB182_2193
; %bb.2192:
	global_load_u8 v1, v[4:5], off
	s_wait_loadcnt 0x0
	v_cvt_f16_u16_e32 v11, v1
.LBB182_2193:
	s_mov_b32 s19, -1
.LBB182_2194:
	s_delay_alu instid0(SALU_CYCLE_1)
	s_and_not1_b32 vcc_lo, exec_lo, s19
	s_cbranch_vccnz .LBB182_3022
; %bb.2195:
	v_add_nc_u32_e32 v2, s9, v2
	s_cmp_lt_i32 s1, 11
	s_delay_alu instid0(VALU_DEP_1) | instskip(SKIP_1) | instid1(VALU_DEP_1)
	v_ashrrev_i32_e32 v3, 31, v2
	s_wait_xcnt 0x0
	v_add_nc_u64_e32 v[4:5], s[12:13], v[2:3]
	s_cbranch_scc1 .LBB182_2202
; %bb.2196:
	s_and_b32 s10, 0xffff, s1
	s_mov_b32 s16, 0
	s_cmp_gt_i32 s10, 25
	s_cbranch_scc0 .LBB182_2203
; %bb.2197:
	s_cmp_gt_i32 s10, 28
	s_cbranch_scc0 .LBB182_2204
; %bb.2198:
	;; [unrolled: 3-line block ×4, first 2 shown]
	s_cmp_eq_u32 s10, 46
	s_mov_b32 s20, 0
	s_cbranch_scc0 .LBB182_2210
; %bb.2201:
	global_load_b32 v1, v[4:5], off
	s_mov_b32 s14, 0
	s_mov_b32 s19, -1
	s_wait_loadcnt 0x0
	v_lshlrev_b32_e32 v1, 16, v1
	s_delay_alu instid0(VALU_DEP_1)
	v_cvt_f16_f32_e32 v12, v1
	s_branch .LBB182_2212
.LBB182_2202:
	s_mov_b32 s10, -1
	s_mov_b32 s19, 0
                                        ; implicit-def: $vgpr12
	s_branch .LBB182_2278
.LBB182_2203:
	s_mov_b32 s20, -1
	s_mov_b32 s19, 0
	s_mov_b32 s14, 0
                                        ; implicit-def: $vgpr12
	s_branch .LBB182_2241
.LBB182_2204:
	s_mov_b32 s20, -1
	s_mov_b32 s19, 0
	s_mov_b32 s14, 0
                                        ; implicit-def: $vgpr12
	s_branch .LBB182_2222
.LBB182_2205:
	s_mov_b32 s20, -1
	s_mov_b32 s19, 0
	s_mov_b32 s14, 0
                                        ; implicit-def: $vgpr12
	s_branch .LBB182_2217
.LBB182_2206:
	s_or_b32 s15, s15, exec_lo
	s_trap 2
	s_cbranch_execz .LBB182_2143
	s_branch .LBB182_2144
.LBB182_2207:
	s_mov_b32 s20, -1
	s_mov_b32 s19, 0
	s_mov_b32 s14, 0
	s_branch .LBB182_2211
.LBB182_2208:
	s_and_not1_saveexec_b32 s35, s35
	s_cbranch_execz .LBB182_1087
.LBB182_2209:
	v_add_f32_e32 v2, 0x42800000, v3
	s_and_not1_b32 s34, s34, exec_lo
	s_delay_alu instid0(VALU_DEP_1) | instskip(NEXT) | instid1(VALU_DEP_1)
	v_and_b32_e32 v2, 0xff, v2
	v_cmp_ne_u32_e32 vcc_lo, 0, v2
	s_and_b32 s36, vcc_lo, exec_lo
	s_delay_alu instid0(SALU_CYCLE_1)
	s_or_b32 s34, s34, s36
	s_or_b32 exec_lo, exec_lo, s35
	v_mov_b32_e32 v4, 0
	s_and_saveexec_b32 s35, s34
	s_cbranch_execnz .LBB182_1088
	s_branch .LBB182_1089
.LBB182_2210:
	s_mov_b32 s14, -1
	s_mov_b32 s19, 0
.LBB182_2211:
                                        ; implicit-def: $vgpr12
.LBB182_2212:
	s_and_b32 vcc_lo, exec_lo, s20
	s_cbranch_vccz .LBB182_2216
; %bb.2213:
	s_cmp_eq_u32 s10, 44
	s_cbranch_scc0 .LBB182_2215
; %bb.2214:
	global_load_u8 v1, v[4:5], off
	s_mov_b32 s14, 0
	s_mov_b32 s19, -1
	s_wait_loadcnt 0x0
	v_lshlrev_b32_e32 v3, 23, v1
	v_cmp_ne_u32_e32 vcc_lo, 0xff, v1
	s_delay_alu instid0(VALU_DEP_2) | instskip(NEXT) | instid1(VALU_DEP_1)
	v_cvt_f16_f32_e32 v3, v3
	v_cndmask_b32_e32 v3, 0x7e00, v3, vcc_lo
	v_cmp_ne_u32_e32 vcc_lo, 0, v1
	s_delay_alu instid0(VALU_DEP_2)
	v_cndmask_b32_e32 v12, 0, v3, vcc_lo
	s_branch .LBB182_2216
.LBB182_2215:
	s_mov_b32 s14, -1
                                        ; implicit-def: $vgpr12
.LBB182_2216:
	s_mov_b32 s20, 0
.LBB182_2217:
	s_delay_alu instid0(SALU_CYCLE_1)
	s_and_b32 vcc_lo, exec_lo, s20
	s_cbranch_vccz .LBB182_2221
; %bb.2218:
	s_cmp_eq_u32 s10, 29
	s_cbranch_scc0 .LBB182_2220
; %bb.2219:
	global_load_b64 v[12:13], v[4:5], off
	s_mov_b32 s14, 0
	s_mov_b32 s19, -1
	s_mov_b32 s20, 0
	s_wait_loadcnt 0x0
	v_clz_i32_u32_e32 v1, v13
	s_delay_alu instid0(VALU_DEP_1) | instskip(NEXT) | instid1(VALU_DEP_1)
	v_min_u32_e32 v1, 32, v1
	v_lshlrev_b64_e32 v[12:13], v1, v[12:13]
	v_sub_nc_u32_e32 v1, 32, v1
	s_delay_alu instid0(VALU_DEP_2) | instskip(NEXT) | instid1(VALU_DEP_1)
	v_min_u32_e32 v3, 1, v12
	v_or_b32_e32 v3, v13, v3
	s_delay_alu instid0(VALU_DEP_1) | instskip(NEXT) | instid1(VALU_DEP_1)
	v_cvt_f32_u32_e32 v3, v3
	v_ldexp_f32 v1, v3, v1
	s_delay_alu instid0(VALU_DEP_1)
	v_cvt_f16_f32_e32 v12, v1
	s_branch .LBB182_2222
.LBB182_2220:
	s_mov_b32 s14, -1
                                        ; implicit-def: $vgpr12
.LBB182_2221:
	s_mov_b32 s20, 0
.LBB182_2222:
	s_delay_alu instid0(SALU_CYCLE_1)
	s_and_b32 vcc_lo, exec_lo, s20
	s_cbranch_vccz .LBB182_2240
; %bb.2223:
	s_cmp_lt_i32 s10, 27
	s_cbranch_scc1 .LBB182_2226
; %bb.2224:
	s_cmp_gt_i32 s10, 27
	s_cbranch_scc0 .LBB182_2227
; %bb.2225:
	global_load_b32 v1, v[4:5], off
	s_mov_b32 s19, 0
	s_wait_loadcnt 0x0
	v_cvt_f32_u32_e32 v1, v1
	s_delay_alu instid0(VALU_DEP_1)
	v_cvt_f16_f32_e32 v12, v1
	s_branch .LBB182_2228
.LBB182_2226:
	s_mov_b32 s19, -1
                                        ; implicit-def: $vgpr12
	s_branch .LBB182_2231
.LBB182_2227:
	s_mov_b32 s19, -1
                                        ; implicit-def: $vgpr12
.LBB182_2228:
	s_delay_alu instid0(SALU_CYCLE_1)
	s_and_not1_b32 vcc_lo, exec_lo, s19
	s_cbranch_vccnz .LBB182_2230
; %bb.2229:
	global_load_u16 v1, v[4:5], off
	s_wait_loadcnt 0x0
	v_cvt_f16_u16_e32 v12, v1
.LBB182_2230:
	s_mov_b32 s19, 0
.LBB182_2231:
	s_delay_alu instid0(SALU_CYCLE_1)
	s_and_not1_b32 vcc_lo, exec_lo, s19
	s_cbranch_vccnz .LBB182_2239
; %bb.2232:
	global_load_u8 v1, v[4:5], off
	s_mov_b32 s19, 0
	s_mov_b32 s20, exec_lo
	s_wait_loadcnt 0x0
	v_cmpx_lt_i16_e32 0x7f, v1
	s_xor_b32 s20, exec_lo, s20
	s_cbranch_execz .LBB182_2253
; %bb.2233:
	s_mov_b32 s19, -1
	s_mov_b32 s21, exec_lo
	v_cmpx_eq_u16_e32 0x80, v1
; %bb.2234:
	s_xor_b32 s19, exec_lo, -1
; %bb.2235:
	s_or_b32 exec_lo, exec_lo, s21
	s_delay_alu instid0(SALU_CYCLE_1)
	s_and_b32 s19, s19, exec_lo
	s_or_saveexec_b32 s20, s20
	v_mov_b32_e32 v12, 0x7e00
	s_xor_b32 exec_lo, exec_lo, s20
	s_cbranch_execnz .LBB182_2254
.LBB182_2236:
	s_or_b32 exec_lo, exec_lo, s20
	s_and_saveexec_b32 s20, s19
	s_cbranch_execz .LBB182_2238
.LBB182_2237:
	v_and_b32_e32 v3, 0xffff, v1
	s_delay_alu instid0(VALU_DEP_1) | instskip(SKIP_1) | instid1(VALU_DEP_2)
	v_and_b32_e32 v12, 7, v3
	v_bfe_u32 v15, v3, 3, 4
	v_clz_i32_u32_e32 v13, v12
	s_delay_alu instid0(VALU_DEP_2) | instskip(NEXT) | instid1(VALU_DEP_2)
	v_cmp_eq_u32_e32 vcc_lo, 0, v15
	v_min_u32_e32 v13, 32, v13
	s_delay_alu instid0(VALU_DEP_1) | instskip(NEXT) | instid1(VALU_DEP_1)
	v_subrev_nc_u32_e32 v14, 28, v13
	v_dual_lshlrev_b32 v3, v14, v3 :: v_dual_sub_nc_u32 v13, 29, v13
	s_delay_alu instid0(VALU_DEP_1) | instskip(NEXT) | instid1(VALU_DEP_1)
	v_dual_lshlrev_b32 v1, 24, v1 :: v_dual_bitop2_b32 v3, 7, v3 bitop3:0x40
	v_dual_cndmask_b32 v3, v12, v3, vcc_lo :: v_dual_cndmask_b32 v13, v15, v13, vcc_lo
	s_delay_alu instid0(VALU_DEP_2) | instskip(NEXT) | instid1(VALU_DEP_2)
	v_and_b32_e32 v1, 0x80000000, v1
	v_lshlrev_b32_e32 v3, 20, v3
	s_delay_alu instid0(VALU_DEP_3) | instskip(NEXT) | instid1(VALU_DEP_1)
	v_lshl_add_u32 v12, v13, 23, 0x3b800000
	v_or3_b32 v1, v1, v12, v3
	s_delay_alu instid0(VALU_DEP_1)
	v_cvt_f16_f32_e32 v12, v1
.LBB182_2238:
	s_or_b32 exec_lo, exec_lo, s20
.LBB182_2239:
	s_mov_b32 s19, -1
.LBB182_2240:
	s_mov_b32 s20, 0
.LBB182_2241:
	s_delay_alu instid0(SALU_CYCLE_1)
	s_and_b32 vcc_lo, exec_lo, s20
	s_cbranch_vccz .LBB182_2274
; %bb.2242:
	s_cmp_gt_i32 s10, 22
	s_cbranch_scc0 .LBB182_2252
; %bb.2243:
	s_cmp_lt_i32 s10, 24
	s_cbranch_scc1 .LBB182_2255
; %bb.2244:
	s_cmp_gt_i32 s10, 24
	s_cbranch_scc0 .LBB182_2256
; %bb.2245:
	global_load_u8 v1, v[4:5], off
	s_mov_b32 s19, exec_lo
	s_wait_loadcnt 0x0
	v_cmpx_lt_i16_e32 0x7f, v1
	s_xor_b32 s19, exec_lo, s19
	s_cbranch_execz .LBB182_2268
; %bb.2246:
	s_mov_b32 s16, -1
	s_mov_b32 s20, exec_lo
	v_cmpx_eq_u16_e32 0x80, v1
; %bb.2247:
	s_xor_b32 s16, exec_lo, -1
; %bb.2248:
	s_or_b32 exec_lo, exec_lo, s20
	s_delay_alu instid0(SALU_CYCLE_1)
	s_and_b32 s16, s16, exec_lo
	s_or_saveexec_b32 s19, s19
	v_mov_b32_e32 v12, 0x7e00
	s_xor_b32 exec_lo, exec_lo, s19
	s_cbranch_execnz .LBB182_2269
.LBB182_2249:
	s_or_b32 exec_lo, exec_lo, s19
	s_and_saveexec_b32 s19, s16
	s_cbranch_execz .LBB182_2251
.LBB182_2250:
	v_and_b32_e32 v3, 0xffff, v1
	s_delay_alu instid0(VALU_DEP_1) | instskip(SKIP_1) | instid1(VALU_DEP_2)
	v_and_b32_e32 v12, 3, v3
	v_bfe_u32 v15, v3, 2, 5
	v_clz_i32_u32_e32 v13, v12
	s_delay_alu instid0(VALU_DEP_2) | instskip(NEXT) | instid1(VALU_DEP_2)
	v_cmp_eq_u32_e32 vcc_lo, 0, v15
	v_min_u32_e32 v13, 32, v13
	s_delay_alu instid0(VALU_DEP_1) | instskip(NEXT) | instid1(VALU_DEP_1)
	v_subrev_nc_u32_e32 v14, 29, v13
	v_dual_lshlrev_b32 v3, v14, v3 :: v_dual_sub_nc_u32 v13, 30, v13
	s_delay_alu instid0(VALU_DEP_1) | instskip(NEXT) | instid1(VALU_DEP_1)
	v_dual_lshlrev_b32 v1, 24, v1 :: v_dual_bitop2_b32 v3, 3, v3 bitop3:0x40
	v_dual_cndmask_b32 v3, v12, v3, vcc_lo :: v_dual_cndmask_b32 v13, v15, v13, vcc_lo
	s_delay_alu instid0(VALU_DEP_2) | instskip(NEXT) | instid1(VALU_DEP_2)
	v_and_b32_e32 v1, 0x80000000, v1
	v_lshlrev_b32_e32 v3, 21, v3
	s_delay_alu instid0(VALU_DEP_3) | instskip(NEXT) | instid1(VALU_DEP_1)
	v_lshl_add_u32 v12, v13, 23, 0x37800000
	v_or3_b32 v1, v1, v12, v3
	s_delay_alu instid0(VALU_DEP_1)
	v_cvt_f16_f32_e32 v12, v1
.LBB182_2251:
	s_or_b32 exec_lo, exec_lo, s19
	s_mov_b32 s16, 0
	s_branch .LBB182_2257
.LBB182_2252:
	s_mov_b32 s16, -1
                                        ; implicit-def: $vgpr12
	s_branch .LBB182_2263
.LBB182_2253:
	s_or_saveexec_b32 s20, s20
	v_mov_b32_e32 v12, 0x7e00
	s_xor_b32 exec_lo, exec_lo, s20
	s_cbranch_execz .LBB182_2236
.LBB182_2254:
	v_cmp_ne_u16_e32 vcc_lo, 0, v1
	v_mov_b32_e32 v12, v1
	s_and_not1_b32 s19, s19, exec_lo
	s_and_b32 s21, vcc_lo, exec_lo
	s_delay_alu instid0(SALU_CYCLE_1)
	s_or_b32 s19, s19, s21
	s_or_b32 exec_lo, exec_lo, s20
	s_and_saveexec_b32 s20, s19
	s_cbranch_execnz .LBB182_2237
	s_branch .LBB182_2238
.LBB182_2255:
	s_mov_b32 s16, -1
                                        ; implicit-def: $vgpr12
	s_branch .LBB182_2260
.LBB182_2256:
	s_mov_b32 s16, -1
                                        ; implicit-def: $vgpr12
.LBB182_2257:
	s_delay_alu instid0(SALU_CYCLE_1)
	s_and_b32 vcc_lo, exec_lo, s16
	s_cbranch_vccz .LBB182_2259
; %bb.2258:
	global_load_u8 v1, v[4:5], off
	s_wait_loadcnt 0x0
	v_lshlrev_b32_e32 v1, 24, v1
	s_delay_alu instid0(VALU_DEP_1) | instskip(NEXT) | instid1(VALU_DEP_1)
	v_and_b32_e32 v3, 0x7f000000, v1
	v_clz_i32_u32_e32 v12, v3
	v_cmp_ne_u32_e32 vcc_lo, 0, v3
	v_add_nc_u32_e32 v14, 0x1000000, v3
	s_delay_alu instid0(VALU_DEP_3) | instskip(NEXT) | instid1(VALU_DEP_1)
	v_min_u32_e32 v12, 32, v12
	v_sub_nc_u32_e64 v12, v12, 4 clamp
	s_delay_alu instid0(VALU_DEP_1) | instskip(NEXT) | instid1(VALU_DEP_1)
	v_dual_lshlrev_b32 v13, v12, v3 :: v_dual_lshlrev_b32 v12, 23, v12
	v_lshrrev_b32_e32 v13, 4, v13
	s_delay_alu instid0(VALU_DEP_1) | instskip(NEXT) | instid1(VALU_DEP_1)
	v_dual_sub_nc_u32 v12, v13, v12 :: v_dual_ashrrev_i32 v13, 8, v14
	v_add_nc_u32_e32 v12, 0x3c000000, v12
	s_delay_alu instid0(VALU_DEP_1) | instskip(NEXT) | instid1(VALU_DEP_1)
	v_and_or_b32 v12, 0x7f800000, v13, v12
	v_cndmask_b32_e32 v3, 0, v12, vcc_lo
	s_delay_alu instid0(VALU_DEP_1) | instskip(NEXT) | instid1(VALU_DEP_1)
	v_and_or_b32 v1, 0x80000000, v1, v3
	v_cvt_f16_f32_e32 v12, v1
.LBB182_2259:
	s_mov_b32 s16, 0
.LBB182_2260:
	s_delay_alu instid0(SALU_CYCLE_1)
	s_and_not1_b32 vcc_lo, exec_lo, s16
	s_cbranch_vccnz .LBB182_2262
; %bb.2261:
	global_load_u8 v1, v[4:5], off
	s_wait_loadcnt 0x0
	v_lshlrev_b32_e32 v3, 25, v1
	v_lshlrev_b16 v1, 8, v1
	s_delay_alu instid0(VALU_DEP_1) | instskip(NEXT) | instid1(VALU_DEP_3)
	v_and_or_b32 v13, 0x7f00, v1, 0.5
	v_lshrrev_b32_e32 v12, 4, v3
	v_bfe_i32 v1, v1, 0, 16
	s_delay_alu instid0(VALU_DEP_3) | instskip(NEXT) | instid1(VALU_DEP_3)
	v_add_f32_e32 v13, -0.5, v13
	v_or_b32_e32 v12, 0x70000000, v12
	s_delay_alu instid0(VALU_DEP_1) | instskip(SKIP_1) | instid1(VALU_DEP_2)
	v_mul_f32_e32 v12, 0x7800000, v12
	v_cmp_gt_u32_e32 vcc_lo, 0x8000000, v3
	v_cndmask_b32_e32 v3, v12, v13, vcc_lo
	s_delay_alu instid0(VALU_DEP_1) | instskip(NEXT) | instid1(VALU_DEP_1)
	v_and_or_b32 v1, 0x80000000, v1, v3
	v_cvt_f16_f32_e32 v12, v1
.LBB182_2262:
	s_mov_b32 s16, 0
	s_mov_b32 s19, -1
.LBB182_2263:
	s_and_not1_b32 vcc_lo, exec_lo, s16
	s_mov_b32 s16, 0
	s_cbranch_vccnz .LBB182_2274
; %bb.2264:
	s_cmp_gt_i32 s10, 14
	s_cbranch_scc0 .LBB182_2267
; %bb.2265:
	s_cmp_eq_u32 s10, 15
	s_cbranch_scc0 .LBB182_2270
; %bb.2266:
	global_load_u16 v1, v[4:5], off
	s_mov_b32 s14, 0
	s_mov_b32 s19, -1
	s_wait_loadcnt 0x0
	v_lshlrev_b32_e32 v1, 16, v1
	s_delay_alu instid0(VALU_DEP_1)
	v_cvt_f16_f32_e32 v12, v1
	s_branch .LBB182_2272
.LBB182_2267:
	s_mov_b32 s16, -1
	s_branch .LBB182_2271
.LBB182_2268:
	s_or_saveexec_b32 s19, s19
	v_mov_b32_e32 v12, 0x7e00
	s_xor_b32 exec_lo, exec_lo, s19
	s_cbranch_execz .LBB182_2249
.LBB182_2269:
	v_cmp_ne_u16_e32 vcc_lo, 0, v1
	v_mov_b32_e32 v12, v1
	s_and_not1_b32 s16, s16, exec_lo
	s_and_b32 s20, vcc_lo, exec_lo
	s_delay_alu instid0(SALU_CYCLE_1)
	s_or_b32 s16, s16, s20
	s_or_b32 exec_lo, exec_lo, s19
	s_and_saveexec_b32 s19, s16
	s_cbranch_execnz .LBB182_2250
	s_branch .LBB182_2251
.LBB182_2270:
	s_mov_b32 s14, -1
.LBB182_2271:
                                        ; implicit-def: $vgpr12
.LBB182_2272:
	s_and_b32 vcc_lo, exec_lo, s16
	s_mov_b32 s16, 0
	s_cbranch_vccz .LBB182_2274
; %bb.2273:
	s_cmp_lg_u32 s10, 11
	s_mov_b32 s16, -1
	s_cselect_b32 s14, -1, 0
.LBB182_2274:
	s_delay_alu instid0(SALU_CYCLE_1)
	s_and_b32 vcc_lo, exec_lo, s14
	s_cbranch_vccnz .LBB182_2339
; %bb.2275:
	s_and_not1_b32 vcc_lo, exec_lo, s16
	s_cbranch_vccnz .LBB182_2277
.LBB182_2276:
	global_load_u8 v1, v[4:5], off
	s_mov_b32 s19, -1
	s_wait_loadcnt 0x0
	v_cmp_ne_u16_e32 vcc_lo, 0, v1
	v_cndmask_b32_e64 v12, 0, 0x3c00, vcc_lo
.LBB182_2277:
	s_mov_b32 s10, 0
.LBB182_2278:
	s_delay_alu instid0(SALU_CYCLE_1)
	s_and_b32 vcc_lo, exec_lo, s10
	s_cbranch_vccz .LBB182_2327
; %bb.2279:
	s_and_b32 s10, 0xffff, s1
	s_delay_alu instid0(SALU_CYCLE_1)
	s_cmp_lt_i32 s10, 5
	s_cbranch_scc1 .LBB182_2284
; %bb.2280:
	s_cmp_lt_i32 s10, 8
	s_cbranch_scc1 .LBB182_2285
; %bb.2281:
	;; [unrolled: 3-line block ×3, first 2 shown]
	s_cmp_gt_i32 s10, 9
	s_cbranch_scc0 .LBB182_2287
; %bb.2283:
	global_load_b64 v[12:13], v[4:5], off
	s_mov_b32 s14, 0
	s_wait_loadcnt 0x0
	v_and_or_b32 v1, 0x1ff, v13, v12
	v_lshrrev_b32_e32 v3, 8, v13
	v_bfe_u32 v12, v13, 20, 11
	s_delay_alu instid0(VALU_DEP_3) | instskip(NEXT) | instid1(VALU_DEP_2)
	v_cmp_ne_u32_e32 vcc_lo, 0, v1
	v_sub_nc_u32_e32 v14, 0x3f1, v12
	v_add_nc_u32_e32 v12, 0xfffffc10, v12
	v_cndmask_b32_e64 v1, 0, 1, vcc_lo
	s_delay_alu instid0(VALU_DEP_1) | instskip(NEXT) | instid1(VALU_DEP_4)
	v_and_or_b32 v1, 0xffe, v3, v1
	v_med3_i32 v3, v14, 0, 13
	s_delay_alu instid0(VALU_DEP_2) | instskip(NEXT) | instid1(VALU_DEP_1)
	v_or_b32_e32 v14, 0x1000, v1
	v_lshrrev_b32_e32 v15, v3, v14
	s_delay_alu instid0(VALU_DEP_1) | instskip(NEXT) | instid1(VALU_DEP_1)
	v_lshlrev_b32_e32 v3, v3, v15
	v_cmp_ne_u32_e32 vcc_lo, v3, v14
	v_lshl_or_b32 v14, v12, 12, v1
	v_cndmask_b32_e64 v3, 0, 1, vcc_lo
	v_cmp_gt_i32_e32 vcc_lo, 1, v12
	s_delay_alu instid0(VALU_DEP_2) | instskip(NEXT) | instid1(VALU_DEP_1)
	v_or_b32_e32 v3, v15, v3
	v_cndmask_b32_e32 v3, v14, v3, vcc_lo
	s_delay_alu instid0(VALU_DEP_1) | instskip(NEXT) | instid1(VALU_DEP_1)
	v_dual_lshrrev_b32 v3, 2, v3 :: v_dual_bitop2_b32 v14, 7, v3 bitop3:0x40
	v_cmp_lt_i32_e32 vcc_lo, 5, v14
	v_cndmask_b32_e64 v15, 0, 1, vcc_lo
	v_cmp_eq_u32_e32 vcc_lo, 3, v14
	v_cndmask_b32_e64 v14, 0, 1, vcc_lo
	v_cmp_ne_u32_e32 vcc_lo, 0, v1
	s_delay_alu instid0(VALU_DEP_2) | instskip(SKIP_1) | instid1(VALU_DEP_2)
	v_or_b32_e32 v14, v14, v15
	v_mov_b32_e32 v15, 0x7e00
	v_add_nc_u32_e32 v3, v3, v14
	s_delay_alu instid0(VALU_DEP_2) | instskip(SKIP_1) | instid1(VALU_DEP_3)
	v_cndmask_b32_e32 v1, 0x7c00, v15, vcc_lo
	v_cmp_gt_i32_e32 vcc_lo, 31, v12
	v_cndmask_b32_e32 v3, 0x7c00, v3, vcc_lo
	v_cmp_eq_u32_e32 vcc_lo, 0x40f, v12
	s_delay_alu instid0(VALU_DEP_2) | instskip(SKIP_1) | instid1(VALU_DEP_1)
	v_cndmask_b32_e32 v1, v3, v1, vcc_lo
	v_lshrrev_b32_e32 v3, 16, v13
	v_and_or_b32 v12, 0x8000, v3, v1
	s_branch .LBB182_2288
.LBB182_2284:
	s_mov_b32 s14, -1
                                        ; implicit-def: $vgpr12
	s_branch .LBB182_2306
.LBB182_2285:
	s_mov_b32 s14, -1
                                        ; implicit-def: $vgpr12
	s_branch .LBB182_2294
.LBB182_2286:
	s_mov_b32 s14, -1
                                        ; implicit-def: $vgpr12
	s_branch .LBB182_2291
.LBB182_2287:
	s_mov_b32 s14, -1
                                        ; implicit-def: $vgpr12
.LBB182_2288:
	s_delay_alu instid0(SALU_CYCLE_1)
	s_and_not1_b32 vcc_lo, exec_lo, s14
	s_cbranch_vccnz .LBB182_2290
; %bb.2289:
	global_load_b32 v1, v[4:5], off
	s_wait_loadcnt 0x0
	v_cvt_f16_f32_e32 v12, v1
.LBB182_2290:
	s_mov_b32 s14, 0
.LBB182_2291:
	s_delay_alu instid0(SALU_CYCLE_1)
	s_and_not1_b32 vcc_lo, exec_lo, s14
	s_cbranch_vccnz .LBB182_2293
; %bb.2292:
	global_load_b32 v12, v[4:5], off
.LBB182_2293:
	s_mov_b32 s14, 0
.LBB182_2294:
	s_delay_alu instid0(SALU_CYCLE_1)
	s_and_not1_b32 vcc_lo, exec_lo, s14
	s_cbranch_vccnz .LBB182_2305
; %bb.2295:
	s_cmp_lt_i32 s10, 6
	s_cbranch_scc1 .LBB182_2298
; %bb.2296:
	s_cmp_gt_i32 s10, 6
	s_cbranch_scc0 .LBB182_2299
; %bb.2297:
	s_wait_loadcnt 0x0
	global_load_b64 v[12:13], v[4:5], off
	s_mov_b32 s14, 0
	s_wait_loadcnt 0x0
	v_and_or_b32 v1, 0x1ff, v13, v12
	v_lshrrev_b32_e32 v3, 8, v13
	v_bfe_u32 v12, v13, 20, 11
	s_delay_alu instid0(VALU_DEP_3) | instskip(NEXT) | instid1(VALU_DEP_2)
	v_cmp_ne_u32_e32 vcc_lo, 0, v1
	v_sub_nc_u32_e32 v14, 0x3f1, v12
	v_add_nc_u32_e32 v12, 0xfffffc10, v12
	v_cndmask_b32_e64 v1, 0, 1, vcc_lo
	s_delay_alu instid0(VALU_DEP_1) | instskip(NEXT) | instid1(VALU_DEP_4)
	v_and_or_b32 v1, 0xffe, v3, v1
	v_med3_i32 v3, v14, 0, 13
	s_delay_alu instid0(VALU_DEP_2) | instskip(NEXT) | instid1(VALU_DEP_1)
	v_or_b32_e32 v14, 0x1000, v1
	v_lshrrev_b32_e32 v15, v3, v14
	s_delay_alu instid0(VALU_DEP_1) | instskip(NEXT) | instid1(VALU_DEP_1)
	v_lshlrev_b32_e32 v3, v3, v15
	v_cmp_ne_u32_e32 vcc_lo, v3, v14
	v_lshl_or_b32 v14, v12, 12, v1
	v_cndmask_b32_e64 v3, 0, 1, vcc_lo
	v_cmp_gt_i32_e32 vcc_lo, 1, v12
	s_delay_alu instid0(VALU_DEP_2) | instskip(NEXT) | instid1(VALU_DEP_1)
	v_or_b32_e32 v3, v15, v3
	v_cndmask_b32_e32 v3, v14, v3, vcc_lo
	s_delay_alu instid0(VALU_DEP_1) | instskip(NEXT) | instid1(VALU_DEP_1)
	v_dual_lshrrev_b32 v3, 2, v3 :: v_dual_bitop2_b32 v14, 7, v3 bitop3:0x40
	v_cmp_lt_i32_e32 vcc_lo, 5, v14
	v_cndmask_b32_e64 v15, 0, 1, vcc_lo
	v_cmp_eq_u32_e32 vcc_lo, 3, v14
	v_cndmask_b32_e64 v14, 0, 1, vcc_lo
	v_cmp_ne_u32_e32 vcc_lo, 0, v1
	s_delay_alu instid0(VALU_DEP_2) | instskip(SKIP_1) | instid1(VALU_DEP_2)
	v_or_b32_e32 v14, v14, v15
	v_mov_b32_e32 v15, 0x7e00
	v_add_nc_u32_e32 v3, v3, v14
	s_delay_alu instid0(VALU_DEP_2) | instskip(SKIP_1) | instid1(VALU_DEP_3)
	v_cndmask_b32_e32 v1, 0x7c00, v15, vcc_lo
	v_cmp_gt_i32_e32 vcc_lo, 31, v12
	v_cndmask_b32_e32 v3, 0x7c00, v3, vcc_lo
	v_cmp_eq_u32_e32 vcc_lo, 0x40f, v12
	s_delay_alu instid0(VALU_DEP_2) | instskip(SKIP_1) | instid1(VALU_DEP_1)
	v_cndmask_b32_e32 v1, v3, v1, vcc_lo
	v_lshrrev_b32_e32 v3, 16, v13
	v_and_or_b32 v12, 0x8000, v3, v1
	s_branch .LBB182_2300
.LBB182_2298:
	s_mov_b32 s14, -1
                                        ; implicit-def: $vgpr12
	s_branch .LBB182_2303
.LBB182_2299:
	s_mov_b32 s14, -1
                                        ; implicit-def: $vgpr12
.LBB182_2300:
	s_delay_alu instid0(SALU_CYCLE_1)
	s_and_not1_b32 vcc_lo, exec_lo, s14
	s_cbranch_vccnz .LBB182_2302
; %bb.2301:
	global_load_b32 v1, v[4:5], off
	s_wait_loadcnt 0x0
	v_cvt_f16_f32_e32 v12, v1
.LBB182_2302:
	s_mov_b32 s14, 0
.LBB182_2303:
	s_delay_alu instid0(SALU_CYCLE_1)
	s_and_not1_b32 vcc_lo, exec_lo, s14
	s_cbranch_vccnz .LBB182_2305
; %bb.2304:
	s_wait_loadcnt 0x0
	global_load_u16 v12, v[4:5], off
.LBB182_2305:
	s_mov_b32 s14, 0
.LBB182_2306:
	s_delay_alu instid0(SALU_CYCLE_1)
	s_and_not1_b32 vcc_lo, exec_lo, s14
	s_cbranch_vccnz .LBB182_2326
; %bb.2307:
	s_cmp_lt_i32 s10, 2
	s_cbranch_scc1 .LBB182_2311
; %bb.2308:
	s_cmp_lt_i32 s10, 3
	s_cbranch_scc1 .LBB182_2312
; %bb.2309:
	s_cmp_gt_i32 s10, 3
	s_cbranch_scc0 .LBB182_2313
; %bb.2310:
	s_wait_loadcnt 0x0
	global_load_b64 v[12:13], v[4:5], off
	s_mov_b32 s14, 0
	s_wait_loadcnt 0x0
	v_xor_b32_e32 v1, v12, v13
	v_cls_i32_e32 v3, v13
	s_delay_alu instid0(VALU_DEP_2) | instskip(NEXT) | instid1(VALU_DEP_1)
	v_ashrrev_i32_e32 v1, 31, v1
	v_add_nc_u32_e32 v1, 32, v1
	s_delay_alu instid0(VALU_DEP_1) | instskip(NEXT) | instid1(VALU_DEP_1)
	v_add_min_u32_e64 v1, v3, -1, v1
	v_lshlrev_b64_e32 v[12:13], v1, v[12:13]
	v_sub_nc_u32_e32 v1, 32, v1
	s_delay_alu instid0(VALU_DEP_2) | instskip(NEXT) | instid1(VALU_DEP_1)
	v_min_u32_e32 v3, 1, v12
	v_or_b32_e32 v3, v13, v3
	s_delay_alu instid0(VALU_DEP_1) | instskip(NEXT) | instid1(VALU_DEP_1)
	v_cvt_f32_i32_e32 v3, v3
	v_ldexp_f32 v1, v3, v1
	s_delay_alu instid0(VALU_DEP_1)
	v_cvt_f16_f32_e32 v12, v1
	s_branch .LBB182_2314
.LBB182_2311:
	s_mov_b32 s14, -1
                                        ; implicit-def: $vgpr12
	s_branch .LBB182_2320
.LBB182_2312:
	s_mov_b32 s14, -1
                                        ; implicit-def: $vgpr12
	s_branch .LBB182_2317
.LBB182_2313:
	s_mov_b32 s14, -1
                                        ; implicit-def: $vgpr12
.LBB182_2314:
	s_delay_alu instid0(SALU_CYCLE_1)
	s_and_not1_b32 vcc_lo, exec_lo, s14
	s_cbranch_vccnz .LBB182_2316
; %bb.2315:
	global_load_b32 v1, v[4:5], off
	s_wait_loadcnt 0x0
	v_cvt_f32_i32_e32 v1, v1
	s_delay_alu instid0(VALU_DEP_1)
	v_cvt_f16_f32_e32 v12, v1
.LBB182_2316:
	s_mov_b32 s14, 0
.LBB182_2317:
	s_delay_alu instid0(SALU_CYCLE_1)
	s_and_not1_b32 vcc_lo, exec_lo, s14
	s_cbranch_vccnz .LBB182_2319
; %bb.2318:
	global_load_u16 v1, v[4:5], off
	s_wait_loadcnt 0x0
	v_cvt_f16_i16_e32 v12, v1
.LBB182_2319:
	s_mov_b32 s14, 0
.LBB182_2320:
	s_delay_alu instid0(SALU_CYCLE_1)
	s_and_not1_b32 vcc_lo, exec_lo, s14
	s_cbranch_vccnz .LBB182_2326
; %bb.2321:
	s_cmp_gt_i32 s10, 0
	s_mov_b32 s10, 0
	s_cbranch_scc0 .LBB182_2323
; %bb.2322:
	global_load_i8 v1, v[4:5], off
	s_wait_loadcnt 0x0
	v_cvt_f16_i16_e32 v12, v1
	s_branch .LBB182_2324
.LBB182_2323:
	s_mov_b32 s10, -1
                                        ; implicit-def: $vgpr12
.LBB182_2324:
	s_delay_alu instid0(SALU_CYCLE_1)
	s_and_not1_b32 vcc_lo, exec_lo, s10
	s_cbranch_vccnz .LBB182_2326
; %bb.2325:
	global_load_u8 v1, v[4:5], off
	s_wait_loadcnt 0x0
	v_cvt_f16_u16_e32 v12, v1
.LBB182_2326:
	s_mov_b32 s19, -1
.LBB182_2327:
	s_delay_alu instid0(SALU_CYCLE_1)
	s_and_not1_b32 vcc_lo, exec_lo, s19
	s_cbranch_vccnz .LBB182_3022
; %bb.2328:
	v_add_nc_u32_e32 v0, s2, v0
	s_cmp_lt_i32 s0, 11
	s_delay_alu instid0(VALU_DEP_1) | instskip(NEXT) | instid1(VALU_DEP_1)
	v_ashrrev_i32_e32 v1, 31, v0
	v_add_nc_u64_e32 v[0:1], s[6:7], v[0:1]
	s_cbranch_scc1 .LBB182_2335
; %bb.2329:
	s_and_b32 s2, 0xffff, s0
	s_mov_b32 s7, 0
	s_cmp_gt_i32 s2, 25
	s_cbranch_scc0 .LBB182_2336
; %bb.2330:
	s_cmp_gt_i32 s2, 28
	s_cbranch_scc0 .LBB182_2337
; %bb.2331:
	;; [unrolled: 3-line block ×4, first 2 shown]
	s_cmp_eq_u32 s2, 46
	s_mov_b32 s14, 0
	s_cbranch_scc0 .LBB182_2341
; %bb.2334:
	global_load_b32 v3, v[0:1], off
	s_mov_b32 s6, 0
	s_mov_b32 s10, -1
	s_wait_loadcnt 0x0
	v_lshlrev_b32_e32 v3, 16, v3
	s_wait_xcnt 0x1
	s_delay_alu instid0(VALU_DEP_1)
	v_cvt_f16_f32_e32 v4, v3
	s_branch .LBB182_2343
.LBB182_2335:
	s_mov_b32 s2, -1
	s_mov_b32 s10, 0
                                        ; implicit-def: $vgpr4
	s_branch .LBB182_2409
.LBB182_2336:
	s_mov_b32 s14, -1
	s_mov_b32 s10, 0
	s_mov_b32 s6, 0
                                        ; implicit-def: $vgpr4
	s_branch .LBB182_2372
.LBB182_2337:
	s_mov_b32 s14, -1
	s_mov_b32 s10, 0
	s_mov_b32 s6, 0
                                        ; implicit-def: $vgpr4
	s_branch .LBB182_2353
.LBB182_2338:
	s_mov_b32 s14, -1
	s_mov_b32 s10, 0
	s_mov_b32 s6, 0
                                        ; implicit-def: $vgpr4
	s_branch .LBB182_2348
.LBB182_2339:
	s_or_b32 s15, s15, exec_lo
	s_trap 2
	s_cbranch_execz .LBB182_2276
	s_branch .LBB182_2277
.LBB182_2340:
	s_mov_b32 s14, -1
	s_mov_b32 s10, 0
	s_mov_b32 s6, 0
	s_branch .LBB182_2342
.LBB182_2341:
	s_mov_b32 s6, -1
	s_mov_b32 s10, 0
.LBB182_2342:
                                        ; implicit-def: $vgpr4
.LBB182_2343:
	s_and_b32 vcc_lo, exec_lo, s14
	s_cbranch_vccz .LBB182_2347
; %bb.2344:
	s_cmp_eq_u32 s2, 44
	s_cbranch_scc0 .LBB182_2346
; %bb.2345:
	global_load_u8 v3, v[0:1], off
	s_mov_b32 s6, 0
	s_mov_b32 s10, -1
	s_wait_loadcnt 0x0
	s_wait_xcnt 0x1
	v_lshlrev_b32_e32 v4, 23, v3
	v_cmp_ne_u32_e32 vcc_lo, 0xff, v3
	s_delay_alu instid0(VALU_DEP_2) | instskip(NEXT) | instid1(VALU_DEP_1)
	v_cvt_f16_f32_e32 v4, v4
	v_cndmask_b32_e32 v4, 0x7e00, v4, vcc_lo
	v_cmp_ne_u32_e32 vcc_lo, 0, v3
	s_delay_alu instid0(VALU_DEP_2)
	v_cndmask_b32_e32 v4, 0, v4, vcc_lo
	s_branch .LBB182_2347
.LBB182_2346:
	s_mov_b32 s6, -1
                                        ; implicit-def: $vgpr4
.LBB182_2347:
	s_mov_b32 s14, 0
.LBB182_2348:
	s_delay_alu instid0(SALU_CYCLE_1)
	s_and_b32 vcc_lo, exec_lo, s14
	s_cbranch_vccz .LBB182_2352
; %bb.2349:
	s_cmp_eq_u32 s2, 29
	s_cbranch_scc0 .LBB182_2351
; %bb.2350:
	global_load_b64 v[4:5], v[0:1], off
	s_mov_b32 s6, 0
	s_mov_b32 s10, -1
	s_mov_b32 s14, 0
	s_wait_loadcnt 0x0
	v_clz_i32_u32_e32 v3, v5
	s_delay_alu instid0(VALU_DEP_1) | instskip(NEXT) | instid1(VALU_DEP_1)
	v_min_u32_e32 v3, 32, v3
	v_lshlrev_b64_e32 v[4:5], v3, v[4:5]
	v_sub_nc_u32_e32 v3, 32, v3
	s_delay_alu instid0(VALU_DEP_2) | instskip(NEXT) | instid1(VALU_DEP_1)
	v_min_u32_e32 v4, 1, v4
	v_or_b32_e32 v4, v5, v4
	s_delay_alu instid0(VALU_DEP_1) | instskip(NEXT) | instid1(VALU_DEP_1)
	v_cvt_f32_u32_e32 v4, v4
	v_ldexp_f32 v3, v4, v3
	s_delay_alu instid0(VALU_DEP_1)
	v_cvt_f16_f32_e32 v4, v3
	s_branch .LBB182_2353
.LBB182_2351:
	s_mov_b32 s6, -1
                                        ; implicit-def: $vgpr4
.LBB182_2352:
	s_mov_b32 s14, 0
.LBB182_2353:
	s_delay_alu instid0(SALU_CYCLE_1)
	s_and_b32 vcc_lo, exec_lo, s14
	s_cbranch_vccz .LBB182_2371
; %bb.2354:
	s_cmp_lt_i32 s2, 27
	s_cbranch_scc1 .LBB182_2357
; %bb.2355:
	s_cmp_gt_i32 s2, 27
	s_cbranch_scc0 .LBB182_2358
; %bb.2356:
	global_load_b32 v3, v[0:1], off
	s_mov_b32 s10, 0
	s_wait_loadcnt 0x0
	v_cvt_f32_u32_e32 v3, v3
	s_wait_xcnt 0x1
	s_delay_alu instid0(VALU_DEP_1)
	v_cvt_f16_f32_e32 v4, v3
	s_branch .LBB182_2359
.LBB182_2357:
	s_mov_b32 s10, -1
                                        ; implicit-def: $vgpr4
	s_branch .LBB182_2362
.LBB182_2358:
	s_mov_b32 s10, -1
                                        ; implicit-def: $vgpr4
.LBB182_2359:
	s_delay_alu instid0(SALU_CYCLE_1)
	s_and_not1_b32 vcc_lo, exec_lo, s10
	s_cbranch_vccnz .LBB182_2361
; %bb.2360:
	global_load_u16 v3, v[0:1], off
	s_wait_loadcnt 0x0
	s_wait_xcnt 0x1
	v_cvt_f16_u16_e32 v4, v3
.LBB182_2361:
	s_mov_b32 s10, 0
.LBB182_2362:
	s_delay_alu instid0(SALU_CYCLE_1)
	s_and_not1_b32 vcc_lo, exec_lo, s10
	s_cbranch_vccnz .LBB182_2370
; %bb.2363:
	global_load_u8 v3, v[0:1], off
	s_mov_b32 s10, 0
	s_mov_b32 s14, exec_lo
	s_wait_loadcnt 0x0
	v_cmpx_lt_i16_e32 0x7f, v3
	s_xor_b32 s14, exec_lo, s14
	s_cbranch_execz .LBB182_2384
; %bb.2364:
	s_mov_b32 s10, -1
	s_mov_b32 s16, exec_lo
	v_cmpx_eq_u16_e32 0x80, v3
; %bb.2365:
	s_xor_b32 s10, exec_lo, -1
; %bb.2366:
	s_or_b32 exec_lo, exec_lo, s16
	s_delay_alu instid0(SALU_CYCLE_1)
	s_and_b32 s10, s10, exec_lo
	s_or_saveexec_b32 s14, s14
	v_mov_b32_e32 v4, 0x7e00
	s_xor_b32 exec_lo, exec_lo, s14
	s_cbranch_execnz .LBB182_2385
.LBB182_2367:
	s_or_b32 exec_lo, exec_lo, s14
	s_and_saveexec_b32 s14, s10
	s_cbranch_execz .LBB182_2369
.LBB182_2368:
	v_and_b32_e32 v4, 0xffff, v3
	s_delay_alu instid0(VALU_DEP_1) | instskip(SKIP_1) | instid1(VALU_DEP_2)
	v_and_b32_e32 v5, 7, v4
	v_bfe_u32 v15, v4, 3, 4
	v_clz_i32_u32_e32 v13, v5
	s_delay_alu instid0(VALU_DEP_2) | instskip(NEXT) | instid1(VALU_DEP_2)
	v_cmp_eq_u32_e32 vcc_lo, 0, v15
	v_min_u32_e32 v13, 32, v13
	s_delay_alu instid0(VALU_DEP_1) | instskip(NEXT) | instid1(VALU_DEP_1)
	v_subrev_nc_u32_e32 v14, 28, v13
	v_dual_lshlrev_b32 v4, v14, v4 :: v_dual_sub_nc_u32 v13, 29, v13
	s_delay_alu instid0(VALU_DEP_1) | instskip(NEXT) | instid1(VALU_DEP_1)
	v_dual_lshlrev_b32 v3, 24, v3 :: v_dual_bitop2_b32 v4, 7, v4 bitop3:0x40
	v_dual_cndmask_b32 v13, v15, v13 :: v_dual_cndmask_b32 v4, v5, v4
	s_delay_alu instid0(VALU_DEP_2) | instskip(NEXT) | instid1(VALU_DEP_2)
	v_and_b32_e32 v3, 0x80000000, v3
	v_lshl_add_u32 v5, v13, 23, 0x3b800000
	s_delay_alu instid0(VALU_DEP_3) | instskip(NEXT) | instid1(VALU_DEP_1)
	v_lshlrev_b32_e32 v4, 20, v4
	v_or3_b32 v3, v3, v5, v4
	s_delay_alu instid0(VALU_DEP_1)
	v_cvt_f16_f32_e32 v4, v3
.LBB182_2369:
	s_or_b32 exec_lo, exec_lo, s14
.LBB182_2370:
	s_mov_b32 s10, -1
.LBB182_2371:
	s_mov_b32 s14, 0
.LBB182_2372:
	s_delay_alu instid0(SALU_CYCLE_1)
	s_and_b32 vcc_lo, exec_lo, s14
	s_cbranch_vccz .LBB182_2405
; %bb.2373:
	s_cmp_gt_i32 s2, 22
	s_cbranch_scc0 .LBB182_2383
; %bb.2374:
	s_cmp_lt_i32 s2, 24
	s_cbranch_scc1 .LBB182_2386
; %bb.2375:
	s_cmp_gt_i32 s2, 24
	s_cbranch_scc0 .LBB182_2387
; %bb.2376:
	global_load_u8 v3, v[0:1], off
	s_mov_b32 s10, exec_lo
	s_wait_loadcnt 0x0
	v_cmpx_lt_i16_e32 0x7f, v3
	s_xor_b32 s10, exec_lo, s10
	s_cbranch_execz .LBB182_2399
; %bb.2377:
	s_mov_b32 s7, -1
	s_mov_b32 s14, exec_lo
	v_cmpx_eq_u16_e32 0x80, v3
; %bb.2378:
	s_xor_b32 s7, exec_lo, -1
; %bb.2379:
	s_or_b32 exec_lo, exec_lo, s14
	s_delay_alu instid0(SALU_CYCLE_1)
	s_and_b32 s7, s7, exec_lo
	s_or_saveexec_b32 s10, s10
	v_mov_b32_e32 v4, 0x7e00
	s_xor_b32 exec_lo, exec_lo, s10
	s_cbranch_execnz .LBB182_2400
.LBB182_2380:
	s_or_b32 exec_lo, exec_lo, s10
	s_and_saveexec_b32 s10, s7
	s_cbranch_execz .LBB182_2382
.LBB182_2381:
	v_and_b32_e32 v4, 0xffff, v3
	s_delay_alu instid0(VALU_DEP_1) | instskip(SKIP_1) | instid1(VALU_DEP_2)
	v_and_b32_e32 v5, 3, v4
	v_bfe_u32 v15, v4, 2, 5
	v_clz_i32_u32_e32 v13, v5
	s_delay_alu instid0(VALU_DEP_2) | instskip(NEXT) | instid1(VALU_DEP_2)
	v_cmp_eq_u32_e32 vcc_lo, 0, v15
	v_min_u32_e32 v13, 32, v13
	s_delay_alu instid0(VALU_DEP_1) | instskip(NEXT) | instid1(VALU_DEP_1)
	v_subrev_nc_u32_e32 v14, 29, v13
	v_dual_lshlrev_b32 v4, v14, v4 :: v_dual_sub_nc_u32 v13, 30, v13
	s_delay_alu instid0(VALU_DEP_1) | instskip(NEXT) | instid1(VALU_DEP_1)
	v_dual_lshlrev_b32 v3, 24, v3 :: v_dual_bitop2_b32 v4, 3, v4 bitop3:0x40
	v_dual_cndmask_b32 v13, v15, v13 :: v_dual_cndmask_b32 v4, v5, v4
	s_delay_alu instid0(VALU_DEP_2) | instskip(NEXT) | instid1(VALU_DEP_2)
	v_and_b32_e32 v3, 0x80000000, v3
	v_lshl_add_u32 v5, v13, 23, 0x37800000
	s_delay_alu instid0(VALU_DEP_3) | instskip(NEXT) | instid1(VALU_DEP_1)
	v_lshlrev_b32_e32 v4, 21, v4
	v_or3_b32 v3, v3, v5, v4
	s_delay_alu instid0(VALU_DEP_1)
	v_cvt_f16_f32_e32 v4, v3
.LBB182_2382:
	s_or_b32 exec_lo, exec_lo, s10
	s_mov_b32 s7, 0
	s_branch .LBB182_2388
.LBB182_2383:
	s_mov_b32 s7, -1
                                        ; implicit-def: $vgpr4
	s_branch .LBB182_2394
.LBB182_2384:
	s_or_saveexec_b32 s14, s14
	v_mov_b32_e32 v4, 0x7e00
	s_xor_b32 exec_lo, exec_lo, s14
	s_cbranch_execz .LBB182_2367
.LBB182_2385:
	v_cmp_ne_u16_e32 vcc_lo, 0, v3
	v_mov_b32_e32 v4, v3
	s_and_not1_b32 s10, s10, exec_lo
	s_and_b32 s16, vcc_lo, exec_lo
	s_delay_alu instid0(SALU_CYCLE_1)
	s_or_b32 s10, s10, s16
	s_or_b32 exec_lo, exec_lo, s14
	s_and_saveexec_b32 s14, s10
	s_cbranch_execnz .LBB182_2368
	s_branch .LBB182_2369
.LBB182_2386:
	s_mov_b32 s7, -1
                                        ; implicit-def: $vgpr4
	s_branch .LBB182_2391
.LBB182_2387:
	s_mov_b32 s7, -1
                                        ; implicit-def: $vgpr4
.LBB182_2388:
	s_delay_alu instid0(SALU_CYCLE_1)
	s_and_b32 vcc_lo, exec_lo, s7
	s_cbranch_vccz .LBB182_2390
; %bb.2389:
	global_load_u8 v3, v[0:1], off
	s_wait_loadcnt 0x0
	v_lshlrev_b32_e32 v3, 24, v3
	s_wait_xcnt 0x1
	s_delay_alu instid0(VALU_DEP_1) | instskip(NEXT) | instid1(VALU_DEP_1)
	v_and_b32_e32 v4, 0x7f000000, v3
	v_clz_i32_u32_e32 v5, v4
	v_add_nc_u32_e32 v14, 0x1000000, v4
	v_cmp_ne_u32_e32 vcc_lo, 0, v4
	s_delay_alu instid0(VALU_DEP_3) | instskip(NEXT) | instid1(VALU_DEP_1)
	v_min_u32_e32 v5, 32, v5
	v_sub_nc_u32_e64 v5, v5, 4 clamp
	s_delay_alu instid0(VALU_DEP_1) | instskip(NEXT) | instid1(VALU_DEP_1)
	v_dual_lshlrev_b32 v13, v5, v4 :: v_dual_lshlrev_b32 v5, 23, v5
	v_lshrrev_b32_e32 v13, 4, v13
	s_delay_alu instid0(VALU_DEP_1) | instskip(NEXT) | instid1(VALU_DEP_1)
	v_dual_sub_nc_u32 v5, v13, v5 :: v_dual_ashrrev_i32 v13, 8, v14
	v_add_nc_u32_e32 v5, 0x3c000000, v5
	s_delay_alu instid0(VALU_DEP_1) | instskip(NEXT) | instid1(VALU_DEP_1)
	v_and_or_b32 v5, 0x7f800000, v13, v5
	v_cndmask_b32_e32 v4, 0, v5, vcc_lo
	s_delay_alu instid0(VALU_DEP_1) | instskip(NEXT) | instid1(VALU_DEP_1)
	v_and_or_b32 v3, 0x80000000, v3, v4
	v_cvt_f16_f32_e32 v4, v3
.LBB182_2390:
	s_mov_b32 s7, 0
.LBB182_2391:
	s_delay_alu instid0(SALU_CYCLE_1)
	s_and_not1_b32 vcc_lo, exec_lo, s7
	s_cbranch_vccnz .LBB182_2393
; %bb.2392:
	global_load_u8 v3, v[0:1], off
	s_wait_loadcnt 0x0
	s_wait_xcnt 0x1
	v_lshlrev_b32_e32 v4, 25, v3
	v_lshlrev_b16 v3, 8, v3
	s_delay_alu instid0(VALU_DEP_1) | instskip(SKIP_1) | instid1(VALU_DEP_2)
	v_and_or_b32 v13, 0x7f00, v3, 0.5
	v_bfe_i32 v3, v3, 0, 16
	v_dual_add_f32 v13, -0.5, v13 :: v_dual_lshrrev_b32 v5, 4, v4
	v_cmp_gt_u32_e32 vcc_lo, 0x8000000, v4
	s_delay_alu instid0(VALU_DEP_2) | instskip(NEXT) | instid1(VALU_DEP_1)
	v_or_b32_e32 v5, 0x70000000, v5
	v_mul_f32_e32 v5, 0x7800000, v5
	s_delay_alu instid0(VALU_DEP_1) | instskip(NEXT) | instid1(VALU_DEP_1)
	v_cndmask_b32_e32 v4, v5, v13, vcc_lo
	v_and_or_b32 v3, 0x80000000, v3, v4
	s_delay_alu instid0(VALU_DEP_1)
	v_cvt_f16_f32_e32 v4, v3
.LBB182_2393:
	s_mov_b32 s7, 0
	s_mov_b32 s10, -1
.LBB182_2394:
	s_and_not1_b32 vcc_lo, exec_lo, s7
	s_mov_b32 s7, 0
	s_cbranch_vccnz .LBB182_2405
; %bb.2395:
	s_cmp_gt_i32 s2, 14
	s_cbranch_scc0 .LBB182_2398
; %bb.2396:
	s_cmp_eq_u32 s2, 15
	s_cbranch_scc0 .LBB182_2401
; %bb.2397:
	global_load_u16 v3, v[0:1], off
	s_mov_b32 s6, 0
	s_mov_b32 s10, -1
	s_wait_loadcnt 0x0
	v_lshlrev_b32_e32 v3, 16, v3
	s_wait_xcnt 0x1
	s_delay_alu instid0(VALU_DEP_1)
	v_cvt_f16_f32_e32 v4, v3
	s_branch .LBB182_2403
.LBB182_2398:
	s_mov_b32 s7, -1
	s_branch .LBB182_2402
.LBB182_2399:
	s_or_saveexec_b32 s10, s10
	v_mov_b32_e32 v4, 0x7e00
	s_xor_b32 exec_lo, exec_lo, s10
	s_cbranch_execz .LBB182_2380
.LBB182_2400:
	v_cmp_ne_u16_e32 vcc_lo, 0, v3
	v_mov_b32_e32 v4, v3
	s_and_not1_b32 s7, s7, exec_lo
	s_and_b32 s14, vcc_lo, exec_lo
	s_delay_alu instid0(SALU_CYCLE_1)
	s_or_b32 s7, s7, s14
	s_or_b32 exec_lo, exec_lo, s10
	s_and_saveexec_b32 s10, s7
	s_cbranch_execnz .LBB182_2381
	s_branch .LBB182_2382
.LBB182_2401:
	s_mov_b32 s6, -1
.LBB182_2402:
                                        ; implicit-def: $vgpr4
.LBB182_2403:
	s_and_b32 vcc_lo, exec_lo, s7
	s_mov_b32 s7, 0
	s_cbranch_vccz .LBB182_2405
; %bb.2404:
	s_cmp_lg_u32 s2, 11
	s_mov_b32 s7, -1
	s_cselect_b32 s6, -1, 0
.LBB182_2405:
	s_delay_alu instid0(SALU_CYCLE_1)
	s_and_b32 vcc_lo, exec_lo, s6
	s_cbranch_vccnz .LBB182_2470
; %bb.2406:
	s_and_not1_b32 vcc_lo, exec_lo, s7
	s_cbranch_vccnz .LBB182_2408
.LBB182_2407:
	global_load_u8 v3, v[0:1], off
	s_mov_b32 s10, -1
	s_wait_loadcnt 0x0
	v_cmp_ne_u16_e32 vcc_lo, 0, v3
	s_wait_xcnt 0x1
	v_cndmask_b32_e64 v4, 0, 0x3c00, vcc_lo
.LBB182_2408:
	s_mov_b32 s2, 0
.LBB182_2409:
	s_delay_alu instid0(SALU_CYCLE_1)
	s_and_b32 vcc_lo, exec_lo, s2
	s_cbranch_vccz .LBB182_2458
; %bb.2410:
	s_and_b32 s0, 0xffff, s0
	s_delay_alu instid0(SALU_CYCLE_1)
	s_cmp_lt_i32 s0, 5
	s_cbranch_scc1 .LBB182_2415
; %bb.2411:
	s_cmp_lt_i32 s0, 8
	s_cbranch_scc1 .LBB182_2416
; %bb.2412:
	;; [unrolled: 3-line block ×3, first 2 shown]
	s_cmp_gt_i32 s0, 9
	s_cbranch_scc0 .LBB182_2418
; %bb.2414:
	global_load_b64 v[4:5], v[0:1], off
	s_mov_b32 s2, 0
	s_wait_loadcnt 0x0
	v_and_or_b32 v3, 0x1ff, v5, v4
	v_lshrrev_b32_e32 v4, 8, v5
	v_bfe_u32 v13, v5, 20, 11
	s_delay_alu instid0(VALU_DEP_3) | instskip(NEXT) | instid1(VALU_DEP_2)
	v_cmp_ne_u32_e32 vcc_lo, 0, v3
	v_sub_nc_u32_e32 v14, 0x3f1, v13
	v_add_nc_u32_e32 v13, 0xfffffc10, v13
	v_cndmask_b32_e64 v3, 0, 1, vcc_lo
	s_delay_alu instid0(VALU_DEP_1) | instskip(NEXT) | instid1(VALU_DEP_4)
	v_and_or_b32 v3, 0xffe, v4, v3
	v_med3_i32 v4, v14, 0, 13
	s_delay_alu instid0(VALU_DEP_2) | instskip(NEXT) | instid1(VALU_DEP_1)
	v_or_b32_e32 v14, 0x1000, v3
	v_lshrrev_b32_e32 v15, v4, v14
	s_delay_alu instid0(VALU_DEP_1) | instskip(NEXT) | instid1(VALU_DEP_1)
	v_lshlrev_b32_e32 v4, v4, v15
	v_cmp_ne_u32_e32 vcc_lo, v4, v14
	v_lshl_or_b32 v14, v13, 12, v3
	v_cndmask_b32_e64 v4, 0, 1, vcc_lo
	v_cmp_gt_i32_e32 vcc_lo, 1, v13
	s_delay_alu instid0(VALU_DEP_2) | instskip(NEXT) | instid1(VALU_DEP_1)
	v_or_b32_e32 v4, v15, v4
	v_cndmask_b32_e32 v4, v14, v4, vcc_lo
	s_delay_alu instid0(VALU_DEP_1) | instskip(NEXT) | instid1(VALU_DEP_1)
	v_dual_lshrrev_b32 v4, 2, v4 :: v_dual_bitop2_b32 v14, 7, v4 bitop3:0x40
	v_cmp_lt_i32_e32 vcc_lo, 5, v14
	v_cndmask_b32_e64 v15, 0, 1, vcc_lo
	v_cmp_eq_u32_e32 vcc_lo, 3, v14
	v_cndmask_b32_e64 v14, 0, 1, vcc_lo
	v_cmp_ne_u32_e32 vcc_lo, 0, v3
	s_delay_alu instid0(VALU_DEP_2) | instskip(NEXT) | instid1(VALU_DEP_1)
	v_or_b32_e32 v14, v14, v15
	v_dual_mov_b32 v15, 0x7e00 :: v_dual_add_nc_u32 v4, v4, v14
	s_delay_alu instid0(VALU_DEP_1) | instskip(SKIP_1) | instid1(VALU_DEP_3)
	v_cndmask_b32_e32 v3, 0x7c00, v15, vcc_lo
	v_cmp_gt_i32_e32 vcc_lo, 31, v13
	v_cndmask_b32_e32 v4, 0x7c00, v4, vcc_lo
	v_cmp_eq_u32_e32 vcc_lo, 0x40f, v13
	s_delay_alu instid0(VALU_DEP_2) | instskip(NEXT) | instid1(VALU_DEP_1)
	v_dual_cndmask_b32 v3, v4, v3 :: v_dual_lshrrev_b32 v4, 16, v5
	v_and_or_b32 v4, 0x8000, v4, v3
	s_branch .LBB182_2419
.LBB182_2415:
	s_mov_b32 s2, -1
                                        ; implicit-def: $vgpr4
	s_branch .LBB182_2437
.LBB182_2416:
	s_mov_b32 s2, -1
                                        ; implicit-def: $vgpr4
	s_branch .LBB182_2425
.LBB182_2417:
	s_mov_b32 s2, -1
                                        ; implicit-def: $vgpr4
	s_branch .LBB182_2422
.LBB182_2418:
	s_mov_b32 s2, -1
                                        ; implicit-def: $vgpr4
.LBB182_2419:
	s_delay_alu instid0(SALU_CYCLE_1)
	s_and_not1_b32 vcc_lo, exec_lo, s2
	s_cbranch_vccnz .LBB182_2421
; %bb.2420:
	global_load_b32 v3, v[0:1], off
	s_wait_loadcnt 0x0
	s_wait_xcnt 0x1
	v_cvt_f16_f32_e32 v4, v3
.LBB182_2421:
	s_mov_b32 s2, 0
.LBB182_2422:
	s_delay_alu instid0(SALU_CYCLE_1)
	s_and_not1_b32 vcc_lo, exec_lo, s2
	s_cbranch_vccnz .LBB182_2424
; %bb.2423:
	global_load_b32 v4, v[0:1], off
.LBB182_2424:
	s_mov_b32 s2, 0
.LBB182_2425:
	s_delay_alu instid0(SALU_CYCLE_1)
	s_and_not1_b32 vcc_lo, exec_lo, s2
	s_cbranch_vccnz .LBB182_2436
; %bb.2426:
	s_cmp_lt_i32 s0, 6
	s_cbranch_scc1 .LBB182_2429
; %bb.2427:
	s_cmp_gt_i32 s0, 6
	s_cbranch_scc0 .LBB182_2430
; %bb.2428:
	s_wait_loadcnt 0x0
	global_load_b64 v[4:5], v[0:1], off
	s_mov_b32 s2, 0
	s_wait_loadcnt 0x0
	v_and_or_b32 v3, 0x1ff, v5, v4
	v_lshrrev_b32_e32 v4, 8, v5
	v_bfe_u32 v13, v5, 20, 11
	s_delay_alu instid0(VALU_DEP_3) | instskip(NEXT) | instid1(VALU_DEP_2)
	v_cmp_ne_u32_e32 vcc_lo, 0, v3
	v_sub_nc_u32_e32 v14, 0x3f1, v13
	v_add_nc_u32_e32 v13, 0xfffffc10, v13
	v_cndmask_b32_e64 v3, 0, 1, vcc_lo
	s_delay_alu instid0(VALU_DEP_1) | instskip(NEXT) | instid1(VALU_DEP_4)
	v_and_or_b32 v3, 0xffe, v4, v3
	v_med3_i32 v4, v14, 0, 13
	s_delay_alu instid0(VALU_DEP_2) | instskip(NEXT) | instid1(VALU_DEP_1)
	v_or_b32_e32 v14, 0x1000, v3
	v_lshrrev_b32_e32 v15, v4, v14
	s_delay_alu instid0(VALU_DEP_1) | instskip(NEXT) | instid1(VALU_DEP_1)
	v_lshlrev_b32_e32 v4, v4, v15
	v_cmp_ne_u32_e32 vcc_lo, v4, v14
	v_lshl_or_b32 v14, v13, 12, v3
	v_cndmask_b32_e64 v4, 0, 1, vcc_lo
	v_cmp_gt_i32_e32 vcc_lo, 1, v13
	s_delay_alu instid0(VALU_DEP_2) | instskip(NEXT) | instid1(VALU_DEP_1)
	v_or_b32_e32 v4, v15, v4
	v_cndmask_b32_e32 v4, v14, v4, vcc_lo
	s_delay_alu instid0(VALU_DEP_1) | instskip(NEXT) | instid1(VALU_DEP_1)
	v_dual_lshrrev_b32 v4, 2, v4 :: v_dual_bitop2_b32 v14, 7, v4 bitop3:0x40
	v_cmp_lt_i32_e32 vcc_lo, 5, v14
	v_cndmask_b32_e64 v15, 0, 1, vcc_lo
	v_cmp_eq_u32_e32 vcc_lo, 3, v14
	v_cndmask_b32_e64 v14, 0, 1, vcc_lo
	v_cmp_ne_u32_e32 vcc_lo, 0, v3
	s_delay_alu instid0(VALU_DEP_2) | instskip(NEXT) | instid1(VALU_DEP_1)
	v_or_b32_e32 v14, v14, v15
	v_dual_mov_b32 v15, 0x7e00 :: v_dual_add_nc_u32 v4, v4, v14
	s_delay_alu instid0(VALU_DEP_1) | instskip(SKIP_1) | instid1(VALU_DEP_3)
	v_cndmask_b32_e32 v3, 0x7c00, v15, vcc_lo
	v_cmp_gt_i32_e32 vcc_lo, 31, v13
	v_cndmask_b32_e32 v4, 0x7c00, v4, vcc_lo
	v_cmp_eq_u32_e32 vcc_lo, 0x40f, v13
	s_delay_alu instid0(VALU_DEP_2) | instskip(NEXT) | instid1(VALU_DEP_1)
	v_dual_cndmask_b32 v3, v4, v3 :: v_dual_lshrrev_b32 v4, 16, v5
	v_and_or_b32 v4, 0x8000, v4, v3
	s_branch .LBB182_2431
.LBB182_2429:
	s_mov_b32 s2, -1
                                        ; implicit-def: $vgpr4
	s_branch .LBB182_2434
.LBB182_2430:
	s_mov_b32 s2, -1
                                        ; implicit-def: $vgpr4
.LBB182_2431:
	s_delay_alu instid0(SALU_CYCLE_1)
	s_and_not1_b32 vcc_lo, exec_lo, s2
	s_cbranch_vccnz .LBB182_2433
; %bb.2432:
	global_load_b32 v3, v[0:1], off
	s_wait_loadcnt 0x0
	s_wait_xcnt 0x1
	v_cvt_f16_f32_e32 v4, v3
.LBB182_2433:
	s_mov_b32 s2, 0
.LBB182_2434:
	s_delay_alu instid0(SALU_CYCLE_1)
	s_and_not1_b32 vcc_lo, exec_lo, s2
	s_cbranch_vccnz .LBB182_2436
; %bb.2435:
	s_wait_loadcnt 0x0
	global_load_u16 v4, v[0:1], off
.LBB182_2436:
	s_mov_b32 s2, 0
.LBB182_2437:
	s_delay_alu instid0(SALU_CYCLE_1)
	s_and_not1_b32 vcc_lo, exec_lo, s2
	s_cbranch_vccnz .LBB182_2457
; %bb.2438:
	s_cmp_lt_i32 s0, 2
	s_cbranch_scc1 .LBB182_2442
; %bb.2439:
	s_cmp_lt_i32 s0, 3
	s_cbranch_scc1 .LBB182_2443
; %bb.2440:
	s_cmp_gt_i32 s0, 3
	s_cbranch_scc0 .LBB182_2444
; %bb.2441:
	s_wait_loadcnt 0x0
	global_load_b64 v[4:5], v[0:1], off
	s_mov_b32 s2, 0
	s_wait_loadcnt 0x0
	v_xor_b32_e32 v3, v4, v5
	v_cls_i32_e32 v13, v5
	s_delay_alu instid0(VALU_DEP_2) | instskip(NEXT) | instid1(VALU_DEP_1)
	v_ashrrev_i32_e32 v3, 31, v3
	v_add_nc_u32_e32 v3, 32, v3
	s_delay_alu instid0(VALU_DEP_1) | instskip(NEXT) | instid1(VALU_DEP_1)
	v_add_min_u32_e64 v3, v13, -1, v3
	v_lshlrev_b64_e32 v[4:5], v3, v[4:5]
	v_sub_nc_u32_e32 v3, 32, v3
	s_delay_alu instid0(VALU_DEP_2) | instskip(NEXT) | instid1(VALU_DEP_1)
	v_min_u32_e32 v4, 1, v4
	v_or_b32_e32 v4, v5, v4
	s_delay_alu instid0(VALU_DEP_1) | instskip(NEXT) | instid1(VALU_DEP_1)
	v_cvt_f32_i32_e32 v4, v4
	v_ldexp_f32 v3, v4, v3
	s_delay_alu instid0(VALU_DEP_1)
	v_cvt_f16_f32_e32 v4, v3
	s_branch .LBB182_2445
.LBB182_2442:
	s_mov_b32 s2, -1
                                        ; implicit-def: $vgpr4
	s_branch .LBB182_2451
.LBB182_2443:
	s_mov_b32 s2, -1
                                        ; implicit-def: $vgpr4
	s_branch .LBB182_2448
.LBB182_2444:
	s_mov_b32 s2, -1
                                        ; implicit-def: $vgpr4
.LBB182_2445:
	s_delay_alu instid0(SALU_CYCLE_1)
	s_and_not1_b32 vcc_lo, exec_lo, s2
	s_cbranch_vccnz .LBB182_2447
; %bb.2446:
	global_load_b32 v3, v[0:1], off
	s_wait_loadcnt 0x0
	v_cvt_f32_i32_e32 v3, v3
	s_wait_xcnt 0x1
	s_delay_alu instid0(VALU_DEP_1)
	v_cvt_f16_f32_e32 v4, v3
.LBB182_2447:
	s_mov_b32 s2, 0
.LBB182_2448:
	s_delay_alu instid0(SALU_CYCLE_1)
	s_and_not1_b32 vcc_lo, exec_lo, s2
	s_cbranch_vccnz .LBB182_2450
; %bb.2449:
	global_load_u16 v3, v[0:1], off
	s_wait_loadcnt 0x0
	s_wait_xcnt 0x1
	v_cvt_f16_i16_e32 v4, v3
.LBB182_2450:
	s_mov_b32 s2, 0
.LBB182_2451:
	s_delay_alu instid0(SALU_CYCLE_1)
	s_and_not1_b32 vcc_lo, exec_lo, s2
	s_cbranch_vccnz .LBB182_2457
; %bb.2452:
	s_cmp_gt_i32 s0, 0
	s_mov_b32 s0, 0
	s_cbranch_scc0 .LBB182_2454
; %bb.2453:
	global_load_i8 v3, v[0:1], off
	s_wait_loadcnt 0x0
	s_wait_xcnt 0x1
	v_cvt_f16_i16_e32 v4, v3
	s_branch .LBB182_2455
.LBB182_2454:
	s_mov_b32 s0, -1
                                        ; implicit-def: $vgpr4
.LBB182_2455:
	s_delay_alu instid0(SALU_CYCLE_1)
	s_and_not1_b32 vcc_lo, exec_lo, s0
	s_cbranch_vccnz .LBB182_2457
; %bb.2456:
	global_load_u8 v0, v[0:1], off
	s_wait_loadcnt 0x0
	v_cvt_f16_u16_e32 v4, v0
.LBB182_2457:
	s_mov_b32 s10, -1
.LBB182_2458:
	s_delay_alu instid0(SALU_CYCLE_1)
	s_and_not1_b32 vcc_lo, exec_lo, s10
	s_cbranch_vccnz .LBB182_3022
; %bb.2459:
	s_wait_xcnt 0x0
	v_add_nc_u32_e32 v0, s9, v2
	s_cmp_lt_i32 s1, 11
	s_delay_alu instid0(VALU_DEP_1) | instskip(NEXT) | instid1(VALU_DEP_1)
	v_ashrrev_i32_e32 v1, 31, v0
	v_add_nc_u64_e32 v[0:1], s[12:13], v[0:1]
	s_cbranch_scc1 .LBB182_2466
; %bb.2460:
	s_and_b32 s0, 0xffff, s1
	s_mov_b32 s6, 0
	s_cmp_gt_i32 s0, 25
	s_cbranch_scc0 .LBB182_2467
; %bb.2461:
	s_cmp_gt_i32 s0, 28
	s_cbranch_scc0 .LBB182_2468
; %bb.2462:
	;; [unrolled: 3-line block ×4, first 2 shown]
	s_cmp_eq_u32 s0, 46
	s_mov_b32 s9, 0
	s_cbranch_scc0 .LBB182_2472
; %bb.2465:
	global_load_b32 v2, v[0:1], off
	s_mov_b32 s2, 0
	s_mov_b32 s7, -1
	s_wait_loadcnt 0x0
	v_lshlrev_b32_e32 v2, 16, v2
	s_delay_alu instid0(VALU_DEP_1)
	v_cvt_f16_f32_e32 v5, v2
	s_branch .LBB182_2474
.LBB182_2466:
	s_mov_b32 s0, -1
	s_mov_b32 s7, 0
                                        ; implicit-def: $vgpr5
	s_branch .LBB182_2540
.LBB182_2467:
	s_mov_b32 s9, -1
	s_mov_b32 s7, 0
	s_mov_b32 s2, 0
                                        ; implicit-def: $vgpr5
	s_branch .LBB182_2503
.LBB182_2468:
	s_mov_b32 s9, -1
	s_mov_b32 s7, 0
	s_mov_b32 s2, 0
                                        ; implicit-def: $vgpr5
	s_branch .LBB182_2484
.LBB182_2469:
	s_mov_b32 s9, -1
	s_mov_b32 s7, 0
	s_mov_b32 s2, 0
                                        ; implicit-def: $vgpr5
	s_branch .LBB182_2479
.LBB182_2470:
	s_or_b32 s15, s15, exec_lo
	s_trap 2
	s_cbranch_execz .LBB182_2407
	s_branch .LBB182_2408
.LBB182_2471:
	s_mov_b32 s9, -1
	s_mov_b32 s7, 0
	s_mov_b32 s2, 0
	s_branch .LBB182_2473
.LBB182_2472:
	s_mov_b32 s2, -1
	s_mov_b32 s7, 0
.LBB182_2473:
                                        ; implicit-def: $vgpr5
.LBB182_2474:
	s_and_b32 vcc_lo, exec_lo, s9
	s_cbranch_vccz .LBB182_2478
; %bb.2475:
	s_cmp_eq_u32 s0, 44
	s_cbranch_scc0 .LBB182_2477
; %bb.2476:
	global_load_u8 v2, v[0:1], off
	s_mov_b32 s2, 0
	s_mov_b32 s7, -1
	s_wait_loadcnt 0x0
	v_lshlrev_b32_e32 v3, 23, v2
	v_cmp_ne_u32_e32 vcc_lo, 0xff, v2
	s_delay_alu instid0(VALU_DEP_2) | instskip(NEXT) | instid1(VALU_DEP_1)
	v_cvt_f16_f32_e32 v3, v3
	v_cndmask_b32_e32 v3, 0x7e00, v3, vcc_lo
	v_cmp_ne_u32_e32 vcc_lo, 0, v2
	s_delay_alu instid0(VALU_DEP_2)
	v_cndmask_b32_e32 v5, 0, v3, vcc_lo
	s_branch .LBB182_2478
.LBB182_2477:
	s_mov_b32 s2, -1
                                        ; implicit-def: $vgpr5
.LBB182_2478:
	s_mov_b32 s9, 0
.LBB182_2479:
	s_delay_alu instid0(SALU_CYCLE_1)
	s_and_b32 vcc_lo, exec_lo, s9
	s_cbranch_vccz .LBB182_2483
; %bb.2480:
	s_cmp_eq_u32 s0, 29
	s_cbranch_scc0 .LBB182_2482
; %bb.2481:
	global_load_b64 v[2:3], v[0:1], off
	s_mov_b32 s2, 0
	s_mov_b32 s7, -1
	s_mov_b32 s9, 0
	s_wait_loadcnt 0x0
	v_clz_i32_u32_e32 v5, v3
	s_delay_alu instid0(VALU_DEP_1) | instskip(NEXT) | instid1(VALU_DEP_1)
	v_min_u32_e32 v5, 32, v5
	v_lshlrev_b64_e32 v[2:3], v5, v[2:3]
	s_delay_alu instid0(VALU_DEP_1) | instskip(NEXT) | instid1(VALU_DEP_1)
	v_min_u32_e32 v2, 1, v2
	v_dual_sub_nc_u32 v3, 32, v5 :: v_dual_bitop2_b32 v2, v3, v2 bitop3:0x54
	s_delay_alu instid0(VALU_DEP_1) | instskip(NEXT) | instid1(VALU_DEP_1)
	v_cvt_f32_u32_e32 v2, v2
	v_ldexp_f32 v2, v2, v3
	s_delay_alu instid0(VALU_DEP_1)
	v_cvt_f16_f32_e32 v5, v2
	s_branch .LBB182_2484
.LBB182_2482:
	s_mov_b32 s2, -1
                                        ; implicit-def: $vgpr5
.LBB182_2483:
	s_mov_b32 s9, 0
.LBB182_2484:
	s_delay_alu instid0(SALU_CYCLE_1)
	s_and_b32 vcc_lo, exec_lo, s9
	s_cbranch_vccz .LBB182_2502
; %bb.2485:
	s_cmp_lt_i32 s0, 27
	s_cbranch_scc1 .LBB182_2488
; %bb.2486:
	s_cmp_gt_i32 s0, 27
	s_cbranch_scc0 .LBB182_2489
; %bb.2487:
	global_load_b32 v2, v[0:1], off
	s_mov_b32 s7, 0
	s_wait_loadcnt 0x0
	v_cvt_f32_u32_e32 v2, v2
	s_delay_alu instid0(VALU_DEP_1)
	v_cvt_f16_f32_e32 v5, v2
	s_branch .LBB182_2490
.LBB182_2488:
	s_mov_b32 s7, -1
                                        ; implicit-def: $vgpr5
	s_branch .LBB182_2493
.LBB182_2489:
	s_mov_b32 s7, -1
                                        ; implicit-def: $vgpr5
.LBB182_2490:
	s_delay_alu instid0(SALU_CYCLE_1)
	s_and_not1_b32 vcc_lo, exec_lo, s7
	s_cbranch_vccnz .LBB182_2492
; %bb.2491:
	global_load_u16 v2, v[0:1], off
	s_wait_loadcnt 0x0
	v_cvt_f16_u16_e32 v5, v2
.LBB182_2492:
	s_mov_b32 s7, 0
.LBB182_2493:
	s_delay_alu instid0(SALU_CYCLE_1)
	s_and_not1_b32 vcc_lo, exec_lo, s7
	s_cbranch_vccnz .LBB182_2501
; %bb.2494:
	global_load_u8 v2, v[0:1], off
	s_mov_b32 s7, 0
	s_mov_b32 s9, exec_lo
	s_wait_loadcnt 0x0
	v_cmpx_lt_i16_e32 0x7f, v2
	s_xor_b32 s9, exec_lo, s9
	s_cbranch_execz .LBB182_2515
; %bb.2495:
	s_mov_b32 s7, -1
	s_mov_b32 s10, exec_lo
	v_cmpx_eq_u16_e32 0x80, v2
; %bb.2496:
	s_xor_b32 s7, exec_lo, -1
; %bb.2497:
	s_or_b32 exec_lo, exec_lo, s10
	s_delay_alu instid0(SALU_CYCLE_1)
	s_and_b32 s7, s7, exec_lo
	s_or_saveexec_b32 s9, s9
	v_mov_b32_e32 v5, 0x7e00
	s_xor_b32 exec_lo, exec_lo, s9
	s_cbranch_execnz .LBB182_2516
.LBB182_2498:
	s_or_b32 exec_lo, exec_lo, s9
	s_and_saveexec_b32 s9, s7
	s_cbranch_execz .LBB182_2500
.LBB182_2499:
	v_and_b32_e32 v3, 0xffff, v2
	s_delay_alu instid0(VALU_DEP_1) | instskip(SKIP_1) | instid1(VALU_DEP_2)
	v_and_b32_e32 v5, 7, v3
	v_bfe_u32 v15, v3, 3, 4
	v_clz_i32_u32_e32 v13, v5
	s_delay_alu instid0(VALU_DEP_2) | instskip(NEXT) | instid1(VALU_DEP_2)
	v_cmp_eq_u32_e32 vcc_lo, 0, v15
	v_min_u32_e32 v13, 32, v13
	s_delay_alu instid0(VALU_DEP_1) | instskip(NEXT) | instid1(VALU_DEP_1)
	v_subrev_nc_u32_e32 v14, 28, v13
	v_dual_lshlrev_b32 v3, v14, v3 :: v_dual_sub_nc_u32 v13, 29, v13
	s_delay_alu instid0(VALU_DEP_1) | instskip(NEXT) | instid1(VALU_DEP_1)
	v_dual_lshlrev_b32 v2, 24, v2 :: v_dual_bitop2_b32 v3, 7, v3 bitop3:0x40
	v_dual_cndmask_b32 v13, v15, v13, vcc_lo :: v_dual_cndmask_b32 v3, v5, v3, vcc_lo
	s_delay_alu instid0(VALU_DEP_2) | instskip(NEXT) | instid1(VALU_DEP_2)
	v_and_b32_e32 v2, 0x80000000, v2
	v_lshl_add_u32 v5, v13, 23, 0x3b800000
	s_delay_alu instid0(VALU_DEP_3) | instskip(NEXT) | instid1(VALU_DEP_1)
	v_lshlrev_b32_e32 v3, 20, v3
	v_or3_b32 v2, v2, v5, v3
	s_delay_alu instid0(VALU_DEP_1)
	v_cvt_f16_f32_e32 v5, v2
.LBB182_2500:
	s_or_b32 exec_lo, exec_lo, s9
.LBB182_2501:
	s_mov_b32 s7, -1
.LBB182_2502:
	s_mov_b32 s9, 0
.LBB182_2503:
	s_delay_alu instid0(SALU_CYCLE_1)
	s_and_b32 vcc_lo, exec_lo, s9
	s_cbranch_vccz .LBB182_2536
; %bb.2504:
	s_cmp_gt_i32 s0, 22
	s_cbranch_scc0 .LBB182_2514
; %bb.2505:
	s_cmp_lt_i32 s0, 24
	s_cbranch_scc1 .LBB182_2517
; %bb.2506:
	s_cmp_gt_i32 s0, 24
	s_cbranch_scc0 .LBB182_2518
; %bb.2507:
	global_load_u8 v2, v[0:1], off
	s_mov_b32 s7, exec_lo
	s_wait_loadcnt 0x0
	v_cmpx_lt_i16_e32 0x7f, v2
	s_xor_b32 s7, exec_lo, s7
	s_cbranch_execz .LBB182_2530
; %bb.2508:
	s_mov_b32 s6, -1
	s_mov_b32 s9, exec_lo
	v_cmpx_eq_u16_e32 0x80, v2
; %bb.2509:
	s_xor_b32 s6, exec_lo, -1
; %bb.2510:
	s_or_b32 exec_lo, exec_lo, s9
	s_delay_alu instid0(SALU_CYCLE_1)
	s_and_b32 s6, s6, exec_lo
	s_or_saveexec_b32 s7, s7
	v_mov_b32_e32 v5, 0x7e00
	s_xor_b32 exec_lo, exec_lo, s7
	s_cbranch_execnz .LBB182_2531
.LBB182_2511:
	s_or_b32 exec_lo, exec_lo, s7
	s_and_saveexec_b32 s7, s6
	s_cbranch_execz .LBB182_2513
.LBB182_2512:
	v_and_b32_e32 v3, 0xffff, v2
	s_delay_alu instid0(VALU_DEP_1) | instskip(SKIP_1) | instid1(VALU_DEP_2)
	v_and_b32_e32 v5, 3, v3
	v_bfe_u32 v15, v3, 2, 5
	v_clz_i32_u32_e32 v13, v5
	s_delay_alu instid0(VALU_DEP_2) | instskip(NEXT) | instid1(VALU_DEP_2)
	v_cmp_eq_u32_e32 vcc_lo, 0, v15
	v_min_u32_e32 v13, 32, v13
	s_delay_alu instid0(VALU_DEP_1) | instskip(NEXT) | instid1(VALU_DEP_1)
	v_subrev_nc_u32_e32 v14, 29, v13
	v_dual_lshlrev_b32 v3, v14, v3 :: v_dual_sub_nc_u32 v13, 30, v13
	s_delay_alu instid0(VALU_DEP_1) | instskip(NEXT) | instid1(VALU_DEP_1)
	v_dual_lshlrev_b32 v2, 24, v2 :: v_dual_bitop2_b32 v3, 3, v3 bitop3:0x40
	v_dual_cndmask_b32 v13, v15, v13, vcc_lo :: v_dual_cndmask_b32 v3, v5, v3, vcc_lo
	s_delay_alu instid0(VALU_DEP_2) | instskip(NEXT) | instid1(VALU_DEP_2)
	v_and_b32_e32 v2, 0x80000000, v2
	v_lshl_add_u32 v5, v13, 23, 0x37800000
	s_delay_alu instid0(VALU_DEP_3) | instskip(NEXT) | instid1(VALU_DEP_1)
	v_lshlrev_b32_e32 v3, 21, v3
	v_or3_b32 v2, v2, v5, v3
	s_delay_alu instid0(VALU_DEP_1)
	v_cvt_f16_f32_e32 v5, v2
.LBB182_2513:
	s_or_b32 exec_lo, exec_lo, s7
	s_mov_b32 s6, 0
	s_branch .LBB182_2519
.LBB182_2514:
	s_mov_b32 s6, -1
                                        ; implicit-def: $vgpr5
	s_branch .LBB182_2525
.LBB182_2515:
	s_or_saveexec_b32 s9, s9
	v_mov_b32_e32 v5, 0x7e00
	s_xor_b32 exec_lo, exec_lo, s9
	s_cbranch_execz .LBB182_2498
.LBB182_2516:
	v_cmp_ne_u16_e32 vcc_lo, 0, v2
	v_mov_b32_e32 v5, v2
	s_and_not1_b32 s7, s7, exec_lo
	s_and_b32 s10, vcc_lo, exec_lo
	s_delay_alu instid0(SALU_CYCLE_1)
	s_or_b32 s7, s7, s10
	s_or_b32 exec_lo, exec_lo, s9
	s_and_saveexec_b32 s9, s7
	s_cbranch_execnz .LBB182_2499
	s_branch .LBB182_2500
.LBB182_2517:
	s_mov_b32 s6, -1
                                        ; implicit-def: $vgpr5
	s_branch .LBB182_2522
.LBB182_2518:
	s_mov_b32 s6, -1
                                        ; implicit-def: $vgpr5
.LBB182_2519:
	s_delay_alu instid0(SALU_CYCLE_1)
	s_and_b32 vcc_lo, exec_lo, s6
	s_cbranch_vccz .LBB182_2521
; %bb.2520:
	global_load_u8 v2, v[0:1], off
	s_wait_loadcnt 0x0
	v_lshlrev_b32_e32 v2, 24, v2
	s_delay_alu instid0(VALU_DEP_1) | instskip(NEXT) | instid1(VALU_DEP_1)
	v_and_b32_e32 v3, 0x7f000000, v2
	v_clz_i32_u32_e32 v5, v3
	v_cmp_ne_u32_e32 vcc_lo, 0, v3
	v_add_nc_u32_e32 v14, 0x1000000, v3
	s_delay_alu instid0(VALU_DEP_3) | instskip(NEXT) | instid1(VALU_DEP_1)
	v_min_u32_e32 v5, 32, v5
	v_sub_nc_u32_e64 v5, v5, 4 clamp
	s_delay_alu instid0(VALU_DEP_1) | instskip(NEXT) | instid1(VALU_DEP_1)
	v_dual_lshlrev_b32 v13, v5, v3 :: v_dual_lshlrev_b32 v5, 23, v5
	v_lshrrev_b32_e32 v13, 4, v13
	s_delay_alu instid0(VALU_DEP_1) | instskip(NEXT) | instid1(VALU_DEP_1)
	v_dual_sub_nc_u32 v5, v13, v5 :: v_dual_ashrrev_i32 v13, 8, v14
	v_add_nc_u32_e32 v5, 0x3c000000, v5
	s_delay_alu instid0(VALU_DEP_1) | instskip(NEXT) | instid1(VALU_DEP_1)
	v_and_or_b32 v5, 0x7f800000, v13, v5
	v_cndmask_b32_e32 v3, 0, v5, vcc_lo
	s_delay_alu instid0(VALU_DEP_1) | instskip(NEXT) | instid1(VALU_DEP_1)
	v_and_or_b32 v2, 0x80000000, v2, v3
	v_cvt_f16_f32_e32 v5, v2
.LBB182_2521:
	s_mov_b32 s6, 0
.LBB182_2522:
	s_delay_alu instid0(SALU_CYCLE_1)
	s_and_not1_b32 vcc_lo, exec_lo, s6
	s_cbranch_vccnz .LBB182_2524
; %bb.2523:
	global_load_u8 v2, v[0:1], off
	s_wait_loadcnt 0x0
	v_lshlrev_b32_e32 v3, 25, v2
	v_lshlrev_b16 v2, 8, v2
	s_delay_alu instid0(VALU_DEP_1) | instskip(SKIP_1) | instid1(VALU_DEP_2)
	v_and_or_b32 v13, 0x7f00, v2, 0.5
	v_bfe_i32 v2, v2, 0, 16
	v_dual_add_f32 v13, -0.5, v13 :: v_dual_lshrrev_b32 v5, 4, v3
	v_cmp_gt_u32_e32 vcc_lo, 0x8000000, v3
	s_delay_alu instid0(VALU_DEP_2) | instskip(NEXT) | instid1(VALU_DEP_1)
	v_or_b32_e32 v5, 0x70000000, v5
	v_mul_f32_e32 v5, 0x7800000, v5
	s_delay_alu instid0(VALU_DEP_1) | instskip(NEXT) | instid1(VALU_DEP_1)
	v_cndmask_b32_e32 v3, v5, v13, vcc_lo
	v_and_or_b32 v2, 0x80000000, v2, v3
	s_delay_alu instid0(VALU_DEP_1)
	v_cvt_f16_f32_e32 v5, v2
.LBB182_2524:
	s_mov_b32 s6, 0
	s_mov_b32 s7, -1
.LBB182_2525:
	s_and_not1_b32 vcc_lo, exec_lo, s6
	s_mov_b32 s6, 0
	s_cbranch_vccnz .LBB182_2536
; %bb.2526:
	s_cmp_gt_i32 s0, 14
	s_cbranch_scc0 .LBB182_2529
; %bb.2527:
	s_cmp_eq_u32 s0, 15
	s_cbranch_scc0 .LBB182_2532
; %bb.2528:
	global_load_u16 v2, v[0:1], off
	s_mov_b32 s2, 0
	s_mov_b32 s7, -1
	s_wait_loadcnt 0x0
	v_lshlrev_b32_e32 v2, 16, v2
	s_delay_alu instid0(VALU_DEP_1)
	v_cvt_f16_f32_e32 v5, v2
	s_branch .LBB182_2534
.LBB182_2529:
	s_mov_b32 s6, -1
	s_branch .LBB182_2533
.LBB182_2530:
	s_or_saveexec_b32 s7, s7
	v_mov_b32_e32 v5, 0x7e00
	s_xor_b32 exec_lo, exec_lo, s7
	s_cbranch_execz .LBB182_2511
.LBB182_2531:
	v_cmp_ne_u16_e32 vcc_lo, 0, v2
	v_mov_b32_e32 v5, v2
	s_and_not1_b32 s6, s6, exec_lo
	s_and_b32 s9, vcc_lo, exec_lo
	s_delay_alu instid0(SALU_CYCLE_1)
	s_or_b32 s6, s6, s9
	s_or_b32 exec_lo, exec_lo, s7
	s_and_saveexec_b32 s7, s6
	s_cbranch_execnz .LBB182_2512
	s_branch .LBB182_2513
.LBB182_2532:
	s_mov_b32 s2, -1
.LBB182_2533:
                                        ; implicit-def: $vgpr5
.LBB182_2534:
	s_and_b32 vcc_lo, exec_lo, s6
	s_mov_b32 s6, 0
	s_cbranch_vccz .LBB182_2536
; %bb.2535:
	s_cmp_lg_u32 s0, 11
	s_mov_b32 s6, -1
	s_cselect_b32 s2, -1, 0
.LBB182_2536:
	s_delay_alu instid0(SALU_CYCLE_1)
	s_and_b32 vcc_lo, exec_lo, s2
	s_cbranch_vccnz .LBB182_3068
; %bb.2537:
	s_and_not1_b32 vcc_lo, exec_lo, s6
	s_cbranch_vccnz .LBB182_2539
.LBB182_2538:
	global_load_u8 v2, v[0:1], off
	s_mov_b32 s7, -1
	s_wait_loadcnt 0x0
	v_cmp_ne_u16_e32 vcc_lo, 0, v2
	v_cndmask_b32_e64 v5, 0, 0x3c00, vcc_lo
.LBB182_2539:
	s_mov_b32 s0, 0
.LBB182_2540:
	s_delay_alu instid0(SALU_CYCLE_1)
	s_and_b32 vcc_lo, exec_lo, s0
	s_cbranch_vccz .LBB182_2589
; %bb.2541:
	s_and_b32 s0, 0xffff, s1
	s_delay_alu instid0(SALU_CYCLE_1)
	s_cmp_lt_i32 s0, 5
	s_cbranch_scc1 .LBB182_2546
; %bb.2542:
	s_cmp_lt_i32 s0, 8
	s_cbranch_scc1 .LBB182_2547
; %bb.2543:
	;; [unrolled: 3-line block ×3, first 2 shown]
	s_cmp_gt_i32 s0, 9
	s_cbranch_scc0 .LBB182_2549
; %bb.2545:
	global_load_b64 v[2:3], v[0:1], off
	s_mov_b32 s1, 0
	s_wait_loadcnt 0x0
	v_and_or_b32 v2, 0x1ff, v3, v2
	v_lshrrev_b32_e32 v5, 8, v3
	v_bfe_u32 v13, v3, 20, 11
	v_lshrrev_b32_e32 v3, 16, v3
	s_delay_alu instid0(VALU_DEP_4) | instskip(NEXT) | instid1(VALU_DEP_3)
	v_cmp_ne_u32_e32 vcc_lo, 0, v2
	v_sub_nc_u32_e32 v14, 0x3f1, v13
	v_add_nc_u32_e32 v13, 0xfffffc10, v13
	v_cndmask_b32_e64 v2, 0, 1, vcc_lo
	s_delay_alu instid0(VALU_DEP_1) | instskip(NEXT) | instid1(VALU_DEP_4)
	v_and_or_b32 v2, 0xffe, v5, v2
	v_med3_i32 v5, v14, 0, 13
	s_delay_alu instid0(VALU_DEP_2) | instskip(NEXT) | instid1(VALU_DEP_1)
	v_or_b32_e32 v14, 0x1000, v2
	v_lshrrev_b32_e32 v15, v5, v14
	s_delay_alu instid0(VALU_DEP_1) | instskip(NEXT) | instid1(VALU_DEP_1)
	v_lshlrev_b32_e32 v5, v5, v15
	v_cmp_ne_u32_e32 vcc_lo, v5, v14
	v_lshl_or_b32 v14, v13, 12, v2
	v_cndmask_b32_e64 v5, 0, 1, vcc_lo
	v_cmp_gt_i32_e32 vcc_lo, 1, v13
	s_delay_alu instid0(VALU_DEP_2) | instskip(NEXT) | instid1(VALU_DEP_1)
	v_or_b32_e32 v5, v15, v5
	v_cndmask_b32_e32 v5, v14, v5, vcc_lo
	s_delay_alu instid0(VALU_DEP_1) | instskip(NEXT) | instid1(VALU_DEP_1)
	v_dual_lshrrev_b32 v5, 2, v5 :: v_dual_bitop2_b32 v14, 7, v5 bitop3:0x40
	v_cmp_lt_i32_e32 vcc_lo, 5, v14
	v_cndmask_b32_e64 v15, 0, 1, vcc_lo
	v_cmp_eq_u32_e32 vcc_lo, 3, v14
	v_cndmask_b32_e64 v14, 0, 1, vcc_lo
	v_cmp_ne_u32_e32 vcc_lo, 0, v2
	s_delay_alu instid0(VALU_DEP_2) | instskip(SKIP_1) | instid1(VALU_DEP_1)
	v_or_b32_e32 v14, v14, v15
	v_mov_b32_e32 v15, 0x7e00
	v_dual_cndmask_b32 v2, 0x7c00, v15 :: v_dual_add_nc_u32 v5, v5, v14
	v_cmp_gt_i32_e32 vcc_lo, 31, v13
	s_delay_alu instid0(VALU_DEP_2) | instskip(SKIP_1) | instid1(VALU_DEP_2)
	v_cndmask_b32_e32 v5, 0x7c00, v5, vcc_lo
	v_cmp_eq_u32_e32 vcc_lo, 0x40f, v13
	v_cndmask_b32_e32 v2, v5, v2, vcc_lo
	s_delay_alu instid0(VALU_DEP_1)
	v_and_or_b32 v5, 0x8000, v3, v2
	s_branch .LBB182_2550
.LBB182_2546:
	s_mov_b32 s1, -1
                                        ; implicit-def: $vgpr5
	s_branch .LBB182_2568
.LBB182_2547:
	s_mov_b32 s1, -1
                                        ; implicit-def: $vgpr5
	s_branch .LBB182_2556
.LBB182_2548:
	s_mov_b32 s1, -1
                                        ; implicit-def: $vgpr5
	s_branch .LBB182_2553
.LBB182_2549:
	s_mov_b32 s1, -1
                                        ; implicit-def: $vgpr5
.LBB182_2550:
	s_delay_alu instid0(SALU_CYCLE_1)
	s_and_not1_b32 vcc_lo, exec_lo, s1
	s_cbranch_vccnz .LBB182_2552
; %bb.2551:
	global_load_b32 v2, v[0:1], off
	s_wait_loadcnt 0x0
	v_cvt_f16_f32_e32 v5, v2
.LBB182_2552:
	s_mov_b32 s1, 0
.LBB182_2553:
	s_delay_alu instid0(SALU_CYCLE_1)
	s_and_not1_b32 vcc_lo, exec_lo, s1
	s_cbranch_vccnz .LBB182_2555
; %bb.2554:
	global_load_b32 v5, v[0:1], off
.LBB182_2555:
	s_mov_b32 s1, 0
.LBB182_2556:
	s_delay_alu instid0(SALU_CYCLE_1)
	s_and_not1_b32 vcc_lo, exec_lo, s1
	s_cbranch_vccnz .LBB182_2567
; %bb.2557:
	s_cmp_lt_i32 s0, 6
	s_cbranch_scc1 .LBB182_2560
; %bb.2558:
	s_cmp_gt_i32 s0, 6
	s_cbranch_scc0 .LBB182_2561
; %bb.2559:
	global_load_b64 v[2:3], v[0:1], off
	s_mov_b32 s1, 0
	s_wait_loadcnt 0x0
	v_and_or_b32 v2, 0x1ff, v3, v2
	v_lshrrev_b32_e32 v5, 8, v3
	v_bfe_u32 v13, v3, 20, 11
	v_lshrrev_b32_e32 v3, 16, v3
	s_delay_alu instid0(VALU_DEP_4) | instskip(NEXT) | instid1(VALU_DEP_3)
	v_cmp_ne_u32_e32 vcc_lo, 0, v2
	v_sub_nc_u32_e32 v14, 0x3f1, v13
	v_add_nc_u32_e32 v13, 0xfffffc10, v13
	v_cndmask_b32_e64 v2, 0, 1, vcc_lo
	s_delay_alu instid0(VALU_DEP_1) | instskip(NEXT) | instid1(VALU_DEP_4)
	v_and_or_b32 v2, 0xffe, v5, v2
	v_med3_i32 v5, v14, 0, 13
	s_delay_alu instid0(VALU_DEP_2) | instskip(NEXT) | instid1(VALU_DEP_1)
	v_or_b32_e32 v14, 0x1000, v2
	v_lshrrev_b32_e32 v15, v5, v14
	s_delay_alu instid0(VALU_DEP_1) | instskip(NEXT) | instid1(VALU_DEP_1)
	v_lshlrev_b32_e32 v5, v5, v15
	v_cmp_ne_u32_e32 vcc_lo, v5, v14
	v_lshl_or_b32 v14, v13, 12, v2
	v_cndmask_b32_e64 v5, 0, 1, vcc_lo
	v_cmp_gt_i32_e32 vcc_lo, 1, v13
	s_delay_alu instid0(VALU_DEP_2) | instskip(NEXT) | instid1(VALU_DEP_1)
	v_or_b32_e32 v5, v15, v5
	v_cndmask_b32_e32 v5, v14, v5, vcc_lo
	s_delay_alu instid0(VALU_DEP_1) | instskip(NEXT) | instid1(VALU_DEP_1)
	v_dual_lshrrev_b32 v5, 2, v5 :: v_dual_bitop2_b32 v14, 7, v5 bitop3:0x40
	v_cmp_lt_i32_e32 vcc_lo, 5, v14
	v_cndmask_b32_e64 v15, 0, 1, vcc_lo
	v_cmp_eq_u32_e32 vcc_lo, 3, v14
	v_cndmask_b32_e64 v14, 0, 1, vcc_lo
	v_cmp_ne_u32_e32 vcc_lo, 0, v2
	s_delay_alu instid0(VALU_DEP_2) | instskip(SKIP_1) | instid1(VALU_DEP_1)
	v_or_b32_e32 v14, v14, v15
	v_mov_b32_e32 v15, 0x7e00
	v_dual_cndmask_b32 v2, 0x7c00, v15 :: v_dual_add_nc_u32 v5, v5, v14
	v_cmp_gt_i32_e32 vcc_lo, 31, v13
	s_delay_alu instid0(VALU_DEP_2) | instskip(SKIP_1) | instid1(VALU_DEP_2)
	v_cndmask_b32_e32 v5, 0x7c00, v5, vcc_lo
	v_cmp_eq_u32_e32 vcc_lo, 0x40f, v13
	v_cndmask_b32_e32 v2, v5, v2, vcc_lo
	s_delay_alu instid0(VALU_DEP_1)
	v_and_or_b32 v5, 0x8000, v3, v2
	s_branch .LBB182_2562
.LBB182_2560:
	s_mov_b32 s1, -1
                                        ; implicit-def: $vgpr5
	s_branch .LBB182_2565
.LBB182_2561:
	s_mov_b32 s1, -1
                                        ; implicit-def: $vgpr5
.LBB182_2562:
	s_delay_alu instid0(SALU_CYCLE_1)
	s_and_not1_b32 vcc_lo, exec_lo, s1
	s_cbranch_vccnz .LBB182_2564
; %bb.2563:
	global_load_b32 v2, v[0:1], off
	s_wait_loadcnt 0x0
	v_cvt_f16_f32_e32 v5, v2
.LBB182_2564:
	s_mov_b32 s1, 0
.LBB182_2565:
	s_delay_alu instid0(SALU_CYCLE_1)
	s_and_not1_b32 vcc_lo, exec_lo, s1
	s_cbranch_vccnz .LBB182_2567
; %bb.2566:
	s_wait_loadcnt 0x0
	global_load_u16 v5, v[0:1], off
.LBB182_2567:
	s_mov_b32 s1, 0
.LBB182_2568:
	s_delay_alu instid0(SALU_CYCLE_1)
	s_and_not1_b32 vcc_lo, exec_lo, s1
	s_cbranch_vccnz .LBB182_2588
; %bb.2569:
	s_cmp_lt_i32 s0, 2
	s_cbranch_scc1 .LBB182_2573
; %bb.2570:
	s_cmp_lt_i32 s0, 3
	s_cbranch_scc1 .LBB182_2574
; %bb.2571:
	s_cmp_gt_i32 s0, 3
	s_cbranch_scc0 .LBB182_2575
; %bb.2572:
	global_load_b64 v[2:3], v[0:1], off
	s_mov_b32 s1, 0
	s_wait_loadcnt 0x0
	v_xor_b32_e32 v5, v2, v3
	v_cls_i32_e32 v13, v3
	s_delay_alu instid0(VALU_DEP_2) | instskip(NEXT) | instid1(VALU_DEP_1)
	v_ashrrev_i32_e32 v5, 31, v5
	v_add_nc_u32_e32 v5, 32, v5
	s_delay_alu instid0(VALU_DEP_1) | instskip(NEXT) | instid1(VALU_DEP_1)
	v_add_min_u32_e64 v5, v13, -1, v5
	v_lshlrev_b64_e32 v[2:3], v5, v[2:3]
	s_delay_alu instid0(VALU_DEP_1) | instskip(NEXT) | instid1(VALU_DEP_1)
	v_min_u32_e32 v2, 1, v2
	v_dual_sub_nc_u32 v3, 32, v5 :: v_dual_bitop2_b32 v2, v3, v2 bitop3:0x54
	s_delay_alu instid0(VALU_DEP_1) | instskip(NEXT) | instid1(VALU_DEP_1)
	v_cvt_f32_i32_e32 v2, v2
	v_ldexp_f32 v2, v2, v3
	s_delay_alu instid0(VALU_DEP_1)
	v_cvt_f16_f32_e32 v5, v2
	s_branch .LBB182_2576
.LBB182_2573:
	s_mov_b32 s1, -1
                                        ; implicit-def: $vgpr5
	s_branch .LBB182_2582
.LBB182_2574:
	s_mov_b32 s1, -1
                                        ; implicit-def: $vgpr5
	s_branch .LBB182_2579
.LBB182_2575:
	s_mov_b32 s1, -1
                                        ; implicit-def: $vgpr5
.LBB182_2576:
	s_delay_alu instid0(SALU_CYCLE_1)
	s_and_not1_b32 vcc_lo, exec_lo, s1
	s_cbranch_vccnz .LBB182_2578
; %bb.2577:
	global_load_b32 v2, v[0:1], off
	s_wait_loadcnt 0x0
	v_cvt_f32_i32_e32 v2, v2
	s_delay_alu instid0(VALU_DEP_1)
	v_cvt_f16_f32_e32 v5, v2
.LBB182_2578:
	s_mov_b32 s1, 0
.LBB182_2579:
	s_delay_alu instid0(SALU_CYCLE_1)
	s_and_not1_b32 vcc_lo, exec_lo, s1
	s_cbranch_vccnz .LBB182_2581
; %bb.2580:
	global_load_u16 v2, v[0:1], off
	s_wait_loadcnt 0x0
	v_cvt_f16_i16_e32 v5, v2
.LBB182_2581:
	s_mov_b32 s1, 0
.LBB182_2582:
	s_delay_alu instid0(SALU_CYCLE_1)
	s_and_not1_b32 vcc_lo, exec_lo, s1
	s_cbranch_vccnz .LBB182_2588
; %bb.2583:
	s_cmp_gt_i32 s0, 0
	s_mov_b32 s0, 0
	s_cbranch_scc0 .LBB182_2585
; %bb.2584:
	global_load_i8 v2, v[0:1], off
	s_wait_loadcnt 0x0
	v_cvt_f16_i16_e32 v5, v2
	s_branch .LBB182_2586
.LBB182_2585:
	s_mov_b32 s0, -1
                                        ; implicit-def: $vgpr5
.LBB182_2586:
	s_delay_alu instid0(SALU_CYCLE_1)
	s_and_not1_b32 vcc_lo, exec_lo, s0
	s_cbranch_vccnz .LBB182_2588
; %bb.2587:
	global_load_u8 v0, v[0:1], off
	s_wait_loadcnt 0x0
	v_cvt_f16_u16_e32 v5, v0
.LBB182_2588:
	s_mov_b32 s7, -1
.LBB182_2589:
	s_delay_alu instid0(SALU_CYCLE_1)
	s_and_not1_b32 vcc_lo, exec_lo, s7
	s_cbranch_vccnz .LBB182_3022
; %bb.2590:
	s_wait_loadcnt 0x0
	v_cmp_eq_f16_e32 vcc_lo, v7, v8
	s_wait_xcnt 0x0
	v_mul_lo_u32 v0, s8, v6
	s_cmp_eq_u32 s11, 0
	s_mov_b32 s7, 0
	s_cselect_b32 s0, -1, 0
	v_cndmask_b32_e64 v1, 0, 1, vcc_lo
	v_cmp_neq_f16_e32 vcc_lo, v7, v8
	s_and_b32 s19, s3, 0xff
	s_mov_b32 s2, -1
	s_cmp_lt_i32 s19, 11
	v_cndmask_b32_e64 v2, 0, 1, vcc_lo
	s_delay_alu instid0(VALU_DEP_1) | instskip(NEXT) | instid1(VALU_DEP_1)
	v_dual_cndmask_b32 v2, v2, v1, s0 :: v_dual_ashrrev_i32 v1, 31, v0
	v_and_b32_e32 v6, 1, v2
	s_delay_alu instid0(VALU_DEP_2) | instskip(NEXT) | instid1(VALU_DEP_2)
	v_add_nc_u64_e32 v[2:3], s[4:5], v[0:1]
	v_cmp_eq_u32_e64 s1, 1, v6
	s_cbranch_scc1 .LBB182_2669
; %bb.2591:
	s_and_b32 s3, 0xffff, s19
	s_mov_b32 s9, -1
	s_mov_b32 s6, 0
	s_cmp_gt_i32 s3, 25
	s_mov_b32 s2, 0
	s_cbranch_scc0 .LBB182_2624
; %bb.2592:
	s_cmp_gt_i32 s3, 28
	s_cbranch_scc0 .LBB182_2607
; %bb.2593:
	s_cmp_gt_i32 s3, 43
	;; [unrolled: 3-line block ×3, first 2 shown]
	s_cbranch_scc0 .LBB182_2597
; %bb.2595:
	s_mov_b32 s2, -1
	s_mov_b32 s9, 0
	s_cmp_eq_u32 s3, 46
	s_cbranch_scc0 .LBB182_2597
; %bb.2596:
	v_cndmask_b32_e64 v1, 0, 1.0, s1
	s_mov_b32 s2, 0
	s_mov_b32 s7, -1
	s_delay_alu instid0(VALU_DEP_1) | instskip(NEXT) | instid1(VALU_DEP_1)
	v_bfe_u32 v6, v1, 16, 1
	v_add3_u32 v1, v1, v6, 0x7fff
	s_delay_alu instid0(VALU_DEP_1)
	v_lshrrev_b32_e32 v1, 16, v1
	global_store_b32 v[2:3], v1, off
.LBB182_2597:
	s_and_b32 vcc_lo, exec_lo, s9
	s_cbranch_vccz .LBB182_2602
; %bb.2598:
	s_cmp_eq_u32 s3, 44
	s_mov_b32 s2, -1
	s_cbranch_scc0 .LBB182_2602
; %bb.2599:
	v_cndmask_b32_e64 v7, 0, 1.0, s1
	s_mov_b32 s7, exec_lo
	s_wait_xcnt 0x0
	s_delay_alu instid0(VALU_DEP_1) | instskip(NEXT) | instid1(VALU_DEP_1)
	v_dual_mov_b32 v6, 0xff :: v_dual_lshrrev_b32 v1, 23, v7
	v_cmpx_ne_u32_e32 0xff, v1
; %bb.2600:
	v_and_b32_e32 v6, 0x400000, v7
	v_and_or_b32 v7, 0x3fffff, v7, v1
	s_delay_alu instid0(VALU_DEP_2) | instskip(NEXT) | instid1(VALU_DEP_2)
	v_cmp_ne_u32_e32 vcc_lo, 0, v6
	v_cmp_ne_u32_e64 s2, 0, v7
	s_and_b32 s2, vcc_lo, s2
	s_delay_alu instid0(SALU_CYCLE_1) | instskip(NEXT) | instid1(VALU_DEP_1)
	v_cndmask_b32_e64 v6, 0, 1, s2
	v_add_nc_u32_e32 v6, v1, v6
; %bb.2601:
	s_or_b32 exec_lo, exec_lo, s7
	s_mov_b32 s2, 0
	s_mov_b32 s7, -1
	global_store_b8 v[2:3], v6, off
.LBB182_2602:
	s_mov_b32 s9, 0
.LBB182_2603:
	s_delay_alu instid0(SALU_CYCLE_1)
	s_and_b32 vcc_lo, exec_lo, s9
	s_cbranch_vccz .LBB182_2606
; %bb.2604:
	s_cmp_eq_u32 s3, 29
	s_mov_b32 s2, -1
	s_cbranch_scc0 .LBB182_2606
; %bb.2605:
	s_mov_b32 s2, 0
	s_wait_xcnt 0x0
	v_cndmask_b32_e64 v6, 0, 1, s1
	v_mov_b32_e32 v7, s2
	s_mov_b32 s7, -1
	global_store_b64 v[2:3], v[6:7], off
.LBB182_2606:
	s_mov_b32 s9, 0
.LBB182_2607:
	s_delay_alu instid0(SALU_CYCLE_1)
	s_and_b32 vcc_lo, exec_lo, s9
	s_cbranch_vccz .LBB182_2623
; %bb.2608:
	s_cmp_lt_i32 s3, 27
	s_mov_b32 s7, -1
	s_cbranch_scc1 .LBB182_2614
; %bb.2609:
	s_cmp_gt_i32 s3, 27
	s_cbranch_scc0 .LBB182_2611
; %bb.2610:
	s_wait_xcnt 0x0
	v_cndmask_b32_e64 v1, 0, 1, s1
	s_mov_b32 s7, 0
	global_store_b32 v[2:3], v1, off
.LBB182_2611:
	s_and_not1_b32 vcc_lo, exec_lo, s7
	s_cbranch_vccnz .LBB182_2613
; %bb.2612:
	s_wait_xcnt 0x0
	v_cndmask_b32_e64 v1, 0, 1, s1
	global_store_b16 v[2:3], v1, off
.LBB182_2613:
	s_mov_b32 s7, 0
.LBB182_2614:
	s_delay_alu instid0(SALU_CYCLE_1)
	s_and_not1_b32 vcc_lo, exec_lo, s7
	s_cbranch_vccnz .LBB182_2622
; %bb.2615:
	s_wait_xcnt 0x0
	v_cndmask_b32_e64 v6, 0, 1.0, s1
	v_mov_b32_e32 v7, 0x80
	s_mov_b32 s7, exec_lo
	s_delay_alu instid0(VALU_DEP_2)
	v_cmpx_gt_u32_e32 0x43800000, v6
	s_cbranch_execz .LBB182_2621
; %bb.2616:
	s_mov_b32 s9, 0
	s_mov_b32 s10, exec_lo
                                        ; implicit-def: $vgpr1
	v_cmpx_lt_u32_e32 0x3bffffff, v6
	s_xor_b32 s10, exec_lo, s10
	s_cbranch_execz .LBB182_3069
; %bb.2617:
	v_bfe_u32 v1, v6, 20, 1
	s_mov_b32 s9, exec_lo
	s_delay_alu instid0(VALU_DEP_1) | instskip(NEXT) | instid1(VALU_DEP_1)
	v_add3_u32 v1, v6, v1, 0x487ffff
                                        ; implicit-def: $vgpr6
	v_lshrrev_b32_e32 v1, 20, v1
	s_and_not1_saveexec_b32 s10, s10
	s_cbranch_execnz .LBB182_3070
.LBB182_2618:
	s_or_b32 exec_lo, exec_lo, s10
	v_mov_b32_e32 v7, 0
	s_and_saveexec_b32 s10, s9
.LBB182_2619:
	v_mov_b32_e32 v7, v1
.LBB182_2620:
	s_or_b32 exec_lo, exec_lo, s10
.LBB182_2621:
	s_delay_alu instid0(SALU_CYCLE_1)
	s_or_b32 exec_lo, exec_lo, s7
	global_store_b8 v[2:3], v7, off
.LBB182_2622:
	s_mov_b32 s7, -1
.LBB182_2623:
	s_mov_b32 s9, 0
.LBB182_2624:
	s_delay_alu instid0(SALU_CYCLE_1)
	s_and_b32 vcc_lo, exec_lo, s9
	s_cbranch_vccz .LBB182_2664
; %bb.2625:
	s_cmp_gt_i32 s3, 22
	s_mov_b32 s6, -1
	s_cbranch_scc0 .LBB182_2657
; %bb.2626:
	s_cmp_lt_i32 s3, 24
	s_cbranch_scc1 .LBB182_2646
; %bb.2627:
	s_cmp_gt_i32 s3, 24
	s_cbranch_scc0 .LBB182_2635
; %bb.2628:
	s_wait_xcnt 0x0
	v_cndmask_b32_e64 v6, 0, 1.0, s1
	v_mov_b32_e32 v7, 0x80
	s_mov_b32 s6, exec_lo
	s_delay_alu instid0(VALU_DEP_2)
	v_cmpx_gt_u32_e32 0x47800000, v6
	s_cbranch_execz .LBB182_2634
; %bb.2629:
	s_mov_b32 s7, 0
	s_mov_b32 s9, exec_lo
                                        ; implicit-def: $vgpr1
	v_cmpx_lt_u32_e32 0x37ffffff, v6
	s_xor_b32 s9, exec_lo, s9
	s_cbranch_execz .LBB182_3072
; %bb.2630:
	v_bfe_u32 v1, v6, 21, 1
	s_mov_b32 s7, exec_lo
	s_delay_alu instid0(VALU_DEP_1) | instskip(NEXT) | instid1(VALU_DEP_1)
	v_add3_u32 v1, v6, v1, 0x88fffff
                                        ; implicit-def: $vgpr6
	v_lshrrev_b32_e32 v1, 21, v1
	s_and_not1_saveexec_b32 s9, s9
	s_cbranch_execnz .LBB182_3073
.LBB182_2631:
	s_or_b32 exec_lo, exec_lo, s9
	v_mov_b32_e32 v7, 0
	s_and_saveexec_b32 s9, s7
.LBB182_2632:
	v_mov_b32_e32 v7, v1
.LBB182_2633:
	s_or_b32 exec_lo, exec_lo, s9
.LBB182_2634:
	s_delay_alu instid0(SALU_CYCLE_1)
	s_or_b32 exec_lo, exec_lo, s6
	s_mov_b32 s6, 0
	global_store_b8 v[2:3], v7, off
.LBB182_2635:
	s_and_b32 vcc_lo, exec_lo, s6
	s_cbranch_vccz .LBB182_2645
; %bb.2636:
	s_wait_xcnt 0x0
	v_cndmask_b32_e64 v6, 0, 1.0, s1
	s_mov_b32 s6, exec_lo
                                        ; implicit-def: $vgpr1
	s_delay_alu instid0(VALU_DEP_1)
	v_cmpx_gt_u32_e32 0x43f00000, v6
	s_xor_b32 s6, exec_lo, s6
	s_cbranch_execz .LBB182_2642
; %bb.2637:
	s_mov_b32 s7, exec_lo
                                        ; implicit-def: $vgpr1
	v_cmpx_lt_u32_e32 0x3c7fffff, v6
	s_xor_b32 s7, exec_lo, s7
; %bb.2638:
	v_bfe_u32 v1, v6, 20, 1
	s_delay_alu instid0(VALU_DEP_1) | instskip(NEXT) | instid1(VALU_DEP_1)
	v_add3_u32 v1, v6, v1, 0x407ffff
	v_and_b32_e32 v6, 0xff00000, v1
	v_lshrrev_b32_e32 v1, 20, v1
	s_delay_alu instid0(VALU_DEP_2) | instskip(NEXT) | instid1(VALU_DEP_2)
	v_cmp_ne_u32_e32 vcc_lo, 0x7f00000, v6
                                        ; implicit-def: $vgpr6
	v_cndmask_b32_e32 v1, 0x7e, v1, vcc_lo
; %bb.2639:
	s_and_not1_saveexec_b32 s7, s7
; %bb.2640:
	v_add_f32_e32 v1, 0x46800000, v6
; %bb.2641:
	s_or_b32 exec_lo, exec_lo, s7
                                        ; implicit-def: $vgpr6
.LBB182_2642:
	s_and_not1_saveexec_b32 s6, s6
; %bb.2643:
	v_mov_b32_e32 v1, 0x7f
	v_cmp_lt_u32_e32 vcc_lo, 0x7f800000, v6
	s_delay_alu instid0(VALU_DEP_2)
	v_cndmask_b32_e32 v1, 0x7e, v1, vcc_lo
; %bb.2644:
	s_or_b32 exec_lo, exec_lo, s6
	global_store_b8 v[2:3], v1, off
.LBB182_2645:
	s_mov_b32 s6, 0
.LBB182_2646:
	s_delay_alu instid0(SALU_CYCLE_1)
	s_and_not1_b32 vcc_lo, exec_lo, s6
	s_cbranch_vccnz .LBB182_2656
; %bb.2647:
	s_wait_xcnt 0x0
	v_cndmask_b32_e64 v6, 0, 1.0, s1
	s_mov_b32 s6, exec_lo
                                        ; implicit-def: $vgpr1
	s_delay_alu instid0(VALU_DEP_1)
	v_cmpx_gt_u32_e32 0x47800000, v6
	s_xor_b32 s6, exec_lo, s6
	s_cbranch_execz .LBB182_2653
; %bb.2648:
	s_mov_b32 s7, exec_lo
                                        ; implicit-def: $vgpr1
	v_cmpx_lt_u32_e32 0x387fffff, v6
	s_xor_b32 s7, exec_lo, s7
; %bb.2649:
	v_bfe_u32 v1, v6, 21, 1
	s_delay_alu instid0(VALU_DEP_1) | instskip(NEXT) | instid1(VALU_DEP_1)
	v_add3_u32 v1, v6, v1, 0x80fffff
                                        ; implicit-def: $vgpr6
	v_lshrrev_b32_e32 v1, 21, v1
; %bb.2650:
	s_and_not1_saveexec_b32 s7, s7
; %bb.2651:
	v_add_f32_e32 v1, 0x43000000, v6
; %bb.2652:
	s_or_b32 exec_lo, exec_lo, s7
                                        ; implicit-def: $vgpr6
.LBB182_2653:
	s_and_not1_saveexec_b32 s6, s6
; %bb.2654:
	v_mov_b32_e32 v1, 0x7f
	v_cmp_lt_u32_e32 vcc_lo, 0x7f800000, v6
	s_delay_alu instid0(VALU_DEP_2)
	v_cndmask_b32_e32 v1, 0x7c, v1, vcc_lo
; %bb.2655:
	s_or_b32 exec_lo, exec_lo, s6
	global_store_b8 v[2:3], v1, off
.LBB182_2656:
	s_mov_b32 s6, 0
	s_mov_b32 s7, -1
.LBB182_2657:
	s_and_not1_b32 vcc_lo, exec_lo, s6
	s_mov_b32 s6, 0
	s_cbranch_vccnz .LBB182_2664
; %bb.2658:
	s_cmp_gt_i32 s3, 14
	s_mov_b32 s6, -1
	s_cbranch_scc0 .LBB182_2662
; %bb.2659:
	s_cmp_eq_u32 s3, 15
	s_mov_b32 s2, -1
	s_cbranch_scc0 .LBB182_2661
; %bb.2660:
	s_wait_xcnt 0x0
	v_cndmask_b32_e64 v1, 0, 1.0, s1
	s_mov_b32 s2, 0
	s_mov_b32 s7, -1
	s_delay_alu instid0(VALU_DEP_1) | instskip(NEXT) | instid1(VALU_DEP_1)
	v_bfe_u32 v6, v1, 16, 1
	v_add3_u32 v1, v1, v6, 0x7fff
	global_store_d16_hi_b16 v[2:3], v1, off
.LBB182_2661:
	s_mov_b32 s6, 0
.LBB182_2662:
	s_delay_alu instid0(SALU_CYCLE_1)
	s_and_b32 vcc_lo, exec_lo, s6
	s_mov_b32 s6, 0
	s_cbranch_vccz .LBB182_2664
; %bb.2663:
	s_cmp_lg_u32 s3, 11
	s_mov_b32 s6, -1
	s_cselect_b32 s2, -1, 0
.LBB182_2664:
	s_delay_alu instid0(SALU_CYCLE_1)
	s_and_b32 vcc_lo, exec_lo, s2
	s_cbranch_vccnz .LBB182_3071
; %bb.2665:
	s_and_not1_b32 vcc_lo, exec_lo, s6
	s_cbranch_vccnz .LBB182_2667
.LBB182_2666:
	s_wait_xcnt 0x0
	v_cndmask_b32_e64 v1, 0, 1, s1
	s_mov_b32 s7, -1
	global_store_b8 v[2:3], v1, off
.LBB182_2667:
.LBB182_2668:
	s_and_not1_b32 vcc_lo, exec_lo, s7
	s_cbranch_vccnz .LBB182_3022
	s_branch .LBB182_2708
.LBB182_2669:
	s_and_b32 vcc_lo, exec_lo, s2
	s_cbranch_vccz .LBB182_2668
; %bb.2670:
	s_and_b32 s2, 0xffff, s19
	s_mov_b32 s3, -1
	s_cmp_lt_i32 s2, 5
	s_cbranch_scc1 .LBB182_2691
; %bb.2671:
	s_cmp_lt_i32 s2, 8
	s_cbranch_scc1 .LBB182_2681
; %bb.2672:
	;; [unrolled: 3-line block ×3, first 2 shown]
	s_cmp_gt_i32 s2, 9
	s_cbranch_scc0 .LBB182_2675
; %bb.2674:
	s_wait_xcnt 0x0
	v_cndmask_b32_e64 v1, 0, 1, s1
	v_mov_b32_e32 v16, 0
	s_mov_b32 s3, 0
	s_delay_alu instid0(VALU_DEP_2) | instskip(NEXT) | instid1(VALU_DEP_2)
	v_cvt_f64_u32_e32 v[14:15], v1
	v_mov_b32_e32 v17, v16
	global_store_b128 v[2:3], v[14:17], off
.LBB182_2675:
	s_and_not1_b32 vcc_lo, exec_lo, s3
	s_cbranch_vccnz .LBB182_2677
; %bb.2676:
	s_wait_xcnt 0x0
	v_cndmask_b32_e64 v6, 0, 1.0, s1
	v_mov_b32_e32 v7, 0
	global_store_b64 v[2:3], v[6:7], off
.LBB182_2677:
	s_mov_b32 s3, 0
.LBB182_2678:
	s_delay_alu instid0(SALU_CYCLE_1)
	s_and_not1_b32 vcc_lo, exec_lo, s3
	s_cbranch_vccnz .LBB182_2680
; %bb.2679:
	s_wait_xcnt 0x0
	v_cndmask_b32_e64 v1, 0, 1.0, s1
	s_delay_alu instid0(VALU_DEP_1) | instskip(NEXT) | instid1(VALU_DEP_1)
	v_cvt_f16_f32_e32 v1, v1
	v_and_b32_e32 v1, 0xffff, v1
	global_store_b32 v[2:3], v1, off
.LBB182_2680:
	s_mov_b32 s3, 0
.LBB182_2681:
	s_delay_alu instid0(SALU_CYCLE_1)
	s_and_not1_b32 vcc_lo, exec_lo, s3
	s_cbranch_vccnz .LBB182_2690
; %bb.2682:
	s_cmp_lt_i32 s2, 6
	s_mov_b32 s3, -1
	s_cbranch_scc1 .LBB182_2688
; %bb.2683:
	s_cmp_gt_i32 s2, 6
	s_cbranch_scc0 .LBB182_2685
; %bb.2684:
	s_wait_xcnt 0x0
	v_cndmask_b32_e64 v1, 0, 1, s1
	s_mov_b32 s3, 0
	s_delay_alu instid0(VALU_DEP_1)
	v_cvt_f64_u32_e32 v[6:7], v1
	global_store_b64 v[2:3], v[6:7], off
.LBB182_2685:
	s_and_not1_b32 vcc_lo, exec_lo, s3
	s_cbranch_vccnz .LBB182_2687
; %bb.2686:
	s_wait_xcnt 0x0
	v_cndmask_b32_e64 v1, 0, 1.0, s1
	global_store_b32 v[2:3], v1, off
.LBB182_2687:
	s_mov_b32 s3, 0
.LBB182_2688:
	s_delay_alu instid0(SALU_CYCLE_1)
	s_and_not1_b32 vcc_lo, exec_lo, s3
	s_cbranch_vccnz .LBB182_2690
; %bb.2689:
	s_wait_xcnt 0x0
	v_cndmask_b32_e64 v1, 0, 1.0, s1
	s_delay_alu instid0(VALU_DEP_1)
	v_cvt_f16_f32_e32 v1, v1
	global_store_b16 v[2:3], v1, off
.LBB182_2690:
	s_mov_b32 s3, 0
.LBB182_2691:
	s_delay_alu instid0(SALU_CYCLE_1)
	s_and_not1_b32 vcc_lo, exec_lo, s3
	s_cbranch_vccnz .LBB182_2707
; %bb.2692:
	s_cmp_lt_i32 s2, 2
	s_mov_b32 s3, -1
	s_cbranch_scc1 .LBB182_2702
; %bb.2693:
	s_cmp_lt_i32 s2, 3
	s_cbranch_scc1 .LBB182_2699
; %bb.2694:
	s_cmp_gt_i32 s2, 3
	s_cbranch_scc0 .LBB182_2696
; %bb.2695:
	s_mov_b32 s3, 0
	s_wait_xcnt 0x0
	v_cndmask_b32_e64 v6, 0, 1, s1
	v_mov_b32_e32 v7, s3
	global_store_b64 v[2:3], v[6:7], off
.LBB182_2696:
	s_and_not1_b32 vcc_lo, exec_lo, s3
	s_cbranch_vccnz .LBB182_2698
; %bb.2697:
	s_wait_xcnt 0x0
	v_cndmask_b32_e64 v1, 0, 1, s1
	global_store_b32 v[2:3], v1, off
.LBB182_2698:
	s_mov_b32 s3, 0
.LBB182_2699:
	s_delay_alu instid0(SALU_CYCLE_1)
	s_and_not1_b32 vcc_lo, exec_lo, s3
	s_cbranch_vccnz .LBB182_2701
; %bb.2700:
	s_wait_xcnt 0x0
	v_cndmask_b32_e64 v1, 0, 1, s1
	global_store_b16 v[2:3], v1, off
.LBB182_2701:
	s_mov_b32 s3, 0
.LBB182_2702:
	s_delay_alu instid0(SALU_CYCLE_1)
	s_and_not1_b32 vcc_lo, exec_lo, s3
	s_cbranch_vccnz .LBB182_2707
; %bb.2703:
	s_wait_xcnt 0x0
	v_cndmask_b32_e64 v1, 0, 1, s1
	s_cmp_gt_i32 s2, 0
	s_mov_b32 s1, -1
	s_cbranch_scc0 .LBB182_2705
; %bb.2704:
	s_mov_b32 s1, 0
	global_store_b8 v[2:3], v1, off
.LBB182_2705:
	s_and_not1_b32 vcc_lo, exec_lo, s1
	s_cbranch_vccnz .LBB182_2707
; %bb.2706:
	global_store_b8 v[2:3], v1, off
.LBB182_2707:
.LBB182_2708:
	v_cmp_eq_f16_e32 vcc_lo, v9, v10
	s_lshl_b32 s3, s8, 7
	s_cmp_lt_i32 s19, 11
	s_wait_xcnt 0x0
	v_cndmask_b32_e64 v1, 0, 1, vcc_lo
	v_cmp_neq_f16_e32 vcc_lo, v9, v10
	v_cndmask_b32_e64 v2, 0, 1, vcc_lo
	s_delay_alu instid0(VALU_DEP_1) | instskip(NEXT) | instid1(VALU_DEP_1)
	v_dual_add_nc_u32 v0, s3, v0 :: v_dual_cndmask_b32 v2, v2, v1, s0
	v_dual_ashrrev_i32 v1, 31, v0 :: v_dual_bitop2_b32 v6, 1, v2 bitop3:0x40
	s_delay_alu instid0(VALU_DEP_1) | instskip(NEXT) | instid1(VALU_DEP_2)
	v_add_nc_u64_e32 v[2:3], s[4:5], v[0:1]
	v_cmp_eq_u32_e64 s1, 1, v6
	s_cbranch_scc1 .LBB182_2786
; %bb.2709:
	s_and_b32 s6, 0xffff, s19
	s_mov_b32 s9, -1
	s_mov_b32 s7, 0
	s_cmp_gt_i32 s6, 25
	s_mov_b32 s8, 0
	s_mov_b32 s2, 0
	s_cbranch_scc0 .LBB182_2742
; %bb.2710:
	s_cmp_gt_i32 s6, 28
	s_cbranch_scc0 .LBB182_2725
; %bb.2711:
	s_cmp_gt_i32 s6, 43
	;; [unrolled: 3-line block ×3, first 2 shown]
	s_cbranch_scc0 .LBB182_2715
; %bb.2713:
	s_mov_b32 s2, -1
	s_mov_b32 s9, 0
	s_cmp_eq_u32 s6, 46
	s_cbranch_scc0 .LBB182_2715
; %bb.2714:
	v_cndmask_b32_e64 v1, 0, 1.0, s1
	s_mov_b32 s2, 0
	s_mov_b32 s8, -1
	s_delay_alu instid0(VALU_DEP_1) | instskip(NEXT) | instid1(VALU_DEP_1)
	v_bfe_u32 v6, v1, 16, 1
	v_add3_u32 v1, v1, v6, 0x7fff
	s_delay_alu instid0(VALU_DEP_1)
	v_lshrrev_b32_e32 v1, 16, v1
	global_store_b32 v[2:3], v1, off
.LBB182_2715:
	s_and_b32 vcc_lo, exec_lo, s9
	s_cbranch_vccz .LBB182_2720
; %bb.2716:
	s_cmp_eq_u32 s6, 44
	s_mov_b32 s2, -1
	s_cbranch_scc0 .LBB182_2720
; %bb.2717:
	v_cndmask_b32_e64 v7, 0, 1.0, s1
	s_mov_b32 s8, exec_lo
	s_wait_xcnt 0x0
	s_delay_alu instid0(VALU_DEP_1) | instskip(NEXT) | instid1(VALU_DEP_1)
	v_dual_mov_b32 v6, 0xff :: v_dual_lshrrev_b32 v1, 23, v7
	v_cmpx_ne_u32_e32 0xff, v1
; %bb.2718:
	v_and_b32_e32 v6, 0x400000, v7
	v_and_or_b32 v7, 0x3fffff, v7, v1
	s_delay_alu instid0(VALU_DEP_2) | instskip(NEXT) | instid1(VALU_DEP_2)
	v_cmp_ne_u32_e32 vcc_lo, 0, v6
	v_cmp_ne_u32_e64 s2, 0, v7
	s_and_b32 s2, vcc_lo, s2
	s_delay_alu instid0(SALU_CYCLE_1) | instskip(NEXT) | instid1(VALU_DEP_1)
	v_cndmask_b32_e64 v6, 0, 1, s2
	v_add_nc_u32_e32 v6, v1, v6
; %bb.2719:
	s_or_b32 exec_lo, exec_lo, s8
	s_mov_b32 s2, 0
	s_mov_b32 s8, -1
	global_store_b8 v[2:3], v6, off
.LBB182_2720:
	s_mov_b32 s9, 0
.LBB182_2721:
	s_delay_alu instid0(SALU_CYCLE_1)
	s_and_b32 vcc_lo, exec_lo, s9
	s_cbranch_vccz .LBB182_2724
; %bb.2722:
	s_cmp_eq_u32 s6, 29
	s_mov_b32 s2, -1
	s_cbranch_scc0 .LBB182_2724
; %bb.2723:
	s_mov_b32 s2, 0
	s_wait_xcnt 0x0
	v_cndmask_b32_e64 v6, 0, 1, s1
	v_mov_b32_e32 v7, s2
	s_mov_b32 s8, -1
	global_store_b64 v[2:3], v[6:7], off
.LBB182_2724:
	s_mov_b32 s9, 0
.LBB182_2725:
	s_delay_alu instid0(SALU_CYCLE_1)
	s_and_b32 vcc_lo, exec_lo, s9
	s_cbranch_vccz .LBB182_2741
; %bb.2726:
	s_cmp_lt_i32 s6, 27
	s_mov_b32 s8, -1
	s_cbranch_scc1 .LBB182_2732
; %bb.2727:
	s_cmp_gt_i32 s6, 27
	s_cbranch_scc0 .LBB182_2729
; %bb.2728:
	s_wait_xcnt 0x0
	v_cndmask_b32_e64 v1, 0, 1, s1
	s_mov_b32 s8, 0
	global_store_b32 v[2:3], v1, off
.LBB182_2729:
	s_and_not1_b32 vcc_lo, exec_lo, s8
	s_cbranch_vccnz .LBB182_2731
; %bb.2730:
	s_wait_xcnt 0x0
	v_cndmask_b32_e64 v1, 0, 1, s1
	global_store_b16 v[2:3], v1, off
.LBB182_2731:
	s_mov_b32 s8, 0
.LBB182_2732:
	s_delay_alu instid0(SALU_CYCLE_1)
	s_and_not1_b32 vcc_lo, exec_lo, s8
	s_cbranch_vccnz .LBB182_2740
; %bb.2733:
	s_wait_xcnt 0x0
	v_cndmask_b32_e64 v6, 0, 1.0, s1
	v_mov_b32_e32 v7, 0x80
	s_mov_b32 s8, exec_lo
	s_delay_alu instid0(VALU_DEP_2)
	v_cmpx_gt_u32_e32 0x43800000, v6
	s_cbranch_execz .LBB182_2739
; %bb.2734:
	s_mov_b32 s9, 0
	s_mov_b32 s10, exec_lo
                                        ; implicit-def: $vgpr1
	v_cmpx_lt_u32_e32 0x3bffffff, v6
	s_xor_b32 s10, exec_lo, s10
	s_cbranch_execz .LBB182_3074
; %bb.2735:
	v_bfe_u32 v1, v6, 20, 1
	s_mov_b32 s9, exec_lo
	s_delay_alu instid0(VALU_DEP_1) | instskip(NEXT) | instid1(VALU_DEP_1)
	v_add3_u32 v1, v6, v1, 0x487ffff
                                        ; implicit-def: $vgpr6
	v_lshrrev_b32_e32 v1, 20, v1
	s_and_not1_saveexec_b32 s10, s10
	s_cbranch_execnz .LBB182_3075
.LBB182_2736:
	s_or_b32 exec_lo, exec_lo, s10
	v_mov_b32_e32 v7, 0
	s_and_saveexec_b32 s10, s9
.LBB182_2737:
	v_mov_b32_e32 v7, v1
.LBB182_2738:
	s_or_b32 exec_lo, exec_lo, s10
.LBB182_2739:
	s_delay_alu instid0(SALU_CYCLE_1)
	s_or_b32 exec_lo, exec_lo, s8
	global_store_b8 v[2:3], v7, off
.LBB182_2740:
	s_mov_b32 s8, -1
.LBB182_2741:
	s_mov_b32 s9, 0
.LBB182_2742:
	s_delay_alu instid0(SALU_CYCLE_1)
	s_and_b32 vcc_lo, exec_lo, s9
	s_cbranch_vccz .LBB182_2782
; %bb.2743:
	s_cmp_gt_i32 s6, 22
	s_mov_b32 s7, -1
	s_cbranch_scc0 .LBB182_2775
; %bb.2744:
	s_cmp_lt_i32 s6, 24
	s_cbranch_scc1 .LBB182_2764
; %bb.2745:
	s_cmp_gt_i32 s6, 24
	s_cbranch_scc0 .LBB182_2753
; %bb.2746:
	s_wait_xcnt 0x0
	v_cndmask_b32_e64 v6, 0, 1.0, s1
	v_mov_b32_e32 v7, 0x80
	s_mov_b32 s7, exec_lo
	s_delay_alu instid0(VALU_DEP_2)
	v_cmpx_gt_u32_e32 0x47800000, v6
	s_cbranch_execz .LBB182_2752
; %bb.2747:
	s_mov_b32 s8, 0
	s_mov_b32 s9, exec_lo
                                        ; implicit-def: $vgpr1
	v_cmpx_lt_u32_e32 0x37ffffff, v6
	s_xor_b32 s9, exec_lo, s9
	s_cbranch_execz .LBB182_3077
; %bb.2748:
	v_bfe_u32 v1, v6, 21, 1
	s_mov_b32 s8, exec_lo
	s_delay_alu instid0(VALU_DEP_1) | instskip(NEXT) | instid1(VALU_DEP_1)
	v_add3_u32 v1, v6, v1, 0x88fffff
                                        ; implicit-def: $vgpr6
	v_lshrrev_b32_e32 v1, 21, v1
	s_and_not1_saveexec_b32 s9, s9
	s_cbranch_execnz .LBB182_3078
.LBB182_2749:
	s_or_b32 exec_lo, exec_lo, s9
	v_mov_b32_e32 v7, 0
	s_and_saveexec_b32 s9, s8
.LBB182_2750:
	v_mov_b32_e32 v7, v1
.LBB182_2751:
	s_or_b32 exec_lo, exec_lo, s9
.LBB182_2752:
	s_delay_alu instid0(SALU_CYCLE_1)
	s_or_b32 exec_lo, exec_lo, s7
	s_mov_b32 s7, 0
	global_store_b8 v[2:3], v7, off
.LBB182_2753:
	s_and_b32 vcc_lo, exec_lo, s7
	s_cbranch_vccz .LBB182_2763
; %bb.2754:
	s_wait_xcnt 0x0
	v_cndmask_b32_e64 v6, 0, 1.0, s1
	s_mov_b32 s7, exec_lo
                                        ; implicit-def: $vgpr1
	s_delay_alu instid0(VALU_DEP_1)
	v_cmpx_gt_u32_e32 0x43f00000, v6
	s_xor_b32 s7, exec_lo, s7
	s_cbranch_execz .LBB182_2760
; %bb.2755:
	s_mov_b32 s8, exec_lo
                                        ; implicit-def: $vgpr1
	v_cmpx_lt_u32_e32 0x3c7fffff, v6
	s_xor_b32 s8, exec_lo, s8
; %bb.2756:
	v_bfe_u32 v1, v6, 20, 1
	s_delay_alu instid0(VALU_DEP_1) | instskip(NEXT) | instid1(VALU_DEP_1)
	v_add3_u32 v1, v6, v1, 0x407ffff
	v_and_b32_e32 v6, 0xff00000, v1
	v_lshrrev_b32_e32 v1, 20, v1
	s_delay_alu instid0(VALU_DEP_2) | instskip(NEXT) | instid1(VALU_DEP_2)
	v_cmp_ne_u32_e32 vcc_lo, 0x7f00000, v6
                                        ; implicit-def: $vgpr6
	v_cndmask_b32_e32 v1, 0x7e, v1, vcc_lo
; %bb.2757:
	s_and_not1_saveexec_b32 s8, s8
; %bb.2758:
	v_add_f32_e32 v1, 0x46800000, v6
; %bb.2759:
	s_or_b32 exec_lo, exec_lo, s8
                                        ; implicit-def: $vgpr6
.LBB182_2760:
	s_and_not1_saveexec_b32 s7, s7
; %bb.2761:
	v_mov_b32_e32 v1, 0x7f
	v_cmp_lt_u32_e32 vcc_lo, 0x7f800000, v6
	s_delay_alu instid0(VALU_DEP_2)
	v_cndmask_b32_e32 v1, 0x7e, v1, vcc_lo
; %bb.2762:
	s_or_b32 exec_lo, exec_lo, s7
	global_store_b8 v[2:3], v1, off
.LBB182_2763:
	s_mov_b32 s7, 0
.LBB182_2764:
	s_delay_alu instid0(SALU_CYCLE_1)
	s_and_not1_b32 vcc_lo, exec_lo, s7
	s_cbranch_vccnz .LBB182_2774
; %bb.2765:
	s_wait_xcnt 0x0
	v_cndmask_b32_e64 v6, 0, 1.0, s1
	s_mov_b32 s7, exec_lo
                                        ; implicit-def: $vgpr1
	s_delay_alu instid0(VALU_DEP_1)
	v_cmpx_gt_u32_e32 0x47800000, v6
	s_xor_b32 s7, exec_lo, s7
	s_cbranch_execz .LBB182_2771
; %bb.2766:
	s_mov_b32 s8, exec_lo
                                        ; implicit-def: $vgpr1
	v_cmpx_lt_u32_e32 0x387fffff, v6
	s_xor_b32 s8, exec_lo, s8
; %bb.2767:
	v_bfe_u32 v1, v6, 21, 1
	s_delay_alu instid0(VALU_DEP_1) | instskip(NEXT) | instid1(VALU_DEP_1)
	v_add3_u32 v1, v6, v1, 0x80fffff
                                        ; implicit-def: $vgpr6
	v_lshrrev_b32_e32 v1, 21, v1
; %bb.2768:
	s_and_not1_saveexec_b32 s8, s8
; %bb.2769:
	v_add_f32_e32 v1, 0x43000000, v6
; %bb.2770:
	s_or_b32 exec_lo, exec_lo, s8
                                        ; implicit-def: $vgpr6
.LBB182_2771:
	s_and_not1_saveexec_b32 s7, s7
; %bb.2772:
	v_mov_b32_e32 v1, 0x7f
	v_cmp_lt_u32_e32 vcc_lo, 0x7f800000, v6
	s_delay_alu instid0(VALU_DEP_2)
	v_cndmask_b32_e32 v1, 0x7c, v1, vcc_lo
; %bb.2773:
	s_or_b32 exec_lo, exec_lo, s7
	global_store_b8 v[2:3], v1, off
.LBB182_2774:
	s_mov_b32 s7, 0
	s_mov_b32 s8, -1
.LBB182_2775:
	s_and_not1_b32 vcc_lo, exec_lo, s7
	s_mov_b32 s7, 0
	s_cbranch_vccnz .LBB182_2782
; %bb.2776:
	s_cmp_gt_i32 s6, 14
	s_mov_b32 s7, -1
	s_cbranch_scc0 .LBB182_2780
; %bb.2777:
	s_cmp_eq_u32 s6, 15
	s_mov_b32 s2, -1
	s_cbranch_scc0 .LBB182_2779
; %bb.2778:
	s_wait_xcnt 0x0
	v_cndmask_b32_e64 v1, 0, 1.0, s1
	s_mov_b32 s2, 0
	s_mov_b32 s8, -1
	s_delay_alu instid0(VALU_DEP_1) | instskip(NEXT) | instid1(VALU_DEP_1)
	v_bfe_u32 v6, v1, 16, 1
	v_add3_u32 v1, v1, v6, 0x7fff
	global_store_d16_hi_b16 v[2:3], v1, off
.LBB182_2779:
	s_mov_b32 s7, 0
.LBB182_2780:
	s_delay_alu instid0(SALU_CYCLE_1)
	s_and_b32 vcc_lo, exec_lo, s7
	s_mov_b32 s7, 0
	s_cbranch_vccz .LBB182_2782
; %bb.2781:
	s_cmp_lg_u32 s6, 11
	s_mov_b32 s7, -1
	s_cselect_b32 s2, -1, 0
.LBB182_2782:
	s_delay_alu instid0(SALU_CYCLE_1)
	s_and_b32 vcc_lo, exec_lo, s2
	s_cbranch_vccnz .LBB182_3076
; %bb.2783:
	s_and_not1_b32 vcc_lo, exec_lo, s7
	s_cbranch_vccnz .LBB182_2785
.LBB182_2784:
	s_wait_xcnt 0x0
	v_cndmask_b32_e64 v1, 0, 1, s1
	s_mov_b32 s8, -1
	global_store_b8 v[2:3], v1, off
.LBB182_2785:
	s_mov_b32 s2, 0
	s_branch .LBB182_2787
.LBB182_2786:
	s_mov_b32 s2, -1
	s_mov_b32 s8, 0
.LBB182_2787:
	s_and_b32 vcc_lo, exec_lo, s2
	s_cbranch_vccz .LBB182_2826
; %bb.2788:
	s_and_b32 s2, 0xffff, s19
	s_mov_b32 s6, -1
	s_cmp_lt_i32 s2, 5
	s_cbranch_scc1 .LBB182_2809
; %bb.2789:
	s_cmp_lt_i32 s2, 8
	s_cbranch_scc1 .LBB182_2799
; %bb.2790:
	;; [unrolled: 3-line block ×3, first 2 shown]
	s_cmp_gt_i32 s2, 9
	s_cbranch_scc0 .LBB182_2793
; %bb.2792:
	s_wait_xcnt 0x0
	v_cndmask_b32_e64 v1, 0, 1, s1
	v_mov_b32_e32 v8, 0
	s_mov_b32 s6, 0
	s_delay_alu instid0(VALU_DEP_2) | instskip(NEXT) | instid1(VALU_DEP_2)
	v_cvt_f64_u32_e32 v[6:7], v1
	v_mov_b32_e32 v9, v8
	global_store_b128 v[2:3], v[6:9], off
.LBB182_2793:
	s_and_not1_b32 vcc_lo, exec_lo, s6
	s_cbranch_vccnz .LBB182_2795
; %bb.2794:
	s_wait_xcnt 0x0
	v_cndmask_b32_e64 v6, 0, 1.0, s1
	v_mov_b32_e32 v7, 0
	global_store_b64 v[2:3], v[6:7], off
.LBB182_2795:
	s_mov_b32 s6, 0
.LBB182_2796:
	s_delay_alu instid0(SALU_CYCLE_1)
	s_and_not1_b32 vcc_lo, exec_lo, s6
	s_cbranch_vccnz .LBB182_2798
; %bb.2797:
	s_wait_xcnt 0x0
	v_cndmask_b32_e64 v1, 0, 1.0, s1
	s_delay_alu instid0(VALU_DEP_1) | instskip(NEXT) | instid1(VALU_DEP_1)
	v_cvt_f16_f32_e32 v1, v1
	v_and_b32_e32 v1, 0xffff, v1
	global_store_b32 v[2:3], v1, off
.LBB182_2798:
	s_mov_b32 s6, 0
.LBB182_2799:
	s_delay_alu instid0(SALU_CYCLE_1)
	s_and_not1_b32 vcc_lo, exec_lo, s6
	s_cbranch_vccnz .LBB182_2808
; %bb.2800:
	s_cmp_lt_i32 s2, 6
	s_mov_b32 s6, -1
	s_cbranch_scc1 .LBB182_2806
; %bb.2801:
	s_cmp_gt_i32 s2, 6
	s_cbranch_scc0 .LBB182_2803
; %bb.2802:
	s_wait_xcnt 0x0
	v_cndmask_b32_e64 v1, 0, 1, s1
	s_mov_b32 s6, 0
	s_delay_alu instid0(VALU_DEP_1)
	v_cvt_f64_u32_e32 v[6:7], v1
	global_store_b64 v[2:3], v[6:7], off
.LBB182_2803:
	s_and_not1_b32 vcc_lo, exec_lo, s6
	s_cbranch_vccnz .LBB182_2805
; %bb.2804:
	s_wait_xcnt 0x0
	v_cndmask_b32_e64 v1, 0, 1.0, s1
	global_store_b32 v[2:3], v1, off
.LBB182_2805:
	s_mov_b32 s6, 0
.LBB182_2806:
	s_delay_alu instid0(SALU_CYCLE_1)
	s_and_not1_b32 vcc_lo, exec_lo, s6
	s_cbranch_vccnz .LBB182_2808
; %bb.2807:
	s_wait_xcnt 0x0
	v_cndmask_b32_e64 v1, 0, 1.0, s1
	s_delay_alu instid0(VALU_DEP_1)
	v_cvt_f16_f32_e32 v1, v1
	global_store_b16 v[2:3], v1, off
.LBB182_2808:
	s_mov_b32 s6, 0
.LBB182_2809:
	s_delay_alu instid0(SALU_CYCLE_1)
	s_and_not1_b32 vcc_lo, exec_lo, s6
	s_cbranch_vccnz .LBB182_2825
; %bb.2810:
	s_cmp_lt_i32 s2, 2
	s_mov_b32 s6, -1
	s_cbranch_scc1 .LBB182_2820
; %bb.2811:
	s_cmp_lt_i32 s2, 3
	s_cbranch_scc1 .LBB182_2817
; %bb.2812:
	s_cmp_gt_i32 s2, 3
	s_cbranch_scc0 .LBB182_2814
; %bb.2813:
	s_mov_b32 s6, 0
	s_wait_xcnt 0x0
	v_cndmask_b32_e64 v6, 0, 1, s1
	v_mov_b32_e32 v7, s6
	global_store_b64 v[2:3], v[6:7], off
.LBB182_2814:
	s_and_not1_b32 vcc_lo, exec_lo, s6
	s_cbranch_vccnz .LBB182_2816
; %bb.2815:
	s_wait_xcnt 0x0
	v_cndmask_b32_e64 v1, 0, 1, s1
	global_store_b32 v[2:3], v1, off
.LBB182_2816:
	s_mov_b32 s6, 0
.LBB182_2817:
	s_delay_alu instid0(SALU_CYCLE_1)
	s_and_not1_b32 vcc_lo, exec_lo, s6
	s_cbranch_vccnz .LBB182_2819
; %bb.2818:
	s_wait_xcnt 0x0
	v_cndmask_b32_e64 v1, 0, 1, s1
	global_store_b16 v[2:3], v1, off
.LBB182_2819:
	s_mov_b32 s6, 0
.LBB182_2820:
	s_delay_alu instid0(SALU_CYCLE_1)
	s_and_not1_b32 vcc_lo, exec_lo, s6
	s_cbranch_vccnz .LBB182_2825
; %bb.2821:
	s_wait_xcnt 0x0
	v_cndmask_b32_e64 v1, 0, 1, s1
	s_cmp_gt_i32 s2, 0
	s_mov_b32 s1, -1
	s_cbranch_scc0 .LBB182_2823
; %bb.2822:
	s_mov_b32 s1, 0
	global_store_b8 v[2:3], v1, off
.LBB182_2823:
	s_and_not1_b32 vcc_lo, exec_lo, s1
	s_cbranch_vccnz .LBB182_2825
; %bb.2824:
	global_store_b8 v[2:3], v1, off
.LBB182_2825:
	s_mov_b32 s8, -1
.LBB182_2826:
	s_delay_alu instid0(SALU_CYCLE_1)
	s_and_not1_b32 vcc_lo, exec_lo, s8
	s_cbranch_vccnz .LBB182_3022
; %bb.2827:
	v_cmp_eq_f16_e32 vcc_lo, v11, v12
	s_cmp_lt_i32 s19, 11
	s_wait_xcnt 0x0
	v_cndmask_b32_e64 v1, 0, 1, vcc_lo
	v_cmp_neq_f16_e32 vcc_lo, v11, v12
	v_cndmask_b32_e64 v2, 0, 1, vcc_lo
	s_delay_alu instid0(VALU_DEP_1) | instskip(NEXT) | instid1(VALU_DEP_1)
	v_dual_add_nc_u32 v0, s3, v0 :: v_dual_cndmask_b32 v2, v2, v1, s0
	v_dual_ashrrev_i32 v1, 31, v0 :: v_dual_bitop2_b32 v6, 1, v2 bitop3:0x40
	s_delay_alu instid0(VALU_DEP_1) | instskip(NEXT) | instid1(VALU_DEP_2)
	v_add_nc_u64_e32 v[2:3], s[4:5], v[0:1]
	v_cmp_eq_u32_e64 s1, 1, v6
	s_cbranch_scc1 .LBB182_2905
; %bb.2828:
	s_and_b32 s6, 0xffff, s19
	s_mov_b32 s9, -1
	s_mov_b32 s7, 0
	s_cmp_gt_i32 s6, 25
	s_mov_b32 s8, 0
	s_mov_b32 s2, 0
	s_cbranch_scc0 .LBB182_2861
; %bb.2829:
	s_cmp_gt_i32 s6, 28
	s_cbranch_scc0 .LBB182_2844
; %bb.2830:
	s_cmp_gt_i32 s6, 43
	;; [unrolled: 3-line block ×3, first 2 shown]
	s_cbranch_scc0 .LBB182_2834
; %bb.2832:
	s_mov_b32 s2, -1
	s_mov_b32 s9, 0
	s_cmp_eq_u32 s6, 46
	s_cbranch_scc0 .LBB182_2834
; %bb.2833:
	v_cndmask_b32_e64 v1, 0, 1.0, s1
	s_mov_b32 s2, 0
	s_mov_b32 s8, -1
	s_delay_alu instid0(VALU_DEP_1) | instskip(NEXT) | instid1(VALU_DEP_1)
	v_bfe_u32 v6, v1, 16, 1
	v_add3_u32 v1, v1, v6, 0x7fff
	s_delay_alu instid0(VALU_DEP_1)
	v_lshrrev_b32_e32 v1, 16, v1
	global_store_b32 v[2:3], v1, off
.LBB182_2834:
	s_and_b32 vcc_lo, exec_lo, s9
	s_cbranch_vccz .LBB182_2839
; %bb.2835:
	s_cmp_eq_u32 s6, 44
	s_mov_b32 s2, -1
	s_cbranch_scc0 .LBB182_2839
; %bb.2836:
	v_cndmask_b32_e64 v7, 0, 1.0, s1
	s_mov_b32 s8, exec_lo
	s_wait_xcnt 0x0
	s_delay_alu instid0(VALU_DEP_1) | instskip(NEXT) | instid1(VALU_DEP_1)
	v_dual_mov_b32 v6, 0xff :: v_dual_lshrrev_b32 v1, 23, v7
	v_cmpx_ne_u32_e32 0xff, v1
; %bb.2837:
	v_and_b32_e32 v6, 0x400000, v7
	v_and_or_b32 v7, 0x3fffff, v7, v1
	s_delay_alu instid0(VALU_DEP_2) | instskip(NEXT) | instid1(VALU_DEP_2)
	v_cmp_ne_u32_e32 vcc_lo, 0, v6
	v_cmp_ne_u32_e64 s2, 0, v7
	s_and_b32 s2, vcc_lo, s2
	s_delay_alu instid0(SALU_CYCLE_1) | instskip(NEXT) | instid1(VALU_DEP_1)
	v_cndmask_b32_e64 v6, 0, 1, s2
	v_add_nc_u32_e32 v6, v1, v6
; %bb.2838:
	s_or_b32 exec_lo, exec_lo, s8
	s_mov_b32 s2, 0
	s_mov_b32 s8, -1
	global_store_b8 v[2:3], v6, off
.LBB182_2839:
	s_mov_b32 s9, 0
.LBB182_2840:
	s_delay_alu instid0(SALU_CYCLE_1)
	s_and_b32 vcc_lo, exec_lo, s9
	s_cbranch_vccz .LBB182_2843
; %bb.2841:
	s_cmp_eq_u32 s6, 29
	s_mov_b32 s2, -1
	s_cbranch_scc0 .LBB182_2843
; %bb.2842:
	s_mov_b32 s2, 0
	s_wait_xcnt 0x0
	v_cndmask_b32_e64 v6, 0, 1, s1
	v_mov_b32_e32 v7, s2
	s_mov_b32 s8, -1
	global_store_b64 v[2:3], v[6:7], off
.LBB182_2843:
	s_mov_b32 s9, 0
.LBB182_2844:
	s_delay_alu instid0(SALU_CYCLE_1)
	s_and_b32 vcc_lo, exec_lo, s9
	s_cbranch_vccz .LBB182_2860
; %bb.2845:
	s_cmp_lt_i32 s6, 27
	s_mov_b32 s8, -1
	s_cbranch_scc1 .LBB182_2851
; %bb.2846:
	s_cmp_gt_i32 s6, 27
	s_cbranch_scc0 .LBB182_2848
; %bb.2847:
	s_wait_xcnt 0x0
	v_cndmask_b32_e64 v1, 0, 1, s1
	s_mov_b32 s8, 0
	global_store_b32 v[2:3], v1, off
.LBB182_2848:
	s_and_not1_b32 vcc_lo, exec_lo, s8
	s_cbranch_vccnz .LBB182_2850
; %bb.2849:
	s_wait_xcnt 0x0
	v_cndmask_b32_e64 v1, 0, 1, s1
	global_store_b16 v[2:3], v1, off
.LBB182_2850:
	s_mov_b32 s8, 0
.LBB182_2851:
	s_delay_alu instid0(SALU_CYCLE_1)
	s_and_not1_b32 vcc_lo, exec_lo, s8
	s_cbranch_vccnz .LBB182_2859
; %bb.2852:
	s_wait_xcnt 0x0
	v_cndmask_b32_e64 v6, 0, 1.0, s1
	v_mov_b32_e32 v7, 0x80
	s_mov_b32 s8, exec_lo
	s_delay_alu instid0(VALU_DEP_2)
	v_cmpx_gt_u32_e32 0x43800000, v6
	s_cbranch_execz .LBB182_2858
; %bb.2853:
	s_mov_b32 s9, 0
	s_mov_b32 s10, exec_lo
                                        ; implicit-def: $vgpr1
	v_cmpx_lt_u32_e32 0x3bffffff, v6
	s_xor_b32 s10, exec_lo, s10
	s_cbranch_execz .LBB182_3079
; %bb.2854:
	v_bfe_u32 v1, v6, 20, 1
	s_mov_b32 s9, exec_lo
	s_delay_alu instid0(VALU_DEP_1) | instskip(NEXT) | instid1(VALU_DEP_1)
	v_add3_u32 v1, v6, v1, 0x487ffff
                                        ; implicit-def: $vgpr6
	v_lshrrev_b32_e32 v1, 20, v1
	s_and_not1_saveexec_b32 s10, s10
	s_cbranch_execnz .LBB182_3080
.LBB182_2855:
	s_or_b32 exec_lo, exec_lo, s10
	v_mov_b32_e32 v7, 0
	s_and_saveexec_b32 s10, s9
.LBB182_2856:
	v_mov_b32_e32 v7, v1
.LBB182_2857:
	s_or_b32 exec_lo, exec_lo, s10
.LBB182_2858:
	s_delay_alu instid0(SALU_CYCLE_1)
	s_or_b32 exec_lo, exec_lo, s8
	global_store_b8 v[2:3], v7, off
.LBB182_2859:
	s_mov_b32 s8, -1
.LBB182_2860:
	s_mov_b32 s9, 0
.LBB182_2861:
	s_delay_alu instid0(SALU_CYCLE_1)
	s_and_b32 vcc_lo, exec_lo, s9
	s_cbranch_vccz .LBB182_2901
; %bb.2862:
	s_cmp_gt_i32 s6, 22
	s_mov_b32 s7, -1
	s_cbranch_scc0 .LBB182_2894
; %bb.2863:
	s_cmp_lt_i32 s6, 24
	s_cbranch_scc1 .LBB182_2883
; %bb.2864:
	s_cmp_gt_i32 s6, 24
	s_cbranch_scc0 .LBB182_2872
; %bb.2865:
	s_wait_xcnt 0x0
	v_cndmask_b32_e64 v6, 0, 1.0, s1
	v_mov_b32_e32 v7, 0x80
	s_mov_b32 s7, exec_lo
	s_delay_alu instid0(VALU_DEP_2)
	v_cmpx_gt_u32_e32 0x47800000, v6
	s_cbranch_execz .LBB182_2871
; %bb.2866:
	s_mov_b32 s8, 0
	s_mov_b32 s9, exec_lo
                                        ; implicit-def: $vgpr1
	v_cmpx_lt_u32_e32 0x37ffffff, v6
	s_xor_b32 s9, exec_lo, s9
	s_cbranch_execz .LBB182_3082
; %bb.2867:
	v_bfe_u32 v1, v6, 21, 1
	s_mov_b32 s8, exec_lo
	s_delay_alu instid0(VALU_DEP_1) | instskip(NEXT) | instid1(VALU_DEP_1)
	v_add3_u32 v1, v6, v1, 0x88fffff
                                        ; implicit-def: $vgpr6
	v_lshrrev_b32_e32 v1, 21, v1
	s_and_not1_saveexec_b32 s9, s9
	s_cbranch_execnz .LBB182_3083
.LBB182_2868:
	s_or_b32 exec_lo, exec_lo, s9
	v_mov_b32_e32 v7, 0
	s_and_saveexec_b32 s9, s8
.LBB182_2869:
	v_mov_b32_e32 v7, v1
.LBB182_2870:
	s_or_b32 exec_lo, exec_lo, s9
.LBB182_2871:
	s_delay_alu instid0(SALU_CYCLE_1)
	s_or_b32 exec_lo, exec_lo, s7
	s_mov_b32 s7, 0
	global_store_b8 v[2:3], v7, off
.LBB182_2872:
	s_and_b32 vcc_lo, exec_lo, s7
	s_cbranch_vccz .LBB182_2882
; %bb.2873:
	s_wait_xcnt 0x0
	v_cndmask_b32_e64 v6, 0, 1.0, s1
	s_mov_b32 s7, exec_lo
                                        ; implicit-def: $vgpr1
	s_delay_alu instid0(VALU_DEP_1)
	v_cmpx_gt_u32_e32 0x43f00000, v6
	s_xor_b32 s7, exec_lo, s7
	s_cbranch_execz .LBB182_2879
; %bb.2874:
	s_mov_b32 s8, exec_lo
                                        ; implicit-def: $vgpr1
	v_cmpx_lt_u32_e32 0x3c7fffff, v6
	s_xor_b32 s8, exec_lo, s8
; %bb.2875:
	v_bfe_u32 v1, v6, 20, 1
	s_delay_alu instid0(VALU_DEP_1) | instskip(NEXT) | instid1(VALU_DEP_1)
	v_add3_u32 v1, v6, v1, 0x407ffff
	v_and_b32_e32 v6, 0xff00000, v1
	v_lshrrev_b32_e32 v1, 20, v1
	s_delay_alu instid0(VALU_DEP_2) | instskip(NEXT) | instid1(VALU_DEP_2)
	v_cmp_ne_u32_e32 vcc_lo, 0x7f00000, v6
                                        ; implicit-def: $vgpr6
	v_cndmask_b32_e32 v1, 0x7e, v1, vcc_lo
; %bb.2876:
	s_and_not1_saveexec_b32 s8, s8
; %bb.2877:
	v_add_f32_e32 v1, 0x46800000, v6
; %bb.2878:
	s_or_b32 exec_lo, exec_lo, s8
                                        ; implicit-def: $vgpr6
.LBB182_2879:
	s_and_not1_saveexec_b32 s7, s7
; %bb.2880:
	v_mov_b32_e32 v1, 0x7f
	v_cmp_lt_u32_e32 vcc_lo, 0x7f800000, v6
	s_delay_alu instid0(VALU_DEP_2)
	v_cndmask_b32_e32 v1, 0x7e, v1, vcc_lo
; %bb.2881:
	s_or_b32 exec_lo, exec_lo, s7
	global_store_b8 v[2:3], v1, off
.LBB182_2882:
	s_mov_b32 s7, 0
.LBB182_2883:
	s_delay_alu instid0(SALU_CYCLE_1)
	s_and_not1_b32 vcc_lo, exec_lo, s7
	s_cbranch_vccnz .LBB182_2893
; %bb.2884:
	s_wait_xcnt 0x0
	v_cndmask_b32_e64 v6, 0, 1.0, s1
	s_mov_b32 s7, exec_lo
                                        ; implicit-def: $vgpr1
	s_delay_alu instid0(VALU_DEP_1)
	v_cmpx_gt_u32_e32 0x47800000, v6
	s_xor_b32 s7, exec_lo, s7
	s_cbranch_execz .LBB182_2890
; %bb.2885:
	s_mov_b32 s8, exec_lo
                                        ; implicit-def: $vgpr1
	v_cmpx_lt_u32_e32 0x387fffff, v6
	s_xor_b32 s8, exec_lo, s8
; %bb.2886:
	v_bfe_u32 v1, v6, 21, 1
	s_delay_alu instid0(VALU_DEP_1) | instskip(NEXT) | instid1(VALU_DEP_1)
	v_add3_u32 v1, v6, v1, 0x80fffff
                                        ; implicit-def: $vgpr6
	v_lshrrev_b32_e32 v1, 21, v1
; %bb.2887:
	s_and_not1_saveexec_b32 s8, s8
; %bb.2888:
	v_add_f32_e32 v1, 0x43000000, v6
; %bb.2889:
	s_or_b32 exec_lo, exec_lo, s8
                                        ; implicit-def: $vgpr6
.LBB182_2890:
	s_and_not1_saveexec_b32 s7, s7
; %bb.2891:
	v_mov_b32_e32 v1, 0x7f
	v_cmp_lt_u32_e32 vcc_lo, 0x7f800000, v6
	s_delay_alu instid0(VALU_DEP_2)
	v_cndmask_b32_e32 v1, 0x7c, v1, vcc_lo
; %bb.2892:
	s_or_b32 exec_lo, exec_lo, s7
	global_store_b8 v[2:3], v1, off
.LBB182_2893:
	s_mov_b32 s7, 0
	s_mov_b32 s8, -1
.LBB182_2894:
	s_and_not1_b32 vcc_lo, exec_lo, s7
	s_mov_b32 s7, 0
	s_cbranch_vccnz .LBB182_2901
; %bb.2895:
	s_cmp_gt_i32 s6, 14
	s_mov_b32 s7, -1
	s_cbranch_scc0 .LBB182_2899
; %bb.2896:
	s_cmp_eq_u32 s6, 15
	s_mov_b32 s2, -1
	s_cbranch_scc0 .LBB182_2898
; %bb.2897:
	s_wait_xcnt 0x0
	v_cndmask_b32_e64 v1, 0, 1.0, s1
	s_mov_b32 s2, 0
	s_mov_b32 s8, -1
	s_delay_alu instid0(VALU_DEP_1) | instskip(NEXT) | instid1(VALU_DEP_1)
	v_bfe_u32 v6, v1, 16, 1
	v_add3_u32 v1, v1, v6, 0x7fff
	global_store_d16_hi_b16 v[2:3], v1, off
.LBB182_2898:
	s_mov_b32 s7, 0
.LBB182_2899:
	s_delay_alu instid0(SALU_CYCLE_1)
	s_and_b32 vcc_lo, exec_lo, s7
	s_mov_b32 s7, 0
	s_cbranch_vccz .LBB182_2901
; %bb.2900:
	s_cmp_lg_u32 s6, 11
	s_mov_b32 s7, -1
	s_cselect_b32 s2, -1, 0
.LBB182_2901:
	s_delay_alu instid0(SALU_CYCLE_1)
	s_and_b32 vcc_lo, exec_lo, s2
	s_cbranch_vccnz .LBB182_3081
; %bb.2902:
	s_and_not1_b32 vcc_lo, exec_lo, s7
	s_cbranch_vccnz .LBB182_2904
.LBB182_2903:
	s_wait_xcnt 0x0
	v_cndmask_b32_e64 v1, 0, 1, s1
	s_mov_b32 s8, -1
	global_store_b8 v[2:3], v1, off
.LBB182_2904:
	s_mov_b32 s2, 0
	s_branch .LBB182_2906
.LBB182_2905:
	s_mov_b32 s2, -1
	s_mov_b32 s8, 0
.LBB182_2906:
	s_and_b32 vcc_lo, exec_lo, s2
	s_cbranch_vccz .LBB182_2945
; %bb.2907:
	s_and_b32 s2, 0xffff, s19
	s_mov_b32 s6, -1
	s_cmp_lt_i32 s2, 5
	s_cbranch_scc1 .LBB182_2928
; %bb.2908:
	s_cmp_lt_i32 s2, 8
	s_cbranch_scc1 .LBB182_2918
; %bb.2909:
	;; [unrolled: 3-line block ×3, first 2 shown]
	s_cmp_gt_i32 s2, 9
	s_cbranch_scc0 .LBB182_2912
; %bb.2911:
	s_wait_xcnt 0x0
	v_cndmask_b32_e64 v1, 0, 1, s1
	v_mov_b32_e32 v8, 0
	s_mov_b32 s6, 0
	s_delay_alu instid0(VALU_DEP_2) | instskip(NEXT) | instid1(VALU_DEP_2)
	v_cvt_f64_u32_e32 v[6:7], v1
	v_mov_b32_e32 v9, v8
	global_store_b128 v[2:3], v[6:9], off
.LBB182_2912:
	s_and_not1_b32 vcc_lo, exec_lo, s6
	s_cbranch_vccnz .LBB182_2914
; %bb.2913:
	s_wait_xcnt 0x0
	v_cndmask_b32_e64 v6, 0, 1.0, s1
	v_mov_b32_e32 v7, 0
	global_store_b64 v[2:3], v[6:7], off
.LBB182_2914:
	s_mov_b32 s6, 0
.LBB182_2915:
	s_delay_alu instid0(SALU_CYCLE_1)
	s_and_not1_b32 vcc_lo, exec_lo, s6
	s_cbranch_vccnz .LBB182_2917
; %bb.2916:
	s_wait_xcnt 0x0
	v_cndmask_b32_e64 v1, 0, 1.0, s1
	s_delay_alu instid0(VALU_DEP_1) | instskip(NEXT) | instid1(VALU_DEP_1)
	v_cvt_f16_f32_e32 v1, v1
	v_and_b32_e32 v1, 0xffff, v1
	global_store_b32 v[2:3], v1, off
.LBB182_2917:
	s_mov_b32 s6, 0
.LBB182_2918:
	s_delay_alu instid0(SALU_CYCLE_1)
	s_and_not1_b32 vcc_lo, exec_lo, s6
	s_cbranch_vccnz .LBB182_2927
; %bb.2919:
	s_cmp_lt_i32 s2, 6
	s_mov_b32 s6, -1
	s_cbranch_scc1 .LBB182_2925
; %bb.2920:
	s_cmp_gt_i32 s2, 6
	s_cbranch_scc0 .LBB182_2922
; %bb.2921:
	s_wait_xcnt 0x0
	v_cndmask_b32_e64 v1, 0, 1, s1
	s_mov_b32 s6, 0
	s_delay_alu instid0(VALU_DEP_1)
	v_cvt_f64_u32_e32 v[6:7], v1
	global_store_b64 v[2:3], v[6:7], off
.LBB182_2922:
	s_and_not1_b32 vcc_lo, exec_lo, s6
	s_cbranch_vccnz .LBB182_2924
; %bb.2923:
	s_wait_xcnt 0x0
	v_cndmask_b32_e64 v1, 0, 1.0, s1
	global_store_b32 v[2:3], v1, off
.LBB182_2924:
	s_mov_b32 s6, 0
.LBB182_2925:
	s_delay_alu instid0(SALU_CYCLE_1)
	s_and_not1_b32 vcc_lo, exec_lo, s6
	s_cbranch_vccnz .LBB182_2927
; %bb.2926:
	s_wait_xcnt 0x0
	v_cndmask_b32_e64 v1, 0, 1.0, s1
	s_delay_alu instid0(VALU_DEP_1)
	v_cvt_f16_f32_e32 v1, v1
	global_store_b16 v[2:3], v1, off
.LBB182_2927:
	s_mov_b32 s6, 0
.LBB182_2928:
	s_delay_alu instid0(SALU_CYCLE_1)
	s_and_not1_b32 vcc_lo, exec_lo, s6
	s_cbranch_vccnz .LBB182_2944
; %bb.2929:
	s_cmp_lt_i32 s2, 2
	s_mov_b32 s6, -1
	s_cbranch_scc1 .LBB182_2939
; %bb.2930:
	s_cmp_lt_i32 s2, 3
	s_cbranch_scc1 .LBB182_2936
; %bb.2931:
	s_cmp_gt_i32 s2, 3
	s_cbranch_scc0 .LBB182_2933
; %bb.2932:
	s_mov_b32 s6, 0
	s_wait_xcnt 0x0
	v_cndmask_b32_e64 v6, 0, 1, s1
	v_mov_b32_e32 v7, s6
	global_store_b64 v[2:3], v[6:7], off
.LBB182_2933:
	s_and_not1_b32 vcc_lo, exec_lo, s6
	s_cbranch_vccnz .LBB182_2935
; %bb.2934:
	s_wait_xcnt 0x0
	v_cndmask_b32_e64 v1, 0, 1, s1
	global_store_b32 v[2:3], v1, off
.LBB182_2935:
	s_mov_b32 s6, 0
.LBB182_2936:
	s_delay_alu instid0(SALU_CYCLE_1)
	s_and_not1_b32 vcc_lo, exec_lo, s6
	s_cbranch_vccnz .LBB182_2938
; %bb.2937:
	s_wait_xcnt 0x0
	v_cndmask_b32_e64 v1, 0, 1, s1
	global_store_b16 v[2:3], v1, off
.LBB182_2938:
	s_mov_b32 s6, 0
.LBB182_2939:
	s_delay_alu instid0(SALU_CYCLE_1)
	s_and_not1_b32 vcc_lo, exec_lo, s6
	s_cbranch_vccnz .LBB182_2944
; %bb.2940:
	s_wait_xcnt 0x0
	v_cndmask_b32_e64 v1, 0, 1, s1
	s_cmp_gt_i32 s2, 0
	s_mov_b32 s1, -1
	s_cbranch_scc0 .LBB182_2942
; %bb.2941:
	s_mov_b32 s1, 0
	global_store_b8 v[2:3], v1, off
.LBB182_2942:
	s_and_not1_b32 vcc_lo, exec_lo, s1
	s_cbranch_vccnz .LBB182_2944
; %bb.2943:
	global_store_b8 v[2:3], v1, off
.LBB182_2944:
	s_mov_b32 s8, -1
.LBB182_2945:
	s_delay_alu instid0(SALU_CYCLE_1)
	s_and_not1_b32 vcc_lo, exec_lo, s8
	s_cbranch_vccnz .LBB182_3022
; %bb.2946:
	v_cmp_eq_f16_e32 vcc_lo, v4, v5
	s_cmp_lt_i32 s19, 11
	s_wait_xcnt 0x0
	v_cndmask_b32_e64 v1, 0, 1, vcc_lo
	v_cmp_neq_f16_e32 vcc_lo, v4, v5
	v_cndmask_b32_e64 v2, 0, 1, vcc_lo
	s_delay_alu instid0(VALU_DEP_1) | instskip(NEXT) | instid1(VALU_DEP_1)
	v_dual_add_nc_u32 v0, s3, v0 :: v_dual_cndmask_b32 v2, v2, v1, s0
	v_dual_ashrrev_i32 v1, 31, v0 :: v_dual_bitop2_b32 v2, 1, v2 bitop3:0x40
	s_delay_alu instid0(VALU_DEP_1) | instskip(NEXT) | instid1(VALU_DEP_2)
	v_add_nc_u64_e32 v[0:1], s[4:5], v[0:1]
	v_cmp_eq_u32_e64 s1, 1, v2
	s_cbranch_scc1 .LBB182_3067
; %bb.2947:
	s_and_b32 s2, 0xffff, s19
	s_mov_b32 s4, -1
	s_mov_b32 s3, 0
	s_cmp_gt_i32 s2, 25
	s_mov_b32 s0, 0
	s_cbranch_scc0 .LBB182_2980
; %bb.2948:
	s_cmp_gt_i32 s2, 28
	s_cbranch_scc0 .LBB182_2964
; %bb.2949:
	s_cmp_gt_i32 s2, 43
	;; [unrolled: 3-line block ×3, first 2 shown]
	s_cbranch_scc0 .LBB182_2954
; %bb.2951:
	s_cmp_eq_u32 s2, 46
	s_mov_b32 s0, -1
	s_cbranch_scc0 .LBB182_2953
; %bb.2952:
	v_cndmask_b32_e64 v2, 0, 1.0, s1
	s_mov_b32 s0, 0
	s_delay_alu instid0(VALU_DEP_1) | instskip(NEXT) | instid1(VALU_DEP_1)
	v_bfe_u32 v3, v2, 16, 1
	v_add3_u32 v2, v2, v3, 0x7fff
	s_delay_alu instid0(VALU_DEP_1)
	v_lshrrev_b32_e32 v2, 16, v2
	global_store_b32 v[0:1], v2, off
.LBB182_2953:
	s_mov_b32 s4, 0
.LBB182_2954:
	s_delay_alu instid0(SALU_CYCLE_1)
	s_and_b32 vcc_lo, exec_lo, s4
	s_cbranch_vccz .LBB182_2959
; %bb.2955:
	s_cmp_eq_u32 s2, 44
	s_mov_b32 s0, -1
	s_cbranch_scc0 .LBB182_2959
; %bb.2956:
	v_cndmask_b32_e64 v4, 0, 1.0, s1
	s_mov_b32 s4, exec_lo
	s_wait_xcnt 0x0
	s_delay_alu instid0(VALU_DEP_1) | instskip(NEXT) | instid1(VALU_DEP_1)
	v_dual_mov_b32 v3, 0xff :: v_dual_lshrrev_b32 v2, 23, v4
	v_cmpx_ne_u32_e32 0xff, v2
; %bb.2957:
	v_and_b32_e32 v3, 0x400000, v4
	v_and_or_b32 v4, 0x3fffff, v4, v2
	s_delay_alu instid0(VALU_DEP_2) | instskip(NEXT) | instid1(VALU_DEP_2)
	v_cmp_ne_u32_e32 vcc_lo, 0, v3
	v_cmp_ne_u32_e64 s0, 0, v4
	s_and_b32 s0, vcc_lo, s0
	s_delay_alu instid0(SALU_CYCLE_1) | instskip(NEXT) | instid1(VALU_DEP_1)
	v_cndmask_b32_e64 v3, 0, 1, s0
	v_add_nc_u32_e32 v3, v2, v3
; %bb.2958:
	s_or_b32 exec_lo, exec_lo, s4
	s_mov_b32 s0, 0
	global_store_b8 v[0:1], v3, off
.LBB182_2959:
	s_mov_b32 s4, 0
.LBB182_2960:
	s_delay_alu instid0(SALU_CYCLE_1)
	s_and_b32 vcc_lo, exec_lo, s4
	s_cbranch_vccz .LBB182_2963
; %bb.2961:
	s_cmp_eq_u32 s2, 29
	s_mov_b32 s0, -1
	s_cbranch_scc0 .LBB182_2963
; %bb.2962:
	s_mov_b32 s0, 0
	s_wait_xcnt 0x0
	v_cndmask_b32_e64 v2, 0, 1, s1
	v_mov_b32_e32 v3, s0
	global_store_b64 v[0:1], v[2:3], off
.LBB182_2963:
	s_mov_b32 s4, 0
.LBB182_2964:
	s_delay_alu instid0(SALU_CYCLE_1)
	s_and_b32 vcc_lo, exec_lo, s4
	s_cbranch_vccz .LBB182_2979
; %bb.2965:
	s_cmp_lt_i32 s2, 27
	s_mov_b32 s4, -1
	s_cbranch_scc1 .LBB182_2971
; %bb.2966:
	s_wait_xcnt 0x0
	v_cndmask_b32_e64 v2, 0, 1, s1
	s_cmp_gt_i32 s2, 27
	s_cbranch_scc0 .LBB182_2968
; %bb.2967:
	s_mov_b32 s4, 0
	global_store_b32 v[0:1], v2, off
.LBB182_2968:
	s_and_not1_b32 vcc_lo, exec_lo, s4
	s_cbranch_vccnz .LBB182_2970
; %bb.2969:
	global_store_b16 v[0:1], v2, off
.LBB182_2970:
	s_mov_b32 s4, 0
.LBB182_2971:
	s_delay_alu instid0(SALU_CYCLE_1)
	s_and_not1_b32 vcc_lo, exec_lo, s4
	s_cbranch_vccnz .LBB182_2979
; %bb.2972:
	s_wait_xcnt 0x0
	v_cndmask_b32_e64 v3, 0, 1.0, s1
	v_mov_b32_e32 v4, 0x80
	s_mov_b32 s4, exec_lo
	s_delay_alu instid0(VALU_DEP_2)
	v_cmpx_gt_u32_e32 0x43800000, v3
	s_cbranch_execz .LBB182_2978
; %bb.2973:
	s_mov_b32 s5, 0
	s_mov_b32 s6, exec_lo
                                        ; implicit-def: $vgpr2
	v_cmpx_lt_u32_e32 0x3bffffff, v3
	s_xor_b32 s6, exec_lo, s6
	s_cbranch_execz .LBB182_3084
; %bb.2974:
	v_bfe_u32 v2, v3, 20, 1
	s_mov_b32 s5, exec_lo
	s_delay_alu instid0(VALU_DEP_1) | instskip(NEXT) | instid1(VALU_DEP_1)
	v_add3_u32 v2, v3, v2, 0x487ffff
                                        ; implicit-def: $vgpr3
	v_lshrrev_b32_e32 v2, 20, v2
	s_and_not1_saveexec_b32 s6, s6
	s_cbranch_execnz .LBB182_3085
.LBB182_2975:
	s_or_b32 exec_lo, exec_lo, s6
	v_mov_b32_e32 v4, 0
	s_and_saveexec_b32 s6, s5
.LBB182_2976:
	v_mov_b32_e32 v4, v2
.LBB182_2977:
	s_or_b32 exec_lo, exec_lo, s6
.LBB182_2978:
	s_delay_alu instid0(SALU_CYCLE_1)
	s_or_b32 exec_lo, exec_lo, s4
	global_store_b8 v[0:1], v4, off
.LBB182_2979:
	s_mov_b32 s4, 0
.LBB182_2980:
	s_delay_alu instid0(SALU_CYCLE_1)
	s_and_b32 vcc_lo, exec_lo, s4
	s_cbranch_vccz .LBB182_3020
; %bb.2981:
	s_cmp_gt_i32 s2, 22
	s_mov_b32 s3, -1
	s_cbranch_scc0 .LBB182_3013
; %bb.2982:
	s_cmp_lt_i32 s2, 24
	s_cbranch_scc1 .LBB182_3002
; %bb.2983:
	s_cmp_gt_i32 s2, 24
	s_cbranch_scc0 .LBB182_2991
; %bb.2984:
	s_wait_xcnt 0x0
	v_cndmask_b32_e64 v3, 0, 1.0, s1
	v_mov_b32_e32 v4, 0x80
	s_mov_b32 s3, exec_lo
	s_delay_alu instid0(VALU_DEP_2)
	v_cmpx_gt_u32_e32 0x47800000, v3
	s_cbranch_execz .LBB182_2990
; %bb.2985:
	s_mov_b32 s4, 0
	s_mov_b32 s5, exec_lo
                                        ; implicit-def: $vgpr2
	v_cmpx_lt_u32_e32 0x37ffffff, v3
	s_xor_b32 s5, exec_lo, s5
	s_cbranch_execz .LBB182_3087
; %bb.2986:
	v_bfe_u32 v2, v3, 21, 1
	s_mov_b32 s4, exec_lo
	s_delay_alu instid0(VALU_DEP_1) | instskip(NEXT) | instid1(VALU_DEP_1)
	v_add3_u32 v2, v3, v2, 0x88fffff
                                        ; implicit-def: $vgpr3
	v_lshrrev_b32_e32 v2, 21, v2
	s_and_not1_saveexec_b32 s5, s5
	s_cbranch_execnz .LBB182_3088
.LBB182_2987:
	s_or_b32 exec_lo, exec_lo, s5
	v_mov_b32_e32 v4, 0
	s_and_saveexec_b32 s5, s4
.LBB182_2988:
	v_mov_b32_e32 v4, v2
.LBB182_2989:
	s_or_b32 exec_lo, exec_lo, s5
.LBB182_2990:
	s_delay_alu instid0(SALU_CYCLE_1)
	s_or_b32 exec_lo, exec_lo, s3
	s_mov_b32 s3, 0
	global_store_b8 v[0:1], v4, off
.LBB182_2991:
	s_and_b32 vcc_lo, exec_lo, s3
	s_cbranch_vccz .LBB182_3001
; %bb.2992:
	s_wait_xcnt 0x0
	v_cndmask_b32_e64 v3, 0, 1.0, s1
	s_mov_b32 s3, exec_lo
                                        ; implicit-def: $vgpr2
	s_delay_alu instid0(VALU_DEP_1)
	v_cmpx_gt_u32_e32 0x43f00000, v3
	s_xor_b32 s3, exec_lo, s3
	s_cbranch_execz .LBB182_2998
; %bb.2993:
	s_mov_b32 s4, exec_lo
                                        ; implicit-def: $vgpr2
	v_cmpx_lt_u32_e32 0x3c7fffff, v3
	s_xor_b32 s4, exec_lo, s4
; %bb.2994:
	v_bfe_u32 v2, v3, 20, 1
	s_delay_alu instid0(VALU_DEP_1) | instskip(NEXT) | instid1(VALU_DEP_1)
	v_add3_u32 v2, v3, v2, 0x407ffff
	v_and_b32_e32 v3, 0xff00000, v2
	v_lshrrev_b32_e32 v2, 20, v2
	s_delay_alu instid0(VALU_DEP_2) | instskip(NEXT) | instid1(VALU_DEP_2)
	v_cmp_ne_u32_e32 vcc_lo, 0x7f00000, v3
                                        ; implicit-def: $vgpr3
	v_cndmask_b32_e32 v2, 0x7e, v2, vcc_lo
; %bb.2995:
	s_and_not1_saveexec_b32 s4, s4
; %bb.2996:
	v_add_f32_e32 v2, 0x46800000, v3
; %bb.2997:
	s_or_b32 exec_lo, exec_lo, s4
                                        ; implicit-def: $vgpr3
.LBB182_2998:
	s_and_not1_saveexec_b32 s3, s3
; %bb.2999:
	v_mov_b32_e32 v2, 0x7f
	v_cmp_lt_u32_e32 vcc_lo, 0x7f800000, v3
	s_delay_alu instid0(VALU_DEP_2)
	v_cndmask_b32_e32 v2, 0x7e, v2, vcc_lo
; %bb.3000:
	s_or_b32 exec_lo, exec_lo, s3
	global_store_b8 v[0:1], v2, off
.LBB182_3001:
	s_mov_b32 s3, 0
.LBB182_3002:
	s_delay_alu instid0(SALU_CYCLE_1)
	s_and_not1_b32 vcc_lo, exec_lo, s3
	s_cbranch_vccnz .LBB182_3012
; %bb.3003:
	s_wait_xcnt 0x0
	v_cndmask_b32_e64 v3, 0, 1.0, s1
	s_mov_b32 s3, exec_lo
                                        ; implicit-def: $vgpr2
	s_delay_alu instid0(VALU_DEP_1)
	v_cmpx_gt_u32_e32 0x47800000, v3
	s_xor_b32 s3, exec_lo, s3
	s_cbranch_execz .LBB182_3009
; %bb.3004:
	s_mov_b32 s4, exec_lo
                                        ; implicit-def: $vgpr2
	v_cmpx_lt_u32_e32 0x387fffff, v3
	s_xor_b32 s4, exec_lo, s4
; %bb.3005:
	v_bfe_u32 v2, v3, 21, 1
	s_delay_alu instid0(VALU_DEP_1) | instskip(NEXT) | instid1(VALU_DEP_1)
	v_add3_u32 v2, v3, v2, 0x80fffff
                                        ; implicit-def: $vgpr3
	v_lshrrev_b32_e32 v2, 21, v2
; %bb.3006:
	s_and_not1_saveexec_b32 s4, s4
; %bb.3007:
	v_add_f32_e32 v2, 0x43000000, v3
; %bb.3008:
	s_or_b32 exec_lo, exec_lo, s4
                                        ; implicit-def: $vgpr3
.LBB182_3009:
	s_and_not1_saveexec_b32 s3, s3
; %bb.3010:
	v_mov_b32_e32 v2, 0x7f
	v_cmp_lt_u32_e32 vcc_lo, 0x7f800000, v3
	s_delay_alu instid0(VALU_DEP_2)
	v_cndmask_b32_e32 v2, 0x7c, v2, vcc_lo
; %bb.3011:
	s_or_b32 exec_lo, exec_lo, s3
	global_store_b8 v[0:1], v2, off
.LBB182_3012:
	s_mov_b32 s3, 0
.LBB182_3013:
	s_delay_alu instid0(SALU_CYCLE_1)
	s_and_not1_b32 vcc_lo, exec_lo, s3
	s_mov_b32 s3, 0
	s_cbranch_vccnz .LBB182_3020
; %bb.3014:
	s_cmp_gt_i32 s2, 14
	s_mov_b32 s3, -1
	s_cbranch_scc0 .LBB182_3018
; %bb.3015:
	s_cmp_eq_u32 s2, 15
	s_mov_b32 s0, -1
	s_cbranch_scc0 .LBB182_3017
; %bb.3016:
	s_wait_xcnt 0x0
	v_cndmask_b32_e64 v2, 0, 1.0, s1
	s_mov_b32 s0, 0
	s_delay_alu instid0(VALU_DEP_1) | instskip(NEXT) | instid1(VALU_DEP_1)
	v_bfe_u32 v3, v2, 16, 1
	v_add3_u32 v2, v2, v3, 0x7fff
	global_store_d16_hi_b16 v[0:1], v2, off
.LBB182_3017:
	s_mov_b32 s3, 0
.LBB182_3018:
	s_delay_alu instid0(SALU_CYCLE_1)
	s_and_b32 vcc_lo, exec_lo, s3
	s_mov_b32 s3, 0
	s_cbranch_vccz .LBB182_3020
; %bb.3019:
	s_cmp_lg_u32 s2, 11
	s_mov_b32 s3, -1
	s_cselect_b32 s0, -1, 0
.LBB182_3020:
	s_delay_alu instid0(SALU_CYCLE_1)
	s_and_b32 vcc_lo, exec_lo, s0
	s_cbranch_vccnz .LBB182_3086
.LBB182_3021:
	s_mov_b32 s0, 0
	s_branch .LBB182_3023
.LBB182_3022:
	s_mov_b32 s0, 0
	s_mov_b32 s3, 0
                                        ; implicit-def: $sgpr1
                                        ; implicit-def: $sgpr19
                                        ; implicit-def: $vgpr0_vgpr1
.LBB182_3023:
	s_and_not1_b32 s2, s18, exec_lo
	s_and_b32 s4, s15, exec_lo
	s_and_b32 s0, s0, exec_lo
	;; [unrolled: 1-line block ×3, first 2 shown]
	s_or_b32 s18, s2, s4
.LBB182_3024:
	s_wait_xcnt 0x0
	s_or_b32 exec_lo, exec_lo, s17
	s_and_saveexec_b32 s2, s18
	s_cbranch_execz .LBB182_3027
; %bb.3025:
	; divergent unreachable
	s_or_b32 exec_lo, exec_lo, s2
	s_and_saveexec_b32 s2, s15
	s_delay_alu instid0(SALU_CYCLE_1)
	s_xor_b32 s2, exec_lo, s2
	s_cbranch_execnz .LBB182_3028
.LBB182_3026:
	s_or_b32 exec_lo, exec_lo, s2
	s_and_saveexec_b32 s2, s0
	s_cbranch_execnz .LBB182_3029
	s_branch .LBB182_3066
.LBB182_3027:
	s_or_b32 exec_lo, exec_lo, s2
	s_and_saveexec_b32 s2, s15
	s_delay_alu instid0(SALU_CYCLE_1)
	s_xor_b32 s2, exec_lo, s2
	s_cbranch_execz .LBB182_3026
.LBB182_3028:
	s_wait_loadcnt 0x0
	v_cndmask_b32_e64 v2, 0, 1, s1
	global_store_b8 v[0:1], v2, off
	s_wait_xcnt 0x0
	s_or_b32 exec_lo, exec_lo, s2
	s_and_saveexec_b32 s2, s0
	s_cbranch_execz .LBB182_3066
.LBB182_3029:
	s_sext_i32_i16 s2, s19
	s_mov_b32 s0, -1
	s_cmp_lt_i32 s2, 5
	s_cbranch_scc1 .LBB182_3050
; %bb.3030:
	s_cmp_lt_i32 s2, 8
	s_cbranch_scc1 .LBB182_3040
; %bb.3031:
	;; [unrolled: 3-line block ×3, first 2 shown]
	s_cmp_gt_i32 s2, 9
	s_cbranch_scc0 .LBB182_3034
; %bb.3033:
	s_wait_loadcnt 0x0
	v_cndmask_b32_e64 v2, 0, 1, s1
	v_mov_b32_e32 v4, 0
	s_mov_b32 s0, 0
	s_delay_alu instid0(VALU_DEP_2) | instskip(NEXT) | instid1(VALU_DEP_2)
	v_cvt_f64_u32_e32 v[2:3], v2
	v_mov_b32_e32 v5, v4
	global_store_b128 v[0:1], v[2:5], off
.LBB182_3034:
	s_and_not1_b32 vcc_lo, exec_lo, s0
	s_cbranch_vccnz .LBB182_3036
; %bb.3035:
	s_wait_loadcnt 0x0
	v_cndmask_b32_e64 v2, 0, 1.0, s1
	v_mov_b32_e32 v3, 0
	global_store_b64 v[0:1], v[2:3], off
.LBB182_3036:
	s_mov_b32 s0, 0
.LBB182_3037:
	s_delay_alu instid0(SALU_CYCLE_1)
	s_and_not1_b32 vcc_lo, exec_lo, s0
	s_cbranch_vccnz .LBB182_3039
; %bb.3038:
	s_wait_loadcnt 0x0
	v_cndmask_b32_e64 v2, 0, 1.0, s1
	s_delay_alu instid0(VALU_DEP_1) | instskip(NEXT) | instid1(VALU_DEP_1)
	v_cvt_f16_f32_e32 v2, v2
	v_and_b32_e32 v2, 0xffff, v2
	global_store_b32 v[0:1], v2, off
.LBB182_3039:
	s_mov_b32 s0, 0
.LBB182_3040:
	s_delay_alu instid0(SALU_CYCLE_1)
	s_and_not1_b32 vcc_lo, exec_lo, s0
	s_cbranch_vccnz .LBB182_3049
; %bb.3041:
	s_sext_i32_i16 s2, s19
	s_mov_b32 s0, -1
	s_cmp_lt_i32 s2, 6
	s_cbranch_scc1 .LBB182_3047
; %bb.3042:
	s_cmp_gt_i32 s2, 6
	s_cbranch_scc0 .LBB182_3044
; %bb.3043:
	s_wait_loadcnt 0x0
	v_cndmask_b32_e64 v2, 0, 1, s1
	s_mov_b32 s0, 0
	s_delay_alu instid0(VALU_DEP_1)
	v_cvt_f64_u32_e32 v[2:3], v2
	global_store_b64 v[0:1], v[2:3], off
.LBB182_3044:
	s_and_not1_b32 vcc_lo, exec_lo, s0
	s_cbranch_vccnz .LBB182_3046
; %bb.3045:
	s_wait_loadcnt 0x0
	v_cndmask_b32_e64 v2, 0, 1.0, s1
	global_store_b32 v[0:1], v2, off
.LBB182_3046:
	s_mov_b32 s0, 0
.LBB182_3047:
	s_delay_alu instid0(SALU_CYCLE_1)
	s_and_not1_b32 vcc_lo, exec_lo, s0
	s_cbranch_vccnz .LBB182_3049
; %bb.3048:
	s_wait_loadcnt 0x0
	v_cndmask_b32_e64 v2, 0, 1.0, s1
	s_delay_alu instid0(VALU_DEP_1)
	v_cvt_f16_f32_e32 v2, v2
	global_store_b16 v[0:1], v2, off
.LBB182_3049:
	s_mov_b32 s0, 0
.LBB182_3050:
	s_delay_alu instid0(SALU_CYCLE_1)
	s_and_not1_b32 vcc_lo, exec_lo, s0
	s_cbranch_vccnz .LBB182_3066
; %bb.3051:
	s_sext_i32_i16 s2, s19
	s_mov_b32 s0, -1
	s_cmp_lt_i32 s2, 2
	s_cbranch_scc1 .LBB182_3061
; %bb.3052:
	s_cmp_lt_i32 s2, 3
	s_cbranch_scc1 .LBB182_3058
; %bb.3053:
	s_cmp_gt_i32 s2, 3
	s_cbranch_scc0 .LBB182_3055
; %bb.3054:
	s_mov_b32 s0, 0
	s_wait_loadcnt 0x0
	v_cndmask_b32_e64 v2, 0, 1, s1
	v_mov_b32_e32 v3, s0
	global_store_b64 v[0:1], v[2:3], off
.LBB182_3055:
	s_and_not1_b32 vcc_lo, exec_lo, s0
	s_cbranch_vccnz .LBB182_3057
; %bb.3056:
	s_wait_loadcnt 0x0
	v_cndmask_b32_e64 v2, 0, 1, s1
	global_store_b32 v[0:1], v2, off
.LBB182_3057:
	s_mov_b32 s0, 0
.LBB182_3058:
	s_delay_alu instid0(SALU_CYCLE_1)
	s_and_not1_b32 vcc_lo, exec_lo, s0
	s_cbranch_vccnz .LBB182_3060
; %bb.3059:
	s_wait_loadcnt 0x0
	v_cndmask_b32_e64 v2, 0, 1, s1
	global_store_b16 v[0:1], v2, off
.LBB182_3060:
	s_mov_b32 s0, 0
.LBB182_3061:
	s_delay_alu instid0(SALU_CYCLE_1)
	s_and_not1_b32 vcc_lo, exec_lo, s0
	s_cbranch_vccnz .LBB182_3066
; %bb.3062:
	s_wait_loadcnt 0x0
	v_cndmask_b32_e64 v2, 0, 1, s1
	s_sext_i32_i16 s0, s19
	s_delay_alu instid0(SALU_CYCLE_1)
	s_cmp_gt_i32 s0, 0
	s_mov_b32 s0, -1
	s_cbranch_scc0 .LBB182_3064
; %bb.3063:
	s_mov_b32 s0, 0
	global_store_b8 v[0:1], v2, off
.LBB182_3064:
	s_and_not1_b32 vcc_lo, exec_lo, s0
	s_cbranch_vccnz .LBB182_3066
; %bb.3065:
	global_store_b8 v[0:1], v2, off
	s_endpgm
.LBB182_3066:
	s_endpgm
.LBB182_3067:
	s_mov_b32 s3, 0
	s_mov_b32 s0, -1
	s_branch .LBB182_3023
.LBB182_3068:
	s_or_b32 s15, s15, exec_lo
	s_trap 2
	s_cbranch_execz .LBB182_2538
	s_branch .LBB182_2539
.LBB182_3069:
	s_and_not1_saveexec_b32 s10, s10
	s_cbranch_execz .LBB182_2618
.LBB182_3070:
	v_add_f32_e32 v1, 0x46000000, v6
	s_and_not1_b32 s9, s9, exec_lo
	s_delay_alu instid0(VALU_DEP_1) | instskip(NEXT) | instid1(VALU_DEP_1)
	v_and_b32_e32 v1, 0xff, v1
	v_cmp_ne_u32_e32 vcc_lo, 0, v1
	s_and_b32 s11, vcc_lo, exec_lo
	s_delay_alu instid0(SALU_CYCLE_1)
	s_or_b32 s9, s9, s11
	s_or_b32 exec_lo, exec_lo, s10
	v_mov_b32_e32 v7, 0
	s_and_saveexec_b32 s10, s9
	s_cbranch_execnz .LBB182_2619
	s_branch .LBB182_2620
.LBB182_3071:
	s_or_b32 s15, s15, exec_lo
	s_trap 2
	s_cbranch_execz .LBB182_2666
	s_branch .LBB182_2667
.LBB182_3072:
	s_and_not1_saveexec_b32 s9, s9
	s_cbranch_execz .LBB182_2631
.LBB182_3073:
	v_add_f32_e32 v1, 0x42800000, v6
	s_and_not1_b32 s7, s7, exec_lo
	s_delay_alu instid0(VALU_DEP_1) | instskip(NEXT) | instid1(VALU_DEP_1)
	v_and_b32_e32 v1, 0xff, v1
	v_cmp_ne_u32_e32 vcc_lo, 0, v1
	s_and_b32 s10, vcc_lo, exec_lo
	s_delay_alu instid0(SALU_CYCLE_1)
	s_or_b32 s7, s7, s10
	s_or_b32 exec_lo, exec_lo, s9
	v_mov_b32_e32 v7, 0
	s_and_saveexec_b32 s9, s7
	s_cbranch_execnz .LBB182_2632
	s_branch .LBB182_2633
.LBB182_3074:
	s_and_not1_saveexec_b32 s10, s10
	s_cbranch_execz .LBB182_2736
.LBB182_3075:
	v_add_f32_e32 v1, 0x46000000, v6
	s_and_not1_b32 s9, s9, exec_lo
	s_delay_alu instid0(VALU_DEP_1) | instskip(NEXT) | instid1(VALU_DEP_1)
	v_and_b32_e32 v1, 0xff, v1
	v_cmp_ne_u32_e32 vcc_lo, 0, v1
	s_and_b32 s11, vcc_lo, exec_lo
	s_delay_alu instid0(SALU_CYCLE_1)
	s_or_b32 s9, s9, s11
	s_or_b32 exec_lo, exec_lo, s10
	v_mov_b32_e32 v7, 0
	s_and_saveexec_b32 s10, s9
	s_cbranch_execnz .LBB182_2737
	s_branch .LBB182_2738
.LBB182_3076:
	s_or_b32 s15, s15, exec_lo
	s_trap 2
	s_cbranch_execz .LBB182_2784
	s_branch .LBB182_2785
.LBB182_3077:
	s_and_not1_saveexec_b32 s9, s9
	s_cbranch_execz .LBB182_2749
.LBB182_3078:
	v_add_f32_e32 v1, 0x42800000, v6
	s_and_not1_b32 s8, s8, exec_lo
	s_delay_alu instid0(VALU_DEP_1) | instskip(NEXT) | instid1(VALU_DEP_1)
	v_and_b32_e32 v1, 0xff, v1
	v_cmp_ne_u32_e32 vcc_lo, 0, v1
	s_and_b32 s10, vcc_lo, exec_lo
	s_delay_alu instid0(SALU_CYCLE_1)
	s_or_b32 s8, s8, s10
	s_or_b32 exec_lo, exec_lo, s9
	v_mov_b32_e32 v7, 0
	s_and_saveexec_b32 s9, s8
	s_cbranch_execnz .LBB182_2750
	s_branch .LBB182_2751
.LBB182_3079:
	s_and_not1_saveexec_b32 s10, s10
	s_cbranch_execz .LBB182_2855
.LBB182_3080:
	v_add_f32_e32 v1, 0x46000000, v6
	s_and_not1_b32 s9, s9, exec_lo
	s_delay_alu instid0(VALU_DEP_1) | instskip(NEXT) | instid1(VALU_DEP_1)
	v_and_b32_e32 v1, 0xff, v1
	v_cmp_ne_u32_e32 vcc_lo, 0, v1
	s_and_b32 s11, vcc_lo, exec_lo
	s_delay_alu instid0(SALU_CYCLE_1)
	s_or_b32 s9, s9, s11
	s_or_b32 exec_lo, exec_lo, s10
	v_mov_b32_e32 v7, 0
	s_and_saveexec_b32 s10, s9
	s_cbranch_execnz .LBB182_2856
	s_branch .LBB182_2857
.LBB182_3081:
	s_or_b32 s15, s15, exec_lo
	s_trap 2
	s_cbranch_execz .LBB182_2903
	s_branch .LBB182_2904
.LBB182_3082:
	s_and_not1_saveexec_b32 s9, s9
	s_cbranch_execz .LBB182_2868
.LBB182_3083:
	v_add_f32_e32 v1, 0x42800000, v6
	s_and_not1_b32 s8, s8, exec_lo
	s_delay_alu instid0(VALU_DEP_1) | instskip(NEXT) | instid1(VALU_DEP_1)
	v_and_b32_e32 v1, 0xff, v1
	v_cmp_ne_u32_e32 vcc_lo, 0, v1
	s_and_b32 s10, vcc_lo, exec_lo
	s_delay_alu instid0(SALU_CYCLE_1)
	s_or_b32 s8, s8, s10
	s_or_b32 exec_lo, exec_lo, s9
	v_mov_b32_e32 v7, 0
	s_and_saveexec_b32 s9, s8
	s_cbranch_execnz .LBB182_2869
	s_branch .LBB182_2870
.LBB182_3084:
	s_and_not1_saveexec_b32 s6, s6
	s_cbranch_execz .LBB182_2975
.LBB182_3085:
	v_add_f32_e32 v2, 0x46000000, v3
	s_and_not1_b32 s5, s5, exec_lo
	s_delay_alu instid0(VALU_DEP_1) | instskip(NEXT) | instid1(VALU_DEP_1)
	v_and_b32_e32 v2, 0xff, v2
	v_cmp_ne_u32_e32 vcc_lo, 0, v2
	s_and_b32 s7, vcc_lo, exec_lo
	s_delay_alu instid0(SALU_CYCLE_1)
	s_or_b32 s5, s5, s7
	s_or_b32 exec_lo, exec_lo, s6
	v_mov_b32_e32 v4, 0
	s_and_saveexec_b32 s6, s5
	s_cbranch_execnz .LBB182_2976
	s_branch .LBB182_2977
.LBB182_3086:
	s_mov_b32 s3, 0
	s_or_b32 s15, s15, exec_lo
	s_trap 2
	s_branch .LBB182_3021
.LBB182_3087:
	s_and_not1_saveexec_b32 s5, s5
	s_cbranch_execz .LBB182_2987
.LBB182_3088:
	v_add_f32_e32 v2, 0x42800000, v3
	s_and_not1_b32 s4, s4, exec_lo
	s_delay_alu instid0(VALU_DEP_1) | instskip(NEXT) | instid1(VALU_DEP_1)
	v_and_b32_e32 v2, 0xff, v2
	v_cmp_ne_u32_e32 vcc_lo, 0, v2
	s_and_b32 s6, vcc_lo, exec_lo
	s_delay_alu instid0(SALU_CYCLE_1)
	s_or_b32 s4, s4, s6
	s_or_b32 exec_lo, exec_lo, s5
	v_mov_b32_e32 v4, 0
	s_and_saveexec_b32 s5, s4
	s_cbranch_execnz .LBB182_2988
	s_branch .LBB182_2989
	.section	.rodata,"a",@progbits
	.p2align	6, 0x0
	.amdhsa_kernel _ZN2at6native32elementwise_kernel_manual_unrollILi128ELi4EZNS0_15gpu_kernel_implINS0_13BinaryFunctorIN3c104HalfES5_bNS0_12_GLOBAL__N_116CompareEqFunctorIS5_EEEEEEvRNS_18TensorIteratorBaseERKT_EUlibE_EEviT1_
		.amdhsa_group_segment_fixed_size 0
		.amdhsa_private_segment_fixed_size 0
		.amdhsa_kernarg_size 56
		.amdhsa_user_sgpr_count 2
		.amdhsa_user_sgpr_dispatch_ptr 0
		.amdhsa_user_sgpr_queue_ptr 0
		.amdhsa_user_sgpr_kernarg_segment_ptr 1
		.amdhsa_user_sgpr_dispatch_id 0
		.amdhsa_user_sgpr_kernarg_preload_length 0
		.amdhsa_user_sgpr_kernarg_preload_offset 0
		.amdhsa_user_sgpr_private_segment_size 0
		.amdhsa_wavefront_size32 1
		.amdhsa_uses_dynamic_stack 0
		.amdhsa_enable_private_segment 0
		.amdhsa_system_sgpr_workgroup_id_x 1
		.amdhsa_system_sgpr_workgroup_id_y 0
		.amdhsa_system_sgpr_workgroup_id_z 0
		.amdhsa_system_sgpr_workgroup_info 0
		.amdhsa_system_vgpr_workitem_id 0
		.amdhsa_next_free_vgpr 18
		.amdhsa_next_free_sgpr 37
		.amdhsa_named_barrier_count 0
		.amdhsa_reserve_vcc 1
		.amdhsa_float_round_mode_32 0
		.amdhsa_float_round_mode_16_64 0
		.amdhsa_float_denorm_mode_32 3
		.amdhsa_float_denorm_mode_16_64 3
		.amdhsa_fp16_overflow 0
		.amdhsa_memory_ordered 1
		.amdhsa_forward_progress 1
		.amdhsa_inst_pref_size 255
		.amdhsa_round_robin_scheduling 0
		.amdhsa_exception_fp_ieee_invalid_op 0
		.amdhsa_exception_fp_denorm_src 0
		.amdhsa_exception_fp_ieee_div_zero 0
		.amdhsa_exception_fp_ieee_overflow 0
		.amdhsa_exception_fp_ieee_underflow 0
		.amdhsa_exception_fp_ieee_inexact 0
		.amdhsa_exception_int_div_zero 0
	.end_amdhsa_kernel
	.section	.text._ZN2at6native32elementwise_kernel_manual_unrollILi128ELi4EZNS0_15gpu_kernel_implINS0_13BinaryFunctorIN3c104HalfES5_bNS0_12_GLOBAL__N_116CompareEqFunctorIS5_EEEEEEvRNS_18TensorIteratorBaseERKT_EUlibE_EEviT1_,"axG",@progbits,_ZN2at6native32elementwise_kernel_manual_unrollILi128ELi4EZNS0_15gpu_kernel_implINS0_13BinaryFunctorIN3c104HalfES5_bNS0_12_GLOBAL__N_116CompareEqFunctorIS5_EEEEEEvRNS_18TensorIteratorBaseERKT_EUlibE_EEviT1_,comdat
.Lfunc_end182:
	.size	_ZN2at6native32elementwise_kernel_manual_unrollILi128ELi4EZNS0_15gpu_kernel_implINS0_13BinaryFunctorIN3c104HalfES5_bNS0_12_GLOBAL__N_116CompareEqFunctorIS5_EEEEEEvRNS_18TensorIteratorBaseERKT_EUlibE_EEviT1_, .Lfunc_end182-_ZN2at6native32elementwise_kernel_manual_unrollILi128ELi4EZNS0_15gpu_kernel_implINS0_13BinaryFunctorIN3c104HalfES5_bNS0_12_GLOBAL__N_116CompareEqFunctorIS5_EEEEEEvRNS_18TensorIteratorBaseERKT_EUlibE_EEviT1_
                                        ; -- End function
	.set _ZN2at6native32elementwise_kernel_manual_unrollILi128ELi4EZNS0_15gpu_kernel_implINS0_13BinaryFunctorIN3c104HalfES5_bNS0_12_GLOBAL__N_116CompareEqFunctorIS5_EEEEEEvRNS_18TensorIteratorBaseERKT_EUlibE_EEviT1_.num_vgpr, 18
	.set _ZN2at6native32elementwise_kernel_manual_unrollILi128ELi4EZNS0_15gpu_kernel_implINS0_13BinaryFunctorIN3c104HalfES5_bNS0_12_GLOBAL__N_116CompareEqFunctorIS5_EEEEEEvRNS_18TensorIteratorBaseERKT_EUlibE_EEviT1_.num_agpr, 0
	.set _ZN2at6native32elementwise_kernel_manual_unrollILi128ELi4EZNS0_15gpu_kernel_implINS0_13BinaryFunctorIN3c104HalfES5_bNS0_12_GLOBAL__N_116CompareEqFunctorIS5_EEEEEEvRNS_18TensorIteratorBaseERKT_EUlibE_EEviT1_.numbered_sgpr, 37
	.set _ZN2at6native32elementwise_kernel_manual_unrollILi128ELi4EZNS0_15gpu_kernel_implINS0_13BinaryFunctorIN3c104HalfES5_bNS0_12_GLOBAL__N_116CompareEqFunctorIS5_EEEEEEvRNS_18TensorIteratorBaseERKT_EUlibE_EEviT1_.num_named_barrier, 0
	.set _ZN2at6native32elementwise_kernel_manual_unrollILi128ELi4EZNS0_15gpu_kernel_implINS0_13BinaryFunctorIN3c104HalfES5_bNS0_12_GLOBAL__N_116CompareEqFunctorIS5_EEEEEEvRNS_18TensorIteratorBaseERKT_EUlibE_EEviT1_.private_seg_size, 0
	.set _ZN2at6native32elementwise_kernel_manual_unrollILi128ELi4EZNS0_15gpu_kernel_implINS0_13BinaryFunctorIN3c104HalfES5_bNS0_12_GLOBAL__N_116CompareEqFunctorIS5_EEEEEEvRNS_18TensorIteratorBaseERKT_EUlibE_EEviT1_.uses_vcc, 1
	.set _ZN2at6native32elementwise_kernel_manual_unrollILi128ELi4EZNS0_15gpu_kernel_implINS0_13BinaryFunctorIN3c104HalfES5_bNS0_12_GLOBAL__N_116CompareEqFunctorIS5_EEEEEEvRNS_18TensorIteratorBaseERKT_EUlibE_EEviT1_.uses_flat_scratch, 0
	.set _ZN2at6native32elementwise_kernel_manual_unrollILi128ELi4EZNS0_15gpu_kernel_implINS0_13BinaryFunctorIN3c104HalfES5_bNS0_12_GLOBAL__N_116CompareEqFunctorIS5_EEEEEEvRNS_18TensorIteratorBaseERKT_EUlibE_EEviT1_.has_dyn_sized_stack, 0
	.set _ZN2at6native32elementwise_kernel_manual_unrollILi128ELi4EZNS0_15gpu_kernel_implINS0_13BinaryFunctorIN3c104HalfES5_bNS0_12_GLOBAL__N_116CompareEqFunctorIS5_EEEEEEvRNS_18TensorIteratorBaseERKT_EUlibE_EEviT1_.has_recursion, 0
	.set _ZN2at6native32elementwise_kernel_manual_unrollILi128ELi4EZNS0_15gpu_kernel_implINS0_13BinaryFunctorIN3c104HalfES5_bNS0_12_GLOBAL__N_116CompareEqFunctorIS5_EEEEEEvRNS_18TensorIteratorBaseERKT_EUlibE_EEviT1_.has_indirect_call, 0
	.section	.AMDGPU.csdata,"",@progbits
; Kernel info:
; codeLenInByte = 64236
; TotalNumSgprs: 39
; NumVgprs: 18
; ScratchSize: 0
; MemoryBound: 0
; FloatMode: 240
; IeeeMode: 1
; LDSByteSize: 0 bytes/workgroup (compile time only)
; SGPRBlocks: 0
; VGPRBlocks: 1
; NumSGPRsForWavesPerEU: 39
; NumVGPRsForWavesPerEU: 18
; NamedBarCnt: 0
; Occupancy: 16
; WaveLimiterHint : 0
; COMPUTE_PGM_RSRC2:SCRATCH_EN: 0
; COMPUTE_PGM_RSRC2:USER_SGPR: 2
; COMPUTE_PGM_RSRC2:TRAP_HANDLER: 0
; COMPUTE_PGM_RSRC2:TGID_X_EN: 1
; COMPUTE_PGM_RSRC2:TGID_Y_EN: 0
; COMPUTE_PGM_RSRC2:TGID_Z_EN: 0
; COMPUTE_PGM_RSRC2:TIDIG_COMP_CNT: 0
	.section	.text._ZN2at6native32elementwise_kernel_manual_unrollILi128ELi4EZNS0_15gpu_kernel_implINS0_13BinaryFunctorIN3c104HalfES5_bNS0_12_GLOBAL__N_116CompareEqFunctorIS5_EEEEEEvRNS_18TensorIteratorBaseERKT_EUlibE0_EEviT1_,"axG",@progbits,_ZN2at6native32elementwise_kernel_manual_unrollILi128ELi4EZNS0_15gpu_kernel_implINS0_13BinaryFunctorIN3c104HalfES5_bNS0_12_GLOBAL__N_116CompareEqFunctorIS5_EEEEEEvRNS_18TensorIteratorBaseERKT_EUlibE0_EEviT1_,comdat
	.globl	_ZN2at6native32elementwise_kernel_manual_unrollILi128ELi4EZNS0_15gpu_kernel_implINS0_13BinaryFunctorIN3c104HalfES5_bNS0_12_GLOBAL__N_116CompareEqFunctorIS5_EEEEEEvRNS_18TensorIteratorBaseERKT_EUlibE0_EEviT1_ ; -- Begin function _ZN2at6native32elementwise_kernel_manual_unrollILi128ELi4EZNS0_15gpu_kernel_implINS0_13BinaryFunctorIN3c104HalfES5_bNS0_12_GLOBAL__N_116CompareEqFunctorIS5_EEEEEEvRNS_18TensorIteratorBaseERKT_EUlibE0_EEviT1_
	.p2align	8
	.type	_ZN2at6native32elementwise_kernel_manual_unrollILi128ELi4EZNS0_15gpu_kernel_implINS0_13BinaryFunctorIN3c104HalfES5_bNS0_12_GLOBAL__N_116CompareEqFunctorIS5_EEEEEEvRNS_18TensorIteratorBaseERKT_EUlibE0_EEviT1_,@function
_ZN2at6native32elementwise_kernel_manual_unrollILi128ELi4EZNS0_15gpu_kernel_implINS0_13BinaryFunctorIN3c104HalfES5_bNS0_12_GLOBAL__N_116CompareEqFunctorIS5_EEEEEEvRNS_18TensorIteratorBaseERKT_EUlibE0_EEviT1_: ; @_ZN2at6native32elementwise_kernel_manual_unrollILi128ELi4EZNS0_15gpu_kernel_implINS0_13BinaryFunctorIN3c104HalfES5_bNS0_12_GLOBAL__N_116CompareEqFunctorIS5_EEEEEEvRNS_18TensorIteratorBaseERKT_EUlibE0_EEviT1_
; %bb.0:
	s_clause 0x1
	s_load_b32 s30, s[0:1], 0x8
	s_load_b32 s39, s[0:1], 0x0
	s_bfe_u32 s2, ttmp6, 0x4000c
	s_and_b32 s3, ttmp6, 15
	s_add_co_i32 s2, s2, 1
	s_getreg_b32 s4, hwreg(HW_REG_IB_STS2, 6, 4)
	s_mul_i32 s2, ttmp9, s2
	s_mov_b32 s33, 0
	s_add_co_i32 s3, s3, s2
	s_cmp_eq_u32 s4, 0
	s_mov_b32 s29, -1
	s_cselect_b32 s2, ttmp9, s3
	s_add_nc_u64 s[20:21], s[0:1], 8
	v_lshl_or_b32 v0, s2, 9, v0
	s_mov_b32 s3, 0
	s_wait_xcnt 0x0
	s_mov_b32 s0, exec_lo
	s_delay_alu instid0(VALU_DEP_1) | instskip(SKIP_2) | instid1(SALU_CYCLE_1)
	v_or_b32_e32 v1, 0x180, v0
	s_wait_kmcnt 0x0
	s_add_co_i32 s31, s30, -1
	s_cmp_gt_u32 s31, 1
	s_cselect_b32 s34, -1, 0
	v_cmpx_le_i32_e64 s39, v1
	s_xor_b32 s35, exec_lo, s0
	s_cbranch_execz .LBB183_1593
; %bb.1:
	s_clause 0x4
	s_load_b128 s[12:15], s[20:21], 0x4
	s_load_b256 s[4:11], s[20:21], 0x188
	s_load_b64 s[2:3], s[20:21], 0x14
	s_load_b128 s[16:19], s[20:21], 0xc4
	s_load_b64 s[24:25], s[20:21], 0xd4
	s_cmp_lg_u32 s30, 0
	s_mov_b32 s23, 0
	s_cselect_b32 s40, -1, 0
	s_min_u32 s38, s31, 15
	s_cmp_gt_u32 s30, 1
	s_mov_b32 s27, s23
	s_cselect_b32 s37, -1, 0
	s_mov_b32 s42, s23
	s_mov_b32 s41, s23
	s_mov_b32 s43, exec_lo
	s_wait_kmcnt 0x0
	s_mov_b32 s22, s13
	s_lshr_b32 s36, s11, 8
	s_lshr_b32 s13, s11, 16
	s_cmp_eq_u32 s10, 0
	s_mov_b32 s26, s2
	s_cselect_b32 s0, -1, 0
	s_mov_b32 s10, s23
	v_cmpx_gt_i32_e64 s39, v0
	s_cbranch_execz .LBB183_393
; %bb.2:
	s_and_not1_b32 vcc_lo, exec_lo, s34
	s_cbranch_vccnz .LBB183_8
; %bb.3:
	s_and_not1_b32 vcc_lo, exec_lo, s40
	s_cbranch_vccnz .LBB183_9
; %bb.4:
	v_dual_mov_b32 v2, 0 :: v_dual_mov_b32 v1, v0
	v_dual_mov_b32 v6, 0 :: v_dual_mov_b32 v4, 0
	s_add_co_i32 s1, s38, 1
	s_mov_b64 s[28:29], 0xffffffffffffffe8
	s_and_b32 s1, s1, 30
	s_add_nc_u64 s[28:29], s[20:21], s[28:29]
.LBB183_5:                              ; =>This Inner Loop Header: Depth=1
	s_clause 0x1
	s_load_b128 s[44:47], s[28:29], 0x1c
	s_load_b64 s[52:53], s[28:29], 0x2c
	s_add_co_i32 s1, s1, -2
	s_delay_alu instid0(SALU_CYCLE_1) | instskip(SKIP_2) | instid1(VALU_DEP_1)
	s_cmp_lg_u32 s1, 0
	s_wait_kmcnt 0x0
	v_mul_hi_u32 v3, s45, v1
	v_add_nc_u32_e32 v3, v1, v3
	s_delay_alu instid0(VALU_DEP_1) | instskip(NEXT) | instid1(VALU_DEP_1)
	v_lshrrev_b32_e32 v3, s46, v3
	v_mul_hi_u32 v5, s52, v3
	v_mul_lo_u32 v7, v3, s44
	s_clause 0x1
	s_load_b128 s[48:51], s[28:29], 0xdc
	s_load_b64 s[44:45], s[28:29], 0xec
	s_wait_xcnt 0x0
	s_add_nc_u64 s[28:29], s[28:29], 24
	s_delay_alu instid0(VALU_DEP_1) | instskip(NEXT) | instid1(VALU_DEP_1)
	v_dual_add_nc_u32 v5, v3, v5 :: v_dual_sub_nc_u32 v7, v1, v7
	v_lshrrev_b32_e32 v1, s53, v5
	s_wait_kmcnt 0x0
	s_delay_alu instid0(VALU_DEP_2) | instskip(NEXT) | instid1(VALU_DEP_2)
	v_mad_u32 v2, v7, s48, v2
	v_mul_lo_u32 v5, v1, s47
	v_mad_u32 v4, v7, s50, v4
	v_mad_u32 v6, v7, s49, v6
	s_delay_alu instid0(VALU_DEP_3) | instskip(NEXT) | instid1(VALU_DEP_1)
	v_sub_nc_u32_e32 v3, v3, v5
	v_mad_u32 v2, v3, s51, v2
	s_delay_alu instid0(VALU_DEP_4) | instskip(NEXT) | instid1(VALU_DEP_4)
	v_mad_u32 v4, v3, s45, v4
	v_mad_u32 v6, v3, s44, v6
	s_cbranch_scc1 .LBB183_5
; %bb.6:
	s_bitcmp1_b32 s38, 0
	s_cselect_b32 s1, -1, 0
	s_delay_alu instid0(SALU_CYCLE_1)
	s_and_b32 vcc_lo, exec_lo, s1
	s_cbranch_vccnz .LBB183_10
; %bb.7:
	s_clause 0x1
	s_load_b96 s[44:46], s[28:29], 0x1c
	s_load_b96 s[48:50], s[28:29], 0xdc
	s_wait_kmcnt 0x0
	v_mul_hi_u32 v3, s45, v1
	s_delay_alu instid0(VALU_DEP_1) | instskip(NEXT) | instid1(VALU_DEP_1)
	v_add_nc_u32_e32 v3, v1, v3
	v_lshrrev_b32_e32 v3, s46, v3
	s_delay_alu instid0(VALU_DEP_1) | instskip(NEXT) | instid1(VALU_DEP_1)
	v_mul_lo_u32 v3, v3, s44
	v_sub_nc_u32_e32 v1, v1, v3
	s_delay_alu instid0(VALU_DEP_1)
	v_mad_u32 v2, v1, s48, v2
	v_mad_u32 v6, v1, s49, v6
	;; [unrolled: 1-line block ×3, first 2 shown]
	s_cbranch_execz .LBB183_11
	s_branch .LBB183_13
.LBB183_8:
                                        ; implicit-def: $vgpr4
                                        ; implicit-def: $vgpr6
                                        ; implicit-def: $vgpr2
	s_branch .LBB183_11
.LBB183_9:
	v_dual_mov_b32 v4, 0 :: v_dual_mov_b32 v6, 0
	v_mov_b32_e32 v2, 0
.LBB183_10:
	s_cbranch_execnz .LBB183_13
.LBB183_11:
	v_mov_b32_e32 v1, 0
	s_and_not1_b32 vcc_lo, exec_lo, s37
	s_delay_alu instid0(VALU_DEP_1) | instskip(NEXT) | instid1(VALU_DEP_1)
	v_mul_u64_e32 v[2:3], s[22:23], v[0:1]
	v_add_nc_u32_e32 v2, v0, v3
	s_delay_alu instid0(VALU_DEP_1) | instskip(NEXT) | instid1(VALU_DEP_1)
	v_lshrrev_b32_e32 v8, s14, v2
	v_mul_lo_u32 v2, v8, s12
	s_delay_alu instid0(VALU_DEP_1) | instskip(NEXT) | instid1(VALU_DEP_1)
	v_sub_nc_u32_e32 v3, v0, v2
	v_mul_lo_u32 v2, v3, s16
	v_mul_lo_u32 v4, v3, s18
	;; [unrolled: 1-line block ×3, first 2 shown]
	s_cbranch_vccnz .LBB183_13
; %bb.12:
	v_mov_b32_e32 v9, v1
	s_delay_alu instid0(VALU_DEP_1) | instskip(NEXT) | instid1(VALU_DEP_1)
	v_mul_u64_e32 v[10:11], s[26:27], v[8:9]
	v_add_nc_u32_e32 v1, v8, v11
	s_delay_alu instid0(VALU_DEP_1) | instskip(NEXT) | instid1(VALU_DEP_1)
	v_lshrrev_b32_e32 v1, s3, v1
	v_mul_lo_u32 v1, v1, s15
	s_delay_alu instid0(VALU_DEP_1) | instskip(NEXT) | instid1(VALU_DEP_1)
	v_sub_nc_u32_e32 v1, v8, v1
	v_mad_u32 v2, v1, s19, v2
	v_mad_u32 v6, v1, s24, v6
	v_mad_u32 v4, v1, s25, v4
.LBB183_13:
	v_mov_b32_e32 v7, 0
	s_and_b32 s1, s36, 0xff
	s_delay_alu instid0(SALU_CYCLE_1) | instskip(NEXT) | instid1(VALU_DEP_1)
	s_cmp_lt_i32 s1, 11
	v_add_nc_u64_e32 v[6:7], s[6:7], v[6:7]
	s_cbranch_scc1 .LBB183_20
; %bb.14:
	s_and_b32 s2, 0xffff, s1
	s_delay_alu instid0(SALU_CYCLE_1)
	s_cmp_gt_i32 s2, 25
	s_cbranch_scc0 .LBB183_29
; %bb.15:
	s_cmp_gt_i32 s2, 28
	s_cbranch_scc0 .LBB183_39
; %bb.16:
	;; [unrolled: 3-line block ×4, first 2 shown]
	s_cmp_eq_u32 s2, 46
	s_mov_b32 s29, 0
	s_cbranch_scc0 .LBB183_48
; %bb.19:
	global_load_b32 v1, v[6:7], off
	s_mov_b32 s10, -1
	s_mov_b32 s28, 0
	s_wait_loadcnt 0x0
	v_lshlrev_b32_e32 v1, 16, v1
	s_delay_alu instid0(VALU_DEP_1)
	v_cvt_f16_f32_e32 v1, v1
	s_branch .LBB183_50
.LBB183_20:
	s_mov_b32 s28, 0
	s_mov_b32 s10, 0
                                        ; implicit-def: $vgpr1
	s_cbranch_execnz .LBB183_116
.LBB183_21:
	s_and_not1_b32 vcc_lo, exec_lo, s10
	s_cbranch_vccnz .LBB183_163
.LBB183_22:
	v_mov_b32_e32 v5, 0
	s_and_b32 s1, s13, 0xff
	s_delay_alu instid0(SALU_CYCLE_1) | instskip(NEXT) | instid1(VALU_DEP_1)
	s_cmp_lt_i32 s1, 11
	v_add_nc_u64_e32 v[4:5], s[8:9], v[4:5]
	s_cbranch_scc1 .LBB183_30
; %bb.23:
	s_and_b32 s2, 0xffff, s1
	s_delay_alu instid0(SALU_CYCLE_1)
	s_cmp_gt_i32 s2, 25
	s_cbranch_scc0 .LBB183_40
; %bb.24:
	s_cmp_gt_i32 s2, 28
	s_cbranch_scc0 .LBB183_43
; %bb.25:
	;; [unrolled: 3-line block ×4, first 2 shown]
	s_cmp_eq_u32 s2, 46
	s_mov_b32 s41, 0
	s_cbranch_scc0 .LBB183_164
; %bb.28:
	global_load_b32 v3, v[4:5], off
	s_mov_b32 s10, -1
	s_mov_b32 s29, 0
	s_wait_loadcnt 0x0
	v_lshlrev_b32_e32 v3, 16, v3
	s_delay_alu instid0(VALU_DEP_1)
	v_cvt_f16_f32_e32 v3, v3
	s_branch .LBB183_166
.LBB183_29:
	s_mov_b32 s28, 0
	s_mov_b32 s10, 0
                                        ; implicit-def: $vgpr1
	s_cbranch_execnz .LBB183_81
	s_branch .LBB183_115
.LBB183_30:
	s_mov_b32 s29, 0
	s_mov_b32 s10, 0
                                        ; implicit-def: $vgpr3
	s_cbranch_execnz .LBB183_342
.LBB183_31:
	s_and_not1_b32 vcc_lo, exec_lo, s10
	s_cbranch_vccnz .LBB183_390
.LBB183_32:
	s_wait_loadcnt 0x0
	s_delay_alu instid0(VALU_DEP_1) | instskip(SKIP_1) | instid1(SALU_CYCLE_1)
	v_cmp_eq_f16_e32 vcc_lo, v1, v3
	s_and_b32 s10, s11, 0xff
	s_cmp_lt_i32 s10, 11
	v_cndmask_b32_e64 v4, 0, 1, vcc_lo
	v_cmp_neq_f16_e32 vcc_lo, v1, v3
	v_mov_b32_e32 v3, 0
	v_cndmask_b32_e64 v1, 0, 1, vcc_lo
	s_delay_alu instid0(VALU_DEP_2) | instskip(NEXT) | instid1(VALU_DEP_2)
	v_add_nc_u64_e32 v[2:3], s[4:5], v[2:3]
	v_cndmask_b32_e64 v1, v1, v4, s0
	s_delay_alu instid0(VALU_DEP_1) | instskip(NEXT) | instid1(VALU_DEP_1)
	v_and_b32_e32 v1, 1, v1
	v_cmp_eq_u32_e64 s1, 1, v1
	s_cbranch_scc1 .LBB183_41
; %bb.33:
	s_and_b32 s41, 0xffff, s10
	s_delay_alu instid0(SALU_CYCLE_1)
	s_cmp_gt_i32 s41, 25
	s_cbranch_scc0 .LBB183_44
; %bb.34:
	s_cmp_gt_i32 s41, 28
	s_cbranch_scc0 .LBB183_47
; %bb.35:
	;; [unrolled: 3-line block ×4, first 2 shown]
	s_mov_b32 s44, 0
	s_mov_b32 s2, -1
	s_cmp_eq_u32 s41, 46
	s_mov_b32 s42, 0
	s_cbranch_scc0 .LBB183_170
; %bb.38:
	v_cndmask_b32_e64 v1, 0, 1.0, s1
	s_mov_b32 s42, -1
	s_mov_b32 s2, 0
	s_delay_alu instid0(VALU_DEP_1) | instskip(NEXT) | instid1(VALU_DEP_1)
	v_bfe_u32 v4, v1, 16, 1
	v_add3_u32 v1, v1, v4, 0x7fff
	s_delay_alu instid0(VALU_DEP_1)
	v_lshrrev_b32_e32 v1, 16, v1
	global_store_b32 v[2:3], v1, off
	s_branch .LBB183_170
.LBB183_39:
	s_mov_b32 s29, -1
	s_mov_b32 s28, 0
	s_mov_b32 s10, 0
                                        ; implicit-def: $vgpr1
	s_branch .LBB183_62
.LBB183_40:
	s_mov_b32 s41, -1
	s_mov_b32 s29, 0
	s_mov_b32 s10, 0
                                        ; implicit-def: $vgpr3
	s_branch .LBB183_306
.LBB183_41:
	s_mov_b32 s41, -1
	s_mov_b32 s2, 0
	s_mov_b32 s42, 0
	s_branch .LBB183_239
.LBB183_42:
	s_mov_b32 s29, -1
	s_mov_b32 s28, 0
	s_mov_b32 s10, 0
                                        ; implicit-def: $vgpr1
	s_branch .LBB183_57
.LBB183_43:
	s_mov_b32 s41, -1
	s_mov_b32 s29, 0
	s_mov_b32 s10, 0
                                        ; implicit-def: $vgpr3
	s_branch .LBB183_287
.LBB183_44:
	s_mov_b32 s44, -1
	s_mov_b32 s2, 0
	s_mov_b32 s42, 0
	s_branch .LBB183_197
.LBB183_45:
	s_mov_b32 s29, -1
	s_mov_b32 s28, 0
	s_branch .LBB183_49
.LBB183_46:
	s_mov_b32 s41, -1
	s_mov_b32 s29, 0
	s_mov_b32 s10, 0
                                        ; implicit-def: $vgpr3
	s_branch .LBB183_282
.LBB183_47:
	s_mov_b32 s44, -1
	s_mov_b32 s2, 0
	s_mov_b32 s42, 0
	s_branch .LBB183_180
.LBB183_48:
	s_mov_b32 s28, -1
.LBB183_49:
	s_mov_b32 s10, 0
                                        ; implicit-def: $vgpr1
.LBB183_50:
	s_and_b32 vcc_lo, exec_lo, s29
	s_cbranch_vccz .LBB183_56
; %bb.51:
	s_cmp_eq_u32 s2, 44
	s_cbranch_scc0 .LBB183_55
; %bb.52:
	global_load_u8 v1, v[6:7], off
	s_mov_b32 s28, 0
	s_mov_b32 s10, -1
	s_wait_loadcnt 0x0
	v_lshlrev_b32_e32 v3, 23, v1
	v_cmp_ne_u32_e32 vcc_lo, 0xff, v1
	s_delay_alu instid0(VALU_DEP_2) | instskip(NEXT) | instid1(VALU_DEP_1)
	v_cvt_f16_f32_e32 v3, v3
	v_cndmask_b32_e32 v3, 0x7e00, v3, vcc_lo
	v_cmp_ne_u32_e32 vcc_lo, 0, v1
	s_delay_alu instid0(VALU_DEP_2)
	v_cndmask_b32_e32 v1, 0, v3, vcc_lo
	s_branch .LBB183_56
.LBB183_53:
	s_mov_b32 s41, -1
	s_mov_b32 s29, 0
	s_branch .LBB183_165
.LBB183_54:
	s_mov_b32 s44, -1
	s_mov_b32 s2, 0
	s_mov_b32 s42, 0
	s_branch .LBB183_176
.LBB183_55:
	s_mov_b32 s28, -1
                                        ; implicit-def: $vgpr1
.LBB183_56:
	s_mov_b32 s29, 0
.LBB183_57:
	s_delay_alu instid0(SALU_CYCLE_1)
	s_and_b32 vcc_lo, exec_lo, s29
	s_cbranch_vccz .LBB183_61
; %bb.58:
	s_cmp_eq_u32 s2, 29
	s_cbranch_scc0 .LBB183_60
; %bb.59:
	global_load_b64 v[8:9], v[6:7], off
	s_mov_b32 s10, -1
	s_mov_b32 s28, 0
	s_mov_b32 s29, 0
	s_wait_loadcnt 0x0
	v_clz_i32_u32_e32 v1, v9
	s_delay_alu instid0(VALU_DEP_1) | instskip(NEXT) | instid1(VALU_DEP_1)
	v_min_u32_e32 v1, 32, v1
	v_lshlrev_b64_e32 v[8:9], v1, v[8:9]
	v_sub_nc_u32_e32 v1, 32, v1
	s_delay_alu instid0(VALU_DEP_2) | instskip(NEXT) | instid1(VALU_DEP_1)
	v_min_u32_e32 v3, 1, v8
	v_or_b32_e32 v3, v9, v3
	s_delay_alu instid0(VALU_DEP_1) | instskip(NEXT) | instid1(VALU_DEP_1)
	v_cvt_f32_u32_e32 v3, v3
	v_ldexp_f32 v1, v3, v1
	s_delay_alu instid0(VALU_DEP_1)
	v_cvt_f16_f32_e32 v1, v1
	s_branch .LBB183_62
.LBB183_60:
	s_mov_b32 s28, -1
                                        ; implicit-def: $vgpr1
.LBB183_61:
	s_mov_b32 s29, 0
.LBB183_62:
	s_delay_alu instid0(SALU_CYCLE_1)
	s_and_b32 vcc_lo, exec_lo, s29
	s_cbranch_vccz .LBB183_80
; %bb.63:
	s_cmp_lt_i32 s2, 27
	s_cbranch_scc1 .LBB183_66
; %bb.64:
	s_cmp_gt_i32 s2, 27
	s_cbranch_scc0 .LBB183_67
; %bb.65:
	global_load_b32 v1, v[6:7], off
	s_mov_b32 s10, 0
	s_wait_loadcnt 0x0
	v_cvt_f32_u32_e32 v1, v1
	s_delay_alu instid0(VALU_DEP_1)
	v_cvt_f16_f32_e32 v1, v1
	s_branch .LBB183_68
.LBB183_66:
	s_mov_b32 s10, -1
                                        ; implicit-def: $vgpr1
	s_branch .LBB183_71
.LBB183_67:
	s_mov_b32 s10, -1
                                        ; implicit-def: $vgpr1
.LBB183_68:
	s_delay_alu instid0(SALU_CYCLE_1)
	s_and_not1_b32 vcc_lo, exec_lo, s10
	s_cbranch_vccnz .LBB183_70
; %bb.69:
	global_load_u16 v1, v[6:7], off
	s_wait_loadcnt 0x0
	v_cvt_f16_u16_e32 v1, v1
.LBB183_70:
	s_mov_b32 s10, 0
.LBB183_71:
	s_delay_alu instid0(SALU_CYCLE_1)
	s_and_not1_b32 vcc_lo, exec_lo, s10
	s_cbranch_vccnz .LBB183_79
; %bb.72:
	global_load_u8 v3, v[6:7], off
	s_mov_b32 s10, 0
	s_mov_b32 s29, exec_lo
	s_wait_loadcnt 0x0
	v_cmpx_lt_i16_e32 0x7f, v3
	s_xor_b32 s29, exec_lo, s29
	s_cbranch_execz .LBB183_92
; %bb.73:
	s_mov_b32 s10, -1
	s_mov_b32 s41, exec_lo
	v_cmpx_eq_u16_e32 0x80, v3
; %bb.74:
	s_xor_b32 s10, exec_lo, -1
; %bb.75:
	s_or_b32 exec_lo, exec_lo, s41
	s_delay_alu instid0(SALU_CYCLE_1)
	s_and_b32 s10, s10, exec_lo
	s_or_saveexec_b32 s29, s29
	v_mov_b32_e32 v1, 0x7e00
	s_xor_b32 exec_lo, exec_lo, s29
	s_cbranch_execnz .LBB183_93
.LBB183_76:
	s_or_b32 exec_lo, exec_lo, s29
	s_and_saveexec_b32 s29, s10
	s_cbranch_execz .LBB183_78
.LBB183_77:
	v_and_b32_e32 v1, 0xffff, v3
	s_delay_alu instid0(VALU_DEP_1) | instskip(SKIP_1) | instid1(VALU_DEP_2)
	v_and_b32_e32 v5, 7, v1
	v_bfe_u32 v10, v1, 3, 4
	v_clz_i32_u32_e32 v8, v5
	s_delay_alu instid0(VALU_DEP_2) | instskip(NEXT) | instid1(VALU_DEP_2)
	v_cmp_eq_u32_e32 vcc_lo, 0, v10
	v_min_u32_e32 v8, 32, v8
	s_delay_alu instid0(VALU_DEP_1) | instskip(NEXT) | instid1(VALU_DEP_1)
	v_subrev_nc_u32_e32 v9, 28, v8
	v_dual_lshlrev_b32 v1, v9, v1 :: v_dual_sub_nc_u32 v8, 29, v8
	s_delay_alu instid0(VALU_DEP_1) | instskip(NEXT) | instid1(VALU_DEP_1)
	v_dual_lshlrev_b32 v3, 24, v3 :: v_dual_bitop2_b32 v1, 7, v1 bitop3:0x40
	v_dual_cndmask_b32 v8, v10, v8 :: v_dual_cndmask_b32 v1, v5, v1
	s_delay_alu instid0(VALU_DEP_2) | instskip(NEXT) | instid1(VALU_DEP_2)
	v_and_b32_e32 v3, 0x80000000, v3
	v_lshl_add_u32 v5, v8, 23, 0x3b800000
	s_delay_alu instid0(VALU_DEP_3) | instskip(NEXT) | instid1(VALU_DEP_1)
	v_lshlrev_b32_e32 v1, 20, v1
	v_or3_b32 v1, v3, v5, v1
	s_delay_alu instid0(VALU_DEP_1)
	v_cvt_f16_f32_e32 v1, v1
.LBB183_78:
	s_or_b32 exec_lo, exec_lo, s29
.LBB183_79:
	s_mov_b32 s10, -1
.LBB183_80:
	s_branch .LBB183_115
.LBB183_81:
	s_cmp_gt_i32 s2, 22
	s_cbranch_scc0 .LBB183_91
; %bb.82:
	s_cmp_lt_i32 s2, 24
	s_cbranch_scc1 .LBB183_94
; %bb.83:
	s_cmp_gt_i32 s2, 24
	s_cbranch_scc0 .LBB183_95
; %bb.84:
	global_load_u8 v3, v[6:7], off
	s_mov_b32 s10, 0
	s_mov_b32 s29, exec_lo
	s_wait_loadcnt 0x0
	v_cmpx_lt_i16_e32 0x7f, v3
	s_xor_b32 s29, exec_lo, s29
	s_cbranch_execz .LBB183_107
; %bb.85:
	s_mov_b32 s10, -1
	s_mov_b32 s41, exec_lo
	v_cmpx_eq_u16_e32 0x80, v3
; %bb.86:
	s_xor_b32 s10, exec_lo, -1
; %bb.87:
	s_or_b32 exec_lo, exec_lo, s41
	s_delay_alu instid0(SALU_CYCLE_1)
	s_and_b32 s10, s10, exec_lo
	s_or_saveexec_b32 s29, s29
	v_mov_b32_e32 v1, 0x7e00
	s_xor_b32 exec_lo, exec_lo, s29
	s_cbranch_execnz .LBB183_108
.LBB183_88:
	s_or_b32 exec_lo, exec_lo, s29
	s_and_saveexec_b32 s29, s10
	s_cbranch_execz .LBB183_90
.LBB183_89:
	v_and_b32_e32 v1, 0xffff, v3
	s_delay_alu instid0(VALU_DEP_1) | instskip(SKIP_1) | instid1(VALU_DEP_2)
	v_and_b32_e32 v5, 3, v1
	v_bfe_u32 v10, v1, 2, 5
	v_clz_i32_u32_e32 v8, v5
	s_delay_alu instid0(VALU_DEP_2) | instskip(NEXT) | instid1(VALU_DEP_2)
	v_cmp_eq_u32_e32 vcc_lo, 0, v10
	v_min_u32_e32 v8, 32, v8
	s_delay_alu instid0(VALU_DEP_1) | instskip(NEXT) | instid1(VALU_DEP_1)
	v_subrev_nc_u32_e32 v9, 29, v8
	v_dual_lshlrev_b32 v1, v9, v1 :: v_dual_sub_nc_u32 v8, 30, v8
	s_delay_alu instid0(VALU_DEP_1) | instskip(NEXT) | instid1(VALU_DEP_1)
	v_dual_lshlrev_b32 v3, 24, v3 :: v_dual_bitop2_b32 v1, 3, v1 bitop3:0x40
	v_dual_cndmask_b32 v8, v10, v8 :: v_dual_cndmask_b32 v1, v5, v1
	s_delay_alu instid0(VALU_DEP_2) | instskip(NEXT) | instid1(VALU_DEP_2)
	v_and_b32_e32 v3, 0x80000000, v3
	v_lshl_add_u32 v5, v8, 23, 0x37800000
	s_delay_alu instid0(VALU_DEP_3) | instskip(NEXT) | instid1(VALU_DEP_1)
	v_lshlrev_b32_e32 v1, 21, v1
	v_or3_b32 v1, v3, v5, v1
	s_delay_alu instid0(VALU_DEP_1)
	v_cvt_f16_f32_e32 v1, v1
.LBB183_90:
	s_or_b32 exec_lo, exec_lo, s29
	s_mov_b32 s10, 0
	s_branch .LBB183_96
.LBB183_91:
	s_mov_b32 s29, -1
                                        ; implicit-def: $vgpr1
	s_branch .LBB183_102
.LBB183_92:
	s_or_saveexec_b32 s29, s29
	v_mov_b32_e32 v1, 0x7e00
	s_xor_b32 exec_lo, exec_lo, s29
	s_cbranch_execz .LBB183_76
.LBB183_93:
	v_cmp_ne_u16_e32 vcc_lo, 0, v3
	v_mov_b32_e32 v1, v3
	s_and_not1_b32 s10, s10, exec_lo
	s_and_b32 s41, vcc_lo, exec_lo
	s_delay_alu instid0(SALU_CYCLE_1)
	s_or_b32 s10, s10, s41
	s_or_b32 exec_lo, exec_lo, s29
	s_and_saveexec_b32 s29, s10
	s_cbranch_execnz .LBB183_77
	s_branch .LBB183_78
.LBB183_94:
	s_mov_b32 s10, -1
                                        ; implicit-def: $vgpr1
	s_branch .LBB183_99
.LBB183_95:
	s_mov_b32 s10, -1
                                        ; implicit-def: $vgpr1
.LBB183_96:
	s_delay_alu instid0(SALU_CYCLE_1)
	s_and_b32 vcc_lo, exec_lo, s10
	s_cbranch_vccz .LBB183_98
; %bb.97:
	global_load_u8 v1, v[6:7], off
	s_wait_loadcnt 0x0
	v_lshlrev_b32_e32 v1, 24, v1
	s_delay_alu instid0(VALU_DEP_1) | instskip(NEXT) | instid1(VALU_DEP_1)
	v_and_b32_e32 v3, 0x7f000000, v1
	v_clz_i32_u32_e32 v5, v3
	v_add_nc_u32_e32 v9, 0x1000000, v3
	v_cmp_ne_u32_e32 vcc_lo, 0, v3
	s_delay_alu instid0(VALU_DEP_3) | instskip(NEXT) | instid1(VALU_DEP_1)
	v_min_u32_e32 v5, 32, v5
	v_sub_nc_u32_e64 v5, v5, 4 clamp
	s_delay_alu instid0(VALU_DEP_1) | instskip(NEXT) | instid1(VALU_DEP_1)
	v_dual_lshlrev_b32 v8, v5, v3 :: v_dual_lshlrev_b32 v5, 23, v5
	v_lshrrev_b32_e32 v8, 4, v8
	s_delay_alu instid0(VALU_DEP_1) | instskip(SKIP_1) | instid1(VALU_DEP_2)
	v_sub_nc_u32_e32 v5, v8, v5
	v_ashrrev_i32_e32 v8, 8, v9
	v_add_nc_u32_e32 v5, 0x3c000000, v5
	s_delay_alu instid0(VALU_DEP_1) | instskip(NEXT) | instid1(VALU_DEP_1)
	v_and_or_b32 v5, 0x7f800000, v8, v5
	v_cndmask_b32_e32 v3, 0, v5, vcc_lo
	s_delay_alu instid0(VALU_DEP_1) | instskip(NEXT) | instid1(VALU_DEP_1)
	v_and_or_b32 v1, 0x80000000, v1, v3
	v_cvt_f16_f32_e32 v1, v1
.LBB183_98:
	s_mov_b32 s10, 0
.LBB183_99:
	s_delay_alu instid0(SALU_CYCLE_1)
	s_and_not1_b32 vcc_lo, exec_lo, s10
	s_cbranch_vccnz .LBB183_101
; %bb.100:
	global_load_u8 v1, v[6:7], off
	s_wait_loadcnt 0x0
	v_lshlrev_b32_e32 v3, 25, v1
	v_lshlrev_b16 v1, 8, v1
	s_delay_alu instid0(VALU_DEP_1) | instskip(SKIP_1) | instid1(VALU_DEP_2)
	v_and_or_b32 v8, 0x7f00, v1, 0.5
	v_bfe_i32 v1, v1, 0, 16
	v_dual_add_f32 v8, -0.5, v8 :: v_dual_lshrrev_b32 v5, 4, v3
	v_cmp_gt_u32_e32 vcc_lo, 0x8000000, v3
	s_delay_alu instid0(VALU_DEP_2) | instskip(NEXT) | instid1(VALU_DEP_1)
	v_or_b32_e32 v5, 0x70000000, v5
	v_mul_f32_e32 v5, 0x7800000, v5
	s_delay_alu instid0(VALU_DEP_1) | instskip(NEXT) | instid1(VALU_DEP_1)
	v_cndmask_b32_e32 v3, v5, v8, vcc_lo
	v_and_or_b32 v1, 0x80000000, v1, v3
	s_delay_alu instid0(VALU_DEP_1)
	v_cvt_f16_f32_e32 v1, v1
.LBB183_101:
	s_mov_b32 s29, 0
	s_mov_b32 s10, -1
.LBB183_102:
	s_and_not1_b32 vcc_lo, exec_lo, s29
	s_cbranch_vccnz .LBB183_115
; %bb.103:
	s_cmp_gt_i32 s2, 14
	s_cbranch_scc0 .LBB183_106
; %bb.104:
	s_cmp_eq_u32 s2, 15
	s_cbranch_scc0 .LBB183_109
; %bb.105:
	global_load_u16 v1, v[6:7], off
	s_mov_b32 s10, -1
	s_mov_b32 s28, 0
	s_wait_loadcnt 0x0
	v_lshlrev_b32_e32 v1, 16, v1
	s_delay_alu instid0(VALU_DEP_1)
	v_cvt_f16_f32_e32 v1, v1
	s_branch .LBB183_110
.LBB183_106:
	s_mov_b32 s29, -1
                                        ; implicit-def: $vgpr1
	s_branch .LBB183_111
.LBB183_107:
	s_or_saveexec_b32 s29, s29
	v_mov_b32_e32 v1, 0x7e00
	s_xor_b32 exec_lo, exec_lo, s29
	s_cbranch_execz .LBB183_88
.LBB183_108:
	v_cmp_ne_u16_e32 vcc_lo, 0, v3
	v_mov_b32_e32 v1, v3
	s_and_not1_b32 s10, s10, exec_lo
	s_and_b32 s41, vcc_lo, exec_lo
	s_delay_alu instid0(SALU_CYCLE_1)
	s_or_b32 s10, s10, s41
	s_or_b32 exec_lo, exec_lo, s29
	s_and_saveexec_b32 s29, s10
	s_cbranch_execnz .LBB183_89
	s_branch .LBB183_90
.LBB183_109:
	s_mov_b32 s28, -1
                                        ; implicit-def: $vgpr1
.LBB183_110:
	s_mov_b32 s29, 0
.LBB183_111:
	s_delay_alu instid0(SALU_CYCLE_1)
	s_and_b32 vcc_lo, exec_lo, s29
	s_cbranch_vccz .LBB183_115
; %bb.112:
	s_cmp_eq_u32 s2, 11
	s_cbranch_scc0 .LBB183_114
; %bb.113:
	global_load_u8 v1, v[6:7], off
	s_mov_b32 s28, 0
	s_mov_b32 s10, -1
	s_wait_loadcnt 0x0
	v_cmp_ne_u16_e32 vcc_lo, 0, v1
	v_cndmask_b32_e64 v1, 0, 0x3c00, vcc_lo
	s_branch .LBB183_115
.LBB183_114:
	s_mov_b32 s28, -1
                                        ; implicit-def: $vgpr1
.LBB183_115:
	s_branch .LBB183_21
.LBB183_116:
	s_and_b32 s1, 0xffff, s1
	s_delay_alu instid0(SALU_CYCLE_1)
	s_cmp_lt_i32 s1, 5
	s_cbranch_scc1 .LBB183_121
; %bb.117:
	s_cmp_lt_i32 s1, 8
	s_cbranch_scc1 .LBB183_122
; %bb.118:
	;; [unrolled: 3-line block ×3, first 2 shown]
	s_cmp_gt_i32 s1, 9
	s_cbranch_scc0 .LBB183_124
; %bb.120:
	global_load_b64 v[8:9], v[6:7], off
	s_mov_b32 s2, 0
	s_wait_loadcnt 0x0
	v_and_or_b32 v1, 0x1ff, v9, v8
	v_lshrrev_b32_e32 v3, 8, v9
	v_bfe_u32 v5, v9, 20, 11
	s_delay_alu instid0(VALU_DEP_3) | instskip(NEXT) | instid1(VALU_DEP_2)
	v_cmp_ne_u32_e32 vcc_lo, 0, v1
	v_sub_nc_u32_e32 v8, 0x3f1, v5
	v_add_nc_u32_e32 v5, 0xfffffc10, v5
	v_cndmask_b32_e64 v1, 0, 1, vcc_lo
	s_delay_alu instid0(VALU_DEP_1) | instskip(NEXT) | instid1(VALU_DEP_4)
	v_and_or_b32 v1, 0xffe, v3, v1
	v_med3_i32 v3, v8, 0, 13
	s_delay_alu instid0(VALU_DEP_2) | instskip(NEXT) | instid1(VALU_DEP_1)
	v_or_b32_e32 v8, 0x1000, v1
	v_lshrrev_b32_e32 v10, v3, v8
	s_delay_alu instid0(VALU_DEP_1) | instskip(NEXT) | instid1(VALU_DEP_1)
	v_lshlrev_b32_e32 v3, v3, v10
	v_cmp_ne_u32_e32 vcc_lo, v3, v8
	v_lshl_or_b32 v8, v5, 12, v1
	v_cndmask_b32_e64 v3, 0, 1, vcc_lo
	v_cmp_gt_i32_e32 vcc_lo, 1, v5
	s_delay_alu instid0(VALU_DEP_2) | instskip(NEXT) | instid1(VALU_DEP_1)
	v_or_b32_e32 v3, v10, v3
	v_cndmask_b32_e32 v3, v8, v3, vcc_lo
	s_delay_alu instid0(VALU_DEP_1) | instskip(NEXT) | instid1(VALU_DEP_1)
	v_dual_lshrrev_b32 v3, 2, v3 :: v_dual_bitop2_b32 v8, 7, v3 bitop3:0x40
	v_cmp_lt_i32_e32 vcc_lo, 5, v8
	v_cndmask_b32_e64 v10, 0, 1, vcc_lo
	v_cmp_eq_u32_e32 vcc_lo, 3, v8
	v_cndmask_b32_e64 v8, 0, 1, vcc_lo
	v_cmp_ne_u32_e32 vcc_lo, 0, v1
	s_delay_alu instid0(VALU_DEP_2) | instskip(NEXT) | instid1(VALU_DEP_1)
	v_or_b32_e32 v8, v8, v10
	v_dual_mov_b32 v10, 0x7e00 :: v_dual_add_nc_u32 v3, v3, v8
	s_delay_alu instid0(VALU_DEP_1) | instskip(SKIP_1) | instid1(VALU_DEP_3)
	v_cndmask_b32_e32 v1, 0x7c00, v10, vcc_lo
	v_cmp_gt_i32_e32 vcc_lo, 31, v5
	v_cndmask_b32_e32 v3, 0x7c00, v3, vcc_lo
	v_cmp_eq_u32_e32 vcc_lo, 0x40f, v5
	s_delay_alu instid0(VALU_DEP_2) | instskip(SKIP_1) | instid1(VALU_DEP_1)
	v_cndmask_b32_e32 v1, v3, v1, vcc_lo
	v_lshrrev_b32_e32 v3, 16, v9
	v_and_or_b32 v1, 0x8000, v3, v1
	s_branch .LBB183_125
.LBB183_121:
                                        ; implicit-def: $vgpr1
	s_branch .LBB183_143
.LBB183_122:
	s_mov_b32 s2, -1
                                        ; implicit-def: $vgpr1
	s_branch .LBB183_131
.LBB183_123:
	s_mov_b32 s2, -1
                                        ; implicit-def: $vgpr1
	s_branch .LBB183_128
.LBB183_124:
	s_mov_b32 s2, -1
                                        ; implicit-def: $vgpr1
.LBB183_125:
	s_delay_alu instid0(SALU_CYCLE_1)
	s_and_not1_b32 vcc_lo, exec_lo, s2
	s_cbranch_vccnz .LBB183_127
; %bb.126:
	global_load_b32 v1, v[6:7], off
	s_wait_loadcnt 0x0
	v_cvt_f16_f32_e32 v1, v1
.LBB183_127:
	s_mov_b32 s2, 0
.LBB183_128:
	s_delay_alu instid0(SALU_CYCLE_1)
	s_and_not1_b32 vcc_lo, exec_lo, s2
	s_cbranch_vccnz .LBB183_130
; %bb.129:
	global_load_b32 v1, v[6:7], off
.LBB183_130:
	s_mov_b32 s2, 0
.LBB183_131:
	s_delay_alu instid0(SALU_CYCLE_1)
	s_and_not1_b32 vcc_lo, exec_lo, s2
	s_cbranch_vccnz .LBB183_142
; %bb.132:
	s_cmp_lt_i32 s1, 6
	s_cbranch_scc1 .LBB183_135
; %bb.133:
	s_cmp_gt_i32 s1, 6
	s_cbranch_scc0 .LBB183_136
; %bb.134:
	global_load_b64 v[8:9], v[6:7], off
	s_mov_b32 s2, 0
	s_wait_loadcnt 0x0
	v_and_or_b32 v1, 0x1ff, v9, v8
	v_lshrrev_b32_e32 v3, 8, v9
	v_bfe_u32 v5, v9, 20, 11
	s_delay_alu instid0(VALU_DEP_3) | instskip(NEXT) | instid1(VALU_DEP_2)
	v_cmp_ne_u32_e32 vcc_lo, 0, v1
	v_sub_nc_u32_e32 v8, 0x3f1, v5
	v_add_nc_u32_e32 v5, 0xfffffc10, v5
	v_cndmask_b32_e64 v1, 0, 1, vcc_lo
	s_delay_alu instid0(VALU_DEP_1) | instskip(NEXT) | instid1(VALU_DEP_4)
	v_and_or_b32 v1, 0xffe, v3, v1
	v_med3_i32 v3, v8, 0, 13
	s_delay_alu instid0(VALU_DEP_2) | instskip(NEXT) | instid1(VALU_DEP_1)
	v_or_b32_e32 v8, 0x1000, v1
	v_lshrrev_b32_e32 v10, v3, v8
	s_delay_alu instid0(VALU_DEP_1) | instskip(NEXT) | instid1(VALU_DEP_1)
	v_lshlrev_b32_e32 v3, v3, v10
	v_cmp_ne_u32_e32 vcc_lo, v3, v8
	v_lshl_or_b32 v8, v5, 12, v1
	v_cndmask_b32_e64 v3, 0, 1, vcc_lo
	v_cmp_gt_i32_e32 vcc_lo, 1, v5
	s_delay_alu instid0(VALU_DEP_2) | instskip(NEXT) | instid1(VALU_DEP_1)
	v_or_b32_e32 v3, v10, v3
	v_cndmask_b32_e32 v3, v8, v3, vcc_lo
	s_delay_alu instid0(VALU_DEP_1) | instskip(NEXT) | instid1(VALU_DEP_1)
	v_dual_lshrrev_b32 v3, 2, v3 :: v_dual_bitop2_b32 v8, 7, v3 bitop3:0x40
	v_cmp_lt_i32_e32 vcc_lo, 5, v8
	v_cndmask_b32_e64 v10, 0, 1, vcc_lo
	v_cmp_eq_u32_e32 vcc_lo, 3, v8
	v_cndmask_b32_e64 v8, 0, 1, vcc_lo
	v_cmp_ne_u32_e32 vcc_lo, 0, v1
	s_delay_alu instid0(VALU_DEP_2) | instskip(NEXT) | instid1(VALU_DEP_1)
	v_or_b32_e32 v8, v8, v10
	v_dual_mov_b32 v10, 0x7e00 :: v_dual_add_nc_u32 v3, v3, v8
	s_delay_alu instid0(VALU_DEP_1) | instskip(SKIP_1) | instid1(VALU_DEP_3)
	v_cndmask_b32_e32 v1, 0x7c00, v10, vcc_lo
	v_cmp_gt_i32_e32 vcc_lo, 31, v5
	v_cndmask_b32_e32 v3, 0x7c00, v3, vcc_lo
	v_cmp_eq_u32_e32 vcc_lo, 0x40f, v5
	s_delay_alu instid0(VALU_DEP_2) | instskip(SKIP_1) | instid1(VALU_DEP_1)
	v_cndmask_b32_e32 v1, v3, v1, vcc_lo
	v_lshrrev_b32_e32 v3, 16, v9
	v_and_or_b32 v1, 0x8000, v3, v1
	s_branch .LBB183_137
.LBB183_135:
	s_mov_b32 s2, -1
                                        ; implicit-def: $vgpr1
	s_branch .LBB183_140
.LBB183_136:
	s_mov_b32 s2, -1
                                        ; implicit-def: $vgpr1
.LBB183_137:
	s_delay_alu instid0(SALU_CYCLE_1)
	s_and_not1_b32 vcc_lo, exec_lo, s2
	s_cbranch_vccnz .LBB183_139
; %bb.138:
	s_wait_loadcnt 0x0
	global_load_b32 v1, v[6:7], off
	s_wait_loadcnt 0x0
	v_cvt_f16_f32_e32 v1, v1
.LBB183_139:
	s_mov_b32 s2, 0
.LBB183_140:
	s_delay_alu instid0(SALU_CYCLE_1)
	s_and_not1_b32 vcc_lo, exec_lo, s2
	s_cbranch_vccnz .LBB183_142
; %bb.141:
	s_wait_loadcnt 0x0
	global_load_u16 v1, v[6:7], off
.LBB183_142:
	s_cbranch_execnz .LBB183_162
.LBB183_143:
	s_cmp_lt_i32 s1, 2
	s_cbranch_scc1 .LBB183_147
; %bb.144:
	s_cmp_lt_i32 s1, 3
	s_cbranch_scc1 .LBB183_148
; %bb.145:
	s_cmp_gt_i32 s1, 3
	s_cbranch_scc0 .LBB183_149
; %bb.146:
	global_load_b64 v[8:9], v[6:7], off
	s_mov_b32 s2, 0
	s_wait_loadcnt 0x0
	v_xor_b32_e32 v1, v8, v9
	v_cls_i32_e32 v3, v9
	s_delay_alu instid0(VALU_DEP_2) | instskip(NEXT) | instid1(VALU_DEP_1)
	v_ashrrev_i32_e32 v1, 31, v1
	v_add_nc_u32_e32 v1, 32, v1
	s_delay_alu instid0(VALU_DEP_1) | instskip(NEXT) | instid1(VALU_DEP_1)
	v_add_min_u32_e64 v1, v3, -1, v1
	v_lshlrev_b64_e32 v[8:9], v1, v[8:9]
	v_sub_nc_u32_e32 v1, 32, v1
	s_delay_alu instid0(VALU_DEP_2) | instskip(NEXT) | instid1(VALU_DEP_1)
	v_min_u32_e32 v3, 1, v8
	v_or_b32_e32 v3, v9, v3
	s_delay_alu instid0(VALU_DEP_1) | instskip(NEXT) | instid1(VALU_DEP_1)
	v_cvt_f32_i32_e32 v3, v3
	v_ldexp_f32 v1, v3, v1
	s_delay_alu instid0(VALU_DEP_1)
	v_cvt_f16_f32_e32 v1, v1
	s_branch .LBB183_150
.LBB183_147:
	s_mov_b32 s2, -1
                                        ; implicit-def: $vgpr1
	s_branch .LBB183_156
.LBB183_148:
	s_mov_b32 s2, -1
                                        ; implicit-def: $vgpr1
	s_branch .LBB183_153
.LBB183_149:
	s_mov_b32 s2, -1
                                        ; implicit-def: $vgpr1
.LBB183_150:
	s_delay_alu instid0(SALU_CYCLE_1)
	s_and_not1_b32 vcc_lo, exec_lo, s2
	s_cbranch_vccnz .LBB183_152
; %bb.151:
	s_wait_loadcnt 0x0
	global_load_b32 v1, v[6:7], off
	s_wait_loadcnt 0x0
	v_cvt_f32_i32_e32 v1, v1
	s_delay_alu instid0(VALU_DEP_1)
	v_cvt_f16_f32_e32 v1, v1
.LBB183_152:
	s_mov_b32 s2, 0
.LBB183_153:
	s_delay_alu instid0(SALU_CYCLE_1)
	s_and_not1_b32 vcc_lo, exec_lo, s2
	s_cbranch_vccnz .LBB183_155
; %bb.154:
	s_wait_loadcnt 0x0
	global_load_u16 v1, v[6:7], off
	s_wait_loadcnt 0x0
	v_cvt_f16_i16_e32 v1, v1
.LBB183_155:
	s_mov_b32 s2, 0
.LBB183_156:
	s_delay_alu instid0(SALU_CYCLE_1)
	s_and_not1_b32 vcc_lo, exec_lo, s2
	s_cbranch_vccnz .LBB183_162
; %bb.157:
	s_cmp_gt_i32 s1, 0
	s_mov_b32 s1, 0
	s_cbranch_scc0 .LBB183_159
; %bb.158:
	s_wait_loadcnt 0x0
	global_load_i8 v1, v[6:7], off
	s_wait_loadcnt 0x0
	v_cvt_f16_i16_e32 v1, v1
	s_branch .LBB183_160
.LBB183_159:
	s_mov_b32 s1, -1
                                        ; implicit-def: $vgpr1
.LBB183_160:
	s_delay_alu instid0(SALU_CYCLE_1)
	s_and_not1_b32 vcc_lo, exec_lo, s1
	s_cbranch_vccnz .LBB183_162
; %bb.161:
	s_wait_loadcnt 0x0
	global_load_u8 v1, v[6:7], off
	s_wait_loadcnt 0x0
	v_cvt_f16_u16_e32 v1, v1
.LBB183_162:
	s_branch .LBB183_22
.LBB183_163:
	s_mov_b32 s2, 0
	s_mov_b32 s29, 0
	s_branch .LBB183_391
.LBB183_164:
	s_mov_b32 s29, -1
.LBB183_165:
	s_mov_b32 s10, 0
                                        ; implicit-def: $vgpr3
.LBB183_166:
	s_and_b32 vcc_lo, exec_lo, s41
	s_cbranch_vccz .LBB183_281
; %bb.167:
	s_cmp_eq_u32 s2, 44
	s_cbranch_scc0 .LBB183_280
; %bb.168:
	global_load_u8 v3, v[4:5], off
	s_mov_b32 s29, 0
	s_mov_b32 s10, -1
	s_wait_loadcnt 0x0
	v_lshlrev_b32_e32 v6, 23, v3
	v_cmp_ne_u32_e32 vcc_lo, 0xff, v3
	s_delay_alu instid0(VALU_DEP_2) | instskip(NEXT) | instid1(VALU_DEP_1)
	v_cvt_f16_f32_e32 v6, v6
	v_cndmask_b32_e32 v6, 0x7e00, v6, vcc_lo
	v_cmp_ne_u32_e32 vcc_lo, 0, v3
	s_delay_alu instid0(VALU_DEP_2)
	v_cndmask_b32_e32 v3, 0, v6, vcc_lo
	s_branch .LBB183_281
.LBB183_169:
	s_mov_b32 s44, -1
	s_mov_b32 s2, 0
	s_mov_b32 s42, 0
.LBB183_170:
	s_and_b32 vcc_lo, exec_lo, s44
	s_cbranch_vccz .LBB183_175
; %bb.171:
	s_cmp_eq_u32 s41, 44
	s_mov_b32 s2, -1
	s_cbranch_scc0 .LBB183_175
; %bb.172:
	v_cndmask_b32_e64 v5, 0, 1.0, s1
	s_mov_b32 s42, exec_lo
	s_wait_xcnt 0x0
	s_delay_alu instid0(VALU_DEP_1) | instskip(NEXT) | instid1(VALU_DEP_1)
	v_dual_mov_b32 v4, 0xff :: v_dual_lshrrev_b32 v1, 23, v5
	v_cmpx_ne_u32_e32 0xff, v1
; %bb.173:
	v_and_b32_e32 v4, 0x400000, v5
	v_and_or_b32 v5, 0x3fffff, v5, v1
	s_delay_alu instid0(VALU_DEP_2) | instskip(NEXT) | instid1(VALU_DEP_2)
	v_cmp_ne_u32_e32 vcc_lo, 0, v4
	v_cmp_ne_u32_e64 s2, 0, v5
	s_and_b32 s2, vcc_lo, s2
	s_delay_alu instid0(SALU_CYCLE_1) | instskip(NEXT) | instid1(VALU_DEP_1)
	v_cndmask_b32_e64 v4, 0, 1, s2
	v_add_nc_u32_e32 v4, v1, v4
; %bb.174:
	s_or_b32 exec_lo, exec_lo, s42
	s_mov_b32 s42, -1
	s_mov_b32 s2, 0
	global_store_b8 v[2:3], v4, off
.LBB183_175:
	s_mov_b32 s44, 0
.LBB183_176:
	s_delay_alu instid0(SALU_CYCLE_1)
	s_and_b32 vcc_lo, exec_lo, s44
	s_cbranch_vccz .LBB183_179
; %bb.177:
	s_cmp_eq_u32 s41, 29
	s_mov_b32 s2, -1
	s_cbranch_scc0 .LBB183_179
; %bb.178:
	s_mov_b32 s2, 0
	s_wait_xcnt 0x0
	v_cndmask_b32_e64 v4, 0, 1, s1
	v_mov_b32_e32 v5, s2
	s_mov_b32 s42, -1
	s_mov_b32 s44, 0
	global_store_b64 v[2:3], v[4:5], off
	s_branch .LBB183_180
.LBB183_179:
	s_mov_b32 s44, 0
.LBB183_180:
	s_delay_alu instid0(SALU_CYCLE_1)
	s_and_b32 vcc_lo, exec_lo, s44
	s_cbranch_vccz .LBB183_196
; %bb.181:
	s_cmp_lt_i32 s41, 27
	s_mov_b32 s42, -1
	s_cbranch_scc1 .LBB183_187
; %bb.182:
	s_cmp_gt_i32 s41, 27
	s_cbranch_scc0 .LBB183_184
; %bb.183:
	s_wait_xcnt 0x0
	v_cndmask_b32_e64 v1, 0, 1, s1
	s_mov_b32 s42, 0
	global_store_b32 v[2:3], v1, off
.LBB183_184:
	s_and_not1_b32 vcc_lo, exec_lo, s42
	s_cbranch_vccnz .LBB183_186
; %bb.185:
	s_wait_xcnt 0x0
	v_cndmask_b32_e64 v1, 0, 1, s1
	global_store_b16 v[2:3], v1, off
.LBB183_186:
	s_mov_b32 s42, 0
.LBB183_187:
	s_delay_alu instid0(SALU_CYCLE_1)
	s_and_not1_b32 vcc_lo, exec_lo, s42
	s_cbranch_vccnz .LBB183_195
; %bb.188:
	s_wait_xcnt 0x0
	v_cndmask_b32_e64 v4, 0, 1.0, s1
	v_mov_b32_e32 v5, 0x80
	s_mov_b32 s42, exec_lo
	s_delay_alu instid0(VALU_DEP_2)
	v_cmpx_gt_u32_e32 0x43800000, v4
	s_cbranch_execz .LBB183_194
; %bb.189:
	s_mov_b32 s44, 0
	s_mov_b32 s45, exec_lo
                                        ; implicit-def: $vgpr1
	v_cmpx_lt_u32_e32 0x3bffffff, v4
	s_xor_b32 s45, exec_lo, s45
	s_cbranch_execz .LBB183_433
; %bb.190:
	v_bfe_u32 v1, v4, 20, 1
	s_mov_b32 s44, exec_lo
	s_delay_alu instid0(VALU_DEP_1) | instskip(NEXT) | instid1(VALU_DEP_1)
	v_add3_u32 v1, v4, v1, 0x487ffff
                                        ; implicit-def: $vgpr4
	v_lshrrev_b32_e32 v1, 20, v1
	s_and_not1_saveexec_b32 s45, s45
	s_cbranch_execnz .LBB183_434
.LBB183_191:
	s_or_b32 exec_lo, exec_lo, s45
	v_mov_b32_e32 v5, 0
	s_and_saveexec_b32 s45, s44
.LBB183_192:
	v_mov_b32_e32 v5, v1
.LBB183_193:
	s_or_b32 exec_lo, exec_lo, s45
.LBB183_194:
	s_delay_alu instid0(SALU_CYCLE_1)
	s_or_b32 exec_lo, exec_lo, s42
	global_store_b8 v[2:3], v5, off
.LBB183_195:
	s_mov_b32 s42, -1
.LBB183_196:
	s_mov_b32 s44, 0
.LBB183_197:
	s_delay_alu instid0(SALU_CYCLE_1)
	s_and_b32 vcc_lo, exec_lo, s44
	s_cbranch_vccz .LBB183_238
; %bb.198:
	s_cmp_gt_i32 s41, 22
	s_mov_b32 s44, -1
	s_cbranch_scc0 .LBB183_230
; %bb.199:
	s_cmp_lt_i32 s41, 24
	s_mov_b32 s42, -1
	s_cbranch_scc1 .LBB183_219
; %bb.200:
	s_cmp_gt_i32 s41, 24
	s_cbranch_scc0 .LBB183_208
; %bb.201:
	s_wait_xcnt 0x0
	v_cndmask_b32_e64 v4, 0, 1.0, s1
	v_mov_b32_e32 v5, 0x80
	s_mov_b32 s42, exec_lo
	s_delay_alu instid0(VALU_DEP_2)
	v_cmpx_gt_u32_e32 0x47800000, v4
	s_cbranch_execz .LBB183_207
; %bb.202:
	s_mov_b32 s44, 0
	s_mov_b32 s45, exec_lo
                                        ; implicit-def: $vgpr1
	v_cmpx_lt_u32_e32 0x37ffffff, v4
	s_xor_b32 s45, exec_lo, s45
	s_cbranch_execz .LBB183_552
; %bb.203:
	v_bfe_u32 v1, v4, 21, 1
	s_mov_b32 s44, exec_lo
	s_delay_alu instid0(VALU_DEP_1) | instskip(NEXT) | instid1(VALU_DEP_1)
	v_add3_u32 v1, v4, v1, 0x88fffff
                                        ; implicit-def: $vgpr4
	v_lshrrev_b32_e32 v1, 21, v1
	s_and_not1_saveexec_b32 s45, s45
	s_cbranch_execnz .LBB183_553
.LBB183_204:
	s_or_b32 exec_lo, exec_lo, s45
	v_mov_b32_e32 v5, 0
	s_and_saveexec_b32 s45, s44
.LBB183_205:
	v_mov_b32_e32 v5, v1
.LBB183_206:
	s_or_b32 exec_lo, exec_lo, s45
.LBB183_207:
	s_delay_alu instid0(SALU_CYCLE_1)
	s_or_b32 exec_lo, exec_lo, s42
	s_mov_b32 s42, 0
	global_store_b8 v[2:3], v5, off
.LBB183_208:
	s_and_b32 vcc_lo, exec_lo, s42
	s_cbranch_vccz .LBB183_218
; %bb.209:
	s_wait_xcnt 0x0
	v_cndmask_b32_e64 v4, 0, 1.0, s1
	s_mov_b32 s42, exec_lo
                                        ; implicit-def: $vgpr1
	s_delay_alu instid0(VALU_DEP_1)
	v_cmpx_gt_u32_e32 0x43f00000, v4
	s_xor_b32 s42, exec_lo, s42
	s_cbranch_execz .LBB183_215
; %bb.210:
	s_mov_b32 s44, exec_lo
                                        ; implicit-def: $vgpr1
	v_cmpx_lt_u32_e32 0x3c7fffff, v4
	s_xor_b32 s44, exec_lo, s44
; %bb.211:
	v_bfe_u32 v1, v4, 20, 1
	s_delay_alu instid0(VALU_DEP_1) | instskip(NEXT) | instid1(VALU_DEP_1)
	v_add3_u32 v1, v4, v1, 0x407ffff
	v_and_b32_e32 v4, 0xff00000, v1
	v_lshrrev_b32_e32 v1, 20, v1
	s_delay_alu instid0(VALU_DEP_2) | instskip(NEXT) | instid1(VALU_DEP_2)
	v_cmp_ne_u32_e32 vcc_lo, 0x7f00000, v4
                                        ; implicit-def: $vgpr4
	v_cndmask_b32_e32 v1, 0x7e, v1, vcc_lo
; %bb.212:
	s_and_not1_saveexec_b32 s44, s44
; %bb.213:
	v_add_f32_e32 v1, 0x46800000, v4
; %bb.214:
	s_or_b32 exec_lo, exec_lo, s44
                                        ; implicit-def: $vgpr4
.LBB183_215:
	s_and_not1_saveexec_b32 s42, s42
; %bb.216:
	v_mov_b32_e32 v1, 0x7f
	v_cmp_lt_u32_e32 vcc_lo, 0x7f800000, v4
	s_delay_alu instid0(VALU_DEP_2)
	v_cndmask_b32_e32 v1, 0x7e, v1, vcc_lo
; %bb.217:
	s_or_b32 exec_lo, exec_lo, s42
	global_store_b8 v[2:3], v1, off
.LBB183_218:
	s_mov_b32 s42, 0
.LBB183_219:
	s_delay_alu instid0(SALU_CYCLE_1)
	s_and_not1_b32 vcc_lo, exec_lo, s42
	s_cbranch_vccnz .LBB183_229
; %bb.220:
	s_wait_xcnt 0x0
	v_cndmask_b32_e64 v4, 0, 1.0, s1
	s_mov_b32 s42, exec_lo
                                        ; implicit-def: $vgpr1
	s_delay_alu instid0(VALU_DEP_1)
	v_cmpx_gt_u32_e32 0x47800000, v4
	s_xor_b32 s42, exec_lo, s42
	s_cbranch_execz .LBB183_226
; %bb.221:
	s_mov_b32 s44, exec_lo
                                        ; implicit-def: $vgpr1
	v_cmpx_lt_u32_e32 0x387fffff, v4
	s_xor_b32 s44, exec_lo, s44
; %bb.222:
	v_bfe_u32 v1, v4, 21, 1
	s_delay_alu instid0(VALU_DEP_1) | instskip(NEXT) | instid1(VALU_DEP_1)
	v_add3_u32 v1, v4, v1, 0x80fffff
                                        ; implicit-def: $vgpr4
	v_lshrrev_b32_e32 v1, 21, v1
; %bb.223:
	s_and_not1_saveexec_b32 s44, s44
; %bb.224:
	v_add_f32_e32 v1, 0x43000000, v4
; %bb.225:
	s_or_b32 exec_lo, exec_lo, s44
                                        ; implicit-def: $vgpr4
.LBB183_226:
	s_and_not1_saveexec_b32 s42, s42
; %bb.227:
	v_mov_b32_e32 v1, 0x7f
	v_cmp_lt_u32_e32 vcc_lo, 0x7f800000, v4
	s_delay_alu instid0(VALU_DEP_2)
	v_cndmask_b32_e32 v1, 0x7c, v1, vcc_lo
; %bb.228:
	s_or_b32 exec_lo, exec_lo, s42
	global_store_b8 v[2:3], v1, off
.LBB183_229:
	s_mov_b32 s44, 0
	s_mov_b32 s42, -1
.LBB183_230:
	s_and_not1_b32 vcc_lo, exec_lo, s44
	s_cbranch_vccnz .LBB183_238
; %bb.231:
	s_cmp_gt_i32 s41, 14
	s_mov_b32 s44, -1
	s_cbranch_scc0 .LBB183_235
; %bb.232:
	s_cmp_eq_u32 s41, 15
	s_mov_b32 s2, -1
	s_cbranch_scc0 .LBB183_234
; %bb.233:
	s_wait_xcnt 0x0
	v_cndmask_b32_e64 v1, 0, 1.0, s1
	s_mov_b32 s42, -1
	s_mov_b32 s2, 0
	s_delay_alu instid0(VALU_DEP_1) | instskip(NEXT) | instid1(VALU_DEP_1)
	v_bfe_u32 v4, v1, 16, 1
	v_add3_u32 v1, v1, v4, 0x7fff
	global_store_d16_hi_b16 v[2:3], v1, off
.LBB183_234:
	s_mov_b32 s44, 0
.LBB183_235:
	s_delay_alu instid0(SALU_CYCLE_1)
	s_and_b32 vcc_lo, exec_lo, s44
	s_cbranch_vccz .LBB183_238
; %bb.236:
	s_cmp_eq_u32 s41, 11
	s_mov_b32 s2, -1
	s_cbranch_scc0 .LBB183_238
; %bb.237:
	s_wait_xcnt 0x0
	v_cndmask_b32_e64 v1, 0, 1, s1
	s_mov_b32 s42, -1
	s_mov_b32 s2, 0
	global_store_b8 v[2:3], v1, off
.LBB183_238:
	s_mov_b32 s41, 0
.LBB183_239:
	s_delay_alu instid0(SALU_CYCLE_1)
	s_and_b32 vcc_lo, exec_lo, s41
	s_cbranch_vccz .LBB183_278
; %bb.240:
	s_and_b32 s10, 0xffff, s10
	s_mov_b32 s41, -1
	s_cmp_lt_i32 s10, 5
	s_cbranch_scc1 .LBB183_261
; %bb.241:
	s_cmp_lt_i32 s10, 8
	s_cbranch_scc1 .LBB183_251
; %bb.242:
	s_cmp_lt_i32 s10, 9
	s_cbranch_scc1 .LBB183_248
; %bb.243:
	s_cmp_gt_i32 s10, 9
	s_cbranch_scc0 .LBB183_245
; %bb.244:
	s_wait_xcnt 0x0
	v_cndmask_b32_e64 v1, 0, 1, s1
	v_mov_b32_e32 v6, 0
	s_mov_b32 s41, 0
	s_delay_alu instid0(VALU_DEP_2) | instskip(NEXT) | instid1(VALU_DEP_2)
	v_cvt_f64_u32_e32 v[4:5], v1
	v_mov_b32_e32 v7, v6
	global_store_b128 v[2:3], v[4:7], off
.LBB183_245:
	s_and_not1_b32 vcc_lo, exec_lo, s41
	s_cbranch_vccnz .LBB183_247
; %bb.246:
	s_wait_xcnt 0x0
	v_cndmask_b32_e64 v4, 0, 1.0, s1
	v_mov_b32_e32 v5, 0
	global_store_b64 v[2:3], v[4:5], off
.LBB183_247:
	s_mov_b32 s41, 0
.LBB183_248:
	s_delay_alu instid0(SALU_CYCLE_1)
	s_and_not1_b32 vcc_lo, exec_lo, s41
	s_cbranch_vccnz .LBB183_250
; %bb.249:
	s_wait_xcnt 0x0
	v_cndmask_b32_e64 v1, 0, 1.0, s1
	s_delay_alu instid0(VALU_DEP_1) | instskip(NEXT) | instid1(VALU_DEP_1)
	v_cvt_f16_f32_e32 v1, v1
	v_and_b32_e32 v1, 0xffff, v1
	global_store_b32 v[2:3], v1, off
.LBB183_250:
	s_mov_b32 s41, 0
.LBB183_251:
	s_delay_alu instid0(SALU_CYCLE_1)
	s_and_not1_b32 vcc_lo, exec_lo, s41
	s_cbranch_vccnz .LBB183_260
; %bb.252:
	s_cmp_lt_i32 s10, 6
	s_mov_b32 s41, -1
	s_cbranch_scc1 .LBB183_258
; %bb.253:
	s_cmp_gt_i32 s10, 6
	s_cbranch_scc0 .LBB183_255
; %bb.254:
	s_wait_xcnt 0x0
	v_cndmask_b32_e64 v1, 0, 1, s1
	s_mov_b32 s41, 0
	s_delay_alu instid0(VALU_DEP_1)
	v_cvt_f64_u32_e32 v[4:5], v1
	global_store_b64 v[2:3], v[4:5], off
.LBB183_255:
	s_and_not1_b32 vcc_lo, exec_lo, s41
	s_cbranch_vccnz .LBB183_257
; %bb.256:
	s_wait_xcnt 0x0
	v_cndmask_b32_e64 v1, 0, 1.0, s1
	global_store_b32 v[2:3], v1, off
.LBB183_257:
	s_mov_b32 s41, 0
.LBB183_258:
	s_delay_alu instid0(SALU_CYCLE_1)
	s_and_not1_b32 vcc_lo, exec_lo, s41
	s_cbranch_vccnz .LBB183_260
; %bb.259:
	s_wait_xcnt 0x0
	v_cndmask_b32_e64 v1, 0, 1.0, s1
	s_delay_alu instid0(VALU_DEP_1)
	v_cvt_f16_f32_e32 v1, v1
	global_store_b16 v[2:3], v1, off
.LBB183_260:
	s_mov_b32 s41, 0
.LBB183_261:
	s_delay_alu instid0(SALU_CYCLE_1)
	s_and_not1_b32 vcc_lo, exec_lo, s41
	s_cbranch_vccnz .LBB183_277
; %bb.262:
	s_cmp_lt_i32 s10, 2
	s_mov_b32 s41, -1
	s_cbranch_scc1 .LBB183_272
; %bb.263:
	s_cmp_lt_i32 s10, 3
	s_cbranch_scc1 .LBB183_269
; %bb.264:
	s_cmp_gt_i32 s10, 3
	s_cbranch_scc0 .LBB183_266
; %bb.265:
	s_mov_b32 s41, 0
	s_wait_xcnt 0x0
	v_cndmask_b32_e64 v4, 0, 1, s1
	v_mov_b32_e32 v5, s41
	global_store_b64 v[2:3], v[4:5], off
.LBB183_266:
	s_and_not1_b32 vcc_lo, exec_lo, s41
	s_cbranch_vccnz .LBB183_268
; %bb.267:
	s_wait_xcnt 0x0
	v_cndmask_b32_e64 v1, 0, 1, s1
	global_store_b32 v[2:3], v1, off
.LBB183_268:
	s_mov_b32 s41, 0
.LBB183_269:
	s_delay_alu instid0(SALU_CYCLE_1)
	s_and_not1_b32 vcc_lo, exec_lo, s41
	s_cbranch_vccnz .LBB183_271
; %bb.270:
	s_wait_xcnt 0x0
	v_cndmask_b32_e64 v1, 0, 1, s1
	global_store_b16 v[2:3], v1, off
.LBB183_271:
	s_mov_b32 s41, 0
.LBB183_272:
	s_delay_alu instid0(SALU_CYCLE_1)
	s_and_not1_b32 vcc_lo, exec_lo, s41
	s_cbranch_vccnz .LBB183_277
; %bb.273:
	s_cmp_gt_i32 s10, 0
	s_mov_b32 s10, -1
	s_cbranch_scc0 .LBB183_275
; %bb.274:
	s_wait_xcnt 0x0
	v_cndmask_b32_e64 v1, 0, 1, s1
	s_mov_b32 s10, 0
	global_store_b8 v[2:3], v1, off
.LBB183_275:
	s_and_not1_b32 vcc_lo, exec_lo, s10
	s_cbranch_vccnz .LBB183_277
; %bb.276:
	s_wait_xcnt 0x0
	v_cndmask_b32_e64 v1, 0, 1, s1
	global_store_b8 v[2:3], v1, off
.LBB183_277:
	s_mov_b32 s42, -1
.LBB183_278:
	s_delay_alu instid0(SALU_CYCLE_1)
	s_and_not1_b32 vcc_lo, exec_lo, s42
	s_cbranch_vccnz .LBB183_391
; %bb.279:
	v_add_nc_u32_e32 v0, 0x80, v0
	s_mov_b32 s1, -1
	s_branch .LBB183_392
.LBB183_280:
	s_mov_b32 s29, -1
                                        ; implicit-def: $vgpr3
.LBB183_281:
	s_mov_b32 s41, 0
.LBB183_282:
	s_delay_alu instid0(SALU_CYCLE_1)
	s_and_b32 vcc_lo, exec_lo, s41
	s_cbranch_vccz .LBB183_286
; %bb.283:
	s_cmp_eq_u32 s2, 29
	s_cbranch_scc0 .LBB183_285
; %bb.284:
	global_load_b64 v[6:7], v[4:5], off
	s_mov_b32 s10, -1
	s_mov_b32 s29, 0
	s_mov_b32 s41, 0
	s_wait_loadcnt 0x0
	v_clz_i32_u32_e32 v3, v7
	s_delay_alu instid0(VALU_DEP_1) | instskip(NEXT) | instid1(VALU_DEP_1)
	v_min_u32_e32 v3, 32, v3
	v_lshlrev_b64_e32 v[6:7], v3, v[6:7]
	v_sub_nc_u32_e32 v3, 32, v3
	s_delay_alu instid0(VALU_DEP_2) | instskip(NEXT) | instid1(VALU_DEP_1)
	v_min_u32_e32 v6, 1, v6
	v_or_b32_e32 v6, v7, v6
	s_delay_alu instid0(VALU_DEP_1) | instskip(NEXT) | instid1(VALU_DEP_1)
	v_cvt_f32_u32_e32 v6, v6
	v_ldexp_f32 v3, v6, v3
	s_delay_alu instid0(VALU_DEP_1)
	v_cvt_f16_f32_e32 v3, v3
	s_branch .LBB183_287
.LBB183_285:
	s_mov_b32 s29, -1
                                        ; implicit-def: $vgpr3
.LBB183_286:
	s_mov_b32 s41, 0
.LBB183_287:
	s_delay_alu instid0(SALU_CYCLE_1)
	s_and_b32 vcc_lo, exec_lo, s41
	s_cbranch_vccz .LBB183_305
; %bb.288:
	s_cmp_lt_i32 s2, 27
	s_cbranch_scc1 .LBB183_291
; %bb.289:
	s_cmp_gt_i32 s2, 27
	s_cbranch_scc0 .LBB183_292
; %bb.290:
	global_load_b32 v3, v[4:5], off
	s_mov_b32 s10, 0
	s_wait_loadcnt 0x0
	v_cvt_f32_u32_e32 v3, v3
	s_delay_alu instid0(VALU_DEP_1)
	v_cvt_f16_f32_e32 v3, v3
	s_branch .LBB183_293
.LBB183_291:
	s_mov_b32 s10, -1
                                        ; implicit-def: $vgpr3
	s_branch .LBB183_296
.LBB183_292:
	s_mov_b32 s10, -1
                                        ; implicit-def: $vgpr3
.LBB183_293:
	s_delay_alu instid0(SALU_CYCLE_1)
	s_and_not1_b32 vcc_lo, exec_lo, s10
	s_cbranch_vccnz .LBB183_295
; %bb.294:
	global_load_u16 v3, v[4:5], off
	s_wait_loadcnt 0x0
	v_cvt_f16_u16_e32 v3, v3
.LBB183_295:
	s_mov_b32 s10, 0
.LBB183_296:
	s_delay_alu instid0(SALU_CYCLE_1)
	s_and_not1_b32 vcc_lo, exec_lo, s10
	s_cbranch_vccnz .LBB183_304
; %bb.297:
	global_load_u8 v6, v[4:5], off
	s_mov_b32 s10, 0
	s_mov_b32 s41, exec_lo
	s_wait_loadcnt 0x0
	v_cmpx_lt_i16_e32 0x7f, v6
	s_xor_b32 s41, exec_lo, s41
	s_cbranch_execz .LBB183_318
; %bb.298:
	s_mov_b32 s10, -1
	s_mov_b32 s42, exec_lo
	v_cmpx_eq_u16_e32 0x80, v6
; %bb.299:
	s_xor_b32 s10, exec_lo, -1
; %bb.300:
	s_or_b32 exec_lo, exec_lo, s42
	s_delay_alu instid0(SALU_CYCLE_1)
	s_and_b32 s10, s10, exec_lo
	s_or_saveexec_b32 s41, s41
	v_mov_b32_e32 v3, 0x7e00
	s_xor_b32 exec_lo, exec_lo, s41
	s_cbranch_execnz .LBB183_319
.LBB183_301:
	s_or_b32 exec_lo, exec_lo, s41
	s_and_saveexec_b32 s41, s10
	s_cbranch_execz .LBB183_303
.LBB183_302:
	v_and_b32_e32 v3, 0xffff, v6
	s_delay_alu instid0(VALU_DEP_1) | instskip(SKIP_1) | instid1(VALU_DEP_2)
	v_and_b32_e32 v7, 7, v3
	v_bfe_u32 v10, v3, 3, 4
	v_clz_i32_u32_e32 v8, v7
	s_delay_alu instid0(VALU_DEP_2) | instskip(NEXT) | instid1(VALU_DEP_2)
	v_cmp_eq_u32_e32 vcc_lo, 0, v10
	v_min_u32_e32 v8, 32, v8
	s_delay_alu instid0(VALU_DEP_1) | instskip(NEXT) | instid1(VALU_DEP_1)
	v_subrev_nc_u32_e32 v9, 28, v8
	v_dual_lshlrev_b32 v3, v9, v3 :: v_dual_sub_nc_u32 v8, 29, v8
	s_delay_alu instid0(VALU_DEP_1) | instskip(NEXT) | instid1(VALU_DEP_1)
	v_dual_lshlrev_b32 v6, 24, v6 :: v_dual_bitop2_b32 v3, 7, v3 bitop3:0x40
	v_dual_cndmask_b32 v8, v10, v8 :: v_dual_cndmask_b32 v3, v7, v3
	s_delay_alu instid0(VALU_DEP_2) | instskip(NEXT) | instid1(VALU_DEP_2)
	v_and_b32_e32 v6, 0x80000000, v6
	v_lshl_add_u32 v7, v8, 23, 0x3b800000
	s_delay_alu instid0(VALU_DEP_3) | instskip(NEXT) | instid1(VALU_DEP_1)
	v_lshlrev_b32_e32 v3, 20, v3
	v_or3_b32 v3, v6, v7, v3
	s_delay_alu instid0(VALU_DEP_1)
	v_cvt_f16_f32_e32 v3, v3
.LBB183_303:
	s_or_b32 exec_lo, exec_lo, s41
.LBB183_304:
	s_mov_b32 s10, -1
.LBB183_305:
	s_mov_b32 s41, 0
.LBB183_306:
	s_delay_alu instid0(SALU_CYCLE_1)
	s_and_b32 vcc_lo, exec_lo, s41
	s_cbranch_vccz .LBB183_341
; %bb.307:
	s_cmp_gt_i32 s2, 22
	s_cbranch_scc0 .LBB183_317
; %bb.308:
	s_cmp_lt_i32 s2, 24
	s_cbranch_scc1 .LBB183_320
; %bb.309:
	s_cmp_gt_i32 s2, 24
	s_cbranch_scc0 .LBB183_321
; %bb.310:
	global_load_u8 v6, v[4:5], off
	s_mov_b32 s10, 0
	s_mov_b32 s41, exec_lo
	s_wait_loadcnt 0x0
	v_cmpx_lt_i16_e32 0x7f, v6
	s_xor_b32 s41, exec_lo, s41
	s_cbranch_execz .LBB183_333
; %bb.311:
	s_mov_b32 s10, -1
	s_mov_b32 s42, exec_lo
	v_cmpx_eq_u16_e32 0x80, v6
; %bb.312:
	s_xor_b32 s10, exec_lo, -1
; %bb.313:
	s_or_b32 exec_lo, exec_lo, s42
	s_delay_alu instid0(SALU_CYCLE_1)
	s_and_b32 s10, s10, exec_lo
	s_or_saveexec_b32 s41, s41
	v_mov_b32_e32 v3, 0x7e00
	s_xor_b32 exec_lo, exec_lo, s41
	s_cbranch_execnz .LBB183_334
.LBB183_314:
	s_or_b32 exec_lo, exec_lo, s41
	s_and_saveexec_b32 s41, s10
	s_cbranch_execz .LBB183_316
.LBB183_315:
	v_and_b32_e32 v3, 0xffff, v6
	s_delay_alu instid0(VALU_DEP_1) | instskip(SKIP_1) | instid1(VALU_DEP_2)
	v_and_b32_e32 v7, 3, v3
	v_bfe_u32 v10, v3, 2, 5
	v_clz_i32_u32_e32 v8, v7
	s_delay_alu instid0(VALU_DEP_2) | instskip(NEXT) | instid1(VALU_DEP_2)
	v_cmp_eq_u32_e32 vcc_lo, 0, v10
	v_min_u32_e32 v8, 32, v8
	s_delay_alu instid0(VALU_DEP_1) | instskip(NEXT) | instid1(VALU_DEP_1)
	v_subrev_nc_u32_e32 v9, 29, v8
	v_dual_lshlrev_b32 v3, v9, v3 :: v_dual_sub_nc_u32 v8, 30, v8
	s_delay_alu instid0(VALU_DEP_1) | instskip(NEXT) | instid1(VALU_DEP_1)
	v_dual_lshlrev_b32 v6, 24, v6 :: v_dual_bitop2_b32 v3, 3, v3 bitop3:0x40
	v_dual_cndmask_b32 v8, v10, v8 :: v_dual_cndmask_b32 v3, v7, v3
	s_delay_alu instid0(VALU_DEP_2) | instskip(NEXT) | instid1(VALU_DEP_2)
	v_and_b32_e32 v6, 0x80000000, v6
	v_lshl_add_u32 v7, v8, 23, 0x37800000
	s_delay_alu instid0(VALU_DEP_3) | instskip(NEXT) | instid1(VALU_DEP_1)
	v_lshlrev_b32_e32 v3, 21, v3
	v_or3_b32 v3, v6, v7, v3
	s_delay_alu instid0(VALU_DEP_1)
	v_cvt_f16_f32_e32 v3, v3
.LBB183_316:
	s_or_b32 exec_lo, exec_lo, s41
	s_mov_b32 s10, 0
	s_branch .LBB183_322
.LBB183_317:
	s_mov_b32 s41, -1
                                        ; implicit-def: $vgpr3
	s_branch .LBB183_328
.LBB183_318:
	s_or_saveexec_b32 s41, s41
	v_mov_b32_e32 v3, 0x7e00
	s_xor_b32 exec_lo, exec_lo, s41
	s_cbranch_execz .LBB183_301
.LBB183_319:
	v_cmp_ne_u16_e32 vcc_lo, 0, v6
	v_mov_b32_e32 v3, v6
	s_and_not1_b32 s10, s10, exec_lo
	s_and_b32 s42, vcc_lo, exec_lo
	s_delay_alu instid0(SALU_CYCLE_1)
	s_or_b32 s10, s10, s42
	s_or_b32 exec_lo, exec_lo, s41
	s_and_saveexec_b32 s41, s10
	s_cbranch_execnz .LBB183_302
	s_branch .LBB183_303
.LBB183_320:
	s_mov_b32 s10, -1
                                        ; implicit-def: $vgpr3
	s_branch .LBB183_325
.LBB183_321:
	s_mov_b32 s10, -1
                                        ; implicit-def: $vgpr3
.LBB183_322:
	s_delay_alu instid0(SALU_CYCLE_1)
	s_and_b32 vcc_lo, exec_lo, s10
	s_cbranch_vccz .LBB183_324
; %bb.323:
	global_load_u8 v3, v[4:5], off
	s_wait_loadcnt 0x0
	v_lshlrev_b32_e32 v3, 24, v3
	s_delay_alu instid0(VALU_DEP_1) | instskip(NEXT) | instid1(VALU_DEP_1)
	v_and_b32_e32 v6, 0x7f000000, v3
	v_clz_i32_u32_e32 v7, v6
	v_cmp_ne_u32_e32 vcc_lo, 0, v6
	v_add_nc_u32_e32 v9, 0x1000000, v6
	s_delay_alu instid0(VALU_DEP_3) | instskip(NEXT) | instid1(VALU_DEP_1)
	v_min_u32_e32 v7, 32, v7
	v_sub_nc_u32_e64 v7, v7, 4 clamp
	s_delay_alu instid0(VALU_DEP_1) | instskip(NEXT) | instid1(VALU_DEP_1)
	v_dual_lshlrev_b32 v8, v7, v6 :: v_dual_lshlrev_b32 v7, 23, v7
	v_lshrrev_b32_e32 v8, 4, v8
	s_delay_alu instid0(VALU_DEP_1) | instskip(NEXT) | instid1(VALU_DEP_1)
	v_dual_sub_nc_u32 v7, v8, v7 :: v_dual_ashrrev_i32 v8, 8, v9
	v_add_nc_u32_e32 v7, 0x3c000000, v7
	s_delay_alu instid0(VALU_DEP_1) | instskip(NEXT) | instid1(VALU_DEP_1)
	v_and_or_b32 v7, 0x7f800000, v8, v7
	v_cndmask_b32_e32 v6, 0, v7, vcc_lo
	s_delay_alu instid0(VALU_DEP_1) | instskip(NEXT) | instid1(VALU_DEP_1)
	v_and_or_b32 v3, 0x80000000, v3, v6
	v_cvt_f16_f32_e32 v3, v3
.LBB183_324:
	s_mov_b32 s10, 0
.LBB183_325:
	s_delay_alu instid0(SALU_CYCLE_1)
	s_and_not1_b32 vcc_lo, exec_lo, s10
	s_cbranch_vccnz .LBB183_327
; %bb.326:
	global_load_u8 v3, v[4:5], off
	s_wait_loadcnt 0x0
	v_lshlrev_b32_e32 v6, 25, v3
	v_lshlrev_b16 v3, 8, v3
	s_delay_alu instid0(VALU_DEP_1) | instskip(SKIP_1) | instid1(VALU_DEP_2)
	v_and_or_b32 v8, 0x7f00, v3, 0.5
	v_bfe_i32 v3, v3, 0, 16
	v_dual_add_f32 v8, -0.5, v8 :: v_dual_lshrrev_b32 v7, 4, v6
	v_cmp_gt_u32_e32 vcc_lo, 0x8000000, v6
	s_delay_alu instid0(VALU_DEP_2) | instskip(NEXT) | instid1(VALU_DEP_1)
	v_or_b32_e32 v7, 0x70000000, v7
	v_mul_f32_e32 v7, 0x7800000, v7
	s_delay_alu instid0(VALU_DEP_1) | instskip(NEXT) | instid1(VALU_DEP_1)
	v_cndmask_b32_e32 v6, v7, v8, vcc_lo
	v_and_or_b32 v3, 0x80000000, v3, v6
	s_delay_alu instid0(VALU_DEP_1)
	v_cvt_f16_f32_e32 v3, v3
.LBB183_327:
	s_mov_b32 s41, 0
	s_mov_b32 s10, -1
.LBB183_328:
	s_and_not1_b32 vcc_lo, exec_lo, s41
	s_cbranch_vccnz .LBB183_341
; %bb.329:
	s_cmp_gt_i32 s2, 14
	s_cbranch_scc0 .LBB183_332
; %bb.330:
	s_cmp_eq_u32 s2, 15
	s_cbranch_scc0 .LBB183_335
; %bb.331:
	global_load_u16 v3, v[4:5], off
	s_mov_b32 s10, -1
	s_mov_b32 s29, 0
	s_wait_loadcnt 0x0
	v_lshlrev_b32_e32 v3, 16, v3
	s_delay_alu instid0(VALU_DEP_1)
	v_cvt_f16_f32_e32 v3, v3
	s_branch .LBB183_336
.LBB183_332:
	s_mov_b32 s41, -1
                                        ; implicit-def: $vgpr3
	s_branch .LBB183_337
.LBB183_333:
	s_or_saveexec_b32 s41, s41
	v_mov_b32_e32 v3, 0x7e00
	s_xor_b32 exec_lo, exec_lo, s41
	s_cbranch_execz .LBB183_314
.LBB183_334:
	v_cmp_ne_u16_e32 vcc_lo, 0, v6
	v_mov_b32_e32 v3, v6
	s_and_not1_b32 s10, s10, exec_lo
	s_and_b32 s42, vcc_lo, exec_lo
	s_delay_alu instid0(SALU_CYCLE_1)
	s_or_b32 s10, s10, s42
	s_or_b32 exec_lo, exec_lo, s41
	s_and_saveexec_b32 s41, s10
	s_cbranch_execnz .LBB183_315
	s_branch .LBB183_316
.LBB183_335:
	s_mov_b32 s29, -1
                                        ; implicit-def: $vgpr3
.LBB183_336:
	s_mov_b32 s41, 0
.LBB183_337:
	s_delay_alu instid0(SALU_CYCLE_1)
	s_and_b32 vcc_lo, exec_lo, s41
	s_cbranch_vccz .LBB183_341
; %bb.338:
	s_cmp_eq_u32 s2, 11
	s_cbranch_scc0 .LBB183_340
; %bb.339:
	global_load_u8 v3, v[4:5], off
	s_mov_b32 s29, 0
	s_mov_b32 s10, -1
	s_wait_loadcnt 0x0
	v_cmp_ne_u16_e32 vcc_lo, 0, v3
	v_cndmask_b32_e64 v3, 0, 0x3c00, vcc_lo
	s_branch .LBB183_341
.LBB183_340:
	s_mov_b32 s29, -1
                                        ; implicit-def: $vgpr3
.LBB183_341:
	s_branch .LBB183_31
.LBB183_342:
	s_and_b32 s1, 0xffff, s1
	s_delay_alu instid0(SALU_CYCLE_1)
	s_cmp_lt_i32 s1, 5
	s_cbranch_scc1 .LBB183_347
; %bb.343:
	s_cmp_lt_i32 s1, 8
	s_cbranch_scc1 .LBB183_348
; %bb.344:
	;; [unrolled: 3-line block ×3, first 2 shown]
	s_cmp_gt_i32 s1, 9
	s_cbranch_scc0 .LBB183_350
; %bb.346:
	global_load_b64 v[6:7], v[4:5], off
	s_mov_b32 s2, 0
	s_wait_loadcnt 0x0
	v_and_or_b32 v3, 0x1ff, v7, v6
	v_lshrrev_b32_e32 v6, 8, v7
	v_bfe_u32 v8, v7, 20, 11
	s_delay_alu instid0(VALU_DEP_3) | instskip(NEXT) | instid1(VALU_DEP_2)
	v_cmp_ne_u32_e32 vcc_lo, 0, v3
	v_sub_nc_u32_e32 v9, 0x3f1, v8
	v_add_nc_u32_e32 v8, 0xfffffc10, v8
	v_cndmask_b32_e64 v3, 0, 1, vcc_lo
	s_delay_alu instid0(VALU_DEP_1) | instskip(NEXT) | instid1(VALU_DEP_4)
	v_and_or_b32 v3, 0xffe, v6, v3
	v_med3_i32 v6, v9, 0, 13
	s_delay_alu instid0(VALU_DEP_2) | instskip(NEXT) | instid1(VALU_DEP_1)
	v_or_b32_e32 v9, 0x1000, v3
	v_lshrrev_b32_e32 v10, v6, v9
	s_delay_alu instid0(VALU_DEP_1) | instskip(NEXT) | instid1(VALU_DEP_1)
	v_lshlrev_b32_e32 v6, v6, v10
	v_cmp_ne_u32_e32 vcc_lo, v6, v9
	v_lshl_or_b32 v9, v8, 12, v3
	v_cndmask_b32_e64 v6, 0, 1, vcc_lo
	v_cmp_gt_i32_e32 vcc_lo, 1, v8
	s_delay_alu instid0(VALU_DEP_2) | instskip(NEXT) | instid1(VALU_DEP_1)
	v_or_b32_e32 v6, v10, v6
	v_cndmask_b32_e32 v6, v9, v6, vcc_lo
	s_delay_alu instid0(VALU_DEP_1) | instskip(NEXT) | instid1(VALU_DEP_1)
	v_dual_lshrrev_b32 v6, 2, v6 :: v_dual_bitop2_b32 v9, 7, v6 bitop3:0x40
	v_cmp_lt_i32_e32 vcc_lo, 5, v9
	v_cndmask_b32_e64 v10, 0, 1, vcc_lo
	v_cmp_eq_u32_e32 vcc_lo, 3, v9
	v_cndmask_b32_e64 v9, 0, 1, vcc_lo
	v_cmp_ne_u32_e32 vcc_lo, 0, v3
	s_delay_alu instid0(VALU_DEP_2) | instskip(SKIP_1) | instid1(VALU_DEP_1)
	v_or_b32_e32 v9, v9, v10
	v_mov_b32_e32 v10, 0x7e00
	v_dual_cndmask_b32 v3, 0x7c00, v10 :: v_dual_add_nc_u32 v6, v6, v9
	v_cmp_gt_i32_e32 vcc_lo, 31, v8
	s_delay_alu instid0(VALU_DEP_2) | instskip(SKIP_1) | instid1(VALU_DEP_2)
	v_cndmask_b32_e32 v6, 0x7c00, v6, vcc_lo
	v_cmp_eq_u32_e32 vcc_lo, 0x40f, v8
	v_cndmask_b32_e32 v3, v6, v3, vcc_lo
	v_lshrrev_b32_e32 v6, 16, v7
	s_delay_alu instid0(VALU_DEP_1)
	v_and_or_b32 v3, 0x8000, v6, v3
	s_branch .LBB183_351
.LBB183_347:
	s_mov_b32 s2, -1
                                        ; implicit-def: $vgpr3
	s_branch .LBB183_369
.LBB183_348:
	s_mov_b32 s2, -1
                                        ; implicit-def: $vgpr3
	s_branch .LBB183_357
.LBB183_349:
	s_mov_b32 s2, -1
                                        ; implicit-def: $vgpr3
	s_branch .LBB183_354
.LBB183_350:
	s_mov_b32 s2, -1
                                        ; implicit-def: $vgpr3
.LBB183_351:
	s_delay_alu instid0(SALU_CYCLE_1)
	s_and_not1_b32 vcc_lo, exec_lo, s2
	s_cbranch_vccnz .LBB183_353
; %bb.352:
	global_load_b32 v3, v[4:5], off
	s_wait_loadcnt 0x0
	v_cvt_f16_f32_e32 v3, v3
.LBB183_353:
	s_mov_b32 s2, 0
.LBB183_354:
	s_delay_alu instid0(SALU_CYCLE_1)
	s_and_not1_b32 vcc_lo, exec_lo, s2
	s_cbranch_vccnz .LBB183_356
; %bb.355:
	global_load_b32 v3, v[4:5], off
.LBB183_356:
	s_mov_b32 s2, 0
.LBB183_357:
	s_delay_alu instid0(SALU_CYCLE_1)
	s_and_not1_b32 vcc_lo, exec_lo, s2
	s_cbranch_vccnz .LBB183_368
; %bb.358:
	s_cmp_lt_i32 s1, 6
	s_cbranch_scc1 .LBB183_361
; %bb.359:
	s_cmp_gt_i32 s1, 6
	s_cbranch_scc0 .LBB183_362
; %bb.360:
	global_load_b64 v[6:7], v[4:5], off
	s_mov_b32 s2, 0
	s_wait_loadcnt 0x0
	v_and_or_b32 v3, 0x1ff, v7, v6
	v_lshrrev_b32_e32 v6, 8, v7
	v_bfe_u32 v8, v7, 20, 11
	s_delay_alu instid0(VALU_DEP_3) | instskip(NEXT) | instid1(VALU_DEP_2)
	v_cmp_ne_u32_e32 vcc_lo, 0, v3
	v_sub_nc_u32_e32 v9, 0x3f1, v8
	v_add_nc_u32_e32 v8, 0xfffffc10, v8
	v_cndmask_b32_e64 v3, 0, 1, vcc_lo
	s_delay_alu instid0(VALU_DEP_1) | instskip(NEXT) | instid1(VALU_DEP_4)
	v_and_or_b32 v3, 0xffe, v6, v3
	v_med3_i32 v6, v9, 0, 13
	s_delay_alu instid0(VALU_DEP_2) | instskip(NEXT) | instid1(VALU_DEP_1)
	v_or_b32_e32 v9, 0x1000, v3
	v_lshrrev_b32_e32 v10, v6, v9
	s_delay_alu instid0(VALU_DEP_1) | instskip(NEXT) | instid1(VALU_DEP_1)
	v_lshlrev_b32_e32 v6, v6, v10
	v_cmp_ne_u32_e32 vcc_lo, v6, v9
	v_lshl_or_b32 v9, v8, 12, v3
	v_cndmask_b32_e64 v6, 0, 1, vcc_lo
	v_cmp_gt_i32_e32 vcc_lo, 1, v8
	s_delay_alu instid0(VALU_DEP_2) | instskip(NEXT) | instid1(VALU_DEP_1)
	v_or_b32_e32 v6, v10, v6
	v_cndmask_b32_e32 v6, v9, v6, vcc_lo
	s_delay_alu instid0(VALU_DEP_1) | instskip(NEXT) | instid1(VALU_DEP_1)
	v_dual_lshrrev_b32 v6, 2, v6 :: v_dual_bitop2_b32 v9, 7, v6 bitop3:0x40
	v_cmp_lt_i32_e32 vcc_lo, 5, v9
	v_cndmask_b32_e64 v10, 0, 1, vcc_lo
	v_cmp_eq_u32_e32 vcc_lo, 3, v9
	v_cndmask_b32_e64 v9, 0, 1, vcc_lo
	v_cmp_ne_u32_e32 vcc_lo, 0, v3
	s_delay_alu instid0(VALU_DEP_2) | instskip(SKIP_1) | instid1(VALU_DEP_1)
	v_or_b32_e32 v9, v9, v10
	v_mov_b32_e32 v10, 0x7e00
	v_dual_cndmask_b32 v3, 0x7c00, v10 :: v_dual_add_nc_u32 v6, v6, v9
	v_cmp_gt_i32_e32 vcc_lo, 31, v8
	s_delay_alu instid0(VALU_DEP_2) | instskip(SKIP_1) | instid1(VALU_DEP_2)
	v_cndmask_b32_e32 v6, 0x7c00, v6, vcc_lo
	v_cmp_eq_u32_e32 vcc_lo, 0x40f, v8
	v_cndmask_b32_e32 v3, v6, v3, vcc_lo
	v_lshrrev_b32_e32 v6, 16, v7
	s_delay_alu instid0(VALU_DEP_1)
	v_and_or_b32 v3, 0x8000, v6, v3
	s_branch .LBB183_363
.LBB183_361:
	s_mov_b32 s2, -1
                                        ; implicit-def: $vgpr3
	s_branch .LBB183_366
.LBB183_362:
	s_mov_b32 s2, -1
                                        ; implicit-def: $vgpr3
.LBB183_363:
	s_delay_alu instid0(SALU_CYCLE_1)
	s_and_not1_b32 vcc_lo, exec_lo, s2
	s_cbranch_vccnz .LBB183_365
; %bb.364:
	s_wait_loadcnt 0x0
	global_load_b32 v3, v[4:5], off
	s_wait_loadcnt 0x0
	v_cvt_f16_f32_e32 v3, v3
.LBB183_365:
	s_mov_b32 s2, 0
.LBB183_366:
	s_delay_alu instid0(SALU_CYCLE_1)
	s_and_not1_b32 vcc_lo, exec_lo, s2
	s_cbranch_vccnz .LBB183_368
; %bb.367:
	s_wait_loadcnt 0x0
	global_load_u16 v3, v[4:5], off
.LBB183_368:
	s_mov_b32 s2, 0
.LBB183_369:
	s_delay_alu instid0(SALU_CYCLE_1)
	s_and_not1_b32 vcc_lo, exec_lo, s2
	s_cbranch_vccnz .LBB183_389
; %bb.370:
	s_cmp_lt_i32 s1, 2
	s_cbranch_scc1 .LBB183_374
; %bb.371:
	s_cmp_lt_i32 s1, 3
	s_cbranch_scc1 .LBB183_375
; %bb.372:
	s_cmp_gt_i32 s1, 3
	s_cbranch_scc0 .LBB183_376
; %bb.373:
	global_load_b64 v[6:7], v[4:5], off
	s_mov_b32 s2, 0
	s_wait_loadcnt 0x0
	v_xor_b32_e32 v3, v6, v7
	v_cls_i32_e32 v8, v7
	s_delay_alu instid0(VALU_DEP_2) | instskip(NEXT) | instid1(VALU_DEP_1)
	v_ashrrev_i32_e32 v3, 31, v3
	v_add_nc_u32_e32 v3, 32, v3
	s_delay_alu instid0(VALU_DEP_1) | instskip(NEXT) | instid1(VALU_DEP_1)
	v_add_min_u32_e64 v3, v8, -1, v3
	v_lshlrev_b64_e32 v[6:7], v3, v[6:7]
	v_sub_nc_u32_e32 v3, 32, v3
	s_delay_alu instid0(VALU_DEP_2) | instskip(NEXT) | instid1(VALU_DEP_1)
	v_min_u32_e32 v6, 1, v6
	v_or_b32_e32 v6, v7, v6
	s_delay_alu instid0(VALU_DEP_1) | instskip(NEXT) | instid1(VALU_DEP_1)
	v_cvt_f32_i32_e32 v6, v6
	v_ldexp_f32 v3, v6, v3
	s_delay_alu instid0(VALU_DEP_1)
	v_cvt_f16_f32_e32 v3, v3
	s_branch .LBB183_377
.LBB183_374:
	s_mov_b32 s2, -1
                                        ; implicit-def: $vgpr3
	s_branch .LBB183_383
.LBB183_375:
	s_mov_b32 s2, -1
                                        ; implicit-def: $vgpr3
	s_branch .LBB183_380
.LBB183_376:
	s_mov_b32 s2, -1
                                        ; implicit-def: $vgpr3
.LBB183_377:
	s_delay_alu instid0(SALU_CYCLE_1)
	s_and_not1_b32 vcc_lo, exec_lo, s2
	s_cbranch_vccnz .LBB183_379
; %bb.378:
	s_wait_loadcnt 0x0
	global_load_b32 v3, v[4:5], off
	s_wait_loadcnt 0x0
	v_cvt_f32_i32_e32 v3, v3
	s_delay_alu instid0(VALU_DEP_1)
	v_cvt_f16_f32_e32 v3, v3
.LBB183_379:
	s_mov_b32 s2, 0
.LBB183_380:
	s_delay_alu instid0(SALU_CYCLE_1)
	s_and_not1_b32 vcc_lo, exec_lo, s2
	s_cbranch_vccnz .LBB183_382
; %bb.381:
	s_wait_loadcnt 0x0
	global_load_u16 v3, v[4:5], off
	s_wait_loadcnt 0x0
	v_cvt_f16_i16_e32 v3, v3
.LBB183_382:
	s_mov_b32 s2, 0
.LBB183_383:
	s_delay_alu instid0(SALU_CYCLE_1)
	s_and_not1_b32 vcc_lo, exec_lo, s2
	s_cbranch_vccnz .LBB183_389
; %bb.384:
	s_cmp_gt_i32 s1, 0
	s_mov_b32 s1, 0
	s_cbranch_scc0 .LBB183_386
; %bb.385:
	s_wait_loadcnt 0x0
	global_load_i8 v3, v[4:5], off
	s_wait_loadcnt 0x0
	v_cvt_f16_i16_e32 v3, v3
	s_branch .LBB183_387
.LBB183_386:
	s_mov_b32 s1, -1
                                        ; implicit-def: $vgpr3
.LBB183_387:
	s_delay_alu instid0(SALU_CYCLE_1)
	s_and_not1_b32 vcc_lo, exec_lo, s1
	s_cbranch_vccnz .LBB183_389
; %bb.388:
	s_wait_loadcnt 0x0
	global_load_u8 v3, v[4:5], off
	s_wait_loadcnt 0x0
	v_cvt_f16_u16_e32 v3, v3
.LBB183_389:
	s_branch .LBB183_32
.LBB183_390:
	s_mov_b32 s2, 0
.LBB183_391:
	s_mov_b32 s1, 0
                                        ; implicit-def: $vgpr0
.LBB183_392:
	s_and_b32 s10, s2, exec_lo
	s_and_b32 s41, s29, exec_lo
	;; [unrolled: 1-line block ×3, first 2 shown]
	s_or_not1_b32 s29, s1, exec_lo
.LBB183_393:
	s_wait_xcnt 0x0
	s_or_b32 exec_lo, exec_lo, s43
	s_mov_b32 s45, 0
	s_mov_b32 s28, 0
                                        ; implicit-def: $sgpr2
                                        ; implicit-def: $vgpr6_vgpr7
                                        ; implicit-def: $vgpr4
                                        ; implicit-def: $vgpr2
                                        ; implicit-def: $vgpr3
	s_and_saveexec_b32 s43, s29
	s_cbranch_execz .LBB183_401
; %bb.394:
	s_mov_b32 s48, -1
	s_mov_b32 s44, s42
	s_mov_b32 s46, s41
	;; [unrolled: 1-line block ×3, first 2 shown]
	s_mov_b32 s47, exec_lo
	v_cmpx_gt_i32_e64 s39, v0
	s_cbranch_execz .LBB183_797
; %bb.395:
	s_and_not1_b32 vcc_lo, exec_lo, s34
	s_cbranch_vccnz .LBB183_404
; %bb.396:
	s_and_not1_b32 vcc_lo, exec_lo, s40
	s_cbranch_vccnz .LBB183_405
; %bb.397:
	s_wait_loadcnt 0x0
	v_dual_mov_b32 v2, 0 :: v_dual_mov_b32 v1, v0
	v_dual_mov_b32 v6, 0 :: v_dual_mov_b32 v4, 0
	s_add_co_i32 s1, s38, 1
	s_mov_b64 s[28:29], 0xffffffffffffffe8
	s_and_b32 s1, s1, 30
	s_add_nc_u64 s[28:29], s[20:21], s[28:29]
.LBB183_398:                            ; =>This Inner Loop Header: Depth=1
	s_clause 0x1
	s_load_b128 s[48:51], s[28:29], 0x1c
	s_load_b64 s[44:45], s[28:29], 0x2c
	s_add_co_i32 s1, s1, -2
	s_delay_alu instid0(SALU_CYCLE_1) | instskip(SKIP_2) | instid1(VALU_DEP_1)
	s_cmp_eq_u32 s1, 0
	s_wait_kmcnt 0x0
	v_mul_hi_u32 v3, s49, v1
	v_add_nc_u32_e32 v3, v1, v3
	s_delay_alu instid0(VALU_DEP_1) | instskip(NEXT) | instid1(VALU_DEP_1)
	v_lshrrev_b32_e32 v3, s50, v3
	v_mul_hi_u32 v5, s44, v3
	v_mul_lo_u32 v7, v3, s48
	s_clause 0x1
	s_load_b128 s[52:55], s[28:29], 0xdc
	s_load_b64 s[48:49], s[28:29], 0xec
	s_wait_xcnt 0x0
	s_add_nc_u64 s[28:29], s[28:29], 24
	s_delay_alu instid0(VALU_DEP_1) | instskip(NEXT) | instid1(VALU_DEP_1)
	v_dual_add_nc_u32 v5, v3, v5 :: v_dual_sub_nc_u32 v7, v1, v7
	v_lshrrev_b32_e32 v1, s45, v5
	s_wait_kmcnt 0x0
	s_delay_alu instid0(VALU_DEP_2) | instskip(NEXT) | instid1(VALU_DEP_2)
	v_mad_u32 v2, v7, s52, v2
	v_mul_lo_u32 v5, v1, s51
	v_mad_u32 v4, v7, s54, v4
	v_mad_u32 v6, v7, s53, v6
	s_delay_alu instid0(VALU_DEP_3) | instskip(NEXT) | instid1(VALU_DEP_1)
	v_sub_nc_u32_e32 v3, v3, v5
	v_mad_u32 v2, v3, s55, v2
	s_delay_alu instid0(VALU_DEP_4) | instskip(NEXT) | instid1(VALU_DEP_4)
	v_mad_u32 v4, v3, s49, v4
	v_mad_u32 v6, v3, s48, v6
	s_cbranch_scc0 .LBB183_398
; %bb.399:
	s_bitcmp1_b32 s38, 0
	s_cselect_b32 s1, -1, 0
	s_delay_alu instid0(SALU_CYCLE_1)
	s_and_b32 vcc_lo, exec_lo, s1
	s_cbranch_vccnz .LBB183_406
; %bb.400:
	s_clause 0x1
	s_load_b96 s[44:46], s[28:29], 0x1c
	s_load_b96 s[48:50], s[28:29], 0xdc
	s_wait_kmcnt 0x0
	v_mul_hi_u32 v3, s45, v1
	s_delay_alu instid0(VALU_DEP_1) | instskip(NEXT) | instid1(VALU_DEP_1)
	v_add_nc_u32_e32 v3, v1, v3
	v_lshrrev_b32_e32 v3, s46, v3
	s_delay_alu instid0(VALU_DEP_1) | instskip(NEXT) | instid1(VALU_DEP_1)
	v_mul_lo_u32 v3, v3, s44
	v_sub_nc_u32_e32 v1, v1, v3
	s_delay_alu instid0(VALU_DEP_1)
	v_mad_u32 v2, v1, s48, v2
	v_mad_u32 v6, v1, s49, v6
	;; [unrolled: 1-line block ×3, first 2 shown]
	s_branch .LBB183_406
.LBB183_401:
	s_or_b32 exec_lo, exec_lo, s43
	s_mov_b32 s1, 0
	s_and_saveexec_b32 s3, s42
	s_cbranch_execnz .LBB183_1297
.LBB183_402:
	s_or_b32 exec_lo, exec_lo, s3
	s_and_saveexec_b32 s3, s23
	s_delay_alu instid0(SALU_CYCLE_1)
	s_xor_b32 s3, exec_lo, s3
	s_cbranch_execz .LBB183_1298
.LBB183_403:
	global_load_u8 v0, v[6:7], off
	s_or_b32 s28, s28, exec_lo
	s_wait_loadcnt 0x0
	v_cmp_ne_u16_e32 vcc_lo, 0, v0
	v_cndmask_b32_e64 v3, 0, 0x3c00, vcc_lo
	s_wait_xcnt 0x0
	s_or_b32 exec_lo, exec_lo, s3
	s_and_saveexec_b32 s3, s45
	s_cbranch_execz .LBB183_1344
	s_branch .LBB183_1299
.LBB183_404:
                                        ; implicit-def: $vgpr4
                                        ; implicit-def: $vgpr6
                                        ; implicit-def: $vgpr2
	s_branch .LBB183_407
.LBB183_405:
	v_dual_mov_b32 v4, 0 :: v_dual_mov_b32 v6, 0
	v_mov_b32_e32 v2, 0
.LBB183_406:
	s_cbranch_execnz .LBB183_409
.LBB183_407:
	s_wait_loadcnt 0x0
	v_mov_b32_e32 v1, 0
	s_and_not1_b32 vcc_lo, exec_lo, s37
	s_delay_alu instid0(VALU_DEP_1) | instskip(NEXT) | instid1(VALU_DEP_1)
	v_mul_u64_e32 v[2:3], s[22:23], v[0:1]
	v_add_nc_u32_e32 v2, v0, v3
	s_delay_alu instid0(VALU_DEP_1) | instskip(NEXT) | instid1(VALU_DEP_1)
	v_lshrrev_b32_e32 v8, s14, v2
	v_mul_lo_u32 v2, v8, s12
	s_delay_alu instid0(VALU_DEP_1) | instskip(NEXT) | instid1(VALU_DEP_1)
	v_sub_nc_u32_e32 v3, v0, v2
	v_mul_lo_u32 v2, v3, s16
	v_mul_lo_u32 v4, v3, s18
	;; [unrolled: 1-line block ×3, first 2 shown]
	s_cbranch_vccnz .LBB183_409
; %bb.408:
	v_mov_b32_e32 v9, v1
	s_delay_alu instid0(VALU_DEP_1) | instskip(NEXT) | instid1(VALU_DEP_1)
	v_mul_u64_e32 v[10:11], s[26:27], v[8:9]
	v_add_nc_u32_e32 v1, v8, v11
	s_delay_alu instid0(VALU_DEP_1) | instskip(NEXT) | instid1(VALU_DEP_1)
	v_lshrrev_b32_e32 v1, s3, v1
	v_mul_lo_u32 v1, v1, s15
	s_delay_alu instid0(VALU_DEP_1) | instskip(NEXT) | instid1(VALU_DEP_1)
	v_sub_nc_u32_e32 v1, v8, v1
	v_mad_u32 v2, v1, s19, v2
	v_mad_u32 v6, v1, s24, v6
	v_mad_u32 v4, v1, s25, v4
.LBB183_409:
	v_mov_b32_e32 v7, 0
	s_and_b32 s1, s36, 0xff
	s_delay_alu instid0(SALU_CYCLE_1) | instskip(NEXT) | instid1(VALU_DEP_1)
	s_cmp_lt_i32 s1, 11
	v_add_nc_u64_e32 v[6:7], s[6:7], v[6:7]
	s_cbranch_scc1 .LBB183_416
; %bb.410:
	s_and_b32 s2, 0xffff, s1
	s_delay_alu instid0(SALU_CYCLE_1)
	s_cmp_gt_i32 s2, 25
	s_cbranch_scc0 .LBB183_425
; %bb.411:
	s_cmp_gt_i32 s2, 28
	s_cbranch_scc0 .LBB183_427
; %bb.412:
	;; [unrolled: 3-line block ×4, first 2 shown]
	s_cmp_eq_u32 s2, 46
	s_mov_b32 s44, 0
	s_cbranch_scc0 .LBB183_435
; %bb.415:
	s_wait_loadcnt 0x0
	global_load_b32 v1, v[6:7], off
	s_mov_b32 s29, -1
	s_mov_b32 s28, 0
	s_wait_loadcnt 0x0
	v_lshlrev_b32_e32 v1, 16, v1
	s_delay_alu instid0(VALU_DEP_1)
	v_cvt_f16_f32_e32 v1, v1
	s_branch .LBB183_437
.LBB183_416:
	s_mov_b32 s29, 0
	s_mov_b32 s28, s42
                                        ; implicit-def: $vgpr1
	s_cbranch_execnz .LBB183_503
.LBB183_417:
	s_and_not1_b32 vcc_lo, exec_lo, s29
	s_cbranch_vccnz .LBB183_551
.LBB183_418:
	v_mov_b32_e32 v5, 0
	s_and_b32 s1, s13, 0xff
	s_delay_alu instid0(SALU_CYCLE_1) | instskip(NEXT) | instid1(VALU_DEP_1)
	s_cmp_lt_i32 s1, 11
	v_add_nc_u64_e32 v[4:5], s[8:9], v[4:5]
	s_cbranch_scc1 .LBB183_426
; %bb.419:
	s_and_b32 s2, 0xffff, s1
	s_delay_alu instid0(SALU_CYCLE_1)
	s_cmp_gt_i32 s2, 25
	s_cbranch_scc0 .LBB183_428
; %bb.420:
	s_cmp_gt_i32 s2, 28
	s_cbranch_scc0 .LBB183_430
; %bb.421:
	;; [unrolled: 3-line block ×4, first 2 shown]
	s_cmp_eq_u32 s2, 46
	s_mov_b32 s45, 0
	s_cbranch_scc0 .LBB183_554
; %bb.424:
	s_wait_loadcnt 0x0
	global_load_b32 v3, v[4:5], off
	s_mov_b32 s44, -1
	s_mov_b32 s29, 0
	s_wait_loadcnt 0x0
	v_lshlrev_b32_e32 v3, 16, v3
	s_delay_alu instid0(VALU_DEP_1)
	v_cvt_f16_f32_e32 v3, v3
	s_branch .LBB183_556
.LBB183_425:
	s_mov_b32 s44, -1
	s_mov_b32 s29, 0
	s_mov_b32 s28, s42
                                        ; implicit-def: $vgpr1
	s_branch .LBB183_467
.LBB183_426:
	s_mov_b32 s2, -1
	s_mov_b32 s44, 0
	s_mov_b32 s29, s41
                                        ; implicit-def: $vgpr3
	s_branch .LBB183_621
.LBB183_427:
	s_mov_b32 s44, -1
	s_mov_b32 s29, 0
	s_mov_b32 s28, s42
                                        ; implicit-def: $vgpr1
	s_branch .LBB183_448
.LBB183_428:
	s_mov_b32 s45, -1
	s_mov_b32 s44, 0
	s_mov_b32 s29, s41
                                        ; implicit-def: $vgpr3
	s_branch .LBB183_585
.LBB183_429:
	s_mov_b32 s44, -1
	s_mov_b32 s29, 0
	s_mov_b32 s28, s42
                                        ; implicit-def: $vgpr1
	s_branch .LBB183_443
.LBB183_430:
	s_mov_b32 s45, -1
	s_mov_b32 s44, 0
	s_mov_b32 s29, s41
                                        ; implicit-def: $vgpr3
	s_branch .LBB183_566
.LBB183_431:
	s_mov_b32 s44, -1
	s_mov_b32 s29, 0
	s_mov_b32 s28, s42
	s_branch .LBB183_436
.LBB183_432:
	s_mov_b32 s45, -1
	s_mov_b32 s44, 0
	s_mov_b32 s29, s41
                                        ; implicit-def: $vgpr3
	s_branch .LBB183_561
.LBB183_433:
	s_and_not1_saveexec_b32 s45, s45
	s_cbranch_execz .LBB183_191
.LBB183_434:
	v_add_f32_e32 v1, 0x46000000, v4
	s_and_not1_b32 s44, s44, exec_lo
	s_delay_alu instid0(VALU_DEP_1) | instskip(NEXT) | instid1(VALU_DEP_1)
	v_and_b32_e32 v1, 0xff, v1
	v_cmp_ne_u32_e32 vcc_lo, 0, v1
	s_and_b32 s46, vcc_lo, exec_lo
	s_delay_alu instid0(SALU_CYCLE_1)
	s_or_b32 s44, s44, s46
	s_or_b32 exec_lo, exec_lo, s45
	v_mov_b32_e32 v5, 0
	s_and_saveexec_b32 s45, s44
	s_cbranch_execnz .LBB183_192
	s_branch .LBB183_193
.LBB183_435:
	s_mov_b32 s28, -1
	s_mov_b32 s29, 0
.LBB183_436:
                                        ; implicit-def: $vgpr1
.LBB183_437:
	s_and_b32 vcc_lo, exec_lo, s44
	s_cbranch_vccz .LBB183_442
; %bb.438:
	s_cmp_eq_u32 s2, 44
	s_cbranch_scc0 .LBB183_441
; %bb.439:
	s_wait_loadcnt 0x0
	global_load_u8 v1, v[6:7], off
	s_mov_b32 s28, 0
	s_mov_b32 s29, -1
	s_wait_loadcnt 0x0
	v_lshlrev_b32_e32 v3, 23, v1
	v_cmp_ne_u32_e32 vcc_lo, 0xff, v1
	s_delay_alu instid0(VALU_DEP_2) | instskip(NEXT) | instid1(VALU_DEP_1)
	v_cvt_f16_f32_e32 v3, v3
	v_cndmask_b32_e32 v3, 0x7e00, v3, vcc_lo
	v_cmp_ne_u32_e32 vcc_lo, 0, v1
	s_delay_alu instid0(VALU_DEP_2)
	v_cndmask_b32_e32 v1, 0, v3, vcc_lo
	s_branch .LBB183_442
.LBB183_440:
	s_mov_b32 s45, -1
	s_mov_b32 s44, 0
	s_mov_b32 s29, s41
	s_branch .LBB183_555
.LBB183_441:
	s_mov_b32 s28, -1
                                        ; implicit-def: $vgpr1
.LBB183_442:
	s_mov_b32 s44, 0
.LBB183_443:
	s_delay_alu instid0(SALU_CYCLE_1)
	s_and_b32 vcc_lo, exec_lo, s44
	s_cbranch_vccz .LBB183_447
; %bb.444:
	s_cmp_eq_u32 s2, 29
	s_cbranch_scc0 .LBB183_446
; %bb.445:
	global_load_b64 v[8:9], v[6:7], off
	s_mov_b32 s29, -1
	s_mov_b32 s28, 0
	s_mov_b32 s44, 0
	s_wait_loadcnt 0x0
	v_clz_i32_u32_e32 v1, v9
	s_delay_alu instid0(VALU_DEP_1) | instskip(NEXT) | instid1(VALU_DEP_1)
	v_min_u32_e32 v1, 32, v1
	v_lshlrev_b64_e32 v[8:9], v1, v[8:9]
	v_sub_nc_u32_e32 v1, 32, v1
	s_delay_alu instid0(VALU_DEP_2) | instskip(NEXT) | instid1(VALU_DEP_1)
	v_min_u32_e32 v3, 1, v8
	v_or_b32_e32 v3, v9, v3
	s_delay_alu instid0(VALU_DEP_1) | instskip(NEXT) | instid1(VALU_DEP_1)
	v_cvt_f32_u32_e32 v3, v3
	v_ldexp_f32 v1, v3, v1
	s_delay_alu instid0(VALU_DEP_1)
	v_cvt_f16_f32_e32 v1, v1
	s_branch .LBB183_448
.LBB183_446:
	s_mov_b32 s28, -1
                                        ; implicit-def: $vgpr1
.LBB183_447:
	s_mov_b32 s44, 0
.LBB183_448:
	s_delay_alu instid0(SALU_CYCLE_1)
	s_and_b32 vcc_lo, exec_lo, s44
	s_cbranch_vccz .LBB183_466
; %bb.449:
	s_cmp_lt_i32 s2, 27
	s_cbranch_scc1 .LBB183_452
; %bb.450:
	s_cmp_gt_i32 s2, 27
	s_cbranch_scc0 .LBB183_453
; %bb.451:
	s_wait_loadcnt 0x0
	global_load_b32 v1, v[6:7], off
	s_mov_b32 s29, 0
	s_wait_loadcnt 0x0
	v_cvt_f32_u32_e32 v1, v1
	s_delay_alu instid0(VALU_DEP_1)
	v_cvt_f16_f32_e32 v1, v1
	s_branch .LBB183_454
.LBB183_452:
	s_mov_b32 s29, -1
                                        ; implicit-def: $vgpr1
	s_branch .LBB183_457
.LBB183_453:
	s_mov_b32 s29, -1
                                        ; implicit-def: $vgpr1
.LBB183_454:
	s_delay_alu instid0(SALU_CYCLE_1)
	s_and_not1_b32 vcc_lo, exec_lo, s29
	s_cbranch_vccnz .LBB183_456
; %bb.455:
	s_wait_loadcnt 0x0
	global_load_u16 v1, v[6:7], off
	s_wait_loadcnt 0x0
	v_cvt_f16_u16_e32 v1, v1
.LBB183_456:
	s_mov_b32 s29, 0
.LBB183_457:
	s_delay_alu instid0(SALU_CYCLE_1)
	s_and_not1_b32 vcc_lo, exec_lo, s29
	s_cbranch_vccnz .LBB183_465
; %bb.458:
	s_wait_loadcnt 0x0
	global_load_u8 v3, v[6:7], off
	s_mov_b32 s29, 0
	s_mov_b32 s44, exec_lo
	s_wait_loadcnt 0x0
	v_cmpx_lt_i16_e32 0x7f, v3
	s_xor_b32 s44, exec_lo, s44
	s_cbranch_execz .LBB183_479
; %bb.459:
	s_mov_b32 s29, -1
	s_mov_b32 s45, exec_lo
	v_cmpx_eq_u16_e32 0x80, v3
; %bb.460:
	s_xor_b32 s29, exec_lo, -1
; %bb.461:
	s_or_b32 exec_lo, exec_lo, s45
	s_delay_alu instid0(SALU_CYCLE_1)
	s_and_b32 s29, s29, exec_lo
	s_or_saveexec_b32 s44, s44
	v_mov_b32_e32 v1, 0x7e00
	s_xor_b32 exec_lo, exec_lo, s44
	s_cbranch_execnz .LBB183_480
.LBB183_462:
	s_or_b32 exec_lo, exec_lo, s44
	s_and_saveexec_b32 s44, s29
	s_cbranch_execz .LBB183_464
.LBB183_463:
	v_and_b32_e32 v1, 0xffff, v3
	s_delay_alu instid0(VALU_DEP_1) | instskip(SKIP_1) | instid1(VALU_DEP_2)
	v_and_b32_e32 v5, 7, v1
	v_bfe_u32 v10, v1, 3, 4
	v_clz_i32_u32_e32 v8, v5
	s_delay_alu instid0(VALU_DEP_2) | instskip(NEXT) | instid1(VALU_DEP_2)
	v_cmp_eq_u32_e32 vcc_lo, 0, v10
	v_min_u32_e32 v8, 32, v8
	s_delay_alu instid0(VALU_DEP_1) | instskip(NEXT) | instid1(VALU_DEP_1)
	v_subrev_nc_u32_e32 v9, 28, v8
	v_dual_lshlrev_b32 v1, v9, v1 :: v_dual_sub_nc_u32 v8, 29, v8
	s_delay_alu instid0(VALU_DEP_1) | instskip(NEXT) | instid1(VALU_DEP_1)
	v_dual_lshlrev_b32 v3, 24, v3 :: v_dual_bitop2_b32 v1, 7, v1 bitop3:0x40
	v_dual_cndmask_b32 v8, v10, v8 :: v_dual_cndmask_b32 v1, v5, v1
	s_delay_alu instid0(VALU_DEP_2) | instskip(NEXT) | instid1(VALU_DEP_2)
	v_and_b32_e32 v3, 0x80000000, v3
	v_lshl_add_u32 v5, v8, 23, 0x3b800000
	s_delay_alu instid0(VALU_DEP_3) | instskip(NEXT) | instid1(VALU_DEP_1)
	v_lshlrev_b32_e32 v1, 20, v1
	v_or3_b32 v1, v3, v5, v1
	s_delay_alu instid0(VALU_DEP_1)
	v_cvt_f16_f32_e32 v1, v1
.LBB183_464:
	s_or_b32 exec_lo, exec_lo, s44
.LBB183_465:
	s_mov_b32 s29, -1
.LBB183_466:
	s_mov_b32 s44, 0
.LBB183_467:
	s_delay_alu instid0(SALU_CYCLE_1)
	s_and_b32 vcc_lo, exec_lo, s44
	s_cbranch_vccz .LBB183_502
; %bb.468:
	s_cmp_gt_i32 s2, 22
	s_cbranch_scc0 .LBB183_478
; %bb.469:
	s_cmp_lt_i32 s2, 24
	s_cbranch_scc1 .LBB183_481
; %bb.470:
	s_cmp_gt_i32 s2, 24
	s_cbranch_scc0 .LBB183_482
; %bb.471:
	s_wait_loadcnt 0x0
	global_load_u8 v3, v[6:7], off
	s_mov_b32 s29, 0
	s_mov_b32 s44, exec_lo
	s_wait_loadcnt 0x0
	v_cmpx_lt_i16_e32 0x7f, v3
	s_xor_b32 s44, exec_lo, s44
	s_cbranch_execz .LBB183_494
; %bb.472:
	s_mov_b32 s29, -1
	s_mov_b32 s45, exec_lo
	v_cmpx_eq_u16_e32 0x80, v3
; %bb.473:
	s_xor_b32 s29, exec_lo, -1
; %bb.474:
	s_or_b32 exec_lo, exec_lo, s45
	s_delay_alu instid0(SALU_CYCLE_1)
	s_and_b32 s29, s29, exec_lo
	s_or_saveexec_b32 s44, s44
	v_mov_b32_e32 v1, 0x7e00
	s_xor_b32 exec_lo, exec_lo, s44
	s_cbranch_execnz .LBB183_495
.LBB183_475:
	s_or_b32 exec_lo, exec_lo, s44
	s_and_saveexec_b32 s44, s29
	s_cbranch_execz .LBB183_477
.LBB183_476:
	v_and_b32_e32 v1, 0xffff, v3
	s_delay_alu instid0(VALU_DEP_1) | instskip(SKIP_1) | instid1(VALU_DEP_2)
	v_and_b32_e32 v5, 3, v1
	v_bfe_u32 v10, v1, 2, 5
	v_clz_i32_u32_e32 v8, v5
	s_delay_alu instid0(VALU_DEP_2) | instskip(NEXT) | instid1(VALU_DEP_2)
	v_cmp_eq_u32_e32 vcc_lo, 0, v10
	v_min_u32_e32 v8, 32, v8
	s_delay_alu instid0(VALU_DEP_1) | instskip(NEXT) | instid1(VALU_DEP_1)
	v_subrev_nc_u32_e32 v9, 29, v8
	v_dual_lshlrev_b32 v1, v9, v1 :: v_dual_sub_nc_u32 v8, 30, v8
	s_delay_alu instid0(VALU_DEP_1) | instskip(NEXT) | instid1(VALU_DEP_1)
	v_dual_lshlrev_b32 v3, 24, v3 :: v_dual_bitop2_b32 v1, 3, v1 bitop3:0x40
	v_dual_cndmask_b32 v8, v10, v8 :: v_dual_cndmask_b32 v1, v5, v1
	s_delay_alu instid0(VALU_DEP_2) | instskip(NEXT) | instid1(VALU_DEP_2)
	v_and_b32_e32 v3, 0x80000000, v3
	v_lshl_add_u32 v5, v8, 23, 0x37800000
	s_delay_alu instid0(VALU_DEP_3) | instskip(NEXT) | instid1(VALU_DEP_1)
	v_lshlrev_b32_e32 v1, 21, v1
	v_or3_b32 v1, v3, v5, v1
	s_delay_alu instid0(VALU_DEP_1)
	v_cvt_f16_f32_e32 v1, v1
.LBB183_477:
	s_or_b32 exec_lo, exec_lo, s44
	s_mov_b32 s29, 0
	s_branch .LBB183_483
.LBB183_478:
	s_mov_b32 s44, -1
                                        ; implicit-def: $vgpr1
	s_branch .LBB183_489
.LBB183_479:
	s_or_saveexec_b32 s44, s44
	v_mov_b32_e32 v1, 0x7e00
	s_xor_b32 exec_lo, exec_lo, s44
	s_cbranch_execz .LBB183_462
.LBB183_480:
	v_cmp_ne_u16_e32 vcc_lo, 0, v3
	v_mov_b32_e32 v1, v3
	s_and_not1_b32 s29, s29, exec_lo
	s_and_b32 s45, vcc_lo, exec_lo
	s_delay_alu instid0(SALU_CYCLE_1)
	s_or_b32 s29, s29, s45
	s_or_b32 exec_lo, exec_lo, s44
	s_and_saveexec_b32 s44, s29
	s_cbranch_execnz .LBB183_463
	s_branch .LBB183_464
.LBB183_481:
	s_mov_b32 s29, -1
                                        ; implicit-def: $vgpr1
	s_branch .LBB183_486
.LBB183_482:
	s_mov_b32 s29, -1
                                        ; implicit-def: $vgpr1
.LBB183_483:
	s_delay_alu instid0(SALU_CYCLE_1)
	s_and_b32 vcc_lo, exec_lo, s29
	s_cbranch_vccz .LBB183_485
; %bb.484:
	s_wait_loadcnt 0x0
	global_load_u8 v1, v[6:7], off
	s_wait_loadcnt 0x0
	v_lshlrev_b32_e32 v1, 24, v1
	s_delay_alu instid0(VALU_DEP_1) | instskip(NEXT) | instid1(VALU_DEP_1)
	v_and_b32_e32 v3, 0x7f000000, v1
	v_clz_i32_u32_e32 v5, v3
	v_add_nc_u32_e32 v9, 0x1000000, v3
	v_cmp_ne_u32_e32 vcc_lo, 0, v3
	s_delay_alu instid0(VALU_DEP_3) | instskip(NEXT) | instid1(VALU_DEP_1)
	v_min_u32_e32 v5, 32, v5
	v_sub_nc_u32_e64 v5, v5, 4 clamp
	s_delay_alu instid0(VALU_DEP_1) | instskip(NEXT) | instid1(VALU_DEP_1)
	v_dual_lshlrev_b32 v8, v5, v3 :: v_dual_lshlrev_b32 v5, 23, v5
	v_lshrrev_b32_e32 v8, 4, v8
	s_delay_alu instid0(VALU_DEP_1) | instskip(SKIP_1) | instid1(VALU_DEP_2)
	v_sub_nc_u32_e32 v5, v8, v5
	v_ashrrev_i32_e32 v8, 8, v9
	v_add_nc_u32_e32 v5, 0x3c000000, v5
	s_delay_alu instid0(VALU_DEP_1) | instskip(NEXT) | instid1(VALU_DEP_1)
	v_and_or_b32 v5, 0x7f800000, v8, v5
	v_cndmask_b32_e32 v3, 0, v5, vcc_lo
	s_delay_alu instid0(VALU_DEP_1) | instskip(NEXT) | instid1(VALU_DEP_1)
	v_and_or_b32 v1, 0x80000000, v1, v3
	v_cvt_f16_f32_e32 v1, v1
.LBB183_485:
	s_mov_b32 s29, 0
.LBB183_486:
	s_delay_alu instid0(SALU_CYCLE_1)
	s_and_not1_b32 vcc_lo, exec_lo, s29
	s_cbranch_vccnz .LBB183_488
; %bb.487:
	s_wait_loadcnt 0x0
	global_load_u8 v1, v[6:7], off
	s_wait_loadcnt 0x0
	v_lshlrev_b32_e32 v3, 25, v1
	v_lshlrev_b16 v1, 8, v1
	s_delay_alu instid0(VALU_DEP_1) | instskip(SKIP_1) | instid1(VALU_DEP_2)
	v_and_or_b32 v8, 0x7f00, v1, 0.5
	v_bfe_i32 v1, v1, 0, 16
	v_dual_add_f32 v8, -0.5, v8 :: v_dual_lshrrev_b32 v5, 4, v3
	v_cmp_gt_u32_e32 vcc_lo, 0x8000000, v3
	s_delay_alu instid0(VALU_DEP_2) | instskip(NEXT) | instid1(VALU_DEP_1)
	v_or_b32_e32 v5, 0x70000000, v5
	v_mul_f32_e32 v5, 0x7800000, v5
	s_delay_alu instid0(VALU_DEP_1) | instskip(NEXT) | instid1(VALU_DEP_1)
	v_cndmask_b32_e32 v3, v5, v8, vcc_lo
	v_and_or_b32 v1, 0x80000000, v1, v3
	s_delay_alu instid0(VALU_DEP_1)
	v_cvt_f16_f32_e32 v1, v1
.LBB183_488:
	s_mov_b32 s44, 0
	s_mov_b32 s29, -1
.LBB183_489:
	s_and_not1_b32 vcc_lo, exec_lo, s44
	s_cbranch_vccnz .LBB183_502
; %bb.490:
	s_cmp_gt_i32 s2, 14
	s_cbranch_scc0 .LBB183_493
; %bb.491:
	s_cmp_eq_u32 s2, 15
	s_cbranch_scc0 .LBB183_496
; %bb.492:
	s_wait_loadcnt 0x0
	global_load_u16 v1, v[6:7], off
	s_mov_b32 s29, -1
	s_mov_b32 s28, 0
	s_wait_loadcnt 0x0
	v_lshlrev_b32_e32 v1, 16, v1
	s_delay_alu instid0(VALU_DEP_1)
	v_cvt_f16_f32_e32 v1, v1
	s_branch .LBB183_497
.LBB183_493:
	s_mov_b32 s44, -1
                                        ; implicit-def: $vgpr1
	s_branch .LBB183_498
.LBB183_494:
	s_or_saveexec_b32 s44, s44
	v_mov_b32_e32 v1, 0x7e00
	s_xor_b32 exec_lo, exec_lo, s44
	s_cbranch_execz .LBB183_475
.LBB183_495:
	v_cmp_ne_u16_e32 vcc_lo, 0, v3
	v_mov_b32_e32 v1, v3
	s_and_not1_b32 s29, s29, exec_lo
	s_and_b32 s45, vcc_lo, exec_lo
	s_delay_alu instid0(SALU_CYCLE_1)
	s_or_b32 s29, s29, s45
	s_or_b32 exec_lo, exec_lo, s44
	s_and_saveexec_b32 s44, s29
	s_cbranch_execnz .LBB183_476
	s_branch .LBB183_477
.LBB183_496:
	s_mov_b32 s28, -1
                                        ; implicit-def: $vgpr1
.LBB183_497:
	s_mov_b32 s44, 0
.LBB183_498:
	s_delay_alu instid0(SALU_CYCLE_1)
	s_and_b32 vcc_lo, exec_lo, s44
	s_cbranch_vccz .LBB183_502
; %bb.499:
	s_cmp_eq_u32 s2, 11
	s_cbranch_scc0 .LBB183_501
; %bb.500:
	s_wait_loadcnt 0x0
	global_load_u8 v1, v[6:7], off
	s_mov_b32 s28, 0
	s_mov_b32 s29, -1
	s_wait_loadcnt 0x0
	v_cmp_ne_u16_e32 vcc_lo, 0, v1
	v_cndmask_b32_e64 v1, 0, 0x3c00, vcc_lo
	s_branch .LBB183_502
.LBB183_501:
	s_mov_b32 s28, -1
                                        ; implicit-def: $vgpr1
.LBB183_502:
	s_branch .LBB183_417
.LBB183_503:
	s_and_b32 s1, 0xffff, s1
	s_delay_alu instid0(SALU_CYCLE_1)
	s_cmp_lt_i32 s1, 5
	s_cbranch_scc1 .LBB183_508
; %bb.504:
	s_cmp_lt_i32 s1, 8
	s_cbranch_scc1 .LBB183_509
; %bb.505:
	;; [unrolled: 3-line block ×3, first 2 shown]
	s_cmp_gt_i32 s1, 9
	s_cbranch_scc0 .LBB183_511
; %bb.507:
	global_load_b64 v[8:9], v[6:7], off
	s_mov_b32 s2, 0
	s_wait_loadcnt 0x0
	v_and_or_b32 v1, 0x1ff, v9, v8
	v_lshrrev_b32_e32 v3, 8, v9
	v_bfe_u32 v5, v9, 20, 11
	s_delay_alu instid0(VALU_DEP_3) | instskip(NEXT) | instid1(VALU_DEP_2)
	v_cmp_ne_u32_e32 vcc_lo, 0, v1
	v_sub_nc_u32_e32 v8, 0x3f1, v5
	v_add_nc_u32_e32 v5, 0xfffffc10, v5
	v_cndmask_b32_e64 v1, 0, 1, vcc_lo
	s_delay_alu instid0(VALU_DEP_1) | instskip(NEXT) | instid1(VALU_DEP_4)
	v_and_or_b32 v1, 0xffe, v3, v1
	v_med3_i32 v3, v8, 0, 13
	s_delay_alu instid0(VALU_DEP_2) | instskip(NEXT) | instid1(VALU_DEP_1)
	v_or_b32_e32 v8, 0x1000, v1
	v_lshrrev_b32_e32 v10, v3, v8
	s_delay_alu instid0(VALU_DEP_1) | instskip(NEXT) | instid1(VALU_DEP_1)
	v_lshlrev_b32_e32 v3, v3, v10
	v_cmp_ne_u32_e32 vcc_lo, v3, v8
	v_lshl_or_b32 v8, v5, 12, v1
	v_cndmask_b32_e64 v3, 0, 1, vcc_lo
	v_cmp_gt_i32_e32 vcc_lo, 1, v5
	s_delay_alu instid0(VALU_DEP_2) | instskip(NEXT) | instid1(VALU_DEP_1)
	v_or_b32_e32 v3, v10, v3
	v_cndmask_b32_e32 v3, v8, v3, vcc_lo
	s_delay_alu instid0(VALU_DEP_1) | instskip(NEXT) | instid1(VALU_DEP_1)
	v_dual_lshrrev_b32 v3, 2, v3 :: v_dual_bitop2_b32 v8, 7, v3 bitop3:0x40
	v_cmp_lt_i32_e32 vcc_lo, 5, v8
	v_cndmask_b32_e64 v10, 0, 1, vcc_lo
	v_cmp_eq_u32_e32 vcc_lo, 3, v8
	v_cndmask_b32_e64 v8, 0, 1, vcc_lo
	v_cmp_ne_u32_e32 vcc_lo, 0, v1
	s_delay_alu instid0(VALU_DEP_2) | instskip(NEXT) | instid1(VALU_DEP_1)
	v_or_b32_e32 v8, v8, v10
	v_dual_mov_b32 v10, 0x7e00 :: v_dual_add_nc_u32 v3, v3, v8
	s_delay_alu instid0(VALU_DEP_1) | instskip(SKIP_1) | instid1(VALU_DEP_3)
	v_cndmask_b32_e32 v1, 0x7c00, v10, vcc_lo
	v_cmp_gt_i32_e32 vcc_lo, 31, v5
	v_cndmask_b32_e32 v3, 0x7c00, v3, vcc_lo
	v_cmp_eq_u32_e32 vcc_lo, 0x40f, v5
	s_delay_alu instid0(VALU_DEP_2) | instskip(SKIP_1) | instid1(VALU_DEP_1)
	v_cndmask_b32_e32 v1, v3, v1, vcc_lo
	v_lshrrev_b32_e32 v3, 16, v9
	v_and_or_b32 v1, 0x8000, v3, v1
	s_branch .LBB183_512
.LBB183_508:
	s_mov_b32 s2, -1
                                        ; implicit-def: $vgpr1
	s_branch .LBB183_530
.LBB183_509:
	s_mov_b32 s2, -1
                                        ; implicit-def: $vgpr1
	s_branch .LBB183_518
.LBB183_510:
	s_mov_b32 s2, -1
                                        ; implicit-def: $vgpr1
	s_branch .LBB183_515
.LBB183_511:
	s_mov_b32 s2, -1
                                        ; implicit-def: $vgpr1
.LBB183_512:
	s_delay_alu instid0(SALU_CYCLE_1)
	s_and_not1_b32 vcc_lo, exec_lo, s2
	s_cbranch_vccnz .LBB183_514
; %bb.513:
	s_wait_loadcnt 0x0
	global_load_b32 v1, v[6:7], off
	s_wait_loadcnt 0x0
	v_cvt_f16_f32_e32 v1, v1
.LBB183_514:
	s_mov_b32 s2, 0
.LBB183_515:
	s_delay_alu instid0(SALU_CYCLE_1)
	s_and_not1_b32 vcc_lo, exec_lo, s2
	s_cbranch_vccnz .LBB183_517
; %bb.516:
	s_wait_loadcnt 0x0
	global_load_b32 v1, v[6:7], off
.LBB183_517:
	s_mov_b32 s2, 0
.LBB183_518:
	s_delay_alu instid0(SALU_CYCLE_1)
	s_and_not1_b32 vcc_lo, exec_lo, s2
	s_cbranch_vccnz .LBB183_529
; %bb.519:
	s_cmp_lt_i32 s1, 6
	s_cbranch_scc1 .LBB183_522
; %bb.520:
	s_cmp_gt_i32 s1, 6
	s_cbranch_scc0 .LBB183_523
; %bb.521:
	global_load_b64 v[8:9], v[6:7], off
	s_mov_b32 s2, 0
	s_wait_loadcnt 0x0
	v_and_or_b32 v1, 0x1ff, v9, v8
	v_lshrrev_b32_e32 v3, 8, v9
	v_bfe_u32 v5, v9, 20, 11
	s_delay_alu instid0(VALU_DEP_3) | instskip(NEXT) | instid1(VALU_DEP_2)
	v_cmp_ne_u32_e32 vcc_lo, 0, v1
	v_sub_nc_u32_e32 v8, 0x3f1, v5
	v_add_nc_u32_e32 v5, 0xfffffc10, v5
	v_cndmask_b32_e64 v1, 0, 1, vcc_lo
	s_delay_alu instid0(VALU_DEP_1) | instskip(NEXT) | instid1(VALU_DEP_4)
	v_and_or_b32 v1, 0xffe, v3, v1
	v_med3_i32 v3, v8, 0, 13
	s_delay_alu instid0(VALU_DEP_2) | instskip(NEXT) | instid1(VALU_DEP_1)
	v_or_b32_e32 v8, 0x1000, v1
	v_lshrrev_b32_e32 v10, v3, v8
	s_delay_alu instid0(VALU_DEP_1) | instskip(NEXT) | instid1(VALU_DEP_1)
	v_lshlrev_b32_e32 v3, v3, v10
	v_cmp_ne_u32_e32 vcc_lo, v3, v8
	v_lshl_or_b32 v8, v5, 12, v1
	v_cndmask_b32_e64 v3, 0, 1, vcc_lo
	v_cmp_gt_i32_e32 vcc_lo, 1, v5
	s_delay_alu instid0(VALU_DEP_2) | instskip(NEXT) | instid1(VALU_DEP_1)
	v_or_b32_e32 v3, v10, v3
	v_cndmask_b32_e32 v3, v8, v3, vcc_lo
	s_delay_alu instid0(VALU_DEP_1) | instskip(NEXT) | instid1(VALU_DEP_1)
	v_dual_lshrrev_b32 v3, 2, v3 :: v_dual_bitop2_b32 v8, 7, v3 bitop3:0x40
	v_cmp_lt_i32_e32 vcc_lo, 5, v8
	v_cndmask_b32_e64 v10, 0, 1, vcc_lo
	v_cmp_eq_u32_e32 vcc_lo, 3, v8
	v_cndmask_b32_e64 v8, 0, 1, vcc_lo
	v_cmp_ne_u32_e32 vcc_lo, 0, v1
	s_delay_alu instid0(VALU_DEP_2) | instskip(NEXT) | instid1(VALU_DEP_1)
	v_or_b32_e32 v8, v8, v10
	v_dual_mov_b32 v10, 0x7e00 :: v_dual_add_nc_u32 v3, v3, v8
	s_delay_alu instid0(VALU_DEP_1) | instskip(SKIP_1) | instid1(VALU_DEP_3)
	v_cndmask_b32_e32 v1, 0x7c00, v10, vcc_lo
	v_cmp_gt_i32_e32 vcc_lo, 31, v5
	v_cndmask_b32_e32 v3, 0x7c00, v3, vcc_lo
	v_cmp_eq_u32_e32 vcc_lo, 0x40f, v5
	s_delay_alu instid0(VALU_DEP_2) | instskip(SKIP_1) | instid1(VALU_DEP_1)
	v_cndmask_b32_e32 v1, v3, v1, vcc_lo
	v_lshrrev_b32_e32 v3, 16, v9
	v_and_or_b32 v1, 0x8000, v3, v1
	s_branch .LBB183_524
.LBB183_522:
	s_mov_b32 s2, -1
                                        ; implicit-def: $vgpr1
	s_branch .LBB183_527
.LBB183_523:
	s_mov_b32 s2, -1
                                        ; implicit-def: $vgpr1
.LBB183_524:
	s_delay_alu instid0(SALU_CYCLE_1)
	s_and_not1_b32 vcc_lo, exec_lo, s2
	s_cbranch_vccnz .LBB183_526
; %bb.525:
	s_wait_loadcnt 0x0
	global_load_b32 v1, v[6:7], off
	s_wait_loadcnt 0x0
	v_cvt_f16_f32_e32 v1, v1
.LBB183_526:
	s_mov_b32 s2, 0
.LBB183_527:
	s_delay_alu instid0(SALU_CYCLE_1)
	s_and_not1_b32 vcc_lo, exec_lo, s2
	s_cbranch_vccnz .LBB183_529
; %bb.528:
	s_wait_loadcnt 0x0
	global_load_u16 v1, v[6:7], off
.LBB183_529:
	s_mov_b32 s2, 0
.LBB183_530:
	s_delay_alu instid0(SALU_CYCLE_1)
	s_and_not1_b32 vcc_lo, exec_lo, s2
	s_cbranch_vccnz .LBB183_550
; %bb.531:
	s_cmp_lt_i32 s1, 2
	s_cbranch_scc1 .LBB183_535
; %bb.532:
	s_cmp_lt_i32 s1, 3
	s_cbranch_scc1 .LBB183_536
; %bb.533:
	s_cmp_gt_i32 s1, 3
	s_cbranch_scc0 .LBB183_537
; %bb.534:
	global_load_b64 v[8:9], v[6:7], off
	s_mov_b32 s2, 0
	s_wait_loadcnt 0x0
	v_xor_b32_e32 v1, v8, v9
	v_cls_i32_e32 v3, v9
	s_delay_alu instid0(VALU_DEP_2) | instskip(NEXT) | instid1(VALU_DEP_1)
	v_ashrrev_i32_e32 v1, 31, v1
	v_add_nc_u32_e32 v1, 32, v1
	s_delay_alu instid0(VALU_DEP_1) | instskip(NEXT) | instid1(VALU_DEP_1)
	v_add_min_u32_e64 v1, v3, -1, v1
	v_lshlrev_b64_e32 v[8:9], v1, v[8:9]
	v_sub_nc_u32_e32 v1, 32, v1
	s_delay_alu instid0(VALU_DEP_2) | instskip(NEXT) | instid1(VALU_DEP_1)
	v_min_u32_e32 v3, 1, v8
	v_or_b32_e32 v3, v9, v3
	s_delay_alu instid0(VALU_DEP_1) | instskip(NEXT) | instid1(VALU_DEP_1)
	v_cvt_f32_i32_e32 v3, v3
	v_ldexp_f32 v1, v3, v1
	s_delay_alu instid0(VALU_DEP_1)
	v_cvt_f16_f32_e32 v1, v1
	s_branch .LBB183_538
.LBB183_535:
	s_mov_b32 s2, -1
                                        ; implicit-def: $vgpr1
	s_branch .LBB183_544
.LBB183_536:
	s_mov_b32 s2, -1
                                        ; implicit-def: $vgpr1
	s_branch .LBB183_541
.LBB183_537:
	s_mov_b32 s2, -1
                                        ; implicit-def: $vgpr1
.LBB183_538:
	s_delay_alu instid0(SALU_CYCLE_1)
	s_and_not1_b32 vcc_lo, exec_lo, s2
	s_cbranch_vccnz .LBB183_540
; %bb.539:
	s_wait_loadcnt 0x0
	global_load_b32 v1, v[6:7], off
	s_wait_loadcnt 0x0
	v_cvt_f32_i32_e32 v1, v1
	s_delay_alu instid0(VALU_DEP_1)
	v_cvt_f16_f32_e32 v1, v1
.LBB183_540:
	s_mov_b32 s2, 0
.LBB183_541:
	s_delay_alu instid0(SALU_CYCLE_1)
	s_and_not1_b32 vcc_lo, exec_lo, s2
	s_cbranch_vccnz .LBB183_543
; %bb.542:
	s_wait_loadcnt 0x0
	global_load_u16 v1, v[6:7], off
	s_wait_loadcnt 0x0
	v_cvt_f16_i16_e32 v1, v1
.LBB183_543:
	s_mov_b32 s2, 0
.LBB183_544:
	s_delay_alu instid0(SALU_CYCLE_1)
	s_and_not1_b32 vcc_lo, exec_lo, s2
	s_cbranch_vccnz .LBB183_550
; %bb.545:
	s_cmp_gt_i32 s1, 0
	s_mov_b32 s1, 0
	s_cbranch_scc0 .LBB183_547
; %bb.546:
	s_wait_loadcnt 0x0
	global_load_i8 v1, v[6:7], off
	s_wait_loadcnt 0x0
	v_cvt_f16_i16_e32 v1, v1
	s_branch .LBB183_548
.LBB183_547:
	s_mov_b32 s1, -1
                                        ; implicit-def: $vgpr1
.LBB183_548:
	s_delay_alu instid0(SALU_CYCLE_1)
	s_and_not1_b32 vcc_lo, exec_lo, s1
	s_cbranch_vccnz .LBB183_550
; %bb.549:
	s_wait_loadcnt 0x0
	global_load_u8 v1, v[6:7], off
	s_wait_loadcnt 0x0
	v_cvt_f16_u16_e32 v1, v1
.LBB183_550:
	s_branch .LBB183_418
.LBB183_551:
	s_mov_b32 s1, 0
	s_mov_b32 s2, s10
	s_mov_b32 s29, s41
	s_branch .LBB183_795
.LBB183_552:
	s_and_not1_saveexec_b32 s45, s45
	s_cbranch_execz .LBB183_204
.LBB183_553:
	v_add_f32_e32 v1, 0x42800000, v4
	s_and_not1_b32 s44, s44, exec_lo
	s_delay_alu instid0(VALU_DEP_1) | instskip(NEXT) | instid1(VALU_DEP_1)
	v_and_b32_e32 v1, 0xff, v1
	v_cmp_ne_u32_e32 vcc_lo, 0, v1
	s_and_b32 s46, vcc_lo, exec_lo
	s_delay_alu instid0(SALU_CYCLE_1)
	s_or_b32 s44, s44, s46
	s_or_b32 exec_lo, exec_lo, s45
	v_mov_b32_e32 v5, 0
	s_and_saveexec_b32 s45, s44
	s_cbranch_execnz .LBB183_205
	s_branch .LBB183_206
.LBB183_554:
	s_mov_b32 s29, -1
	s_mov_b32 s44, 0
.LBB183_555:
                                        ; implicit-def: $vgpr3
.LBB183_556:
	s_and_b32 vcc_lo, exec_lo, s45
	s_cbranch_vccz .LBB183_560
; %bb.557:
	s_cmp_eq_u32 s2, 44
	s_cbranch_scc0 .LBB183_559
; %bb.558:
	s_wait_loadcnt 0x0
	global_load_u8 v3, v[4:5], off
	s_mov_b32 s29, 0
	s_mov_b32 s44, -1
	s_wait_loadcnt 0x0
	s_wait_xcnt 0x1
	v_lshlrev_b32_e32 v6, 23, v3
	v_cmp_ne_u32_e32 vcc_lo, 0xff, v3
	s_delay_alu instid0(VALU_DEP_2) | instskip(NEXT) | instid1(VALU_DEP_1)
	v_cvt_f16_f32_e32 v6, v6
	v_cndmask_b32_e32 v6, 0x7e00, v6, vcc_lo
	v_cmp_ne_u32_e32 vcc_lo, 0, v3
	s_delay_alu instid0(VALU_DEP_2)
	v_cndmask_b32_e32 v3, 0, v6, vcc_lo
	s_branch .LBB183_560
.LBB183_559:
	s_mov_b32 s29, -1
                                        ; implicit-def: $vgpr3
.LBB183_560:
	s_mov_b32 s45, 0
.LBB183_561:
	s_delay_alu instid0(SALU_CYCLE_1)
	s_and_b32 vcc_lo, exec_lo, s45
	s_cbranch_vccz .LBB183_565
; %bb.562:
	s_cmp_eq_u32 s2, 29
	s_cbranch_scc0 .LBB183_564
; %bb.563:
	global_load_b64 v[6:7], v[4:5], off
	s_mov_b32 s44, -1
	s_mov_b32 s29, 0
	s_mov_b32 s45, 0
	s_wait_loadcnt 0x0
	v_clz_i32_u32_e32 v3, v7
	s_delay_alu instid0(VALU_DEP_1) | instskip(NEXT) | instid1(VALU_DEP_1)
	v_min_u32_e32 v3, 32, v3
	v_lshlrev_b64_e32 v[6:7], v3, v[6:7]
	v_sub_nc_u32_e32 v3, 32, v3
	s_delay_alu instid0(VALU_DEP_2) | instskip(NEXT) | instid1(VALU_DEP_1)
	v_min_u32_e32 v6, 1, v6
	v_or_b32_e32 v6, v7, v6
	s_delay_alu instid0(VALU_DEP_1) | instskip(NEXT) | instid1(VALU_DEP_1)
	v_cvt_f32_u32_e32 v6, v6
	v_ldexp_f32 v3, v6, v3
	s_delay_alu instid0(VALU_DEP_1)
	v_cvt_f16_f32_e32 v3, v3
	s_branch .LBB183_566
.LBB183_564:
	s_mov_b32 s29, -1
                                        ; implicit-def: $vgpr3
.LBB183_565:
	s_mov_b32 s45, 0
.LBB183_566:
	s_delay_alu instid0(SALU_CYCLE_1)
	s_and_b32 vcc_lo, exec_lo, s45
	s_cbranch_vccz .LBB183_584
; %bb.567:
	s_cmp_lt_i32 s2, 27
	s_cbranch_scc1 .LBB183_570
; %bb.568:
	s_cmp_gt_i32 s2, 27
	s_cbranch_scc0 .LBB183_571
; %bb.569:
	s_wait_loadcnt 0x0
	global_load_b32 v3, v[4:5], off
	s_mov_b32 s44, 0
	s_wait_loadcnt 0x0
	v_cvt_f32_u32_e32 v3, v3
	s_delay_alu instid0(VALU_DEP_1)
	v_cvt_f16_f32_e32 v3, v3
	s_branch .LBB183_572
.LBB183_570:
	s_mov_b32 s44, -1
                                        ; implicit-def: $vgpr3
	s_branch .LBB183_575
.LBB183_571:
	s_mov_b32 s44, -1
                                        ; implicit-def: $vgpr3
.LBB183_572:
	s_delay_alu instid0(SALU_CYCLE_1)
	s_and_not1_b32 vcc_lo, exec_lo, s44
	s_cbranch_vccnz .LBB183_574
; %bb.573:
	s_wait_loadcnt 0x0
	global_load_u16 v3, v[4:5], off
	s_wait_loadcnt 0x0
	v_cvt_f16_u16_e32 v3, v3
.LBB183_574:
	s_mov_b32 s44, 0
.LBB183_575:
	s_delay_alu instid0(SALU_CYCLE_1)
	s_and_not1_b32 vcc_lo, exec_lo, s44
	s_cbranch_vccnz .LBB183_583
; %bb.576:
	global_load_u8 v6, v[4:5], off
	s_mov_b32 s44, 0
	s_mov_b32 s45, exec_lo
	s_wait_loadcnt 0x0
	v_cmpx_lt_i16_e32 0x7f, v6
	s_xor_b32 s45, exec_lo, s45
	s_cbranch_execz .LBB183_597
; %bb.577:
	s_mov_b32 s44, -1
	s_mov_b32 s46, exec_lo
	v_cmpx_eq_u16_e32 0x80, v6
; %bb.578:
	s_xor_b32 s44, exec_lo, -1
; %bb.579:
	s_or_b32 exec_lo, exec_lo, s46
	s_delay_alu instid0(SALU_CYCLE_1)
	s_and_b32 s44, s44, exec_lo
	s_or_saveexec_b32 s45, s45
	v_mov_b32_e32 v3, 0x7e00
	s_xor_b32 exec_lo, exec_lo, s45
	s_cbranch_execnz .LBB183_598
.LBB183_580:
	s_or_b32 exec_lo, exec_lo, s45
	s_and_saveexec_b32 s45, s44
	s_cbranch_execz .LBB183_582
.LBB183_581:
	v_and_b32_e32 v3, 0xffff, v6
	s_delay_alu instid0(VALU_DEP_1) | instskip(SKIP_1) | instid1(VALU_DEP_2)
	v_and_b32_e32 v7, 7, v3
	v_bfe_u32 v10, v3, 3, 4
	v_clz_i32_u32_e32 v8, v7
	s_delay_alu instid0(VALU_DEP_2) | instskip(NEXT) | instid1(VALU_DEP_2)
	v_cmp_eq_u32_e32 vcc_lo, 0, v10
	v_min_u32_e32 v8, 32, v8
	s_delay_alu instid0(VALU_DEP_1) | instskip(NEXT) | instid1(VALU_DEP_1)
	v_subrev_nc_u32_e32 v9, 28, v8
	v_dual_lshlrev_b32 v3, v9, v3 :: v_dual_sub_nc_u32 v8, 29, v8
	s_delay_alu instid0(VALU_DEP_1) | instskip(NEXT) | instid1(VALU_DEP_1)
	v_dual_lshlrev_b32 v6, 24, v6 :: v_dual_bitop2_b32 v3, 7, v3 bitop3:0x40
	v_dual_cndmask_b32 v8, v10, v8 :: v_dual_cndmask_b32 v3, v7, v3
	s_delay_alu instid0(VALU_DEP_2) | instskip(NEXT) | instid1(VALU_DEP_2)
	v_and_b32_e32 v6, 0x80000000, v6
	v_lshl_add_u32 v7, v8, 23, 0x3b800000
	s_delay_alu instid0(VALU_DEP_3) | instskip(NEXT) | instid1(VALU_DEP_1)
	v_lshlrev_b32_e32 v3, 20, v3
	v_or3_b32 v3, v6, v7, v3
	s_delay_alu instid0(VALU_DEP_1)
	v_cvt_f16_f32_e32 v3, v3
.LBB183_582:
	s_or_b32 exec_lo, exec_lo, s45
.LBB183_583:
	s_mov_b32 s44, -1
.LBB183_584:
	s_mov_b32 s45, 0
.LBB183_585:
	s_delay_alu instid0(SALU_CYCLE_1)
	s_and_b32 vcc_lo, exec_lo, s45
	s_cbranch_vccz .LBB183_620
; %bb.586:
	s_cmp_gt_i32 s2, 22
	s_cbranch_scc0 .LBB183_596
; %bb.587:
	s_cmp_lt_i32 s2, 24
	s_cbranch_scc1 .LBB183_599
; %bb.588:
	s_cmp_gt_i32 s2, 24
	s_cbranch_scc0 .LBB183_600
; %bb.589:
	global_load_u8 v6, v[4:5], off
	s_mov_b32 s44, 0
	s_mov_b32 s45, exec_lo
	s_wait_loadcnt 0x0
	v_cmpx_lt_i16_e32 0x7f, v6
	s_xor_b32 s45, exec_lo, s45
	s_cbranch_execz .LBB183_612
; %bb.590:
	s_mov_b32 s44, -1
	s_mov_b32 s46, exec_lo
	v_cmpx_eq_u16_e32 0x80, v6
; %bb.591:
	s_xor_b32 s44, exec_lo, -1
; %bb.592:
	s_or_b32 exec_lo, exec_lo, s46
	s_delay_alu instid0(SALU_CYCLE_1)
	s_and_b32 s44, s44, exec_lo
	s_or_saveexec_b32 s45, s45
	v_mov_b32_e32 v3, 0x7e00
	s_xor_b32 exec_lo, exec_lo, s45
	s_cbranch_execnz .LBB183_613
.LBB183_593:
	s_or_b32 exec_lo, exec_lo, s45
	s_and_saveexec_b32 s45, s44
	s_cbranch_execz .LBB183_595
.LBB183_594:
	v_and_b32_e32 v3, 0xffff, v6
	s_delay_alu instid0(VALU_DEP_1) | instskip(SKIP_1) | instid1(VALU_DEP_2)
	v_and_b32_e32 v7, 3, v3
	v_bfe_u32 v10, v3, 2, 5
	v_clz_i32_u32_e32 v8, v7
	s_delay_alu instid0(VALU_DEP_2) | instskip(NEXT) | instid1(VALU_DEP_2)
	v_cmp_eq_u32_e32 vcc_lo, 0, v10
	v_min_u32_e32 v8, 32, v8
	s_delay_alu instid0(VALU_DEP_1) | instskip(NEXT) | instid1(VALU_DEP_1)
	v_subrev_nc_u32_e32 v9, 29, v8
	v_dual_lshlrev_b32 v3, v9, v3 :: v_dual_sub_nc_u32 v8, 30, v8
	s_delay_alu instid0(VALU_DEP_1) | instskip(NEXT) | instid1(VALU_DEP_1)
	v_dual_lshlrev_b32 v6, 24, v6 :: v_dual_bitop2_b32 v3, 3, v3 bitop3:0x40
	v_dual_cndmask_b32 v8, v10, v8 :: v_dual_cndmask_b32 v3, v7, v3
	s_delay_alu instid0(VALU_DEP_2) | instskip(NEXT) | instid1(VALU_DEP_2)
	v_and_b32_e32 v6, 0x80000000, v6
	v_lshl_add_u32 v7, v8, 23, 0x37800000
	s_delay_alu instid0(VALU_DEP_3) | instskip(NEXT) | instid1(VALU_DEP_1)
	v_lshlrev_b32_e32 v3, 21, v3
	v_or3_b32 v3, v6, v7, v3
	s_delay_alu instid0(VALU_DEP_1)
	v_cvt_f16_f32_e32 v3, v3
.LBB183_595:
	s_or_b32 exec_lo, exec_lo, s45
	s_mov_b32 s44, 0
	s_branch .LBB183_601
.LBB183_596:
	s_mov_b32 s45, -1
                                        ; implicit-def: $vgpr3
	s_branch .LBB183_607
.LBB183_597:
	s_or_saveexec_b32 s45, s45
	v_mov_b32_e32 v3, 0x7e00
	s_xor_b32 exec_lo, exec_lo, s45
	s_cbranch_execz .LBB183_580
.LBB183_598:
	v_cmp_ne_u16_e32 vcc_lo, 0, v6
	v_mov_b32_e32 v3, v6
	s_and_not1_b32 s44, s44, exec_lo
	s_and_b32 s46, vcc_lo, exec_lo
	s_delay_alu instid0(SALU_CYCLE_1)
	s_or_b32 s44, s44, s46
	s_or_b32 exec_lo, exec_lo, s45
	s_and_saveexec_b32 s45, s44
	s_cbranch_execnz .LBB183_581
	s_branch .LBB183_582
.LBB183_599:
	s_mov_b32 s44, -1
                                        ; implicit-def: $vgpr3
	s_branch .LBB183_604
.LBB183_600:
	s_mov_b32 s44, -1
                                        ; implicit-def: $vgpr3
.LBB183_601:
	s_delay_alu instid0(SALU_CYCLE_1)
	s_and_b32 vcc_lo, exec_lo, s44
	s_cbranch_vccz .LBB183_603
; %bb.602:
	s_wait_loadcnt 0x0
	global_load_u8 v3, v[4:5], off
	s_wait_loadcnt 0x0
	v_lshlrev_b32_e32 v3, 24, v3
	s_wait_xcnt 0x1
	s_delay_alu instid0(VALU_DEP_1) | instskip(NEXT) | instid1(VALU_DEP_1)
	v_and_b32_e32 v6, 0x7f000000, v3
	v_clz_i32_u32_e32 v7, v6
	v_cmp_ne_u32_e32 vcc_lo, 0, v6
	v_add_nc_u32_e32 v9, 0x1000000, v6
	s_delay_alu instid0(VALU_DEP_3) | instskip(NEXT) | instid1(VALU_DEP_1)
	v_min_u32_e32 v7, 32, v7
	v_sub_nc_u32_e64 v7, v7, 4 clamp
	s_delay_alu instid0(VALU_DEP_1) | instskip(NEXT) | instid1(VALU_DEP_1)
	v_dual_lshlrev_b32 v8, v7, v6 :: v_dual_lshlrev_b32 v7, 23, v7
	v_lshrrev_b32_e32 v8, 4, v8
	s_delay_alu instid0(VALU_DEP_1) | instskip(NEXT) | instid1(VALU_DEP_1)
	v_dual_sub_nc_u32 v7, v8, v7 :: v_dual_ashrrev_i32 v8, 8, v9
	v_add_nc_u32_e32 v7, 0x3c000000, v7
	s_delay_alu instid0(VALU_DEP_1) | instskip(NEXT) | instid1(VALU_DEP_1)
	v_and_or_b32 v7, 0x7f800000, v8, v7
	v_cndmask_b32_e32 v6, 0, v7, vcc_lo
	s_delay_alu instid0(VALU_DEP_1) | instskip(NEXT) | instid1(VALU_DEP_1)
	v_and_or_b32 v3, 0x80000000, v3, v6
	v_cvt_f16_f32_e32 v3, v3
.LBB183_603:
	s_mov_b32 s44, 0
.LBB183_604:
	s_delay_alu instid0(SALU_CYCLE_1)
	s_and_not1_b32 vcc_lo, exec_lo, s44
	s_cbranch_vccnz .LBB183_606
; %bb.605:
	s_wait_loadcnt 0x0
	global_load_u8 v3, v[4:5], off
	s_wait_loadcnt 0x0
	s_wait_xcnt 0x1
	v_lshlrev_b32_e32 v6, 25, v3
	v_lshlrev_b16 v3, 8, v3
	s_delay_alu instid0(VALU_DEP_1) | instskip(SKIP_1) | instid1(VALU_DEP_2)
	v_and_or_b32 v8, 0x7f00, v3, 0.5
	v_bfe_i32 v3, v3, 0, 16
	v_dual_add_f32 v8, -0.5, v8 :: v_dual_lshrrev_b32 v7, 4, v6
	v_cmp_gt_u32_e32 vcc_lo, 0x8000000, v6
	s_delay_alu instid0(VALU_DEP_2) | instskip(NEXT) | instid1(VALU_DEP_1)
	v_or_b32_e32 v7, 0x70000000, v7
	v_mul_f32_e32 v7, 0x7800000, v7
	s_delay_alu instid0(VALU_DEP_1) | instskip(NEXT) | instid1(VALU_DEP_1)
	v_cndmask_b32_e32 v6, v7, v8, vcc_lo
	v_and_or_b32 v3, 0x80000000, v3, v6
	s_delay_alu instid0(VALU_DEP_1)
	v_cvt_f16_f32_e32 v3, v3
.LBB183_606:
	s_mov_b32 s45, 0
	s_mov_b32 s44, -1
.LBB183_607:
	s_and_not1_b32 vcc_lo, exec_lo, s45
	s_cbranch_vccnz .LBB183_620
; %bb.608:
	s_cmp_gt_i32 s2, 14
	s_cbranch_scc0 .LBB183_611
; %bb.609:
	s_cmp_eq_u32 s2, 15
	s_cbranch_scc0 .LBB183_614
; %bb.610:
	s_wait_loadcnt 0x0
	global_load_u16 v3, v[4:5], off
	s_mov_b32 s44, -1
	s_mov_b32 s29, 0
	s_wait_loadcnt 0x0
	v_lshlrev_b32_e32 v3, 16, v3
	s_delay_alu instid0(VALU_DEP_1)
	v_cvt_f16_f32_e32 v3, v3
	s_branch .LBB183_615
.LBB183_611:
	s_mov_b32 s45, -1
                                        ; implicit-def: $vgpr3
	s_branch .LBB183_616
.LBB183_612:
	s_or_saveexec_b32 s45, s45
	v_mov_b32_e32 v3, 0x7e00
	s_xor_b32 exec_lo, exec_lo, s45
	s_cbranch_execz .LBB183_593
.LBB183_613:
	v_cmp_ne_u16_e32 vcc_lo, 0, v6
	v_mov_b32_e32 v3, v6
	s_and_not1_b32 s44, s44, exec_lo
	s_and_b32 s46, vcc_lo, exec_lo
	s_delay_alu instid0(SALU_CYCLE_1)
	s_or_b32 s44, s44, s46
	s_or_b32 exec_lo, exec_lo, s45
	s_and_saveexec_b32 s45, s44
	s_cbranch_execnz .LBB183_594
	s_branch .LBB183_595
.LBB183_614:
	s_mov_b32 s29, -1
                                        ; implicit-def: $vgpr3
.LBB183_615:
	s_mov_b32 s45, 0
.LBB183_616:
	s_delay_alu instid0(SALU_CYCLE_1)
	s_and_b32 vcc_lo, exec_lo, s45
	s_cbranch_vccz .LBB183_620
; %bb.617:
	s_cmp_eq_u32 s2, 11
	s_cbranch_scc0 .LBB183_619
; %bb.618:
	s_wait_loadcnt 0x0
	global_load_u8 v3, v[4:5], off
	s_mov_b32 s29, 0
	s_mov_b32 s44, -1
	s_wait_loadcnt 0x0
	v_cmp_ne_u16_e32 vcc_lo, 0, v3
	v_cndmask_b32_e64 v3, 0, 0x3c00, vcc_lo
	s_branch .LBB183_620
.LBB183_619:
	s_mov_b32 s29, -1
                                        ; implicit-def: $vgpr3
.LBB183_620:
	s_mov_b32 s2, 0
.LBB183_621:
	s_delay_alu instid0(SALU_CYCLE_1)
	s_and_b32 vcc_lo, exec_lo, s2
	s_cbranch_vccz .LBB183_670
; %bb.622:
	s_and_b32 s1, 0xffff, s1
	s_delay_alu instid0(SALU_CYCLE_1)
	s_cmp_lt_i32 s1, 5
	s_cbranch_scc1 .LBB183_627
; %bb.623:
	s_cmp_lt_i32 s1, 8
	s_cbranch_scc1 .LBB183_628
; %bb.624:
	;; [unrolled: 3-line block ×3, first 2 shown]
	s_cmp_gt_i32 s1, 9
	s_cbranch_scc0 .LBB183_630
; %bb.626:
	global_load_b64 v[6:7], v[4:5], off
	s_mov_b32 s2, 0
	s_wait_loadcnt 0x0
	v_and_or_b32 v3, 0x1ff, v7, v6
	v_lshrrev_b32_e32 v6, 8, v7
	v_bfe_u32 v8, v7, 20, 11
	s_delay_alu instid0(VALU_DEP_3) | instskip(NEXT) | instid1(VALU_DEP_2)
	v_cmp_ne_u32_e32 vcc_lo, 0, v3
	v_sub_nc_u32_e32 v9, 0x3f1, v8
	v_add_nc_u32_e32 v8, 0xfffffc10, v8
	v_cndmask_b32_e64 v3, 0, 1, vcc_lo
	s_delay_alu instid0(VALU_DEP_1) | instskip(NEXT) | instid1(VALU_DEP_4)
	v_and_or_b32 v3, 0xffe, v6, v3
	v_med3_i32 v6, v9, 0, 13
	s_delay_alu instid0(VALU_DEP_2) | instskip(NEXT) | instid1(VALU_DEP_1)
	v_or_b32_e32 v9, 0x1000, v3
	v_lshrrev_b32_e32 v10, v6, v9
	s_delay_alu instid0(VALU_DEP_1) | instskip(NEXT) | instid1(VALU_DEP_1)
	v_lshlrev_b32_e32 v6, v6, v10
	v_cmp_ne_u32_e32 vcc_lo, v6, v9
	v_lshl_or_b32 v9, v8, 12, v3
	v_cndmask_b32_e64 v6, 0, 1, vcc_lo
	v_cmp_gt_i32_e32 vcc_lo, 1, v8
	s_delay_alu instid0(VALU_DEP_2) | instskip(NEXT) | instid1(VALU_DEP_1)
	v_or_b32_e32 v6, v10, v6
	v_cndmask_b32_e32 v6, v9, v6, vcc_lo
	s_delay_alu instid0(VALU_DEP_1) | instskip(NEXT) | instid1(VALU_DEP_1)
	v_dual_lshrrev_b32 v6, 2, v6 :: v_dual_bitop2_b32 v9, 7, v6 bitop3:0x40
	v_cmp_lt_i32_e32 vcc_lo, 5, v9
	v_cndmask_b32_e64 v10, 0, 1, vcc_lo
	v_cmp_eq_u32_e32 vcc_lo, 3, v9
	v_cndmask_b32_e64 v9, 0, 1, vcc_lo
	v_cmp_ne_u32_e32 vcc_lo, 0, v3
	s_delay_alu instid0(VALU_DEP_2) | instskip(SKIP_1) | instid1(VALU_DEP_1)
	v_or_b32_e32 v9, v9, v10
	v_mov_b32_e32 v10, 0x7e00
	v_dual_cndmask_b32 v3, 0x7c00, v10 :: v_dual_add_nc_u32 v6, v6, v9
	v_cmp_gt_i32_e32 vcc_lo, 31, v8
	s_delay_alu instid0(VALU_DEP_2) | instskip(SKIP_1) | instid1(VALU_DEP_2)
	v_cndmask_b32_e32 v6, 0x7c00, v6, vcc_lo
	v_cmp_eq_u32_e32 vcc_lo, 0x40f, v8
	v_cndmask_b32_e32 v3, v6, v3, vcc_lo
	v_lshrrev_b32_e32 v6, 16, v7
	s_delay_alu instid0(VALU_DEP_1)
	v_and_or_b32 v3, 0x8000, v6, v3
	s_branch .LBB183_631
.LBB183_627:
	s_mov_b32 s2, -1
                                        ; implicit-def: $vgpr3
	s_branch .LBB183_649
.LBB183_628:
	s_mov_b32 s2, -1
                                        ; implicit-def: $vgpr3
	s_branch .LBB183_637
.LBB183_629:
	s_mov_b32 s2, -1
                                        ; implicit-def: $vgpr3
	s_branch .LBB183_634
.LBB183_630:
	s_mov_b32 s2, -1
                                        ; implicit-def: $vgpr3
.LBB183_631:
	s_delay_alu instid0(SALU_CYCLE_1)
	s_and_not1_b32 vcc_lo, exec_lo, s2
	s_cbranch_vccnz .LBB183_633
; %bb.632:
	s_wait_loadcnt 0x0
	global_load_b32 v3, v[4:5], off
	s_wait_loadcnt 0x0
	v_cvt_f16_f32_e32 v3, v3
.LBB183_633:
	s_mov_b32 s2, 0
.LBB183_634:
	s_delay_alu instid0(SALU_CYCLE_1)
	s_and_not1_b32 vcc_lo, exec_lo, s2
	s_cbranch_vccnz .LBB183_636
; %bb.635:
	s_wait_loadcnt 0x0
	global_load_b32 v3, v[4:5], off
.LBB183_636:
	s_mov_b32 s2, 0
.LBB183_637:
	s_delay_alu instid0(SALU_CYCLE_1)
	s_and_not1_b32 vcc_lo, exec_lo, s2
	s_cbranch_vccnz .LBB183_648
; %bb.638:
	s_cmp_lt_i32 s1, 6
	s_cbranch_scc1 .LBB183_641
; %bb.639:
	s_cmp_gt_i32 s1, 6
	s_cbranch_scc0 .LBB183_642
; %bb.640:
	global_load_b64 v[6:7], v[4:5], off
	s_mov_b32 s2, 0
	s_wait_loadcnt 0x0
	v_and_or_b32 v3, 0x1ff, v7, v6
	v_lshrrev_b32_e32 v6, 8, v7
	v_bfe_u32 v8, v7, 20, 11
	s_delay_alu instid0(VALU_DEP_3) | instskip(NEXT) | instid1(VALU_DEP_2)
	v_cmp_ne_u32_e32 vcc_lo, 0, v3
	v_sub_nc_u32_e32 v9, 0x3f1, v8
	v_add_nc_u32_e32 v8, 0xfffffc10, v8
	v_cndmask_b32_e64 v3, 0, 1, vcc_lo
	s_delay_alu instid0(VALU_DEP_1) | instskip(NEXT) | instid1(VALU_DEP_4)
	v_and_or_b32 v3, 0xffe, v6, v3
	v_med3_i32 v6, v9, 0, 13
	s_delay_alu instid0(VALU_DEP_2) | instskip(NEXT) | instid1(VALU_DEP_1)
	v_or_b32_e32 v9, 0x1000, v3
	v_lshrrev_b32_e32 v10, v6, v9
	s_delay_alu instid0(VALU_DEP_1) | instskip(NEXT) | instid1(VALU_DEP_1)
	v_lshlrev_b32_e32 v6, v6, v10
	v_cmp_ne_u32_e32 vcc_lo, v6, v9
	v_lshl_or_b32 v9, v8, 12, v3
	v_cndmask_b32_e64 v6, 0, 1, vcc_lo
	v_cmp_gt_i32_e32 vcc_lo, 1, v8
	s_delay_alu instid0(VALU_DEP_2) | instskip(NEXT) | instid1(VALU_DEP_1)
	v_or_b32_e32 v6, v10, v6
	v_cndmask_b32_e32 v6, v9, v6, vcc_lo
	s_delay_alu instid0(VALU_DEP_1) | instskip(NEXT) | instid1(VALU_DEP_1)
	v_dual_lshrrev_b32 v6, 2, v6 :: v_dual_bitop2_b32 v9, 7, v6 bitop3:0x40
	v_cmp_lt_i32_e32 vcc_lo, 5, v9
	v_cndmask_b32_e64 v10, 0, 1, vcc_lo
	v_cmp_eq_u32_e32 vcc_lo, 3, v9
	v_cndmask_b32_e64 v9, 0, 1, vcc_lo
	v_cmp_ne_u32_e32 vcc_lo, 0, v3
	s_delay_alu instid0(VALU_DEP_2) | instskip(SKIP_1) | instid1(VALU_DEP_1)
	v_or_b32_e32 v9, v9, v10
	v_mov_b32_e32 v10, 0x7e00
	v_dual_cndmask_b32 v3, 0x7c00, v10 :: v_dual_add_nc_u32 v6, v6, v9
	v_cmp_gt_i32_e32 vcc_lo, 31, v8
	s_delay_alu instid0(VALU_DEP_2) | instskip(SKIP_1) | instid1(VALU_DEP_2)
	v_cndmask_b32_e32 v6, 0x7c00, v6, vcc_lo
	v_cmp_eq_u32_e32 vcc_lo, 0x40f, v8
	v_cndmask_b32_e32 v3, v6, v3, vcc_lo
	v_lshrrev_b32_e32 v6, 16, v7
	s_delay_alu instid0(VALU_DEP_1)
	v_and_or_b32 v3, 0x8000, v6, v3
	s_branch .LBB183_643
.LBB183_641:
	s_mov_b32 s2, -1
                                        ; implicit-def: $vgpr3
	s_branch .LBB183_646
.LBB183_642:
	s_mov_b32 s2, -1
                                        ; implicit-def: $vgpr3
.LBB183_643:
	s_delay_alu instid0(SALU_CYCLE_1)
	s_and_not1_b32 vcc_lo, exec_lo, s2
	s_cbranch_vccnz .LBB183_645
; %bb.644:
	s_wait_loadcnt 0x0
	global_load_b32 v3, v[4:5], off
	s_wait_loadcnt 0x0
	v_cvt_f16_f32_e32 v3, v3
.LBB183_645:
	s_mov_b32 s2, 0
.LBB183_646:
	s_delay_alu instid0(SALU_CYCLE_1)
	s_and_not1_b32 vcc_lo, exec_lo, s2
	s_cbranch_vccnz .LBB183_648
; %bb.647:
	s_wait_loadcnt 0x0
	global_load_u16 v3, v[4:5], off
.LBB183_648:
	s_mov_b32 s2, 0
.LBB183_649:
	s_delay_alu instid0(SALU_CYCLE_1)
	s_and_not1_b32 vcc_lo, exec_lo, s2
	s_cbranch_vccnz .LBB183_669
; %bb.650:
	s_cmp_lt_i32 s1, 2
	s_cbranch_scc1 .LBB183_654
; %bb.651:
	s_cmp_lt_i32 s1, 3
	s_cbranch_scc1 .LBB183_655
; %bb.652:
	s_cmp_gt_i32 s1, 3
	s_cbranch_scc0 .LBB183_656
; %bb.653:
	global_load_b64 v[6:7], v[4:5], off
	s_mov_b32 s2, 0
	s_wait_loadcnt 0x0
	v_xor_b32_e32 v3, v6, v7
	v_cls_i32_e32 v8, v7
	s_delay_alu instid0(VALU_DEP_2) | instskip(NEXT) | instid1(VALU_DEP_1)
	v_ashrrev_i32_e32 v3, 31, v3
	v_add_nc_u32_e32 v3, 32, v3
	s_delay_alu instid0(VALU_DEP_1) | instskip(NEXT) | instid1(VALU_DEP_1)
	v_add_min_u32_e64 v3, v8, -1, v3
	v_lshlrev_b64_e32 v[6:7], v3, v[6:7]
	v_sub_nc_u32_e32 v3, 32, v3
	s_delay_alu instid0(VALU_DEP_2) | instskip(NEXT) | instid1(VALU_DEP_1)
	v_min_u32_e32 v6, 1, v6
	v_or_b32_e32 v6, v7, v6
	s_delay_alu instid0(VALU_DEP_1) | instskip(NEXT) | instid1(VALU_DEP_1)
	v_cvt_f32_i32_e32 v6, v6
	v_ldexp_f32 v3, v6, v3
	s_delay_alu instid0(VALU_DEP_1)
	v_cvt_f16_f32_e32 v3, v3
	s_branch .LBB183_657
.LBB183_654:
	s_mov_b32 s2, -1
                                        ; implicit-def: $vgpr3
	s_branch .LBB183_663
.LBB183_655:
	s_mov_b32 s2, -1
                                        ; implicit-def: $vgpr3
	s_branch .LBB183_660
.LBB183_656:
	s_mov_b32 s2, -1
                                        ; implicit-def: $vgpr3
.LBB183_657:
	s_delay_alu instid0(SALU_CYCLE_1)
	s_and_not1_b32 vcc_lo, exec_lo, s2
	s_cbranch_vccnz .LBB183_659
; %bb.658:
	s_wait_loadcnt 0x0
	global_load_b32 v3, v[4:5], off
	s_wait_loadcnt 0x0
	v_cvt_f32_i32_e32 v3, v3
	s_delay_alu instid0(VALU_DEP_1)
	v_cvt_f16_f32_e32 v3, v3
.LBB183_659:
	s_mov_b32 s2, 0
.LBB183_660:
	s_delay_alu instid0(SALU_CYCLE_1)
	s_and_not1_b32 vcc_lo, exec_lo, s2
	s_cbranch_vccnz .LBB183_662
; %bb.661:
	s_wait_loadcnt 0x0
	global_load_u16 v3, v[4:5], off
	s_wait_loadcnt 0x0
	v_cvt_f16_i16_e32 v3, v3
.LBB183_662:
	s_mov_b32 s2, 0
.LBB183_663:
	s_delay_alu instid0(SALU_CYCLE_1)
	s_and_not1_b32 vcc_lo, exec_lo, s2
	s_cbranch_vccnz .LBB183_669
; %bb.664:
	s_cmp_gt_i32 s1, 0
	s_mov_b32 s1, 0
	s_cbranch_scc0 .LBB183_666
; %bb.665:
	s_wait_loadcnt 0x0
	global_load_i8 v3, v[4:5], off
	s_wait_loadcnt 0x0
	v_cvt_f16_i16_e32 v3, v3
	s_branch .LBB183_667
.LBB183_666:
	s_mov_b32 s1, -1
                                        ; implicit-def: $vgpr3
.LBB183_667:
	s_delay_alu instid0(SALU_CYCLE_1)
	s_and_not1_b32 vcc_lo, exec_lo, s1
	s_cbranch_vccnz .LBB183_669
; %bb.668:
	s_wait_loadcnt 0x0
	global_load_u8 v3, v[4:5], off
	s_wait_loadcnt 0x0
	v_cvt_f16_u16_e32 v3, v3
.LBB183_669:
	s_mov_b32 s44, -1
.LBB183_670:
	s_delay_alu instid0(SALU_CYCLE_1)
	s_and_not1_b32 vcc_lo, exec_lo, s44
	s_cbranch_vccnz .LBB183_678
; %bb.671:
	s_wait_loadcnt 0x0
	v_cmp_eq_f16_e32 vcc_lo, v1, v3
	s_and_b32 s44, s11, 0xff
	s_delay_alu instid0(SALU_CYCLE_1)
	s_cmp_lt_i32 s44, 11
	s_wait_xcnt 0x0
	v_cndmask_b32_e64 v4, 0, 1, vcc_lo
	v_cmp_neq_f16_e32 vcc_lo, v1, v3
	v_mov_b32_e32 v3, 0
	v_cndmask_b32_e64 v1, 0, 1, vcc_lo
	s_delay_alu instid0(VALU_DEP_2) | instskip(NEXT) | instid1(VALU_DEP_2)
	v_add_nc_u64_e32 v[2:3], s[4:5], v[2:3]
	v_cndmask_b32_e64 v1, v1, v4, s0
	s_delay_alu instid0(VALU_DEP_1) | instskip(NEXT) | instid1(VALU_DEP_1)
	v_and_b32_e32 v1, 1, v1
	v_cmp_eq_u32_e64 s1, 1, v1
	s_cbranch_scc1 .LBB183_679
; %bb.672:
	s_and_b32 s45, 0xffff, s44
	s_delay_alu instid0(SALU_CYCLE_1)
	s_cmp_gt_i32 s45, 25
	s_cbranch_scc0 .LBB183_680
; %bb.673:
	s_cmp_gt_i32 s45, 28
	s_cbranch_scc0 .LBB183_681
; %bb.674:
	s_cmp_gt_i32 s45, 43
	s_cbranch_scc0 .LBB183_682
; %bb.675:
	s_cmp_gt_i32 s45, 45
	s_cbranch_scc0 .LBB183_683
; %bb.676:
	s_mov_b32 s48, 0
	s_mov_b32 s2, -1
	s_cmp_eq_u32 s45, 46
	s_mov_b32 s46, 0
	s_cbranch_scc0 .LBB183_684
; %bb.677:
	v_cndmask_b32_e64 v1, 0, 1.0, s1
	s_mov_b32 s46, -1
	s_mov_b32 s2, 0
	s_delay_alu instid0(VALU_DEP_1) | instskip(NEXT) | instid1(VALU_DEP_1)
	v_bfe_u32 v4, v1, 16, 1
	v_add3_u32 v1, v1, v4, 0x7fff
	s_delay_alu instid0(VALU_DEP_1)
	v_lshrrev_b32_e32 v1, 16, v1
	global_store_b32 v[2:3], v1, off
	s_branch .LBB183_684
.LBB183_678:
	s_mov_b32 s1, 0
	s_mov_b32 s2, s10
	s_branch .LBB183_795
.LBB183_679:
	s_mov_b32 s45, -1
	s_mov_b32 s46, 0
	s_mov_b32 s2, s10
	s_branch .LBB183_753
.LBB183_680:
	s_mov_b32 s48, -1
	s_mov_b32 s46, 0
	s_mov_b32 s2, s10
	s_branch .LBB183_711
.LBB183_681:
	s_mov_b32 s48, -1
	s_mov_b32 s46, 0
	s_mov_b32 s2, s10
	s_branch .LBB183_694
.LBB183_682:
	s_mov_b32 s48, -1
	s_mov_b32 s46, 0
	s_mov_b32 s2, s10
	s_branch .LBB183_690
.LBB183_683:
	s_mov_b32 s48, -1
	s_mov_b32 s46, 0
	s_mov_b32 s2, s10
.LBB183_684:
	s_and_b32 vcc_lo, exec_lo, s48
	s_cbranch_vccz .LBB183_689
; %bb.685:
	s_cmp_eq_u32 s45, 44
	s_mov_b32 s2, -1
	s_cbranch_scc0 .LBB183_689
; %bb.686:
	v_cndmask_b32_e64 v5, 0, 1.0, s1
	s_mov_b32 s46, exec_lo
	s_wait_xcnt 0x0
	s_delay_alu instid0(VALU_DEP_1) | instskip(NEXT) | instid1(VALU_DEP_1)
	v_dual_mov_b32 v4, 0xff :: v_dual_lshrrev_b32 v1, 23, v5
	v_cmpx_ne_u32_e32 0xff, v1
; %bb.687:
	v_and_b32_e32 v4, 0x400000, v5
	v_and_or_b32 v5, 0x3fffff, v5, v1
	s_delay_alu instid0(VALU_DEP_2) | instskip(NEXT) | instid1(VALU_DEP_2)
	v_cmp_ne_u32_e32 vcc_lo, 0, v4
	v_cmp_ne_u32_e64 s2, 0, v5
	s_and_b32 s2, vcc_lo, s2
	s_delay_alu instid0(SALU_CYCLE_1) | instskip(NEXT) | instid1(VALU_DEP_1)
	v_cndmask_b32_e64 v4, 0, 1, s2
	v_add_nc_u32_e32 v4, v1, v4
; %bb.688:
	s_or_b32 exec_lo, exec_lo, s46
	s_mov_b32 s46, -1
	s_mov_b32 s2, 0
	global_store_b8 v[2:3], v4, off
.LBB183_689:
	s_mov_b32 s48, 0
.LBB183_690:
	s_delay_alu instid0(SALU_CYCLE_1)
	s_and_b32 vcc_lo, exec_lo, s48
	s_cbranch_vccz .LBB183_693
; %bb.691:
	s_cmp_eq_u32 s45, 29
	s_mov_b32 s2, -1
	s_cbranch_scc0 .LBB183_693
; %bb.692:
	s_mov_b32 s2, 0
	s_wait_xcnt 0x0
	v_cndmask_b32_e64 v4, 0, 1, s1
	v_mov_b32_e32 v5, s2
	s_mov_b32 s46, -1
	s_mov_b32 s48, 0
	global_store_b64 v[2:3], v[4:5], off
	s_branch .LBB183_694
.LBB183_693:
	s_mov_b32 s48, 0
.LBB183_694:
	s_delay_alu instid0(SALU_CYCLE_1)
	s_and_b32 vcc_lo, exec_lo, s48
	s_cbranch_vccz .LBB183_710
; %bb.695:
	s_cmp_lt_i32 s45, 27
	s_mov_b32 s46, -1
	s_cbranch_scc1 .LBB183_701
; %bb.696:
	s_cmp_gt_i32 s45, 27
	s_cbranch_scc0 .LBB183_698
; %bb.697:
	s_wait_xcnt 0x0
	v_cndmask_b32_e64 v1, 0, 1, s1
	s_mov_b32 s46, 0
	global_store_b32 v[2:3], v1, off
.LBB183_698:
	s_and_not1_b32 vcc_lo, exec_lo, s46
	s_cbranch_vccnz .LBB183_700
; %bb.699:
	s_wait_xcnt 0x0
	v_cndmask_b32_e64 v1, 0, 1, s1
	global_store_b16 v[2:3], v1, off
.LBB183_700:
	s_mov_b32 s46, 0
.LBB183_701:
	s_delay_alu instid0(SALU_CYCLE_1)
	s_and_not1_b32 vcc_lo, exec_lo, s46
	s_cbranch_vccnz .LBB183_709
; %bb.702:
	s_wait_xcnt 0x0
	v_cndmask_b32_e64 v4, 0, 1.0, s1
	v_mov_b32_e32 v5, 0x80
	s_mov_b32 s46, exec_lo
	s_delay_alu instid0(VALU_DEP_2)
	v_cmpx_gt_u32_e32 0x43800000, v4
	s_cbranch_execz .LBB183_708
; %bb.703:
	s_mov_b32 s48, 0
	s_mov_b32 s49, exec_lo
                                        ; implicit-def: $vgpr1
	v_cmpx_lt_u32_e32 0x3bffffff, v4
	s_xor_b32 s49, exec_lo, s49
	s_cbranch_execz .LBB183_823
; %bb.704:
	v_bfe_u32 v1, v4, 20, 1
	s_mov_b32 s48, exec_lo
	s_delay_alu instid0(VALU_DEP_1) | instskip(NEXT) | instid1(VALU_DEP_1)
	v_add3_u32 v1, v4, v1, 0x487ffff
                                        ; implicit-def: $vgpr4
	v_lshrrev_b32_e32 v1, 20, v1
	s_and_not1_saveexec_b32 s49, s49
	s_cbranch_execnz .LBB183_824
.LBB183_705:
	s_or_b32 exec_lo, exec_lo, s49
	v_mov_b32_e32 v5, 0
	s_and_saveexec_b32 s49, s48
.LBB183_706:
	v_mov_b32_e32 v5, v1
.LBB183_707:
	s_or_b32 exec_lo, exec_lo, s49
.LBB183_708:
	s_delay_alu instid0(SALU_CYCLE_1)
	s_or_b32 exec_lo, exec_lo, s46
	global_store_b8 v[2:3], v5, off
.LBB183_709:
	s_mov_b32 s46, -1
.LBB183_710:
	s_mov_b32 s48, 0
.LBB183_711:
	s_delay_alu instid0(SALU_CYCLE_1)
	s_and_b32 vcc_lo, exec_lo, s48
	s_cbranch_vccz .LBB183_752
; %bb.712:
	s_cmp_gt_i32 s45, 22
	s_mov_b32 s48, -1
	s_cbranch_scc0 .LBB183_744
; %bb.713:
	s_cmp_lt_i32 s45, 24
	s_mov_b32 s46, -1
	s_cbranch_scc1 .LBB183_733
; %bb.714:
	s_cmp_gt_i32 s45, 24
	s_cbranch_scc0 .LBB183_722
; %bb.715:
	s_wait_xcnt 0x0
	v_cndmask_b32_e64 v4, 0, 1.0, s1
	v_mov_b32_e32 v5, 0x80
	s_mov_b32 s46, exec_lo
	s_delay_alu instid0(VALU_DEP_2)
	v_cmpx_gt_u32_e32 0x47800000, v4
	s_cbranch_execz .LBB183_721
; %bb.716:
	s_mov_b32 s48, 0
	s_mov_b32 s49, exec_lo
                                        ; implicit-def: $vgpr1
	v_cmpx_lt_u32_e32 0x37ffffff, v4
	s_xor_b32 s49, exec_lo, s49
	s_cbranch_execz .LBB183_955
; %bb.717:
	v_bfe_u32 v1, v4, 21, 1
	s_mov_b32 s48, exec_lo
	s_delay_alu instid0(VALU_DEP_1) | instskip(NEXT) | instid1(VALU_DEP_1)
	v_add3_u32 v1, v4, v1, 0x88fffff
                                        ; implicit-def: $vgpr4
	v_lshrrev_b32_e32 v1, 21, v1
	s_and_not1_saveexec_b32 s49, s49
	s_cbranch_execnz .LBB183_956
.LBB183_718:
	s_or_b32 exec_lo, exec_lo, s49
	v_mov_b32_e32 v5, 0
	s_and_saveexec_b32 s49, s48
.LBB183_719:
	v_mov_b32_e32 v5, v1
.LBB183_720:
	s_or_b32 exec_lo, exec_lo, s49
.LBB183_721:
	s_delay_alu instid0(SALU_CYCLE_1)
	s_or_b32 exec_lo, exec_lo, s46
	s_mov_b32 s46, 0
	global_store_b8 v[2:3], v5, off
.LBB183_722:
	s_and_b32 vcc_lo, exec_lo, s46
	s_cbranch_vccz .LBB183_732
; %bb.723:
	s_wait_xcnt 0x0
	v_cndmask_b32_e64 v4, 0, 1.0, s1
	s_mov_b32 s46, exec_lo
                                        ; implicit-def: $vgpr1
	s_delay_alu instid0(VALU_DEP_1)
	v_cmpx_gt_u32_e32 0x43f00000, v4
	s_xor_b32 s46, exec_lo, s46
	s_cbranch_execz .LBB183_729
; %bb.724:
	s_mov_b32 s48, exec_lo
                                        ; implicit-def: $vgpr1
	v_cmpx_lt_u32_e32 0x3c7fffff, v4
	s_xor_b32 s48, exec_lo, s48
; %bb.725:
	v_bfe_u32 v1, v4, 20, 1
	s_delay_alu instid0(VALU_DEP_1) | instskip(NEXT) | instid1(VALU_DEP_1)
	v_add3_u32 v1, v4, v1, 0x407ffff
	v_and_b32_e32 v4, 0xff00000, v1
	v_lshrrev_b32_e32 v1, 20, v1
	s_delay_alu instid0(VALU_DEP_2) | instskip(NEXT) | instid1(VALU_DEP_2)
	v_cmp_ne_u32_e32 vcc_lo, 0x7f00000, v4
                                        ; implicit-def: $vgpr4
	v_cndmask_b32_e32 v1, 0x7e, v1, vcc_lo
; %bb.726:
	s_and_not1_saveexec_b32 s48, s48
; %bb.727:
	v_add_f32_e32 v1, 0x46800000, v4
; %bb.728:
	s_or_b32 exec_lo, exec_lo, s48
                                        ; implicit-def: $vgpr4
.LBB183_729:
	s_and_not1_saveexec_b32 s46, s46
; %bb.730:
	v_mov_b32_e32 v1, 0x7f
	v_cmp_lt_u32_e32 vcc_lo, 0x7f800000, v4
	s_delay_alu instid0(VALU_DEP_2)
	v_cndmask_b32_e32 v1, 0x7e, v1, vcc_lo
; %bb.731:
	s_or_b32 exec_lo, exec_lo, s46
	global_store_b8 v[2:3], v1, off
.LBB183_732:
	s_mov_b32 s46, 0
.LBB183_733:
	s_delay_alu instid0(SALU_CYCLE_1)
	s_and_not1_b32 vcc_lo, exec_lo, s46
	s_cbranch_vccnz .LBB183_743
; %bb.734:
	s_wait_xcnt 0x0
	v_cndmask_b32_e64 v4, 0, 1.0, s1
	s_mov_b32 s46, exec_lo
                                        ; implicit-def: $vgpr1
	s_delay_alu instid0(VALU_DEP_1)
	v_cmpx_gt_u32_e32 0x47800000, v4
	s_xor_b32 s46, exec_lo, s46
	s_cbranch_execz .LBB183_740
; %bb.735:
	s_mov_b32 s48, exec_lo
                                        ; implicit-def: $vgpr1
	v_cmpx_lt_u32_e32 0x387fffff, v4
	s_xor_b32 s48, exec_lo, s48
; %bb.736:
	v_bfe_u32 v1, v4, 21, 1
	s_delay_alu instid0(VALU_DEP_1) | instskip(NEXT) | instid1(VALU_DEP_1)
	v_add3_u32 v1, v4, v1, 0x80fffff
                                        ; implicit-def: $vgpr4
	v_lshrrev_b32_e32 v1, 21, v1
; %bb.737:
	s_and_not1_saveexec_b32 s48, s48
; %bb.738:
	v_add_f32_e32 v1, 0x43000000, v4
; %bb.739:
	s_or_b32 exec_lo, exec_lo, s48
                                        ; implicit-def: $vgpr4
.LBB183_740:
	s_and_not1_saveexec_b32 s46, s46
; %bb.741:
	v_mov_b32_e32 v1, 0x7f
	v_cmp_lt_u32_e32 vcc_lo, 0x7f800000, v4
	s_delay_alu instid0(VALU_DEP_2)
	v_cndmask_b32_e32 v1, 0x7c, v1, vcc_lo
; %bb.742:
	s_or_b32 exec_lo, exec_lo, s46
	global_store_b8 v[2:3], v1, off
.LBB183_743:
	s_mov_b32 s48, 0
	s_mov_b32 s46, -1
.LBB183_744:
	s_and_not1_b32 vcc_lo, exec_lo, s48
	s_cbranch_vccnz .LBB183_752
; %bb.745:
	s_cmp_gt_i32 s45, 14
	s_mov_b32 s48, -1
	s_cbranch_scc0 .LBB183_749
; %bb.746:
	s_cmp_eq_u32 s45, 15
	s_mov_b32 s2, -1
	s_cbranch_scc0 .LBB183_748
; %bb.747:
	s_wait_xcnt 0x0
	v_cndmask_b32_e64 v1, 0, 1.0, s1
	s_mov_b32 s46, -1
	s_mov_b32 s2, 0
	s_delay_alu instid0(VALU_DEP_1) | instskip(NEXT) | instid1(VALU_DEP_1)
	v_bfe_u32 v4, v1, 16, 1
	v_add3_u32 v1, v1, v4, 0x7fff
	global_store_d16_hi_b16 v[2:3], v1, off
.LBB183_748:
	s_mov_b32 s48, 0
.LBB183_749:
	s_delay_alu instid0(SALU_CYCLE_1)
	s_and_b32 vcc_lo, exec_lo, s48
	s_cbranch_vccz .LBB183_752
; %bb.750:
	s_cmp_eq_u32 s45, 11
	s_mov_b32 s2, -1
	s_cbranch_scc0 .LBB183_752
; %bb.751:
	s_wait_xcnt 0x0
	v_cndmask_b32_e64 v1, 0, 1, s1
	s_mov_b32 s46, -1
	s_mov_b32 s2, 0
	global_store_b8 v[2:3], v1, off
.LBB183_752:
	s_mov_b32 s45, 0
.LBB183_753:
	s_delay_alu instid0(SALU_CYCLE_1)
	s_and_b32 vcc_lo, exec_lo, s45
	s_cbranch_vccz .LBB183_792
; %bb.754:
	s_and_b32 s44, 0xffff, s44
	s_mov_b32 s45, -1
	s_cmp_lt_i32 s44, 5
	s_cbranch_scc1 .LBB183_775
; %bb.755:
	s_cmp_lt_i32 s44, 8
	s_cbranch_scc1 .LBB183_765
; %bb.756:
	;; [unrolled: 3-line block ×3, first 2 shown]
	s_cmp_gt_i32 s44, 9
	s_cbranch_scc0 .LBB183_759
; %bb.758:
	s_wait_xcnt 0x0
	v_cndmask_b32_e64 v1, 0, 1, s1
	v_mov_b32_e32 v6, 0
	s_mov_b32 s45, 0
	s_delay_alu instid0(VALU_DEP_2) | instskip(NEXT) | instid1(VALU_DEP_2)
	v_cvt_f64_u32_e32 v[4:5], v1
	v_mov_b32_e32 v7, v6
	global_store_b128 v[2:3], v[4:7], off
.LBB183_759:
	s_and_not1_b32 vcc_lo, exec_lo, s45
	s_cbranch_vccnz .LBB183_761
; %bb.760:
	s_wait_xcnt 0x0
	v_cndmask_b32_e64 v4, 0, 1.0, s1
	v_mov_b32_e32 v5, 0
	global_store_b64 v[2:3], v[4:5], off
.LBB183_761:
	s_mov_b32 s45, 0
.LBB183_762:
	s_delay_alu instid0(SALU_CYCLE_1)
	s_and_not1_b32 vcc_lo, exec_lo, s45
	s_cbranch_vccnz .LBB183_764
; %bb.763:
	s_wait_xcnt 0x0
	v_cndmask_b32_e64 v1, 0, 1.0, s1
	s_delay_alu instid0(VALU_DEP_1) | instskip(NEXT) | instid1(VALU_DEP_1)
	v_cvt_f16_f32_e32 v1, v1
	v_and_b32_e32 v1, 0xffff, v1
	global_store_b32 v[2:3], v1, off
.LBB183_764:
	s_mov_b32 s45, 0
.LBB183_765:
	s_delay_alu instid0(SALU_CYCLE_1)
	s_and_not1_b32 vcc_lo, exec_lo, s45
	s_cbranch_vccnz .LBB183_774
; %bb.766:
	s_cmp_lt_i32 s44, 6
	s_mov_b32 s45, -1
	s_cbranch_scc1 .LBB183_772
; %bb.767:
	s_cmp_gt_i32 s44, 6
	s_cbranch_scc0 .LBB183_769
; %bb.768:
	s_wait_xcnt 0x0
	v_cndmask_b32_e64 v1, 0, 1, s1
	s_mov_b32 s45, 0
	s_delay_alu instid0(VALU_DEP_1)
	v_cvt_f64_u32_e32 v[4:5], v1
	global_store_b64 v[2:3], v[4:5], off
.LBB183_769:
	s_and_not1_b32 vcc_lo, exec_lo, s45
	s_cbranch_vccnz .LBB183_771
; %bb.770:
	s_wait_xcnt 0x0
	v_cndmask_b32_e64 v1, 0, 1.0, s1
	global_store_b32 v[2:3], v1, off
.LBB183_771:
	s_mov_b32 s45, 0
.LBB183_772:
	s_delay_alu instid0(SALU_CYCLE_1)
	s_and_not1_b32 vcc_lo, exec_lo, s45
	s_cbranch_vccnz .LBB183_774
; %bb.773:
	s_wait_xcnt 0x0
	v_cndmask_b32_e64 v1, 0, 1.0, s1
	s_delay_alu instid0(VALU_DEP_1)
	v_cvt_f16_f32_e32 v1, v1
	global_store_b16 v[2:3], v1, off
.LBB183_774:
	s_mov_b32 s45, 0
.LBB183_775:
	s_delay_alu instid0(SALU_CYCLE_1)
	s_and_not1_b32 vcc_lo, exec_lo, s45
	s_cbranch_vccnz .LBB183_791
; %bb.776:
	s_cmp_lt_i32 s44, 2
	s_mov_b32 s45, -1
	s_cbranch_scc1 .LBB183_786
; %bb.777:
	s_cmp_lt_i32 s44, 3
	s_cbranch_scc1 .LBB183_783
; %bb.778:
	s_cmp_gt_i32 s44, 3
	s_cbranch_scc0 .LBB183_780
; %bb.779:
	s_mov_b32 s45, 0
	s_wait_xcnt 0x0
	v_cndmask_b32_e64 v4, 0, 1, s1
	v_mov_b32_e32 v5, s45
	global_store_b64 v[2:3], v[4:5], off
.LBB183_780:
	s_and_not1_b32 vcc_lo, exec_lo, s45
	s_cbranch_vccnz .LBB183_782
; %bb.781:
	s_wait_xcnt 0x0
	v_cndmask_b32_e64 v1, 0, 1, s1
	global_store_b32 v[2:3], v1, off
.LBB183_782:
	s_mov_b32 s45, 0
.LBB183_783:
	s_delay_alu instid0(SALU_CYCLE_1)
	s_and_not1_b32 vcc_lo, exec_lo, s45
	s_cbranch_vccnz .LBB183_785
; %bb.784:
	s_wait_xcnt 0x0
	v_cndmask_b32_e64 v1, 0, 1, s1
	global_store_b16 v[2:3], v1, off
.LBB183_785:
	s_mov_b32 s45, 0
.LBB183_786:
	s_delay_alu instid0(SALU_CYCLE_1)
	s_and_not1_b32 vcc_lo, exec_lo, s45
	s_cbranch_vccnz .LBB183_791
; %bb.787:
	s_wait_xcnt 0x0
	v_cndmask_b32_e64 v1, 0, 1, s1
	s_cmp_gt_i32 s44, 0
	s_mov_b32 s1, -1
	s_cbranch_scc0 .LBB183_789
; %bb.788:
	s_mov_b32 s1, 0
	global_store_b8 v[2:3], v1, off
.LBB183_789:
	s_and_not1_b32 vcc_lo, exec_lo, s1
	s_cbranch_vccnz .LBB183_791
; %bb.790:
	global_store_b8 v[2:3], v1, off
.LBB183_791:
	s_mov_b32 s46, -1
.LBB183_792:
	s_delay_alu instid0(SALU_CYCLE_1)
	s_and_not1_b32 vcc_lo, exec_lo, s46
	s_cbranch_vccnz .LBB183_794
; %bb.793:
	v_add_nc_u32_e32 v0, 0x80, v0
	s_mov_b32 s1, -1
	s_branch .LBB183_796
.LBB183_794:
	s_mov_b32 s1, 0
.LBB183_795:
                                        ; implicit-def: $vgpr0
.LBB183_796:
	s_and_not1_b32 s44, s10, exec_lo
	s_and_b32 s2, s2, exec_lo
	s_and_b32 s29, s29, exec_lo
	s_or_b32 s45, s44, s2
	s_and_not1_b32 s2, s41, exec_lo
	s_and_not1_b32 s44, s42, exec_lo
	s_and_b32 s28, s28, exec_lo
	s_or_b32 s46, s2, s29
	s_or_b32 s44, s44, s28
	s_or_not1_b32 s48, s1, exec_lo
.LBB183_797:
	s_wait_xcnt 0x0
	s_or_b32 exec_lo, exec_lo, s47
	s_mov_b32 s1, 0
	s_mov_b32 s29, 0
	;; [unrolled: 1-line block ×3, first 2 shown]
                                        ; implicit-def: $sgpr2
                                        ; implicit-def: $vgpr6_vgpr7
                                        ; implicit-def: $vgpr4
                                        ; implicit-def: $vgpr2
                                        ; implicit-def: $vgpr3
	s_and_saveexec_b32 s47, s48
	s_cbranch_execz .LBB183_1296
; %bb.798:
	s_mov_b32 s52, -1
	s_mov_b32 s1, s44
	s_mov_b32 s50, s46
	;; [unrolled: 1-line block ×3, first 2 shown]
	s_mov_b32 s48, exec_lo
	v_cmpx_gt_i32_e64 s39, v0
	s_cbranch_execz .LBB183_1200
; %bb.799:
	s_and_not1_b32 vcc_lo, exec_lo, s34
	s_cbranch_vccnz .LBB183_805
; %bb.800:
	s_and_not1_b32 vcc_lo, exec_lo, s40
	s_cbranch_vccnz .LBB183_806
; %bb.801:
	s_wait_loadcnt 0x0
	v_dual_mov_b32 v2, 0 :: v_dual_mov_b32 v1, v0
	v_dual_mov_b32 v6, 0 :: v_dual_mov_b32 v4, 0
	s_add_co_i32 s1, s38, 1
	s_mov_b64 s[28:29], 0xffffffffffffffe8
	s_and_b32 s1, s1, 30
	s_add_nc_u64 s[28:29], s[20:21], s[28:29]
.LBB183_802:                            ; =>This Inner Loop Header: Depth=1
	s_clause 0x1
	s_load_b128 s[52:55], s[28:29], 0x1c
	s_load_b64 s[50:51], s[28:29], 0x2c
	s_add_co_i32 s1, s1, -2
	s_delay_alu instid0(SALU_CYCLE_1) | instskip(SKIP_2) | instid1(VALU_DEP_1)
	s_cmp_eq_u32 s1, 0
	s_wait_kmcnt 0x0
	v_mul_hi_u32 v3, s53, v1
	v_add_nc_u32_e32 v3, v1, v3
	s_delay_alu instid0(VALU_DEP_1) | instskip(NEXT) | instid1(VALU_DEP_1)
	v_lshrrev_b32_e32 v3, s54, v3
	v_mul_hi_u32 v5, s50, v3
	v_mul_lo_u32 v7, v3, s52
	s_clause 0x1
	s_load_b128 s[56:59], s[28:29], 0xdc
	s_load_b64 s[52:53], s[28:29], 0xec
	s_wait_xcnt 0x0
	s_add_nc_u64 s[28:29], s[28:29], 24
	s_delay_alu instid0(VALU_DEP_1) | instskip(NEXT) | instid1(VALU_DEP_1)
	v_dual_add_nc_u32 v5, v3, v5 :: v_dual_sub_nc_u32 v7, v1, v7
	v_lshrrev_b32_e32 v1, s51, v5
	s_wait_kmcnt 0x0
	s_delay_alu instid0(VALU_DEP_2) | instskip(NEXT) | instid1(VALU_DEP_2)
	v_mad_u32 v2, v7, s56, v2
	v_mul_lo_u32 v5, v1, s55
	v_mad_u32 v4, v7, s58, v4
	v_mad_u32 v6, v7, s57, v6
	s_delay_alu instid0(VALU_DEP_3) | instskip(NEXT) | instid1(VALU_DEP_1)
	v_sub_nc_u32_e32 v3, v3, v5
	v_mad_u32 v2, v3, s59, v2
	s_delay_alu instid0(VALU_DEP_4) | instskip(NEXT) | instid1(VALU_DEP_4)
	v_mad_u32 v4, v3, s53, v4
	v_mad_u32 v6, v3, s52, v6
	s_cbranch_scc0 .LBB183_802
; %bb.803:
	s_bitcmp1_b32 s38, 0
	s_cselect_b32 s1, -1, 0
	s_delay_alu instid0(SALU_CYCLE_1)
	s_and_b32 vcc_lo, exec_lo, s1
	s_cbranch_vccnz .LBB183_807
; %bb.804:
	s_clause 0x1
	s_load_b96 s[52:54], s[28:29], 0x1c
	s_load_b96 s[56:58], s[28:29], 0xdc
	s_wait_kmcnt 0x0
	v_mul_hi_u32 v3, s53, v1
	s_delay_alu instid0(VALU_DEP_1) | instskip(NEXT) | instid1(VALU_DEP_1)
	v_add_nc_u32_e32 v3, v1, v3
	v_lshrrev_b32_e32 v3, s54, v3
	s_delay_alu instid0(VALU_DEP_1) | instskip(NEXT) | instid1(VALU_DEP_1)
	v_mul_lo_u32 v3, v3, s52
	v_sub_nc_u32_e32 v1, v1, v3
	s_delay_alu instid0(VALU_DEP_1)
	v_mad_u32 v2, v1, s56, v2
	v_mad_u32 v6, v1, s57, v6
	;; [unrolled: 1-line block ×3, first 2 shown]
	s_branch .LBB183_807
.LBB183_805:
	s_mov_b32 s1, -1
                                        ; implicit-def: $vgpr4
                                        ; implicit-def: $vgpr6
                                        ; implicit-def: $vgpr2
	s_branch .LBB183_808
.LBB183_806:
	v_dual_mov_b32 v4, 0 :: v_dual_mov_b32 v6, 0
	v_mov_b32_e32 v2, 0
.LBB183_807:
	s_mov_b32 s1, 0
.LBB183_808:
	s_delay_alu instid0(SALU_CYCLE_1)
	s_and_not1_b32 vcc_lo, exec_lo, s1
	s_cbranch_vccnz .LBB183_811
; %bb.809:
	s_wait_loadcnt 0x0
	v_mov_b32_e32 v1, 0
	s_and_not1_b32 vcc_lo, exec_lo, s37
	s_delay_alu instid0(VALU_DEP_1) | instskip(NEXT) | instid1(VALU_DEP_1)
	v_mul_u64_e32 v[2:3], s[22:23], v[0:1]
	v_add_nc_u32_e32 v2, v0, v3
	s_delay_alu instid0(VALU_DEP_1) | instskip(NEXT) | instid1(VALU_DEP_1)
	v_lshrrev_b32_e32 v8, s14, v2
	v_mul_lo_u32 v2, v8, s12
	s_delay_alu instid0(VALU_DEP_1) | instskip(NEXT) | instid1(VALU_DEP_1)
	v_sub_nc_u32_e32 v3, v0, v2
	v_mul_lo_u32 v2, v3, s16
	v_mul_lo_u32 v4, v3, s18
	;; [unrolled: 1-line block ×3, first 2 shown]
	s_cbranch_vccnz .LBB183_811
; %bb.810:
	v_mov_b32_e32 v9, v1
	s_delay_alu instid0(VALU_DEP_1) | instskip(NEXT) | instid1(VALU_DEP_1)
	v_mul_u64_e32 v[10:11], s[26:27], v[8:9]
	v_add_nc_u32_e32 v1, v8, v11
	s_delay_alu instid0(VALU_DEP_1) | instskip(NEXT) | instid1(VALU_DEP_1)
	v_lshrrev_b32_e32 v1, s3, v1
	v_mul_lo_u32 v1, v1, s15
	s_delay_alu instid0(VALU_DEP_1) | instskip(NEXT) | instid1(VALU_DEP_1)
	v_sub_nc_u32_e32 v1, v8, v1
	v_mad_u32 v2, v1, s19, v2
	v_mad_u32 v6, v1, s24, v6
	;; [unrolled: 1-line block ×3, first 2 shown]
.LBB183_811:
	v_mov_b32_e32 v7, 0
	s_and_b32 s1, s36, 0xff
	s_delay_alu instid0(SALU_CYCLE_1) | instskip(NEXT) | instid1(VALU_DEP_1)
	s_cmp_lt_i32 s1, 11
	v_add_nc_u64_e32 v[6:7], s[6:7], v[6:7]
	s_cbranch_scc1 .LBB183_818
; %bb.812:
	s_and_b32 s2, 0xffff, s1
	s_delay_alu instid0(SALU_CYCLE_1)
	s_cmp_gt_i32 s2, 25
	s_cbranch_scc0 .LBB183_819
; %bb.813:
	s_cmp_gt_i32 s2, 28
	s_cbranch_scc0 .LBB183_820
; %bb.814:
	;; [unrolled: 3-line block ×4, first 2 shown]
	s_cmp_eq_u32 s2, 46
	s_mov_b32 s49, 0
	s_cbranch_scc0 .LBB183_825
; %bb.817:
	s_wait_loadcnt 0x0
	global_load_b32 v1, v[6:7], off
	s_mov_b32 s29, -1
	s_mov_b32 s28, 0
	s_wait_loadcnt 0x0
	v_lshlrev_b32_e32 v1, 16, v1
	s_delay_alu instid0(VALU_DEP_1)
	v_cvt_f16_f32_e32 v1, v1
	s_branch .LBB183_827
.LBB183_818:
	s_mov_b32 s2, -1
	s_mov_b32 s29, 0
	s_mov_b32 s28, s44
                                        ; implicit-def: $vgpr1
	s_branch .LBB183_892
.LBB183_819:
	s_mov_b32 s49, -1
	s_mov_b32 s29, 0
	s_mov_b32 s28, s44
                                        ; implicit-def: $vgpr1
	s_branch .LBB183_856
.LBB183_820:
	s_mov_b32 s49, -1
	s_mov_b32 s29, 0
	s_mov_b32 s28, s44
                                        ; implicit-def: $vgpr1
	s_branch .LBB183_837
.LBB183_821:
	s_mov_b32 s49, -1
	s_mov_b32 s29, 0
	s_mov_b32 s28, s44
                                        ; implicit-def: $vgpr1
	s_branch .LBB183_832
.LBB183_822:
	s_mov_b32 s49, -1
	s_mov_b32 s29, 0
	s_mov_b32 s28, s44
	s_branch .LBB183_826
.LBB183_823:
	s_and_not1_saveexec_b32 s49, s49
	s_cbranch_execz .LBB183_705
.LBB183_824:
	v_add_f32_e32 v1, 0x46000000, v4
	s_and_not1_b32 s48, s48, exec_lo
	s_delay_alu instid0(VALU_DEP_1) | instskip(NEXT) | instid1(VALU_DEP_1)
	v_and_b32_e32 v1, 0xff, v1
	v_cmp_ne_u32_e32 vcc_lo, 0, v1
	s_and_b32 s50, vcc_lo, exec_lo
	s_delay_alu instid0(SALU_CYCLE_1)
	s_or_b32 s48, s48, s50
	s_or_b32 exec_lo, exec_lo, s49
	v_mov_b32_e32 v5, 0
	s_and_saveexec_b32 s49, s48
	s_cbranch_execnz .LBB183_706
	s_branch .LBB183_707
.LBB183_825:
	s_mov_b32 s28, -1
	s_mov_b32 s29, 0
.LBB183_826:
                                        ; implicit-def: $vgpr1
.LBB183_827:
	s_and_b32 vcc_lo, exec_lo, s49
	s_cbranch_vccz .LBB183_831
; %bb.828:
	s_cmp_eq_u32 s2, 44
	s_cbranch_scc0 .LBB183_830
; %bb.829:
	s_wait_loadcnt 0x0
	global_load_u8 v1, v[6:7], off
	s_mov_b32 s28, 0
	s_mov_b32 s29, -1
	s_wait_loadcnt 0x0
	v_lshlrev_b32_e32 v3, 23, v1
	v_cmp_ne_u32_e32 vcc_lo, 0xff, v1
	s_delay_alu instid0(VALU_DEP_2) | instskip(NEXT) | instid1(VALU_DEP_1)
	v_cvt_f16_f32_e32 v3, v3
	v_cndmask_b32_e32 v3, 0x7e00, v3, vcc_lo
	v_cmp_ne_u32_e32 vcc_lo, 0, v1
	s_delay_alu instid0(VALU_DEP_2)
	v_cndmask_b32_e32 v1, 0, v3, vcc_lo
	s_branch .LBB183_831
.LBB183_830:
	s_mov_b32 s28, -1
                                        ; implicit-def: $vgpr1
.LBB183_831:
	s_mov_b32 s49, 0
.LBB183_832:
	s_delay_alu instid0(SALU_CYCLE_1)
	s_and_b32 vcc_lo, exec_lo, s49
	s_cbranch_vccz .LBB183_836
; %bb.833:
	s_cmp_eq_u32 s2, 29
	s_cbranch_scc0 .LBB183_835
; %bb.834:
	global_load_b64 v[8:9], v[6:7], off
	s_mov_b32 s29, -1
	s_mov_b32 s28, 0
	s_mov_b32 s49, 0
	s_wait_loadcnt 0x0
	v_clz_i32_u32_e32 v1, v9
	s_delay_alu instid0(VALU_DEP_1) | instskip(NEXT) | instid1(VALU_DEP_1)
	v_min_u32_e32 v1, 32, v1
	v_lshlrev_b64_e32 v[8:9], v1, v[8:9]
	v_sub_nc_u32_e32 v1, 32, v1
	s_delay_alu instid0(VALU_DEP_2) | instskip(NEXT) | instid1(VALU_DEP_1)
	v_min_u32_e32 v3, 1, v8
	v_or_b32_e32 v3, v9, v3
	s_delay_alu instid0(VALU_DEP_1) | instskip(NEXT) | instid1(VALU_DEP_1)
	v_cvt_f32_u32_e32 v3, v3
	v_ldexp_f32 v1, v3, v1
	s_delay_alu instid0(VALU_DEP_1)
	v_cvt_f16_f32_e32 v1, v1
	s_branch .LBB183_837
.LBB183_835:
	s_mov_b32 s28, -1
                                        ; implicit-def: $vgpr1
.LBB183_836:
	s_mov_b32 s49, 0
.LBB183_837:
	s_delay_alu instid0(SALU_CYCLE_1)
	s_and_b32 vcc_lo, exec_lo, s49
	s_cbranch_vccz .LBB183_855
; %bb.838:
	s_cmp_lt_i32 s2, 27
	s_cbranch_scc1 .LBB183_841
; %bb.839:
	s_cmp_gt_i32 s2, 27
	s_cbranch_scc0 .LBB183_842
; %bb.840:
	s_wait_loadcnt 0x0
	global_load_b32 v1, v[6:7], off
	s_mov_b32 s29, 0
	s_wait_loadcnt 0x0
	v_cvt_f32_u32_e32 v1, v1
	s_delay_alu instid0(VALU_DEP_1)
	v_cvt_f16_f32_e32 v1, v1
	s_branch .LBB183_843
.LBB183_841:
	s_mov_b32 s29, -1
                                        ; implicit-def: $vgpr1
	s_branch .LBB183_846
.LBB183_842:
	s_mov_b32 s29, -1
                                        ; implicit-def: $vgpr1
.LBB183_843:
	s_delay_alu instid0(SALU_CYCLE_1)
	s_and_not1_b32 vcc_lo, exec_lo, s29
	s_cbranch_vccnz .LBB183_845
; %bb.844:
	s_wait_loadcnt 0x0
	global_load_u16 v1, v[6:7], off
	s_wait_loadcnt 0x0
	v_cvt_f16_u16_e32 v1, v1
.LBB183_845:
	s_mov_b32 s29, 0
.LBB183_846:
	s_delay_alu instid0(SALU_CYCLE_1)
	s_and_not1_b32 vcc_lo, exec_lo, s29
	s_cbranch_vccnz .LBB183_854
; %bb.847:
	s_wait_loadcnt 0x0
	global_load_u8 v3, v[6:7], off
	s_mov_b32 s29, 0
	s_mov_b32 s49, exec_lo
	s_wait_loadcnt 0x0
	v_cmpx_lt_i16_e32 0x7f, v3
	s_xor_b32 s49, exec_lo, s49
	s_cbranch_execz .LBB183_868
; %bb.848:
	s_mov_b32 s29, -1
	s_mov_b32 s50, exec_lo
	v_cmpx_eq_u16_e32 0x80, v3
; %bb.849:
	s_xor_b32 s29, exec_lo, -1
; %bb.850:
	s_or_b32 exec_lo, exec_lo, s50
	s_delay_alu instid0(SALU_CYCLE_1)
	s_and_b32 s29, s29, exec_lo
	s_or_saveexec_b32 s49, s49
	v_mov_b32_e32 v1, 0x7e00
	s_xor_b32 exec_lo, exec_lo, s49
	s_cbranch_execnz .LBB183_869
.LBB183_851:
	s_or_b32 exec_lo, exec_lo, s49
	s_and_saveexec_b32 s49, s29
	s_cbranch_execz .LBB183_853
.LBB183_852:
	v_and_b32_e32 v1, 0xffff, v3
	s_delay_alu instid0(VALU_DEP_1) | instskip(SKIP_1) | instid1(VALU_DEP_2)
	v_and_b32_e32 v5, 7, v1
	v_bfe_u32 v10, v1, 3, 4
	v_clz_i32_u32_e32 v8, v5
	s_delay_alu instid0(VALU_DEP_2) | instskip(NEXT) | instid1(VALU_DEP_2)
	v_cmp_eq_u32_e32 vcc_lo, 0, v10
	v_min_u32_e32 v8, 32, v8
	s_delay_alu instid0(VALU_DEP_1) | instskip(NEXT) | instid1(VALU_DEP_1)
	v_subrev_nc_u32_e32 v9, 28, v8
	v_dual_lshlrev_b32 v1, v9, v1 :: v_dual_sub_nc_u32 v8, 29, v8
	s_delay_alu instid0(VALU_DEP_1) | instskip(NEXT) | instid1(VALU_DEP_1)
	v_dual_lshlrev_b32 v3, 24, v3 :: v_dual_bitop2_b32 v1, 7, v1 bitop3:0x40
	v_dual_cndmask_b32 v8, v10, v8 :: v_dual_cndmask_b32 v1, v5, v1
	s_delay_alu instid0(VALU_DEP_2) | instskip(NEXT) | instid1(VALU_DEP_2)
	v_and_b32_e32 v3, 0x80000000, v3
	v_lshl_add_u32 v5, v8, 23, 0x3b800000
	s_delay_alu instid0(VALU_DEP_3) | instskip(NEXT) | instid1(VALU_DEP_1)
	v_lshlrev_b32_e32 v1, 20, v1
	v_or3_b32 v1, v3, v5, v1
	s_delay_alu instid0(VALU_DEP_1)
	v_cvt_f16_f32_e32 v1, v1
.LBB183_853:
	s_or_b32 exec_lo, exec_lo, s49
.LBB183_854:
	s_mov_b32 s29, -1
.LBB183_855:
	s_mov_b32 s49, 0
.LBB183_856:
	s_delay_alu instid0(SALU_CYCLE_1)
	s_and_b32 vcc_lo, exec_lo, s49
	s_cbranch_vccz .LBB183_891
; %bb.857:
	s_cmp_gt_i32 s2, 22
	s_cbranch_scc0 .LBB183_867
; %bb.858:
	s_cmp_lt_i32 s2, 24
	s_cbranch_scc1 .LBB183_870
; %bb.859:
	s_cmp_gt_i32 s2, 24
	s_cbranch_scc0 .LBB183_871
; %bb.860:
	s_wait_loadcnt 0x0
	global_load_u8 v3, v[6:7], off
	s_mov_b32 s29, 0
	s_mov_b32 s49, exec_lo
	s_wait_loadcnt 0x0
	v_cmpx_lt_i16_e32 0x7f, v3
	s_xor_b32 s49, exec_lo, s49
	s_cbranch_execz .LBB183_883
; %bb.861:
	s_mov_b32 s29, -1
	s_mov_b32 s50, exec_lo
	v_cmpx_eq_u16_e32 0x80, v3
; %bb.862:
	s_xor_b32 s29, exec_lo, -1
; %bb.863:
	s_or_b32 exec_lo, exec_lo, s50
	s_delay_alu instid0(SALU_CYCLE_1)
	s_and_b32 s29, s29, exec_lo
	s_or_saveexec_b32 s49, s49
	v_mov_b32_e32 v1, 0x7e00
	s_xor_b32 exec_lo, exec_lo, s49
	s_cbranch_execnz .LBB183_884
.LBB183_864:
	s_or_b32 exec_lo, exec_lo, s49
	s_and_saveexec_b32 s49, s29
	s_cbranch_execz .LBB183_866
.LBB183_865:
	v_and_b32_e32 v1, 0xffff, v3
	s_delay_alu instid0(VALU_DEP_1) | instskip(SKIP_1) | instid1(VALU_DEP_2)
	v_and_b32_e32 v5, 3, v1
	v_bfe_u32 v10, v1, 2, 5
	v_clz_i32_u32_e32 v8, v5
	s_delay_alu instid0(VALU_DEP_2) | instskip(NEXT) | instid1(VALU_DEP_2)
	v_cmp_eq_u32_e32 vcc_lo, 0, v10
	v_min_u32_e32 v8, 32, v8
	s_delay_alu instid0(VALU_DEP_1) | instskip(NEXT) | instid1(VALU_DEP_1)
	v_subrev_nc_u32_e32 v9, 29, v8
	v_dual_lshlrev_b32 v1, v9, v1 :: v_dual_sub_nc_u32 v8, 30, v8
	s_delay_alu instid0(VALU_DEP_1) | instskip(NEXT) | instid1(VALU_DEP_1)
	v_dual_lshlrev_b32 v3, 24, v3 :: v_dual_bitop2_b32 v1, 3, v1 bitop3:0x40
	v_dual_cndmask_b32 v8, v10, v8 :: v_dual_cndmask_b32 v1, v5, v1
	s_delay_alu instid0(VALU_DEP_2) | instskip(NEXT) | instid1(VALU_DEP_2)
	v_and_b32_e32 v3, 0x80000000, v3
	v_lshl_add_u32 v5, v8, 23, 0x37800000
	s_delay_alu instid0(VALU_DEP_3) | instskip(NEXT) | instid1(VALU_DEP_1)
	v_lshlrev_b32_e32 v1, 21, v1
	v_or3_b32 v1, v3, v5, v1
	s_delay_alu instid0(VALU_DEP_1)
	v_cvt_f16_f32_e32 v1, v1
.LBB183_866:
	s_or_b32 exec_lo, exec_lo, s49
	s_mov_b32 s29, 0
	s_branch .LBB183_872
.LBB183_867:
	s_mov_b32 s49, -1
                                        ; implicit-def: $vgpr1
	s_branch .LBB183_878
.LBB183_868:
	s_or_saveexec_b32 s49, s49
	v_mov_b32_e32 v1, 0x7e00
	s_xor_b32 exec_lo, exec_lo, s49
	s_cbranch_execz .LBB183_851
.LBB183_869:
	v_cmp_ne_u16_e32 vcc_lo, 0, v3
	v_mov_b32_e32 v1, v3
	s_and_not1_b32 s29, s29, exec_lo
	s_and_b32 s50, vcc_lo, exec_lo
	s_delay_alu instid0(SALU_CYCLE_1)
	s_or_b32 s29, s29, s50
	s_or_b32 exec_lo, exec_lo, s49
	s_and_saveexec_b32 s49, s29
	s_cbranch_execnz .LBB183_852
	s_branch .LBB183_853
.LBB183_870:
	s_mov_b32 s29, -1
                                        ; implicit-def: $vgpr1
	s_branch .LBB183_875
.LBB183_871:
	s_mov_b32 s29, -1
                                        ; implicit-def: $vgpr1
.LBB183_872:
	s_delay_alu instid0(SALU_CYCLE_1)
	s_and_b32 vcc_lo, exec_lo, s29
	s_cbranch_vccz .LBB183_874
; %bb.873:
	s_wait_loadcnt 0x0
	global_load_u8 v1, v[6:7], off
	s_wait_loadcnt 0x0
	v_lshlrev_b32_e32 v1, 24, v1
	s_delay_alu instid0(VALU_DEP_1) | instskip(NEXT) | instid1(VALU_DEP_1)
	v_and_b32_e32 v3, 0x7f000000, v1
	v_clz_i32_u32_e32 v5, v3
	v_add_nc_u32_e32 v9, 0x1000000, v3
	v_cmp_ne_u32_e32 vcc_lo, 0, v3
	s_delay_alu instid0(VALU_DEP_3) | instskip(NEXT) | instid1(VALU_DEP_1)
	v_min_u32_e32 v5, 32, v5
	v_sub_nc_u32_e64 v5, v5, 4 clamp
	s_delay_alu instid0(VALU_DEP_1) | instskip(NEXT) | instid1(VALU_DEP_1)
	v_dual_lshlrev_b32 v8, v5, v3 :: v_dual_lshlrev_b32 v5, 23, v5
	v_lshrrev_b32_e32 v8, 4, v8
	s_delay_alu instid0(VALU_DEP_1) | instskip(SKIP_1) | instid1(VALU_DEP_2)
	v_sub_nc_u32_e32 v5, v8, v5
	v_ashrrev_i32_e32 v8, 8, v9
	v_add_nc_u32_e32 v5, 0x3c000000, v5
	s_delay_alu instid0(VALU_DEP_1) | instskip(NEXT) | instid1(VALU_DEP_1)
	v_and_or_b32 v5, 0x7f800000, v8, v5
	v_cndmask_b32_e32 v3, 0, v5, vcc_lo
	s_delay_alu instid0(VALU_DEP_1) | instskip(NEXT) | instid1(VALU_DEP_1)
	v_and_or_b32 v1, 0x80000000, v1, v3
	v_cvt_f16_f32_e32 v1, v1
.LBB183_874:
	s_mov_b32 s29, 0
.LBB183_875:
	s_delay_alu instid0(SALU_CYCLE_1)
	s_and_not1_b32 vcc_lo, exec_lo, s29
	s_cbranch_vccnz .LBB183_877
; %bb.876:
	s_wait_loadcnt 0x0
	global_load_u8 v1, v[6:7], off
	s_wait_loadcnt 0x0
	v_lshlrev_b32_e32 v3, 25, v1
	v_lshlrev_b16 v1, 8, v1
	s_delay_alu instid0(VALU_DEP_1) | instskip(SKIP_1) | instid1(VALU_DEP_2)
	v_and_or_b32 v8, 0x7f00, v1, 0.5
	v_bfe_i32 v1, v1, 0, 16
	v_dual_add_f32 v8, -0.5, v8 :: v_dual_lshrrev_b32 v5, 4, v3
	v_cmp_gt_u32_e32 vcc_lo, 0x8000000, v3
	s_delay_alu instid0(VALU_DEP_2) | instskip(NEXT) | instid1(VALU_DEP_1)
	v_or_b32_e32 v5, 0x70000000, v5
	v_mul_f32_e32 v5, 0x7800000, v5
	s_delay_alu instid0(VALU_DEP_1) | instskip(NEXT) | instid1(VALU_DEP_1)
	v_cndmask_b32_e32 v3, v5, v8, vcc_lo
	v_and_or_b32 v1, 0x80000000, v1, v3
	s_delay_alu instid0(VALU_DEP_1)
	v_cvt_f16_f32_e32 v1, v1
.LBB183_877:
	s_mov_b32 s49, 0
	s_mov_b32 s29, -1
.LBB183_878:
	s_and_not1_b32 vcc_lo, exec_lo, s49
	s_cbranch_vccnz .LBB183_891
; %bb.879:
	s_cmp_gt_i32 s2, 14
	s_cbranch_scc0 .LBB183_882
; %bb.880:
	s_cmp_eq_u32 s2, 15
	s_cbranch_scc0 .LBB183_885
; %bb.881:
	s_wait_loadcnt 0x0
	global_load_u16 v1, v[6:7], off
	s_mov_b32 s29, -1
	s_mov_b32 s28, 0
	s_wait_loadcnt 0x0
	v_lshlrev_b32_e32 v1, 16, v1
	s_delay_alu instid0(VALU_DEP_1)
	v_cvt_f16_f32_e32 v1, v1
	s_branch .LBB183_886
.LBB183_882:
	s_mov_b32 s49, -1
                                        ; implicit-def: $vgpr1
	s_branch .LBB183_887
.LBB183_883:
	s_or_saveexec_b32 s49, s49
	v_mov_b32_e32 v1, 0x7e00
	s_xor_b32 exec_lo, exec_lo, s49
	s_cbranch_execz .LBB183_864
.LBB183_884:
	v_cmp_ne_u16_e32 vcc_lo, 0, v3
	v_mov_b32_e32 v1, v3
	s_and_not1_b32 s29, s29, exec_lo
	s_and_b32 s50, vcc_lo, exec_lo
	s_delay_alu instid0(SALU_CYCLE_1)
	s_or_b32 s29, s29, s50
	s_or_b32 exec_lo, exec_lo, s49
	s_and_saveexec_b32 s49, s29
	s_cbranch_execnz .LBB183_865
	s_branch .LBB183_866
.LBB183_885:
	s_mov_b32 s28, -1
                                        ; implicit-def: $vgpr1
.LBB183_886:
	s_mov_b32 s49, 0
.LBB183_887:
	s_delay_alu instid0(SALU_CYCLE_1)
	s_and_b32 vcc_lo, exec_lo, s49
	s_cbranch_vccz .LBB183_891
; %bb.888:
	s_cmp_eq_u32 s2, 11
	s_cbranch_scc0 .LBB183_890
; %bb.889:
	s_wait_loadcnt 0x0
	global_load_u8 v1, v[6:7], off
	s_mov_b32 s28, 0
	s_mov_b32 s29, -1
	s_wait_loadcnt 0x0
	v_cmp_ne_u16_e32 vcc_lo, 0, v1
	v_cndmask_b32_e64 v1, 0, 0x3c00, vcc_lo
	s_branch .LBB183_891
.LBB183_890:
	s_mov_b32 s28, -1
                                        ; implicit-def: $vgpr1
.LBB183_891:
	s_mov_b32 s2, 0
.LBB183_892:
	s_delay_alu instid0(SALU_CYCLE_1)
	s_and_b32 vcc_lo, exec_lo, s2
	s_cbranch_vccz .LBB183_941
; %bb.893:
	s_and_b32 s1, 0xffff, s1
	s_delay_alu instid0(SALU_CYCLE_1)
	s_cmp_lt_i32 s1, 5
	s_cbranch_scc1 .LBB183_898
; %bb.894:
	s_cmp_lt_i32 s1, 8
	s_cbranch_scc1 .LBB183_899
; %bb.895:
	s_cmp_lt_i32 s1, 9
	s_cbranch_scc1 .LBB183_900
; %bb.896:
	s_cmp_gt_i32 s1, 9
	s_cbranch_scc0 .LBB183_901
; %bb.897:
	global_load_b64 v[8:9], v[6:7], off
	s_mov_b32 s2, 0
	s_wait_loadcnt 0x0
	v_and_or_b32 v1, 0x1ff, v9, v8
	v_lshrrev_b32_e32 v3, 8, v9
	v_bfe_u32 v5, v9, 20, 11
	s_delay_alu instid0(VALU_DEP_3) | instskip(NEXT) | instid1(VALU_DEP_2)
	v_cmp_ne_u32_e32 vcc_lo, 0, v1
	v_sub_nc_u32_e32 v8, 0x3f1, v5
	v_add_nc_u32_e32 v5, 0xfffffc10, v5
	v_cndmask_b32_e64 v1, 0, 1, vcc_lo
	s_delay_alu instid0(VALU_DEP_1) | instskip(NEXT) | instid1(VALU_DEP_4)
	v_and_or_b32 v1, 0xffe, v3, v1
	v_med3_i32 v3, v8, 0, 13
	s_delay_alu instid0(VALU_DEP_2) | instskip(NEXT) | instid1(VALU_DEP_1)
	v_or_b32_e32 v8, 0x1000, v1
	v_lshrrev_b32_e32 v10, v3, v8
	s_delay_alu instid0(VALU_DEP_1) | instskip(NEXT) | instid1(VALU_DEP_1)
	v_lshlrev_b32_e32 v3, v3, v10
	v_cmp_ne_u32_e32 vcc_lo, v3, v8
	v_lshl_or_b32 v8, v5, 12, v1
	v_cndmask_b32_e64 v3, 0, 1, vcc_lo
	v_cmp_gt_i32_e32 vcc_lo, 1, v5
	s_delay_alu instid0(VALU_DEP_2) | instskip(NEXT) | instid1(VALU_DEP_1)
	v_or_b32_e32 v3, v10, v3
	v_cndmask_b32_e32 v3, v8, v3, vcc_lo
	s_delay_alu instid0(VALU_DEP_1) | instskip(NEXT) | instid1(VALU_DEP_1)
	v_dual_lshrrev_b32 v3, 2, v3 :: v_dual_bitop2_b32 v8, 7, v3 bitop3:0x40
	v_cmp_lt_i32_e32 vcc_lo, 5, v8
	v_cndmask_b32_e64 v10, 0, 1, vcc_lo
	v_cmp_eq_u32_e32 vcc_lo, 3, v8
	v_cndmask_b32_e64 v8, 0, 1, vcc_lo
	v_cmp_ne_u32_e32 vcc_lo, 0, v1
	s_delay_alu instid0(VALU_DEP_2) | instskip(NEXT) | instid1(VALU_DEP_1)
	v_or_b32_e32 v8, v8, v10
	v_dual_mov_b32 v10, 0x7e00 :: v_dual_add_nc_u32 v3, v3, v8
	s_delay_alu instid0(VALU_DEP_1) | instskip(SKIP_1) | instid1(VALU_DEP_3)
	v_cndmask_b32_e32 v1, 0x7c00, v10, vcc_lo
	v_cmp_gt_i32_e32 vcc_lo, 31, v5
	v_cndmask_b32_e32 v3, 0x7c00, v3, vcc_lo
	v_cmp_eq_u32_e32 vcc_lo, 0x40f, v5
	s_delay_alu instid0(VALU_DEP_2) | instskip(SKIP_1) | instid1(VALU_DEP_1)
	v_cndmask_b32_e32 v1, v3, v1, vcc_lo
	v_lshrrev_b32_e32 v3, 16, v9
	v_and_or_b32 v1, 0x8000, v3, v1
	s_branch .LBB183_902
.LBB183_898:
	s_mov_b32 s2, -1
                                        ; implicit-def: $vgpr1
	s_branch .LBB183_920
.LBB183_899:
	s_mov_b32 s2, -1
                                        ; implicit-def: $vgpr1
	s_branch .LBB183_908
.LBB183_900:
	s_mov_b32 s2, -1
                                        ; implicit-def: $vgpr1
	s_branch .LBB183_905
.LBB183_901:
	s_mov_b32 s2, -1
                                        ; implicit-def: $vgpr1
.LBB183_902:
	s_delay_alu instid0(SALU_CYCLE_1)
	s_and_not1_b32 vcc_lo, exec_lo, s2
	s_cbranch_vccnz .LBB183_904
; %bb.903:
	s_wait_loadcnt 0x0
	global_load_b32 v1, v[6:7], off
	s_wait_loadcnt 0x0
	v_cvt_f16_f32_e32 v1, v1
.LBB183_904:
	s_mov_b32 s2, 0
.LBB183_905:
	s_delay_alu instid0(SALU_CYCLE_1)
	s_and_not1_b32 vcc_lo, exec_lo, s2
	s_cbranch_vccnz .LBB183_907
; %bb.906:
	s_wait_loadcnt 0x0
	global_load_b32 v1, v[6:7], off
.LBB183_907:
	s_mov_b32 s2, 0
.LBB183_908:
	s_delay_alu instid0(SALU_CYCLE_1)
	s_and_not1_b32 vcc_lo, exec_lo, s2
	s_cbranch_vccnz .LBB183_919
; %bb.909:
	s_cmp_lt_i32 s1, 6
	s_cbranch_scc1 .LBB183_912
; %bb.910:
	s_cmp_gt_i32 s1, 6
	s_cbranch_scc0 .LBB183_913
; %bb.911:
	global_load_b64 v[8:9], v[6:7], off
	s_mov_b32 s2, 0
	s_wait_loadcnt 0x0
	v_and_or_b32 v1, 0x1ff, v9, v8
	v_lshrrev_b32_e32 v3, 8, v9
	v_bfe_u32 v5, v9, 20, 11
	s_delay_alu instid0(VALU_DEP_3) | instskip(NEXT) | instid1(VALU_DEP_2)
	v_cmp_ne_u32_e32 vcc_lo, 0, v1
	v_sub_nc_u32_e32 v8, 0x3f1, v5
	v_add_nc_u32_e32 v5, 0xfffffc10, v5
	v_cndmask_b32_e64 v1, 0, 1, vcc_lo
	s_delay_alu instid0(VALU_DEP_1) | instskip(NEXT) | instid1(VALU_DEP_4)
	v_and_or_b32 v1, 0xffe, v3, v1
	v_med3_i32 v3, v8, 0, 13
	s_delay_alu instid0(VALU_DEP_2) | instskip(NEXT) | instid1(VALU_DEP_1)
	v_or_b32_e32 v8, 0x1000, v1
	v_lshrrev_b32_e32 v10, v3, v8
	s_delay_alu instid0(VALU_DEP_1) | instskip(NEXT) | instid1(VALU_DEP_1)
	v_lshlrev_b32_e32 v3, v3, v10
	v_cmp_ne_u32_e32 vcc_lo, v3, v8
	v_lshl_or_b32 v8, v5, 12, v1
	v_cndmask_b32_e64 v3, 0, 1, vcc_lo
	v_cmp_gt_i32_e32 vcc_lo, 1, v5
	s_delay_alu instid0(VALU_DEP_2) | instskip(NEXT) | instid1(VALU_DEP_1)
	v_or_b32_e32 v3, v10, v3
	v_cndmask_b32_e32 v3, v8, v3, vcc_lo
	s_delay_alu instid0(VALU_DEP_1) | instskip(NEXT) | instid1(VALU_DEP_1)
	v_dual_lshrrev_b32 v3, 2, v3 :: v_dual_bitop2_b32 v8, 7, v3 bitop3:0x40
	v_cmp_lt_i32_e32 vcc_lo, 5, v8
	v_cndmask_b32_e64 v10, 0, 1, vcc_lo
	v_cmp_eq_u32_e32 vcc_lo, 3, v8
	v_cndmask_b32_e64 v8, 0, 1, vcc_lo
	v_cmp_ne_u32_e32 vcc_lo, 0, v1
	s_delay_alu instid0(VALU_DEP_2) | instskip(NEXT) | instid1(VALU_DEP_1)
	v_or_b32_e32 v8, v8, v10
	v_dual_mov_b32 v10, 0x7e00 :: v_dual_add_nc_u32 v3, v3, v8
	s_delay_alu instid0(VALU_DEP_1) | instskip(SKIP_1) | instid1(VALU_DEP_3)
	v_cndmask_b32_e32 v1, 0x7c00, v10, vcc_lo
	v_cmp_gt_i32_e32 vcc_lo, 31, v5
	v_cndmask_b32_e32 v3, 0x7c00, v3, vcc_lo
	v_cmp_eq_u32_e32 vcc_lo, 0x40f, v5
	s_delay_alu instid0(VALU_DEP_2) | instskip(SKIP_1) | instid1(VALU_DEP_1)
	v_cndmask_b32_e32 v1, v3, v1, vcc_lo
	v_lshrrev_b32_e32 v3, 16, v9
	v_and_or_b32 v1, 0x8000, v3, v1
	s_branch .LBB183_914
.LBB183_912:
	s_mov_b32 s2, -1
                                        ; implicit-def: $vgpr1
	s_branch .LBB183_917
.LBB183_913:
	s_mov_b32 s2, -1
                                        ; implicit-def: $vgpr1
.LBB183_914:
	s_delay_alu instid0(SALU_CYCLE_1)
	s_and_not1_b32 vcc_lo, exec_lo, s2
	s_cbranch_vccnz .LBB183_916
; %bb.915:
	s_wait_loadcnt 0x0
	global_load_b32 v1, v[6:7], off
	s_wait_loadcnt 0x0
	v_cvt_f16_f32_e32 v1, v1
.LBB183_916:
	s_mov_b32 s2, 0
.LBB183_917:
	s_delay_alu instid0(SALU_CYCLE_1)
	s_and_not1_b32 vcc_lo, exec_lo, s2
	s_cbranch_vccnz .LBB183_919
; %bb.918:
	s_wait_loadcnt 0x0
	global_load_u16 v1, v[6:7], off
.LBB183_919:
	s_mov_b32 s2, 0
.LBB183_920:
	s_delay_alu instid0(SALU_CYCLE_1)
	s_and_not1_b32 vcc_lo, exec_lo, s2
	s_cbranch_vccnz .LBB183_940
; %bb.921:
	s_cmp_lt_i32 s1, 2
	s_cbranch_scc1 .LBB183_925
; %bb.922:
	s_cmp_lt_i32 s1, 3
	s_cbranch_scc1 .LBB183_926
; %bb.923:
	s_cmp_gt_i32 s1, 3
	s_cbranch_scc0 .LBB183_927
; %bb.924:
	global_load_b64 v[8:9], v[6:7], off
	s_mov_b32 s2, 0
	s_wait_loadcnt 0x0
	v_xor_b32_e32 v1, v8, v9
	v_cls_i32_e32 v3, v9
	s_delay_alu instid0(VALU_DEP_2) | instskip(NEXT) | instid1(VALU_DEP_1)
	v_ashrrev_i32_e32 v1, 31, v1
	v_add_nc_u32_e32 v1, 32, v1
	s_delay_alu instid0(VALU_DEP_1) | instskip(NEXT) | instid1(VALU_DEP_1)
	v_add_min_u32_e64 v1, v3, -1, v1
	v_lshlrev_b64_e32 v[8:9], v1, v[8:9]
	v_sub_nc_u32_e32 v1, 32, v1
	s_delay_alu instid0(VALU_DEP_2) | instskip(NEXT) | instid1(VALU_DEP_1)
	v_min_u32_e32 v3, 1, v8
	v_or_b32_e32 v3, v9, v3
	s_delay_alu instid0(VALU_DEP_1) | instskip(NEXT) | instid1(VALU_DEP_1)
	v_cvt_f32_i32_e32 v3, v3
	v_ldexp_f32 v1, v3, v1
	s_delay_alu instid0(VALU_DEP_1)
	v_cvt_f16_f32_e32 v1, v1
	s_branch .LBB183_928
.LBB183_925:
	s_mov_b32 s2, -1
                                        ; implicit-def: $vgpr1
	s_branch .LBB183_934
.LBB183_926:
	s_mov_b32 s2, -1
                                        ; implicit-def: $vgpr1
	s_branch .LBB183_931
.LBB183_927:
	s_mov_b32 s2, -1
                                        ; implicit-def: $vgpr1
.LBB183_928:
	s_delay_alu instid0(SALU_CYCLE_1)
	s_and_not1_b32 vcc_lo, exec_lo, s2
	s_cbranch_vccnz .LBB183_930
; %bb.929:
	s_wait_loadcnt 0x0
	global_load_b32 v1, v[6:7], off
	s_wait_loadcnt 0x0
	v_cvt_f32_i32_e32 v1, v1
	s_delay_alu instid0(VALU_DEP_1)
	v_cvt_f16_f32_e32 v1, v1
.LBB183_930:
	s_mov_b32 s2, 0
.LBB183_931:
	s_delay_alu instid0(SALU_CYCLE_1)
	s_and_not1_b32 vcc_lo, exec_lo, s2
	s_cbranch_vccnz .LBB183_933
; %bb.932:
	s_wait_loadcnt 0x0
	global_load_u16 v1, v[6:7], off
	s_wait_loadcnt 0x0
	v_cvt_f16_i16_e32 v1, v1
.LBB183_933:
	s_mov_b32 s2, 0
.LBB183_934:
	s_delay_alu instid0(SALU_CYCLE_1)
	s_and_not1_b32 vcc_lo, exec_lo, s2
	s_cbranch_vccnz .LBB183_940
; %bb.935:
	s_cmp_gt_i32 s1, 0
	s_mov_b32 s1, 0
	s_cbranch_scc0 .LBB183_937
; %bb.936:
	s_wait_loadcnt 0x0
	global_load_i8 v1, v[6:7], off
	s_wait_loadcnt 0x0
	v_cvt_f16_i16_e32 v1, v1
	s_branch .LBB183_938
.LBB183_937:
	s_mov_b32 s1, -1
                                        ; implicit-def: $vgpr1
.LBB183_938:
	s_delay_alu instid0(SALU_CYCLE_1)
	s_and_not1_b32 vcc_lo, exec_lo, s1
	s_cbranch_vccnz .LBB183_940
; %bb.939:
	s_wait_loadcnt 0x0
	global_load_u8 v1, v[6:7], off
	s_wait_loadcnt 0x0
	v_cvt_f16_u16_e32 v1, v1
.LBB183_940:
	s_mov_b32 s29, -1
.LBB183_941:
	s_delay_alu instid0(SALU_CYCLE_1)
	s_and_not1_b32 vcc_lo, exec_lo, s29
	s_cbranch_vccnz .LBB183_949
; %bb.942:
	v_mov_b32_e32 v5, 0
	s_and_b32 s1, s13, 0xff
	s_delay_alu instid0(SALU_CYCLE_1) | instskip(NEXT) | instid1(VALU_DEP_1)
	s_cmp_lt_i32 s1, 11
	v_add_nc_u64_e32 v[4:5], s[8:9], v[4:5]
	s_cbranch_scc1 .LBB183_950
; %bb.943:
	s_and_b32 s2, 0xffff, s1
	s_delay_alu instid0(SALU_CYCLE_1)
	s_cmp_gt_i32 s2, 25
	s_cbranch_scc0 .LBB183_951
; %bb.944:
	s_cmp_gt_i32 s2, 28
	s_cbranch_scc0 .LBB183_952
; %bb.945:
	;; [unrolled: 3-line block ×4, first 2 shown]
	s_cmp_eq_u32 s2, 46
	s_mov_b32 s50, 0
	s_cbranch_scc0 .LBB183_957
; %bb.948:
	s_wait_loadcnt 0x0
	global_load_b32 v3, v[4:5], off
	s_mov_b32 s49, -1
	s_mov_b32 s29, 0
	s_wait_loadcnt 0x0
	v_lshlrev_b32_e32 v3, 16, v3
	s_delay_alu instid0(VALU_DEP_1)
	v_cvt_f16_f32_e32 v3, v3
	s_branch .LBB183_959
.LBB183_949:
	s_mov_b32 s51, 0
	s_mov_b32 s2, s45
	;; [unrolled: 1-line block ×3, first 2 shown]
	s_branch .LBB183_1198
.LBB183_950:
	s_mov_b32 s2, -1
	s_mov_b32 s49, 0
	s_mov_b32 s29, s46
                                        ; implicit-def: $vgpr3
	s_branch .LBB183_1024
.LBB183_951:
	s_mov_b32 s50, -1
	s_mov_b32 s49, 0
	s_mov_b32 s29, s46
                                        ; implicit-def: $vgpr3
	s_branch .LBB183_988
.LBB183_952:
	s_mov_b32 s50, -1
	s_mov_b32 s49, 0
	s_mov_b32 s29, s46
                                        ; implicit-def: $vgpr3
	s_branch .LBB183_969
.LBB183_953:
	s_mov_b32 s50, -1
	s_mov_b32 s49, 0
	s_mov_b32 s29, s46
                                        ; implicit-def: $vgpr3
	s_branch .LBB183_964
.LBB183_954:
	s_mov_b32 s50, -1
	s_mov_b32 s49, 0
	s_mov_b32 s29, s46
	s_branch .LBB183_958
.LBB183_955:
	s_and_not1_saveexec_b32 s49, s49
	s_cbranch_execz .LBB183_718
.LBB183_956:
	v_add_f32_e32 v1, 0x42800000, v4
	s_and_not1_b32 s48, s48, exec_lo
	s_delay_alu instid0(VALU_DEP_1) | instskip(NEXT) | instid1(VALU_DEP_1)
	v_and_b32_e32 v1, 0xff, v1
	v_cmp_ne_u32_e32 vcc_lo, 0, v1
	s_and_b32 s50, vcc_lo, exec_lo
	s_delay_alu instid0(SALU_CYCLE_1)
	s_or_b32 s48, s48, s50
	s_or_b32 exec_lo, exec_lo, s49
	v_mov_b32_e32 v5, 0
	s_and_saveexec_b32 s49, s48
	s_cbranch_execnz .LBB183_719
	s_branch .LBB183_720
.LBB183_957:
	s_mov_b32 s29, -1
	s_mov_b32 s49, 0
.LBB183_958:
                                        ; implicit-def: $vgpr3
.LBB183_959:
	s_and_b32 vcc_lo, exec_lo, s50
	s_cbranch_vccz .LBB183_963
; %bb.960:
	s_cmp_eq_u32 s2, 44
	s_cbranch_scc0 .LBB183_962
; %bb.961:
	s_wait_loadcnt 0x0
	global_load_u8 v3, v[4:5], off
	s_mov_b32 s29, 0
	s_mov_b32 s49, -1
	s_wait_loadcnt 0x0
	s_wait_xcnt 0x1
	v_lshlrev_b32_e32 v6, 23, v3
	v_cmp_ne_u32_e32 vcc_lo, 0xff, v3
	s_delay_alu instid0(VALU_DEP_2) | instskip(NEXT) | instid1(VALU_DEP_1)
	v_cvt_f16_f32_e32 v6, v6
	v_cndmask_b32_e32 v6, 0x7e00, v6, vcc_lo
	v_cmp_ne_u32_e32 vcc_lo, 0, v3
	s_delay_alu instid0(VALU_DEP_2)
	v_cndmask_b32_e32 v3, 0, v6, vcc_lo
	s_branch .LBB183_963
.LBB183_962:
	s_mov_b32 s29, -1
                                        ; implicit-def: $vgpr3
.LBB183_963:
	s_mov_b32 s50, 0
.LBB183_964:
	s_delay_alu instid0(SALU_CYCLE_1)
	s_and_b32 vcc_lo, exec_lo, s50
	s_cbranch_vccz .LBB183_968
; %bb.965:
	s_cmp_eq_u32 s2, 29
	s_cbranch_scc0 .LBB183_967
; %bb.966:
	global_load_b64 v[6:7], v[4:5], off
	s_mov_b32 s49, -1
	s_mov_b32 s29, 0
	s_mov_b32 s50, 0
	s_wait_loadcnt 0x0
	v_clz_i32_u32_e32 v3, v7
	s_delay_alu instid0(VALU_DEP_1) | instskip(NEXT) | instid1(VALU_DEP_1)
	v_min_u32_e32 v3, 32, v3
	v_lshlrev_b64_e32 v[6:7], v3, v[6:7]
	v_sub_nc_u32_e32 v3, 32, v3
	s_delay_alu instid0(VALU_DEP_2) | instskip(NEXT) | instid1(VALU_DEP_1)
	v_min_u32_e32 v6, 1, v6
	v_or_b32_e32 v6, v7, v6
	s_delay_alu instid0(VALU_DEP_1) | instskip(NEXT) | instid1(VALU_DEP_1)
	v_cvt_f32_u32_e32 v6, v6
	v_ldexp_f32 v3, v6, v3
	s_delay_alu instid0(VALU_DEP_1)
	v_cvt_f16_f32_e32 v3, v3
	s_branch .LBB183_969
.LBB183_967:
	s_mov_b32 s29, -1
                                        ; implicit-def: $vgpr3
.LBB183_968:
	s_mov_b32 s50, 0
.LBB183_969:
	s_delay_alu instid0(SALU_CYCLE_1)
	s_and_b32 vcc_lo, exec_lo, s50
	s_cbranch_vccz .LBB183_987
; %bb.970:
	s_cmp_lt_i32 s2, 27
	s_cbranch_scc1 .LBB183_973
; %bb.971:
	s_cmp_gt_i32 s2, 27
	s_cbranch_scc0 .LBB183_974
; %bb.972:
	s_wait_loadcnt 0x0
	global_load_b32 v3, v[4:5], off
	s_mov_b32 s49, 0
	s_wait_loadcnt 0x0
	v_cvt_f32_u32_e32 v3, v3
	s_delay_alu instid0(VALU_DEP_1)
	v_cvt_f16_f32_e32 v3, v3
	s_branch .LBB183_975
.LBB183_973:
	s_mov_b32 s49, -1
                                        ; implicit-def: $vgpr3
	s_branch .LBB183_978
.LBB183_974:
	s_mov_b32 s49, -1
                                        ; implicit-def: $vgpr3
.LBB183_975:
	s_delay_alu instid0(SALU_CYCLE_1)
	s_and_not1_b32 vcc_lo, exec_lo, s49
	s_cbranch_vccnz .LBB183_977
; %bb.976:
	s_wait_loadcnt 0x0
	global_load_u16 v3, v[4:5], off
	s_wait_loadcnt 0x0
	v_cvt_f16_u16_e32 v3, v3
.LBB183_977:
	s_mov_b32 s49, 0
.LBB183_978:
	s_delay_alu instid0(SALU_CYCLE_1)
	s_and_not1_b32 vcc_lo, exec_lo, s49
	s_cbranch_vccnz .LBB183_986
; %bb.979:
	global_load_u8 v6, v[4:5], off
	s_mov_b32 s49, 0
	s_mov_b32 s50, exec_lo
	s_wait_loadcnt 0x0
	v_cmpx_lt_i16_e32 0x7f, v6
	s_xor_b32 s50, exec_lo, s50
	s_cbranch_execz .LBB183_1000
; %bb.980:
	s_mov_b32 s49, -1
	s_mov_b32 s51, exec_lo
	v_cmpx_eq_u16_e32 0x80, v6
; %bb.981:
	s_xor_b32 s49, exec_lo, -1
; %bb.982:
	s_or_b32 exec_lo, exec_lo, s51
	s_delay_alu instid0(SALU_CYCLE_1)
	s_and_b32 s49, s49, exec_lo
	s_or_saveexec_b32 s50, s50
	v_mov_b32_e32 v3, 0x7e00
	s_xor_b32 exec_lo, exec_lo, s50
	s_cbranch_execnz .LBB183_1001
.LBB183_983:
	s_or_b32 exec_lo, exec_lo, s50
	s_and_saveexec_b32 s50, s49
	s_cbranch_execz .LBB183_985
.LBB183_984:
	v_and_b32_e32 v3, 0xffff, v6
	s_delay_alu instid0(VALU_DEP_1) | instskip(SKIP_1) | instid1(VALU_DEP_2)
	v_and_b32_e32 v7, 7, v3
	v_bfe_u32 v10, v3, 3, 4
	v_clz_i32_u32_e32 v8, v7
	s_delay_alu instid0(VALU_DEP_2) | instskip(NEXT) | instid1(VALU_DEP_2)
	v_cmp_eq_u32_e32 vcc_lo, 0, v10
	v_min_u32_e32 v8, 32, v8
	s_delay_alu instid0(VALU_DEP_1) | instskip(NEXT) | instid1(VALU_DEP_1)
	v_subrev_nc_u32_e32 v9, 28, v8
	v_dual_lshlrev_b32 v3, v9, v3 :: v_dual_sub_nc_u32 v8, 29, v8
	s_delay_alu instid0(VALU_DEP_1) | instskip(NEXT) | instid1(VALU_DEP_1)
	v_dual_lshlrev_b32 v6, 24, v6 :: v_dual_bitop2_b32 v3, 7, v3 bitop3:0x40
	v_dual_cndmask_b32 v8, v10, v8 :: v_dual_cndmask_b32 v3, v7, v3
	s_delay_alu instid0(VALU_DEP_2) | instskip(NEXT) | instid1(VALU_DEP_2)
	v_and_b32_e32 v6, 0x80000000, v6
	v_lshl_add_u32 v7, v8, 23, 0x3b800000
	s_delay_alu instid0(VALU_DEP_3) | instskip(NEXT) | instid1(VALU_DEP_1)
	v_lshlrev_b32_e32 v3, 20, v3
	v_or3_b32 v3, v6, v7, v3
	s_delay_alu instid0(VALU_DEP_1)
	v_cvt_f16_f32_e32 v3, v3
.LBB183_985:
	s_or_b32 exec_lo, exec_lo, s50
.LBB183_986:
	s_mov_b32 s49, -1
.LBB183_987:
	s_mov_b32 s50, 0
.LBB183_988:
	s_delay_alu instid0(SALU_CYCLE_1)
	s_and_b32 vcc_lo, exec_lo, s50
	s_cbranch_vccz .LBB183_1023
; %bb.989:
	s_cmp_gt_i32 s2, 22
	s_cbranch_scc0 .LBB183_999
; %bb.990:
	s_cmp_lt_i32 s2, 24
	s_cbranch_scc1 .LBB183_1002
; %bb.991:
	s_cmp_gt_i32 s2, 24
	s_cbranch_scc0 .LBB183_1003
; %bb.992:
	global_load_u8 v6, v[4:5], off
	s_mov_b32 s49, 0
	s_mov_b32 s50, exec_lo
	s_wait_loadcnt 0x0
	v_cmpx_lt_i16_e32 0x7f, v6
	s_xor_b32 s50, exec_lo, s50
	s_cbranch_execz .LBB183_1015
; %bb.993:
	s_mov_b32 s49, -1
	s_mov_b32 s51, exec_lo
	v_cmpx_eq_u16_e32 0x80, v6
; %bb.994:
	s_xor_b32 s49, exec_lo, -1
; %bb.995:
	s_or_b32 exec_lo, exec_lo, s51
	s_delay_alu instid0(SALU_CYCLE_1)
	s_and_b32 s49, s49, exec_lo
	s_or_saveexec_b32 s50, s50
	v_mov_b32_e32 v3, 0x7e00
	s_xor_b32 exec_lo, exec_lo, s50
	s_cbranch_execnz .LBB183_1016
.LBB183_996:
	s_or_b32 exec_lo, exec_lo, s50
	s_and_saveexec_b32 s50, s49
	s_cbranch_execz .LBB183_998
.LBB183_997:
	v_and_b32_e32 v3, 0xffff, v6
	s_delay_alu instid0(VALU_DEP_1) | instskip(SKIP_1) | instid1(VALU_DEP_2)
	v_and_b32_e32 v7, 3, v3
	v_bfe_u32 v10, v3, 2, 5
	v_clz_i32_u32_e32 v8, v7
	s_delay_alu instid0(VALU_DEP_2) | instskip(NEXT) | instid1(VALU_DEP_2)
	v_cmp_eq_u32_e32 vcc_lo, 0, v10
	v_min_u32_e32 v8, 32, v8
	s_delay_alu instid0(VALU_DEP_1) | instskip(NEXT) | instid1(VALU_DEP_1)
	v_subrev_nc_u32_e32 v9, 29, v8
	v_dual_lshlrev_b32 v3, v9, v3 :: v_dual_sub_nc_u32 v8, 30, v8
	s_delay_alu instid0(VALU_DEP_1) | instskip(NEXT) | instid1(VALU_DEP_1)
	v_dual_lshlrev_b32 v6, 24, v6 :: v_dual_bitop2_b32 v3, 3, v3 bitop3:0x40
	v_dual_cndmask_b32 v8, v10, v8 :: v_dual_cndmask_b32 v3, v7, v3
	s_delay_alu instid0(VALU_DEP_2) | instskip(NEXT) | instid1(VALU_DEP_2)
	v_and_b32_e32 v6, 0x80000000, v6
	v_lshl_add_u32 v7, v8, 23, 0x37800000
	s_delay_alu instid0(VALU_DEP_3) | instskip(NEXT) | instid1(VALU_DEP_1)
	v_lshlrev_b32_e32 v3, 21, v3
	v_or3_b32 v3, v6, v7, v3
	s_delay_alu instid0(VALU_DEP_1)
	v_cvt_f16_f32_e32 v3, v3
.LBB183_998:
	s_or_b32 exec_lo, exec_lo, s50
	s_mov_b32 s49, 0
	s_branch .LBB183_1004
.LBB183_999:
	s_mov_b32 s50, -1
                                        ; implicit-def: $vgpr3
	s_branch .LBB183_1010
.LBB183_1000:
	s_or_saveexec_b32 s50, s50
	v_mov_b32_e32 v3, 0x7e00
	s_xor_b32 exec_lo, exec_lo, s50
	s_cbranch_execz .LBB183_983
.LBB183_1001:
	v_cmp_ne_u16_e32 vcc_lo, 0, v6
	v_mov_b32_e32 v3, v6
	s_and_not1_b32 s49, s49, exec_lo
	s_and_b32 s51, vcc_lo, exec_lo
	s_delay_alu instid0(SALU_CYCLE_1)
	s_or_b32 s49, s49, s51
	s_or_b32 exec_lo, exec_lo, s50
	s_and_saveexec_b32 s50, s49
	s_cbranch_execnz .LBB183_984
	s_branch .LBB183_985
.LBB183_1002:
	s_mov_b32 s49, -1
                                        ; implicit-def: $vgpr3
	s_branch .LBB183_1007
.LBB183_1003:
	s_mov_b32 s49, -1
                                        ; implicit-def: $vgpr3
.LBB183_1004:
	s_delay_alu instid0(SALU_CYCLE_1)
	s_and_b32 vcc_lo, exec_lo, s49
	s_cbranch_vccz .LBB183_1006
; %bb.1005:
	s_wait_loadcnt 0x0
	global_load_u8 v3, v[4:5], off
	s_wait_loadcnt 0x0
	v_lshlrev_b32_e32 v3, 24, v3
	s_wait_xcnt 0x1
	s_delay_alu instid0(VALU_DEP_1) | instskip(NEXT) | instid1(VALU_DEP_1)
	v_and_b32_e32 v6, 0x7f000000, v3
	v_clz_i32_u32_e32 v7, v6
	v_cmp_ne_u32_e32 vcc_lo, 0, v6
	v_add_nc_u32_e32 v9, 0x1000000, v6
	s_delay_alu instid0(VALU_DEP_3) | instskip(NEXT) | instid1(VALU_DEP_1)
	v_min_u32_e32 v7, 32, v7
	v_sub_nc_u32_e64 v7, v7, 4 clamp
	s_delay_alu instid0(VALU_DEP_1) | instskip(NEXT) | instid1(VALU_DEP_1)
	v_dual_lshlrev_b32 v8, v7, v6 :: v_dual_lshlrev_b32 v7, 23, v7
	v_lshrrev_b32_e32 v8, 4, v8
	s_delay_alu instid0(VALU_DEP_1) | instskip(NEXT) | instid1(VALU_DEP_1)
	v_dual_sub_nc_u32 v7, v8, v7 :: v_dual_ashrrev_i32 v8, 8, v9
	v_add_nc_u32_e32 v7, 0x3c000000, v7
	s_delay_alu instid0(VALU_DEP_1) | instskip(NEXT) | instid1(VALU_DEP_1)
	v_and_or_b32 v7, 0x7f800000, v8, v7
	v_cndmask_b32_e32 v6, 0, v7, vcc_lo
	s_delay_alu instid0(VALU_DEP_1) | instskip(NEXT) | instid1(VALU_DEP_1)
	v_and_or_b32 v3, 0x80000000, v3, v6
	v_cvt_f16_f32_e32 v3, v3
.LBB183_1006:
	s_mov_b32 s49, 0
.LBB183_1007:
	s_delay_alu instid0(SALU_CYCLE_1)
	s_and_not1_b32 vcc_lo, exec_lo, s49
	s_cbranch_vccnz .LBB183_1009
; %bb.1008:
	s_wait_loadcnt 0x0
	global_load_u8 v3, v[4:5], off
	s_wait_loadcnt 0x0
	s_wait_xcnt 0x1
	v_lshlrev_b32_e32 v6, 25, v3
	v_lshlrev_b16 v3, 8, v3
	s_delay_alu instid0(VALU_DEP_1) | instskip(SKIP_1) | instid1(VALU_DEP_2)
	v_and_or_b32 v8, 0x7f00, v3, 0.5
	v_bfe_i32 v3, v3, 0, 16
	v_dual_add_f32 v8, -0.5, v8 :: v_dual_lshrrev_b32 v7, 4, v6
	v_cmp_gt_u32_e32 vcc_lo, 0x8000000, v6
	s_delay_alu instid0(VALU_DEP_2) | instskip(NEXT) | instid1(VALU_DEP_1)
	v_or_b32_e32 v7, 0x70000000, v7
	v_mul_f32_e32 v7, 0x7800000, v7
	s_delay_alu instid0(VALU_DEP_1) | instskip(NEXT) | instid1(VALU_DEP_1)
	v_cndmask_b32_e32 v6, v7, v8, vcc_lo
	v_and_or_b32 v3, 0x80000000, v3, v6
	s_delay_alu instid0(VALU_DEP_1)
	v_cvt_f16_f32_e32 v3, v3
.LBB183_1009:
	s_mov_b32 s50, 0
	s_mov_b32 s49, -1
.LBB183_1010:
	s_and_not1_b32 vcc_lo, exec_lo, s50
	s_cbranch_vccnz .LBB183_1023
; %bb.1011:
	s_cmp_gt_i32 s2, 14
	s_cbranch_scc0 .LBB183_1014
; %bb.1012:
	s_cmp_eq_u32 s2, 15
	s_cbranch_scc0 .LBB183_1017
; %bb.1013:
	s_wait_loadcnt 0x0
	global_load_u16 v3, v[4:5], off
	s_mov_b32 s49, -1
	s_mov_b32 s29, 0
	s_wait_loadcnt 0x0
	v_lshlrev_b32_e32 v3, 16, v3
	s_delay_alu instid0(VALU_DEP_1)
	v_cvt_f16_f32_e32 v3, v3
	s_branch .LBB183_1018
.LBB183_1014:
	s_mov_b32 s50, -1
                                        ; implicit-def: $vgpr3
	s_branch .LBB183_1019
.LBB183_1015:
	s_or_saveexec_b32 s50, s50
	v_mov_b32_e32 v3, 0x7e00
	s_xor_b32 exec_lo, exec_lo, s50
	s_cbranch_execz .LBB183_996
.LBB183_1016:
	v_cmp_ne_u16_e32 vcc_lo, 0, v6
	v_mov_b32_e32 v3, v6
	s_and_not1_b32 s49, s49, exec_lo
	s_and_b32 s51, vcc_lo, exec_lo
	s_delay_alu instid0(SALU_CYCLE_1)
	s_or_b32 s49, s49, s51
	s_or_b32 exec_lo, exec_lo, s50
	s_and_saveexec_b32 s50, s49
	s_cbranch_execnz .LBB183_997
	s_branch .LBB183_998
.LBB183_1017:
	s_mov_b32 s29, -1
                                        ; implicit-def: $vgpr3
.LBB183_1018:
	s_mov_b32 s50, 0
.LBB183_1019:
	s_delay_alu instid0(SALU_CYCLE_1)
	s_and_b32 vcc_lo, exec_lo, s50
	s_cbranch_vccz .LBB183_1023
; %bb.1020:
	s_cmp_eq_u32 s2, 11
	s_cbranch_scc0 .LBB183_1022
; %bb.1021:
	s_wait_loadcnt 0x0
	global_load_u8 v3, v[4:5], off
	s_mov_b32 s29, 0
	s_mov_b32 s49, -1
	s_wait_loadcnt 0x0
	v_cmp_ne_u16_e32 vcc_lo, 0, v3
	v_cndmask_b32_e64 v3, 0, 0x3c00, vcc_lo
	s_branch .LBB183_1023
.LBB183_1022:
	s_mov_b32 s29, -1
                                        ; implicit-def: $vgpr3
.LBB183_1023:
	s_mov_b32 s2, 0
.LBB183_1024:
	s_delay_alu instid0(SALU_CYCLE_1)
	s_and_b32 vcc_lo, exec_lo, s2
	s_cbranch_vccz .LBB183_1073
; %bb.1025:
	s_and_b32 s1, 0xffff, s1
	s_delay_alu instid0(SALU_CYCLE_1)
	s_cmp_lt_i32 s1, 5
	s_cbranch_scc1 .LBB183_1030
; %bb.1026:
	s_cmp_lt_i32 s1, 8
	s_cbranch_scc1 .LBB183_1031
; %bb.1027:
	;; [unrolled: 3-line block ×3, first 2 shown]
	s_cmp_gt_i32 s1, 9
	s_cbranch_scc0 .LBB183_1033
; %bb.1029:
	global_load_b64 v[6:7], v[4:5], off
	s_mov_b32 s2, 0
	s_wait_loadcnt 0x0
	v_and_or_b32 v3, 0x1ff, v7, v6
	v_lshrrev_b32_e32 v6, 8, v7
	v_bfe_u32 v8, v7, 20, 11
	s_delay_alu instid0(VALU_DEP_3) | instskip(NEXT) | instid1(VALU_DEP_2)
	v_cmp_ne_u32_e32 vcc_lo, 0, v3
	v_sub_nc_u32_e32 v9, 0x3f1, v8
	v_add_nc_u32_e32 v8, 0xfffffc10, v8
	v_cndmask_b32_e64 v3, 0, 1, vcc_lo
	s_delay_alu instid0(VALU_DEP_1) | instskip(NEXT) | instid1(VALU_DEP_4)
	v_and_or_b32 v3, 0xffe, v6, v3
	v_med3_i32 v6, v9, 0, 13
	s_delay_alu instid0(VALU_DEP_2) | instskip(NEXT) | instid1(VALU_DEP_1)
	v_or_b32_e32 v9, 0x1000, v3
	v_lshrrev_b32_e32 v10, v6, v9
	s_delay_alu instid0(VALU_DEP_1) | instskip(NEXT) | instid1(VALU_DEP_1)
	v_lshlrev_b32_e32 v6, v6, v10
	v_cmp_ne_u32_e32 vcc_lo, v6, v9
	v_lshl_or_b32 v9, v8, 12, v3
	v_cndmask_b32_e64 v6, 0, 1, vcc_lo
	v_cmp_gt_i32_e32 vcc_lo, 1, v8
	s_delay_alu instid0(VALU_DEP_2) | instskip(NEXT) | instid1(VALU_DEP_1)
	v_or_b32_e32 v6, v10, v6
	v_cndmask_b32_e32 v6, v9, v6, vcc_lo
	s_delay_alu instid0(VALU_DEP_1) | instskip(NEXT) | instid1(VALU_DEP_1)
	v_dual_lshrrev_b32 v6, 2, v6 :: v_dual_bitop2_b32 v9, 7, v6 bitop3:0x40
	v_cmp_lt_i32_e32 vcc_lo, 5, v9
	v_cndmask_b32_e64 v10, 0, 1, vcc_lo
	v_cmp_eq_u32_e32 vcc_lo, 3, v9
	v_cndmask_b32_e64 v9, 0, 1, vcc_lo
	v_cmp_ne_u32_e32 vcc_lo, 0, v3
	s_delay_alu instid0(VALU_DEP_2) | instskip(SKIP_1) | instid1(VALU_DEP_1)
	v_or_b32_e32 v9, v9, v10
	v_mov_b32_e32 v10, 0x7e00
	v_dual_cndmask_b32 v3, 0x7c00, v10 :: v_dual_add_nc_u32 v6, v6, v9
	v_cmp_gt_i32_e32 vcc_lo, 31, v8
	s_delay_alu instid0(VALU_DEP_2) | instskip(SKIP_1) | instid1(VALU_DEP_2)
	v_cndmask_b32_e32 v6, 0x7c00, v6, vcc_lo
	v_cmp_eq_u32_e32 vcc_lo, 0x40f, v8
	v_cndmask_b32_e32 v3, v6, v3, vcc_lo
	v_lshrrev_b32_e32 v6, 16, v7
	s_delay_alu instid0(VALU_DEP_1)
	v_and_or_b32 v3, 0x8000, v6, v3
	s_branch .LBB183_1034
.LBB183_1030:
	s_mov_b32 s2, -1
                                        ; implicit-def: $vgpr3
	s_branch .LBB183_1052
.LBB183_1031:
	s_mov_b32 s2, -1
                                        ; implicit-def: $vgpr3
	s_branch .LBB183_1040
.LBB183_1032:
	s_mov_b32 s2, -1
                                        ; implicit-def: $vgpr3
	s_branch .LBB183_1037
.LBB183_1033:
	s_mov_b32 s2, -1
                                        ; implicit-def: $vgpr3
.LBB183_1034:
	s_delay_alu instid0(SALU_CYCLE_1)
	s_and_not1_b32 vcc_lo, exec_lo, s2
	s_cbranch_vccnz .LBB183_1036
; %bb.1035:
	s_wait_loadcnt 0x0
	global_load_b32 v3, v[4:5], off
	s_wait_loadcnt 0x0
	v_cvt_f16_f32_e32 v3, v3
.LBB183_1036:
	s_mov_b32 s2, 0
.LBB183_1037:
	s_delay_alu instid0(SALU_CYCLE_1)
	s_and_not1_b32 vcc_lo, exec_lo, s2
	s_cbranch_vccnz .LBB183_1039
; %bb.1038:
	s_wait_loadcnt 0x0
	global_load_b32 v3, v[4:5], off
.LBB183_1039:
	s_mov_b32 s2, 0
.LBB183_1040:
	s_delay_alu instid0(SALU_CYCLE_1)
	s_and_not1_b32 vcc_lo, exec_lo, s2
	s_cbranch_vccnz .LBB183_1051
; %bb.1041:
	s_cmp_lt_i32 s1, 6
	s_cbranch_scc1 .LBB183_1044
; %bb.1042:
	s_cmp_gt_i32 s1, 6
	s_cbranch_scc0 .LBB183_1045
; %bb.1043:
	global_load_b64 v[6:7], v[4:5], off
	s_mov_b32 s2, 0
	s_wait_loadcnt 0x0
	v_and_or_b32 v3, 0x1ff, v7, v6
	v_lshrrev_b32_e32 v6, 8, v7
	v_bfe_u32 v8, v7, 20, 11
	s_delay_alu instid0(VALU_DEP_3) | instskip(NEXT) | instid1(VALU_DEP_2)
	v_cmp_ne_u32_e32 vcc_lo, 0, v3
	v_sub_nc_u32_e32 v9, 0x3f1, v8
	v_add_nc_u32_e32 v8, 0xfffffc10, v8
	v_cndmask_b32_e64 v3, 0, 1, vcc_lo
	s_delay_alu instid0(VALU_DEP_1) | instskip(NEXT) | instid1(VALU_DEP_4)
	v_and_or_b32 v3, 0xffe, v6, v3
	v_med3_i32 v6, v9, 0, 13
	s_delay_alu instid0(VALU_DEP_2) | instskip(NEXT) | instid1(VALU_DEP_1)
	v_or_b32_e32 v9, 0x1000, v3
	v_lshrrev_b32_e32 v10, v6, v9
	s_delay_alu instid0(VALU_DEP_1) | instskip(NEXT) | instid1(VALU_DEP_1)
	v_lshlrev_b32_e32 v6, v6, v10
	v_cmp_ne_u32_e32 vcc_lo, v6, v9
	v_lshl_or_b32 v9, v8, 12, v3
	v_cndmask_b32_e64 v6, 0, 1, vcc_lo
	v_cmp_gt_i32_e32 vcc_lo, 1, v8
	s_delay_alu instid0(VALU_DEP_2) | instskip(NEXT) | instid1(VALU_DEP_1)
	v_or_b32_e32 v6, v10, v6
	v_cndmask_b32_e32 v6, v9, v6, vcc_lo
	s_delay_alu instid0(VALU_DEP_1) | instskip(NEXT) | instid1(VALU_DEP_1)
	v_dual_lshrrev_b32 v6, 2, v6 :: v_dual_bitop2_b32 v9, 7, v6 bitop3:0x40
	v_cmp_lt_i32_e32 vcc_lo, 5, v9
	v_cndmask_b32_e64 v10, 0, 1, vcc_lo
	v_cmp_eq_u32_e32 vcc_lo, 3, v9
	v_cndmask_b32_e64 v9, 0, 1, vcc_lo
	v_cmp_ne_u32_e32 vcc_lo, 0, v3
	s_delay_alu instid0(VALU_DEP_2) | instskip(SKIP_1) | instid1(VALU_DEP_1)
	v_or_b32_e32 v9, v9, v10
	v_mov_b32_e32 v10, 0x7e00
	v_dual_cndmask_b32 v3, 0x7c00, v10 :: v_dual_add_nc_u32 v6, v6, v9
	v_cmp_gt_i32_e32 vcc_lo, 31, v8
	s_delay_alu instid0(VALU_DEP_2) | instskip(SKIP_1) | instid1(VALU_DEP_2)
	v_cndmask_b32_e32 v6, 0x7c00, v6, vcc_lo
	v_cmp_eq_u32_e32 vcc_lo, 0x40f, v8
	v_cndmask_b32_e32 v3, v6, v3, vcc_lo
	v_lshrrev_b32_e32 v6, 16, v7
	s_delay_alu instid0(VALU_DEP_1)
	v_and_or_b32 v3, 0x8000, v6, v3
	s_branch .LBB183_1046
.LBB183_1044:
	s_mov_b32 s2, -1
                                        ; implicit-def: $vgpr3
	s_branch .LBB183_1049
.LBB183_1045:
	s_mov_b32 s2, -1
                                        ; implicit-def: $vgpr3
.LBB183_1046:
	s_delay_alu instid0(SALU_CYCLE_1)
	s_and_not1_b32 vcc_lo, exec_lo, s2
	s_cbranch_vccnz .LBB183_1048
; %bb.1047:
	s_wait_loadcnt 0x0
	global_load_b32 v3, v[4:5], off
	s_wait_loadcnt 0x0
	v_cvt_f16_f32_e32 v3, v3
.LBB183_1048:
	s_mov_b32 s2, 0
.LBB183_1049:
	s_delay_alu instid0(SALU_CYCLE_1)
	s_and_not1_b32 vcc_lo, exec_lo, s2
	s_cbranch_vccnz .LBB183_1051
; %bb.1050:
	s_wait_loadcnt 0x0
	global_load_u16 v3, v[4:5], off
.LBB183_1051:
	s_mov_b32 s2, 0
.LBB183_1052:
	s_delay_alu instid0(SALU_CYCLE_1)
	s_and_not1_b32 vcc_lo, exec_lo, s2
	s_cbranch_vccnz .LBB183_1072
; %bb.1053:
	s_cmp_lt_i32 s1, 2
	s_cbranch_scc1 .LBB183_1057
; %bb.1054:
	s_cmp_lt_i32 s1, 3
	s_cbranch_scc1 .LBB183_1058
; %bb.1055:
	s_cmp_gt_i32 s1, 3
	s_cbranch_scc0 .LBB183_1059
; %bb.1056:
	global_load_b64 v[6:7], v[4:5], off
	s_mov_b32 s2, 0
	s_wait_loadcnt 0x0
	v_xor_b32_e32 v3, v6, v7
	v_cls_i32_e32 v8, v7
	s_delay_alu instid0(VALU_DEP_2) | instskip(NEXT) | instid1(VALU_DEP_1)
	v_ashrrev_i32_e32 v3, 31, v3
	v_add_nc_u32_e32 v3, 32, v3
	s_delay_alu instid0(VALU_DEP_1) | instskip(NEXT) | instid1(VALU_DEP_1)
	v_add_min_u32_e64 v3, v8, -1, v3
	v_lshlrev_b64_e32 v[6:7], v3, v[6:7]
	v_sub_nc_u32_e32 v3, 32, v3
	s_delay_alu instid0(VALU_DEP_2) | instskip(NEXT) | instid1(VALU_DEP_1)
	v_min_u32_e32 v6, 1, v6
	v_or_b32_e32 v6, v7, v6
	s_delay_alu instid0(VALU_DEP_1) | instskip(NEXT) | instid1(VALU_DEP_1)
	v_cvt_f32_i32_e32 v6, v6
	v_ldexp_f32 v3, v6, v3
	s_delay_alu instid0(VALU_DEP_1)
	v_cvt_f16_f32_e32 v3, v3
	s_branch .LBB183_1060
.LBB183_1057:
	s_mov_b32 s2, -1
                                        ; implicit-def: $vgpr3
	s_branch .LBB183_1066
.LBB183_1058:
	s_mov_b32 s2, -1
                                        ; implicit-def: $vgpr3
	s_branch .LBB183_1063
.LBB183_1059:
	s_mov_b32 s2, -1
                                        ; implicit-def: $vgpr3
.LBB183_1060:
	s_delay_alu instid0(SALU_CYCLE_1)
	s_and_not1_b32 vcc_lo, exec_lo, s2
	s_cbranch_vccnz .LBB183_1062
; %bb.1061:
	s_wait_loadcnt 0x0
	global_load_b32 v3, v[4:5], off
	s_wait_loadcnt 0x0
	v_cvt_f32_i32_e32 v3, v3
	s_delay_alu instid0(VALU_DEP_1)
	v_cvt_f16_f32_e32 v3, v3
.LBB183_1062:
	s_mov_b32 s2, 0
.LBB183_1063:
	s_delay_alu instid0(SALU_CYCLE_1)
	s_and_not1_b32 vcc_lo, exec_lo, s2
	s_cbranch_vccnz .LBB183_1065
; %bb.1064:
	s_wait_loadcnt 0x0
	global_load_u16 v3, v[4:5], off
	s_wait_loadcnt 0x0
	v_cvt_f16_i16_e32 v3, v3
.LBB183_1065:
	s_mov_b32 s2, 0
.LBB183_1066:
	s_delay_alu instid0(SALU_CYCLE_1)
	s_and_not1_b32 vcc_lo, exec_lo, s2
	s_cbranch_vccnz .LBB183_1072
; %bb.1067:
	s_cmp_gt_i32 s1, 0
	s_mov_b32 s1, 0
	s_cbranch_scc0 .LBB183_1069
; %bb.1068:
	s_wait_loadcnt 0x0
	global_load_i8 v3, v[4:5], off
	s_wait_loadcnt 0x0
	v_cvt_f16_i16_e32 v3, v3
	s_branch .LBB183_1070
.LBB183_1069:
	s_mov_b32 s1, -1
                                        ; implicit-def: $vgpr3
.LBB183_1070:
	s_delay_alu instid0(SALU_CYCLE_1)
	s_and_not1_b32 vcc_lo, exec_lo, s1
	s_cbranch_vccnz .LBB183_1072
; %bb.1071:
	s_wait_loadcnt 0x0
	global_load_u8 v3, v[4:5], off
	s_wait_loadcnt 0x0
	v_cvt_f16_u16_e32 v3, v3
.LBB183_1072:
	s_mov_b32 s49, -1
.LBB183_1073:
	s_delay_alu instid0(SALU_CYCLE_1)
	s_and_not1_b32 vcc_lo, exec_lo, s49
	s_cbranch_vccnz .LBB183_1081
; %bb.1074:
	s_wait_loadcnt 0x0
	v_cmp_eq_f16_e32 vcc_lo, v1, v3
	s_and_b32 s49, s11, 0xff
	s_delay_alu instid0(SALU_CYCLE_1)
	s_cmp_lt_i32 s49, 11
	s_wait_xcnt 0x0
	v_cndmask_b32_e64 v4, 0, 1, vcc_lo
	v_cmp_neq_f16_e32 vcc_lo, v1, v3
	v_mov_b32_e32 v3, 0
	v_cndmask_b32_e64 v1, 0, 1, vcc_lo
	s_delay_alu instid0(VALU_DEP_2) | instskip(NEXT) | instid1(VALU_DEP_2)
	v_add_nc_u64_e32 v[2:3], s[4:5], v[2:3]
	v_cndmask_b32_e64 v1, v1, v4, s0
	s_delay_alu instid0(VALU_DEP_1) | instskip(NEXT) | instid1(VALU_DEP_1)
	v_and_b32_e32 v1, 1, v1
	v_cmp_eq_u32_e64 s1, 1, v1
	s_cbranch_scc1 .LBB183_1082
; %bb.1075:
	s_and_b32 s50, 0xffff, s49
	s_delay_alu instid0(SALU_CYCLE_1)
	s_cmp_gt_i32 s50, 25
	s_cbranch_scc0 .LBB183_1083
; %bb.1076:
	s_cmp_gt_i32 s50, 28
	s_cbranch_scc0 .LBB183_1084
; %bb.1077:
	;; [unrolled: 3-line block ×4, first 2 shown]
	s_mov_b32 s52, 0
	s_mov_b32 s2, -1
	s_cmp_eq_u32 s50, 46
	s_mov_b32 s51, 0
	s_cbranch_scc0 .LBB183_1087
; %bb.1080:
	v_cndmask_b32_e64 v1, 0, 1.0, s1
	s_mov_b32 s51, -1
	s_mov_b32 s2, 0
	s_delay_alu instid0(VALU_DEP_1) | instskip(NEXT) | instid1(VALU_DEP_1)
	v_bfe_u32 v4, v1, 16, 1
	v_add3_u32 v1, v1, v4, 0x7fff
	s_delay_alu instid0(VALU_DEP_1)
	v_lshrrev_b32_e32 v1, 16, v1
	global_store_b32 v[2:3], v1, off
	s_branch .LBB183_1087
.LBB183_1081:
	s_mov_b32 s51, 0
	s_mov_b32 s2, s45
	s_branch .LBB183_1198
.LBB183_1082:
	s_mov_b32 s50, -1
	s_mov_b32 s51, 0
	s_mov_b32 s2, s45
	s_branch .LBB183_1156
.LBB183_1083:
	s_mov_b32 s52, -1
	s_mov_b32 s51, 0
	s_mov_b32 s2, s45
	s_branch .LBB183_1114
.LBB183_1084:
	s_mov_b32 s52, -1
	s_mov_b32 s51, 0
	s_mov_b32 s2, s45
	s_branch .LBB183_1097
.LBB183_1085:
	s_mov_b32 s52, -1
	s_mov_b32 s51, 0
	s_mov_b32 s2, s45
	s_branch .LBB183_1093
.LBB183_1086:
	s_mov_b32 s52, -1
	s_mov_b32 s51, 0
	s_mov_b32 s2, s45
.LBB183_1087:
	s_and_b32 vcc_lo, exec_lo, s52
	s_cbranch_vccz .LBB183_1092
; %bb.1088:
	s_cmp_eq_u32 s50, 44
	s_mov_b32 s2, -1
	s_cbranch_scc0 .LBB183_1092
; %bb.1089:
	v_cndmask_b32_e64 v5, 0, 1.0, s1
	s_mov_b32 s51, exec_lo
	s_wait_xcnt 0x0
	s_delay_alu instid0(VALU_DEP_1) | instskip(NEXT) | instid1(VALU_DEP_1)
	v_dual_mov_b32 v4, 0xff :: v_dual_lshrrev_b32 v1, 23, v5
	v_cmpx_ne_u32_e32 0xff, v1
; %bb.1090:
	v_and_b32_e32 v4, 0x400000, v5
	v_and_or_b32 v5, 0x3fffff, v5, v1
	s_delay_alu instid0(VALU_DEP_2) | instskip(NEXT) | instid1(VALU_DEP_2)
	v_cmp_ne_u32_e32 vcc_lo, 0, v4
	v_cmp_ne_u32_e64 s2, 0, v5
	s_and_b32 s2, vcc_lo, s2
	s_delay_alu instid0(SALU_CYCLE_1) | instskip(NEXT) | instid1(VALU_DEP_1)
	v_cndmask_b32_e64 v4, 0, 1, s2
	v_add_nc_u32_e32 v4, v1, v4
; %bb.1091:
	s_or_b32 exec_lo, exec_lo, s51
	s_mov_b32 s51, -1
	s_mov_b32 s2, 0
	global_store_b8 v[2:3], v4, off
.LBB183_1092:
	s_mov_b32 s52, 0
.LBB183_1093:
	s_delay_alu instid0(SALU_CYCLE_1)
	s_and_b32 vcc_lo, exec_lo, s52
	s_cbranch_vccz .LBB183_1096
; %bb.1094:
	s_cmp_eq_u32 s50, 29
	s_mov_b32 s2, -1
	s_cbranch_scc0 .LBB183_1096
; %bb.1095:
	s_mov_b32 s2, 0
	s_wait_xcnt 0x0
	v_cndmask_b32_e64 v4, 0, 1, s1
	v_mov_b32_e32 v5, s2
	s_mov_b32 s51, -1
	s_mov_b32 s52, 0
	global_store_b64 v[2:3], v[4:5], off
	s_branch .LBB183_1097
.LBB183_1096:
	s_mov_b32 s52, 0
.LBB183_1097:
	s_delay_alu instid0(SALU_CYCLE_1)
	s_and_b32 vcc_lo, exec_lo, s52
	s_cbranch_vccz .LBB183_1113
; %bb.1098:
	s_cmp_lt_i32 s50, 27
	s_mov_b32 s51, -1
	s_cbranch_scc1 .LBB183_1104
; %bb.1099:
	s_cmp_gt_i32 s50, 27
	s_cbranch_scc0 .LBB183_1101
; %bb.1100:
	s_wait_xcnt 0x0
	v_cndmask_b32_e64 v1, 0, 1, s1
	s_mov_b32 s51, 0
	global_store_b32 v[2:3], v1, off
.LBB183_1101:
	s_and_not1_b32 vcc_lo, exec_lo, s51
	s_cbranch_vccnz .LBB183_1103
; %bb.1102:
	s_wait_xcnt 0x0
	v_cndmask_b32_e64 v1, 0, 1, s1
	global_store_b16 v[2:3], v1, off
.LBB183_1103:
	s_mov_b32 s51, 0
.LBB183_1104:
	s_delay_alu instid0(SALU_CYCLE_1)
	s_and_not1_b32 vcc_lo, exec_lo, s51
	s_cbranch_vccnz .LBB183_1112
; %bb.1105:
	s_wait_xcnt 0x0
	v_cndmask_b32_e64 v4, 0, 1.0, s1
	v_mov_b32_e32 v5, 0x80
	s_mov_b32 s51, exec_lo
	s_delay_alu instid0(VALU_DEP_2)
	v_cmpx_gt_u32_e32 0x43800000, v4
	s_cbranch_execz .LBB183_1111
; %bb.1106:
	s_mov_b32 s52, 0
	s_mov_b32 s53, exec_lo
                                        ; implicit-def: $vgpr1
	v_cmpx_lt_u32_e32 0x3bffffff, v4
	s_xor_b32 s53, exec_lo, s53
	s_cbranch_execz .LBB183_1226
; %bb.1107:
	v_bfe_u32 v1, v4, 20, 1
	s_mov_b32 s52, exec_lo
	s_delay_alu instid0(VALU_DEP_1) | instskip(NEXT) | instid1(VALU_DEP_1)
	v_add3_u32 v1, v4, v1, 0x487ffff
                                        ; implicit-def: $vgpr4
	v_lshrrev_b32_e32 v1, 20, v1
	s_and_not1_saveexec_b32 s53, s53
	s_cbranch_execnz .LBB183_1227
.LBB183_1108:
	s_or_b32 exec_lo, exec_lo, s53
	v_mov_b32_e32 v5, 0
	s_and_saveexec_b32 s53, s52
.LBB183_1109:
	v_mov_b32_e32 v5, v1
.LBB183_1110:
	s_or_b32 exec_lo, exec_lo, s53
.LBB183_1111:
	s_delay_alu instid0(SALU_CYCLE_1)
	s_or_b32 exec_lo, exec_lo, s51
	global_store_b8 v[2:3], v5, off
.LBB183_1112:
	s_mov_b32 s51, -1
.LBB183_1113:
	s_mov_b32 s52, 0
.LBB183_1114:
	s_delay_alu instid0(SALU_CYCLE_1)
	s_and_b32 vcc_lo, exec_lo, s52
	s_cbranch_vccz .LBB183_1155
; %bb.1115:
	s_cmp_gt_i32 s50, 22
	s_mov_b32 s52, -1
	s_cbranch_scc0 .LBB183_1147
; %bb.1116:
	s_cmp_lt_i32 s50, 24
	s_mov_b32 s51, -1
	s_cbranch_scc1 .LBB183_1136
; %bb.1117:
	s_cmp_gt_i32 s50, 24
	s_cbranch_scc0 .LBB183_1125
; %bb.1118:
	s_wait_xcnt 0x0
	v_cndmask_b32_e64 v4, 0, 1.0, s1
	v_mov_b32_e32 v5, 0x80
	s_mov_b32 s51, exec_lo
	s_delay_alu instid0(VALU_DEP_2)
	v_cmpx_gt_u32_e32 0x47800000, v4
	s_cbranch_execz .LBB183_1124
; %bb.1119:
	s_mov_b32 s52, 0
	s_mov_b32 s53, exec_lo
                                        ; implicit-def: $vgpr1
	v_cmpx_lt_u32_e32 0x37ffffff, v4
	s_xor_b32 s53, exec_lo, s53
	s_cbranch_execz .LBB183_2298
; %bb.1120:
	v_bfe_u32 v1, v4, 21, 1
	s_mov_b32 s52, exec_lo
	s_delay_alu instid0(VALU_DEP_1) | instskip(NEXT) | instid1(VALU_DEP_1)
	v_add3_u32 v1, v4, v1, 0x88fffff
                                        ; implicit-def: $vgpr4
	v_lshrrev_b32_e32 v1, 21, v1
	s_and_not1_saveexec_b32 s53, s53
	s_cbranch_execnz .LBB183_2299
.LBB183_1121:
	s_or_b32 exec_lo, exec_lo, s53
	v_mov_b32_e32 v5, 0
	s_and_saveexec_b32 s53, s52
.LBB183_1122:
	v_mov_b32_e32 v5, v1
.LBB183_1123:
	s_or_b32 exec_lo, exec_lo, s53
.LBB183_1124:
	s_delay_alu instid0(SALU_CYCLE_1)
	s_or_b32 exec_lo, exec_lo, s51
	s_mov_b32 s51, 0
	global_store_b8 v[2:3], v5, off
.LBB183_1125:
	s_and_b32 vcc_lo, exec_lo, s51
	s_cbranch_vccz .LBB183_1135
; %bb.1126:
	s_wait_xcnt 0x0
	v_cndmask_b32_e64 v4, 0, 1.0, s1
	s_mov_b32 s51, exec_lo
                                        ; implicit-def: $vgpr1
	s_delay_alu instid0(VALU_DEP_1)
	v_cmpx_gt_u32_e32 0x43f00000, v4
	s_xor_b32 s51, exec_lo, s51
	s_cbranch_execz .LBB183_1132
; %bb.1127:
	s_mov_b32 s52, exec_lo
                                        ; implicit-def: $vgpr1
	v_cmpx_lt_u32_e32 0x3c7fffff, v4
	s_xor_b32 s52, exec_lo, s52
; %bb.1128:
	v_bfe_u32 v1, v4, 20, 1
	s_delay_alu instid0(VALU_DEP_1) | instskip(NEXT) | instid1(VALU_DEP_1)
	v_add3_u32 v1, v4, v1, 0x407ffff
	v_and_b32_e32 v4, 0xff00000, v1
	v_lshrrev_b32_e32 v1, 20, v1
	s_delay_alu instid0(VALU_DEP_2) | instskip(NEXT) | instid1(VALU_DEP_2)
	v_cmp_ne_u32_e32 vcc_lo, 0x7f00000, v4
                                        ; implicit-def: $vgpr4
	v_cndmask_b32_e32 v1, 0x7e, v1, vcc_lo
; %bb.1129:
	s_and_not1_saveexec_b32 s52, s52
; %bb.1130:
	v_add_f32_e32 v1, 0x46800000, v4
; %bb.1131:
	s_or_b32 exec_lo, exec_lo, s52
                                        ; implicit-def: $vgpr4
.LBB183_1132:
	s_and_not1_saveexec_b32 s51, s51
; %bb.1133:
	v_mov_b32_e32 v1, 0x7f
	v_cmp_lt_u32_e32 vcc_lo, 0x7f800000, v4
	s_delay_alu instid0(VALU_DEP_2)
	v_cndmask_b32_e32 v1, 0x7e, v1, vcc_lo
; %bb.1134:
	s_or_b32 exec_lo, exec_lo, s51
	global_store_b8 v[2:3], v1, off
.LBB183_1135:
	s_mov_b32 s51, 0
.LBB183_1136:
	s_delay_alu instid0(SALU_CYCLE_1)
	s_and_not1_b32 vcc_lo, exec_lo, s51
	s_cbranch_vccnz .LBB183_1146
; %bb.1137:
	s_wait_xcnt 0x0
	v_cndmask_b32_e64 v4, 0, 1.0, s1
	s_mov_b32 s51, exec_lo
                                        ; implicit-def: $vgpr1
	s_delay_alu instid0(VALU_DEP_1)
	v_cmpx_gt_u32_e32 0x47800000, v4
	s_xor_b32 s51, exec_lo, s51
	s_cbranch_execz .LBB183_1143
; %bb.1138:
	s_mov_b32 s52, exec_lo
                                        ; implicit-def: $vgpr1
	v_cmpx_lt_u32_e32 0x387fffff, v4
	s_xor_b32 s52, exec_lo, s52
; %bb.1139:
	v_bfe_u32 v1, v4, 21, 1
	s_delay_alu instid0(VALU_DEP_1) | instskip(NEXT) | instid1(VALU_DEP_1)
	v_add3_u32 v1, v4, v1, 0x80fffff
                                        ; implicit-def: $vgpr4
	v_lshrrev_b32_e32 v1, 21, v1
; %bb.1140:
	s_and_not1_saveexec_b32 s52, s52
; %bb.1141:
	v_add_f32_e32 v1, 0x43000000, v4
; %bb.1142:
	s_or_b32 exec_lo, exec_lo, s52
                                        ; implicit-def: $vgpr4
.LBB183_1143:
	s_and_not1_saveexec_b32 s51, s51
; %bb.1144:
	v_mov_b32_e32 v1, 0x7f
	v_cmp_lt_u32_e32 vcc_lo, 0x7f800000, v4
	s_delay_alu instid0(VALU_DEP_2)
	v_cndmask_b32_e32 v1, 0x7c, v1, vcc_lo
; %bb.1145:
	s_or_b32 exec_lo, exec_lo, s51
	global_store_b8 v[2:3], v1, off
.LBB183_1146:
	s_mov_b32 s52, 0
	s_mov_b32 s51, -1
.LBB183_1147:
	s_and_not1_b32 vcc_lo, exec_lo, s52
	s_cbranch_vccnz .LBB183_1155
; %bb.1148:
	s_cmp_gt_i32 s50, 14
	s_mov_b32 s52, -1
	s_cbranch_scc0 .LBB183_1152
; %bb.1149:
	s_cmp_eq_u32 s50, 15
	s_mov_b32 s2, -1
	s_cbranch_scc0 .LBB183_1151
; %bb.1150:
	s_wait_xcnt 0x0
	v_cndmask_b32_e64 v1, 0, 1.0, s1
	s_mov_b32 s51, -1
	s_mov_b32 s2, 0
	s_delay_alu instid0(VALU_DEP_1) | instskip(NEXT) | instid1(VALU_DEP_1)
	v_bfe_u32 v4, v1, 16, 1
	v_add3_u32 v1, v1, v4, 0x7fff
	global_store_d16_hi_b16 v[2:3], v1, off
.LBB183_1151:
	s_mov_b32 s52, 0
.LBB183_1152:
	s_delay_alu instid0(SALU_CYCLE_1)
	s_and_b32 vcc_lo, exec_lo, s52
	s_cbranch_vccz .LBB183_1155
; %bb.1153:
	s_cmp_eq_u32 s50, 11
	s_mov_b32 s2, -1
	s_cbranch_scc0 .LBB183_1155
; %bb.1154:
	s_wait_xcnt 0x0
	v_cndmask_b32_e64 v1, 0, 1, s1
	s_mov_b32 s51, -1
	s_mov_b32 s2, 0
	global_store_b8 v[2:3], v1, off
.LBB183_1155:
	s_mov_b32 s50, 0
.LBB183_1156:
	s_delay_alu instid0(SALU_CYCLE_1)
	s_and_b32 vcc_lo, exec_lo, s50
	s_cbranch_vccz .LBB183_1195
; %bb.1157:
	s_and_b32 s49, 0xffff, s49
	s_mov_b32 s50, -1
	s_cmp_lt_i32 s49, 5
	s_cbranch_scc1 .LBB183_1178
; %bb.1158:
	s_cmp_lt_i32 s49, 8
	s_cbranch_scc1 .LBB183_1168
; %bb.1159:
	;; [unrolled: 3-line block ×3, first 2 shown]
	s_cmp_gt_i32 s49, 9
	s_cbranch_scc0 .LBB183_1162
; %bb.1161:
	s_wait_xcnt 0x0
	v_cndmask_b32_e64 v1, 0, 1, s1
	v_mov_b32_e32 v6, 0
	s_mov_b32 s50, 0
	s_delay_alu instid0(VALU_DEP_2) | instskip(NEXT) | instid1(VALU_DEP_2)
	v_cvt_f64_u32_e32 v[4:5], v1
	v_mov_b32_e32 v7, v6
	global_store_b128 v[2:3], v[4:7], off
.LBB183_1162:
	s_and_not1_b32 vcc_lo, exec_lo, s50
	s_cbranch_vccnz .LBB183_1164
; %bb.1163:
	s_wait_xcnt 0x0
	v_cndmask_b32_e64 v4, 0, 1.0, s1
	v_mov_b32_e32 v5, 0
	global_store_b64 v[2:3], v[4:5], off
.LBB183_1164:
	s_mov_b32 s50, 0
.LBB183_1165:
	s_delay_alu instid0(SALU_CYCLE_1)
	s_and_not1_b32 vcc_lo, exec_lo, s50
	s_cbranch_vccnz .LBB183_1167
; %bb.1166:
	s_wait_xcnt 0x0
	v_cndmask_b32_e64 v1, 0, 1.0, s1
	s_delay_alu instid0(VALU_DEP_1) | instskip(NEXT) | instid1(VALU_DEP_1)
	v_cvt_f16_f32_e32 v1, v1
	v_and_b32_e32 v1, 0xffff, v1
	global_store_b32 v[2:3], v1, off
.LBB183_1167:
	s_mov_b32 s50, 0
.LBB183_1168:
	s_delay_alu instid0(SALU_CYCLE_1)
	s_and_not1_b32 vcc_lo, exec_lo, s50
	s_cbranch_vccnz .LBB183_1177
; %bb.1169:
	s_cmp_lt_i32 s49, 6
	s_mov_b32 s50, -1
	s_cbranch_scc1 .LBB183_1175
; %bb.1170:
	s_cmp_gt_i32 s49, 6
	s_cbranch_scc0 .LBB183_1172
; %bb.1171:
	s_wait_xcnt 0x0
	v_cndmask_b32_e64 v1, 0, 1, s1
	s_mov_b32 s50, 0
	s_delay_alu instid0(VALU_DEP_1)
	v_cvt_f64_u32_e32 v[4:5], v1
	global_store_b64 v[2:3], v[4:5], off
.LBB183_1172:
	s_and_not1_b32 vcc_lo, exec_lo, s50
	s_cbranch_vccnz .LBB183_1174
; %bb.1173:
	s_wait_xcnt 0x0
	v_cndmask_b32_e64 v1, 0, 1.0, s1
	global_store_b32 v[2:3], v1, off
.LBB183_1174:
	s_mov_b32 s50, 0
.LBB183_1175:
	s_delay_alu instid0(SALU_CYCLE_1)
	s_and_not1_b32 vcc_lo, exec_lo, s50
	s_cbranch_vccnz .LBB183_1177
; %bb.1176:
	s_wait_xcnt 0x0
	v_cndmask_b32_e64 v1, 0, 1.0, s1
	s_delay_alu instid0(VALU_DEP_1)
	v_cvt_f16_f32_e32 v1, v1
	global_store_b16 v[2:3], v1, off
.LBB183_1177:
	s_mov_b32 s50, 0
.LBB183_1178:
	s_delay_alu instid0(SALU_CYCLE_1)
	s_and_not1_b32 vcc_lo, exec_lo, s50
	s_cbranch_vccnz .LBB183_1194
; %bb.1179:
	s_cmp_lt_i32 s49, 2
	s_mov_b32 s50, -1
	s_cbranch_scc1 .LBB183_1189
; %bb.1180:
	s_cmp_lt_i32 s49, 3
	s_cbranch_scc1 .LBB183_1186
; %bb.1181:
	s_cmp_gt_i32 s49, 3
	s_cbranch_scc0 .LBB183_1183
; %bb.1182:
	s_mov_b32 s50, 0
	s_wait_xcnt 0x0
	v_cndmask_b32_e64 v4, 0, 1, s1
	v_mov_b32_e32 v5, s50
	global_store_b64 v[2:3], v[4:5], off
.LBB183_1183:
	s_and_not1_b32 vcc_lo, exec_lo, s50
	s_cbranch_vccnz .LBB183_1185
; %bb.1184:
	s_wait_xcnt 0x0
	v_cndmask_b32_e64 v1, 0, 1, s1
	global_store_b32 v[2:3], v1, off
.LBB183_1185:
	s_mov_b32 s50, 0
.LBB183_1186:
	s_delay_alu instid0(SALU_CYCLE_1)
	s_and_not1_b32 vcc_lo, exec_lo, s50
	s_cbranch_vccnz .LBB183_1188
; %bb.1187:
	s_wait_xcnt 0x0
	v_cndmask_b32_e64 v1, 0, 1, s1
	global_store_b16 v[2:3], v1, off
.LBB183_1188:
	s_mov_b32 s50, 0
.LBB183_1189:
	s_delay_alu instid0(SALU_CYCLE_1)
	s_and_not1_b32 vcc_lo, exec_lo, s50
	s_cbranch_vccnz .LBB183_1194
; %bb.1190:
	s_wait_xcnt 0x0
	v_cndmask_b32_e64 v1, 0, 1, s1
	s_cmp_gt_i32 s49, 0
	s_mov_b32 s1, -1
	s_cbranch_scc0 .LBB183_1192
; %bb.1191:
	s_mov_b32 s1, 0
	global_store_b8 v[2:3], v1, off
.LBB183_1192:
	s_and_not1_b32 vcc_lo, exec_lo, s1
	s_cbranch_vccnz .LBB183_1194
; %bb.1193:
	global_store_b8 v[2:3], v1, off
.LBB183_1194:
	s_mov_b32 s51, -1
.LBB183_1195:
	s_delay_alu instid0(SALU_CYCLE_1)
	s_and_not1_b32 vcc_lo, exec_lo, s51
	s_cbranch_vccnz .LBB183_1197
; %bb.1196:
	v_add_nc_u32_e32 v0, 0x80, v0
	s_mov_b32 s51, -1
	s_branch .LBB183_1199
.LBB183_1197:
	s_mov_b32 s51, 0
.LBB183_1198:
                                        ; implicit-def: $vgpr0
.LBB183_1199:
	s_and_not1_b32 s1, s45, exec_lo
	s_and_b32 s2, s2, exec_lo
	s_and_b32 s28, s28, exec_lo
	s_or_b32 s49, s1, s2
	s_and_not1_b32 s1, s46, exec_lo
	s_and_b32 s2, s29, exec_lo
	s_and_not1_b32 s29, s44, exec_lo
	s_or_b32 s50, s1, s2
	s_or_b32 s1, s29, s28
	s_or_not1_b32 s52, s51, exec_lo
.LBB183_1200:
	s_wait_xcnt 0x0
	s_or_b32 exec_lo, exec_lo, s48
	s_mov_b32 s51, 0
	s_mov_b32 s29, 0
	;; [unrolled: 1-line block ×3, first 2 shown]
                                        ; implicit-def: $sgpr2
                                        ; implicit-def: $vgpr6_vgpr7
                                        ; implicit-def: $vgpr4
                                        ; implicit-def: $vgpr2
                                        ; implicit-def: $vgpr3
	s_and_saveexec_b32 s48, s52
	s_cbranch_execz .LBB183_1295
; %bb.1201:
	v_cmp_gt_i32_e32 vcc_lo, s39, v0
	s_mov_b32 s52, s1
                                        ; implicit-def: $sgpr2
                                        ; implicit-def: $vgpr6_vgpr7
                                        ; implicit-def: $vgpr4
                                        ; implicit-def: $vgpr2
                                        ; implicit-def: $vgpr3
	s_and_saveexec_b32 s39, vcc_lo
	s_cbranch_execz .LBB183_1294
; %bb.1202:
	s_and_not1_b32 vcc_lo, exec_lo, s34
	s_cbranch_vccnz .LBB183_1208
; %bb.1203:
	s_and_not1_b32 vcc_lo, exec_lo, s40
	s_cbranch_vccnz .LBB183_1209
; %bb.1204:
	s_wait_loadcnt 0x0
	v_dual_mov_b32 v2, 0 :: v_dual_mov_b32 v1, v0
	v_dual_mov_b32 v6, 0 :: v_dual_mov_b32 v4, 0
	s_add_co_i32 s2, s38, 1
	s_mov_b64 s[28:29], 0xffffffffffffffe8
	s_and_b32 s2, s2, 30
	s_add_nc_u64 s[28:29], s[20:21], s[28:29]
.LBB183_1205:                           ; =>This Inner Loop Header: Depth=1
	s_clause 0x1
	s_load_b128 s[52:55], s[28:29], 0x1c
	s_load_b64 s[60:61], s[28:29], 0x2c
	s_add_co_i32 s2, s2, -2
	s_delay_alu instid0(SALU_CYCLE_1) | instskip(SKIP_2) | instid1(VALU_DEP_1)
	s_cmp_eq_u32 s2, 0
	s_wait_kmcnt 0x0
	v_mul_hi_u32 v3, s53, v1
	v_add_nc_u32_e32 v3, v1, v3
	s_delay_alu instid0(VALU_DEP_1) | instskip(NEXT) | instid1(VALU_DEP_1)
	v_lshrrev_b32_e32 v3, s54, v3
	v_mul_hi_u32 v5, s60, v3
	v_mul_lo_u32 v7, v3, s52
	s_clause 0x1
	s_load_b128 s[56:59], s[28:29], 0xdc
	s_load_b64 s[52:53], s[28:29], 0xec
	s_wait_xcnt 0x0
	s_add_nc_u64 s[28:29], s[28:29], 24
	s_delay_alu instid0(VALU_DEP_1) | instskip(NEXT) | instid1(VALU_DEP_1)
	v_dual_add_nc_u32 v5, v3, v5 :: v_dual_sub_nc_u32 v7, v1, v7
	v_lshrrev_b32_e32 v1, s61, v5
	s_wait_kmcnt 0x0
	s_delay_alu instid0(VALU_DEP_2) | instskip(NEXT) | instid1(VALU_DEP_2)
	v_mad_u32 v2, v7, s56, v2
	v_mul_lo_u32 v5, v1, s55
	v_mad_u32 v4, v7, s58, v4
	v_mad_u32 v6, v7, s57, v6
	s_delay_alu instid0(VALU_DEP_3) | instskip(NEXT) | instid1(VALU_DEP_1)
	v_sub_nc_u32_e32 v3, v3, v5
	v_mad_u32 v2, v3, s59, v2
	s_delay_alu instid0(VALU_DEP_4) | instskip(NEXT) | instid1(VALU_DEP_4)
	v_mad_u32 v4, v3, s53, v4
	v_mad_u32 v6, v3, s52, v6
	s_cbranch_scc0 .LBB183_1205
; %bb.1206:
	s_bitcmp1_b32 s38, 0
	s_cselect_b32 s2, -1, 0
	s_delay_alu instid0(SALU_CYCLE_1)
	s_and_b32 vcc_lo, exec_lo, s2
	s_cbranch_vccnz .LBB183_1210
; %bb.1207:
	s_clause 0x1
	s_load_b96 s[52:54], s[28:29], 0x1c
	s_load_b96 s[56:58], s[28:29], 0xdc
	s_wait_kmcnt 0x0
	v_mul_hi_u32 v3, s53, v1
	s_delay_alu instid0(VALU_DEP_1) | instskip(NEXT) | instid1(VALU_DEP_1)
	v_add_nc_u32_e32 v3, v1, v3
	v_lshrrev_b32_e32 v3, s54, v3
	s_delay_alu instid0(VALU_DEP_1) | instskip(NEXT) | instid1(VALU_DEP_1)
	v_mul_lo_u32 v3, v3, s52
	v_sub_nc_u32_e32 v1, v1, v3
	s_delay_alu instid0(VALU_DEP_1)
	v_mad_u32 v2, v1, s56, v2
	v_mad_u32 v6, v1, s57, v6
	;; [unrolled: 1-line block ×3, first 2 shown]
	s_branch .LBB183_1210
.LBB183_1208:
	s_mov_b32 s2, -1
                                        ; implicit-def: $vgpr4
                                        ; implicit-def: $vgpr6
                                        ; implicit-def: $vgpr2
	s_branch .LBB183_1211
.LBB183_1209:
	v_dual_mov_b32 v4, 0 :: v_dual_mov_b32 v6, 0
	v_mov_b32_e32 v2, 0
.LBB183_1210:
	s_mov_b32 s2, 0
.LBB183_1211:
	s_delay_alu instid0(SALU_CYCLE_1)
	s_and_not1_b32 vcc_lo, exec_lo, s2
	s_cbranch_vccnz .LBB183_1214
; %bb.1212:
	s_wait_loadcnt 0x0
	v_mov_b32_e32 v1, 0
	s_and_not1_b32 vcc_lo, exec_lo, s37
	s_delay_alu instid0(VALU_DEP_1) | instskip(NEXT) | instid1(VALU_DEP_1)
	v_mul_u64_e32 v[2:3], s[22:23], v[0:1]
	v_add_nc_u32_e32 v2, v0, v3
	s_delay_alu instid0(VALU_DEP_1) | instskip(NEXT) | instid1(VALU_DEP_1)
	v_lshrrev_b32_e32 v8, s14, v2
	v_mul_lo_u32 v2, v8, s12
	s_delay_alu instid0(VALU_DEP_1) | instskip(NEXT) | instid1(VALU_DEP_1)
	v_sub_nc_u32_e32 v0, v0, v2
	v_mul_lo_u32 v2, v0, s16
	v_mul_lo_u32 v4, v0, s18
	;; [unrolled: 1-line block ×3, first 2 shown]
	s_cbranch_vccnz .LBB183_1214
; %bb.1213:
	v_mov_b32_e32 v9, v1
	s_delay_alu instid0(VALU_DEP_1) | instskip(NEXT) | instid1(VALU_DEP_1)
	v_mul_u64_e32 v[0:1], s[26:27], v[8:9]
	v_add_nc_u32_e32 v0, v8, v1
	s_delay_alu instid0(VALU_DEP_1) | instskip(NEXT) | instid1(VALU_DEP_1)
	v_lshrrev_b32_e32 v0, s3, v0
	v_mul_lo_u32 v0, v0, s15
	s_delay_alu instid0(VALU_DEP_1) | instskip(NEXT) | instid1(VALU_DEP_1)
	v_sub_nc_u32_e32 v0, v8, v0
	v_mad_u32 v2, v0, s19, v2
	v_mad_u32 v6, v0, s24, v6
	;; [unrolled: 1-line block ×3, first 2 shown]
.LBB183_1214:
	v_mov_b32_e32 v7, 0
	s_and_b32 s2, s36, 0xff
	s_delay_alu instid0(SALU_CYCLE_1) | instskip(NEXT) | instid1(VALU_DEP_1)
	s_cmp_lt_i32 s2, 11
	v_add_nc_u64_e32 v[6:7], s[6:7], v[6:7]
	s_cbranch_scc1 .LBB183_1221
; %bb.1215:
	s_and_b32 s3, 0xffff, s2
	s_mov_b32 s7, 0
	s_cmp_gt_i32 s3, 25
	s_cbranch_scc0 .LBB183_1222
; %bb.1216:
	s_cmp_gt_i32 s3, 28
	s_cbranch_scc0 .LBB183_1223
; %bb.1217:
	;; [unrolled: 3-line block ×4, first 2 shown]
	s_cmp_eq_u32 s3, 46
	s_mov_b32 s14, 0
	s_cbranch_scc0 .LBB183_1228
; %bb.1220:
	global_load_b32 v0, v[6:7], off
	s_mov_b32 s6, 0
	s_mov_b32 s12, -1
	s_wait_loadcnt 0x0
	v_lshlrev_b32_e32 v0, 16, v0
	s_delay_alu instid0(VALU_DEP_1)
	v_cvt_f16_f32_e32 v3, v0
	s_branch .LBB183_1230
.LBB183_1221:
	s_mov_b32 s3, -1
	s_mov_b32 s12, 0
	s_mov_b32 s7, 0
	s_mov_b32 s6, s1
                                        ; implicit-def: $vgpr3
	s_branch .LBB183_1293
.LBB183_1222:
	s_mov_b32 s14, -1
	s_mov_b32 s12, 0
	s_mov_b32 s6, s1
                                        ; implicit-def: $vgpr3
	s_branch .LBB183_1259
.LBB183_1223:
	s_mov_b32 s14, -1
	s_mov_b32 s12, 0
	s_mov_b32 s6, s1
                                        ; implicit-def: $vgpr3
	s_branch .LBB183_1240
.LBB183_1224:
	s_mov_b32 s14, -1
	s_mov_b32 s12, 0
	s_mov_b32 s6, s1
                                        ; implicit-def: $vgpr3
	s_branch .LBB183_1235
.LBB183_1225:
	s_mov_b32 s14, -1
	s_mov_b32 s12, 0
	s_mov_b32 s6, s1
	s_branch .LBB183_1229
.LBB183_1226:
	s_and_not1_saveexec_b32 s53, s53
	s_cbranch_execz .LBB183_1108
.LBB183_1227:
	v_add_f32_e32 v1, 0x46000000, v4
	s_and_not1_b32 s52, s52, exec_lo
	s_delay_alu instid0(VALU_DEP_1) | instskip(NEXT) | instid1(VALU_DEP_1)
	v_and_b32_e32 v1, 0xff, v1
	v_cmp_ne_u32_e32 vcc_lo, 0, v1
	s_and_b32 s54, vcc_lo, exec_lo
	s_delay_alu instid0(SALU_CYCLE_1)
	s_or_b32 s52, s52, s54
	s_or_b32 exec_lo, exec_lo, s53
	v_mov_b32_e32 v5, 0
	s_and_saveexec_b32 s53, s52
	s_cbranch_execnz .LBB183_1109
	s_branch .LBB183_1110
.LBB183_1228:
	s_mov_b32 s6, -1
	s_mov_b32 s12, 0
.LBB183_1229:
                                        ; implicit-def: $vgpr3
.LBB183_1230:
	s_and_b32 vcc_lo, exec_lo, s14
	s_cbranch_vccz .LBB183_1234
; %bb.1231:
	s_cmp_eq_u32 s3, 44
	s_cbranch_scc0 .LBB183_1233
; %bb.1232:
	global_load_u8 v0, v[6:7], off
	s_mov_b32 s6, 0
	s_mov_b32 s12, -1
	s_wait_loadcnt 0x0
	v_lshlrev_b32_e32 v1, 23, v0
	v_cmp_ne_u32_e32 vcc_lo, 0xff, v0
	s_delay_alu instid0(VALU_DEP_2) | instskip(NEXT) | instid1(VALU_DEP_1)
	v_cvt_f16_f32_e32 v1, v1
	v_cndmask_b32_e32 v1, 0x7e00, v1, vcc_lo
	v_cmp_ne_u32_e32 vcc_lo, 0, v0
	s_delay_alu instid0(VALU_DEP_2)
	v_cndmask_b32_e32 v3, 0, v1, vcc_lo
	s_branch .LBB183_1234
.LBB183_1233:
	s_mov_b32 s6, -1
                                        ; implicit-def: $vgpr3
.LBB183_1234:
	s_mov_b32 s14, 0
.LBB183_1235:
	s_delay_alu instid0(SALU_CYCLE_1)
	s_and_b32 vcc_lo, exec_lo, s14
	s_cbranch_vccz .LBB183_1239
; %bb.1236:
	s_cmp_eq_u32 s3, 29
	s_cbranch_scc0 .LBB183_1238
; %bb.1237:
	s_wait_loadcnt 0x0
	global_load_b64 v[0:1], v[6:7], off
	s_mov_b32 s6, 0
	s_mov_b32 s12, -1
	s_mov_b32 s14, 0
	s_wait_loadcnt 0x0
	v_clz_i32_u32_e32 v3, v1
	s_delay_alu instid0(VALU_DEP_1) | instskip(NEXT) | instid1(VALU_DEP_1)
	v_min_u32_e32 v3, 32, v3
	v_lshlrev_b64_e32 v[0:1], v3, v[0:1]
	s_delay_alu instid0(VALU_DEP_1) | instskip(NEXT) | instid1(VALU_DEP_1)
	v_min_u32_e32 v0, 1, v0
	v_dual_sub_nc_u32 v1, 32, v3 :: v_dual_bitop2_b32 v0, v1, v0 bitop3:0x54
	s_delay_alu instid0(VALU_DEP_1) | instskip(NEXT) | instid1(VALU_DEP_1)
	v_cvt_f32_u32_e32 v0, v0
	v_ldexp_f32 v0, v0, v1
	s_delay_alu instid0(VALU_DEP_1)
	v_cvt_f16_f32_e32 v3, v0
	s_branch .LBB183_1240
.LBB183_1238:
	s_mov_b32 s6, -1
                                        ; implicit-def: $vgpr3
.LBB183_1239:
	s_mov_b32 s14, 0
.LBB183_1240:
	s_delay_alu instid0(SALU_CYCLE_1)
	s_and_b32 vcc_lo, exec_lo, s14
	s_cbranch_vccz .LBB183_1258
; %bb.1241:
	s_cmp_lt_i32 s3, 27
	s_cbranch_scc1 .LBB183_1244
; %bb.1242:
	s_cmp_gt_i32 s3, 27
	s_cbranch_scc0 .LBB183_1245
; %bb.1243:
	global_load_b32 v0, v[6:7], off
	s_mov_b32 s12, 0
	s_wait_loadcnt 0x0
	v_cvt_f32_u32_e32 v0, v0
	s_delay_alu instid0(VALU_DEP_1)
	v_cvt_f16_f32_e32 v3, v0
	s_branch .LBB183_1246
.LBB183_1244:
	s_mov_b32 s12, -1
                                        ; implicit-def: $vgpr3
	s_branch .LBB183_1249
.LBB183_1245:
	s_mov_b32 s12, -1
                                        ; implicit-def: $vgpr3
.LBB183_1246:
	s_delay_alu instid0(SALU_CYCLE_1)
	s_and_not1_b32 vcc_lo, exec_lo, s12
	s_cbranch_vccnz .LBB183_1248
; %bb.1247:
	global_load_u16 v0, v[6:7], off
	s_wait_loadcnt 0x0
	v_cvt_f16_u16_e32 v3, v0
.LBB183_1248:
	s_mov_b32 s12, 0
.LBB183_1249:
	s_delay_alu instid0(SALU_CYCLE_1)
	s_and_not1_b32 vcc_lo, exec_lo, s12
	s_cbranch_vccnz .LBB183_1257
; %bb.1250:
	global_load_u8 v0, v[6:7], off
	s_mov_b32 s12, 0
	s_mov_b32 s14, exec_lo
	s_wait_loadcnt 0x0
	v_cmpx_lt_i16_e32 0x7f, v0
	s_xor_b32 s14, exec_lo, s14
	s_cbranch_execz .LBB183_1271
; %bb.1251:
	s_mov_b32 s12, -1
	s_mov_b32 s15, exec_lo
	v_cmpx_eq_u16_e32 0x80, v0
; %bb.1252:
	s_xor_b32 s12, exec_lo, -1
; %bb.1253:
	s_or_b32 exec_lo, exec_lo, s15
	s_delay_alu instid0(SALU_CYCLE_1)
	s_and_b32 s12, s12, exec_lo
	s_or_saveexec_b32 s14, s14
	v_mov_b32_e32 v3, 0x7e00
	s_xor_b32 exec_lo, exec_lo, s14
	s_cbranch_execnz .LBB183_1272
.LBB183_1254:
	s_or_b32 exec_lo, exec_lo, s14
	s_and_saveexec_b32 s14, s12
	s_cbranch_execz .LBB183_1256
.LBB183_1255:
	v_and_b32_e32 v1, 0xffff, v0
	s_delay_alu instid0(VALU_DEP_1) | instskip(SKIP_1) | instid1(VALU_DEP_2)
	v_dual_lshlrev_b32 v0, 24, v0 :: v_dual_bitop2_b32 v3, 7, v1 bitop3:0x40
	v_bfe_u32 v9, v1, 3, 4
	v_and_b32_e32 v0, 0x80000000, v0
	s_delay_alu instid0(VALU_DEP_3) | instskip(NEXT) | instid1(VALU_DEP_3)
	v_clz_i32_u32_e32 v5, v3
	v_cmp_eq_u32_e32 vcc_lo, 0, v9
	s_delay_alu instid0(VALU_DEP_2) | instskip(NEXT) | instid1(VALU_DEP_1)
	v_min_u32_e32 v5, 32, v5
	v_subrev_nc_u32_e32 v8, 28, v5
	v_sub_nc_u32_e32 v5, 29, v5
	s_delay_alu instid0(VALU_DEP_2) | instskip(NEXT) | instid1(VALU_DEP_2)
	v_lshlrev_b32_e32 v1, v8, v1
	v_cndmask_b32_e32 v5, v9, v5, vcc_lo
	s_delay_alu instid0(VALU_DEP_2) | instskip(NEXT) | instid1(VALU_DEP_1)
	v_and_b32_e32 v1, 7, v1
	v_cndmask_b32_e32 v1, v3, v1, vcc_lo
	s_delay_alu instid0(VALU_DEP_3) | instskip(NEXT) | instid1(VALU_DEP_2)
	v_lshl_add_u32 v3, v5, 23, 0x3b800000
	v_lshlrev_b32_e32 v1, 20, v1
	s_delay_alu instid0(VALU_DEP_1) | instskip(NEXT) | instid1(VALU_DEP_1)
	v_or3_b32 v0, v0, v3, v1
	v_cvt_f16_f32_e32 v3, v0
.LBB183_1256:
	s_or_b32 exec_lo, exec_lo, s14
.LBB183_1257:
	s_mov_b32 s12, -1
.LBB183_1258:
	s_mov_b32 s14, 0
.LBB183_1259:
	s_delay_alu instid0(SALU_CYCLE_1)
	s_and_b32 vcc_lo, exec_lo, s14
	s_cbranch_vccz .LBB183_1292
; %bb.1260:
	s_cmp_gt_i32 s3, 22
	s_cbranch_scc0 .LBB183_1270
; %bb.1261:
	s_cmp_lt_i32 s3, 24
	s_cbranch_scc1 .LBB183_1273
; %bb.1262:
	s_cmp_gt_i32 s3, 24
	s_cbranch_scc0 .LBB183_1274
; %bb.1263:
	global_load_u8 v0, v[6:7], off
	s_mov_b32 s12, exec_lo
	s_wait_loadcnt 0x0
	v_cmpx_lt_i16_e32 0x7f, v0
	s_xor_b32 s12, exec_lo, s12
	s_cbranch_execz .LBB183_1286
; %bb.1264:
	s_mov_b32 s7, -1
	s_mov_b32 s14, exec_lo
	v_cmpx_eq_u16_e32 0x80, v0
; %bb.1265:
	s_xor_b32 s7, exec_lo, -1
; %bb.1266:
	s_or_b32 exec_lo, exec_lo, s14
	s_delay_alu instid0(SALU_CYCLE_1)
	s_and_b32 s7, s7, exec_lo
	s_or_saveexec_b32 s12, s12
	v_mov_b32_e32 v3, 0x7e00
	s_xor_b32 exec_lo, exec_lo, s12
	s_cbranch_execnz .LBB183_1287
.LBB183_1267:
	s_or_b32 exec_lo, exec_lo, s12
	s_and_saveexec_b32 s12, s7
	s_cbranch_execz .LBB183_1269
.LBB183_1268:
	v_and_b32_e32 v1, 0xffff, v0
	s_delay_alu instid0(VALU_DEP_1) | instskip(SKIP_1) | instid1(VALU_DEP_2)
	v_dual_lshlrev_b32 v0, 24, v0 :: v_dual_bitop2_b32 v3, 3, v1 bitop3:0x40
	v_bfe_u32 v9, v1, 2, 5
	v_and_b32_e32 v0, 0x80000000, v0
	s_delay_alu instid0(VALU_DEP_3) | instskip(NEXT) | instid1(VALU_DEP_3)
	v_clz_i32_u32_e32 v5, v3
	v_cmp_eq_u32_e32 vcc_lo, 0, v9
	s_delay_alu instid0(VALU_DEP_2) | instskip(NEXT) | instid1(VALU_DEP_1)
	v_min_u32_e32 v5, 32, v5
	v_subrev_nc_u32_e32 v8, 29, v5
	v_sub_nc_u32_e32 v5, 30, v5
	s_delay_alu instid0(VALU_DEP_2) | instskip(NEXT) | instid1(VALU_DEP_2)
	v_lshlrev_b32_e32 v1, v8, v1
	v_cndmask_b32_e32 v5, v9, v5, vcc_lo
	s_delay_alu instid0(VALU_DEP_2) | instskip(NEXT) | instid1(VALU_DEP_1)
	v_and_b32_e32 v1, 3, v1
	v_cndmask_b32_e32 v1, v3, v1, vcc_lo
	s_delay_alu instid0(VALU_DEP_3) | instskip(NEXT) | instid1(VALU_DEP_2)
	v_lshl_add_u32 v3, v5, 23, 0x37800000
	v_lshlrev_b32_e32 v1, 21, v1
	s_delay_alu instid0(VALU_DEP_1) | instskip(NEXT) | instid1(VALU_DEP_1)
	v_or3_b32 v0, v0, v3, v1
	v_cvt_f16_f32_e32 v3, v0
.LBB183_1269:
	s_or_b32 exec_lo, exec_lo, s12
	s_mov_b32 s7, 0
	s_branch .LBB183_1275
.LBB183_1270:
	s_mov_b32 s7, -1
                                        ; implicit-def: $vgpr3
	s_branch .LBB183_1281
.LBB183_1271:
	s_or_saveexec_b32 s14, s14
	v_mov_b32_e32 v3, 0x7e00
	s_xor_b32 exec_lo, exec_lo, s14
	s_cbranch_execz .LBB183_1254
.LBB183_1272:
	v_cmp_ne_u16_e32 vcc_lo, 0, v0
	v_mov_b32_e32 v3, v0
	s_and_not1_b32 s12, s12, exec_lo
	s_and_b32 s15, vcc_lo, exec_lo
	s_delay_alu instid0(SALU_CYCLE_1)
	s_or_b32 s12, s12, s15
	s_or_b32 exec_lo, exec_lo, s14
	s_and_saveexec_b32 s14, s12
	s_cbranch_execnz .LBB183_1255
	s_branch .LBB183_1256
.LBB183_1273:
	s_mov_b32 s7, -1
                                        ; implicit-def: $vgpr3
	s_branch .LBB183_1278
.LBB183_1274:
	s_mov_b32 s7, -1
                                        ; implicit-def: $vgpr3
.LBB183_1275:
	s_delay_alu instid0(SALU_CYCLE_1)
	s_and_b32 vcc_lo, exec_lo, s7
	s_cbranch_vccz .LBB183_1277
; %bb.1276:
	global_load_u8 v0, v[6:7], off
	s_wait_loadcnt 0x0
	v_lshlrev_b32_e32 v0, 24, v0
	s_delay_alu instid0(VALU_DEP_1) | instskip(NEXT) | instid1(VALU_DEP_1)
	v_and_b32_e32 v1, 0x7f000000, v0
	v_clz_i32_u32_e32 v3, v1
	v_cmp_ne_u32_e32 vcc_lo, 0, v1
	v_add_nc_u32_e32 v8, 0x1000000, v1
	s_delay_alu instid0(VALU_DEP_3) | instskip(NEXT) | instid1(VALU_DEP_1)
	v_min_u32_e32 v3, 32, v3
	v_sub_nc_u32_e64 v3, v3, 4 clamp
	s_delay_alu instid0(VALU_DEP_1) | instskip(NEXT) | instid1(VALU_DEP_1)
	v_dual_lshlrev_b32 v5, v3, v1 :: v_dual_lshlrev_b32 v3, 23, v3
	v_lshrrev_b32_e32 v5, 4, v5
	s_delay_alu instid0(VALU_DEP_1) | instskip(NEXT) | instid1(VALU_DEP_1)
	v_dual_sub_nc_u32 v3, v5, v3 :: v_dual_ashrrev_i32 v5, 8, v8
	v_add_nc_u32_e32 v3, 0x3c000000, v3
	s_delay_alu instid0(VALU_DEP_1) | instskip(NEXT) | instid1(VALU_DEP_1)
	v_and_or_b32 v3, 0x7f800000, v5, v3
	v_cndmask_b32_e32 v1, 0, v3, vcc_lo
	s_delay_alu instid0(VALU_DEP_1) | instskip(NEXT) | instid1(VALU_DEP_1)
	v_and_or_b32 v0, 0x80000000, v0, v1
	v_cvt_f16_f32_e32 v3, v0
.LBB183_1277:
	s_mov_b32 s7, 0
.LBB183_1278:
	s_delay_alu instid0(SALU_CYCLE_1)
	s_and_not1_b32 vcc_lo, exec_lo, s7
	s_cbranch_vccnz .LBB183_1280
; %bb.1279:
	global_load_u8 v0, v[6:7], off
	s_wait_loadcnt 0x0
	v_lshlrev_b32_e32 v1, 25, v0
	v_lshlrev_b16 v0, 8, v0
	s_delay_alu instid0(VALU_DEP_1) | instskip(SKIP_1) | instid1(VALU_DEP_2)
	v_and_or_b32 v5, 0x7f00, v0, 0.5
	v_bfe_i32 v0, v0, 0, 16
	v_add_f32_e32 v5, -0.5, v5
	v_lshrrev_b32_e32 v3, 4, v1
	v_cmp_gt_u32_e32 vcc_lo, 0x8000000, v1
	s_delay_alu instid0(VALU_DEP_2) | instskip(NEXT) | instid1(VALU_DEP_1)
	v_or_b32_e32 v3, 0x70000000, v3
	v_mul_f32_e32 v3, 0x7800000, v3
	s_delay_alu instid0(VALU_DEP_1) | instskip(NEXT) | instid1(VALU_DEP_1)
	v_cndmask_b32_e32 v1, v3, v5, vcc_lo
	v_and_or_b32 v0, 0x80000000, v0, v1
	s_delay_alu instid0(VALU_DEP_1)
	v_cvt_f16_f32_e32 v3, v0
.LBB183_1280:
	s_mov_b32 s7, 0
	s_mov_b32 s12, -1
.LBB183_1281:
	s_and_not1_b32 vcc_lo, exec_lo, s7
	s_mov_b32 s7, 0
	s_cbranch_vccnz .LBB183_1292
; %bb.1282:
	s_cmp_gt_i32 s3, 14
	s_cbranch_scc0 .LBB183_1285
; %bb.1283:
	s_cmp_eq_u32 s3, 15
	s_cbranch_scc0 .LBB183_1288
; %bb.1284:
	global_load_u16 v0, v[6:7], off
	s_mov_b32 s6, 0
	s_mov_b32 s12, -1
	s_wait_loadcnt 0x0
	v_lshlrev_b32_e32 v0, 16, v0
	s_delay_alu instid0(VALU_DEP_1)
	v_cvt_f16_f32_e32 v3, v0
	s_branch .LBB183_1290
.LBB183_1285:
	s_mov_b32 s7, -1
	s_branch .LBB183_1289
.LBB183_1286:
	s_or_saveexec_b32 s12, s12
	v_mov_b32_e32 v3, 0x7e00
	s_xor_b32 exec_lo, exec_lo, s12
	s_cbranch_execz .LBB183_1267
.LBB183_1287:
	v_cmp_ne_u16_e32 vcc_lo, 0, v0
	v_mov_b32_e32 v3, v0
	s_and_not1_b32 s7, s7, exec_lo
	s_and_b32 s14, vcc_lo, exec_lo
	s_delay_alu instid0(SALU_CYCLE_1)
	s_or_b32 s7, s7, s14
	s_or_b32 exec_lo, exec_lo, s12
	s_and_saveexec_b32 s12, s7
	s_cbranch_execnz .LBB183_1268
	s_branch .LBB183_1269
.LBB183_1288:
	s_mov_b32 s6, -1
.LBB183_1289:
                                        ; implicit-def: $vgpr3
.LBB183_1290:
	s_and_b32 vcc_lo, exec_lo, s7
	s_mov_b32 s7, 0
	s_cbranch_vccz .LBB183_1292
; %bb.1291:
	s_cmp_lg_u32 s3, 11
	s_mov_b32 s7, -1
	s_cselect_b32 s3, -1, 0
	s_and_not1_b32 s6, s6, exec_lo
	s_and_b32 s3, s3, exec_lo
	s_delay_alu instid0(SALU_CYCLE_1)
	s_or_b32 s6, s6, s3
.LBB183_1292:
	s_mov_b32 s3, 0
.LBB183_1293:
	s_delay_alu instid0(SALU_CYCLE_1)
	s_and_b32 s29, s3, exec_lo
	s_and_not1_b32 s3, s1, exec_lo
	s_and_b32 s6, s6, exec_lo
	s_and_b32 s28, s12, exec_lo
	;; [unrolled: 1-line block ×3, first 2 shown]
	s_or_b32 s52, s3, s6
.LBB183_1294:
	s_wait_xcnt 0x0
	s_or_b32 exec_lo, exec_lo, s39
	s_delay_alu instid0(SALU_CYCLE_1)
	s_and_not1_b32 s1, s1, exec_lo
	s_and_b32 s3, s52, exec_lo
	s_and_b32 s28, s28, exec_lo
	;; [unrolled: 1-line block ×4, first 2 shown]
	s_or_b32 s1, s1, s3
.LBB183_1295:
	s_or_b32 exec_lo, exec_lo, s48
	s_delay_alu instid0(SALU_CYCLE_1)
	s_and_not1_b32 s3, s45, exec_lo
	s_and_b32 s6, s49, exec_lo
	s_and_not1_b32 s7, s46, exec_lo
	s_and_b32 s12, s50, exec_lo
	s_or_b32 s45, s3, s6
	s_and_not1_b32 s3, s44, exec_lo
	s_and_b32 s6, s1, exec_lo
	s_or_b32 s46, s7, s12
	s_and_b32 s28, s28, exec_lo
	s_and_b32 s29, s29, exec_lo
	;; [unrolled: 1-line block ×3, first 2 shown]
	s_or_b32 s44, s3, s6
.LBB183_1296:
	s_or_b32 exec_lo, exec_lo, s47
	s_delay_alu instid0(SALU_CYCLE_1)
	s_and_not1_b32 s3, s10, exec_lo
	s_and_b32 s6, s45, exec_lo
	s_and_not1_b32 s7, s41, exec_lo
	s_and_b32 s12, s46, exec_lo
	s_or_b32 s10, s3, s6
	s_and_not1_b32 s3, s42, exec_lo
	s_and_b32 s6, s44, exec_lo
	s_or_b32 s41, s7, s12
	s_and_b32 s28, s28, exec_lo
	s_and_b32 s45, s29, exec_lo
	;; [unrolled: 1-line block ×3, first 2 shown]
	s_or_b32 s42, s3, s6
	s_or_b32 exec_lo, exec_lo, s43
	s_mov_b32 s1, 0
	s_and_saveexec_b32 s3, s42
	s_cbranch_execz .LBB183_402
.LBB183_1297:
	s_mov_b32 s1, exec_lo
	s_and_not1_b32 s23, s23, exec_lo
	s_trap 2
	s_or_b32 exec_lo, exec_lo, s3
	s_and_saveexec_b32 s3, s23
	s_delay_alu instid0(SALU_CYCLE_1)
	s_xor_b32 s3, exec_lo, s3
	s_cbranch_execnz .LBB183_403
.LBB183_1298:
	s_or_b32 exec_lo, exec_lo, s3
	s_and_saveexec_b32 s3, s45
	s_cbranch_execz .LBB183_1344
.LBB183_1299:
	s_sext_i32_i16 s6, s2
	s_delay_alu instid0(SALU_CYCLE_1)
	s_cmp_lt_i32 s6, 5
	s_cbranch_scc1 .LBB183_1304
; %bb.1300:
	s_cmp_lt_i32 s6, 8
	s_cbranch_scc1 .LBB183_1305
; %bb.1301:
	;; [unrolled: 3-line block ×3, first 2 shown]
	s_cmp_gt_i32 s6, 9
	s_cbranch_scc0 .LBB183_1307
; %bb.1303:
	s_wait_loadcnt 0x0
	global_load_b64 v[0:1], v[6:7], off
	s_mov_b32 s6, 0
	s_wait_loadcnt 0x0
	v_and_or_b32 v0, 0x1ff, v1, v0
	v_lshrrev_b32_e32 v3, 8, v1
	v_bfe_u32 v5, v1, 20, 11
	v_lshrrev_b32_e32 v1, 16, v1
	s_delay_alu instid0(VALU_DEP_4) | instskip(NEXT) | instid1(VALU_DEP_3)
	v_cmp_ne_u32_e32 vcc_lo, 0, v0
	v_sub_nc_u32_e32 v8, 0x3f1, v5
	v_add_nc_u32_e32 v5, 0xfffffc10, v5
	v_cndmask_b32_e64 v0, 0, 1, vcc_lo
	s_delay_alu instid0(VALU_DEP_1) | instskip(NEXT) | instid1(VALU_DEP_4)
	v_and_or_b32 v0, 0xffe, v3, v0
	v_med3_i32 v3, v8, 0, 13
	s_delay_alu instid0(VALU_DEP_2) | instskip(NEXT) | instid1(VALU_DEP_1)
	v_or_b32_e32 v8, 0x1000, v0
	v_lshrrev_b32_e32 v9, v3, v8
	s_delay_alu instid0(VALU_DEP_1) | instskip(NEXT) | instid1(VALU_DEP_1)
	v_lshlrev_b32_e32 v3, v3, v9
	v_cmp_ne_u32_e32 vcc_lo, v3, v8
	v_lshl_or_b32 v8, v5, 12, v0
	v_cndmask_b32_e64 v3, 0, 1, vcc_lo
	v_cmp_gt_i32_e32 vcc_lo, 1, v5
	s_delay_alu instid0(VALU_DEP_2) | instskip(NEXT) | instid1(VALU_DEP_1)
	v_or_b32_e32 v3, v9, v3
	v_cndmask_b32_e32 v3, v8, v3, vcc_lo
	s_delay_alu instid0(VALU_DEP_1) | instskip(NEXT) | instid1(VALU_DEP_1)
	v_dual_lshrrev_b32 v3, 2, v3 :: v_dual_bitop2_b32 v8, 7, v3 bitop3:0x40
	v_cmp_lt_i32_e32 vcc_lo, 5, v8
	v_cndmask_b32_e64 v9, 0, 1, vcc_lo
	v_cmp_eq_u32_e32 vcc_lo, 3, v8
	v_cndmask_b32_e64 v8, 0, 1, vcc_lo
	v_cmp_ne_u32_e32 vcc_lo, 0, v0
	s_delay_alu instid0(VALU_DEP_2) | instskip(SKIP_1) | instid1(VALU_DEP_1)
	v_or_b32_e32 v8, v8, v9
	v_mov_b32_e32 v9, 0x7e00
	v_dual_cndmask_b32 v0, 0x7c00, v9 :: v_dual_add_nc_u32 v3, v3, v8
	v_cmp_gt_i32_e32 vcc_lo, 31, v5
	s_delay_alu instid0(VALU_DEP_2) | instskip(SKIP_1) | instid1(VALU_DEP_2)
	v_cndmask_b32_e32 v3, 0x7c00, v3, vcc_lo
	v_cmp_eq_u32_e32 vcc_lo, 0x40f, v5
	v_cndmask_b32_e32 v0, v3, v0, vcc_lo
	s_delay_alu instid0(VALU_DEP_1)
	v_and_or_b32 v3, 0x8000, v1, v0
	s_branch .LBB183_1308
.LBB183_1304:
                                        ; implicit-def: $vgpr3
	s_branch .LBB183_1325
.LBB183_1305:
                                        ; implicit-def: $vgpr3
	s_branch .LBB183_1314
.LBB183_1306:
	s_mov_b32 s6, -1
                                        ; implicit-def: $vgpr3
	s_branch .LBB183_1311
.LBB183_1307:
	s_mov_b32 s6, -1
                                        ; implicit-def: $vgpr3
.LBB183_1308:
	s_delay_alu instid0(SALU_CYCLE_1)
	s_and_not1_b32 vcc_lo, exec_lo, s6
	s_cbranch_vccnz .LBB183_1310
; %bb.1309:
	global_load_b32 v0, v[6:7], off
	s_wait_loadcnt 0x0
	v_cvt_f16_f32_e32 v3, v0
.LBB183_1310:
	s_mov_b32 s6, 0
.LBB183_1311:
	s_delay_alu instid0(SALU_CYCLE_1)
	s_and_not1_b32 vcc_lo, exec_lo, s6
	s_cbranch_vccnz .LBB183_1313
; %bb.1312:
	s_wait_loadcnt 0x0
	global_load_b32 v3, v[6:7], off
.LBB183_1313:
	s_cbranch_execnz .LBB183_1324
.LBB183_1314:
	s_sext_i32_i16 s6, s2
	s_delay_alu instid0(SALU_CYCLE_1)
	s_cmp_lt_i32 s6, 6
	s_cbranch_scc1 .LBB183_1317
; %bb.1315:
	s_cmp_gt_i32 s6, 6
	s_cbranch_scc0 .LBB183_1318
; %bb.1316:
	s_wait_loadcnt 0x0
	global_load_b64 v[0:1], v[6:7], off
	s_mov_b32 s6, 0
	s_wait_loadcnt 0x0
	v_and_or_b32 v0, 0x1ff, v1, v0
	v_lshrrev_b32_e32 v3, 8, v1
	v_bfe_u32 v5, v1, 20, 11
	v_lshrrev_b32_e32 v1, 16, v1
	s_delay_alu instid0(VALU_DEP_4) | instskip(NEXT) | instid1(VALU_DEP_3)
	v_cmp_ne_u32_e32 vcc_lo, 0, v0
	v_sub_nc_u32_e32 v8, 0x3f1, v5
	v_add_nc_u32_e32 v5, 0xfffffc10, v5
	v_cndmask_b32_e64 v0, 0, 1, vcc_lo
	s_delay_alu instid0(VALU_DEP_1) | instskip(NEXT) | instid1(VALU_DEP_4)
	v_and_or_b32 v0, 0xffe, v3, v0
	v_med3_i32 v3, v8, 0, 13
	s_delay_alu instid0(VALU_DEP_2) | instskip(NEXT) | instid1(VALU_DEP_1)
	v_or_b32_e32 v8, 0x1000, v0
	v_lshrrev_b32_e32 v9, v3, v8
	s_delay_alu instid0(VALU_DEP_1) | instskip(NEXT) | instid1(VALU_DEP_1)
	v_lshlrev_b32_e32 v3, v3, v9
	v_cmp_ne_u32_e32 vcc_lo, v3, v8
	v_lshl_or_b32 v8, v5, 12, v0
	v_cndmask_b32_e64 v3, 0, 1, vcc_lo
	v_cmp_gt_i32_e32 vcc_lo, 1, v5
	s_delay_alu instid0(VALU_DEP_2) | instskip(NEXT) | instid1(VALU_DEP_1)
	v_or_b32_e32 v3, v9, v3
	v_cndmask_b32_e32 v3, v8, v3, vcc_lo
	s_delay_alu instid0(VALU_DEP_1) | instskip(NEXT) | instid1(VALU_DEP_1)
	v_dual_lshrrev_b32 v3, 2, v3 :: v_dual_bitop2_b32 v8, 7, v3 bitop3:0x40
	v_cmp_lt_i32_e32 vcc_lo, 5, v8
	v_cndmask_b32_e64 v9, 0, 1, vcc_lo
	v_cmp_eq_u32_e32 vcc_lo, 3, v8
	v_cndmask_b32_e64 v8, 0, 1, vcc_lo
	v_cmp_ne_u32_e32 vcc_lo, 0, v0
	s_delay_alu instid0(VALU_DEP_2) | instskip(SKIP_1) | instid1(VALU_DEP_1)
	v_or_b32_e32 v8, v8, v9
	v_mov_b32_e32 v9, 0x7e00
	v_dual_cndmask_b32 v0, 0x7c00, v9 :: v_dual_add_nc_u32 v3, v3, v8
	v_cmp_gt_i32_e32 vcc_lo, 31, v5
	s_delay_alu instid0(VALU_DEP_2) | instskip(SKIP_1) | instid1(VALU_DEP_2)
	v_cndmask_b32_e32 v3, 0x7c00, v3, vcc_lo
	v_cmp_eq_u32_e32 vcc_lo, 0x40f, v5
	v_cndmask_b32_e32 v0, v3, v0, vcc_lo
	s_delay_alu instid0(VALU_DEP_1)
	v_and_or_b32 v3, 0x8000, v1, v0
	s_branch .LBB183_1319
.LBB183_1317:
	s_mov_b32 s6, -1
                                        ; implicit-def: $vgpr3
	s_branch .LBB183_1322
.LBB183_1318:
	s_mov_b32 s6, -1
                                        ; implicit-def: $vgpr3
.LBB183_1319:
	s_delay_alu instid0(SALU_CYCLE_1)
	s_and_not1_b32 vcc_lo, exec_lo, s6
	s_cbranch_vccnz .LBB183_1321
; %bb.1320:
	global_load_b32 v0, v[6:7], off
	s_wait_loadcnt 0x0
	v_cvt_f16_f32_e32 v3, v0
.LBB183_1321:
	s_mov_b32 s6, 0
.LBB183_1322:
	s_delay_alu instid0(SALU_CYCLE_1)
	s_and_not1_b32 vcc_lo, exec_lo, s6
	s_cbranch_vccnz .LBB183_1324
; %bb.1323:
	s_wait_loadcnt 0x0
	global_load_u16 v3, v[6:7], off
.LBB183_1324:
	s_cbranch_execnz .LBB183_1343
.LBB183_1325:
	s_sext_i32_i16 s6, s2
	s_delay_alu instid0(SALU_CYCLE_1)
	s_cmp_lt_i32 s6, 2
	s_cbranch_scc1 .LBB183_1329
; %bb.1326:
	s_cmp_lt_i32 s6, 3
	s_cbranch_scc1 .LBB183_1330
; %bb.1327:
	s_cmp_gt_i32 s6, 3
	s_cbranch_scc0 .LBB183_1331
; %bb.1328:
	s_wait_loadcnt 0x0
	global_load_b64 v[0:1], v[6:7], off
	s_mov_b32 s6, 0
	s_wait_loadcnt 0x0
	v_xor_b32_e32 v3, v0, v1
	v_cls_i32_e32 v5, v1
	s_delay_alu instid0(VALU_DEP_2) | instskip(NEXT) | instid1(VALU_DEP_1)
	v_ashrrev_i32_e32 v3, 31, v3
	v_add_nc_u32_e32 v3, 32, v3
	s_delay_alu instid0(VALU_DEP_1) | instskip(NEXT) | instid1(VALU_DEP_1)
	v_add_min_u32_e64 v3, v5, -1, v3
	v_lshlrev_b64_e32 v[0:1], v3, v[0:1]
	s_delay_alu instid0(VALU_DEP_1) | instskip(NEXT) | instid1(VALU_DEP_1)
	v_min_u32_e32 v0, 1, v0
	v_dual_sub_nc_u32 v1, 32, v3 :: v_dual_bitop2_b32 v0, v1, v0 bitop3:0x54
	s_delay_alu instid0(VALU_DEP_1) | instskip(NEXT) | instid1(VALU_DEP_1)
	v_cvt_f32_i32_e32 v0, v0
	v_ldexp_f32 v0, v0, v1
	s_delay_alu instid0(VALU_DEP_1)
	v_cvt_f16_f32_e32 v3, v0
	s_branch .LBB183_1332
.LBB183_1329:
                                        ; implicit-def: $vgpr3
	s_branch .LBB183_1338
.LBB183_1330:
	s_mov_b32 s6, -1
                                        ; implicit-def: $vgpr3
	s_branch .LBB183_1335
.LBB183_1331:
	s_mov_b32 s6, -1
                                        ; implicit-def: $vgpr3
.LBB183_1332:
	s_delay_alu instid0(SALU_CYCLE_1)
	s_and_not1_b32 vcc_lo, exec_lo, s6
	s_cbranch_vccnz .LBB183_1334
; %bb.1333:
	global_load_b32 v0, v[6:7], off
	s_wait_loadcnt 0x0
	v_cvt_f32_i32_e32 v0, v0
	s_delay_alu instid0(VALU_DEP_1)
	v_cvt_f16_f32_e32 v3, v0
.LBB183_1334:
	s_mov_b32 s6, 0
.LBB183_1335:
	s_delay_alu instid0(SALU_CYCLE_1)
	s_and_not1_b32 vcc_lo, exec_lo, s6
	s_cbranch_vccnz .LBB183_1337
; %bb.1336:
	global_load_u16 v0, v[6:7], off
	s_wait_loadcnt 0x0
	v_cvt_f16_i16_e32 v3, v0
.LBB183_1337:
	s_cbranch_execnz .LBB183_1343
.LBB183_1338:
	s_sext_i32_i16 s2, s2
	s_delay_alu instid0(SALU_CYCLE_1)
	s_cmp_gt_i32 s2, 0
	s_mov_b32 s2, 0
	s_cbranch_scc0 .LBB183_1340
; %bb.1339:
	global_load_i8 v0, v[6:7], off
	s_wait_loadcnt 0x0
	v_cvt_f16_i16_e32 v3, v0
	s_branch .LBB183_1341
.LBB183_1340:
	s_mov_b32 s2, -1
                                        ; implicit-def: $vgpr3
.LBB183_1341:
	s_delay_alu instid0(SALU_CYCLE_1)
	s_and_not1_b32 vcc_lo, exec_lo, s2
	s_cbranch_vccnz .LBB183_1343
; %bb.1342:
	global_load_u8 v0, v[6:7], off
	s_wait_loadcnt 0x0
	v_cvt_f16_u16_e32 v3, v0
.LBB183_1343:
	s_or_b32 s28, s28, exec_lo
.LBB183_1344:
	s_wait_xcnt 0x0
	s_or_b32 exec_lo, exec_lo, s3
	s_mov_b32 s7, 0
	s_mov_b32 s6, 0
	;; [unrolled: 1-line block ×3, first 2 shown]
                                        ; implicit-def: $sgpr2
                                        ; implicit-def: $vgpr0_vgpr1
                                        ; implicit-def: $vgpr5
	s_and_saveexec_b32 s3, s28
	s_cbranch_execz .LBB183_1352
; %bb.1345:
	v_mov_b32_e32 v5, 0
	s_and_b32 s2, s13, 0xff
	s_delay_alu instid0(SALU_CYCLE_1) | instskip(SKIP_1) | instid1(VALU_DEP_1)
	s_cmp_lt_i32 s2, 11
	s_wait_loadcnt 0x0
	v_add_nc_u64_e32 v[0:1], s[8:9], v[4:5]
	s_cbranch_scc1 .LBB183_1355
; %bb.1346:
	s_and_b32 s6, 0xffff, s2
	s_mov_b32 s8, 0
	s_cmp_gt_i32 s6, 25
	s_cbranch_scc0 .LBB183_1356
; %bb.1347:
	s_cmp_gt_i32 s6, 28
	s_cbranch_scc0 .LBB183_1357
; %bb.1348:
	;; [unrolled: 3-line block ×4, first 2 shown]
	s_cmp_eq_u32 s6, 46
	s_cbranch_scc0 .LBB183_1360
; %bb.1351:
	global_load_b32 v4, v[0:1], off
	s_mov_b32 s9, -1
	s_wait_loadcnt 0x0
	v_lshlrev_b32_e32 v4, 16, v4
	s_delay_alu instid0(VALU_DEP_1)
	v_cvt_f16_f32_e32 v5, v4
	s_branch .LBB183_1362
.LBB183_1352:
	s_or_b32 exec_lo, exec_lo, s3
	s_and_saveexec_b32 s3, s41
	s_cbranch_execnz .LBB183_1425
.LBB183_1353:
	s_or_b32 exec_lo, exec_lo, s3
	s_and_saveexec_b32 s3, s7
	s_delay_alu instid0(SALU_CYCLE_1)
	s_xor_b32 s3, exec_lo, s3
	s_cbranch_execz .LBB183_1426
.LBB183_1354:
	s_wait_loadcnt 0x0
	global_load_u8 v4, v[0:1], off
	s_or_b32 s12, s12, exec_lo
	s_wait_loadcnt 0x0
	v_cmp_ne_u16_e32 vcc_lo, 0, v4
	v_cndmask_b32_e64 v5, 0, 0x3c00, vcc_lo
	s_wait_xcnt 0x0
	s_or_b32 exec_lo, exec_lo, s3
	s_and_saveexec_b32 s3, s6
	s_cbranch_execz .LBB183_1472
	s_branch .LBB183_1427
.LBB183_1355:
	s_mov_b32 s6, -1
	s_mov_b32 s9, 0
	s_mov_b32 s8, 0
	;; [unrolled: 1-line block ×3, first 2 shown]
                                        ; implicit-def: $vgpr5
	s_branch .LBB183_1424
.LBB183_1356:
	s_mov_b32 s9, 0
	s_mov_b32 s7, s41
                                        ; implicit-def: $vgpr5
	s_cbranch_execnz .LBB183_1391
	s_branch .LBB183_1423
.LBB183_1357:
	s_mov_b32 s12, -1
	s_mov_b32 s9, 0
	s_mov_b32 s7, s41
                                        ; implicit-def: $vgpr5
	s_branch .LBB183_1372
.LBB183_1358:
	s_mov_b32 s12, -1
	s_mov_b32 s9, 0
	s_mov_b32 s7, s41
                                        ; implicit-def: $vgpr5
	s_branch .LBB183_1367
.LBB183_1359:
	s_mov_b32 s12, -1
	s_mov_b32 s9, 0
	s_mov_b32 s7, s41
	s_branch .LBB183_1361
.LBB183_1360:
	s_mov_b32 s7, -1
	s_mov_b32 s9, 0
.LBB183_1361:
                                        ; implicit-def: $vgpr5
.LBB183_1362:
	s_and_b32 vcc_lo, exec_lo, s12
	s_cbranch_vccz .LBB183_1366
; %bb.1363:
	s_cmp_eq_u32 s6, 44
	s_cbranch_scc0 .LBB183_1365
; %bb.1364:
	global_load_u8 v4, v[0:1], off
	s_mov_b32 s7, 0
	s_mov_b32 s9, -1
	s_wait_loadcnt 0x0
	v_lshlrev_b32_e32 v5, 23, v4
	v_cmp_ne_u32_e32 vcc_lo, 0xff, v4
	s_delay_alu instid0(VALU_DEP_2) | instskip(NEXT) | instid1(VALU_DEP_1)
	v_cvt_f16_f32_e32 v5, v5
	v_cndmask_b32_e32 v5, 0x7e00, v5, vcc_lo
	v_cmp_ne_u32_e32 vcc_lo, 0, v4
	s_delay_alu instid0(VALU_DEP_2)
	v_cndmask_b32_e32 v5, 0, v5, vcc_lo
	s_branch .LBB183_1366
.LBB183_1365:
	s_mov_b32 s7, -1
                                        ; implicit-def: $vgpr5
.LBB183_1366:
	s_mov_b32 s12, 0
.LBB183_1367:
	s_delay_alu instid0(SALU_CYCLE_1)
	s_and_b32 vcc_lo, exec_lo, s12
	s_cbranch_vccz .LBB183_1371
; %bb.1368:
	s_cmp_eq_u32 s6, 29
	s_cbranch_scc0 .LBB183_1370
; %bb.1369:
	global_load_b64 v[4:5], v[0:1], off
	s_mov_b32 s7, 0
	s_mov_b32 s9, -1
	s_mov_b32 s12, 0
	s_wait_loadcnt 0x0
	v_clz_i32_u32_e32 v6, v5
	s_delay_alu instid0(VALU_DEP_1) | instskip(NEXT) | instid1(VALU_DEP_1)
	v_min_u32_e32 v6, 32, v6
	v_lshlrev_b64_e32 v[4:5], v6, v[4:5]
	s_delay_alu instid0(VALU_DEP_1) | instskip(NEXT) | instid1(VALU_DEP_1)
	v_min_u32_e32 v4, 1, v4
	v_dual_sub_nc_u32 v5, 32, v6 :: v_dual_bitop2_b32 v4, v5, v4 bitop3:0x54
	s_delay_alu instid0(VALU_DEP_1) | instskip(NEXT) | instid1(VALU_DEP_1)
	v_cvt_f32_u32_e32 v4, v4
	v_ldexp_f32 v4, v4, v5
	s_delay_alu instid0(VALU_DEP_1)
	v_cvt_f16_f32_e32 v5, v4
	s_branch .LBB183_1372
.LBB183_1370:
	s_mov_b32 s7, -1
                                        ; implicit-def: $vgpr5
.LBB183_1371:
	s_mov_b32 s12, 0
.LBB183_1372:
	s_delay_alu instid0(SALU_CYCLE_1)
	s_and_b32 vcc_lo, exec_lo, s12
	s_cbranch_vccz .LBB183_1390
; %bb.1373:
	s_cmp_lt_i32 s6, 27
	s_cbranch_scc1 .LBB183_1376
; %bb.1374:
	s_cmp_gt_i32 s6, 27
	s_cbranch_scc0 .LBB183_1377
; %bb.1375:
	global_load_b32 v4, v[0:1], off
	s_mov_b32 s9, 0
	s_wait_loadcnt 0x0
	v_cvt_f32_u32_e32 v4, v4
	s_delay_alu instid0(VALU_DEP_1)
	v_cvt_f16_f32_e32 v5, v4
	s_branch .LBB183_1378
.LBB183_1376:
	s_mov_b32 s9, -1
                                        ; implicit-def: $vgpr5
	s_branch .LBB183_1381
.LBB183_1377:
	s_mov_b32 s9, -1
                                        ; implicit-def: $vgpr5
.LBB183_1378:
	s_delay_alu instid0(SALU_CYCLE_1)
	s_and_not1_b32 vcc_lo, exec_lo, s9
	s_cbranch_vccnz .LBB183_1380
; %bb.1379:
	global_load_u16 v4, v[0:1], off
	s_wait_loadcnt 0x0
	v_cvt_f16_u16_e32 v5, v4
.LBB183_1380:
	s_mov_b32 s9, 0
.LBB183_1381:
	s_delay_alu instid0(SALU_CYCLE_1)
	s_and_not1_b32 vcc_lo, exec_lo, s9
	s_cbranch_vccnz .LBB183_1389
; %bb.1382:
	global_load_u8 v4, v[0:1], off
	s_mov_b32 s9, 0
	s_mov_b32 s12, exec_lo
	s_wait_loadcnt 0x0
	v_cmpx_lt_i16_e32 0x7f, v4
	s_xor_b32 s12, exec_lo, s12
	s_cbranch_execz .LBB183_1402
; %bb.1383:
	s_mov_b32 s9, -1
	s_mov_b32 s13, exec_lo
	v_cmpx_eq_u16_e32 0x80, v4
; %bb.1384:
	s_xor_b32 s9, exec_lo, -1
; %bb.1385:
	s_or_b32 exec_lo, exec_lo, s13
	s_delay_alu instid0(SALU_CYCLE_1)
	s_and_b32 s9, s9, exec_lo
	s_or_saveexec_b32 s12, s12
	v_mov_b32_e32 v5, 0x7e00
	s_xor_b32 exec_lo, exec_lo, s12
	s_cbranch_execnz .LBB183_1403
.LBB183_1386:
	s_or_b32 exec_lo, exec_lo, s12
	s_and_saveexec_b32 s12, s9
	s_cbranch_execz .LBB183_1388
.LBB183_1387:
	v_and_b32_e32 v5, 0xffff, v4
	s_delay_alu instid0(VALU_DEP_1) | instskip(SKIP_1) | instid1(VALU_DEP_2)
	v_and_b32_e32 v6, 7, v5
	v_bfe_u32 v9, v5, 3, 4
	v_clz_i32_u32_e32 v7, v6
	s_delay_alu instid0(VALU_DEP_2) | instskip(NEXT) | instid1(VALU_DEP_2)
	v_cmp_eq_u32_e32 vcc_lo, 0, v9
	v_min_u32_e32 v7, 32, v7
	s_delay_alu instid0(VALU_DEP_1) | instskip(NEXT) | instid1(VALU_DEP_1)
	v_subrev_nc_u32_e32 v8, 28, v7
	v_dual_lshlrev_b32 v5, v8, v5 :: v_dual_sub_nc_u32 v7, 29, v7
	s_delay_alu instid0(VALU_DEP_1) | instskip(NEXT) | instid1(VALU_DEP_1)
	v_dual_lshlrev_b32 v4, 24, v4 :: v_dual_bitop2_b32 v5, 7, v5 bitop3:0x40
	v_dual_cndmask_b32 v7, v9, v7, vcc_lo :: v_dual_cndmask_b32 v5, v6, v5, vcc_lo
	s_delay_alu instid0(VALU_DEP_2) | instskip(NEXT) | instid1(VALU_DEP_2)
	v_and_b32_e32 v4, 0x80000000, v4
	v_lshl_add_u32 v6, v7, 23, 0x3b800000
	s_delay_alu instid0(VALU_DEP_3) | instskip(NEXT) | instid1(VALU_DEP_1)
	v_lshlrev_b32_e32 v5, 20, v5
	v_or3_b32 v4, v4, v6, v5
	s_delay_alu instid0(VALU_DEP_1)
	v_cvt_f16_f32_e32 v5, v4
.LBB183_1388:
	s_or_b32 exec_lo, exec_lo, s12
.LBB183_1389:
	s_mov_b32 s9, -1
.LBB183_1390:
	s_branch .LBB183_1423
.LBB183_1391:
	s_cmp_gt_i32 s6, 22
	s_cbranch_scc0 .LBB183_1401
; %bb.1392:
	s_cmp_lt_i32 s6, 24
	s_cbranch_scc1 .LBB183_1404
; %bb.1393:
	s_cmp_gt_i32 s6, 24
	s_cbranch_scc0 .LBB183_1405
; %bb.1394:
	global_load_u8 v4, v[0:1], off
	s_mov_b32 s9, exec_lo
	s_wait_loadcnt 0x0
	v_cmpx_lt_i16_e32 0x7f, v4
	s_xor_b32 s9, exec_lo, s9
	s_cbranch_execz .LBB183_1417
; %bb.1395:
	s_mov_b32 s8, -1
	s_mov_b32 s12, exec_lo
	v_cmpx_eq_u16_e32 0x80, v4
; %bb.1396:
	s_xor_b32 s8, exec_lo, -1
; %bb.1397:
	s_or_b32 exec_lo, exec_lo, s12
	s_delay_alu instid0(SALU_CYCLE_1)
	s_and_b32 s8, s8, exec_lo
	s_or_saveexec_b32 s9, s9
	v_mov_b32_e32 v5, 0x7e00
	s_xor_b32 exec_lo, exec_lo, s9
	s_cbranch_execnz .LBB183_1418
.LBB183_1398:
	s_or_b32 exec_lo, exec_lo, s9
	s_and_saveexec_b32 s9, s8
	s_cbranch_execz .LBB183_1400
.LBB183_1399:
	v_and_b32_e32 v5, 0xffff, v4
	s_delay_alu instid0(VALU_DEP_1) | instskip(SKIP_1) | instid1(VALU_DEP_2)
	v_and_b32_e32 v6, 3, v5
	v_bfe_u32 v9, v5, 2, 5
	v_clz_i32_u32_e32 v7, v6
	s_delay_alu instid0(VALU_DEP_2) | instskip(NEXT) | instid1(VALU_DEP_2)
	v_cmp_eq_u32_e32 vcc_lo, 0, v9
	v_min_u32_e32 v7, 32, v7
	s_delay_alu instid0(VALU_DEP_1) | instskip(NEXT) | instid1(VALU_DEP_1)
	v_subrev_nc_u32_e32 v8, 29, v7
	v_dual_lshlrev_b32 v5, v8, v5 :: v_dual_sub_nc_u32 v7, 30, v7
	s_delay_alu instid0(VALU_DEP_1) | instskip(NEXT) | instid1(VALU_DEP_1)
	v_dual_lshlrev_b32 v4, 24, v4 :: v_dual_bitop2_b32 v5, 3, v5 bitop3:0x40
	v_dual_cndmask_b32 v7, v9, v7, vcc_lo :: v_dual_cndmask_b32 v5, v6, v5, vcc_lo
	s_delay_alu instid0(VALU_DEP_2) | instskip(NEXT) | instid1(VALU_DEP_2)
	v_and_b32_e32 v4, 0x80000000, v4
	v_lshl_add_u32 v6, v7, 23, 0x37800000
	s_delay_alu instid0(VALU_DEP_3) | instskip(NEXT) | instid1(VALU_DEP_1)
	v_lshlrev_b32_e32 v5, 21, v5
	v_or3_b32 v4, v4, v6, v5
	s_delay_alu instid0(VALU_DEP_1)
	v_cvt_f16_f32_e32 v5, v4
.LBB183_1400:
	s_or_b32 exec_lo, exec_lo, s9
	s_mov_b32 s8, 0
	s_branch .LBB183_1406
.LBB183_1401:
	s_mov_b32 s8, -1
                                        ; implicit-def: $vgpr5
	s_branch .LBB183_1412
.LBB183_1402:
	s_or_saveexec_b32 s12, s12
	v_mov_b32_e32 v5, 0x7e00
	s_xor_b32 exec_lo, exec_lo, s12
	s_cbranch_execz .LBB183_1386
.LBB183_1403:
	v_cmp_ne_u16_e32 vcc_lo, 0, v4
	v_mov_b32_e32 v5, v4
	s_and_not1_b32 s9, s9, exec_lo
	s_and_b32 s13, vcc_lo, exec_lo
	s_delay_alu instid0(SALU_CYCLE_1)
	s_or_b32 s9, s9, s13
	s_or_b32 exec_lo, exec_lo, s12
	s_and_saveexec_b32 s12, s9
	s_cbranch_execnz .LBB183_1387
	s_branch .LBB183_1388
.LBB183_1404:
	s_mov_b32 s8, -1
                                        ; implicit-def: $vgpr5
	s_branch .LBB183_1409
.LBB183_1405:
	s_mov_b32 s8, -1
                                        ; implicit-def: $vgpr5
.LBB183_1406:
	s_delay_alu instid0(SALU_CYCLE_1)
	s_and_b32 vcc_lo, exec_lo, s8
	s_cbranch_vccz .LBB183_1408
; %bb.1407:
	global_load_u8 v4, v[0:1], off
	s_wait_loadcnt 0x0
	v_lshlrev_b32_e32 v4, 24, v4
	s_delay_alu instid0(VALU_DEP_1) | instskip(NEXT) | instid1(VALU_DEP_1)
	v_and_b32_e32 v5, 0x7f000000, v4
	v_clz_i32_u32_e32 v6, v5
	v_cmp_ne_u32_e32 vcc_lo, 0, v5
	v_add_nc_u32_e32 v8, 0x1000000, v5
	s_delay_alu instid0(VALU_DEP_3) | instskip(NEXT) | instid1(VALU_DEP_1)
	v_min_u32_e32 v6, 32, v6
	v_sub_nc_u32_e64 v6, v6, 4 clamp
	s_delay_alu instid0(VALU_DEP_1) | instskip(NEXT) | instid1(VALU_DEP_1)
	v_dual_lshlrev_b32 v7, v6, v5 :: v_dual_lshlrev_b32 v6, 23, v6
	v_lshrrev_b32_e32 v7, 4, v7
	s_delay_alu instid0(VALU_DEP_1) | instskip(NEXT) | instid1(VALU_DEP_1)
	v_dual_sub_nc_u32 v6, v7, v6 :: v_dual_ashrrev_i32 v7, 8, v8
	v_add_nc_u32_e32 v6, 0x3c000000, v6
	s_delay_alu instid0(VALU_DEP_1) | instskip(NEXT) | instid1(VALU_DEP_1)
	v_and_or_b32 v6, 0x7f800000, v7, v6
	v_cndmask_b32_e32 v5, 0, v6, vcc_lo
	s_delay_alu instid0(VALU_DEP_1) | instskip(NEXT) | instid1(VALU_DEP_1)
	v_and_or_b32 v4, 0x80000000, v4, v5
	v_cvt_f16_f32_e32 v5, v4
.LBB183_1408:
	s_mov_b32 s8, 0
.LBB183_1409:
	s_delay_alu instid0(SALU_CYCLE_1)
	s_and_not1_b32 vcc_lo, exec_lo, s8
	s_cbranch_vccnz .LBB183_1411
; %bb.1410:
	global_load_u8 v4, v[0:1], off
	s_wait_loadcnt 0x0
	v_lshlrev_b32_e32 v5, 25, v4
	v_lshlrev_b16 v4, 8, v4
	s_delay_alu instid0(VALU_DEP_1) | instskip(SKIP_1) | instid1(VALU_DEP_2)
	v_and_or_b32 v7, 0x7f00, v4, 0.5
	v_bfe_i32 v4, v4, 0, 16
	v_dual_add_f32 v7, -0.5, v7 :: v_dual_lshrrev_b32 v6, 4, v5
	v_cmp_gt_u32_e32 vcc_lo, 0x8000000, v5
	s_delay_alu instid0(VALU_DEP_2) | instskip(NEXT) | instid1(VALU_DEP_1)
	v_or_b32_e32 v6, 0x70000000, v6
	v_mul_f32_e32 v6, 0x7800000, v6
	s_delay_alu instid0(VALU_DEP_1) | instskip(NEXT) | instid1(VALU_DEP_1)
	v_cndmask_b32_e32 v5, v6, v7, vcc_lo
	v_and_or_b32 v4, 0x80000000, v4, v5
	s_delay_alu instid0(VALU_DEP_1)
	v_cvt_f16_f32_e32 v5, v4
.LBB183_1411:
	s_mov_b32 s8, 0
	s_mov_b32 s9, -1
.LBB183_1412:
	s_and_not1_b32 vcc_lo, exec_lo, s8
	s_mov_b32 s8, 0
	s_cbranch_vccnz .LBB183_1423
; %bb.1413:
	s_cmp_gt_i32 s6, 14
	s_cbranch_scc0 .LBB183_1416
; %bb.1414:
	s_cmp_eq_u32 s6, 15
	s_cbranch_scc0 .LBB183_1419
; %bb.1415:
	global_load_u16 v4, v[0:1], off
	s_mov_b32 s7, 0
	s_mov_b32 s9, -1
	s_wait_loadcnt 0x0
	v_lshlrev_b32_e32 v4, 16, v4
	s_delay_alu instid0(VALU_DEP_1)
	v_cvt_f16_f32_e32 v5, v4
	s_branch .LBB183_1421
.LBB183_1416:
	s_mov_b32 s8, -1
	s_branch .LBB183_1420
.LBB183_1417:
	s_or_saveexec_b32 s9, s9
	v_mov_b32_e32 v5, 0x7e00
	s_xor_b32 exec_lo, exec_lo, s9
	s_cbranch_execz .LBB183_1398
.LBB183_1418:
	v_cmp_ne_u16_e32 vcc_lo, 0, v4
	v_mov_b32_e32 v5, v4
	s_and_not1_b32 s8, s8, exec_lo
	s_and_b32 s12, vcc_lo, exec_lo
	s_delay_alu instid0(SALU_CYCLE_1)
	s_or_b32 s8, s8, s12
	s_or_b32 exec_lo, exec_lo, s9
	s_and_saveexec_b32 s9, s8
	s_cbranch_execnz .LBB183_1399
	s_branch .LBB183_1400
.LBB183_1419:
	s_mov_b32 s7, -1
.LBB183_1420:
                                        ; implicit-def: $vgpr5
.LBB183_1421:
	s_and_b32 vcc_lo, exec_lo, s8
	s_mov_b32 s8, 0
	s_cbranch_vccz .LBB183_1423
; %bb.1422:
	s_cmp_lg_u32 s6, 11
	s_mov_b32 s8, -1
	s_cselect_b32 s6, -1, 0
	s_and_not1_b32 s7, s7, exec_lo
	s_and_b32 s6, s6, exec_lo
	s_delay_alu instid0(SALU_CYCLE_1)
	s_or_b32 s7, s7, s6
.LBB183_1423:
	s_mov_b32 s6, 0
.LBB183_1424:
	s_and_b32 s12, s9, exec_lo
	s_and_not1_b32 s9, s41, exec_lo
	s_and_b32 s13, s7, exec_lo
	s_and_b32 s6, s6, exec_lo
	;; [unrolled: 1-line block ×3, first 2 shown]
	s_or_b32 s41, s9, s13
	s_wait_xcnt 0x0
	s_or_b32 exec_lo, exec_lo, s3
	s_and_saveexec_b32 s3, s41
	s_cbranch_execz .LBB183_1353
.LBB183_1425:
	s_or_b32 s1, s1, exec_lo
	s_and_not1_b32 s7, s7, exec_lo
	s_trap 2
	s_or_b32 exec_lo, exec_lo, s3
	s_and_saveexec_b32 s3, s7
	s_delay_alu instid0(SALU_CYCLE_1)
	s_xor_b32 s3, exec_lo, s3
	s_cbranch_execnz .LBB183_1354
.LBB183_1426:
	s_or_b32 exec_lo, exec_lo, s3
	s_and_saveexec_b32 s3, s6
	s_cbranch_execz .LBB183_1472
.LBB183_1427:
	s_sext_i32_i16 s6, s2
	s_delay_alu instid0(SALU_CYCLE_1)
	s_cmp_lt_i32 s6, 5
	s_cbranch_scc1 .LBB183_1432
; %bb.1428:
	s_cmp_lt_i32 s6, 8
	s_cbranch_scc1 .LBB183_1433
; %bb.1429:
	;; [unrolled: 3-line block ×3, first 2 shown]
	s_cmp_gt_i32 s6, 9
	s_cbranch_scc0 .LBB183_1435
; %bb.1431:
	s_wait_loadcnt 0x0
	global_load_b64 v[4:5], v[0:1], off
	s_mov_b32 s6, 0
	s_wait_loadcnt 0x0
	v_and_or_b32 v4, 0x1ff, v5, v4
	v_lshrrev_b32_e32 v6, 8, v5
	v_bfe_u32 v7, v5, 20, 11
	v_lshrrev_b32_e32 v5, 16, v5
	s_delay_alu instid0(VALU_DEP_4) | instskip(NEXT) | instid1(VALU_DEP_3)
	v_cmp_ne_u32_e32 vcc_lo, 0, v4
	v_sub_nc_u32_e32 v8, 0x3f1, v7
	v_add_nc_u32_e32 v7, 0xfffffc10, v7
	v_cndmask_b32_e64 v4, 0, 1, vcc_lo
	s_delay_alu instid0(VALU_DEP_1) | instskip(NEXT) | instid1(VALU_DEP_4)
	v_and_or_b32 v4, 0xffe, v6, v4
	v_med3_i32 v6, v8, 0, 13
	s_delay_alu instid0(VALU_DEP_2) | instskip(NEXT) | instid1(VALU_DEP_1)
	v_or_b32_e32 v8, 0x1000, v4
	v_lshrrev_b32_e32 v9, v6, v8
	s_delay_alu instid0(VALU_DEP_1) | instskip(NEXT) | instid1(VALU_DEP_1)
	v_lshlrev_b32_e32 v6, v6, v9
	v_cmp_ne_u32_e32 vcc_lo, v6, v8
	v_lshl_or_b32 v8, v7, 12, v4
	v_cndmask_b32_e64 v6, 0, 1, vcc_lo
	v_cmp_gt_i32_e32 vcc_lo, 1, v7
	s_delay_alu instid0(VALU_DEP_2) | instskip(NEXT) | instid1(VALU_DEP_1)
	v_or_b32_e32 v6, v9, v6
	v_cndmask_b32_e32 v6, v8, v6, vcc_lo
	s_delay_alu instid0(VALU_DEP_1) | instskip(NEXT) | instid1(VALU_DEP_1)
	v_dual_lshrrev_b32 v6, 2, v6 :: v_dual_bitop2_b32 v8, 7, v6 bitop3:0x40
	v_cmp_lt_i32_e32 vcc_lo, 5, v8
	v_cndmask_b32_e64 v9, 0, 1, vcc_lo
	v_cmp_eq_u32_e32 vcc_lo, 3, v8
	v_cndmask_b32_e64 v8, 0, 1, vcc_lo
	v_cmp_ne_u32_e32 vcc_lo, 0, v4
	s_delay_alu instid0(VALU_DEP_2) | instskip(NEXT) | instid1(VALU_DEP_1)
	v_or_b32_e32 v8, v8, v9
	v_dual_mov_b32 v9, 0x7e00 :: v_dual_add_nc_u32 v6, v6, v8
	s_delay_alu instid0(VALU_DEP_1) | instskip(SKIP_1) | instid1(VALU_DEP_3)
	v_cndmask_b32_e32 v4, 0x7c00, v9, vcc_lo
	v_cmp_gt_i32_e32 vcc_lo, 31, v7
	v_cndmask_b32_e32 v6, 0x7c00, v6, vcc_lo
	v_cmp_eq_u32_e32 vcc_lo, 0x40f, v7
	s_delay_alu instid0(VALU_DEP_2) | instskip(NEXT) | instid1(VALU_DEP_1)
	v_cndmask_b32_e32 v4, v6, v4, vcc_lo
	v_and_or_b32 v5, 0x8000, v5, v4
	s_branch .LBB183_1436
.LBB183_1432:
                                        ; implicit-def: $vgpr5
	s_branch .LBB183_1453
.LBB183_1433:
                                        ; implicit-def: $vgpr5
	s_branch .LBB183_1442
.LBB183_1434:
	s_mov_b32 s6, -1
                                        ; implicit-def: $vgpr5
	s_branch .LBB183_1439
.LBB183_1435:
	s_mov_b32 s6, -1
                                        ; implicit-def: $vgpr5
.LBB183_1436:
	s_delay_alu instid0(SALU_CYCLE_1)
	s_and_not1_b32 vcc_lo, exec_lo, s6
	s_cbranch_vccnz .LBB183_1438
; %bb.1437:
	s_wait_loadcnt 0x0
	global_load_b32 v4, v[0:1], off
	s_wait_loadcnt 0x0
	v_cvt_f16_f32_e32 v5, v4
.LBB183_1438:
	s_mov_b32 s6, 0
.LBB183_1439:
	s_delay_alu instid0(SALU_CYCLE_1)
	s_and_not1_b32 vcc_lo, exec_lo, s6
	s_cbranch_vccnz .LBB183_1441
; %bb.1440:
	s_wait_loadcnt 0x0
	global_load_b32 v5, v[0:1], off
.LBB183_1441:
	s_cbranch_execnz .LBB183_1452
.LBB183_1442:
	s_sext_i32_i16 s6, s2
	s_delay_alu instid0(SALU_CYCLE_1)
	s_cmp_lt_i32 s6, 6
	s_cbranch_scc1 .LBB183_1445
; %bb.1443:
	s_cmp_gt_i32 s6, 6
	s_cbranch_scc0 .LBB183_1446
; %bb.1444:
	s_wait_loadcnt 0x0
	global_load_b64 v[4:5], v[0:1], off
	s_mov_b32 s6, 0
	s_wait_loadcnt 0x0
	v_and_or_b32 v4, 0x1ff, v5, v4
	v_lshrrev_b32_e32 v6, 8, v5
	v_bfe_u32 v7, v5, 20, 11
	v_lshrrev_b32_e32 v5, 16, v5
	s_delay_alu instid0(VALU_DEP_4) | instskip(NEXT) | instid1(VALU_DEP_3)
	v_cmp_ne_u32_e32 vcc_lo, 0, v4
	v_sub_nc_u32_e32 v8, 0x3f1, v7
	v_add_nc_u32_e32 v7, 0xfffffc10, v7
	v_cndmask_b32_e64 v4, 0, 1, vcc_lo
	s_delay_alu instid0(VALU_DEP_1) | instskip(NEXT) | instid1(VALU_DEP_4)
	v_and_or_b32 v4, 0xffe, v6, v4
	v_med3_i32 v6, v8, 0, 13
	s_delay_alu instid0(VALU_DEP_2) | instskip(NEXT) | instid1(VALU_DEP_1)
	v_or_b32_e32 v8, 0x1000, v4
	v_lshrrev_b32_e32 v9, v6, v8
	s_delay_alu instid0(VALU_DEP_1) | instskip(NEXT) | instid1(VALU_DEP_1)
	v_lshlrev_b32_e32 v6, v6, v9
	v_cmp_ne_u32_e32 vcc_lo, v6, v8
	v_lshl_or_b32 v8, v7, 12, v4
	v_cndmask_b32_e64 v6, 0, 1, vcc_lo
	v_cmp_gt_i32_e32 vcc_lo, 1, v7
	s_delay_alu instid0(VALU_DEP_2) | instskip(NEXT) | instid1(VALU_DEP_1)
	v_or_b32_e32 v6, v9, v6
	v_cndmask_b32_e32 v6, v8, v6, vcc_lo
	s_delay_alu instid0(VALU_DEP_1) | instskip(NEXT) | instid1(VALU_DEP_1)
	v_dual_lshrrev_b32 v6, 2, v6 :: v_dual_bitop2_b32 v8, 7, v6 bitop3:0x40
	v_cmp_lt_i32_e32 vcc_lo, 5, v8
	v_cndmask_b32_e64 v9, 0, 1, vcc_lo
	v_cmp_eq_u32_e32 vcc_lo, 3, v8
	v_cndmask_b32_e64 v8, 0, 1, vcc_lo
	v_cmp_ne_u32_e32 vcc_lo, 0, v4
	s_delay_alu instid0(VALU_DEP_2) | instskip(NEXT) | instid1(VALU_DEP_1)
	v_or_b32_e32 v8, v8, v9
	v_dual_mov_b32 v9, 0x7e00 :: v_dual_add_nc_u32 v6, v6, v8
	s_delay_alu instid0(VALU_DEP_1) | instskip(SKIP_1) | instid1(VALU_DEP_3)
	v_cndmask_b32_e32 v4, 0x7c00, v9, vcc_lo
	v_cmp_gt_i32_e32 vcc_lo, 31, v7
	v_cndmask_b32_e32 v6, 0x7c00, v6, vcc_lo
	v_cmp_eq_u32_e32 vcc_lo, 0x40f, v7
	s_delay_alu instid0(VALU_DEP_2) | instskip(NEXT) | instid1(VALU_DEP_1)
	v_cndmask_b32_e32 v4, v6, v4, vcc_lo
	v_and_or_b32 v5, 0x8000, v5, v4
	s_branch .LBB183_1447
.LBB183_1445:
	s_mov_b32 s6, -1
                                        ; implicit-def: $vgpr5
	s_branch .LBB183_1450
.LBB183_1446:
	s_mov_b32 s6, -1
                                        ; implicit-def: $vgpr5
.LBB183_1447:
	s_delay_alu instid0(SALU_CYCLE_1)
	s_and_not1_b32 vcc_lo, exec_lo, s6
	s_cbranch_vccnz .LBB183_1449
; %bb.1448:
	s_wait_loadcnt 0x0
	global_load_b32 v4, v[0:1], off
	s_wait_loadcnt 0x0
	v_cvt_f16_f32_e32 v5, v4
.LBB183_1449:
	s_mov_b32 s6, 0
.LBB183_1450:
	s_delay_alu instid0(SALU_CYCLE_1)
	s_and_not1_b32 vcc_lo, exec_lo, s6
	s_cbranch_vccnz .LBB183_1452
; %bb.1451:
	s_wait_loadcnt 0x0
	global_load_u16 v5, v[0:1], off
.LBB183_1452:
	s_cbranch_execnz .LBB183_1471
.LBB183_1453:
	s_sext_i32_i16 s6, s2
	s_delay_alu instid0(SALU_CYCLE_1)
	s_cmp_lt_i32 s6, 2
	s_cbranch_scc1 .LBB183_1457
; %bb.1454:
	s_cmp_lt_i32 s6, 3
	s_cbranch_scc1 .LBB183_1458
; %bb.1455:
	s_cmp_gt_i32 s6, 3
	s_cbranch_scc0 .LBB183_1459
; %bb.1456:
	s_wait_loadcnt 0x0
	global_load_b64 v[4:5], v[0:1], off
	s_mov_b32 s6, 0
	s_wait_loadcnt 0x0
	v_xor_b32_e32 v6, v4, v5
	v_cls_i32_e32 v7, v5
	s_delay_alu instid0(VALU_DEP_2) | instskip(NEXT) | instid1(VALU_DEP_1)
	v_ashrrev_i32_e32 v6, 31, v6
	v_add_nc_u32_e32 v6, 32, v6
	s_delay_alu instid0(VALU_DEP_1) | instskip(NEXT) | instid1(VALU_DEP_1)
	v_add_min_u32_e64 v6, v7, -1, v6
	v_lshlrev_b64_e32 v[4:5], v6, v[4:5]
	s_delay_alu instid0(VALU_DEP_1) | instskip(NEXT) | instid1(VALU_DEP_1)
	v_min_u32_e32 v4, 1, v4
	v_dual_sub_nc_u32 v5, 32, v6 :: v_dual_bitop2_b32 v4, v5, v4 bitop3:0x54
	s_delay_alu instid0(VALU_DEP_1) | instskip(NEXT) | instid1(VALU_DEP_1)
	v_cvt_f32_i32_e32 v4, v4
	v_ldexp_f32 v4, v4, v5
	s_delay_alu instid0(VALU_DEP_1)
	v_cvt_f16_f32_e32 v5, v4
	s_branch .LBB183_1460
.LBB183_1457:
                                        ; implicit-def: $vgpr5
	s_branch .LBB183_1466
.LBB183_1458:
	s_mov_b32 s6, -1
                                        ; implicit-def: $vgpr5
	s_branch .LBB183_1463
.LBB183_1459:
	s_mov_b32 s6, -1
                                        ; implicit-def: $vgpr5
.LBB183_1460:
	s_delay_alu instid0(SALU_CYCLE_1)
	s_and_not1_b32 vcc_lo, exec_lo, s6
	s_cbranch_vccnz .LBB183_1462
; %bb.1461:
	s_wait_loadcnt 0x0
	global_load_b32 v4, v[0:1], off
	s_wait_loadcnt 0x0
	v_cvt_f32_i32_e32 v4, v4
	s_delay_alu instid0(VALU_DEP_1)
	v_cvt_f16_f32_e32 v5, v4
.LBB183_1462:
	s_mov_b32 s6, 0
.LBB183_1463:
	s_delay_alu instid0(SALU_CYCLE_1)
	s_and_not1_b32 vcc_lo, exec_lo, s6
	s_cbranch_vccnz .LBB183_1465
; %bb.1464:
	s_wait_loadcnt 0x0
	global_load_u16 v4, v[0:1], off
	s_wait_loadcnt 0x0
	v_cvt_f16_i16_e32 v5, v4
.LBB183_1465:
	s_cbranch_execnz .LBB183_1471
.LBB183_1466:
	s_sext_i32_i16 s2, s2
	s_delay_alu instid0(SALU_CYCLE_1)
	s_cmp_gt_i32 s2, 0
	s_mov_b32 s2, 0
	s_cbranch_scc0 .LBB183_1468
; %bb.1467:
	s_wait_loadcnt 0x0
	global_load_i8 v4, v[0:1], off
	s_wait_loadcnt 0x0
	v_cvt_f16_i16_e32 v5, v4
	s_branch .LBB183_1469
.LBB183_1468:
	s_mov_b32 s2, -1
                                        ; implicit-def: $vgpr5
.LBB183_1469:
	s_delay_alu instid0(SALU_CYCLE_1)
	s_and_not1_b32 vcc_lo, exec_lo, s2
	s_cbranch_vccnz .LBB183_1471
; %bb.1470:
	s_wait_loadcnt 0x0
	global_load_u8 v0, v[0:1], off
	s_wait_loadcnt 0x0
	v_cvt_f16_u16_e32 v5, v0
.LBB183_1471:
	s_or_b32 s12, s12, exec_lo
.LBB183_1472:
	s_wait_xcnt 0x0
	s_or_b32 exec_lo, exec_lo, s3
	s_mov_b32 s8, 0
	s_mov_b32 s7, 0
                                        ; implicit-def: $sgpr2
                                        ; implicit-def: $sgpr3
                                        ; implicit-def: $vgpr0_vgpr1
	s_and_saveexec_b32 s6, s12
	s_cbranch_execz .LBB183_1480
; %bb.1473:
	s_wait_loadcnt 0x0
	v_cmp_eq_f16_e32 vcc_lo, v3, v5
	s_and_b32 s3, s11, 0xff
	s_delay_alu instid0(SALU_CYCLE_1) | instskip(SKIP_4) | instid1(VALU_DEP_1)
	s_cmp_lt_i32 s3, 11
	v_cndmask_b32_e64 v0, 0, 1, vcc_lo
	v_cmp_neq_f16_e32 vcc_lo, v3, v5
	v_mov_b32_e32 v3, 0
	v_cndmask_b32_e64 v1, 0, 1, vcc_lo
	v_cndmask_b32_e64 v0, v1, v0, s0
	s_delay_alu instid0(VALU_DEP_1) | instskip(NEXT) | instid1(VALU_DEP_4)
	v_and_b32_e32 v4, 1, v0
	v_add_nc_u64_e32 v[0:1], s[4:5], v[2:3]
	s_delay_alu instid0(VALU_DEP_2)
	v_cmp_eq_u32_e64 s2, 1, v4
	s_cbranch_scc1 .LBB183_1483
; %bb.1474:
	s_and_b32 s4, 0xffff, s3
	s_mov_b32 s5, -1
	s_cmp_gt_i32 s4, 25
	s_mov_b32 s0, s10
	s_cbranch_scc0 .LBB183_1511
; %bb.1475:
	s_cmp_gt_i32 s4, 28
	s_mov_b32 s0, s10
	s_cbranch_scc0 .LBB183_1495
; %bb.1476:
	;; [unrolled: 4-line block ×4, first 2 shown]
	s_cmp_eq_u32 s4, 46
	s_mov_b32 s0, -1
	s_cbranch_scc0 .LBB183_1484
; %bb.1479:
	v_cndmask_b32_e64 v2, 0, 1.0, s2
	s_mov_b32 s0, 0
	s_mov_b32 s5, 0
	s_delay_alu instid0(VALU_DEP_1) | instskip(NEXT) | instid1(VALU_DEP_1)
	v_bfe_u32 v3, v2, 16, 1
	v_add3_u32 v2, v2, v3, 0x7fff
	s_delay_alu instid0(VALU_DEP_1)
	v_lshrrev_b32_e32 v2, 16, v2
	global_store_b32 v[0:1], v2, off
	s_branch .LBB183_1485
.LBB183_1480:
	s_or_b32 exec_lo, exec_lo, s6
	s_and_saveexec_b32 s0, s10
	s_cbranch_execnz .LBB183_1553
.LBB183_1481:
	s_or_b32 exec_lo, exec_lo, s0
	s_and_saveexec_b32 s0, s8
	s_delay_alu instid0(SALU_CYCLE_1)
	s_xor_b32 s0, exec_lo, s0
	s_cbranch_execz .LBB183_1554
.LBB183_1482:
	v_cndmask_b32_e64 v2, 0, 1, s2
	s_wait_loadcnt 0x0
	global_store_b8 v[0:1], v2, off
	s_wait_xcnt 0x0
	s_or_b32 exec_lo, exec_lo, s0
	s_and_saveexec_b32 s0, s7
	s_delay_alu instid0(SALU_CYCLE_1)
	s_xor_b32 s0, exec_lo, s0
	s_cbranch_execz .LBB183_1592
	s_branch .LBB183_1555
.LBB183_1483:
	s_mov_b32 s5, -1
	s_mov_b32 s0, s10
	s_branch .LBB183_1552
.LBB183_1484:
	s_mov_b32 s5, 0
.LBB183_1485:
	s_delay_alu instid0(SALU_CYCLE_1)
	s_and_b32 vcc_lo, exec_lo, s5
	s_cbranch_vccz .LBB183_1490
; %bb.1486:
	s_cmp_eq_u32 s4, 44
	s_mov_b32 s0, -1
	s_cbranch_scc0 .LBB183_1490
; %bb.1487:
	v_cndmask_b32_e64 v4, 0, 1.0, s2
	s_mov_b32 s5, exec_lo
	s_wait_xcnt 0x0
	s_delay_alu instid0(VALU_DEP_1) | instskip(NEXT) | instid1(VALU_DEP_1)
	v_dual_mov_b32 v3, 0xff :: v_dual_lshrrev_b32 v2, 23, v4
	v_cmpx_ne_u32_e32 0xff, v2
; %bb.1488:
	v_and_b32_e32 v3, 0x400000, v4
	v_and_or_b32 v4, 0x3fffff, v4, v2
	s_delay_alu instid0(VALU_DEP_2) | instskip(NEXT) | instid1(VALU_DEP_2)
	v_cmp_ne_u32_e32 vcc_lo, 0, v3
	v_cmp_ne_u32_e64 s0, 0, v4
	s_and_b32 s0, vcc_lo, s0
	s_delay_alu instid0(SALU_CYCLE_1) | instskip(NEXT) | instid1(VALU_DEP_1)
	v_cndmask_b32_e64 v3, 0, 1, s0
	v_add_nc_u32_e32 v3, v2, v3
; %bb.1489:
	s_or_b32 exec_lo, exec_lo, s5
	s_mov_b32 s0, 0
	global_store_b8 v[0:1], v3, off
.LBB183_1490:
	s_mov_b32 s5, 0
.LBB183_1491:
	s_delay_alu instid0(SALU_CYCLE_1)
	s_and_b32 vcc_lo, exec_lo, s5
	s_cbranch_vccz .LBB183_1494
; %bb.1492:
	s_cmp_eq_u32 s4, 29
	s_mov_b32 s0, -1
	s_cbranch_scc0 .LBB183_1494
; %bb.1493:
	s_mov_b32 s0, 0
	s_wait_xcnt 0x0
	v_cndmask_b32_e64 v2, 0, 1, s2
	v_mov_b32_e32 v3, s0
	s_mov_b32 s5, 0
	global_store_b64 v[0:1], v[2:3], off
	s_branch .LBB183_1495
.LBB183_1494:
	s_mov_b32 s5, 0
.LBB183_1495:
	s_delay_alu instid0(SALU_CYCLE_1)
	s_and_b32 vcc_lo, exec_lo, s5
	s_cbranch_vccz .LBB183_1510
; %bb.1496:
	s_cmp_lt_i32 s4, 27
	s_mov_b32 s5, -1
	s_cbranch_scc1 .LBB183_1502
; %bb.1497:
	s_cmp_gt_i32 s4, 27
	s_cbranch_scc0 .LBB183_1499
; %bb.1498:
	s_wait_xcnt 0x0
	v_cndmask_b32_e64 v2, 0, 1, s2
	s_mov_b32 s5, 0
	global_store_b32 v[0:1], v2, off
.LBB183_1499:
	s_and_not1_b32 vcc_lo, exec_lo, s5
	s_cbranch_vccnz .LBB183_1501
; %bb.1500:
	s_wait_xcnt 0x0
	v_cndmask_b32_e64 v2, 0, 1, s2
	global_store_b16 v[0:1], v2, off
.LBB183_1501:
	s_mov_b32 s5, 0
.LBB183_1502:
	s_delay_alu instid0(SALU_CYCLE_1)
	s_and_not1_b32 vcc_lo, exec_lo, s5
	s_cbranch_vccnz .LBB183_1510
; %bb.1503:
	s_wait_xcnt 0x0
	v_cndmask_b32_e64 v3, 0, 1.0, s2
	v_mov_b32_e32 v4, 0x80
	s_mov_b32 s5, exec_lo
	s_delay_alu instid0(VALU_DEP_2)
	v_cmpx_gt_u32_e32 0x43800000, v3
	s_cbranch_execz .LBB183_1509
; %bb.1504:
	s_mov_b32 s8, exec_lo
                                        ; implicit-def: $vgpr2
	v_cmpx_lt_u32_e32 0x3bffffff, v3
	s_xor_b32 s8, exec_lo, s8
	s_cbranch_execz .LBB183_1651
; %bb.1505:
	v_bfe_u32 v2, v3, 20, 1
	s_mov_b32 s7, exec_lo
	s_delay_alu instid0(VALU_DEP_1) | instskip(NEXT) | instid1(VALU_DEP_1)
	v_add3_u32 v2, v3, v2, 0x487ffff
                                        ; implicit-def: $vgpr3
	v_lshrrev_b32_e32 v2, 20, v2
	s_and_not1_saveexec_b32 s8, s8
	s_cbranch_execnz .LBB183_1652
.LBB183_1506:
	s_or_b32 exec_lo, exec_lo, s8
	v_mov_b32_e32 v4, 0
	s_and_saveexec_b32 s8, s7
.LBB183_1507:
	v_mov_b32_e32 v4, v2
.LBB183_1508:
	s_or_b32 exec_lo, exec_lo, s8
.LBB183_1509:
	s_delay_alu instid0(SALU_CYCLE_1)
	s_or_b32 exec_lo, exec_lo, s5
	global_store_b8 v[0:1], v4, off
.LBB183_1510:
	s_mov_b32 s5, 0
.LBB183_1511:
	s_delay_alu instid0(SALU_CYCLE_1)
	s_and_b32 vcc_lo, exec_lo, s5
	s_mov_b32 s5, 0
	s_cbranch_vccz .LBB183_1551
; %bb.1512:
	s_cmp_gt_i32 s4, 22
	s_mov_b32 s7, -1
	s_cbranch_scc0 .LBB183_1544
; %bb.1513:
	s_cmp_lt_i32 s4, 24
	s_cbranch_scc1 .LBB183_1533
; %bb.1514:
	s_cmp_gt_i32 s4, 24
	s_cbranch_scc0 .LBB183_1522
; %bb.1515:
	s_wait_xcnt 0x0
	v_cndmask_b32_e64 v3, 0, 1.0, s2
	v_mov_b32_e32 v4, 0x80
	s_mov_b32 s7, exec_lo
	s_delay_alu instid0(VALU_DEP_2)
	v_cmpx_gt_u32_e32 0x47800000, v3
	s_cbranch_execz .LBB183_1521
; %bb.1516:
	s_mov_b32 s8, 0
	s_mov_b32 s9, exec_lo
                                        ; implicit-def: $vgpr2
	v_cmpx_lt_u32_e32 0x37ffffff, v3
	s_xor_b32 s9, exec_lo, s9
	s_cbranch_execz .LBB183_1777
; %bb.1517:
	v_bfe_u32 v2, v3, 21, 1
	s_mov_b32 s8, exec_lo
	s_delay_alu instid0(VALU_DEP_1) | instskip(NEXT) | instid1(VALU_DEP_1)
	v_add3_u32 v2, v3, v2, 0x88fffff
                                        ; implicit-def: $vgpr3
	v_lshrrev_b32_e32 v2, 21, v2
	s_and_not1_saveexec_b32 s9, s9
	s_cbranch_execnz .LBB183_1778
.LBB183_1518:
	s_or_b32 exec_lo, exec_lo, s9
	v_mov_b32_e32 v4, 0
	s_and_saveexec_b32 s9, s8
.LBB183_1519:
	v_mov_b32_e32 v4, v2
.LBB183_1520:
	s_or_b32 exec_lo, exec_lo, s9
.LBB183_1521:
	s_delay_alu instid0(SALU_CYCLE_1)
	s_or_b32 exec_lo, exec_lo, s7
	s_mov_b32 s7, 0
	global_store_b8 v[0:1], v4, off
.LBB183_1522:
	s_and_b32 vcc_lo, exec_lo, s7
	s_cbranch_vccz .LBB183_1532
; %bb.1523:
	s_wait_xcnt 0x0
	v_cndmask_b32_e64 v3, 0, 1.0, s2
	s_mov_b32 s7, exec_lo
                                        ; implicit-def: $vgpr2
	s_delay_alu instid0(VALU_DEP_1)
	v_cmpx_gt_u32_e32 0x43f00000, v3
	s_xor_b32 s7, exec_lo, s7
	s_cbranch_execz .LBB183_1529
; %bb.1524:
	s_mov_b32 s8, exec_lo
                                        ; implicit-def: $vgpr2
	v_cmpx_lt_u32_e32 0x3c7fffff, v3
	s_xor_b32 s8, exec_lo, s8
; %bb.1525:
	v_bfe_u32 v2, v3, 20, 1
	s_delay_alu instid0(VALU_DEP_1) | instskip(NEXT) | instid1(VALU_DEP_1)
	v_add3_u32 v2, v3, v2, 0x407ffff
	v_and_b32_e32 v3, 0xff00000, v2
	v_lshrrev_b32_e32 v2, 20, v2
	s_delay_alu instid0(VALU_DEP_2) | instskip(NEXT) | instid1(VALU_DEP_2)
	v_cmp_ne_u32_e32 vcc_lo, 0x7f00000, v3
                                        ; implicit-def: $vgpr3
	v_cndmask_b32_e32 v2, 0x7e, v2, vcc_lo
; %bb.1526:
	s_and_not1_saveexec_b32 s8, s8
; %bb.1527:
	v_add_f32_e32 v2, 0x46800000, v3
; %bb.1528:
	s_or_b32 exec_lo, exec_lo, s8
                                        ; implicit-def: $vgpr3
.LBB183_1529:
	s_and_not1_saveexec_b32 s7, s7
; %bb.1530:
	v_mov_b32_e32 v2, 0x7f
	v_cmp_lt_u32_e32 vcc_lo, 0x7f800000, v3
	s_delay_alu instid0(VALU_DEP_2)
	v_cndmask_b32_e32 v2, 0x7e, v2, vcc_lo
; %bb.1531:
	s_or_b32 exec_lo, exec_lo, s7
	global_store_b8 v[0:1], v2, off
.LBB183_1532:
	s_mov_b32 s7, 0
.LBB183_1533:
	s_delay_alu instid0(SALU_CYCLE_1)
	s_and_not1_b32 vcc_lo, exec_lo, s7
	s_cbranch_vccnz .LBB183_1543
; %bb.1534:
	s_wait_xcnt 0x0
	v_cndmask_b32_e64 v3, 0, 1.0, s2
	s_mov_b32 s7, exec_lo
                                        ; implicit-def: $vgpr2
	s_delay_alu instid0(VALU_DEP_1)
	v_cmpx_gt_u32_e32 0x47800000, v3
	s_xor_b32 s7, exec_lo, s7
	s_cbranch_execz .LBB183_1540
; %bb.1535:
	s_mov_b32 s8, exec_lo
                                        ; implicit-def: $vgpr2
	v_cmpx_lt_u32_e32 0x387fffff, v3
	s_xor_b32 s8, exec_lo, s8
; %bb.1536:
	v_bfe_u32 v2, v3, 21, 1
	s_delay_alu instid0(VALU_DEP_1) | instskip(NEXT) | instid1(VALU_DEP_1)
	v_add3_u32 v2, v3, v2, 0x80fffff
                                        ; implicit-def: $vgpr3
	v_lshrrev_b32_e32 v2, 21, v2
; %bb.1537:
	s_and_not1_saveexec_b32 s8, s8
; %bb.1538:
	v_add_f32_e32 v2, 0x43000000, v3
; %bb.1539:
	s_or_b32 exec_lo, exec_lo, s8
                                        ; implicit-def: $vgpr3
.LBB183_1540:
	s_and_not1_saveexec_b32 s7, s7
; %bb.1541:
	v_mov_b32_e32 v2, 0x7f
	v_cmp_lt_u32_e32 vcc_lo, 0x7f800000, v3
	s_delay_alu instid0(VALU_DEP_2)
	v_cndmask_b32_e32 v2, 0x7c, v2, vcc_lo
; %bb.1542:
	s_or_b32 exec_lo, exec_lo, s7
	global_store_b8 v[0:1], v2, off
.LBB183_1543:
	s_mov_b32 s7, 0
.LBB183_1544:
	s_delay_alu instid0(SALU_CYCLE_1)
	s_and_not1_b32 vcc_lo, exec_lo, s7
	s_mov_b32 s8, 0
	s_cbranch_vccnz .LBB183_1552
; %bb.1545:
	s_cmp_gt_i32 s4, 14
	s_mov_b32 s7, -1
	s_cbranch_scc0 .LBB183_1549
; %bb.1546:
	s_cmp_eq_u32 s4, 15
	s_mov_b32 s0, -1
	s_cbranch_scc0 .LBB183_1548
; %bb.1547:
	s_wait_xcnt 0x0
	v_cndmask_b32_e64 v2, 0, 1.0, s2
	s_mov_b32 s0, 0
	s_delay_alu instid0(VALU_DEP_1) | instskip(NEXT) | instid1(VALU_DEP_1)
	v_bfe_u32 v3, v2, 16, 1
	v_add3_u32 v2, v2, v3, 0x7fff
	global_store_d16_hi_b16 v[0:1], v2, off
.LBB183_1548:
	s_mov_b32 s7, 0
.LBB183_1549:
	s_delay_alu instid0(SALU_CYCLE_1)
	s_and_b32 vcc_lo, exec_lo, s7
	s_cbranch_vccz .LBB183_1552
; %bb.1550:
	s_cmp_lg_u32 s4, 11
	s_mov_b32 s8, -1
	s_cselect_b32 s4, -1, 0
	s_and_not1_b32 s0, s0, exec_lo
	s_and_b32 s4, s4, exec_lo
	s_delay_alu instid0(SALU_CYCLE_1)
	s_or_b32 s0, s0, s4
	s_branch .LBB183_1552
.LBB183_1551:
	s_mov_b32 s8, 0
.LBB183_1552:
	s_and_not1_b32 s4, s10, exec_lo
	s_and_b32 s0, s0, exec_lo
	s_and_b32 s7, s5, exec_lo
	;; [unrolled: 1-line block ×3, first 2 shown]
	s_or_b32 s10, s4, s0
	s_wait_xcnt 0x0
	s_or_b32 exec_lo, exec_lo, s6
	s_and_saveexec_b32 s0, s10
	s_cbranch_execz .LBB183_1481
.LBB183_1553:
	s_or_b32 s1, s1, exec_lo
	s_and_not1_b32 s8, s8, exec_lo
	s_trap 2
	s_or_b32 exec_lo, exec_lo, s0
	s_and_saveexec_b32 s0, s8
	s_delay_alu instid0(SALU_CYCLE_1)
	s_xor_b32 s0, exec_lo, s0
	s_cbranch_execnz .LBB183_1482
.LBB183_1554:
	s_or_b32 exec_lo, exec_lo, s0
	s_and_saveexec_b32 s0, s7
	s_delay_alu instid0(SALU_CYCLE_1)
	s_xor_b32 s0, exec_lo, s0
	s_cbranch_execz .LBB183_1592
.LBB183_1555:
	s_sext_i32_i16 s5, s3
	s_mov_b32 s4, -1
	s_cmp_lt_i32 s5, 5
	s_cbranch_scc1 .LBB183_1576
; %bb.1556:
	s_cmp_lt_i32 s5, 8
	s_cbranch_scc1 .LBB183_1566
; %bb.1557:
	;; [unrolled: 3-line block ×3, first 2 shown]
	s_cmp_gt_i32 s5, 9
	s_cbranch_scc0 .LBB183_1560
; %bb.1559:
	v_cndmask_b32_e64 v2, 0, 1, s2
	v_mov_b32_e32 v4, 0
	s_mov_b32 s4, 0
	s_wait_loadcnt 0x0
	s_delay_alu instid0(VALU_DEP_2) | instskip(NEXT) | instid1(VALU_DEP_2)
	v_cvt_f64_u32_e32 v[2:3], v2
	v_mov_b32_e32 v5, v4
	global_store_b128 v[0:1], v[2:5], off
.LBB183_1560:
	s_and_not1_b32 vcc_lo, exec_lo, s4
	s_cbranch_vccnz .LBB183_1562
; %bb.1561:
	s_wait_xcnt 0x0
	v_cndmask_b32_e64 v2, 0, 1.0, s2
	s_wait_loadcnt 0x0
	v_mov_b32_e32 v3, 0
	global_store_b64 v[0:1], v[2:3], off
.LBB183_1562:
	s_mov_b32 s4, 0
.LBB183_1563:
	s_delay_alu instid0(SALU_CYCLE_1)
	s_and_not1_b32 vcc_lo, exec_lo, s4
	s_cbranch_vccnz .LBB183_1565
; %bb.1564:
	s_wait_xcnt 0x0
	v_cndmask_b32_e64 v2, 0, 1.0, s2
	s_delay_alu instid0(VALU_DEP_1) | instskip(NEXT) | instid1(VALU_DEP_1)
	v_cvt_f16_f32_e32 v2, v2
	v_and_b32_e32 v2, 0xffff, v2
	s_wait_loadcnt 0x0
	global_store_b32 v[0:1], v2, off
.LBB183_1565:
	s_mov_b32 s4, 0
.LBB183_1566:
	s_delay_alu instid0(SALU_CYCLE_1)
	s_and_not1_b32 vcc_lo, exec_lo, s4
	s_cbranch_vccnz .LBB183_1575
; %bb.1567:
	s_sext_i32_i16 s5, s3
	s_mov_b32 s4, -1
	s_cmp_lt_i32 s5, 6
	s_cbranch_scc1 .LBB183_1573
; %bb.1568:
	s_cmp_gt_i32 s5, 6
	s_cbranch_scc0 .LBB183_1570
; %bb.1569:
	s_wait_xcnt 0x0
	v_cndmask_b32_e64 v2, 0, 1, s2
	s_mov_b32 s4, 0
	s_wait_loadcnt 0x0
	s_delay_alu instid0(VALU_DEP_1)
	v_cvt_f64_u32_e32 v[2:3], v2
	global_store_b64 v[0:1], v[2:3], off
.LBB183_1570:
	s_and_not1_b32 vcc_lo, exec_lo, s4
	s_cbranch_vccnz .LBB183_1572
; %bb.1571:
	s_wait_xcnt 0x0
	v_cndmask_b32_e64 v2, 0, 1.0, s2
	s_wait_loadcnt 0x0
	global_store_b32 v[0:1], v2, off
.LBB183_1572:
	s_mov_b32 s4, 0
.LBB183_1573:
	s_delay_alu instid0(SALU_CYCLE_1)
	s_and_not1_b32 vcc_lo, exec_lo, s4
	s_cbranch_vccnz .LBB183_1575
; %bb.1574:
	s_wait_xcnt 0x0
	v_cndmask_b32_e64 v2, 0, 1.0, s2
	s_delay_alu instid0(VALU_DEP_1)
	v_cvt_f16_f32_e32 v2, v2
	s_wait_loadcnt 0x0
	global_store_b16 v[0:1], v2, off
.LBB183_1575:
	s_mov_b32 s4, 0
.LBB183_1576:
	s_delay_alu instid0(SALU_CYCLE_1)
	s_and_not1_b32 vcc_lo, exec_lo, s4
	s_cbranch_vccnz .LBB183_1592
; %bb.1577:
	s_sext_i32_i16 s5, s3
	s_mov_b32 s4, -1
	s_cmp_lt_i32 s5, 2
	s_cbranch_scc1 .LBB183_1587
; %bb.1578:
	s_cmp_lt_i32 s5, 3
	s_cbranch_scc1 .LBB183_1584
; %bb.1579:
	s_cmp_gt_i32 s5, 3
	s_cbranch_scc0 .LBB183_1581
; %bb.1580:
	s_mov_b32 s4, 0
	s_wait_xcnt 0x0
	v_cndmask_b32_e64 v2, 0, 1, s2
	s_wait_loadcnt 0x0
	v_mov_b32_e32 v3, s4
	global_store_b64 v[0:1], v[2:3], off
.LBB183_1581:
	s_and_not1_b32 vcc_lo, exec_lo, s4
	s_cbranch_vccnz .LBB183_1583
; %bb.1582:
	s_wait_xcnt 0x0
	v_cndmask_b32_e64 v2, 0, 1, s2
	s_wait_loadcnt 0x0
	global_store_b32 v[0:1], v2, off
.LBB183_1583:
	s_mov_b32 s4, 0
.LBB183_1584:
	s_delay_alu instid0(SALU_CYCLE_1)
	s_and_not1_b32 vcc_lo, exec_lo, s4
	s_cbranch_vccnz .LBB183_1586
; %bb.1585:
	s_wait_xcnt 0x0
	v_cndmask_b32_e64 v2, 0, 1, s2
	s_wait_loadcnt 0x0
	global_store_b16 v[0:1], v2, off
.LBB183_1586:
	s_mov_b32 s4, 0
.LBB183_1587:
	s_delay_alu instid0(SALU_CYCLE_1)
	s_and_not1_b32 vcc_lo, exec_lo, s4
	s_cbranch_vccnz .LBB183_1592
; %bb.1588:
	s_wait_xcnt 0x0
	v_cndmask_b32_e64 v2, 0, 1, s2
	s_sext_i32_i16 s3, s3
	s_mov_b32 s2, -1
	s_cmp_gt_i32 s3, 0
	s_cbranch_scc0 .LBB183_1590
; %bb.1589:
	s_mov_b32 s2, 0
	s_wait_loadcnt 0x0
	global_store_b8 v[0:1], v2, off
.LBB183_1590:
	s_and_not1_b32 vcc_lo, exec_lo, s2
	s_cbranch_vccnz .LBB183_1592
; %bb.1591:
	s_wait_loadcnt 0x0
	global_store_b8 v[0:1], v2, off
.LBB183_1592:
	s_wait_xcnt 0x0
	s_or_b32 exec_lo, exec_lo, s0
	s_delay_alu instid0(SALU_CYCLE_1)
	s_and_b32 s3, s1, exec_lo
                                        ; implicit-def: $vgpr1
                                        ; implicit-def: $vgpr0
.LBB183_1593:
	s_or_saveexec_b32 s8, s35
	s_mov_b32 s0, 0
                                        ; implicit-def: $sgpr1
                                        ; implicit-def: $vgpr2_vgpr3
                                        ; implicit-def: $sgpr6
	s_xor_b32 exec_lo, exec_lo, s8
	s_cbranch_execz .LBB183_3114
; %bb.1594:
	s_wait_loadcnt 0x0
	v_cndmask_b32_e64 v3, 0, 1, s34
	s_and_not1_b32 vcc_lo, exec_lo, s34
	s_cbranch_vccnz .LBB183_1600
; %bb.1595:
	s_cmp_lg_u32 s30, 0
	s_mov_b32 s2, 0
	s_cbranch_scc0 .LBB183_1604
; %bb.1596:
	s_min_u32 s4, s31, 15
	v_dual_mov_b32 v6, 0 :: v_dual_mov_b32 v2, v0
	v_dual_mov_b32 v22, 0 :: v_dual_mov_b32 v20, 0
	s_add_co_i32 s5, s4, 1
	s_mov_b64 s[0:1], 0xffffffffffffffe8
	s_and_b32 s5, s5, 30
	s_add_nc_u64 s[0:1], s[20:21], s[0:1]
.LBB183_1597:                           ; =>This Inner Loop Header: Depth=1
	s_clause 0x3
	s_load_b128 s[12:15], s[0:1], 0x1c
	s_load_b64 s[6:7], s[0:1], 0x2c
	s_load_b128 s[16:19], s[0:1], 0xdc
	s_load_b64 s[10:11], s[0:1], 0xec
	s_add_co_i32 s5, s5, -2
	s_wait_xcnt 0x0
	s_add_nc_u64 s[0:1], s[0:1], 24
	s_cmp_lg_u32 s5, 0
	s_wait_kmcnt 0x0
	v_mul_hi_u32 v4, s13, v2
	s_delay_alu instid0(VALU_DEP_1) | instskip(NEXT) | instid1(VALU_DEP_1)
	v_add_nc_u32_e32 v4, v2, v4
	v_lshrrev_b32_e32 v4, s14, v4
	s_delay_alu instid0(VALU_DEP_1) | instskip(SKIP_1) | instid1(VALU_DEP_1)
	v_mul_hi_u32 v5, s6, v4
	v_mul_lo_u32 v7, v4, s12
	v_dual_add_nc_u32 v5, v4, v5 :: v_dual_sub_nc_u32 v7, v2, v7
	s_delay_alu instid0(VALU_DEP_1) | instskip(NEXT) | instid1(VALU_DEP_2)
	v_lshrrev_b32_e32 v2, s7, v5
	v_mad_u32 v6, v7, s16, v6
	v_mad_u32 v8, v7, s18, v20
	v_mad_u32 v7, v7, s17, v22
	s_delay_alu instid0(VALU_DEP_4) | instskip(NEXT) | instid1(VALU_DEP_1)
	v_mul_lo_u32 v5, v2, s15
	v_sub_nc_u32_e32 v4, v4, v5
	s_delay_alu instid0(VALU_DEP_1)
	v_mad_u32 v6, v4, s19, v6
	v_mad_u32 v20, v4, s11, v8
	;; [unrolled: 1-line block ×3, first 2 shown]
	s_cbranch_scc1 .LBB183_1597
; %bb.1598:
	s_bitcmp1_b32 s4, 0
	s_cselect_b32 s4, -1, 0
	s_delay_alu instid0(SALU_CYCLE_1)
	s_and_b32 vcc_lo, exec_lo, s4
	s_cbranch_vccnz .LBB183_1601
; %bb.1599:
	s_clause 0x1
	s_load_b96 s[4:6], s[0:1], 0x1c
	s_load_b96 s[12:14], s[0:1], 0xdc
	s_wait_kmcnt 0x0
	v_mul_hi_u32 v4, s5, v2
	s_delay_alu instid0(VALU_DEP_1) | instskip(NEXT) | instid1(VALU_DEP_1)
	v_add_nc_u32_e32 v4, v2, v4
	v_lshrrev_b32_e32 v4, s6, v4
	s_delay_alu instid0(VALU_DEP_1) | instskip(NEXT) | instid1(VALU_DEP_1)
	v_mul_lo_u32 v4, v4, s4
	v_sub_nc_u32_e32 v2, v2, v4
	s_delay_alu instid0(VALU_DEP_1)
	v_mad_u32 v6, v2, s12, v6
	v_mad_u32 v22, v2, s13, v22
	;; [unrolled: 1-line block ×3, first 2 shown]
	s_and_not1_b32 vcc_lo, exec_lo, s2
	s_cbranch_vccz .LBB183_1602
	s_branch .LBB183_1605
.LBB183_1600:
	s_mov_b32 s2, -1
                                        ; implicit-def: $vgpr20
                                        ; implicit-def: $vgpr22
                                        ; implicit-def: $vgpr6
.LBB183_1601:
	s_delay_alu instid0(SALU_CYCLE_1)
	s_and_not1_b32 vcc_lo, exec_lo, s2
	s_cbranch_vccnz .LBB183_1605
.LBB183_1602:
	s_clause 0x1
	s_load_b96 s[0:2], s[20:21], 0x4
	s_load_b96 s[4:6], s[20:21], 0xc4
	s_cmp_lt_u32 s30, 2
	s_wait_kmcnt 0x0
	v_mul_hi_u32 v2, s1, v0
	s_delay_alu instid0(VALU_DEP_1) | instskip(NEXT) | instid1(VALU_DEP_1)
	v_add_nc_u32_e32 v2, v0, v2
	v_lshrrev_b32_e32 v2, s2, v2
	s_delay_alu instid0(VALU_DEP_1) | instskip(NEXT) | instid1(VALU_DEP_1)
	v_mul_lo_u32 v4, v2, s0
	v_sub_nc_u32_e32 v4, v0, v4
	s_delay_alu instid0(VALU_DEP_1)
	v_mul_lo_u32 v6, v4, s4
	v_mul_lo_u32 v20, v4, s6
	;; [unrolled: 1-line block ×3, first 2 shown]
	s_cbranch_scc1 .LBB183_1605
; %bb.1603:
	s_clause 0x1
	s_load_b96 s[0:2], s[20:21], 0x10
	s_load_b96 s[4:6], s[20:21], 0xd0
	s_wait_kmcnt 0x0
	v_mul_hi_u32 v4, s1, v2
	s_delay_alu instid0(VALU_DEP_1) | instskip(NEXT) | instid1(VALU_DEP_1)
	v_add_nc_u32_e32 v4, v2, v4
	v_lshrrev_b32_e32 v4, s2, v4
	s_delay_alu instid0(VALU_DEP_1) | instskip(NEXT) | instid1(VALU_DEP_1)
	v_mul_lo_u32 v4, v4, s0
	v_sub_nc_u32_e32 v2, v2, v4
	s_delay_alu instid0(VALU_DEP_1)
	v_mad_u32 v6, v2, s4, v6
	v_mad_u32 v22, v2, s5, v22
	;; [unrolled: 1-line block ×3, first 2 shown]
	s_branch .LBB183_1605
.LBB183_1604:
	v_dual_mov_b32 v20, 0 :: v_dual_mov_b32 v22, 0
	v_mov_b32_e32 v6, 0
	s_and_not1_b32 vcc_lo, exec_lo, s2
	s_cbranch_vccz .LBB183_1602
.LBB183_1605:
	v_cmp_ne_u32_e32 vcc_lo, 1, v3
	v_add_nc_u32_e32 v2, 0x80, v0
	s_cbranch_vccnz .LBB183_1611
; %bb.1606:
	s_cmp_lg_u32 s30, 0
	s_mov_b32 s2, 0
	s_cbranch_scc0 .LBB183_1615
; %bb.1607:
	s_min_u32 s4, s31, 15
	v_dual_mov_b32 v4, 0 :: v_dual_mov_b32 v5, v2
	v_dual_mov_b32 v18, 0 :: v_dual_mov_b32 v16, 0
	s_add_co_i32 s5, s4, 1
	s_mov_b64 s[0:1], 0xffffffffffffffe8
	s_and_b32 s5, s5, 30
	s_add_nc_u64 s[0:1], s[20:21], s[0:1]
.LBB183_1608:                           ; =>This Inner Loop Header: Depth=1
	s_clause 0x3
	s_load_b128 s[12:15], s[0:1], 0x1c
	s_load_b64 s[6:7], s[0:1], 0x2c
	s_load_b128 s[16:19], s[0:1], 0xdc
	s_load_b64 s[10:11], s[0:1], 0xec
	s_add_co_i32 s5, s5, -2
	s_wait_xcnt 0x0
	s_add_nc_u64 s[0:1], s[0:1], 24
	s_cmp_lg_u32 s5, 0
	s_wait_kmcnt 0x0
	v_mul_hi_u32 v7, s13, v5
	s_delay_alu instid0(VALU_DEP_1) | instskip(NEXT) | instid1(VALU_DEP_1)
	v_add_nc_u32_e32 v7, v5, v7
	v_lshrrev_b32_e32 v7, s14, v7
	s_delay_alu instid0(VALU_DEP_1) | instskip(SKIP_1) | instid1(VALU_DEP_1)
	v_mul_hi_u32 v8, s6, v7
	v_mul_lo_u32 v9, v7, s12
	v_dual_add_nc_u32 v8, v7, v8 :: v_dual_sub_nc_u32 v9, v5, v9
	s_delay_alu instid0(VALU_DEP_1) | instskip(NEXT) | instid1(VALU_DEP_2)
	v_lshrrev_b32_e32 v5, s7, v8
	v_mad_u32 v4, v9, s16, v4
	v_mad_u32 v10, v9, s18, v16
	;; [unrolled: 1-line block ×3, first 2 shown]
	s_delay_alu instid0(VALU_DEP_4) | instskip(NEXT) | instid1(VALU_DEP_1)
	v_mul_lo_u32 v8, v5, s15
	v_sub_nc_u32_e32 v7, v7, v8
	s_delay_alu instid0(VALU_DEP_1)
	v_mad_u32 v4, v7, s19, v4
	v_mad_u32 v16, v7, s11, v10
	;; [unrolled: 1-line block ×3, first 2 shown]
	s_cbranch_scc1 .LBB183_1608
; %bb.1609:
	s_bitcmp1_b32 s4, 0
	s_cselect_b32 s4, -1, 0
	s_delay_alu instid0(SALU_CYCLE_1)
	s_and_b32 vcc_lo, exec_lo, s4
	s_cbranch_vccnz .LBB183_1612
; %bb.1610:
	s_clause 0x1
	s_load_b96 s[4:6], s[0:1], 0x1c
	s_load_b96 s[12:14], s[0:1], 0xdc
	s_wait_kmcnt 0x0
	v_mul_hi_u32 v7, s5, v5
	s_delay_alu instid0(VALU_DEP_1) | instskip(NEXT) | instid1(VALU_DEP_1)
	v_add_nc_u32_e32 v7, v5, v7
	v_lshrrev_b32_e32 v7, s6, v7
	s_delay_alu instid0(VALU_DEP_1) | instskip(NEXT) | instid1(VALU_DEP_1)
	v_mul_lo_u32 v7, v7, s4
	v_sub_nc_u32_e32 v5, v5, v7
	s_delay_alu instid0(VALU_DEP_1)
	v_mad_u32 v4, v5, s12, v4
	v_mad_u32 v18, v5, s13, v18
	;; [unrolled: 1-line block ×3, first 2 shown]
	s_and_not1_b32 vcc_lo, exec_lo, s2
	s_cbranch_vccz .LBB183_1613
	s_branch .LBB183_1616
.LBB183_1611:
	s_mov_b32 s2, -1
                                        ; implicit-def: $vgpr16
                                        ; implicit-def: $vgpr18
                                        ; implicit-def: $vgpr4
.LBB183_1612:
	s_delay_alu instid0(SALU_CYCLE_1)
	s_and_not1_b32 vcc_lo, exec_lo, s2
	s_cbranch_vccnz .LBB183_1616
.LBB183_1613:
	s_clause 0x1
	s_load_b96 s[0:2], s[20:21], 0x4
	s_load_b96 s[4:6], s[20:21], 0xc4
	s_cmp_lt_u32 s30, 2
	s_wait_kmcnt 0x0
	v_mul_hi_u32 v4, s1, v2
	s_delay_alu instid0(VALU_DEP_1) | instskip(NEXT) | instid1(VALU_DEP_1)
	v_add_nc_u32_e32 v4, v2, v4
	v_lshrrev_b32_e32 v5, s2, v4
	s_delay_alu instid0(VALU_DEP_1) | instskip(NEXT) | instid1(VALU_DEP_1)
	v_mul_lo_u32 v4, v5, s0
	v_sub_nc_u32_e32 v2, v2, v4
	s_delay_alu instid0(VALU_DEP_1)
	v_mul_lo_u32 v4, v2, s4
	v_mul_lo_u32 v16, v2, s6
	v_mul_lo_u32 v18, v2, s5
	s_cbranch_scc1 .LBB183_1616
; %bb.1614:
	s_clause 0x1
	s_load_b96 s[0:2], s[20:21], 0x10
	s_load_b96 s[4:6], s[20:21], 0xd0
	s_wait_kmcnt 0x0
	v_mul_hi_u32 v2, s1, v5
	s_delay_alu instid0(VALU_DEP_1) | instskip(NEXT) | instid1(VALU_DEP_1)
	v_add_nc_u32_e32 v2, v5, v2
	v_lshrrev_b32_e32 v2, s2, v2
	s_delay_alu instid0(VALU_DEP_1) | instskip(NEXT) | instid1(VALU_DEP_1)
	v_mul_lo_u32 v2, v2, s0
	v_sub_nc_u32_e32 v2, v5, v2
	s_delay_alu instid0(VALU_DEP_1)
	v_mad_u32 v4, v2, s4, v4
	v_mad_u32 v18, v2, s5, v18
	;; [unrolled: 1-line block ×3, first 2 shown]
	s_branch .LBB183_1616
.LBB183_1615:
	v_dual_mov_b32 v16, 0 :: v_dual_mov_b32 v18, 0
	v_mov_b32_e32 v4, 0
	s_and_not1_b32 vcc_lo, exec_lo, s2
	s_cbranch_vccz .LBB183_1613
.LBB183_1616:
	v_cmp_ne_u32_e32 vcc_lo, 1, v3
	v_add_nc_u32_e32 v0, 0x100, v0
	s_cbranch_vccnz .LBB183_1622
; %bb.1617:
	s_cmp_lg_u32 s30, 0
	s_mov_b32 s2, 0
	s_cbranch_scc0 .LBB183_1626
; %bb.1618:
	s_min_u32 s4, s31, 15
	v_dual_mov_b32 v2, 0 :: v_dual_mov_b32 v5, v0
	v_dual_mov_b32 v14, 0 :: v_dual_mov_b32 v12, 0
	s_add_co_i32 s5, s4, 1
	s_mov_b64 s[0:1], 0xffffffffffffffe8
	s_and_b32 s5, s5, 30
	s_add_nc_u64 s[0:1], s[20:21], s[0:1]
.LBB183_1619:                           ; =>This Inner Loop Header: Depth=1
	s_clause 0x3
	s_load_b128 s[12:15], s[0:1], 0x1c
	s_load_b64 s[6:7], s[0:1], 0x2c
	s_load_b128 s[16:19], s[0:1], 0xdc
	s_load_b64 s[10:11], s[0:1], 0xec
	s_add_co_i32 s5, s5, -2
	s_wait_xcnt 0x0
	s_add_nc_u64 s[0:1], s[0:1], 24
	s_cmp_lg_u32 s5, 0
	s_wait_kmcnt 0x0
	v_mul_hi_u32 v7, s13, v5
	s_delay_alu instid0(VALU_DEP_1) | instskip(NEXT) | instid1(VALU_DEP_1)
	v_add_nc_u32_e32 v7, v5, v7
	v_lshrrev_b32_e32 v7, s14, v7
	s_delay_alu instid0(VALU_DEP_1) | instskip(SKIP_1) | instid1(VALU_DEP_1)
	v_mul_hi_u32 v8, s6, v7
	v_mul_lo_u32 v9, v7, s12
	v_dual_add_nc_u32 v8, v7, v8 :: v_dual_sub_nc_u32 v9, v5, v9
	s_delay_alu instid0(VALU_DEP_1) | instskip(NEXT) | instid1(VALU_DEP_2)
	v_lshrrev_b32_e32 v5, s7, v8
	v_mad_u32 v2, v9, s16, v2
	v_mad_u32 v10, v9, s18, v12
	;; [unrolled: 1-line block ×3, first 2 shown]
	s_delay_alu instid0(VALU_DEP_4) | instskip(NEXT) | instid1(VALU_DEP_1)
	v_mul_lo_u32 v8, v5, s15
	v_sub_nc_u32_e32 v7, v7, v8
	s_delay_alu instid0(VALU_DEP_1)
	v_mad_u32 v2, v7, s19, v2
	v_mad_u32 v12, v7, s11, v10
	;; [unrolled: 1-line block ×3, first 2 shown]
	s_cbranch_scc1 .LBB183_1619
; %bb.1620:
	s_bitcmp1_b32 s4, 0
	s_cselect_b32 s4, -1, 0
	s_delay_alu instid0(SALU_CYCLE_1)
	s_and_b32 vcc_lo, exec_lo, s4
	s_cbranch_vccnz .LBB183_1623
; %bb.1621:
	s_clause 0x1
	s_load_b96 s[4:6], s[0:1], 0x1c
	s_load_b96 s[12:14], s[0:1], 0xdc
	s_wait_kmcnt 0x0
	v_mul_hi_u32 v7, s5, v5
	s_delay_alu instid0(VALU_DEP_1) | instskip(NEXT) | instid1(VALU_DEP_1)
	v_add_nc_u32_e32 v7, v5, v7
	v_lshrrev_b32_e32 v7, s6, v7
	s_delay_alu instid0(VALU_DEP_1) | instskip(NEXT) | instid1(VALU_DEP_1)
	v_mul_lo_u32 v7, v7, s4
	v_sub_nc_u32_e32 v5, v5, v7
	s_delay_alu instid0(VALU_DEP_1)
	v_mad_u32 v2, v5, s12, v2
	v_mad_u32 v14, v5, s13, v14
	;; [unrolled: 1-line block ×3, first 2 shown]
	s_and_not1_b32 vcc_lo, exec_lo, s2
	s_cbranch_vccz .LBB183_1624
	s_branch .LBB183_1627
.LBB183_1622:
	s_mov_b32 s2, -1
                                        ; implicit-def: $vgpr12
                                        ; implicit-def: $vgpr14
                                        ; implicit-def: $vgpr2
.LBB183_1623:
	s_delay_alu instid0(SALU_CYCLE_1)
	s_and_not1_b32 vcc_lo, exec_lo, s2
	s_cbranch_vccnz .LBB183_1627
.LBB183_1624:
	s_clause 0x1
	s_load_b96 s[0:2], s[20:21], 0x4
	s_load_b96 s[4:6], s[20:21], 0xc4
	s_cmp_lt_u32 s30, 2
	s_wait_kmcnt 0x0
	v_mul_hi_u32 v2, s1, v0
	s_delay_alu instid0(VALU_DEP_1) | instskip(NEXT) | instid1(VALU_DEP_1)
	v_add_nc_u32_e32 v2, v0, v2
	v_lshrrev_b32_e32 v5, s2, v2
	s_delay_alu instid0(VALU_DEP_1) | instskip(NEXT) | instid1(VALU_DEP_1)
	v_mul_lo_u32 v2, v5, s0
	v_sub_nc_u32_e32 v0, v0, v2
	s_delay_alu instid0(VALU_DEP_1)
	v_mul_lo_u32 v2, v0, s4
	v_mul_lo_u32 v12, v0, s6
	;; [unrolled: 1-line block ×3, first 2 shown]
	s_cbranch_scc1 .LBB183_1627
; %bb.1625:
	s_clause 0x1
	s_load_b96 s[0:2], s[20:21], 0x10
	s_load_b96 s[4:6], s[20:21], 0xd0
	s_wait_kmcnt 0x0
	v_mul_hi_u32 v0, s1, v5
	s_delay_alu instid0(VALU_DEP_1) | instskip(NEXT) | instid1(VALU_DEP_1)
	v_add_nc_u32_e32 v0, v5, v0
	v_lshrrev_b32_e32 v0, s2, v0
	s_delay_alu instid0(VALU_DEP_1) | instskip(NEXT) | instid1(VALU_DEP_1)
	v_mul_lo_u32 v0, v0, s0
	v_sub_nc_u32_e32 v0, v5, v0
	s_delay_alu instid0(VALU_DEP_1)
	v_mad_u32 v2, v0, s4, v2
	v_mad_u32 v14, v0, s5, v14
	v_mad_u32 v12, v0, s6, v12
	s_branch .LBB183_1627
.LBB183_1626:
	v_dual_mov_b32 v12, 0 :: v_dual_mov_b32 v14, 0
	v_mov_b32_e32 v2, 0
	s_and_not1_b32 vcc_lo, exec_lo, s2
	s_cbranch_vccz .LBB183_1624
.LBB183_1627:
	v_cmp_ne_u32_e32 vcc_lo, 1, v3
	s_cbranch_vccnz .LBB183_1633
; %bb.1628:
	s_cmp_lg_u32 s30, 0
	s_mov_b32 s2, 0
	s_cbranch_scc0 .LBB183_1637
; %bb.1629:
	s_min_u32 s4, s31, 15
	v_dual_mov_b32 v0, 0 :: v_dual_mov_b32 v3, v1
	v_dual_mov_b32 v10, 0 :: v_dual_mov_b32 v8, 0
	s_add_co_i32 s5, s4, 1
	s_mov_b64 s[0:1], 0xffffffffffffffe8
	s_and_b32 s5, s5, 30
	s_add_nc_u64 s[0:1], s[20:21], s[0:1]
.LBB183_1630:                           ; =>This Inner Loop Header: Depth=1
	s_clause 0x3
	s_load_b128 s[12:15], s[0:1], 0x1c
	s_load_b64 s[6:7], s[0:1], 0x2c
	s_load_b128 s[16:19], s[0:1], 0xdc
	s_load_b64 s[10:11], s[0:1], 0xec
	s_add_co_i32 s5, s5, -2
	s_wait_xcnt 0x0
	s_add_nc_u64 s[0:1], s[0:1], 24
	s_cmp_lg_u32 s5, 0
	s_wait_kmcnt 0x0
	v_mul_hi_u32 v5, s13, v3
	s_delay_alu instid0(VALU_DEP_1) | instskip(NEXT) | instid1(VALU_DEP_1)
	v_add_nc_u32_e32 v5, v3, v5
	v_lshrrev_b32_e32 v5, s14, v5
	s_delay_alu instid0(VALU_DEP_1) | instskip(SKIP_1) | instid1(VALU_DEP_1)
	v_mul_hi_u32 v7, s6, v5
	v_mul_lo_u32 v9, v5, s12
	v_dual_add_nc_u32 v7, v5, v7 :: v_dual_sub_nc_u32 v9, v3, v9
	s_delay_alu instid0(VALU_DEP_1) | instskip(NEXT) | instid1(VALU_DEP_2)
	v_lshrrev_b32_e32 v3, s7, v7
	v_mad_u32 v0, v9, s16, v0
	v_mad_u32 v8, v9, s18, v8
	;; [unrolled: 1-line block ×3, first 2 shown]
	s_delay_alu instid0(VALU_DEP_4) | instskip(NEXT) | instid1(VALU_DEP_1)
	v_mul_lo_u32 v7, v3, s15
	v_sub_nc_u32_e32 v5, v5, v7
	s_delay_alu instid0(VALU_DEP_1)
	v_mad_u32 v0, v5, s19, v0
	v_mad_u32 v8, v5, s11, v8
	;; [unrolled: 1-line block ×3, first 2 shown]
	s_cbranch_scc1 .LBB183_1630
; %bb.1631:
	s_bitcmp1_b32 s4, 0
	s_cselect_b32 s4, -1, 0
	s_delay_alu instid0(SALU_CYCLE_1)
	s_and_b32 vcc_lo, exec_lo, s4
	s_cbranch_vccnz .LBB183_1634
; %bb.1632:
	s_clause 0x1
	s_load_b96 s[4:6], s[0:1], 0x1c
	s_load_b96 s[12:14], s[0:1], 0xdc
	s_wait_kmcnt 0x0
	v_mul_hi_u32 v5, s5, v3
	s_delay_alu instid0(VALU_DEP_1) | instskip(NEXT) | instid1(VALU_DEP_1)
	v_add_nc_u32_e32 v5, v3, v5
	v_lshrrev_b32_e32 v5, s6, v5
	s_delay_alu instid0(VALU_DEP_1) | instskip(NEXT) | instid1(VALU_DEP_1)
	v_mul_lo_u32 v5, v5, s4
	v_sub_nc_u32_e32 v3, v3, v5
	s_delay_alu instid0(VALU_DEP_1)
	v_mad_u32 v0, v3, s12, v0
	v_mad_u32 v10, v3, s13, v10
	;; [unrolled: 1-line block ×3, first 2 shown]
	s_and_not1_b32 vcc_lo, exec_lo, s2
	s_cbranch_vccz .LBB183_1635
	s_branch .LBB183_1638
.LBB183_1633:
	s_mov_b32 s2, -1
                                        ; implicit-def: $vgpr8
                                        ; implicit-def: $vgpr10
                                        ; implicit-def: $vgpr0
.LBB183_1634:
	s_delay_alu instid0(SALU_CYCLE_1)
	s_and_not1_b32 vcc_lo, exec_lo, s2
	s_cbranch_vccnz .LBB183_1638
.LBB183_1635:
	s_clause 0x1
	s_load_b96 s[0:2], s[20:21], 0x4
	s_load_b96 s[4:6], s[20:21], 0xc4
	s_cmp_lt_u32 s30, 2
	s_wait_kmcnt 0x0
	v_mul_hi_u32 v0, s1, v1
	s_delay_alu instid0(VALU_DEP_1) | instskip(NEXT) | instid1(VALU_DEP_1)
	v_add_nc_u32_e32 v0, v1, v0
	v_lshrrev_b32_e32 v3, s2, v0
	s_delay_alu instid0(VALU_DEP_1) | instskip(NEXT) | instid1(VALU_DEP_1)
	v_mul_lo_u32 v0, v3, s0
	v_sub_nc_u32_e32 v1, v1, v0
	s_delay_alu instid0(VALU_DEP_1)
	v_mul_lo_u32 v0, v1, s4
	v_mul_lo_u32 v8, v1, s6
	;; [unrolled: 1-line block ×3, first 2 shown]
	s_cbranch_scc1 .LBB183_1638
; %bb.1636:
	s_clause 0x1
	s_load_b96 s[0:2], s[20:21], 0x10
	s_load_b96 s[4:6], s[20:21], 0xd0
	s_wait_kmcnt 0x0
	v_mul_hi_u32 v1, s1, v3
	s_delay_alu instid0(VALU_DEP_1) | instskip(NEXT) | instid1(VALU_DEP_1)
	v_add_nc_u32_e32 v1, v3, v1
	v_lshrrev_b32_e32 v1, s2, v1
	s_delay_alu instid0(VALU_DEP_1) | instskip(NEXT) | instid1(VALU_DEP_1)
	v_mul_lo_u32 v1, v1, s0
	v_sub_nc_u32_e32 v1, v3, v1
	s_delay_alu instid0(VALU_DEP_1)
	v_mad_u32 v0, v1, s4, v0
	v_mad_u32 v10, v1, s5, v10
	;; [unrolled: 1-line block ×3, first 2 shown]
	s_branch .LBB183_1638
.LBB183_1637:
	v_dual_mov_b32 v8, 0 :: v_dual_mov_b32 v10, 0
	v_mov_b32_e32 v0, 0
	s_and_not1_b32 vcc_lo, exec_lo, s2
	s_cbranch_vccz .LBB183_1635
.LBB183_1638:
	v_mov_b32_e32 v23, 0
	s_load_b128 s[4:7], s[20:21], 0x188
	global_load_u8 v1, v23, s[20:21] offset:421
	s_wait_kmcnt 0x0
	v_add_nc_u64_e32 v[22:23], s[6:7], v[22:23]
	s_wait_loadcnt 0x0
	v_and_b32_e32 v3, 0xffff, v1
	v_readfirstlane_b32 s2, v1
	s_delay_alu instid0(VALU_DEP_2)
	v_cmp_gt_i32_e32 vcc_lo, 11, v3
	s_cbranch_vccnz .LBB183_1645
; %bb.1639:
	s_and_b32 s0, 0xffff, s2
	s_mov_b32 s10, 0
	s_cmp_gt_i32 s0, 25
	s_cbranch_scc0 .LBB183_1647
; %bb.1640:
	s_cmp_gt_i32 s0, 28
	s_cbranch_scc0 .LBB183_1648
; %bb.1641:
	;; [unrolled: 3-line block ×4, first 2 shown]
	s_cmp_eq_u32 s0, 46
	s_mov_b32 s9, 0
	s_cbranch_scc0 .LBB183_1653
; %bb.1644:
	global_load_b32 v1, v[22:23], off
	s_mov_b32 s1, 0
	s_mov_b32 s11, -1
	s_wait_loadcnt 0x0
	v_lshlrev_b32_e32 v1, 16, v1
	s_delay_alu instid0(VALU_DEP_1)
	v_cvt_f16_f32_e32 v1, v1
	s_branch .LBB183_1655
.LBB183_1645:
	s_mov_b32 s11, 0
	s_mov_b32 s9, s3
                                        ; implicit-def: $vgpr1
	s_cbranch_execnz .LBB183_1718
.LBB183_1646:
	s_and_not1_b32 vcc_lo, exec_lo, s11
	s_cbranch_vccz .LBB183_1763
	s_branch .LBB183_3112
.LBB183_1647:
	s_mov_b32 s11, 0
	s_mov_b32 s1, 0
                                        ; implicit-def: $vgpr1
	s_cbranch_execnz .LBB183_1683
	s_branch .LBB183_1714
.LBB183_1648:
	s_mov_b32 s9, -1
	s_mov_b32 s11, 0
	s_mov_b32 s1, 0
                                        ; implicit-def: $vgpr1
	s_branch .LBB183_1664
.LBB183_1649:
	s_mov_b32 s11, 0
	s_mov_b32 s1, 0
                                        ; implicit-def: $vgpr1
	s_cbranch_execnz .LBB183_1660
	s_branch .LBB183_1663
.LBB183_1650:
	s_mov_b32 s9, -1
	s_mov_b32 s11, 0
	s_mov_b32 s1, 0
	s_branch .LBB183_1654
.LBB183_1651:
	s_and_not1_saveexec_b32 s8, s8
	s_cbranch_execz .LBB183_1506
.LBB183_1652:
	v_add_f32_e32 v2, 0x46000000, v3
	s_and_not1_b32 s7, s7, exec_lo
	s_delay_alu instid0(VALU_DEP_1) | instskip(NEXT) | instid1(VALU_DEP_1)
	v_and_b32_e32 v2, 0xff, v2
	v_cmp_ne_u32_e32 vcc_lo, 0, v2
	s_and_b32 s9, vcc_lo, exec_lo
	s_delay_alu instid0(SALU_CYCLE_1)
	s_or_b32 s7, s7, s9
	s_or_b32 exec_lo, exec_lo, s8
	v_mov_b32_e32 v4, 0
	s_and_saveexec_b32 s8, s7
	s_cbranch_execnz .LBB183_1507
	s_branch .LBB183_1508
.LBB183_1653:
	s_mov_b32 s1, -1
	s_mov_b32 s11, 0
.LBB183_1654:
                                        ; implicit-def: $vgpr1
.LBB183_1655:
	s_and_b32 vcc_lo, exec_lo, s9
	s_cbranch_vccz .LBB183_1658
; %bb.1656:
	s_cmp_eq_u32 s0, 44
	s_cbranch_scc0 .LBB183_1659
; %bb.1657:
	global_load_u8 v1, v[22:23], off
	s_mov_b32 s1, 0
	s_mov_b32 s11, -1
	s_wait_loadcnt 0x0
	v_lshlrev_b32_e32 v3, 23, v1
	v_cmp_ne_u32_e32 vcc_lo, 0xff, v1
	s_delay_alu instid0(VALU_DEP_2) | instskip(NEXT) | instid1(VALU_DEP_1)
	v_cvt_f16_f32_e32 v3, v3
	v_cndmask_b32_e32 v3, 0x7e00, v3, vcc_lo
	v_cmp_ne_u32_e32 vcc_lo, 0, v1
	s_delay_alu instid0(VALU_DEP_2)
	v_cndmask_b32_e32 v1, 0, v3, vcc_lo
.LBB183_1658:
	s_branch .LBB183_1663
.LBB183_1659:
	s_mov_b32 s1, -1
                                        ; implicit-def: $vgpr1
	s_branch .LBB183_1663
.LBB183_1660:
	s_cmp_eq_u32 s0, 29
	s_cbranch_scc0 .LBB183_1662
; %bb.1661:
	global_load_b64 v[24:25], v[22:23], off
	s_mov_b32 s1, 0
	s_mov_b32 s11, -1
	s_mov_b32 s9, 0
	s_wait_loadcnt 0x0
	v_clz_i32_u32_e32 v1, v25
	s_delay_alu instid0(VALU_DEP_1) | instskip(NEXT) | instid1(VALU_DEP_1)
	v_min_u32_e32 v1, 32, v1
	v_lshlrev_b64_e32 v[24:25], v1, v[24:25]
	v_sub_nc_u32_e32 v1, 32, v1
	s_delay_alu instid0(VALU_DEP_2) | instskip(NEXT) | instid1(VALU_DEP_1)
	v_min_u32_e32 v3, 1, v24
	v_or_b32_e32 v3, v25, v3
	s_delay_alu instid0(VALU_DEP_1) | instskip(NEXT) | instid1(VALU_DEP_1)
	v_cvt_f32_u32_e32 v3, v3
	v_ldexp_f32 v1, v3, v1
	s_delay_alu instid0(VALU_DEP_1)
	v_cvt_f16_f32_e32 v1, v1
	s_branch .LBB183_1664
.LBB183_1662:
	s_mov_b32 s1, -1
                                        ; implicit-def: $vgpr1
.LBB183_1663:
	s_mov_b32 s9, 0
.LBB183_1664:
	s_delay_alu instid0(SALU_CYCLE_1)
	s_and_b32 vcc_lo, exec_lo, s9
	s_cbranch_vccz .LBB183_1682
; %bb.1665:
	s_cmp_lt_i32 s0, 27
	s_cbranch_scc1 .LBB183_1668
; %bb.1666:
	s_cmp_gt_i32 s0, 27
	s_cbranch_scc0 .LBB183_1669
; %bb.1667:
	global_load_b32 v1, v[22:23], off
	s_mov_b32 s9, 0
	s_wait_loadcnt 0x0
	v_cvt_f32_u32_e32 v1, v1
	s_delay_alu instid0(VALU_DEP_1)
	v_cvt_f16_f32_e32 v1, v1
	s_branch .LBB183_1670
.LBB183_1668:
	s_mov_b32 s9, -1
                                        ; implicit-def: $vgpr1
	s_branch .LBB183_1673
.LBB183_1669:
	s_mov_b32 s9, -1
                                        ; implicit-def: $vgpr1
.LBB183_1670:
	s_delay_alu instid0(SALU_CYCLE_1)
	s_and_not1_b32 vcc_lo, exec_lo, s9
	s_cbranch_vccnz .LBB183_1672
; %bb.1671:
	global_load_u16 v1, v[22:23], off
	s_wait_loadcnt 0x0
	v_cvt_f16_u16_e32 v1, v1
.LBB183_1672:
	s_mov_b32 s9, 0
.LBB183_1673:
	s_delay_alu instid0(SALU_CYCLE_1)
	s_and_not1_b32 vcc_lo, exec_lo, s9
	s_cbranch_vccnz .LBB183_1681
; %bb.1674:
	global_load_u8 v3, v[22:23], off
	s_mov_b32 s9, 0
	s_mov_b32 s11, exec_lo
	s_wait_loadcnt 0x0
	v_cmpx_lt_i16_e32 0x7f, v3
	s_xor_b32 s11, exec_lo, s11
	s_cbranch_execz .LBB183_1694
; %bb.1675:
	s_mov_b32 s9, -1
	s_mov_b32 s12, exec_lo
	v_cmpx_eq_u16_e32 0x80, v3
; %bb.1676:
	s_xor_b32 s9, exec_lo, -1
; %bb.1677:
	s_or_b32 exec_lo, exec_lo, s12
	s_delay_alu instid0(SALU_CYCLE_1)
	s_and_b32 s9, s9, exec_lo
	s_or_saveexec_b32 s11, s11
	v_mov_b32_e32 v1, 0x7e00
	s_xor_b32 exec_lo, exec_lo, s11
	s_cbranch_execnz .LBB183_1695
.LBB183_1678:
	s_or_b32 exec_lo, exec_lo, s11
	s_and_saveexec_b32 s11, s9
	s_cbranch_execz .LBB183_1680
.LBB183_1679:
	v_and_b32_e32 v1, 0xffff, v3
	s_delay_alu instid0(VALU_DEP_1) | instskip(SKIP_1) | instid1(VALU_DEP_2)
	v_and_b32_e32 v5, 7, v1
	v_bfe_u32 v11, v1, 3, 4
	v_clz_i32_u32_e32 v7, v5
	s_delay_alu instid0(VALU_DEP_2) | instskip(NEXT) | instid1(VALU_DEP_2)
	v_cmp_eq_u32_e32 vcc_lo, 0, v11
	v_min_u32_e32 v7, 32, v7
	s_delay_alu instid0(VALU_DEP_1) | instskip(NEXT) | instid1(VALU_DEP_1)
	v_subrev_nc_u32_e32 v9, 28, v7
	v_dual_lshlrev_b32 v1, v9, v1 :: v_dual_sub_nc_u32 v7, 29, v7
	s_delay_alu instid0(VALU_DEP_1) | instskip(NEXT) | instid1(VALU_DEP_1)
	v_dual_lshlrev_b32 v3, 24, v3 :: v_dual_bitop2_b32 v1, 7, v1 bitop3:0x40
	v_dual_cndmask_b32 v1, v5, v1, vcc_lo :: v_dual_cndmask_b32 v7, v11, v7, vcc_lo
	s_delay_alu instid0(VALU_DEP_2) | instskip(NEXT) | instid1(VALU_DEP_2)
	v_and_b32_e32 v3, 0x80000000, v3
	v_lshlrev_b32_e32 v1, 20, v1
	s_delay_alu instid0(VALU_DEP_3) | instskip(NEXT) | instid1(VALU_DEP_1)
	v_lshl_add_u32 v5, v7, 23, 0x3b800000
	v_or3_b32 v1, v3, v5, v1
	s_delay_alu instid0(VALU_DEP_1)
	v_cvt_f16_f32_e32 v1, v1
.LBB183_1680:
	s_or_b32 exec_lo, exec_lo, s11
.LBB183_1681:
	s_mov_b32 s11, -1
.LBB183_1682:
	s_branch .LBB183_1714
.LBB183_1683:
	s_cmp_gt_i32 s0, 22
	s_cbranch_scc0 .LBB183_1693
; %bb.1684:
	s_cmp_lt_i32 s0, 24
	s_cbranch_scc1 .LBB183_1696
; %bb.1685:
	s_cmp_gt_i32 s0, 24
	s_cbranch_scc0 .LBB183_1697
; %bb.1686:
	global_load_u8 v3, v[22:23], off
	s_mov_b32 s9, 0
	s_mov_b32 s10, exec_lo
	s_wait_loadcnt 0x0
	v_cmpx_lt_i16_e32 0x7f, v3
	s_xor_b32 s10, exec_lo, s10
	s_cbranch_execz .LBB183_1708
; %bb.1687:
	s_mov_b32 s9, -1
	s_mov_b32 s11, exec_lo
	v_cmpx_eq_u16_e32 0x80, v3
; %bb.1688:
	s_xor_b32 s9, exec_lo, -1
; %bb.1689:
	s_or_b32 exec_lo, exec_lo, s11
	s_delay_alu instid0(SALU_CYCLE_1)
	s_and_b32 s9, s9, exec_lo
	s_or_saveexec_b32 s10, s10
	v_mov_b32_e32 v1, 0x7e00
	s_xor_b32 exec_lo, exec_lo, s10
	s_cbranch_execnz .LBB183_1709
.LBB183_1690:
	s_or_b32 exec_lo, exec_lo, s10
	s_and_saveexec_b32 s10, s9
	s_cbranch_execz .LBB183_1692
.LBB183_1691:
	v_and_b32_e32 v1, 0xffff, v3
	s_delay_alu instid0(VALU_DEP_1) | instskip(SKIP_1) | instid1(VALU_DEP_2)
	v_and_b32_e32 v5, 3, v1
	v_bfe_u32 v11, v1, 2, 5
	v_clz_i32_u32_e32 v7, v5
	s_delay_alu instid0(VALU_DEP_2) | instskip(NEXT) | instid1(VALU_DEP_2)
	v_cmp_eq_u32_e32 vcc_lo, 0, v11
	v_min_u32_e32 v7, 32, v7
	s_delay_alu instid0(VALU_DEP_1) | instskip(NEXT) | instid1(VALU_DEP_1)
	v_subrev_nc_u32_e32 v9, 29, v7
	v_dual_lshlrev_b32 v1, v9, v1 :: v_dual_sub_nc_u32 v7, 30, v7
	s_delay_alu instid0(VALU_DEP_1) | instskip(NEXT) | instid1(VALU_DEP_1)
	v_dual_lshlrev_b32 v3, 24, v3 :: v_dual_bitop2_b32 v1, 3, v1 bitop3:0x40
	v_dual_cndmask_b32 v1, v5, v1, vcc_lo :: v_dual_cndmask_b32 v7, v11, v7, vcc_lo
	s_delay_alu instid0(VALU_DEP_2) | instskip(NEXT) | instid1(VALU_DEP_2)
	v_and_b32_e32 v3, 0x80000000, v3
	v_lshlrev_b32_e32 v1, 21, v1
	s_delay_alu instid0(VALU_DEP_3) | instskip(NEXT) | instid1(VALU_DEP_1)
	v_lshl_add_u32 v5, v7, 23, 0x37800000
	v_or3_b32 v1, v3, v5, v1
	s_delay_alu instid0(VALU_DEP_1)
	v_cvt_f16_f32_e32 v1, v1
.LBB183_1692:
	s_or_b32 exec_lo, exec_lo, s10
	s_mov_b32 s9, 0
	s_branch .LBB183_1698
.LBB183_1693:
                                        ; implicit-def: $vgpr1
	s_mov_b32 s10, 0
	s_branch .LBB183_1704
.LBB183_1694:
	s_or_saveexec_b32 s11, s11
	v_mov_b32_e32 v1, 0x7e00
	s_xor_b32 exec_lo, exec_lo, s11
	s_cbranch_execz .LBB183_1678
.LBB183_1695:
	v_cmp_ne_u16_e32 vcc_lo, 0, v3
	v_mov_b32_e32 v1, v3
	s_and_not1_b32 s9, s9, exec_lo
	s_and_b32 s12, vcc_lo, exec_lo
	s_delay_alu instid0(SALU_CYCLE_1)
	s_or_b32 s9, s9, s12
	s_or_b32 exec_lo, exec_lo, s11
	s_and_saveexec_b32 s11, s9
	s_cbranch_execnz .LBB183_1679
	s_branch .LBB183_1680
.LBB183_1696:
	s_mov_b32 s9, -1
                                        ; implicit-def: $vgpr1
	s_branch .LBB183_1701
.LBB183_1697:
	s_mov_b32 s9, -1
                                        ; implicit-def: $vgpr1
.LBB183_1698:
	s_delay_alu instid0(SALU_CYCLE_1)
	s_and_b32 vcc_lo, exec_lo, s9
	s_cbranch_vccz .LBB183_1700
; %bb.1699:
	global_load_u8 v1, v[22:23], off
	s_wait_loadcnt 0x0
	v_lshlrev_b32_e32 v1, 24, v1
	s_delay_alu instid0(VALU_DEP_1) | instskip(NEXT) | instid1(VALU_DEP_1)
	v_and_b32_e32 v3, 0x7f000000, v1
	v_clz_i32_u32_e32 v5, v3
	v_add_nc_u32_e32 v9, 0x1000000, v3
	v_cmp_ne_u32_e32 vcc_lo, 0, v3
	s_delay_alu instid0(VALU_DEP_3) | instskip(NEXT) | instid1(VALU_DEP_1)
	v_min_u32_e32 v5, 32, v5
	v_sub_nc_u32_e64 v5, v5, 4 clamp
	s_delay_alu instid0(VALU_DEP_1) | instskip(NEXT) | instid1(VALU_DEP_1)
	v_dual_lshlrev_b32 v7, v5, v3 :: v_dual_lshlrev_b32 v5, 23, v5
	v_lshrrev_b32_e32 v7, 4, v7
	s_delay_alu instid0(VALU_DEP_1) | instskip(SKIP_1) | instid1(VALU_DEP_2)
	v_sub_nc_u32_e32 v5, v7, v5
	v_ashrrev_i32_e32 v7, 8, v9
	v_add_nc_u32_e32 v5, 0x3c000000, v5
	s_delay_alu instid0(VALU_DEP_1) | instskip(NEXT) | instid1(VALU_DEP_1)
	v_and_or_b32 v5, 0x7f800000, v7, v5
	v_cndmask_b32_e32 v3, 0, v5, vcc_lo
	s_delay_alu instid0(VALU_DEP_1) | instskip(NEXT) | instid1(VALU_DEP_1)
	v_and_or_b32 v1, 0x80000000, v1, v3
	v_cvt_f16_f32_e32 v1, v1
.LBB183_1700:
	s_mov_b32 s9, 0
.LBB183_1701:
	s_delay_alu instid0(SALU_CYCLE_1)
	s_and_not1_b32 vcc_lo, exec_lo, s9
	s_cbranch_vccnz .LBB183_1703
; %bb.1702:
	global_load_u8 v1, v[22:23], off
	s_wait_loadcnt 0x0
	v_lshlrev_b32_e32 v3, 25, v1
	v_lshlrev_b16 v1, 8, v1
	s_delay_alu instid0(VALU_DEP_1) | instskip(SKIP_1) | instid1(VALU_DEP_2)
	v_and_or_b32 v7, 0x7f00, v1, 0.5
	v_bfe_i32 v1, v1, 0, 16
	v_add_f32_e32 v7, -0.5, v7
	v_lshrrev_b32_e32 v5, 4, v3
	v_cmp_gt_u32_e32 vcc_lo, 0x8000000, v3
	s_delay_alu instid0(VALU_DEP_2) | instskip(NEXT) | instid1(VALU_DEP_1)
	v_or_b32_e32 v5, 0x70000000, v5
	v_mul_f32_e32 v5, 0x7800000, v5
	s_delay_alu instid0(VALU_DEP_1) | instskip(NEXT) | instid1(VALU_DEP_1)
	v_cndmask_b32_e32 v3, v5, v7, vcc_lo
	v_and_or_b32 v1, 0x80000000, v1, v3
	s_delay_alu instid0(VALU_DEP_1)
	v_cvt_f16_f32_e32 v1, v1
.LBB183_1703:
	s_mov_b32 s11, -1
	s_mov_b32 s10, 0
	s_cbranch_execnz .LBB183_1714
.LBB183_1704:
	s_cmp_gt_i32 s0, 14
	s_cbranch_scc0 .LBB183_1707
; %bb.1705:
	s_cmp_eq_u32 s0, 15
	s_cbranch_scc0 .LBB183_1710
; %bb.1706:
	global_load_u16 v1, v[22:23], off
	s_mov_b32 s1, 0
	s_mov_b32 s11, -1
	s_wait_loadcnt 0x0
	v_lshlrev_b32_e32 v1, 16, v1
	s_delay_alu instid0(VALU_DEP_1)
	v_cvt_f16_f32_e32 v1, v1
	s_branch .LBB183_1711
.LBB183_1707:
	s_mov_b32 s9, -1
                                        ; implicit-def: $vgpr1
	s_branch .LBB183_1712
.LBB183_1708:
	s_or_saveexec_b32 s10, s10
	v_mov_b32_e32 v1, 0x7e00
	s_xor_b32 exec_lo, exec_lo, s10
	s_cbranch_execz .LBB183_1690
.LBB183_1709:
	v_cmp_ne_u16_e32 vcc_lo, 0, v3
	v_mov_b32_e32 v1, v3
	s_and_not1_b32 s9, s9, exec_lo
	s_and_b32 s11, vcc_lo, exec_lo
	s_delay_alu instid0(SALU_CYCLE_1)
	s_or_b32 s9, s9, s11
	s_or_b32 exec_lo, exec_lo, s10
	s_and_saveexec_b32 s10, s9
	s_cbranch_execnz .LBB183_1691
	s_branch .LBB183_1692
.LBB183_1710:
	s_mov_b32 s1, -1
                                        ; implicit-def: $vgpr1
.LBB183_1711:
	s_mov_b32 s9, 0
.LBB183_1712:
	s_delay_alu instid0(SALU_CYCLE_1)
	s_and_b32 vcc_lo, exec_lo, s9
	s_cbranch_vccz .LBB183_1714
; %bb.1713:
	s_cmp_lg_u32 s0, 11
	s_mov_b32 s10, -1
	s_cselect_b32 s1, -1, 0
.LBB183_1714:
	s_delay_alu instid0(SALU_CYCLE_1)
	s_and_b32 vcc_lo, exec_lo, s1
	s_mov_b32 s9, s3
	s_cbranch_vccnz .LBB183_1775
; %bb.1715:
	s_and_not1_b32 vcc_lo, exec_lo, s10
	s_cbranch_vccnz .LBB183_1717
.LBB183_1716:
	global_load_u8 v1, v[22:23], off
	s_mov_b32 s11, -1
	s_wait_loadcnt 0x0
	v_cmp_ne_u16_e32 vcc_lo, 0, v1
	v_cndmask_b32_e64 v1, 0, 0x3c00, vcc_lo
.LBB183_1717:
	s_branch .LBB183_1646
.LBB183_1718:
	s_and_b32 s0, 0xffff, s2
	s_delay_alu instid0(SALU_CYCLE_1)
	s_cmp_lt_i32 s0, 5
	s_cbranch_scc1 .LBB183_1723
; %bb.1719:
	s_cmp_lt_i32 s0, 8
	s_cbranch_scc1 .LBB183_1724
; %bb.1720:
	;; [unrolled: 3-line block ×3, first 2 shown]
	s_cmp_gt_i32 s0, 9
	s_cbranch_scc0 .LBB183_1726
; %bb.1722:
	global_load_b64 v[24:25], v[22:23], off
	s_mov_b32 s1, 0
	s_wait_loadcnt 0x0
	v_and_or_b32 v1, 0x1ff, v25, v24
	v_lshrrev_b32_e32 v3, 8, v25
	v_bfe_u32 v5, v25, 20, 11
	s_delay_alu instid0(VALU_DEP_3) | instskip(NEXT) | instid1(VALU_DEP_2)
	v_cmp_ne_u32_e32 vcc_lo, 0, v1
	v_sub_nc_u32_e32 v7, 0x3f1, v5
	v_add_nc_u32_e32 v5, 0xfffffc10, v5
	v_cndmask_b32_e64 v1, 0, 1, vcc_lo
	s_delay_alu instid0(VALU_DEP_1) | instskip(NEXT) | instid1(VALU_DEP_4)
	v_and_or_b32 v1, 0xffe, v3, v1
	v_med3_i32 v3, v7, 0, 13
	s_delay_alu instid0(VALU_DEP_2) | instskip(NEXT) | instid1(VALU_DEP_1)
	v_or_b32_e32 v7, 0x1000, v1
	v_lshrrev_b32_e32 v9, v3, v7
	s_delay_alu instid0(VALU_DEP_1) | instskip(NEXT) | instid1(VALU_DEP_1)
	v_lshlrev_b32_e32 v3, v3, v9
	v_cmp_ne_u32_e32 vcc_lo, v3, v7
	v_lshl_or_b32 v7, v5, 12, v1
	v_cndmask_b32_e64 v3, 0, 1, vcc_lo
	v_cmp_gt_i32_e32 vcc_lo, 1, v5
	s_delay_alu instid0(VALU_DEP_2) | instskip(NEXT) | instid1(VALU_DEP_1)
	v_or_b32_e32 v3, v9, v3
	v_cndmask_b32_e32 v3, v7, v3, vcc_lo
	s_delay_alu instid0(VALU_DEP_1) | instskip(NEXT) | instid1(VALU_DEP_1)
	v_and_b32_e32 v7, 7, v3
	v_cmp_lt_i32_e32 vcc_lo, 5, v7
	v_cndmask_b32_e64 v9, 0, 1, vcc_lo
	v_cmp_eq_u32_e32 vcc_lo, 3, v7
	v_cndmask_b32_e64 v7, 0, 1, vcc_lo
	v_cmp_ne_u32_e32 vcc_lo, 0, v1
	s_delay_alu instid0(VALU_DEP_2) | instskip(SKIP_1) | instid1(VALU_DEP_2)
	v_dual_lshrrev_b32 v3, 2, v3 :: v_dual_bitop2_b32 v7, v7, v9 bitop3:0x54
	v_mov_b32_e32 v9, 0x7e00
	v_add_nc_u32_e32 v3, v3, v7
	s_delay_alu instid0(VALU_DEP_2) | instskip(SKIP_1) | instid1(VALU_DEP_3)
	v_cndmask_b32_e32 v1, 0x7c00, v9, vcc_lo
	v_cmp_gt_i32_e32 vcc_lo, 31, v5
	v_cndmask_b32_e32 v3, 0x7c00, v3, vcc_lo
	v_cmp_eq_u32_e32 vcc_lo, 0x40f, v5
	s_delay_alu instid0(VALU_DEP_2) | instskip(SKIP_1) | instid1(VALU_DEP_1)
	v_cndmask_b32_e32 v1, v3, v1, vcc_lo
	v_lshrrev_b32_e32 v3, 16, v25
	v_and_or_b32 v1, 0x8000, v3, v1
	s_branch .LBB183_1727
.LBB183_1723:
                                        ; implicit-def: $vgpr1
	s_branch .LBB183_1744
.LBB183_1724:
                                        ; implicit-def: $vgpr1
	s_branch .LBB183_1733
.LBB183_1725:
	s_mov_b32 s1, -1
                                        ; implicit-def: $vgpr1
	s_branch .LBB183_1730
.LBB183_1726:
	s_mov_b32 s1, -1
                                        ; implicit-def: $vgpr1
.LBB183_1727:
	s_delay_alu instid0(SALU_CYCLE_1)
	s_and_not1_b32 vcc_lo, exec_lo, s1
	s_cbranch_vccnz .LBB183_1729
; %bb.1728:
	global_load_b32 v1, v[22:23], off
	s_wait_loadcnt 0x0
	v_cvt_f16_f32_e32 v1, v1
.LBB183_1729:
	s_mov_b32 s1, 0
.LBB183_1730:
	s_delay_alu instid0(SALU_CYCLE_1)
	s_and_not1_b32 vcc_lo, exec_lo, s1
	s_cbranch_vccnz .LBB183_1732
; %bb.1731:
	global_load_b32 v1, v[22:23], off
.LBB183_1732:
	s_cbranch_execnz .LBB183_1743
.LBB183_1733:
	s_cmp_lt_i32 s0, 6
	s_cbranch_scc1 .LBB183_1736
; %bb.1734:
	s_cmp_gt_i32 s0, 6
	s_cbranch_scc0 .LBB183_1737
; %bb.1735:
	global_load_b64 v[24:25], v[22:23], off
	s_mov_b32 s1, 0
	s_wait_loadcnt 0x0
	v_and_or_b32 v1, 0x1ff, v25, v24
	v_lshrrev_b32_e32 v3, 8, v25
	v_bfe_u32 v5, v25, 20, 11
	s_delay_alu instid0(VALU_DEP_3) | instskip(NEXT) | instid1(VALU_DEP_2)
	v_cmp_ne_u32_e32 vcc_lo, 0, v1
	v_sub_nc_u32_e32 v7, 0x3f1, v5
	v_add_nc_u32_e32 v5, 0xfffffc10, v5
	v_cndmask_b32_e64 v1, 0, 1, vcc_lo
	s_delay_alu instid0(VALU_DEP_1) | instskip(NEXT) | instid1(VALU_DEP_4)
	v_and_or_b32 v1, 0xffe, v3, v1
	v_med3_i32 v3, v7, 0, 13
	s_delay_alu instid0(VALU_DEP_2) | instskip(NEXT) | instid1(VALU_DEP_1)
	v_or_b32_e32 v7, 0x1000, v1
	v_lshrrev_b32_e32 v9, v3, v7
	s_delay_alu instid0(VALU_DEP_1) | instskip(NEXT) | instid1(VALU_DEP_1)
	v_lshlrev_b32_e32 v3, v3, v9
	v_cmp_ne_u32_e32 vcc_lo, v3, v7
	v_lshl_or_b32 v7, v5, 12, v1
	v_cndmask_b32_e64 v3, 0, 1, vcc_lo
	v_cmp_gt_i32_e32 vcc_lo, 1, v5
	s_delay_alu instid0(VALU_DEP_2) | instskip(NEXT) | instid1(VALU_DEP_1)
	v_or_b32_e32 v3, v9, v3
	v_cndmask_b32_e32 v3, v7, v3, vcc_lo
	s_delay_alu instid0(VALU_DEP_1) | instskip(NEXT) | instid1(VALU_DEP_1)
	v_and_b32_e32 v7, 7, v3
	v_cmp_lt_i32_e32 vcc_lo, 5, v7
	v_cndmask_b32_e64 v9, 0, 1, vcc_lo
	v_cmp_eq_u32_e32 vcc_lo, 3, v7
	v_cndmask_b32_e64 v7, 0, 1, vcc_lo
	v_cmp_ne_u32_e32 vcc_lo, 0, v1
	s_delay_alu instid0(VALU_DEP_2) | instskip(SKIP_1) | instid1(VALU_DEP_2)
	v_dual_lshrrev_b32 v3, 2, v3 :: v_dual_bitop2_b32 v7, v7, v9 bitop3:0x54
	v_mov_b32_e32 v9, 0x7e00
	v_add_nc_u32_e32 v3, v3, v7
	s_delay_alu instid0(VALU_DEP_2) | instskip(SKIP_1) | instid1(VALU_DEP_3)
	v_cndmask_b32_e32 v1, 0x7c00, v9, vcc_lo
	v_cmp_gt_i32_e32 vcc_lo, 31, v5
	v_cndmask_b32_e32 v3, 0x7c00, v3, vcc_lo
	v_cmp_eq_u32_e32 vcc_lo, 0x40f, v5
	s_delay_alu instid0(VALU_DEP_2) | instskip(SKIP_1) | instid1(VALU_DEP_1)
	v_cndmask_b32_e32 v1, v3, v1, vcc_lo
	v_lshrrev_b32_e32 v3, 16, v25
	v_and_or_b32 v1, 0x8000, v3, v1
	s_branch .LBB183_1738
.LBB183_1736:
	s_mov_b32 s1, -1
                                        ; implicit-def: $vgpr1
	s_branch .LBB183_1741
.LBB183_1737:
	s_mov_b32 s1, -1
                                        ; implicit-def: $vgpr1
.LBB183_1738:
	s_delay_alu instid0(SALU_CYCLE_1)
	s_and_not1_b32 vcc_lo, exec_lo, s1
	s_cbranch_vccnz .LBB183_1740
; %bb.1739:
	s_wait_loadcnt 0x0
	global_load_b32 v1, v[22:23], off
	s_wait_loadcnt 0x0
	v_cvt_f16_f32_e32 v1, v1
.LBB183_1740:
	s_mov_b32 s1, 0
.LBB183_1741:
	s_delay_alu instid0(SALU_CYCLE_1)
	s_and_not1_b32 vcc_lo, exec_lo, s1
	s_cbranch_vccnz .LBB183_1743
; %bb.1742:
	s_wait_loadcnt 0x0
	global_load_u16 v1, v[22:23], off
.LBB183_1743:
	s_cbranch_execnz .LBB183_1762
.LBB183_1744:
	s_cmp_lt_i32 s0, 2
	s_cbranch_scc1 .LBB183_1748
; %bb.1745:
	s_cmp_lt_i32 s0, 3
	s_cbranch_scc1 .LBB183_1749
; %bb.1746:
	s_cmp_gt_i32 s0, 3
	s_cbranch_scc0 .LBB183_1750
; %bb.1747:
	global_load_b64 v[24:25], v[22:23], off
	s_mov_b32 s1, 0
	s_wait_loadcnt 0x0
	v_xor_b32_e32 v1, v24, v25
	v_cls_i32_e32 v3, v25
	s_delay_alu instid0(VALU_DEP_2) | instskip(NEXT) | instid1(VALU_DEP_1)
	v_ashrrev_i32_e32 v1, 31, v1
	v_add_nc_u32_e32 v1, 32, v1
	s_delay_alu instid0(VALU_DEP_1) | instskip(NEXT) | instid1(VALU_DEP_1)
	v_add_min_u32_e64 v1, v3, -1, v1
	v_lshlrev_b64_e32 v[24:25], v1, v[24:25]
	v_sub_nc_u32_e32 v1, 32, v1
	s_delay_alu instid0(VALU_DEP_2) | instskip(NEXT) | instid1(VALU_DEP_1)
	v_min_u32_e32 v3, 1, v24
	v_or_b32_e32 v3, v25, v3
	s_delay_alu instid0(VALU_DEP_1) | instskip(NEXT) | instid1(VALU_DEP_1)
	v_cvt_f32_i32_e32 v3, v3
	v_ldexp_f32 v1, v3, v1
	s_delay_alu instid0(VALU_DEP_1)
	v_cvt_f16_f32_e32 v1, v1
	s_branch .LBB183_1751
.LBB183_1748:
                                        ; implicit-def: $vgpr1
	s_branch .LBB183_1757
.LBB183_1749:
	s_mov_b32 s1, -1
                                        ; implicit-def: $vgpr1
	s_branch .LBB183_1754
.LBB183_1750:
	s_mov_b32 s1, -1
                                        ; implicit-def: $vgpr1
.LBB183_1751:
	s_delay_alu instid0(SALU_CYCLE_1)
	s_and_not1_b32 vcc_lo, exec_lo, s1
	s_cbranch_vccnz .LBB183_1753
; %bb.1752:
	s_wait_loadcnt 0x0
	global_load_b32 v1, v[22:23], off
	s_wait_loadcnt 0x0
	v_cvt_f32_i32_e32 v1, v1
	s_delay_alu instid0(VALU_DEP_1)
	v_cvt_f16_f32_e32 v1, v1
.LBB183_1753:
	s_mov_b32 s1, 0
.LBB183_1754:
	s_delay_alu instid0(SALU_CYCLE_1)
	s_and_not1_b32 vcc_lo, exec_lo, s1
	s_cbranch_vccnz .LBB183_1756
; %bb.1755:
	s_wait_loadcnt 0x0
	global_load_u16 v1, v[22:23], off
	s_wait_loadcnt 0x0
	v_cvt_f16_i16_e32 v1, v1
.LBB183_1756:
	s_cbranch_execnz .LBB183_1762
.LBB183_1757:
	s_cmp_gt_i32 s0, 0
	s_mov_b32 s0, 0
	s_cbranch_scc0 .LBB183_1759
; %bb.1758:
	s_wait_loadcnt 0x0
	global_load_i8 v1, v[22:23], off
	s_wait_loadcnt 0x0
	v_cvt_f16_i16_e32 v1, v1
	s_branch .LBB183_1760
.LBB183_1759:
	s_mov_b32 s0, -1
                                        ; implicit-def: $vgpr1
.LBB183_1760:
	s_delay_alu instid0(SALU_CYCLE_1)
	s_and_not1_b32 vcc_lo, exec_lo, s0
	s_cbranch_vccnz .LBB183_1762
; %bb.1761:
	s_wait_loadcnt 0x0
	global_load_u8 v1, v[22:23], off
	s_wait_loadcnt 0x0
	v_cvt_f16_u16_e32 v1, v1
.LBB183_1762:
.LBB183_1763:
	v_mov_b32_e32 v21, 0
	s_load_b64 s[0:1], s[20:21], 0x198
	global_load_u8 v3, v21, s[20:21] offset:422
	s_wait_kmcnt 0x0
	v_add_nc_u64_e32 v[20:21], s[0:1], v[20:21]
	s_wait_loadcnt 0x0
	v_and_b32_e32 v5, 0xffff, v3
	v_readfirstlane_b32 s10, v3
	s_delay_alu instid0(VALU_DEP_2)
	v_cmp_gt_i32_e32 vcc_lo, 11, v5
	s_cbranch_vccnz .LBB183_1770
; %bb.1764:
	s_and_b32 s11, 0xffff, s10
	s_mov_b32 s13, 0
	s_cmp_gt_i32 s11, 25
	s_cbranch_scc0 .LBB183_1772
; %bb.1765:
	s_cmp_gt_i32 s11, 28
	s_cbranch_scc0 .LBB183_1773
; %bb.1766:
	;; [unrolled: 3-line block ×4, first 2 shown]
	s_cmp_eq_u32 s11, 46
	s_mov_b32 s15, 0
	s_cbranch_scc0 .LBB183_1779
; %bb.1769:
	global_load_b32 v3, v[20:21], off
	s_mov_b32 s12, 0
	s_mov_b32 s14, -1
	s_wait_loadcnt 0x0
	v_lshlrev_b32_e32 v3, 16, v3
	s_delay_alu instid0(VALU_DEP_1)
	v_cvt_f16_f32_e32 v3, v3
	s_branch .LBB183_1781
.LBB183_1770:
	s_mov_b32 s14, 0
                                        ; implicit-def: $vgpr3
	s_cbranch_execnz .LBB183_1846
.LBB183_1771:
	s_and_not1_b32 vcc_lo, exec_lo, s14
	s_cbranch_vccnz .LBB183_3112
	s_branch .LBB183_1893
.LBB183_1772:
	s_mov_b32 s14, 0
	s_mov_b32 s12, 0
                                        ; implicit-def: $vgpr3
	s_cbranch_execnz .LBB183_1810
	s_branch .LBB183_1842
.LBB183_1773:
	s_mov_b32 s15, -1
	s_mov_b32 s14, 0
	s_mov_b32 s12, 0
                                        ; implicit-def: $vgpr3
	s_branch .LBB183_1791
.LBB183_1774:
	s_mov_b32 s15, -1
	s_mov_b32 s14, 0
	s_mov_b32 s12, 0
                                        ; implicit-def: $vgpr3
	s_branch .LBB183_1786
.LBB183_1775:
	s_or_b32 s9, s3, exec_lo
	s_trap 2
	s_cbranch_execz .LBB183_1716
	s_branch .LBB183_1717
.LBB183_1776:
	s_mov_b32 s15, -1
	s_mov_b32 s14, 0
	s_mov_b32 s12, 0
	s_branch .LBB183_1780
.LBB183_1777:
	s_and_not1_saveexec_b32 s9, s9
	s_cbranch_execz .LBB183_1518
.LBB183_1778:
	v_add_f32_e32 v2, 0x42800000, v3
	s_and_not1_b32 s8, s8, exec_lo
	s_delay_alu instid0(VALU_DEP_1) | instskip(NEXT) | instid1(VALU_DEP_1)
	v_and_b32_e32 v2, 0xff, v2
	v_cmp_ne_u32_e32 vcc_lo, 0, v2
	s_and_b32 s11, vcc_lo, exec_lo
	s_delay_alu instid0(SALU_CYCLE_1)
	s_or_b32 s8, s8, s11
	s_or_b32 exec_lo, exec_lo, s9
	v_mov_b32_e32 v4, 0
	s_and_saveexec_b32 s9, s8
	s_cbranch_execnz .LBB183_1519
	s_branch .LBB183_1520
.LBB183_1779:
	s_mov_b32 s12, -1
	s_mov_b32 s14, 0
.LBB183_1780:
                                        ; implicit-def: $vgpr3
.LBB183_1781:
	s_and_b32 vcc_lo, exec_lo, s15
	s_cbranch_vccz .LBB183_1785
; %bb.1782:
	s_cmp_eq_u32 s11, 44
	s_cbranch_scc0 .LBB183_1784
; %bb.1783:
	global_load_u8 v3, v[20:21], off
	s_mov_b32 s12, 0
	s_mov_b32 s14, -1
	s_wait_loadcnt 0x0
	v_lshlrev_b32_e32 v5, 23, v3
	v_cmp_ne_u32_e32 vcc_lo, 0xff, v3
	s_delay_alu instid0(VALU_DEP_2) | instskip(NEXT) | instid1(VALU_DEP_1)
	v_cvt_f16_f32_e32 v5, v5
	v_cndmask_b32_e32 v5, 0x7e00, v5, vcc_lo
	v_cmp_ne_u32_e32 vcc_lo, 0, v3
	s_delay_alu instid0(VALU_DEP_2)
	v_cndmask_b32_e32 v3, 0, v5, vcc_lo
	s_branch .LBB183_1785
.LBB183_1784:
	s_mov_b32 s12, -1
                                        ; implicit-def: $vgpr3
.LBB183_1785:
	s_mov_b32 s15, 0
.LBB183_1786:
	s_delay_alu instid0(SALU_CYCLE_1)
	s_and_b32 vcc_lo, exec_lo, s15
	s_cbranch_vccz .LBB183_1790
; %bb.1787:
	s_cmp_eq_u32 s11, 29
	s_cbranch_scc0 .LBB183_1789
; %bb.1788:
	global_load_b64 v[22:23], v[20:21], off
	s_mov_b32 s12, 0
	s_mov_b32 s14, -1
	s_mov_b32 s15, 0
	s_wait_loadcnt 0x0
	v_clz_i32_u32_e32 v3, v23
	s_delay_alu instid0(VALU_DEP_1) | instskip(NEXT) | instid1(VALU_DEP_1)
	v_min_u32_e32 v3, 32, v3
	v_lshlrev_b64_e32 v[22:23], v3, v[22:23]
	v_sub_nc_u32_e32 v3, 32, v3
	s_delay_alu instid0(VALU_DEP_2) | instskip(NEXT) | instid1(VALU_DEP_1)
	v_min_u32_e32 v5, 1, v22
	v_or_b32_e32 v5, v23, v5
	s_delay_alu instid0(VALU_DEP_1) | instskip(NEXT) | instid1(VALU_DEP_1)
	v_cvt_f32_u32_e32 v5, v5
	v_ldexp_f32 v3, v5, v3
	s_delay_alu instid0(VALU_DEP_1)
	v_cvt_f16_f32_e32 v3, v3
	s_branch .LBB183_1791
.LBB183_1789:
	s_mov_b32 s12, -1
                                        ; implicit-def: $vgpr3
.LBB183_1790:
	s_mov_b32 s15, 0
.LBB183_1791:
	s_delay_alu instid0(SALU_CYCLE_1)
	s_and_b32 vcc_lo, exec_lo, s15
	s_cbranch_vccz .LBB183_1809
; %bb.1792:
	s_cmp_lt_i32 s11, 27
	s_cbranch_scc1 .LBB183_1795
; %bb.1793:
	s_cmp_gt_i32 s11, 27
	s_cbranch_scc0 .LBB183_1796
; %bb.1794:
	global_load_b32 v3, v[20:21], off
	s_mov_b32 s14, 0
	s_wait_loadcnt 0x0
	v_cvt_f32_u32_e32 v3, v3
	s_delay_alu instid0(VALU_DEP_1)
	v_cvt_f16_f32_e32 v3, v3
	s_branch .LBB183_1797
.LBB183_1795:
	s_mov_b32 s14, -1
                                        ; implicit-def: $vgpr3
	s_branch .LBB183_1800
.LBB183_1796:
	s_mov_b32 s14, -1
                                        ; implicit-def: $vgpr3
.LBB183_1797:
	s_delay_alu instid0(SALU_CYCLE_1)
	s_and_not1_b32 vcc_lo, exec_lo, s14
	s_cbranch_vccnz .LBB183_1799
; %bb.1798:
	global_load_u16 v3, v[20:21], off
	s_wait_loadcnt 0x0
	v_cvt_f16_u16_e32 v3, v3
.LBB183_1799:
	s_mov_b32 s14, 0
.LBB183_1800:
	s_delay_alu instid0(SALU_CYCLE_1)
	s_and_not1_b32 vcc_lo, exec_lo, s14
	s_cbranch_vccnz .LBB183_1808
; %bb.1801:
	global_load_u8 v5, v[20:21], off
	s_mov_b32 s14, 0
	s_mov_b32 s15, exec_lo
	s_wait_loadcnt 0x0
	v_cmpx_lt_i16_e32 0x7f, v5
	s_xor_b32 s15, exec_lo, s15
	s_cbranch_execz .LBB183_1821
; %bb.1802:
	s_mov_b32 s14, -1
	s_mov_b32 s16, exec_lo
	v_cmpx_eq_u16_e32 0x80, v5
; %bb.1803:
	s_xor_b32 s14, exec_lo, -1
; %bb.1804:
	s_or_b32 exec_lo, exec_lo, s16
	s_delay_alu instid0(SALU_CYCLE_1)
	s_and_b32 s14, s14, exec_lo
	s_or_saveexec_b32 s15, s15
	v_mov_b32_e32 v3, 0x7e00
	s_xor_b32 exec_lo, exec_lo, s15
	s_cbranch_execnz .LBB183_1822
.LBB183_1805:
	s_or_b32 exec_lo, exec_lo, s15
	s_and_saveexec_b32 s15, s14
	s_cbranch_execz .LBB183_1807
.LBB183_1806:
	v_and_b32_e32 v3, 0xffff, v5
	s_delay_alu instid0(VALU_DEP_1) | instskip(SKIP_1) | instid1(VALU_DEP_2)
	v_and_b32_e32 v7, 7, v3
	v_bfe_u32 v13, v3, 3, 4
	v_clz_i32_u32_e32 v9, v7
	s_delay_alu instid0(VALU_DEP_2) | instskip(NEXT) | instid1(VALU_DEP_2)
	v_cmp_eq_u32_e32 vcc_lo, 0, v13
	v_min_u32_e32 v9, 32, v9
	s_delay_alu instid0(VALU_DEP_1) | instskip(NEXT) | instid1(VALU_DEP_1)
	v_subrev_nc_u32_e32 v11, 28, v9
	v_dual_lshlrev_b32 v3, v11, v3 :: v_dual_sub_nc_u32 v9, 29, v9
	s_delay_alu instid0(VALU_DEP_1) | instskip(NEXT) | instid1(VALU_DEP_1)
	v_dual_lshlrev_b32 v5, 24, v5 :: v_dual_bitop2_b32 v3, 7, v3 bitop3:0x40
	v_dual_cndmask_b32 v3, v7, v3, vcc_lo :: v_dual_cndmask_b32 v9, v13, v9, vcc_lo
	s_delay_alu instid0(VALU_DEP_2) | instskip(NEXT) | instid1(VALU_DEP_2)
	v_and_b32_e32 v5, 0x80000000, v5
	v_lshlrev_b32_e32 v3, 20, v3
	s_delay_alu instid0(VALU_DEP_3) | instskip(NEXT) | instid1(VALU_DEP_1)
	v_lshl_add_u32 v7, v9, 23, 0x3b800000
	v_or3_b32 v3, v5, v7, v3
	s_delay_alu instid0(VALU_DEP_1)
	v_cvt_f16_f32_e32 v3, v3
.LBB183_1807:
	s_or_b32 exec_lo, exec_lo, s15
.LBB183_1808:
	s_mov_b32 s14, -1
.LBB183_1809:
	s_branch .LBB183_1842
.LBB183_1810:
	s_cmp_gt_i32 s11, 22
	s_cbranch_scc0 .LBB183_1820
; %bb.1811:
	s_cmp_lt_i32 s11, 24
	s_cbranch_scc1 .LBB183_1823
; %bb.1812:
	s_cmp_gt_i32 s11, 24
	s_cbranch_scc0 .LBB183_1824
; %bb.1813:
	global_load_u8 v5, v[20:21], off
	s_mov_b32 s14, exec_lo
	s_wait_loadcnt 0x0
	v_cmpx_lt_i16_e32 0x7f, v5
	s_xor_b32 s14, exec_lo, s14
	s_cbranch_execz .LBB183_1836
; %bb.1814:
	s_mov_b32 s13, -1
	s_mov_b32 s15, exec_lo
	v_cmpx_eq_u16_e32 0x80, v5
; %bb.1815:
	s_xor_b32 s13, exec_lo, -1
; %bb.1816:
	s_or_b32 exec_lo, exec_lo, s15
	s_delay_alu instid0(SALU_CYCLE_1)
	s_and_b32 s13, s13, exec_lo
	s_or_saveexec_b32 s14, s14
	v_mov_b32_e32 v3, 0x7e00
	s_xor_b32 exec_lo, exec_lo, s14
	s_cbranch_execnz .LBB183_1837
.LBB183_1817:
	s_or_b32 exec_lo, exec_lo, s14
	s_and_saveexec_b32 s14, s13
	s_cbranch_execz .LBB183_1819
.LBB183_1818:
	v_and_b32_e32 v3, 0xffff, v5
	s_delay_alu instid0(VALU_DEP_1) | instskip(SKIP_1) | instid1(VALU_DEP_2)
	v_and_b32_e32 v7, 3, v3
	v_bfe_u32 v13, v3, 2, 5
	v_clz_i32_u32_e32 v9, v7
	s_delay_alu instid0(VALU_DEP_2) | instskip(NEXT) | instid1(VALU_DEP_2)
	v_cmp_eq_u32_e32 vcc_lo, 0, v13
	v_min_u32_e32 v9, 32, v9
	s_delay_alu instid0(VALU_DEP_1) | instskip(NEXT) | instid1(VALU_DEP_1)
	v_subrev_nc_u32_e32 v11, 29, v9
	v_dual_lshlrev_b32 v3, v11, v3 :: v_dual_sub_nc_u32 v9, 30, v9
	s_delay_alu instid0(VALU_DEP_1) | instskip(NEXT) | instid1(VALU_DEP_1)
	v_dual_lshlrev_b32 v5, 24, v5 :: v_dual_bitop2_b32 v3, 3, v3 bitop3:0x40
	v_dual_cndmask_b32 v3, v7, v3, vcc_lo :: v_dual_cndmask_b32 v9, v13, v9, vcc_lo
	s_delay_alu instid0(VALU_DEP_2) | instskip(NEXT) | instid1(VALU_DEP_2)
	v_and_b32_e32 v5, 0x80000000, v5
	v_lshlrev_b32_e32 v3, 21, v3
	s_delay_alu instid0(VALU_DEP_3) | instskip(NEXT) | instid1(VALU_DEP_1)
	v_lshl_add_u32 v7, v9, 23, 0x37800000
	v_or3_b32 v3, v5, v7, v3
	s_delay_alu instid0(VALU_DEP_1)
	v_cvt_f16_f32_e32 v3, v3
.LBB183_1819:
	s_or_b32 exec_lo, exec_lo, s14
	s_mov_b32 s13, 0
	s_branch .LBB183_1825
.LBB183_1820:
	s_mov_b32 s13, -1
                                        ; implicit-def: $vgpr3
	s_branch .LBB183_1831
.LBB183_1821:
	s_or_saveexec_b32 s15, s15
	v_mov_b32_e32 v3, 0x7e00
	s_xor_b32 exec_lo, exec_lo, s15
	s_cbranch_execz .LBB183_1805
.LBB183_1822:
	v_cmp_ne_u16_e32 vcc_lo, 0, v5
	v_mov_b32_e32 v3, v5
	s_and_not1_b32 s14, s14, exec_lo
	s_and_b32 s16, vcc_lo, exec_lo
	s_delay_alu instid0(SALU_CYCLE_1)
	s_or_b32 s14, s14, s16
	s_or_b32 exec_lo, exec_lo, s15
	s_and_saveexec_b32 s15, s14
	s_cbranch_execnz .LBB183_1806
	s_branch .LBB183_1807
.LBB183_1823:
	s_mov_b32 s13, -1
                                        ; implicit-def: $vgpr3
	s_branch .LBB183_1828
.LBB183_1824:
	s_mov_b32 s13, -1
                                        ; implicit-def: $vgpr3
.LBB183_1825:
	s_delay_alu instid0(SALU_CYCLE_1)
	s_and_b32 vcc_lo, exec_lo, s13
	s_cbranch_vccz .LBB183_1827
; %bb.1826:
	global_load_u8 v3, v[20:21], off
	s_wait_loadcnt 0x0
	v_lshlrev_b32_e32 v3, 24, v3
	s_delay_alu instid0(VALU_DEP_1) | instskip(NEXT) | instid1(VALU_DEP_1)
	v_and_b32_e32 v5, 0x7f000000, v3
	v_clz_i32_u32_e32 v7, v5
	v_add_nc_u32_e32 v11, 0x1000000, v5
	v_cmp_ne_u32_e32 vcc_lo, 0, v5
	s_delay_alu instid0(VALU_DEP_3) | instskip(NEXT) | instid1(VALU_DEP_1)
	v_min_u32_e32 v7, 32, v7
	v_sub_nc_u32_e64 v7, v7, 4 clamp
	s_delay_alu instid0(VALU_DEP_1) | instskip(NEXT) | instid1(VALU_DEP_1)
	v_dual_lshlrev_b32 v9, v7, v5 :: v_dual_lshlrev_b32 v7, 23, v7
	v_lshrrev_b32_e32 v9, 4, v9
	s_delay_alu instid0(VALU_DEP_1) | instskip(SKIP_1) | instid1(VALU_DEP_2)
	v_sub_nc_u32_e32 v7, v9, v7
	v_ashrrev_i32_e32 v9, 8, v11
	v_add_nc_u32_e32 v7, 0x3c000000, v7
	s_delay_alu instid0(VALU_DEP_1) | instskip(NEXT) | instid1(VALU_DEP_1)
	v_and_or_b32 v7, 0x7f800000, v9, v7
	v_cndmask_b32_e32 v5, 0, v7, vcc_lo
	s_delay_alu instid0(VALU_DEP_1) | instskip(NEXT) | instid1(VALU_DEP_1)
	v_and_or_b32 v3, 0x80000000, v3, v5
	v_cvt_f16_f32_e32 v3, v3
.LBB183_1827:
	s_mov_b32 s13, 0
.LBB183_1828:
	s_delay_alu instid0(SALU_CYCLE_1)
	s_and_not1_b32 vcc_lo, exec_lo, s13
	s_cbranch_vccnz .LBB183_1830
; %bb.1829:
	global_load_u8 v3, v[20:21], off
	s_wait_loadcnt 0x0
	v_lshlrev_b32_e32 v5, 25, v3
	v_lshlrev_b16 v3, 8, v3
	s_delay_alu instid0(VALU_DEP_1) | instskip(SKIP_1) | instid1(VALU_DEP_2)
	v_and_or_b32 v9, 0x7f00, v3, 0.5
	v_bfe_i32 v3, v3, 0, 16
	v_add_f32_e32 v9, -0.5, v9
	v_lshrrev_b32_e32 v7, 4, v5
	v_cmp_gt_u32_e32 vcc_lo, 0x8000000, v5
	s_delay_alu instid0(VALU_DEP_2) | instskip(NEXT) | instid1(VALU_DEP_1)
	v_or_b32_e32 v7, 0x70000000, v7
	v_mul_f32_e32 v7, 0x7800000, v7
	s_delay_alu instid0(VALU_DEP_1) | instskip(NEXT) | instid1(VALU_DEP_1)
	v_cndmask_b32_e32 v5, v7, v9, vcc_lo
	v_and_or_b32 v3, 0x80000000, v3, v5
	s_delay_alu instid0(VALU_DEP_1)
	v_cvt_f16_f32_e32 v3, v3
.LBB183_1830:
	s_mov_b32 s13, 0
	s_mov_b32 s14, -1
.LBB183_1831:
	s_and_not1_b32 vcc_lo, exec_lo, s13
	s_mov_b32 s13, 0
	s_cbranch_vccnz .LBB183_1842
; %bb.1832:
	s_cmp_gt_i32 s11, 14
	s_cbranch_scc0 .LBB183_1835
; %bb.1833:
	s_cmp_eq_u32 s11, 15
	s_cbranch_scc0 .LBB183_1838
; %bb.1834:
	global_load_u16 v3, v[20:21], off
	s_mov_b32 s12, 0
	s_mov_b32 s14, -1
	s_wait_loadcnt 0x0
	v_lshlrev_b32_e32 v3, 16, v3
	s_delay_alu instid0(VALU_DEP_1)
	v_cvt_f16_f32_e32 v3, v3
	s_branch .LBB183_1840
.LBB183_1835:
	s_mov_b32 s13, -1
	s_branch .LBB183_1839
.LBB183_1836:
	s_or_saveexec_b32 s14, s14
	v_mov_b32_e32 v3, 0x7e00
	s_xor_b32 exec_lo, exec_lo, s14
	s_cbranch_execz .LBB183_1817
.LBB183_1837:
	v_cmp_ne_u16_e32 vcc_lo, 0, v5
	v_mov_b32_e32 v3, v5
	s_and_not1_b32 s13, s13, exec_lo
	s_and_b32 s15, vcc_lo, exec_lo
	s_delay_alu instid0(SALU_CYCLE_1)
	s_or_b32 s13, s13, s15
	s_or_b32 exec_lo, exec_lo, s14
	s_and_saveexec_b32 s14, s13
	s_cbranch_execnz .LBB183_1818
	s_branch .LBB183_1819
.LBB183_1838:
	s_mov_b32 s12, -1
.LBB183_1839:
                                        ; implicit-def: $vgpr3
.LBB183_1840:
	s_and_b32 vcc_lo, exec_lo, s13
	s_mov_b32 s13, 0
	s_cbranch_vccz .LBB183_1842
; %bb.1841:
	s_cmp_lg_u32 s11, 11
	s_mov_b32 s13, -1
	s_cselect_b32 s12, -1, 0
.LBB183_1842:
	s_delay_alu instid0(SALU_CYCLE_1)
	s_and_b32 vcc_lo, exec_lo, s12
	s_cbranch_vccnz .LBB183_1905
; %bb.1843:
	s_and_not1_b32 vcc_lo, exec_lo, s13
	s_cbranch_vccnz .LBB183_1845
.LBB183_1844:
	global_load_u8 v3, v[20:21], off
	s_mov_b32 s14, -1
	s_wait_loadcnt 0x0
	v_cmp_ne_u16_e32 vcc_lo, 0, v3
	v_cndmask_b32_e64 v3, 0, 0x3c00, vcc_lo
.LBB183_1845:
	s_branch .LBB183_1771
.LBB183_1846:
	s_and_b32 s11, 0xffff, s10
	s_delay_alu instid0(SALU_CYCLE_1)
	s_cmp_lt_i32 s11, 5
	s_cbranch_scc1 .LBB183_1851
; %bb.1847:
	s_cmp_lt_i32 s11, 8
	s_cbranch_scc1 .LBB183_1852
; %bb.1848:
	;; [unrolled: 3-line block ×3, first 2 shown]
	s_cmp_gt_i32 s11, 9
	s_cbranch_scc0 .LBB183_1854
; %bb.1850:
	global_load_b64 v[22:23], v[20:21], off
	s_mov_b32 s12, 0
	s_wait_loadcnt 0x0
	v_and_or_b32 v3, 0x1ff, v23, v22
	v_lshrrev_b32_e32 v5, 8, v23
	v_bfe_u32 v7, v23, 20, 11
	s_delay_alu instid0(VALU_DEP_3) | instskip(NEXT) | instid1(VALU_DEP_2)
	v_cmp_ne_u32_e32 vcc_lo, 0, v3
	v_sub_nc_u32_e32 v9, 0x3f1, v7
	v_add_nc_u32_e32 v7, 0xfffffc10, v7
	v_cndmask_b32_e64 v3, 0, 1, vcc_lo
	s_delay_alu instid0(VALU_DEP_1) | instskip(NEXT) | instid1(VALU_DEP_4)
	v_and_or_b32 v3, 0xffe, v5, v3
	v_med3_i32 v5, v9, 0, 13
	s_delay_alu instid0(VALU_DEP_2) | instskip(NEXT) | instid1(VALU_DEP_1)
	v_or_b32_e32 v9, 0x1000, v3
	v_lshrrev_b32_e32 v11, v5, v9
	s_delay_alu instid0(VALU_DEP_1) | instskip(NEXT) | instid1(VALU_DEP_1)
	v_lshlrev_b32_e32 v5, v5, v11
	v_cmp_ne_u32_e32 vcc_lo, v5, v9
	v_lshl_or_b32 v9, v7, 12, v3
	v_cndmask_b32_e64 v5, 0, 1, vcc_lo
	v_cmp_gt_i32_e32 vcc_lo, 1, v7
	s_delay_alu instid0(VALU_DEP_2) | instskip(NEXT) | instid1(VALU_DEP_1)
	v_or_b32_e32 v5, v11, v5
	v_cndmask_b32_e32 v5, v9, v5, vcc_lo
	s_delay_alu instid0(VALU_DEP_1) | instskip(NEXT) | instid1(VALU_DEP_1)
	v_and_b32_e32 v9, 7, v5
	v_cmp_lt_i32_e32 vcc_lo, 5, v9
	v_cndmask_b32_e64 v11, 0, 1, vcc_lo
	v_cmp_eq_u32_e32 vcc_lo, 3, v9
	v_cndmask_b32_e64 v9, 0, 1, vcc_lo
	v_cmp_ne_u32_e32 vcc_lo, 0, v3
	s_delay_alu instid0(VALU_DEP_2) | instskip(SKIP_1) | instid1(VALU_DEP_2)
	v_dual_lshrrev_b32 v5, 2, v5 :: v_dual_bitop2_b32 v9, v9, v11 bitop3:0x54
	v_mov_b32_e32 v11, 0x7e00
	v_add_nc_u32_e32 v5, v5, v9
	s_delay_alu instid0(VALU_DEP_2) | instskip(SKIP_1) | instid1(VALU_DEP_3)
	v_cndmask_b32_e32 v3, 0x7c00, v11, vcc_lo
	v_cmp_gt_i32_e32 vcc_lo, 31, v7
	v_cndmask_b32_e32 v5, 0x7c00, v5, vcc_lo
	v_cmp_eq_u32_e32 vcc_lo, 0x40f, v7
	s_delay_alu instid0(VALU_DEP_2) | instskip(SKIP_1) | instid1(VALU_DEP_1)
	v_cndmask_b32_e32 v3, v5, v3, vcc_lo
	v_lshrrev_b32_e32 v5, 16, v23
	v_and_or_b32 v3, 0x8000, v5, v3
	s_branch .LBB183_1855
.LBB183_1851:
                                        ; implicit-def: $vgpr3
	s_branch .LBB183_1873
.LBB183_1852:
	s_mov_b32 s12, -1
                                        ; implicit-def: $vgpr3
	s_branch .LBB183_1861
.LBB183_1853:
	s_mov_b32 s12, -1
                                        ; implicit-def: $vgpr3
	s_branch .LBB183_1858
.LBB183_1854:
	s_mov_b32 s12, -1
                                        ; implicit-def: $vgpr3
.LBB183_1855:
	s_delay_alu instid0(SALU_CYCLE_1)
	s_and_not1_b32 vcc_lo, exec_lo, s12
	s_cbranch_vccnz .LBB183_1857
; %bb.1856:
	global_load_b32 v3, v[20:21], off
	s_wait_loadcnt 0x0
	v_cvt_f16_f32_e32 v3, v3
.LBB183_1857:
	s_mov_b32 s12, 0
.LBB183_1858:
	s_delay_alu instid0(SALU_CYCLE_1)
	s_and_not1_b32 vcc_lo, exec_lo, s12
	s_cbranch_vccnz .LBB183_1860
; %bb.1859:
	global_load_b32 v3, v[20:21], off
.LBB183_1860:
	s_mov_b32 s12, 0
.LBB183_1861:
	s_delay_alu instid0(SALU_CYCLE_1)
	s_and_not1_b32 vcc_lo, exec_lo, s12
	s_cbranch_vccnz .LBB183_1872
; %bb.1862:
	s_cmp_lt_i32 s11, 6
	s_cbranch_scc1 .LBB183_1865
; %bb.1863:
	s_cmp_gt_i32 s11, 6
	s_cbranch_scc0 .LBB183_1866
; %bb.1864:
	global_load_b64 v[22:23], v[20:21], off
	s_mov_b32 s12, 0
	s_wait_loadcnt 0x0
	v_and_or_b32 v3, 0x1ff, v23, v22
	v_lshrrev_b32_e32 v5, 8, v23
	v_bfe_u32 v7, v23, 20, 11
	s_delay_alu instid0(VALU_DEP_3) | instskip(NEXT) | instid1(VALU_DEP_2)
	v_cmp_ne_u32_e32 vcc_lo, 0, v3
	v_sub_nc_u32_e32 v9, 0x3f1, v7
	v_add_nc_u32_e32 v7, 0xfffffc10, v7
	v_cndmask_b32_e64 v3, 0, 1, vcc_lo
	s_delay_alu instid0(VALU_DEP_1) | instskip(NEXT) | instid1(VALU_DEP_4)
	v_and_or_b32 v3, 0xffe, v5, v3
	v_med3_i32 v5, v9, 0, 13
	s_delay_alu instid0(VALU_DEP_2) | instskip(NEXT) | instid1(VALU_DEP_1)
	v_or_b32_e32 v9, 0x1000, v3
	v_lshrrev_b32_e32 v11, v5, v9
	s_delay_alu instid0(VALU_DEP_1) | instskip(NEXT) | instid1(VALU_DEP_1)
	v_lshlrev_b32_e32 v5, v5, v11
	v_cmp_ne_u32_e32 vcc_lo, v5, v9
	v_lshl_or_b32 v9, v7, 12, v3
	v_cndmask_b32_e64 v5, 0, 1, vcc_lo
	v_cmp_gt_i32_e32 vcc_lo, 1, v7
	s_delay_alu instid0(VALU_DEP_2) | instskip(NEXT) | instid1(VALU_DEP_1)
	v_or_b32_e32 v5, v11, v5
	v_cndmask_b32_e32 v5, v9, v5, vcc_lo
	s_delay_alu instid0(VALU_DEP_1) | instskip(NEXT) | instid1(VALU_DEP_1)
	v_and_b32_e32 v9, 7, v5
	v_cmp_lt_i32_e32 vcc_lo, 5, v9
	v_cndmask_b32_e64 v11, 0, 1, vcc_lo
	v_cmp_eq_u32_e32 vcc_lo, 3, v9
	v_cndmask_b32_e64 v9, 0, 1, vcc_lo
	v_cmp_ne_u32_e32 vcc_lo, 0, v3
	s_delay_alu instid0(VALU_DEP_2) | instskip(SKIP_1) | instid1(VALU_DEP_2)
	v_dual_lshrrev_b32 v5, 2, v5 :: v_dual_bitop2_b32 v9, v9, v11 bitop3:0x54
	v_mov_b32_e32 v11, 0x7e00
	v_add_nc_u32_e32 v5, v5, v9
	s_delay_alu instid0(VALU_DEP_2) | instskip(SKIP_1) | instid1(VALU_DEP_3)
	v_cndmask_b32_e32 v3, 0x7c00, v11, vcc_lo
	v_cmp_gt_i32_e32 vcc_lo, 31, v7
	v_cndmask_b32_e32 v5, 0x7c00, v5, vcc_lo
	v_cmp_eq_u32_e32 vcc_lo, 0x40f, v7
	s_delay_alu instid0(VALU_DEP_2) | instskip(SKIP_1) | instid1(VALU_DEP_1)
	v_cndmask_b32_e32 v3, v5, v3, vcc_lo
	v_lshrrev_b32_e32 v5, 16, v23
	v_and_or_b32 v3, 0x8000, v5, v3
	s_branch .LBB183_1867
.LBB183_1865:
	s_mov_b32 s12, -1
                                        ; implicit-def: $vgpr3
	s_branch .LBB183_1870
.LBB183_1866:
	s_mov_b32 s12, -1
                                        ; implicit-def: $vgpr3
.LBB183_1867:
	s_delay_alu instid0(SALU_CYCLE_1)
	s_and_not1_b32 vcc_lo, exec_lo, s12
	s_cbranch_vccnz .LBB183_1869
; %bb.1868:
	s_wait_loadcnt 0x0
	global_load_b32 v3, v[20:21], off
	s_wait_loadcnt 0x0
	v_cvt_f16_f32_e32 v3, v3
.LBB183_1869:
	s_mov_b32 s12, 0
.LBB183_1870:
	s_delay_alu instid0(SALU_CYCLE_1)
	s_and_not1_b32 vcc_lo, exec_lo, s12
	s_cbranch_vccnz .LBB183_1872
; %bb.1871:
	s_wait_loadcnt 0x0
	global_load_u16 v3, v[20:21], off
.LBB183_1872:
	s_cbranch_execnz .LBB183_1892
.LBB183_1873:
	s_cmp_lt_i32 s11, 2
	s_cbranch_scc1 .LBB183_1877
; %bb.1874:
	s_cmp_lt_i32 s11, 3
	s_cbranch_scc1 .LBB183_1878
; %bb.1875:
	s_cmp_gt_i32 s11, 3
	s_cbranch_scc0 .LBB183_1879
; %bb.1876:
	global_load_b64 v[22:23], v[20:21], off
	s_mov_b32 s12, 0
	s_wait_loadcnt 0x0
	v_xor_b32_e32 v3, v22, v23
	v_cls_i32_e32 v5, v23
	s_delay_alu instid0(VALU_DEP_2) | instskip(NEXT) | instid1(VALU_DEP_1)
	v_ashrrev_i32_e32 v3, 31, v3
	v_add_nc_u32_e32 v3, 32, v3
	s_delay_alu instid0(VALU_DEP_1) | instskip(NEXT) | instid1(VALU_DEP_1)
	v_add_min_u32_e64 v3, v5, -1, v3
	v_lshlrev_b64_e32 v[22:23], v3, v[22:23]
	v_sub_nc_u32_e32 v3, 32, v3
	s_delay_alu instid0(VALU_DEP_2) | instskip(NEXT) | instid1(VALU_DEP_1)
	v_min_u32_e32 v5, 1, v22
	v_or_b32_e32 v5, v23, v5
	s_delay_alu instid0(VALU_DEP_1) | instskip(NEXT) | instid1(VALU_DEP_1)
	v_cvt_f32_i32_e32 v5, v5
	v_ldexp_f32 v3, v5, v3
	s_delay_alu instid0(VALU_DEP_1)
	v_cvt_f16_f32_e32 v3, v3
	s_branch .LBB183_1880
.LBB183_1877:
	s_mov_b32 s12, -1
                                        ; implicit-def: $vgpr3
	s_branch .LBB183_1886
.LBB183_1878:
	s_mov_b32 s12, -1
                                        ; implicit-def: $vgpr3
	s_branch .LBB183_1883
.LBB183_1879:
	s_mov_b32 s12, -1
                                        ; implicit-def: $vgpr3
.LBB183_1880:
	s_delay_alu instid0(SALU_CYCLE_1)
	s_and_not1_b32 vcc_lo, exec_lo, s12
	s_cbranch_vccnz .LBB183_1882
; %bb.1881:
	s_wait_loadcnt 0x0
	global_load_b32 v3, v[20:21], off
	s_wait_loadcnt 0x0
	v_cvt_f32_i32_e32 v3, v3
	s_delay_alu instid0(VALU_DEP_1)
	v_cvt_f16_f32_e32 v3, v3
.LBB183_1882:
	s_mov_b32 s12, 0
.LBB183_1883:
	s_delay_alu instid0(SALU_CYCLE_1)
	s_and_not1_b32 vcc_lo, exec_lo, s12
	s_cbranch_vccnz .LBB183_1885
; %bb.1884:
	s_wait_loadcnt 0x0
	global_load_u16 v3, v[20:21], off
	s_wait_loadcnt 0x0
	v_cvt_f16_i16_e32 v3, v3
.LBB183_1885:
	s_mov_b32 s12, 0
.LBB183_1886:
	s_delay_alu instid0(SALU_CYCLE_1)
	s_and_not1_b32 vcc_lo, exec_lo, s12
	s_cbranch_vccnz .LBB183_1892
; %bb.1887:
	s_cmp_gt_i32 s11, 0
	s_mov_b32 s11, 0
	s_cbranch_scc0 .LBB183_1889
; %bb.1888:
	s_wait_loadcnt 0x0
	global_load_i8 v3, v[20:21], off
	s_wait_loadcnt 0x0
	v_cvt_f16_i16_e32 v3, v3
	s_branch .LBB183_1890
.LBB183_1889:
	s_mov_b32 s11, -1
                                        ; implicit-def: $vgpr3
.LBB183_1890:
	s_delay_alu instid0(SALU_CYCLE_1)
	s_and_not1_b32 vcc_lo, exec_lo, s11
	s_cbranch_vccnz .LBB183_1892
; %bb.1891:
	s_wait_loadcnt 0x0
	global_load_u8 v3, v[20:21], off
	s_wait_loadcnt 0x0
	v_cvt_f16_u16_e32 v3, v3
.LBB183_1892:
.LBB183_1893:
	v_mov_b32_e32 v19, 0
	s_and_b32 s2, 0xffff, s2
	s_delay_alu instid0(SALU_CYCLE_1) | instskip(NEXT) | instid1(VALU_DEP_1)
	s_cmp_lt_i32 s2, 11
	v_add_nc_u64_e32 v[18:19], s[6:7], v[18:19]
	s_cbranch_scc1 .LBB183_1900
; %bb.1894:
	s_cmp_gt_i32 s2, 25
	s_mov_b32 s12, 0
	s_cbranch_scc0 .LBB183_1902
; %bb.1895:
	s_cmp_gt_i32 s2, 28
	s_cbranch_scc0 .LBB183_1903
; %bb.1896:
	s_cmp_gt_i32 s2, 43
	;; [unrolled: 3-line block ×3, first 2 shown]
	s_cbranch_scc0 .LBB183_1906
; %bb.1898:
	s_cmp_eq_u32 s2, 46
	s_mov_b32 s14, 0
	s_cbranch_scc0 .LBB183_1907
; %bb.1899:
	global_load_b32 v5, v[18:19], off
	s_mov_b32 s11, 0
	s_mov_b32 s13, -1
	s_wait_loadcnt 0x0
	v_lshlrev_b32_e32 v5, 16, v5
	s_delay_alu instid0(VALU_DEP_1)
	v_cvt_f16_f32_e32 v5, v5
	s_branch .LBB183_1909
.LBB183_1900:
	s_mov_b32 s13, 0
                                        ; implicit-def: $vgpr5
	s_cbranch_execnz .LBB183_1975
.LBB183_1901:
	s_and_not1_b32 vcc_lo, exec_lo, s13
	s_cbranch_vccnz .LBB183_3112
	s_branch .LBB183_2023
.LBB183_1902:
	s_mov_b32 s14, -1
	s_mov_b32 s13, 0
	s_mov_b32 s11, 0
                                        ; implicit-def: $vgpr5
	s_branch .LBB183_1938
.LBB183_1903:
	s_mov_b32 s14, -1
	s_mov_b32 s13, 0
	s_mov_b32 s11, 0
                                        ; implicit-def: $vgpr5
	s_branch .LBB183_1919
.LBB183_1904:
	s_mov_b32 s14, -1
	s_mov_b32 s13, 0
	s_mov_b32 s11, 0
                                        ; implicit-def: $vgpr5
	s_branch .LBB183_1914
.LBB183_1905:
	s_or_b32 s9, s9, exec_lo
	s_trap 2
	s_cbranch_execz .LBB183_1844
	s_branch .LBB183_1845
.LBB183_1906:
	s_mov_b32 s14, -1
	s_mov_b32 s13, 0
	s_mov_b32 s11, 0
	s_branch .LBB183_1908
.LBB183_1907:
	s_mov_b32 s11, -1
	s_mov_b32 s13, 0
.LBB183_1908:
                                        ; implicit-def: $vgpr5
.LBB183_1909:
	s_and_b32 vcc_lo, exec_lo, s14
	s_cbranch_vccz .LBB183_1913
; %bb.1910:
	s_cmp_eq_u32 s2, 44
	s_cbranch_scc0 .LBB183_1912
; %bb.1911:
	global_load_u8 v5, v[18:19], off
	s_mov_b32 s11, 0
	s_mov_b32 s13, -1
	s_wait_loadcnt 0x0
	v_lshlrev_b32_e32 v7, 23, v5
	v_cmp_ne_u32_e32 vcc_lo, 0xff, v5
	s_delay_alu instid0(VALU_DEP_2) | instskip(NEXT) | instid1(VALU_DEP_1)
	v_cvt_f16_f32_e32 v7, v7
	v_cndmask_b32_e32 v7, 0x7e00, v7, vcc_lo
	v_cmp_ne_u32_e32 vcc_lo, 0, v5
	s_delay_alu instid0(VALU_DEP_2)
	v_cndmask_b32_e32 v5, 0, v7, vcc_lo
	s_branch .LBB183_1913
.LBB183_1912:
	s_mov_b32 s11, -1
                                        ; implicit-def: $vgpr5
.LBB183_1913:
	s_mov_b32 s14, 0
.LBB183_1914:
	s_delay_alu instid0(SALU_CYCLE_1)
	s_and_b32 vcc_lo, exec_lo, s14
	s_cbranch_vccz .LBB183_1918
; %bb.1915:
	s_cmp_eq_u32 s2, 29
	s_cbranch_scc0 .LBB183_1917
; %bb.1916:
	global_load_b64 v[20:21], v[18:19], off
	s_mov_b32 s11, 0
	s_mov_b32 s13, -1
	s_mov_b32 s14, 0
	s_wait_loadcnt 0x0
	v_clz_i32_u32_e32 v5, v21
	s_delay_alu instid0(VALU_DEP_1) | instskip(NEXT) | instid1(VALU_DEP_1)
	v_min_u32_e32 v5, 32, v5
	v_lshlrev_b64_e32 v[20:21], v5, v[20:21]
	v_sub_nc_u32_e32 v5, 32, v5
	s_delay_alu instid0(VALU_DEP_2) | instskip(NEXT) | instid1(VALU_DEP_1)
	v_min_u32_e32 v7, 1, v20
	v_or_b32_e32 v7, v21, v7
	s_delay_alu instid0(VALU_DEP_1) | instskip(NEXT) | instid1(VALU_DEP_1)
	v_cvt_f32_u32_e32 v7, v7
	v_ldexp_f32 v5, v7, v5
	s_delay_alu instid0(VALU_DEP_1)
	v_cvt_f16_f32_e32 v5, v5
	s_branch .LBB183_1919
.LBB183_1917:
	s_mov_b32 s11, -1
                                        ; implicit-def: $vgpr5
.LBB183_1918:
	s_mov_b32 s14, 0
.LBB183_1919:
	s_delay_alu instid0(SALU_CYCLE_1)
	s_and_b32 vcc_lo, exec_lo, s14
	s_cbranch_vccz .LBB183_1937
; %bb.1920:
	s_cmp_lt_i32 s2, 27
	s_cbranch_scc1 .LBB183_1923
; %bb.1921:
	s_cmp_gt_i32 s2, 27
	s_cbranch_scc0 .LBB183_1924
; %bb.1922:
	global_load_b32 v5, v[18:19], off
	s_mov_b32 s13, 0
	s_wait_loadcnt 0x0
	v_cvt_f32_u32_e32 v5, v5
	s_delay_alu instid0(VALU_DEP_1)
	v_cvt_f16_f32_e32 v5, v5
	s_branch .LBB183_1925
.LBB183_1923:
	s_mov_b32 s13, -1
                                        ; implicit-def: $vgpr5
	s_branch .LBB183_1928
.LBB183_1924:
	s_mov_b32 s13, -1
                                        ; implicit-def: $vgpr5
.LBB183_1925:
	s_delay_alu instid0(SALU_CYCLE_1)
	s_and_not1_b32 vcc_lo, exec_lo, s13
	s_cbranch_vccnz .LBB183_1927
; %bb.1926:
	global_load_u16 v5, v[18:19], off
	s_wait_loadcnt 0x0
	v_cvt_f16_u16_e32 v5, v5
.LBB183_1927:
	s_mov_b32 s13, 0
.LBB183_1928:
	s_delay_alu instid0(SALU_CYCLE_1)
	s_and_not1_b32 vcc_lo, exec_lo, s13
	s_cbranch_vccnz .LBB183_1936
; %bb.1929:
	global_load_u8 v7, v[18:19], off
	s_mov_b32 s13, 0
	s_mov_b32 s14, exec_lo
	s_wait_loadcnt 0x0
	v_cmpx_lt_i16_e32 0x7f, v7
	s_xor_b32 s14, exec_lo, s14
	s_cbranch_execz .LBB183_1950
; %bb.1930:
	s_mov_b32 s13, -1
	s_mov_b32 s15, exec_lo
	v_cmpx_eq_u16_e32 0x80, v7
; %bb.1931:
	s_xor_b32 s13, exec_lo, -1
; %bb.1932:
	s_or_b32 exec_lo, exec_lo, s15
	s_delay_alu instid0(SALU_CYCLE_1)
	s_and_b32 s13, s13, exec_lo
	s_or_saveexec_b32 s14, s14
	v_mov_b32_e32 v5, 0x7e00
	s_xor_b32 exec_lo, exec_lo, s14
	s_cbranch_execnz .LBB183_1951
.LBB183_1933:
	s_or_b32 exec_lo, exec_lo, s14
	s_and_saveexec_b32 s14, s13
	s_cbranch_execz .LBB183_1935
.LBB183_1934:
	v_and_b32_e32 v5, 0xffff, v7
	s_delay_alu instid0(VALU_DEP_1) | instskip(SKIP_1) | instid1(VALU_DEP_2)
	v_and_b32_e32 v9, 7, v5
	v_bfe_u32 v15, v5, 3, 4
	v_clz_i32_u32_e32 v11, v9
	s_delay_alu instid0(VALU_DEP_2) | instskip(NEXT) | instid1(VALU_DEP_2)
	v_cmp_eq_u32_e32 vcc_lo, 0, v15
	v_min_u32_e32 v11, 32, v11
	s_delay_alu instid0(VALU_DEP_1) | instskip(NEXT) | instid1(VALU_DEP_1)
	v_subrev_nc_u32_e32 v13, 28, v11
	v_dual_lshlrev_b32 v5, v13, v5 :: v_dual_sub_nc_u32 v11, 29, v11
	s_delay_alu instid0(VALU_DEP_1) | instskip(NEXT) | instid1(VALU_DEP_1)
	v_dual_lshlrev_b32 v7, 24, v7 :: v_dual_bitop2_b32 v5, 7, v5 bitop3:0x40
	v_dual_cndmask_b32 v5, v9, v5, vcc_lo :: v_dual_cndmask_b32 v11, v15, v11, vcc_lo
	s_delay_alu instid0(VALU_DEP_2) | instskip(NEXT) | instid1(VALU_DEP_2)
	v_and_b32_e32 v7, 0x80000000, v7
	v_lshlrev_b32_e32 v5, 20, v5
	s_delay_alu instid0(VALU_DEP_3) | instskip(NEXT) | instid1(VALU_DEP_1)
	v_lshl_add_u32 v9, v11, 23, 0x3b800000
	v_or3_b32 v5, v7, v9, v5
	s_delay_alu instid0(VALU_DEP_1)
	v_cvt_f16_f32_e32 v5, v5
.LBB183_1935:
	s_or_b32 exec_lo, exec_lo, s14
.LBB183_1936:
	s_mov_b32 s13, -1
.LBB183_1937:
	s_mov_b32 s14, 0
.LBB183_1938:
	s_delay_alu instid0(SALU_CYCLE_1)
	s_and_b32 vcc_lo, exec_lo, s14
	s_cbranch_vccz .LBB183_1971
; %bb.1939:
	s_cmp_gt_i32 s2, 22
	s_cbranch_scc0 .LBB183_1949
; %bb.1940:
	s_cmp_lt_i32 s2, 24
	s_cbranch_scc1 .LBB183_1952
; %bb.1941:
	s_cmp_gt_i32 s2, 24
	s_cbranch_scc0 .LBB183_1953
; %bb.1942:
	global_load_u8 v7, v[18:19], off
	s_mov_b32 s13, exec_lo
	s_wait_loadcnt 0x0
	v_cmpx_lt_i16_e32 0x7f, v7
	s_xor_b32 s13, exec_lo, s13
	s_cbranch_execz .LBB183_1965
; %bb.1943:
	s_mov_b32 s12, -1
	s_mov_b32 s14, exec_lo
	v_cmpx_eq_u16_e32 0x80, v7
; %bb.1944:
	s_xor_b32 s12, exec_lo, -1
; %bb.1945:
	s_or_b32 exec_lo, exec_lo, s14
	s_delay_alu instid0(SALU_CYCLE_1)
	s_and_b32 s12, s12, exec_lo
	s_or_saveexec_b32 s13, s13
	v_mov_b32_e32 v5, 0x7e00
	s_xor_b32 exec_lo, exec_lo, s13
	s_cbranch_execnz .LBB183_1966
.LBB183_1946:
	s_or_b32 exec_lo, exec_lo, s13
	s_and_saveexec_b32 s13, s12
	s_cbranch_execz .LBB183_1948
.LBB183_1947:
	v_and_b32_e32 v5, 0xffff, v7
	s_delay_alu instid0(VALU_DEP_1) | instskip(SKIP_1) | instid1(VALU_DEP_2)
	v_and_b32_e32 v9, 3, v5
	v_bfe_u32 v15, v5, 2, 5
	v_clz_i32_u32_e32 v11, v9
	s_delay_alu instid0(VALU_DEP_2) | instskip(NEXT) | instid1(VALU_DEP_2)
	v_cmp_eq_u32_e32 vcc_lo, 0, v15
	v_min_u32_e32 v11, 32, v11
	s_delay_alu instid0(VALU_DEP_1) | instskip(NEXT) | instid1(VALU_DEP_1)
	v_subrev_nc_u32_e32 v13, 29, v11
	v_dual_lshlrev_b32 v5, v13, v5 :: v_dual_sub_nc_u32 v11, 30, v11
	s_delay_alu instid0(VALU_DEP_1) | instskip(NEXT) | instid1(VALU_DEP_1)
	v_dual_lshlrev_b32 v7, 24, v7 :: v_dual_bitop2_b32 v5, 3, v5 bitop3:0x40
	v_dual_cndmask_b32 v5, v9, v5, vcc_lo :: v_dual_cndmask_b32 v11, v15, v11, vcc_lo
	s_delay_alu instid0(VALU_DEP_2) | instskip(NEXT) | instid1(VALU_DEP_2)
	v_and_b32_e32 v7, 0x80000000, v7
	v_lshlrev_b32_e32 v5, 21, v5
	s_delay_alu instid0(VALU_DEP_3) | instskip(NEXT) | instid1(VALU_DEP_1)
	v_lshl_add_u32 v9, v11, 23, 0x37800000
	v_or3_b32 v5, v7, v9, v5
	s_delay_alu instid0(VALU_DEP_1)
	v_cvt_f16_f32_e32 v5, v5
.LBB183_1948:
	s_or_b32 exec_lo, exec_lo, s13
	s_mov_b32 s12, 0
	s_branch .LBB183_1954
.LBB183_1949:
	s_mov_b32 s12, -1
                                        ; implicit-def: $vgpr5
	s_branch .LBB183_1960
.LBB183_1950:
	s_or_saveexec_b32 s14, s14
	v_mov_b32_e32 v5, 0x7e00
	s_xor_b32 exec_lo, exec_lo, s14
	s_cbranch_execz .LBB183_1933
.LBB183_1951:
	v_cmp_ne_u16_e32 vcc_lo, 0, v7
	v_mov_b32_e32 v5, v7
	s_and_not1_b32 s13, s13, exec_lo
	s_and_b32 s15, vcc_lo, exec_lo
	s_delay_alu instid0(SALU_CYCLE_1)
	s_or_b32 s13, s13, s15
	s_or_b32 exec_lo, exec_lo, s14
	s_and_saveexec_b32 s14, s13
	s_cbranch_execnz .LBB183_1934
	s_branch .LBB183_1935
.LBB183_1952:
	s_mov_b32 s12, -1
                                        ; implicit-def: $vgpr5
	s_branch .LBB183_1957
.LBB183_1953:
	s_mov_b32 s12, -1
                                        ; implicit-def: $vgpr5
.LBB183_1954:
	s_delay_alu instid0(SALU_CYCLE_1)
	s_and_b32 vcc_lo, exec_lo, s12
	s_cbranch_vccz .LBB183_1956
; %bb.1955:
	global_load_u8 v5, v[18:19], off
	s_wait_loadcnt 0x0
	v_lshlrev_b32_e32 v5, 24, v5
	s_delay_alu instid0(VALU_DEP_1) | instskip(NEXT) | instid1(VALU_DEP_1)
	v_and_b32_e32 v7, 0x7f000000, v5
	v_clz_i32_u32_e32 v9, v7
	v_add_nc_u32_e32 v13, 0x1000000, v7
	v_cmp_ne_u32_e32 vcc_lo, 0, v7
	s_delay_alu instid0(VALU_DEP_3) | instskip(NEXT) | instid1(VALU_DEP_1)
	v_min_u32_e32 v9, 32, v9
	v_sub_nc_u32_e64 v9, v9, 4 clamp
	s_delay_alu instid0(VALU_DEP_1) | instskip(NEXT) | instid1(VALU_DEP_1)
	v_dual_lshlrev_b32 v11, v9, v7 :: v_dual_lshlrev_b32 v9, 23, v9
	v_lshrrev_b32_e32 v11, 4, v11
	s_delay_alu instid0(VALU_DEP_1) | instskip(SKIP_1) | instid1(VALU_DEP_2)
	v_sub_nc_u32_e32 v9, v11, v9
	v_ashrrev_i32_e32 v11, 8, v13
	v_add_nc_u32_e32 v9, 0x3c000000, v9
	s_delay_alu instid0(VALU_DEP_1) | instskip(NEXT) | instid1(VALU_DEP_1)
	v_and_or_b32 v9, 0x7f800000, v11, v9
	v_cndmask_b32_e32 v7, 0, v9, vcc_lo
	s_delay_alu instid0(VALU_DEP_1) | instskip(NEXT) | instid1(VALU_DEP_1)
	v_and_or_b32 v5, 0x80000000, v5, v7
	v_cvt_f16_f32_e32 v5, v5
.LBB183_1956:
	s_mov_b32 s12, 0
.LBB183_1957:
	s_delay_alu instid0(SALU_CYCLE_1)
	s_and_not1_b32 vcc_lo, exec_lo, s12
	s_cbranch_vccnz .LBB183_1959
; %bb.1958:
	global_load_u8 v5, v[18:19], off
	s_wait_loadcnt 0x0
	v_lshlrev_b32_e32 v7, 25, v5
	v_lshlrev_b16 v5, 8, v5
	s_delay_alu instid0(VALU_DEP_1) | instskip(SKIP_1) | instid1(VALU_DEP_2)
	v_and_or_b32 v11, 0x7f00, v5, 0.5
	v_bfe_i32 v5, v5, 0, 16
	v_add_f32_e32 v11, -0.5, v11
	v_lshrrev_b32_e32 v9, 4, v7
	v_cmp_gt_u32_e32 vcc_lo, 0x8000000, v7
	s_delay_alu instid0(VALU_DEP_2) | instskip(NEXT) | instid1(VALU_DEP_1)
	v_or_b32_e32 v9, 0x70000000, v9
	v_mul_f32_e32 v9, 0x7800000, v9
	s_delay_alu instid0(VALU_DEP_1) | instskip(NEXT) | instid1(VALU_DEP_1)
	v_cndmask_b32_e32 v7, v9, v11, vcc_lo
	v_and_or_b32 v5, 0x80000000, v5, v7
	s_delay_alu instid0(VALU_DEP_1)
	v_cvt_f16_f32_e32 v5, v5
.LBB183_1959:
	s_mov_b32 s12, 0
	s_mov_b32 s13, -1
.LBB183_1960:
	s_and_not1_b32 vcc_lo, exec_lo, s12
	s_mov_b32 s12, 0
	s_cbranch_vccnz .LBB183_1971
; %bb.1961:
	s_cmp_gt_i32 s2, 14
	s_cbranch_scc0 .LBB183_1964
; %bb.1962:
	s_cmp_eq_u32 s2, 15
	s_cbranch_scc0 .LBB183_1967
; %bb.1963:
	global_load_u16 v5, v[18:19], off
	s_mov_b32 s11, 0
	s_mov_b32 s13, -1
	s_wait_loadcnt 0x0
	v_lshlrev_b32_e32 v5, 16, v5
	s_delay_alu instid0(VALU_DEP_1)
	v_cvt_f16_f32_e32 v5, v5
	s_branch .LBB183_1969
.LBB183_1964:
	s_mov_b32 s12, -1
	s_branch .LBB183_1968
.LBB183_1965:
	s_or_saveexec_b32 s13, s13
	v_mov_b32_e32 v5, 0x7e00
	s_xor_b32 exec_lo, exec_lo, s13
	s_cbranch_execz .LBB183_1946
.LBB183_1966:
	v_cmp_ne_u16_e32 vcc_lo, 0, v7
	v_mov_b32_e32 v5, v7
	s_and_not1_b32 s12, s12, exec_lo
	s_and_b32 s14, vcc_lo, exec_lo
	s_delay_alu instid0(SALU_CYCLE_1)
	s_or_b32 s12, s12, s14
	s_or_b32 exec_lo, exec_lo, s13
	s_and_saveexec_b32 s13, s12
	s_cbranch_execnz .LBB183_1947
	s_branch .LBB183_1948
.LBB183_1967:
	s_mov_b32 s11, -1
.LBB183_1968:
                                        ; implicit-def: $vgpr5
.LBB183_1969:
	s_and_b32 vcc_lo, exec_lo, s12
	s_mov_b32 s12, 0
	s_cbranch_vccz .LBB183_1971
; %bb.1970:
	s_cmp_lg_u32 s2, 11
	s_mov_b32 s12, -1
	s_cselect_b32 s11, -1, 0
.LBB183_1971:
	s_delay_alu instid0(SALU_CYCLE_1)
	s_and_b32 vcc_lo, exec_lo, s11
	s_cbranch_vccnz .LBB183_2034
; %bb.1972:
	s_and_not1_b32 vcc_lo, exec_lo, s12
	s_cbranch_vccnz .LBB183_1974
.LBB183_1973:
	global_load_u8 v5, v[18:19], off
	s_mov_b32 s13, -1
	s_wait_loadcnt 0x0
	v_cmp_ne_u16_e32 vcc_lo, 0, v5
	v_cndmask_b32_e64 v5, 0, 0x3c00, vcc_lo
.LBB183_1974:
	s_branch .LBB183_1901
.LBB183_1975:
	s_cmp_lt_i32 s2, 5
	s_cbranch_scc1 .LBB183_1980
; %bb.1976:
	s_cmp_lt_i32 s2, 8
	s_cbranch_scc1 .LBB183_1981
; %bb.1977:
	;; [unrolled: 3-line block ×3, first 2 shown]
	s_cmp_gt_i32 s2, 9
	s_cbranch_scc0 .LBB183_1983
; %bb.1979:
	global_load_b64 v[20:21], v[18:19], off
	s_mov_b32 s11, 0
	s_wait_loadcnt 0x0
	v_and_or_b32 v5, 0x1ff, v21, v20
	v_lshrrev_b32_e32 v7, 8, v21
	v_bfe_u32 v9, v21, 20, 11
	s_delay_alu instid0(VALU_DEP_3) | instskip(NEXT) | instid1(VALU_DEP_2)
	v_cmp_ne_u32_e32 vcc_lo, 0, v5
	v_sub_nc_u32_e32 v11, 0x3f1, v9
	v_add_nc_u32_e32 v9, 0xfffffc10, v9
	v_cndmask_b32_e64 v5, 0, 1, vcc_lo
	s_delay_alu instid0(VALU_DEP_1) | instskip(NEXT) | instid1(VALU_DEP_4)
	v_and_or_b32 v5, 0xffe, v7, v5
	v_med3_i32 v7, v11, 0, 13
	s_delay_alu instid0(VALU_DEP_2) | instskip(NEXT) | instid1(VALU_DEP_1)
	v_or_b32_e32 v11, 0x1000, v5
	v_lshrrev_b32_e32 v13, v7, v11
	s_delay_alu instid0(VALU_DEP_1) | instskip(NEXT) | instid1(VALU_DEP_1)
	v_lshlrev_b32_e32 v7, v7, v13
	v_cmp_ne_u32_e32 vcc_lo, v7, v11
	v_lshl_or_b32 v11, v9, 12, v5
	v_cndmask_b32_e64 v7, 0, 1, vcc_lo
	v_cmp_gt_i32_e32 vcc_lo, 1, v9
	s_delay_alu instid0(VALU_DEP_2) | instskip(NEXT) | instid1(VALU_DEP_1)
	v_or_b32_e32 v7, v13, v7
	v_cndmask_b32_e32 v7, v11, v7, vcc_lo
	s_delay_alu instid0(VALU_DEP_1) | instskip(NEXT) | instid1(VALU_DEP_1)
	v_and_b32_e32 v11, 7, v7
	v_cmp_lt_i32_e32 vcc_lo, 5, v11
	v_cndmask_b32_e64 v13, 0, 1, vcc_lo
	v_cmp_eq_u32_e32 vcc_lo, 3, v11
	v_cndmask_b32_e64 v11, 0, 1, vcc_lo
	v_cmp_ne_u32_e32 vcc_lo, 0, v5
	s_delay_alu instid0(VALU_DEP_2) | instskip(SKIP_1) | instid1(VALU_DEP_2)
	v_dual_lshrrev_b32 v7, 2, v7 :: v_dual_bitop2_b32 v11, v11, v13 bitop3:0x54
	v_mov_b32_e32 v13, 0x7e00
	v_add_nc_u32_e32 v7, v7, v11
	s_delay_alu instid0(VALU_DEP_2) | instskip(SKIP_1) | instid1(VALU_DEP_3)
	v_cndmask_b32_e32 v5, 0x7c00, v13, vcc_lo
	v_cmp_gt_i32_e32 vcc_lo, 31, v9
	v_cndmask_b32_e32 v7, 0x7c00, v7, vcc_lo
	v_cmp_eq_u32_e32 vcc_lo, 0x40f, v9
	s_delay_alu instid0(VALU_DEP_2) | instskip(SKIP_1) | instid1(VALU_DEP_1)
	v_cndmask_b32_e32 v5, v7, v5, vcc_lo
	v_lshrrev_b32_e32 v7, 16, v21
	v_and_or_b32 v5, 0x8000, v7, v5
	s_branch .LBB183_1984
.LBB183_1980:
	s_mov_b32 s11, -1
                                        ; implicit-def: $vgpr5
	s_branch .LBB183_2002
.LBB183_1981:
	s_mov_b32 s11, -1
                                        ; implicit-def: $vgpr5
	s_branch .LBB183_1990
.LBB183_1982:
	s_mov_b32 s11, -1
                                        ; implicit-def: $vgpr5
	s_branch .LBB183_1987
.LBB183_1983:
	s_mov_b32 s11, -1
                                        ; implicit-def: $vgpr5
.LBB183_1984:
	s_delay_alu instid0(SALU_CYCLE_1)
	s_and_not1_b32 vcc_lo, exec_lo, s11
	s_cbranch_vccnz .LBB183_1986
; %bb.1985:
	global_load_b32 v5, v[18:19], off
	s_wait_loadcnt 0x0
	v_cvt_f16_f32_e32 v5, v5
.LBB183_1986:
	s_mov_b32 s11, 0
.LBB183_1987:
	s_delay_alu instid0(SALU_CYCLE_1)
	s_and_not1_b32 vcc_lo, exec_lo, s11
	s_cbranch_vccnz .LBB183_1989
; %bb.1988:
	global_load_b32 v5, v[18:19], off
.LBB183_1989:
	s_mov_b32 s11, 0
.LBB183_1990:
	s_delay_alu instid0(SALU_CYCLE_1)
	s_and_not1_b32 vcc_lo, exec_lo, s11
	s_cbranch_vccnz .LBB183_2001
; %bb.1991:
	s_cmp_lt_i32 s2, 6
	s_cbranch_scc1 .LBB183_1994
; %bb.1992:
	s_cmp_gt_i32 s2, 6
	s_cbranch_scc0 .LBB183_1995
; %bb.1993:
	global_load_b64 v[20:21], v[18:19], off
	s_mov_b32 s11, 0
	s_wait_loadcnt 0x0
	v_and_or_b32 v5, 0x1ff, v21, v20
	v_lshrrev_b32_e32 v7, 8, v21
	v_bfe_u32 v9, v21, 20, 11
	s_delay_alu instid0(VALU_DEP_3) | instskip(NEXT) | instid1(VALU_DEP_2)
	v_cmp_ne_u32_e32 vcc_lo, 0, v5
	v_sub_nc_u32_e32 v11, 0x3f1, v9
	v_add_nc_u32_e32 v9, 0xfffffc10, v9
	v_cndmask_b32_e64 v5, 0, 1, vcc_lo
	s_delay_alu instid0(VALU_DEP_1) | instskip(NEXT) | instid1(VALU_DEP_4)
	v_and_or_b32 v5, 0xffe, v7, v5
	v_med3_i32 v7, v11, 0, 13
	s_delay_alu instid0(VALU_DEP_2) | instskip(NEXT) | instid1(VALU_DEP_1)
	v_or_b32_e32 v11, 0x1000, v5
	v_lshrrev_b32_e32 v13, v7, v11
	s_delay_alu instid0(VALU_DEP_1) | instskip(NEXT) | instid1(VALU_DEP_1)
	v_lshlrev_b32_e32 v7, v7, v13
	v_cmp_ne_u32_e32 vcc_lo, v7, v11
	v_lshl_or_b32 v11, v9, 12, v5
	v_cndmask_b32_e64 v7, 0, 1, vcc_lo
	v_cmp_gt_i32_e32 vcc_lo, 1, v9
	s_delay_alu instid0(VALU_DEP_2) | instskip(NEXT) | instid1(VALU_DEP_1)
	v_or_b32_e32 v7, v13, v7
	v_cndmask_b32_e32 v7, v11, v7, vcc_lo
	s_delay_alu instid0(VALU_DEP_1) | instskip(NEXT) | instid1(VALU_DEP_1)
	v_and_b32_e32 v11, 7, v7
	v_cmp_lt_i32_e32 vcc_lo, 5, v11
	v_cndmask_b32_e64 v13, 0, 1, vcc_lo
	v_cmp_eq_u32_e32 vcc_lo, 3, v11
	v_cndmask_b32_e64 v11, 0, 1, vcc_lo
	v_cmp_ne_u32_e32 vcc_lo, 0, v5
	s_delay_alu instid0(VALU_DEP_2) | instskip(SKIP_1) | instid1(VALU_DEP_2)
	v_dual_lshrrev_b32 v7, 2, v7 :: v_dual_bitop2_b32 v11, v11, v13 bitop3:0x54
	v_mov_b32_e32 v13, 0x7e00
	v_add_nc_u32_e32 v7, v7, v11
	s_delay_alu instid0(VALU_DEP_2) | instskip(SKIP_1) | instid1(VALU_DEP_3)
	v_cndmask_b32_e32 v5, 0x7c00, v13, vcc_lo
	v_cmp_gt_i32_e32 vcc_lo, 31, v9
	v_cndmask_b32_e32 v7, 0x7c00, v7, vcc_lo
	v_cmp_eq_u32_e32 vcc_lo, 0x40f, v9
	s_delay_alu instid0(VALU_DEP_2) | instskip(SKIP_1) | instid1(VALU_DEP_1)
	v_cndmask_b32_e32 v5, v7, v5, vcc_lo
	v_lshrrev_b32_e32 v7, 16, v21
	v_and_or_b32 v5, 0x8000, v7, v5
	s_branch .LBB183_1996
.LBB183_1994:
	s_mov_b32 s11, -1
                                        ; implicit-def: $vgpr5
	s_branch .LBB183_1999
.LBB183_1995:
	s_mov_b32 s11, -1
                                        ; implicit-def: $vgpr5
.LBB183_1996:
	s_delay_alu instid0(SALU_CYCLE_1)
	s_and_not1_b32 vcc_lo, exec_lo, s11
	s_cbranch_vccnz .LBB183_1998
; %bb.1997:
	s_wait_loadcnt 0x0
	global_load_b32 v5, v[18:19], off
	s_wait_loadcnt 0x0
	v_cvt_f16_f32_e32 v5, v5
.LBB183_1998:
	s_mov_b32 s11, 0
.LBB183_1999:
	s_delay_alu instid0(SALU_CYCLE_1)
	s_and_not1_b32 vcc_lo, exec_lo, s11
	s_cbranch_vccnz .LBB183_2001
; %bb.2000:
	s_wait_loadcnt 0x0
	global_load_u16 v5, v[18:19], off
.LBB183_2001:
	s_mov_b32 s11, 0
.LBB183_2002:
	s_delay_alu instid0(SALU_CYCLE_1)
	s_and_not1_b32 vcc_lo, exec_lo, s11
	s_cbranch_vccnz .LBB183_2022
; %bb.2003:
	s_cmp_lt_i32 s2, 2
	s_cbranch_scc1 .LBB183_2007
; %bb.2004:
	s_cmp_lt_i32 s2, 3
	s_cbranch_scc1 .LBB183_2008
; %bb.2005:
	s_cmp_gt_i32 s2, 3
	s_cbranch_scc0 .LBB183_2009
; %bb.2006:
	global_load_b64 v[20:21], v[18:19], off
	s_mov_b32 s11, 0
	s_wait_loadcnt 0x0
	v_xor_b32_e32 v5, v20, v21
	v_cls_i32_e32 v7, v21
	s_delay_alu instid0(VALU_DEP_2) | instskip(NEXT) | instid1(VALU_DEP_1)
	v_ashrrev_i32_e32 v5, 31, v5
	v_add_nc_u32_e32 v5, 32, v5
	s_delay_alu instid0(VALU_DEP_1) | instskip(NEXT) | instid1(VALU_DEP_1)
	v_add_min_u32_e64 v5, v7, -1, v5
	v_lshlrev_b64_e32 v[20:21], v5, v[20:21]
	v_sub_nc_u32_e32 v5, 32, v5
	s_delay_alu instid0(VALU_DEP_2) | instskip(NEXT) | instid1(VALU_DEP_1)
	v_min_u32_e32 v7, 1, v20
	v_or_b32_e32 v7, v21, v7
	s_delay_alu instid0(VALU_DEP_1) | instskip(NEXT) | instid1(VALU_DEP_1)
	v_cvt_f32_i32_e32 v7, v7
	v_ldexp_f32 v5, v7, v5
	s_delay_alu instid0(VALU_DEP_1)
	v_cvt_f16_f32_e32 v5, v5
	s_branch .LBB183_2010
.LBB183_2007:
	s_mov_b32 s11, -1
                                        ; implicit-def: $vgpr5
	s_branch .LBB183_2016
.LBB183_2008:
	s_mov_b32 s11, -1
                                        ; implicit-def: $vgpr5
	s_branch .LBB183_2013
.LBB183_2009:
	s_mov_b32 s11, -1
                                        ; implicit-def: $vgpr5
.LBB183_2010:
	s_delay_alu instid0(SALU_CYCLE_1)
	s_and_not1_b32 vcc_lo, exec_lo, s11
	s_cbranch_vccnz .LBB183_2012
; %bb.2011:
	s_wait_loadcnt 0x0
	global_load_b32 v5, v[18:19], off
	s_wait_loadcnt 0x0
	v_cvt_f32_i32_e32 v5, v5
	s_delay_alu instid0(VALU_DEP_1)
	v_cvt_f16_f32_e32 v5, v5
.LBB183_2012:
	s_mov_b32 s11, 0
.LBB183_2013:
	s_delay_alu instid0(SALU_CYCLE_1)
	s_and_not1_b32 vcc_lo, exec_lo, s11
	s_cbranch_vccnz .LBB183_2015
; %bb.2014:
	s_wait_loadcnt 0x0
	global_load_u16 v5, v[18:19], off
	s_wait_loadcnt 0x0
	v_cvt_f16_i16_e32 v5, v5
.LBB183_2015:
	s_mov_b32 s11, 0
.LBB183_2016:
	s_delay_alu instid0(SALU_CYCLE_1)
	s_and_not1_b32 vcc_lo, exec_lo, s11
	s_cbranch_vccnz .LBB183_2022
; %bb.2017:
	s_cmp_gt_i32 s2, 0
	s_mov_b32 s11, 0
	s_cbranch_scc0 .LBB183_2019
; %bb.2018:
	s_wait_loadcnt 0x0
	global_load_i8 v5, v[18:19], off
	s_wait_loadcnt 0x0
	v_cvt_f16_i16_e32 v5, v5
	s_branch .LBB183_2020
.LBB183_2019:
	s_mov_b32 s11, -1
                                        ; implicit-def: $vgpr5
.LBB183_2020:
	s_delay_alu instid0(SALU_CYCLE_1)
	s_and_not1_b32 vcc_lo, exec_lo, s11
	s_cbranch_vccnz .LBB183_2022
; %bb.2021:
	s_wait_loadcnt 0x0
	global_load_u8 v5, v[18:19], off
	s_wait_loadcnt 0x0
	v_cvt_f16_u16_e32 v5, v5
.LBB183_2022:
.LBB183_2023:
	v_mov_b32_e32 v17, 0
	s_and_b32 s10, 0xffff, s10
	s_delay_alu instid0(SALU_CYCLE_1) | instskip(NEXT) | instid1(VALU_DEP_1)
	s_cmp_lt_i32 s10, 11
	v_add_nc_u64_e32 v[16:17], s[0:1], v[16:17]
	s_cbranch_scc1 .LBB183_2030
; %bb.2024:
	s_cmp_gt_i32 s10, 25
	s_mov_b32 s12, 0
	s_cbranch_scc0 .LBB183_2031
; %bb.2025:
	s_cmp_gt_i32 s10, 28
	s_cbranch_scc0 .LBB183_2032
; %bb.2026:
	s_cmp_gt_i32 s10, 43
	;; [unrolled: 3-line block ×3, first 2 shown]
	s_cbranch_scc0 .LBB183_2035
; %bb.2028:
	s_cmp_eq_u32 s10, 46
	s_mov_b32 s14, 0
	s_cbranch_scc0 .LBB183_2036
; %bb.2029:
	global_load_b32 v7, v[16:17], off
	s_mov_b32 s11, 0
	s_mov_b32 s13, -1
	s_wait_loadcnt 0x0
	v_lshlrev_b32_e32 v7, 16, v7
	s_wait_xcnt 0x1
	s_delay_alu instid0(VALU_DEP_1)
	v_cvt_f16_f32_e32 v18, v7
	s_branch .LBB183_2038
.LBB183_2030:
	s_mov_b32 s11, -1
	s_mov_b32 s13, 0
                                        ; implicit-def: $vgpr18
	s_branch .LBB183_2104
.LBB183_2031:
	s_mov_b32 s14, -1
	s_mov_b32 s13, 0
	s_mov_b32 s11, 0
                                        ; implicit-def: $vgpr18
	s_branch .LBB183_2067
.LBB183_2032:
	s_mov_b32 s14, -1
	s_mov_b32 s13, 0
	s_mov_b32 s11, 0
                                        ; implicit-def: $vgpr18
	s_branch .LBB183_2048
.LBB183_2033:
	s_mov_b32 s14, -1
	s_mov_b32 s13, 0
	s_mov_b32 s11, 0
                                        ; implicit-def: $vgpr18
	s_branch .LBB183_2043
.LBB183_2034:
	s_or_b32 s9, s9, exec_lo
	s_trap 2
	s_cbranch_execz .LBB183_1973
	s_branch .LBB183_1974
.LBB183_2035:
	s_mov_b32 s14, -1
	s_mov_b32 s13, 0
	s_mov_b32 s11, 0
	s_branch .LBB183_2037
.LBB183_2036:
	s_mov_b32 s11, -1
	s_mov_b32 s13, 0
.LBB183_2037:
                                        ; implicit-def: $vgpr18
.LBB183_2038:
	s_and_b32 vcc_lo, exec_lo, s14
	s_cbranch_vccz .LBB183_2042
; %bb.2039:
	s_cmp_eq_u32 s10, 44
	s_cbranch_scc0 .LBB183_2041
; %bb.2040:
	global_load_u8 v7, v[16:17], off
	s_mov_b32 s11, 0
	s_mov_b32 s13, -1
	s_wait_loadcnt 0x0
	v_lshlrev_b32_e32 v9, 23, v7
	v_cmp_ne_u32_e32 vcc_lo, 0xff, v7
	s_delay_alu instid0(VALU_DEP_2) | instskip(NEXT) | instid1(VALU_DEP_1)
	v_cvt_f16_f32_e32 v9, v9
	v_cndmask_b32_e32 v9, 0x7e00, v9, vcc_lo
	v_cmp_ne_u32_e32 vcc_lo, 0, v7
	s_wait_xcnt 0x1
	s_delay_alu instid0(VALU_DEP_2)
	v_cndmask_b32_e32 v18, 0, v9, vcc_lo
	s_branch .LBB183_2042
.LBB183_2041:
	s_mov_b32 s11, -1
                                        ; implicit-def: $vgpr18
.LBB183_2042:
	s_mov_b32 s14, 0
.LBB183_2043:
	s_delay_alu instid0(SALU_CYCLE_1)
	s_and_b32 vcc_lo, exec_lo, s14
	s_cbranch_vccz .LBB183_2047
; %bb.2044:
	s_cmp_eq_u32 s10, 29
	s_cbranch_scc0 .LBB183_2046
; %bb.2045:
	global_load_b64 v[18:19], v[16:17], off
	s_mov_b32 s11, 0
	s_mov_b32 s13, -1
	s_mov_b32 s14, 0
	s_wait_loadcnt 0x0
	v_clz_i32_u32_e32 v7, v19
	s_delay_alu instid0(VALU_DEP_1) | instskip(NEXT) | instid1(VALU_DEP_1)
	v_min_u32_e32 v7, 32, v7
	v_lshlrev_b64_e32 v[18:19], v7, v[18:19]
	v_sub_nc_u32_e32 v7, 32, v7
	s_delay_alu instid0(VALU_DEP_2) | instskip(NEXT) | instid1(VALU_DEP_1)
	v_min_u32_e32 v9, 1, v18
	v_or_b32_e32 v9, v19, v9
	s_delay_alu instid0(VALU_DEP_1) | instskip(NEXT) | instid1(VALU_DEP_1)
	v_cvt_f32_u32_e32 v9, v9
	v_ldexp_f32 v7, v9, v7
	s_delay_alu instid0(VALU_DEP_1)
	v_cvt_f16_f32_e32 v18, v7
	s_branch .LBB183_2048
.LBB183_2046:
	s_mov_b32 s11, -1
                                        ; implicit-def: $vgpr18
.LBB183_2047:
	s_mov_b32 s14, 0
.LBB183_2048:
	s_delay_alu instid0(SALU_CYCLE_1)
	s_and_b32 vcc_lo, exec_lo, s14
	s_cbranch_vccz .LBB183_2066
; %bb.2049:
	s_cmp_lt_i32 s10, 27
	s_cbranch_scc1 .LBB183_2052
; %bb.2050:
	s_cmp_gt_i32 s10, 27
	s_cbranch_scc0 .LBB183_2053
; %bb.2051:
	global_load_b32 v7, v[16:17], off
	s_mov_b32 s13, 0
	s_wait_loadcnt 0x0
	v_cvt_f32_u32_e32 v7, v7
	s_wait_xcnt 0x1
	s_delay_alu instid0(VALU_DEP_1)
	v_cvt_f16_f32_e32 v18, v7
	s_branch .LBB183_2054
.LBB183_2052:
	s_mov_b32 s13, -1
                                        ; implicit-def: $vgpr18
	s_branch .LBB183_2057
.LBB183_2053:
	s_mov_b32 s13, -1
                                        ; implicit-def: $vgpr18
.LBB183_2054:
	s_delay_alu instid0(SALU_CYCLE_1)
	s_and_not1_b32 vcc_lo, exec_lo, s13
	s_cbranch_vccnz .LBB183_2056
; %bb.2055:
	global_load_u16 v7, v[16:17], off
	s_wait_loadcnt 0x0
	s_wait_xcnt 0x1
	v_cvt_f16_u16_e32 v18, v7
.LBB183_2056:
	s_mov_b32 s13, 0
.LBB183_2057:
	s_delay_alu instid0(SALU_CYCLE_1)
	s_and_not1_b32 vcc_lo, exec_lo, s13
	s_cbranch_vccnz .LBB183_2065
; %bb.2058:
	global_load_u8 v7, v[16:17], off
	s_mov_b32 s13, 0
	s_mov_b32 s14, exec_lo
	s_wait_loadcnt 0x0
	v_cmpx_lt_i16_e32 0x7f, v7
	s_xor_b32 s14, exec_lo, s14
	s_cbranch_execz .LBB183_2079
; %bb.2059:
	s_mov_b32 s13, -1
	s_mov_b32 s15, exec_lo
	v_cmpx_eq_u16_e32 0x80, v7
; %bb.2060:
	s_xor_b32 s13, exec_lo, -1
; %bb.2061:
	s_or_b32 exec_lo, exec_lo, s15
	s_delay_alu instid0(SALU_CYCLE_1)
	s_and_b32 s13, s13, exec_lo
	s_or_saveexec_b32 s14, s14
	v_mov_b32_e32 v18, 0x7e00
	s_xor_b32 exec_lo, exec_lo, s14
	s_cbranch_execnz .LBB183_2080
.LBB183_2062:
	s_or_b32 exec_lo, exec_lo, s14
	s_and_saveexec_b32 s14, s13
	s_cbranch_execz .LBB183_2064
.LBB183_2063:
	v_and_b32_e32 v9, 0xffff, v7
	s_delay_alu instid0(VALU_DEP_1) | instskip(SKIP_1) | instid1(VALU_DEP_2)
	v_dual_lshlrev_b32 v7, 24, v7 :: v_dual_bitop2_b32 v11, 7, v9 bitop3:0x40
	v_bfe_u32 v18, v9, 3, 4
	v_and_b32_e32 v7, 0x80000000, v7
	s_delay_alu instid0(VALU_DEP_3) | instskip(NEXT) | instid1(VALU_DEP_3)
	v_clz_i32_u32_e32 v13, v11
	v_cmp_eq_u32_e32 vcc_lo, 0, v18
	s_delay_alu instid0(VALU_DEP_2) | instskip(NEXT) | instid1(VALU_DEP_1)
	v_min_u32_e32 v13, 32, v13
	v_subrev_nc_u32_e32 v15, 28, v13
	v_sub_nc_u32_e32 v13, 29, v13
	s_delay_alu instid0(VALU_DEP_2) | instskip(NEXT) | instid1(VALU_DEP_2)
	v_lshlrev_b32_e32 v9, v15, v9
	v_cndmask_b32_e32 v13, v18, v13, vcc_lo
	s_delay_alu instid0(VALU_DEP_2) | instskip(NEXT) | instid1(VALU_DEP_1)
	v_and_b32_e32 v9, 7, v9
	v_cndmask_b32_e32 v9, v11, v9, vcc_lo
	s_delay_alu instid0(VALU_DEP_3) | instskip(NEXT) | instid1(VALU_DEP_2)
	v_lshl_add_u32 v11, v13, 23, 0x3b800000
	v_lshlrev_b32_e32 v9, 20, v9
	s_delay_alu instid0(VALU_DEP_1) | instskip(NEXT) | instid1(VALU_DEP_1)
	v_or3_b32 v7, v7, v11, v9
	v_cvt_f16_f32_e32 v18, v7
.LBB183_2064:
	s_or_b32 exec_lo, exec_lo, s14
.LBB183_2065:
	s_mov_b32 s13, -1
.LBB183_2066:
	s_mov_b32 s14, 0
.LBB183_2067:
	s_delay_alu instid0(SALU_CYCLE_1)
	s_and_b32 vcc_lo, exec_lo, s14
	s_cbranch_vccz .LBB183_2100
; %bb.2068:
	s_cmp_gt_i32 s10, 22
	s_cbranch_scc0 .LBB183_2078
; %bb.2069:
	s_cmp_lt_i32 s10, 24
	s_cbranch_scc1 .LBB183_2081
; %bb.2070:
	s_cmp_gt_i32 s10, 24
	s_cbranch_scc0 .LBB183_2082
; %bb.2071:
	global_load_u8 v7, v[16:17], off
	s_mov_b32 s13, exec_lo
	s_wait_loadcnt 0x0
	v_cmpx_lt_i16_e32 0x7f, v7
	s_xor_b32 s13, exec_lo, s13
	s_cbranch_execz .LBB183_2094
; %bb.2072:
	s_mov_b32 s12, -1
	s_mov_b32 s14, exec_lo
	v_cmpx_eq_u16_e32 0x80, v7
; %bb.2073:
	s_xor_b32 s12, exec_lo, -1
; %bb.2074:
	s_or_b32 exec_lo, exec_lo, s14
	s_delay_alu instid0(SALU_CYCLE_1)
	s_and_b32 s12, s12, exec_lo
	s_or_saveexec_b32 s13, s13
	v_mov_b32_e32 v18, 0x7e00
	s_xor_b32 exec_lo, exec_lo, s13
	s_cbranch_execnz .LBB183_2095
.LBB183_2075:
	s_or_b32 exec_lo, exec_lo, s13
	s_and_saveexec_b32 s13, s12
	s_cbranch_execz .LBB183_2077
.LBB183_2076:
	v_and_b32_e32 v9, 0xffff, v7
	s_delay_alu instid0(VALU_DEP_1) | instskip(SKIP_1) | instid1(VALU_DEP_2)
	v_dual_lshlrev_b32 v7, 24, v7 :: v_dual_bitop2_b32 v11, 3, v9 bitop3:0x40
	v_bfe_u32 v18, v9, 2, 5
	v_and_b32_e32 v7, 0x80000000, v7
	s_delay_alu instid0(VALU_DEP_3) | instskip(NEXT) | instid1(VALU_DEP_3)
	v_clz_i32_u32_e32 v13, v11
	v_cmp_eq_u32_e32 vcc_lo, 0, v18
	s_delay_alu instid0(VALU_DEP_2) | instskip(NEXT) | instid1(VALU_DEP_1)
	v_min_u32_e32 v13, 32, v13
	v_subrev_nc_u32_e32 v15, 29, v13
	v_sub_nc_u32_e32 v13, 30, v13
	s_delay_alu instid0(VALU_DEP_2) | instskip(NEXT) | instid1(VALU_DEP_2)
	v_lshlrev_b32_e32 v9, v15, v9
	v_cndmask_b32_e32 v13, v18, v13, vcc_lo
	s_delay_alu instid0(VALU_DEP_2) | instskip(NEXT) | instid1(VALU_DEP_1)
	v_and_b32_e32 v9, 3, v9
	v_cndmask_b32_e32 v9, v11, v9, vcc_lo
	s_delay_alu instid0(VALU_DEP_3) | instskip(NEXT) | instid1(VALU_DEP_2)
	v_lshl_add_u32 v11, v13, 23, 0x37800000
	v_lshlrev_b32_e32 v9, 21, v9
	s_delay_alu instid0(VALU_DEP_1) | instskip(NEXT) | instid1(VALU_DEP_1)
	v_or3_b32 v7, v7, v11, v9
	v_cvt_f16_f32_e32 v18, v7
.LBB183_2077:
	s_or_b32 exec_lo, exec_lo, s13
	s_mov_b32 s12, 0
	s_branch .LBB183_2083
.LBB183_2078:
	s_mov_b32 s12, -1
                                        ; implicit-def: $vgpr18
	s_branch .LBB183_2089
.LBB183_2079:
	s_or_saveexec_b32 s14, s14
	v_mov_b32_e32 v18, 0x7e00
	s_xor_b32 exec_lo, exec_lo, s14
	s_cbranch_execz .LBB183_2062
.LBB183_2080:
	v_cmp_ne_u16_e32 vcc_lo, 0, v7
	v_mov_b32_e32 v18, v7
	s_and_not1_b32 s13, s13, exec_lo
	s_and_b32 s15, vcc_lo, exec_lo
	s_delay_alu instid0(SALU_CYCLE_1)
	s_or_b32 s13, s13, s15
	s_or_b32 exec_lo, exec_lo, s14
	s_and_saveexec_b32 s14, s13
	s_cbranch_execnz .LBB183_2063
	s_branch .LBB183_2064
.LBB183_2081:
	s_mov_b32 s12, -1
                                        ; implicit-def: $vgpr18
	s_branch .LBB183_2086
.LBB183_2082:
	s_mov_b32 s12, -1
                                        ; implicit-def: $vgpr18
.LBB183_2083:
	s_delay_alu instid0(SALU_CYCLE_1)
	s_and_b32 vcc_lo, exec_lo, s12
	s_cbranch_vccz .LBB183_2085
; %bb.2084:
	global_load_u8 v7, v[16:17], off
	s_wait_loadcnt 0x0
	v_lshlrev_b32_e32 v7, 24, v7
	s_delay_alu instid0(VALU_DEP_1) | instskip(NEXT) | instid1(VALU_DEP_1)
	v_and_b32_e32 v9, 0x7f000000, v7
	v_clz_i32_u32_e32 v11, v9
	v_add_nc_u32_e32 v15, 0x1000000, v9
	v_cmp_ne_u32_e32 vcc_lo, 0, v9
	s_delay_alu instid0(VALU_DEP_3) | instskip(NEXT) | instid1(VALU_DEP_1)
	v_min_u32_e32 v11, 32, v11
	v_sub_nc_u32_e64 v11, v11, 4 clamp
	s_delay_alu instid0(VALU_DEP_1) | instskip(NEXT) | instid1(VALU_DEP_1)
	v_dual_lshlrev_b32 v13, v11, v9 :: v_dual_lshlrev_b32 v11, 23, v11
	v_lshrrev_b32_e32 v13, 4, v13
	s_delay_alu instid0(VALU_DEP_1) | instskip(SKIP_1) | instid1(VALU_DEP_2)
	v_sub_nc_u32_e32 v11, v13, v11
	v_ashrrev_i32_e32 v13, 8, v15
	v_add_nc_u32_e32 v11, 0x3c000000, v11
	s_delay_alu instid0(VALU_DEP_1) | instskip(NEXT) | instid1(VALU_DEP_1)
	v_and_or_b32 v11, 0x7f800000, v13, v11
	v_cndmask_b32_e32 v9, 0, v11, vcc_lo
	s_delay_alu instid0(VALU_DEP_1) | instskip(SKIP_1) | instid1(VALU_DEP_1)
	v_and_or_b32 v7, 0x80000000, v7, v9
	s_wait_xcnt 0x1
	v_cvt_f16_f32_e32 v18, v7
.LBB183_2085:
	s_mov_b32 s12, 0
.LBB183_2086:
	s_delay_alu instid0(SALU_CYCLE_1)
	s_and_not1_b32 vcc_lo, exec_lo, s12
	s_cbranch_vccnz .LBB183_2088
; %bb.2087:
	global_load_u8 v7, v[16:17], off
	s_wait_loadcnt 0x0
	v_lshlrev_b32_e32 v9, 25, v7
	v_lshlrev_b16 v7, 8, v7
	s_delay_alu instid0(VALU_DEP_1) | instskip(SKIP_1) | instid1(VALU_DEP_2)
	v_and_or_b32 v13, 0x7f00, v7, 0.5
	v_bfe_i32 v7, v7, 0, 16
	v_add_f32_e32 v13, -0.5, v13
	v_lshrrev_b32_e32 v11, 4, v9
	v_cmp_gt_u32_e32 vcc_lo, 0x8000000, v9
	s_delay_alu instid0(VALU_DEP_2) | instskip(NEXT) | instid1(VALU_DEP_1)
	v_or_b32_e32 v11, 0x70000000, v11
	v_mul_f32_e32 v11, 0x7800000, v11
	s_delay_alu instid0(VALU_DEP_1) | instskip(NEXT) | instid1(VALU_DEP_1)
	v_cndmask_b32_e32 v9, v11, v13, vcc_lo
	v_and_or_b32 v7, 0x80000000, v7, v9
	s_wait_xcnt 0x1
	s_delay_alu instid0(VALU_DEP_1)
	v_cvt_f16_f32_e32 v18, v7
.LBB183_2088:
	s_mov_b32 s12, 0
	s_mov_b32 s13, -1
.LBB183_2089:
	s_and_not1_b32 vcc_lo, exec_lo, s12
	s_mov_b32 s12, 0
	s_cbranch_vccnz .LBB183_2100
; %bb.2090:
	s_cmp_gt_i32 s10, 14
	s_cbranch_scc0 .LBB183_2093
; %bb.2091:
	s_cmp_eq_u32 s10, 15
	s_cbranch_scc0 .LBB183_2096
; %bb.2092:
	global_load_u16 v7, v[16:17], off
	s_mov_b32 s11, 0
	s_mov_b32 s13, -1
	s_wait_loadcnt 0x0
	v_lshlrev_b32_e32 v7, 16, v7
	s_wait_xcnt 0x1
	s_delay_alu instid0(VALU_DEP_1)
	v_cvt_f16_f32_e32 v18, v7
	s_branch .LBB183_2098
.LBB183_2093:
	s_mov_b32 s12, -1
	s_branch .LBB183_2097
.LBB183_2094:
	s_or_saveexec_b32 s13, s13
	v_mov_b32_e32 v18, 0x7e00
	s_xor_b32 exec_lo, exec_lo, s13
	s_cbranch_execz .LBB183_2075
.LBB183_2095:
	v_cmp_ne_u16_e32 vcc_lo, 0, v7
	v_mov_b32_e32 v18, v7
	s_and_not1_b32 s12, s12, exec_lo
	s_and_b32 s14, vcc_lo, exec_lo
	s_delay_alu instid0(SALU_CYCLE_1)
	s_or_b32 s12, s12, s14
	s_or_b32 exec_lo, exec_lo, s13
	s_and_saveexec_b32 s13, s12
	s_cbranch_execnz .LBB183_2076
	s_branch .LBB183_2077
.LBB183_2096:
	s_mov_b32 s11, -1
.LBB183_2097:
                                        ; implicit-def: $vgpr18
.LBB183_2098:
	s_and_b32 vcc_lo, exec_lo, s12
	s_mov_b32 s12, 0
	s_cbranch_vccz .LBB183_2100
; %bb.2099:
	s_cmp_lg_u32 s10, 11
	s_mov_b32 s12, -1
	s_cselect_b32 s11, -1, 0
.LBB183_2100:
	s_delay_alu instid0(SALU_CYCLE_1)
	s_and_b32 vcc_lo, exec_lo, s11
	s_cbranch_vccnz .LBB183_2165
; %bb.2101:
	s_and_not1_b32 vcc_lo, exec_lo, s12
	s_cbranch_vccnz .LBB183_2103
.LBB183_2102:
	global_load_u8 v7, v[16:17], off
	s_mov_b32 s13, -1
	s_wait_loadcnt 0x0
	v_cmp_ne_u16_e32 vcc_lo, 0, v7
	s_wait_xcnt 0x1
	v_cndmask_b32_e64 v18, 0, 0x3c00, vcc_lo
.LBB183_2103:
	s_mov_b32 s11, 0
.LBB183_2104:
	s_delay_alu instid0(SALU_CYCLE_1)
	s_and_b32 vcc_lo, exec_lo, s11
	s_cbranch_vccz .LBB183_2153
; %bb.2105:
	s_cmp_lt_i32 s10, 5
	s_cbranch_scc1 .LBB183_2110
; %bb.2106:
	s_cmp_lt_i32 s10, 8
	s_cbranch_scc1 .LBB183_2111
	;; [unrolled: 3-line block ×3, first 2 shown]
; %bb.2108:
	s_cmp_gt_i32 s10, 9
	s_cbranch_scc0 .LBB183_2113
; %bb.2109:
	global_load_b64 v[18:19], v[16:17], off
	s_mov_b32 s11, 0
	s_wait_loadcnt 0x0
	v_and_or_b32 v7, 0x1ff, v19, v18
	v_lshrrev_b32_e32 v9, 8, v19
	v_bfe_u32 v11, v19, 20, 11
	s_delay_alu instid0(VALU_DEP_3) | instskip(NEXT) | instid1(VALU_DEP_2)
	v_cmp_ne_u32_e32 vcc_lo, 0, v7
	v_sub_nc_u32_e32 v13, 0x3f1, v11
	v_add_nc_u32_e32 v11, 0xfffffc10, v11
	v_cndmask_b32_e64 v7, 0, 1, vcc_lo
	s_delay_alu instid0(VALU_DEP_1) | instskip(NEXT) | instid1(VALU_DEP_4)
	v_and_or_b32 v7, 0xffe, v9, v7
	v_med3_i32 v9, v13, 0, 13
	s_delay_alu instid0(VALU_DEP_2) | instskip(NEXT) | instid1(VALU_DEP_1)
	v_or_b32_e32 v13, 0x1000, v7
	v_lshrrev_b32_e32 v15, v9, v13
	s_delay_alu instid0(VALU_DEP_1) | instskip(NEXT) | instid1(VALU_DEP_1)
	v_lshlrev_b32_e32 v9, v9, v15
	v_cmp_ne_u32_e32 vcc_lo, v9, v13
	v_lshl_or_b32 v13, v11, 12, v7
	v_cndmask_b32_e64 v9, 0, 1, vcc_lo
	v_cmp_gt_i32_e32 vcc_lo, 1, v11
	s_delay_alu instid0(VALU_DEP_2) | instskip(NEXT) | instid1(VALU_DEP_1)
	v_or_b32_e32 v9, v15, v9
	v_cndmask_b32_e32 v9, v13, v9, vcc_lo
	s_delay_alu instid0(VALU_DEP_1) | instskip(NEXT) | instid1(VALU_DEP_1)
	v_and_b32_e32 v13, 7, v9
	v_cmp_lt_i32_e32 vcc_lo, 5, v13
	v_cndmask_b32_e64 v15, 0, 1, vcc_lo
	v_cmp_eq_u32_e32 vcc_lo, 3, v13
	v_cndmask_b32_e64 v13, 0, 1, vcc_lo
	v_cmp_ne_u32_e32 vcc_lo, 0, v7
	s_delay_alu instid0(VALU_DEP_2) | instskip(SKIP_1) | instid1(VALU_DEP_2)
	v_dual_lshrrev_b32 v9, 2, v9 :: v_dual_bitop2_b32 v13, v13, v15 bitop3:0x54
	v_mov_b32_e32 v15, 0x7e00
	v_add_nc_u32_e32 v9, v9, v13
	s_delay_alu instid0(VALU_DEP_2) | instskip(SKIP_1) | instid1(VALU_DEP_3)
	v_cndmask_b32_e32 v7, 0x7c00, v15, vcc_lo
	v_cmp_gt_i32_e32 vcc_lo, 31, v11
	v_cndmask_b32_e32 v9, 0x7c00, v9, vcc_lo
	v_cmp_eq_u32_e32 vcc_lo, 0x40f, v11
	s_delay_alu instid0(VALU_DEP_2) | instskip(SKIP_1) | instid1(VALU_DEP_1)
	v_cndmask_b32_e32 v7, v9, v7, vcc_lo
	v_lshrrev_b32_e32 v9, 16, v19
	v_and_or_b32 v18, 0x8000, v9, v7
	s_branch .LBB183_2114
.LBB183_2110:
	s_mov_b32 s11, -1
                                        ; implicit-def: $vgpr18
	s_branch .LBB183_2132
.LBB183_2111:
	s_mov_b32 s11, -1
                                        ; implicit-def: $vgpr18
	s_branch .LBB183_2120
.LBB183_2112:
	s_mov_b32 s11, -1
                                        ; implicit-def: $vgpr18
	s_branch .LBB183_2117
.LBB183_2113:
	s_mov_b32 s11, -1
                                        ; implicit-def: $vgpr18
.LBB183_2114:
	s_delay_alu instid0(SALU_CYCLE_1)
	s_and_not1_b32 vcc_lo, exec_lo, s11
	s_cbranch_vccnz .LBB183_2116
; %bb.2115:
	global_load_b32 v7, v[16:17], off
	s_wait_loadcnt 0x0
	s_wait_xcnt 0x1
	v_cvt_f16_f32_e32 v18, v7
.LBB183_2116:
	s_mov_b32 s11, 0
.LBB183_2117:
	s_delay_alu instid0(SALU_CYCLE_1)
	s_and_not1_b32 vcc_lo, exec_lo, s11
	s_cbranch_vccnz .LBB183_2119
; %bb.2118:
	global_load_b32 v18, v[16:17], off
.LBB183_2119:
	s_mov_b32 s11, 0
.LBB183_2120:
	s_delay_alu instid0(SALU_CYCLE_1)
	s_and_not1_b32 vcc_lo, exec_lo, s11
	s_cbranch_vccnz .LBB183_2131
; %bb.2121:
	s_cmp_lt_i32 s10, 6
	s_cbranch_scc1 .LBB183_2124
; %bb.2122:
	s_cmp_gt_i32 s10, 6
	s_cbranch_scc0 .LBB183_2125
; %bb.2123:
	s_wait_loadcnt 0x0
	global_load_b64 v[18:19], v[16:17], off
	s_mov_b32 s11, 0
	s_wait_loadcnt 0x0
	v_and_or_b32 v7, 0x1ff, v19, v18
	v_lshrrev_b32_e32 v9, 8, v19
	v_bfe_u32 v11, v19, 20, 11
	s_delay_alu instid0(VALU_DEP_3) | instskip(NEXT) | instid1(VALU_DEP_2)
	v_cmp_ne_u32_e32 vcc_lo, 0, v7
	v_sub_nc_u32_e32 v13, 0x3f1, v11
	v_add_nc_u32_e32 v11, 0xfffffc10, v11
	v_cndmask_b32_e64 v7, 0, 1, vcc_lo
	s_delay_alu instid0(VALU_DEP_1) | instskip(NEXT) | instid1(VALU_DEP_4)
	v_and_or_b32 v7, 0xffe, v9, v7
	v_med3_i32 v9, v13, 0, 13
	s_delay_alu instid0(VALU_DEP_2) | instskip(NEXT) | instid1(VALU_DEP_1)
	v_or_b32_e32 v13, 0x1000, v7
	v_lshrrev_b32_e32 v15, v9, v13
	s_delay_alu instid0(VALU_DEP_1) | instskip(NEXT) | instid1(VALU_DEP_1)
	v_lshlrev_b32_e32 v9, v9, v15
	v_cmp_ne_u32_e32 vcc_lo, v9, v13
	v_lshl_or_b32 v13, v11, 12, v7
	v_cndmask_b32_e64 v9, 0, 1, vcc_lo
	v_cmp_gt_i32_e32 vcc_lo, 1, v11
	s_delay_alu instid0(VALU_DEP_2) | instskip(NEXT) | instid1(VALU_DEP_1)
	v_or_b32_e32 v9, v15, v9
	v_cndmask_b32_e32 v9, v13, v9, vcc_lo
	s_delay_alu instid0(VALU_DEP_1) | instskip(NEXT) | instid1(VALU_DEP_1)
	v_and_b32_e32 v13, 7, v9
	v_cmp_lt_i32_e32 vcc_lo, 5, v13
	v_cndmask_b32_e64 v15, 0, 1, vcc_lo
	v_cmp_eq_u32_e32 vcc_lo, 3, v13
	v_cndmask_b32_e64 v13, 0, 1, vcc_lo
	v_cmp_ne_u32_e32 vcc_lo, 0, v7
	s_delay_alu instid0(VALU_DEP_2) | instskip(SKIP_1) | instid1(VALU_DEP_2)
	v_dual_lshrrev_b32 v9, 2, v9 :: v_dual_bitop2_b32 v13, v13, v15 bitop3:0x54
	v_mov_b32_e32 v15, 0x7e00
	v_add_nc_u32_e32 v9, v9, v13
	s_delay_alu instid0(VALU_DEP_2) | instskip(SKIP_1) | instid1(VALU_DEP_3)
	v_cndmask_b32_e32 v7, 0x7c00, v15, vcc_lo
	v_cmp_gt_i32_e32 vcc_lo, 31, v11
	v_cndmask_b32_e32 v9, 0x7c00, v9, vcc_lo
	v_cmp_eq_u32_e32 vcc_lo, 0x40f, v11
	s_delay_alu instid0(VALU_DEP_2) | instskip(SKIP_1) | instid1(VALU_DEP_1)
	v_cndmask_b32_e32 v7, v9, v7, vcc_lo
	v_lshrrev_b32_e32 v9, 16, v19
	v_and_or_b32 v18, 0x8000, v9, v7
	s_branch .LBB183_2126
.LBB183_2124:
	s_mov_b32 s11, -1
                                        ; implicit-def: $vgpr18
	s_branch .LBB183_2129
.LBB183_2125:
	s_mov_b32 s11, -1
                                        ; implicit-def: $vgpr18
.LBB183_2126:
	s_delay_alu instid0(SALU_CYCLE_1)
	s_and_not1_b32 vcc_lo, exec_lo, s11
	s_cbranch_vccnz .LBB183_2128
; %bb.2127:
	global_load_b32 v7, v[16:17], off
	s_wait_loadcnt 0x0
	s_wait_xcnt 0x1
	v_cvt_f16_f32_e32 v18, v7
.LBB183_2128:
	s_mov_b32 s11, 0
.LBB183_2129:
	s_delay_alu instid0(SALU_CYCLE_1)
	s_and_not1_b32 vcc_lo, exec_lo, s11
	s_cbranch_vccnz .LBB183_2131
; %bb.2130:
	s_wait_loadcnt 0x0
	global_load_u16 v18, v[16:17], off
.LBB183_2131:
	s_mov_b32 s11, 0
.LBB183_2132:
	s_delay_alu instid0(SALU_CYCLE_1)
	s_and_not1_b32 vcc_lo, exec_lo, s11
	s_cbranch_vccnz .LBB183_2152
; %bb.2133:
	s_cmp_lt_i32 s10, 2
	s_cbranch_scc1 .LBB183_2137
; %bb.2134:
	s_cmp_lt_i32 s10, 3
	s_cbranch_scc1 .LBB183_2138
; %bb.2135:
	s_cmp_gt_i32 s10, 3
	s_cbranch_scc0 .LBB183_2139
; %bb.2136:
	s_wait_loadcnt 0x0
	global_load_b64 v[18:19], v[16:17], off
	s_mov_b32 s11, 0
	s_wait_loadcnt 0x0
	v_xor_b32_e32 v7, v18, v19
	v_cls_i32_e32 v9, v19
	s_delay_alu instid0(VALU_DEP_2) | instskip(NEXT) | instid1(VALU_DEP_1)
	v_ashrrev_i32_e32 v7, 31, v7
	v_add_nc_u32_e32 v7, 32, v7
	s_delay_alu instid0(VALU_DEP_1) | instskip(NEXT) | instid1(VALU_DEP_1)
	v_add_min_u32_e64 v7, v9, -1, v7
	v_lshlrev_b64_e32 v[18:19], v7, v[18:19]
	v_sub_nc_u32_e32 v7, 32, v7
	s_delay_alu instid0(VALU_DEP_2) | instskip(NEXT) | instid1(VALU_DEP_1)
	v_min_u32_e32 v9, 1, v18
	v_or_b32_e32 v9, v19, v9
	s_delay_alu instid0(VALU_DEP_1) | instskip(NEXT) | instid1(VALU_DEP_1)
	v_cvt_f32_i32_e32 v9, v9
	v_ldexp_f32 v7, v9, v7
	s_delay_alu instid0(VALU_DEP_1)
	v_cvt_f16_f32_e32 v18, v7
	s_branch .LBB183_2140
.LBB183_2137:
	s_mov_b32 s11, -1
                                        ; implicit-def: $vgpr18
	s_branch .LBB183_2146
.LBB183_2138:
	s_mov_b32 s11, -1
                                        ; implicit-def: $vgpr18
	s_branch .LBB183_2143
.LBB183_2139:
	s_mov_b32 s11, -1
                                        ; implicit-def: $vgpr18
.LBB183_2140:
	s_delay_alu instid0(SALU_CYCLE_1)
	s_and_not1_b32 vcc_lo, exec_lo, s11
	s_cbranch_vccnz .LBB183_2142
; %bb.2141:
	global_load_b32 v7, v[16:17], off
	s_wait_loadcnt 0x0
	v_cvt_f32_i32_e32 v7, v7
	s_wait_xcnt 0x1
	s_delay_alu instid0(VALU_DEP_1)
	v_cvt_f16_f32_e32 v18, v7
.LBB183_2142:
	s_mov_b32 s11, 0
.LBB183_2143:
	s_delay_alu instid0(SALU_CYCLE_1)
	s_and_not1_b32 vcc_lo, exec_lo, s11
	s_cbranch_vccnz .LBB183_2145
; %bb.2144:
	global_load_u16 v7, v[16:17], off
	s_wait_loadcnt 0x0
	s_wait_xcnt 0x1
	v_cvt_f16_i16_e32 v18, v7
.LBB183_2145:
	s_mov_b32 s11, 0
.LBB183_2146:
	s_delay_alu instid0(SALU_CYCLE_1)
	s_and_not1_b32 vcc_lo, exec_lo, s11
	s_cbranch_vccnz .LBB183_2152
; %bb.2147:
	s_cmp_gt_i32 s10, 0
	s_mov_b32 s11, 0
	s_cbranch_scc0 .LBB183_2149
; %bb.2148:
	global_load_i8 v7, v[16:17], off
	s_wait_loadcnt 0x0
	s_wait_xcnt 0x1
	v_cvt_f16_i16_e32 v18, v7
	s_branch .LBB183_2150
.LBB183_2149:
	s_mov_b32 s11, -1
                                        ; implicit-def: $vgpr18
.LBB183_2150:
	s_delay_alu instid0(SALU_CYCLE_1)
	s_and_not1_b32 vcc_lo, exec_lo, s11
	s_cbranch_vccnz .LBB183_2152
; %bb.2151:
	global_load_u8 v7, v[16:17], off
	s_wait_loadcnt 0x0
	s_wait_xcnt 0x1
	v_cvt_f16_u16_e32 v18, v7
.LBB183_2152:
	s_mov_b32 s13, -1
.LBB183_2153:
	s_delay_alu instid0(SALU_CYCLE_1)
	s_and_not1_b32 vcc_lo, exec_lo, s13
	s_cbranch_vccnz .LBB183_3112
; %bb.2154:
	v_mov_b32_e32 v15, 0
	s_cmp_lt_i32 s2, 11
	s_delay_alu instid0(VALU_DEP_1)
	v_add_nc_u64_e32 v[14:15], s[6:7], v[14:15]
	s_cbranch_scc1 .LBB183_2161
; %bb.2155:
	s_cmp_gt_i32 s2, 25
	s_mov_b32 s12, 0
	s_cbranch_scc0 .LBB183_2162
; %bb.2156:
	s_cmp_gt_i32 s2, 28
	s_cbranch_scc0 .LBB183_2163
; %bb.2157:
	s_cmp_gt_i32 s2, 43
	;; [unrolled: 3-line block ×3, first 2 shown]
	s_cbranch_scc0 .LBB183_2166
; %bb.2159:
	s_cmp_eq_u32 s2, 46
	s_mov_b32 s14, 0
	s_cbranch_scc0 .LBB183_2167
; %bb.2160:
	global_load_b32 v7, v[14:15], off
	s_mov_b32 s11, 0
	s_mov_b32 s13, -1
	s_wait_loadcnt 0x0
	v_lshlrev_b32_e32 v7, 16, v7
	s_wait_xcnt 0x1
	s_delay_alu instid0(VALU_DEP_1)
	v_cvt_f16_f32_e32 v16, v7
	s_branch .LBB183_2169
.LBB183_2161:
	s_mov_b32 s11, -1
	s_mov_b32 s13, 0
                                        ; implicit-def: $vgpr16
	s_branch .LBB183_2235
.LBB183_2162:
	s_mov_b32 s14, -1
	s_mov_b32 s13, 0
	s_mov_b32 s11, 0
                                        ; implicit-def: $vgpr16
	s_branch .LBB183_2198
.LBB183_2163:
	s_mov_b32 s14, -1
	s_mov_b32 s13, 0
	s_mov_b32 s11, 0
                                        ; implicit-def: $vgpr16
	s_branch .LBB183_2179
.LBB183_2164:
	s_mov_b32 s14, -1
	s_mov_b32 s13, 0
	s_mov_b32 s11, 0
                                        ; implicit-def: $vgpr16
	s_branch .LBB183_2174
.LBB183_2165:
	s_or_b32 s9, s9, exec_lo
	s_trap 2
	s_cbranch_execz .LBB183_2102
	s_branch .LBB183_2103
.LBB183_2166:
	s_mov_b32 s14, -1
	s_mov_b32 s13, 0
	s_mov_b32 s11, 0
	s_branch .LBB183_2168
.LBB183_2167:
	s_mov_b32 s11, -1
	s_mov_b32 s13, 0
.LBB183_2168:
                                        ; implicit-def: $vgpr16
.LBB183_2169:
	s_and_b32 vcc_lo, exec_lo, s14
	s_cbranch_vccz .LBB183_2173
; %bb.2170:
	s_cmp_eq_u32 s2, 44
	s_cbranch_scc0 .LBB183_2172
; %bb.2171:
	global_load_u8 v7, v[14:15], off
	s_mov_b32 s11, 0
	s_mov_b32 s13, -1
	s_wait_loadcnt 0x0
	v_lshlrev_b32_e32 v9, 23, v7
	v_cmp_ne_u32_e32 vcc_lo, 0xff, v7
	s_delay_alu instid0(VALU_DEP_2) | instskip(NEXT) | instid1(VALU_DEP_1)
	v_cvt_f16_f32_e32 v9, v9
	v_cndmask_b32_e32 v9, 0x7e00, v9, vcc_lo
	v_cmp_ne_u32_e32 vcc_lo, 0, v7
	s_wait_xcnt 0x1
	s_delay_alu instid0(VALU_DEP_2)
	v_cndmask_b32_e32 v16, 0, v9, vcc_lo
	s_branch .LBB183_2173
.LBB183_2172:
	s_mov_b32 s11, -1
                                        ; implicit-def: $vgpr16
.LBB183_2173:
	s_mov_b32 s14, 0
.LBB183_2174:
	s_delay_alu instid0(SALU_CYCLE_1)
	s_and_b32 vcc_lo, exec_lo, s14
	s_cbranch_vccz .LBB183_2178
; %bb.2175:
	s_cmp_eq_u32 s2, 29
	s_cbranch_scc0 .LBB183_2177
; %bb.2176:
	global_load_b64 v[16:17], v[14:15], off
	s_mov_b32 s11, 0
	s_mov_b32 s13, -1
	s_mov_b32 s14, 0
	s_wait_loadcnt 0x0
	v_clz_i32_u32_e32 v7, v17
	s_delay_alu instid0(VALU_DEP_1) | instskip(NEXT) | instid1(VALU_DEP_1)
	v_min_u32_e32 v7, 32, v7
	v_lshlrev_b64_e32 v[16:17], v7, v[16:17]
	v_sub_nc_u32_e32 v7, 32, v7
	s_delay_alu instid0(VALU_DEP_2) | instskip(NEXT) | instid1(VALU_DEP_1)
	v_min_u32_e32 v9, 1, v16
	v_or_b32_e32 v9, v17, v9
	s_delay_alu instid0(VALU_DEP_1) | instskip(NEXT) | instid1(VALU_DEP_1)
	v_cvt_f32_u32_e32 v9, v9
	v_ldexp_f32 v7, v9, v7
	s_delay_alu instid0(VALU_DEP_1)
	v_cvt_f16_f32_e32 v16, v7
	s_branch .LBB183_2179
.LBB183_2177:
	s_mov_b32 s11, -1
                                        ; implicit-def: $vgpr16
.LBB183_2178:
	s_mov_b32 s14, 0
.LBB183_2179:
	s_delay_alu instid0(SALU_CYCLE_1)
	s_and_b32 vcc_lo, exec_lo, s14
	s_cbranch_vccz .LBB183_2197
; %bb.2180:
	s_cmp_lt_i32 s2, 27
	s_cbranch_scc1 .LBB183_2183
; %bb.2181:
	s_cmp_gt_i32 s2, 27
	s_cbranch_scc0 .LBB183_2184
; %bb.2182:
	global_load_b32 v7, v[14:15], off
	s_mov_b32 s13, 0
	s_wait_loadcnt 0x0
	v_cvt_f32_u32_e32 v7, v7
	s_wait_xcnt 0x1
	s_delay_alu instid0(VALU_DEP_1)
	v_cvt_f16_f32_e32 v16, v7
	s_branch .LBB183_2185
.LBB183_2183:
	s_mov_b32 s13, -1
                                        ; implicit-def: $vgpr16
	s_branch .LBB183_2188
.LBB183_2184:
	s_mov_b32 s13, -1
                                        ; implicit-def: $vgpr16
.LBB183_2185:
	s_delay_alu instid0(SALU_CYCLE_1)
	s_and_not1_b32 vcc_lo, exec_lo, s13
	s_cbranch_vccnz .LBB183_2187
; %bb.2186:
	global_load_u16 v7, v[14:15], off
	s_wait_loadcnt 0x0
	s_wait_xcnt 0x1
	v_cvt_f16_u16_e32 v16, v7
.LBB183_2187:
	s_mov_b32 s13, 0
.LBB183_2188:
	s_delay_alu instid0(SALU_CYCLE_1)
	s_and_not1_b32 vcc_lo, exec_lo, s13
	s_cbranch_vccnz .LBB183_2196
; %bb.2189:
	global_load_u8 v7, v[14:15], off
	s_mov_b32 s13, 0
	s_mov_b32 s14, exec_lo
	s_wait_loadcnt 0x0
	v_cmpx_lt_i16_e32 0x7f, v7
	s_xor_b32 s14, exec_lo, s14
	s_cbranch_execz .LBB183_2210
; %bb.2190:
	s_mov_b32 s13, -1
	s_mov_b32 s15, exec_lo
	v_cmpx_eq_u16_e32 0x80, v7
; %bb.2191:
	s_xor_b32 s13, exec_lo, -1
; %bb.2192:
	s_or_b32 exec_lo, exec_lo, s15
	s_delay_alu instid0(SALU_CYCLE_1)
	s_and_b32 s13, s13, exec_lo
	s_or_saveexec_b32 s14, s14
	v_mov_b32_e32 v16, 0x7e00
	s_xor_b32 exec_lo, exec_lo, s14
	s_cbranch_execnz .LBB183_2211
.LBB183_2193:
	s_or_b32 exec_lo, exec_lo, s14
	s_and_saveexec_b32 s14, s13
	s_cbranch_execz .LBB183_2195
.LBB183_2194:
	v_and_b32_e32 v9, 0xffff, v7
	s_delay_alu instid0(VALU_DEP_1) | instskip(SKIP_1) | instid1(VALU_DEP_2)
	v_dual_lshlrev_b32 v7, 24, v7 :: v_dual_bitop2_b32 v11, 7, v9 bitop3:0x40
	v_bfe_u32 v17, v9, 3, 4
	v_and_b32_e32 v7, 0x80000000, v7
	s_delay_alu instid0(VALU_DEP_3) | instskip(NEXT) | instid1(VALU_DEP_3)
	v_clz_i32_u32_e32 v13, v11
	v_cmp_eq_u32_e32 vcc_lo, 0, v17
	s_delay_alu instid0(VALU_DEP_2) | instskip(NEXT) | instid1(VALU_DEP_1)
	v_min_u32_e32 v13, 32, v13
	v_subrev_nc_u32_e32 v16, 28, v13
	v_sub_nc_u32_e32 v13, 29, v13
	s_delay_alu instid0(VALU_DEP_2) | instskip(NEXT) | instid1(VALU_DEP_2)
	v_lshlrev_b32_e32 v9, v16, v9
	v_cndmask_b32_e32 v13, v17, v13, vcc_lo
	s_delay_alu instid0(VALU_DEP_2) | instskip(NEXT) | instid1(VALU_DEP_1)
	v_and_b32_e32 v9, 7, v9
	v_cndmask_b32_e32 v9, v11, v9, vcc_lo
	s_delay_alu instid0(VALU_DEP_3) | instskip(NEXT) | instid1(VALU_DEP_2)
	v_lshl_add_u32 v11, v13, 23, 0x3b800000
	v_lshlrev_b32_e32 v9, 20, v9
	s_delay_alu instid0(VALU_DEP_1) | instskip(NEXT) | instid1(VALU_DEP_1)
	v_or3_b32 v7, v7, v11, v9
	v_cvt_f16_f32_e32 v16, v7
.LBB183_2195:
	s_or_b32 exec_lo, exec_lo, s14
.LBB183_2196:
	s_mov_b32 s13, -1
.LBB183_2197:
	s_mov_b32 s14, 0
.LBB183_2198:
	s_delay_alu instid0(SALU_CYCLE_1)
	s_and_b32 vcc_lo, exec_lo, s14
	s_cbranch_vccz .LBB183_2231
; %bb.2199:
	s_cmp_gt_i32 s2, 22
	s_cbranch_scc0 .LBB183_2209
; %bb.2200:
	s_cmp_lt_i32 s2, 24
	s_cbranch_scc1 .LBB183_2212
; %bb.2201:
	s_cmp_gt_i32 s2, 24
	s_cbranch_scc0 .LBB183_2213
; %bb.2202:
	global_load_u8 v7, v[14:15], off
	s_mov_b32 s13, exec_lo
	s_wait_loadcnt 0x0
	v_cmpx_lt_i16_e32 0x7f, v7
	s_xor_b32 s13, exec_lo, s13
	s_cbranch_execz .LBB183_2225
; %bb.2203:
	s_mov_b32 s12, -1
	s_mov_b32 s14, exec_lo
	v_cmpx_eq_u16_e32 0x80, v7
; %bb.2204:
	s_xor_b32 s12, exec_lo, -1
; %bb.2205:
	s_or_b32 exec_lo, exec_lo, s14
	s_delay_alu instid0(SALU_CYCLE_1)
	s_and_b32 s12, s12, exec_lo
	s_or_saveexec_b32 s13, s13
	v_mov_b32_e32 v16, 0x7e00
	s_xor_b32 exec_lo, exec_lo, s13
	s_cbranch_execnz .LBB183_2226
.LBB183_2206:
	s_or_b32 exec_lo, exec_lo, s13
	s_and_saveexec_b32 s13, s12
	s_cbranch_execz .LBB183_2208
.LBB183_2207:
	v_and_b32_e32 v9, 0xffff, v7
	s_delay_alu instid0(VALU_DEP_1) | instskip(SKIP_1) | instid1(VALU_DEP_2)
	v_dual_lshlrev_b32 v7, 24, v7 :: v_dual_bitop2_b32 v11, 3, v9 bitop3:0x40
	v_bfe_u32 v17, v9, 2, 5
	v_and_b32_e32 v7, 0x80000000, v7
	s_delay_alu instid0(VALU_DEP_3) | instskip(NEXT) | instid1(VALU_DEP_3)
	v_clz_i32_u32_e32 v13, v11
	v_cmp_eq_u32_e32 vcc_lo, 0, v17
	s_delay_alu instid0(VALU_DEP_2) | instskip(NEXT) | instid1(VALU_DEP_1)
	v_min_u32_e32 v13, 32, v13
	v_subrev_nc_u32_e32 v16, 29, v13
	v_sub_nc_u32_e32 v13, 30, v13
	s_delay_alu instid0(VALU_DEP_2) | instskip(NEXT) | instid1(VALU_DEP_2)
	v_lshlrev_b32_e32 v9, v16, v9
	v_cndmask_b32_e32 v13, v17, v13, vcc_lo
	s_delay_alu instid0(VALU_DEP_2) | instskip(NEXT) | instid1(VALU_DEP_1)
	v_and_b32_e32 v9, 3, v9
	v_cndmask_b32_e32 v9, v11, v9, vcc_lo
	s_delay_alu instid0(VALU_DEP_3) | instskip(NEXT) | instid1(VALU_DEP_2)
	v_lshl_add_u32 v11, v13, 23, 0x37800000
	v_lshlrev_b32_e32 v9, 21, v9
	s_delay_alu instid0(VALU_DEP_1) | instskip(NEXT) | instid1(VALU_DEP_1)
	v_or3_b32 v7, v7, v11, v9
	v_cvt_f16_f32_e32 v16, v7
.LBB183_2208:
	s_or_b32 exec_lo, exec_lo, s13
	s_mov_b32 s12, 0
	s_branch .LBB183_2214
.LBB183_2209:
	s_mov_b32 s12, -1
                                        ; implicit-def: $vgpr16
	s_branch .LBB183_2220
.LBB183_2210:
	s_or_saveexec_b32 s14, s14
	v_mov_b32_e32 v16, 0x7e00
	s_xor_b32 exec_lo, exec_lo, s14
	s_cbranch_execz .LBB183_2193
.LBB183_2211:
	v_cmp_ne_u16_e32 vcc_lo, 0, v7
	v_mov_b32_e32 v16, v7
	s_and_not1_b32 s13, s13, exec_lo
	s_and_b32 s15, vcc_lo, exec_lo
	s_delay_alu instid0(SALU_CYCLE_1)
	s_or_b32 s13, s13, s15
	s_or_b32 exec_lo, exec_lo, s14
	s_and_saveexec_b32 s14, s13
	s_cbranch_execnz .LBB183_2194
	s_branch .LBB183_2195
.LBB183_2212:
	s_mov_b32 s12, -1
                                        ; implicit-def: $vgpr16
	s_branch .LBB183_2217
.LBB183_2213:
	s_mov_b32 s12, -1
                                        ; implicit-def: $vgpr16
.LBB183_2214:
	s_delay_alu instid0(SALU_CYCLE_1)
	s_and_b32 vcc_lo, exec_lo, s12
	s_cbranch_vccz .LBB183_2216
; %bb.2215:
	global_load_u8 v7, v[14:15], off
	s_wait_loadcnt 0x0
	v_lshlrev_b32_e32 v7, 24, v7
	s_delay_alu instid0(VALU_DEP_1) | instskip(NEXT) | instid1(VALU_DEP_1)
	v_and_b32_e32 v9, 0x7f000000, v7
	v_clz_i32_u32_e32 v11, v9
	v_cmp_ne_u32_e32 vcc_lo, 0, v9
	s_wait_xcnt 0x1
	v_add_nc_u32_e32 v16, 0x1000000, v9
	s_delay_alu instid0(VALU_DEP_3) | instskip(NEXT) | instid1(VALU_DEP_1)
	v_min_u32_e32 v11, 32, v11
	v_sub_nc_u32_e64 v11, v11, 4 clamp
	s_delay_alu instid0(VALU_DEP_1) | instskip(NEXT) | instid1(VALU_DEP_1)
	v_dual_lshlrev_b32 v13, v11, v9 :: v_dual_lshlrev_b32 v11, 23, v11
	v_lshrrev_b32_e32 v13, 4, v13
	s_delay_alu instid0(VALU_DEP_1) | instskip(NEXT) | instid1(VALU_DEP_1)
	v_dual_sub_nc_u32 v11, v13, v11 :: v_dual_ashrrev_i32 v13, 8, v16
	v_add_nc_u32_e32 v11, 0x3c000000, v11
	s_delay_alu instid0(VALU_DEP_1) | instskip(NEXT) | instid1(VALU_DEP_1)
	v_and_or_b32 v11, 0x7f800000, v13, v11
	v_cndmask_b32_e32 v9, 0, v11, vcc_lo
	s_delay_alu instid0(VALU_DEP_1) | instskip(NEXT) | instid1(VALU_DEP_1)
	v_and_or_b32 v7, 0x80000000, v7, v9
	v_cvt_f16_f32_e32 v16, v7
.LBB183_2216:
	s_mov_b32 s12, 0
.LBB183_2217:
	s_delay_alu instid0(SALU_CYCLE_1)
	s_and_not1_b32 vcc_lo, exec_lo, s12
	s_cbranch_vccnz .LBB183_2219
; %bb.2218:
	global_load_u8 v7, v[14:15], off
	s_wait_loadcnt 0x0
	v_lshlrev_b32_e32 v9, 25, v7
	v_lshlrev_b16 v7, 8, v7
	s_delay_alu instid0(VALU_DEP_1) | instskip(SKIP_1) | instid1(VALU_DEP_2)
	v_and_or_b32 v13, 0x7f00, v7, 0.5
	v_bfe_i32 v7, v7, 0, 16
	v_add_f32_e32 v13, -0.5, v13
	v_lshrrev_b32_e32 v11, 4, v9
	v_cmp_gt_u32_e32 vcc_lo, 0x8000000, v9
	s_delay_alu instid0(VALU_DEP_2) | instskip(NEXT) | instid1(VALU_DEP_1)
	v_or_b32_e32 v11, 0x70000000, v11
	v_mul_f32_e32 v11, 0x7800000, v11
	s_delay_alu instid0(VALU_DEP_1) | instskip(NEXT) | instid1(VALU_DEP_1)
	v_cndmask_b32_e32 v9, v11, v13, vcc_lo
	v_and_or_b32 v7, 0x80000000, v7, v9
	s_wait_xcnt 0x1
	s_delay_alu instid0(VALU_DEP_1)
	v_cvt_f16_f32_e32 v16, v7
.LBB183_2219:
	s_mov_b32 s12, 0
	s_mov_b32 s13, -1
.LBB183_2220:
	s_and_not1_b32 vcc_lo, exec_lo, s12
	s_mov_b32 s12, 0
	s_cbranch_vccnz .LBB183_2231
; %bb.2221:
	s_cmp_gt_i32 s2, 14
	s_cbranch_scc0 .LBB183_2224
; %bb.2222:
	s_cmp_eq_u32 s2, 15
	s_cbranch_scc0 .LBB183_2227
; %bb.2223:
	global_load_u16 v7, v[14:15], off
	s_mov_b32 s11, 0
	s_mov_b32 s13, -1
	s_wait_loadcnt 0x0
	v_lshlrev_b32_e32 v7, 16, v7
	s_wait_xcnt 0x1
	s_delay_alu instid0(VALU_DEP_1)
	v_cvt_f16_f32_e32 v16, v7
	s_branch .LBB183_2229
.LBB183_2224:
	s_mov_b32 s12, -1
	s_branch .LBB183_2228
.LBB183_2225:
	s_or_saveexec_b32 s13, s13
	v_mov_b32_e32 v16, 0x7e00
	s_xor_b32 exec_lo, exec_lo, s13
	s_cbranch_execz .LBB183_2206
.LBB183_2226:
	v_cmp_ne_u16_e32 vcc_lo, 0, v7
	v_mov_b32_e32 v16, v7
	s_and_not1_b32 s12, s12, exec_lo
	s_and_b32 s14, vcc_lo, exec_lo
	s_delay_alu instid0(SALU_CYCLE_1)
	s_or_b32 s12, s12, s14
	s_or_b32 exec_lo, exec_lo, s13
	s_and_saveexec_b32 s13, s12
	s_cbranch_execnz .LBB183_2207
	s_branch .LBB183_2208
.LBB183_2227:
	s_mov_b32 s11, -1
.LBB183_2228:
                                        ; implicit-def: $vgpr16
.LBB183_2229:
	s_and_b32 vcc_lo, exec_lo, s12
	s_mov_b32 s12, 0
	s_cbranch_vccz .LBB183_2231
; %bb.2230:
	s_cmp_lg_u32 s2, 11
	s_mov_b32 s12, -1
	s_cselect_b32 s11, -1, 0
.LBB183_2231:
	s_delay_alu instid0(SALU_CYCLE_1)
	s_and_b32 vcc_lo, exec_lo, s11
	s_cbranch_vccnz .LBB183_2296
; %bb.2232:
	s_and_not1_b32 vcc_lo, exec_lo, s12
	s_cbranch_vccnz .LBB183_2234
.LBB183_2233:
	global_load_u8 v7, v[14:15], off
	s_mov_b32 s13, -1
	s_wait_loadcnt 0x0
	v_cmp_ne_u16_e32 vcc_lo, 0, v7
	s_wait_xcnt 0x1
	v_cndmask_b32_e64 v16, 0, 0x3c00, vcc_lo
.LBB183_2234:
	s_mov_b32 s11, 0
.LBB183_2235:
	s_delay_alu instid0(SALU_CYCLE_1)
	s_and_b32 vcc_lo, exec_lo, s11
	s_cbranch_vccz .LBB183_2284
; %bb.2236:
	s_cmp_lt_i32 s2, 5
	s_cbranch_scc1 .LBB183_2241
; %bb.2237:
	s_cmp_lt_i32 s2, 8
	s_cbranch_scc1 .LBB183_2242
	;; [unrolled: 3-line block ×3, first 2 shown]
; %bb.2239:
	s_cmp_gt_i32 s2, 9
	s_cbranch_scc0 .LBB183_2244
; %bb.2240:
	global_load_b64 v[16:17], v[14:15], off
	s_mov_b32 s11, 0
	s_wait_loadcnt 0x0
	v_and_or_b32 v7, 0x1ff, v17, v16
	v_lshrrev_b32_e32 v9, 8, v17
	v_bfe_u32 v11, v17, 20, 11
	s_delay_alu instid0(VALU_DEP_3) | instskip(NEXT) | instid1(VALU_DEP_2)
	v_cmp_ne_u32_e32 vcc_lo, 0, v7
	v_sub_nc_u32_e32 v13, 0x3f1, v11
	v_add_nc_u32_e32 v11, 0xfffffc10, v11
	v_cndmask_b32_e64 v7, 0, 1, vcc_lo
	s_delay_alu instid0(VALU_DEP_1) | instskip(NEXT) | instid1(VALU_DEP_4)
	v_and_or_b32 v7, 0xffe, v9, v7
	v_med3_i32 v9, v13, 0, 13
	s_delay_alu instid0(VALU_DEP_2) | instskip(NEXT) | instid1(VALU_DEP_1)
	v_or_b32_e32 v13, 0x1000, v7
	v_lshrrev_b32_e32 v16, v9, v13
	s_delay_alu instid0(VALU_DEP_1) | instskip(NEXT) | instid1(VALU_DEP_1)
	v_lshlrev_b32_e32 v9, v9, v16
	v_cmp_ne_u32_e32 vcc_lo, v9, v13
	v_lshl_or_b32 v13, v11, 12, v7
	v_cndmask_b32_e64 v9, 0, 1, vcc_lo
	v_cmp_gt_i32_e32 vcc_lo, 1, v11
	s_delay_alu instid0(VALU_DEP_2) | instskip(NEXT) | instid1(VALU_DEP_1)
	v_or_b32_e32 v9, v16, v9
	v_cndmask_b32_e32 v9, v13, v9, vcc_lo
	s_delay_alu instid0(VALU_DEP_1) | instskip(NEXT) | instid1(VALU_DEP_1)
	v_dual_lshrrev_b32 v9, 2, v9 :: v_dual_bitop2_b32 v13, 7, v9 bitop3:0x40
	v_cmp_lt_i32_e32 vcc_lo, 5, v13
	v_cndmask_b32_e64 v16, 0, 1, vcc_lo
	v_cmp_eq_u32_e32 vcc_lo, 3, v13
	v_cndmask_b32_e64 v13, 0, 1, vcc_lo
	v_cmp_ne_u32_e32 vcc_lo, 0, v7
	s_delay_alu instid0(VALU_DEP_2) | instskip(NEXT) | instid1(VALU_DEP_1)
	v_or_b32_e32 v13, v13, v16
	v_dual_mov_b32 v16, 0x7e00 :: v_dual_add_nc_u32 v9, v9, v13
	s_delay_alu instid0(VALU_DEP_1) | instskip(SKIP_1) | instid1(VALU_DEP_3)
	v_cndmask_b32_e32 v7, 0x7c00, v16, vcc_lo
	v_cmp_gt_i32_e32 vcc_lo, 31, v11
	v_cndmask_b32_e32 v9, 0x7c00, v9, vcc_lo
	v_cmp_eq_u32_e32 vcc_lo, 0x40f, v11
	s_delay_alu instid0(VALU_DEP_2) | instskip(NEXT) | instid1(VALU_DEP_1)
	v_dual_cndmask_b32 v7, v9, v7, vcc_lo :: v_dual_lshrrev_b32 v9, 16, v17
	v_and_or_b32 v16, 0x8000, v9, v7
	s_branch .LBB183_2245
.LBB183_2241:
	s_mov_b32 s11, -1
                                        ; implicit-def: $vgpr16
	s_branch .LBB183_2263
.LBB183_2242:
	s_mov_b32 s11, -1
                                        ; implicit-def: $vgpr16
	s_branch .LBB183_2251
.LBB183_2243:
	s_mov_b32 s11, -1
                                        ; implicit-def: $vgpr16
	s_branch .LBB183_2248
.LBB183_2244:
	s_mov_b32 s11, -1
                                        ; implicit-def: $vgpr16
.LBB183_2245:
	s_delay_alu instid0(SALU_CYCLE_1)
	s_and_not1_b32 vcc_lo, exec_lo, s11
	s_cbranch_vccnz .LBB183_2247
; %bb.2246:
	global_load_b32 v7, v[14:15], off
	s_wait_loadcnt 0x0
	s_wait_xcnt 0x1
	v_cvt_f16_f32_e32 v16, v7
.LBB183_2247:
	s_mov_b32 s11, 0
.LBB183_2248:
	s_delay_alu instid0(SALU_CYCLE_1)
	s_and_not1_b32 vcc_lo, exec_lo, s11
	s_cbranch_vccnz .LBB183_2250
; %bb.2249:
	global_load_b32 v16, v[14:15], off
.LBB183_2250:
	s_mov_b32 s11, 0
.LBB183_2251:
	s_delay_alu instid0(SALU_CYCLE_1)
	s_and_not1_b32 vcc_lo, exec_lo, s11
	s_cbranch_vccnz .LBB183_2262
; %bb.2252:
	s_cmp_lt_i32 s2, 6
	s_cbranch_scc1 .LBB183_2255
; %bb.2253:
	s_cmp_gt_i32 s2, 6
	s_cbranch_scc0 .LBB183_2256
; %bb.2254:
	s_wait_loadcnt 0x0
	global_load_b64 v[16:17], v[14:15], off
	s_mov_b32 s11, 0
	s_wait_loadcnt 0x0
	v_and_or_b32 v7, 0x1ff, v17, v16
	v_lshrrev_b32_e32 v9, 8, v17
	v_bfe_u32 v11, v17, 20, 11
	s_delay_alu instid0(VALU_DEP_3) | instskip(NEXT) | instid1(VALU_DEP_2)
	v_cmp_ne_u32_e32 vcc_lo, 0, v7
	v_sub_nc_u32_e32 v13, 0x3f1, v11
	v_add_nc_u32_e32 v11, 0xfffffc10, v11
	v_cndmask_b32_e64 v7, 0, 1, vcc_lo
	s_delay_alu instid0(VALU_DEP_1) | instskip(NEXT) | instid1(VALU_DEP_4)
	v_and_or_b32 v7, 0xffe, v9, v7
	v_med3_i32 v9, v13, 0, 13
	s_delay_alu instid0(VALU_DEP_2) | instskip(NEXT) | instid1(VALU_DEP_1)
	v_or_b32_e32 v13, 0x1000, v7
	v_lshrrev_b32_e32 v16, v9, v13
	s_delay_alu instid0(VALU_DEP_1) | instskip(NEXT) | instid1(VALU_DEP_1)
	v_lshlrev_b32_e32 v9, v9, v16
	v_cmp_ne_u32_e32 vcc_lo, v9, v13
	v_lshl_or_b32 v13, v11, 12, v7
	v_cndmask_b32_e64 v9, 0, 1, vcc_lo
	v_cmp_gt_i32_e32 vcc_lo, 1, v11
	s_delay_alu instid0(VALU_DEP_2) | instskip(NEXT) | instid1(VALU_DEP_1)
	v_or_b32_e32 v9, v16, v9
	v_cndmask_b32_e32 v9, v13, v9, vcc_lo
	s_delay_alu instid0(VALU_DEP_1) | instskip(NEXT) | instid1(VALU_DEP_1)
	v_dual_lshrrev_b32 v9, 2, v9 :: v_dual_bitop2_b32 v13, 7, v9 bitop3:0x40
	v_cmp_lt_i32_e32 vcc_lo, 5, v13
	v_cndmask_b32_e64 v16, 0, 1, vcc_lo
	v_cmp_eq_u32_e32 vcc_lo, 3, v13
	v_cndmask_b32_e64 v13, 0, 1, vcc_lo
	v_cmp_ne_u32_e32 vcc_lo, 0, v7
	s_delay_alu instid0(VALU_DEP_2) | instskip(NEXT) | instid1(VALU_DEP_1)
	v_or_b32_e32 v13, v13, v16
	v_dual_mov_b32 v16, 0x7e00 :: v_dual_add_nc_u32 v9, v9, v13
	s_delay_alu instid0(VALU_DEP_1) | instskip(SKIP_1) | instid1(VALU_DEP_3)
	v_cndmask_b32_e32 v7, 0x7c00, v16, vcc_lo
	v_cmp_gt_i32_e32 vcc_lo, 31, v11
	v_cndmask_b32_e32 v9, 0x7c00, v9, vcc_lo
	v_cmp_eq_u32_e32 vcc_lo, 0x40f, v11
	s_delay_alu instid0(VALU_DEP_2) | instskip(NEXT) | instid1(VALU_DEP_1)
	v_dual_cndmask_b32 v7, v9, v7, vcc_lo :: v_dual_lshrrev_b32 v9, 16, v17
	v_and_or_b32 v16, 0x8000, v9, v7
	s_branch .LBB183_2257
.LBB183_2255:
	s_mov_b32 s11, -1
                                        ; implicit-def: $vgpr16
	s_branch .LBB183_2260
.LBB183_2256:
	s_mov_b32 s11, -1
                                        ; implicit-def: $vgpr16
.LBB183_2257:
	s_delay_alu instid0(SALU_CYCLE_1)
	s_and_not1_b32 vcc_lo, exec_lo, s11
	s_cbranch_vccnz .LBB183_2259
; %bb.2258:
	global_load_b32 v7, v[14:15], off
	s_wait_loadcnt 0x0
	s_wait_xcnt 0x1
	v_cvt_f16_f32_e32 v16, v7
.LBB183_2259:
	s_mov_b32 s11, 0
.LBB183_2260:
	s_delay_alu instid0(SALU_CYCLE_1)
	s_and_not1_b32 vcc_lo, exec_lo, s11
	s_cbranch_vccnz .LBB183_2262
; %bb.2261:
	s_wait_loadcnt 0x0
	global_load_u16 v16, v[14:15], off
.LBB183_2262:
	s_mov_b32 s11, 0
.LBB183_2263:
	s_delay_alu instid0(SALU_CYCLE_1)
	s_and_not1_b32 vcc_lo, exec_lo, s11
	s_cbranch_vccnz .LBB183_2283
; %bb.2264:
	s_cmp_lt_i32 s2, 2
	s_cbranch_scc1 .LBB183_2268
; %bb.2265:
	s_cmp_lt_i32 s2, 3
	s_cbranch_scc1 .LBB183_2269
; %bb.2266:
	s_cmp_gt_i32 s2, 3
	s_cbranch_scc0 .LBB183_2270
; %bb.2267:
	s_wait_loadcnt 0x0
	global_load_b64 v[16:17], v[14:15], off
	s_mov_b32 s11, 0
	s_wait_loadcnt 0x0
	v_xor_b32_e32 v7, v16, v17
	v_cls_i32_e32 v9, v17
	s_delay_alu instid0(VALU_DEP_2) | instskip(NEXT) | instid1(VALU_DEP_1)
	v_ashrrev_i32_e32 v7, 31, v7
	v_add_nc_u32_e32 v7, 32, v7
	s_delay_alu instid0(VALU_DEP_1) | instskip(NEXT) | instid1(VALU_DEP_1)
	v_add_min_u32_e64 v7, v9, -1, v7
	v_lshlrev_b64_e32 v[16:17], v7, v[16:17]
	v_sub_nc_u32_e32 v7, 32, v7
	s_delay_alu instid0(VALU_DEP_2) | instskip(NEXT) | instid1(VALU_DEP_1)
	v_min_u32_e32 v9, 1, v16
	v_or_b32_e32 v9, v17, v9
	s_delay_alu instid0(VALU_DEP_1) | instskip(NEXT) | instid1(VALU_DEP_1)
	v_cvt_f32_i32_e32 v9, v9
	v_ldexp_f32 v7, v9, v7
	s_delay_alu instid0(VALU_DEP_1)
	v_cvt_f16_f32_e32 v16, v7
	s_branch .LBB183_2271
.LBB183_2268:
	s_mov_b32 s11, -1
                                        ; implicit-def: $vgpr16
	s_branch .LBB183_2277
.LBB183_2269:
	s_mov_b32 s11, -1
                                        ; implicit-def: $vgpr16
	s_branch .LBB183_2274
.LBB183_2270:
	s_mov_b32 s11, -1
                                        ; implicit-def: $vgpr16
.LBB183_2271:
	s_delay_alu instid0(SALU_CYCLE_1)
	s_and_not1_b32 vcc_lo, exec_lo, s11
	s_cbranch_vccnz .LBB183_2273
; %bb.2272:
	global_load_b32 v7, v[14:15], off
	s_wait_loadcnt 0x0
	v_cvt_f32_i32_e32 v7, v7
	s_wait_xcnt 0x1
	s_delay_alu instid0(VALU_DEP_1)
	v_cvt_f16_f32_e32 v16, v7
.LBB183_2273:
	s_mov_b32 s11, 0
.LBB183_2274:
	s_delay_alu instid0(SALU_CYCLE_1)
	s_and_not1_b32 vcc_lo, exec_lo, s11
	s_cbranch_vccnz .LBB183_2276
; %bb.2275:
	global_load_u16 v7, v[14:15], off
	s_wait_loadcnt 0x0
	s_wait_xcnt 0x1
	v_cvt_f16_i16_e32 v16, v7
.LBB183_2276:
	s_mov_b32 s11, 0
.LBB183_2277:
	s_delay_alu instid0(SALU_CYCLE_1)
	s_and_not1_b32 vcc_lo, exec_lo, s11
	s_cbranch_vccnz .LBB183_2283
; %bb.2278:
	s_cmp_gt_i32 s2, 0
	s_mov_b32 s11, 0
	s_cbranch_scc0 .LBB183_2280
; %bb.2279:
	global_load_i8 v7, v[14:15], off
	s_wait_loadcnt 0x0
	s_wait_xcnt 0x1
	v_cvt_f16_i16_e32 v16, v7
	s_branch .LBB183_2281
.LBB183_2280:
	s_mov_b32 s11, -1
                                        ; implicit-def: $vgpr16
.LBB183_2281:
	s_delay_alu instid0(SALU_CYCLE_1)
	s_and_not1_b32 vcc_lo, exec_lo, s11
	s_cbranch_vccnz .LBB183_2283
; %bb.2282:
	global_load_u8 v7, v[14:15], off
	s_wait_loadcnt 0x0
	s_wait_xcnt 0x1
	v_cvt_f16_u16_e32 v16, v7
.LBB183_2283:
	s_mov_b32 s13, -1
.LBB183_2284:
	s_delay_alu instid0(SALU_CYCLE_1)
	s_and_not1_b32 vcc_lo, exec_lo, s13
	s_cbranch_vccnz .LBB183_3112
; %bb.2285:
	v_mov_b32_e32 v13, 0
	s_cmp_lt_i32 s10, 11
	s_delay_alu instid0(VALU_DEP_1)
	v_add_nc_u64_e32 v[12:13], s[0:1], v[12:13]
	s_cbranch_scc1 .LBB183_2292
; %bb.2286:
	s_cmp_gt_i32 s10, 25
	s_mov_b32 s12, 0
	s_cbranch_scc0 .LBB183_2293
; %bb.2287:
	s_cmp_gt_i32 s10, 28
	s_cbranch_scc0 .LBB183_2294
; %bb.2288:
	s_cmp_gt_i32 s10, 43
	s_cbranch_scc0 .LBB183_2295
; %bb.2289:
	s_cmp_gt_i32 s10, 45
	s_cbranch_scc0 .LBB183_2297
; %bb.2290:
	s_cmp_eq_u32 s10, 46
	s_mov_b32 s14, 0
	s_cbranch_scc0 .LBB183_2300
; %bb.2291:
	global_load_b32 v7, v[12:13], off
	s_mov_b32 s11, 0
	s_mov_b32 s13, -1
	s_wait_loadcnt 0x0
	v_lshlrev_b32_e32 v7, 16, v7
	s_wait_xcnt 0x1
	s_delay_alu instid0(VALU_DEP_1)
	v_cvt_f16_f32_e32 v14, v7
	s_branch .LBB183_2302
.LBB183_2292:
	s_mov_b32 s11, -1
	s_mov_b32 s13, 0
                                        ; implicit-def: $vgpr14
	s_branch .LBB183_2368
.LBB183_2293:
	s_mov_b32 s14, -1
	s_mov_b32 s13, 0
	s_mov_b32 s11, 0
                                        ; implicit-def: $vgpr14
	s_branch .LBB183_2331
.LBB183_2294:
	s_mov_b32 s14, -1
	s_mov_b32 s13, 0
	s_mov_b32 s11, 0
                                        ; implicit-def: $vgpr14
	s_branch .LBB183_2312
.LBB183_2295:
	s_mov_b32 s14, -1
	s_mov_b32 s13, 0
	s_mov_b32 s11, 0
                                        ; implicit-def: $vgpr14
	s_branch .LBB183_2307
.LBB183_2296:
	s_or_b32 s9, s9, exec_lo
	s_trap 2
	s_cbranch_execz .LBB183_2233
	s_branch .LBB183_2234
.LBB183_2297:
	s_mov_b32 s14, -1
	s_mov_b32 s13, 0
	s_mov_b32 s11, 0
	s_branch .LBB183_2301
.LBB183_2298:
	s_and_not1_saveexec_b32 s53, s53
	s_cbranch_execz .LBB183_1121
.LBB183_2299:
	v_add_f32_e32 v1, 0x42800000, v4
	s_and_not1_b32 s52, s52, exec_lo
	s_delay_alu instid0(VALU_DEP_1) | instskip(NEXT) | instid1(VALU_DEP_1)
	v_and_b32_e32 v1, 0xff, v1
	v_cmp_ne_u32_e32 vcc_lo, 0, v1
	s_and_b32 s54, vcc_lo, exec_lo
	s_delay_alu instid0(SALU_CYCLE_1)
	s_or_b32 s52, s52, s54
	s_or_b32 exec_lo, exec_lo, s53
	v_mov_b32_e32 v5, 0
	s_and_saveexec_b32 s53, s52
	s_cbranch_execnz .LBB183_1122
	s_branch .LBB183_1123
.LBB183_2300:
	s_mov_b32 s11, -1
	s_mov_b32 s13, 0
.LBB183_2301:
                                        ; implicit-def: $vgpr14
.LBB183_2302:
	s_and_b32 vcc_lo, exec_lo, s14
	s_cbranch_vccz .LBB183_2306
; %bb.2303:
	s_cmp_eq_u32 s10, 44
	s_cbranch_scc0 .LBB183_2305
; %bb.2304:
	global_load_u8 v7, v[12:13], off
	s_mov_b32 s11, 0
	s_mov_b32 s13, -1
	s_wait_loadcnt 0x0
	v_lshlrev_b32_e32 v9, 23, v7
	v_cmp_ne_u32_e32 vcc_lo, 0xff, v7
	s_delay_alu instid0(VALU_DEP_2) | instskip(NEXT) | instid1(VALU_DEP_1)
	v_cvt_f16_f32_e32 v9, v9
	v_cndmask_b32_e32 v9, 0x7e00, v9, vcc_lo
	v_cmp_ne_u32_e32 vcc_lo, 0, v7
	s_wait_xcnt 0x1
	s_delay_alu instid0(VALU_DEP_2)
	v_cndmask_b32_e32 v14, 0, v9, vcc_lo
	s_branch .LBB183_2306
.LBB183_2305:
	s_mov_b32 s11, -1
                                        ; implicit-def: $vgpr14
.LBB183_2306:
	s_mov_b32 s14, 0
.LBB183_2307:
	s_delay_alu instid0(SALU_CYCLE_1)
	s_and_b32 vcc_lo, exec_lo, s14
	s_cbranch_vccz .LBB183_2311
; %bb.2308:
	s_cmp_eq_u32 s10, 29
	s_cbranch_scc0 .LBB183_2310
; %bb.2309:
	global_load_b64 v[14:15], v[12:13], off
	s_mov_b32 s11, 0
	s_mov_b32 s13, -1
	s_mov_b32 s14, 0
	s_wait_loadcnt 0x0
	v_clz_i32_u32_e32 v7, v15
	s_delay_alu instid0(VALU_DEP_1) | instskip(NEXT) | instid1(VALU_DEP_1)
	v_min_u32_e32 v7, 32, v7
	v_lshlrev_b64_e32 v[14:15], v7, v[14:15]
	v_sub_nc_u32_e32 v7, 32, v7
	s_delay_alu instid0(VALU_DEP_2) | instskip(NEXT) | instid1(VALU_DEP_1)
	v_min_u32_e32 v9, 1, v14
	v_or_b32_e32 v9, v15, v9
	s_delay_alu instid0(VALU_DEP_1) | instskip(NEXT) | instid1(VALU_DEP_1)
	v_cvt_f32_u32_e32 v9, v9
	v_ldexp_f32 v7, v9, v7
	s_delay_alu instid0(VALU_DEP_1)
	v_cvt_f16_f32_e32 v14, v7
	s_branch .LBB183_2312
.LBB183_2310:
	s_mov_b32 s11, -1
                                        ; implicit-def: $vgpr14
.LBB183_2311:
	s_mov_b32 s14, 0
.LBB183_2312:
	s_delay_alu instid0(SALU_CYCLE_1)
	s_and_b32 vcc_lo, exec_lo, s14
	s_cbranch_vccz .LBB183_2330
; %bb.2313:
	s_cmp_lt_i32 s10, 27
	s_cbranch_scc1 .LBB183_2316
; %bb.2314:
	s_cmp_gt_i32 s10, 27
	s_cbranch_scc0 .LBB183_2317
; %bb.2315:
	global_load_b32 v7, v[12:13], off
	s_mov_b32 s13, 0
	s_wait_loadcnt 0x0
	v_cvt_f32_u32_e32 v7, v7
	s_wait_xcnt 0x1
	s_delay_alu instid0(VALU_DEP_1)
	v_cvt_f16_f32_e32 v14, v7
	s_branch .LBB183_2318
.LBB183_2316:
	s_mov_b32 s13, -1
                                        ; implicit-def: $vgpr14
	s_branch .LBB183_2321
.LBB183_2317:
	s_mov_b32 s13, -1
                                        ; implicit-def: $vgpr14
.LBB183_2318:
	s_delay_alu instid0(SALU_CYCLE_1)
	s_and_not1_b32 vcc_lo, exec_lo, s13
	s_cbranch_vccnz .LBB183_2320
; %bb.2319:
	global_load_u16 v7, v[12:13], off
	s_wait_loadcnt 0x0
	s_wait_xcnt 0x1
	v_cvt_f16_u16_e32 v14, v7
.LBB183_2320:
	s_mov_b32 s13, 0
.LBB183_2321:
	s_delay_alu instid0(SALU_CYCLE_1)
	s_and_not1_b32 vcc_lo, exec_lo, s13
	s_cbranch_vccnz .LBB183_2329
; %bb.2322:
	global_load_u8 v7, v[12:13], off
	s_mov_b32 s13, 0
	s_mov_b32 s14, exec_lo
	s_wait_loadcnt 0x0
	v_cmpx_lt_i16_e32 0x7f, v7
	s_xor_b32 s14, exec_lo, s14
	s_cbranch_execz .LBB183_2343
; %bb.2323:
	s_mov_b32 s13, -1
	s_mov_b32 s15, exec_lo
	v_cmpx_eq_u16_e32 0x80, v7
; %bb.2324:
	s_xor_b32 s13, exec_lo, -1
; %bb.2325:
	s_or_b32 exec_lo, exec_lo, s15
	s_delay_alu instid0(SALU_CYCLE_1)
	s_and_b32 s13, s13, exec_lo
	s_or_saveexec_b32 s14, s14
	v_mov_b32_e32 v14, 0x7e00
	s_xor_b32 exec_lo, exec_lo, s14
	s_cbranch_execnz .LBB183_2344
.LBB183_2326:
	s_or_b32 exec_lo, exec_lo, s14
	s_and_saveexec_b32 s14, s13
	s_cbranch_execz .LBB183_2328
.LBB183_2327:
	v_and_b32_e32 v9, 0xffff, v7
	s_delay_alu instid0(VALU_DEP_1) | instskip(SKIP_1) | instid1(VALU_DEP_2)
	v_and_b32_e32 v11, 7, v9
	v_bfe_u32 v17, v9, 3, 4
	v_clz_i32_u32_e32 v14, v11
	s_delay_alu instid0(VALU_DEP_2) | instskip(NEXT) | instid1(VALU_DEP_2)
	v_cmp_eq_u32_e32 vcc_lo, 0, v17
	v_min_u32_e32 v14, 32, v14
	s_delay_alu instid0(VALU_DEP_1) | instskip(NEXT) | instid1(VALU_DEP_1)
	v_subrev_nc_u32_e32 v15, 28, v14
	v_dual_lshlrev_b32 v9, v15, v9 :: v_dual_sub_nc_u32 v14, 29, v14
	s_delay_alu instid0(VALU_DEP_1) | instskip(NEXT) | instid1(VALU_DEP_1)
	v_dual_lshlrev_b32 v7, 24, v7 :: v_dual_bitop2_b32 v9, 7, v9 bitop3:0x40
	v_dual_cndmask_b32 v14, v17, v14 :: v_dual_cndmask_b32 v9, v11, v9
	s_delay_alu instid0(VALU_DEP_2) | instskip(NEXT) | instid1(VALU_DEP_2)
	v_and_b32_e32 v7, 0x80000000, v7
	v_lshl_add_u32 v11, v14, 23, 0x3b800000
	s_delay_alu instid0(VALU_DEP_3) | instskip(NEXT) | instid1(VALU_DEP_1)
	v_lshlrev_b32_e32 v9, 20, v9
	v_or3_b32 v7, v7, v11, v9
	s_delay_alu instid0(VALU_DEP_1)
	v_cvt_f16_f32_e32 v14, v7
.LBB183_2328:
	s_or_b32 exec_lo, exec_lo, s14
.LBB183_2329:
	s_mov_b32 s13, -1
.LBB183_2330:
	s_mov_b32 s14, 0
.LBB183_2331:
	s_delay_alu instid0(SALU_CYCLE_1)
	s_and_b32 vcc_lo, exec_lo, s14
	s_cbranch_vccz .LBB183_2364
; %bb.2332:
	s_cmp_gt_i32 s10, 22
	s_cbranch_scc0 .LBB183_2342
; %bb.2333:
	s_cmp_lt_i32 s10, 24
	s_cbranch_scc1 .LBB183_2345
; %bb.2334:
	s_cmp_gt_i32 s10, 24
	s_cbranch_scc0 .LBB183_2346
; %bb.2335:
	global_load_u8 v7, v[12:13], off
	s_mov_b32 s13, exec_lo
	s_wait_loadcnt 0x0
	v_cmpx_lt_i16_e32 0x7f, v7
	s_xor_b32 s13, exec_lo, s13
	s_cbranch_execz .LBB183_2358
; %bb.2336:
	s_mov_b32 s12, -1
	s_mov_b32 s14, exec_lo
	v_cmpx_eq_u16_e32 0x80, v7
; %bb.2337:
	s_xor_b32 s12, exec_lo, -1
; %bb.2338:
	s_or_b32 exec_lo, exec_lo, s14
	s_delay_alu instid0(SALU_CYCLE_1)
	s_and_b32 s12, s12, exec_lo
	s_or_saveexec_b32 s13, s13
	v_mov_b32_e32 v14, 0x7e00
	s_xor_b32 exec_lo, exec_lo, s13
	s_cbranch_execnz .LBB183_2359
.LBB183_2339:
	s_or_b32 exec_lo, exec_lo, s13
	s_and_saveexec_b32 s13, s12
	s_cbranch_execz .LBB183_2341
.LBB183_2340:
	v_and_b32_e32 v9, 0xffff, v7
	s_delay_alu instid0(VALU_DEP_1) | instskip(SKIP_1) | instid1(VALU_DEP_2)
	v_and_b32_e32 v11, 3, v9
	v_bfe_u32 v17, v9, 2, 5
	v_clz_i32_u32_e32 v14, v11
	s_delay_alu instid0(VALU_DEP_2) | instskip(NEXT) | instid1(VALU_DEP_2)
	v_cmp_eq_u32_e32 vcc_lo, 0, v17
	v_min_u32_e32 v14, 32, v14
	s_delay_alu instid0(VALU_DEP_1) | instskip(NEXT) | instid1(VALU_DEP_1)
	v_subrev_nc_u32_e32 v15, 29, v14
	v_dual_lshlrev_b32 v9, v15, v9 :: v_dual_sub_nc_u32 v14, 30, v14
	s_delay_alu instid0(VALU_DEP_1) | instskip(NEXT) | instid1(VALU_DEP_1)
	v_dual_lshlrev_b32 v7, 24, v7 :: v_dual_bitop2_b32 v9, 3, v9 bitop3:0x40
	v_dual_cndmask_b32 v14, v17, v14 :: v_dual_cndmask_b32 v9, v11, v9
	s_delay_alu instid0(VALU_DEP_2) | instskip(NEXT) | instid1(VALU_DEP_2)
	v_and_b32_e32 v7, 0x80000000, v7
	v_lshl_add_u32 v11, v14, 23, 0x37800000
	s_delay_alu instid0(VALU_DEP_3) | instskip(NEXT) | instid1(VALU_DEP_1)
	v_lshlrev_b32_e32 v9, 21, v9
	v_or3_b32 v7, v7, v11, v9
	s_delay_alu instid0(VALU_DEP_1)
	v_cvt_f16_f32_e32 v14, v7
.LBB183_2341:
	s_or_b32 exec_lo, exec_lo, s13
	s_mov_b32 s12, 0
	s_branch .LBB183_2347
.LBB183_2342:
	s_mov_b32 s12, -1
                                        ; implicit-def: $vgpr14
	s_branch .LBB183_2353
.LBB183_2343:
	s_or_saveexec_b32 s14, s14
	v_mov_b32_e32 v14, 0x7e00
	s_xor_b32 exec_lo, exec_lo, s14
	s_cbranch_execz .LBB183_2326
.LBB183_2344:
	v_cmp_ne_u16_e32 vcc_lo, 0, v7
	v_mov_b32_e32 v14, v7
	s_and_not1_b32 s13, s13, exec_lo
	s_and_b32 s15, vcc_lo, exec_lo
	s_delay_alu instid0(SALU_CYCLE_1)
	s_or_b32 s13, s13, s15
	s_or_b32 exec_lo, exec_lo, s14
	s_and_saveexec_b32 s14, s13
	s_cbranch_execnz .LBB183_2327
	s_branch .LBB183_2328
.LBB183_2345:
	s_mov_b32 s12, -1
                                        ; implicit-def: $vgpr14
	s_branch .LBB183_2350
.LBB183_2346:
	s_mov_b32 s12, -1
                                        ; implicit-def: $vgpr14
.LBB183_2347:
	s_delay_alu instid0(SALU_CYCLE_1)
	s_and_b32 vcc_lo, exec_lo, s12
	s_cbranch_vccz .LBB183_2349
; %bb.2348:
	global_load_u8 v7, v[12:13], off
	s_wait_loadcnt 0x0
	v_lshlrev_b32_e32 v7, 24, v7
	s_delay_alu instid0(VALU_DEP_1) | instskip(NEXT) | instid1(VALU_DEP_1)
	v_and_b32_e32 v9, 0x7f000000, v7
	v_clz_i32_u32_e32 v11, v9
	s_wait_xcnt 0x1
	v_add_nc_u32_e32 v15, 0x1000000, v9
	v_cmp_ne_u32_e32 vcc_lo, 0, v9
	s_delay_alu instid0(VALU_DEP_3) | instskip(NEXT) | instid1(VALU_DEP_1)
	v_min_u32_e32 v11, 32, v11
	v_sub_nc_u32_e64 v11, v11, 4 clamp
	s_delay_alu instid0(VALU_DEP_1) | instskip(NEXT) | instid1(VALU_DEP_1)
	v_dual_lshlrev_b32 v14, v11, v9 :: v_dual_lshlrev_b32 v11, 23, v11
	v_lshrrev_b32_e32 v14, 4, v14
	s_delay_alu instid0(VALU_DEP_1) | instskip(SKIP_1) | instid1(VALU_DEP_2)
	v_sub_nc_u32_e32 v11, v14, v11
	v_ashrrev_i32_e32 v14, 8, v15
	v_add_nc_u32_e32 v11, 0x3c000000, v11
	s_delay_alu instid0(VALU_DEP_1) | instskip(NEXT) | instid1(VALU_DEP_1)
	v_and_or_b32 v11, 0x7f800000, v14, v11
	v_cndmask_b32_e32 v9, 0, v11, vcc_lo
	s_delay_alu instid0(VALU_DEP_1) | instskip(NEXT) | instid1(VALU_DEP_1)
	v_and_or_b32 v7, 0x80000000, v7, v9
	v_cvt_f16_f32_e32 v14, v7
.LBB183_2349:
	s_mov_b32 s12, 0
.LBB183_2350:
	s_delay_alu instid0(SALU_CYCLE_1)
	s_and_not1_b32 vcc_lo, exec_lo, s12
	s_cbranch_vccnz .LBB183_2352
; %bb.2351:
	global_load_u8 v7, v[12:13], off
	s_wait_loadcnt 0x0
	v_lshlrev_b32_e32 v9, 25, v7
	v_lshlrev_b16 v7, 8, v7
	s_wait_xcnt 0x1
	s_delay_alu instid0(VALU_DEP_1) | instskip(SKIP_1) | instid1(VALU_DEP_2)
	v_and_or_b32 v14, 0x7f00, v7, 0.5
	v_bfe_i32 v7, v7, 0, 16
	v_dual_add_f32 v14, -0.5, v14 :: v_dual_lshrrev_b32 v11, 4, v9
	v_cmp_gt_u32_e32 vcc_lo, 0x8000000, v9
	s_delay_alu instid0(VALU_DEP_2) | instskip(NEXT) | instid1(VALU_DEP_1)
	v_or_b32_e32 v11, 0x70000000, v11
	v_mul_f32_e32 v11, 0x7800000, v11
	s_delay_alu instid0(VALU_DEP_1) | instskip(NEXT) | instid1(VALU_DEP_1)
	v_cndmask_b32_e32 v9, v11, v14, vcc_lo
	v_and_or_b32 v7, 0x80000000, v7, v9
	s_delay_alu instid0(VALU_DEP_1)
	v_cvt_f16_f32_e32 v14, v7
.LBB183_2352:
	s_mov_b32 s12, 0
	s_mov_b32 s13, -1
.LBB183_2353:
	s_and_not1_b32 vcc_lo, exec_lo, s12
	s_mov_b32 s12, 0
	s_cbranch_vccnz .LBB183_2364
; %bb.2354:
	s_cmp_gt_i32 s10, 14
	s_cbranch_scc0 .LBB183_2357
; %bb.2355:
	s_cmp_eq_u32 s10, 15
	s_cbranch_scc0 .LBB183_2360
; %bb.2356:
	global_load_u16 v7, v[12:13], off
	s_mov_b32 s11, 0
	s_mov_b32 s13, -1
	s_wait_loadcnt 0x0
	v_lshlrev_b32_e32 v7, 16, v7
	s_wait_xcnt 0x1
	s_delay_alu instid0(VALU_DEP_1)
	v_cvt_f16_f32_e32 v14, v7
	s_branch .LBB183_2362
.LBB183_2357:
	s_mov_b32 s12, -1
	s_branch .LBB183_2361
.LBB183_2358:
	s_or_saveexec_b32 s13, s13
	v_mov_b32_e32 v14, 0x7e00
	s_xor_b32 exec_lo, exec_lo, s13
	s_cbranch_execz .LBB183_2339
.LBB183_2359:
	v_cmp_ne_u16_e32 vcc_lo, 0, v7
	v_mov_b32_e32 v14, v7
	s_and_not1_b32 s12, s12, exec_lo
	s_and_b32 s14, vcc_lo, exec_lo
	s_delay_alu instid0(SALU_CYCLE_1)
	s_or_b32 s12, s12, s14
	s_or_b32 exec_lo, exec_lo, s13
	s_and_saveexec_b32 s13, s12
	s_cbranch_execnz .LBB183_2340
	s_branch .LBB183_2341
.LBB183_2360:
	s_mov_b32 s11, -1
.LBB183_2361:
                                        ; implicit-def: $vgpr14
.LBB183_2362:
	s_and_b32 vcc_lo, exec_lo, s12
	s_mov_b32 s12, 0
	s_cbranch_vccz .LBB183_2364
; %bb.2363:
	s_cmp_lg_u32 s10, 11
	s_mov_b32 s12, -1
	s_cselect_b32 s11, -1, 0
.LBB183_2364:
	s_delay_alu instid0(SALU_CYCLE_1)
	s_and_b32 vcc_lo, exec_lo, s11
	s_cbranch_vccnz .LBB183_2429
; %bb.2365:
	s_and_not1_b32 vcc_lo, exec_lo, s12
	s_cbranch_vccnz .LBB183_2367
.LBB183_2366:
	global_load_u8 v7, v[12:13], off
	s_mov_b32 s13, -1
	s_wait_loadcnt 0x0
	v_cmp_ne_u16_e32 vcc_lo, 0, v7
	s_wait_xcnt 0x1
	v_cndmask_b32_e64 v14, 0, 0x3c00, vcc_lo
.LBB183_2367:
	s_mov_b32 s11, 0
.LBB183_2368:
	s_delay_alu instid0(SALU_CYCLE_1)
	s_and_b32 vcc_lo, exec_lo, s11
	s_cbranch_vccz .LBB183_2417
; %bb.2369:
	s_cmp_lt_i32 s10, 5
	s_cbranch_scc1 .LBB183_2374
; %bb.2370:
	s_cmp_lt_i32 s10, 8
	s_cbranch_scc1 .LBB183_2375
	;; [unrolled: 3-line block ×3, first 2 shown]
; %bb.2372:
	s_cmp_gt_i32 s10, 9
	s_cbranch_scc0 .LBB183_2377
; %bb.2373:
	global_load_b64 v[14:15], v[12:13], off
	s_mov_b32 s11, 0
	s_wait_loadcnt 0x0
	v_and_or_b32 v7, 0x1ff, v15, v14
	v_lshrrev_b32_e32 v9, 8, v15
	v_bfe_u32 v11, v15, 20, 11
	s_delay_alu instid0(VALU_DEP_3) | instskip(NEXT) | instid1(VALU_DEP_2)
	v_cmp_ne_u32_e32 vcc_lo, 0, v7
	v_sub_nc_u32_e32 v14, 0x3f1, v11
	v_add_nc_u32_e32 v11, 0xfffffc10, v11
	v_cndmask_b32_e64 v7, 0, 1, vcc_lo
	s_delay_alu instid0(VALU_DEP_1) | instskip(NEXT) | instid1(VALU_DEP_4)
	v_and_or_b32 v7, 0xffe, v9, v7
	v_med3_i32 v9, v14, 0, 13
	s_delay_alu instid0(VALU_DEP_2) | instskip(NEXT) | instid1(VALU_DEP_1)
	v_or_b32_e32 v14, 0x1000, v7
	v_lshrrev_b32_e32 v17, v9, v14
	s_delay_alu instid0(VALU_DEP_1) | instskip(NEXT) | instid1(VALU_DEP_1)
	v_lshlrev_b32_e32 v9, v9, v17
	v_cmp_ne_u32_e32 vcc_lo, v9, v14
	v_lshl_or_b32 v14, v11, 12, v7
	v_cndmask_b32_e64 v9, 0, 1, vcc_lo
	v_cmp_gt_i32_e32 vcc_lo, 1, v11
	s_delay_alu instid0(VALU_DEP_2) | instskip(NEXT) | instid1(VALU_DEP_1)
	v_or_b32_e32 v9, v17, v9
	v_cndmask_b32_e32 v9, v14, v9, vcc_lo
	s_delay_alu instid0(VALU_DEP_1) | instskip(NEXT) | instid1(VALU_DEP_1)
	v_dual_lshrrev_b32 v9, 2, v9 :: v_dual_bitop2_b32 v14, 7, v9 bitop3:0x40
	v_cmp_lt_i32_e32 vcc_lo, 5, v14
	v_cndmask_b32_e64 v17, 0, 1, vcc_lo
	v_cmp_eq_u32_e32 vcc_lo, 3, v14
	v_cndmask_b32_e64 v14, 0, 1, vcc_lo
	v_cmp_ne_u32_e32 vcc_lo, 0, v7
	s_delay_alu instid0(VALU_DEP_2) | instskip(SKIP_1) | instid1(VALU_DEP_2)
	v_or_b32_e32 v14, v14, v17
	v_mov_b32_e32 v17, 0x7e00
	v_add_nc_u32_e32 v9, v9, v14
	s_delay_alu instid0(VALU_DEP_2) | instskip(SKIP_1) | instid1(VALU_DEP_3)
	v_cndmask_b32_e32 v7, 0x7c00, v17, vcc_lo
	v_cmp_gt_i32_e32 vcc_lo, 31, v11
	v_cndmask_b32_e32 v9, 0x7c00, v9, vcc_lo
	v_cmp_eq_u32_e32 vcc_lo, 0x40f, v11
	s_delay_alu instid0(VALU_DEP_2) | instskip(SKIP_1) | instid1(VALU_DEP_1)
	v_cndmask_b32_e32 v7, v9, v7, vcc_lo
	v_lshrrev_b32_e32 v9, 16, v15
	v_and_or_b32 v14, 0x8000, v9, v7
	s_branch .LBB183_2378
.LBB183_2374:
	s_mov_b32 s11, -1
                                        ; implicit-def: $vgpr14
	s_branch .LBB183_2396
.LBB183_2375:
	s_mov_b32 s11, -1
                                        ; implicit-def: $vgpr14
	s_branch .LBB183_2384
.LBB183_2376:
	s_mov_b32 s11, -1
                                        ; implicit-def: $vgpr14
	s_branch .LBB183_2381
.LBB183_2377:
	s_mov_b32 s11, -1
                                        ; implicit-def: $vgpr14
.LBB183_2378:
	s_delay_alu instid0(SALU_CYCLE_1)
	s_and_not1_b32 vcc_lo, exec_lo, s11
	s_cbranch_vccnz .LBB183_2380
; %bb.2379:
	global_load_b32 v7, v[12:13], off
	s_wait_loadcnt 0x0
	s_wait_xcnt 0x1
	v_cvt_f16_f32_e32 v14, v7
.LBB183_2380:
	s_mov_b32 s11, 0
.LBB183_2381:
	s_delay_alu instid0(SALU_CYCLE_1)
	s_and_not1_b32 vcc_lo, exec_lo, s11
	s_cbranch_vccnz .LBB183_2383
; %bb.2382:
	global_load_b32 v14, v[12:13], off
.LBB183_2383:
	s_mov_b32 s11, 0
.LBB183_2384:
	s_delay_alu instid0(SALU_CYCLE_1)
	s_and_not1_b32 vcc_lo, exec_lo, s11
	s_cbranch_vccnz .LBB183_2395
; %bb.2385:
	s_cmp_lt_i32 s10, 6
	s_cbranch_scc1 .LBB183_2388
; %bb.2386:
	s_cmp_gt_i32 s10, 6
	s_cbranch_scc0 .LBB183_2389
; %bb.2387:
	s_wait_loadcnt 0x0
	global_load_b64 v[14:15], v[12:13], off
	s_mov_b32 s11, 0
	s_wait_loadcnt 0x0
	v_and_or_b32 v7, 0x1ff, v15, v14
	v_lshrrev_b32_e32 v9, 8, v15
	v_bfe_u32 v11, v15, 20, 11
	s_delay_alu instid0(VALU_DEP_3) | instskip(NEXT) | instid1(VALU_DEP_2)
	v_cmp_ne_u32_e32 vcc_lo, 0, v7
	v_sub_nc_u32_e32 v14, 0x3f1, v11
	v_add_nc_u32_e32 v11, 0xfffffc10, v11
	v_cndmask_b32_e64 v7, 0, 1, vcc_lo
	s_delay_alu instid0(VALU_DEP_1) | instskip(NEXT) | instid1(VALU_DEP_4)
	v_and_or_b32 v7, 0xffe, v9, v7
	v_med3_i32 v9, v14, 0, 13
	s_delay_alu instid0(VALU_DEP_2) | instskip(NEXT) | instid1(VALU_DEP_1)
	v_or_b32_e32 v14, 0x1000, v7
	v_lshrrev_b32_e32 v17, v9, v14
	s_delay_alu instid0(VALU_DEP_1) | instskip(NEXT) | instid1(VALU_DEP_1)
	v_lshlrev_b32_e32 v9, v9, v17
	v_cmp_ne_u32_e32 vcc_lo, v9, v14
	v_lshl_or_b32 v14, v11, 12, v7
	v_cndmask_b32_e64 v9, 0, 1, vcc_lo
	v_cmp_gt_i32_e32 vcc_lo, 1, v11
	s_delay_alu instid0(VALU_DEP_2) | instskip(NEXT) | instid1(VALU_DEP_1)
	v_or_b32_e32 v9, v17, v9
	v_cndmask_b32_e32 v9, v14, v9, vcc_lo
	s_delay_alu instid0(VALU_DEP_1) | instskip(NEXT) | instid1(VALU_DEP_1)
	v_dual_lshrrev_b32 v9, 2, v9 :: v_dual_bitop2_b32 v14, 7, v9 bitop3:0x40
	v_cmp_lt_i32_e32 vcc_lo, 5, v14
	v_cndmask_b32_e64 v17, 0, 1, vcc_lo
	v_cmp_eq_u32_e32 vcc_lo, 3, v14
	v_cndmask_b32_e64 v14, 0, 1, vcc_lo
	v_cmp_ne_u32_e32 vcc_lo, 0, v7
	s_delay_alu instid0(VALU_DEP_2) | instskip(SKIP_1) | instid1(VALU_DEP_2)
	v_or_b32_e32 v14, v14, v17
	v_mov_b32_e32 v17, 0x7e00
	v_add_nc_u32_e32 v9, v9, v14
	s_delay_alu instid0(VALU_DEP_2) | instskip(SKIP_1) | instid1(VALU_DEP_3)
	v_cndmask_b32_e32 v7, 0x7c00, v17, vcc_lo
	v_cmp_gt_i32_e32 vcc_lo, 31, v11
	v_cndmask_b32_e32 v9, 0x7c00, v9, vcc_lo
	v_cmp_eq_u32_e32 vcc_lo, 0x40f, v11
	s_delay_alu instid0(VALU_DEP_2) | instskip(SKIP_1) | instid1(VALU_DEP_1)
	v_cndmask_b32_e32 v7, v9, v7, vcc_lo
	v_lshrrev_b32_e32 v9, 16, v15
	v_and_or_b32 v14, 0x8000, v9, v7
	s_branch .LBB183_2390
.LBB183_2388:
	s_mov_b32 s11, -1
                                        ; implicit-def: $vgpr14
	s_branch .LBB183_2393
.LBB183_2389:
	s_mov_b32 s11, -1
                                        ; implicit-def: $vgpr14
.LBB183_2390:
	s_delay_alu instid0(SALU_CYCLE_1)
	s_and_not1_b32 vcc_lo, exec_lo, s11
	s_cbranch_vccnz .LBB183_2392
; %bb.2391:
	global_load_b32 v7, v[12:13], off
	s_wait_loadcnt 0x0
	s_wait_xcnt 0x1
	v_cvt_f16_f32_e32 v14, v7
.LBB183_2392:
	s_mov_b32 s11, 0
.LBB183_2393:
	s_delay_alu instid0(SALU_CYCLE_1)
	s_and_not1_b32 vcc_lo, exec_lo, s11
	s_cbranch_vccnz .LBB183_2395
; %bb.2394:
	s_wait_loadcnt 0x0
	global_load_u16 v14, v[12:13], off
.LBB183_2395:
	s_mov_b32 s11, 0
.LBB183_2396:
	s_delay_alu instid0(SALU_CYCLE_1)
	s_and_not1_b32 vcc_lo, exec_lo, s11
	s_cbranch_vccnz .LBB183_2416
; %bb.2397:
	s_cmp_lt_i32 s10, 2
	s_cbranch_scc1 .LBB183_2401
; %bb.2398:
	s_cmp_lt_i32 s10, 3
	s_cbranch_scc1 .LBB183_2402
; %bb.2399:
	s_cmp_gt_i32 s10, 3
	s_cbranch_scc0 .LBB183_2403
; %bb.2400:
	s_wait_loadcnt 0x0
	global_load_b64 v[14:15], v[12:13], off
	s_mov_b32 s11, 0
	s_wait_loadcnt 0x0
	v_xor_b32_e32 v7, v14, v15
	v_cls_i32_e32 v9, v15
	s_delay_alu instid0(VALU_DEP_2) | instskip(NEXT) | instid1(VALU_DEP_1)
	v_ashrrev_i32_e32 v7, 31, v7
	v_add_nc_u32_e32 v7, 32, v7
	s_delay_alu instid0(VALU_DEP_1) | instskip(NEXT) | instid1(VALU_DEP_1)
	v_add_min_u32_e64 v7, v9, -1, v7
	v_lshlrev_b64_e32 v[14:15], v7, v[14:15]
	v_sub_nc_u32_e32 v7, 32, v7
	s_delay_alu instid0(VALU_DEP_2) | instskip(NEXT) | instid1(VALU_DEP_1)
	v_min_u32_e32 v9, 1, v14
	v_or_b32_e32 v9, v15, v9
	s_delay_alu instid0(VALU_DEP_1) | instskip(NEXT) | instid1(VALU_DEP_1)
	v_cvt_f32_i32_e32 v9, v9
	v_ldexp_f32 v7, v9, v7
	s_delay_alu instid0(VALU_DEP_1)
	v_cvt_f16_f32_e32 v14, v7
	s_branch .LBB183_2404
.LBB183_2401:
	s_mov_b32 s11, -1
                                        ; implicit-def: $vgpr14
	s_branch .LBB183_2410
.LBB183_2402:
	s_mov_b32 s11, -1
                                        ; implicit-def: $vgpr14
	s_branch .LBB183_2407
.LBB183_2403:
	s_mov_b32 s11, -1
                                        ; implicit-def: $vgpr14
.LBB183_2404:
	s_delay_alu instid0(SALU_CYCLE_1)
	s_and_not1_b32 vcc_lo, exec_lo, s11
	s_cbranch_vccnz .LBB183_2406
; %bb.2405:
	global_load_b32 v7, v[12:13], off
	s_wait_loadcnt 0x0
	v_cvt_f32_i32_e32 v7, v7
	s_wait_xcnt 0x1
	s_delay_alu instid0(VALU_DEP_1)
	v_cvt_f16_f32_e32 v14, v7
.LBB183_2406:
	s_mov_b32 s11, 0
.LBB183_2407:
	s_delay_alu instid0(SALU_CYCLE_1)
	s_and_not1_b32 vcc_lo, exec_lo, s11
	s_cbranch_vccnz .LBB183_2409
; %bb.2408:
	global_load_u16 v7, v[12:13], off
	s_wait_loadcnt 0x0
	s_wait_xcnt 0x1
	v_cvt_f16_i16_e32 v14, v7
.LBB183_2409:
	s_mov_b32 s11, 0
.LBB183_2410:
	s_delay_alu instid0(SALU_CYCLE_1)
	s_and_not1_b32 vcc_lo, exec_lo, s11
	s_cbranch_vccnz .LBB183_2416
; %bb.2411:
	s_cmp_gt_i32 s10, 0
	s_mov_b32 s11, 0
	s_cbranch_scc0 .LBB183_2413
; %bb.2412:
	global_load_i8 v7, v[12:13], off
	s_wait_loadcnt 0x0
	s_wait_xcnt 0x1
	v_cvt_f16_i16_e32 v14, v7
	s_branch .LBB183_2414
.LBB183_2413:
	s_mov_b32 s11, -1
                                        ; implicit-def: $vgpr14
.LBB183_2414:
	s_delay_alu instid0(SALU_CYCLE_1)
	s_and_not1_b32 vcc_lo, exec_lo, s11
	s_cbranch_vccnz .LBB183_2416
; %bb.2415:
	global_load_u8 v7, v[12:13], off
	s_wait_loadcnt 0x0
	s_wait_xcnt 0x1
	v_cvt_f16_u16_e32 v14, v7
.LBB183_2416:
	s_mov_b32 s13, -1
.LBB183_2417:
	s_delay_alu instid0(SALU_CYCLE_1)
	s_and_not1_b32 vcc_lo, exec_lo, s13
	s_cbranch_vccnz .LBB183_3112
; %bb.2418:
	v_mov_b32_e32 v11, 0
	s_cmp_lt_i32 s2, 11
	s_delay_alu instid0(VALU_DEP_1)
	v_add_nc_u64_e32 v[10:11], s[6:7], v[10:11]
	s_cbranch_scc1 .LBB183_2425
; %bb.2419:
	s_cmp_gt_i32 s2, 25
	s_mov_b32 s7, 0
	s_cbranch_scc0 .LBB183_2426
; %bb.2420:
	s_cmp_gt_i32 s2, 28
	s_cbranch_scc0 .LBB183_2427
; %bb.2421:
	s_cmp_gt_i32 s2, 43
	;; [unrolled: 3-line block ×3, first 2 shown]
	s_cbranch_scc0 .LBB183_2430
; %bb.2423:
	s_cmp_eq_u32 s2, 46
	s_mov_b32 s12, 0
	s_cbranch_scc0 .LBB183_2431
; %bb.2424:
	global_load_b32 v7, v[10:11], off
	s_mov_b32 s6, 0
	s_mov_b32 s11, -1
	s_wait_loadcnt 0x0
	v_lshlrev_b32_e32 v7, 16, v7
	s_wait_xcnt 0x1
	s_delay_alu instid0(VALU_DEP_1)
	v_cvt_f16_f32_e32 v12, v7
	s_branch .LBB183_2433
.LBB183_2425:
	s_mov_b32 s6, -1
	s_mov_b32 s11, 0
                                        ; implicit-def: $vgpr12
	s_branch .LBB183_2499
.LBB183_2426:
	s_mov_b32 s12, -1
	s_mov_b32 s11, 0
	s_mov_b32 s6, 0
                                        ; implicit-def: $vgpr12
	s_branch .LBB183_2462
.LBB183_2427:
	s_mov_b32 s12, -1
	s_mov_b32 s11, 0
	s_mov_b32 s6, 0
                                        ; implicit-def: $vgpr12
	s_branch .LBB183_2443
.LBB183_2428:
	s_mov_b32 s12, -1
	s_mov_b32 s11, 0
	s_mov_b32 s6, 0
                                        ; implicit-def: $vgpr12
	s_branch .LBB183_2438
.LBB183_2429:
	s_or_b32 s9, s9, exec_lo
	s_trap 2
	s_cbranch_execz .LBB183_2366
	s_branch .LBB183_2367
.LBB183_2430:
	s_mov_b32 s12, -1
	s_mov_b32 s11, 0
	s_mov_b32 s6, 0
	s_branch .LBB183_2432
.LBB183_2431:
	s_mov_b32 s6, -1
	s_mov_b32 s11, 0
.LBB183_2432:
                                        ; implicit-def: $vgpr12
.LBB183_2433:
	s_and_b32 vcc_lo, exec_lo, s12
	s_cbranch_vccz .LBB183_2437
; %bb.2434:
	s_cmp_eq_u32 s2, 44
	s_cbranch_scc0 .LBB183_2436
; %bb.2435:
	global_load_u8 v7, v[10:11], off
	s_mov_b32 s6, 0
	s_mov_b32 s11, -1
	s_wait_loadcnt 0x0
	v_lshlrev_b32_e32 v9, 23, v7
	v_cmp_ne_u32_e32 vcc_lo, 0xff, v7
	s_delay_alu instid0(VALU_DEP_2) | instskip(NEXT) | instid1(VALU_DEP_1)
	v_cvt_f16_f32_e32 v9, v9
	v_cndmask_b32_e32 v9, 0x7e00, v9, vcc_lo
	v_cmp_ne_u32_e32 vcc_lo, 0, v7
	s_wait_xcnt 0x1
	s_delay_alu instid0(VALU_DEP_2)
	v_cndmask_b32_e32 v12, 0, v9, vcc_lo
	s_branch .LBB183_2437
.LBB183_2436:
	s_mov_b32 s6, -1
                                        ; implicit-def: $vgpr12
.LBB183_2437:
	s_mov_b32 s12, 0
.LBB183_2438:
	s_delay_alu instid0(SALU_CYCLE_1)
	s_and_b32 vcc_lo, exec_lo, s12
	s_cbranch_vccz .LBB183_2442
; %bb.2439:
	s_cmp_eq_u32 s2, 29
	s_cbranch_scc0 .LBB183_2441
; %bb.2440:
	global_load_b64 v[12:13], v[10:11], off
	s_mov_b32 s6, 0
	s_mov_b32 s11, -1
	s_mov_b32 s12, 0
	s_wait_loadcnt 0x0
	v_clz_i32_u32_e32 v7, v13
	s_delay_alu instid0(VALU_DEP_1) | instskip(NEXT) | instid1(VALU_DEP_1)
	v_min_u32_e32 v7, 32, v7
	v_lshlrev_b64_e32 v[12:13], v7, v[12:13]
	v_sub_nc_u32_e32 v7, 32, v7
	s_delay_alu instid0(VALU_DEP_2) | instskip(NEXT) | instid1(VALU_DEP_1)
	v_min_u32_e32 v9, 1, v12
	v_or_b32_e32 v9, v13, v9
	s_delay_alu instid0(VALU_DEP_1) | instskip(NEXT) | instid1(VALU_DEP_1)
	v_cvt_f32_u32_e32 v9, v9
	v_ldexp_f32 v7, v9, v7
	s_delay_alu instid0(VALU_DEP_1)
	v_cvt_f16_f32_e32 v12, v7
	s_branch .LBB183_2443
.LBB183_2441:
	s_mov_b32 s6, -1
                                        ; implicit-def: $vgpr12
.LBB183_2442:
	s_mov_b32 s12, 0
.LBB183_2443:
	s_delay_alu instid0(SALU_CYCLE_1)
	s_and_b32 vcc_lo, exec_lo, s12
	s_cbranch_vccz .LBB183_2461
; %bb.2444:
	s_cmp_lt_i32 s2, 27
	s_cbranch_scc1 .LBB183_2447
; %bb.2445:
	s_cmp_gt_i32 s2, 27
	s_cbranch_scc0 .LBB183_2448
; %bb.2446:
	global_load_b32 v7, v[10:11], off
	s_mov_b32 s11, 0
	s_wait_loadcnt 0x0
	v_cvt_f32_u32_e32 v7, v7
	s_wait_xcnt 0x1
	s_delay_alu instid0(VALU_DEP_1)
	v_cvt_f16_f32_e32 v12, v7
	s_branch .LBB183_2449
.LBB183_2447:
	s_mov_b32 s11, -1
                                        ; implicit-def: $vgpr12
	s_branch .LBB183_2452
.LBB183_2448:
	s_mov_b32 s11, -1
                                        ; implicit-def: $vgpr12
.LBB183_2449:
	s_delay_alu instid0(SALU_CYCLE_1)
	s_and_not1_b32 vcc_lo, exec_lo, s11
	s_cbranch_vccnz .LBB183_2451
; %bb.2450:
	global_load_u16 v7, v[10:11], off
	s_wait_loadcnt 0x0
	s_wait_xcnt 0x1
	v_cvt_f16_u16_e32 v12, v7
.LBB183_2451:
	s_mov_b32 s11, 0
.LBB183_2452:
	s_delay_alu instid0(SALU_CYCLE_1)
	s_and_not1_b32 vcc_lo, exec_lo, s11
	s_cbranch_vccnz .LBB183_2460
; %bb.2453:
	global_load_u8 v7, v[10:11], off
	s_mov_b32 s11, 0
	s_mov_b32 s12, exec_lo
	s_wait_loadcnt 0x0
	v_cmpx_lt_i16_e32 0x7f, v7
	s_xor_b32 s12, exec_lo, s12
	s_cbranch_execz .LBB183_2474
; %bb.2454:
	s_mov_b32 s11, -1
	s_mov_b32 s13, exec_lo
	v_cmpx_eq_u16_e32 0x80, v7
; %bb.2455:
	s_xor_b32 s11, exec_lo, -1
; %bb.2456:
	s_or_b32 exec_lo, exec_lo, s13
	s_delay_alu instid0(SALU_CYCLE_1)
	s_and_b32 s11, s11, exec_lo
	s_or_saveexec_b32 s12, s12
	v_mov_b32_e32 v12, 0x7e00
	s_xor_b32 exec_lo, exec_lo, s12
	s_cbranch_execnz .LBB183_2475
.LBB183_2457:
	s_or_b32 exec_lo, exec_lo, s12
	s_and_saveexec_b32 s12, s11
	s_cbranch_execz .LBB183_2459
.LBB183_2458:
	v_and_b32_e32 v9, 0xffff, v7
	s_delay_alu instid0(VALU_DEP_1) | instskip(SKIP_1) | instid1(VALU_DEP_2)
	v_dual_lshlrev_b32 v7, 24, v7 :: v_dual_bitop2_b32 v12, 7, v9 bitop3:0x40
	v_bfe_u32 v17, v9, 3, 4
	v_and_b32_e32 v7, 0x80000000, v7
	s_delay_alu instid0(VALU_DEP_3) | instskip(NEXT) | instid1(VALU_DEP_3)
	v_clz_i32_u32_e32 v13, v12
	v_cmp_eq_u32_e32 vcc_lo, 0, v17
	s_delay_alu instid0(VALU_DEP_2) | instskip(NEXT) | instid1(VALU_DEP_1)
	v_min_u32_e32 v13, 32, v13
	v_subrev_nc_u32_e32 v15, 28, v13
	v_sub_nc_u32_e32 v13, 29, v13
	s_delay_alu instid0(VALU_DEP_2) | instskip(NEXT) | instid1(VALU_DEP_2)
	v_lshlrev_b32_e32 v9, v15, v9
	v_cndmask_b32_e32 v13, v17, v13, vcc_lo
	s_delay_alu instid0(VALU_DEP_2) | instskip(NEXT) | instid1(VALU_DEP_1)
	v_and_b32_e32 v9, 7, v9
	v_cndmask_b32_e32 v9, v12, v9, vcc_lo
	s_delay_alu instid0(VALU_DEP_3) | instskip(NEXT) | instid1(VALU_DEP_2)
	v_lshl_add_u32 v12, v13, 23, 0x3b800000
	v_lshlrev_b32_e32 v9, 20, v9
	s_delay_alu instid0(VALU_DEP_1) | instskip(NEXT) | instid1(VALU_DEP_1)
	v_or3_b32 v7, v7, v12, v9
	v_cvt_f16_f32_e32 v12, v7
.LBB183_2459:
	s_or_b32 exec_lo, exec_lo, s12
.LBB183_2460:
	s_mov_b32 s11, -1
.LBB183_2461:
	s_mov_b32 s12, 0
.LBB183_2462:
	s_delay_alu instid0(SALU_CYCLE_1)
	s_and_b32 vcc_lo, exec_lo, s12
	s_cbranch_vccz .LBB183_2495
; %bb.2463:
	s_cmp_gt_i32 s2, 22
	s_cbranch_scc0 .LBB183_2473
; %bb.2464:
	s_cmp_lt_i32 s2, 24
	s_cbranch_scc1 .LBB183_2476
; %bb.2465:
	s_cmp_gt_i32 s2, 24
	s_cbranch_scc0 .LBB183_2477
; %bb.2466:
	global_load_u8 v7, v[10:11], off
	s_mov_b32 s11, exec_lo
	s_wait_loadcnt 0x0
	v_cmpx_lt_i16_e32 0x7f, v7
	s_xor_b32 s11, exec_lo, s11
	s_cbranch_execz .LBB183_2489
; %bb.2467:
	s_mov_b32 s7, -1
	s_mov_b32 s12, exec_lo
	v_cmpx_eq_u16_e32 0x80, v7
; %bb.2468:
	s_xor_b32 s7, exec_lo, -1
; %bb.2469:
	s_or_b32 exec_lo, exec_lo, s12
	s_delay_alu instid0(SALU_CYCLE_1)
	s_and_b32 s7, s7, exec_lo
	s_or_saveexec_b32 s11, s11
	v_mov_b32_e32 v12, 0x7e00
	s_xor_b32 exec_lo, exec_lo, s11
	s_cbranch_execnz .LBB183_2490
.LBB183_2470:
	s_or_b32 exec_lo, exec_lo, s11
	s_and_saveexec_b32 s11, s7
	s_cbranch_execz .LBB183_2472
.LBB183_2471:
	v_and_b32_e32 v9, 0xffff, v7
	s_delay_alu instid0(VALU_DEP_1) | instskip(SKIP_1) | instid1(VALU_DEP_2)
	v_dual_lshlrev_b32 v7, 24, v7 :: v_dual_bitop2_b32 v12, 3, v9 bitop3:0x40
	v_bfe_u32 v17, v9, 2, 5
	v_and_b32_e32 v7, 0x80000000, v7
	s_delay_alu instid0(VALU_DEP_3) | instskip(NEXT) | instid1(VALU_DEP_3)
	v_clz_i32_u32_e32 v13, v12
	v_cmp_eq_u32_e32 vcc_lo, 0, v17
	s_delay_alu instid0(VALU_DEP_2) | instskip(NEXT) | instid1(VALU_DEP_1)
	v_min_u32_e32 v13, 32, v13
	v_subrev_nc_u32_e32 v15, 29, v13
	v_sub_nc_u32_e32 v13, 30, v13
	s_delay_alu instid0(VALU_DEP_2) | instskip(NEXT) | instid1(VALU_DEP_2)
	v_lshlrev_b32_e32 v9, v15, v9
	v_cndmask_b32_e32 v13, v17, v13, vcc_lo
	s_delay_alu instid0(VALU_DEP_2) | instskip(NEXT) | instid1(VALU_DEP_1)
	v_and_b32_e32 v9, 3, v9
	v_cndmask_b32_e32 v9, v12, v9, vcc_lo
	s_delay_alu instid0(VALU_DEP_3) | instskip(NEXT) | instid1(VALU_DEP_2)
	v_lshl_add_u32 v12, v13, 23, 0x37800000
	v_lshlrev_b32_e32 v9, 21, v9
	s_delay_alu instid0(VALU_DEP_1) | instskip(NEXT) | instid1(VALU_DEP_1)
	v_or3_b32 v7, v7, v12, v9
	v_cvt_f16_f32_e32 v12, v7
.LBB183_2472:
	s_or_b32 exec_lo, exec_lo, s11
	s_mov_b32 s7, 0
	s_branch .LBB183_2478
.LBB183_2473:
	s_mov_b32 s7, -1
                                        ; implicit-def: $vgpr12
	s_branch .LBB183_2484
.LBB183_2474:
	s_or_saveexec_b32 s12, s12
	v_mov_b32_e32 v12, 0x7e00
	s_xor_b32 exec_lo, exec_lo, s12
	s_cbranch_execz .LBB183_2457
.LBB183_2475:
	v_cmp_ne_u16_e32 vcc_lo, 0, v7
	v_mov_b32_e32 v12, v7
	s_and_not1_b32 s11, s11, exec_lo
	s_and_b32 s13, vcc_lo, exec_lo
	s_delay_alu instid0(SALU_CYCLE_1)
	s_or_b32 s11, s11, s13
	s_or_b32 exec_lo, exec_lo, s12
	s_and_saveexec_b32 s12, s11
	s_cbranch_execnz .LBB183_2458
	s_branch .LBB183_2459
.LBB183_2476:
	s_mov_b32 s7, -1
                                        ; implicit-def: $vgpr12
	s_branch .LBB183_2481
.LBB183_2477:
	s_mov_b32 s7, -1
                                        ; implicit-def: $vgpr12
.LBB183_2478:
	s_delay_alu instid0(SALU_CYCLE_1)
	s_and_b32 vcc_lo, exec_lo, s7
	s_cbranch_vccz .LBB183_2480
; %bb.2479:
	global_load_u8 v7, v[10:11], off
	s_wait_loadcnt 0x0
	v_lshlrev_b32_e32 v7, 24, v7
	s_delay_alu instid0(VALU_DEP_1) | instskip(SKIP_1) | instid1(VALU_DEP_1)
	v_and_b32_e32 v9, 0x7f000000, v7
	s_wait_xcnt 0x1
	v_clz_i32_u32_e32 v12, v9
	v_add_nc_u32_e32 v15, 0x1000000, v9
	v_cmp_ne_u32_e32 vcc_lo, 0, v9
	s_delay_alu instid0(VALU_DEP_3) | instskip(NEXT) | instid1(VALU_DEP_1)
	v_min_u32_e32 v12, 32, v12
	v_sub_nc_u32_e64 v12, v12, 4 clamp
	s_delay_alu instid0(VALU_DEP_1) | instskip(NEXT) | instid1(VALU_DEP_1)
	v_dual_lshlrev_b32 v13, v12, v9 :: v_dual_lshlrev_b32 v12, 23, v12
	v_lshrrev_b32_e32 v13, 4, v13
	s_delay_alu instid0(VALU_DEP_1) | instskip(NEXT) | instid1(VALU_DEP_1)
	v_dual_sub_nc_u32 v12, v13, v12 :: v_dual_ashrrev_i32 v13, 8, v15
	v_add_nc_u32_e32 v12, 0x3c000000, v12
	s_delay_alu instid0(VALU_DEP_1) | instskip(NEXT) | instid1(VALU_DEP_1)
	v_and_or_b32 v12, 0x7f800000, v13, v12
	v_cndmask_b32_e32 v9, 0, v12, vcc_lo
	s_delay_alu instid0(VALU_DEP_1) | instskip(NEXT) | instid1(VALU_DEP_1)
	v_and_or_b32 v7, 0x80000000, v7, v9
	v_cvt_f16_f32_e32 v12, v7
.LBB183_2480:
	s_mov_b32 s7, 0
.LBB183_2481:
	s_delay_alu instid0(SALU_CYCLE_1)
	s_and_not1_b32 vcc_lo, exec_lo, s7
	s_cbranch_vccnz .LBB183_2483
; %bb.2482:
	global_load_u8 v7, v[10:11], off
	s_wait_loadcnt 0x0
	v_lshlrev_b32_e32 v9, 25, v7
	v_lshlrev_b16 v7, 8, v7
	s_wait_xcnt 0x1
	s_delay_alu instid0(VALU_DEP_1) | instskip(SKIP_1) | instid1(VALU_DEP_2)
	v_and_or_b32 v13, 0x7f00, v7, 0.5
	v_bfe_i32 v7, v7, 0, 16
	v_add_f32_e32 v13, -0.5, v13
	v_lshrrev_b32_e32 v12, 4, v9
	v_cmp_gt_u32_e32 vcc_lo, 0x8000000, v9
	s_delay_alu instid0(VALU_DEP_2) | instskip(NEXT) | instid1(VALU_DEP_1)
	v_or_b32_e32 v12, 0x70000000, v12
	v_mul_f32_e32 v12, 0x7800000, v12
	s_delay_alu instid0(VALU_DEP_1) | instskip(NEXT) | instid1(VALU_DEP_1)
	v_cndmask_b32_e32 v9, v12, v13, vcc_lo
	v_and_or_b32 v7, 0x80000000, v7, v9
	s_delay_alu instid0(VALU_DEP_1)
	v_cvt_f16_f32_e32 v12, v7
.LBB183_2483:
	s_mov_b32 s7, 0
	s_mov_b32 s11, -1
.LBB183_2484:
	s_and_not1_b32 vcc_lo, exec_lo, s7
	s_mov_b32 s7, 0
	s_cbranch_vccnz .LBB183_2495
; %bb.2485:
	s_cmp_gt_i32 s2, 14
	s_cbranch_scc0 .LBB183_2488
; %bb.2486:
	s_cmp_eq_u32 s2, 15
	s_cbranch_scc0 .LBB183_2491
; %bb.2487:
	global_load_u16 v7, v[10:11], off
	s_mov_b32 s6, 0
	s_mov_b32 s11, -1
	s_wait_loadcnt 0x0
	v_lshlrev_b32_e32 v7, 16, v7
	s_wait_xcnt 0x1
	s_delay_alu instid0(VALU_DEP_1)
	v_cvt_f16_f32_e32 v12, v7
	s_branch .LBB183_2493
.LBB183_2488:
	s_mov_b32 s7, -1
	s_branch .LBB183_2492
.LBB183_2489:
	s_or_saveexec_b32 s11, s11
	v_mov_b32_e32 v12, 0x7e00
	s_xor_b32 exec_lo, exec_lo, s11
	s_cbranch_execz .LBB183_2470
.LBB183_2490:
	v_cmp_ne_u16_e32 vcc_lo, 0, v7
	v_mov_b32_e32 v12, v7
	s_and_not1_b32 s7, s7, exec_lo
	s_and_b32 s12, vcc_lo, exec_lo
	s_delay_alu instid0(SALU_CYCLE_1)
	s_or_b32 s7, s7, s12
	s_or_b32 exec_lo, exec_lo, s11
	s_and_saveexec_b32 s11, s7
	s_cbranch_execnz .LBB183_2471
	s_branch .LBB183_2472
.LBB183_2491:
	s_mov_b32 s6, -1
.LBB183_2492:
                                        ; implicit-def: $vgpr12
.LBB183_2493:
	s_and_b32 vcc_lo, exec_lo, s7
	s_mov_b32 s7, 0
	s_cbranch_vccz .LBB183_2495
; %bb.2494:
	s_cmp_lg_u32 s2, 11
	s_mov_b32 s7, -1
	s_cselect_b32 s6, -1, 0
.LBB183_2495:
	s_delay_alu instid0(SALU_CYCLE_1)
	s_and_b32 vcc_lo, exec_lo, s6
	s_cbranch_vccnz .LBB183_2560
; %bb.2496:
	s_and_not1_b32 vcc_lo, exec_lo, s7
	s_cbranch_vccnz .LBB183_2498
.LBB183_2497:
	global_load_u8 v7, v[10:11], off
	s_mov_b32 s11, -1
	s_wait_loadcnt 0x0
	v_cmp_ne_u16_e32 vcc_lo, 0, v7
	s_wait_xcnt 0x1
	v_cndmask_b32_e64 v12, 0, 0x3c00, vcc_lo
.LBB183_2498:
	s_mov_b32 s6, 0
.LBB183_2499:
	s_delay_alu instid0(SALU_CYCLE_1)
	s_and_b32 vcc_lo, exec_lo, s6
	s_cbranch_vccz .LBB183_2548
; %bb.2500:
	s_cmp_lt_i32 s2, 5
	s_cbranch_scc1 .LBB183_2505
; %bb.2501:
	s_cmp_lt_i32 s2, 8
	s_cbranch_scc1 .LBB183_2506
	;; [unrolled: 3-line block ×3, first 2 shown]
; %bb.2503:
	s_cmp_gt_i32 s2, 9
	s_cbranch_scc0 .LBB183_2508
; %bb.2504:
	global_load_b64 v[12:13], v[10:11], off
	s_mov_b32 s6, 0
	s_wait_loadcnt 0x0
	v_and_or_b32 v7, 0x1ff, v13, v12
	v_lshrrev_b32_e32 v9, 8, v13
	v_bfe_u32 v12, v13, 20, 11
	s_delay_alu instid0(VALU_DEP_3) | instskip(NEXT) | instid1(VALU_DEP_2)
	v_cmp_ne_u32_e32 vcc_lo, 0, v7
	v_sub_nc_u32_e32 v15, 0x3f1, v12
	v_add_nc_u32_e32 v12, 0xfffffc10, v12
	v_cndmask_b32_e64 v7, 0, 1, vcc_lo
	s_delay_alu instid0(VALU_DEP_1) | instskip(NEXT) | instid1(VALU_DEP_4)
	v_and_or_b32 v7, 0xffe, v9, v7
	v_med3_i32 v9, v15, 0, 13
	s_delay_alu instid0(VALU_DEP_2) | instskip(NEXT) | instid1(VALU_DEP_1)
	v_or_b32_e32 v15, 0x1000, v7
	v_lshrrev_b32_e32 v17, v9, v15
	s_delay_alu instid0(VALU_DEP_1) | instskip(NEXT) | instid1(VALU_DEP_1)
	v_lshlrev_b32_e32 v9, v9, v17
	v_cmp_ne_u32_e32 vcc_lo, v9, v15
	v_lshl_or_b32 v15, v12, 12, v7
	v_cndmask_b32_e64 v9, 0, 1, vcc_lo
	v_cmp_gt_i32_e32 vcc_lo, 1, v12
	s_delay_alu instid0(VALU_DEP_2) | instskip(NEXT) | instid1(VALU_DEP_1)
	v_or_b32_e32 v9, v17, v9
	v_cndmask_b32_e32 v9, v15, v9, vcc_lo
	s_delay_alu instid0(VALU_DEP_1) | instskip(NEXT) | instid1(VALU_DEP_1)
	v_dual_lshrrev_b32 v9, 2, v9 :: v_dual_bitop2_b32 v15, 7, v9 bitop3:0x40
	v_cmp_lt_i32_e32 vcc_lo, 5, v15
	v_cndmask_b32_e64 v17, 0, 1, vcc_lo
	v_cmp_eq_u32_e32 vcc_lo, 3, v15
	v_cndmask_b32_e64 v15, 0, 1, vcc_lo
	v_cmp_ne_u32_e32 vcc_lo, 0, v7
	s_delay_alu instid0(VALU_DEP_2) | instskip(SKIP_1) | instid1(VALU_DEP_2)
	v_or_b32_e32 v15, v15, v17
	v_mov_b32_e32 v17, 0x7e00
	v_add_nc_u32_e32 v9, v9, v15
	s_delay_alu instid0(VALU_DEP_2) | instskip(SKIP_1) | instid1(VALU_DEP_3)
	v_cndmask_b32_e32 v7, 0x7c00, v17, vcc_lo
	v_cmp_gt_i32_e32 vcc_lo, 31, v12
	v_cndmask_b32_e32 v9, 0x7c00, v9, vcc_lo
	v_cmp_eq_u32_e32 vcc_lo, 0x40f, v12
	s_delay_alu instid0(VALU_DEP_2) | instskip(NEXT) | instid1(VALU_DEP_1)
	v_dual_cndmask_b32 v7, v9, v7, vcc_lo :: v_dual_lshrrev_b32 v9, 16, v13
	v_and_or_b32 v12, 0x8000, v9, v7
	s_branch .LBB183_2509
.LBB183_2505:
	s_mov_b32 s6, -1
                                        ; implicit-def: $vgpr12
	s_branch .LBB183_2527
.LBB183_2506:
	s_mov_b32 s6, -1
                                        ; implicit-def: $vgpr12
	s_branch .LBB183_2515
.LBB183_2507:
	s_mov_b32 s6, -1
                                        ; implicit-def: $vgpr12
	s_branch .LBB183_2512
.LBB183_2508:
	s_mov_b32 s6, -1
                                        ; implicit-def: $vgpr12
.LBB183_2509:
	s_delay_alu instid0(SALU_CYCLE_1)
	s_and_not1_b32 vcc_lo, exec_lo, s6
	s_cbranch_vccnz .LBB183_2511
; %bb.2510:
	global_load_b32 v7, v[10:11], off
	s_wait_loadcnt 0x0
	s_wait_xcnt 0x1
	v_cvt_f16_f32_e32 v12, v7
.LBB183_2511:
	s_mov_b32 s6, 0
.LBB183_2512:
	s_delay_alu instid0(SALU_CYCLE_1)
	s_and_not1_b32 vcc_lo, exec_lo, s6
	s_cbranch_vccnz .LBB183_2514
; %bb.2513:
	global_load_b32 v12, v[10:11], off
.LBB183_2514:
	s_mov_b32 s6, 0
.LBB183_2515:
	s_delay_alu instid0(SALU_CYCLE_1)
	s_and_not1_b32 vcc_lo, exec_lo, s6
	s_cbranch_vccnz .LBB183_2526
; %bb.2516:
	s_cmp_lt_i32 s2, 6
	s_cbranch_scc1 .LBB183_2519
; %bb.2517:
	s_cmp_gt_i32 s2, 6
	s_cbranch_scc0 .LBB183_2520
; %bb.2518:
	s_wait_loadcnt 0x0
	global_load_b64 v[12:13], v[10:11], off
	s_mov_b32 s6, 0
	s_wait_loadcnt 0x0
	v_and_or_b32 v7, 0x1ff, v13, v12
	v_lshrrev_b32_e32 v9, 8, v13
	v_bfe_u32 v12, v13, 20, 11
	s_delay_alu instid0(VALU_DEP_3) | instskip(NEXT) | instid1(VALU_DEP_2)
	v_cmp_ne_u32_e32 vcc_lo, 0, v7
	v_sub_nc_u32_e32 v15, 0x3f1, v12
	v_add_nc_u32_e32 v12, 0xfffffc10, v12
	v_cndmask_b32_e64 v7, 0, 1, vcc_lo
	s_delay_alu instid0(VALU_DEP_1) | instskip(NEXT) | instid1(VALU_DEP_4)
	v_and_or_b32 v7, 0xffe, v9, v7
	v_med3_i32 v9, v15, 0, 13
	s_delay_alu instid0(VALU_DEP_2) | instskip(NEXT) | instid1(VALU_DEP_1)
	v_or_b32_e32 v15, 0x1000, v7
	v_lshrrev_b32_e32 v17, v9, v15
	s_delay_alu instid0(VALU_DEP_1) | instskip(NEXT) | instid1(VALU_DEP_1)
	v_lshlrev_b32_e32 v9, v9, v17
	v_cmp_ne_u32_e32 vcc_lo, v9, v15
	v_lshl_or_b32 v15, v12, 12, v7
	v_cndmask_b32_e64 v9, 0, 1, vcc_lo
	v_cmp_gt_i32_e32 vcc_lo, 1, v12
	s_delay_alu instid0(VALU_DEP_2) | instskip(NEXT) | instid1(VALU_DEP_1)
	v_or_b32_e32 v9, v17, v9
	v_cndmask_b32_e32 v9, v15, v9, vcc_lo
	s_delay_alu instid0(VALU_DEP_1) | instskip(NEXT) | instid1(VALU_DEP_1)
	v_dual_lshrrev_b32 v9, 2, v9 :: v_dual_bitop2_b32 v15, 7, v9 bitop3:0x40
	v_cmp_lt_i32_e32 vcc_lo, 5, v15
	v_cndmask_b32_e64 v17, 0, 1, vcc_lo
	v_cmp_eq_u32_e32 vcc_lo, 3, v15
	v_cndmask_b32_e64 v15, 0, 1, vcc_lo
	v_cmp_ne_u32_e32 vcc_lo, 0, v7
	s_delay_alu instid0(VALU_DEP_2) | instskip(SKIP_1) | instid1(VALU_DEP_2)
	v_or_b32_e32 v15, v15, v17
	v_mov_b32_e32 v17, 0x7e00
	v_add_nc_u32_e32 v9, v9, v15
	s_delay_alu instid0(VALU_DEP_2) | instskip(SKIP_1) | instid1(VALU_DEP_3)
	v_cndmask_b32_e32 v7, 0x7c00, v17, vcc_lo
	v_cmp_gt_i32_e32 vcc_lo, 31, v12
	v_cndmask_b32_e32 v9, 0x7c00, v9, vcc_lo
	v_cmp_eq_u32_e32 vcc_lo, 0x40f, v12
	s_delay_alu instid0(VALU_DEP_2) | instskip(NEXT) | instid1(VALU_DEP_1)
	v_dual_cndmask_b32 v7, v9, v7, vcc_lo :: v_dual_lshrrev_b32 v9, 16, v13
	v_and_or_b32 v12, 0x8000, v9, v7
	s_branch .LBB183_2521
.LBB183_2519:
	s_mov_b32 s6, -1
                                        ; implicit-def: $vgpr12
	s_branch .LBB183_2524
.LBB183_2520:
	s_mov_b32 s6, -1
                                        ; implicit-def: $vgpr12
.LBB183_2521:
	s_delay_alu instid0(SALU_CYCLE_1)
	s_and_not1_b32 vcc_lo, exec_lo, s6
	s_cbranch_vccnz .LBB183_2523
; %bb.2522:
	global_load_b32 v7, v[10:11], off
	s_wait_loadcnt 0x0
	s_wait_xcnt 0x1
	v_cvt_f16_f32_e32 v12, v7
.LBB183_2523:
	s_mov_b32 s6, 0
.LBB183_2524:
	s_delay_alu instid0(SALU_CYCLE_1)
	s_and_not1_b32 vcc_lo, exec_lo, s6
	s_cbranch_vccnz .LBB183_2526
; %bb.2525:
	s_wait_loadcnt 0x0
	global_load_u16 v12, v[10:11], off
.LBB183_2526:
	s_mov_b32 s6, 0
.LBB183_2527:
	s_delay_alu instid0(SALU_CYCLE_1)
	s_and_not1_b32 vcc_lo, exec_lo, s6
	s_cbranch_vccnz .LBB183_2547
; %bb.2528:
	s_cmp_lt_i32 s2, 2
	s_cbranch_scc1 .LBB183_2532
; %bb.2529:
	s_cmp_lt_i32 s2, 3
	s_cbranch_scc1 .LBB183_2533
; %bb.2530:
	s_cmp_gt_i32 s2, 3
	s_cbranch_scc0 .LBB183_2534
; %bb.2531:
	s_wait_loadcnt 0x0
	global_load_b64 v[12:13], v[10:11], off
	s_mov_b32 s6, 0
	s_wait_loadcnt 0x0
	v_xor_b32_e32 v7, v12, v13
	v_cls_i32_e32 v9, v13
	s_delay_alu instid0(VALU_DEP_2) | instskip(NEXT) | instid1(VALU_DEP_1)
	v_ashrrev_i32_e32 v7, 31, v7
	v_add_nc_u32_e32 v7, 32, v7
	s_delay_alu instid0(VALU_DEP_1) | instskip(NEXT) | instid1(VALU_DEP_1)
	v_add_min_u32_e64 v7, v9, -1, v7
	v_lshlrev_b64_e32 v[12:13], v7, v[12:13]
	v_sub_nc_u32_e32 v7, 32, v7
	s_delay_alu instid0(VALU_DEP_2) | instskip(NEXT) | instid1(VALU_DEP_1)
	v_min_u32_e32 v9, 1, v12
	v_or_b32_e32 v9, v13, v9
	s_delay_alu instid0(VALU_DEP_1) | instskip(NEXT) | instid1(VALU_DEP_1)
	v_cvt_f32_i32_e32 v9, v9
	v_ldexp_f32 v7, v9, v7
	s_delay_alu instid0(VALU_DEP_1)
	v_cvt_f16_f32_e32 v12, v7
	s_branch .LBB183_2535
.LBB183_2532:
	s_mov_b32 s6, -1
                                        ; implicit-def: $vgpr12
	s_branch .LBB183_2541
.LBB183_2533:
	s_mov_b32 s6, -1
                                        ; implicit-def: $vgpr12
	s_branch .LBB183_2538
.LBB183_2534:
	s_mov_b32 s6, -1
                                        ; implicit-def: $vgpr12
.LBB183_2535:
	s_delay_alu instid0(SALU_CYCLE_1)
	s_and_not1_b32 vcc_lo, exec_lo, s6
	s_cbranch_vccnz .LBB183_2537
; %bb.2536:
	global_load_b32 v7, v[10:11], off
	s_wait_loadcnt 0x0
	v_cvt_f32_i32_e32 v7, v7
	s_wait_xcnt 0x1
	s_delay_alu instid0(VALU_DEP_1)
	v_cvt_f16_f32_e32 v12, v7
.LBB183_2537:
	s_mov_b32 s6, 0
.LBB183_2538:
	s_delay_alu instid0(SALU_CYCLE_1)
	s_and_not1_b32 vcc_lo, exec_lo, s6
	s_cbranch_vccnz .LBB183_2540
; %bb.2539:
	global_load_u16 v7, v[10:11], off
	s_wait_loadcnt 0x0
	s_wait_xcnt 0x1
	v_cvt_f16_i16_e32 v12, v7
.LBB183_2540:
	s_mov_b32 s6, 0
.LBB183_2541:
	s_delay_alu instid0(SALU_CYCLE_1)
	s_and_not1_b32 vcc_lo, exec_lo, s6
	s_cbranch_vccnz .LBB183_2547
; %bb.2542:
	s_cmp_gt_i32 s2, 0
	s_mov_b32 s2, 0
	s_cbranch_scc0 .LBB183_2544
; %bb.2543:
	global_load_i8 v7, v[10:11], off
	s_wait_loadcnt 0x0
	s_wait_xcnt 0x1
	v_cvt_f16_i16_e32 v12, v7
	s_branch .LBB183_2545
.LBB183_2544:
	s_mov_b32 s2, -1
                                        ; implicit-def: $vgpr12
.LBB183_2545:
	s_delay_alu instid0(SALU_CYCLE_1)
	s_and_not1_b32 vcc_lo, exec_lo, s2
	s_cbranch_vccnz .LBB183_2547
; %bb.2546:
	global_load_u8 v7, v[10:11], off
	s_wait_loadcnt 0x0
	s_wait_xcnt 0x1
	v_cvt_f16_u16_e32 v12, v7
.LBB183_2547:
	s_mov_b32 s11, -1
.LBB183_2548:
	s_delay_alu instid0(SALU_CYCLE_1)
	s_and_not1_b32 vcc_lo, exec_lo, s11
	s_cbranch_vccnz .LBB183_3112
; %bb.2549:
	v_mov_b32_e32 v9, 0
	s_cmp_lt_i32 s10, 11
	s_delay_alu instid0(VALU_DEP_1)
	v_add_nc_u64_e32 v[8:9], s[0:1], v[8:9]
	s_cbranch_scc1 .LBB183_2556
; %bb.2550:
	s_cmp_gt_i32 s10, 25
	s_mov_b32 s1, 0
	s_cbranch_scc0 .LBB183_2557
; %bb.2551:
	s_cmp_gt_i32 s10, 28
	s_cbranch_scc0 .LBB183_2558
; %bb.2552:
	s_cmp_gt_i32 s10, 43
	;; [unrolled: 3-line block ×3, first 2 shown]
	s_cbranch_scc0 .LBB183_2561
; %bb.2554:
	s_cmp_eq_u32 s10, 46
	s_mov_b32 s6, 0
	s_cbranch_scc0 .LBB183_2562
; %bb.2555:
	global_load_b32 v7, v[8:9], off
	s_mov_b32 s0, 0
	s_mov_b32 s2, -1
	s_wait_loadcnt 0x0
	v_lshlrev_b32_e32 v7, 16, v7
	s_wait_xcnt 0x1
	s_delay_alu instid0(VALU_DEP_1)
	v_cvt_f16_f32_e32 v10, v7
	s_branch .LBB183_2564
.LBB183_2556:
	s_mov_b32 s0, -1
	s_mov_b32 s2, 0
                                        ; implicit-def: $vgpr10
	s_branch .LBB183_2630
.LBB183_2557:
	s_mov_b32 s6, -1
	s_mov_b32 s2, 0
	s_mov_b32 s0, 0
                                        ; implicit-def: $vgpr10
	s_branch .LBB183_2593
.LBB183_2558:
	s_mov_b32 s6, -1
	s_mov_b32 s2, 0
	s_mov_b32 s0, 0
                                        ; implicit-def: $vgpr10
	s_branch .LBB183_2574
.LBB183_2559:
	s_mov_b32 s6, -1
	s_mov_b32 s2, 0
	s_mov_b32 s0, 0
                                        ; implicit-def: $vgpr10
	s_branch .LBB183_2569
.LBB183_2560:
	s_or_b32 s9, s9, exec_lo
	s_trap 2
	s_cbranch_execz .LBB183_2497
	s_branch .LBB183_2498
.LBB183_2561:
	s_mov_b32 s6, -1
	s_mov_b32 s2, 0
	s_mov_b32 s0, 0
	s_branch .LBB183_2563
.LBB183_2562:
	s_mov_b32 s0, -1
	s_mov_b32 s2, 0
.LBB183_2563:
                                        ; implicit-def: $vgpr10
.LBB183_2564:
	s_and_b32 vcc_lo, exec_lo, s6
	s_cbranch_vccz .LBB183_2568
; %bb.2565:
	s_cmp_eq_u32 s10, 44
	s_cbranch_scc0 .LBB183_2567
; %bb.2566:
	global_load_u8 v7, v[8:9], off
	s_mov_b32 s0, 0
	s_mov_b32 s2, -1
	s_wait_loadcnt 0x0
	s_wait_xcnt 0x1
	v_lshlrev_b32_e32 v10, 23, v7
	v_cmp_ne_u32_e32 vcc_lo, 0xff, v7
	s_delay_alu instid0(VALU_DEP_2) | instskip(NEXT) | instid1(VALU_DEP_1)
	v_cvt_f16_f32_e32 v10, v10
	v_cndmask_b32_e32 v10, 0x7e00, v10, vcc_lo
	v_cmp_ne_u32_e32 vcc_lo, 0, v7
	s_delay_alu instid0(VALU_DEP_2)
	v_cndmask_b32_e32 v10, 0, v10, vcc_lo
	s_branch .LBB183_2568
.LBB183_2567:
	s_mov_b32 s0, -1
                                        ; implicit-def: $vgpr10
.LBB183_2568:
	s_mov_b32 s6, 0
.LBB183_2569:
	s_delay_alu instid0(SALU_CYCLE_1)
	s_and_b32 vcc_lo, exec_lo, s6
	s_cbranch_vccz .LBB183_2573
; %bb.2570:
	s_cmp_eq_u32 s10, 29
	s_cbranch_scc0 .LBB183_2572
; %bb.2571:
	global_load_b64 v[10:11], v[8:9], off
	s_mov_b32 s0, 0
	s_mov_b32 s2, -1
	s_mov_b32 s6, 0
	s_wait_loadcnt 0x0
	v_clz_i32_u32_e32 v7, v11
	s_delay_alu instid0(VALU_DEP_1) | instskip(NEXT) | instid1(VALU_DEP_1)
	v_min_u32_e32 v7, 32, v7
	v_lshlrev_b64_e32 v[10:11], v7, v[10:11]
	v_sub_nc_u32_e32 v7, 32, v7
	s_delay_alu instid0(VALU_DEP_2) | instskip(NEXT) | instid1(VALU_DEP_1)
	v_min_u32_e32 v10, 1, v10
	v_or_b32_e32 v10, v11, v10
	s_delay_alu instid0(VALU_DEP_1) | instskip(NEXT) | instid1(VALU_DEP_1)
	v_cvt_f32_u32_e32 v10, v10
	v_ldexp_f32 v7, v10, v7
	s_delay_alu instid0(VALU_DEP_1)
	v_cvt_f16_f32_e32 v10, v7
	s_branch .LBB183_2574
.LBB183_2572:
	s_mov_b32 s0, -1
                                        ; implicit-def: $vgpr10
.LBB183_2573:
	s_mov_b32 s6, 0
.LBB183_2574:
	s_delay_alu instid0(SALU_CYCLE_1)
	s_and_b32 vcc_lo, exec_lo, s6
	s_cbranch_vccz .LBB183_2592
; %bb.2575:
	s_cmp_lt_i32 s10, 27
	s_cbranch_scc1 .LBB183_2578
; %bb.2576:
	s_cmp_gt_i32 s10, 27
	s_cbranch_scc0 .LBB183_2579
; %bb.2577:
	global_load_b32 v7, v[8:9], off
	s_mov_b32 s2, 0
	s_wait_loadcnt 0x0
	v_cvt_f32_u32_e32 v7, v7
	s_wait_xcnt 0x1
	s_delay_alu instid0(VALU_DEP_1)
	v_cvt_f16_f32_e32 v10, v7
	s_branch .LBB183_2580
.LBB183_2578:
	s_mov_b32 s2, -1
                                        ; implicit-def: $vgpr10
	s_branch .LBB183_2583
.LBB183_2579:
	s_mov_b32 s2, -1
                                        ; implicit-def: $vgpr10
.LBB183_2580:
	s_delay_alu instid0(SALU_CYCLE_1)
	s_and_not1_b32 vcc_lo, exec_lo, s2
	s_cbranch_vccnz .LBB183_2582
; %bb.2581:
	global_load_u16 v7, v[8:9], off
	s_wait_loadcnt 0x0
	s_wait_xcnt 0x1
	v_cvt_f16_u16_e32 v10, v7
.LBB183_2582:
	s_mov_b32 s2, 0
.LBB183_2583:
	s_delay_alu instid0(SALU_CYCLE_1)
	s_and_not1_b32 vcc_lo, exec_lo, s2
	s_cbranch_vccnz .LBB183_2591
; %bb.2584:
	global_load_u8 v7, v[8:9], off
	s_mov_b32 s2, 0
	s_mov_b32 s6, exec_lo
	s_wait_loadcnt 0x0
	v_cmpx_lt_i16_e32 0x7f, v7
	s_xor_b32 s6, exec_lo, s6
	s_cbranch_execz .LBB183_2605
; %bb.2585:
	s_mov_b32 s2, -1
	s_mov_b32 s7, exec_lo
	v_cmpx_eq_u16_e32 0x80, v7
; %bb.2586:
	s_xor_b32 s2, exec_lo, -1
; %bb.2587:
	s_or_b32 exec_lo, exec_lo, s7
	s_delay_alu instid0(SALU_CYCLE_1)
	s_and_b32 s2, s2, exec_lo
	s_or_saveexec_b32 s6, s6
	v_mov_b32_e32 v10, 0x7e00
	s_xor_b32 exec_lo, exec_lo, s6
	s_cbranch_execnz .LBB183_2606
.LBB183_2588:
	s_or_b32 exec_lo, exec_lo, s6
	s_and_saveexec_b32 s6, s2
	s_cbranch_execz .LBB183_2590
.LBB183_2589:
	v_and_b32_e32 v10, 0xffff, v7
	s_delay_alu instid0(VALU_DEP_1) | instskip(SKIP_1) | instid1(VALU_DEP_2)
	v_and_b32_e32 v11, 7, v10
	v_bfe_u32 v17, v10, 3, 4
	v_clz_i32_u32_e32 v13, v11
	s_delay_alu instid0(VALU_DEP_2) | instskip(NEXT) | instid1(VALU_DEP_2)
	v_cmp_eq_u32_e32 vcc_lo, 0, v17
	v_min_u32_e32 v13, 32, v13
	s_delay_alu instid0(VALU_DEP_1) | instskip(NEXT) | instid1(VALU_DEP_1)
	v_subrev_nc_u32_e32 v15, 28, v13
	v_dual_lshlrev_b32 v10, v15, v10 :: v_dual_sub_nc_u32 v13, 29, v13
	s_delay_alu instid0(VALU_DEP_1) | instskip(NEXT) | instid1(VALU_DEP_1)
	v_dual_lshlrev_b32 v7, 24, v7 :: v_dual_bitop2_b32 v10, 7, v10 bitop3:0x40
	v_dual_cndmask_b32 v13, v17, v13 :: v_dual_cndmask_b32 v10, v11, v10
	s_delay_alu instid0(VALU_DEP_2) | instskip(NEXT) | instid1(VALU_DEP_2)
	v_and_b32_e32 v7, 0x80000000, v7
	v_lshl_add_u32 v11, v13, 23, 0x3b800000
	s_delay_alu instid0(VALU_DEP_3) | instskip(NEXT) | instid1(VALU_DEP_1)
	v_lshlrev_b32_e32 v10, 20, v10
	v_or3_b32 v7, v7, v11, v10
	s_delay_alu instid0(VALU_DEP_1)
	v_cvt_f16_f32_e32 v10, v7
.LBB183_2590:
	s_or_b32 exec_lo, exec_lo, s6
.LBB183_2591:
	s_mov_b32 s2, -1
.LBB183_2592:
	s_mov_b32 s6, 0
.LBB183_2593:
	s_delay_alu instid0(SALU_CYCLE_1)
	s_and_b32 vcc_lo, exec_lo, s6
	s_cbranch_vccz .LBB183_2626
; %bb.2594:
	s_cmp_gt_i32 s10, 22
	s_cbranch_scc0 .LBB183_2604
; %bb.2595:
	s_cmp_lt_i32 s10, 24
	s_cbranch_scc1 .LBB183_2607
; %bb.2596:
	s_cmp_gt_i32 s10, 24
	s_cbranch_scc0 .LBB183_2608
; %bb.2597:
	global_load_u8 v7, v[8:9], off
	s_mov_b32 s2, exec_lo
	s_wait_loadcnt 0x0
	v_cmpx_lt_i16_e32 0x7f, v7
	s_xor_b32 s2, exec_lo, s2
	s_cbranch_execz .LBB183_2620
; %bb.2598:
	s_mov_b32 s1, -1
	s_mov_b32 s6, exec_lo
	v_cmpx_eq_u16_e32 0x80, v7
; %bb.2599:
	s_xor_b32 s1, exec_lo, -1
; %bb.2600:
	s_or_b32 exec_lo, exec_lo, s6
	s_delay_alu instid0(SALU_CYCLE_1)
	s_and_b32 s1, s1, exec_lo
	s_or_saveexec_b32 s2, s2
	v_mov_b32_e32 v10, 0x7e00
	s_xor_b32 exec_lo, exec_lo, s2
	s_cbranch_execnz .LBB183_2621
.LBB183_2601:
	s_or_b32 exec_lo, exec_lo, s2
	s_and_saveexec_b32 s2, s1
	s_cbranch_execz .LBB183_2603
.LBB183_2602:
	v_and_b32_e32 v10, 0xffff, v7
	s_delay_alu instid0(VALU_DEP_1) | instskip(SKIP_1) | instid1(VALU_DEP_2)
	v_and_b32_e32 v11, 3, v10
	v_bfe_u32 v17, v10, 2, 5
	v_clz_i32_u32_e32 v13, v11
	s_delay_alu instid0(VALU_DEP_2) | instskip(NEXT) | instid1(VALU_DEP_2)
	v_cmp_eq_u32_e32 vcc_lo, 0, v17
	v_min_u32_e32 v13, 32, v13
	s_delay_alu instid0(VALU_DEP_1) | instskip(NEXT) | instid1(VALU_DEP_1)
	v_subrev_nc_u32_e32 v15, 29, v13
	v_dual_lshlrev_b32 v10, v15, v10 :: v_dual_sub_nc_u32 v13, 30, v13
	s_delay_alu instid0(VALU_DEP_1) | instskip(NEXT) | instid1(VALU_DEP_1)
	v_dual_lshlrev_b32 v7, 24, v7 :: v_dual_bitop2_b32 v10, 3, v10 bitop3:0x40
	v_dual_cndmask_b32 v13, v17, v13 :: v_dual_cndmask_b32 v10, v11, v10
	s_delay_alu instid0(VALU_DEP_2) | instskip(NEXT) | instid1(VALU_DEP_2)
	v_and_b32_e32 v7, 0x80000000, v7
	v_lshl_add_u32 v11, v13, 23, 0x37800000
	s_delay_alu instid0(VALU_DEP_3) | instskip(NEXT) | instid1(VALU_DEP_1)
	v_lshlrev_b32_e32 v10, 21, v10
	v_or3_b32 v7, v7, v11, v10
	s_delay_alu instid0(VALU_DEP_1)
	v_cvt_f16_f32_e32 v10, v7
.LBB183_2603:
	s_or_b32 exec_lo, exec_lo, s2
	s_mov_b32 s1, 0
	s_branch .LBB183_2609
.LBB183_2604:
	s_mov_b32 s1, -1
                                        ; implicit-def: $vgpr10
	s_branch .LBB183_2615
.LBB183_2605:
	s_or_saveexec_b32 s6, s6
	v_mov_b32_e32 v10, 0x7e00
	s_xor_b32 exec_lo, exec_lo, s6
	s_cbranch_execz .LBB183_2588
.LBB183_2606:
	v_cmp_ne_u16_e32 vcc_lo, 0, v7
	v_mov_b32_e32 v10, v7
	s_and_not1_b32 s2, s2, exec_lo
	s_and_b32 s7, vcc_lo, exec_lo
	s_delay_alu instid0(SALU_CYCLE_1)
	s_or_b32 s2, s2, s7
	s_or_b32 exec_lo, exec_lo, s6
	s_and_saveexec_b32 s6, s2
	s_cbranch_execnz .LBB183_2589
	s_branch .LBB183_2590
.LBB183_2607:
	s_mov_b32 s1, -1
                                        ; implicit-def: $vgpr10
	s_branch .LBB183_2612
.LBB183_2608:
	s_mov_b32 s1, -1
                                        ; implicit-def: $vgpr10
.LBB183_2609:
	s_delay_alu instid0(SALU_CYCLE_1)
	s_and_b32 vcc_lo, exec_lo, s1
	s_cbranch_vccz .LBB183_2611
; %bb.2610:
	global_load_u8 v7, v[8:9], off
	s_wait_loadcnt 0x0
	v_lshlrev_b32_e32 v7, 24, v7
	s_wait_xcnt 0x1
	s_delay_alu instid0(VALU_DEP_1) | instskip(NEXT) | instid1(VALU_DEP_1)
	v_and_b32_e32 v10, 0x7f000000, v7
	v_clz_i32_u32_e32 v11, v10
	v_cmp_ne_u32_e32 vcc_lo, 0, v10
	v_add_nc_u32_e32 v15, 0x1000000, v10
	s_delay_alu instid0(VALU_DEP_3) | instskip(NEXT) | instid1(VALU_DEP_1)
	v_min_u32_e32 v11, 32, v11
	v_sub_nc_u32_e64 v11, v11, 4 clamp
	s_delay_alu instid0(VALU_DEP_1) | instskip(NEXT) | instid1(VALU_DEP_1)
	v_dual_lshlrev_b32 v13, v11, v10 :: v_dual_lshlrev_b32 v11, 23, v11
	v_lshrrev_b32_e32 v13, 4, v13
	s_delay_alu instid0(VALU_DEP_1) | instskip(SKIP_1) | instid1(VALU_DEP_2)
	v_sub_nc_u32_e32 v11, v13, v11
	v_ashrrev_i32_e32 v13, 8, v15
	v_add_nc_u32_e32 v11, 0x3c000000, v11
	s_delay_alu instid0(VALU_DEP_1) | instskip(NEXT) | instid1(VALU_DEP_1)
	v_and_or_b32 v11, 0x7f800000, v13, v11
	v_cndmask_b32_e32 v10, 0, v11, vcc_lo
	s_delay_alu instid0(VALU_DEP_1) | instskip(NEXT) | instid1(VALU_DEP_1)
	v_and_or_b32 v7, 0x80000000, v7, v10
	v_cvt_f16_f32_e32 v10, v7
.LBB183_2611:
	s_mov_b32 s1, 0
.LBB183_2612:
	s_delay_alu instid0(SALU_CYCLE_1)
	s_and_not1_b32 vcc_lo, exec_lo, s1
	s_cbranch_vccnz .LBB183_2614
; %bb.2613:
	global_load_u8 v7, v[8:9], off
	s_wait_loadcnt 0x0
	s_wait_xcnt 0x1
	v_lshlrev_b32_e32 v10, 25, v7
	v_lshlrev_b16 v7, 8, v7
	s_delay_alu instid0(VALU_DEP_1) | instskip(SKIP_1) | instid1(VALU_DEP_2)
	v_and_or_b32 v13, 0x7f00, v7, 0.5
	v_bfe_i32 v7, v7, 0, 16
	v_dual_add_f32 v13, -0.5, v13 :: v_dual_lshrrev_b32 v11, 4, v10
	v_cmp_gt_u32_e32 vcc_lo, 0x8000000, v10
	s_delay_alu instid0(VALU_DEP_2) | instskip(NEXT) | instid1(VALU_DEP_1)
	v_or_b32_e32 v11, 0x70000000, v11
	v_mul_f32_e32 v11, 0x7800000, v11
	s_delay_alu instid0(VALU_DEP_1) | instskip(NEXT) | instid1(VALU_DEP_1)
	v_cndmask_b32_e32 v10, v11, v13, vcc_lo
	v_and_or_b32 v7, 0x80000000, v7, v10
	s_delay_alu instid0(VALU_DEP_1)
	v_cvt_f16_f32_e32 v10, v7
.LBB183_2614:
	s_mov_b32 s1, 0
	s_mov_b32 s2, -1
.LBB183_2615:
	s_and_not1_b32 vcc_lo, exec_lo, s1
	s_mov_b32 s1, 0
	s_cbranch_vccnz .LBB183_2626
; %bb.2616:
	s_cmp_gt_i32 s10, 14
	s_cbranch_scc0 .LBB183_2619
; %bb.2617:
	s_cmp_eq_u32 s10, 15
	s_cbranch_scc0 .LBB183_2622
; %bb.2618:
	global_load_u16 v7, v[8:9], off
	s_mov_b32 s0, 0
	s_mov_b32 s2, -1
	s_wait_loadcnt 0x0
	v_lshlrev_b32_e32 v7, 16, v7
	s_wait_xcnt 0x1
	s_delay_alu instid0(VALU_DEP_1)
	v_cvt_f16_f32_e32 v10, v7
	s_branch .LBB183_2624
.LBB183_2619:
	s_mov_b32 s1, -1
	s_branch .LBB183_2623
.LBB183_2620:
	s_or_saveexec_b32 s2, s2
	v_mov_b32_e32 v10, 0x7e00
	s_xor_b32 exec_lo, exec_lo, s2
	s_cbranch_execz .LBB183_2601
.LBB183_2621:
	v_cmp_ne_u16_e32 vcc_lo, 0, v7
	v_mov_b32_e32 v10, v7
	s_and_not1_b32 s1, s1, exec_lo
	s_and_b32 s6, vcc_lo, exec_lo
	s_delay_alu instid0(SALU_CYCLE_1)
	s_or_b32 s1, s1, s6
	s_or_b32 exec_lo, exec_lo, s2
	s_and_saveexec_b32 s2, s1
	s_cbranch_execnz .LBB183_2602
	s_branch .LBB183_2603
.LBB183_2622:
	s_mov_b32 s0, -1
.LBB183_2623:
                                        ; implicit-def: $vgpr10
.LBB183_2624:
	s_and_b32 vcc_lo, exec_lo, s1
	s_mov_b32 s1, 0
	s_cbranch_vccz .LBB183_2626
; %bb.2625:
	s_cmp_lg_u32 s10, 11
	s_mov_b32 s1, -1
	s_cselect_b32 s0, -1, 0
.LBB183_2626:
	s_delay_alu instid0(SALU_CYCLE_1)
	s_and_b32 vcc_lo, exec_lo, s0
	s_cbranch_vccnz .LBB183_3158
; %bb.2627:
	s_and_not1_b32 vcc_lo, exec_lo, s1
	s_cbranch_vccnz .LBB183_2629
.LBB183_2628:
	global_load_u8 v7, v[8:9], off
	s_mov_b32 s2, -1
	s_wait_loadcnt 0x0
	v_cmp_ne_u16_e32 vcc_lo, 0, v7
	s_wait_xcnt 0x1
	v_cndmask_b32_e64 v10, 0, 0x3c00, vcc_lo
.LBB183_2629:
	s_mov_b32 s0, 0
.LBB183_2630:
	s_delay_alu instid0(SALU_CYCLE_1)
	s_and_b32 vcc_lo, exec_lo, s0
	s_cbranch_vccz .LBB183_2679
; %bb.2631:
	s_cmp_lt_i32 s10, 5
	s_cbranch_scc1 .LBB183_2636
; %bb.2632:
	s_cmp_lt_i32 s10, 8
	s_cbranch_scc1 .LBB183_2637
	;; [unrolled: 3-line block ×3, first 2 shown]
; %bb.2634:
	s_cmp_gt_i32 s10, 9
	s_cbranch_scc0 .LBB183_2639
; %bb.2635:
	global_load_b64 v[10:11], v[8:9], off
	s_mov_b32 s0, 0
	s_wait_loadcnt 0x0
	v_and_or_b32 v7, 0x1ff, v11, v10
	v_lshrrev_b32_e32 v10, 8, v11
	v_bfe_u32 v13, v11, 20, 11
	s_delay_alu instid0(VALU_DEP_3) | instskip(NEXT) | instid1(VALU_DEP_2)
	v_cmp_ne_u32_e32 vcc_lo, 0, v7
	v_sub_nc_u32_e32 v15, 0x3f1, v13
	v_add_nc_u32_e32 v13, 0xfffffc10, v13
	v_cndmask_b32_e64 v7, 0, 1, vcc_lo
	s_delay_alu instid0(VALU_DEP_1) | instskip(NEXT) | instid1(VALU_DEP_4)
	v_and_or_b32 v7, 0xffe, v10, v7
	v_med3_i32 v10, v15, 0, 13
	s_delay_alu instid0(VALU_DEP_2) | instskip(NEXT) | instid1(VALU_DEP_1)
	v_or_b32_e32 v15, 0x1000, v7
	v_lshrrev_b32_e32 v17, v10, v15
	s_delay_alu instid0(VALU_DEP_1) | instskip(NEXT) | instid1(VALU_DEP_1)
	v_lshlrev_b32_e32 v10, v10, v17
	v_cmp_ne_u32_e32 vcc_lo, v10, v15
	v_lshl_or_b32 v15, v13, 12, v7
	v_cndmask_b32_e64 v10, 0, 1, vcc_lo
	v_cmp_gt_i32_e32 vcc_lo, 1, v13
	s_delay_alu instid0(VALU_DEP_2) | instskip(NEXT) | instid1(VALU_DEP_1)
	v_or_b32_e32 v10, v17, v10
	v_cndmask_b32_e32 v10, v15, v10, vcc_lo
	s_delay_alu instid0(VALU_DEP_1) | instskip(NEXT) | instid1(VALU_DEP_1)
	v_dual_lshrrev_b32 v10, 2, v10 :: v_dual_bitop2_b32 v15, 7, v10 bitop3:0x40
	v_cmp_lt_i32_e32 vcc_lo, 5, v15
	v_cndmask_b32_e64 v17, 0, 1, vcc_lo
	v_cmp_eq_u32_e32 vcc_lo, 3, v15
	v_cndmask_b32_e64 v15, 0, 1, vcc_lo
	v_cmp_ne_u32_e32 vcc_lo, 0, v7
	s_delay_alu instid0(VALU_DEP_2) | instskip(NEXT) | instid1(VALU_DEP_1)
	v_or_b32_e32 v15, v15, v17
	v_dual_mov_b32 v17, 0x7e00 :: v_dual_add_nc_u32 v10, v10, v15
	s_delay_alu instid0(VALU_DEP_1) | instskip(SKIP_1) | instid1(VALU_DEP_3)
	v_cndmask_b32_e32 v7, 0x7c00, v17, vcc_lo
	v_cmp_gt_i32_e32 vcc_lo, 31, v13
	v_cndmask_b32_e32 v10, 0x7c00, v10, vcc_lo
	v_cmp_eq_u32_e32 vcc_lo, 0x40f, v13
	s_delay_alu instid0(VALU_DEP_2) | instskip(SKIP_1) | instid1(VALU_DEP_1)
	v_cndmask_b32_e32 v7, v10, v7, vcc_lo
	v_lshrrev_b32_e32 v10, 16, v11
	v_and_or_b32 v10, 0x8000, v10, v7
	s_branch .LBB183_2640
.LBB183_2636:
	s_mov_b32 s0, -1
                                        ; implicit-def: $vgpr10
	s_branch .LBB183_2658
.LBB183_2637:
	s_mov_b32 s0, -1
                                        ; implicit-def: $vgpr10
	s_branch .LBB183_2646
.LBB183_2638:
	s_mov_b32 s0, -1
                                        ; implicit-def: $vgpr10
	s_branch .LBB183_2643
.LBB183_2639:
	s_mov_b32 s0, -1
                                        ; implicit-def: $vgpr10
.LBB183_2640:
	s_delay_alu instid0(SALU_CYCLE_1)
	s_and_not1_b32 vcc_lo, exec_lo, s0
	s_cbranch_vccnz .LBB183_2642
; %bb.2641:
	global_load_b32 v7, v[8:9], off
	s_wait_loadcnt 0x0
	s_wait_xcnt 0x1
	v_cvt_f16_f32_e32 v10, v7
.LBB183_2642:
	s_mov_b32 s0, 0
.LBB183_2643:
	s_delay_alu instid0(SALU_CYCLE_1)
	s_and_not1_b32 vcc_lo, exec_lo, s0
	s_cbranch_vccnz .LBB183_2645
; %bb.2644:
	global_load_b32 v10, v[8:9], off
.LBB183_2645:
	s_mov_b32 s0, 0
.LBB183_2646:
	s_delay_alu instid0(SALU_CYCLE_1)
	s_and_not1_b32 vcc_lo, exec_lo, s0
	s_cbranch_vccnz .LBB183_2657
; %bb.2647:
	s_cmp_lt_i32 s10, 6
	s_cbranch_scc1 .LBB183_2650
; %bb.2648:
	s_cmp_gt_i32 s10, 6
	s_cbranch_scc0 .LBB183_2651
; %bb.2649:
	s_wait_loadcnt 0x0
	global_load_b64 v[10:11], v[8:9], off
	s_mov_b32 s0, 0
	s_wait_loadcnt 0x0
	v_and_or_b32 v7, 0x1ff, v11, v10
	v_lshrrev_b32_e32 v10, 8, v11
	v_bfe_u32 v13, v11, 20, 11
	s_delay_alu instid0(VALU_DEP_3) | instskip(NEXT) | instid1(VALU_DEP_2)
	v_cmp_ne_u32_e32 vcc_lo, 0, v7
	v_sub_nc_u32_e32 v15, 0x3f1, v13
	v_add_nc_u32_e32 v13, 0xfffffc10, v13
	v_cndmask_b32_e64 v7, 0, 1, vcc_lo
	s_delay_alu instid0(VALU_DEP_1) | instskip(NEXT) | instid1(VALU_DEP_4)
	v_and_or_b32 v7, 0xffe, v10, v7
	v_med3_i32 v10, v15, 0, 13
	s_delay_alu instid0(VALU_DEP_2) | instskip(NEXT) | instid1(VALU_DEP_1)
	v_or_b32_e32 v15, 0x1000, v7
	v_lshrrev_b32_e32 v17, v10, v15
	s_delay_alu instid0(VALU_DEP_1) | instskip(NEXT) | instid1(VALU_DEP_1)
	v_lshlrev_b32_e32 v10, v10, v17
	v_cmp_ne_u32_e32 vcc_lo, v10, v15
	v_lshl_or_b32 v15, v13, 12, v7
	v_cndmask_b32_e64 v10, 0, 1, vcc_lo
	v_cmp_gt_i32_e32 vcc_lo, 1, v13
	s_delay_alu instid0(VALU_DEP_2) | instskip(NEXT) | instid1(VALU_DEP_1)
	v_or_b32_e32 v10, v17, v10
	v_cndmask_b32_e32 v10, v15, v10, vcc_lo
	s_delay_alu instid0(VALU_DEP_1) | instskip(NEXT) | instid1(VALU_DEP_1)
	v_dual_lshrrev_b32 v10, 2, v10 :: v_dual_bitop2_b32 v15, 7, v10 bitop3:0x40
	v_cmp_lt_i32_e32 vcc_lo, 5, v15
	v_cndmask_b32_e64 v17, 0, 1, vcc_lo
	v_cmp_eq_u32_e32 vcc_lo, 3, v15
	v_cndmask_b32_e64 v15, 0, 1, vcc_lo
	v_cmp_ne_u32_e32 vcc_lo, 0, v7
	s_delay_alu instid0(VALU_DEP_2) | instskip(NEXT) | instid1(VALU_DEP_1)
	v_or_b32_e32 v15, v15, v17
	v_dual_mov_b32 v17, 0x7e00 :: v_dual_add_nc_u32 v10, v10, v15
	s_delay_alu instid0(VALU_DEP_1) | instskip(SKIP_1) | instid1(VALU_DEP_3)
	v_cndmask_b32_e32 v7, 0x7c00, v17, vcc_lo
	v_cmp_gt_i32_e32 vcc_lo, 31, v13
	v_cndmask_b32_e32 v10, 0x7c00, v10, vcc_lo
	v_cmp_eq_u32_e32 vcc_lo, 0x40f, v13
	s_delay_alu instid0(VALU_DEP_2) | instskip(SKIP_1) | instid1(VALU_DEP_1)
	v_cndmask_b32_e32 v7, v10, v7, vcc_lo
	v_lshrrev_b32_e32 v10, 16, v11
	v_and_or_b32 v10, 0x8000, v10, v7
	s_branch .LBB183_2652
.LBB183_2650:
	s_mov_b32 s0, -1
                                        ; implicit-def: $vgpr10
	s_branch .LBB183_2655
.LBB183_2651:
	s_mov_b32 s0, -1
                                        ; implicit-def: $vgpr10
.LBB183_2652:
	s_delay_alu instid0(SALU_CYCLE_1)
	s_and_not1_b32 vcc_lo, exec_lo, s0
	s_cbranch_vccnz .LBB183_2654
; %bb.2653:
	global_load_b32 v7, v[8:9], off
	s_wait_loadcnt 0x0
	s_wait_xcnt 0x1
	v_cvt_f16_f32_e32 v10, v7
.LBB183_2654:
	s_mov_b32 s0, 0
.LBB183_2655:
	s_delay_alu instid0(SALU_CYCLE_1)
	s_and_not1_b32 vcc_lo, exec_lo, s0
	s_cbranch_vccnz .LBB183_2657
; %bb.2656:
	s_wait_loadcnt 0x0
	global_load_u16 v10, v[8:9], off
.LBB183_2657:
	s_mov_b32 s0, 0
.LBB183_2658:
	s_delay_alu instid0(SALU_CYCLE_1)
	s_and_not1_b32 vcc_lo, exec_lo, s0
	s_cbranch_vccnz .LBB183_2678
; %bb.2659:
	s_cmp_lt_i32 s10, 2
	s_cbranch_scc1 .LBB183_2663
; %bb.2660:
	s_cmp_lt_i32 s10, 3
	s_cbranch_scc1 .LBB183_2664
; %bb.2661:
	s_cmp_gt_i32 s10, 3
	s_cbranch_scc0 .LBB183_2665
; %bb.2662:
	s_wait_loadcnt 0x0
	global_load_b64 v[10:11], v[8:9], off
	s_mov_b32 s0, 0
	s_wait_loadcnt 0x0
	v_xor_b32_e32 v7, v10, v11
	v_cls_i32_e32 v13, v11
	s_delay_alu instid0(VALU_DEP_2) | instskip(NEXT) | instid1(VALU_DEP_1)
	v_ashrrev_i32_e32 v7, 31, v7
	v_add_nc_u32_e32 v7, 32, v7
	s_delay_alu instid0(VALU_DEP_1) | instskip(NEXT) | instid1(VALU_DEP_1)
	v_add_min_u32_e64 v7, v13, -1, v7
	v_lshlrev_b64_e32 v[10:11], v7, v[10:11]
	v_sub_nc_u32_e32 v7, 32, v7
	s_delay_alu instid0(VALU_DEP_2) | instskip(NEXT) | instid1(VALU_DEP_1)
	v_min_u32_e32 v10, 1, v10
	v_or_b32_e32 v10, v11, v10
	s_delay_alu instid0(VALU_DEP_1) | instskip(NEXT) | instid1(VALU_DEP_1)
	v_cvt_f32_i32_e32 v10, v10
	v_ldexp_f32 v7, v10, v7
	s_delay_alu instid0(VALU_DEP_1)
	v_cvt_f16_f32_e32 v10, v7
	s_branch .LBB183_2666
.LBB183_2663:
	s_mov_b32 s0, -1
                                        ; implicit-def: $vgpr10
	s_branch .LBB183_2672
.LBB183_2664:
	s_mov_b32 s0, -1
                                        ; implicit-def: $vgpr10
	s_branch .LBB183_2669
.LBB183_2665:
	s_mov_b32 s0, -1
                                        ; implicit-def: $vgpr10
.LBB183_2666:
	s_delay_alu instid0(SALU_CYCLE_1)
	s_and_not1_b32 vcc_lo, exec_lo, s0
	s_cbranch_vccnz .LBB183_2668
; %bb.2667:
	global_load_b32 v7, v[8:9], off
	s_wait_loadcnt 0x0
	v_cvt_f32_i32_e32 v7, v7
	s_wait_xcnt 0x1
	s_delay_alu instid0(VALU_DEP_1)
	v_cvt_f16_f32_e32 v10, v7
.LBB183_2668:
	s_mov_b32 s0, 0
.LBB183_2669:
	s_delay_alu instid0(SALU_CYCLE_1)
	s_and_not1_b32 vcc_lo, exec_lo, s0
	s_cbranch_vccnz .LBB183_2671
; %bb.2670:
	global_load_u16 v7, v[8:9], off
	s_wait_loadcnt 0x0
	s_wait_xcnt 0x1
	v_cvt_f16_i16_e32 v10, v7
.LBB183_2671:
	s_mov_b32 s0, 0
.LBB183_2672:
	s_delay_alu instid0(SALU_CYCLE_1)
	s_and_not1_b32 vcc_lo, exec_lo, s0
	s_cbranch_vccnz .LBB183_2678
; %bb.2673:
	s_cmp_gt_i32 s10, 0
	s_mov_b32 s0, 0
	s_cbranch_scc0 .LBB183_2675
; %bb.2674:
	global_load_i8 v7, v[8:9], off
	s_wait_loadcnt 0x0
	s_wait_xcnt 0x1
	v_cvt_f16_i16_e32 v10, v7
	s_branch .LBB183_2676
.LBB183_2675:
	s_mov_b32 s0, -1
                                        ; implicit-def: $vgpr10
.LBB183_2676:
	s_delay_alu instid0(SALU_CYCLE_1)
	s_and_not1_b32 vcc_lo, exec_lo, s0
	s_cbranch_vccnz .LBB183_2678
; %bb.2677:
	global_load_u8 v7, v[8:9], off
	s_wait_loadcnt 0x0
	s_wait_xcnt 0x1
	v_cvt_f16_u16_e32 v10, v7
.LBB183_2678:
	s_mov_b32 s2, -1
.LBB183_2679:
	s_delay_alu instid0(SALU_CYCLE_1)
	s_and_not1_b32 vcc_lo, exec_lo, s2
	s_cbranch_vccnz .LBB183_3112
; %bb.2680:
	s_load_b64 s[0:1], s[20:21], 0x1a0
	s_wait_loadcnt 0x0
	v_cmp_eq_f16_e32 vcc_lo, v1, v3
	s_mov_b32 s11, 0
	s_mov_b32 s2, -1
	v_cndmask_b32_e64 v7, 0, 1, vcc_lo
	v_cmp_neq_f16_e32 vcc_lo, v1, v3
	v_cndmask_b32_e64 v1, 0, 1, vcc_lo
	s_wait_kmcnt 0x0
	s_cmp_eq_u32 s0, 0
	s_cselect_b32 s0, -1, 0
	s_and_b32 s6, s1, 0xff
	v_dual_cndmask_b32 v1, v1, v7, s0 :: v_dual_mov_b32 v7, 0
	s_cmp_lt_i32 s6, 11
	s_delay_alu instid0(VALU_DEP_1) | instskip(NEXT) | instid1(VALU_DEP_2)
	v_and_b32_e32 v1, 1, v1
	v_add_nc_u64_e32 v[6:7], s[4:5], v[6:7]
	s_delay_alu instid0(VALU_DEP_2)
	v_cmp_eq_u32_e64 s1, 1, v1
	s_cbranch_scc1 .LBB183_2759
; %bb.2681:
	s_and_b32 s7, 0xffff, s6
	s_mov_b32 s12, -1
	s_mov_b32 s10, 0
	s_cmp_gt_i32 s7, 25
	s_mov_b32 s2, 0
	s_cbranch_scc0 .LBB183_2714
; %bb.2682:
	s_cmp_gt_i32 s7, 28
	s_cbranch_scc0 .LBB183_2697
; %bb.2683:
	s_cmp_gt_i32 s7, 43
	;; [unrolled: 3-line block ×3, first 2 shown]
	s_cbranch_scc0 .LBB183_2687
; %bb.2685:
	s_mov_b32 s2, -1
	s_mov_b32 s12, 0
	s_cmp_eq_u32 s7, 46
	s_cbranch_scc0 .LBB183_2687
; %bb.2686:
	v_cndmask_b32_e64 v1, 0, 1.0, s1
	s_mov_b32 s2, 0
	s_mov_b32 s11, -1
	s_delay_alu instid0(VALU_DEP_1) | instskip(NEXT) | instid1(VALU_DEP_1)
	v_bfe_u32 v3, v1, 16, 1
	v_add3_u32 v1, v1, v3, 0x7fff
	s_delay_alu instid0(VALU_DEP_1)
	v_lshrrev_b32_e32 v1, 16, v1
	global_store_b32 v[6:7], v1, off
.LBB183_2687:
	s_and_b32 vcc_lo, exec_lo, s12
	s_cbranch_vccz .LBB183_2692
; %bb.2688:
	s_cmp_eq_u32 s7, 44
	s_mov_b32 s2, -1
	s_cbranch_scc0 .LBB183_2692
; %bb.2689:
	v_cndmask_b32_e64 v8, 0, 1.0, s1
	v_mov_b32_e32 v3, 0xff
	s_mov_b32 s11, exec_lo
	s_wait_xcnt 0x0
	s_delay_alu instid0(VALU_DEP_2) | instskip(NEXT) | instid1(VALU_DEP_1)
	v_lshrrev_b32_e32 v1, 23, v8
	v_cmpx_ne_u32_e32 0xff, v1
; %bb.2690:
	v_and_b32_e32 v3, 0x400000, v8
	v_and_or_b32 v8, 0x3fffff, v8, v1
	s_delay_alu instid0(VALU_DEP_2) | instskip(NEXT) | instid1(VALU_DEP_2)
	v_cmp_ne_u32_e32 vcc_lo, 0, v3
	v_cmp_ne_u32_e64 s2, 0, v8
	s_and_b32 s2, vcc_lo, s2
	s_delay_alu instid0(SALU_CYCLE_1) | instskip(NEXT) | instid1(VALU_DEP_1)
	v_cndmask_b32_e64 v3, 0, 1, s2
	v_add_nc_u32_e32 v3, v1, v3
; %bb.2691:
	s_or_b32 exec_lo, exec_lo, s11
	s_mov_b32 s2, 0
	s_mov_b32 s11, -1
	global_store_b8 v[6:7], v3, off
.LBB183_2692:
	s_mov_b32 s12, 0
.LBB183_2693:
	s_delay_alu instid0(SALU_CYCLE_1)
	s_and_b32 vcc_lo, exec_lo, s12
	s_cbranch_vccz .LBB183_2696
; %bb.2694:
	s_cmp_eq_u32 s7, 29
	s_mov_b32 s2, -1
	s_cbranch_scc0 .LBB183_2696
; %bb.2695:
	s_mov_b32 s2, 0
	v_cndmask_b32_e64 v8, 0, 1, s1
	v_mov_b32_e32 v9, s2
	s_mov_b32 s11, -1
	global_store_b64 v[6:7], v[8:9], off
.LBB183_2696:
	s_mov_b32 s12, 0
.LBB183_2697:
	s_delay_alu instid0(SALU_CYCLE_1)
	s_and_b32 vcc_lo, exec_lo, s12
	s_cbranch_vccz .LBB183_2713
; %bb.2698:
	s_cmp_lt_i32 s7, 27
	s_mov_b32 s11, -1
	s_cbranch_scc1 .LBB183_2704
; %bb.2699:
	s_cmp_gt_i32 s7, 27
	s_cbranch_scc0 .LBB183_2701
; %bb.2700:
	s_wait_xcnt 0x0
	v_cndmask_b32_e64 v1, 0, 1, s1
	s_mov_b32 s11, 0
	global_store_b32 v[6:7], v1, off
.LBB183_2701:
	s_and_not1_b32 vcc_lo, exec_lo, s11
	s_cbranch_vccnz .LBB183_2703
; %bb.2702:
	s_wait_xcnt 0x0
	v_cndmask_b32_e64 v1, 0, 1, s1
	global_store_b16 v[6:7], v1, off
.LBB183_2703:
	s_mov_b32 s11, 0
.LBB183_2704:
	s_delay_alu instid0(SALU_CYCLE_1)
	s_and_not1_b32 vcc_lo, exec_lo, s11
	s_cbranch_vccnz .LBB183_2712
; %bb.2705:
	s_wait_xcnt 0x0
	v_cndmask_b32_e64 v3, 0, 1.0, s1
	v_mov_b32_e32 v8, 0x80
	s_mov_b32 s11, exec_lo
	s_delay_alu instid0(VALU_DEP_2)
	v_cmpx_gt_u32_e32 0x43800000, v3
	s_cbranch_execz .LBB183_2711
; %bb.2706:
	s_mov_b32 s12, 0
	s_mov_b32 s13, exec_lo
                                        ; implicit-def: $vgpr1
	v_cmpx_lt_u32_e32 0x3bffffff, v3
	s_xor_b32 s13, exec_lo, s13
	s_cbranch_execz .LBB183_3159
; %bb.2707:
	v_bfe_u32 v1, v3, 20, 1
	s_mov_b32 s12, exec_lo
	s_delay_alu instid0(VALU_DEP_1) | instskip(NEXT) | instid1(VALU_DEP_1)
	v_add3_u32 v1, v3, v1, 0x487ffff
                                        ; implicit-def: $vgpr3
	v_lshrrev_b32_e32 v1, 20, v1
	s_and_not1_saveexec_b32 s13, s13
	s_cbranch_execnz .LBB183_3160
.LBB183_2708:
	s_or_b32 exec_lo, exec_lo, s13
	v_mov_b32_e32 v8, 0
	s_and_saveexec_b32 s13, s12
.LBB183_2709:
	v_mov_b32_e32 v8, v1
.LBB183_2710:
	s_or_b32 exec_lo, exec_lo, s13
.LBB183_2711:
	s_delay_alu instid0(SALU_CYCLE_1)
	s_or_b32 exec_lo, exec_lo, s11
	global_store_b8 v[6:7], v8, off
.LBB183_2712:
	s_mov_b32 s11, -1
.LBB183_2713:
	s_mov_b32 s12, 0
.LBB183_2714:
	s_delay_alu instid0(SALU_CYCLE_1)
	s_and_b32 vcc_lo, exec_lo, s12
	s_cbranch_vccz .LBB183_2754
; %bb.2715:
	s_cmp_gt_i32 s7, 22
	s_mov_b32 s10, -1
	s_cbranch_scc0 .LBB183_2747
; %bb.2716:
	s_cmp_lt_i32 s7, 24
	s_cbranch_scc1 .LBB183_2736
; %bb.2717:
	s_cmp_gt_i32 s7, 24
	s_cbranch_scc0 .LBB183_2725
; %bb.2718:
	s_wait_xcnt 0x0
	v_cndmask_b32_e64 v3, 0, 1.0, s1
	v_mov_b32_e32 v8, 0x80
	s_mov_b32 s10, exec_lo
	s_delay_alu instid0(VALU_DEP_2)
	v_cmpx_gt_u32_e32 0x47800000, v3
	s_cbranch_execz .LBB183_2724
; %bb.2719:
	s_mov_b32 s11, 0
	s_mov_b32 s12, exec_lo
                                        ; implicit-def: $vgpr1
	v_cmpx_lt_u32_e32 0x37ffffff, v3
	s_xor_b32 s12, exec_lo, s12
	s_cbranch_execz .LBB183_3162
; %bb.2720:
	v_bfe_u32 v1, v3, 21, 1
	s_mov_b32 s11, exec_lo
	s_delay_alu instid0(VALU_DEP_1) | instskip(NEXT) | instid1(VALU_DEP_1)
	v_add3_u32 v1, v3, v1, 0x88fffff
                                        ; implicit-def: $vgpr3
	v_lshrrev_b32_e32 v1, 21, v1
	s_and_not1_saveexec_b32 s12, s12
	s_cbranch_execnz .LBB183_3163
.LBB183_2721:
	s_or_b32 exec_lo, exec_lo, s12
	v_mov_b32_e32 v8, 0
	s_and_saveexec_b32 s12, s11
.LBB183_2722:
	v_mov_b32_e32 v8, v1
.LBB183_2723:
	s_or_b32 exec_lo, exec_lo, s12
.LBB183_2724:
	s_delay_alu instid0(SALU_CYCLE_1)
	s_or_b32 exec_lo, exec_lo, s10
	s_mov_b32 s10, 0
	global_store_b8 v[6:7], v8, off
.LBB183_2725:
	s_and_b32 vcc_lo, exec_lo, s10
	s_cbranch_vccz .LBB183_2735
; %bb.2726:
	s_wait_xcnt 0x0
	v_cndmask_b32_e64 v3, 0, 1.0, s1
	s_mov_b32 s10, exec_lo
                                        ; implicit-def: $vgpr1
	s_delay_alu instid0(VALU_DEP_1)
	v_cmpx_gt_u32_e32 0x43f00000, v3
	s_xor_b32 s10, exec_lo, s10
	s_cbranch_execz .LBB183_2732
; %bb.2727:
	s_mov_b32 s11, exec_lo
                                        ; implicit-def: $vgpr1
	v_cmpx_lt_u32_e32 0x3c7fffff, v3
	s_xor_b32 s11, exec_lo, s11
; %bb.2728:
	v_bfe_u32 v1, v3, 20, 1
	s_delay_alu instid0(VALU_DEP_1) | instskip(NEXT) | instid1(VALU_DEP_1)
	v_add3_u32 v1, v3, v1, 0x407ffff
	v_and_b32_e32 v3, 0xff00000, v1
	v_lshrrev_b32_e32 v1, 20, v1
	s_delay_alu instid0(VALU_DEP_2) | instskip(NEXT) | instid1(VALU_DEP_2)
	v_cmp_ne_u32_e32 vcc_lo, 0x7f00000, v3
                                        ; implicit-def: $vgpr3
	v_cndmask_b32_e32 v1, 0x7e, v1, vcc_lo
; %bb.2729:
	s_and_not1_saveexec_b32 s11, s11
; %bb.2730:
	v_add_f32_e32 v1, 0x46800000, v3
; %bb.2731:
	s_or_b32 exec_lo, exec_lo, s11
                                        ; implicit-def: $vgpr3
.LBB183_2732:
	s_and_not1_saveexec_b32 s10, s10
; %bb.2733:
	v_mov_b32_e32 v1, 0x7f
	v_cmp_lt_u32_e32 vcc_lo, 0x7f800000, v3
	s_delay_alu instid0(VALU_DEP_2)
	v_cndmask_b32_e32 v1, 0x7e, v1, vcc_lo
; %bb.2734:
	s_or_b32 exec_lo, exec_lo, s10
	global_store_b8 v[6:7], v1, off
.LBB183_2735:
	s_mov_b32 s10, 0
.LBB183_2736:
	s_delay_alu instid0(SALU_CYCLE_1)
	s_and_not1_b32 vcc_lo, exec_lo, s10
	s_cbranch_vccnz .LBB183_2746
; %bb.2737:
	s_wait_xcnt 0x0
	v_cndmask_b32_e64 v3, 0, 1.0, s1
	s_mov_b32 s10, exec_lo
                                        ; implicit-def: $vgpr1
	s_delay_alu instid0(VALU_DEP_1)
	v_cmpx_gt_u32_e32 0x47800000, v3
	s_xor_b32 s10, exec_lo, s10
	s_cbranch_execz .LBB183_2743
; %bb.2738:
	s_mov_b32 s11, exec_lo
                                        ; implicit-def: $vgpr1
	v_cmpx_lt_u32_e32 0x387fffff, v3
	s_xor_b32 s11, exec_lo, s11
; %bb.2739:
	v_bfe_u32 v1, v3, 21, 1
	s_delay_alu instid0(VALU_DEP_1) | instskip(NEXT) | instid1(VALU_DEP_1)
	v_add3_u32 v1, v3, v1, 0x80fffff
                                        ; implicit-def: $vgpr3
	v_lshrrev_b32_e32 v1, 21, v1
; %bb.2740:
	s_and_not1_saveexec_b32 s11, s11
; %bb.2741:
	v_add_f32_e32 v1, 0x43000000, v3
; %bb.2742:
	s_or_b32 exec_lo, exec_lo, s11
                                        ; implicit-def: $vgpr3
.LBB183_2743:
	s_and_not1_saveexec_b32 s10, s10
; %bb.2744:
	v_mov_b32_e32 v1, 0x7f
	v_cmp_lt_u32_e32 vcc_lo, 0x7f800000, v3
	s_delay_alu instid0(VALU_DEP_2)
	v_cndmask_b32_e32 v1, 0x7c, v1, vcc_lo
; %bb.2745:
	s_or_b32 exec_lo, exec_lo, s10
	global_store_b8 v[6:7], v1, off
.LBB183_2746:
	s_mov_b32 s10, 0
	s_mov_b32 s11, -1
.LBB183_2747:
	s_and_not1_b32 vcc_lo, exec_lo, s10
	s_mov_b32 s10, 0
	s_cbranch_vccnz .LBB183_2754
; %bb.2748:
	s_cmp_gt_i32 s7, 14
	s_mov_b32 s10, -1
	s_cbranch_scc0 .LBB183_2752
; %bb.2749:
	s_cmp_eq_u32 s7, 15
	s_mov_b32 s2, -1
	s_cbranch_scc0 .LBB183_2751
; %bb.2750:
	s_wait_xcnt 0x0
	v_cndmask_b32_e64 v1, 0, 1.0, s1
	s_mov_b32 s2, 0
	s_mov_b32 s11, -1
	s_delay_alu instid0(VALU_DEP_1) | instskip(NEXT) | instid1(VALU_DEP_1)
	v_bfe_u32 v3, v1, 16, 1
	v_add3_u32 v1, v1, v3, 0x7fff
	global_store_d16_hi_b16 v[6:7], v1, off
.LBB183_2751:
	s_mov_b32 s10, 0
.LBB183_2752:
	s_delay_alu instid0(SALU_CYCLE_1)
	s_and_b32 vcc_lo, exec_lo, s10
	s_mov_b32 s10, 0
	s_cbranch_vccz .LBB183_2754
; %bb.2753:
	s_cmp_lg_u32 s7, 11
	s_mov_b32 s10, -1
	s_cselect_b32 s2, -1, 0
.LBB183_2754:
	s_delay_alu instid0(SALU_CYCLE_1)
	s_and_b32 vcc_lo, exec_lo, s2
	s_cbranch_vccnz .LBB183_3161
; %bb.2755:
	s_and_not1_b32 vcc_lo, exec_lo, s10
	s_cbranch_vccnz .LBB183_2757
.LBB183_2756:
	s_wait_xcnt 0x0
	v_cndmask_b32_e64 v1, 0, 1, s1
	s_mov_b32 s11, -1
	global_store_b8 v[6:7], v1, off
.LBB183_2757:
.LBB183_2758:
	s_and_not1_b32 vcc_lo, exec_lo, s11
	s_cbranch_vccnz .LBB183_3112
	s_branch .LBB183_2798
.LBB183_2759:
	s_and_b32 vcc_lo, exec_lo, s2
	s_cbranch_vccz .LBB183_2758
; %bb.2760:
	s_and_b32 s2, 0xffff, s6
	s_mov_b32 s7, -1
	s_cmp_lt_i32 s2, 5
	s_cbranch_scc1 .LBB183_2781
; %bb.2761:
	s_cmp_lt_i32 s2, 8
	s_cbranch_scc1 .LBB183_2771
; %bb.2762:
	;; [unrolled: 3-line block ×3, first 2 shown]
	s_cmp_gt_i32 s2, 9
	s_cbranch_scc0 .LBB183_2765
; %bb.2764:
	s_wait_xcnt 0x0
	v_cndmask_b32_e64 v1, 0, 1, s1
	v_mov_b32_e32 v22, 0
	s_mov_b32 s7, 0
	s_delay_alu instid0(VALU_DEP_2) | instskip(NEXT) | instid1(VALU_DEP_2)
	v_cvt_f64_u32_e32 v[20:21], v1
	v_mov_b32_e32 v23, v22
	global_store_b128 v[6:7], v[20:23], off
.LBB183_2765:
	s_and_not1_b32 vcc_lo, exec_lo, s7
	s_cbranch_vccnz .LBB183_2767
; %bb.2766:
	s_wait_xcnt 0x0
	v_cndmask_b32_e64 v8, 0, 1.0, s1
	v_mov_b32_e32 v9, 0
	global_store_b64 v[6:7], v[8:9], off
.LBB183_2767:
	s_mov_b32 s7, 0
.LBB183_2768:
	s_delay_alu instid0(SALU_CYCLE_1)
	s_and_not1_b32 vcc_lo, exec_lo, s7
	s_cbranch_vccnz .LBB183_2770
; %bb.2769:
	s_wait_xcnt 0x0
	v_cndmask_b32_e64 v1, 0, 1.0, s1
	s_delay_alu instid0(VALU_DEP_1) | instskip(NEXT) | instid1(VALU_DEP_1)
	v_cvt_f16_f32_e32 v1, v1
	v_and_b32_e32 v1, 0xffff, v1
	global_store_b32 v[6:7], v1, off
.LBB183_2770:
	s_mov_b32 s7, 0
.LBB183_2771:
	s_delay_alu instid0(SALU_CYCLE_1)
	s_and_not1_b32 vcc_lo, exec_lo, s7
	s_cbranch_vccnz .LBB183_2780
; %bb.2772:
	s_cmp_lt_i32 s2, 6
	s_mov_b32 s7, -1
	s_cbranch_scc1 .LBB183_2778
; %bb.2773:
	s_cmp_gt_i32 s2, 6
	s_cbranch_scc0 .LBB183_2775
; %bb.2774:
	s_wait_xcnt 0x0
	v_cndmask_b32_e64 v1, 0, 1, s1
	s_mov_b32 s7, 0
	s_delay_alu instid0(VALU_DEP_1)
	v_cvt_f64_u32_e32 v[8:9], v1
	global_store_b64 v[6:7], v[8:9], off
.LBB183_2775:
	s_and_not1_b32 vcc_lo, exec_lo, s7
	s_cbranch_vccnz .LBB183_2777
; %bb.2776:
	s_wait_xcnt 0x0
	v_cndmask_b32_e64 v1, 0, 1.0, s1
	global_store_b32 v[6:7], v1, off
.LBB183_2777:
	s_mov_b32 s7, 0
.LBB183_2778:
	s_delay_alu instid0(SALU_CYCLE_1)
	s_and_not1_b32 vcc_lo, exec_lo, s7
	s_cbranch_vccnz .LBB183_2780
; %bb.2779:
	s_wait_xcnt 0x0
	v_cndmask_b32_e64 v1, 0, 1.0, s1
	s_delay_alu instid0(VALU_DEP_1)
	v_cvt_f16_f32_e32 v1, v1
	global_store_b16 v[6:7], v1, off
.LBB183_2780:
	s_mov_b32 s7, 0
.LBB183_2781:
	s_delay_alu instid0(SALU_CYCLE_1)
	s_and_not1_b32 vcc_lo, exec_lo, s7
	s_cbranch_vccnz .LBB183_2797
; %bb.2782:
	s_cmp_lt_i32 s2, 2
	s_mov_b32 s7, -1
	s_cbranch_scc1 .LBB183_2792
; %bb.2783:
	s_cmp_lt_i32 s2, 3
	s_cbranch_scc1 .LBB183_2789
; %bb.2784:
	s_cmp_gt_i32 s2, 3
	s_cbranch_scc0 .LBB183_2786
; %bb.2785:
	s_mov_b32 s7, 0
	s_wait_xcnt 0x0
	v_cndmask_b32_e64 v8, 0, 1, s1
	v_mov_b32_e32 v9, s7
	global_store_b64 v[6:7], v[8:9], off
.LBB183_2786:
	s_and_not1_b32 vcc_lo, exec_lo, s7
	s_cbranch_vccnz .LBB183_2788
; %bb.2787:
	s_wait_xcnt 0x0
	v_cndmask_b32_e64 v1, 0, 1, s1
	global_store_b32 v[6:7], v1, off
.LBB183_2788:
	s_mov_b32 s7, 0
.LBB183_2789:
	s_delay_alu instid0(SALU_CYCLE_1)
	s_and_not1_b32 vcc_lo, exec_lo, s7
	s_cbranch_vccnz .LBB183_2791
; %bb.2790:
	s_wait_xcnt 0x0
	v_cndmask_b32_e64 v1, 0, 1, s1
	global_store_b16 v[6:7], v1, off
.LBB183_2791:
	s_mov_b32 s7, 0
.LBB183_2792:
	s_delay_alu instid0(SALU_CYCLE_1)
	s_and_not1_b32 vcc_lo, exec_lo, s7
	s_cbranch_vccnz .LBB183_2797
; %bb.2793:
	s_wait_xcnt 0x0
	v_cndmask_b32_e64 v1, 0, 1, s1
	s_cmp_gt_i32 s2, 0
	s_mov_b32 s1, -1
	s_cbranch_scc0 .LBB183_2795
; %bb.2794:
	s_mov_b32 s1, 0
	global_store_b8 v[6:7], v1, off
.LBB183_2795:
	s_and_not1_b32 vcc_lo, exec_lo, s1
	s_cbranch_vccnz .LBB183_2797
; %bb.2796:
	global_store_b8 v[6:7], v1, off
.LBB183_2797:
.LBB183_2798:
	v_cmp_eq_f16_e32 vcc_lo, v5, v18
	s_and_b32 s7, 0xffff, s6
	s_delay_alu instid0(SALU_CYCLE_1)
	s_cmp_lt_i32 s7, 11
	s_wait_xcnt 0x0
	v_cndmask_b32_e64 v1, 0, 1, vcc_lo
	v_cmp_neq_f16_e32 vcc_lo, v5, v18
	v_mov_b32_e32 v5, 0
	v_cndmask_b32_e64 v3, 0, 1, vcc_lo
	s_delay_alu instid0(VALU_DEP_2) | instskip(NEXT) | instid1(VALU_DEP_2)
	v_add_nc_u64_e32 v[4:5], s[4:5], v[4:5]
	v_cndmask_b32_e64 v1, v3, v1, s0
	s_delay_alu instid0(VALU_DEP_1) | instskip(NEXT) | instid1(VALU_DEP_1)
	v_and_b32_e32 v1, 1, v1
	v_cmp_eq_u32_e64 s1, 1, v1
	s_cbranch_scc1 .LBB183_2876
; %bb.2799:
	s_mov_b32 s12, -1
	s_mov_b32 s10, 0
	s_cmp_gt_i32 s7, 25
	s_mov_b32 s11, 0
	s_mov_b32 s2, 0
	s_cbranch_scc0 .LBB183_2832
; %bb.2800:
	s_cmp_gt_i32 s7, 28
	s_cbranch_scc0 .LBB183_2815
; %bb.2801:
	s_cmp_gt_i32 s7, 43
	;; [unrolled: 3-line block ×3, first 2 shown]
	s_cbranch_scc0 .LBB183_2805
; %bb.2803:
	s_mov_b32 s2, -1
	s_mov_b32 s12, 0
	s_cmp_eq_u32 s7, 46
	s_cbranch_scc0 .LBB183_2805
; %bb.2804:
	v_cndmask_b32_e64 v1, 0, 1.0, s1
	s_mov_b32 s2, 0
	s_mov_b32 s11, -1
	s_delay_alu instid0(VALU_DEP_1) | instskip(NEXT) | instid1(VALU_DEP_1)
	v_bfe_u32 v3, v1, 16, 1
	v_add3_u32 v1, v1, v3, 0x7fff
	s_delay_alu instid0(VALU_DEP_1)
	v_lshrrev_b32_e32 v1, 16, v1
	global_store_b32 v[4:5], v1, off
.LBB183_2805:
	s_and_b32 vcc_lo, exec_lo, s12
	s_cbranch_vccz .LBB183_2810
; %bb.2806:
	s_cmp_eq_u32 s7, 44
	s_mov_b32 s2, -1
	s_cbranch_scc0 .LBB183_2810
; %bb.2807:
	v_cndmask_b32_e64 v6, 0, 1.0, s1
	v_mov_b32_e32 v3, 0xff
	s_mov_b32 s11, exec_lo
	s_wait_xcnt 0x0
	s_delay_alu instid0(VALU_DEP_2) | instskip(NEXT) | instid1(VALU_DEP_1)
	v_lshrrev_b32_e32 v1, 23, v6
	v_cmpx_ne_u32_e32 0xff, v1
; %bb.2808:
	v_and_b32_e32 v3, 0x400000, v6
	v_and_or_b32 v6, 0x3fffff, v6, v1
	s_delay_alu instid0(VALU_DEP_2) | instskip(NEXT) | instid1(VALU_DEP_2)
	v_cmp_ne_u32_e32 vcc_lo, 0, v3
	v_cmp_ne_u32_e64 s2, 0, v6
	s_and_b32 s2, vcc_lo, s2
	s_delay_alu instid0(SALU_CYCLE_1) | instskip(NEXT) | instid1(VALU_DEP_1)
	v_cndmask_b32_e64 v3, 0, 1, s2
	v_add_nc_u32_e32 v3, v1, v3
; %bb.2809:
	s_or_b32 exec_lo, exec_lo, s11
	s_mov_b32 s2, 0
	s_mov_b32 s11, -1
	global_store_b8 v[4:5], v3, off
.LBB183_2810:
	s_mov_b32 s12, 0
.LBB183_2811:
	s_delay_alu instid0(SALU_CYCLE_1)
	s_and_b32 vcc_lo, exec_lo, s12
	s_cbranch_vccz .LBB183_2814
; %bb.2812:
	s_cmp_eq_u32 s7, 29
	s_mov_b32 s2, -1
	s_cbranch_scc0 .LBB183_2814
; %bb.2813:
	s_mov_b32 s2, 0
	v_cndmask_b32_e64 v6, 0, 1, s1
	v_mov_b32_e32 v7, s2
	s_mov_b32 s11, -1
	global_store_b64 v[4:5], v[6:7], off
.LBB183_2814:
	s_mov_b32 s12, 0
.LBB183_2815:
	s_delay_alu instid0(SALU_CYCLE_1)
	s_and_b32 vcc_lo, exec_lo, s12
	s_cbranch_vccz .LBB183_2831
; %bb.2816:
	s_cmp_lt_i32 s7, 27
	s_mov_b32 s11, -1
	s_cbranch_scc1 .LBB183_2822
; %bb.2817:
	s_cmp_gt_i32 s7, 27
	s_cbranch_scc0 .LBB183_2819
; %bb.2818:
	s_wait_xcnt 0x0
	v_cndmask_b32_e64 v1, 0, 1, s1
	s_mov_b32 s11, 0
	global_store_b32 v[4:5], v1, off
.LBB183_2819:
	s_and_not1_b32 vcc_lo, exec_lo, s11
	s_cbranch_vccnz .LBB183_2821
; %bb.2820:
	s_wait_xcnt 0x0
	v_cndmask_b32_e64 v1, 0, 1, s1
	global_store_b16 v[4:5], v1, off
.LBB183_2821:
	s_mov_b32 s11, 0
.LBB183_2822:
	s_delay_alu instid0(SALU_CYCLE_1)
	s_and_not1_b32 vcc_lo, exec_lo, s11
	s_cbranch_vccnz .LBB183_2830
; %bb.2823:
	s_wait_xcnt 0x0
	v_cndmask_b32_e64 v3, 0, 1.0, s1
	v_mov_b32_e32 v6, 0x80
	s_mov_b32 s11, exec_lo
	s_delay_alu instid0(VALU_DEP_2)
	v_cmpx_gt_u32_e32 0x43800000, v3
	s_cbranch_execz .LBB183_2829
; %bb.2824:
	s_mov_b32 s12, 0
	s_mov_b32 s13, exec_lo
                                        ; implicit-def: $vgpr1
	v_cmpx_lt_u32_e32 0x3bffffff, v3
	s_xor_b32 s13, exec_lo, s13
	s_cbranch_execz .LBB183_3164
; %bb.2825:
	v_bfe_u32 v1, v3, 20, 1
	s_mov_b32 s12, exec_lo
	s_delay_alu instid0(VALU_DEP_1) | instskip(NEXT) | instid1(VALU_DEP_1)
	v_add3_u32 v1, v3, v1, 0x487ffff
                                        ; implicit-def: $vgpr3
	v_lshrrev_b32_e32 v1, 20, v1
	s_and_not1_saveexec_b32 s13, s13
	s_cbranch_execnz .LBB183_3165
.LBB183_2826:
	s_or_b32 exec_lo, exec_lo, s13
	v_mov_b32_e32 v6, 0
	s_and_saveexec_b32 s13, s12
.LBB183_2827:
	v_mov_b32_e32 v6, v1
.LBB183_2828:
	s_or_b32 exec_lo, exec_lo, s13
.LBB183_2829:
	s_delay_alu instid0(SALU_CYCLE_1)
	s_or_b32 exec_lo, exec_lo, s11
	global_store_b8 v[4:5], v6, off
.LBB183_2830:
	s_mov_b32 s11, -1
.LBB183_2831:
	s_mov_b32 s12, 0
.LBB183_2832:
	s_delay_alu instid0(SALU_CYCLE_1)
	s_and_b32 vcc_lo, exec_lo, s12
	s_cbranch_vccz .LBB183_2872
; %bb.2833:
	s_cmp_gt_i32 s7, 22
	s_mov_b32 s10, -1
	s_cbranch_scc0 .LBB183_2865
; %bb.2834:
	s_cmp_lt_i32 s7, 24
	s_cbranch_scc1 .LBB183_2854
; %bb.2835:
	s_cmp_gt_i32 s7, 24
	s_cbranch_scc0 .LBB183_2843
; %bb.2836:
	s_wait_xcnt 0x0
	v_cndmask_b32_e64 v3, 0, 1.0, s1
	v_mov_b32_e32 v6, 0x80
	s_mov_b32 s10, exec_lo
	s_delay_alu instid0(VALU_DEP_2)
	v_cmpx_gt_u32_e32 0x47800000, v3
	s_cbranch_execz .LBB183_2842
; %bb.2837:
	s_mov_b32 s11, 0
	s_mov_b32 s12, exec_lo
                                        ; implicit-def: $vgpr1
	v_cmpx_lt_u32_e32 0x37ffffff, v3
	s_xor_b32 s12, exec_lo, s12
	s_cbranch_execz .LBB183_3167
; %bb.2838:
	v_bfe_u32 v1, v3, 21, 1
	s_mov_b32 s11, exec_lo
	s_delay_alu instid0(VALU_DEP_1) | instskip(NEXT) | instid1(VALU_DEP_1)
	v_add3_u32 v1, v3, v1, 0x88fffff
                                        ; implicit-def: $vgpr3
	v_lshrrev_b32_e32 v1, 21, v1
	s_and_not1_saveexec_b32 s12, s12
	s_cbranch_execnz .LBB183_3168
.LBB183_2839:
	s_or_b32 exec_lo, exec_lo, s12
	v_mov_b32_e32 v6, 0
	s_and_saveexec_b32 s12, s11
.LBB183_2840:
	v_mov_b32_e32 v6, v1
.LBB183_2841:
	s_or_b32 exec_lo, exec_lo, s12
.LBB183_2842:
	s_delay_alu instid0(SALU_CYCLE_1)
	s_or_b32 exec_lo, exec_lo, s10
	s_mov_b32 s10, 0
	global_store_b8 v[4:5], v6, off
.LBB183_2843:
	s_and_b32 vcc_lo, exec_lo, s10
	s_cbranch_vccz .LBB183_2853
; %bb.2844:
	s_wait_xcnt 0x0
	v_cndmask_b32_e64 v3, 0, 1.0, s1
	s_mov_b32 s10, exec_lo
                                        ; implicit-def: $vgpr1
	s_delay_alu instid0(VALU_DEP_1)
	v_cmpx_gt_u32_e32 0x43f00000, v3
	s_xor_b32 s10, exec_lo, s10
	s_cbranch_execz .LBB183_2850
; %bb.2845:
	s_mov_b32 s11, exec_lo
                                        ; implicit-def: $vgpr1
	v_cmpx_lt_u32_e32 0x3c7fffff, v3
	s_xor_b32 s11, exec_lo, s11
; %bb.2846:
	v_bfe_u32 v1, v3, 20, 1
	s_delay_alu instid0(VALU_DEP_1) | instskip(NEXT) | instid1(VALU_DEP_1)
	v_add3_u32 v1, v3, v1, 0x407ffff
	v_and_b32_e32 v3, 0xff00000, v1
	v_lshrrev_b32_e32 v1, 20, v1
	s_delay_alu instid0(VALU_DEP_2) | instskip(NEXT) | instid1(VALU_DEP_2)
	v_cmp_ne_u32_e32 vcc_lo, 0x7f00000, v3
                                        ; implicit-def: $vgpr3
	v_cndmask_b32_e32 v1, 0x7e, v1, vcc_lo
; %bb.2847:
	s_and_not1_saveexec_b32 s11, s11
; %bb.2848:
	v_add_f32_e32 v1, 0x46800000, v3
; %bb.2849:
	s_or_b32 exec_lo, exec_lo, s11
                                        ; implicit-def: $vgpr3
.LBB183_2850:
	s_and_not1_saveexec_b32 s10, s10
; %bb.2851:
	v_mov_b32_e32 v1, 0x7f
	v_cmp_lt_u32_e32 vcc_lo, 0x7f800000, v3
	s_delay_alu instid0(VALU_DEP_2)
	v_cndmask_b32_e32 v1, 0x7e, v1, vcc_lo
; %bb.2852:
	s_or_b32 exec_lo, exec_lo, s10
	global_store_b8 v[4:5], v1, off
.LBB183_2853:
	s_mov_b32 s10, 0
.LBB183_2854:
	s_delay_alu instid0(SALU_CYCLE_1)
	s_and_not1_b32 vcc_lo, exec_lo, s10
	s_cbranch_vccnz .LBB183_2864
; %bb.2855:
	s_wait_xcnt 0x0
	v_cndmask_b32_e64 v3, 0, 1.0, s1
	s_mov_b32 s10, exec_lo
                                        ; implicit-def: $vgpr1
	s_delay_alu instid0(VALU_DEP_1)
	v_cmpx_gt_u32_e32 0x47800000, v3
	s_xor_b32 s10, exec_lo, s10
	s_cbranch_execz .LBB183_2861
; %bb.2856:
	s_mov_b32 s11, exec_lo
                                        ; implicit-def: $vgpr1
	v_cmpx_lt_u32_e32 0x387fffff, v3
	s_xor_b32 s11, exec_lo, s11
; %bb.2857:
	v_bfe_u32 v1, v3, 21, 1
	s_delay_alu instid0(VALU_DEP_1) | instskip(NEXT) | instid1(VALU_DEP_1)
	v_add3_u32 v1, v3, v1, 0x80fffff
                                        ; implicit-def: $vgpr3
	v_lshrrev_b32_e32 v1, 21, v1
; %bb.2858:
	s_and_not1_saveexec_b32 s11, s11
; %bb.2859:
	v_add_f32_e32 v1, 0x43000000, v3
; %bb.2860:
	s_or_b32 exec_lo, exec_lo, s11
                                        ; implicit-def: $vgpr3
.LBB183_2861:
	s_and_not1_saveexec_b32 s10, s10
; %bb.2862:
	v_mov_b32_e32 v1, 0x7f
	v_cmp_lt_u32_e32 vcc_lo, 0x7f800000, v3
	s_delay_alu instid0(VALU_DEP_2)
	v_cndmask_b32_e32 v1, 0x7c, v1, vcc_lo
; %bb.2863:
	s_or_b32 exec_lo, exec_lo, s10
	global_store_b8 v[4:5], v1, off
.LBB183_2864:
	s_mov_b32 s10, 0
	s_mov_b32 s11, -1
.LBB183_2865:
	s_and_not1_b32 vcc_lo, exec_lo, s10
	s_mov_b32 s10, 0
	s_cbranch_vccnz .LBB183_2872
; %bb.2866:
	s_cmp_gt_i32 s7, 14
	s_mov_b32 s10, -1
	s_cbranch_scc0 .LBB183_2870
; %bb.2867:
	s_cmp_eq_u32 s7, 15
	s_mov_b32 s2, -1
	s_cbranch_scc0 .LBB183_2869
; %bb.2868:
	s_wait_xcnt 0x0
	v_cndmask_b32_e64 v1, 0, 1.0, s1
	s_mov_b32 s2, 0
	s_mov_b32 s11, -1
	s_delay_alu instid0(VALU_DEP_1) | instskip(NEXT) | instid1(VALU_DEP_1)
	v_bfe_u32 v3, v1, 16, 1
	v_add3_u32 v1, v1, v3, 0x7fff
	global_store_d16_hi_b16 v[4:5], v1, off
.LBB183_2869:
	s_mov_b32 s10, 0
.LBB183_2870:
	s_delay_alu instid0(SALU_CYCLE_1)
	s_and_b32 vcc_lo, exec_lo, s10
	s_mov_b32 s10, 0
	s_cbranch_vccz .LBB183_2872
; %bb.2871:
	s_cmp_lg_u32 s7, 11
	s_mov_b32 s10, -1
	s_cselect_b32 s2, -1, 0
.LBB183_2872:
	s_delay_alu instid0(SALU_CYCLE_1)
	s_and_b32 vcc_lo, exec_lo, s2
	s_cbranch_vccnz .LBB183_3166
; %bb.2873:
	s_and_not1_b32 vcc_lo, exec_lo, s10
	s_cbranch_vccnz .LBB183_2875
.LBB183_2874:
	s_wait_xcnt 0x0
	v_cndmask_b32_e64 v1, 0, 1, s1
	s_mov_b32 s11, -1
	global_store_b8 v[4:5], v1, off
.LBB183_2875:
	s_mov_b32 s2, 0
	s_branch .LBB183_2877
.LBB183_2876:
	s_mov_b32 s2, -1
	s_mov_b32 s11, 0
.LBB183_2877:
	s_and_b32 vcc_lo, exec_lo, s2
	s_cbranch_vccz .LBB183_2916
; %bb.2878:
	s_cmp_lt_i32 s7, 5
	s_mov_b32 s2, -1
	s_cbranch_scc1 .LBB183_2899
; %bb.2879:
	s_cmp_lt_i32 s7, 8
	s_cbranch_scc1 .LBB183_2889
; %bb.2880:
	s_cmp_lt_i32 s7, 9
	s_cbranch_scc1 .LBB183_2886
; %bb.2881:
	s_cmp_gt_i32 s7, 9
	s_cbranch_scc0 .LBB183_2883
; %bb.2882:
	s_wait_xcnt 0x0
	v_cndmask_b32_e64 v1, 0, 1, s1
	v_mov_b32_e32 v8, 0
	s_mov_b32 s2, 0
	s_delay_alu instid0(VALU_DEP_2) | instskip(NEXT) | instid1(VALU_DEP_2)
	v_cvt_f64_u32_e32 v[6:7], v1
	v_mov_b32_e32 v9, v8
	global_store_b128 v[4:5], v[6:9], off
.LBB183_2883:
	s_and_not1_b32 vcc_lo, exec_lo, s2
	s_cbranch_vccnz .LBB183_2885
; %bb.2884:
	s_wait_xcnt 0x0
	v_cndmask_b32_e64 v6, 0, 1.0, s1
	v_mov_b32_e32 v7, 0
	global_store_b64 v[4:5], v[6:7], off
.LBB183_2885:
	s_mov_b32 s2, 0
.LBB183_2886:
	s_delay_alu instid0(SALU_CYCLE_1)
	s_and_not1_b32 vcc_lo, exec_lo, s2
	s_cbranch_vccnz .LBB183_2888
; %bb.2887:
	s_wait_xcnt 0x0
	v_cndmask_b32_e64 v1, 0, 1.0, s1
	s_delay_alu instid0(VALU_DEP_1) | instskip(NEXT) | instid1(VALU_DEP_1)
	v_cvt_f16_f32_e32 v1, v1
	v_and_b32_e32 v1, 0xffff, v1
	global_store_b32 v[4:5], v1, off
.LBB183_2888:
	s_mov_b32 s2, 0
.LBB183_2889:
	s_delay_alu instid0(SALU_CYCLE_1)
	s_and_not1_b32 vcc_lo, exec_lo, s2
	s_cbranch_vccnz .LBB183_2898
; %bb.2890:
	s_cmp_lt_i32 s7, 6
	s_mov_b32 s2, -1
	s_cbranch_scc1 .LBB183_2896
; %bb.2891:
	s_cmp_gt_i32 s7, 6
	s_cbranch_scc0 .LBB183_2893
; %bb.2892:
	s_wait_xcnt 0x0
	v_cndmask_b32_e64 v1, 0, 1, s1
	s_mov_b32 s2, 0
	s_delay_alu instid0(VALU_DEP_1)
	v_cvt_f64_u32_e32 v[6:7], v1
	global_store_b64 v[4:5], v[6:7], off
.LBB183_2893:
	s_and_not1_b32 vcc_lo, exec_lo, s2
	s_cbranch_vccnz .LBB183_2895
; %bb.2894:
	s_wait_xcnt 0x0
	v_cndmask_b32_e64 v1, 0, 1.0, s1
	global_store_b32 v[4:5], v1, off
.LBB183_2895:
	s_mov_b32 s2, 0
.LBB183_2896:
	s_delay_alu instid0(SALU_CYCLE_1)
	s_and_not1_b32 vcc_lo, exec_lo, s2
	s_cbranch_vccnz .LBB183_2898
; %bb.2897:
	s_wait_xcnt 0x0
	v_cndmask_b32_e64 v1, 0, 1.0, s1
	s_delay_alu instid0(VALU_DEP_1)
	v_cvt_f16_f32_e32 v1, v1
	global_store_b16 v[4:5], v1, off
.LBB183_2898:
	s_mov_b32 s2, 0
.LBB183_2899:
	s_delay_alu instid0(SALU_CYCLE_1)
	s_and_not1_b32 vcc_lo, exec_lo, s2
	s_cbranch_vccnz .LBB183_2915
; %bb.2900:
	s_cmp_lt_i32 s7, 2
	s_mov_b32 s2, -1
	s_cbranch_scc1 .LBB183_2910
; %bb.2901:
	s_cmp_lt_i32 s7, 3
	s_cbranch_scc1 .LBB183_2907
; %bb.2902:
	s_cmp_gt_i32 s7, 3
	s_cbranch_scc0 .LBB183_2904
; %bb.2903:
	s_mov_b32 s2, 0
	s_wait_xcnt 0x0
	v_cndmask_b32_e64 v6, 0, 1, s1
	v_mov_b32_e32 v7, s2
	global_store_b64 v[4:5], v[6:7], off
.LBB183_2904:
	s_and_not1_b32 vcc_lo, exec_lo, s2
	s_cbranch_vccnz .LBB183_2906
; %bb.2905:
	s_wait_xcnt 0x0
	v_cndmask_b32_e64 v1, 0, 1, s1
	global_store_b32 v[4:5], v1, off
.LBB183_2906:
	s_mov_b32 s2, 0
.LBB183_2907:
	s_delay_alu instid0(SALU_CYCLE_1)
	s_and_not1_b32 vcc_lo, exec_lo, s2
	s_cbranch_vccnz .LBB183_2909
; %bb.2908:
	s_wait_xcnt 0x0
	v_cndmask_b32_e64 v1, 0, 1, s1
	global_store_b16 v[4:5], v1, off
.LBB183_2909:
	s_mov_b32 s2, 0
.LBB183_2910:
	s_delay_alu instid0(SALU_CYCLE_1)
	s_and_not1_b32 vcc_lo, exec_lo, s2
	s_cbranch_vccnz .LBB183_2915
; %bb.2911:
	s_wait_xcnt 0x0
	v_cndmask_b32_e64 v1, 0, 1, s1
	s_cmp_gt_i32 s7, 0
	s_mov_b32 s1, -1
	s_cbranch_scc0 .LBB183_2913
; %bb.2912:
	s_mov_b32 s1, 0
	global_store_b8 v[4:5], v1, off
.LBB183_2913:
	s_and_not1_b32 vcc_lo, exec_lo, s1
	s_cbranch_vccnz .LBB183_2915
; %bb.2914:
	global_store_b8 v[4:5], v1, off
.LBB183_2915:
	s_mov_b32 s11, -1
.LBB183_2916:
	s_delay_alu instid0(SALU_CYCLE_1)
	s_and_not1_b32 vcc_lo, exec_lo, s11
	s_cbranch_vccnz .LBB183_3112
; %bb.2917:
	v_cmp_eq_f16_e32 vcc_lo, v16, v14
	s_cmp_lt_i32 s7, 11
	s_wait_xcnt 0x0
	v_cndmask_b32_e64 v1, 0, 1, vcc_lo
	v_cmp_neq_f16_e32 vcc_lo, v16, v14
	v_cndmask_b32_e64 v3, 0, 1, vcc_lo
	s_delay_alu instid0(VALU_DEP_1) | instskip(NEXT) | instid1(VALU_DEP_1)
	v_dual_cndmask_b32 v1, v3, v1, s0 :: v_dual_mov_b32 v3, 0
	v_and_b32_e32 v1, 1, v1
	s_delay_alu instid0(VALU_DEP_2) | instskip(NEXT) | instid1(VALU_DEP_2)
	v_add_nc_u64_e32 v[2:3], s[4:5], v[2:3]
	v_cmp_eq_u32_e64 s1, 1, v1
	s_cbranch_scc1 .LBB183_2995
; %bb.2918:
	s_mov_b32 s12, -1
	s_mov_b32 s10, 0
	s_cmp_gt_i32 s7, 25
	s_mov_b32 s11, 0
	s_mov_b32 s2, 0
	s_cbranch_scc0 .LBB183_2951
; %bb.2919:
	s_cmp_gt_i32 s7, 28
	s_cbranch_scc0 .LBB183_2934
; %bb.2920:
	s_cmp_gt_i32 s7, 43
	;; [unrolled: 3-line block ×3, first 2 shown]
	s_cbranch_scc0 .LBB183_2924
; %bb.2922:
	s_mov_b32 s2, -1
	s_mov_b32 s12, 0
	s_cmp_eq_u32 s7, 46
	s_cbranch_scc0 .LBB183_2924
; %bb.2923:
	v_cndmask_b32_e64 v1, 0, 1.0, s1
	s_mov_b32 s2, 0
	s_mov_b32 s11, -1
	s_delay_alu instid0(VALU_DEP_1) | instskip(NEXT) | instid1(VALU_DEP_1)
	v_bfe_u32 v4, v1, 16, 1
	v_add3_u32 v1, v1, v4, 0x7fff
	s_delay_alu instid0(VALU_DEP_1)
	v_lshrrev_b32_e32 v1, 16, v1
	global_store_b32 v[2:3], v1, off
.LBB183_2924:
	s_and_b32 vcc_lo, exec_lo, s12
	s_cbranch_vccz .LBB183_2929
; %bb.2925:
	s_cmp_eq_u32 s7, 44
	s_mov_b32 s2, -1
	s_cbranch_scc0 .LBB183_2929
; %bb.2926:
	v_cndmask_b32_e64 v5, 0, 1.0, s1
	s_mov_b32 s11, exec_lo
	s_wait_xcnt 0x0
	s_delay_alu instid0(VALU_DEP_1) | instskip(NEXT) | instid1(VALU_DEP_1)
	v_dual_mov_b32 v4, 0xff :: v_dual_lshrrev_b32 v1, 23, v5
	v_cmpx_ne_u32_e32 0xff, v1
; %bb.2927:
	v_and_b32_e32 v4, 0x400000, v5
	v_and_or_b32 v5, 0x3fffff, v5, v1
	s_delay_alu instid0(VALU_DEP_2) | instskip(NEXT) | instid1(VALU_DEP_2)
	v_cmp_ne_u32_e32 vcc_lo, 0, v4
	v_cmp_ne_u32_e64 s2, 0, v5
	s_and_b32 s2, vcc_lo, s2
	s_delay_alu instid0(SALU_CYCLE_1) | instskip(NEXT) | instid1(VALU_DEP_1)
	v_cndmask_b32_e64 v4, 0, 1, s2
	v_add_nc_u32_e32 v4, v1, v4
; %bb.2928:
	s_or_b32 exec_lo, exec_lo, s11
	s_mov_b32 s2, 0
	s_mov_b32 s11, -1
	global_store_b8 v[2:3], v4, off
.LBB183_2929:
	s_mov_b32 s12, 0
.LBB183_2930:
	s_delay_alu instid0(SALU_CYCLE_1)
	s_and_b32 vcc_lo, exec_lo, s12
	s_cbranch_vccz .LBB183_2933
; %bb.2931:
	s_cmp_eq_u32 s7, 29
	s_mov_b32 s2, -1
	s_cbranch_scc0 .LBB183_2933
; %bb.2932:
	s_mov_b32 s2, 0
	s_wait_xcnt 0x0
	v_cndmask_b32_e64 v4, 0, 1, s1
	v_mov_b32_e32 v5, s2
	s_mov_b32 s11, -1
	global_store_b64 v[2:3], v[4:5], off
.LBB183_2933:
	s_mov_b32 s12, 0
.LBB183_2934:
	s_delay_alu instid0(SALU_CYCLE_1)
	s_and_b32 vcc_lo, exec_lo, s12
	s_cbranch_vccz .LBB183_2950
; %bb.2935:
	s_cmp_lt_i32 s7, 27
	s_mov_b32 s11, -1
	s_cbranch_scc1 .LBB183_2941
; %bb.2936:
	s_cmp_gt_i32 s7, 27
	s_cbranch_scc0 .LBB183_2938
; %bb.2937:
	s_wait_xcnt 0x0
	v_cndmask_b32_e64 v1, 0, 1, s1
	s_mov_b32 s11, 0
	global_store_b32 v[2:3], v1, off
.LBB183_2938:
	s_and_not1_b32 vcc_lo, exec_lo, s11
	s_cbranch_vccnz .LBB183_2940
; %bb.2939:
	s_wait_xcnt 0x0
	v_cndmask_b32_e64 v1, 0, 1, s1
	global_store_b16 v[2:3], v1, off
.LBB183_2940:
	s_mov_b32 s11, 0
.LBB183_2941:
	s_delay_alu instid0(SALU_CYCLE_1)
	s_and_not1_b32 vcc_lo, exec_lo, s11
	s_cbranch_vccnz .LBB183_2949
; %bb.2942:
	s_wait_xcnt 0x0
	v_cndmask_b32_e64 v4, 0, 1.0, s1
	v_mov_b32_e32 v5, 0x80
	s_mov_b32 s11, exec_lo
	s_delay_alu instid0(VALU_DEP_2)
	v_cmpx_gt_u32_e32 0x43800000, v4
	s_cbranch_execz .LBB183_2948
; %bb.2943:
	s_mov_b32 s12, 0
	s_mov_b32 s13, exec_lo
                                        ; implicit-def: $vgpr1
	v_cmpx_lt_u32_e32 0x3bffffff, v4
	s_xor_b32 s13, exec_lo, s13
	s_cbranch_execz .LBB183_3169
; %bb.2944:
	v_bfe_u32 v1, v4, 20, 1
	s_mov_b32 s12, exec_lo
	s_delay_alu instid0(VALU_DEP_1) | instskip(NEXT) | instid1(VALU_DEP_1)
	v_add3_u32 v1, v4, v1, 0x487ffff
                                        ; implicit-def: $vgpr4
	v_lshrrev_b32_e32 v1, 20, v1
	s_and_not1_saveexec_b32 s13, s13
	s_cbranch_execnz .LBB183_3170
.LBB183_2945:
	s_or_b32 exec_lo, exec_lo, s13
	v_mov_b32_e32 v5, 0
	s_and_saveexec_b32 s13, s12
.LBB183_2946:
	v_mov_b32_e32 v5, v1
.LBB183_2947:
	s_or_b32 exec_lo, exec_lo, s13
.LBB183_2948:
	s_delay_alu instid0(SALU_CYCLE_1)
	s_or_b32 exec_lo, exec_lo, s11
	global_store_b8 v[2:3], v5, off
.LBB183_2949:
	s_mov_b32 s11, -1
.LBB183_2950:
	s_mov_b32 s12, 0
.LBB183_2951:
	s_delay_alu instid0(SALU_CYCLE_1)
	s_and_b32 vcc_lo, exec_lo, s12
	s_cbranch_vccz .LBB183_2991
; %bb.2952:
	s_cmp_gt_i32 s7, 22
	s_mov_b32 s10, -1
	s_cbranch_scc0 .LBB183_2984
; %bb.2953:
	s_cmp_lt_i32 s7, 24
	s_cbranch_scc1 .LBB183_2973
; %bb.2954:
	s_cmp_gt_i32 s7, 24
	s_cbranch_scc0 .LBB183_2962
; %bb.2955:
	s_wait_xcnt 0x0
	v_cndmask_b32_e64 v4, 0, 1.0, s1
	v_mov_b32_e32 v5, 0x80
	s_mov_b32 s10, exec_lo
	s_delay_alu instid0(VALU_DEP_2)
	v_cmpx_gt_u32_e32 0x47800000, v4
	s_cbranch_execz .LBB183_2961
; %bb.2956:
	s_mov_b32 s11, 0
	s_mov_b32 s12, exec_lo
                                        ; implicit-def: $vgpr1
	v_cmpx_lt_u32_e32 0x37ffffff, v4
	s_xor_b32 s12, exec_lo, s12
	s_cbranch_execz .LBB183_3172
; %bb.2957:
	v_bfe_u32 v1, v4, 21, 1
	s_mov_b32 s11, exec_lo
	s_delay_alu instid0(VALU_DEP_1) | instskip(NEXT) | instid1(VALU_DEP_1)
	v_add3_u32 v1, v4, v1, 0x88fffff
                                        ; implicit-def: $vgpr4
	v_lshrrev_b32_e32 v1, 21, v1
	s_and_not1_saveexec_b32 s12, s12
	s_cbranch_execnz .LBB183_3173
.LBB183_2958:
	s_or_b32 exec_lo, exec_lo, s12
	v_mov_b32_e32 v5, 0
	s_and_saveexec_b32 s12, s11
.LBB183_2959:
	v_mov_b32_e32 v5, v1
.LBB183_2960:
	s_or_b32 exec_lo, exec_lo, s12
.LBB183_2961:
	s_delay_alu instid0(SALU_CYCLE_1)
	s_or_b32 exec_lo, exec_lo, s10
	s_mov_b32 s10, 0
	global_store_b8 v[2:3], v5, off
.LBB183_2962:
	s_and_b32 vcc_lo, exec_lo, s10
	s_cbranch_vccz .LBB183_2972
; %bb.2963:
	s_wait_xcnt 0x0
	v_cndmask_b32_e64 v4, 0, 1.0, s1
	s_mov_b32 s10, exec_lo
                                        ; implicit-def: $vgpr1
	s_delay_alu instid0(VALU_DEP_1)
	v_cmpx_gt_u32_e32 0x43f00000, v4
	s_xor_b32 s10, exec_lo, s10
	s_cbranch_execz .LBB183_2969
; %bb.2964:
	s_mov_b32 s11, exec_lo
                                        ; implicit-def: $vgpr1
	v_cmpx_lt_u32_e32 0x3c7fffff, v4
	s_xor_b32 s11, exec_lo, s11
; %bb.2965:
	v_bfe_u32 v1, v4, 20, 1
	s_delay_alu instid0(VALU_DEP_1) | instskip(NEXT) | instid1(VALU_DEP_1)
	v_add3_u32 v1, v4, v1, 0x407ffff
	v_and_b32_e32 v4, 0xff00000, v1
	v_lshrrev_b32_e32 v1, 20, v1
	s_delay_alu instid0(VALU_DEP_2) | instskip(NEXT) | instid1(VALU_DEP_2)
	v_cmp_ne_u32_e32 vcc_lo, 0x7f00000, v4
                                        ; implicit-def: $vgpr4
	v_cndmask_b32_e32 v1, 0x7e, v1, vcc_lo
; %bb.2966:
	s_and_not1_saveexec_b32 s11, s11
; %bb.2967:
	v_add_f32_e32 v1, 0x46800000, v4
; %bb.2968:
	s_or_b32 exec_lo, exec_lo, s11
                                        ; implicit-def: $vgpr4
.LBB183_2969:
	s_and_not1_saveexec_b32 s10, s10
; %bb.2970:
	v_mov_b32_e32 v1, 0x7f
	v_cmp_lt_u32_e32 vcc_lo, 0x7f800000, v4
	s_delay_alu instid0(VALU_DEP_2)
	v_cndmask_b32_e32 v1, 0x7e, v1, vcc_lo
; %bb.2971:
	s_or_b32 exec_lo, exec_lo, s10
	global_store_b8 v[2:3], v1, off
.LBB183_2972:
	s_mov_b32 s10, 0
.LBB183_2973:
	s_delay_alu instid0(SALU_CYCLE_1)
	s_and_not1_b32 vcc_lo, exec_lo, s10
	s_cbranch_vccnz .LBB183_2983
; %bb.2974:
	s_wait_xcnt 0x0
	v_cndmask_b32_e64 v4, 0, 1.0, s1
	s_mov_b32 s10, exec_lo
                                        ; implicit-def: $vgpr1
	s_delay_alu instid0(VALU_DEP_1)
	v_cmpx_gt_u32_e32 0x47800000, v4
	s_xor_b32 s10, exec_lo, s10
	s_cbranch_execz .LBB183_2980
; %bb.2975:
	s_mov_b32 s11, exec_lo
                                        ; implicit-def: $vgpr1
	v_cmpx_lt_u32_e32 0x387fffff, v4
	s_xor_b32 s11, exec_lo, s11
; %bb.2976:
	v_bfe_u32 v1, v4, 21, 1
	s_delay_alu instid0(VALU_DEP_1) | instskip(NEXT) | instid1(VALU_DEP_1)
	v_add3_u32 v1, v4, v1, 0x80fffff
                                        ; implicit-def: $vgpr4
	v_lshrrev_b32_e32 v1, 21, v1
; %bb.2977:
	s_and_not1_saveexec_b32 s11, s11
; %bb.2978:
	v_add_f32_e32 v1, 0x43000000, v4
; %bb.2979:
	s_or_b32 exec_lo, exec_lo, s11
                                        ; implicit-def: $vgpr4
.LBB183_2980:
	s_and_not1_saveexec_b32 s10, s10
; %bb.2981:
	v_mov_b32_e32 v1, 0x7f
	v_cmp_lt_u32_e32 vcc_lo, 0x7f800000, v4
	s_delay_alu instid0(VALU_DEP_2)
	v_cndmask_b32_e32 v1, 0x7c, v1, vcc_lo
; %bb.2982:
	s_or_b32 exec_lo, exec_lo, s10
	global_store_b8 v[2:3], v1, off
.LBB183_2983:
	s_mov_b32 s10, 0
	s_mov_b32 s11, -1
.LBB183_2984:
	s_and_not1_b32 vcc_lo, exec_lo, s10
	s_mov_b32 s10, 0
	s_cbranch_vccnz .LBB183_2991
; %bb.2985:
	s_cmp_gt_i32 s7, 14
	s_mov_b32 s10, -1
	s_cbranch_scc0 .LBB183_2989
; %bb.2986:
	s_cmp_eq_u32 s7, 15
	s_mov_b32 s2, -1
	s_cbranch_scc0 .LBB183_2988
; %bb.2987:
	s_wait_xcnt 0x0
	v_cndmask_b32_e64 v1, 0, 1.0, s1
	s_mov_b32 s2, 0
	s_mov_b32 s11, -1
	s_delay_alu instid0(VALU_DEP_1) | instskip(NEXT) | instid1(VALU_DEP_1)
	v_bfe_u32 v4, v1, 16, 1
	v_add3_u32 v1, v1, v4, 0x7fff
	global_store_d16_hi_b16 v[2:3], v1, off
.LBB183_2988:
	s_mov_b32 s10, 0
.LBB183_2989:
	s_delay_alu instid0(SALU_CYCLE_1)
	s_and_b32 vcc_lo, exec_lo, s10
	s_mov_b32 s10, 0
	s_cbranch_vccz .LBB183_2991
; %bb.2990:
	s_cmp_lg_u32 s7, 11
	s_mov_b32 s10, -1
	s_cselect_b32 s2, -1, 0
.LBB183_2991:
	s_delay_alu instid0(SALU_CYCLE_1)
	s_and_b32 vcc_lo, exec_lo, s2
	s_cbranch_vccnz .LBB183_3171
; %bb.2992:
	s_and_not1_b32 vcc_lo, exec_lo, s10
	s_cbranch_vccnz .LBB183_2994
.LBB183_2993:
	s_wait_xcnt 0x0
	v_cndmask_b32_e64 v1, 0, 1, s1
	s_mov_b32 s11, -1
	global_store_b8 v[2:3], v1, off
.LBB183_2994:
	s_mov_b32 s2, 0
	s_branch .LBB183_2996
.LBB183_2995:
	s_mov_b32 s2, -1
	s_mov_b32 s11, 0
.LBB183_2996:
	s_and_b32 vcc_lo, exec_lo, s2
	s_cbranch_vccz .LBB183_3035
; %bb.2997:
	s_cmp_lt_i32 s7, 5
	s_mov_b32 s2, -1
	s_cbranch_scc1 .LBB183_3018
; %bb.2998:
	s_cmp_lt_i32 s7, 8
	s_cbranch_scc1 .LBB183_3008
; %bb.2999:
	s_cmp_lt_i32 s7, 9
	s_cbranch_scc1 .LBB183_3005
; %bb.3000:
	s_cmp_gt_i32 s7, 9
	s_cbranch_scc0 .LBB183_3002
; %bb.3001:
	s_wait_xcnt 0x0
	v_cndmask_b32_e64 v1, 0, 1, s1
	v_mov_b32_e32 v6, 0
	s_mov_b32 s2, 0
	s_delay_alu instid0(VALU_DEP_2) | instskip(NEXT) | instid1(VALU_DEP_2)
	v_cvt_f64_u32_e32 v[4:5], v1
	v_mov_b32_e32 v7, v6
	global_store_b128 v[2:3], v[4:7], off
.LBB183_3002:
	s_and_not1_b32 vcc_lo, exec_lo, s2
	s_cbranch_vccnz .LBB183_3004
; %bb.3003:
	s_wait_xcnt 0x0
	v_cndmask_b32_e64 v4, 0, 1.0, s1
	v_mov_b32_e32 v5, 0
	global_store_b64 v[2:3], v[4:5], off
.LBB183_3004:
	s_mov_b32 s2, 0
.LBB183_3005:
	s_delay_alu instid0(SALU_CYCLE_1)
	s_and_not1_b32 vcc_lo, exec_lo, s2
	s_cbranch_vccnz .LBB183_3007
; %bb.3006:
	s_wait_xcnt 0x0
	v_cndmask_b32_e64 v1, 0, 1.0, s1
	s_delay_alu instid0(VALU_DEP_1) | instskip(NEXT) | instid1(VALU_DEP_1)
	v_cvt_f16_f32_e32 v1, v1
	v_and_b32_e32 v1, 0xffff, v1
	global_store_b32 v[2:3], v1, off
.LBB183_3007:
	s_mov_b32 s2, 0
.LBB183_3008:
	s_delay_alu instid0(SALU_CYCLE_1)
	s_and_not1_b32 vcc_lo, exec_lo, s2
	s_cbranch_vccnz .LBB183_3017
; %bb.3009:
	s_cmp_lt_i32 s7, 6
	s_mov_b32 s2, -1
	s_cbranch_scc1 .LBB183_3015
; %bb.3010:
	s_cmp_gt_i32 s7, 6
	s_cbranch_scc0 .LBB183_3012
; %bb.3011:
	s_wait_xcnt 0x0
	v_cndmask_b32_e64 v1, 0, 1, s1
	s_mov_b32 s2, 0
	s_delay_alu instid0(VALU_DEP_1)
	v_cvt_f64_u32_e32 v[4:5], v1
	global_store_b64 v[2:3], v[4:5], off
.LBB183_3012:
	s_and_not1_b32 vcc_lo, exec_lo, s2
	s_cbranch_vccnz .LBB183_3014
; %bb.3013:
	s_wait_xcnt 0x0
	v_cndmask_b32_e64 v1, 0, 1.0, s1
	global_store_b32 v[2:3], v1, off
.LBB183_3014:
	s_mov_b32 s2, 0
.LBB183_3015:
	s_delay_alu instid0(SALU_CYCLE_1)
	s_and_not1_b32 vcc_lo, exec_lo, s2
	s_cbranch_vccnz .LBB183_3017
; %bb.3016:
	s_wait_xcnt 0x0
	v_cndmask_b32_e64 v1, 0, 1.0, s1
	s_delay_alu instid0(VALU_DEP_1)
	v_cvt_f16_f32_e32 v1, v1
	global_store_b16 v[2:3], v1, off
.LBB183_3017:
	s_mov_b32 s2, 0
.LBB183_3018:
	s_delay_alu instid0(SALU_CYCLE_1)
	s_and_not1_b32 vcc_lo, exec_lo, s2
	s_cbranch_vccnz .LBB183_3034
; %bb.3019:
	s_cmp_lt_i32 s7, 2
	s_mov_b32 s2, -1
	s_cbranch_scc1 .LBB183_3029
; %bb.3020:
	s_cmp_lt_i32 s7, 3
	s_cbranch_scc1 .LBB183_3026
; %bb.3021:
	s_cmp_gt_i32 s7, 3
	s_cbranch_scc0 .LBB183_3023
; %bb.3022:
	s_mov_b32 s2, 0
	s_wait_xcnt 0x0
	v_cndmask_b32_e64 v4, 0, 1, s1
	v_mov_b32_e32 v5, s2
	global_store_b64 v[2:3], v[4:5], off
.LBB183_3023:
	s_and_not1_b32 vcc_lo, exec_lo, s2
	s_cbranch_vccnz .LBB183_3025
; %bb.3024:
	s_wait_xcnt 0x0
	v_cndmask_b32_e64 v1, 0, 1, s1
	global_store_b32 v[2:3], v1, off
.LBB183_3025:
	s_mov_b32 s2, 0
.LBB183_3026:
	s_delay_alu instid0(SALU_CYCLE_1)
	s_and_not1_b32 vcc_lo, exec_lo, s2
	s_cbranch_vccnz .LBB183_3028
; %bb.3027:
	s_wait_xcnt 0x0
	v_cndmask_b32_e64 v1, 0, 1, s1
	global_store_b16 v[2:3], v1, off
.LBB183_3028:
	s_mov_b32 s2, 0
.LBB183_3029:
	s_delay_alu instid0(SALU_CYCLE_1)
	s_and_not1_b32 vcc_lo, exec_lo, s2
	s_cbranch_vccnz .LBB183_3034
; %bb.3030:
	s_cmp_gt_i32 s7, 0
	s_mov_b32 s2, -1
	s_cbranch_scc0 .LBB183_3032
; %bb.3031:
	s_wait_xcnt 0x0
	v_cndmask_b32_e64 v1, 0, 1, s1
	s_mov_b32 s2, 0
	global_store_b8 v[2:3], v1, off
.LBB183_3032:
	s_and_not1_b32 vcc_lo, exec_lo, s2
	s_cbranch_vccnz .LBB183_3034
; %bb.3033:
	s_wait_xcnt 0x0
	v_cndmask_b32_e64 v1, 0, 1, s1
	global_store_b8 v[2:3], v1, off
.LBB183_3034:
	s_mov_b32 s11, -1
.LBB183_3035:
	s_delay_alu instid0(SALU_CYCLE_1)
	s_and_not1_b32 vcc_lo, exec_lo, s11
	s_cbranch_vccnz .LBB183_3112
; %bb.3036:
	v_cmp_eq_f16_e32 vcc_lo, v12, v10
	s_cmp_lt_i32 s7, 11
	s_wait_xcnt 0x0
	v_cndmask_b32_e64 v1, 0, 1, vcc_lo
	v_cmp_neq_f16_e32 vcc_lo, v12, v10
	v_cndmask_b32_e64 v2, 0, 1, vcc_lo
	s_delay_alu instid0(VALU_DEP_1) | instskip(NEXT) | instid1(VALU_DEP_1)
	v_dual_cndmask_b32 v2, v2, v1, s0 :: v_dual_mov_b32 v1, 0
	v_and_b32_e32 v4, 1, v2
	s_delay_alu instid0(VALU_DEP_2) | instskip(NEXT) | instid1(VALU_DEP_2)
	v_add_nc_u64_e32 v[2:3], s[4:5], v[0:1]
	v_cmp_eq_u32_e64 s1, 1, v4
	s_cbranch_scc1 .LBB183_3157
; %bb.3037:
	s_mov_b32 s4, -1
	s_mov_b32 s2, 0
	s_cmp_gt_i32 s7, 25
	s_mov_b32 s0, 0
	s_cbranch_scc0 .LBB183_3070
; %bb.3038:
	s_cmp_gt_i32 s7, 28
	s_cbranch_scc0 .LBB183_3054
; %bb.3039:
	s_cmp_gt_i32 s7, 43
	;; [unrolled: 3-line block ×3, first 2 shown]
	s_cbranch_scc0 .LBB183_3044
; %bb.3041:
	s_cmp_eq_u32 s7, 46
	s_mov_b32 s0, -1
	s_cbranch_scc0 .LBB183_3043
; %bb.3042:
	v_cndmask_b32_e64 v0, 0, 1.0, s1
	s_mov_b32 s0, 0
	s_delay_alu instid0(VALU_DEP_1) | instskip(NEXT) | instid1(VALU_DEP_1)
	v_bfe_u32 v1, v0, 16, 1
	v_add3_u32 v0, v0, v1, 0x7fff
	s_delay_alu instid0(VALU_DEP_1)
	v_lshrrev_b32_e32 v0, 16, v0
	global_store_b32 v[2:3], v0, off
.LBB183_3043:
	s_mov_b32 s4, 0
.LBB183_3044:
	s_delay_alu instid0(SALU_CYCLE_1)
	s_and_b32 vcc_lo, exec_lo, s4
	s_cbranch_vccz .LBB183_3049
; %bb.3045:
	s_cmp_eq_u32 s7, 44
	s_mov_b32 s0, -1
	s_cbranch_scc0 .LBB183_3049
; %bb.3046:
	v_cndmask_b32_e64 v4, 0, 1.0, s1
	s_mov_b32 s4, exec_lo
	s_wait_xcnt 0x0
	s_delay_alu instid0(VALU_DEP_1) | instskip(NEXT) | instid1(VALU_DEP_1)
	v_dual_mov_b32 v1, 0xff :: v_dual_lshrrev_b32 v0, 23, v4
	v_cmpx_ne_u32_e32 0xff, v0
; %bb.3047:
	v_and_b32_e32 v1, 0x400000, v4
	v_and_or_b32 v4, 0x3fffff, v4, v0
	s_delay_alu instid0(VALU_DEP_2) | instskip(NEXT) | instid1(VALU_DEP_2)
	v_cmp_ne_u32_e32 vcc_lo, 0, v1
	v_cmp_ne_u32_e64 s0, 0, v4
	s_and_b32 s0, vcc_lo, s0
	s_delay_alu instid0(SALU_CYCLE_1) | instskip(NEXT) | instid1(VALU_DEP_1)
	v_cndmask_b32_e64 v1, 0, 1, s0
	v_add_nc_u32_e32 v1, v0, v1
; %bb.3048:
	s_or_b32 exec_lo, exec_lo, s4
	s_mov_b32 s0, 0
	global_store_b8 v[2:3], v1, off
.LBB183_3049:
	s_mov_b32 s4, 0
.LBB183_3050:
	s_delay_alu instid0(SALU_CYCLE_1)
	s_and_b32 vcc_lo, exec_lo, s4
	s_cbranch_vccz .LBB183_3053
; %bb.3051:
	s_cmp_eq_u32 s7, 29
	s_mov_b32 s0, -1
	s_cbranch_scc0 .LBB183_3053
; %bb.3052:
	s_mov_b32 s0, 0
	s_wait_xcnt 0x0
	v_cndmask_b32_e64 v0, 0, 1, s1
	v_mov_b32_e32 v1, s0
	global_store_b64 v[2:3], v[0:1], off
.LBB183_3053:
	s_mov_b32 s4, 0
.LBB183_3054:
	s_delay_alu instid0(SALU_CYCLE_1)
	s_and_b32 vcc_lo, exec_lo, s4
	s_cbranch_vccz .LBB183_3069
; %bb.3055:
	s_cmp_lt_i32 s7, 27
	s_mov_b32 s4, -1
	s_cbranch_scc1 .LBB183_3061
; %bb.3056:
	s_wait_xcnt 0x0
	v_cndmask_b32_e64 v0, 0, 1, s1
	s_cmp_gt_i32 s7, 27
	s_cbranch_scc0 .LBB183_3058
; %bb.3057:
	s_mov_b32 s4, 0
	global_store_b32 v[2:3], v0, off
.LBB183_3058:
	s_and_not1_b32 vcc_lo, exec_lo, s4
	s_cbranch_vccnz .LBB183_3060
; %bb.3059:
	global_store_b16 v[2:3], v0, off
.LBB183_3060:
	s_mov_b32 s4, 0
.LBB183_3061:
	s_delay_alu instid0(SALU_CYCLE_1)
	s_and_not1_b32 vcc_lo, exec_lo, s4
	s_cbranch_vccnz .LBB183_3069
; %bb.3062:
	s_wait_xcnt 0x0
	v_cndmask_b32_e64 v1, 0, 1.0, s1
	v_mov_b32_e32 v4, 0x80
	s_mov_b32 s4, exec_lo
	s_delay_alu instid0(VALU_DEP_2)
	v_cmpx_gt_u32_e32 0x43800000, v1
	s_cbranch_execz .LBB183_3068
; %bb.3063:
	s_mov_b32 s5, 0
	s_mov_b32 s10, exec_lo
                                        ; implicit-def: $vgpr0
	v_cmpx_lt_u32_e32 0x3bffffff, v1
	s_xor_b32 s10, exec_lo, s10
	s_cbranch_execz .LBB183_3174
; %bb.3064:
	v_bfe_u32 v0, v1, 20, 1
	s_mov_b32 s5, exec_lo
	s_delay_alu instid0(VALU_DEP_1) | instskip(NEXT) | instid1(VALU_DEP_1)
	v_add3_u32 v0, v1, v0, 0x487ffff
                                        ; implicit-def: $vgpr1
	v_lshrrev_b32_e32 v0, 20, v0
	s_and_not1_saveexec_b32 s10, s10
	s_cbranch_execnz .LBB183_3175
.LBB183_3065:
	s_or_b32 exec_lo, exec_lo, s10
	v_mov_b32_e32 v4, 0
	s_and_saveexec_b32 s10, s5
.LBB183_3066:
	v_mov_b32_e32 v4, v0
.LBB183_3067:
	s_or_b32 exec_lo, exec_lo, s10
.LBB183_3068:
	s_delay_alu instid0(SALU_CYCLE_1)
	s_or_b32 exec_lo, exec_lo, s4
	global_store_b8 v[2:3], v4, off
.LBB183_3069:
	s_mov_b32 s4, 0
.LBB183_3070:
	s_delay_alu instid0(SALU_CYCLE_1)
	s_and_b32 vcc_lo, exec_lo, s4
	s_cbranch_vccz .LBB183_3110
; %bb.3071:
	s_cmp_gt_i32 s7, 22
	s_mov_b32 s2, -1
	s_cbranch_scc0 .LBB183_3103
; %bb.3072:
	s_cmp_lt_i32 s7, 24
	s_cbranch_scc1 .LBB183_3092
; %bb.3073:
	s_cmp_gt_i32 s7, 24
	s_cbranch_scc0 .LBB183_3081
; %bb.3074:
	s_wait_xcnt 0x0
	v_cndmask_b32_e64 v1, 0, 1.0, s1
	v_mov_b32_e32 v4, 0x80
	s_mov_b32 s2, exec_lo
	s_delay_alu instid0(VALU_DEP_2)
	v_cmpx_gt_u32_e32 0x47800000, v1
	s_cbranch_execz .LBB183_3080
; %bb.3075:
	s_mov_b32 s4, 0
	s_mov_b32 s5, exec_lo
                                        ; implicit-def: $vgpr0
	v_cmpx_lt_u32_e32 0x37ffffff, v1
	s_xor_b32 s5, exec_lo, s5
	s_cbranch_execz .LBB183_3177
; %bb.3076:
	v_bfe_u32 v0, v1, 21, 1
	s_mov_b32 s4, exec_lo
	s_delay_alu instid0(VALU_DEP_1) | instskip(NEXT) | instid1(VALU_DEP_1)
	v_add3_u32 v0, v1, v0, 0x88fffff
                                        ; implicit-def: $vgpr1
	v_lshrrev_b32_e32 v0, 21, v0
	s_and_not1_saveexec_b32 s5, s5
	s_cbranch_execnz .LBB183_3178
.LBB183_3077:
	s_or_b32 exec_lo, exec_lo, s5
	v_mov_b32_e32 v4, 0
	s_and_saveexec_b32 s5, s4
.LBB183_3078:
	v_mov_b32_e32 v4, v0
.LBB183_3079:
	s_or_b32 exec_lo, exec_lo, s5
.LBB183_3080:
	s_delay_alu instid0(SALU_CYCLE_1)
	s_or_b32 exec_lo, exec_lo, s2
	s_mov_b32 s2, 0
	global_store_b8 v[2:3], v4, off
.LBB183_3081:
	s_and_b32 vcc_lo, exec_lo, s2
	s_cbranch_vccz .LBB183_3091
; %bb.3082:
	s_wait_xcnt 0x0
	v_cndmask_b32_e64 v1, 0, 1.0, s1
	s_mov_b32 s2, exec_lo
                                        ; implicit-def: $vgpr0
	s_delay_alu instid0(VALU_DEP_1)
	v_cmpx_gt_u32_e32 0x43f00000, v1
	s_xor_b32 s2, exec_lo, s2
	s_cbranch_execz .LBB183_3088
; %bb.3083:
	s_mov_b32 s4, exec_lo
                                        ; implicit-def: $vgpr0
	v_cmpx_lt_u32_e32 0x3c7fffff, v1
	s_xor_b32 s4, exec_lo, s4
; %bb.3084:
	v_bfe_u32 v0, v1, 20, 1
	s_delay_alu instid0(VALU_DEP_1) | instskip(NEXT) | instid1(VALU_DEP_1)
	v_add3_u32 v0, v1, v0, 0x407ffff
	v_and_b32_e32 v1, 0xff00000, v0
	v_lshrrev_b32_e32 v0, 20, v0
	s_delay_alu instid0(VALU_DEP_2) | instskip(NEXT) | instid1(VALU_DEP_2)
	v_cmp_ne_u32_e32 vcc_lo, 0x7f00000, v1
                                        ; implicit-def: $vgpr1
	v_cndmask_b32_e32 v0, 0x7e, v0, vcc_lo
; %bb.3085:
	s_and_not1_saveexec_b32 s4, s4
; %bb.3086:
	v_add_f32_e32 v0, 0x46800000, v1
; %bb.3087:
	s_or_b32 exec_lo, exec_lo, s4
                                        ; implicit-def: $vgpr1
.LBB183_3088:
	s_and_not1_saveexec_b32 s2, s2
; %bb.3089:
	v_mov_b32_e32 v0, 0x7f
	v_cmp_lt_u32_e32 vcc_lo, 0x7f800000, v1
	s_delay_alu instid0(VALU_DEP_2)
	v_cndmask_b32_e32 v0, 0x7e, v0, vcc_lo
; %bb.3090:
	s_or_b32 exec_lo, exec_lo, s2
	global_store_b8 v[2:3], v0, off
.LBB183_3091:
	s_mov_b32 s2, 0
.LBB183_3092:
	s_delay_alu instid0(SALU_CYCLE_1)
	s_and_not1_b32 vcc_lo, exec_lo, s2
	s_cbranch_vccnz .LBB183_3102
; %bb.3093:
	s_wait_xcnt 0x0
	v_cndmask_b32_e64 v1, 0, 1.0, s1
	s_mov_b32 s2, exec_lo
                                        ; implicit-def: $vgpr0
	s_delay_alu instid0(VALU_DEP_1)
	v_cmpx_gt_u32_e32 0x47800000, v1
	s_xor_b32 s2, exec_lo, s2
	s_cbranch_execz .LBB183_3099
; %bb.3094:
	s_mov_b32 s4, exec_lo
                                        ; implicit-def: $vgpr0
	v_cmpx_lt_u32_e32 0x387fffff, v1
	s_xor_b32 s4, exec_lo, s4
; %bb.3095:
	v_bfe_u32 v0, v1, 21, 1
	s_delay_alu instid0(VALU_DEP_1) | instskip(NEXT) | instid1(VALU_DEP_1)
	v_add3_u32 v0, v1, v0, 0x80fffff
                                        ; implicit-def: $vgpr1
	v_lshrrev_b32_e32 v0, 21, v0
; %bb.3096:
	s_and_not1_saveexec_b32 s4, s4
; %bb.3097:
	v_add_f32_e32 v0, 0x43000000, v1
; %bb.3098:
	s_or_b32 exec_lo, exec_lo, s4
                                        ; implicit-def: $vgpr1
.LBB183_3099:
	s_and_not1_saveexec_b32 s2, s2
; %bb.3100:
	v_mov_b32_e32 v0, 0x7f
	v_cmp_lt_u32_e32 vcc_lo, 0x7f800000, v1
	s_delay_alu instid0(VALU_DEP_2)
	v_cndmask_b32_e32 v0, 0x7c, v0, vcc_lo
; %bb.3101:
	s_or_b32 exec_lo, exec_lo, s2
	global_store_b8 v[2:3], v0, off
.LBB183_3102:
	s_mov_b32 s2, 0
.LBB183_3103:
	s_delay_alu instid0(SALU_CYCLE_1)
	s_and_not1_b32 vcc_lo, exec_lo, s2
	s_mov_b32 s2, 0
	s_cbranch_vccnz .LBB183_3110
; %bb.3104:
	s_cmp_gt_i32 s7, 14
	s_mov_b32 s2, -1
	s_cbranch_scc0 .LBB183_3108
; %bb.3105:
	s_cmp_eq_u32 s7, 15
	s_mov_b32 s0, -1
	s_cbranch_scc0 .LBB183_3107
; %bb.3106:
	s_wait_xcnt 0x0
	v_cndmask_b32_e64 v0, 0, 1.0, s1
	s_mov_b32 s0, 0
	s_delay_alu instid0(VALU_DEP_1) | instskip(NEXT) | instid1(VALU_DEP_1)
	v_bfe_u32 v1, v0, 16, 1
	v_add3_u32 v0, v0, v1, 0x7fff
	global_store_d16_hi_b16 v[2:3], v0, off
.LBB183_3107:
	s_mov_b32 s2, 0
.LBB183_3108:
	s_delay_alu instid0(SALU_CYCLE_1)
	s_and_b32 vcc_lo, exec_lo, s2
	s_mov_b32 s2, 0
	s_cbranch_vccz .LBB183_3110
; %bb.3109:
	s_cmp_lg_u32 s7, 11
	s_mov_b32 s2, -1
	s_cselect_b32 s0, -1, 0
.LBB183_3110:
	s_delay_alu instid0(SALU_CYCLE_1)
	s_and_b32 vcc_lo, exec_lo, s0
	s_cbranch_vccnz .LBB183_3176
.LBB183_3111:
	s_mov_b32 s0, 0
	s_branch .LBB183_3113
.LBB183_3112:
	s_mov_b32 s0, 0
	s_mov_b32 s2, 0
                                        ; implicit-def: $sgpr1
                                        ; implicit-def: $vgpr2_vgpr3
                                        ; implicit-def: $sgpr6
.LBB183_3113:
	s_and_not1_b32 s3, s3, exec_lo
	s_and_b32 s4, s9, exec_lo
	s_and_b32 s0, s0, exec_lo
	;; [unrolled: 1-line block ×3, first 2 shown]
	s_or_b32 s3, s3, s4
.LBB183_3114:
	s_wait_xcnt 0x0
	s_or_b32 exec_lo, exec_lo, s8
	s_and_saveexec_b32 s2, s3
	s_cbranch_execz .LBB183_3117
; %bb.3115:
	; divergent unreachable
	s_or_b32 exec_lo, exec_lo, s2
	s_and_saveexec_b32 s2, s33
	s_delay_alu instid0(SALU_CYCLE_1)
	s_xor_b32 s2, exec_lo, s2
	s_cbranch_execnz .LBB183_3118
.LBB183_3116:
	s_or_b32 exec_lo, exec_lo, s2
	s_and_saveexec_b32 s2, s0
	s_cbranch_execnz .LBB183_3119
	s_branch .LBB183_3156
.LBB183_3117:
	s_or_b32 exec_lo, exec_lo, s2
	s_and_saveexec_b32 s2, s33
	s_delay_alu instid0(SALU_CYCLE_1)
	s_xor_b32 s2, exec_lo, s2
	s_cbranch_execz .LBB183_3116
.LBB183_3118:
	v_cndmask_b32_e64 v0, 0, 1, s1
	s_wait_loadcnt 0x0
	global_store_b8 v[2:3], v0, off
	s_wait_xcnt 0x0
	s_or_b32 exec_lo, exec_lo, s2
	s_and_saveexec_b32 s2, s0
	s_cbranch_execz .LBB183_3156
.LBB183_3119:
	s_sext_i32_i16 s2, s6
	s_mov_b32 s0, -1
	s_cmp_lt_i32 s2, 5
	s_cbranch_scc1 .LBB183_3140
; %bb.3120:
	s_cmp_lt_i32 s2, 8
	s_cbranch_scc1 .LBB183_3130
; %bb.3121:
	;; [unrolled: 3-line block ×3, first 2 shown]
	s_cmp_gt_i32 s2, 9
	s_cbranch_scc0 .LBB183_3124
; %bb.3123:
	v_cndmask_b32_e64 v0, 0, 1, s1
	v_mov_b32_e32 v6, 0
	s_mov_b32 s0, 0
	s_wait_loadcnt 0x0
	s_delay_alu instid0(VALU_DEP_2) | instskip(NEXT) | instid1(VALU_DEP_2)
	v_cvt_f64_u32_e32 v[4:5], v0
	v_mov_b32_e32 v7, v6
	global_store_b128 v[2:3], v[4:7], off
.LBB183_3124:
	s_and_not1_b32 vcc_lo, exec_lo, s0
	s_cbranch_vccnz .LBB183_3126
; %bb.3125:
	v_cndmask_b32_e64 v0, 0, 1.0, s1
	s_wait_loadcnt 0x0
	v_mov_b32_e32 v1, 0
	global_store_b64 v[2:3], v[0:1], off
.LBB183_3126:
	s_mov_b32 s0, 0
.LBB183_3127:
	s_delay_alu instid0(SALU_CYCLE_1)
	s_and_not1_b32 vcc_lo, exec_lo, s0
	s_cbranch_vccnz .LBB183_3129
; %bb.3128:
	s_wait_xcnt 0x0
	v_cndmask_b32_e64 v0, 0, 1.0, s1
	s_delay_alu instid0(VALU_DEP_1) | instskip(NEXT) | instid1(VALU_DEP_1)
	v_cvt_f16_f32_e32 v0, v0
	v_and_b32_e32 v0, 0xffff, v0
	s_wait_loadcnt 0x0
	global_store_b32 v[2:3], v0, off
.LBB183_3129:
	s_mov_b32 s0, 0
.LBB183_3130:
	s_delay_alu instid0(SALU_CYCLE_1)
	s_and_not1_b32 vcc_lo, exec_lo, s0
	s_cbranch_vccnz .LBB183_3139
; %bb.3131:
	s_sext_i32_i16 s2, s6
	s_mov_b32 s0, -1
	s_cmp_lt_i32 s2, 6
	s_cbranch_scc1 .LBB183_3137
; %bb.3132:
	s_cmp_gt_i32 s2, 6
	s_cbranch_scc0 .LBB183_3134
; %bb.3133:
	s_wait_xcnt 0x0
	v_cndmask_b32_e64 v0, 0, 1, s1
	s_mov_b32 s0, 0
	s_wait_loadcnt 0x0
	s_delay_alu instid0(VALU_DEP_1)
	v_cvt_f64_u32_e32 v[0:1], v0
	global_store_b64 v[2:3], v[0:1], off
.LBB183_3134:
	s_and_not1_b32 vcc_lo, exec_lo, s0
	s_cbranch_vccnz .LBB183_3136
; %bb.3135:
	s_wait_xcnt 0x0
	v_cndmask_b32_e64 v0, 0, 1.0, s1
	s_wait_loadcnt 0x0
	global_store_b32 v[2:3], v0, off
.LBB183_3136:
	s_mov_b32 s0, 0
.LBB183_3137:
	s_delay_alu instid0(SALU_CYCLE_1)
	s_and_not1_b32 vcc_lo, exec_lo, s0
	s_cbranch_vccnz .LBB183_3139
; %bb.3138:
	s_wait_xcnt 0x0
	v_cndmask_b32_e64 v0, 0, 1.0, s1
	s_delay_alu instid0(VALU_DEP_1)
	v_cvt_f16_f32_e32 v0, v0
	s_wait_loadcnt 0x0
	global_store_b16 v[2:3], v0, off
.LBB183_3139:
	s_mov_b32 s0, 0
.LBB183_3140:
	s_delay_alu instid0(SALU_CYCLE_1)
	s_and_not1_b32 vcc_lo, exec_lo, s0
	s_cbranch_vccnz .LBB183_3156
; %bb.3141:
	s_sext_i32_i16 s2, s6
	s_mov_b32 s0, -1
	s_cmp_lt_i32 s2, 2
	s_cbranch_scc1 .LBB183_3151
; %bb.3142:
	s_cmp_lt_i32 s2, 3
	s_cbranch_scc1 .LBB183_3148
; %bb.3143:
	s_cmp_gt_i32 s2, 3
	s_cbranch_scc0 .LBB183_3145
; %bb.3144:
	s_mov_b32 s0, 0
	s_wait_xcnt 0x0
	v_cndmask_b32_e64 v0, 0, 1, s1
	s_wait_loadcnt 0x0
	v_mov_b32_e32 v1, s0
	global_store_b64 v[2:3], v[0:1], off
.LBB183_3145:
	s_and_not1_b32 vcc_lo, exec_lo, s0
	s_cbranch_vccnz .LBB183_3147
; %bb.3146:
	s_wait_xcnt 0x0
	v_cndmask_b32_e64 v0, 0, 1, s1
	s_wait_loadcnt 0x0
	global_store_b32 v[2:3], v0, off
.LBB183_3147:
	s_mov_b32 s0, 0
.LBB183_3148:
	s_delay_alu instid0(SALU_CYCLE_1)
	s_and_not1_b32 vcc_lo, exec_lo, s0
	s_cbranch_vccnz .LBB183_3150
; %bb.3149:
	s_wait_xcnt 0x0
	v_cndmask_b32_e64 v0, 0, 1, s1
	s_wait_loadcnt 0x0
	global_store_b16 v[2:3], v0, off
.LBB183_3150:
	s_mov_b32 s0, 0
.LBB183_3151:
	s_delay_alu instid0(SALU_CYCLE_1)
	s_and_not1_b32 vcc_lo, exec_lo, s0
	s_cbranch_vccnz .LBB183_3156
; %bb.3152:
	s_sext_i32_i16 s0, s6
	s_delay_alu instid0(SALU_CYCLE_1)
	s_cmp_gt_i32 s0, 0
	s_mov_b32 s0, -1
	s_cbranch_scc0 .LBB183_3154
; %bb.3153:
	s_wait_xcnt 0x0
	v_cndmask_b32_e64 v0, 0, 1, s1
	s_mov_b32 s0, 0
	s_wait_loadcnt 0x0
	global_store_b8 v[2:3], v0, off
.LBB183_3154:
	s_and_not1_b32 vcc_lo, exec_lo, s0
	s_cbranch_vccnz .LBB183_3156
; %bb.3155:
	s_wait_xcnt 0x0
	v_cndmask_b32_e64 v0, 0, 1, s1
	s_wait_loadcnt 0x0
	global_store_b8 v[2:3], v0, off
	s_endpgm
.LBB183_3156:
	s_endpgm
.LBB183_3157:
	s_mov_b32 s2, 0
	s_mov_b32 s0, -1
	s_branch .LBB183_3113
.LBB183_3158:
	s_or_b32 s9, s9, exec_lo
	s_trap 2
	s_cbranch_execz .LBB183_2628
	s_branch .LBB183_2629
.LBB183_3159:
	s_and_not1_saveexec_b32 s13, s13
	s_cbranch_execz .LBB183_2708
.LBB183_3160:
	v_add_f32_e32 v1, 0x46000000, v3
	s_and_not1_b32 s12, s12, exec_lo
	s_delay_alu instid0(VALU_DEP_1) | instskip(NEXT) | instid1(VALU_DEP_1)
	v_and_b32_e32 v1, 0xff, v1
	v_cmp_ne_u32_e32 vcc_lo, 0, v1
	s_and_b32 s14, vcc_lo, exec_lo
	s_delay_alu instid0(SALU_CYCLE_1)
	s_or_b32 s12, s12, s14
	s_or_b32 exec_lo, exec_lo, s13
	v_mov_b32_e32 v8, 0
	s_and_saveexec_b32 s13, s12
	s_cbranch_execnz .LBB183_2709
	s_branch .LBB183_2710
.LBB183_3161:
	s_or_b32 s9, s9, exec_lo
	s_trap 2
	s_cbranch_execz .LBB183_2756
	s_branch .LBB183_2757
.LBB183_3162:
	s_and_not1_saveexec_b32 s12, s12
	s_cbranch_execz .LBB183_2721
.LBB183_3163:
	v_add_f32_e32 v1, 0x42800000, v3
	s_and_not1_b32 s11, s11, exec_lo
	s_delay_alu instid0(VALU_DEP_1) | instskip(NEXT) | instid1(VALU_DEP_1)
	v_and_b32_e32 v1, 0xff, v1
	v_cmp_ne_u32_e32 vcc_lo, 0, v1
	s_and_b32 s13, vcc_lo, exec_lo
	s_delay_alu instid0(SALU_CYCLE_1)
	s_or_b32 s11, s11, s13
	s_or_b32 exec_lo, exec_lo, s12
	v_mov_b32_e32 v8, 0
	s_and_saveexec_b32 s12, s11
	s_cbranch_execnz .LBB183_2722
	s_branch .LBB183_2723
.LBB183_3164:
	s_and_not1_saveexec_b32 s13, s13
	s_cbranch_execz .LBB183_2826
.LBB183_3165:
	v_add_f32_e32 v1, 0x46000000, v3
	s_and_not1_b32 s12, s12, exec_lo
	s_delay_alu instid0(VALU_DEP_1) | instskip(NEXT) | instid1(VALU_DEP_1)
	v_and_b32_e32 v1, 0xff, v1
	v_cmp_ne_u32_e32 vcc_lo, 0, v1
	s_and_b32 s14, vcc_lo, exec_lo
	s_delay_alu instid0(SALU_CYCLE_1)
	s_or_b32 s12, s12, s14
	s_or_b32 exec_lo, exec_lo, s13
	v_mov_b32_e32 v6, 0
	s_and_saveexec_b32 s13, s12
	s_cbranch_execnz .LBB183_2827
	s_branch .LBB183_2828
.LBB183_3166:
	s_or_b32 s9, s9, exec_lo
	s_trap 2
	s_cbranch_execz .LBB183_2874
	s_branch .LBB183_2875
.LBB183_3167:
	s_and_not1_saveexec_b32 s12, s12
	s_cbranch_execz .LBB183_2839
.LBB183_3168:
	v_add_f32_e32 v1, 0x42800000, v3
	s_and_not1_b32 s11, s11, exec_lo
	s_delay_alu instid0(VALU_DEP_1) | instskip(NEXT) | instid1(VALU_DEP_1)
	v_and_b32_e32 v1, 0xff, v1
	v_cmp_ne_u32_e32 vcc_lo, 0, v1
	s_and_b32 s13, vcc_lo, exec_lo
	s_delay_alu instid0(SALU_CYCLE_1)
	s_or_b32 s11, s11, s13
	s_or_b32 exec_lo, exec_lo, s12
	v_mov_b32_e32 v6, 0
	s_and_saveexec_b32 s12, s11
	s_cbranch_execnz .LBB183_2840
	s_branch .LBB183_2841
.LBB183_3169:
	s_and_not1_saveexec_b32 s13, s13
	s_cbranch_execz .LBB183_2945
.LBB183_3170:
	v_add_f32_e32 v1, 0x46000000, v4
	s_and_not1_b32 s12, s12, exec_lo
	s_delay_alu instid0(VALU_DEP_1) | instskip(NEXT) | instid1(VALU_DEP_1)
	v_and_b32_e32 v1, 0xff, v1
	v_cmp_ne_u32_e32 vcc_lo, 0, v1
	s_and_b32 s14, vcc_lo, exec_lo
	s_delay_alu instid0(SALU_CYCLE_1)
	s_or_b32 s12, s12, s14
	s_or_b32 exec_lo, exec_lo, s13
	v_mov_b32_e32 v5, 0
	s_and_saveexec_b32 s13, s12
	s_cbranch_execnz .LBB183_2946
	s_branch .LBB183_2947
.LBB183_3171:
	s_or_b32 s9, s9, exec_lo
	s_trap 2
	s_cbranch_execz .LBB183_2993
	s_branch .LBB183_2994
.LBB183_3172:
	s_and_not1_saveexec_b32 s12, s12
	s_cbranch_execz .LBB183_2958
.LBB183_3173:
	v_add_f32_e32 v1, 0x42800000, v4
	s_and_not1_b32 s11, s11, exec_lo
	s_delay_alu instid0(VALU_DEP_1) | instskip(NEXT) | instid1(VALU_DEP_1)
	v_and_b32_e32 v1, 0xff, v1
	v_cmp_ne_u32_e32 vcc_lo, 0, v1
	s_and_b32 s13, vcc_lo, exec_lo
	s_delay_alu instid0(SALU_CYCLE_1)
	s_or_b32 s11, s11, s13
	s_or_b32 exec_lo, exec_lo, s12
	v_mov_b32_e32 v5, 0
	s_and_saveexec_b32 s12, s11
	s_cbranch_execnz .LBB183_2959
	s_branch .LBB183_2960
.LBB183_3174:
	s_and_not1_saveexec_b32 s10, s10
	s_cbranch_execz .LBB183_3065
.LBB183_3175:
	v_add_f32_e32 v0, 0x46000000, v1
	s_and_not1_b32 s5, s5, exec_lo
	s_delay_alu instid0(VALU_DEP_1) | instskip(NEXT) | instid1(VALU_DEP_1)
	v_and_b32_e32 v0, 0xff, v0
	v_cmp_ne_u32_e32 vcc_lo, 0, v0
	s_and_b32 s11, vcc_lo, exec_lo
	s_delay_alu instid0(SALU_CYCLE_1)
	s_or_b32 s5, s5, s11
	s_or_b32 exec_lo, exec_lo, s10
	v_mov_b32_e32 v4, 0
	s_and_saveexec_b32 s10, s5
	s_cbranch_execnz .LBB183_3066
	s_branch .LBB183_3067
.LBB183_3176:
	s_mov_b32 s2, 0
	s_or_b32 s9, s9, exec_lo
	s_trap 2
	s_branch .LBB183_3111
.LBB183_3177:
	s_and_not1_saveexec_b32 s5, s5
	s_cbranch_execz .LBB183_3077
.LBB183_3178:
	v_add_f32_e32 v0, 0x42800000, v1
	s_and_not1_b32 s4, s4, exec_lo
	s_delay_alu instid0(VALU_DEP_1) | instskip(NEXT) | instid1(VALU_DEP_1)
	v_and_b32_e32 v0, 0xff, v0
	v_cmp_ne_u32_e32 vcc_lo, 0, v0
	s_and_b32 s10, vcc_lo, exec_lo
	s_delay_alu instid0(SALU_CYCLE_1)
	s_or_b32 s4, s4, s10
	s_or_b32 exec_lo, exec_lo, s5
	v_mov_b32_e32 v4, 0
	s_and_saveexec_b32 s5, s4
	s_cbranch_execnz .LBB183_3078
	s_branch .LBB183_3079
	.section	.rodata,"a",@progbits
	.p2align	6, 0x0
	.amdhsa_kernel _ZN2at6native32elementwise_kernel_manual_unrollILi128ELi4EZNS0_15gpu_kernel_implINS0_13BinaryFunctorIN3c104HalfES5_bNS0_12_GLOBAL__N_116CompareEqFunctorIS5_EEEEEEvRNS_18TensorIteratorBaseERKT_EUlibE0_EEviT1_
		.amdhsa_group_segment_fixed_size 0
		.amdhsa_private_segment_fixed_size 0
		.amdhsa_kernarg_size 432
		.amdhsa_user_sgpr_count 2
		.amdhsa_user_sgpr_dispatch_ptr 0
		.amdhsa_user_sgpr_queue_ptr 0
		.amdhsa_user_sgpr_kernarg_segment_ptr 1
		.amdhsa_user_sgpr_dispatch_id 0
		.amdhsa_user_sgpr_kernarg_preload_length 0
		.amdhsa_user_sgpr_kernarg_preload_offset 0
		.amdhsa_user_sgpr_private_segment_size 0
		.amdhsa_wavefront_size32 1
		.amdhsa_uses_dynamic_stack 0
		.amdhsa_enable_private_segment 0
		.amdhsa_system_sgpr_workgroup_id_x 1
		.amdhsa_system_sgpr_workgroup_id_y 0
		.amdhsa_system_sgpr_workgroup_id_z 0
		.amdhsa_system_sgpr_workgroup_info 0
		.amdhsa_system_vgpr_workitem_id 0
		.amdhsa_next_free_vgpr 26
		.amdhsa_next_free_sgpr 62
		.amdhsa_named_barrier_count 0
		.amdhsa_reserve_vcc 1
		.amdhsa_float_round_mode_32 0
		.amdhsa_float_round_mode_16_64 0
		.amdhsa_float_denorm_mode_32 3
		.amdhsa_float_denorm_mode_16_64 3
		.amdhsa_fp16_overflow 0
		.amdhsa_memory_ordered 1
		.amdhsa_forward_progress 1
		.amdhsa_inst_pref_size 255
		.amdhsa_round_robin_scheduling 0
		.amdhsa_exception_fp_ieee_invalid_op 0
		.amdhsa_exception_fp_denorm_src 0
		.amdhsa_exception_fp_ieee_div_zero 0
		.amdhsa_exception_fp_ieee_overflow 0
		.amdhsa_exception_fp_ieee_underflow 0
		.amdhsa_exception_fp_ieee_inexact 0
		.amdhsa_exception_int_div_zero 0
	.end_amdhsa_kernel
	.section	.text._ZN2at6native32elementwise_kernel_manual_unrollILi128ELi4EZNS0_15gpu_kernel_implINS0_13BinaryFunctorIN3c104HalfES5_bNS0_12_GLOBAL__N_116CompareEqFunctorIS5_EEEEEEvRNS_18TensorIteratorBaseERKT_EUlibE0_EEviT1_,"axG",@progbits,_ZN2at6native32elementwise_kernel_manual_unrollILi128ELi4EZNS0_15gpu_kernel_implINS0_13BinaryFunctorIN3c104HalfES5_bNS0_12_GLOBAL__N_116CompareEqFunctorIS5_EEEEEEvRNS_18TensorIteratorBaseERKT_EUlibE0_EEviT1_,comdat
.Lfunc_end183:
	.size	_ZN2at6native32elementwise_kernel_manual_unrollILi128ELi4EZNS0_15gpu_kernel_implINS0_13BinaryFunctorIN3c104HalfES5_bNS0_12_GLOBAL__N_116CompareEqFunctorIS5_EEEEEEvRNS_18TensorIteratorBaseERKT_EUlibE0_EEviT1_, .Lfunc_end183-_ZN2at6native32elementwise_kernel_manual_unrollILi128ELi4EZNS0_15gpu_kernel_implINS0_13BinaryFunctorIN3c104HalfES5_bNS0_12_GLOBAL__N_116CompareEqFunctorIS5_EEEEEEvRNS_18TensorIteratorBaseERKT_EUlibE0_EEviT1_
                                        ; -- End function
	.set _ZN2at6native32elementwise_kernel_manual_unrollILi128ELi4EZNS0_15gpu_kernel_implINS0_13BinaryFunctorIN3c104HalfES5_bNS0_12_GLOBAL__N_116CompareEqFunctorIS5_EEEEEEvRNS_18TensorIteratorBaseERKT_EUlibE0_EEviT1_.num_vgpr, 26
	.set _ZN2at6native32elementwise_kernel_manual_unrollILi128ELi4EZNS0_15gpu_kernel_implINS0_13BinaryFunctorIN3c104HalfES5_bNS0_12_GLOBAL__N_116CompareEqFunctorIS5_EEEEEEvRNS_18TensorIteratorBaseERKT_EUlibE0_EEviT1_.num_agpr, 0
	.set _ZN2at6native32elementwise_kernel_manual_unrollILi128ELi4EZNS0_15gpu_kernel_implINS0_13BinaryFunctorIN3c104HalfES5_bNS0_12_GLOBAL__N_116CompareEqFunctorIS5_EEEEEEvRNS_18TensorIteratorBaseERKT_EUlibE0_EEviT1_.numbered_sgpr, 62
	.set _ZN2at6native32elementwise_kernel_manual_unrollILi128ELi4EZNS0_15gpu_kernel_implINS0_13BinaryFunctorIN3c104HalfES5_bNS0_12_GLOBAL__N_116CompareEqFunctorIS5_EEEEEEvRNS_18TensorIteratorBaseERKT_EUlibE0_EEviT1_.num_named_barrier, 0
	.set _ZN2at6native32elementwise_kernel_manual_unrollILi128ELi4EZNS0_15gpu_kernel_implINS0_13BinaryFunctorIN3c104HalfES5_bNS0_12_GLOBAL__N_116CompareEqFunctorIS5_EEEEEEvRNS_18TensorIteratorBaseERKT_EUlibE0_EEviT1_.private_seg_size, 0
	.set _ZN2at6native32elementwise_kernel_manual_unrollILi128ELi4EZNS0_15gpu_kernel_implINS0_13BinaryFunctorIN3c104HalfES5_bNS0_12_GLOBAL__N_116CompareEqFunctorIS5_EEEEEEvRNS_18TensorIteratorBaseERKT_EUlibE0_EEviT1_.uses_vcc, 1
	.set _ZN2at6native32elementwise_kernel_manual_unrollILi128ELi4EZNS0_15gpu_kernel_implINS0_13BinaryFunctorIN3c104HalfES5_bNS0_12_GLOBAL__N_116CompareEqFunctorIS5_EEEEEEvRNS_18TensorIteratorBaseERKT_EUlibE0_EEviT1_.uses_flat_scratch, 0
	.set _ZN2at6native32elementwise_kernel_manual_unrollILi128ELi4EZNS0_15gpu_kernel_implINS0_13BinaryFunctorIN3c104HalfES5_bNS0_12_GLOBAL__N_116CompareEqFunctorIS5_EEEEEEvRNS_18TensorIteratorBaseERKT_EUlibE0_EEviT1_.has_dyn_sized_stack, 0
	.set _ZN2at6native32elementwise_kernel_manual_unrollILi128ELi4EZNS0_15gpu_kernel_implINS0_13BinaryFunctorIN3c104HalfES5_bNS0_12_GLOBAL__N_116CompareEqFunctorIS5_EEEEEEvRNS_18TensorIteratorBaseERKT_EUlibE0_EEviT1_.has_recursion, 0
	.set _ZN2at6native32elementwise_kernel_manual_unrollILi128ELi4EZNS0_15gpu_kernel_implINS0_13BinaryFunctorIN3c104HalfES5_bNS0_12_GLOBAL__N_116CompareEqFunctorIS5_EEEEEEvRNS_18TensorIteratorBaseERKT_EUlibE0_EEviT1_.has_indirect_call, 0
	.section	.AMDGPU.csdata,"",@progbits
; Kernel info:
; codeLenInByte = 68956
; TotalNumSgprs: 64
; NumVgprs: 26
; ScratchSize: 0
; MemoryBound: 0
; FloatMode: 240
; IeeeMode: 1
; LDSByteSize: 0 bytes/workgroup (compile time only)
; SGPRBlocks: 0
; VGPRBlocks: 1
; NumSGPRsForWavesPerEU: 64
; NumVGPRsForWavesPerEU: 26
; NamedBarCnt: 0
; Occupancy: 16
; WaveLimiterHint : 1
; COMPUTE_PGM_RSRC2:SCRATCH_EN: 0
; COMPUTE_PGM_RSRC2:USER_SGPR: 2
; COMPUTE_PGM_RSRC2:TRAP_HANDLER: 0
; COMPUTE_PGM_RSRC2:TGID_X_EN: 1
; COMPUTE_PGM_RSRC2:TGID_Y_EN: 0
; COMPUTE_PGM_RSRC2:TGID_Z_EN: 0
; COMPUTE_PGM_RSRC2:TIDIG_COMP_CNT: 0
	.section	.text._ZN2at6native29vectorized_elementwise_kernelILi16ENS0_13AUnaryFunctorIN3c104HalfES4_bNS0_12_GLOBAL__N_116CompareEqFunctorIS4_EEEESt5arrayIPcLm2EEEEviT0_T1_,"axG",@progbits,_ZN2at6native29vectorized_elementwise_kernelILi16ENS0_13AUnaryFunctorIN3c104HalfES4_bNS0_12_GLOBAL__N_116CompareEqFunctorIS4_EEEESt5arrayIPcLm2EEEEviT0_T1_,comdat
	.globl	_ZN2at6native29vectorized_elementwise_kernelILi16ENS0_13AUnaryFunctorIN3c104HalfES4_bNS0_12_GLOBAL__N_116CompareEqFunctorIS4_EEEESt5arrayIPcLm2EEEEviT0_T1_ ; -- Begin function _ZN2at6native29vectorized_elementwise_kernelILi16ENS0_13AUnaryFunctorIN3c104HalfES4_bNS0_12_GLOBAL__N_116CompareEqFunctorIS4_EEEESt5arrayIPcLm2EEEEviT0_T1_
	.p2align	8
	.type	_ZN2at6native29vectorized_elementwise_kernelILi16ENS0_13AUnaryFunctorIN3c104HalfES4_bNS0_12_GLOBAL__N_116CompareEqFunctorIS4_EEEESt5arrayIPcLm2EEEEviT0_T1_,@function
_ZN2at6native29vectorized_elementwise_kernelILi16ENS0_13AUnaryFunctorIN3c104HalfES4_bNS0_12_GLOBAL__N_116CompareEqFunctorIS4_EEEESt5arrayIPcLm2EEEEviT0_T1_: ; @_ZN2at6native29vectorized_elementwise_kernelILi16ENS0_13AUnaryFunctorIN3c104HalfES4_bNS0_12_GLOBAL__N_116CompareEqFunctorIS4_EEEESt5arrayIPcLm2EEEEviT0_T1_
; %bb.0:
	s_clause 0x1
	s_load_b96 s[8:10], s[0:1], 0x0
	s_load_b128 s[4:7], s[0:1], 0x10
	s_wait_xcnt 0x0
	s_bfe_u32 s0, ttmp6, 0x4000c
	s_and_b32 s1, ttmp6, 15
	s_add_co_i32 s0, s0, 1
	s_getreg_b32 s2, hwreg(HW_REG_IB_STS2, 6, 4)
	s_mul_i32 s0, ttmp9, s0
	s_delay_alu instid0(SALU_CYCLE_1) | instskip(SKIP_2) | instid1(SALU_CYCLE_1)
	s_add_co_i32 s1, s1, s0
	s_cmp_eq_u32 s2, 0
	s_cselect_b32 s0, ttmp9, s1
	s_lshl_b32 s2, s0, 12
	s_mov_b32 s0, -1
	s_wait_kmcnt 0x0
	s_sub_co_i32 s8, s8, s2
	s_delay_alu instid0(SALU_CYCLE_1)
	s_cmp_gt_i32 s8, 0xfff
	s_cbranch_scc0 .LBB184_2
; %bb.1:
	s_ashr_i32 s3, s2, 31
	v_lshlrev_b32_e32 v1, 5, v0
	s_lshl_b64 s[0:1], s[2:3], 1
	s_cmp_eq_u32 s9, 0
	s_add_nc_u64 s[0:1], s[6:7], s[0:1]
	s_add_nc_u64 s[12:13], s[4:5], s[2:3]
	s_clause 0x1
	global_load_b128 v[2:5], v1, s[0:1]
	global_load_b128 v[6:9], v1, s[0:1] offset:16
	s_wait_loadcnt 0x1
	v_cmp_eq_f16_e32 vcc_lo, s10, v2
	s_wait_xcnt 0x0
	v_dual_lshrrev_b32 v1, 16, v2 :: v_dual_lshrrev_b32 v11, 16, v4
	v_dual_lshrrev_b32 v10, 16, v3 :: v_dual_lshrrev_b32 v12, 16, v5
	s_wait_loadcnt 0x0
	v_lshrrev_b32_e32 v13, 16, v6
	v_cndmask_b32_e64 v17, 0, 1, vcc_lo
	v_cmp_neq_f16_e32 vcc_lo, s10, v2
	v_dual_lshrrev_b32 v14, 16, v7 :: v_dual_lshrrev_b32 v15, 16, v8
	v_cmp_eq_f16_e64 s0, s10, v1
	v_cndmask_b32_e64 v2, 0, 1, vcc_lo
	v_cmp_eq_f16_e32 vcc_lo, s10, v3
	v_cndmask_b32_e64 v18, 0, 1, vcc_lo
	v_cmp_neq_f16_e32 vcc_lo, s10, v3
	v_cndmask_b32_e64 v3, 0, 1, vcc_lo
	v_cmp_eq_f16_e32 vcc_lo, s10, v4
	v_lshrrev_b32_e32 v16, 16, v9
	v_cndmask_b32_e64 v19, 0, 1, vcc_lo
	v_cmp_neq_f16_e32 vcc_lo, s10, v4
	v_cndmask_b32_e64 v4, 0, 1, vcc_lo
	v_cmp_eq_f16_e32 vcc_lo, s10, v5
	v_cndmask_b32_e64 v20, 0, 1, vcc_lo
	v_cmp_neq_f16_e32 vcc_lo, s10, v5
	v_cndmask_b32_e64 v5, 0, 1, vcc_lo
	v_cmp_eq_f16_e32 vcc_lo, s10, v6
	;; [unrolled: 4-line block ×5, first 2 shown]
	v_cndmask_b32_e64 v24, 0, 1, vcc_lo
	v_cmp_neq_f16_e32 vcc_lo, s10, v9
	v_cndmask_b32_e64 v9, 0, 1, vcc_lo
	s_cselect_b32 vcc_lo, -1, 0
	s_delay_alu instid0(SALU_CYCLE_1)
	v_dual_cndmask_b32 v2, v2, v17, vcc_lo :: v_dual_cndmask_b32 v4, v4, v19, vcc_lo
	v_cndmask_b32_e64 v17, 0, 1, s0
	v_cmp_neq_f16_e64 s0, s10, v1
	v_dual_cndmask_b32 v3, v3, v18, vcc_lo :: v_dual_cndmask_b32 v5, v5, v20, vcc_lo
	v_dual_cndmask_b32 v6, v6, v21 :: v_dual_cndmask_b32 v7, v7, v22
	v_cndmask_b32_e32 v8, v8, v23, vcc_lo
	s_delay_alu instid0(VALU_DEP_4) | instskip(SKIP_1) | instid1(VALU_DEP_1)
	v_cndmask_b32_e64 v1, 0, 1, s0
	v_cmp_eq_f16_e64 s0, s10, v10
	v_cndmask_b32_e64 v18, 0, 1, s0
	v_cmp_neq_f16_e64 s0, s10, v10
	s_delay_alu instid0(VALU_DEP_1) | instskip(SKIP_1) | instid1(VALU_DEP_2)
	v_cndmask_b32_e64 v10, 0, 1, s0
	v_cmp_eq_f16_e64 s0, s10, v11
	v_dual_cndmask_b32 v9, v9, v24 :: v_dual_cndmask_b32 v10, v10, v18
	s_delay_alu instid0(VALU_DEP_2) | instskip(SKIP_1) | instid1(VALU_DEP_1)
	v_cndmask_b32_e64 v19, 0, 1, s0
	v_cmp_neq_f16_e64 s0, s10, v11
	v_cndmask_b32_e64 v11, 0, 1, s0
	v_cmp_eq_f16_e64 s0, s10, v12
	s_delay_alu instid0(VALU_DEP_2) | instskip(NEXT) | instid1(VALU_DEP_2)
	v_dual_cndmask_b32 v1, v1, v17, vcc_lo :: v_dual_cndmask_b32 v11, v11, v19, vcc_lo
	v_cndmask_b32_e64 v20, 0, 1, s0
	v_cmp_neq_f16_e64 s0, s10, v12
	s_delay_alu instid0(VALU_DEP_3) | instskip(NEXT) | instid1(VALU_DEP_2)
	v_and_b32_e32 v1, 1, v1
	v_cndmask_b32_e64 v12, 0, 1, s0
	v_cmp_eq_f16_e64 s0, s10, v13
	s_delay_alu instid0(VALU_DEP_3) | instskip(NEXT) | instid1(VALU_DEP_2)
	v_lshlrev_b16 v1, 8, v1
	v_cndmask_b32_e64 v21, 0, 1, s0
	v_cmp_neq_f16_e64 s0, s10, v13
	s_delay_alu instid0(VALU_DEP_3) | instskip(NEXT) | instid1(VALU_DEP_2)
	v_bitop3_b16 v1, v2, v1, 1 bitop3:0xec
	v_cndmask_b32_e64 v13, 0, 1, s0
	v_cmp_eq_f16_e64 s0, s10, v14
	v_cndmask_b32_e32 v12, v12, v20, vcc_lo
	s_delay_alu instid0(VALU_DEP_4) | instskip(NEXT) | instid1(VALU_DEP_4)
	v_and_b32_e32 v1, 0xffff, v1
	v_cndmask_b32_e32 v13, v13, v21, vcc_lo
	s_delay_alu instid0(VALU_DEP_4) | instskip(SKIP_2) | instid1(VALU_DEP_4)
	v_cndmask_b32_e64 v22, 0, 1, s0
	v_cmp_neq_f16_e64 s0, s10, v14
	v_and_b32_e32 v12, 1, v12
	v_and_b32_e32 v13, 1, v13
	s_delay_alu instid0(VALU_DEP_3) | instskip(SKIP_1) | instid1(VALU_DEP_4)
	v_cndmask_b32_e64 v14, 0, 1, s0
	v_cmp_eq_f16_e64 s0, s10, v15
	v_lshlrev_b16 v12, 8, v12
	s_delay_alu instid0(VALU_DEP_4) | instskip(NEXT) | instid1(VALU_DEP_3)
	v_lshlrev_b16 v13, 8, v13
	v_cndmask_b32_e64 v23, 0, 1, s0
	v_cmp_neq_f16_e64 s0, s10, v15
	s_delay_alu instid0(VALU_DEP_4) | instskip(SKIP_2) | instid1(VALU_DEP_4)
	v_bitop3_b16 v5, v5, v12, 1 bitop3:0xec
	v_and_b32_e32 v11, 1, v11
	v_bitop3_b16 v6, v6, v13, 1 bitop3:0xec
	v_cndmask_b32_e64 v15, 0, 1, s0
	v_cmp_eq_f16_e64 s0, s10, v16
	v_cndmask_b32_e32 v14, v14, v22, vcc_lo
	s_delay_alu instid0(VALU_DEP_4) | instskip(NEXT) | instid1(VALU_DEP_4)
	v_and_b32_e32 v6, 0xffff, v6
	v_cndmask_b32_e32 v15, v15, v23, vcc_lo
	s_delay_alu instid0(VALU_DEP_4) | instskip(SKIP_2) | instid1(VALU_DEP_2)
	v_cndmask_b32_e64 v24, 0, 1, s0
	v_cmp_neq_f16_e64 s0, s10, v16
	v_and_b32_e32 v14, 1, v14
	v_cndmask_b32_e64 v16, 0, 1, s0
	s_delay_alu instid0(VALU_DEP_2) | instskip(SKIP_1) | instid1(VALU_DEP_2)
	v_lshlrev_b16 v14, 8, v14
	s_mov_b32 s0, 0
	v_cndmask_b32_e32 v16, v16, v24, vcc_lo
	s_delay_alu instid0(VALU_DEP_2) | instskip(NEXT) | instid1(VALU_DEP_1)
	v_bitop3_b16 v7, v7, v14, 1 bitop3:0xec
	v_dual_lshlrev_b32 v7, 16, v7 :: v_dual_bitop2_b32 v16, 1, v16 bitop3:0x40
	s_delay_alu instid0(VALU_DEP_1) | instskip(NEXT) | instid1(VALU_DEP_1)
	v_lshlrev_b16 v16, 8, v16
	v_bitop3_b16 v9, v9, v16, 1 bitop3:0xec
	v_and_b32_e32 v10, 1, v10
	s_delay_alu instid0(VALU_DEP_1) | instskip(NEXT) | instid1(VALU_DEP_1)
	v_lshlrev_b16 v10, 8, v10
	v_bitop3_b16 v2, v3, v10, 1 bitop3:0xec
	v_dual_lshlrev_b32 v10, 16, v5 :: v_dual_bitop2_b32 v15, 1, v15 bitop3:0x40
	v_lshlrev_b16 v11, 8, v11
	s_delay_alu instid0(VALU_DEP_3) | instskip(NEXT) | instid1(VALU_DEP_3)
	v_lshlrev_b32_e32 v2, 16, v2
	v_lshlrev_b16 v15, 8, v15
	s_delay_alu instid0(VALU_DEP_3) | instskip(NEXT) | instid1(VALU_DEP_3)
	v_bitop3_b16 v4, v4, v11, 1 bitop3:0xec
	v_or_b32_e32 v2, v1, v2
	s_delay_alu instid0(VALU_DEP_3) | instskip(NEXT) | instid1(VALU_DEP_1)
	v_bitop3_b16 v8, v8, v15, 1 bitop3:0xec
	v_and_b32_e32 v3, 0xffff, v8
	v_lshlrev_b32_e32 v8, 16, v9
	v_and_b32_e32 v9, 0xffff, v4
	v_or_b32_e32 v4, v6, v7
	s_delay_alu instid0(VALU_DEP_3) | instskip(NEXT) | instid1(VALU_DEP_3)
	v_or_b32_e32 v5, v3, v8
	v_or_b32_e32 v3, v9, v10
	global_store_b128 v0, v[2:5], s[12:13] scale_offset
.LBB184_2:
	s_and_not1_b32 vcc_lo, exec_lo, s0
	s_cbranch_vccnz .LBB184_52
; %bb.3:
	v_cmp_gt_i32_e32 vcc_lo, s8, v0
	v_dual_mov_b32 v9, 0 :: v_dual_bitop2_b32 v1, s2, v0 bitop3:0x54
	s_wait_xcnt 0x0
	v_or_b32_e32 v2, 0x100, v0
	v_dual_mov_b32 v11, 0 :: v_dual_mov_b32 v13, v0
	s_and_saveexec_b32 s0, vcc_lo
	s_cbranch_execz .LBB184_5
; %bb.4:
	global_load_u16 v11, v1, s[6:7] scale_offset
	v_or_b32_e32 v13, 0x100, v0
.LBB184_5:
	s_wait_xcnt 0x0
	s_or_b32 exec_lo, exec_lo, s0
	s_delay_alu instid0(SALU_CYCLE_1) | instskip(NEXT) | instid1(VALU_DEP_1)
	s_mov_b32 s1, exec_lo
	v_cmpx_gt_i32_e64 s8, v13
	s_cbranch_execz .LBB184_7
; %bb.6:
	v_add_nc_u32_e32 v3, s2, v13
	v_add_nc_u32_e32 v13, 0x100, v13
	global_load_u16 v9, v3, s[6:7] scale_offset
.LBB184_7:
	s_wait_xcnt 0x0
	s_or_b32 exec_lo, exec_lo, s1
	v_dual_mov_b32 v4, 0 :: v_dual_mov_b32 v7, 0
	s_mov_b32 s1, exec_lo
	v_cmpx_gt_i32_e64 s8, v13
	s_cbranch_execz .LBB184_9
; %bb.8:
	v_add_nc_u32_e32 v3, s2, v13
	v_add_nc_u32_e32 v13, 0x100, v13
	global_load_u16 v7, v3, s[6:7] scale_offset
.LBB184_9:
	s_wait_xcnt 0x0
	s_or_b32 exec_lo, exec_lo, s1
	s_delay_alu instid0(SALU_CYCLE_1)
	s_mov_b32 s1, exec_lo
	v_cmpx_gt_i32_e64 s8, v13
	s_cbranch_execz .LBB184_11
; %bb.10:
	v_add_nc_u32_e32 v3, s2, v13
	v_add_nc_u32_e32 v13, 0x100, v13
	global_load_u16 v4, v3, s[6:7] scale_offset
.LBB184_11:
	s_wait_xcnt 0x0
	s_or_b32 exec_lo, exec_lo, s1
	v_dual_mov_b32 v14, 0 :: v_dual_mov_b32 v16, 0
	s_mov_b32 s1, exec_lo
	v_cmpx_gt_i32_e64 s8, v13
	s_cbranch_execz .LBB184_13
; %bb.12:
	v_add_nc_u32_e32 v3, s2, v13
	v_add_nc_u32_e32 v13, 0x100, v13
	global_load_u16 v16, v3, s[6:7] scale_offset
.LBB184_13:
	s_wait_xcnt 0x0
	s_or_b32 exec_lo, exec_lo, s1
	s_delay_alu instid0(SALU_CYCLE_1)
	;; [unrolled: 22-line block ×7, first 2 shown]
	s_mov_b32 s1, exec_lo
	v_cmpx_gt_i32_e64 s8, v13
	s_cbranch_execz .LBB184_35
; %bb.34:
	v_add_nc_u32_e32 v12, s2, v13
	global_load_u16 v12, v12, s[6:7] scale_offset
.LBB184_35:
	s_wait_xcnt 0x0
	s_or_b32 exec_lo, exec_lo, s1
	s_wait_loadcnt 0x0
	v_cmp_eq_f16_e64 s0, s10, v11
	v_cmp_eq_f16_e64 s1, s10, v16
	s_cmp_eq_u32 s9, 0
	v_cndmask_b32_e64 v13, 0, 1, s0
	v_cmp_neq_f16_e64 s0, s10, v11
	s_delay_alu instid0(VALU_DEP_1) | instskip(SKIP_1) | instid1(VALU_DEP_1)
	v_cndmask_b32_e64 v11, 0, 1, s0
	v_cmp_eq_f16_e64 s0, s10, v9
	v_cndmask_b32_e64 v20, 0, 1, s0
	v_cmp_neq_f16_e64 s0, s10, v9
	s_delay_alu instid0(VALU_DEP_1) | instskip(SKIP_1) | instid1(SALU_CYCLE_1)
	v_cndmask_b32_e64 v9, 0, 1, s0
	s_cselect_b32 s0, -1, 0
	v_cndmask_b32_e64 v11, v11, v13, s0
	v_cndmask_b32_e64 v13, 0, 1, vcc_lo
	s_delay_alu instid0(VALU_DEP_3) | instskip(SKIP_2) | instid1(VALU_DEP_4)
	v_cndmask_b32_e64 v9, v9, v20, s0
	v_cndmask_b32_e64 v20, 0, 1, s1
	v_cmp_neq_f16_e64 s1, s10, v16
	v_and_b32_e32 v11, v13, v11
	s_delay_alu instid0(VALU_DEP_2) | instskip(SKIP_1) | instid1(VALU_DEP_2)
	v_cndmask_b32_e64 v16, 0, 1, s1
	v_cmp_eq_f16_e64 s1, s10, v14
	v_dual_cndmask_b32 v13, v16, v20, s0 :: v_dual_bitop2_b32 v9, 1, v9 bitop3:0x40
	s_delay_alu instid0(VALU_DEP_2) | instskip(SKIP_2) | instid1(VALU_DEP_4)
	v_cndmask_b32_e64 v16, 0, 1, s1
	v_cmp_neq_f16_e64 s1, s10, v14
	v_or_b32_e32 v20, 0x400, v0
	v_lshlrev_b16 v9, 8, v9
	v_bitop3_b16 v13, v13, 0, 1 bitop3:0xec
	s_delay_alu instid0(VALU_DEP_4) | instskip(SKIP_1) | instid1(VALU_DEP_3)
	v_cndmask_b32_e64 v14, 0, 1, s1
	v_cmp_eq_f16_e64 s1, s10, v7
	v_and_b32_e32 v13, 0xffff, v13
	s_delay_alu instid0(VALU_DEP_3) | instskip(NEXT) | instid1(VALU_DEP_3)
	v_cndmask_b32_e64 v14, v14, v16, s0
	v_cndmask_b32_e64 v16, 0, 1, s1
	v_cmp_neq_f16_e64 s1, s10, v7
	s_delay_alu instid0(VALU_DEP_1) | instskip(SKIP_1) | instid1(VALU_DEP_2)
	v_cndmask_b32_e64 v7, 0, 1, s1
	v_cmp_gt_i32_e64 s1, s8, v20
	v_dual_cndmask_b32 v7, v7, v16, s0 :: v_dual_bitop2_b32 v14, 1, v14 bitop3:0x40
	s_delay_alu instid0(VALU_DEP_2) | instskip(NEXT) | instid1(VALU_DEP_2)
	v_cndmask_b32_e64 v13, 0, v13, s1
	v_lshlrev_b16 v14, 8, v14
	v_cmp_gt_i32_e64 s1, s8, v2
	s_delay_alu instid0(VALU_DEP_2) | instskip(NEXT) | instid1(VALU_DEP_1)
	v_bitop3_b16 v14, v13, v14, 0xff bitop3:0xec
	v_and_b32_e32 v14, 0xffff, v14
	v_or_b32_e32 v9, v11, v9
	s_delay_alu instid0(VALU_DEP_1) | instskip(NEXT) | instid1(VALU_DEP_1)
	v_and_b32_e32 v9, 0xffff, v9
	v_cndmask_b32_e64 v9, v11, v9, s1
	v_cmp_eq_f16_e64 s1, s10, v4
	v_or_b32_e32 v11, 0x500, v0
	s_delay_alu instid0(VALU_DEP_2) | instskip(SKIP_1) | instid1(VALU_DEP_1)
	v_cndmask_b32_e64 v16, 0, 1, s1
	v_cmp_neq_f16_e64 s1, s10, v4
	v_cndmask_b32_e64 v4, 0, 1, s1
	s_delay_alu instid0(VALU_DEP_4) | instskip(NEXT) | instid1(VALU_DEP_1)
	v_cmp_gt_i32_e64 s1, s8, v11
	v_dual_cndmask_b32 v4, v4, v16, s0 :: v_dual_cndmask_b32 v11, v13, v14, s1
	v_cmp_eq_f16_e64 s1, s10, v15
	v_and_b32_e32 v7, 1, v7
	v_or_b32_e32 v13, 0x200, v0
	s_delay_alu instid0(VALU_DEP_4) | instskip(NEXT) | instid1(VALU_DEP_4)
	v_dual_lshrrev_b32 v14, 16, v11 :: v_dual_bitop2_b32 v4, 1, v4 bitop3:0x40
	v_cndmask_b32_e64 v16, 0, 1, s1
	v_cmp_neq_f16_e64 s1, s10, v15
	v_lshl_or_b32 v7, v7, 16, v9
	s_delay_alu instid0(VALU_DEP_4) | instskip(NEXT) | instid1(VALU_DEP_3)
	v_lshlrev_b16 v4, 8, v4
	v_cndmask_b32_e64 v15, 0, 1, s1
	v_cmp_gt_i32_e64 s1, s8, v13
	s_delay_alu instid0(VALU_DEP_1) | instskip(SKIP_2) | instid1(VALU_DEP_2)
	v_dual_cndmask_b32 v13, v15, v16, s0 :: v_dual_cndmask_b32 v7, v9, v7, s1
	v_and_b32_e32 v9, 0xffffff00, v14
	v_cmp_eq_f16_e64 s1, s10, v10
	v_bitop3_b16 v9, v13, v9, 1 bitop3:0xec
	s_delay_alu instid0(VALU_DEP_2) | instskip(SKIP_1) | instid1(VALU_DEP_3)
	v_cndmask_b32_e64 v13, 0, 1, s1
	v_cmp_neq_f16_e64 s1, s10, v10
	v_dual_lshrrev_b32 v14, 16, v7 :: v_dual_lshlrev_b32 v9, 16, v9
	s_delay_alu instid0(VALU_DEP_2) | instskip(SKIP_1) | instid1(VALU_DEP_3)
	v_cndmask_b32_e64 v10, 0, 1, s1
	v_cmp_eq_f16_e64 s1, s10, v6
	v_bitop3_b16 v4, v14, v4, 0xff bitop3:0xec
	v_or_b32_e32 v14, 0x600, v0
	v_and_or_b32 v9, 0xffff, v11, v9
	v_cndmask_b32_e64 v10, v10, v13, s0
	v_cndmask_b32_e64 v15, 0, 1, s1
	v_cmp_eq_f16_e64 s1, s10, v19
	v_lshlrev_b32_e32 v4, 16, v4
	v_or_b32_e32 v13, 0x800, v0
	v_and_b32_e32 v10, 1, v10
	s_delay_alu instid0(VALU_DEP_4) | instskip(SKIP_2) | instid1(VALU_DEP_4)
	v_cndmask_b32_e64 v16, 0, 1, s1
	v_cmp_neq_f16_e64 s1, s10, v19
	v_and_or_b32 v4, 0xffff, v7, v4
	v_lshlrev_b16 v10, 8, v10
	s_delay_alu instid0(VALU_DEP_3) | instskip(SKIP_1) | instid1(VALU_DEP_1)
	v_cndmask_b32_e64 v19, 0, 1, s1
	v_cmp_eq_f16_e64 s1, s10, v18
	v_cndmask_b32_e64 v20, 0, 1, s1
	v_cmp_neq_f16_e64 s1, s10, v18
	s_delay_alu instid0(VALU_DEP_1) | instskip(SKIP_1) | instid1(VALU_DEP_1)
	v_cndmask_b32_e64 v18, 0, 1, s1
	v_cmp_neq_f16_e64 s1, s10, v6
	v_cndmask_b32_e64 v6, 0, 1, s1
	v_cmp_eq_f16_e64 s1, s10, v5
	s_delay_alu instid0(VALU_DEP_2) | instskip(NEXT) | instid1(VALU_DEP_2)
	v_cndmask_b32_e64 v6, v6, v15, s0
	v_cndmask_b32_e64 v21, 0, 1, s1
	v_cmp_neq_f16_e64 s1, s10, v5
	s_delay_alu instid0(VALU_DEP_1) | instskip(NEXT) | instid1(VALU_DEP_1)
	v_cndmask_b32_e64 v5, 0, 1, s1
	v_dual_cndmask_b32 v18, v18, v20, s0 :: v_dual_cndmask_b32 v5, v5, v21, s0
	s_delay_alu instid0(VALU_DEP_1) | instskip(SKIP_1) | instid1(VALU_DEP_3)
	v_dual_cndmask_b32 v16, v19, v16, s0 :: v_dual_bitop2_b32 v18, 1, v18 bitop3:0x40
	v_or_b32_e32 v19, 0xc00, v0
	v_and_b32_e32 v5, 1, v5
	s_delay_alu instid0(VALU_DEP_3) | instskip(NEXT) | instid1(VALU_DEP_3)
	v_and_b32_e32 v16, 1, v16
	v_cmp_gt_i32_e64 s1, s8, v19
	s_delay_alu instid0(VALU_DEP_3) | instskip(NEXT) | instid1(VALU_DEP_2)
	v_lshlrev_b16 v5, 8, v5
	v_cndmask_b32_e64 v15, 0, v16, s1
	v_cmp_gt_i32_e64 s1, s8, v13
	v_lshlrev_b16 v16, 8, v18
	s_delay_alu instid0(VALU_DEP_2) | instskip(SKIP_1) | instid1(VALU_DEP_1)
	v_cndmask_b32_e64 v13, 0, 1, s1
	v_cmp_gt_i32_e64 s1, s8, v14
	v_cndmask_b32_e64 v9, v11, v9, s1
	s_delay_alu instid0(VALU_DEP_4) | instskip(SKIP_1) | instid1(VALU_DEP_2)
	v_bitop3_b16 v11, v15, v16, 0xff bitop3:0xec
	v_cmp_eq_f16_e64 s1, s10, v8
	v_and_b32_e32 v11, 0xffff, v11
	v_and_b32_e32 v6, v13, v6
	v_or_b32_e32 v13, 0xd00, v0
	s_delay_alu instid0(VALU_DEP_4) | instskip(SKIP_1) | instid1(VALU_DEP_1)
	v_cndmask_b32_e64 v14, 0, 1, s1
	v_cmp_neq_f16_e64 s1, s10, v8
	v_cndmask_b32_e64 v8, 0, 1, s1
	s_delay_alu instid0(VALU_DEP_4) | instskip(NEXT) | instid1(VALU_DEP_2)
	v_cmp_gt_i32_e64 s1, s8, v13
	v_dual_lshrrev_b32 v13, 16, v9 :: v_dual_cndmask_b32 v8, v8, v14, s0
	s_delay_alu instid0(VALU_DEP_2) | instskip(SKIP_1) | instid1(VALU_DEP_2)
	v_cndmask_b32_e64 v11, v15, v11, s1
	v_cmp_eq_f16_e64 s1, s10, v17
	v_dual_lshrrev_b32 v14, 16, v11 :: v_dual_bitop2_b32 v5, v6, v5 bitop3:0x54
	s_delay_alu instid0(VALU_DEP_2) | instskip(SKIP_2) | instid1(VALU_DEP_4)
	v_cndmask_b32_e64 v15, 0, 1, s1
	v_cmp_neq_f16_e64 s1, s10, v17
	v_or_b32_e32 v17, 0x900, v0
	v_and_b32_e32 v5, 0xffff, v5
	v_and_b32_e32 v14, 0xffffff00, v14
	s_delay_alu instid0(VALU_DEP_4) | instskip(NEXT) | instid1(VALU_DEP_4)
	v_cndmask_b32_e64 v16, 0, 1, s1
	v_cmp_gt_i32_e64 s1, s8, v17
	s_delay_alu instid0(VALU_DEP_2) | instskip(NEXT) | instid1(VALU_DEP_1)
	v_dual_cndmask_b32 v15, v16, v15, s0 :: v_dual_bitop2_b32 v8, 1, v8 bitop3:0x40
	v_dual_cndmask_b32 v5, v6, v5, s1 :: v_dual_lshlrev_b32 v8, 16, v8
	v_cmp_eq_f16_e64 s1, s10, v3
	v_or_b32_e32 v6, 0xa00, v0
	s_delay_alu instid0(VALU_DEP_4) | instskip(NEXT) | instid1(VALU_DEP_4)
	v_bitop3_b16 v14, v15, v14, 1 bitop3:0xec
	v_and_or_b32 v8, 0x1ff, v5, v8
	s_delay_alu instid0(VALU_DEP_4) | instskip(SKIP_1) | instid1(VALU_DEP_1)
	v_cndmask_b32_e64 v15, 0, 1, s1
	v_cmp_neq_f16_e64 s1, s10, v3
	v_cndmask_b32_e64 v3, 0, 1, s1
	v_cmp_eq_f16_e64 s1, s10, v12
	s_delay_alu instid0(VALU_DEP_2) | instskip(NEXT) | instid1(VALU_DEP_2)
	v_dual_lshlrev_b32 v14, 16, v14 :: v_dual_cndmask_b32 v3, v3, v15, s0
	v_cndmask_b32_e64 v16, 0, 1, s1
	v_cmp_neq_f16_e64 s1, s10, v12
	v_or_b32_e32 v15, 0xe00, v0
	s_delay_alu instid0(VALU_DEP_4) | instskip(SKIP_1) | instid1(VALU_DEP_4)
	v_and_or_b32 v14, 0xffff, v11, v14
	v_and_b32_e32 v3, 1, v3
	v_cndmask_b32_e64 v12, 0, 1, s1
	s_delay_alu instid0(VALU_DEP_2) | instskip(NEXT) | instid1(VALU_DEP_2)
	v_lshlrev_b16 v3, 8, v3
	v_cndmask_b32_e64 v12, v12, v16, s0
	v_cmp_gt_i32_e64 s0, s8, v6
	v_bitop3_b16 v6, v13, v10, 0xff bitop3:0xec
	v_or_b32_e32 v13, 0x300, v0
	s_delay_alu instid0(VALU_DEP_3) | instskip(SKIP_1) | instid1(VALU_DEP_1)
	v_cndmask_b32_e64 v8, v5, v8, s0
	v_cmp_gt_i32_e64 s0, s8, v15
	v_dual_cndmask_b32 v11, v11, v14, s0 :: v_dual_bitop2_b32 v5, 1, v12 bitop3:0x40
	s_delay_alu instid0(VALU_DEP_3) | instskip(SKIP_1) | instid1(VALU_DEP_3)
	v_lshrrev_b32_e32 v10, 16, v8
	v_cmp_gt_i32_e64 s0, s8, v13
	v_lshrrev_b32_e32 v12, 16, v11
	s_delay_alu instid0(VALU_DEP_4) | instskip(NEXT) | instid1(VALU_DEP_4)
	v_lshlrev_b16 v5, 8, v5
	v_bitop3_b16 v3, v10, v3, 0xff bitop3:0xec
	s_delay_alu instid0(VALU_DEP_4) | instskip(SKIP_1) | instid1(VALU_DEP_4)
	v_dual_lshlrev_b32 v10, 16, v6 :: v_dual_cndmask_b32 v6, v7, v4, s0
	v_or_b32_e32 v4, 0x700, v0
	v_bitop3_b16 v5, v12, v5, 0xff bitop3:0xec
	s_delay_alu instid0(VALU_DEP_4) | instskip(NEXT) | instid1(VALU_DEP_4)
	v_lshlrev_b32_e32 v3, 16, v3
	v_and_or_b32 v7, 0xffff, v9, v10
	v_or_b32_e32 v10, 0xb00, v0
	v_cmp_gt_i32_e64 s0, s8, v4
	v_or_b32_e32 v12, 0xf00, v0
	v_and_or_b32 v3, 0xffff, v8, v3
	v_lshlrev_b32_e32 v5, 16, v5
	s_delay_alu instid0(VALU_DEP_1) | instskip(SKIP_2) | instid1(VALU_DEP_1)
	v_and_or_b32 v13, 0xffff, v11, v5
	v_cndmask_b32_e64 v5, v9, v7, s0
	v_cmp_gt_i32_e64 s0, s8, v10
	v_cndmask_b32_e64 v4, v8, v3, s0
	v_cmp_gt_i32_e64 s0, s8, v12
	s_delay_alu instid0(VALU_DEP_1)
	v_cndmask_b32_e64 v3, v11, v13, s0
	s_and_saveexec_b32 s0, vcc_lo
	s_cbranch_execnz .LBB184_53
; %bb.36:
	s_or_b32 exec_lo, exec_lo, s0
	s_delay_alu instid0(SALU_CYCLE_1)
	s_mov_b32 s0, exec_lo
	v_cmpx_gt_i32_e64 s8, v0
	s_cbranch_execnz .LBB184_54
.LBB184_37:
	s_or_b32 exec_lo, exec_lo, s0
	s_delay_alu instid0(SALU_CYCLE_1)
	s_mov_b32 s0, exec_lo
	v_cmpx_gt_i32_e64 s8, v0
	s_cbranch_execnz .LBB184_55
.LBB184_38:
	s_or_b32 exec_lo, exec_lo, s0
	s_delay_alu instid0(SALU_CYCLE_1)
	s_mov_b32 s0, exec_lo
	v_cmpx_gt_i32_e64 s8, v0
	s_cbranch_execnz .LBB184_56
.LBB184_39:
	s_or_b32 exec_lo, exec_lo, s0
	s_delay_alu instid0(SALU_CYCLE_1)
	s_mov_b32 s0, exec_lo
	v_cmpx_gt_i32_e64 s8, v0
	s_cbranch_execnz .LBB184_57
.LBB184_40:
	s_or_b32 exec_lo, exec_lo, s0
	s_delay_alu instid0(SALU_CYCLE_1)
	s_mov_b32 s0, exec_lo
	v_cmpx_gt_i32_e64 s8, v0
	s_cbranch_execnz .LBB184_58
.LBB184_41:
	s_or_b32 exec_lo, exec_lo, s0
	s_delay_alu instid0(SALU_CYCLE_1)
	s_mov_b32 s0, exec_lo
	v_cmpx_gt_i32_e64 s8, v0
	s_cbranch_execnz .LBB184_59
.LBB184_42:
	s_or_b32 exec_lo, exec_lo, s0
	s_delay_alu instid0(SALU_CYCLE_1)
	s_mov_b32 s0, exec_lo
	v_cmpx_gt_i32_e64 s8, v0
	s_cbranch_execnz .LBB184_60
.LBB184_43:
	s_or_b32 exec_lo, exec_lo, s0
	s_delay_alu instid0(SALU_CYCLE_1)
	s_mov_b32 s0, exec_lo
	v_cmpx_gt_i32_e64 s8, v0
	s_cbranch_execnz .LBB184_61
.LBB184_44:
	s_or_b32 exec_lo, exec_lo, s0
	s_delay_alu instid0(SALU_CYCLE_1)
	s_mov_b32 s0, exec_lo
	v_cmpx_gt_i32_e64 s8, v0
	s_cbranch_execnz .LBB184_62
.LBB184_45:
	s_or_b32 exec_lo, exec_lo, s0
	s_delay_alu instid0(SALU_CYCLE_1)
	s_mov_b32 s0, exec_lo
	v_cmpx_gt_i32_e64 s8, v0
	s_cbranch_execnz .LBB184_63
.LBB184_46:
	s_or_b32 exec_lo, exec_lo, s0
	s_delay_alu instid0(SALU_CYCLE_1)
	s_mov_b32 s0, exec_lo
	v_cmpx_gt_i32_e64 s8, v0
	s_cbranch_execnz .LBB184_64
.LBB184_47:
	s_or_b32 exec_lo, exec_lo, s0
	s_delay_alu instid0(SALU_CYCLE_1)
	s_mov_b32 s0, exec_lo
	v_cmpx_gt_i32_e64 s8, v0
	s_cbranch_execnz .LBB184_65
.LBB184_48:
	s_or_b32 exec_lo, exec_lo, s0
	s_delay_alu instid0(SALU_CYCLE_1)
	s_mov_b32 s0, exec_lo
	v_cmpx_gt_i32_e64 s8, v0
	s_cbranch_execnz .LBB184_66
.LBB184_49:
	s_or_b32 exec_lo, exec_lo, s0
	s_delay_alu instid0(SALU_CYCLE_1)
	s_mov_b32 s0, exec_lo
	v_cmpx_gt_i32_e64 s8, v0
	s_cbranch_execnz .LBB184_67
.LBB184_50:
	s_or_b32 exec_lo, exec_lo, s0
	s_delay_alu instid0(SALU_CYCLE_1)
	s_mov_b32 s0, exec_lo
	v_cmpx_gt_i32_e64 s8, v0
	s_cbranch_execz .LBB184_52
.LBB184_51:
	v_dual_lshrrev_b32 v1, 24, v3 :: v_dual_add_nc_u32 v0, s2, v0
	global_store_b8 v0, v1, s[4:5]
.LBB184_52:
	s_endpgm
.LBB184_53:
	v_mov_b32_e32 v0, v2
	global_store_b8 v1, v6, s[4:5]
	s_wait_xcnt 0x0
	s_or_b32 exec_lo, exec_lo, s0
	s_delay_alu instid0(SALU_CYCLE_1)
	s_mov_b32 s0, exec_lo
	v_cmpx_gt_i32_e64 s8, v0
	s_cbranch_execz .LBB184_37
.LBB184_54:
	v_dual_lshrrev_b32 v1, 8, v6 :: v_dual_add_nc_u32 v2, s2, v0
	v_add_nc_u32_e32 v0, 0x100, v0
	global_store_b8 v2, v1, s[4:5]
	s_wait_xcnt 0x0
	s_or_b32 exec_lo, exec_lo, s0
	s_delay_alu instid0(SALU_CYCLE_1)
	s_mov_b32 s0, exec_lo
	v_cmpx_gt_i32_e64 s8, v0
	s_cbranch_execz .LBB184_38
.LBB184_55:
	v_add_nc_u32_e32 v1, s2, v0
	v_add_nc_u32_e32 v0, 0x100, v0
	global_store_d16_hi_b8 v1, v6, s[4:5]
	s_wait_xcnt 0x0
	s_or_b32 exec_lo, exec_lo, s0
	s_delay_alu instid0(SALU_CYCLE_1)
	s_mov_b32 s0, exec_lo
	v_cmpx_gt_i32_e64 s8, v0
	s_cbranch_execz .LBB184_39
.LBB184_56:
	v_dual_lshrrev_b32 v1, 24, v6 :: v_dual_add_nc_u32 v2, s2, v0
	v_add_nc_u32_e32 v0, 0x100, v0
	global_store_b8 v2, v1, s[4:5]
	s_wait_xcnt 0x0
	s_or_b32 exec_lo, exec_lo, s0
	s_delay_alu instid0(SALU_CYCLE_1)
	s_mov_b32 s0, exec_lo
	v_cmpx_gt_i32_e64 s8, v0
	s_cbranch_execz .LBB184_40
.LBB184_57:
	v_add_nc_u32_e32 v1, s2, v0
	v_add_nc_u32_e32 v0, 0x100, v0
	global_store_b8 v1, v5, s[4:5]
	s_wait_xcnt 0x0
	s_or_b32 exec_lo, exec_lo, s0
	s_delay_alu instid0(SALU_CYCLE_1)
	s_mov_b32 s0, exec_lo
	v_cmpx_gt_i32_e64 s8, v0
	s_cbranch_execz .LBB184_41
.LBB184_58:
	v_dual_lshrrev_b32 v1, 8, v5 :: v_dual_add_nc_u32 v2, s2, v0
	v_add_nc_u32_e32 v0, 0x100, v0
	global_store_b8 v2, v1, s[4:5]
	s_wait_xcnt 0x0
	s_or_b32 exec_lo, exec_lo, s0
	s_delay_alu instid0(SALU_CYCLE_1)
	s_mov_b32 s0, exec_lo
	v_cmpx_gt_i32_e64 s8, v0
	s_cbranch_execz .LBB184_42
.LBB184_59:
	v_add_nc_u32_e32 v1, s2, v0
	v_add_nc_u32_e32 v0, 0x100, v0
	global_store_d16_hi_b8 v1, v5, s[4:5]
	s_wait_xcnt 0x0
	s_or_b32 exec_lo, exec_lo, s0
	s_delay_alu instid0(SALU_CYCLE_1)
	s_mov_b32 s0, exec_lo
	v_cmpx_gt_i32_e64 s8, v0
	s_cbranch_execz .LBB184_43
.LBB184_60:
	v_dual_lshrrev_b32 v1, 24, v5 :: v_dual_add_nc_u32 v2, s2, v0
	v_add_nc_u32_e32 v0, 0x100, v0
	global_store_b8 v2, v1, s[4:5]
	s_wait_xcnt 0x0
	s_or_b32 exec_lo, exec_lo, s0
	s_delay_alu instid0(SALU_CYCLE_1)
	s_mov_b32 s0, exec_lo
	v_cmpx_gt_i32_e64 s8, v0
	s_cbranch_execz .LBB184_44
.LBB184_61:
	v_add_nc_u32_e32 v1, s2, v0
	v_add_nc_u32_e32 v0, 0x100, v0
	global_store_b8 v1, v4, s[4:5]
	s_wait_xcnt 0x0
	s_or_b32 exec_lo, exec_lo, s0
	s_delay_alu instid0(SALU_CYCLE_1)
	s_mov_b32 s0, exec_lo
	v_cmpx_gt_i32_e64 s8, v0
	s_cbranch_execz .LBB184_45
.LBB184_62:
	v_lshrrev_b32_e32 v1, 8, v4
	v_add_nc_u32_e32 v2, s2, v0
	v_add_nc_u32_e32 v0, 0x100, v0
	global_store_b8 v2, v1, s[4:5]
	s_wait_xcnt 0x0
	s_or_b32 exec_lo, exec_lo, s0
	s_delay_alu instid0(SALU_CYCLE_1)
	s_mov_b32 s0, exec_lo
	v_cmpx_gt_i32_e64 s8, v0
	s_cbranch_execz .LBB184_46
.LBB184_63:
	v_add_nc_u32_e32 v1, s2, v0
	v_add_nc_u32_e32 v0, 0x100, v0
	global_store_d16_hi_b8 v1, v4, s[4:5]
	s_wait_xcnt 0x0
	s_or_b32 exec_lo, exec_lo, s0
	s_delay_alu instid0(SALU_CYCLE_1)
	s_mov_b32 s0, exec_lo
	v_cmpx_gt_i32_e64 s8, v0
	s_cbranch_execz .LBB184_47
.LBB184_64:
	v_lshrrev_b32_e32 v1, 24, v4
	v_add_nc_u32_e32 v2, s2, v0
	v_add_nc_u32_e32 v0, 0x100, v0
	global_store_b8 v2, v1, s[4:5]
	s_wait_xcnt 0x0
	s_or_b32 exec_lo, exec_lo, s0
	s_delay_alu instid0(SALU_CYCLE_1)
	s_mov_b32 s0, exec_lo
	v_cmpx_gt_i32_e64 s8, v0
	s_cbranch_execz .LBB184_48
.LBB184_65:
	v_add_nc_u32_e32 v1, s2, v0
	v_add_nc_u32_e32 v0, 0x100, v0
	global_store_b8 v1, v3, s[4:5]
	s_wait_xcnt 0x0
	s_or_b32 exec_lo, exec_lo, s0
	s_delay_alu instid0(SALU_CYCLE_1)
	s_mov_b32 s0, exec_lo
	v_cmpx_gt_i32_e64 s8, v0
	s_cbranch_execz .LBB184_49
.LBB184_66:
	v_dual_lshrrev_b32 v1, 8, v3 :: v_dual_add_nc_u32 v2, s2, v0
	v_add_nc_u32_e32 v0, 0x100, v0
	global_store_b8 v2, v1, s[4:5]
	s_wait_xcnt 0x0
	s_or_b32 exec_lo, exec_lo, s0
	s_delay_alu instid0(SALU_CYCLE_1)
	s_mov_b32 s0, exec_lo
	v_cmpx_gt_i32_e64 s8, v0
	s_cbranch_execz .LBB184_50
.LBB184_67:
	v_add_nc_u32_e32 v1, s2, v0
	v_add_nc_u32_e32 v0, 0x100, v0
	global_store_d16_hi_b8 v1, v3, s[4:5]
	s_wait_xcnt 0x0
	s_or_b32 exec_lo, exec_lo, s0
	s_delay_alu instid0(SALU_CYCLE_1)
	s_mov_b32 s0, exec_lo
	v_cmpx_gt_i32_e64 s8, v0
	s_cbranch_execnz .LBB184_51
	s_branch .LBB184_52
	.section	.rodata,"a",@progbits
	.p2align	6, 0x0
	.amdhsa_kernel _ZN2at6native29vectorized_elementwise_kernelILi16ENS0_13AUnaryFunctorIN3c104HalfES4_bNS0_12_GLOBAL__N_116CompareEqFunctorIS4_EEEESt5arrayIPcLm2EEEEviT0_T1_
		.amdhsa_group_segment_fixed_size 0
		.amdhsa_private_segment_fixed_size 0
		.amdhsa_kernarg_size 32
		.amdhsa_user_sgpr_count 2
		.amdhsa_user_sgpr_dispatch_ptr 0
		.amdhsa_user_sgpr_queue_ptr 0
		.amdhsa_user_sgpr_kernarg_segment_ptr 1
		.amdhsa_user_sgpr_dispatch_id 0
		.amdhsa_user_sgpr_kernarg_preload_length 0
		.amdhsa_user_sgpr_kernarg_preload_offset 0
		.amdhsa_user_sgpr_private_segment_size 0
		.amdhsa_wavefront_size32 1
		.amdhsa_uses_dynamic_stack 0
		.amdhsa_enable_private_segment 0
		.amdhsa_system_sgpr_workgroup_id_x 1
		.amdhsa_system_sgpr_workgroup_id_y 0
		.amdhsa_system_sgpr_workgroup_id_z 0
		.amdhsa_system_sgpr_workgroup_info 0
		.amdhsa_system_vgpr_workitem_id 0
		.amdhsa_next_free_vgpr 25
		.amdhsa_next_free_sgpr 14
		.amdhsa_named_barrier_count 0
		.amdhsa_reserve_vcc 1
		.amdhsa_float_round_mode_32 0
		.amdhsa_float_round_mode_16_64 0
		.amdhsa_float_denorm_mode_32 3
		.amdhsa_float_denorm_mode_16_64 3
		.amdhsa_fp16_overflow 0
		.amdhsa_memory_ordered 1
		.amdhsa_forward_progress 1
		.amdhsa_inst_pref_size 38
		.amdhsa_round_robin_scheduling 0
		.amdhsa_exception_fp_ieee_invalid_op 0
		.amdhsa_exception_fp_denorm_src 0
		.amdhsa_exception_fp_ieee_div_zero 0
		.amdhsa_exception_fp_ieee_overflow 0
		.amdhsa_exception_fp_ieee_underflow 0
		.amdhsa_exception_fp_ieee_inexact 0
		.amdhsa_exception_int_div_zero 0
	.end_amdhsa_kernel
	.section	.text._ZN2at6native29vectorized_elementwise_kernelILi16ENS0_13AUnaryFunctorIN3c104HalfES4_bNS0_12_GLOBAL__N_116CompareEqFunctorIS4_EEEESt5arrayIPcLm2EEEEviT0_T1_,"axG",@progbits,_ZN2at6native29vectorized_elementwise_kernelILi16ENS0_13AUnaryFunctorIN3c104HalfES4_bNS0_12_GLOBAL__N_116CompareEqFunctorIS4_EEEESt5arrayIPcLm2EEEEviT0_T1_,comdat
.Lfunc_end184:
	.size	_ZN2at6native29vectorized_elementwise_kernelILi16ENS0_13AUnaryFunctorIN3c104HalfES4_bNS0_12_GLOBAL__N_116CompareEqFunctorIS4_EEEESt5arrayIPcLm2EEEEviT0_T1_, .Lfunc_end184-_ZN2at6native29vectorized_elementwise_kernelILi16ENS0_13AUnaryFunctorIN3c104HalfES4_bNS0_12_GLOBAL__N_116CompareEqFunctorIS4_EEEESt5arrayIPcLm2EEEEviT0_T1_
                                        ; -- End function
	.set _ZN2at6native29vectorized_elementwise_kernelILi16ENS0_13AUnaryFunctorIN3c104HalfES4_bNS0_12_GLOBAL__N_116CompareEqFunctorIS4_EEEESt5arrayIPcLm2EEEEviT0_T1_.num_vgpr, 25
	.set _ZN2at6native29vectorized_elementwise_kernelILi16ENS0_13AUnaryFunctorIN3c104HalfES4_bNS0_12_GLOBAL__N_116CompareEqFunctorIS4_EEEESt5arrayIPcLm2EEEEviT0_T1_.num_agpr, 0
	.set _ZN2at6native29vectorized_elementwise_kernelILi16ENS0_13AUnaryFunctorIN3c104HalfES4_bNS0_12_GLOBAL__N_116CompareEqFunctorIS4_EEEESt5arrayIPcLm2EEEEviT0_T1_.numbered_sgpr, 14
	.set _ZN2at6native29vectorized_elementwise_kernelILi16ENS0_13AUnaryFunctorIN3c104HalfES4_bNS0_12_GLOBAL__N_116CompareEqFunctorIS4_EEEESt5arrayIPcLm2EEEEviT0_T1_.num_named_barrier, 0
	.set _ZN2at6native29vectorized_elementwise_kernelILi16ENS0_13AUnaryFunctorIN3c104HalfES4_bNS0_12_GLOBAL__N_116CompareEqFunctorIS4_EEEESt5arrayIPcLm2EEEEviT0_T1_.private_seg_size, 0
	.set _ZN2at6native29vectorized_elementwise_kernelILi16ENS0_13AUnaryFunctorIN3c104HalfES4_bNS0_12_GLOBAL__N_116CompareEqFunctorIS4_EEEESt5arrayIPcLm2EEEEviT0_T1_.uses_vcc, 1
	.set _ZN2at6native29vectorized_elementwise_kernelILi16ENS0_13AUnaryFunctorIN3c104HalfES4_bNS0_12_GLOBAL__N_116CompareEqFunctorIS4_EEEESt5arrayIPcLm2EEEEviT0_T1_.uses_flat_scratch, 0
	.set _ZN2at6native29vectorized_elementwise_kernelILi16ENS0_13AUnaryFunctorIN3c104HalfES4_bNS0_12_GLOBAL__N_116CompareEqFunctorIS4_EEEESt5arrayIPcLm2EEEEviT0_T1_.has_dyn_sized_stack, 0
	.set _ZN2at6native29vectorized_elementwise_kernelILi16ENS0_13AUnaryFunctorIN3c104HalfES4_bNS0_12_GLOBAL__N_116CompareEqFunctorIS4_EEEESt5arrayIPcLm2EEEEviT0_T1_.has_recursion, 0
	.set _ZN2at6native29vectorized_elementwise_kernelILi16ENS0_13AUnaryFunctorIN3c104HalfES4_bNS0_12_GLOBAL__N_116CompareEqFunctorIS4_EEEESt5arrayIPcLm2EEEEviT0_T1_.has_indirect_call, 0
	.section	.AMDGPU.csdata,"",@progbits
; Kernel info:
; codeLenInByte = 4796
; TotalNumSgprs: 16
; NumVgprs: 25
; ScratchSize: 0
; MemoryBound: 0
; FloatMode: 240
; IeeeMode: 1
; LDSByteSize: 0 bytes/workgroup (compile time only)
; SGPRBlocks: 0
; VGPRBlocks: 1
; NumSGPRsForWavesPerEU: 16
; NumVGPRsForWavesPerEU: 25
; NamedBarCnt: 0
; Occupancy: 16
; WaveLimiterHint : 0
; COMPUTE_PGM_RSRC2:SCRATCH_EN: 0
; COMPUTE_PGM_RSRC2:USER_SGPR: 2
; COMPUTE_PGM_RSRC2:TRAP_HANDLER: 0
; COMPUTE_PGM_RSRC2:TGID_X_EN: 1
; COMPUTE_PGM_RSRC2:TGID_Y_EN: 0
; COMPUTE_PGM_RSRC2:TGID_Z_EN: 0
; COMPUTE_PGM_RSRC2:TIDIG_COMP_CNT: 0
	.section	.text._ZN2at6native29vectorized_elementwise_kernelILi8ENS0_13AUnaryFunctorIN3c104HalfES4_bNS0_12_GLOBAL__N_116CompareEqFunctorIS4_EEEESt5arrayIPcLm2EEEEviT0_T1_,"axG",@progbits,_ZN2at6native29vectorized_elementwise_kernelILi8ENS0_13AUnaryFunctorIN3c104HalfES4_bNS0_12_GLOBAL__N_116CompareEqFunctorIS4_EEEESt5arrayIPcLm2EEEEviT0_T1_,comdat
	.globl	_ZN2at6native29vectorized_elementwise_kernelILi8ENS0_13AUnaryFunctorIN3c104HalfES4_bNS0_12_GLOBAL__N_116CompareEqFunctorIS4_EEEESt5arrayIPcLm2EEEEviT0_T1_ ; -- Begin function _ZN2at6native29vectorized_elementwise_kernelILi8ENS0_13AUnaryFunctorIN3c104HalfES4_bNS0_12_GLOBAL__N_116CompareEqFunctorIS4_EEEESt5arrayIPcLm2EEEEviT0_T1_
	.p2align	8
	.type	_ZN2at6native29vectorized_elementwise_kernelILi8ENS0_13AUnaryFunctorIN3c104HalfES4_bNS0_12_GLOBAL__N_116CompareEqFunctorIS4_EEEESt5arrayIPcLm2EEEEviT0_T1_,@function
_ZN2at6native29vectorized_elementwise_kernelILi8ENS0_13AUnaryFunctorIN3c104HalfES4_bNS0_12_GLOBAL__N_116CompareEqFunctorIS4_EEEESt5arrayIPcLm2EEEEviT0_T1_: ; @_ZN2at6native29vectorized_elementwise_kernelILi8ENS0_13AUnaryFunctorIN3c104HalfES4_bNS0_12_GLOBAL__N_116CompareEqFunctorIS4_EEEESt5arrayIPcLm2EEEEviT0_T1_
; %bb.0:
	s_clause 0x1
	s_load_b96 s[8:10], s[0:1], 0x0
	s_load_b128 s[4:7], s[0:1], 0x10
	s_wait_xcnt 0x0
	s_bfe_u32 s0, ttmp6, 0x4000c
	s_and_b32 s1, ttmp6, 15
	s_add_co_i32 s0, s0, 1
	s_getreg_b32 s2, hwreg(HW_REG_IB_STS2, 6, 4)
	s_mul_i32 s0, ttmp9, s0
	s_delay_alu instid0(SALU_CYCLE_1) | instskip(SKIP_2) | instid1(SALU_CYCLE_1)
	s_add_co_i32 s1, s1, s0
	s_cmp_eq_u32 s2, 0
	s_cselect_b32 s0, ttmp9, s1
	s_lshl_b32 s2, s0, 12
	s_mov_b32 s0, -1
	s_wait_kmcnt 0x0
	s_sub_co_i32 s8, s8, s2
	s_delay_alu instid0(SALU_CYCLE_1)
	s_cmp_gt_i32 s8, 0xfff
	s_cbranch_scc0 .LBB185_2
; %bb.1:
	s_ashr_i32 s3, s2, 31
	s_delay_alu instid0(SALU_CYCLE_1)
	s_lshl_b64 s[0:1], s[2:3], 1
	s_cmp_eq_u32 s9, 0
	s_add_nc_u64 s[0:1], s[6:7], s[0:1]
	s_add_nc_u64 s[12:13], s[4:5], s[2:3]
	s_clause 0x1
	global_load_b128 v[2:5], v0, s[0:1] scale_offset
	global_load_b128 v[6:9], v0, s[0:1] offset:4096 scale_offset
	s_wait_loadcnt 0x1
	v_cmp_eq_f16_e32 vcc_lo, s10, v2
	v_dual_lshrrev_b32 v1, 16, v2 :: v_dual_lshrrev_b32 v10, 16, v3
	v_dual_lshrrev_b32 v11, 16, v4 :: v_dual_lshrrev_b32 v12, 16, v5
	v_cndmask_b32_e64 v17, 0, 1, vcc_lo
	v_cmp_neq_f16_e32 vcc_lo, s10, v2
	s_wait_loadcnt 0x0
	v_dual_lshrrev_b32 v13, 16, v6 :: v_dual_lshrrev_b32 v14, 16, v7
	v_dual_lshrrev_b32 v15, 16, v8 :: v_dual_lshrrev_b32 v16, 16, v9
	v_cndmask_b32_e64 v2, 0, 1, vcc_lo
	v_cmp_eq_f16_e32 vcc_lo, s10, v3
	v_cmp_eq_f16_e64 s0, s10, v1
	v_cndmask_b32_e64 v18, 0, 1, vcc_lo
	v_cmp_neq_f16_e32 vcc_lo, s10, v3
	v_cndmask_b32_e64 v3, 0, 1, vcc_lo
	v_cmp_eq_f16_e32 vcc_lo, s10, v4
	v_cndmask_b32_e64 v19, 0, 1, vcc_lo
	v_cmp_neq_f16_e32 vcc_lo, s10, v4
	v_cndmask_b32_e64 v4, 0, 1, vcc_lo
	v_cmp_eq_f16_e32 vcc_lo, s10, v5
	;; [unrolled: 4-line block ×6, first 2 shown]
	v_cndmask_b32_e64 v24, 0, 1, vcc_lo
	v_cmp_neq_f16_e32 vcc_lo, s10, v9
	v_cndmask_b32_e64 v9, 0, 1, vcc_lo
	s_cselect_b32 vcc_lo, -1, 0
	v_dual_cndmask_b32 v2, v2, v17 :: v_dual_cndmask_b32 v3, v3, v18
	v_cndmask_b32_e64 v17, 0, 1, s0
	v_cmp_neq_f16_e64 s0, s10, v1
	v_dual_cndmask_b32 v4, v4, v19 :: v_dual_cndmask_b32 v5, v5, v20
	v_dual_cndmask_b32 v6, v6, v21 :: v_dual_cndmask_b32 v7, v7, v22
	s_delay_alu instid0(VALU_DEP_3) | instskip(SKIP_2) | instid1(VALU_DEP_2)
	v_cndmask_b32_e64 v1, 0, 1, s0
	v_cmp_eq_f16_e64 s0, s10, v10
	v_dual_cndmask_b32 v8, v8, v23 :: v_dual_cndmask_b32 v9, v9, v24
	v_cndmask_b32_e64 v18, 0, 1, s0
	v_cmp_neq_f16_e64 s0, s10, v10
	s_delay_alu instid0(VALU_DEP_1) | instskip(SKIP_1) | instid1(VALU_DEP_2)
	v_cndmask_b32_e64 v10, 0, 1, s0
	v_cmp_eq_f16_e64 s0, s10, v11
	v_dual_cndmask_b32 v1, v1, v17 :: v_dual_cndmask_b32 v10, v10, v18
	s_delay_alu instid0(VALU_DEP_2) | instskip(SKIP_1) | instid1(VALU_DEP_3)
	v_cndmask_b32_e64 v19, 0, 1, s0
	v_cmp_neq_f16_e64 s0, s10, v11
	v_and_b32_e32 v1, 1, v1
	s_delay_alu instid0(VALU_DEP_2) | instskip(SKIP_1) | instid1(VALU_DEP_3)
	v_cndmask_b32_e64 v11, 0, 1, s0
	v_cmp_eq_f16_e64 s0, s10, v12
	v_lshlrev_b16 v1, 8, v1
	s_delay_alu instid0(VALU_DEP_2) | instskip(SKIP_1) | instid1(VALU_DEP_3)
	v_cndmask_b32_e64 v20, 0, 1, s0
	v_cmp_neq_f16_e64 s0, s10, v12
	v_bitop3_b16 v1, v2, v1, 1 bitop3:0xec
	s_delay_alu instid0(VALU_DEP_2) | instskip(SKIP_2) | instid1(VALU_DEP_4)
	v_cndmask_b32_e64 v12, 0, 1, s0
	v_cmp_eq_f16_e64 s0, s10, v13
	v_cndmask_b32_e32 v11, v11, v19, vcc_lo
	v_and_b32_e32 v1, 0xffff, v1
	s_delay_alu instid0(VALU_DEP_4) | instskip(NEXT) | instid1(VALU_DEP_4)
	v_cndmask_b32_e32 v12, v12, v20, vcc_lo
	v_cndmask_b32_e64 v21, 0, 1, s0
	v_cmp_neq_f16_e64 s0, s10, v13
	s_delay_alu instid0(VALU_DEP_3) | instskip(NEXT) | instid1(VALU_DEP_2)
	v_and_b32_e32 v12, 1, v12
	v_cndmask_b32_e64 v13, 0, 1, s0
	v_cmp_eq_f16_e64 s0, s10, v14
	s_delay_alu instid0(VALU_DEP_3) | instskip(NEXT) | instid1(VALU_DEP_2)
	v_lshlrev_b16 v12, 8, v12
	v_cndmask_b32_e64 v22, 0, 1, s0
	v_cmp_neq_f16_e64 s0, s10, v14
	s_delay_alu instid0(VALU_DEP_3) | instskip(SKIP_1) | instid1(VALU_DEP_3)
	v_bitop3_b16 v5, v5, v12, 1 bitop3:0xec
	v_and_b32_e32 v11, 1, v11
	v_cndmask_b32_e64 v14, 0, 1, s0
	v_cmp_eq_f16_e64 s0, s10, v15
	v_cndmask_b32_e32 v13, v13, v21, vcc_lo
	v_lshlrev_b32_e32 v5, 16, v5
	v_lshlrev_b16 v11, 8, v11
	v_cndmask_b32_e32 v14, v14, v22, vcc_lo
	v_cndmask_b32_e64 v23, 0, 1, s0
	v_cmp_neq_f16_e64 s0, s10, v15
	v_and_b32_e32 v13, 1, v13
	v_bitop3_b16 v4, v4, v11, 1 bitop3:0xec
	v_and_b32_e32 v14, 1, v14
	s_delay_alu instid0(VALU_DEP_4) | instskip(SKIP_2) | instid1(VALU_DEP_4)
	v_cndmask_b32_e64 v15, 0, 1, s0
	v_cmp_eq_f16_e64 s0, s10, v16
	v_lshlrev_b16 v13, 8, v13
	v_lshlrev_b16 v14, 8, v14
	v_and_b32_e32 v4, 0xffff, v4
	s_delay_alu instid0(VALU_DEP_4) | instskip(SKIP_1) | instid1(VALU_DEP_4)
	v_cndmask_b32_e64 v24, 0, 1, s0
	v_cmp_neq_f16_e64 s0, s10, v16
	v_bitop3_b16 v7, v7, v14, 1 bitop3:0xec
	v_bitop3_b16 v6, v6, v13, 1 bitop3:0xec
	v_or_b32_e32 v5, v4, v5
	s_delay_alu instid0(VALU_DEP_4) | instskip(SKIP_4) | instid1(VALU_DEP_3)
	v_cndmask_b32_e64 v16, 0, 1, s0
	v_cndmask_b32_e32 v15, v15, v23, vcc_lo
	v_lshlrev_b32_e32 v7, 16, v7
	v_and_b32_e32 v6, 0xffff, v6
	s_mov_b32 s0, 0
	v_dual_cndmask_b32 v16, v16, v24, vcc_lo :: v_dual_bitop2_b32 v15, 1, v15 bitop3:0x40
	s_delay_alu instid0(VALU_DEP_1) | instskip(NEXT) | instid1(VALU_DEP_2)
	v_and_b32_e32 v16, 1, v16
	v_lshlrev_b16 v15, 8, v15
	s_delay_alu instid0(VALU_DEP_2) | instskip(NEXT) | instid1(VALU_DEP_2)
	v_lshlrev_b16 v16, 8, v16
	v_bitop3_b16 v8, v8, v15, 1 bitop3:0xec
	s_delay_alu instid0(VALU_DEP_2) | instskip(SKIP_1) | instid1(VALU_DEP_1)
	v_bitop3_b16 v9, v9, v16, 1 bitop3:0xec
	v_and_b32_e32 v10, 1, v10
	v_lshlrev_b16 v10, 8, v10
	s_delay_alu instid0(VALU_DEP_1) | instskip(SKIP_1) | instid1(VALU_DEP_2)
	v_bitop3_b16 v2, v3, v10, 1 bitop3:0xec
	v_and_b32_e32 v3, 0xffff, v8
	v_dual_lshlrev_b32 v8, 16, v9 :: v_dual_lshlrev_b32 v2, 16, v2
	s_delay_alu instid0(VALU_DEP_1) | instskip(NEXT) | instid1(VALU_DEP_2)
	v_or_b32_e32 v3, v3, v8
	v_or_b32_e32 v4, v1, v2
	;; [unrolled: 1-line block ×3, first 2 shown]
	s_clause 0x1
	global_store_b64 v0, v[4:5], s[12:13] scale_offset
	global_store_b64 v0, v[2:3], s[12:13] offset:2048 scale_offset
.LBB185_2:
	s_and_not1_b32 vcc_lo, exec_lo, s0
	s_cbranch_vccnz .LBB185_52
; %bb.3:
	v_cmp_gt_i32_e32 vcc_lo, s8, v0
	v_dual_mov_b32 v9, 0 :: v_dual_bitop2_b32 v1, s2, v0 bitop3:0x54
	s_wait_xcnt 0x0
	v_or_b32_e32 v2, 0x100, v0
	v_dual_mov_b32 v11, 0 :: v_dual_mov_b32 v13, v0
	s_and_saveexec_b32 s0, vcc_lo
	s_cbranch_execz .LBB185_5
; %bb.4:
	global_load_u16 v11, v1, s[6:7] scale_offset
	v_or_b32_e32 v13, 0x100, v0
.LBB185_5:
	s_wait_xcnt 0x0
	s_or_b32 exec_lo, exec_lo, s0
	s_delay_alu instid0(SALU_CYCLE_1) | instskip(NEXT) | instid1(VALU_DEP_1)
	s_mov_b32 s1, exec_lo
	v_cmpx_gt_i32_e64 s8, v13
	s_cbranch_execz .LBB185_7
; %bb.6:
	v_add_nc_u32_e32 v3, s2, v13
	v_add_nc_u32_e32 v13, 0x100, v13
	global_load_u16 v9, v3, s[6:7] scale_offset
.LBB185_7:
	s_wait_xcnt 0x0
	s_or_b32 exec_lo, exec_lo, s1
	v_dual_mov_b32 v4, 0 :: v_dual_mov_b32 v7, 0
	s_mov_b32 s1, exec_lo
	v_cmpx_gt_i32_e64 s8, v13
	s_cbranch_execz .LBB185_9
; %bb.8:
	v_add_nc_u32_e32 v3, s2, v13
	v_add_nc_u32_e32 v13, 0x100, v13
	global_load_u16 v7, v3, s[6:7] scale_offset
.LBB185_9:
	s_wait_xcnt 0x0
	s_or_b32 exec_lo, exec_lo, s1
	s_delay_alu instid0(SALU_CYCLE_1)
	s_mov_b32 s1, exec_lo
	v_cmpx_gt_i32_e64 s8, v13
	s_cbranch_execz .LBB185_11
; %bb.10:
	v_add_nc_u32_e32 v3, s2, v13
	v_add_nc_u32_e32 v13, 0x100, v13
	global_load_u16 v4, v3, s[6:7] scale_offset
.LBB185_11:
	s_wait_xcnt 0x0
	s_or_b32 exec_lo, exec_lo, s1
	v_dual_mov_b32 v14, 0 :: v_dual_mov_b32 v16, 0
	s_mov_b32 s1, exec_lo
	v_cmpx_gt_i32_e64 s8, v13
	s_cbranch_execz .LBB185_13
; %bb.12:
	v_add_nc_u32_e32 v3, s2, v13
	v_add_nc_u32_e32 v13, 0x100, v13
	global_load_u16 v16, v3, s[6:7] scale_offset
.LBB185_13:
	s_wait_xcnt 0x0
	s_or_b32 exec_lo, exec_lo, s1
	s_delay_alu instid0(SALU_CYCLE_1)
	;; [unrolled: 22-line block ×7, first 2 shown]
	s_mov_b32 s1, exec_lo
	v_cmpx_gt_i32_e64 s8, v13
	s_cbranch_execz .LBB185_35
; %bb.34:
	v_add_nc_u32_e32 v12, s2, v13
	global_load_u16 v12, v12, s[6:7] scale_offset
.LBB185_35:
	s_wait_xcnt 0x0
	s_or_b32 exec_lo, exec_lo, s1
	s_wait_loadcnt 0x0
	v_cmp_eq_f16_e64 s0, s10, v11
	v_cmp_eq_f16_e64 s1, s10, v16
	s_cmp_eq_u32 s9, 0
	v_cndmask_b32_e64 v13, 0, 1, s0
	v_cmp_neq_f16_e64 s0, s10, v11
	s_delay_alu instid0(VALU_DEP_1) | instskip(SKIP_1) | instid1(VALU_DEP_1)
	v_cndmask_b32_e64 v11, 0, 1, s0
	v_cmp_eq_f16_e64 s0, s10, v9
	v_cndmask_b32_e64 v20, 0, 1, s0
	v_cmp_neq_f16_e64 s0, s10, v9
	s_delay_alu instid0(VALU_DEP_1) | instskip(SKIP_1) | instid1(SALU_CYCLE_1)
	v_cndmask_b32_e64 v9, 0, 1, s0
	s_cselect_b32 s0, -1, 0
	v_cndmask_b32_e64 v11, v11, v13, s0
	v_cndmask_b32_e64 v13, 0, 1, vcc_lo
	s_delay_alu instid0(VALU_DEP_3) | instskip(SKIP_2) | instid1(VALU_DEP_4)
	v_cndmask_b32_e64 v9, v9, v20, s0
	v_cndmask_b32_e64 v20, 0, 1, s1
	v_cmp_neq_f16_e64 s1, s10, v16
	v_and_b32_e32 v11, v13, v11
	s_delay_alu instid0(VALU_DEP_2) | instskip(SKIP_1) | instid1(VALU_DEP_2)
	v_cndmask_b32_e64 v16, 0, 1, s1
	v_cmp_eq_f16_e64 s1, s10, v14
	v_dual_cndmask_b32 v13, v16, v20, s0 :: v_dual_bitop2_b32 v9, 1, v9 bitop3:0x40
	s_delay_alu instid0(VALU_DEP_2) | instskip(SKIP_2) | instid1(VALU_DEP_4)
	v_cndmask_b32_e64 v16, 0, 1, s1
	v_cmp_neq_f16_e64 s1, s10, v14
	v_or_b32_e32 v20, 0x400, v0
	v_lshlrev_b16 v9, 8, v9
	v_bitop3_b16 v13, v13, 0, 1 bitop3:0xec
	s_delay_alu instid0(VALU_DEP_4) | instskip(SKIP_1) | instid1(VALU_DEP_3)
	v_cndmask_b32_e64 v14, 0, 1, s1
	v_cmp_eq_f16_e64 s1, s10, v7
	v_and_b32_e32 v13, 0xffff, v13
	s_delay_alu instid0(VALU_DEP_3) | instskip(NEXT) | instid1(VALU_DEP_3)
	v_cndmask_b32_e64 v14, v14, v16, s0
	v_cndmask_b32_e64 v16, 0, 1, s1
	v_cmp_neq_f16_e64 s1, s10, v7
	s_delay_alu instid0(VALU_DEP_1) | instskip(SKIP_1) | instid1(VALU_DEP_2)
	v_cndmask_b32_e64 v7, 0, 1, s1
	v_cmp_gt_i32_e64 s1, s8, v20
	v_dual_cndmask_b32 v7, v7, v16, s0 :: v_dual_bitop2_b32 v14, 1, v14 bitop3:0x40
	s_delay_alu instid0(VALU_DEP_2) | instskip(NEXT) | instid1(VALU_DEP_2)
	v_cndmask_b32_e64 v13, 0, v13, s1
	v_lshlrev_b16 v14, 8, v14
	v_cmp_gt_i32_e64 s1, s8, v2
	s_delay_alu instid0(VALU_DEP_2) | instskip(NEXT) | instid1(VALU_DEP_1)
	v_bitop3_b16 v14, v13, v14, 0xff bitop3:0xec
	v_and_b32_e32 v14, 0xffff, v14
	v_or_b32_e32 v9, v11, v9
	s_delay_alu instid0(VALU_DEP_1) | instskip(NEXT) | instid1(VALU_DEP_1)
	v_and_b32_e32 v9, 0xffff, v9
	v_cndmask_b32_e64 v9, v11, v9, s1
	v_cmp_eq_f16_e64 s1, s10, v4
	v_or_b32_e32 v11, 0x500, v0
	s_delay_alu instid0(VALU_DEP_2) | instskip(SKIP_1) | instid1(VALU_DEP_1)
	v_cndmask_b32_e64 v16, 0, 1, s1
	v_cmp_neq_f16_e64 s1, s10, v4
	v_cndmask_b32_e64 v4, 0, 1, s1
	s_delay_alu instid0(VALU_DEP_4) | instskip(NEXT) | instid1(VALU_DEP_1)
	v_cmp_gt_i32_e64 s1, s8, v11
	v_dual_cndmask_b32 v4, v4, v16, s0 :: v_dual_cndmask_b32 v11, v13, v14, s1
	v_cmp_eq_f16_e64 s1, s10, v15
	v_and_b32_e32 v7, 1, v7
	v_or_b32_e32 v13, 0x200, v0
	s_delay_alu instid0(VALU_DEP_4) | instskip(NEXT) | instid1(VALU_DEP_4)
	v_dual_lshrrev_b32 v14, 16, v11 :: v_dual_bitop2_b32 v4, 1, v4 bitop3:0x40
	v_cndmask_b32_e64 v16, 0, 1, s1
	v_cmp_neq_f16_e64 s1, s10, v15
	v_lshl_or_b32 v7, v7, 16, v9
	s_delay_alu instid0(VALU_DEP_4) | instskip(NEXT) | instid1(VALU_DEP_3)
	v_lshlrev_b16 v4, 8, v4
	v_cndmask_b32_e64 v15, 0, 1, s1
	v_cmp_gt_i32_e64 s1, s8, v13
	s_delay_alu instid0(VALU_DEP_1) | instskip(SKIP_2) | instid1(VALU_DEP_2)
	v_dual_cndmask_b32 v13, v15, v16, s0 :: v_dual_cndmask_b32 v7, v9, v7, s1
	v_and_b32_e32 v9, 0xffffff00, v14
	v_cmp_eq_f16_e64 s1, s10, v10
	v_bitop3_b16 v9, v13, v9, 1 bitop3:0xec
	s_delay_alu instid0(VALU_DEP_2) | instskip(SKIP_1) | instid1(VALU_DEP_3)
	v_cndmask_b32_e64 v13, 0, 1, s1
	v_cmp_neq_f16_e64 s1, s10, v10
	v_dual_lshrrev_b32 v14, 16, v7 :: v_dual_lshlrev_b32 v9, 16, v9
	s_delay_alu instid0(VALU_DEP_2) | instskip(SKIP_1) | instid1(VALU_DEP_3)
	v_cndmask_b32_e64 v10, 0, 1, s1
	v_cmp_eq_f16_e64 s1, s10, v6
	v_bitop3_b16 v4, v14, v4, 0xff bitop3:0xec
	v_or_b32_e32 v14, 0x600, v0
	v_and_or_b32 v9, 0xffff, v11, v9
	v_cndmask_b32_e64 v10, v10, v13, s0
	v_cndmask_b32_e64 v15, 0, 1, s1
	v_cmp_eq_f16_e64 s1, s10, v19
	v_lshlrev_b32_e32 v4, 16, v4
	v_or_b32_e32 v13, 0x800, v0
	v_and_b32_e32 v10, 1, v10
	s_delay_alu instid0(VALU_DEP_4) | instskip(SKIP_2) | instid1(VALU_DEP_4)
	v_cndmask_b32_e64 v16, 0, 1, s1
	v_cmp_neq_f16_e64 s1, s10, v19
	v_and_or_b32 v4, 0xffff, v7, v4
	v_lshlrev_b16 v10, 8, v10
	s_delay_alu instid0(VALU_DEP_3) | instskip(SKIP_1) | instid1(VALU_DEP_1)
	v_cndmask_b32_e64 v19, 0, 1, s1
	v_cmp_eq_f16_e64 s1, s10, v18
	v_cndmask_b32_e64 v20, 0, 1, s1
	v_cmp_neq_f16_e64 s1, s10, v18
	s_delay_alu instid0(VALU_DEP_1) | instskip(SKIP_1) | instid1(VALU_DEP_1)
	v_cndmask_b32_e64 v18, 0, 1, s1
	v_cmp_neq_f16_e64 s1, s10, v6
	v_cndmask_b32_e64 v6, 0, 1, s1
	v_cmp_eq_f16_e64 s1, s10, v5
	s_delay_alu instid0(VALU_DEP_2) | instskip(NEXT) | instid1(VALU_DEP_2)
	v_cndmask_b32_e64 v6, v6, v15, s0
	v_cndmask_b32_e64 v21, 0, 1, s1
	v_cmp_neq_f16_e64 s1, s10, v5
	s_delay_alu instid0(VALU_DEP_1) | instskip(NEXT) | instid1(VALU_DEP_1)
	v_cndmask_b32_e64 v5, 0, 1, s1
	v_dual_cndmask_b32 v18, v18, v20, s0 :: v_dual_cndmask_b32 v5, v5, v21, s0
	s_delay_alu instid0(VALU_DEP_1) | instskip(SKIP_1) | instid1(VALU_DEP_3)
	v_dual_cndmask_b32 v16, v19, v16, s0 :: v_dual_bitop2_b32 v18, 1, v18 bitop3:0x40
	v_or_b32_e32 v19, 0xc00, v0
	v_and_b32_e32 v5, 1, v5
	s_delay_alu instid0(VALU_DEP_3) | instskip(NEXT) | instid1(VALU_DEP_3)
	v_and_b32_e32 v16, 1, v16
	v_cmp_gt_i32_e64 s1, s8, v19
	s_delay_alu instid0(VALU_DEP_3) | instskip(NEXT) | instid1(VALU_DEP_2)
	v_lshlrev_b16 v5, 8, v5
	v_cndmask_b32_e64 v15, 0, v16, s1
	v_cmp_gt_i32_e64 s1, s8, v13
	v_lshlrev_b16 v16, 8, v18
	s_delay_alu instid0(VALU_DEP_2) | instskip(SKIP_1) | instid1(VALU_DEP_1)
	v_cndmask_b32_e64 v13, 0, 1, s1
	v_cmp_gt_i32_e64 s1, s8, v14
	v_cndmask_b32_e64 v9, v11, v9, s1
	s_delay_alu instid0(VALU_DEP_4) | instskip(SKIP_1) | instid1(VALU_DEP_2)
	v_bitop3_b16 v11, v15, v16, 0xff bitop3:0xec
	v_cmp_eq_f16_e64 s1, s10, v8
	v_and_b32_e32 v11, 0xffff, v11
	v_and_b32_e32 v6, v13, v6
	v_or_b32_e32 v13, 0xd00, v0
	s_delay_alu instid0(VALU_DEP_4) | instskip(SKIP_1) | instid1(VALU_DEP_1)
	v_cndmask_b32_e64 v14, 0, 1, s1
	v_cmp_neq_f16_e64 s1, s10, v8
	v_cndmask_b32_e64 v8, 0, 1, s1
	s_delay_alu instid0(VALU_DEP_4) | instskip(NEXT) | instid1(VALU_DEP_2)
	v_cmp_gt_i32_e64 s1, s8, v13
	v_dual_lshrrev_b32 v13, 16, v9 :: v_dual_cndmask_b32 v8, v8, v14, s0
	s_delay_alu instid0(VALU_DEP_2) | instskip(SKIP_1) | instid1(VALU_DEP_2)
	v_cndmask_b32_e64 v11, v15, v11, s1
	v_cmp_eq_f16_e64 s1, s10, v17
	v_dual_lshrrev_b32 v14, 16, v11 :: v_dual_bitop2_b32 v5, v6, v5 bitop3:0x54
	s_delay_alu instid0(VALU_DEP_2) | instskip(SKIP_2) | instid1(VALU_DEP_4)
	v_cndmask_b32_e64 v15, 0, 1, s1
	v_cmp_neq_f16_e64 s1, s10, v17
	v_or_b32_e32 v17, 0x900, v0
	v_and_b32_e32 v5, 0xffff, v5
	v_and_b32_e32 v14, 0xffffff00, v14
	s_delay_alu instid0(VALU_DEP_4) | instskip(NEXT) | instid1(VALU_DEP_4)
	v_cndmask_b32_e64 v16, 0, 1, s1
	v_cmp_gt_i32_e64 s1, s8, v17
	s_delay_alu instid0(VALU_DEP_2) | instskip(NEXT) | instid1(VALU_DEP_1)
	v_dual_cndmask_b32 v15, v16, v15, s0 :: v_dual_bitop2_b32 v8, 1, v8 bitop3:0x40
	v_dual_cndmask_b32 v5, v6, v5, s1 :: v_dual_lshlrev_b32 v8, 16, v8
	v_cmp_eq_f16_e64 s1, s10, v3
	v_or_b32_e32 v6, 0xa00, v0
	s_delay_alu instid0(VALU_DEP_4) | instskip(NEXT) | instid1(VALU_DEP_4)
	v_bitop3_b16 v14, v15, v14, 1 bitop3:0xec
	v_and_or_b32 v8, 0x1ff, v5, v8
	s_delay_alu instid0(VALU_DEP_4) | instskip(SKIP_1) | instid1(VALU_DEP_1)
	v_cndmask_b32_e64 v15, 0, 1, s1
	v_cmp_neq_f16_e64 s1, s10, v3
	v_cndmask_b32_e64 v3, 0, 1, s1
	v_cmp_eq_f16_e64 s1, s10, v12
	s_delay_alu instid0(VALU_DEP_2) | instskip(NEXT) | instid1(VALU_DEP_2)
	v_dual_lshlrev_b32 v14, 16, v14 :: v_dual_cndmask_b32 v3, v3, v15, s0
	v_cndmask_b32_e64 v16, 0, 1, s1
	v_cmp_neq_f16_e64 s1, s10, v12
	v_or_b32_e32 v15, 0xe00, v0
	s_delay_alu instid0(VALU_DEP_4) | instskip(SKIP_1) | instid1(VALU_DEP_4)
	v_and_or_b32 v14, 0xffff, v11, v14
	v_and_b32_e32 v3, 1, v3
	v_cndmask_b32_e64 v12, 0, 1, s1
	s_delay_alu instid0(VALU_DEP_2) | instskip(NEXT) | instid1(VALU_DEP_2)
	v_lshlrev_b16 v3, 8, v3
	v_cndmask_b32_e64 v12, v12, v16, s0
	v_cmp_gt_i32_e64 s0, s8, v6
	v_bitop3_b16 v6, v13, v10, 0xff bitop3:0xec
	v_or_b32_e32 v13, 0x300, v0
	s_delay_alu instid0(VALU_DEP_3) | instskip(SKIP_1) | instid1(VALU_DEP_1)
	v_cndmask_b32_e64 v8, v5, v8, s0
	v_cmp_gt_i32_e64 s0, s8, v15
	v_dual_cndmask_b32 v11, v11, v14, s0 :: v_dual_bitop2_b32 v5, 1, v12 bitop3:0x40
	s_delay_alu instid0(VALU_DEP_3) | instskip(SKIP_1) | instid1(VALU_DEP_3)
	v_lshrrev_b32_e32 v10, 16, v8
	v_cmp_gt_i32_e64 s0, s8, v13
	v_lshrrev_b32_e32 v12, 16, v11
	s_delay_alu instid0(VALU_DEP_4) | instskip(NEXT) | instid1(VALU_DEP_4)
	v_lshlrev_b16 v5, 8, v5
	v_bitop3_b16 v3, v10, v3, 0xff bitop3:0xec
	s_delay_alu instid0(VALU_DEP_4) | instskip(SKIP_1) | instid1(VALU_DEP_4)
	v_dual_lshlrev_b32 v10, 16, v6 :: v_dual_cndmask_b32 v6, v7, v4, s0
	v_or_b32_e32 v4, 0x700, v0
	v_bitop3_b16 v5, v12, v5, 0xff bitop3:0xec
	s_delay_alu instid0(VALU_DEP_4) | instskip(NEXT) | instid1(VALU_DEP_4)
	v_lshlrev_b32_e32 v3, 16, v3
	v_and_or_b32 v7, 0xffff, v9, v10
	v_or_b32_e32 v10, 0xb00, v0
	v_cmp_gt_i32_e64 s0, s8, v4
	v_or_b32_e32 v12, 0xf00, v0
	v_and_or_b32 v3, 0xffff, v8, v3
	v_lshlrev_b32_e32 v5, 16, v5
	s_delay_alu instid0(VALU_DEP_1) | instskip(SKIP_2) | instid1(VALU_DEP_1)
	v_and_or_b32 v13, 0xffff, v11, v5
	v_cndmask_b32_e64 v5, v9, v7, s0
	v_cmp_gt_i32_e64 s0, s8, v10
	v_cndmask_b32_e64 v4, v8, v3, s0
	v_cmp_gt_i32_e64 s0, s8, v12
	s_delay_alu instid0(VALU_DEP_1)
	v_cndmask_b32_e64 v3, v11, v13, s0
	s_and_saveexec_b32 s0, vcc_lo
	s_cbranch_execnz .LBB185_53
; %bb.36:
	s_or_b32 exec_lo, exec_lo, s0
	s_delay_alu instid0(SALU_CYCLE_1)
	s_mov_b32 s0, exec_lo
	v_cmpx_gt_i32_e64 s8, v0
	s_cbranch_execnz .LBB185_54
.LBB185_37:
	s_or_b32 exec_lo, exec_lo, s0
	s_delay_alu instid0(SALU_CYCLE_1)
	s_mov_b32 s0, exec_lo
	v_cmpx_gt_i32_e64 s8, v0
	s_cbranch_execnz .LBB185_55
.LBB185_38:
	s_or_b32 exec_lo, exec_lo, s0
	s_delay_alu instid0(SALU_CYCLE_1)
	s_mov_b32 s0, exec_lo
	v_cmpx_gt_i32_e64 s8, v0
	s_cbranch_execnz .LBB185_56
.LBB185_39:
	s_or_b32 exec_lo, exec_lo, s0
	s_delay_alu instid0(SALU_CYCLE_1)
	s_mov_b32 s0, exec_lo
	v_cmpx_gt_i32_e64 s8, v0
	s_cbranch_execnz .LBB185_57
.LBB185_40:
	s_or_b32 exec_lo, exec_lo, s0
	s_delay_alu instid0(SALU_CYCLE_1)
	s_mov_b32 s0, exec_lo
	v_cmpx_gt_i32_e64 s8, v0
	s_cbranch_execnz .LBB185_58
.LBB185_41:
	s_or_b32 exec_lo, exec_lo, s0
	s_delay_alu instid0(SALU_CYCLE_1)
	s_mov_b32 s0, exec_lo
	v_cmpx_gt_i32_e64 s8, v0
	s_cbranch_execnz .LBB185_59
.LBB185_42:
	s_or_b32 exec_lo, exec_lo, s0
	s_delay_alu instid0(SALU_CYCLE_1)
	s_mov_b32 s0, exec_lo
	v_cmpx_gt_i32_e64 s8, v0
	s_cbranch_execnz .LBB185_60
.LBB185_43:
	s_or_b32 exec_lo, exec_lo, s0
	s_delay_alu instid0(SALU_CYCLE_1)
	s_mov_b32 s0, exec_lo
	v_cmpx_gt_i32_e64 s8, v0
	s_cbranch_execnz .LBB185_61
.LBB185_44:
	s_or_b32 exec_lo, exec_lo, s0
	s_delay_alu instid0(SALU_CYCLE_1)
	s_mov_b32 s0, exec_lo
	v_cmpx_gt_i32_e64 s8, v0
	s_cbranch_execnz .LBB185_62
.LBB185_45:
	s_or_b32 exec_lo, exec_lo, s0
	s_delay_alu instid0(SALU_CYCLE_1)
	s_mov_b32 s0, exec_lo
	v_cmpx_gt_i32_e64 s8, v0
	s_cbranch_execnz .LBB185_63
.LBB185_46:
	s_or_b32 exec_lo, exec_lo, s0
	s_delay_alu instid0(SALU_CYCLE_1)
	s_mov_b32 s0, exec_lo
	v_cmpx_gt_i32_e64 s8, v0
	s_cbranch_execnz .LBB185_64
.LBB185_47:
	s_or_b32 exec_lo, exec_lo, s0
	s_delay_alu instid0(SALU_CYCLE_1)
	s_mov_b32 s0, exec_lo
	v_cmpx_gt_i32_e64 s8, v0
	s_cbranch_execnz .LBB185_65
.LBB185_48:
	s_or_b32 exec_lo, exec_lo, s0
	s_delay_alu instid0(SALU_CYCLE_1)
	s_mov_b32 s0, exec_lo
	v_cmpx_gt_i32_e64 s8, v0
	s_cbranch_execnz .LBB185_66
.LBB185_49:
	s_or_b32 exec_lo, exec_lo, s0
	s_delay_alu instid0(SALU_CYCLE_1)
	s_mov_b32 s0, exec_lo
	v_cmpx_gt_i32_e64 s8, v0
	s_cbranch_execnz .LBB185_67
.LBB185_50:
	s_or_b32 exec_lo, exec_lo, s0
	s_delay_alu instid0(SALU_CYCLE_1)
	s_mov_b32 s0, exec_lo
	v_cmpx_gt_i32_e64 s8, v0
	s_cbranch_execz .LBB185_52
.LBB185_51:
	v_dual_lshrrev_b32 v1, 24, v3 :: v_dual_add_nc_u32 v0, s2, v0
	global_store_b8 v0, v1, s[4:5]
.LBB185_52:
	s_endpgm
.LBB185_53:
	v_mov_b32_e32 v0, v2
	global_store_b8 v1, v6, s[4:5]
	s_wait_xcnt 0x0
	s_or_b32 exec_lo, exec_lo, s0
	s_delay_alu instid0(SALU_CYCLE_1)
	s_mov_b32 s0, exec_lo
	v_cmpx_gt_i32_e64 s8, v0
	s_cbranch_execz .LBB185_37
.LBB185_54:
	v_dual_lshrrev_b32 v1, 8, v6 :: v_dual_add_nc_u32 v2, s2, v0
	v_add_nc_u32_e32 v0, 0x100, v0
	global_store_b8 v2, v1, s[4:5]
	s_wait_xcnt 0x0
	s_or_b32 exec_lo, exec_lo, s0
	s_delay_alu instid0(SALU_CYCLE_1)
	s_mov_b32 s0, exec_lo
	v_cmpx_gt_i32_e64 s8, v0
	s_cbranch_execz .LBB185_38
.LBB185_55:
	v_add_nc_u32_e32 v1, s2, v0
	v_add_nc_u32_e32 v0, 0x100, v0
	global_store_d16_hi_b8 v1, v6, s[4:5]
	s_wait_xcnt 0x0
	s_or_b32 exec_lo, exec_lo, s0
	s_delay_alu instid0(SALU_CYCLE_1)
	s_mov_b32 s0, exec_lo
	v_cmpx_gt_i32_e64 s8, v0
	s_cbranch_execz .LBB185_39
.LBB185_56:
	v_dual_lshrrev_b32 v1, 24, v6 :: v_dual_add_nc_u32 v2, s2, v0
	v_add_nc_u32_e32 v0, 0x100, v0
	global_store_b8 v2, v1, s[4:5]
	s_wait_xcnt 0x0
	s_or_b32 exec_lo, exec_lo, s0
	s_delay_alu instid0(SALU_CYCLE_1)
	s_mov_b32 s0, exec_lo
	v_cmpx_gt_i32_e64 s8, v0
	s_cbranch_execz .LBB185_40
.LBB185_57:
	v_add_nc_u32_e32 v1, s2, v0
	v_add_nc_u32_e32 v0, 0x100, v0
	global_store_b8 v1, v5, s[4:5]
	s_wait_xcnt 0x0
	s_or_b32 exec_lo, exec_lo, s0
	s_delay_alu instid0(SALU_CYCLE_1)
	s_mov_b32 s0, exec_lo
	v_cmpx_gt_i32_e64 s8, v0
	s_cbranch_execz .LBB185_41
.LBB185_58:
	v_dual_lshrrev_b32 v1, 8, v5 :: v_dual_add_nc_u32 v2, s2, v0
	v_add_nc_u32_e32 v0, 0x100, v0
	global_store_b8 v2, v1, s[4:5]
	s_wait_xcnt 0x0
	s_or_b32 exec_lo, exec_lo, s0
	s_delay_alu instid0(SALU_CYCLE_1)
	s_mov_b32 s0, exec_lo
	v_cmpx_gt_i32_e64 s8, v0
	s_cbranch_execz .LBB185_42
.LBB185_59:
	v_add_nc_u32_e32 v1, s2, v0
	v_add_nc_u32_e32 v0, 0x100, v0
	global_store_d16_hi_b8 v1, v5, s[4:5]
	s_wait_xcnt 0x0
	s_or_b32 exec_lo, exec_lo, s0
	s_delay_alu instid0(SALU_CYCLE_1)
	s_mov_b32 s0, exec_lo
	v_cmpx_gt_i32_e64 s8, v0
	s_cbranch_execz .LBB185_43
.LBB185_60:
	v_dual_lshrrev_b32 v1, 24, v5 :: v_dual_add_nc_u32 v2, s2, v0
	v_add_nc_u32_e32 v0, 0x100, v0
	global_store_b8 v2, v1, s[4:5]
	s_wait_xcnt 0x0
	s_or_b32 exec_lo, exec_lo, s0
	s_delay_alu instid0(SALU_CYCLE_1)
	s_mov_b32 s0, exec_lo
	v_cmpx_gt_i32_e64 s8, v0
	s_cbranch_execz .LBB185_44
.LBB185_61:
	v_add_nc_u32_e32 v1, s2, v0
	v_add_nc_u32_e32 v0, 0x100, v0
	global_store_b8 v1, v4, s[4:5]
	s_wait_xcnt 0x0
	s_or_b32 exec_lo, exec_lo, s0
	s_delay_alu instid0(SALU_CYCLE_1)
	s_mov_b32 s0, exec_lo
	v_cmpx_gt_i32_e64 s8, v0
	s_cbranch_execz .LBB185_45
.LBB185_62:
	v_lshrrev_b32_e32 v1, 8, v4
	v_add_nc_u32_e32 v2, s2, v0
	v_add_nc_u32_e32 v0, 0x100, v0
	global_store_b8 v2, v1, s[4:5]
	s_wait_xcnt 0x0
	s_or_b32 exec_lo, exec_lo, s0
	s_delay_alu instid0(SALU_CYCLE_1)
	s_mov_b32 s0, exec_lo
	v_cmpx_gt_i32_e64 s8, v0
	s_cbranch_execz .LBB185_46
.LBB185_63:
	v_add_nc_u32_e32 v1, s2, v0
	v_add_nc_u32_e32 v0, 0x100, v0
	global_store_d16_hi_b8 v1, v4, s[4:5]
	s_wait_xcnt 0x0
	s_or_b32 exec_lo, exec_lo, s0
	s_delay_alu instid0(SALU_CYCLE_1)
	s_mov_b32 s0, exec_lo
	v_cmpx_gt_i32_e64 s8, v0
	s_cbranch_execz .LBB185_47
.LBB185_64:
	v_lshrrev_b32_e32 v1, 24, v4
	v_add_nc_u32_e32 v2, s2, v0
	v_add_nc_u32_e32 v0, 0x100, v0
	global_store_b8 v2, v1, s[4:5]
	s_wait_xcnt 0x0
	s_or_b32 exec_lo, exec_lo, s0
	s_delay_alu instid0(SALU_CYCLE_1)
	s_mov_b32 s0, exec_lo
	v_cmpx_gt_i32_e64 s8, v0
	s_cbranch_execz .LBB185_48
.LBB185_65:
	v_add_nc_u32_e32 v1, s2, v0
	v_add_nc_u32_e32 v0, 0x100, v0
	global_store_b8 v1, v3, s[4:5]
	s_wait_xcnt 0x0
	s_or_b32 exec_lo, exec_lo, s0
	s_delay_alu instid0(SALU_CYCLE_1)
	s_mov_b32 s0, exec_lo
	v_cmpx_gt_i32_e64 s8, v0
	s_cbranch_execz .LBB185_49
.LBB185_66:
	v_dual_lshrrev_b32 v1, 8, v3 :: v_dual_add_nc_u32 v2, s2, v0
	v_add_nc_u32_e32 v0, 0x100, v0
	global_store_b8 v2, v1, s[4:5]
	s_wait_xcnt 0x0
	s_or_b32 exec_lo, exec_lo, s0
	s_delay_alu instid0(SALU_CYCLE_1)
	s_mov_b32 s0, exec_lo
	v_cmpx_gt_i32_e64 s8, v0
	s_cbranch_execz .LBB185_50
.LBB185_67:
	v_add_nc_u32_e32 v1, s2, v0
	v_add_nc_u32_e32 v0, 0x100, v0
	global_store_d16_hi_b8 v1, v3, s[4:5]
	s_wait_xcnt 0x0
	s_or_b32 exec_lo, exec_lo, s0
	s_delay_alu instid0(SALU_CYCLE_1)
	s_mov_b32 s0, exec_lo
	v_cmpx_gt_i32_e64 s8, v0
	s_cbranch_execnz .LBB185_51
	s_branch .LBB185_52
	.section	.rodata,"a",@progbits
	.p2align	6, 0x0
	.amdhsa_kernel _ZN2at6native29vectorized_elementwise_kernelILi8ENS0_13AUnaryFunctorIN3c104HalfES4_bNS0_12_GLOBAL__N_116CompareEqFunctorIS4_EEEESt5arrayIPcLm2EEEEviT0_T1_
		.amdhsa_group_segment_fixed_size 0
		.amdhsa_private_segment_fixed_size 0
		.amdhsa_kernarg_size 32
		.amdhsa_user_sgpr_count 2
		.amdhsa_user_sgpr_dispatch_ptr 0
		.amdhsa_user_sgpr_queue_ptr 0
		.amdhsa_user_sgpr_kernarg_segment_ptr 1
		.amdhsa_user_sgpr_dispatch_id 0
		.amdhsa_user_sgpr_kernarg_preload_length 0
		.amdhsa_user_sgpr_kernarg_preload_offset 0
		.amdhsa_user_sgpr_private_segment_size 0
		.amdhsa_wavefront_size32 1
		.amdhsa_uses_dynamic_stack 0
		.amdhsa_enable_private_segment 0
		.amdhsa_system_sgpr_workgroup_id_x 1
		.amdhsa_system_sgpr_workgroup_id_y 0
		.amdhsa_system_sgpr_workgroup_id_z 0
		.amdhsa_system_sgpr_workgroup_info 0
		.amdhsa_system_vgpr_workitem_id 0
		.amdhsa_next_free_vgpr 25
		.amdhsa_next_free_sgpr 14
		.amdhsa_named_barrier_count 0
		.amdhsa_reserve_vcc 1
		.amdhsa_float_round_mode_32 0
		.amdhsa_float_round_mode_16_64 0
		.amdhsa_float_denorm_mode_32 3
		.amdhsa_float_denorm_mode_16_64 3
		.amdhsa_fp16_overflow 0
		.amdhsa_memory_ordered 1
		.amdhsa_forward_progress 1
		.amdhsa_inst_pref_size 38
		.amdhsa_round_robin_scheduling 0
		.amdhsa_exception_fp_ieee_invalid_op 0
		.amdhsa_exception_fp_denorm_src 0
		.amdhsa_exception_fp_ieee_div_zero 0
		.amdhsa_exception_fp_ieee_overflow 0
		.amdhsa_exception_fp_ieee_underflow 0
		.amdhsa_exception_fp_ieee_inexact 0
		.amdhsa_exception_int_div_zero 0
	.end_amdhsa_kernel
	.section	.text._ZN2at6native29vectorized_elementwise_kernelILi8ENS0_13AUnaryFunctorIN3c104HalfES4_bNS0_12_GLOBAL__N_116CompareEqFunctorIS4_EEEESt5arrayIPcLm2EEEEviT0_T1_,"axG",@progbits,_ZN2at6native29vectorized_elementwise_kernelILi8ENS0_13AUnaryFunctorIN3c104HalfES4_bNS0_12_GLOBAL__N_116CompareEqFunctorIS4_EEEESt5arrayIPcLm2EEEEviT0_T1_,comdat
.Lfunc_end185:
	.size	_ZN2at6native29vectorized_elementwise_kernelILi8ENS0_13AUnaryFunctorIN3c104HalfES4_bNS0_12_GLOBAL__N_116CompareEqFunctorIS4_EEEESt5arrayIPcLm2EEEEviT0_T1_, .Lfunc_end185-_ZN2at6native29vectorized_elementwise_kernelILi8ENS0_13AUnaryFunctorIN3c104HalfES4_bNS0_12_GLOBAL__N_116CompareEqFunctorIS4_EEEESt5arrayIPcLm2EEEEviT0_T1_
                                        ; -- End function
	.set _ZN2at6native29vectorized_elementwise_kernelILi8ENS0_13AUnaryFunctorIN3c104HalfES4_bNS0_12_GLOBAL__N_116CompareEqFunctorIS4_EEEESt5arrayIPcLm2EEEEviT0_T1_.num_vgpr, 25
	.set _ZN2at6native29vectorized_elementwise_kernelILi8ENS0_13AUnaryFunctorIN3c104HalfES4_bNS0_12_GLOBAL__N_116CompareEqFunctorIS4_EEEESt5arrayIPcLm2EEEEviT0_T1_.num_agpr, 0
	.set _ZN2at6native29vectorized_elementwise_kernelILi8ENS0_13AUnaryFunctorIN3c104HalfES4_bNS0_12_GLOBAL__N_116CompareEqFunctorIS4_EEEESt5arrayIPcLm2EEEEviT0_T1_.numbered_sgpr, 14
	.set _ZN2at6native29vectorized_elementwise_kernelILi8ENS0_13AUnaryFunctorIN3c104HalfES4_bNS0_12_GLOBAL__N_116CompareEqFunctorIS4_EEEESt5arrayIPcLm2EEEEviT0_T1_.num_named_barrier, 0
	.set _ZN2at6native29vectorized_elementwise_kernelILi8ENS0_13AUnaryFunctorIN3c104HalfES4_bNS0_12_GLOBAL__N_116CompareEqFunctorIS4_EEEESt5arrayIPcLm2EEEEviT0_T1_.private_seg_size, 0
	.set _ZN2at6native29vectorized_elementwise_kernelILi8ENS0_13AUnaryFunctorIN3c104HalfES4_bNS0_12_GLOBAL__N_116CompareEqFunctorIS4_EEEESt5arrayIPcLm2EEEEviT0_T1_.uses_vcc, 1
	.set _ZN2at6native29vectorized_elementwise_kernelILi8ENS0_13AUnaryFunctorIN3c104HalfES4_bNS0_12_GLOBAL__N_116CompareEqFunctorIS4_EEEESt5arrayIPcLm2EEEEviT0_T1_.uses_flat_scratch, 0
	.set _ZN2at6native29vectorized_elementwise_kernelILi8ENS0_13AUnaryFunctorIN3c104HalfES4_bNS0_12_GLOBAL__N_116CompareEqFunctorIS4_EEEESt5arrayIPcLm2EEEEviT0_T1_.has_dyn_sized_stack, 0
	.set _ZN2at6native29vectorized_elementwise_kernelILi8ENS0_13AUnaryFunctorIN3c104HalfES4_bNS0_12_GLOBAL__N_116CompareEqFunctorIS4_EEEESt5arrayIPcLm2EEEEviT0_T1_.has_recursion, 0
	.set _ZN2at6native29vectorized_elementwise_kernelILi8ENS0_13AUnaryFunctorIN3c104HalfES4_bNS0_12_GLOBAL__N_116CompareEqFunctorIS4_EEEESt5arrayIPcLm2EEEEviT0_T1_.has_indirect_call, 0
	.section	.AMDGPU.csdata,"",@progbits
; Kernel info:
; codeLenInByte = 4780
; TotalNumSgprs: 16
; NumVgprs: 25
; ScratchSize: 0
; MemoryBound: 0
; FloatMode: 240
; IeeeMode: 1
; LDSByteSize: 0 bytes/workgroup (compile time only)
; SGPRBlocks: 0
; VGPRBlocks: 1
; NumSGPRsForWavesPerEU: 16
; NumVGPRsForWavesPerEU: 25
; NamedBarCnt: 0
; Occupancy: 16
; WaveLimiterHint : 1
; COMPUTE_PGM_RSRC2:SCRATCH_EN: 0
; COMPUTE_PGM_RSRC2:USER_SGPR: 2
; COMPUTE_PGM_RSRC2:TRAP_HANDLER: 0
; COMPUTE_PGM_RSRC2:TGID_X_EN: 1
; COMPUTE_PGM_RSRC2:TGID_Y_EN: 0
; COMPUTE_PGM_RSRC2:TGID_Z_EN: 0
; COMPUTE_PGM_RSRC2:TIDIG_COMP_CNT: 0
	.section	.text._ZN2at6native29vectorized_elementwise_kernelILi4ENS0_13AUnaryFunctorIN3c104HalfES4_bNS0_12_GLOBAL__N_116CompareEqFunctorIS4_EEEESt5arrayIPcLm2EEEEviT0_T1_,"axG",@progbits,_ZN2at6native29vectorized_elementwise_kernelILi4ENS0_13AUnaryFunctorIN3c104HalfES4_bNS0_12_GLOBAL__N_116CompareEqFunctorIS4_EEEESt5arrayIPcLm2EEEEviT0_T1_,comdat
	.globl	_ZN2at6native29vectorized_elementwise_kernelILi4ENS0_13AUnaryFunctorIN3c104HalfES4_bNS0_12_GLOBAL__N_116CompareEqFunctorIS4_EEEESt5arrayIPcLm2EEEEviT0_T1_ ; -- Begin function _ZN2at6native29vectorized_elementwise_kernelILi4ENS0_13AUnaryFunctorIN3c104HalfES4_bNS0_12_GLOBAL__N_116CompareEqFunctorIS4_EEEESt5arrayIPcLm2EEEEviT0_T1_
	.p2align	8
	.type	_ZN2at6native29vectorized_elementwise_kernelILi4ENS0_13AUnaryFunctorIN3c104HalfES4_bNS0_12_GLOBAL__N_116CompareEqFunctorIS4_EEEESt5arrayIPcLm2EEEEviT0_T1_,@function
_ZN2at6native29vectorized_elementwise_kernelILi4ENS0_13AUnaryFunctorIN3c104HalfES4_bNS0_12_GLOBAL__N_116CompareEqFunctorIS4_EEEESt5arrayIPcLm2EEEEviT0_T1_: ; @_ZN2at6native29vectorized_elementwise_kernelILi4ENS0_13AUnaryFunctorIN3c104HalfES4_bNS0_12_GLOBAL__N_116CompareEqFunctorIS4_EEEESt5arrayIPcLm2EEEEviT0_T1_
; %bb.0:
	s_clause 0x1
	s_load_b96 s[8:10], s[0:1], 0x0
	s_load_b128 s[4:7], s[0:1], 0x10
	s_wait_xcnt 0x0
	s_bfe_u32 s0, ttmp6, 0x4000c
	s_and_b32 s1, ttmp6, 15
	s_add_co_i32 s0, s0, 1
	s_getreg_b32 s2, hwreg(HW_REG_IB_STS2, 6, 4)
	s_mul_i32 s0, ttmp9, s0
	s_delay_alu instid0(SALU_CYCLE_1) | instskip(SKIP_2) | instid1(SALU_CYCLE_1)
	s_add_co_i32 s1, s1, s0
	s_cmp_eq_u32 s2, 0
	s_cselect_b32 s0, ttmp9, s1
	s_lshl_b32 s2, s0, 12
	s_mov_b32 s0, -1
	s_wait_kmcnt 0x0
	s_sub_co_i32 s8, s8, s2
	s_delay_alu instid0(SALU_CYCLE_1)
	s_cmp_gt_i32 s8, 0xfff
	s_cbranch_scc0 .LBB186_2
; %bb.1:
	s_ashr_i32 s3, s2, 31
	s_delay_alu instid0(SALU_CYCLE_1)
	s_lshl_b64 s[0:1], s[2:3], 1
	s_cmp_eq_u32 s9, 0
	s_add_nc_u64 s[0:1], s[6:7], s[0:1]
	s_add_nc_u64 s[12:13], s[4:5], s[2:3]
	s_clause 0x3
	global_load_b64 v[2:3], v0, s[0:1] scale_offset
	global_load_b64 v[4:5], v0, s[0:1] offset:2048 scale_offset
	global_load_b64 v[6:7], v0, s[0:1] offset:4096 scale_offset
	;; [unrolled: 1-line block ×3, first 2 shown]
	s_wait_loadcnt 0x3
	v_cmp_eq_f16_e32 vcc_lo, s10, v2
	v_dual_lshrrev_b32 v1, 16, v2 :: v_dual_lshrrev_b32 v10, 16, v3
	s_wait_loadcnt 0x2
	v_dual_lshrrev_b32 v11, 16, v4 :: v_dual_lshrrev_b32 v12, 16, v5
	v_cndmask_b32_e64 v17, 0, 1, vcc_lo
	v_cmp_neq_f16_e32 vcc_lo, s10, v2
	s_wait_loadcnt 0x1
	v_dual_lshrrev_b32 v13, 16, v6 :: v_dual_lshrrev_b32 v14, 16, v7
	s_wait_loadcnt 0x0
	v_dual_lshrrev_b32 v15, 16, v8 :: v_dual_lshrrev_b32 v16, 16, v9
	v_cndmask_b32_e64 v2, 0, 1, vcc_lo
	v_cmp_eq_f16_e32 vcc_lo, s10, v3
	v_cmp_eq_f16_e64 s0, s10, v1
	v_cndmask_b32_e64 v18, 0, 1, vcc_lo
	v_cmp_neq_f16_e32 vcc_lo, s10, v3
	v_cndmask_b32_e64 v3, 0, 1, vcc_lo
	v_cmp_eq_f16_e32 vcc_lo, s10, v4
	v_cndmask_b32_e64 v19, 0, 1, vcc_lo
	v_cmp_neq_f16_e32 vcc_lo, s10, v4
	v_cndmask_b32_e64 v4, 0, 1, vcc_lo
	v_cmp_eq_f16_e32 vcc_lo, s10, v5
	;; [unrolled: 4-line block ×6, first 2 shown]
	v_cndmask_b32_e64 v24, 0, 1, vcc_lo
	v_cmp_neq_f16_e32 vcc_lo, s10, v9
	v_cndmask_b32_e64 v9, 0, 1, vcc_lo
	s_cselect_b32 vcc_lo, -1, 0
	v_dual_cndmask_b32 v2, v2, v17 :: v_dual_cndmask_b32 v3, v3, v18
	v_cndmask_b32_e64 v17, 0, 1, s0
	v_cmp_neq_f16_e64 s0, s10, v1
	v_dual_cndmask_b32 v4, v4, v19 :: v_dual_cndmask_b32 v5, v5, v20
	v_dual_cndmask_b32 v6, v6, v21 :: v_dual_cndmask_b32 v7, v7, v22
	s_delay_alu instid0(VALU_DEP_3) | instskip(SKIP_2) | instid1(VALU_DEP_2)
	v_cndmask_b32_e64 v1, 0, 1, s0
	v_cmp_eq_f16_e64 s0, s10, v10
	v_dual_cndmask_b32 v8, v8, v23 :: v_dual_cndmask_b32 v9, v9, v24
	v_cndmask_b32_e64 v18, 0, 1, s0
	v_cmp_neq_f16_e64 s0, s10, v10
	s_delay_alu instid0(VALU_DEP_1) | instskip(SKIP_1) | instid1(VALU_DEP_2)
	v_cndmask_b32_e64 v10, 0, 1, s0
	v_cmp_eq_f16_e64 s0, s10, v11
	v_dual_cndmask_b32 v1, v1, v17 :: v_dual_cndmask_b32 v10, v10, v18
	s_delay_alu instid0(VALU_DEP_2) | instskip(SKIP_1) | instid1(VALU_DEP_3)
	v_cndmask_b32_e64 v19, 0, 1, s0
	v_cmp_neq_f16_e64 s0, s10, v11
	v_and_b32_e32 v1, 1, v1
	s_delay_alu instid0(VALU_DEP_2) | instskip(SKIP_1) | instid1(VALU_DEP_3)
	v_cndmask_b32_e64 v11, 0, 1, s0
	v_cmp_eq_f16_e64 s0, s10, v12
	v_lshlrev_b16 v1, 8, v1
	s_delay_alu instid0(VALU_DEP_2) | instskip(SKIP_1) | instid1(VALU_DEP_3)
	v_cndmask_b32_e64 v20, 0, 1, s0
	v_cmp_neq_f16_e64 s0, s10, v12
	v_bitop3_b16 v1, v2, v1, 1 bitop3:0xec
	s_delay_alu instid0(VALU_DEP_2) | instskip(SKIP_2) | instid1(VALU_DEP_4)
	v_cndmask_b32_e64 v12, 0, 1, s0
	v_cmp_eq_f16_e64 s0, s10, v13
	v_cndmask_b32_e32 v11, v11, v19, vcc_lo
	v_and_b32_e32 v1, 0xffff, v1
	s_delay_alu instid0(VALU_DEP_4) | instskip(NEXT) | instid1(VALU_DEP_4)
	v_cndmask_b32_e32 v12, v12, v20, vcc_lo
	v_cndmask_b32_e64 v21, 0, 1, s0
	v_cmp_neq_f16_e64 s0, s10, v13
	s_delay_alu instid0(VALU_DEP_3) | instskip(NEXT) | instid1(VALU_DEP_2)
	v_and_b32_e32 v12, 1, v12
	v_cndmask_b32_e64 v13, 0, 1, s0
	v_cmp_eq_f16_e64 s0, s10, v14
	s_delay_alu instid0(VALU_DEP_3) | instskip(NEXT) | instid1(VALU_DEP_2)
	v_lshlrev_b16 v12, 8, v12
	v_cndmask_b32_e64 v22, 0, 1, s0
	v_cmp_neq_f16_e64 s0, s10, v14
	s_delay_alu instid0(VALU_DEP_3) | instskip(SKIP_1) | instid1(VALU_DEP_3)
	v_bitop3_b16 v5, v5, v12, 1 bitop3:0xec
	v_and_b32_e32 v10, 1, v10
	v_cndmask_b32_e64 v14, 0, 1, s0
	v_cmp_eq_f16_e64 s0, s10, v15
	v_cndmask_b32_e32 v13, v13, v21, vcc_lo
	v_lshlrev_b32_e32 v5, 16, v5
	v_lshlrev_b16 v10, 8, v10
	v_cndmask_b32_e32 v14, v14, v22, vcc_lo
	v_cndmask_b32_e64 v23, 0, 1, s0
	v_cmp_neq_f16_e64 s0, s10, v15
	v_and_b32_e32 v13, 1, v13
	v_bitop3_b16 v2, v3, v10, 1 bitop3:0xec
	v_and_b32_e32 v14, 1, v14
	s_delay_alu instid0(VALU_DEP_4) | instskip(SKIP_2) | instid1(VALU_DEP_4)
	v_cndmask_b32_e64 v15, 0, 1, s0
	v_cmp_eq_f16_e64 s0, s10, v16
	v_lshlrev_b16 v13, 8, v13
	v_lshlrev_b16 v14, 8, v14
	v_lshlrev_b32_e32 v2, 16, v2
	s_delay_alu instid0(VALU_DEP_4) | instskip(SKIP_1) | instid1(VALU_DEP_4)
	v_cndmask_b32_e64 v24, 0, 1, s0
	v_cmp_neq_f16_e64 s0, s10, v16
	v_bitop3_b16 v7, v7, v14, 1 bitop3:0xec
	v_bitop3_b16 v6, v6, v13, 1 bitop3:0xec
	v_or_b32_e32 v1, v1, v2
	s_delay_alu instid0(VALU_DEP_4) | instskip(SKIP_4) | instid1(VALU_DEP_3)
	v_cndmask_b32_e64 v16, 0, 1, s0
	v_cndmask_b32_e32 v15, v15, v23, vcc_lo
	v_lshlrev_b32_e32 v7, 16, v7
	v_and_b32_e32 v6, 0xffff, v6
	s_mov_b32 s0, 0
	v_dual_cndmask_b32 v16, v16, v24, vcc_lo :: v_dual_bitop2_b32 v15, 1, v15 bitop3:0x40
	s_delay_alu instid0(VALU_DEP_1) | instskip(NEXT) | instid1(VALU_DEP_2)
	v_and_b32_e32 v16, 1, v16
	v_lshlrev_b16 v15, 8, v15
	s_delay_alu instid0(VALU_DEP_2) | instskip(NEXT) | instid1(VALU_DEP_2)
	v_lshlrev_b16 v16, 8, v16
	v_bitop3_b16 v8, v8, v15, 1 bitop3:0xec
	s_delay_alu instid0(VALU_DEP_2) | instskip(SKIP_1) | instid1(VALU_DEP_3)
	v_bitop3_b16 v9, v9, v16, 1 bitop3:0xec
	v_and_b32_e32 v11, 1, v11
	v_and_b32_e32 v3, 0xffff, v8
	s_delay_alu instid0(VALU_DEP_3) | instskip(NEXT) | instid1(VALU_DEP_3)
	v_lshlrev_b32_e32 v8, 16, v9
	v_lshlrev_b16 v11, 8, v11
	s_delay_alu instid0(VALU_DEP_2) | instskip(NEXT) | instid1(VALU_DEP_2)
	v_or_b32_e32 v3, v3, v8
	v_bitop3_b16 v4, v4, v11, 1 bitop3:0xec
	s_delay_alu instid0(VALU_DEP_1) | instskip(NEXT) | instid1(VALU_DEP_1)
	v_and_b32_e32 v4, 0xffff, v4
	v_or_b32_e32 v2, v4, v5
	v_or_b32_e32 v4, v6, v7
	s_clause 0x3
	global_store_b32 v0, v1, s[12:13] scale_offset
	global_store_b32 v0, v2, s[12:13] offset:1024 scale_offset
	global_store_b32 v0, v4, s[12:13] offset:2048 scale_offset
	global_store_b32 v0, v3, s[12:13] offset:3072 scale_offset
.LBB186_2:
	s_and_not1_b32 vcc_lo, exec_lo, s0
	s_cbranch_vccnz .LBB186_52
; %bb.3:
	v_cmp_gt_i32_e32 vcc_lo, s8, v0
	s_wait_xcnt 0x3
	v_dual_mov_b32 v9, 0 :: v_dual_bitop2_b32 v1, s2, v0 bitop3:0x54
	s_wait_xcnt 0x2
	v_or_b32_e32 v2, 0x100, v0
	v_dual_mov_b32 v11, 0 :: v_dual_mov_b32 v13, v0
	s_wait_xcnt 0x0
	s_and_saveexec_b32 s0, vcc_lo
	s_cbranch_execz .LBB186_5
; %bb.4:
	global_load_u16 v11, v1, s[6:7] scale_offset
	v_or_b32_e32 v13, 0x100, v0
.LBB186_5:
	s_wait_xcnt 0x0
	s_or_b32 exec_lo, exec_lo, s0
	s_delay_alu instid0(SALU_CYCLE_1) | instskip(NEXT) | instid1(VALU_DEP_1)
	s_mov_b32 s1, exec_lo
	v_cmpx_gt_i32_e64 s8, v13
	s_cbranch_execz .LBB186_7
; %bb.6:
	v_add_nc_u32_e32 v3, s2, v13
	v_add_nc_u32_e32 v13, 0x100, v13
	global_load_u16 v9, v3, s[6:7] scale_offset
.LBB186_7:
	s_wait_xcnt 0x0
	s_or_b32 exec_lo, exec_lo, s1
	v_dual_mov_b32 v4, 0 :: v_dual_mov_b32 v7, 0
	s_mov_b32 s1, exec_lo
	v_cmpx_gt_i32_e64 s8, v13
	s_cbranch_execz .LBB186_9
; %bb.8:
	v_add_nc_u32_e32 v3, s2, v13
	v_add_nc_u32_e32 v13, 0x100, v13
	global_load_u16 v7, v3, s[6:7] scale_offset
.LBB186_9:
	s_wait_xcnt 0x0
	s_or_b32 exec_lo, exec_lo, s1
	s_delay_alu instid0(SALU_CYCLE_1)
	s_mov_b32 s1, exec_lo
	v_cmpx_gt_i32_e64 s8, v13
	s_cbranch_execz .LBB186_11
; %bb.10:
	v_add_nc_u32_e32 v3, s2, v13
	v_add_nc_u32_e32 v13, 0x100, v13
	global_load_u16 v4, v3, s[6:7] scale_offset
.LBB186_11:
	s_wait_xcnt 0x0
	s_or_b32 exec_lo, exec_lo, s1
	v_dual_mov_b32 v14, 0 :: v_dual_mov_b32 v16, 0
	s_mov_b32 s1, exec_lo
	v_cmpx_gt_i32_e64 s8, v13
	s_cbranch_execz .LBB186_13
; %bb.12:
	v_add_nc_u32_e32 v3, s2, v13
	v_add_nc_u32_e32 v13, 0x100, v13
	global_load_u16 v16, v3, s[6:7] scale_offset
.LBB186_13:
	s_wait_xcnt 0x0
	s_or_b32 exec_lo, exec_lo, s1
	s_delay_alu instid0(SALU_CYCLE_1)
	;; [unrolled: 22-line block ×7, first 2 shown]
	s_mov_b32 s1, exec_lo
	v_cmpx_gt_i32_e64 s8, v13
	s_cbranch_execz .LBB186_35
; %bb.34:
	v_add_nc_u32_e32 v12, s2, v13
	global_load_u16 v12, v12, s[6:7] scale_offset
.LBB186_35:
	s_wait_xcnt 0x0
	s_or_b32 exec_lo, exec_lo, s1
	s_wait_loadcnt 0x0
	v_cmp_eq_f16_e64 s0, s10, v11
	v_cmp_eq_f16_e64 s1, s10, v16
	s_cmp_eq_u32 s9, 0
	v_cndmask_b32_e64 v13, 0, 1, s0
	v_cmp_neq_f16_e64 s0, s10, v11
	s_delay_alu instid0(VALU_DEP_1) | instskip(SKIP_1) | instid1(VALU_DEP_1)
	v_cndmask_b32_e64 v11, 0, 1, s0
	v_cmp_eq_f16_e64 s0, s10, v9
	v_cndmask_b32_e64 v20, 0, 1, s0
	v_cmp_neq_f16_e64 s0, s10, v9
	s_delay_alu instid0(VALU_DEP_1) | instskip(SKIP_1) | instid1(SALU_CYCLE_1)
	v_cndmask_b32_e64 v9, 0, 1, s0
	s_cselect_b32 s0, -1, 0
	v_cndmask_b32_e64 v11, v11, v13, s0
	v_cndmask_b32_e64 v13, 0, 1, vcc_lo
	s_delay_alu instid0(VALU_DEP_3) | instskip(SKIP_2) | instid1(VALU_DEP_4)
	v_cndmask_b32_e64 v9, v9, v20, s0
	v_cndmask_b32_e64 v20, 0, 1, s1
	v_cmp_neq_f16_e64 s1, s10, v16
	v_and_b32_e32 v11, v13, v11
	s_delay_alu instid0(VALU_DEP_2) | instskip(SKIP_1) | instid1(VALU_DEP_2)
	v_cndmask_b32_e64 v16, 0, 1, s1
	v_cmp_eq_f16_e64 s1, s10, v14
	v_dual_cndmask_b32 v13, v16, v20, s0 :: v_dual_bitop2_b32 v9, 1, v9 bitop3:0x40
	s_delay_alu instid0(VALU_DEP_2) | instskip(SKIP_2) | instid1(VALU_DEP_4)
	v_cndmask_b32_e64 v16, 0, 1, s1
	v_cmp_neq_f16_e64 s1, s10, v14
	v_or_b32_e32 v20, 0x400, v0
	v_lshlrev_b16 v9, 8, v9
	v_bitop3_b16 v13, v13, 0, 1 bitop3:0xec
	s_delay_alu instid0(VALU_DEP_4) | instskip(SKIP_1) | instid1(VALU_DEP_3)
	v_cndmask_b32_e64 v14, 0, 1, s1
	v_cmp_eq_f16_e64 s1, s10, v7
	v_and_b32_e32 v13, 0xffff, v13
	s_delay_alu instid0(VALU_DEP_3) | instskip(NEXT) | instid1(VALU_DEP_3)
	v_cndmask_b32_e64 v14, v14, v16, s0
	v_cndmask_b32_e64 v16, 0, 1, s1
	v_cmp_neq_f16_e64 s1, s10, v7
	s_delay_alu instid0(VALU_DEP_1) | instskip(SKIP_1) | instid1(VALU_DEP_2)
	v_cndmask_b32_e64 v7, 0, 1, s1
	v_cmp_gt_i32_e64 s1, s8, v20
	v_dual_cndmask_b32 v7, v7, v16, s0 :: v_dual_bitop2_b32 v14, 1, v14 bitop3:0x40
	s_delay_alu instid0(VALU_DEP_2) | instskip(NEXT) | instid1(VALU_DEP_2)
	v_cndmask_b32_e64 v13, 0, v13, s1
	v_lshlrev_b16 v14, 8, v14
	v_cmp_gt_i32_e64 s1, s8, v2
	s_delay_alu instid0(VALU_DEP_2) | instskip(NEXT) | instid1(VALU_DEP_1)
	v_bitop3_b16 v14, v13, v14, 0xff bitop3:0xec
	v_and_b32_e32 v14, 0xffff, v14
	v_or_b32_e32 v9, v11, v9
	s_delay_alu instid0(VALU_DEP_1) | instskip(NEXT) | instid1(VALU_DEP_1)
	v_and_b32_e32 v9, 0xffff, v9
	v_cndmask_b32_e64 v9, v11, v9, s1
	v_cmp_eq_f16_e64 s1, s10, v4
	v_or_b32_e32 v11, 0x500, v0
	s_delay_alu instid0(VALU_DEP_2) | instskip(SKIP_1) | instid1(VALU_DEP_1)
	v_cndmask_b32_e64 v16, 0, 1, s1
	v_cmp_neq_f16_e64 s1, s10, v4
	v_cndmask_b32_e64 v4, 0, 1, s1
	s_delay_alu instid0(VALU_DEP_4) | instskip(NEXT) | instid1(VALU_DEP_1)
	v_cmp_gt_i32_e64 s1, s8, v11
	v_dual_cndmask_b32 v4, v4, v16, s0 :: v_dual_cndmask_b32 v11, v13, v14, s1
	v_cmp_eq_f16_e64 s1, s10, v15
	v_and_b32_e32 v7, 1, v7
	v_or_b32_e32 v13, 0x200, v0
	s_delay_alu instid0(VALU_DEP_4) | instskip(NEXT) | instid1(VALU_DEP_4)
	v_dual_lshrrev_b32 v14, 16, v11 :: v_dual_bitop2_b32 v4, 1, v4 bitop3:0x40
	v_cndmask_b32_e64 v16, 0, 1, s1
	v_cmp_neq_f16_e64 s1, s10, v15
	v_lshl_or_b32 v7, v7, 16, v9
	s_delay_alu instid0(VALU_DEP_4) | instskip(NEXT) | instid1(VALU_DEP_3)
	v_lshlrev_b16 v4, 8, v4
	v_cndmask_b32_e64 v15, 0, 1, s1
	v_cmp_gt_i32_e64 s1, s8, v13
	s_delay_alu instid0(VALU_DEP_1) | instskip(SKIP_2) | instid1(VALU_DEP_2)
	v_dual_cndmask_b32 v13, v15, v16, s0 :: v_dual_cndmask_b32 v7, v9, v7, s1
	v_and_b32_e32 v9, 0xffffff00, v14
	v_cmp_eq_f16_e64 s1, s10, v10
	v_bitop3_b16 v9, v13, v9, 1 bitop3:0xec
	s_delay_alu instid0(VALU_DEP_2) | instskip(SKIP_1) | instid1(VALU_DEP_3)
	v_cndmask_b32_e64 v13, 0, 1, s1
	v_cmp_neq_f16_e64 s1, s10, v10
	v_dual_lshrrev_b32 v14, 16, v7 :: v_dual_lshlrev_b32 v9, 16, v9
	s_delay_alu instid0(VALU_DEP_2) | instskip(SKIP_1) | instid1(VALU_DEP_3)
	v_cndmask_b32_e64 v10, 0, 1, s1
	v_cmp_eq_f16_e64 s1, s10, v6
	v_bitop3_b16 v4, v14, v4, 0xff bitop3:0xec
	v_or_b32_e32 v14, 0x600, v0
	v_and_or_b32 v9, 0xffff, v11, v9
	v_cndmask_b32_e64 v10, v10, v13, s0
	v_cndmask_b32_e64 v15, 0, 1, s1
	v_cmp_eq_f16_e64 s1, s10, v19
	v_lshlrev_b32_e32 v4, 16, v4
	v_or_b32_e32 v13, 0x800, v0
	v_and_b32_e32 v10, 1, v10
	s_delay_alu instid0(VALU_DEP_4) | instskip(SKIP_2) | instid1(VALU_DEP_4)
	v_cndmask_b32_e64 v16, 0, 1, s1
	v_cmp_neq_f16_e64 s1, s10, v19
	v_and_or_b32 v4, 0xffff, v7, v4
	v_lshlrev_b16 v10, 8, v10
	s_delay_alu instid0(VALU_DEP_3) | instskip(SKIP_1) | instid1(VALU_DEP_1)
	v_cndmask_b32_e64 v19, 0, 1, s1
	v_cmp_eq_f16_e64 s1, s10, v18
	v_cndmask_b32_e64 v20, 0, 1, s1
	v_cmp_neq_f16_e64 s1, s10, v18
	s_delay_alu instid0(VALU_DEP_1) | instskip(SKIP_1) | instid1(VALU_DEP_1)
	v_cndmask_b32_e64 v18, 0, 1, s1
	v_cmp_neq_f16_e64 s1, s10, v6
	v_cndmask_b32_e64 v6, 0, 1, s1
	v_cmp_eq_f16_e64 s1, s10, v5
	s_delay_alu instid0(VALU_DEP_2) | instskip(NEXT) | instid1(VALU_DEP_2)
	v_cndmask_b32_e64 v6, v6, v15, s0
	v_cndmask_b32_e64 v21, 0, 1, s1
	v_cmp_neq_f16_e64 s1, s10, v5
	s_delay_alu instid0(VALU_DEP_1) | instskip(NEXT) | instid1(VALU_DEP_1)
	v_cndmask_b32_e64 v5, 0, 1, s1
	v_dual_cndmask_b32 v18, v18, v20, s0 :: v_dual_cndmask_b32 v5, v5, v21, s0
	s_delay_alu instid0(VALU_DEP_1) | instskip(SKIP_1) | instid1(VALU_DEP_3)
	v_dual_cndmask_b32 v16, v19, v16, s0 :: v_dual_bitop2_b32 v18, 1, v18 bitop3:0x40
	v_or_b32_e32 v19, 0xc00, v0
	v_and_b32_e32 v5, 1, v5
	s_delay_alu instid0(VALU_DEP_3) | instskip(NEXT) | instid1(VALU_DEP_3)
	v_and_b32_e32 v16, 1, v16
	v_cmp_gt_i32_e64 s1, s8, v19
	s_delay_alu instid0(VALU_DEP_3) | instskip(NEXT) | instid1(VALU_DEP_2)
	v_lshlrev_b16 v5, 8, v5
	v_cndmask_b32_e64 v15, 0, v16, s1
	v_cmp_gt_i32_e64 s1, s8, v13
	v_lshlrev_b16 v16, 8, v18
	s_delay_alu instid0(VALU_DEP_2) | instskip(SKIP_1) | instid1(VALU_DEP_1)
	v_cndmask_b32_e64 v13, 0, 1, s1
	v_cmp_gt_i32_e64 s1, s8, v14
	v_cndmask_b32_e64 v9, v11, v9, s1
	s_delay_alu instid0(VALU_DEP_4) | instskip(SKIP_1) | instid1(VALU_DEP_2)
	v_bitop3_b16 v11, v15, v16, 0xff bitop3:0xec
	v_cmp_eq_f16_e64 s1, s10, v8
	v_and_b32_e32 v11, 0xffff, v11
	v_and_b32_e32 v6, v13, v6
	v_or_b32_e32 v13, 0xd00, v0
	s_delay_alu instid0(VALU_DEP_4) | instskip(SKIP_1) | instid1(VALU_DEP_1)
	v_cndmask_b32_e64 v14, 0, 1, s1
	v_cmp_neq_f16_e64 s1, s10, v8
	v_cndmask_b32_e64 v8, 0, 1, s1
	s_delay_alu instid0(VALU_DEP_4) | instskip(NEXT) | instid1(VALU_DEP_2)
	v_cmp_gt_i32_e64 s1, s8, v13
	v_dual_lshrrev_b32 v13, 16, v9 :: v_dual_cndmask_b32 v8, v8, v14, s0
	s_delay_alu instid0(VALU_DEP_2) | instskip(SKIP_1) | instid1(VALU_DEP_2)
	v_cndmask_b32_e64 v11, v15, v11, s1
	v_cmp_eq_f16_e64 s1, s10, v17
	v_dual_lshrrev_b32 v14, 16, v11 :: v_dual_bitop2_b32 v5, v6, v5 bitop3:0x54
	s_delay_alu instid0(VALU_DEP_2) | instskip(SKIP_2) | instid1(VALU_DEP_4)
	v_cndmask_b32_e64 v15, 0, 1, s1
	v_cmp_neq_f16_e64 s1, s10, v17
	v_or_b32_e32 v17, 0x900, v0
	v_and_b32_e32 v5, 0xffff, v5
	v_and_b32_e32 v14, 0xffffff00, v14
	s_delay_alu instid0(VALU_DEP_4) | instskip(NEXT) | instid1(VALU_DEP_4)
	v_cndmask_b32_e64 v16, 0, 1, s1
	v_cmp_gt_i32_e64 s1, s8, v17
	s_delay_alu instid0(VALU_DEP_2) | instskip(NEXT) | instid1(VALU_DEP_1)
	v_dual_cndmask_b32 v15, v16, v15, s0 :: v_dual_bitop2_b32 v8, 1, v8 bitop3:0x40
	v_dual_cndmask_b32 v5, v6, v5, s1 :: v_dual_lshlrev_b32 v8, 16, v8
	v_cmp_eq_f16_e64 s1, s10, v3
	v_or_b32_e32 v6, 0xa00, v0
	s_delay_alu instid0(VALU_DEP_4) | instskip(NEXT) | instid1(VALU_DEP_4)
	v_bitop3_b16 v14, v15, v14, 1 bitop3:0xec
	v_and_or_b32 v8, 0x1ff, v5, v8
	s_delay_alu instid0(VALU_DEP_4) | instskip(SKIP_1) | instid1(VALU_DEP_1)
	v_cndmask_b32_e64 v15, 0, 1, s1
	v_cmp_neq_f16_e64 s1, s10, v3
	v_cndmask_b32_e64 v3, 0, 1, s1
	v_cmp_eq_f16_e64 s1, s10, v12
	s_delay_alu instid0(VALU_DEP_2) | instskip(NEXT) | instid1(VALU_DEP_2)
	v_dual_lshlrev_b32 v14, 16, v14 :: v_dual_cndmask_b32 v3, v3, v15, s0
	v_cndmask_b32_e64 v16, 0, 1, s1
	v_cmp_neq_f16_e64 s1, s10, v12
	v_or_b32_e32 v15, 0xe00, v0
	s_delay_alu instid0(VALU_DEP_4) | instskip(SKIP_1) | instid1(VALU_DEP_4)
	v_and_or_b32 v14, 0xffff, v11, v14
	v_and_b32_e32 v3, 1, v3
	v_cndmask_b32_e64 v12, 0, 1, s1
	s_delay_alu instid0(VALU_DEP_2) | instskip(NEXT) | instid1(VALU_DEP_2)
	v_lshlrev_b16 v3, 8, v3
	v_cndmask_b32_e64 v12, v12, v16, s0
	v_cmp_gt_i32_e64 s0, s8, v6
	v_bitop3_b16 v6, v13, v10, 0xff bitop3:0xec
	v_or_b32_e32 v13, 0x300, v0
	s_delay_alu instid0(VALU_DEP_3) | instskip(SKIP_1) | instid1(VALU_DEP_1)
	v_cndmask_b32_e64 v8, v5, v8, s0
	v_cmp_gt_i32_e64 s0, s8, v15
	v_dual_cndmask_b32 v11, v11, v14, s0 :: v_dual_bitop2_b32 v5, 1, v12 bitop3:0x40
	s_delay_alu instid0(VALU_DEP_3) | instskip(SKIP_1) | instid1(VALU_DEP_3)
	v_lshrrev_b32_e32 v10, 16, v8
	v_cmp_gt_i32_e64 s0, s8, v13
	v_lshrrev_b32_e32 v12, 16, v11
	s_delay_alu instid0(VALU_DEP_4) | instskip(NEXT) | instid1(VALU_DEP_4)
	v_lshlrev_b16 v5, 8, v5
	v_bitop3_b16 v3, v10, v3, 0xff bitop3:0xec
	s_delay_alu instid0(VALU_DEP_4) | instskip(SKIP_1) | instid1(VALU_DEP_4)
	v_dual_lshlrev_b32 v10, 16, v6 :: v_dual_cndmask_b32 v6, v7, v4, s0
	v_or_b32_e32 v4, 0x700, v0
	v_bitop3_b16 v5, v12, v5, 0xff bitop3:0xec
	s_delay_alu instid0(VALU_DEP_4) | instskip(NEXT) | instid1(VALU_DEP_4)
	v_lshlrev_b32_e32 v3, 16, v3
	v_and_or_b32 v7, 0xffff, v9, v10
	v_or_b32_e32 v10, 0xb00, v0
	v_cmp_gt_i32_e64 s0, s8, v4
	v_or_b32_e32 v12, 0xf00, v0
	v_and_or_b32 v3, 0xffff, v8, v3
	v_lshlrev_b32_e32 v5, 16, v5
	s_delay_alu instid0(VALU_DEP_1) | instskip(SKIP_2) | instid1(VALU_DEP_1)
	v_and_or_b32 v13, 0xffff, v11, v5
	v_cndmask_b32_e64 v5, v9, v7, s0
	v_cmp_gt_i32_e64 s0, s8, v10
	v_cndmask_b32_e64 v4, v8, v3, s0
	v_cmp_gt_i32_e64 s0, s8, v12
	s_delay_alu instid0(VALU_DEP_1)
	v_cndmask_b32_e64 v3, v11, v13, s0
	s_and_saveexec_b32 s0, vcc_lo
	s_cbranch_execnz .LBB186_53
; %bb.36:
	s_or_b32 exec_lo, exec_lo, s0
	s_delay_alu instid0(SALU_CYCLE_1)
	s_mov_b32 s0, exec_lo
	v_cmpx_gt_i32_e64 s8, v0
	s_cbranch_execnz .LBB186_54
.LBB186_37:
	s_or_b32 exec_lo, exec_lo, s0
	s_delay_alu instid0(SALU_CYCLE_1)
	s_mov_b32 s0, exec_lo
	v_cmpx_gt_i32_e64 s8, v0
	s_cbranch_execnz .LBB186_55
.LBB186_38:
	s_or_b32 exec_lo, exec_lo, s0
	s_delay_alu instid0(SALU_CYCLE_1)
	s_mov_b32 s0, exec_lo
	v_cmpx_gt_i32_e64 s8, v0
	s_cbranch_execnz .LBB186_56
.LBB186_39:
	s_or_b32 exec_lo, exec_lo, s0
	s_delay_alu instid0(SALU_CYCLE_1)
	s_mov_b32 s0, exec_lo
	v_cmpx_gt_i32_e64 s8, v0
	s_cbranch_execnz .LBB186_57
.LBB186_40:
	s_or_b32 exec_lo, exec_lo, s0
	s_delay_alu instid0(SALU_CYCLE_1)
	s_mov_b32 s0, exec_lo
	v_cmpx_gt_i32_e64 s8, v0
	s_cbranch_execnz .LBB186_58
.LBB186_41:
	s_or_b32 exec_lo, exec_lo, s0
	s_delay_alu instid0(SALU_CYCLE_1)
	s_mov_b32 s0, exec_lo
	v_cmpx_gt_i32_e64 s8, v0
	s_cbranch_execnz .LBB186_59
.LBB186_42:
	s_or_b32 exec_lo, exec_lo, s0
	s_delay_alu instid0(SALU_CYCLE_1)
	s_mov_b32 s0, exec_lo
	v_cmpx_gt_i32_e64 s8, v0
	s_cbranch_execnz .LBB186_60
.LBB186_43:
	s_or_b32 exec_lo, exec_lo, s0
	s_delay_alu instid0(SALU_CYCLE_1)
	s_mov_b32 s0, exec_lo
	v_cmpx_gt_i32_e64 s8, v0
	s_cbranch_execnz .LBB186_61
.LBB186_44:
	s_or_b32 exec_lo, exec_lo, s0
	s_delay_alu instid0(SALU_CYCLE_1)
	s_mov_b32 s0, exec_lo
	v_cmpx_gt_i32_e64 s8, v0
	s_cbranch_execnz .LBB186_62
.LBB186_45:
	s_or_b32 exec_lo, exec_lo, s0
	s_delay_alu instid0(SALU_CYCLE_1)
	s_mov_b32 s0, exec_lo
	v_cmpx_gt_i32_e64 s8, v0
	s_cbranch_execnz .LBB186_63
.LBB186_46:
	s_or_b32 exec_lo, exec_lo, s0
	s_delay_alu instid0(SALU_CYCLE_1)
	s_mov_b32 s0, exec_lo
	v_cmpx_gt_i32_e64 s8, v0
	s_cbranch_execnz .LBB186_64
.LBB186_47:
	s_or_b32 exec_lo, exec_lo, s0
	s_delay_alu instid0(SALU_CYCLE_1)
	s_mov_b32 s0, exec_lo
	v_cmpx_gt_i32_e64 s8, v0
	s_cbranch_execnz .LBB186_65
.LBB186_48:
	s_or_b32 exec_lo, exec_lo, s0
	s_delay_alu instid0(SALU_CYCLE_1)
	s_mov_b32 s0, exec_lo
	v_cmpx_gt_i32_e64 s8, v0
	s_cbranch_execnz .LBB186_66
.LBB186_49:
	s_or_b32 exec_lo, exec_lo, s0
	s_delay_alu instid0(SALU_CYCLE_1)
	s_mov_b32 s0, exec_lo
	v_cmpx_gt_i32_e64 s8, v0
	s_cbranch_execnz .LBB186_67
.LBB186_50:
	s_or_b32 exec_lo, exec_lo, s0
	s_delay_alu instid0(SALU_CYCLE_1)
	s_mov_b32 s0, exec_lo
	v_cmpx_gt_i32_e64 s8, v0
	s_cbranch_execz .LBB186_52
.LBB186_51:
	v_dual_lshrrev_b32 v1, 24, v3 :: v_dual_add_nc_u32 v0, s2, v0
	global_store_b8 v0, v1, s[4:5]
.LBB186_52:
	s_endpgm
.LBB186_53:
	v_mov_b32_e32 v0, v2
	global_store_b8 v1, v6, s[4:5]
	s_wait_xcnt 0x0
	s_or_b32 exec_lo, exec_lo, s0
	s_delay_alu instid0(SALU_CYCLE_1)
	s_mov_b32 s0, exec_lo
	v_cmpx_gt_i32_e64 s8, v0
	s_cbranch_execz .LBB186_37
.LBB186_54:
	v_dual_lshrrev_b32 v1, 8, v6 :: v_dual_add_nc_u32 v2, s2, v0
	v_add_nc_u32_e32 v0, 0x100, v0
	global_store_b8 v2, v1, s[4:5]
	s_wait_xcnt 0x0
	s_or_b32 exec_lo, exec_lo, s0
	s_delay_alu instid0(SALU_CYCLE_1)
	s_mov_b32 s0, exec_lo
	v_cmpx_gt_i32_e64 s8, v0
	s_cbranch_execz .LBB186_38
.LBB186_55:
	v_add_nc_u32_e32 v1, s2, v0
	v_add_nc_u32_e32 v0, 0x100, v0
	global_store_d16_hi_b8 v1, v6, s[4:5]
	s_wait_xcnt 0x0
	s_or_b32 exec_lo, exec_lo, s0
	s_delay_alu instid0(SALU_CYCLE_1)
	s_mov_b32 s0, exec_lo
	v_cmpx_gt_i32_e64 s8, v0
	s_cbranch_execz .LBB186_39
.LBB186_56:
	v_dual_lshrrev_b32 v1, 24, v6 :: v_dual_add_nc_u32 v2, s2, v0
	v_add_nc_u32_e32 v0, 0x100, v0
	global_store_b8 v2, v1, s[4:5]
	s_wait_xcnt 0x0
	s_or_b32 exec_lo, exec_lo, s0
	s_delay_alu instid0(SALU_CYCLE_1)
	s_mov_b32 s0, exec_lo
	v_cmpx_gt_i32_e64 s8, v0
	s_cbranch_execz .LBB186_40
.LBB186_57:
	v_add_nc_u32_e32 v1, s2, v0
	v_add_nc_u32_e32 v0, 0x100, v0
	global_store_b8 v1, v5, s[4:5]
	s_wait_xcnt 0x0
	s_or_b32 exec_lo, exec_lo, s0
	s_delay_alu instid0(SALU_CYCLE_1)
	s_mov_b32 s0, exec_lo
	v_cmpx_gt_i32_e64 s8, v0
	s_cbranch_execz .LBB186_41
.LBB186_58:
	v_dual_lshrrev_b32 v1, 8, v5 :: v_dual_add_nc_u32 v2, s2, v0
	v_add_nc_u32_e32 v0, 0x100, v0
	global_store_b8 v2, v1, s[4:5]
	s_wait_xcnt 0x0
	s_or_b32 exec_lo, exec_lo, s0
	s_delay_alu instid0(SALU_CYCLE_1)
	s_mov_b32 s0, exec_lo
	v_cmpx_gt_i32_e64 s8, v0
	s_cbranch_execz .LBB186_42
.LBB186_59:
	v_add_nc_u32_e32 v1, s2, v0
	v_add_nc_u32_e32 v0, 0x100, v0
	global_store_d16_hi_b8 v1, v5, s[4:5]
	s_wait_xcnt 0x0
	s_or_b32 exec_lo, exec_lo, s0
	s_delay_alu instid0(SALU_CYCLE_1)
	s_mov_b32 s0, exec_lo
	v_cmpx_gt_i32_e64 s8, v0
	s_cbranch_execz .LBB186_43
.LBB186_60:
	v_dual_lshrrev_b32 v1, 24, v5 :: v_dual_add_nc_u32 v2, s2, v0
	v_add_nc_u32_e32 v0, 0x100, v0
	global_store_b8 v2, v1, s[4:5]
	s_wait_xcnt 0x0
	s_or_b32 exec_lo, exec_lo, s0
	s_delay_alu instid0(SALU_CYCLE_1)
	s_mov_b32 s0, exec_lo
	v_cmpx_gt_i32_e64 s8, v0
	s_cbranch_execz .LBB186_44
.LBB186_61:
	v_add_nc_u32_e32 v1, s2, v0
	v_add_nc_u32_e32 v0, 0x100, v0
	global_store_b8 v1, v4, s[4:5]
	s_wait_xcnt 0x0
	s_or_b32 exec_lo, exec_lo, s0
	s_delay_alu instid0(SALU_CYCLE_1)
	s_mov_b32 s0, exec_lo
	v_cmpx_gt_i32_e64 s8, v0
	s_cbranch_execz .LBB186_45
.LBB186_62:
	v_lshrrev_b32_e32 v1, 8, v4
	v_add_nc_u32_e32 v2, s2, v0
	v_add_nc_u32_e32 v0, 0x100, v0
	global_store_b8 v2, v1, s[4:5]
	s_wait_xcnt 0x0
	s_or_b32 exec_lo, exec_lo, s0
	s_delay_alu instid0(SALU_CYCLE_1)
	s_mov_b32 s0, exec_lo
	v_cmpx_gt_i32_e64 s8, v0
	s_cbranch_execz .LBB186_46
.LBB186_63:
	v_add_nc_u32_e32 v1, s2, v0
	v_add_nc_u32_e32 v0, 0x100, v0
	global_store_d16_hi_b8 v1, v4, s[4:5]
	s_wait_xcnt 0x0
	s_or_b32 exec_lo, exec_lo, s0
	s_delay_alu instid0(SALU_CYCLE_1)
	s_mov_b32 s0, exec_lo
	v_cmpx_gt_i32_e64 s8, v0
	s_cbranch_execz .LBB186_47
.LBB186_64:
	v_lshrrev_b32_e32 v1, 24, v4
	v_add_nc_u32_e32 v2, s2, v0
	v_add_nc_u32_e32 v0, 0x100, v0
	global_store_b8 v2, v1, s[4:5]
	s_wait_xcnt 0x0
	s_or_b32 exec_lo, exec_lo, s0
	s_delay_alu instid0(SALU_CYCLE_1)
	s_mov_b32 s0, exec_lo
	v_cmpx_gt_i32_e64 s8, v0
	s_cbranch_execz .LBB186_48
.LBB186_65:
	v_add_nc_u32_e32 v1, s2, v0
	v_add_nc_u32_e32 v0, 0x100, v0
	global_store_b8 v1, v3, s[4:5]
	s_wait_xcnt 0x0
	s_or_b32 exec_lo, exec_lo, s0
	s_delay_alu instid0(SALU_CYCLE_1)
	s_mov_b32 s0, exec_lo
	v_cmpx_gt_i32_e64 s8, v0
	s_cbranch_execz .LBB186_49
.LBB186_66:
	v_dual_lshrrev_b32 v1, 8, v3 :: v_dual_add_nc_u32 v2, s2, v0
	v_add_nc_u32_e32 v0, 0x100, v0
	global_store_b8 v2, v1, s[4:5]
	s_wait_xcnt 0x0
	s_or_b32 exec_lo, exec_lo, s0
	s_delay_alu instid0(SALU_CYCLE_1)
	s_mov_b32 s0, exec_lo
	v_cmpx_gt_i32_e64 s8, v0
	s_cbranch_execz .LBB186_50
.LBB186_67:
	v_add_nc_u32_e32 v1, s2, v0
	v_add_nc_u32_e32 v0, 0x100, v0
	global_store_d16_hi_b8 v1, v3, s[4:5]
	s_wait_xcnt 0x0
	s_or_b32 exec_lo, exec_lo, s0
	s_delay_alu instid0(SALU_CYCLE_1)
	s_mov_b32 s0, exec_lo
	v_cmpx_gt_i32_e64 s8, v0
	s_cbranch_execnz .LBB186_51
	s_branch .LBB186_52
	.section	.rodata,"a",@progbits
	.p2align	6, 0x0
	.amdhsa_kernel _ZN2at6native29vectorized_elementwise_kernelILi4ENS0_13AUnaryFunctorIN3c104HalfES4_bNS0_12_GLOBAL__N_116CompareEqFunctorIS4_EEEESt5arrayIPcLm2EEEEviT0_T1_
		.amdhsa_group_segment_fixed_size 0
		.amdhsa_private_segment_fixed_size 0
		.amdhsa_kernarg_size 32
		.amdhsa_user_sgpr_count 2
		.amdhsa_user_sgpr_dispatch_ptr 0
		.amdhsa_user_sgpr_queue_ptr 0
		.amdhsa_user_sgpr_kernarg_segment_ptr 1
		.amdhsa_user_sgpr_dispatch_id 0
		.amdhsa_user_sgpr_kernarg_preload_length 0
		.amdhsa_user_sgpr_kernarg_preload_offset 0
		.amdhsa_user_sgpr_private_segment_size 0
		.amdhsa_wavefront_size32 1
		.amdhsa_uses_dynamic_stack 0
		.amdhsa_enable_private_segment 0
		.amdhsa_system_sgpr_workgroup_id_x 1
		.amdhsa_system_sgpr_workgroup_id_y 0
		.amdhsa_system_sgpr_workgroup_id_z 0
		.amdhsa_system_sgpr_workgroup_info 0
		.amdhsa_system_vgpr_workitem_id 0
		.amdhsa_next_free_vgpr 25
		.amdhsa_next_free_sgpr 14
		.amdhsa_named_barrier_count 0
		.amdhsa_reserve_vcc 1
		.amdhsa_float_round_mode_32 0
		.amdhsa_float_round_mode_16_64 0
		.amdhsa_float_denorm_mode_32 3
		.amdhsa_float_denorm_mode_16_64 3
		.amdhsa_fp16_overflow 0
		.amdhsa_memory_ordered 1
		.amdhsa_forward_progress 1
		.amdhsa_inst_pref_size 38
		.amdhsa_round_robin_scheduling 0
		.amdhsa_exception_fp_ieee_invalid_op 0
		.amdhsa_exception_fp_denorm_src 0
		.amdhsa_exception_fp_ieee_div_zero 0
		.amdhsa_exception_fp_ieee_overflow 0
		.amdhsa_exception_fp_ieee_underflow 0
		.amdhsa_exception_fp_ieee_inexact 0
		.amdhsa_exception_int_div_zero 0
	.end_amdhsa_kernel
	.section	.text._ZN2at6native29vectorized_elementwise_kernelILi4ENS0_13AUnaryFunctorIN3c104HalfES4_bNS0_12_GLOBAL__N_116CompareEqFunctorIS4_EEEESt5arrayIPcLm2EEEEviT0_T1_,"axG",@progbits,_ZN2at6native29vectorized_elementwise_kernelILi4ENS0_13AUnaryFunctorIN3c104HalfES4_bNS0_12_GLOBAL__N_116CompareEqFunctorIS4_EEEESt5arrayIPcLm2EEEEviT0_T1_,comdat
.Lfunc_end186:
	.size	_ZN2at6native29vectorized_elementwise_kernelILi4ENS0_13AUnaryFunctorIN3c104HalfES4_bNS0_12_GLOBAL__N_116CompareEqFunctorIS4_EEEESt5arrayIPcLm2EEEEviT0_T1_, .Lfunc_end186-_ZN2at6native29vectorized_elementwise_kernelILi4ENS0_13AUnaryFunctorIN3c104HalfES4_bNS0_12_GLOBAL__N_116CompareEqFunctorIS4_EEEESt5arrayIPcLm2EEEEviT0_T1_
                                        ; -- End function
	.set _ZN2at6native29vectorized_elementwise_kernelILi4ENS0_13AUnaryFunctorIN3c104HalfES4_bNS0_12_GLOBAL__N_116CompareEqFunctorIS4_EEEESt5arrayIPcLm2EEEEviT0_T1_.num_vgpr, 25
	.set _ZN2at6native29vectorized_elementwise_kernelILi4ENS0_13AUnaryFunctorIN3c104HalfES4_bNS0_12_GLOBAL__N_116CompareEqFunctorIS4_EEEESt5arrayIPcLm2EEEEviT0_T1_.num_agpr, 0
	.set _ZN2at6native29vectorized_elementwise_kernelILi4ENS0_13AUnaryFunctorIN3c104HalfES4_bNS0_12_GLOBAL__N_116CompareEqFunctorIS4_EEEESt5arrayIPcLm2EEEEviT0_T1_.numbered_sgpr, 14
	.set _ZN2at6native29vectorized_elementwise_kernelILi4ENS0_13AUnaryFunctorIN3c104HalfES4_bNS0_12_GLOBAL__N_116CompareEqFunctorIS4_EEEESt5arrayIPcLm2EEEEviT0_T1_.num_named_barrier, 0
	.set _ZN2at6native29vectorized_elementwise_kernelILi4ENS0_13AUnaryFunctorIN3c104HalfES4_bNS0_12_GLOBAL__N_116CompareEqFunctorIS4_EEEESt5arrayIPcLm2EEEEviT0_T1_.private_seg_size, 0
	.set _ZN2at6native29vectorized_elementwise_kernelILi4ENS0_13AUnaryFunctorIN3c104HalfES4_bNS0_12_GLOBAL__N_116CompareEqFunctorIS4_EEEESt5arrayIPcLm2EEEEviT0_T1_.uses_vcc, 1
	.set _ZN2at6native29vectorized_elementwise_kernelILi4ENS0_13AUnaryFunctorIN3c104HalfES4_bNS0_12_GLOBAL__N_116CompareEqFunctorIS4_EEEESt5arrayIPcLm2EEEEviT0_T1_.uses_flat_scratch, 0
	.set _ZN2at6native29vectorized_elementwise_kernelILi4ENS0_13AUnaryFunctorIN3c104HalfES4_bNS0_12_GLOBAL__N_116CompareEqFunctorIS4_EEEESt5arrayIPcLm2EEEEviT0_T1_.has_dyn_sized_stack, 0
	.set _ZN2at6native29vectorized_elementwise_kernelILi4ENS0_13AUnaryFunctorIN3c104HalfES4_bNS0_12_GLOBAL__N_116CompareEqFunctorIS4_EEEESt5arrayIPcLm2EEEEviT0_T1_.has_recursion, 0
	.set _ZN2at6native29vectorized_elementwise_kernelILi4ENS0_13AUnaryFunctorIN3c104HalfES4_bNS0_12_GLOBAL__N_116CompareEqFunctorIS4_EEEESt5arrayIPcLm2EEEEviT0_T1_.has_indirect_call, 0
	.section	.AMDGPU.csdata,"",@progbits
; Kernel info:
; codeLenInByte = 4844
; TotalNumSgprs: 16
; NumVgprs: 25
; ScratchSize: 0
; MemoryBound: 0
; FloatMode: 240
; IeeeMode: 1
; LDSByteSize: 0 bytes/workgroup (compile time only)
; SGPRBlocks: 0
; VGPRBlocks: 1
; NumSGPRsForWavesPerEU: 16
; NumVGPRsForWavesPerEU: 25
; NamedBarCnt: 0
; Occupancy: 16
; WaveLimiterHint : 1
; COMPUTE_PGM_RSRC2:SCRATCH_EN: 0
; COMPUTE_PGM_RSRC2:USER_SGPR: 2
; COMPUTE_PGM_RSRC2:TRAP_HANDLER: 0
; COMPUTE_PGM_RSRC2:TGID_X_EN: 1
; COMPUTE_PGM_RSRC2:TGID_Y_EN: 0
; COMPUTE_PGM_RSRC2:TGID_Z_EN: 0
; COMPUTE_PGM_RSRC2:TIDIG_COMP_CNT: 0
	.section	.text._ZN2at6native29vectorized_elementwise_kernelILi2ENS0_13AUnaryFunctorIN3c104HalfES4_bNS0_12_GLOBAL__N_116CompareEqFunctorIS4_EEEESt5arrayIPcLm2EEEEviT0_T1_,"axG",@progbits,_ZN2at6native29vectorized_elementwise_kernelILi2ENS0_13AUnaryFunctorIN3c104HalfES4_bNS0_12_GLOBAL__N_116CompareEqFunctorIS4_EEEESt5arrayIPcLm2EEEEviT0_T1_,comdat
	.globl	_ZN2at6native29vectorized_elementwise_kernelILi2ENS0_13AUnaryFunctorIN3c104HalfES4_bNS0_12_GLOBAL__N_116CompareEqFunctorIS4_EEEESt5arrayIPcLm2EEEEviT0_T1_ ; -- Begin function _ZN2at6native29vectorized_elementwise_kernelILi2ENS0_13AUnaryFunctorIN3c104HalfES4_bNS0_12_GLOBAL__N_116CompareEqFunctorIS4_EEEESt5arrayIPcLm2EEEEviT0_T1_
	.p2align	8
	.type	_ZN2at6native29vectorized_elementwise_kernelILi2ENS0_13AUnaryFunctorIN3c104HalfES4_bNS0_12_GLOBAL__N_116CompareEqFunctorIS4_EEEESt5arrayIPcLm2EEEEviT0_T1_,@function
_ZN2at6native29vectorized_elementwise_kernelILi2ENS0_13AUnaryFunctorIN3c104HalfES4_bNS0_12_GLOBAL__N_116CompareEqFunctorIS4_EEEESt5arrayIPcLm2EEEEviT0_T1_: ; @_ZN2at6native29vectorized_elementwise_kernelILi2ENS0_13AUnaryFunctorIN3c104HalfES4_bNS0_12_GLOBAL__N_116CompareEqFunctorIS4_EEEESt5arrayIPcLm2EEEEviT0_T1_
; %bb.0:
	s_clause 0x1
	s_load_b96 s[8:10], s[0:1], 0x0
	s_load_b128 s[4:7], s[0:1], 0x10
	s_wait_xcnt 0x0
	s_bfe_u32 s0, ttmp6, 0x4000c
	s_and_b32 s1, ttmp6, 15
	s_add_co_i32 s0, s0, 1
	s_getreg_b32 s2, hwreg(HW_REG_IB_STS2, 6, 4)
	s_mul_i32 s0, ttmp9, s0
	s_delay_alu instid0(SALU_CYCLE_1)
	s_add_co_i32 s1, s1, s0
	s_cmp_eq_u32 s2, 0
	s_cselect_b32 s0, ttmp9, s1
	s_mov_b32 s1, -1
	s_lshl_b32 s2, s0, 12
	s_wait_kmcnt 0x0
	s_sub_co_i32 s8, s8, s2
	s_delay_alu instid0(SALU_CYCLE_1)
	s_cmp_gt_i32 s8, 0xfff
	s_cbranch_scc0 .LBB187_2
; %bb.1:
	s_ashr_i32 s3, s2, 31
	s_delay_alu instid0(SALU_CYCLE_1)
	s_lshl_b64 s[0:1], s[2:3], 1
	s_cmp_eq_u32 s9, 0
	s_add_nc_u64 s[0:1], s[6:7], s[0:1]
	s_add_nc_u64 s[12:13], s[4:5], s[2:3]
	s_clause 0x7
	global_load_b32 v1, v0, s[0:1] scale_offset
	global_load_b32 v2, v0, s[0:1] offset:1024 scale_offset
	global_load_b32 v3, v0, s[0:1] offset:2048 scale_offset
	;; [unrolled: 1-line block ×7, first 2 shown]
	s_wait_xcnt 0x0
	s_mov_b32 s1, 0
	s_wait_loadcnt 0x7
	v_cmp_eq_f16_e32 vcc_lo, s10, v1
	s_wait_loadcnt 0x6
	v_dual_lshrrev_b32 v9, 16, v1 :: v_dual_lshrrev_b32 v10, 16, v2
	s_wait_loadcnt 0x4
	v_dual_lshrrev_b32 v11, 16, v3 :: v_dual_lshrrev_b32 v12, 16, v4
	v_cndmask_b32_e64 v17, 0, 1, vcc_lo
	v_cmp_neq_f16_e32 vcc_lo, s10, v1
	s_wait_loadcnt 0x2
	v_dual_lshrrev_b32 v13, 16, v5 :: v_dual_lshrrev_b32 v14, 16, v6
	s_wait_loadcnt 0x0
	v_dual_lshrrev_b32 v15, 16, v7 :: v_dual_lshrrev_b32 v16, 16, v8
	v_cndmask_b32_e64 v1, 0, 1, vcc_lo
	v_cmp_eq_f16_e32 vcc_lo, s10, v2
	v_cmp_eq_f16_e64 s0, s10, v9
	v_cndmask_b32_e64 v18, 0, 1, vcc_lo
	v_cmp_neq_f16_e32 vcc_lo, s10, v2
	v_cndmask_b32_e64 v2, 0, 1, vcc_lo
	v_cmp_eq_f16_e32 vcc_lo, s10, v3
	v_cndmask_b32_e64 v19, 0, 1, vcc_lo
	v_cmp_neq_f16_e32 vcc_lo, s10, v3
	v_cndmask_b32_e64 v3, 0, 1, vcc_lo
	v_cmp_eq_f16_e32 vcc_lo, s10, v4
	v_cndmask_b32_e64 v20, 0, 1, vcc_lo
	v_cmp_neq_f16_e32 vcc_lo, s10, v4
	v_cndmask_b32_e64 v4, 0, 1, vcc_lo
	v_cmp_eq_f16_e32 vcc_lo, s10, v5
	v_cndmask_b32_e64 v21, 0, 1, vcc_lo
	v_cmp_neq_f16_e32 vcc_lo, s10, v5
	v_cndmask_b32_e64 v5, 0, 1, vcc_lo
	v_cmp_eq_f16_e32 vcc_lo, s10, v6
	v_cndmask_b32_e64 v22, 0, 1, vcc_lo
	v_cmp_neq_f16_e32 vcc_lo, s10, v6
	v_cndmask_b32_e64 v6, 0, 1, vcc_lo
	v_cmp_eq_f16_e32 vcc_lo, s10, v7
	v_cndmask_b32_e64 v23, 0, 1, vcc_lo
	v_cmp_neq_f16_e32 vcc_lo, s10, v7
	v_cndmask_b32_e64 v7, 0, 1, vcc_lo
	v_cmp_eq_f16_e32 vcc_lo, s10, v8
	v_cndmask_b32_e64 v24, 0, 1, vcc_lo
	v_cmp_neq_f16_e32 vcc_lo, s10, v8
	v_cndmask_b32_e64 v8, 0, 1, vcc_lo
	s_cselect_b32 vcc_lo, -1, 0
	v_dual_cndmask_b32 v1, v1, v17 :: v_dual_cndmask_b32 v2, v2, v18
	v_cndmask_b32_e64 v17, 0, 1, s0
	v_cmp_neq_f16_e64 s0, s10, v9
	v_dual_cndmask_b32 v3, v3, v19 :: v_dual_cndmask_b32 v4, v4, v20
	v_dual_cndmask_b32 v5, v5, v21 :: v_dual_cndmask_b32 v6, v6, v22
	s_delay_alu instid0(VALU_DEP_3) | instskip(SKIP_2) | instid1(VALU_DEP_2)
	v_cndmask_b32_e64 v9, 0, 1, s0
	v_cmp_eq_f16_e64 s0, s10, v10
	v_dual_cndmask_b32 v7, v7, v23 :: v_dual_cndmask_b32 v8, v8, v24
	v_cndmask_b32_e64 v18, 0, 1, s0
	v_cmp_neq_f16_e64 s0, s10, v10
	s_delay_alu instid0(VALU_DEP_1) | instskip(SKIP_1) | instid1(VALU_DEP_2)
	v_cndmask_b32_e64 v10, 0, 1, s0
	v_cmp_eq_f16_e64 s0, s10, v11
	v_dual_cndmask_b32 v9, v9, v17 :: v_dual_cndmask_b32 v10, v10, v18
	s_delay_alu instid0(VALU_DEP_2) | instskip(SKIP_1) | instid1(VALU_DEP_3)
	v_cndmask_b32_e64 v19, 0, 1, s0
	v_cmp_neq_f16_e64 s0, s10, v11
	v_and_b32_e32 v9, 1, v9
	s_delay_alu instid0(VALU_DEP_4) | instskip(NEXT) | instid1(VALU_DEP_3)
	v_and_b32_e32 v10, 1, v10
	v_cndmask_b32_e64 v11, 0, 1, s0
	v_cmp_eq_f16_e64 s0, s10, v12
	s_delay_alu instid0(VALU_DEP_4) | instskip(NEXT) | instid1(VALU_DEP_4)
	v_lshlrev_b16 v9, 8, v9
	v_lshlrev_b16 v10, 8, v10
	s_delay_alu instid0(VALU_DEP_3) | instskip(SKIP_1) | instid1(VALU_DEP_4)
	v_cndmask_b32_e64 v20, 0, 1, s0
	v_cmp_neq_f16_e64 s0, s10, v12
	v_bitop3_b16 v1, v1, v9, 1 bitop3:0xec
	s_delay_alu instid0(VALU_DEP_4) | instskip(NEXT) | instid1(VALU_DEP_3)
	v_bitop3_b16 v2, v2, v10, 1 bitop3:0xec
	v_cndmask_b32_e64 v12, 0, 1, s0
	v_cmp_eq_f16_e64 s0, s10, v13
	s_delay_alu instid0(VALU_DEP_2) | instskip(NEXT) | instid1(VALU_DEP_2)
	v_dual_cndmask_b32 v11, v11, v19 :: v_dual_cndmask_b32 v12, v12, v20
	v_cndmask_b32_e64 v21, 0, 1, s0
	v_cmp_neq_f16_e64 s0, s10, v13
	s_delay_alu instid0(VALU_DEP_3) | instskip(NEXT) | instid1(VALU_DEP_4)
	v_and_b32_e32 v11, 1, v11
	v_and_b32_e32 v12, 1, v12
	s_delay_alu instid0(VALU_DEP_3) | instskip(SKIP_1) | instid1(VALU_DEP_4)
	v_cndmask_b32_e64 v13, 0, 1, s0
	v_cmp_eq_f16_e64 s0, s10, v14
	v_lshlrev_b16 v11, 8, v11
	s_delay_alu instid0(VALU_DEP_4) | instskip(NEXT) | instid1(VALU_DEP_3)
	v_lshlrev_b16 v12, 8, v12
	v_cndmask_b32_e64 v22, 0, 1, s0
	v_cmp_neq_f16_e64 s0, s10, v14
	s_delay_alu instid0(VALU_DEP_4) | instskip(NEXT) | instid1(VALU_DEP_4)
	v_bitop3_b16 v3, v3, v11, 1 bitop3:0xec
	v_bitop3_b16 v4, v4, v12, 1 bitop3:0xec
	s_delay_alu instid0(VALU_DEP_3) | instskip(SKIP_1) | instid1(VALU_DEP_2)
	v_cndmask_b32_e64 v14, 0, 1, s0
	v_cmp_eq_f16_e64 s0, s10, v15
	v_dual_cndmask_b32 v13, v13, v21 :: v_dual_cndmask_b32 v14, v14, v22
	s_delay_alu instid0(VALU_DEP_2) | instskip(SKIP_1) | instid1(VALU_DEP_3)
	v_cndmask_b32_e64 v23, 0, 1, s0
	v_cmp_neq_f16_e64 s0, s10, v15
	v_and_b32_e32 v13, 1, v13
	s_delay_alu instid0(VALU_DEP_4) | instskip(NEXT) | instid1(VALU_DEP_3)
	v_and_b32_e32 v14, 1, v14
	v_cndmask_b32_e64 v15, 0, 1, s0
	v_cmp_eq_f16_e64 s0, s10, v16
	s_delay_alu instid0(VALU_DEP_4) | instskip(NEXT) | instid1(VALU_DEP_4)
	v_lshlrev_b16 v13, 8, v13
	v_lshlrev_b16 v14, 8, v14
	s_delay_alu instid0(VALU_DEP_4) | instskip(NEXT) | instid1(VALU_DEP_4)
	v_cndmask_b32_e32 v15, v15, v23, vcc_lo
	v_cndmask_b32_e64 v24, 0, 1, s0
	v_cmp_neq_f16_e64 s0, s10, v16
	v_bitop3_b16 v5, v5, v13, 1 bitop3:0xec
	v_bitop3_b16 v6, v6, v14, 1 bitop3:0xec
	v_and_b32_e32 v15, 1, v15
	s_delay_alu instid0(VALU_DEP_4) | instskip(NEXT) | instid1(VALU_DEP_2)
	v_cndmask_b32_e64 v16, 0, 1, s0
	v_lshlrev_b16 v15, 8, v15
	s_delay_alu instid0(VALU_DEP_2) | instskip(NEXT) | instid1(VALU_DEP_2)
	v_cndmask_b32_e32 v16, v16, v24, vcc_lo
	v_bitop3_b16 v7, v7, v15, 1 bitop3:0xec
	s_delay_alu instid0(VALU_DEP_2) | instskip(NEXT) | instid1(VALU_DEP_1)
	v_and_b32_e32 v16, 1, v16
	v_lshlrev_b16 v16, 8, v16
	s_delay_alu instid0(VALU_DEP_1)
	v_bitop3_b16 v8, v8, v16, 1 bitop3:0xec
	s_clause 0x7
	global_store_b16 v0, v1, s[12:13] scale_offset
	global_store_b16 v0, v2, s[12:13] offset:512 scale_offset
	global_store_b16 v0, v3, s[12:13] offset:1024 scale_offset
	;; [unrolled: 1-line block ×7, first 2 shown]
.LBB187_2:
	s_and_not1_b32 vcc_lo, exec_lo, s1
	s_cbranch_vccnz .LBB187_52
; %bb.3:
	v_cmp_gt_i32_e32 vcc_lo, s8, v0
	s_wait_xcnt 0x7
	v_dual_mov_b32 v9, 0 :: v_dual_bitop2_b32 v1, s2, v0 bitop3:0x54
	s_wait_xcnt 0x6
	v_or_b32_e32 v2, 0x100, v0
	v_dual_mov_b32 v11, 0 :: v_dual_mov_b32 v13, v0
	s_wait_xcnt 0x0
	s_and_saveexec_b32 s0, vcc_lo
	s_cbranch_execz .LBB187_5
; %bb.4:
	global_load_u16 v11, v1, s[6:7] scale_offset
	v_or_b32_e32 v13, 0x100, v0
.LBB187_5:
	s_wait_xcnt 0x0
	s_or_b32 exec_lo, exec_lo, s0
	s_delay_alu instid0(SALU_CYCLE_1) | instskip(NEXT) | instid1(VALU_DEP_1)
	s_mov_b32 s1, exec_lo
	v_cmpx_gt_i32_e64 s8, v13
	s_cbranch_execz .LBB187_7
; %bb.6:
	v_add_nc_u32_e32 v3, s2, v13
	v_add_nc_u32_e32 v13, 0x100, v13
	global_load_u16 v9, v3, s[6:7] scale_offset
.LBB187_7:
	s_wait_xcnt 0x0
	s_or_b32 exec_lo, exec_lo, s1
	v_dual_mov_b32 v4, 0 :: v_dual_mov_b32 v7, 0
	s_mov_b32 s1, exec_lo
	v_cmpx_gt_i32_e64 s8, v13
	s_cbranch_execz .LBB187_9
; %bb.8:
	v_add_nc_u32_e32 v3, s2, v13
	v_add_nc_u32_e32 v13, 0x100, v13
	global_load_u16 v7, v3, s[6:7] scale_offset
.LBB187_9:
	s_wait_xcnt 0x0
	s_or_b32 exec_lo, exec_lo, s1
	s_delay_alu instid0(SALU_CYCLE_1)
	s_mov_b32 s1, exec_lo
	v_cmpx_gt_i32_e64 s8, v13
	s_cbranch_execz .LBB187_11
; %bb.10:
	v_add_nc_u32_e32 v3, s2, v13
	v_add_nc_u32_e32 v13, 0x100, v13
	global_load_u16 v4, v3, s[6:7] scale_offset
.LBB187_11:
	s_wait_xcnt 0x0
	s_or_b32 exec_lo, exec_lo, s1
	v_dual_mov_b32 v14, 0 :: v_dual_mov_b32 v16, 0
	s_mov_b32 s1, exec_lo
	v_cmpx_gt_i32_e64 s8, v13
	s_cbranch_execz .LBB187_13
; %bb.12:
	v_add_nc_u32_e32 v3, s2, v13
	v_add_nc_u32_e32 v13, 0x100, v13
	global_load_u16 v16, v3, s[6:7] scale_offset
.LBB187_13:
	s_wait_xcnt 0x0
	s_or_b32 exec_lo, exec_lo, s1
	s_delay_alu instid0(SALU_CYCLE_1)
	;; [unrolled: 22-line block ×7, first 2 shown]
	s_mov_b32 s1, exec_lo
	v_cmpx_gt_i32_e64 s8, v13
	s_cbranch_execz .LBB187_35
; %bb.34:
	v_add_nc_u32_e32 v12, s2, v13
	global_load_u16 v12, v12, s[6:7] scale_offset
.LBB187_35:
	s_wait_xcnt 0x0
	s_or_b32 exec_lo, exec_lo, s1
	s_wait_loadcnt 0x0
	v_cmp_eq_f16_e64 s0, s10, v11
	v_cmp_eq_f16_e64 s1, s10, v16
	s_cmp_eq_u32 s9, 0
	v_cndmask_b32_e64 v13, 0, 1, s0
	v_cmp_neq_f16_e64 s0, s10, v11
	s_delay_alu instid0(VALU_DEP_1) | instskip(SKIP_1) | instid1(VALU_DEP_1)
	v_cndmask_b32_e64 v11, 0, 1, s0
	v_cmp_eq_f16_e64 s0, s10, v9
	v_cndmask_b32_e64 v20, 0, 1, s0
	v_cmp_neq_f16_e64 s0, s10, v9
	s_delay_alu instid0(VALU_DEP_1) | instskip(SKIP_1) | instid1(SALU_CYCLE_1)
	v_cndmask_b32_e64 v9, 0, 1, s0
	s_cselect_b32 s0, -1, 0
	v_cndmask_b32_e64 v11, v11, v13, s0
	v_cndmask_b32_e64 v13, 0, 1, vcc_lo
	s_delay_alu instid0(VALU_DEP_3) | instskip(SKIP_2) | instid1(VALU_DEP_4)
	v_cndmask_b32_e64 v9, v9, v20, s0
	v_cndmask_b32_e64 v20, 0, 1, s1
	v_cmp_neq_f16_e64 s1, s10, v16
	v_and_b32_e32 v11, v13, v11
	s_delay_alu instid0(VALU_DEP_2) | instskip(SKIP_1) | instid1(VALU_DEP_2)
	v_cndmask_b32_e64 v16, 0, 1, s1
	v_cmp_eq_f16_e64 s1, s10, v14
	v_dual_cndmask_b32 v13, v16, v20, s0 :: v_dual_bitop2_b32 v9, 1, v9 bitop3:0x40
	s_delay_alu instid0(VALU_DEP_2) | instskip(SKIP_2) | instid1(VALU_DEP_4)
	v_cndmask_b32_e64 v16, 0, 1, s1
	v_cmp_neq_f16_e64 s1, s10, v14
	v_or_b32_e32 v20, 0x400, v0
	v_lshlrev_b16 v9, 8, v9
	v_bitop3_b16 v13, v13, 0, 1 bitop3:0xec
	s_delay_alu instid0(VALU_DEP_4) | instskip(SKIP_1) | instid1(VALU_DEP_3)
	v_cndmask_b32_e64 v14, 0, 1, s1
	v_cmp_eq_f16_e64 s1, s10, v7
	v_and_b32_e32 v13, 0xffff, v13
	s_delay_alu instid0(VALU_DEP_3) | instskip(NEXT) | instid1(VALU_DEP_3)
	v_cndmask_b32_e64 v14, v14, v16, s0
	v_cndmask_b32_e64 v16, 0, 1, s1
	v_cmp_neq_f16_e64 s1, s10, v7
	s_delay_alu instid0(VALU_DEP_1) | instskip(SKIP_1) | instid1(VALU_DEP_2)
	v_cndmask_b32_e64 v7, 0, 1, s1
	v_cmp_gt_i32_e64 s1, s8, v20
	v_dual_cndmask_b32 v7, v7, v16, s0 :: v_dual_bitop2_b32 v14, 1, v14 bitop3:0x40
	s_delay_alu instid0(VALU_DEP_2) | instskip(NEXT) | instid1(VALU_DEP_2)
	v_cndmask_b32_e64 v13, 0, v13, s1
	v_lshlrev_b16 v14, 8, v14
	v_cmp_gt_i32_e64 s1, s8, v2
	s_delay_alu instid0(VALU_DEP_2) | instskip(NEXT) | instid1(VALU_DEP_1)
	v_bitop3_b16 v14, v13, v14, 0xff bitop3:0xec
	v_and_b32_e32 v14, 0xffff, v14
	v_or_b32_e32 v9, v11, v9
	s_delay_alu instid0(VALU_DEP_1) | instskip(NEXT) | instid1(VALU_DEP_1)
	v_and_b32_e32 v9, 0xffff, v9
	v_cndmask_b32_e64 v9, v11, v9, s1
	v_cmp_eq_f16_e64 s1, s10, v4
	v_or_b32_e32 v11, 0x500, v0
	s_delay_alu instid0(VALU_DEP_2) | instskip(SKIP_1) | instid1(VALU_DEP_1)
	v_cndmask_b32_e64 v16, 0, 1, s1
	v_cmp_neq_f16_e64 s1, s10, v4
	v_cndmask_b32_e64 v4, 0, 1, s1
	s_delay_alu instid0(VALU_DEP_4) | instskip(NEXT) | instid1(VALU_DEP_1)
	v_cmp_gt_i32_e64 s1, s8, v11
	v_dual_cndmask_b32 v4, v4, v16, s0 :: v_dual_cndmask_b32 v11, v13, v14, s1
	v_cmp_eq_f16_e64 s1, s10, v15
	v_and_b32_e32 v7, 1, v7
	v_or_b32_e32 v13, 0x200, v0
	s_delay_alu instid0(VALU_DEP_4) | instskip(NEXT) | instid1(VALU_DEP_4)
	v_dual_lshrrev_b32 v14, 16, v11 :: v_dual_bitop2_b32 v4, 1, v4 bitop3:0x40
	v_cndmask_b32_e64 v16, 0, 1, s1
	v_cmp_neq_f16_e64 s1, s10, v15
	v_lshl_or_b32 v7, v7, 16, v9
	s_delay_alu instid0(VALU_DEP_4) | instskip(NEXT) | instid1(VALU_DEP_3)
	v_lshlrev_b16 v4, 8, v4
	v_cndmask_b32_e64 v15, 0, 1, s1
	v_cmp_gt_i32_e64 s1, s8, v13
	s_delay_alu instid0(VALU_DEP_1) | instskip(SKIP_2) | instid1(VALU_DEP_2)
	v_dual_cndmask_b32 v13, v15, v16, s0 :: v_dual_cndmask_b32 v7, v9, v7, s1
	v_and_b32_e32 v9, 0xffffff00, v14
	v_cmp_eq_f16_e64 s1, s10, v10
	v_bitop3_b16 v9, v13, v9, 1 bitop3:0xec
	s_delay_alu instid0(VALU_DEP_2) | instskip(SKIP_1) | instid1(VALU_DEP_3)
	v_cndmask_b32_e64 v13, 0, 1, s1
	v_cmp_neq_f16_e64 s1, s10, v10
	v_dual_lshrrev_b32 v14, 16, v7 :: v_dual_lshlrev_b32 v9, 16, v9
	s_delay_alu instid0(VALU_DEP_2) | instskip(SKIP_1) | instid1(VALU_DEP_3)
	v_cndmask_b32_e64 v10, 0, 1, s1
	v_cmp_eq_f16_e64 s1, s10, v6
	v_bitop3_b16 v4, v14, v4, 0xff bitop3:0xec
	v_or_b32_e32 v14, 0x600, v0
	v_and_or_b32 v9, 0xffff, v11, v9
	v_cndmask_b32_e64 v10, v10, v13, s0
	v_cndmask_b32_e64 v15, 0, 1, s1
	v_cmp_eq_f16_e64 s1, s10, v19
	v_lshlrev_b32_e32 v4, 16, v4
	v_or_b32_e32 v13, 0x800, v0
	v_and_b32_e32 v10, 1, v10
	s_delay_alu instid0(VALU_DEP_4) | instskip(SKIP_2) | instid1(VALU_DEP_4)
	v_cndmask_b32_e64 v16, 0, 1, s1
	v_cmp_neq_f16_e64 s1, s10, v19
	v_and_or_b32 v4, 0xffff, v7, v4
	v_lshlrev_b16 v10, 8, v10
	s_delay_alu instid0(VALU_DEP_3) | instskip(SKIP_1) | instid1(VALU_DEP_1)
	v_cndmask_b32_e64 v19, 0, 1, s1
	v_cmp_eq_f16_e64 s1, s10, v18
	v_cndmask_b32_e64 v20, 0, 1, s1
	v_cmp_neq_f16_e64 s1, s10, v18
	s_delay_alu instid0(VALU_DEP_1) | instskip(SKIP_1) | instid1(VALU_DEP_1)
	v_cndmask_b32_e64 v18, 0, 1, s1
	v_cmp_neq_f16_e64 s1, s10, v6
	v_cndmask_b32_e64 v6, 0, 1, s1
	v_cmp_eq_f16_e64 s1, s10, v5
	s_delay_alu instid0(VALU_DEP_2) | instskip(NEXT) | instid1(VALU_DEP_2)
	v_cndmask_b32_e64 v6, v6, v15, s0
	v_cndmask_b32_e64 v21, 0, 1, s1
	v_cmp_neq_f16_e64 s1, s10, v5
	s_delay_alu instid0(VALU_DEP_1) | instskip(NEXT) | instid1(VALU_DEP_1)
	v_cndmask_b32_e64 v5, 0, 1, s1
	v_dual_cndmask_b32 v18, v18, v20, s0 :: v_dual_cndmask_b32 v5, v5, v21, s0
	s_delay_alu instid0(VALU_DEP_1) | instskip(SKIP_1) | instid1(VALU_DEP_3)
	v_dual_cndmask_b32 v16, v19, v16, s0 :: v_dual_bitop2_b32 v18, 1, v18 bitop3:0x40
	v_or_b32_e32 v19, 0xc00, v0
	v_and_b32_e32 v5, 1, v5
	s_delay_alu instid0(VALU_DEP_3) | instskip(NEXT) | instid1(VALU_DEP_3)
	v_and_b32_e32 v16, 1, v16
	v_cmp_gt_i32_e64 s1, s8, v19
	s_delay_alu instid0(VALU_DEP_3) | instskip(NEXT) | instid1(VALU_DEP_2)
	v_lshlrev_b16 v5, 8, v5
	v_cndmask_b32_e64 v15, 0, v16, s1
	v_cmp_gt_i32_e64 s1, s8, v13
	v_lshlrev_b16 v16, 8, v18
	s_delay_alu instid0(VALU_DEP_2) | instskip(SKIP_1) | instid1(VALU_DEP_1)
	v_cndmask_b32_e64 v13, 0, 1, s1
	v_cmp_gt_i32_e64 s1, s8, v14
	v_cndmask_b32_e64 v9, v11, v9, s1
	s_delay_alu instid0(VALU_DEP_4) | instskip(SKIP_1) | instid1(VALU_DEP_2)
	v_bitop3_b16 v11, v15, v16, 0xff bitop3:0xec
	v_cmp_eq_f16_e64 s1, s10, v8
	v_and_b32_e32 v11, 0xffff, v11
	v_and_b32_e32 v6, v13, v6
	v_or_b32_e32 v13, 0xd00, v0
	s_delay_alu instid0(VALU_DEP_4) | instskip(SKIP_1) | instid1(VALU_DEP_1)
	v_cndmask_b32_e64 v14, 0, 1, s1
	v_cmp_neq_f16_e64 s1, s10, v8
	v_cndmask_b32_e64 v8, 0, 1, s1
	s_delay_alu instid0(VALU_DEP_4) | instskip(NEXT) | instid1(VALU_DEP_2)
	v_cmp_gt_i32_e64 s1, s8, v13
	v_dual_lshrrev_b32 v13, 16, v9 :: v_dual_cndmask_b32 v8, v8, v14, s0
	s_delay_alu instid0(VALU_DEP_2) | instskip(SKIP_1) | instid1(VALU_DEP_2)
	v_cndmask_b32_e64 v11, v15, v11, s1
	v_cmp_eq_f16_e64 s1, s10, v17
	v_dual_lshrrev_b32 v14, 16, v11 :: v_dual_bitop2_b32 v5, v6, v5 bitop3:0x54
	s_delay_alu instid0(VALU_DEP_2) | instskip(SKIP_2) | instid1(VALU_DEP_4)
	v_cndmask_b32_e64 v15, 0, 1, s1
	v_cmp_neq_f16_e64 s1, s10, v17
	v_or_b32_e32 v17, 0x900, v0
	v_and_b32_e32 v5, 0xffff, v5
	v_and_b32_e32 v14, 0xffffff00, v14
	s_delay_alu instid0(VALU_DEP_4) | instskip(NEXT) | instid1(VALU_DEP_4)
	v_cndmask_b32_e64 v16, 0, 1, s1
	v_cmp_gt_i32_e64 s1, s8, v17
	s_delay_alu instid0(VALU_DEP_2) | instskip(NEXT) | instid1(VALU_DEP_1)
	v_dual_cndmask_b32 v15, v16, v15, s0 :: v_dual_bitop2_b32 v8, 1, v8 bitop3:0x40
	v_dual_cndmask_b32 v5, v6, v5, s1 :: v_dual_lshlrev_b32 v8, 16, v8
	v_cmp_eq_f16_e64 s1, s10, v3
	v_or_b32_e32 v6, 0xa00, v0
	s_delay_alu instid0(VALU_DEP_4) | instskip(NEXT) | instid1(VALU_DEP_4)
	v_bitop3_b16 v14, v15, v14, 1 bitop3:0xec
	v_and_or_b32 v8, 0x1ff, v5, v8
	s_delay_alu instid0(VALU_DEP_4) | instskip(SKIP_1) | instid1(VALU_DEP_1)
	v_cndmask_b32_e64 v15, 0, 1, s1
	v_cmp_neq_f16_e64 s1, s10, v3
	v_cndmask_b32_e64 v3, 0, 1, s1
	v_cmp_eq_f16_e64 s1, s10, v12
	s_delay_alu instid0(VALU_DEP_2) | instskip(NEXT) | instid1(VALU_DEP_2)
	v_dual_lshlrev_b32 v14, 16, v14 :: v_dual_cndmask_b32 v3, v3, v15, s0
	v_cndmask_b32_e64 v16, 0, 1, s1
	v_cmp_neq_f16_e64 s1, s10, v12
	v_or_b32_e32 v15, 0xe00, v0
	s_delay_alu instid0(VALU_DEP_4) | instskip(SKIP_1) | instid1(VALU_DEP_4)
	v_and_or_b32 v14, 0xffff, v11, v14
	v_and_b32_e32 v3, 1, v3
	v_cndmask_b32_e64 v12, 0, 1, s1
	s_delay_alu instid0(VALU_DEP_2) | instskip(NEXT) | instid1(VALU_DEP_2)
	v_lshlrev_b16 v3, 8, v3
	v_cndmask_b32_e64 v12, v12, v16, s0
	v_cmp_gt_i32_e64 s0, s8, v6
	v_bitop3_b16 v6, v13, v10, 0xff bitop3:0xec
	v_or_b32_e32 v13, 0x300, v0
	s_delay_alu instid0(VALU_DEP_3) | instskip(SKIP_1) | instid1(VALU_DEP_1)
	v_cndmask_b32_e64 v8, v5, v8, s0
	v_cmp_gt_i32_e64 s0, s8, v15
	v_dual_cndmask_b32 v11, v11, v14, s0 :: v_dual_bitop2_b32 v5, 1, v12 bitop3:0x40
	s_delay_alu instid0(VALU_DEP_3) | instskip(SKIP_1) | instid1(VALU_DEP_3)
	v_lshrrev_b32_e32 v10, 16, v8
	v_cmp_gt_i32_e64 s0, s8, v13
	v_lshrrev_b32_e32 v12, 16, v11
	s_delay_alu instid0(VALU_DEP_4) | instskip(NEXT) | instid1(VALU_DEP_4)
	v_lshlrev_b16 v5, 8, v5
	v_bitop3_b16 v3, v10, v3, 0xff bitop3:0xec
	s_delay_alu instid0(VALU_DEP_4) | instskip(SKIP_1) | instid1(VALU_DEP_4)
	v_dual_lshlrev_b32 v10, 16, v6 :: v_dual_cndmask_b32 v6, v7, v4, s0
	v_or_b32_e32 v4, 0x700, v0
	v_bitop3_b16 v5, v12, v5, 0xff bitop3:0xec
	s_delay_alu instid0(VALU_DEP_4) | instskip(NEXT) | instid1(VALU_DEP_4)
	v_lshlrev_b32_e32 v3, 16, v3
	v_and_or_b32 v7, 0xffff, v9, v10
	v_or_b32_e32 v10, 0xb00, v0
	v_cmp_gt_i32_e64 s0, s8, v4
	v_or_b32_e32 v12, 0xf00, v0
	v_and_or_b32 v3, 0xffff, v8, v3
	v_lshlrev_b32_e32 v5, 16, v5
	s_delay_alu instid0(VALU_DEP_1) | instskip(SKIP_2) | instid1(VALU_DEP_1)
	v_and_or_b32 v13, 0xffff, v11, v5
	v_cndmask_b32_e64 v5, v9, v7, s0
	v_cmp_gt_i32_e64 s0, s8, v10
	v_cndmask_b32_e64 v4, v8, v3, s0
	v_cmp_gt_i32_e64 s0, s8, v12
	s_delay_alu instid0(VALU_DEP_1)
	v_cndmask_b32_e64 v3, v11, v13, s0
	s_and_saveexec_b32 s0, vcc_lo
	s_cbranch_execnz .LBB187_53
; %bb.36:
	s_or_b32 exec_lo, exec_lo, s0
	s_delay_alu instid0(SALU_CYCLE_1)
	s_mov_b32 s0, exec_lo
	v_cmpx_gt_i32_e64 s8, v0
	s_cbranch_execnz .LBB187_54
.LBB187_37:
	s_or_b32 exec_lo, exec_lo, s0
	s_delay_alu instid0(SALU_CYCLE_1)
	s_mov_b32 s0, exec_lo
	v_cmpx_gt_i32_e64 s8, v0
	s_cbranch_execnz .LBB187_55
.LBB187_38:
	s_or_b32 exec_lo, exec_lo, s0
	s_delay_alu instid0(SALU_CYCLE_1)
	s_mov_b32 s0, exec_lo
	v_cmpx_gt_i32_e64 s8, v0
	s_cbranch_execnz .LBB187_56
.LBB187_39:
	s_or_b32 exec_lo, exec_lo, s0
	s_delay_alu instid0(SALU_CYCLE_1)
	s_mov_b32 s0, exec_lo
	v_cmpx_gt_i32_e64 s8, v0
	s_cbranch_execnz .LBB187_57
.LBB187_40:
	s_or_b32 exec_lo, exec_lo, s0
	s_delay_alu instid0(SALU_CYCLE_1)
	s_mov_b32 s0, exec_lo
	v_cmpx_gt_i32_e64 s8, v0
	s_cbranch_execnz .LBB187_58
.LBB187_41:
	s_or_b32 exec_lo, exec_lo, s0
	s_delay_alu instid0(SALU_CYCLE_1)
	s_mov_b32 s0, exec_lo
	v_cmpx_gt_i32_e64 s8, v0
	s_cbranch_execnz .LBB187_59
.LBB187_42:
	s_or_b32 exec_lo, exec_lo, s0
	s_delay_alu instid0(SALU_CYCLE_1)
	s_mov_b32 s0, exec_lo
	v_cmpx_gt_i32_e64 s8, v0
	s_cbranch_execnz .LBB187_60
.LBB187_43:
	s_or_b32 exec_lo, exec_lo, s0
	s_delay_alu instid0(SALU_CYCLE_1)
	s_mov_b32 s0, exec_lo
	v_cmpx_gt_i32_e64 s8, v0
	s_cbranch_execnz .LBB187_61
.LBB187_44:
	s_or_b32 exec_lo, exec_lo, s0
	s_delay_alu instid0(SALU_CYCLE_1)
	s_mov_b32 s0, exec_lo
	v_cmpx_gt_i32_e64 s8, v0
	s_cbranch_execnz .LBB187_62
.LBB187_45:
	s_or_b32 exec_lo, exec_lo, s0
	s_delay_alu instid0(SALU_CYCLE_1)
	s_mov_b32 s0, exec_lo
	v_cmpx_gt_i32_e64 s8, v0
	s_cbranch_execnz .LBB187_63
.LBB187_46:
	s_or_b32 exec_lo, exec_lo, s0
	s_delay_alu instid0(SALU_CYCLE_1)
	s_mov_b32 s0, exec_lo
	v_cmpx_gt_i32_e64 s8, v0
	s_cbranch_execnz .LBB187_64
.LBB187_47:
	s_or_b32 exec_lo, exec_lo, s0
	s_delay_alu instid0(SALU_CYCLE_1)
	s_mov_b32 s0, exec_lo
	v_cmpx_gt_i32_e64 s8, v0
	s_cbranch_execnz .LBB187_65
.LBB187_48:
	s_or_b32 exec_lo, exec_lo, s0
	s_delay_alu instid0(SALU_CYCLE_1)
	s_mov_b32 s0, exec_lo
	v_cmpx_gt_i32_e64 s8, v0
	s_cbranch_execnz .LBB187_66
.LBB187_49:
	s_or_b32 exec_lo, exec_lo, s0
	s_delay_alu instid0(SALU_CYCLE_1)
	s_mov_b32 s0, exec_lo
	v_cmpx_gt_i32_e64 s8, v0
	s_cbranch_execnz .LBB187_67
.LBB187_50:
	s_or_b32 exec_lo, exec_lo, s0
	s_delay_alu instid0(SALU_CYCLE_1)
	s_mov_b32 s0, exec_lo
	v_cmpx_gt_i32_e64 s8, v0
	s_cbranch_execz .LBB187_52
.LBB187_51:
	v_dual_lshrrev_b32 v1, 24, v3 :: v_dual_add_nc_u32 v0, s2, v0
	global_store_b8 v0, v1, s[4:5]
.LBB187_52:
	s_endpgm
.LBB187_53:
	v_mov_b32_e32 v0, v2
	global_store_b8 v1, v6, s[4:5]
	s_wait_xcnt 0x0
	s_or_b32 exec_lo, exec_lo, s0
	s_delay_alu instid0(SALU_CYCLE_1)
	s_mov_b32 s0, exec_lo
	v_cmpx_gt_i32_e64 s8, v0
	s_cbranch_execz .LBB187_37
.LBB187_54:
	v_dual_lshrrev_b32 v1, 8, v6 :: v_dual_add_nc_u32 v2, s2, v0
	v_add_nc_u32_e32 v0, 0x100, v0
	global_store_b8 v2, v1, s[4:5]
	s_wait_xcnt 0x0
	s_or_b32 exec_lo, exec_lo, s0
	s_delay_alu instid0(SALU_CYCLE_1)
	s_mov_b32 s0, exec_lo
	v_cmpx_gt_i32_e64 s8, v0
	s_cbranch_execz .LBB187_38
.LBB187_55:
	v_add_nc_u32_e32 v1, s2, v0
	v_add_nc_u32_e32 v0, 0x100, v0
	global_store_d16_hi_b8 v1, v6, s[4:5]
	s_wait_xcnt 0x0
	s_or_b32 exec_lo, exec_lo, s0
	s_delay_alu instid0(SALU_CYCLE_1)
	s_mov_b32 s0, exec_lo
	v_cmpx_gt_i32_e64 s8, v0
	s_cbranch_execz .LBB187_39
.LBB187_56:
	v_dual_lshrrev_b32 v1, 24, v6 :: v_dual_add_nc_u32 v2, s2, v0
	v_add_nc_u32_e32 v0, 0x100, v0
	global_store_b8 v2, v1, s[4:5]
	s_wait_xcnt 0x0
	s_or_b32 exec_lo, exec_lo, s0
	s_delay_alu instid0(SALU_CYCLE_1)
	s_mov_b32 s0, exec_lo
	v_cmpx_gt_i32_e64 s8, v0
	s_cbranch_execz .LBB187_40
.LBB187_57:
	v_add_nc_u32_e32 v1, s2, v0
	v_add_nc_u32_e32 v0, 0x100, v0
	global_store_b8 v1, v5, s[4:5]
	s_wait_xcnt 0x0
	s_or_b32 exec_lo, exec_lo, s0
	s_delay_alu instid0(SALU_CYCLE_1)
	s_mov_b32 s0, exec_lo
	v_cmpx_gt_i32_e64 s8, v0
	s_cbranch_execz .LBB187_41
.LBB187_58:
	v_dual_lshrrev_b32 v1, 8, v5 :: v_dual_add_nc_u32 v2, s2, v0
	v_add_nc_u32_e32 v0, 0x100, v0
	global_store_b8 v2, v1, s[4:5]
	s_wait_xcnt 0x0
	s_or_b32 exec_lo, exec_lo, s0
	s_delay_alu instid0(SALU_CYCLE_1)
	s_mov_b32 s0, exec_lo
	v_cmpx_gt_i32_e64 s8, v0
	s_cbranch_execz .LBB187_42
.LBB187_59:
	v_add_nc_u32_e32 v1, s2, v0
	v_add_nc_u32_e32 v0, 0x100, v0
	global_store_d16_hi_b8 v1, v5, s[4:5]
	s_wait_xcnt 0x0
	s_or_b32 exec_lo, exec_lo, s0
	s_delay_alu instid0(SALU_CYCLE_1)
	s_mov_b32 s0, exec_lo
	v_cmpx_gt_i32_e64 s8, v0
	s_cbranch_execz .LBB187_43
.LBB187_60:
	v_dual_lshrrev_b32 v1, 24, v5 :: v_dual_add_nc_u32 v2, s2, v0
	v_add_nc_u32_e32 v0, 0x100, v0
	global_store_b8 v2, v1, s[4:5]
	s_wait_xcnt 0x0
	s_or_b32 exec_lo, exec_lo, s0
	s_delay_alu instid0(SALU_CYCLE_1)
	s_mov_b32 s0, exec_lo
	v_cmpx_gt_i32_e64 s8, v0
	s_cbranch_execz .LBB187_44
.LBB187_61:
	v_add_nc_u32_e32 v1, s2, v0
	v_add_nc_u32_e32 v0, 0x100, v0
	global_store_b8 v1, v4, s[4:5]
	s_wait_xcnt 0x0
	s_or_b32 exec_lo, exec_lo, s0
	s_delay_alu instid0(SALU_CYCLE_1)
	s_mov_b32 s0, exec_lo
	v_cmpx_gt_i32_e64 s8, v0
	s_cbranch_execz .LBB187_45
.LBB187_62:
	v_lshrrev_b32_e32 v1, 8, v4
	v_add_nc_u32_e32 v2, s2, v0
	v_add_nc_u32_e32 v0, 0x100, v0
	global_store_b8 v2, v1, s[4:5]
	s_wait_xcnt 0x0
	s_or_b32 exec_lo, exec_lo, s0
	s_delay_alu instid0(SALU_CYCLE_1)
	s_mov_b32 s0, exec_lo
	v_cmpx_gt_i32_e64 s8, v0
	s_cbranch_execz .LBB187_46
.LBB187_63:
	v_add_nc_u32_e32 v1, s2, v0
	v_add_nc_u32_e32 v0, 0x100, v0
	global_store_d16_hi_b8 v1, v4, s[4:5]
	s_wait_xcnt 0x0
	s_or_b32 exec_lo, exec_lo, s0
	s_delay_alu instid0(SALU_CYCLE_1)
	s_mov_b32 s0, exec_lo
	v_cmpx_gt_i32_e64 s8, v0
	s_cbranch_execz .LBB187_47
.LBB187_64:
	v_lshrrev_b32_e32 v1, 24, v4
	v_add_nc_u32_e32 v2, s2, v0
	v_add_nc_u32_e32 v0, 0x100, v0
	global_store_b8 v2, v1, s[4:5]
	s_wait_xcnt 0x0
	s_or_b32 exec_lo, exec_lo, s0
	s_delay_alu instid0(SALU_CYCLE_1)
	s_mov_b32 s0, exec_lo
	v_cmpx_gt_i32_e64 s8, v0
	s_cbranch_execz .LBB187_48
.LBB187_65:
	v_add_nc_u32_e32 v1, s2, v0
	v_add_nc_u32_e32 v0, 0x100, v0
	global_store_b8 v1, v3, s[4:5]
	s_wait_xcnt 0x0
	s_or_b32 exec_lo, exec_lo, s0
	s_delay_alu instid0(SALU_CYCLE_1)
	s_mov_b32 s0, exec_lo
	v_cmpx_gt_i32_e64 s8, v0
	s_cbranch_execz .LBB187_49
.LBB187_66:
	v_dual_lshrrev_b32 v1, 8, v3 :: v_dual_add_nc_u32 v2, s2, v0
	v_add_nc_u32_e32 v0, 0x100, v0
	global_store_b8 v2, v1, s[4:5]
	s_wait_xcnt 0x0
	s_or_b32 exec_lo, exec_lo, s0
	s_delay_alu instid0(SALU_CYCLE_1)
	s_mov_b32 s0, exec_lo
	v_cmpx_gt_i32_e64 s8, v0
	s_cbranch_execz .LBB187_50
.LBB187_67:
	v_add_nc_u32_e32 v1, s2, v0
	v_add_nc_u32_e32 v0, 0x100, v0
	global_store_d16_hi_b8 v1, v3, s[4:5]
	s_wait_xcnt 0x0
	s_or_b32 exec_lo, exec_lo, s0
	s_delay_alu instid0(SALU_CYCLE_1)
	s_mov_b32 s0, exec_lo
	v_cmpx_gt_i32_e64 s8, v0
	s_cbranch_execnz .LBB187_51
	s_branch .LBB187_52
	.section	.rodata,"a",@progbits
	.p2align	6, 0x0
	.amdhsa_kernel _ZN2at6native29vectorized_elementwise_kernelILi2ENS0_13AUnaryFunctorIN3c104HalfES4_bNS0_12_GLOBAL__N_116CompareEqFunctorIS4_EEEESt5arrayIPcLm2EEEEviT0_T1_
		.amdhsa_group_segment_fixed_size 0
		.amdhsa_private_segment_fixed_size 0
		.amdhsa_kernarg_size 32
		.amdhsa_user_sgpr_count 2
		.amdhsa_user_sgpr_dispatch_ptr 0
		.amdhsa_user_sgpr_queue_ptr 0
		.amdhsa_user_sgpr_kernarg_segment_ptr 1
		.amdhsa_user_sgpr_dispatch_id 0
		.amdhsa_user_sgpr_kernarg_preload_length 0
		.amdhsa_user_sgpr_kernarg_preload_offset 0
		.amdhsa_user_sgpr_private_segment_size 0
		.amdhsa_wavefront_size32 1
		.amdhsa_uses_dynamic_stack 0
		.amdhsa_enable_private_segment 0
		.amdhsa_system_sgpr_workgroup_id_x 1
		.amdhsa_system_sgpr_workgroup_id_y 0
		.amdhsa_system_sgpr_workgroup_id_z 0
		.amdhsa_system_sgpr_workgroup_info 0
		.amdhsa_system_vgpr_workitem_id 0
		.amdhsa_next_free_vgpr 25
		.amdhsa_next_free_sgpr 14
		.amdhsa_named_barrier_count 0
		.amdhsa_reserve_vcc 1
		.amdhsa_float_round_mode_32 0
		.amdhsa_float_round_mode_16_64 0
		.amdhsa_float_denorm_mode_32 3
		.amdhsa_float_denorm_mode_16_64 3
		.amdhsa_fp16_overflow 0
		.amdhsa_memory_ordered 1
		.amdhsa_forward_progress 1
		.amdhsa_inst_pref_size 39
		.amdhsa_round_robin_scheduling 0
		.amdhsa_exception_fp_ieee_invalid_op 0
		.amdhsa_exception_fp_denorm_src 0
		.amdhsa_exception_fp_ieee_div_zero 0
		.amdhsa_exception_fp_ieee_overflow 0
		.amdhsa_exception_fp_ieee_underflow 0
		.amdhsa_exception_fp_ieee_inexact 0
		.amdhsa_exception_int_div_zero 0
	.end_amdhsa_kernel
	.section	.text._ZN2at6native29vectorized_elementwise_kernelILi2ENS0_13AUnaryFunctorIN3c104HalfES4_bNS0_12_GLOBAL__N_116CompareEqFunctorIS4_EEEESt5arrayIPcLm2EEEEviT0_T1_,"axG",@progbits,_ZN2at6native29vectorized_elementwise_kernelILi2ENS0_13AUnaryFunctorIN3c104HalfES4_bNS0_12_GLOBAL__N_116CompareEqFunctorIS4_EEEESt5arrayIPcLm2EEEEviT0_T1_,comdat
.Lfunc_end187:
	.size	_ZN2at6native29vectorized_elementwise_kernelILi2ENS0_13AUnaryFunctorIN3c104HalfES4_bNS0_12_GLOBAL__N_116CompareEqFunctorIS4_EEEESt5arrayIPcLm2EEEEviT0_T1_, .Lfunc_end187-_ZN2at6native29vectorized_elementwise_kernelILi2ENS0_13AUnaryFunctorIN3c104HalfES4_bNS0_12_GLOBAL__N_116CompareEqFunctorIS4_EEEESt5arrayIPcLm2EEEEviT0_T1_
                                        ; -- End function
	.set _ZN2at6native29vectorized_elementwise_kernelILi2ENS0_13AUnaryFunctorIN3c104HalfES4_bNS0_12_GLOBAL__N_116CompareEqFunctorIS4_EEEESt5arrayIPcLm2EEEEviT0_T1_.num_vgpr, 25
	.set _ZN2at6native29vectorized_elementwise_kernelILi2ENS0_13AUnaryFunctorIN3c104HalfES4_bNS0_12_GLOBAL__N_116CompareEqFunctorIS4_EEEESt5arrayIPcLm2EEEEviT0_T1_.num_agpr, 0
	.set _ZN2at6native29vectorized_elementwise_kernelILi2ENS0_13AUnaryFunctorIN3c104HalfES4_bNS0_12_GLOBAL__N_116CompareEqFunctorIS4_EEEESt5arrayIPcLm2EEEEviT0_T1_.numbered_sgpr, 14
	.set _ZN2at6native29vectorized_elementwise_kernelILi2ENS0_13AUnaryFunctorIN3c104HalfES4_bNS0_12_GLOBAL__N_116CompareEqFunctorIS4_EEEESt5arrayIPcLm2EEEEviT0_T1_.num_named_barrier, 0
	.set _ZN2at6native29vectorized_elementwise_kernelILi2ENS0_13AUnaryFunctorIN3c104HalfES4_bNS0_12_GLOBAL__N_116CompareEqFunctorIS4_EEEESt5arrayIPcLm2EEEEviT0_T1_.private_seg_size, 0
	.set _ZN2at6native29vectorized_elementwise_kernelILi2ENS0_13AUnaryFunctorIN3c104HalfES4_bNS0_12_GLOBAL__N_116CompareEqFunctorIS4_EEEESt5arrayIPcLm2EEEEviT0_T1_.uses_vcc, 1
	.set _ZN2at6native29vectorized_elementwise_kernelILi2ENS0_13AUnaryFunctorIN3c104HalfES4_bNS0_12_GLOBAL__N_116CompareEqFunctorIS4_EEEESt5arrayIPcLm2EEEEviT0_T1_.uses_flat_scratch, 0
	.set _ZN2at6native29vectorized_elementwise_kernelILi2ENS0_13AUnaryFunctorIN3c104HalfES4_bNS0_12_GLOBAL__N_116CompareEqFunctorIS4_EEEESt5arrayIPcLm2EEEEviT0_T1_.has_dyn_sized_stack, 0
	.set _ZN2at6native29vectorized_elementwise_kernelILi2ENS0_13AUnaryFunctorIN3c104HalfES4_bNS0_12_GLOBAL__N_116CompareEqFunctorIS4_EEEESt5arrayIPcLm2EEEEviT0_T1_.has_recursion, 0
	.set _ZN2at6native29vectorized_elementwise_kernelILi2ENS0_13AUnaryFunctorIN3c104HalfES4_bNS0_12_GLOBAL__N_116CompareEqFunctorIS4_EEEESt5arrayIPcLm2EEEEviT0_T1_.has_indirect_call, 0
	.section	.AMDGPU.csdata,"",@progbits
; Kernel info:
; codeLenInByte = 4888
; TotalNumSgprs: 16
; NumVgprs: 25
; ScratchSize: 0
; MemoryBound: 0
; FloatMode: 240
; IeeeMode: 1
; LDSByteSize: 0 bytes/workgroup (compile time only)
; SGPRBlocks: 0
; VGPRBlocks: 1
; NumSGPRsForWavesPerEU: 16
; NumVGPRsForWavesPerEU: 25
; NamedBarCnt: 0
; Occupancy: 16
; WaveLimiterHint : 1
; COMPUTE_PGM_RSRC2:SCRATCH_EN: 0
; COMPUTE_PGM_RSRC2:USER_SGPR: 2
; COMPUTE_PGM_RSRC2:TRAP_HANDLER: 0
; COMPUTE_PGM_RSRC2:TGID_X_EN: 1
; COMPUTE_PGM_RSRC2:TGID_Y_EN: 0
; COMPUTE_PGM_RSRC2:TGID_Z_EN: 0
; COMPUTE_PGM_RSRC2:TIDIG_COMP_CNT: 0
	.section	.text._ZN2at6native27unrolled_elementwise_kernelINS0_13AUnaryFunctorIN3c104HalfES4_bNS0_12_GLOBAL__N_116CompareEqFunctorIS4_EEEESt5arrayIPcLm2EELi4E23TrivialOffsetCalculatorILi1EjESD_NS0_6memory15LoadWithoutCastENSE_16StoreWithoutCastEEEviT_T0_T2_T3_T4_T5_,"axG",@progbits,_ZN2at6native27unrolled_elementwise_kernelINS0_13AUnaryFunctorIN3c104HalfES4_bNS0_12_GLOBAL__N_116CompareEqFunctorIS4_EEEESt5arrayIPcLm2EELi4E23TrivialOffsetCalculatorILi1EjESD_NS0_6memory15LoadWithoutCastENSE_16StoreWithoutCastEEEviT_T0_T2_T3_T4_T5_,comdat
	.globl	_ZN2at6native27unrolled_elementwise_kernelINS0_13AUnaryFunctorIN3c104HalfES4_bNS0_12_GLOBAL__N_116CompareEqFunctorIS4_EEEESt5arrayIPcLm2EELi4E23TrivialOffsetCalculatorILi1EjESD_NS0_6memory15LoadWithoutCastENSE_16StoreWithoutCastEEEviT_T0_T2_T3_T4_T5_ ; -- Begin function _ZN2at6native27unrolled_elementwise_kernelINS0_13AUnaryFunctorIN3c104HalfES4_bNS0_12_GLOBAL__N_116CompareEqFunctorIS4_EEEESt5arrayIPcLm2EELi4E23TrivialOffsetCalculatorILi1EjESD_NS0_6memory15LoadWithoutCastENSE_16StoreWithoutCastEEEviT_T0_T2_T3_T4_T5_
	.p2align	8
	.type	_ZN2at6native27unrolled_elementwise_kernelINS0_13AUnaryFunctorIN3c104HalfES4_bNS0_12_GLOBAL__N_116CompareEqFunctorIS4_EEEESt5arrayIPcLm2EELi4E23TrivialOffsetCalculatorILi1EjESD_NS0_6memory15LoadWithoutCastENSE_16StoreWithoutCastEEEviT_T0_T2_T3_T4_T5_,@function
_ZN2at6native27unrolled_elementwise_kernelINS0_13AUnaryFunctorIN3c104HalfES4_bNS0_12_GLOBAL__N_116CompareEqFunctorIS4_EEEESt5arrayIPcLm2EELi4E23TrivialOffsetCalculatorILi1EjESD_NS0_6memory15LoadWithoutCastENSE_16StoreWithoutCastEEEviT_T0_T2_T3_T4_T5_: ; @_ZN2at6native27unrolled_elementwise_kernelINS0_13AUnaryFunctorIN3c104HalfES4_bNS0_12_GLOBAL__N_116CompareEqFunctorIS4_EEEESt5arrayIPcLm2EELi4E23TrivialOffsetCalculatorILi1EjESD_NS0_6memory15LoadWithoutCastENSE_16StoreWithoutCastEEEviT_T0_T2_T3_T4_T5_
; %bb.0:
	s_clause 0x1
	s_load_b96 s[8:10], s[0:1], 0x0
	s_load_b128 s[4:7], s[0:1], 0x10
	s_bfe_u32 s2, ttmp6, 0x4000c
	s_wait_xcnt 0x0
	s_and_b32 s0, ttmp6, 15
	s_add_co_i32 s2, s2, 1
	v_dual_mov_b32 v3, 0 :: v_dual_mov_b32 v5, 0
	s_mul_i32 s1, ttmp9, s2
	s_getreg_b32 s2, hwreg(HW_REG_IB_STS2, 6, 4)
	s_add_co_i32 s0, s0, s1
	s_cmp_eq_u32 s2, 0
	v_or_b32_e32 v1, 0x100, v0
	s_cselect_b32 s0, ttmp9, s0
	v_mov_b32_e32 v7, v0
	s_lshl_b32 s2, s0, 10
	s_delay_alu instid0(SALU_CYCLE_1) | instskip(SKIP_2) | instid1(SALU_CYCLE_1)
	v_or_b32_e32 v2, s2, v0
	s_wait_kmcnt 0x0
	s_sub_co_i32 s3, s8, s2
	v_cmp_gt_i32_e32 vcc_lo, s3, v0
	s_and_saveexec_b32 s0, vcc_lo
	s_cbranch_execz .LBB188_2
; %bb.1:
	global_load_u16 v5, v2, s[6:7] scale_offset
	v_or_b32_e32 v7, 0x100, v0
.LBB188_2:
	s_wait_xcnt 0x0
	s_or_b32 exec_lo, exec_lo, s0
	s_delay_alu instid0(SALU_CYCLE_1) | instskip(NEXT) | instid1(VALU_DEP_1)
	s_mov_b32 s1, exec_lo
	v_cmpx_gt_i32_e64 s3, v7
	s_cbranch_execz .LBB188_4
; %bb.3:
	v_add_nc_u32_e32 v3, s2, v7
	v_add_nc_u32_e32 v7, 0x100, v7
	global_load_u16 v3, v3, s[6:7] scale_offset
.LBB188_4:
	s_wait_xcnt 0x0
	s_or_b32 exec_lo, exec_lo, s1
	v_dual_mov_b32 v4, 0 :: v_dual_mov_b32 v6, 0
	s_mov_b32 s1, exec_lo
	v_cmpx_gt_i32_e64 s3, v7
	s_cbranch_execz .LBB188_6
; %bb.5:
	v_add_nc_u32_e32 v6, s2, v7
	v_add_nc_u32_e32 v7, 0x100, v7
	global_load_u16 v6, v6, s[6:7] scale_offset
.LBB188_6:
	s_wait_xcnt 0x0
	s_or_b32 exec_lo, exec_lo, s1
	s_delay_alu instid0(SALU_CYCLE_1)
	s_mov_b32 s1, exec_lo
	v_cmpx_gt_i32_e64 s3, v7
	s_cbranch_execz .LBB188_8
; %bb.7:
	v_add_nc_u32_e32 v4, s2, v7
	global_load_u16 v4, v4, s[6:7] scale_offset
.LBB188_8:
	s_wait_xcnt 0x0
	s_or_b32 exec_lo, exec_lo, s1
	s_wait_loadcnt 0x0
	v_cmp_eq_f16_e64 s0, s10, v5
	v_cmp_eq_f16_e64 s1, s10, v6
	s_cmp_eq_u32 s9, 0
	v_cndmask_b32_e64 v7, 0, 1, s0
	v_cmp_neq_f16_e64 s0, s10, v5
	s_delay_alu instid0(VALU_DEP_1) | instskip(SKIP_1) | instid1(VALU_DEP_1)
	v_cndmask_b32_e64 v5, 0, 1, s0
	v_cmp_eq_f16_e64 s0, s10, v3
	v_cndmask_b32_e64 v8, 0, 1, s0
	v_cmp_neq_f16_e64 s0, s10, v3
	s_delay_alu instid0(VALU_DEP_1) | instskip(SKIP_1) | instid1(SALU_CYCLE_1)
	v_cndmask_b32_e64 v3, 0, 1, s0
	s_cselect_b32 s0, -1, 0
	v_cndmask_b32_e64 v5, v5, v7, s0
	v_cndmask_b32_e64 v7, 0, 1, vcc_lo
	s_delay_alu instid0(VALU_DEP_3) | instskip(SKIP_2) | instid1(VALU_DEP_1)
	v_cndmask_b32_e64 v3, v3, v8, s0
	v_cndmask_b32_e64 v8, 0, 1, s1
	v_cmp_neq_f16_e64 s1, s10, v6
	v_cndmask_b32_e64 v6, 0, 1, s1
	s_delay_alu instid0(VALU_DEP_4) | instskip(SKIP_1) | instid1(VALU_DEP_3)
	v_and_b32_e32 v3, 1, v3
	v_cmp_eq_f16_e64 s1, s10, v4
	v_cndmask_b32_e64 v6, v6, v8, s0
	s_delay_alu instid0(VALU_DEP_3) | instskip(NEXT) | instid1(VALU_DEP_2)
	v_lshlrev_b16 v3, 8, v3
	v_and_b32_e32 v6, 1, v6
	v_and_b32_e32 v5, v7, v5
	v_cndmask_b32_e64 v7, 0, 1, s1
	v_cmp_gt_i32_e64 s1, s3, v1
	s_delay_alu instid0(VALU_DEP_3) | instskip(NEXT) | instid1(VALU_DEP_1)
	v_dual_lshlrev_b32 v6, 16, v6 :: v_dual_bitop2_b32 v3, v5, v3 bitop3:0x54
	v_and_b32_e32 v3, 0xffff, v3
	s_delay_alu instid0(VALU_DEP_1) | instskip(SKIP_2) | instid1(VALU_DEP_2)
	v_cndmask_b32_e64 v3, v5, v3, s1
	v_cmp_neq_f16_e64 s1, s10, v4
	v_or_b32_e32 v5, 0x200, v0
	v_cndmask_b32_e64 v4, 0, 1, s1
	s_delay_alu instid0(VALU_DEP_1) | instskip(NEXT) | instid1(VALU_DEP_3)
	v_dual_cndmask_b32 v4, v4, v7, s0 :: v_dual_bitop2_b32 v6, v3, v6 bitop3:0x54
	v_cmp_gt_i32_e64 s0, s3, v5
	s_delay_alu instid0(VALU_DEP_1) | instskip(NEXT) | instid1(VALU_DEP_1)
	v_dual_cndmask_b32 v3, v3, v6, s0 :: v_dual_bitop2_b32 v4, 1, v4 bitop3:0x40
	v_lshlrev_b16 v4, 8, v4
	s_delay_alu instid0(VALU_DEP_2) | instskip(NEXT) | instid1(VALU_DEP_1)
	v_lshrrev_b32_e32 v5, 16, v3
	v_bitop3_b16 v4, v5, v4, 0xff bitop3:0xec
	v_or_b32_e32 v5, 0x300, v0
	s_delay_alu instid0(VALU_DEP_2) | instskip(NEXT) | instid1(VALU_DEP_2)
	v_lshlrev_b32_e32 v4, 16, v4
	v_cmp_gt_i32_e64 s0, s3, v5
	s_delay_alu instid0(VALU_DEP_2) | instskip(NEXT) | instid1(VALU_DEP_1)
	v_and_or_b32 v4, 0xffff, v3, v4
	v_cndmask_b32_e64 v3, v3, v4, s0
	s_and_saveexec_b32 s0, vcc_lo
	s_cbranch_execnz .LBB188_13
; %bb.9:
	s_or_b32 exec_lo, exec_lo, s0
	s_delay_alu instid0(SALU_CYCLE_1)
	s_mov_b32 s0, exec_lo
	v_cmpx_gt_i32_e64 s3, v0
	s_cbranch_execnz .LBB188_14
.LBB188_10:
	s_or_b32 exec_lo, exec_lo, s0
	s_delay_alu instid0(SALU_CYCLE_1)
	s_mov_b32 s0, exec_lo
	v_cmpx_gt_i32_e64 s3, v0
	s_cbranch_execnz .LBB188_15
.LBB188_11:
	s_or_b32 exec_lo, exec_lo, s0
	s_delay_alu instid0(SALU_CYCLE_1)
	s_mov_b32 s0, exec_lo
	v_cmpx_gt_i32_e64 s3, v0
	s_cbranch_execnz .LBB188_16
.LBB188_12:
	s_endpgm
.LBB188_13:
	v_mov_b32_e32 v0, v1
	global_store_b8 v2, v3, s[4:5]
	s_wait_xcnt 0x0
	s_or_b32 exec_lo, exec_lo, s0
	s_delay_alu instid0(SALU_CYCLE_1)
	s_mov_b32 s0, exec_lo
	v_cmpx_gt_i32_e64 s3, v0
	s_cbranch_execz .LBB188_10
.LBB188_14:
	v_add_nc_u32_e32 v1, 0x100, v0
	v_dual_add_nc_u32 v2, s2, v0 :: v_dual_lshrrev_b32 v4, 8, v3
	s_delay_alu instid0(VALU_DEP_2) | instskip(SKIP_3) | instid1(SALU_CYCLE_1)
	v_mov_b32_e32 v0, v1
	global_store_b8 v2, v4, s[4:5]
	s_wait_xcnt 0x0
	s_or_b32 exec_lo, exec_lo, s0
	s_mov_b32 s0, exec_lo
	v_cmpx_gt_i32_e64 s3, v0
	s_cbranch_execz .LBB188_11
.LBB188_15:
	v_add_nc_u32_e32 v1, 0x100, v0
	s_delay_alu instid0(VALU_DEP_1) | instskip(SKIP_3) | instid1(SALU_CYCLE_1)
	v_dual_add_nc_u32 v2, s2, v0 :: v_dual_mov_b32 v0, v1
	global_store_d16_hi_b8 v2, v3, s[4:5]
	s_wait_xcnt 0x0
	s_or_b32 exec_lo, exec_lo, s0
	s_mov_b32 s0, exec_lo
	v_cmpx_gt_i32_e64 s3, v0
	s_cbranch_execz .LBB188_12
.LBB188_16:
	v_dual_add_nc_u32 v0, s2, v0 :: v_dual_lshrrev_b32 v1, 24, v3
	global_store_b8 v0, v1, s[4:5]
	s_endpgm
	.section	.rodata,"a",@progbits
	.p2align	6, 0x0
	.amdhsa_kernel _ZN2at6native27unrolled_elementwise_kernelINS0_13AUnaryFunctorIN3c104HalfES4_bNS0_12_GLOBAL__N_116CompareEqFunctorIS4_EEEESt5arrayIPcLm2EELi4E23TrivialOffsetCalculatorILi1EjESD_NS0_6memory15LoadWithoutCastENSE_16StoreWithoutCastEEEviT_T0_T2_T3_T4_T5_
		.amdhsa_group_segment_fixed_size 0
		.amdhsa_private_segment_fixed_size 0
		.amdhsa_kernarg_size 36
		.amdhsa_user_sgpr_count 2
		.amdhsa_user_sgpr_dispatch_ptr 0
		.amdhsa_user_sgpr_queue_ptr 0
		.amdhsa_user_sgpr_kernarg_segment_ptr 1
		.amdhsa_user_sgpr_dispatch_id 0
		.amdhsa_user_sgpr_kernarg_preload_length 0
		.amdhsa_user_sgpr_kernarg_preload_offset 0
		.amdhsa_user_sgpr_private_segment_size 0
		.amdhsa_wavefront_size32 1
		.amdhsa_uses_dynamic_stack 0
		.amdhsa_enable_private_segment 0
		.amdhsa_system_sgpr_workgroup_id_x 1
		.amdhsa_system_sgpr_workgroup_id_y 0
		.amdhsa_system_sgpr_workgroup_id_z 0
		.amdhsa_system_sgpr_workgroup_info 0
		.amdhsa_system_vgpr_workitem_id 0
		.amdhsa_next_free_vgpr 9
		.amdhsa_next_free_sgpr 11
		.amdhsa_named_barrier_count 0
		.amdhsa_reserve_vcc 1
		.amdhsa_float_round_mode_32 0
		.amdhsa_float_round_mode_16_64 0
		.amdhsa_float_denorm_mode_32 3
		.amdhsa_float_denorm_mode_16_64 3
		.amdhsa_fp16_overflow 0
		.amdhsa_memory_ordered 1
		.amdhsa_forward_progress 1
		.amdhsa_inst_pref_size 8
		.amdhsa_round_robin_scheduling 0
		.amdhsa_exception_fp_ieee_invalid_op 0
		.amdhsa_exception_fp_denorm_src 0
		.amdhsa_exception_fp_ieee_div_zero 0
		.amdhsa_exception_fp_ieee_overflow 0
		.amdhsa_exception_fp_ieee_underflow 0
		.amdhsa_exception_fp_ieee_inexact 0
		.amdhsa_exception_int_div_zero 0
	.end_amdhsa_kernel
	.section	.text._ZN2at6native27unrolled_elementwise_kernelINS0_13AUnaryFunctorIN3c104HalfES4_bNS0_12_GLOBAL__N_116CompareEqFunctorIS4_EEEESt5arrayIPcLm2EELi4E23TrivialOffsetCalculatorILi1EjESD_NS0_6memory15LoadWithoutCastENSE_16StoreWithoutCastEEEviT_T0_T2_T3_T4_T5_,"axG",@progbits,_ZN2at6native27unrolled_elementwise_kernelINS0_13AUnaryFunctorIN3c104HalfES4_bNS0_12_GLOBAL__N_116CompareEqFunctorIS4_EEEESt5arrayIPcLm2EELi4E23TrivialOffsetCalculatorILi1EjESD_NS0_6memory15LoadWithoutCastENSE_16StoreWithoutCastEEEviT_T0_T2_T3_T4_T5_,comdat
.Lfunc_end188:
	.size	_ZN2at6native27unrolled_elementwise_kernelINS0_13AUnaryFunctorIN3c104HalfES4_bNS0_12_GLOBAL__N_116CompareEqFunctorIS4_EEEESt5arrayIPcLm2EELi4E23TrivialOffsetCalculatorILi1EjESD_NS0_6memory15LoadWithoutCastENSE_16StoreWithoutCastEEEviT_T0_T2_T3_T4_T5_, .Lfunc_end188-_ZN2at6native27unrolled_elementwise_kernelINS0_13AUnaryFunctorIN3c104HalfES4_bNS0_12_GLOBAL__N_116CompareEqFunctorIS4_EEEESt5arrayIPcLm2EELi4E23TrivialOffsetCalculatorILi1EjESD_NS0_6memory15LoadWithoutCastENSE_16StoreWithoutCastEEEviT_T0_T2_T3_T4_T5_
                                        ; -- End function
	.set _ZN2at6native27unrolled_elementwise_kernelINS0_13AUnaryFunctorIN3c104HalfES4_bNS0_12_GLOBAL__N_116CompareEqFunctorIS4_EEEESt5arrayIPcLm2EELi4E23TrivialOffsetCalculatorILi1EjESD_NS0_6memory15LoadWithoutCastENSE_16StoreWithoutCastEEEviT_T0_T2_T3_T4_T5_.num_vgpr, 9
	.set _ZN2at6native27unrolled_elementwise_kernelINS0_13AUnaryFunctorIN3c104HalfES4_bNS0_12_GLOBAL__N_116CompareEqFunctorIS4_EEEESt5arrayIPcLm2EELi4E23TrivialOffsetCalculatorILi1EjESD_NS0_6memory15LoadWithoutCastENSE_16StoreWithoutCastEEEviT_T0_T2_T3_T4_T5_.num_agpr, 0
	.set _ZN2at6native27unrolled_elementwise_kernelINS0_13AUnaryFunctorIN3c104HalfES4_bNS0_12_GLOBAL__N_116CompareEqFunctorIS4_EEEESt5arrayIPcLm2EELi4E23TrivialOffsetCalculatorILi1EjESD_NS0_6memory15LoadWithoutCastENSE_16StoreWithoutCastEEEviT_T0_T2_T3_T4_T5_.numbered_sgpr, 11
	.set _ZN2at6native27unrolled_elementwise_kernelINS0_13AUnaryFunctorIN3c104HalfES4_bNS0_12_GLOBAL__N_116CompareEqFunctorIS4_EEEESt5arrayIPcLm2EELi4E23TrivialOffsetCalculatorILi1EjESD_NS0_6memory15LoadWithoutCastENSE_16StoreWithoutCastEEEviT_T0_T2_T3_T4_T5_.num_named_barrier, 0
	.set _ZN2at6native27unrolled_elementwise_kernelINS0_13AUnaryFunctorIN3c104HalfES4_bNS0_12_GLOBAL__N_116CompareEqFunctorIS4_EEEESt5arrayIPcLm2EELi4E23TrivialOffsetCalculatorILi1EjESD_NS0_6memory15LoadWithoutCastENSE_16StoreWithoutCastEEEviT_T0_T2_T3_T4_T5_.private_seg_size, 0
	.set _ZN2at6native27unrolled_elementwise_kernelINS0_13AUnaryFunctorIN3c104HalfES4_bNS0_12_GLOBAL__N_116CompareEqFunctorIS4_EEEESt5arrayIPcLm2EELi4E23TrivialOffsetCalculatorILi1EjESD_NS0_6memory15LoadWithoutCastENSE_16StoreWithoutCastEEEviT_T0_T2_T3_T4_T5_.uses_vcc, 1
	.set _ZN2at6native27unrolled_elementwise_kernelINS0_13AUnaryFunctorIN3c104HalfES4_bNS0_12_GLOBAL__N_116CompareEqFunctorIS4_EEEESt5arrayIPcLm2EELi4E23TrivialOffsetCalculatorILi1EjESD_NS0_6memory15LoadWithoutCastENSE_16StoreWithoutCastEEEviT_T0_T2_T3_T4_T5_.uses_flat_scratch, 0
	.set _ZN2at6native27unrolled_elementwise_kernelINS0_13AUnaryFunctorIN3c104HalfES4_bNS0_12_GLOBAL__N_116CompareEqFunctorIS4_EEEESt5arrayIPcLm2EELi4E23TrivialOffsetCalculatorILi1EjESD_NS0_6memory15LoadWithoutCastENSE_16StoreWithoutCastEEEviT_T0_T2_T3_T4_T5_.has_dyn_sized_stack, 0
	.set _ZN2at6native27unrolled_elementwise_kernelINS0_13AUnaryFunctorIN3c104HalfES4_bNS0_12_GLOBAL__N_116CompareEqFunctorIS4_EEEESt5arrayIPcLm2EELi4E23TrivialOffsetCalculatorILi1EjESD_NS0_6memory15LoadWithoutCastENSE_16StoreWithoutCastEEEviT_T0_T2_T3_T4_T5_.has_recursion, 0
	.set _ZN2at6native27unrolled_elementwise_kernelINS0_13AUnaryFunctorIN3c104HalfES4_bNS0_12_GLOBAL__N_116CompareEqFunctorIS4_EEEESt5arrayIPcLm2EELi4E23TrivialOffsetCalculatorILi1EjESD_NS0_6memory15LoadWithoutCastENSE_16StoreWithoutCastEEEviT_T0_T2_T3_T4_T5_.has_indirect_call, 0
	.section	.AMDGPU.csdata,"",@progbits
; Kernel info:
; codeLenInByte = 960
; TotalNumSgprs: 13
; NumVgprs: 9
; ScratchSize: 0
; MemoryBound: 0
; FloatMode: 240
; IeeeMode: 1
; LDSByteSize: 0 bytes/workgroup (compile time only)
; SGPRBlocks: 0
; VGPRBlocks: 0
; NumSGPRsForWavesPerEU: 13
; NumVGPRsForWavesPerEU: 9
; NamedBarCnt: 0
; Occupancy: 16
; WaveLimiterHint : 0
; COMPUTE_PGM_RSRC2:SCRATCH_EN: 0
; COMPUTE_PGM_RSRC2:USER_SGPR: 2
; COMPUTE_PGM_RSRC2:TRAP_HANDLER: 0
; COMPUTE_PGM_RSRC2:TGID_X_EN: 1
; COMPUTE_PGM_RSRC2:TGID_Y_EN: 0
; COMPUTE_PGM_RSRC2:TGID_Z_EN: 0
; COMPUTE_PGM_RSRC2:TIDIG_COMP_CNT: 0
	.section	.text._ZN2at6native32elementwise_kernel_manual_unrollILi128ELi8EZNS0_22gpu_kernel_impl_nocastINS0_13AUnaryFunctorIN3c104HalfES5_bNS0_12_GLOBAL__N_116CompareEqFunctorIS5_EEEEEEvRNS_18TensorIteratorBaseERKT_EUlibE_EEviT1_,"axG",@progbits,_ZN2at6native32elementwise_kernel_manual_unrollILi128ELi8EZNS0_22gpu_kernel_impl_nocastINS0_13AUnaryFunctorIN3c104HalfES5_bNS0_12_GLOBAL__N_116CompareEqFunctorIS5_EEEEEEvRNS_18TensorIteratorBaseERKT_EUlibE_EEviT1_,comdat
	.globl	_ZN2at6native32elementwise_kernel_manual_unrollILi128ELi8EZNS0_22gpu_kernel_impl_nocastINS0_13AUnaryFunctorIN3c104HalfES5_bNS0_12_GLOBAL__N_116CompareEqFunctorIS5_EEEEEEvRNS_18TensorIteratorBaseERKT_EUlibE_EEviT1_ ; -- Begin function _ZN2at6native32elementwise_kernel_manual_unrollILi128ELi8EZNS0_22gpu_kernel_impl_nocastINS0_13AUnaryFunctorIN3c104HalfES5_bNS0_12_GLOBAL__N_116CompareEqFunctorIS5_EEEEEEvRNS_18TensorIteratorBaseERKT_EUlibE_EEviT1_
	.p2align	8
	.type	_ZN2at6native32elementwise_kernel_manual_unrollILi128ELi8EZNS0_22gpu_kernel_impl_nocastINS0_13AUnaryFunctorIN3c104HalfES5_bNS0_12_GLOBAL__N_116CompareEqFunctorIS5_EEEEEEvRNS_18TensorIteratorBaseERKT_EUlibE_EEviT1_,@function
_ZN2at6native32elementwise_kernel_manual_unrollILi128ELi8EZNS0_22gpu_kernel_impl_nocastINS0_13AUnaryFunctorIN3c104HalfES5_bNS0_12_GLOBAL__N_116CompareEqFunctorIS5_EEEEEEvRNS_18TensorIteratorBaseERKT_EUlibE_EEviT1_: ; @_ZN2at6native32elementwise_kernel_manual_unrollILi128ELi8EZNS0_22gpu_kernel_impl_nocastINS0_13AUnaryFunctorIN3c104HalfES5_bNS0_12_GLOBAL__N_116CompareEqFunctorIS5_EEEEEEvRNS_18TensorIteratorBaseERKT_EUlibE_EEviT1_
; %bb.0:
	s_clause 0x1
	s_load_b32 s30, s[0:1], 0x8
	s_load_b32 s36, s[0:1], 0x0
	s_bfe_u32 s2, ttmp6, 0x4000c
	s_and_b32 s3, ttmp6, 15
	s_add_co_i32 s2, s2, 1
	s_getreg_b32 s4, hwreg(HW_REG_IB_STS2, 6, 4)
	s_mul_i32 s2, ttmp9, s2
	s_add_nc_u64 s[16:17], s[0:1], 8
	s_add_co_i32 s3, s3, s2
	s_cmp_eq_u32 s4, 0
	s_mov_b32 s19, 0
	s_cselect_b32 s2, ttmp9, s3
	s_wait_xcnt 0x0
	s_mov_b32 s0, exec_lo
	v_lshl_or_b32 v0, s2, 10, v0
	s_delay_alu instid0(VALU_DEP_1) | instskip(SKIP_2) | instid1(SALU_CYCLE_1)
	v_or_b32_e32 v16, 0x380, v0
	s_wait_kmcnt 0x0
	s_add_co_i32 s31, s30, -1
	s_cmp_gt_u32 s31, 1
	s_cselect_b32 s33, -1, 0
	v_cmpx_le_i32_e64 s36, v16
	s_xor_b32 s34, exec_lo, s0
	s_cbranch_execz .LBB189_7
; %bb.1:
	s_clause 0x4
	s_load_b128 s[8:11], s[16:17], 0x4
	s_load_b64 s[2:3], s[16:17], 0x14
	s_load_b64 s[0:1], s[16:17], 0x158
	s_load_b128 s[12:15], s[16:17], 0xc4
	s_load_b128 s[4:7], s[16:17], 0x148
	s_cmp_lg_u32 s30, 0
	s_add_nc_u64 s[22:23], s[16:17], 0xc4
	s_cselect_b32 s38, -1, 0
	s_min_u32 s37, s31, 15
	s_cmp_gt_u32 s30, 1
	s_mov_b32 s21, s19
	s_cselect_b32 s35, -1, 0
	s_wait_kmcnt 0x0
	s_mov_b32 s18, s9
	s_mov_b32 s20, s2
	s_cmp_eq_u32 s0, 0
	s_mov_b32 s2, exec_lo
	s_cselect_b32 s0, -1, 0
	v_cmpx_gt_i32_e64 s36, v0
	s_cbranch_execz .LBB189_14
; %bb.2:
	s_and_not1_b32 vcc_lo, exec_lo, s33
	s_cbranch_vccnz .LBB189_21
; %bb.3:
	s_and_not1_b32 vcc_lo, exec_lo, s38
	s_cbranch_vccnz .LBB189_129
; %bb.4:
	s_add_co_i32 s9, s37, 1
	s_cmp_eq_u32 s31, 2
	s_cbranch_scc1 .LBB189_131
; %bb.5:
	v_dual_mov_b32 v2, 0 :: v_dual_mov_b32 v3, 0
	v_mov_b32_e32 v1, v0
	s_and_b32 s24, s9, 28
	s_mov_b32 s25, 0
	s_mov_b64 s[26:27], s[16:17]
	s_mov_b64 s[28:29], s[22:23]
.LBB189_6:                              ; =>This Inner Loop Header: Depth=1
	s_clause 0x1
	s_load_b256 s[40:47], s[26:27], 0x4
	s_load_b128 s[56:59], s[26:27], 0x24
	s_load_b256 s[48:55], s[28:29], 0x0
	s_add_co_i32 s25, s25, 4
	s_wait_xcnt 0x0
	s_add_nc_u64 s[26:27], s[26:27], 48
	s_cmp_lg_u32 s24, s25
	s_add_nc_u64 s[28:29], s[28:29], 32
	s_wait_kmcnt 0x0
	v_mul_hi_u32 v4, s41, v1
	s_delay_alu instid0(VALU_DEP_1) | instskip(NEXT) | instid1(VALU_DEP_1)
	v_add_nc_u32_e32 v4, v1, v4
	v_lshrrev_b32_e32 v4, s42, v4
	s_delay_alu instid0(VALU_DEP_1) | instskip(NEXT) | instid1(VALU_DEP_1)
	v_mul_hi_u32 v5, s44, v4
	v_add_nc_u32_e32 v5, v4, v5
	s_delay_alu instid0(VALU_DEP_1) | instskip(NEXT) | instid1(VALU_DEP_1)
	v_lshrrev_b32_e32 v5, s45, v5
	v_mul_hi_u32 v6, s47, v5
	s_delay_alu instid0(VALU_DEP_1) | instskip(SKIP_1) | instid1(VALU_DEP_1)
	v_add_nc_u32_e32 v6, v5, v6
	v_mul_lo_u32 v7, v4, s40
	v_sub_nc_u32_e32 v1, v1, v7
	v_mul_lo_u32 v7, v5, s43
	s_delay_alu instid0(VALU_DEP_4) | instskip(NEXT) | instid1(VALU_DEP_3)
	v_lshrrev_b32_e32 v6, s56, v6
	v_mad_u32 v3, v1, s49, v3
	v_mad_u32 v1, v1, s48, v2
	s_delay_alu instid0(VALU_DEP_4) | instskip(NEXT) | instid1(VALU_DEP_4)
	v_sub_nc_u32_e32 v2, v4, v7
	v_mul_hi_u32 v8, s58, v6
	v_mul_lo_u32 v4, v6, s46
	s_delay_alu instid0(VALU_DEP_3) | instskip(SKIP_1) | instid1(VALU_DEP_4)
	v_mad_u32 v3, v2, s51, v3
	v_mad_u32 v2, v2, s50, v1
	v_add_nc_u32_e32 v7, v6, v8
	s_delay_alu instid0(VALU_DEP_1) | instskip(NEXT) | instid1(VALU_DEP_1)
	v_dual_sub_nc_u32 v4, v5, v4 :: v_dual_lshrrev_b32 v1, s59, v7
	v_mad_u32 v3, v4, s53, v3
	s_delay_alu instid0(VALU_DEP_4) | instskip(NEXT) | instid1(VALU_DEP_3)
	v_mad_u32 v2, v4, s52, v2
	v_mul_lo_u32 v5, v1, s57
	s_delay_alu instid0(VALU_DEP_1) | instskip(NEXT) | instid1(VALU_DEP_1)
	v_sub_nc_u32_e32 v4, v6, v5
	v_mad_u32 v3, v4, s55, v3
	s_delay_alu instid0(VALU_DEP_4)
	v_mad_u32 v2, v4, s54, v2
	s_cbranch_scc1 .LBB189_6
	s_branch .LBB189_132
.LBB189_7:
	s_and_not1_saveexec_b32 s0, s34
	s_cbranch_execz .LBB189_221
.LBB189_8:
	v_cndmask_b32_e64 v14, 0, 1, s33
	s_and_not1_b32 vcc_lo, exec_lo, s33
	s_cbranch_vccnz .LBB189_20
; %bb.9:
	s_cmp_lg_u32 s30, 0
	s_mov_b32 s6, 0
	s_cbranch_scc0 .LBB189_23
; %bb.10:
	s_min_u32 s1, s31, 15
	s_delay_alu instid0(SALU_CYCLE_1)
	s_add_co_i32 s1, s1, 1
	s_cmp_eq_u32 s31, 2
	s_cbranch_scc1 .LBB189_24
; %bb.11:
	v_dual_mov_b32 v2, 0 :: v_dual_mov_b32 v3, 0
	v_mov_b32_e32 v1, v0
	s_and_b32 s0, s1, 28
	s_add_nc_u64 s[2:3], s[16:17], 0xc4
	s_mov_b32 s7, 0
	s_mov_b64 s[4:5], s[16:17]
.LBB189_12:                             ; =>This Inner Loop Header: Depth=1
	s_clause 0x1
	s_load_b256 s[8:15], s[4:5], 0x4
	s_load_b128 s[36:39], s[4:5], 0x24
	s_load_b256 s[20:27], s[2:3], 0x0
	s_add_co_i32 s7, s7, 4
	s_wait_xcnt 0x0
	s_add_nc_u64 s[4:5], s[4:5], 48
	s_cmp_lg_u32 s0, s7
	s_add_nc_u64 s[2:3], s[2:3], 32
	s_wait_kmcnt 0x0
	v_mul_hi_u32 v4, s9, v1
	s_delay_alu instid0(VALU_DEP_1) | instskip(NEXT) | instid1(VALU_DEP_1)
	v_add_nc_u32_e32 v4, v1, v4
	v_lshrrev_b32_e32 v4, s10, v4
	s_delay_alu instid0(VALU_DEP_1) | instskip(NEXT) | instid1(VALU_DEP_1)
	v_mul_hi_u32 v5, s12, v4
	v_add_nc_u32_e32 v5, v4, v5
	s_delay_alu instid0(VALU_DEP_1) | instskip(NEXT) | instid1(VALU_DEP_1)
	v_lshrrev_b32_e32 v5, s13, v5
	v_mul_hi_u32 v6, s15, v5
	s_delay_alu instid0(VALU_DEP_1) | instskip(SKIP_1) | instid1(VALU_DEP_1)
	v_add_nc_u32_e32 v6, v5, v6
	v_mul_lo_u32 v7, v4, s8
	v_sub_nc_u32_e32 v1, v1, v7
	v_mul_lo_u32 v7, v5, s11
	s_delay_alu instid0(VALU_DEP_4) | instskip(NEXT) | instid1(VALU_DEP_3)
	v_lshrrev_b32_e32 v6, s36, v6
	v_mad_u32 v3, v1, s21, v3
	v_mad_u32 v1, v1, s20, v2
	s_delay_alu instid0(VALU_DEP_4) | instskip(NEXT) | instid1(VALU_DEP_4)
	v_sub_nc_u32_e32 v2, v4, v7
	v_mul_hi_u32 v8, s38, v6
	v_mul_lo_u32 v4, v6, s14
	s_delay_alu instid0(VALU_DEP_3) | instskip(SKIP_1) | instid1(VALU_DEP_4)
	v_mad_u32 v3, v2, s23, v3
	v_mad_u32 v2, v2, s22, v1
	v_add_nc_u32_e32 v7, v6, v8
	s_delay_alu instid0(VALU_DEP_1) | instskip(NEXT) | instid1(VALU_DEP_1)
	v_dual_sub_nc_u32 v4, v5, v4 :: v_dual_lshrrev_b32 v1, s39, v7
	v_mad_u32 v3, v4, s25, v3
	s_delay_alu instid0(VALU_DEP_4) | instskip(NEXT) | instid1(VALU_DEP_3)
	v_mad_u32 v2, v4, s24, v2
	v_mul_lo_u32 v5, v1, s37
	s_delay_alu instid0(VALU_DEP_1) | instskip(NEXT) | instid1(VALU_DEP_1)
	v_sub_nc_u32_e32 v4, v6, v5
	v_mad_u32 v3, v4, s27, v3
	s_delay_alu instid0(VALU_DEP_4)
	v_mad_u32 v2, v4, s26, v2
	s_cbranch_scc1 .LBB189_12
; %bb.13:
	s_and_b32 s4, s1, 3
	s_mov_b32 s1, 0
	s_cmp_eq_u32 s4, 0
	s_cbranch_scc0 .LBB189_25
	s_branch .LBB189_27
.LBB189_14:
	s_or_b32 exec_lo, exec_lo, s2
	s_delay_alu instid0(SALU_CYCLE_1)
	s_mov_b32 s2, exec_lo
	v_cmpx_gt_i32_e64 s36, v0
	s_cbranch_execz .LBB189_139
.LBB189_15:
	s_and_not1_b32 vcc_lo, exec_lo, s33
	s_cbranch_vccnz .LBB189_22
; %bb.16:
	s_and_not1_b32 vcc_lo, exec_lo, s38
	s_cbranch_vccnz .LBB189_130
; %bb.17:
	s_add_co_i32 s9, s37, 1
	s_cmp_eq_u32 s31, 2
	s_cbranch_scc1 .LBB189_147
; %bb.18:
	v_dual_mov_b32 v2, 0 :: v_dual_mov_b32 v3, 0
	v_mov_b32_e32 v1, v0
	s_and_b32 s24, s9, 28
	s_mov_b32 s25, 0
	s_mov_b64 s[26:27], s[16:17]
	s_mov_b64 s[28:29], s[22:23]
.LBB189_19:                             ; =>This Inner Loop Header: Depth=1
	s_clause 0x1
	s_load_b256 s[40:47], s[26:27], 0x4
	s_load_b128 s[56:59], s[26:27], 0x24
	s_load_b256 s[48:55], s[28:29], 0x0
	s_add_co_i32 s25, s25, 4
	s_wait_xcnt 0x0
	s_add_nc_u64 s[26:27], s[26:27], 48
	s_cmp_eq_u32 s24, s25
	s_add_nc_u64 s[28:29], s[28:29], 32
	s_wait_kmcnt 0x0
	v_mul_hi_u32 v4, s41, v1
	s_delay_alu instid0(VALU_DEP_1) | instskip(NEXT) | instid1(VALU_DEP_1)
	v_add_nc_u32_e32 v4, v1, v4
	v_lshrrev_b32_e32 v4, s42, v4
	s_delay_alu instid0(VALU_DEP_1) | instskip(NEXT) | instid1(VALU_DEP_1)
	v_mul_hi_u32 v5, s44, v4
	v_add_nc_u32_e32 v5, v4, v5
	s_delay_alu instid0(VALU_DEP_1) | instskip(NEXT) | instid1(VALU_DEP_1)
	v_lshrrev_b32_e32 v5, s45, v5
	v_mul_hi_u32 v6, s47, v5
	s_delay_alu instid0(VALU_DEP_1) | instskip(SKIP_1) | instid1(VALU_DEP_1)
	v_add_nc_u32_e32 v6, v5, v6
	v_mul_lo_u32 v7, v4, s40
	v_sub_nc_u32_e32 v1, v1, v7
	v_mul_lo_u32 v7, v5, s43
	s_delay_alu instid0(VALU_DEP_4) | instskip(NEXT) | instid1(VALU_DEP_3)
	v_lshrrev_b32_e32 v6, s56, v6
	v_mad_u32 v3, v1, s49, v3
	v_mad_u32 v1, v1, s48, v2
	s_delay_alu instid0(VALU_DEP_4) | instskip(NEXT) | instid1(VALU_DEP_4)
	v_sub_nc_u32_e32 v2, v4, v7
	v_mul_hi_u32 v8, s58, v6
	v_mul_lo_u32 v4, v6, s46
	s_delay_alu instid0(VALU_DEP_3) | instskip(SKIP_1) | instid1(VALU_DEP_4)
	v_mad_u32 v3, v2, s51, v3
	v_mad_u32 v2, v2, s50, v1
	v_add_nc_u32_e32 v7, v6, v8
	s_delay_alu instid0(VALU_DEP_1) | instskip(NEXT) | instid1(VALU_DEP_1)
	v_dual_sub_nc_u32 v4, v5, v4 :: v_dual_lshrrev_b32 v1, s59, v7
	v_mad_u32 v3, v4, s53, v3
	s_delay_alu instid0(VALU_DEP_4) | instskip(NEXT) | instid1(VALU_DEP_3)
	v_mad_u32 v2, v4, s52, v2
	v_mul_lo_u32 v5, v1, s57
	s_delay_alu instid0(VALU_DEP_1) | instskip(NEXT) | instid1(VALU_DEP_1)
	v_sub_nc_u32_e32 v4, v6, v5
	v_mad_u32 v3, v4, s55, v3
	s_delay_alu instid0(VALU_DEP_4)
	v_mad_u32 v2, v4, s54, v2
	s_cbranch_scc0 .LBB189_19
	s_branch .LBB189_148
.LBB189_20:
	s_mov_b32 s6, -1
                                        ; implicit-def: $vgpr3
	s_branch .LBB189_27
.LBB189_21:
                                        ; implicit-def: $vgpr3
	s_branch .LBB189_136
.LBB189_22:
                                        ; implicit-def: $vgpr3
	s_branch .LBB189_152
.LBB189_23:
	v_dual_mov_b32 v3, 0 :: v_dual_mov_b32 v2, 0
	s_branch .LBB189_27
.LBB189_24:
	v_mov_b64_e32 v[2:3], 0
	v_mov_b32_e32 v1, v0
	s_mov_b32 s0, 0
	s_and_b32 s4, s1, 3
	s_mov_b32 s1, 0
	s_cmp_eq_u32 s4, 0
	s_cbranch_scc1 .LBB189_27
.LBB189_25:
	s_lshl_b32 s2, s0, 3
	s_mov_b32 s3, s1
	s_mul_u64 s[8:9], s[0:1], 12
	s_add_nc_u64 s[2:3], s[16:17], s[2:3]
	s_delay_alu instid0(SALU_CYCLE_1)
	s_add_nc_u64 s[0:1], s[2:3], 0xc4
	s_add_nc_u64 s[2:3], s[16:17], s[8:9]
.LBB189_26:                             ; =>This Inner Loop Header: Depth=1
	s_load_b96 s[8:10], s[2:3], 0x4
	s_add_co_i32 s4, s4, -1
	s_wait_xcnt 0x0
	s_add_nc_u64 s[2:3], s[2:3], 12
	s_cmp_lg_u32 s4, 0
	s_wait_kmcnt 0x0
	v_mul_hi_u32 v4, s9, v1
	s_delay_alu instid0(VALU_DEP_1) | instskip(NEXT) | instid1(VALU_DEP_1)
	v_add_nc_u32_e32 v4, v1, v4
	v_lshrrev_b32_e32 v4, s10, v4
	s_load_b64 s[10:11], s[0:1], 0x0
	s_wait_xcnt 0x0
	s_add_nc_u64 s[0:1], s[0:1], 8
	s_delay_alu instid0(VALU_DEP_1) | instskip(NEXT) | instid1(VALU_DEP_1)
	v_mul_lo_u32 v5, v4, s8
	v_sub_nc_u32_e32 v1, v1, v5
	s_wait_kmcnt 0x0
	s_delay_alu instid0(VALU_DEP_1)
	v_mad_u32 v3, v1, s11, v3
	v_mad_u32 v2, v1, s10, v2
	v_mov_b32_e32 v1, v4
	s_cbranch_scc1 .LBB189_26
.LBB189_27:
	s_and_not1_b32 vcc_lo, exec_lo, s6
	s_cbranch_vccnz .LBB189_30
; %bb.28:
	s_clause 0x1
	s_load_b96 s[0:2], s[16:17], 0x4
	s_load_b64 s[4:5], s[16:17], 0xc4
	s_cmp_lt_u32 s30, 2
	s_wait_kmcnt 0x0
	v_mul_hi_u32 v1, s1, v0
	s_delay_alu instid0(VALU_DEP_1) | instskip(NEXT) | instid1(VALU_DEP_1)
	v_add_nc_u32_e32 v1, v0, v1
	v_lshrrev_b32_e32 v1, s2, v1
	s_delay_alu instid0(VALU_DEP_1) | instskip(NEXT) | instid1(VALU_DEP_1)
	v_mul_lo_u32 v2, v1, s0
	v_sub_nc_u32_e32 v2, v0, v2
	s_delay_alu instid0(VALU_DEP_1)
	v_mul_lo_u32 v3, v2, s5
	v_mul_lo_u32 v2, v2, s4
	s_cbranch_scc1 .LBB189_30
; %bb.29:
	s_clause 0x1
	s_load_b96 s[0:2], s[16:17], 0x10
	s_load_b64 s[4:5], s[16:17], 0xcc
	s_wait_kmcnt 0x0
	v_mul_hi_u32 v4, s1, v1
	s_delay_alu instid0(VALU_DEP_1) | instskip(NEXT) | instid1(VALU_DEP_1)
	v_add_nc_u32_e32 v4, v1, v4
	v_lshrrev_b32_e32 v4, s2, v4
	s_delay_alu instid0(VALU_DEP_1) | instskip(NEXT) | instid1(VALU_DEP_1)
	v_mul_lo_u32 v4, v4, s0
	v_sub_nc_u32_e32 v1, v1, v4
	s_delay_alu instid0(VALU_DEP_1)
	v_mad_u32 v2, v1, s4, v2
	v_mad_u32 v3, v1, s5, v3
.LBB189_30:
	v_cmp_ne_u32_e32 vcc_lo, 1, v14
	v_add_nc_u32_e32 v1, 0x80, v0
	s_cbranch_vccnz .LBB189_36
; %bb.31:
	s_cmp_lg_u32 s30, 0
	s_mov_b32 s6, 0
	s_cbranch_scc0 .LBB189_37
; %bb.32:
	s_min_u32 s1, s31, 15
	s_delay_alu instid0(SALU_CYCLE_1)
	s_add_co_i32 s1, s1, 1
	s_cmp_eq_u32 s31, 2
	s_cbranch_scc1 .LBB189_38
; %bb.33:
	v_dual_mov_b32 v4, 0 :: v_dual_mov_b32 v5, 0
	v_mov_b32_e32 v6, v1
	s_and_b32 s0, s1, 28
	s_add_nc_u64 s[2:3], s[16:17], 0xc4
	s_mov_b32 s7, 0
	s_mov_b64 s[4:5], s[16:17]
.LBB189_34:                             ; =>This Inner Loop Header: Depth=1
	s_clause 0x1
	s_load_b256 s[8:15], s[4:5], 0x4
	s_load_b128 s[36:39], s[4:5], 0x24
	s_load_b256 s[20:27], s[2:3], 0x0
	s_add_co_i32 s7, s7, 4
	s_wait_xcnt 0x0
	s_add_nc_u64 s[4:5], s[4:5], 48
	s_cmp_lg_u32 s0, s7
	s_add_nc_u64 s[2:3], s[2:3], 32
	s_wait_kmcnt 0x0
	v_mul_hi_u32 v7, s9, v6
	s_delay_alu instid0(VALU_DEP_1) | instskip(NEXT) | instid1(VALU_DEP_1)
	v_add_nc_u32_e32 v7, v6, v7
	v_lshrrev_b32_e32 v7, s10, v7
	s_delay_alu instid0(VALU_DEP_1) | instskip(NEXT) | instid1(VALU_DEP_1)
	v_mul_hi_u32 v8, s12, v7
	v_add_nc_u32_e32 v8, v7, v8
	s_delay_alu instid0(VALU_DEP_1) | instskip(NEXT) | instid1(VALU_DEP_1)
	v_lshrrev_b32_e32 v8, s13, v8
	v_mul_hi_u32 v9, s15, v8
	s_delay_alu instid0(VALU_DEP_1) | instskip(SKIP_1) | instid1(VALU_DEP_1)
	v_add_nc_u32_e32 v9, v8, v9
	v_mul_lo_u32 v10, v7, s8
	v_sub_nc_u32_e32 v6, v6, v10
	v_mul_lo_u32 v10, v8, s11
	s_delay_alu instid0(VALU_DEP_4) | instskip(NEXT) | instid1(VALU_DEP_3)
	v_lshrrev_b32_e32 v9, s36, v9
	v_mad_u32 v5, v6, s21, v5
	v_mad_u32 v4, v6, s20, v4
	s_delay_alu instid0(VALU_DEP_4) | instskip(NEXT) | instid1(VALU_DEP_4)
	v_sub_nc_u32_e32 v6, v7, v10
	v_mul_hi_u32 v11, s38, v9
	v_mul_lo_u32 v7, v9, s14
	s_delay_alu instid0(VALU_DEP_3) | instskip(SKIP_1) | instid1(VALU_DEP_4)
	v_mad_u32 v5, v6, s23, v5
	v_mad_u32 v4, v6, s22, v4
	v_add_nc_u32_e32 v10, v9, v11
	s_delay_alu instid0(VALU_DEP_1) | instskip(NEXT) | instid1(VALU_DEP_1)
	v_dual_sub_nc_u32 v7, v8, v7 :: v_dual_lshrrev_b32 v6, s39, v10
	v_mad_u32 v5, v7, s25, v5
	s_delay_alu instid0(VALU_DEP_4) | instskip(NEXT) | instid1(VALU_DEP_3)
	v_mad_u32 v4, v7, s24, v4
	v_mul_lo_u32 v8, v6, s37
	s_delay_alu instid0(VALU_DEP_1) | instskip(NEXT) | instid1(VALU_DEP_1)
	v_sub_nc_u32_e32 v7, v9, v8
	v_mad_u32 v5, v7, s27, v5
	s_delay_alu instid0(VALU_DEP_4)
	v_mad_u32 v4, v7, s26, v4
	s_cbranch_scc1 .LBB189_34
; %bb.35:
	s_and_b32 s4, s1, 3
	s_mov_b32 s1, 0
	s_cmp_eq_u32 s4, 0
	s_cbranch_scc0 .LBB189_39
	s_branch .LBB189_41
.LBB189_36:
	s_mov_b32 s6, -1
                                        ; implicit-def: $vgpr5
	s_branch .LBB189_41
.LBB189_37:
	v_dual_mov_b32 v5, 0 :: v_dual_mov_b32 v4, 0
	s_branch .LBB189_41
.LBB189_38:
	v_mov_b64_e32 v[4:5], 0
	v_mov_b32_e32 v6, v1
	s_mov_b32 s0, 0
	s_and_b32 s4, s1, 3
	s_mov_b32 s1, 0
	s_cmp_eq_u32 s4, 0
	s_cbranch_scc1 .LBB189_41
.LBB189_39:
	s_lshl_b32 s2, s0, 3
	s_mov_b32 s3, s1
	s_mul_u64 s[8:9], s[0:1], 12
	s_add_nc_u64 s[2:3], s[16:17], s[2:3]
	s_delay_alu instid0(SALU_CYCLE_1)
	s_add_nc_u64 s[0:1], s[2:3], 0xc4
	s_add_nc_u64 s[2:3], s[16:17], s[8:9]
.LBB189_40:                             ; =>This Inner Loop Header: Depth=1
	s_load_b96 s[8:10], s[2:3], 0x4
	s_add_co_i32 s4, s4, -1
	s_wait_xcnt 0x0
	s_add_nc_u64 s[2:3], s[2:3], 12
	s_cmp_lg_u32 s4, 0
	s_wait_kmcnt 0x0
	v_mul_hi_u32 v7, s9, v6
	s_delay_alu instid0(VALU_DEP_1) | instskip(NEXT) | instid1(VALU_DEP_1)
	v_add_nc_u32_e32 v7, v6, v7
	v_lshrrev_b32_e32 v7, s10, v7
	s_load_b64 s[10:11], s[0:1], 0x0
	s_wait_xcnt 0x0
	s_add_nc_u64 s[0:1], s[0:1], 8
	s_delay_alu instid0(VALU_DEP_1) | instskip(NEXT) | instid1(VALU_DEP_1)
	v_mul_lo_u32 v8, v7, s8
	v_sub_nc_u32_e32 v6, v6, v8
	s_wait_kmcnt 0x0
	s_delay_alu instid0(VALU_DEP_1)
	v_mad_u32 v5, v6, s11, v5
	v_mad_u32 v4, v6, s10, v4
	v_mov_b32_e32 v6, v7
	s_cbranch_scc1 .LBB189_40
.LBB189_41:
	s_and_not1_b32 vcc_lo, exec_lo, s6
	s_cbranch_vccnz .LBB189_44
; %bb.42:
	s_clause 0x1
	s_load_b96 s[0:2], s[16:17], 0x4
	s_load_b64 s[4:5], s[16:17], 0xc4
	s_cmp_lt_u32 s30, 2
	s_wait_kmcnt 0x0
	v_mul_hi_u32 v4, s1, v1
	s_delay_alu instid0(VALU_DEP_1) | instskip(NEXT) | instid1(VALU_DEP_1)
	v_add_nc_u32_e32 v4, v1, v4
	v_lshrrev_b32_e32 v6, s2, v4
	s_delay_alu instid0(VALU_DEP_1) | instskip(NEXT) | instid1(VALU_DEP_1)
	v_mul_lo_u32 v4, v6, s0
	v_sub_nc_u32_e32 v1, v1, v4
	s_delay_alu instid0(VALU_DEP_1)
	v_mul_lo_u32 v5, v1, s5
	v_mul_lo_u32 v4, v1, s4
	s_cbranch_scc1 .LBB189_44
; %bb.43:
	s_clause 0x1
	s_load_b96 s[0:2], s[16:17], 0x10
	s_load_b64 s[4:5], s[16:17], 0xcc
	s_wait_kmcnt 0x0
	v_mul_hi_u32 v1, s1, v6
	s_delay_alu instid0(VALU_DEP_1) | instskip(NEXT) | instid1(VALU_DEP_1)
	v_add_nc_u32_e32 v1, v6, v1
	v_lshrrev_b32_e32 v1, s2, v1
	s_delay_alu instid0(VALU_DEP_1) | instskip(NEXT) | instid1(VALU_DEP_1)
	v_mul_lo_u32 v1, v1, s0
	v_sub_nc_u32_e32 v1, v6, v1
	s_delay_alu instid0(VALU_DEP_1)
	v_mad_u32 v4, v1, s4, v4
	v_mad_u32 v5, v1, s5, v5
.LBB189_44:
	v_cmp_ne_u32_e32 vcc_lo, 1, v14
	v_add_nc_u32_e32 v1, 0x100, v0
	s_cbranch_vccnz .LBB189_50
; %bb.45:
	s_cmp_lg_u32 s30, 0
	s_mov_b32 s6, 0
	s_cbranch_scc0 .LBB189_51
; %bb.46:
	s_min_u32 s1, s31, 15
	s_delay_alu instid0(SALU_CYCLE_1)
	s_add_co_i32 s1, s1, 1
	s_cmp_eq_u32 s31, 2
	s_cbranch_scc1 .LBB189_52
; %bb.47:
	v_dual_mov_b32 v6, 0 :: v_dual_mov_b32 v7, 0
	v_mov_b32_e32 v8, v1
	s_and_b32 s0, s1, 28
	s_add_nc_u64 s[2:3], s[16:17], 0xc4
	s_mov_b32 s7, 0
	s_mov_b64 s[4:5], s[16:17]
.LBB189_48:                             ; =>This Inner Loop Header: Depth=1
	s_clause 0x1
	s_load_b256 s[8:15], s[4:5], 0x4
	s_load_b128 s[36:39], s[4:5], 0x24
	s_load_b256 s[20:27], s[2:3], 0x0
	s_add_co_i32 s7, s7, 4
	s_wait_xcnt 0x0
	s_add_nc_u64 s[4:5], s[4:5], 48
	s_cmp_lg_u32 s0, s7
	s_add_nc_u64 s[2:3], s[2:3], 32
	s_wait_kmcnt 0x0
	v_mul_hi_u32 v9, s9, v8
	s_delay_alu instid0(VALU_DEP_1) | instskip(NEXT) | instid1(VALU_DEP_1)
	v_add_nc_u32_e32 v9, v8, v9
	v_lshrrev_b32_e32 v9, s10, v9
	s_delay_alu instid0(VALU_DEP_1) | instskip(NEXT) | instid1(VALU_DEP_1)
	v_mul_hi_u32 v10, s12, v9
	v_add_nc_u32_e32 v10, v9, v10
	s_delay_alu instid0(VALU_DEP_1) | instskip(NEXT) | instid1(VALU_DEP_1)
	v_lshrrev_b32_e32 v10, s13, v10
	v_mul_hi_u32 v11, s15, v10
	s_delay_alu instid0(VALU_DEP_1) | instskip(SKIP_1) | instid1(VALU_DEP_1)
	v_add_nc_u32_e32 v11, v10, v11
	v_mul_lo_u32 v12, v9, s8
	v_sub_nc_u32_e32 v8, v8, v12
	v_mul_lo_u32 v12, v10, s11
	s_delay_alu instid0(VALU_DEP_4) | instskip(NEXT) | instid1(VALU_DEP_3)
	v_lshrrev_b32_e32 v11, s36, v11
	v_mad_u32 v7, v8, s21, v7
	v_mad_u32 v6, v8, s20, v6
	s_delay_alu instid0(VALU_DEP_4) | instskip(NEXT) | instid1(VALU_DEP_4)
	v_sub_nc_u32_e32 v8, v9, v12
	v_mul_hi_u32 v13, s38, v11
	v_mul_lo_u32 v9, v11, s14
	s_delay_alu instid0(VALU_DEP_3) | instskip(SKIP_1) | instid1(VALU_DEP_4)
	v_mad_u32 v7, v8, s23, v7
	v_mad_u32 v6, v8, s22, v6
	v_add_nc_u32_e32 v12, v11, v13
	s_delay_alu instid0(VALU_DEP_1) | instskip(NEXT) | instid1(VALU_DEP_1)
	v_dual_sub_nc_u32 v9, v10, v9 :: v_dual_lshrrev_b32 v8, s39, v12
	v_mad_u32 v7, v9, s25, v7
	s_delay_alu instid0(VALU_DEP_4) | instskip(NEXT) | instid1(VALU_DEP_3)
	v_mad_u32 v6, v9, s24, v6
	v_mul_lo_u32 v10, v8, s37
	s_delay_alu instid0(VALU_DEP_1) | instskip(NEXT) | instid1(VALU_DEP_1)
	v_sub_nc_u32_e32 v9, v11, v10
	v_mad_u32 v7, v9, s27, v7
	s_delay_alu instid0(VALU_DEP_4)
	v_mad_u32 v6, v9, s26, v6
	s_cbranch_scc1 .LBB189_48
; %bb.49:
	s_and_b32 s4, s1, 3
	s_mov_b32 s1, 0
	s_cmp_eq_u32 s4, 0
	s_cbranch_scc0 .LBB189_53
	s_branch .LBB189_55
.LBB189_50:
	s_mov_b32 s6, -1
                                        ; implicit-def: $vgpr7
	s_branch .LBB189_55
.LBB189_51:
	v_dual_mov_b32 v7, 0 :: v_dual_mov_b32 v6, 0
	s_branch .LBB189_55
.LBB189_52:
	v_mov_b64_e32 v[6:7], 0
	v_mov_b32_e32 v8, v1
	s_mov_b32 s0, 0
	s_and_b32 s4, s1, 3
	s_mov_b32 s1, 0
	s_cmp_eq_u32 s4, 0
	s_cbranch_scc1 .LBB189_55
.LBB189_53:
	s_lshl_b32 s2, s0, 3
	s_mov_b32 s3, s1
	s_mul_u64 s[8:9], s[0:1], 12
	s_add_nc_u64 s[2:3], s[16:17], s[2:3]
	s_delay_alu instid0(SALU_CYCLE_1)
	s_add_nc_u64 s[0:1], s[2:3], 0xc4
	s_add_nc_u64 s[2:3], s[16:17], s[8:9]
.LBB189_54:                             ; =>This Inner Loop Header: Depth=1
	s_load_b96 s[8:10], s[2:3], 0x4
	s_add_co_i32 s4, s4, -1
	s_wait_xcnt 0x0
	s_add_nc_u64 s[2:3], s[2:3], 12
	s_cmp_lg_u32 s4, 0
	s_wait_kmcnt 0x0
	v_mul_hi_u32 v9, s9, v8
	s_delay_alu instid0(VALU_DEP_1) | instskip(NEXT) | instid1(VALU_DEP_1)
	v_add_nc_u32_e32 v9, v8, v9
	v_lshrrev_b32_e32 v9, s10, v9
	s_load_b64 s[10:11], s[0:1], 0x0
	s_wait_xcnt 0x0
	s_add_nc_u64 s[0:1], s[0:1], 8
	s_delay_alu instid0(VALU_DEP_1) | instskip(NEXT) | instid1(VALU_DEP_1)
	v_mul_lo_u32 v10, v9, s8
	v_sub_nc_u32_e32 v8, v8, v10
	s_wait_kmcnt 0x0
	s_delay_alu instid0(VALU_DEP_1)
	v_mad_u32 v7, v8, s11, v7
	v_mad_u32 v6, v8, s10, v6
	v_mov_b32_e32 v8, v9
	s_cbranch_scc1 .LBB189_54
.LBB189_55:
	s_and_not1_b32 vcc_lo, exec_lo, s6
	s_cbranch_vccnz .LBB189_58
; %bb.56:
	s_clause 0x1
	s_load_b96 s[0:2], s[16:17], 0x4
	s_load_b64 s[4:5], s[16:17], 0xc4
	s_cmp_lt_u32 s30, 2
	s_wait_kmcnt 0x0
	v_mul_hi_u32 v6, s1, v1
	s_delay_alu instid0(VALU_DEP_1) | instskip(NEXT) | instid1(VALU_DEP_1)
	v_add_nc_u32_e32 v6, v1, v6
	v_lshrrev_b32_e32 v8, s2, v6
	s_delay_alu instid0(VALU_DEP_1) | instskip(NEXT) | instid1(VALU_DEP_1)
	v_mul_lo_u32 v6, v8, s0
	v_sub_nc_u32_e32 v1, v1, v6
	s_delay_alu instid0(VALU_DEP_1)
	v_mul_lo_u32 v7, v1, s5
	v_mul_lo_u32 v6, v1, s4
	s_cbranch_scc1 .LBB189_58
; %bb.57:
	s_clause 0x1
	s_load_b96 s[0:2], s[16:17], 0x10
	s_load_b64 s[4:5], s[16:17], 0xcc
	s_wait_kmcnt 0x0
	v_mul_hi_u32 v1, s1, v8
	s_delay_alu instid0(VALU_DEP_1) | instskip(NEXT) | instid1(VALU_DEP_1)
	v_add_nc_u32_e32 v1, v8, v1
	v_lshrrev_b32_e32 v1, s2, v1
	s_delay_alu instid0(VALU_DEP_1) | instskip(NEXT) | instid1(VALU_DEP_1)
	v_mul_lo_u32 v1, v1, s0
	v_sub_nc_u32_e32 v1, v8, v1
	s_delay_alu instid0(VALU_DEP_1)
	v_mad_u32 v6, v1, s4, v6
	v_mad_u32 v7, v1, s5, v7
.LBB189_58:
	v_cmp_ne_u32_e32 vcc_lo, 1, v14
	v_add_nc_u32_e32 v1, 0x180, v0
	s_cbranch_vccnz .LBB189_64
; %bb.59:
	s_cmp_lg_u32 s30, 0
	s_mov_b32 s6, 0
	s_cbranch_scc0 .LBB189_65
; %bb.60:
	s_min_u32 s1, s31, 15
	s_delay_alu instid0(SALU_CYCLE_1)
	s_add_co_i32 s1, s1, 1
	s_cmp_eq_u32 s31, 2
	s_cbranch_scc1 .LBB189_66
; %bb.61:
	v_dual_mov_b32 v8, 0 :: v_dual_mov_b32 v9, 0
	v_mov_b32_e32 v10, v1
	s_and_b32 s0, s1, 28
	s_add_nc_u64 s[2:3], s[16:17], 0xc4
	s_mov_b32 s7, 0
	s_mov_b64 s[4:5], s[16:17]
.LBB189_62:                             ; =>This Inner Loop Header: Depth=1
	s_clause 0x1
	s_load_b256 s[8:15], s[4:5], 0x4
	s_load_b128 s[36:39], s[4:5], 0x24
	s_load_b256 s[20:27], s[2:3], 0x0
	s_add_co_i32 s7, s7, 4
	s_wait_xcnt 0x0
	s_add_nc_u64 s[4:5], s[4:5], 48
	s_cmp_lg_u32 s0, s7
	s_add_nc_u64 s[2:3], s[2:3], 32
	s_wait_kmcnt 0x0
	v_mul_hi_u32 v11, s9, v10
	s_delay_alu instid0(VALU_DEP_1) | instskip(NEXT) | instid1(VALU_DEP_1)
	v_add_nc_u32_e32 v11, v10, v11
	v_lshrrev_b32_e32 v11, s10, v11
	s_delay_alu instid0(VALU_DEP_1) | instskip(NEXT) | instid1(VALU_DEP_1)
	v_mul_hi_u32 v12, s12, v11
	v_add_nc_u32_e32 v12, v11, v12
	s_delay_alu instid0(VALU_DEP_1) | instskip(NEXT) | instid1(VALU_DEP_1)
	v_lshrrev_b32_e32 v12, s13, v12
	v_mul_hi_u32 v13, s15, v12
	s_delay_alu instid0(VALU_DEP_1) | instskip(SKIP_1) | instid1(VALU_DEP_1)
	v_add_nc_u32_e32 v13, v12, v13
	v_mul_lo_u32 v15, v11, s8
	v_sub_nc_u32_e32 v10, v10, v15
	v_mul_lo_u32 v15, v12, s11
	s_delay_alu instid0(VALU_DEP_4) | instskip(NEXT) | instid1(VALU_DEP_3)
	v_lshrrev_b32_e32 v13, s36, v13
	v_mad_u32 v9, v10, s21, v9
	v_mad_u32 v8, v10, s20, v8
	s_delay_alu instid0(VALU_DEP_4) | instskip(NEXT) | instid1(VALU_DEP_4)
	v_sub_nc_u32_e32 v10, v11, v15
	v_mul_hi_u32 v17, s38, v13
	v_mul_lo_u32 v11, v13, s14
	s_delay_alu instid0(VALU_DEP_3) | instskip(SKIP_1) | instid1(VALU_DEP_3)
	v_mad_u32 v9, v10, s23, v9
	v_mad_u32 v8, v10, s22, v8
	v_dual_add_nc_u32 v15, v13, v17 :: v_dual_sub_nc_u32 v11, v12, v11
	s_delay_alu instid0(VALU_DEP_1) | instskip(NEXT) | instid1(VALU_DEP_2)
	v_lshrrev_b32_e32 v10, s39, v15
	v_mad_u32 v9, v11, s25, v9
	s_delay_alu instid0(VALU_DEP_4) | instskip(NEXT) | instid1(VALU_DEP_3)
	v_mad_u32 v8, v11, s24, v8
	v_mul_lo_u32 v12, v10, s37
	s_delay_alu instid0(VALU_DEP_1) | instskip(NEXT) | instid1(VALU_DEP_1)
	v_sub_nc_u32_e32 v11, v13, v12
	v_mad_u32 v9, v11, s27, v9
	s_delay_alu instid0(VALU_DEP_4)
	v_mad_u32 v8, v11, s26, v8
	s_cbranch_scc1 .LBB189_62
; %bb.63:
	s_and_b32 s4, s1, 3
	s_mov_b32 s1, 0
	s_cmp_eq_u32 s4, 0
	s_cbranch_scc0 .LBB189_67
	s_branch .LBB189_69
.LBB189_64:
	s_mov_b32 s6, -1
                                        ; implicit-def: $vgpr9
	s_branch .LBB189_69
.LBB189_65:
	v_dual_mov_b32 v9, 0 :: v_dual_mov_b32 v8, 0
	s_branch .LBB189_69
.LBB189_66:
	v_mov_b64_e32 v[8:9], 0
	v_mov_b32_e32 v10, v1
	s_mov_b32 s0, 0
	s_and_b32 s4, s1, 3
	s_mov_b32 s1, 0
	s_cmp_eq_u32 s4, 0
	s_cbranch_scc1 .LBB189_69
.LBB189_67:
	s_lshl_b32 s2, s0, 3
	s_mov_b32 s3, s1
	s_mul_u64 s[8:9], s[0:1], 12
	s_add_nc_u64 s[2:3], s[16:17], s[2:3]
	s_delay_alu instid0(SALU_CYCLE_1)
	s_add_nc_u64 s[0:1], s[2:3], 0xc4
	s_add_nc_u64 s[2:3], s[16:17], s[8:9]
.LBB189_68:                             ; =>This Inner Loop Header: Depth=1
	s_load_b96 s[8:10], s[2:3], 0x4
	s_add_co_i32 s4, s4, -1
	s_wait_xcnt 0x0
	s_add_nc_u64 s[2:3], s[2:3], 12
	s_cmp_lg_u32 s4, 0
	s_wait_kmcnt 0x0
	v_mul_hi_u32 v11, s9, v10
	s_delay_alu instid0(VALU_DEP_1) | instskip(NEXT) | instid1(VALU_DEP_1)
	v_add_nc_u32_e32 v11, v10, v11
	v_lshrrev_b32_e32 v11, s10, v11
	s_load_b64 s[10:11], s[0:1], 0x0
	s_wait_xcnt 0x0
	s_add_nc_u64 s[0:1], s[0:1], 8
	s_delay_alu instid0(VALU_DEP_1) | instskip(NEXT) | instid1(VALU_DEP_1)
	v_mul_lo_u32 v12, v11, s8
	v_sub_nc_u32_e32 v10, v10, v12
	s_wait_kmcnt 0x0
	s_delay_alu instid0(VALU_DEP_1)
	v_mad_u32 v9, v10, s11, v9
	v_mad_u32 v8, v10, s10, v8
	v_mov_b32_e32 v10, v11
	s_cbranch_scc1 .LBB189_68
.LBB189_69:
	s_and_not1_b32 vcc_lo, exec_lo, s6
	s_cbranch_vccnz .LBB189_72
; %bb.70:
	s_clause 0x1
	s_load_b96 s[0:2], s[16:17], 0x4
	s_load_b64 s[4:5], s[16:17], 0xc4
	s_cmp_lt_u32 s30, 2
	s_wait_kmcnt 0x0
	v_mul_hi_u32 v8, s1, v1
	s_delay_alu instid0(VALU_DEP_1) | instskip(NEXT) | instid1(VALU_DEP_1)
	v_add_nc_u32_e32 v8, v1, v8
	v_lshrrev_b32_e32 v10, s2, v8
	s_delay_alu instid0(VALU_DEP_1) | instskip(NEXT) | instid1(VALU_DEP_1)
	v_mul_lo_u32 v8, v10, s0
	v_sub_nc_u32_e32 v1, v1, v8
	s_delay_alu instid0(VALU_DEP_1)
	v_mul_lo_u32 v9, v1, s5
	v_mul_lo_u32 v8, v1, s4
	s_cbranch_scc1 .LBB189_72
; %bb.71:
	s_clause 0x1
	s_load_b96 s[0:2], s[16:17], 0x10
	s_load_b64 s[4:5], s[16:17], 0xcc
	s_wait_kmcnt 0x0
	v_mul_hi_u32 v1, s1, v10
	s_delay_alu instid0(VALU_DEP_1) | instskip(NEXT) | instid1(VALU_DEP_1)
	v_add_nc_u32_e32 v1, v10, v1
	v_lshrrev_b32_e32 v1, s2, v1
	s_delay_alu instid0(VALU_DEP_1) | instskip(NEXT) | instid1(VALU_DEP_1)
	v_mul_lo_u32 v1, v1, s0
	v_sub_nc_u32_e32 v1, v10, v1
	s_delay_alu instid0(VALU_DEP_1)
	v_mad_u32 v8, v1, s4, v8
	v_mad_u32 v9, v1, s5, v9
.LBB189_72:
	v_cmp_ne_u32_e32 vcc_lo, 1, v14
	v_add_nc_u32_e32 v1, 0x200, v0
	s_cbranch_vccnz .LBB189_78
; %bb.73:
	s_cmp_lg_u32 s30, 0
	s_mov_b32 s6, 0
	s_cbranch_scc0 .LBB189_79
; %bb.74:
	s_min_u32 s1, s31, 15
	s_delay_alu instid0(SALU_CYCLE_1)
	s_add_co_i32 s1, s1, 1
	s_cmp_eq_u32 s31, 2
	s_cbranch_scc1 .LBB189_80
; %bb.75:
	v_dual_mov_b32 v10, 0 :: v_dual_mov_b32 v11, 0
	v_mov_b32_e32 v12, v1
	s_and_b32 s0, s1, 28
	s_add_nc_u64 s[2:3], s[16:17], 0xc4
	s_mov_b32 s7, 0
	s_mov_b64 s[4:5], s[16:17]
.LBB189_76:                             ; =>This Inner Loop Header: Depth=1
	s_clause 0x1
	s_load_b256 s[8:15], s[4:5], 0x4
	s_load_b128 s[36:39], s[4:5], 0x24
	s_load_b256 s[20:27], s[2:3], 0x0
	s_add_co_i32 s7, s7, 4
	s_wait_xcnt 0x0
	s_add_nc_u64 s[4:5], s[4:5], 48
	s_cmp_lg_u32 s0, s7
	s_add_nc_u64 s[2:3], s[2:3], 32
	s_wait_kmcnt 0x0
	v_mul_hi_u32 v13, s9, v12
	s_delay_alu instid0(VALU_DEP_1) | instskip(NEXT) | instid1(VALU_DEP_1)
	v_add_nc_u32_e32 v13, v12, v13
	v_lshrrev_b32_e32 v13, s10, v13
	s_delay_alu instid0(VALU_DEP_1) | instskip(NEXT) | instid1(VALU_DEP_1)
	v_mul_lo_u32 v18, v13, s8
	v_sub_nc_u32_e32 v12, v12, v18
	v_mul_hi_u32 v15, s12, v13
	s_delay_alu instid0(VALU_DEP_2) | instskip(SKIP_1) | instid1(VALU_DEP_3)
	v_mad_u32 v11, v12, s21, v11
	v_mad_u32 v10, v12, s20, v10
	v_add_nc_u32_e32 v15, v13, v15
	s_delay_alu instid0(VALU_DEP_1) | instskip(NEXT) | instid1(VALU_DEP_1)
	v_lshrrev_b32_e32 v15, s13, v15
	v_mul_hi_u32 v17, s15, v15
	v_mul_lo_u32 v18, v15, s11
	s_delay_alu instid0(VALU_DEP_1) | instskip(NEXT) | instid1(VALU_DEP_1)
	v_dual_add_nc_u32 v17, v15, v17 :: v_dual_sub_nc_u32 v12, v13, v18
	v_lshrrev_b32_e32 v17, s36, v17
	s_delay_alu instid0(VALU_DEP_2) | instskip(SKIP_1) | instid1(VALU_DEP_3)
	v_mad_u32 v11, v12, s23, v11
	v_mad_u32 v10, v12, s22, v10
	v_mul_hi_u32 v19, s38, v17
	v_mul_lo_u32 v13, v17, s14
	s_delay_alu instid0(VALU_DEP_1) | instskip(NEXT) | instid1(VALU_DEP_1)
	v_dual_add_nc_u32 v18, v17, v19 :: v_dual_sub_nc_u32 v13, v15, v13
	v_lshrrev_b32_e32 v12, s39, v18
	s_delay_alu instid0(VALU_DEP_2) | instskip(SKIP_1) | instid1(VALU_DEP_3)
	v_mad_u32 v11, v13, s25, v11
	v_mad_u32 v10, v13, s24, v10
	v_mul_lo_u32 v15, v12, s37
	s_delay_alu instid0(VALU_DEP_1) | instskip(NEXT) | instid1(VALU_DEP_1)
	v_sub_nc_u32_e32 v13, v17, v15
	v_mad_u32 v11, v13, s27, v11
	s_delay_alu instid0(VALU_DEP_4)
	v_mad_u32 v10, v13, s26, v10
	s_cbranch_scc1 .LBB189_76
; %bb.77:
	s_and_b32 s4, s1, 3
	s_mov_b32 s1, 0
	s_cmp_eq_u32 s4, 0
	s_cbranch_scc0 .LBB189_81
	s_branch .LBB189_83
.LBB189_78:
	s_mov_b32 s6, -1
                                        ; implicit-def: $vgpr11
	s_branch .LBB189_83
.LBB189_79:
	v_dual_mov_b32 v11, 0 :: v_dual_mov_b32 v10, 0
	s_branch .LBB189_83
.LBB189_80:
	v_mov_b64_e32 v[10:11], 0
	v_mov_b32_e32 v12, v1
	s_mov_b32 s0, 0
	s_and_b32 s4, s1, 3
	s_mov_b32 s1, 0
	s_cmp_eq_u32 s4, 0
	s_cbranch_scc1 .LBB189_83
.LBB189_81:
	s_lshl_b32 s2, s0, 3
	s_mov_b32 s3, s1
	s_mul_u64 s[8:9], s[0:1], 12
	s_add_nc_u64 s[2:3], s[16:17], s[2:3]
	s_delay_alu instid0(SALU_CYCLE_1)
	s_add_nc_u64 s[0:1], s[2:3], 0xc4
	s_add_nc_u64 s[2:3], s[16:17], s[8:9]
.LBB189_82:                             ; =>This Inner Loop Header: Depth=1
	s_load_b96 s[8:10], s[2:3], 0x4
	s_add_co_i32 s4, s4, -1
	s_wait_xcnt 0x0
	s_add_nc_u64 s[2:3], s[2:3], 12
	s_cmp_lg_u32 s4, 0
	s_wait_kmcnt 0x0
	v_mul_hi_u32 v13, s9, v12
	s_delay_alu instid0(VALU_DEP_1) | instskip(NEXT) | instid1(VALU_DEP_1)
	v_add_nc_u32_e32 v13, v12, v13
	v_lshrrev_b32_e32 v13, s10, v13
	s_load_b64 s[10:11], s[0:1], 0x0
	s_wait_xcnt 0x0
	s_add_nc_u64 s[0:1], s[0:1], 8
	s_delay_alu instid0(VALU_DEP_1) | instskip(NEXT) | instid1(VALU_DEP_1)
	v_mul_lo_u32 v15, v13, s8
	v_sub_nc_u32_e32 v12, v12, v15
	s_wait_kmcnt 0x0
	s_delay_alu instid0(VALU_DEP_1)
	v_mad_u32 v11, v12, s11, v11
	v_mad_u32 v10, v12, s10, v10
	v_mov_b32_e32 v12, v13
	s_cbranch_scc1 .LBB189_82
.LBB189_83:
	s_and_not1_b32 vcc_lo, exec_lo, s6
	s_cbranch_vccnz .LBB189_86
; %bb.84:
	s_clause 0x1
	s_load_b96 s[0:2], s[16:17], 0x4
	s_load_b64 s[4:5], s[16:17], 0xc4
	s_cmp_lt_u32 s30, 2
	s_wait_kmcnt 0x0
	v_mul_hi_u32 v10, s1, v1
	s_delay_alu instid0(VALU_DEP_1) | instskip(NEXT) | instid1(VALU_DEP_1)
	v_add_nc_u32_e32 v10, v1, v10
	v_lshrrev_b32_e32 v12, s2, v10
	s_delay_alu instid0(VALU_DEP_1) | instskip(NEXT) | instid1(VALU_DEP_1)
	v_mul_lo_u32 v10, v12, s0
	v_sub_nc_u32_e32 v1, v1, v10
	s_delay_alu instid0(VALU_DEP_1)
	v_mul_lo_u32 v11, v1, s5
	v_mul_lo_u32 v10, v1, s4
	s_cbranch_scc1 .LBB189_86
; %bb.85:
	s_clause 0x1
	s_load_b96 s[0:2], s[16:17], 0x10
	s_load_b64 s[4:5], s[16:17], 0xcc
	s_wait_kmcnt 0x0
	v_mul_hi_u32 v1, s1, v12
	s_delay_alu instid0(VALU_DEP_1) | instskip(NEXT) | instid1(VALU_DEP_1)
	v_add_nc_u32_e32 v1, v12, v1
	v_lshrrev_b32_e32 v1, s2, v1
	s_delay_alu instid0(VALU_DEP_1) | instskip(NEXT) | instid1(VALU_DEP_1)
	v_mul_lo_u32 v1, v1, s0
	v_sub_nc_u32_e32 v1, v12, v1
	s_delay_alu instid0(VALU_DEP_1)
	v_mad_u32 v10, v1, s4, v10
	v_mad_u32 v11, v1, s5, v11
.LBB189_86:
	v_cmp_ne_u32_e32 vcc_lo, 1, v14
	v_add_nc_u32_e32 v1, 0x280, v0
	s_cbranch_vccnz .LBB189_92
; %bb.87:
	s_cmp_lg_u32 s30, 0
	s_mov_b32 s6, 0
	s_cbranch_scc0 .LBB189_93
; %bb.88:
	s_min_u32 s1, s31, 15
	s_delay_alu instid0(SALU_CYCLE_1)
	s_add_co_i32 s1, s1, 1
	s_cmp_eq_u32 s31, 2
	s_cbranch_scc1 .LBB189_94
; %bb.89:
	v_dual_mov_b32 v12, 0 :: v_dual_mov_b32 v13, 0
	v_mov_b32_e32 v15, v1
	s_and_b32 s0, s1, 28
	s_add_nc_u64 s[2:3], s[16:17], 0xc4
	s_mov_b32 s7, 0
	s_mov_b64 s[4:5], s[16:17]
.LBB189_90:                             ; =>This Inner Loop Header: Depth=1
	s_clause 0x1
	s_load_b256 s[8:15], s[4:5], 0x4
	s_load_b128 s[36:39], s[4:5], 0x24
	s_load_b256 s[20:27], s[2:3], 0x0
	s_add_co_i32 s7, s7, 4
	s_wait_xcnt 0x0
	s_add_nc_u64 s[4:5], s[4:5], 48
	s_cmp_lg_u32 s0, s7
	s_add_nc_u64 s[2:3], s[2:3], 32
	s_wait_kmcnt 0x0
	v_mul_hi_u32 v17, s9, v15
	s_delay_alu instid0(VALU_DEP_1) | instskip(NEXT) | instid1(VALU_DEP_1)
	v_add_nc_u32_e32 v17, v15, v17
	v_lshrrev_b32_e32 v17, s10, v17
	s_delay_alu instid0(VALU_DEP_1) | instskip(NEXT) | instid1(VALU_DEP_1)
	v_mul_hi_u32 v18, s12, v17
	v_add_nc_u32_e32 v18, v17, v18
	s_delay_alu instid0(VALU_DEP_1) | instskip(NEXT) | instid1(VALU_DEP_1)
	v_lshrrev_b32_e32 v18, s13, v18
	v_mul_hi_u32 v19, s15, v18
	s_delay_alu instid0(VALU_DEP_1) | instskip(SKIP_1) | instid1(VALU_DEP_1)
	v_add_nc_u32_e32 v19, v18, v19
	v_mul_lo_u32 v20, v17, s8
	v_sub_nc_u32_e32 v15, v15, v20
	v_mul_lo_u32 v20, v18, s11
	s_delay_alu instid0(VALU_DEP_4) | instskip(NEXT) | instid1(VALU_DEP_3)
	v_lshrrev_b32_e32 v19, s36, v19
	v_mad_u32 v13, v15, s21, v13
	v_mad_u32 v12, v15, s20, v12
	s_delay_alu instid0(VALU_DEP_4) | instskip(NEXT) | instid1(VALU_DEP_4)
	v_sub_nc_u32_e32 v15, v17, v20
	v_mul_hi_u32 v21, s38, v19
	v_mul_lo_u32 v17, v19, s14
	s_delay_alu instid0(VALU_DEP_3) | instskip(SKIP_1) | instid1(VALU_DEP_4)
	v_mad_u32 v13, v15, s23, v13
	v_mad_u32 v12, v15, s22, v12
	v_add_nc_u32_e32 v20, v19, v21
	s_delay_alu instid0(VALU_DEP_1) | instskip(NEXT) | instid1(VALU_DEP_1)
	v_dual_sub_nc_u32 v17, v18, v17 :: v_dual_lshrrev_b32 v15, s39, v20
	v_mad_u32 v13, v17, s25, v13
	s_delay_alu instid0(VALU_DEP_4) | instskip(NEXT) | instid1(VALU_DEP_3)
	v_mad_u32 v12, v17, s24, v12
	v_mul_lo_u32 v18, v15, s37
	s_delay_alu instid0(VALU_DEP_1) | instskip(NEXT) | instid1(VALU_DEP_1)
	v_sub_nc_u32_e32 v17, v19, v18
	v_mad_u32 v13, v17, s27, v13
	s_delay_alu instid0(VALU_DEP_4)
	v_mad_u32 v12, v17, s26, v12
	s_cbranch_scc1 .LBB189_90
; %bb.91:
	s_and_b32 s4, s1, 3
	s_mov_b32 s1, 0
	s_cmp_eq_u32 s4, 0
	s_cbranch_scc0 .LBB189_95
	s_branch .LBB189_97
.LBB189_92:
	s_mov_b32 s6, -1
                                        ; implicit-def: $vgpr13
	s_branch .LBB189_97
.LBB189_93:
	v_dual_mov_b32 v13, 0 :: v_dual_mov_b32 v12, 0
	s_branch .LBB189_97
.LBB189_94:
	v_mov_b64_e32 v[12:13], 0
	v_mov_b32_e32 v15, v1
	s_mov_b32 s0, 0
	s_and_b32 s4, s1, 3
	s_mov_b32 s1, 0
	s_cmp_eq_u32 s4, 0
	s_cbranch_scc1 .LBB189_97
.LBB189_95:
	s_lshl_b32 s2, s0, 3
	s_mov_b32 s3, s1
	s_mul_u64 s[8:9], s[0:1], 12
	s_add_nc_u64 s[2:3], s[16:17], s[2:3]
	s_delay_alu instid0(SALU_CYCLE_1)
	s_add_nc_u64 s[0:1], s[2:3], 0xc4
	s_add_nc_u64 s[2:3], s[16:17], s[8:9]
.LBB189_96:                             ; =>This Inner Loop Header: Depth=1
	s_load_b96 s[8:10], s[2:3], 0x4
	s_add_co_i32 s4, s4, -1
	s_wait_xcnt 0x0
	s_add_nc_u64 s[2:3], s[2:3], 12
	s_cmp_lg_u32 s4, 0
	s_wait_kmcnt 0x0
	v_mul_hi_u32 v17, s9, v15
	s_delay_alu instid0(VALU_DEP_1) | instskip(NEXT) | instid1(VALU_DEP_1)
	v_add_nc_u32_e32 v17, v15, v17
	v_lshrrev_b32_e32 v17, s10, v17
	s_load_b64 s[10:11], s[0:1], 0x0
	s_wait_xcnt 0x0
	s_add_nc_u64 s[0:1], s[0:1], 8
	s_delay_alu instid0(VALU_DEP_1) | instskip(NEXT) | instid1(VALU_DEP_1)
	v_mul_lo_u32 v18, v17, s8
	v_sub_nc_u32_e32 v15, v15, v18
	s_wait_kmcnt 0x0
	s_delay_alu instid0(VALU_DEP_1)
	v_mad_u32 v13, v15, s11, v13
	v_mad_u32 v12, v15, s10, v12
	v_mov_b32_e32 v15, v17
	s_cbranch_scc1 .LBB189_96
.LBB189_97:
	s_and_not1_b32 vcc_lo, exec_lo, s6
	s_cbranch_vccnz .LBB189_100
; %bb.98:
	s_clause 0x1
	s_load_b96 s[0:2], s[16:17], 0x4
	s_load_b64 s[4:5], s[16:17], 0xc4
	s_cmp_lt_u32 s30, 2
	s_wait_kmcnt 0x0
	v_mul_hi_u32 v12, s1, v1
	s_delay_alu instid0(VALU_DEP_1) | instskip(NEXT) | instid1(VALU_DEP_1)
	v_add_nc_u32_e32 v12, v1, v12
	v_lshrrev_b32_e32 v15, s2, v12
	s_delay_alu instid0(VALU_DEP_1) | instskip(NEXT) | instid1(VALU_DEP_1)
	v_mul_lo_u32 v12, v15, s0
	v_sub_nc_u32_e32 v1, v1, v12
	s_delay_alu instid0(VALU_DEP_1)
	v_mul_lo_u32 v13, v1, s5
	v_mul_lo_u32 v12, v1, s4
	s_cbranch_scc1 .LBB189_100
; %bb.99:
	s_clause 0x1
	s_load_b96 s[0:2], s[16:17], 0x10
	s_load_b64 s[4:5], s[16:17], 0xcc
	s_wait_kmcnt 0x0
	v_mul_hi_u32 v1, s1, v15
	s_delay_alu instid0(VALU_DEP_1) | instskip(NEXT) | instid1(VALU_DEP_1)
	v_add_nc_u32_e32 v1, v15, v1
	v_lshrrev_b32_e32 v1, s2, v1
	s_delay_alu instid0(VALU_DEP_1) | instskip(NEXT) | instid1(VALU_DEP_1)
	v_mul_lo_u32 v1, v1, s0
	v_sub_nc_u32_e32 v1, v15, v1
	s_delay_alu instid0(VALU_DEP_1)
	v_mad_u32 v12, v1, s4, v12
	v_mad_u32 v13, v1, s5, v13
.LBB189_100:
	v_cmp_ne_u32_e32 vcc_lo, 1, v14
	v_add_nc_u32_e32 v15, 0x300, v0
	s_cbranch_vccnz .LBB189_106
; %bb.101:
	s_cmp_lg_u32 s30, 0
	s_mov_b32 s6, 0
	s_cbranch_scc0 .LBB189_107
; %bb.102:
	s_min_u32 s1, s31, 15
	s_delay_alu instid0(SALU_CYCLE_1)
	s_add_co_i32 s1, s1, 1
	s_cmp_eq_u32 s31, 2
	s_cbranch_scc1 .LBB189_108
; %bb.103:
	v_dual_mov_b32 v0, 0 :: v_dual_mov_b32 v1, 0
	v_mov_b32_e32 v17, v15
	s_and_b32 s0, s1, 28
	s_add_nc_u64 s[2:3], s[16:17], 0xc4
	s_mov_b32 s7, 0
	s_mov_b64 s[4:5], s[16:17]
.LBB189_104:                            ; =>This Inner Loop Header: Depth=1
	s_clause 0x1
	s_load_b256 s[8:15], s[4:5], 0x4
	s_load_b128 s[36:39], s[4:5], 0x24
	s_load_b256 s[20:27], s[2:3], 0x0
	s_add_co_i32 s7, s7, 4
	s_wait_xcnt 0x0
	s_add_nc_u64 s[4:5], s[4:5], 48
	s_cmp_lg_u32 s0, s7
	s_add_nc_u64 s[2:3], s[2:3], 32
	s_wait_kmcnt 0x0
	v_mul_hi_u32 v18, s9, v17
	s_delay_alu instid0(VALU_DEP_1) | instskip(NEXT) | instid1(VALU_DEP_1)
	v_add_nc_u32_e32 v18, v17, v18
	v_lshrrev_b32_e32 v18, s10, v18
	s_delay_alu instid0(VALU_DEP_1) | instskip(NEXT) | instid1(VALU_DEP_1)
	v_mul_hi_u32 v19, s12, v18
	v_add_nc_u32_e32 v19, v18, v19
	s_delay_alu instid0(VALU_DEP_1) | instskip(NEXT) | instid1(VALU_DEP_1)
	v_lshrrev_b32_e32 v19, s13, v19
	v_mul_hi_u32 v20, s15, v19
	s_delay_alu instid0(VALU_DEP_1) | instskip(SKIP_1) | instid1(VALU_DEP_1)
	v_add_nc_u32_e32 v20, v19, v20
	v_mul_lo_u32 v21, v18, s8
	v_sub_nc_u32_e32 v17, v17, v21
	v_mul_lo_u32 v21, v19, s11
	s_delay_alu instid0(VALU_DEP_4) | instskip(NEXT) | instid1(VALU_DEP_3)
	v_lshrrev_b32_e32 v20, s36, v20
	v_mad_u32 v1, v17, s21, v1
	v_mad_u32 v0, v17, s20, v0
	s_delay_alu instid0(VALU_DEP_4) | instskip(NEXT) | instid1(VALU_DEP_4)
	v_sub_nc_u32_e32 v17, v18, v21
	v_mul_hi_u32 v22, s38, v20
	v_mul_lo_u32 v18, v20, s14
	s_delay_alu instid0(VALU_DEP_3) | instskip(SKIP_1) | instid1(VALU_DEP_4)
	v_mad_u32 v1, v17, s23, v1
	v_mad_u32 v0, v17, s22, v0
	v_add_nc_u32_e32 v21, v20, v22
	s_delay_alu instid0(VALU_DEP_1) | instskip(NEXT) | instid1(VALU_DEP_1)
	v_dual_sub_nc_u32 v18, v19, v18 :: v_dual_lshrrev_b32 v17, s39, v21
	v_mad_u32 v1, v18, s25, v1
	s_delay_alu instid0(VALU_DEP_4) | instskip(NEXT) | instid1(VALU_DEP_3)
	v_mad_u32 v0, v18, s24, v0
	v_mul_lo_u32 v19, v17, s37
	s_delay_alu instid0(VALU_DEP_1) | instskip(NEXT) | instid1(VALU_DEP_1)
	v_sub_nc_u32_e32 v18, v20, v19
	v_mad_u32 v1, v18, s27, v1
	s_delay_alu instid0(VALU_DEP_4)
	v_mad_u32 v0, v18, s26, v0
	s_cbranch_scc1 .LBB189_104
; %bb.105:
	s_and_b32 s4, s1, 3
	s_mov_b32 s1, 0
	s_cmp_eq_u32 s4, 0
	s_cbranch_scc0 .LBB189_109
	s_branch .LBB189_111
.LBB189_106:
	s_mov_b32 s6, -1
                                        ; implicit-def: $vgpr1
	s_branch .LBB189_111
.LBB189_107:
	v_dual_mov_b32 v1, 0 :: v_dual_mov_b32 v0, 0
	s_branch .LBB189_111
.LBB189_108:
	v_mov_b64_e32 v[0:1], 0
	v_mov_b32_e32 v17, v15
	s_mov_b32 s0, 0
	s_and_b32 s4, s1, 3
	s_mov_b32 s1, 0
	s_cmp_eq_u32 s4, 0
	s_cbranch_scc1 .LBB189_111
.LBB189_109:
	s_lshl_b32 s2, s0, 3
	s_mov_b32 s3, s1
	s_mul_u64 s[8:9], s[0:1], 12
	s_add_nc_u64 s[2:3], s[16:17], s[2:3]
	s_delay_alu instid0(SALU_CYCLE_1)
	s_add_nc_u64 s[0:1], s[2:3], 0xc4
	s_add_nc_u64 s[2:3], s[16:17], s[8:9]
.LBB189_110:                            ; =>This Inner Loop Header: Depth=1
	s_load_b96 s[8:10], s[2:3], 0x4
	s_add_co_i32 s4, s4, -1
	s_wait_xcnt 0x0
	s_add_nc_u64 s[2:3], s[2:3], 12
	s_cmp_lg_u32 s4, 0
	s_wait_kmcnt 0x0
	v_mul_hi_u32 v18, s9, v17
	s_delay_alu instid0(VALU_DEP_1) | instskip(NEXT) | instid1(VALU_DEP_1)
	v_add_nc_u32_e32 v18, v17, v18
	v_lshrrev_b32_e32 v18, s10, v18
	s_load_b64 s[10:11], s[0:1], 0x0
	s_wait_xcnt 0x0
	s_add_nc_u64 s[0:1], s[0:1], 8
	s_delay_alu instid0(VALU_DEP_1) | instskip(NEXT) | instid1(VALU_DEP_1)
	v_mul_lo_u32 v19, v18, s8
	v_sub_nc_u32_e32 v17, v17, v19
	s_wait_kmcnt 0x0
	s_delay_alu instid0(VALU_DEP_1)
	v_mad_u32 v1, v17, s11, v1
	v_mad_u32 v0, v17, s10, v0
	v_mov_b32_e32 v17, v18
	s_cbranch_scc1 .LBB189_110
.LBB189_111:
	s_and_not1_b32 vcc_lo, exec_lo, s6
	s_cbranch_vccnz .LBB189_114
; %bb.112:
	s_clause 0x1
	s_load_b96 s[0:2], s[16:17], 0x4
	s_load_b64 s[4:5], s[16:17], 0xc4
	s_cmp_lt_u32 s30, 2
	s_wait_kmcnt 0x0
	v_mul_hi_u32 v0, s1, v15
	s_delay_alu instid0(VALU_DEP_1) | instskip(NEXT) | instid1(VALU_DEP_1)
	v_add_nc_u32_e32 v0, v15, v0
	v_lshrrev_b32_e32 v17, s2, v0
	s_delay_alu instid0(VALU_DEP_1) | instskip(NEXT) | instid1(VALU_DEP_1)
	v_mul_lo_u32 v0, v17, s0
	v_sub_nc_u32_e32 v0, v15, v0
	s_delay_alu instid0(VALU_DEP_1)
	v_mul_lo_u32 v1, v0, s5
	v_mul_lo_u32 v0, v0, s4
	s_cbranch_scc1 .LBB189_114
; %bb.113:
	s_clause 0x1
	s_load_b96 s[0:2], s[16:17], 0x10
	s_load_b64 s[4:5], s[16:17], 0xcc
	s_wait_kmcnt 0x0
	v_mul_hi_u32 v15, s1, v17
	s_delay_alu instid0(VALU_DEP_1) | instskip(NEXT) | instid1(VALU_DEP_1)
	v_add_nc_u32_e32 v15, v17, v15
	v_lshrrev_b32_e32 v15, s2, v15
	s_delay_alu instid0(VALU_DEP_1) | instskip(NEXT) | instid1(VALU_DEP_1)
	v_mul_lo_u32 v15, v15, s0
	v_sub_nc_u32_e32 v15, v17, v15
	s_delay_alu instid0(VALU_DEP_1)
	v_mad_u32 v0, v15, s4, v0
	v_mad_u32 v1, v15, s5, v1
.LBB189_114:
	v_cmp_ne_u32_e32 vcc_lo, 1, v14
	s_cbranch_vccnz .LBB189_120
; %bb.115:
	s_cmp_lg_u32 s30, 0
	s_mov_b32 s6, 0
	s_cbranch_scc0 .LBB189_121
; %bb.116:
	s_min_u32 s1, s31, 15
	s_delay_alu instid0(SALU_CYCLE_1)
	s_add_co_i32 s1, s1, 1
	s_cmp_eq_u32 s31, 2
	s_cbranch_scc1 .LBB189_122
; %bb.117:
	v_dual_mov_b32 v14, 0 :: v_dual_mov_b32 v15, 0
	v_mov_b32_e32 v17, v16
	s_and_b32 s0, s1, 28
	s_add_nc_u64 s[2:3], s[16:17], 0xc4
	s_mov_b32 s7, 0
	s_mov_b64 s[4:5], s[16:17]
.LBB189_118:                            ; =>This Inner Loop Header: Depth=1
	s_clause 0x1
	s_load_b256 s[8:15], s[4:5], 0x4
	s_load_b128 s[36:39], s[4:5], 0x24
	s_load_b256 s[20:27], s[2:3], 0x0
	s_add_co_i32 s7, s7, 4
	s_wait_xcnt 0x0
	s_add_nc_u64 s[4:5], s[4:5], 48
	s_cmp_lg_u32 s0, s7
	s_add_nc_u64 s[2:3], s[2:3], 32
	s_wait_kmcnt 0x0
	v_mul_hi_u32 v18, s9, v17
	s_delay_alu instid0(VALU_DEP_1) | instskip(NEXT) | instid1(VALU_DEP_1)
	v_add_nc_u32_e32 v18, v17, v18
	v_lshrrev_b32_e32 v18, s10, v18
	s_delay_alu instid0(VALU_DEP_1) | instskip(NEXT) | instid1(VALU_DEP_1)
	v_mul_hi_u32 v19, s12, v18
	v_add_nc_u32_e32 v19, v18, v19
	s_delay_alu instid0(VALU_DEP_1) | instskip(NEXT) | instid1(VALU_DEP_1)
	v_lshrrev_b32_e32 v19, s13, v19
	v_mul_hi_u32 v20, s15, v19
	s_delay_alu instid0(VALU_DEP_1) | instskip(SKIP_1) | instid1(VALU_DEP_1)
	v_add_nc_u32_e32 v20, v19, v20
	v_mul_lo_u32 v21, v18, s8
	v_sub_nc_u32_e32 v17, v17, v21
	v_mul_lo_u32 v21, v19, s11
	s_delay_alu instid0(VALU_DEP_4) | instskip(NEXT) | instid1(VALU_DEP_3)
	v_lshrrev_b32_e32 v20, s36, v20
	v_mad_u32 v15, v17, s21, v15
	v_mad_u32 v14, v17, s20, v14
	s_delay_alu instid0(VALU_DEP_4) | instskip(NEXT) | instid1(VALU_DEP_4)
	v_sub_nc_u32_e32 v17, v18, v21
	v_mul_hi_u32 v22, s38, v20
	v_mul_lo_u32 v18, v20, s14
	s_delay_alu instid0(VALU_DEP_3) | instskip(SKIP_1) | instid1(VALU_DEP_4)
	v_mad_u32 v15, v17, s23, v15
	v_mad_u32 v14, v17, s22, v14
	v_add_nc_u32_e32 v21, v20, v22
	s_delay_alu instid0(VALU_DEP_1) | instskip(NEXT) | instid1(VALU_DEP_1)
	v_dual_sub_nc_u32 v18, v19, v18 :: v_dual_lshrrev_b32 v17, s39, v21
	v_mad_u32 v15, v18, s25, v15
	s_delay_alu instid0(VALU_DEP_4) | instskip(NEXT) | instid1(VALU_DEP_3)
	v_mad_u32 v14, v18, s24, v14
	v_mul_lo_u32 v19, v17, s37
	s_delay_alu instid0(VALU_DEP_1) | instskip(NEXT) | instid1(VALU_DEP_1)
	v_sub_nc_u32_e32 v18, v20, v19
	v_mad_u32 v15, v18, s27, v15
	s_delay_alu instid0(VALU_DEP_4)
	v_mad_u32 v14, v18, s26, v14
	s_cbranch_scc1 .LBB189_118
; %bb.119:
	s_and_b32 s4, s1, 3
	s_mov_b32 s1, 0
	s_cmp_eq_u32 s4, 0
	s_cbranch_scc0 .LBB189_123
	s_branch .LBB189_125
.LBB189_120:
	s_mov_b32 s6, -1
                                        ; implicit-def: $vgpr15
	s_branch .LBB189_125
.LBB189_121:
	v_dual_mov_b32 v15, 0 :: v_dual_mov_b32 v14, 0
	s_branch .LBB189_125
.LBB189_122:
	v_mov_b64_e32 v[14:15], 0
	v_mov_b32_e32 v17, v16
	s_mov_b32 s0, 0
	s_and_b32 s4, s1, 3
	s_mov_b32 s1, 0
	s_cmp_eq_u32 s4, 0
	s_cbranch_scc1 .LBB189_125
.LBB189_123:
	s_lshl_b32 s2, s0, 3
	s_mov_b32 s3, s1
	s_mul_u64 s[8:9], s[0:1], 12
	s_add_nc_u64 s[2:3], s[16:17], s[2:3]
	s_delay_alu instid0(SALU_CYCLE_1)
	s_add_nc_u64 s[0:1], s[2:3], 0xc4
	s_add_nc_u64 s[2:3], s[16:17], s[8:9]
.LBB189_124:                            ; =>This Inner Loop Header: Depth=1
	s_load_b96 s[8:10], s[2:3], 0x4
	s_add_co_i32 s4, s4, -1
	s_wait_xcnt 0x0
	s_add_nc_u64 s[2:3], s[2:3], 12
	s_cmp_lg_u32 s4, 0
	s_wait_kmcnt 0x0
	v_mul_hi_u32 v18, s9, v17
	s_delay_alu instid0(VALU_DEP_1) | instskip(NEXT) | instid1(VALU_DEP_1)
	v_add_nc_u32_e32 v18, v17, v18
	v_lshrrev_b32_e32 v18, s10, v18
	s_load_b64 s[10:11], s[0:1], 0x0
	s_wait_xcnt 0x0
	s_add_nc_u64 s[0:1], s[0:1], 8
	s_delay_alu instid0(VALU_DEP_1) | instskip(NEXT) | instid1(VALU_DEP_1)
	v_mul_lo_u32 v19, v18, s8
	v_sub_nc_u32_e32 v17, v17, v19
	s_wait_kmcnt 0x0
	s_delay_alu instid0(VALU_DEP_1)
	v_mad_u32 v15, v17, s11, v15
	v_mad_u32 v14, v17, s10, v14
	v_mov_b32_e32 v17, v18
	s_cbranch_scc1 .LBB189_124
.LBB189_125:
	s_and_not1_b32 vcc_lo, exec_lo, s6
	s_cbranch_vccnz .LBB189_128
; %bb.126:
	s_clause 0x1
	s_load_b96 s[0:2], s[16:17], 0x4
	s_load_b64 s[4:5], s[16:17], 0xc4
	s_cmp_lt_u32 s30, 2
	s_wait_kmcnt 0x0
	v_mul_hi_u32 v14, s1, v16
	s_delay_alu instid0(VALU_DEP_1) | instskip(NEXT) | instid1(VALU_DEP_1)
	v_add_nc_u32_e32 v14, v16, v14
	v_lshrrev_b32_e32 v17, s2, v14
	s_delay_alu instid0(VALU_DEP_1) | instskip(NEXT) | instid1(VALU_DEP_1)
	v_mul_lo_u32 v14, v17, s0
	v_sub_nc_u32_e32 v14, v16, v14
	s_delay_alu instid0(VALU_DEP_1)
	v_mul_lo_u32 v15, v14, s5
	v_mul_lo_u32 v14, v14, s4
	s_cbranch_scc1 .LBB189_128
; %bb.127:
	s_clause 0x1
	s_load_b96 s[0:2], s[16:17], 0x10
	s_load_b64 s[4:5], s[16:17], 0xcc
	s_wait_kmcnt 0x0
	v_mul_hi_u32 v16, s1, v17
	s_delay_alu instid0(VALU_DEP_1) | instskip(NEXT) | instid1(VALU_DEP_1)
	v_add_nc_u32_e32 v16, v17, v16
	v_lshrrev_b32_e32 v16, s2, v16
	s_delay_alu instid0(VALU_DEP_1) | instskip(NEXT) | instid1(VALU_DEP_1)
	v_mul_lo_u32 v16, v16, s0
	v_sub_nc_u32_e32 v16, v17, v16
	s_delay_alu instid0(VALU_DEP_1)
	v_mad_u32 v14, v16, s4, v14
	v_mad_u32 v15, v16, s5, v15
.LBB189_128:
	s_clause 0x1
	s_load_b128 s[0:3], s[16:17], 0x148
	s_load_b64 s[4:5], s[16:17], 0x158
	s_wait_kmcnt 0x0
	s_clause 0x7
	global_load_u16 v16, v3, s[2:3]
	global_load_u16 v17, v5, s[2:3]
	;; [unrolled: 1-line block ×8, first 2 shown]
	s_cmp_eq_u32 s4, 0
	s_wait_loadcnt 0x7
	v_cmp_eq_f16_e32 vcc_lo, s5, v16
	s_wait_xcnt 0x1
	v_cndmask_b32_e64 v1, 0, 1, vcc_lo
	v_cmp_neq_f16_e32 vcc_lo, s5, v16
	v_cndmask_b32_e64 v3, 0, 1, vcc_lo
	s_wait_loadcnt 0x6
	v_cmp_eq_f16_e32 vcc_lo, s5, v17
	v_cndmask_b32_e64 v5, 0, 1, vcc_lo
	v_cmp_neq_f16_e32 vcc_lo, s5, v17
	v_cndmask_b32_e64 v7, 0, 1, vcc_lo
	s_wait_loadcnt 0x5
	v_cmp_eq_f16_e32 vcc_lo, s5, v18
	;; [unrolled: 5-line block ×3, first 2 shown]
	v_cndmask_b32_e64 v13, 0, 1, vcc_lo
	v_cmp_neq_f16_e32 vcc_lo, s5, v19
	s_wait_xcnt 0x0
	v_cndmask_b32_e64 v15, 0, 1, vcc_lo
	s_wait_loadcnt 0x3
	v_cmp_eq_f16_e32 vcc_lo, s5, v20
	v_cndmask_b32_e64 v16, 0, 1, vcc_lo
	v_cmp_neq_f16_e32 vcc_lo, s5, v20
	v_cndmask_b32_e64 v17, 0, 1, vcc_lo
	s_wait_loadcnt 0x2
	v_cmp_eq_f16_e32 vcc_lo, s5, v21
	v_cndmask_b32_e64 v18, 0, 1, vcc_lo
	v_cmp_neq_f16_e32 vcc_lo, s5, v21
	;; [unrolled: 5-line block ×4, first 2 shown]
	v_cndmask_b32_e64 v23, 0, 1, vcc_lo
	s_cselect_b32 vcc_lo, -1, 0
	v_cndmask_b32_e32 v1, v3, v1, vcc_lo
	v_cndmask_b32_e32 v3, v7, v5, vcc_lo
	v_dual_cndmask_b32 v7, v15, v13, vcc_lo :: v_dual_cndmask_b32 v13, v21, v20, vcc_lo
	v_dual_cndmask_b32 v5, v11, v9, vcc_lo :: v_dual_cndmask_b32 v9, v17, v16, vcc_lo
	s_delay_alu instid0(VALU_DEP_4) | instskip(NEXT) | instid1(VALU_DEP_4)
	v_dual_cndmask_b32 v11, v19, v18, vcc_lo :: v_dual_bitop2_b32 v1, 1, v1 bitop3:0x40
	v_dual_cndmask_b32 v15, v23, v22, vcc_lo :: v_dual_bitop2_b32 v3, 1, v3 bitop3:0x40
	s_delay_alu instid0(VALU_DEP_3) | instskip(NEXT) | instid1(VALU_DEP_3)
	v_and_b32_e32 v5, 1, v5
	v_and_b32_e32 v11, 1, v11
	;; [unrolled: 1-line block ×6, first 2 shown]
	s_clause 0x7
	global_store_b8 v2, v1, s[0:1]
	global_store_b8 v4, v3, s[0:1]
	global_store_b8 v6, v5, s[0:1]
	global_store_b8 v8, v7, s[0:1]
	global_store_b8 v10, v9, s[0:1]
	global_store_b8 v12, v11, s[0:1]
	global_store_b8 v0, v13, s[0:1]
	global_store_b8 v14, v15, s[0:1]
	s_endpgm
.LBB189_129:
	v_dual_mov_b32 v3, 0 :: v_dual_mov_b32 v2, 0
	s_branch .LBB189_135
.LBB189_130:
	v_dual_mov_b32 v3, 0 :: v_dual_mov_b32 v2, 0
	s_branch .LBB189_151
.LBB189_131:
	v_mov_b64_e32 v[2:3], 0
	v_mov_b32_e32 v1, v0
	s_mov_b32 s24, 0
.LBB189_132:
	s_and_b32 s9, s9, 3
	s_mov_b32 s25, 0
	s_cmp_eq_u32 s9, 0
	s_cbranch_scc1 .LBB189_135
; %bb.133:
	s_lshl_b32 s26, s24, 3
	s_mov_b32 s27, s25
	s_mul_u64 s[28:29], s[24:25], 12
	s_add_nc_u64 s[26:27], s[16:17], s[26:27]
	s_delay_alu instid0(SALU_CYCLE_1)
	s_add_nc_u64 s[24:25], s[26:27], 0xc4
	s_add_nc_u64 s[26:27], s[16:17], s[28:29]
.LBB189_134:                            ; =>This Inner Loop Header: Depth=1
	s_load_b96 s[40:42], s[26:27], 0x4
	s_load_b64 s[28:29], s[24:25], 0x0
	s_add_co_i32 s9, s9, -1
	s_wait_xcnt 0x0
	s_add_nc_u64 s[26:27], s[26:27], 12
	s_cmp_lg_u32 s9, 0
	s_add_nc_u64 s[24:25], s[24:25], 8
	s_wait_kmcnt 0x0
	v_mul_hi_u32 v4, s41, v1
	s_delay_alu instid0(VALU_DEP_1) | instskip(NEXT) | instid1(VALU_DEP_1)
	v_add_nc_u32_e32 v4, v1, v4
	v_lshrrev_b32_e32 v4, s42, v4
	s_delay_alu instid0(VALU_DEP_1) | instskip(NEXT) | instid1(VALU_DEP_1)
	v_mul_lo_u32 v5, v4, s40
	v_sub_nc_u32_e32 v1, v1, v5
	s_delay_alu instid0(VALU_DEP_1)
	v_mad_u32 v3, v1, s29, v3
	v_mad_u32 v2, v1, s28, v2
	v_mov_b32_e32 v1, v4
	s_cbranch_scc1 .LBB189_134
.LBB189_135:
	s_cbranch_execnz .LBB189_138
.LBB189_136:
	v_mov_b32_e32 v1, 0
	s_and_not1_b32 vcc_lo, exec_lo, s35
	s_delay_alu instid0(VALU_DEP_1) | instskip(NEXT) | instid1(VALU_DEP_1)
	v_mul_u64_e32 v[2:3], s[18:19], v[0:1]
	v_add_nc_u32_e32 v2, v0, v3
	s_delay_alu instid0(VALU_DEP_1) | instskip(NEXT) | instid1(VALU_DEP_1)
	v_lshrrev_b32_e32 v4, s10, v2
	v_mul_lo_u32 v2, v4, s8
	s_delay_alu instid0(VALU_DEP_1) | instskip(NEXT) | instid1(VALU_DEP_1)
	v_sub_nc_u32_e32 v2, v0, v2
	v_mul_lo_u32 v3, v2, s13
	v_mul_lo_u32 v2, v2, s12
	s_cbranch_vccnz .LBB189_138
; %bb.137:
	v_mov_b32_e32 v5, v1
	s_delay_alu instid0(VALU_DEP_1) | instskip(NEXT) | instid1(VALU_DEP_1)
	v_mul_u64_e32 v[6:7], s[20:21], v[4:5]
	v_add_nc_u32_e32 v1, v4, v7
	s_delay_alu instid0(VALU_DEP_1) | instskip(NEXT) | instid1(VALU_DEP_1)
	v_lshrrev_b32_e32 v1, s3, v1
	v_mul_lo_u32 v1, v1, s11
	s_delay_alu instid0(VALU_DEP_1) | instskip(NEXT) | instid1(VALU_DEP_1)
	v_sub_nc_u32_e32 v1, v4, v1
	v_mad_u32 v2, v1, s14, v2
	v_mad_u32 v3, v1, s15, v3
.LBB189_138:
	global_load_u16 v1, v3, s[6:7]
	v_add_nc_u32_e32 v0, 0x80, v0
	s_wait_loadcnt 0x0
	v_cmp_eq_f16_e32 vcc_lo, s1, v1
	v_cndmask_b32_e64 v3, 0, 1, vcc_lo
	v_cmp_neq_f16_e32 vcc_lo, s1, v1
	v_cndmask_b32_e64 v1, 0, 1, vcc_lo
	s_delay_alu instid0(VALU_DEP_1) | instskip(NEXT) | instid1(VALU_DEP_1)
	v_cndmask_b32_e64 v1, v1, v3, s0
	v_and_b32_e32 v1, 1, v1
	global_store_b8 v2, v1, s[4:5]
	s_wait_xcnt 0x0
	s_or_b32 exec_lo, exec_lo, s2
	s_delay_alu instid0(SALU_CYCLE_1)
	s_mov_b32 s2, exec_lo
	v_cmpx_gt_i32_e64 s36, v0
	s_cbranch_execnz .LBB189_15
.LBB189_139:
	s_or_b32 exec_lo, exec_lo, s2
	s_delay_alu instid0(SALU_CYCLE_1)
	s_mov_b32 s2, exec_lo
	v_cmpx_gt_i32_e64 s36, v0
	s_cbranch_execz .LBB189_155
.LBB189_140:
	s_and_not1_b32 vcc_lo, exec_lo, s33
	s_cbranch_vccnz .LBB189_145
; %bb.141:
	s_and_not1_b32 vcc_lo, exec_lo, s38
	s_cbranch_vccnz .LBB189_146
; %bb.142:
	s_add_co_i32 s9, s37, 1
	s_cmp_eq_u32 s31, 2
	s_cbranch_scc1 .LBB189_163
; %bb.143:
	v_dual_mov_b32 v2, 0 :: v_dual_mov_b32 v3, 0
	v_mov_b32_e32 v1, v0
	s_and_b32 s24, s9, 28
	s_mov_b32 s25, 0
	s_mov_b64 s[26:27], s[16:17]
	s_mov_b64 s[28:29], s[22:23]
.LBB189_144:                            ; =>This Inner Loop Header: Depth=1
	s_clause 0x1
	s_load_b256 s[40:47], s[26:27], 0x4
	s_load_b128 s[56:59], s[26:27], 0x24
	s_load_b256 s[48:55], s[28:29], 0x0
	s_add_co_i32 s25, s25, 4
	s_wait_xcnt 0x0
	s_add_nc_u64 s[26:27], s[26:27], 48
	s_cmp_eq_u32 s24, s25
	s_add_nc_u64 s[28:29], s[28:29], 32
	s_wait_kmcnt 0x0
	v_mul_hi_u32 v4, s41, v1
	s_delay_alu instid0(VALU_DEP_1) | instskip(NEXT) | instid1(VALU_DEP_1)
	v_add_nc_u32_e32 v4, v1, v4
	v_lshrrev_b32_e32 v4, s42, v4
	s_delay_alu instid0(VALU_DEP_1) | instskip(NEXT) | instid1(VALU_DEP_1)
	v_mul_hi_u32 v5, s44, v4
	v_add_nc_u32_e32 v5, v4, v5
	s_delay_alu instid0(VALU_DEP_1) | instskip(NEXT) | instid1(VALU_DEP_1)
	v_lshrrev_b32_e32 v5, s45, v5
	v_mul_hi_u32 v6, s47, v5
	s_delay_alu instid0(VALU_DEP_1) | instskip(SKIP_1) | instid1(VALU_DEP_1)
	v_add_nc_u32_e32 v6, v5, v6
	v_mul_lo_u32 v7, v4, s40
	v_sub_nc_u32_e32 v1, v1, v7
	v_mul_lo_u32 v7, v5, s43
	s_delay_alu instid0(VALU_DEP_4) | instskip(NEXT) | instid1(VALU_DEP_3)
	v_lshrrev_b32_e32 v6, s56, v6
	v_mad_u32 v3, v1, s49, v3
	v_mad_u32 v1, v1, s48, v2
	s_delay_alu instid0(VALU_DEP_4) | instskip(NEXT) | instid1(VALU_DEP_4)
	v_sub_nc_u32_e32 v2, v4, v7
	v_mul_hi_u32 v8, s58, v6
	v_mul_lo_u32 v4, v6, s46
	s_delay_alu instid0(VALU_DEP_3) | instskip(SKIP_1) | instid1(VALU_DEP_4)
	v_mad_u32 v3, v2, s51, v3
	v_mad_u32 v2, v2, s50, v1
	v_add_nc_u32_e32 v7, v6, v8
	s_delay_alu instid0(VALU_DEP_1) | instskip(NEXT) | instid1(VALU_DEP_1)
	v_dual_sub_nc_u32 v4, v5, v4 :: v_dual_lshrrev_b32 v1, s59, v7
	v_mad_u32 v3, v4, s53, v3
	s_delay_alu instid0(VALU_DEP_4) | instskip(NEXT) | instid1(VALU_DEP_3)
	v_mad_u32 v2, v4, s52, v2
	v_mul_lo_u32 v5, v1, s57
	s_delay_alu instid0(VALU_DEP_1) | instskip(NEXT) | instid1(VALU_DEP_1)
	v_sub_nc_u32_e32 v4, v6, v5
	v_mad_u32 v3, v4, s55, v3
	s_delay_alu instid0(VALU_DEP_4)
	v_mad_u32 v2, v4, s54, v2
	s_cbranch_scc0 .LBB189_144
	s_branch .LBB189_164
.LBB189_145:
                                        ; implicit-def: $vgpr3
	s_branch .LBB189_168
.LBB189_146:
	v_dual_mov_b32 v3, 0 :: v_dual_mov_b32 v2, 0
	s_branch .LBB189_167
.LBB189_147:
	v_mov_b64_e32 v[2:3], 0
	v_mov_b32_e32 v1, v0
	s_mov_b32 s24, 0
.LBB189_148:
	s_and_b32 s9, s9, 3
	s_mov_b32 s25, 0
	s_cmp_eq_u32 s9, 0
	s_cbranch_scc1 .LBB189_151
; %bb.149:
	s_lshl_b32 s26, s24, 3
	s_mov_b32 s27, s25
	s_mul_u64 s[28:29], s[24:25], 12
	s_add_nc_u64 s[26:27], s[16:17], s[26:27]
	s_delay_alu instid0(SALU_CYCLE_1)
	s_add_nc_u64 s[24:25], s[26:27], 0xc4
	s_add_nc_u64 s[26:27], s[16:17], s[28:29]
.LBB189_150:                            ; =>This Inner Loop Header: Depth=1
	s_load_b96 s[40:42], s[26:27], 0x4
	s_load_b64 s[28:29], s[24:25], 0x0
	s_add_co_i32 s9, s9, -1
	s_wait_xcnt 0x0
	s_add_nc_u64 s[26:27], s[26:27], 12
	s_cmp_lg_u32 s9, 0
	s_add_nc_u64 s[24:25], s[24:25], 8
	s_wait_kmcnt 0x0
	v_mul_hi_u32 v4, s41, v1
	s_delay_alu instid0(VALU_DEP_1) | instskip(NEXT) | instid1(VALU_DEP_1)
	v_add_nc_u32_e32 v4, v1, v4
	v_lshrrev_b32_e32 v4, s42, v4
	s_delay_alu instid0(VALU_DEP_1) | instskip(NEXT) | instid1(VALU_DEP_1)
	v_mul_lo_u32 v5, v4, s40
	v_sub_nc_u32_e32 v1, v1, v5
	s_delay_alu instid0(VALU_DEP_1)
	v_mad_u32 v3, v1, s29, v3
	v_mad_u32 v2, v1, s28, v2
	v_mov_b32_e32 v1, v4
	s_cbranch_scc1 .LBB189_150
.LBB189_151:
	s_cbranch_execnz .LBB189_154
.LBB189_152:
	v_mov_b32_e32 v1, 0
	s_and_not1_b32 vcc_lo, exec_lo, s35
	s_delay_alu instid0(VALU_DEP_1) | instskip(NEXT) | instid1(VALU_DEP_1)
	v_mul_u64_e32 v[2:3], s[18:19], v[0:1]
	v_add_nc_u32_e32 v2, v0, v3
	s_delay_alu instid0(VALU_DEP_1) | instskip(NEXT) | instid1(VALU_DEP_1)
	v_lshrrev_b32_e32 v4, s10, v2
	v_mul_lo_u32 v2, v4, s8
	s_delay_alu instid0(VALU_DEP_1) | instskip(NEXT) | instid1(VALU_DEP_1)
	v_sub_nc_u32_e32 v2, v0, v2
	v_mul_lo_u32 v3, v2, s13
	v_mul_lo_u32 v2, v2, s12
	s_cbranch_vccnz .LBB189_154
; %bb.153:
	v_mov_b32_e32 v5, v1
	s_delay_alu instid0(VALU_DEP_1) | instskip(NEXT) | instid1(VALU_DEP_1)
	v_mul_u64_e32 v[6:7], s[20:21], v[4:5]
	v_add_nc_u32_e32 v1, v4, v7
	s_delay_alu instid0(VALU_DEP_1) | instskip(NEXT) | instid1(VALU_DEP_1)
	v_lshrrev_b32_e32 v1, s3, v1
	v_mul_lo_u32 v1, v1, s11
	s_delay_alu instid0(VALU_DEP_1) | instskip(NEXT) | instid1(VALU_DEP_1)
	v_sub_nc_u32_e32 v1, v4, v1
	v_mad_u32 v2, v1, s14, v2
	v_mad_u32 v3, v1, s15, v3
.LBB189_154:
	global_load_u16 v1, v3, s[6:7]
	v_add_nc_u32_e32 v0, 0x80, v0
	s_wait_loadcnt 0x0
	v_cmp_eq_f16_e32 vcc_lo, s1, v1
	s_wait_xcnt 0x0
	v_cndmask_b32_e64 v3, 0, 1, vcc_lo
	v_cmp_neq_f16_e32 vcc_lo, s1, v1
	v_cndmask_b32_e64 v1, 0, 1, vcc_lo
	s_delay_alu instid0(VALU_DEP_1) | instskip(NEXT) | instid1(VALU_DEP_1)
	v_cndmask_b32_e64 v1, v1, v3, s0
	v_and_b32_e32 v1, 1, v1
	global_store_b8 v2, v1, s[4:5]
	s_wait_xcnt 0x0
	s_or_b32 exec_lo, exec_lo, s2
	s_delay_alu instid0(SALU_CYCLE_1)
	s_mov_b32 s2, exec_lo
	v_cmpx_gt_i32_e64 s36, v0
	s_cbranch_execnz .LBB189_140
.LBB189_155:
	s_or_b32 exec_lo, exec_lo, s2
	s_delay_alu instid0(SALU_CYCLE_1)
	s_mov_b32 s2, exec_lo
	v_cmpx_gt_i32_e64 s36, v0
	s_cbranch_execz .LBB189_171
.LBB189_156:
	s_and_not1_b32 vcc_lo, exec_lo, s33
	s_cbranch_vccnz .LBB189_161
; %bb.157:
	s_and_not1_b32 vcc_lo, exec_lo, s38
	s_cbranch_vccnz .LBB189_162
; %bb.158:
	s_add_co_i32 s9, s37, 1
	s_cmp_eq_u32 s31, 2
	s_cbranch_scc1 .LBB189_179
; %bb.159:
	v_dual_mov_b32 v2, 0 :: v_dual_mov_b32 v3, 0
	v_mov_b32_e32 v1, v0
	s_and_b32 s24, s9, 28
	s_mov_b32 s25, 0
	s_mov_b64 s[26:27], s[16:17]
	s_mov_b64 s[28:29], s[22:23]
.LBB189_160:                            ; =>This Inner Loop Header: Depth=1
	s_clause 0x1
	s_load_b256 s[40:47], s[26:27], 0x4
	s_load_b128 s[56:59], s[26:27], 0x24
	s_load_b256 s[48:55], s[28:29], 0x0
	s_add_co_i32 s25, s25, 4
	s_wait_xcnt 0x0
	s_add_nc_u64 s[26:27], s[26:27], 48
	s_cmp_eq_u32 s24, s25
	s_add_nc_u64 s[28:29], s[28:29], 32
	s_wait_kmcnt 0x0
	v_mul_hi_u32 v4, s41, v1
	s_delay_alu instid0(VALU_DEP_1) | instskip(NEXT) | instid1(VALU_DEP_1)
	v_add_nc_u32_e32 v4, v1, v4
	v_lshrrev_b32_e32 v4, s42, v4
	s_delay_alu instid0(VALU_DEP_1) | instskip(NEXT) | instid1(VALU_DEP_1)
	v_mul_hi_u32 v5, s44, v4
	v_add_nc_u32_e32 v5, v4, v5
	s_delay_alu instid0(VALU_DEP_1) | instskip(NEXT) | instid1(VALU_DEP_1)
	v_lshrrev_b32_e32 v5, s45, v5
	v_mul_hi_u32 v6, s47, v5
	s_delay_alu instid0(VALU_DEP_1) | instskip(SKIP_1) | instid1(VALU_DEP_1)
	v_add_nc_u32_e32 v6, v5, v6
	v_mul_lo_u32 v7, v4, s40
	v_sub_nc_u32_e32 v1, v1, v7
	v_mul_lo_u32 v7, v5, s43
	s_delay_alu instid0(VALU_DEP_4) | instskip(NEXT) | instid1(VALU_DEP_3)
	v_lshrrev_b32_e32 v6, s56, v6
	v_mad_u32 v3, v1, s49, v3
	v_mad_u32 v1, v1, s48, v2
	s_delay_alu instid0(VALU_DEP_4) | instskip(NEXT) | instid1(VALU_DEP_4)
	v_sub_nc_u32_e32 v2, v4, v7
	v_mul_hi_u32 v8, s58, v6
	v_mul_lo_u32 v4, v6, s46
	s_delay_alu instid0(VALU_DEP_3) | instskip(SKIP_1) | instid1(VALU_DEP_4)
	v_mad_u32 v3, v2, s51, v3
	v_mad_u32 v2, v2, s50, v1
	v_add_nc_u32_e32 v7, v6, v8
	s_delay_alu instid0(VALU_DEP_1) | instskip(NEXT) | instid1(VALU_DEP_1)
	v_dual_sub_nc_u32 v4, v5, v4 :: v_dual_lshrrev_b32 v1, s59, v7
	v_mad_u32 v3, v4, s53, v3
	s_delay_alu instid0(VALU_DEP_4) | instskip(NEXT) | instid1(VALU_DEP_3)
	v_mad_u32 v2, v4, s52, v2
	v_mul_lo_u32 v5, v1, s57
	s_delay_alu instid0(VALU_DEP_1) | instskip(NEXT) | instid1(VALU_DEP_1)
	v_sub_nc_u32_e32 v4, v6, v5
	v_mad_u32 v3, v4, s55, v3
	s_delay_alu instid0(VALU_DEP_4)
	v_mad_u32 v2, v4, s54, v2
	s_cbranch_scc0 .LBB189_160
	s_branch .LBB189_180
.LBB189_161:
                                        ; implicit-def: $vgpr3
	s_branch .LBB189_184
.LBB189_162:
	v_dual_mov_b32 v3, 0 :: v_dual_mov_b32 v2, 0
	s_branch .LBB189_183
.LBB189_163:
	v_mov_b64_e32 v[2:3], 0
	v_mov_b32_e32 v1, v0
	s_mov_b32 s24, 0
.LBB189_164:
	s_and_b32 s9, s9, 3
	s_mov_b32 s25, 0
	s_cmp_eq_u32 s9, 0
	s_cbranch_scc1 .LBB189_167
; %bb.165:
	s_lshl_b32 s26, s24, 3
	s_mov_b32 s27, s25
	s_mul_u64 s[28:29], s[24:25], 12
	s_add_nc_u64 s[26:27], s[16:17], s[26:27]
	s_delay_alu instid0(SALU_CYCLE_1)
	s_add_nc_u64 s[24:25], s[26:27], 0xc4
	s_add_nc_u64 s[26:27], s[16:17], s[28:29]
.LBB189_166:                            ; =>This Inner Loop Header: Depth=1
	s_load_b96 s[40:42], s[26:27], 0x4
	s_load_b64 s[28:29], s[24:25], 0x0
	s_add_co_i32 s9, s9, -1
	s_wait_xcnt 0x0
	s_add_nc_u64 s[26:27], s[26:27], 12
	s_cmp_lg_u32 s9, 0
	s_add_nc_u64 s[24:25], s[24:25], 8
	s_wait_kmcnt 0x0
	v_mul_hi_u32 v4, s41, v1
	s_delay_alu instid0(VALU_DEP_1) | instskip(NEXT) | instid1(VALU_DEP_1)
	v_add_nc_u32_e32 v4, v1, v4
	v_lshrrev_b32_e32 v4, s42, v4
	s_delay_alu instid0(VALU_DEP_1) | instskip(NEXT) | instid1(VALU_DEP_1)
	v_mul_lo_u32 v5, v4, s40
	v_sub_nc_u32_e32 v1, v1, v5
	s_delay_alu instid0(VALU_DEP_1)
	v_mad_u32 v3, v1, s29, v3
	v_mad_u32 v2, v1, s28, v2
	v_mov_b32_e32 v1, v4
	s_cbranch_scc1 .LBB189_166
.LBB189_167:
	s_cbranch_execnz .LBB189_170
.LBB189_168:
	v_mov_b32_e32 v1, 0
	s_and_not1_b32 vcc_lo, exec_lo, s35
	s_delay_alu instid0(VALU_DEP_1) | instskip(NEXT) | instid1(VALU_DEP_1)
	v_mul_u64_e32 v[2:3], s[18:19], v[0:1]
	v_add_nc_u32_e32 v2, v0, v3
	s_delay_alu instid0(VALU_DEP_1) | instskip(NEXT) | instid1(VALU_DEP_1)
	v_lshrrev_b32_e32 v4, s10, v2
	v_mul_lo_u32 v2, v4, s8
	s_delay_alu instid0(VALU_DEP_1) | instskip(NEXT) | instid1(VALU_DEP_1)
	v_sub_nc_u32_e32 v2, v0, v2
	v_mul_lo_u32 v3, v2, s13
	v_mul_lo_u32 v2, v2, s12
	s_cbranch_vccnz .LBB189_170
; %bb.169:
	v_mov_b32_e32 v5, v1
	s_delay_alu instid0(VALU_DEP_1) | instskip(NEXT) | instid1(VALU_DEP_1)
	v_mul_u64_e32 v[6:7], s[20:21], v[4:5]
	v_add_nc_u32_e32 v1, v4, v7
	s_delay_alu instid0(VALU_DEP_1) | instskip(NEXT) | instid1(VALU_DEP_1)
	v_lshrrev_b32_e32 v1, s3, v1
	v_mul_lo_u32 v1, v1, s11
	s_delay_alu instid0(VALU_DEP_1) | instskip(NEXT) | instid1(VALU_DEP_1)
	v_sub_nc_u32_e32 v1, v4, v1
	v_mad_u32 v2, v1, s14, v2
	v_mad_u32 v3, v1, s15, v3
.LBB189_170:
	global_load_u16 v1, v3, s[6:7]
	v_add_nc_u32_e32 v0, 0x80, v0
	s_wait_loadcnt 0x0
	v_cmp_eq_f16_e32 vcc_lo, s1, v1
	s_wait_xcnt 0x0
	v_cndmask_b32_e64 v3, 0, 1, vcc_lo
	v_cmp_neq_f16_e32 vcc_lo, s1, v1
	v_cndmask_b32_e64 v1, 0, 1, vcc_lo
	s_delay_alu instid0(VALU_DEP_1) | instskip(NEXT) | instid1(VALU_DEP_1)
	v_cndmask_b32_e64 v1, v1, v3, s0
	v_and_b32_e32 v1, 1, v1
	global_store_b8 v2, v1, s[4:5]
	s_wait_xcnt 0x0
	s_or_b32 exec_lo, exec_lo, s2
	s_delay_alu instid0(SALU_CYCLE_1)
	s_mov_b32 s2, exec_lo
	v_cmpx_gt_i32_e64 s36, v0
	s_cbranch_execnz .LBB189_156
.LBB189_171:
	s_or_b32 exec_lo, exec_lo, s2
	s_delay_alu instid0(SALU_CYCLE_1)
	s_mov_b32 s2, exec_lo
	v_cmpx_gt_i32_e64 s36, v0
	s_cbranch_execz .LBB189_187
.LBB189_172:
	s_and_not1_b32 vcc_lo, exec_lo, s33
	s_cbranch_vccnz .LBB189_177
; %bb.173:
	s_and_not1_b32 vcc_lo, exec_lo, s38
	s_cbranch_vccnz .LBB189_178
; %bb.174:
	s_add_co_i32 s9, s37, 1
	s_cmp_eq_u32 s31, 2
	s_cbranch_scc1 .LBB189_195
; %bb.175:
	v_dual_mov_b32 v2, 0 :: v_dual_mov_b32 v3, 0
	v_mov_b32_e32 v1, v0
	s_and_b32 s24, s9, 28
	s_mov_b32 s25, 0
	s_mov_b64 s[26:27], s[16:17]
	s_mov_b64 s[28:29], s[22:23]
.LBB189_176:                            ; =>This Inner Loop Header: Depth=1
	s_clause 0x1
	s_load_b256 s[40:47], s[26:27], 0x4
	s_load_b128 s[56:59], s[26:27], 0x24
	s_load_b256 s[48:55], s[28:29], 0x0
	s_add_co_i32 s25, s25, 4
	s_wait_xcnt 0x0
	s_add_nc_u64 s[26:27], s[26:27], 48
	s_cmp_eq_u32 s24, s25
	s_add_nc_u64 s[28:29], s[28:29], 32
	s_wait_kmcnt 0x0
	v_mul_hi_u32 v4, s41, v1
	s_delay_alu instid0(VALU_DEP_1) | instskip(NEXT) | instid1(VALU_DEP_1)
	v_add_nc_u32_e32 v4, v1, v4
	v_lshrrev_b32_e32 v4, s42, v4
	s_delay_alu instid0(VALU_DEP_1) | instskip(NEXT) | instid1(VALU_DEP_1)
	v_mul_hi_u32 v5, s44, v4
	v_add_nc_u32_e32 v5, v4, v5
	s_delay_alu instid0(VALU_DEP_1) | instskip(NEXT) | instid1(VALU_DEP_1)
	v_lshrrev_b32_e32 v5, s45, v5
	v_mul_hi_u32 v6, s47, v5
	s_delay_alu instid0(VALU_DEP_1) | instskip(SKIP_1) | instid1(VALU_DEP_1)
	v_add_nc_u32_e32 v6, v5, v6
	v_mul_lo_u32 v7, v4, s40
	v_sub_nc_u32_e32 v1, v1, v7
	v_mul_lo_u32 v7, v5, s43
	s_delay_alu instid0(VALU_DEP_4) | instskip(NEXT) | instid1(VALU_DEP_3)
	v_lshrrev_b32_e32 v6, s56, v6
	v_mad_u32 v3, v1, s49, v3
	v_mad_u32 v1, v1, s48, v2
	s_delay_alu instid0(VALU_DEP_4) | instskip(NEXT) | instid1(VALU_DEP_4)
	v_sub_nc_u32_e32 v2, v4, v7
	v_mul_hi_u32 v8, s58, v6
	v_mul_lo_u32 v4, v6, s46
	s_delay_alu instid0(VALU_DEP_3) | instskip(SKIP_1) | instid1(VALU_DEP_4)
	v_mad_u32 v3, v2, s51, v3
	v_mad_u32 v2, v2, s50, v1
	v_add_nc_u32_e32 v7, v6, v8
	s_delay_alu instid0(VALU_DEP_1) | instskip(NEXT) | instid1(VALU_DEP_1)
	v_dual_sub_nc_u32 v4, v5, v4 :: v_dual_lshrrev_b32 v1, s59, v7
	v_mad_u32 v3, v4, s53, v3
	s_delay_alu instid0(VALU_DEP_4) | instskip(NEXT) | instid1(VALU_DEP_3)
	v_mad_u32 v2, v4, s52, v2
	v_mul_lo_u32 v5, v1, s57
	s_delay_alu instid0(VALU_DEP_1) | instskip(NEXT) | instid1(VALU_DEP_1)
	v_sub_nc_u32_e32 v4, v6, v5
	v_mad_u32 v3, v4, s55, v3
	s_delay_alu instid0(VALU_DEP_4)
	v_mad_u32 v2, v4, s54, v2
	s_cbranch_scc0 .LBB189_176
	s_branch .LBB189_196
.LBB189_177:
                                        ; implicit-def: $vgpr3
	s_branch .LBB189_200
.LBB189_178:
	v_dual_mov_b32 v3, 0 :: v_dual_mov_b32 v2, 0
	s_branch .LBB189_199
.LBB189_179:
	v_mov_b64_e32 v[2:3], 0
	v_mov_b32_e32 v1, v0
	s_mov_b32 s24, 0
.LBB189_180:
	s_and_b32 s9, s9, 3
	s_mov_b32 s25, 0
	s_cmp_eq_u32 s9, 0
	s_cbranch_scc1 .LBB189_183
; %bb.181:
	s_lshl_b32 s26, s24, 3
	s_mov_b32 s27, s25
	s_mul_u64 s[28:29], s[24:25], 12
	s_add_nc_u64 s[26:27], s[16:17], s[26:27]
	s_delay_alu instid0(SALU_CYCLE_1)
	s_add_nc_u64 s[24:25], s[26:27], 0xc4
	s_add_nc_u64 s[26:27], s[16:17], s[28:29]
.LBB189_182:                            ; =>This Inner Loop Header: Depth=1
	s_load_b96 s[40:42], s[26:27], 0x4
	s_load_b64 s[28:29], s[24:25], 0x0
	s_add_co_i32 s9, s9, -1
	s_wait_xcnt 0x0
	s_add_nc_u64 s[26:27], s[26:27], 12
	s_cmp_lg_u32 s9, 0
	s_add_nc_u64 s[24:25], s[24:25], 8
	s_wait_kmcnt 0x0
	v_mul_hi_u32 v4, s41, v1
	s_delay_alu instid0(VALU_DEP_1) | instskip(NEXT) | instid1(VALU_DEP_1)
	v_add_nc_u32_e32 v4, v1, v4
	v_lshrrev_b32_e32 v4, s42, v4
	s_delay_alu instid0(VALU_DEP_1) | instskip(NEXT) | instid1(VALU_DEP_1)
	v_mul_lo_u32 v5, v4, s40
	v_sub_nc_u32_e32 v1, v1, v5
	s_delay_alu instid0(VALU_DEP_1)
	v_mad_u32 v3, v1, s29, v3
	v_mad_u32 v2, v1, s28, v2
	v_mov_b32_e32 v1, v4
	s_cbranch_scc1 .LBB189_182
.LBB189_183:
	s_cbranch_execnz .LBB189_186
.LBB189_184:
	v_mov_b32_e32 v1, 0
	s_and_not1_b32 vcc_lo, exec_lo, s35
	s_delay_alu instid0(VALU_DEP_1) | instskip(NEXT) | instid1(VALU_DEP_1)
	v_mul_u64_e32 v[2:3], s[18:19], v[0:1]
	v_add_nc_u32_e32 v2, v0, v3
	s_delay_alu instid0(VALU_DEP_1) | instskip(NEXT) | instid1(VALU_DEP_1)
	v_lshrrev_b32_e32 v4, s10, v2
	v_mul_lo_u32 v2, v4, s8
	s_delay_alu instid0(VALU_DEP_1) | instskip(NEXT) | instid1(VALU_DEP_1)
	v_sub_nc_u32_e32 v2, v0, v2
	v_mul_lo_u32 v3, v2, s13
	v_mul_lo_u32 v2, v2, s12
	s_cbranch_vccnz .LBB189_186
; %bb.185:
	v_mov_b32_e32 v5, v1
	s_delay_alu instid0(VALU_DEP_1) | instskip(NEXT) | instid1(VALU_DEP_1)
	v_mul_u64_e32 v[6:7], s[20:21], v[4:5]
	v_add_nc_u32_e32 v1, v4, v7
	s_delay_alu instid0(VALU_DEP_1) | instskip(NEXT) | instid1(VALU_DEP_1)
	v_lshrrev_b32_e32 v1, s3, v1
	v_mul_lo_u32 v1, v1, s11
	s_delay_alu instid0(VALU_DEP_1) | instskip(NEXT) | instid1(VALU_DEP_1)
	v_sub_nc_u32_e32 v1, v4, v1
	v_mad_u32 v2, v1, s14, v2
	v_mad_u32 v3, v1, s15, v3
.LBB189_186:
	global_load_u16 v1, v3, s[6:7]
	v_add_nc_u32_e32 v0, 0x80, v0
	s_wait_loadcnt 0x0
	v_cmp_eq_f16_e32 vcc_lo, s1, v1
	s_wait_xcnt 0x0
	v_cndmask_b32_e64 v3, 0, 1, vcc_lo
	v_cmp_neq_f16_e32 vcc_lo, s1, v1
	v_cndmask_b32_e64 v1, 0, 1, vcc_lo
	s_delay_alu instid0(VALU_DEP_1) | instskip(NEXT) | instid1(VALU_DEP_1)
	v_cndmask_b32_e64 v1, v1, v3, s0
	v_and_b32_e32 v1, 1, v1
	global_store_b8 v2, v1, s[4:5]
	s_wait_xcnt 0x0
	s_or_b32 exec_lo, exec_lo, s2
	s_delay_alu instid0(SALU_CYCLE_1)
	s_mov_b32 s2, exec_lo
	v_cmpx_gt_i32_e64 s36, v0
	s_cbranch_execnz .LBB189_172
.LBB189_187:
	s_or_b32 exec_lo, exec_lo, s2
	s_delay_alu instid0(SALU_CYCLE_1)
	s_mov_b32 s2, exec_lo
	v_cmpx_gt_i32_e64 s36, v0
	s_cbranch_execz .LBB189_203
.LBB189_188:
	s_and_not1_b32 vcc_lo, exec_lo, s33
	s_cbranch_vccnz .LBB189_193
; %bb.189:
	s_and_not1_b32 vcc_lo, exec_lo, s38
	s_cbranch_vccnz .LBB189_194
; %bb.190:
	s_add_co_i32 s9, s37, 1
	s_cmp_eq_u32 s31, 2
	s_cbranch_scc1 .LBB189_211
; %bb.191:
	v_dual_mov_b32 v2, 0 :: v_dual_mov_b32 v3, 0
	v_mov_b32_e32 v1, v0
	s_and_b32 s24, s9, 28
	s_mov_b32 s25, 0
	s_mov_b64 s[26:27], s[16:17]
	s_mov_b64 s[28:29], s[22:23]
.LBB189_192:                            ; =>This Inner Loop Header: Depth=1
	s_clause 0x1
	s_load_b256 s[40:47], s[26:27], 0x4
	s_load_b128 s[56:59], s[26:27], 0x24
	s_load_b256 s[48:55], s[28:29], 0x0
	s_add_co_i32 s25, s25, 4
	s_wait_xcnt 0x0
	s_add_nc_u64 s[26:27], s[26:27], 48
	s_cmp_eq_u32 s24, s25
	s_add_nc_u64 s[28:29], s[28:29], 32
	s_wait_kmcnt 0x0
	v_mul_hi_u32 v4, s41, v1
	s_delay_alu instid0(VALU_DEP_1) | instskip(NEXT) | instid1(VALU_DEP_1)
	v_add_nc_u32_e32 v4, v1, v4
	v_lshrrev_b32_e32 v4, s42, v4
	s_delay_alu instid0(VALU_DEP_1) | instskip(NEXT) | instid1(VALU_DEP_1)
	v_mul_hi_u32 v5, s44, v4
	v_add_nc_u32_e32 v5, v4, v5
	s_delay_alu instid0(VALU_DEP_1) | instskip(NEXT) | instid1(VALU_DEP_1)
	v_lshrrev_b32_e32 v5, s45, v5
	v_mul_hi_u32 v6, s47, v5
	s_delay_alu instid0(VALU_DEP_1) | instskip(SKIP_1) | instid1(VALU_DEP_1)
	v_add_nc_u32_e32 v6, v5, v6
	v_mul_lo_u32 v7, v4, s40
	v_sub_nc_u32_e32 v1, v1, v7
	v_mul_lo_u32 v7, v5, s43
	s_delay_alu instid0(VALU_DEP_4) | instskip(NEXT) | instid1(VALU_DEP_3)
	v_lshrrev_b32_e32 v6, s56, v6
	v_mad_u32 v3, v1, s49, v3
	v_mad_u32 v1, v1, s48, v2
	s_delay_alu instid0(VALU_DEP_4) | instskip(NEXT) | instid1(VALU_DEP_4)
	v_sub_nc_u32_e32 v2, v4, v7
	v_mul_hi_u32 v8, s58, v6
	v_mul_lo_u32 v4, v6, s46
	s_delay_alu instid0(VALU_DEP_3) | instskip(SKIP_1) | instid1(VALU_DEP_4)
	v_mad_u32 v3, v2, s51, v3
	v_mad_u32 v2, v2, s50, v1
	v_add_nc_u32_e32 v7, v6, v8
	s_delay_alu instid0(VALU_DEP_1) | instskip(NEXT) | instid1(VALU_DEP_1)
	v_dual_sub_nc_u32 v4, v5, v4 :: v_dual_lshrrev_b32 v1, s59, v7
	v_mad_u32 v3, v4, s53, v3
	s_delay_alu instid0(VALU_DEP_4) | instskip(NEXT) | instid1(VALU_DEP_3)
	v_mad_u32 v2, v4, s52, v2
	v_mul_lo_u32 v5, v1, s57
	s_delay_alu instid0(VALU_DEP_1) | instskip(NEXT) | instid1(VALU_DEP_1)
	v_sub_nc_u32_e32 v4, v6, v5
	v_mad_u32 v3, v4, s55, v3
	s_delay_alu instid0(VALU_DEP_4)
	v_mad_u32 v2, v4, s54, v2
	s_cbranch_scc0 .LBB189_192
	s_branch .LBB189_212
.LBB189_193:
                                        ; implicit-def: $vgpr3
	s_branch .LBB189_216
.LBB189_194:
	v_dual_mov_b32 v3, 0 :: v_dual_mov_b32 v2, 0
	s_branch .LBB189_215
.LBB189_195:
	v_mov_b64_e32 v[2:3], 0
	v_mov_b32_e32 v1, v0
	s_mov_b32 s24, 0
.LBB189_196:
	s_and_b32 s9, s9, 3
	s_mov_b32 s25, 0
	s_cmp_eq_u32 s9, 0
	s_cbranch_scc1 .LBB189_199
; %bb.197:
	s_lshl_b32 s26, s24, 3
	s_mov_b32 s27, s25
	s_mul_u64 s[28:29], s[24:25], 12
	s_add_nc_u64 s[26:27], s[16:17], s[26:27]
	s_delay_alu instid0(SALU_CYCLE_1)
	s_add_nc_u64 s[24:25], s[26:27], 0xc4
	s_add_nc_u64 s[26:27], s[16:17], s[28:29]
.LBB189_198:                            ; =>This Inner Loop Header: Depth=1
	s_load_b96 s[40:42], s[26:27], 0x4
	s_load_b64 s[28:29], s[24:25], 0x0
	s_add_co_i32 s9, s9, -1
	s_wait_xcnt 0x0
	s_add_nc_u64 s[26:27], s[26:27], 12
	s_cmp_lg_u32 s9, 0
	s_add_nc_u64 s[24:25], s[24:25], 8
	s_wait_kmcnt 0x0
	v_mul_hi_u32 v4, s41, v1
	s_delay_alu instid0(VALU_DEP_1) | instskip(NEXT) | instid1(VALU_DEP_1)
	v_add_nc_u32_e32 v4, v1, v4
	v_lshrrev_b32_e32 v4, s42, v4
	s_delay_alu instid0(VALU_DEP_1) | instskip(NEXT) | instid1(VALU_DEP_1)
	v_mul_lo_u32 v5, v4, s40
	v_sub_nc_u32_e32 v1, v1, v5
	s_delay_alu instid0(VALU_DEP_1)
	v_mad_u32 v3, v1, s29, v3
	v_mad_u32 v2, v1, s28, v2
	v_mov_b32_e32 v1, v4
	s_cbranch_scc1 .LBB189_198
.LBB189_199:
	s_cbranch_execnz .LBB189_202
.LBB189_200:
	v_mov_b32_e32 v1, 0
	s_and_not1_b32 vcc_lo, exec_lo, s35
	s_delay_alu instid0(VALU_DEP_1) | instskip(NEXT) | instid1(VALU_DEP_1)
	v_mul_u64_e32 v[2:3], s[18:19], v[0:1]
	v_add_nc_u32_e32 v2, v0, v3
	s_delay_alu instid0(VALU_DEP_1) | instskip(NEXT) | instid1(VALU_DEP_1)
	v_lshrrev_b32_e32 v4, s10, v2
	v_mul_lo_u32 v2, v4, s8
	s_delay_alu instid0(VALU_DEP_1) | instskip(NEXT) | instid1(VALU_DEP_1)
	v_sub_nc_u32_e32 v2, v0, v2
	v_mul_lo_u32 v3, v2, s13
	v_mul_lo_u32 v2, v2, s12
	s_cbranch_vccnz .LBB189_202
; %bb.201:
	v_mov_b32_e32 v5, v1
	s_delay_alu instid0(VALU_DEP_1) | instskip(NEXT) | instid1(VALU_DEP_1)
	v_mul_u64_e32 v[6:7], s[20:21], v[4:5]
	v_add_nc_u32_e32 v1, v4, v7
	s_delay_alu instid0(VALU_DEP_1) | instskip(NEXT) | instid1(VALU_DEP_1)
	v_lshrrev_b32_e32 v1, s3, v1
	v_mul_lo_u32 v1, v1, s11
	s_delay_alu instid0(VALU_DEP_1) | instskip(NEXT) | instid1(VALU_DEP_1)
	v_sub_nc_u32_e32 v1, v4, v1
	v_mad_u32 v2, v1, s14, v2
	v_mad_u32 v3, v1, s15, v3
.LBB189_202:
	global_load_u16 v1, v3, s[6:7]
	v_add_nc_u32_e32 v0, 0x80, v0
	s_wait_loadcnt 0x0
	v_cmp_eq_f16_e32 vcc_lo, s1, v1
	s_wait_xcnt 0x0
	v_cndmask_b32_e64 v3, 0, 1, vcc_lo
	v_cmp_neq_f16_e32 vcc_lo, s1, v1
	v_cndmask_b32_e64 v1, 0, 1, vcc_lo
	s_delay_alu instid0(VALU_DEP_1) | instskip(NEXT) | instid1(VALU_DEP_1)
	v_cndmask_b32_e64 v1, v1, v3, s0
	v_and_b32_e32 v1, 1, v1
	global_store_b8 v2, v1, s[4:5]
	s_wait_xcnt 0x0
	s_or_b32 exec_lo, exec_lo, s2
	s_delay_alu instid0(SALU_CYCLE_1)
	s_mov_b32 s2, exec_lo
	v_cmpx_gt_i32_e64 s36, v0
	s_cbranch_execnz .LBB189_188
.LBB189_203:
	s_or_b32 exec_lo, exec_lo, s2
	s_delay_alu instid0(SALU_CYCLE_1)
	s_mov_b32 s2, exec_lo
	v_cmpx_gt_i32_e64 s36, v0
	s_cbranch_execz .LBB189_219
.LBB189_204:
	s_and_not1_b32 vcc_lo, exec_lo, s33
	s_cbranch_vccnz .LBB189_209
; %bb.205:
	s_and_not1_b32 vcc_lo, exec_lo, s38
	s_cbranch_vccnz .LBB189_210
; %bb.206:
	s_add_co_i32 s9, s37, 1
	s_cmp_eq_u32 s31, 2
	s_cbranch_scc1 .LBB189_222
; %bb.207:
	v_dual_mov_b32 v2, 0 :: v_dual_mov_b32 v3, 0
	v_mov_b32_e32 v1, v0
	s_and_b32 s24, s9, 28
	s_mov_b32 s25, 0
	s_mov_b64 s[26:27], s[16:17]
	s_mov_b64 s[28:29], s[22:23]
.LBB189_208:                            ; =>This Inner Loop Header: Depth=1
	s_clause 0x1
	s_load_b256 s[40:47], s[26:27], 0x4
	s_load_b128 s[56:59], s[26:27], 0x24
	s_load_b256 s[48:55], s[28:29], 0x0
	s_add_co_i32 s25, s25, 4
	s_wait_xcnt 0x0
	s_add_nc_u64 s[26:27], s[26:27], 48
	s_cmp_eq_u32 s24, s25
	s_add_nc_u64 s[28:29], s[28:29], 32
	s_wait_kmcnt 0x0
	v_mul_hi_u32 v4, s41, v1
	s_delay_alu instid0(VALU_DEP_1) | instskip(NEXT) | instid1(VALU_DEP_1)
	v_add_nc_u32_e32 v4, v1, v4
	v_lshrrev_b32_e32 v4, s42, v4
	s_delay_alu instid0(VALU_DEP_1) | instskip(NEXT) | instid1(VALU_DEP_1)
	v_mul_hi_u32 v5, s44, v4
	v_add_nc_u32_e32 v5, v4, v5
	s_delay_alu instid0(VALU_DEP_1) | instskip(NEXT) | instid1(VALU_DEP_1)
	v_lshrrev_b32_e32 v5, s45, v5
	v_mul_hi_u32 v6, s47, v5
	s_delay_alu instid0(VALU_DEP_1) | instskip(SKIP_1) | instid1(VALU_DEP_1)
	v_add_nc_u32_e32 v6, v5, v6
	v_mul_lo_u32 v7, v4, s40
	v_sub_nc_u32_e32 v1, v1, v7
	v_mul_lo_u32 v7, v5, s43
	s_delay_alu instid0(VALU_DEP_4) | instskip(NEXT) | instid1(VALU_DEP_3)
	v_lshrrev_b32_e32 v6, s56, v6
	v_mad_u32 v3, v1, s49, v3
	v_mad_u32 v1, v1, s48, v2
	s_delay_alu instid0(VALU_DEP_4) | instskip(NEXT) | instid1(VALU_DEP_4)
	v_sub_nc_u32_e32 v2, v4, v7
	v_mul_hi_u32 v8, s58, v6
	v_mul_lo_u32 v4, v6, s46
	s_delay_alu instid0(VALU_DEP_3) | instskip(SKIP_1) | instid1(VALU_DEP_4)
	v_mad_u32 v3, v2, s51, v3
	v_mad_u32 v2, v2, s50, v1
	v_add_nc_u32_e32 v7, v6, v8
	s_delay_alu instid0(VALU_DEP_1) | instskip(NEXT) | instid1(VALU_DEP_1)
	v_dual_sub_nc_u32 v4, v5, v4 :: v_dual_lshrrev_b32 v1, s59, v7
	v_mad_u32 v3, v4, s53, v3
	s_delay_alu instid0(VALU_DEP_4) | instskip(NEXT) | instid1(VALU_DEP_3)
	v_mad_u32 v2, v4, s52, v2
	v_mul_lo_u32 v5, v1, s57
	s_delay_alu instid0(VALU_DEP_1) | instskip(NEXT) | instid1(VALU_DEP_1)
	v_sub_nc_u32_e32 v4, v6, v5
	v_mad_u32 v3, v4, s55, v3
	s_delay_alu instid0(VALU_DEP_4)
	v_mad_u32 v2, v4, s54, v2
	s_cbranch_scc0 .LBB189_208
	s_branch .LBB189_223
.LBB189_209:
                                        ; implicit-def: $vgpr3
	s_branch .LBB189_227
.LBB189_210:
	v_dual_mov_b32 v3, 0 :: v_dual_mov_b32 v2, 0
	s_branch .LBB189_226
.LBB189_211:
	v_mov_b64_e32 v[2:3], 0
	v_mov_b32_e32 v1, v0
	s_mov_b32 s24, 0
.LBB189_212:
	s_and_b32 s9, s9, 3
	s_mov_b32 s25, 0
	s_cmp_eq_u32 s9, 0
	s_cbranch_scc1 .LBB189_215
; %bb.213:
	s_lshl_b32 s26, s24, 3
	s_mov_b32 s27, s25
	s_mul_u64 s[28:29], s[24:25], 12
	s_add_nc_u64 s[26:27], s[16:17], s[26:27]
	s_delay_alu instid0(SALU_CYCLE_1)
	s_add_nc_u64 s[24:25], s[26:27], 0xc4
	s_add_nc_u64 s[26:27], s[16:17], s[28:29]
.LBB189_214:                            ; =>This Inner Loop Header: Depth=1
	s_load_b96 s[40:42], s[26:27], 0x4
	s_load_b64 s[28:29], s[24:25], 0x0
	s_add_co_i32 s9, s9, -1
	s_wait_xcnt 0x0
	s_add_nc_u64 s[26:27], s[26:27], 12
	s_cmp_lg_u32 s9, 0
	s_add_nc_u64 s[24:25], s[24:25], 8
	s_wait_kmcnt 0x0
	v_mul_hi_u32 v4, s41, v1
	s_delay_alu instid0(VALU_DEP_1) | instskip(NEXT) | instid1(VALU_DEP_1)
	v_add_nc_u32_e32 v4, v1, v4
	v_lshrrev_b32_e32 v4, s42, v4
	s_delay_alu instid0(VALU_DEP_1) | instskip(NEXT) | instid1(VALU_DEP_1)
	v_mul_lo_u32 v5, v4, s40
	v_sub_nc_u32_e32 v1, v1, v5
	s_delay_alu instid0(VALU_DEP_1)
	v_mad_u32 v3, v1, s29, v3
	v_mad_u32 v2, v1, s28, v2
	v_mov_b32_e32 v1, v4
	s_cbranch_scc1 .LBB189_214
.LBB189_215:
	s_cbranch_execnz .LBB189_218
.LBB189_216:
	v_mov_b32_e32 v1, 0
	s_and_not1_b32 vcc_lo, exec_lo, s35
	s_delay_alu instid0(VALU_DEP_1) | instskip(NEXT) | instid1(VALU_DEP_1)
	v_mul_u64_e32 v[2:3], s[18:19], v[0:1]
	v_add_nc_u32_e32 v2, v0, v3
	s_delay_alu instid0(VALU_DEP_1) | instskip(NEXT) | instid1(VALU_DEP_1)
	v_lshrrev_b32_e32 v4, s10, v2
	v_mul_lo_u32 v2, v4, s8
	s_delay_alu instid0(VALU_DEP_1) | instskip(NEXT) | instid1(VALU_DEP_1)
	v_sub_nc_u32_e32 v2, v0, v2
	v_mul_lo_u32 v3, v2, s13
	v_mul_lo_u32 v2, v2, s12
	s_cbranch_vccnz .LBB189_218
; %bb.217:
	v_mov_b32_e32 v5, v1
	s_delay_alu instid0(VALU_DEP_1) | instskip(NEXT) | instid1(VALU_DEP_1)
	v_mul_u64_e32 v[6:7], s[20:21], v[4:5]
	v_add_nc_u32_e32 v1, v4, v7
	s_delay_alu instid0(VALU_DEP_1) | instskip(NEXT) | instid1(VALU_DEP_1)
	v_lshrrev_b32_e32 v1, s3, v1
	v_mul_lo_u32 v1, v1, s11
	s_delay_alu instid0(VALU_DEP_1) | instskip(NEXT) | instid1(VALU_DEP_1)
	v_sub_nc_u32_e32 v1, v4, v1
	v_mad_u32 v2, v1, s14, v2
	v_mad_u32 v3, v1, s15, v3
.LBB189_218:
	global_load_u16 v1, v3, s[6:7]
	v_add_nc_u32_e32 v0, 0x80, v0
	s_wait_loadcnt 0x0
	v_cmp_eq_f16_e32 vcc_lo, s1, v1
	s_wait_xcnt 0x0
	v_cndmask_b32_e64 v3, 0, 1, vcc_lo
	v_cmp_neq_f16_e32 vcc_lo, s1, v1
	v_cndmask_b32_e64 v1, 0, 1, vcc_lo
	s_delay_alu instid0(VALU_DEP_1) | instskip(NEXT) | instid1(VALU_DEP_1)
	v_cndmask_b32_e64 v1, v1, v3, s0
	v_and_b32_e32 v1, 1, v1
	global_store_b8 v2, v1, s[4:5]
	s_wait_xcnt 0x0
	s_or_b32 exec_lo, exec_lo, s2
	s_delay_alu instid0(SALU_CYCLE_1)
	s_mov_b32 s2, exec_lo
	v_cmpx_gt_i32_e64 s36, v0
	s_cbranch_execnz .LBB189_204
.LBB189_219:
	s_or_b32 exec_lo, exec_lo, s2
	s_delay_alu instid0(SALU_CYCLE_1)
	s_mov_b32 s2, exec_lo
	v_cmpx_gt_i32_e64 s36, v0
	s_cbranch_execnz .LBB189_230
.LBB189_220:
	s_or_b32 exec_lo, exec_lo, s2
                                        ; implicit-def: $vgpr16
                                        ; implicit-def: $vgpr0
	s_and_not1_saveexec_b32 s0, s34
	s_cbranch_execnz .LBB189_8
.LBB189_221:
	s_endpgm
.LBB189_222:
	v_mov_b64_e32 v[2:3], 0
	v_mov_b32_e32 v1, v0
	s_mov_b32 s24, 0
.LBB189_223:
	s_and_b32 s9, s9, 3
	s_mov_b32 s25, 0
	s_cmp_eq_u32 s9, 0
	s_cbranch_scc1 .LBB189_226
; %bb.224:
	s_lshl_b32 s26, s24, 3
	s_mov_b32 s27, s25
	s_mul_u64 s[28:29], s[24:25], 12
	s_add_nc_u64 s[26:27], s[16:17], s[26:27]
	s_delay_alu instid0(SALU_CYCLE_1)
	s_add_nc_u64 s[24:25], s[26:27], 0xc4
	s_add_nc_u64 s[26:27], s[16:17], s[28:29]
.LBB189_225:                            ; =>This Inner Loop Header: Depth=1
	s_load_b96 s[40:42], s[26:27], 0x4
	s_load_b64 s[28:29], s[24:25], 0x0
	s_add_co_i32 s9, s9, -1
	s_wait_xcnt 0x0
	s_add_nc_u64 s[26:27], s[26:27], 12
	s_cmp_lg_u32 s9, 0
	s_add_nc_u64 s[24:25], s[24:25], 8
	s_wait_kmcnt 0x0
	v_mul_hi_u32 v4, s41, v1
	s_delay_alu instid0(VALU_DEP_1) | instskip(NEXT) | instid1(VALU_DEP_1)
	v_add_nc_u32_e32 v4, v1, v4
	v_lshrrev_b32_e32 v4, s42, v4
	s_delay_alu instid0(VALU_DEP_1) | instskip(NEXT) | instid1(VALU_DEP_1)
	v_mul_lo_u32 v5, v4, s40
	v_sub_nc_u32_e32 v1, v1, v5
	s_delay_alu instid0(VALU_DEP_1)
	v_mad_u32 v3, v1, s29, v3
	v_mad_u32 v2, v1, s28, v2
	v_mov_b32_e32 v1, v4
	s_cbranch_scc1 .LBB189_225
.LBB189_226:
	s_cbranch_execnz .LBB189_229
.LBB189_227:
	v_mov_b32_e32 v1, 0
	s_and_not1_b32 vcc_lo, exec_lo, s35
	s_delay_alu instid0(VALU_DEP_1) | instskip(NEXT) | instid1(VALU_DEP_1)
	v_mul_u64_e32 v[2:3], s[18:19], v[0:1]
	v_add_nc_u32_e32 v2, v0, v3
	s_delay_alu instid0(VALU_DEP_1) | instskip(NEXT) | instid1(VALU_DEP_1)
	v_lshrrev_b32_e32 v4, s10, v2
	v_mul_lo_u32 v2, v4, s8
	s_delay_alu instid0(VALU_DEP_1) | instskip(NEXT) | instid1(VALU_DEP_1)
	v_sub_nc_u32_e32 v2, v0, v2
	v_mul_lo_u32 v3, v2, s13
	v_mul_lo_u32 v2, v2, s12
	s_cbranch_vccnz .LBB189_229
; %bb.228:
	v_mov_b32_e32 v5, v1
	s_delay_alu instid0(VALU_DEP_1) | instskip(NEXT) | instid1(VALU_DEP_1)
	v_mul_u64_e32 v[6:7], s[20:21], v[4:5]
	v_add_nc_u32_e32 v1, v4, v7
	s_delay_alu instid0(VALU_DEP_1) | instskip(NEXT) | instid1(VALU_DEP_1)
	v_lshrrev_b32_e32 v1, s3, v1
	v_mul_lo_u32 v1, v1, s11
	s_delay_alu instid0(VALU_DEP_1) | instskip(NEXT) | instid1(VALU_DEP_1)
	v_sub_nc_u32_e32 v1, v4, v1
	v_mad_u32 v2, v1, s14, v2
	v_mad_u32 v3, v1, s15, v3
.LBB189_229:
	global_load_u16 v1, v3, s[6:7]
	v_add_nc_u32_e32 v0, 0x80, v0
	s_wait_loadcnt 0x0
	v_cmp_eq_f16_e32 vcc_lo, s1, v1
	s_wait_xcnt 0x0
	v_cndmask_b32_e64 v3, 0, 1, vcc_lo
	v_cmp_neq_f16_e32 vcc_lo, s1, v1
	v_cndmask_b32_e64 v1, 0, 1, vcc_lo
	s_delay_alu instid0(VALU_DEP_1) | instskip(NEXT) | instid1(VALU_DEP_1)
	v_cndmask_b32_e64 v1, v1, v3, s0
	v_and_b32_e32 v1, 1, v1
	global_store_b8 v2, v1, s[4:5]
	s_wait_xcnt 0x0
	s_or_b32 exec_lo, exec_lo, s2
	s_delay_alu instid0(SALU_CYCLE_1)
	s_mov_b32 s2, exec_lo
	v_cmpx_gt_i32_e64 s36, v0
	s_cbranch_execz .LBB189_220
.LBB189_230:
	s_and_not1_b32 vcc_lo, exec_lo, s33
	s_cbranch_vccnz .LBB189_235
; %bb.231:
	s_and_not1_b32 vcc_lo, exec_lo, s38
	s_cbranch_vccnz .LBB189_236
; %bb.232:
	s_add_co_i32 s37, s37, 1
	s_cmp_eq_u32 s31, 2
	s_cbranch_scc1 .LBB189_237
; %bb.233:
	v_dual_mov_b32 v2, 0 :: v_dual_mov_b32 v3, 0
	v_mov_b32_e32 v1, v0
	s_and_b32 s24, s37, 28
	s_mov_b32 s9, 0
	s_mov_b64 s[26:27], s[16:17]
.LBB189_234:                            ; =>This Inner Loop Header: Depth=1
	s_clause 0x1
	s_load_b256 s[40:47], s[26:27], 0x4
	s_load_b128 s[56:59], s[26:27], 0x24
	s_load_b256 s[48:55], s[22:23], 0x0
	s_add_co_i32 s9, s9, 4
	s_wait_xcnt 0x0
	s_add_nc_u64 s[26:27], s[26:27], 48
	s_cmp_eq_u32 s24, s9
	s_add_nc_u64 s[22:23], s[22:23], 32
	s_wait_kmcnt 0x0
	v_mul_hi_u32 v4, s41, v1
	s_delay_alu instid0(VALU_DEP_1) | instskip(NEXT) | instid1(VALU_DEP_1)
	v_add_nc_u32_e32 v4, v1, v4
	v_lshrrev_b32_e32 v4, s42, v4
	s_delay_alu instid0(VALU_DEP_1) | instskip(NEXT) | instid1(VALU_DEP_1)
	v_mul_hi_u32 v5, s44, v4
	v_add_nc_u32_e32 v5, v4, v5
	s_delay_alu instid0(VALU_DEP_1) | instskip(NEXT) | instid1(VALU_DEP_1)
	v_lshrrev_b32_e32 v5, s45, v5
	v_mul_hi_u32 v6, s47, v5
	s_delay_alu instid0(VALU_DEP_1) | instskip(SKIP_1) | instid1(VALU_DEP_1)
	v_add_nc_u32_e32 v6, v5, v6
	v_mul_lo_u32 v7, v4, s40
	v_sub_nc_u32_e32 v1, v1, v7
	v_mul_lo_u32 v7, v5, s43
	s_delay_alu instid0(VALU_DEP_4) | instskip(NEXT) | instid1(VALU_DEP_3)
	v_lshrrev_b32_e32 v6, s56, v6
	v_mad_u32 v3, v1, s49, v3
	v_mad_u32 v1, v1, s48, v2
	s_delay_alu instid0(VALU_DEP_4) | instskip(NEXT) | instid1(VALU_DEP_4)
	v_sub_nc_u32_e32 v2, v4, v7
	v_mul_hi_u32 v8, s58, v6
	v_mul_lo_u32 v4, v6, s46
	s_delay_alu instid0(VALU_DEP_3) | instskip(SKIP_1) | instid1(VALU_DEP_4)
	v_mad_u32 v3, v2, s51, v3
	v_mad_u32 v2, v2, s50, v1
	v_add_nc_u32_e32 v7, v6, v8
	s_delay_alu instid0(VALU_DEP_1) | instskip(NEXT) | instid1(VALU_DEP_1)
	v_dual_sub_nc_u32 v4, v5, v4 :: v_dual_lshrrev_b32 v1, s59, v7
	v_mad_u32 v3, v4, s53, v3
	s_delay_alu instid0(VALU_DEP_4) | instskip(NEXT) | instid1(VALU_DEP_3)
	v_mad_u32 v2, v4, s52, v2
	v_mul_lo_u32 v5, v1, s57
	s_delay_alu instid0(VALU_DEP_1) | instskip(NEXT) | instid1(VALU_DEP_1)
	v_sub_nc_u32_e32 v4, v6, v5
	v_mad_u32 v3, v4, s55, v3
	s_delay_alu instid0(VALU_DEP_4)
	v_mad_u32 v2, v4, s54, v2
	s_cbranch_scc0 .LBB189_234
	s_branch .LBB189_238
.LBB189_235:
                                        ; implicit-def: $vgpr3
	s_branch .LBB189_242
.LBB189_236:
	v_dual_mov_b32 v3, 0 :: v_dual_mov_b32 v2, 0
	s_branch .LBB189_241
.LBB189_237:
	v_mov_b64_e32 v[2:3], 0
	v_mov_b32_e32 v1, v0
	s_mov_b32 s24, 0
.LBB189_238:
	s_and_b32 s9, s37, 3
	s_mov_b32 s25, 0
	s_cmp_eq_u32 s9, 0
	s_cbranch_scc1 .LBB189_241
; %bb.239:
	s_lshl_b32 s22, s24, 3
	s_mov_b32 s23, s25
	s_mul_u64 s[24:25], s[24:25], 12
	s_add_nc_u64 s[22:23], s[16:17], s[22:23]
	s_add_nc_u64 s[24:25], s[16:17], s[24:25]
	;; [unrolled: 1-line block ×3, first 2 shown]
.LBB189_240:                            ; =>This Inner Loop Header: Depth=1
	s_load_b96 s[36:38], s[24:25], 0x4
	s_load_b64 s[26:27], s[22:23], 0x0
	s_add_co_i32 s9, s9, -1
	s_wait_xcnt 0x0
	s_add_nc_u64 s[24:25], s[24:25], 12
	s_cmp_lg_u32 s9, 0
	s_add_nc_u64 s[22:23], s[22:23], 8
	s_wait_kmcnt 0x0
	v_mul_hi_u32 v4, s37, v1
	s_delay_alu instid0(VALU_DEP_1) | instskip(NEXT) | instid1(VALU_DEP_1)
	v_add_nc_u32_e32 v4, v1, v4
	v_lshrrev_b32_e32 v4, s38, v4
	s_delay_alu instid0(VALU_DEP_1) | instskip(NEXT) | instid1(VALU_DEP_1)
	v_mul_lo_u32 v5, v4, s36
	v_sub_nc_u32_e32 v1, v1, v5
	s_delay_alu instid0(VALU_DEP_1)
	v_mad_u32 v3, v1, s27, v3
	v_mad_u32 v2, v1, s26, v2
	v_mov_b32_e32 v1, v4
	s_cbranch_scc1 .LBB189_240
.LBB189_241:
	s_cbranch_execnz .LBB189_244
.LBB189_242:
	v_mov_b32_e32 v1, 0
	s_and_not1_b32 vcc_lo, exec_lo, s35
	s_delay_alu instid0(VALU_DEP_1) | instskip(NEXT) | instid1(VALU_DEP_1)
	v_mul_u64_e32 v[2:3], s[18:19], v[0:1]
	v_add_nc_u32_e32 v2, v0, v3
	s_delay_alu instid0(VALU_DEP_1) | instskip(NEXT) | instid1(VALU_DEP_1)
	v_lshrrev_b32_e32 v4, s10, v2
	v_mul_lo_u32 v2, v4, s8
	s_delay_alu instid0(VALU_DEP_1) | instskip(NEXT) | instid1(VALU_DEP_1)
	v_sub_nc_u32_e32 v0, v0, v2
	v_mul_lo_u32 v3, v0, s13
	v_mul_lo_u32 v2, v0, s12
	s_cbranch_vccnz .LBB189_244
; %bb.243:
	v_mov_b32_e32 v5, v1
	s_delay_alu instid0(VALU_DEP_1) | instskip(NEXT) | instid1(VALU_DEP_1)
	v_mul_u64_e32 v[0:1], s[20:21], v[4:5]
	v_add_nc_u32_e32 v0, v4, v1
	s_delay_alu instid0(VALU_DEP_1) | instskip(NEXT) | instid1(VALU_DEP_1)
	v_lshrrev_b32_e32 v0, s3, v0
	v_mul_lo_u32 v0, v0, s11
	s_delay_alu instid0(VALU_DEP_1) | instskip(NEXT) | instid1(VALU_DEP_1)
	v_sub_nc_u32_e32 v0, v4, v0
	v_mad_u32 v2, v0, s14, v2
	v_mad_u32 v3, v0, s15, v3
.LBB189_244:
	global_load_u16 v0, v3, s[6:7]
	s_wait_loadcnt 0x0
	v_cmp_eq_f16_e32 vcc_lo, s1, v0
	v_cndmask_b32_e64 v1, 0, 1, vcc_lo
	v_cmp_neq_f16_e32 vcc_lo, s1, v0
	v_cndmask_b32_e64 v0, 0, 1, vcc_lo
	s_delay_alu instid0(VALU_DEP_1) | instskip(NEXT) | instid1(VALU_DEP_1)
	v_cndmask_b32_e64 v0, v0, v1, s0
	v_and_b32_e32 v0, 1, v0
	global_store_b8 v2, v0, s[4:5]
	s_wait_xcnt 0x0
	s_or_b32 exec_lo, exec_lo, s2
                                        ; implicit-def: $vgpr16
                                        ; implicit-def: $vgpr0
	s_and_not1_saveexec_b32 s0, s34
	s_cbranch_execz .LBB189_221
	s_branch .LBB189_8
	.section	.rodata,"a",@progbits
	.p2align	6, 0x0
	.amdhsa_kernel _ZN2at6native32elementwise_kernel_manual_unrollILi128ELi8EZNS0_22gpu_kernel_impl_nocastINS0_13AUnaryFunctorIN3c104HalfES5_bNS0_12_GLOBAL__N_116CompareEqFunctorIS5_EEEEEEvRNS_18TensorIteratorBaseERKT_EUlibE_EEviT1_
		.amdhsa_group_segment_fixed_size 0
		.amdhsa_private_segment_fixed_size 0
		.amdhsa_kernarg_size 360
		.amdhsa_user_sgpr_count 2
		.amdhsa_user_sgpr_dispatch_ptr 0
		.amdhsa_user_sgpr_queue_ptr 0
		.amdhsa_user_sgpr_kernarg_segment_ptr 1
		.amdhsa_user_sgpr_dispatch_id 0
		.amdhsa_user_sgpr_kernarg_preload_length 0
		.amdhsa_user_sgpr_kernarg_preload_offset 0
		.amdhsa_user_sgpr_private_segment_size 0
		.amdhsa_wavefront_size32 1
		.amdhsa_uses_dynamic_stack 0
		.amdhsa_enable_private_segment 0
		.amdhsa_system_sgpr_workgroup_id_x 1
		.amdhsa_system_sgpr_workgroup_id_y 0
		.amdhsa_system_sgpr_workgroup_id_z 0
		.amdhsa_system_sgpr_workgroup_info 0
		.amdhsa_system_vgpr_workitem_id 0
		.amdhsa_next_free_vgpr 24
		.amdhsa_next_free_sgpr 60
		.amdhsa_named_barrier_count 0
		.amdhsa_reserve_vcc 1
		.amdhsa_float_round_mode_32 0
		.amdhsa_float_round_mode_16_64 0
		.amdhsa_float_denorm_mode_32 3
		.amdhsa_float_denorm_mode_16_64 3
		.amdhsa_fp16_overflow 0
		.amdhsa_memory_ordered 1
		.amdhsa_forward_progress 1
		.amdhsa_inst_pref_size 102
		.amdhsa_round_robin_scheduling 0
		.amdhsa_exception_fp_ieee_invalid_op 0
		.amdhsa_exception_fp_denorm_src 0
		.amdhsa_exception_fp_ieee_div_zero 0
		.amdhsa_exception_fp_ieee_overflow 0
		.amdhsa_exception_fp_ieee_underflow 0
		.amdhsa_exception_fp_ieee_inexact 0
		.amdhsa_exception_int_div_zero 0
	.end_amdhsa_kernel
	.section	.text._ZN2at6native32elementwise_kernel_manual_unrollILi128ELi8EZNS0_22gpu_kernel_impl_nocastINS0_13AUnaryFunctorIN3c104HalfES5_bNS0_12_GLOBAL__N_116CompareEqFunctorIS5_EEEEEEvRNS_18TensorIteratorBaseERKT_EUlibE_EEviT1_,"axG",@progbits,_ZN2at6native32elementwise_kernel_manual_unrollILi128ELi8EZNS0_22gpu_kernel_impl_nocastINS0_13AUnaryFunctorIN3c104HalfES5_bNS0_12_GLOBAL__N_116CompareEqFunctorIS5_EEEEEEvRNS_18TensorIteratorBaseERKT_EUlibE_EEviT1_,comdat
.Lfunc_end189:
	.size	_ZN2at6native32elementwise_kernel_manual_unrollILi128ELi8EZNS0_22gpu_kernel_impl_nocastINS0_13AUnaryFunctorIN3c104HalfES5_bNS0_12_GLOBAL__N_116CompareEqFunctorIS5_EEEEEEvRNS_18TensorIteratorBaseERKT_EUlibE_EEviT1_, .Lfunc_end189-_ZN2at6native32elementwise_kernel_manual_unrollILi128ELi8EZNS0_22gpu_kernel_impl_nocastINS0_13AUnaryFunctorIN3c104HalfES5_bNS0_12_GLOBAL__N_116CompareEqFunctorIS5_EEEEEEvRNS_18TensorIteratorBaseERKT_EUlibE_EEviT1_
                                        ; -- End function
	.set _ZN2at6native32elementwise_kernel_manual_unrollILi128ELi8EZNS0_22gpu_kernel_impl_nocastINS0_13AUnaryFunctorIN3c104HalfES5_bNS0_12_GLOBAL__N_116CompareEqFunctorIS5_EEEEEEvRNS_18TensorIteratorBaseERKT_EUlibE_EEviT1_.num_vgpr, 24
	.set _ZN2at6native32elementwise_kernel_manual_unrollILi128ELi8EZNS0_22gpu_kernel_impl_nocastINS0_13AUnaryFunctorIN3c104HalfES5_bNS0_12_GLOBAL__N_116CompareEqFunctorIS5_EEEEEEvRNS_18TensorIteratorBaseERKT_EUlibE_EEviT1_.num_agpr, 0
	.set _ZN2at6native32elementwise_kernel_manual_unrollILi128ELi8EZNS0_22gpu_kernel_impl_nocastINS0_13AUnaryFunctorIN3c104HalfES5_bNS0_12_GLOBAL__N_116CompareEqFunctorIS5_EEEEEEvRNS_18TensorIteratorBaseERKT_EUlibE_EEviT1_.numbered_sgpr, 60
	.set _ZN2at6native32elementwise_kernel_manual_unrollILi128ELi8EZNS0_22gpu_kernel_impl_nocastINS0_13AUnaryFunctorIN3c104HalfES5_bNS0_12_GLOBAL__N_116CompareEqFunctorIS5_EEEEEEvRNS_18TensorIteratorBaseERKT_EUlibE_EEviT1_.num_named_barrier, 0
	.set _ZN2at6native32elementwise_kernel_manual_unrollILi128ELi8EZNS0_22gpu_kernel_impl_nocastINS0_13AUnaryFunctorIN3c104HalfES5_bNS0_12_GLOBAL__N_116CompareEqFunctorIS5_EEEEEEvRNS_18TensorIteratorBaseERKT_EUlibE_EEviT1_.private_seg_size, 0
	.set _ZN2at6native32elementwise_kernel_manual_unrollILi128ELi8EZNS0_22gpu_kernel_impl_nocastINS0_13AUnaryFunctorIN3c104HalfES5_bNS0_12_GLOBAL__N_116CompareEqFunctorIS5_EEEEEEvRNS_18TensorIteratorBaseERKT_EUlibE_EEviT1_.uses_vcc, 1
	.set _ZN2at6native32elementwise_kernel_manual_unrollILi128ELi8EZNS0_22gpu_kernel_impl_nocastINS0_13AUnaryFunctorIN3c104HalfES5_bNS0_12_GLOBAL__N_116CompareEqFunctorIS5_EEEEEEvRNS_18TensorIteratorBaseERKT_EUlibE_EEviT1_.uses_flat_scratch, 0
	.set _ZN2at6native32elementwise_kernel_manual_unrollILi128ELi8EZNS0_22gpu_kernel_impl_nocastINS0_13AUnaryFunctorIN3c104HalfES5_bNS0_12_GLOBAL__N_116CompareEqFunctorIS5_EEEEEEvRNS_18TensorIteratorBaseERKT_EUlibE_EEviT1_.has_dyn_sized_stack, 0
	.set _ZN2at6native32elementwise_kernel_manual_unrollILi128ELi8EZNS0_22gpu_kernel_impl_nocastINS0_13AUnaryFunctorIN3c104HalfES5_bNS0_12_GLOBAL__N_116CompareEqFunctorIS5_EEEEEEvRNS_18TensorIteratorBaseERKT_EUlibE_EEviT1_.has_recursion, 0
	.set _ZN2at6native32elementwise_kernel_manual_unrollILi128ELi8EZNS0_22gpu_kernel_impl_nocastINS0_13AUnaryFunctorIN3c104HalfES5_bNS0_12_GLOBAL__N_116CompareEqFunctorIS5_EEEEEEvRNS_18TensorIteratorBaseERKT_EUlibE_EEviT1_.has_indirect_call, 0
	.section	.AMDGPU.csdata,"",@progbits
; Kernel info:
; codeLenInByte = 12944
; TotalNumSgprs: 62
; NumVgprs: 24
; ScratchSize: 0
; MemoryBound: 0
; FloatMode: 240
; IeeeMode: 1
; LDSByteSize: 0 bytes/workgroup (compile time only)
; SGPRBlocks: 0
; VGPRBlocks: 1
; NumSGPRsForWavesPerEU: 62
; NumVGPRsForWavesPerEU: 24
; NamedBarCnt: 0
; Occupancy: 16
; WaveLimiterHint : 1
; COMPUTE_PGM_RSRC2:SCRATCH_EN: 0
; COMPUTE_PGM_RSRC2:USER_SGPR: 2
; COMPUTE_PGM_RSRC2:TRAP_HANDLER: 0
; COMPUTE_PGM_RSRC2:TGID_X_EN: 1
; COMPUTE_PGM_RSRC2:TGID_Y_EN: 0
; COMPUTE_PGM_RSRC2:TGID_Z_EN: 0
; COMPUTE_PGM_RSRC2:TIDIG_COMP_CNT: 0
	.section	.text._ZN2at6native32elementwise_kernel_manual_unrollILi128ELi4EZNS0_15gpu_kernel_implINS0_13AUnaryFunctorIN3c104HalfES5_bNS0_12_GLOBAL__N_116CompareEqFunctorIS5_EEEEEEvRNS_18TensorIteratorBaseERKT_EUlibE_EEviT1_,"axG",@progbits,_ZN2at6native32elementwise_kernel_manual_unrollILi128ELi4EZNS0_15gpu_kernel_implINS0_13AUnaryFunctorIN3c104HalfES5_bNS0_12_GLOBAL__N_116CompareEqFunctorIS5_EEEEEEvRNS_18TensorIteratorBaseERKT_EUlibE_EEviT1_,comdat
	.globl	_ZN2at6native32elementwise_kernel_manual_unrollILi128ELi4EZNS0_15gpu_kernel_implINS0_13AUnaryFunctorIN3c104HalfES5_bNS0_12_GLOBAL__N_116CompareEqFunctorIS5_EEEEEEvRNS_18TensorIteratorBaseERKT_EUlibE_EEviT1_ ; -- Begin function _ZN2at6native32elementwise_kernel_manual_unrollILi128ELi4EZNS0_15gpu_kernel_implINS0_13AUnaryFunctorIN3c104HalfES5_bNS0_12_GLOBAL__N_116CompareEqFunctorIS5_EEEEEEvRNS_18TensorIteratorBaseERKT_EUlibE_EEviT1_
	.p2align	8
	.type	_ZN2at6native32elementwise_kernel_manual_unrollILi128ELi4EZNS0_15gpu_kernel_implINS0_13AUnaryFunctorIN3c104HalfES5_bNS0_12_GLOBAL__N_116CompareEqFunctorIS5_EEEEEEvRNS_18TensorIteratorBaseERKT_EUlibE_EEviT1_,@function
_ZN2at6native32elementwise_kernel_manual_unrollILi128ELi4EZNS0_15gpu_kernel_implINS0_13AUnaryFunctorIN3c104HalfES5_bNS0_12_GLOBAL__N_116CompareEqFunctorIS5_EEEEEEvRNS_18TensorIteratorBaseERKT_EUlibE_EEviT1_: ; @_ZN2at6native32elementwise_kernel_manual_unrollILi128ELi4EZNS0_15gpu_kernel_implINS0_13AUnaryFunctorIN3c104HalfES5_bNS0_12_GLOBAL__N_116CompareEqFunctorIS5_EEEEEEvRNS_18TensorIteratorBaseERKT_EUlibE_EEviT1_
; %bb.0:
	s_load_b32 s3, s[0:1], 0x28
	s_bfe_u32 s4, ttmp6, 0x4000c
	s_load_b32 s16, s[0:1], 0x0
	s_add_co_i32 s13, s4, 1
	s_load_b256 s[4:11], s[0:1], 0x8
	s_and_b32 s2, ttmp6, 15
	s_wait_xcnt 0x0
	s_mul_i32 s0, ttmp9, s13
	s_getreg_b32 s12, hwreg(HW_REG_IB_STS2, 6, 4)
	s_add_co_i32 s2, s2, s0
	s_mov_b32 s15, 0
	s_wait_kmcnt 0x0
	s_bfe_u32 s13, s3, 0x80008
	s_cmp_eq_u32 s12, 0
	s_mov_b32 s12, 0
	s_cselect_b32 s0, ttmp9, s2
	s_delay_alu instid0(SALU_CYCLE_1) | instskip(SKIP_1) | instid1(VALU_DEP_1)
	v_lshl_or_b32 v4, s0, 9, v0
	s_mov_b32 s0, exec_lo
	v_or_b32_e32 v0, 0x180, v4
	s_delay_alu instid0(VALU_DEP_1)
	v_cmpx_le_i32_e64 s16, v0
	s_xor_b32 s14, exec_lo, s0
	s_cbranch_execz .LBB190_1031
; %bb.1:
	s_cmp_eq_u32 s10, 0
	s_mov_b32 s19, 0
	s_cselect_b32 s0, -1, 0
	s_mov_b32 s1, -1
	s_mov_b32 s17, 0
	s_mov_b32 s18, exec_lo
	v_cmpx_gt_i32_e64 s16, v4
	s_cbranch_execz .LBB190_252
; %bb.2:
	v_mul_lo_u32 v0, v4, s9
	s_and_b32 s1, 0xffff, s13
	s_delay_alu instid0(SALU_CYCLE_1) | instskip(NEXT) | instid1(VALU_DEP_1)
	s_cmp_lt_i32 s1, 11
	v_ashrrev_i32_e32 v1, 31, v0
	s_delay_alu instid0(VALU_DEP_1)
	v_add_nc_u64_e32 v[0:1], s[6:7], v[0:1]
	s_cbranch_scc1 .LBB190_9
; %bb.3:
	s_cmp_gt_i32 s1, 25
	s_cbranch_scc0 .LBB190_18
; %bb.4:
	s_cmp_gt_i32 s1, 28
	s_cbranch_scc0 .LBB190_21
	;; [unrolled: 3-line block ×4, first 2 shown]
; %bb.7:
	s_cmp_eq_u32 s1, 46
	s_cbranch_scc0 .LBB190_27
; %bb.8:
	global_load_b32 v2, v[0:1], off
	s_mov_b32 s2, -1
	s_wait_loadcnt 0x0
	v_lshlrev_b32_e32 v2, 16, v2
	s_delay_alu instid0(VALU_DEP_1)
	v_cvt_f16_f32_e32 v2, v2
	s_branch .LBB190_29
.LBB190_9:
	s_mov_b32 s2, 0
                                        ; implicit-def: $vgpr2
	s_cbranch_execnz .LBB190_202
.LBB190_10:
	s_and_not1_b32 vcc_lo, exec_lo, s2
	s_cbranch_vccnz .LBB190_249
.LBB190_11:
	s_wait_loadcnt 0x0
	s_delay_alu instid0(VALU_DEP_1) | instskip(SKIP_2) | instid1(SALU_CYCLE_1)
	v_cmp_eq_f16_e32 vcc_lo, s11, v2
	v_mul_lo_u32 v0, v4, s8
	s_and_b32 s15, s3, 0xff
	s_cmp_lt_i32 s15, 11
	v_cndmask_b32_e64 v1, 0, 1, vcc_lo
	v_cmp_neq_f16_e32 vcc_lo, s11, v2
	v_cndmask_b32_e64 v2, 0, 1, vcc_lo
	s_delay_alu instid0(VALU_DEP_1) | instskip(NEXT) | instid1(VALU_DEP_1)
	v_dual_cndmask_b32 v2, v2, v1, s0 :: v_dual_ashrrev_i32 v1, 31, v0
	v_and_b32_e32 v2, 1, v2
	s_delay_alu instid0(VALU_DEP_2) | instskip(NEXT) | instid1(VALU_DEP_2)
	v_add_nc_u64_e32 v[0:1], s[4:5], v[0:1]
	v_cmp_eq_u32_e64 s1, 1, v2
	s_cbranch_scc1 .LBB190_19
; %bb.12:
	s_and_b32 s20, 0xffff, s15
	s_delay_alu instid0(SALU_CYCLE_1)
	s_cmp_gt_i32 s20, 25
	s_cbranch_scc0 .LBB190_22
; %bb.13:
	s_cmp_gt_i32 s20, 28
	s_cbranch_scc0 .LBB190_24
; %bb.14:
	;; [unrolled: 3-line block ×4, first 2 shown]
	s_mov_b32 s22, 0
	s_mov_b32 s2, -1
	s_cmp_eq_u32 s20, 46
	s_mov_b32 s21, 0
	s_cbranch_scc0 .LBB190_33
; %bb.17:
	v_cndmask_b32_e64 v2, 0, 1.0, s1
	s_mov_b32 s21, -1
	s_mov_b32 s2, 0
	s_delay_alu instid0(VALU_DEP_1) | instskip(NEXT) | instid1(VALU_DEP_1)
	v_bfe_u32 v3, v2, 16, 1
	v_add3_u32 v2, v2, v3, 0x7fff
	s_delay_alu instid0(VALU_DEP_1)
	v_lshrrev_b32_e32 v2, 16, v2
	global_store_b32 v[0:1], v2, off
	s_branch .LBB190_33
.LBB190_18:
	s_mov_b32 s2, 0
                                        ; implicit-def: $vgpr2
	s_cbranch_execnz .LBB190_167
	s_branch .LBB190_201
.LBB190_19:
	s_mov_b32 s2, 0
	s_mov_b32 s21, 0
	s_cbranch_execnz .LBB190_102
.LBB190_20:
	s_and_not1_b32 vcc_lo, exec_lo, s21
	s_cbranch_vccnz .LBB190_250
	s_branch .LBB190_140
.LBB190_21:
	s_mov_b32 s15, -1
	s_mov_b32 s2, 0
                                        ; implicit-def: $vgpr2
	s_branch .LBB190_148
.LBB190_22:
	s_mov_b32 s22, -1
	s_mov_b32 s2, 0
	s_mov_b32 s21, 0
	s_branch .LBB190_60
.LBB190_23:
	s_mov_b32 s15, -1
	s_mov_b32 s2, 0
                                        ; implicit-def: $vgpr2
	s_branch .LBB190_143
.LBB190_24:
	s_mov_b32 s22, -1
	s_mov_b32 s2, 0
	s_mov_b32 s21, 0
	s_branch .LBB190_43
.LBB190_25:
	s_mov_b32 s15, -1
	s_branch .LBB190_28
.LBB190_26:
	s_mov_b32 s22, -1
	s_mov_b32 s2, 0
	s_mov_b32 s21, 0
	s_branch .LBB190_39
.LBB190_27:
	s_mov_b32 s17, -1
.LBB190_28:
	s_mov_b32 s2, 0
                                        ; implicit-def: $vgpr2
.LBB190_29:
	s_and_b32 vcc_lo, exec_lo, s15
	s_cbranch_vccz .LBB190_142
; %bb.30:
	s_cmp_eq_u32 s1, 44
	s_cbranch_scc0 .LBB190_141
; %bb.31:
	global_load_u8 v2, v[0:1], off
	s_mov_b32 s17, 0
	s_mov_b32 s2, -1
	s_wait_loadcnt 0x0
	v_lshlrev_b32_e32 v3, 23, v2
	v_cmp_ne_u32_e32 vcc_lo, 0xff, v2
	s_delay_alu instid0(VALU_DEP_2) | instskip(NEXT) | instid1(VALU_DEP_1)
	v_cvt_f16_f32_e32 v3, v3
	v_cndmask_b32_e32 v3, 0x7e00, v3, vcc_lo
	v_cmp_ne_u32_e32 vcc_lo, 0, v2
	s_delay_alu instid0(VALU_DEP_2)
	v_cndmask_b32_e32 v2, 0, v3, vcc_lo
	s_branch .LBB190_142
.LBB190_32:
	s_mov_b32 s22, -1
	s_mov_b32 s2, 0
	s_mov_b32 s21, 0
.LBB190_33:
	s_and_b32 vcc_lo, exec_lo, s22
	s_cbranch_vccz .LBB190_38
; %bb.34:
	s_cmp_eq_u32 s20, 44
	s_mov_b32 s2, -1
	s_cbranch_scc0 .LBB190_38
; %bb.35:
	v_cndmask_b32_e64 v5, 0, 1.0, s1
	s_mov_b32 s21, exec_lo
	s_wait_xcnt 0x0
	s_delay_alu instid0(VALU_DEP_1) | instskip(NEXT) | instid1(VALU_DEP_1)
	v_dual_mov_b32 v3, 0xff :: v_dual_lshrrev_b32 v2, 23, v5
	v_cmpx_ne_u32_e32 0xff, v2
; %bb.36:
	v_and_b32_e32 v3, 0x400000, v5
	v_and_or_b32 v5, 0x3fffff, v5, v2
	s_delay_alu instid0(VALU_DEP_2) | instskip(NEXT) | instid1(VALU_DEP_2)
	v_cmp_ne_u32_e32 vcc_lo, 0, v3
	v_cmp_ne_u32_e64 s2, 0, v5
	s_and_b32 s2, vcc_lo, s2
	s_delay_alu instid0(SALU_CYCLE_1) | instskip(NEXT) | instid1(VALU_DEP_1)
	v_cndmask_b32_e64 v3, 0, 1, s2
	v_add_nc_u32_e32 v3, v2, v3
; %bb.37:
	s_or_b32 exec_lo, exec_lo, s21
	s_mov_b32 s21, -1
	s_mov_b32 s2, 0
	global_store_b8 v[0:1], v3, off
.LBB190_38:
	s_mov_b32 s22, 0
.LBB190_39:
	s_delay_alu instid0(SALU_CYCLE_1)
	s_and_b32 vcc_lo, exec_lo, s22
	s_cbranch_vccz .LBB190_42
; %bb.40:
	s_cmp_eq_u32 s20, 29
	s_mov_b32 s2, -1
	s_cbranch_scc0 .LBB190_42
; %bb.41:
	s_mov_b32 s2, 0
	s_wait_xcnt 0x0
	v_cndmask_b32_e64 v2, 0, 1, s1
	v_mov_b32_e32 v3, s2
	s_mov_b32 s21, -1
	s_mov_b32 s22, 0
	global_store_b64 v[0:1], v[2:3], off
	s_branch .LBB190_43
.LBB190_42:
	s_mov_b32 s22, 0
.LBB190_43:
	s_delay_alu instid0(SALU_CYCLE_1)
	s_and_b32 vcc_lo, exec_lo, s22
	s_cbranch_vccz .LBB190_59
; %bb.44:
	s_cmp_lt_i32 s20, 27
	s_mov_b32 s21, -1
	s_cbranch_scc1 .LBB190_50
; %bb.45:
	s_cmp_gt_i32 s20, 27
	s_cbranch_scc0 .LBB190_47
; %bb.46:
	s_wait_xcnt 0x0
	v_cndmask_b32_e64 v2, 0, 1, s1
	s_mov_b32 s21, 0
	global_store_b32 v[0:1], v2, off
.LBB190_47:
	s_and_not1_b32 vcc_lo, exec_lo, s21
	s_cbranch_vccnz .LBB190_49
; %bb.48:
	s_wait_xcnt 0x0
	v_cndmask_b32_e64 v2, 0, 1, s1
	global_store_b16 v[0:1], v2, off
.LBB190_49:
	s_mov_b32 s21, 0
.LBB190_50:
	s_delay_alu instid0(SALU_CYCLE_1)
	s_and_not1_b32 vcc_lo, exec_lo, s21
	s_cbranch_vccnz .LBB190_58
; %bb.51:
	s_wait_xcnt 0x0
	v_cndmask_b32_e64 v3, 0, 1.0, s1
	v_mov_b32_e32 v5, 0x80
	s_mov_b32 s21, exec_lo
	s_delay_alu instid0(VALU_DEP_2)
	v_cmpx_gt_u32_e32 0x43800000, v3
	s_cbranch_execz .LBB190_57
; %bb.52:
	s_mov_b32 s22, 0
	s_mov_b32 s23, exec_lo
                                        ; implicit-def: $vgpr2
	v_cmpx_lt_u32_e32 0x3bffffff, v3
	s_xor_b32 s23, exec_lo, s23
	s_cbranch_execz .LBB190_279
; %bb.53:
	v_bfe_u32 v2, v3, 20, 1
	s_mov_b32 s22, exec_lo
	s_delay_alu instid0(VALU_DEP_1) | instskip(NEXT) | instid1(VALU_DEP_1)
	v_add3_u32 v2, v3, v2, 0x487ffff
                                        ; implicit-def: $vgpr3
	v_lshrrev_b32_e32 v2, 20, v2
	s_and_not1_saveexec_b32 s23, s23
	s_cbranch_execnz .LBB190_280
.LBB190_54:
	s_or_b32 exec_lo, exec_lo, s23
	v_mov_b32_e32 v5, 0
	s_and_saveexec_b32 s23, s22
.LBB190_55:
	v_mov_b32_e32 v5, v2
.LBB190_56:
	s_or_b32 exec_lo, exec_lo, s23
.LBB190_57:
	s_delay_alu instid0(SALU_CYCLE_1)
	s_or_b32 exec_lo, exec_lo, s21
	global_store_b8 v[0:1], v5, off
.LBB190_58:
	s_mov_b32 s21, -1
.LBB190_59:
	s_mov_b32 s22, 0
.LBB190_60:
	s_delay_alu instid0(SALU_CYCLE_1)
	s_and_b32 vcc_lo, exec_lo, s22
	s_cbranch_vccz .LBB190_101
; %bb.61:
	s_cmp_gt_i32 s20, 22
	s_mov_b32 s22, -1
	s_cbranch_scc0 .LBB190_93
; %bb.62:
	s_cmp_lt_i32 s20, 24
	s_mov_b32 s21, -1
	s_cbranch_scc1 .LBB190_82
; %bb.63:
	s_cmp_gt_i32 s20, 24
	s_cbranch_scc0 .LBB190_71
; %bb.64:
	s_wait_xcnt 0x0
	v_cndmask_b32_e64 v3, 0, 1.0, s1
	v_mov_b32_e32 v5, 0x80
	s_mov_b32 s21, exec_lo
	s_delay_alu instid0(VALU_DEP_2)
	v_cmpx_gt_u32_e32 0x47800000, v3
	s_cbranch_execz .LBB190_70
; %bb.65:
	s_mov_b32 s22, 0
	s_mov_b32 s23, exec_lo
                                        ; implicit-def: $vgpr2
	v_cmpx_lt_u32_e32 0x37ffffff, v3
	s_xor_b32 s23, exec_lo, s23
	s_cbranch_execz .LBB190_283
; %bb.66:
	v_bfe_u32 v2, v3, 21, 1
	s_mov_b32 s22, exec_lo
	s_delay_alu instid0(VALU_DEP_1) | instskip(NEXT) | instid1(VALU_DEP_1)
	v_add3_u32 v2, v3, v2, 0x88fffff
                                        ; implicit-def: $vgpr3
	v_lshrrev_b32_e32 v2, 21, v2
	s_and_not1_saveexec_b32 s23, s23
	s_cbranch_execnz .LBB190_284
.LBB190_67:
	s_or_b32 exec_lo, exec_lo, s23
	v_mov_b32_e32 v5, 0
	s_and_saveexec_b32 s23, s22
.LBB190_68:
	v_mov_b32_e32 v5, v2
.LBB190_69:
	s_or_b32 exec_lo, exec_lo, s23
.LBB190_70:
	s_delay_alu instid0(SALU_CYCLE_1)
	s_or_b32 exec_lo, exec_lo, s21
	s_mov_b32 s21, 0
	global_store_b8 v[0:1], v5, off
.LBB190_71:
	s_and_b32 vcc_lo, exec_lo, s21
	s_cbranch_vccz .LBB190_81
; %bb.72:
	s_wait_xcnt 0x0
	v_cndmask_b32_e64 v3, 0, 1.0, s1
	s_mov_b32 s21, exec_lo
                                        ; implicit-def: $vgpr2
	s_delay_alu instid0(VALU_DEP_1)
	v_cmpx_gt_u32_e32 0x43f00000, v3
	s_xor_b32 s21, exec_lo, s21
	s_cbranch_execz .LBB190_78
; %bb.73:
	s_mov_b32 s22, exec_lo
                                        ; implicit-def: $vgpr2
	v_cmpx_lt_u32_e32 0x3c7fffff, v3
	s_xor_b32 s22, exec_lo, s22
; %bb.74:
	v_bfe_u32 v2, v3, 20, 1
	s_delay_alu instid0(VALU_DEP_1) | instskip(NEXT) | instid1(VALU_DEP_1)
	v_add3_u32 v2, v3, v2, 0x407ffff
	v_and_b32_e32 v3, 0xff00000, v2
	v_lshrrev_b32_e32 v2, 20, v2
	s_delay_alu instid0(VALU_DEP_2) | instskip(NEXT) | instid1(VALU_DEP_2)
	v_cmp_ne_u32_e32 vcc_lo, 0x7f00000, v3
                                        ; implicit-def: $vgpr3
	v_cndmask_b32_e32 v2, 0x7e, v2, vcc_lo
; %bb.75:
	s_and_not1_saveexec_b32 s22, s22
; %bb.76:
	v_add_f32_e32 v2, 0x46800000, v3
; %bb.77:
	s_or_b32 exec_lo, exec_lo, s22
                                        ; implicit-def: $vgpr3
.LBB190_78:
	s_and_not1_saveexec_b32 s21, s21
; %bb.79:
	v_mov_b32_e32 v2, 0x7f
	v_cmp_lt_u32_e32 vcc_lo, 0x7f800000, v3
	s_delay_alu instid0(VALU_DEP_2)
	v_cndmask_b32_e32 v2, 0x7e, v2, vcc_lo
; %bb.80:
	s_or_b32 exec_lo, exec_lo, s21
	global_store_b8 v[0:1], v2, off
.LBB190_81:
	s_mov_b32 s21, 0
.LBB190_82:
	s_delay_alu instid0(SALU_CYCLE_1)
	s_and_not1_b32 vcc_lo, exec_lo, s21
	s_cbranch_vccnz .LBB190_92
; %bb.83:
	s_wait_xcnt 0x0
	v_cndmask_b32_e64 v3, 0, 1.0, s1
	s_mov_b32 s21, exec_lo
                                        ; implicit-def: $vgpr2
	s_delay_alu instid0(VALU_DEP_1)
	v_cmpx_gt_u32_e32 0x47800000, v3
	s_xor_b32 s21, exec_lo, s21
	s_cbranch_execz .LBB190_89
; %bb.84:
	s_mov_b32 s22, exec_lo
                                        ; implicit-def: $vgpr2
	v_cmpx_lt_u32_e32 0x387fffff, v3
	s_xor_b32 s22, exec_lo, s22
; %bb.85:
	v_bfe_u32 v2, v3, 21, 1
	s_delay_alu instid0(VALU_DEP_1) | instskip(NEXT) | instid1(VALU_DEP_1)
	v_add3_u32 v2, v3, v2, 0x80fffff
                                        ; implicit-def: $vgpr3
	v_lshrrev_b32_e32 v2, 21, v2
; %bb.86:
	s_and_not1_saveexec_b32 s22, s22
; %bb.87:
	v_add_f32_e32 v2, 0x43000000, v3
; %bb.88:
	s_or_b32 exec_lo, exec_lo, s22
                                        ; implicit-def: $vgpr3
.LBB190_89:
	s_and_not1_saveexec_b32 s21, s21
; %bb.90:
	v_mov_b32_e32 v2, 0x7f
	v_cmp_lt_u32_e32 vcc_lo, 0x7f800000, v3
	s_delay_alu instid0(VALU_DEP_2)
	v_cndmask_b32_e32 v2, 0x7c, v2, vcc_lo
; %bb.91:
	s_or_b32 exec_lo, exec_lo, s21
	global_store_b8 v[0:1], v2, off
.LBB190_92:
	s_mov_b32 s22, 0
	s_mov_b32 s21, -1
.LBB190_93:
	s_and_not1_b32 vcc_lo, exec_lo, s22
	s_cbranch_vccnz .LBB190_101
; %bb.94:
	s_cmp_gt_i32 s20, 14
	s_mov_b32 s22, -1
	s_cbranch_scc0 .LBB190_98
; %bb.95:
	s_cmp_eq_u32 s20, 15
	s_mov_b32 s2, -1
	s_cbranch_scc0 .LBB190_97
; %bb.96:
	s_wait_xcnt 0x0
	v_cndmask_b32_e64 v2, 0, 1.0, s1
	s_mov_b32 s21, -1
	s_mov_b32 s2, 0
	s_delay_alu instid0(VALU_DEP_1) | instskip(NEXT) | instid1(VALU_DEP_1)
	v_bfe_u32 v3, v2, 16, 1
	v_add3_u32 v2, v2, v3, 0x7fff
	global_store_d16_hi_b16 v[0:1], v2, off
.LBB190_97:
	s_mov_b32 s22, 0
.LBB190_98:
	s_delay_alu instid0(SALU_CYCLE_1)
	s_and_b32 vcc_lo, exec_lo, s22
	s_cbranch_vccz .LBB190_101
; %bb.99:
	s_cmp_eq_u32 s20, 11
	s_mov_b32 s2, -1
	s_cbranch_scc0 .LBB190_101
; %bb.100:
	s_wait_xcnt 0x0
	v_cndmask_b32_e64 v2, 0, 1, s1
	s_mov_b32 s21, -1
	s_mov_b32 s2, 0
	global_store_b8 v[0:1], v2, off
.LBB190_101:
	s_branch .LBB190_20
.LBB190_102:
	s_and_b32 s15, 0xffff, s15
	s_mov_b32 s20, -1
	s_cmp_lt_i32 s15, 5
	s_cbranch_scc1 .LBB190_123
; %bb.103:
	s_cmp_lt_i32 s15, 8
	s_cbranch_scc1 .LBB190_113
; %bb.104:
	;; [unrolled: 3-line block ×3, first 2 shown]
	s_cmp_gt_i32 s15, 9
	s_cbranch_scc0 .LBB190_107
; %bb.106:
	s_wait_xcnt 0x0
	v_cndmask_b32_e64 v2, 0, 1, s1
	v_mov_b32_e32 v8, 0
	s_mov_b32 s20, 0
	s_delay_alu instid0(VALU_DEP_2) | instskip(NEXT) | instid1(VALU_DEP_2)
	v_cvt_f64_u32_e32 v[6:7], v2
	v_mov_b32_e32 v9, v8
	global_store_b128 v[0:1], v[6:9], off
.LBB190_107:
	s_and_not1_b32 vcc_lo, exec_lo, s20
	s_cbranch_vccnz .LBB190_109
; %bb.108:
	s_wait_xcnt 0x0
	v_cndmask_b32_e64 v2, 0, 1.0, s1
	v_mov_b32_e32 v3, 0
	global_store_b64 v[0:1], v[2:3], off
.LBB190_109:
	s_mov_b32 s20, 0
.LBB190_110:
	s_delay_alu instid0(SALU_CYCLE_1)
	s_and_not1_b32 vcc_lo, exec_lo, s20
	s_cbranch_vccnz .LBB190_112
; %bb.111:
	s_wait_xcnt 0x0
	v_cndmask_b32_e64 v2, 0, 1.0, s1
	s_delay_alu instid0(VALU_DEP_1) | instskip(NEXT) | instid1(VALU_DEP_1)
	v_cvt_f16_f32_e32 v2, v2
	v_and_b32_e32 v2, 0xffff, v2
	global_store_b32 v[0:1], v2, off
.LBB190_112:
	s_mov_b32 s20, 0
.LBB190_113:
	s_delay_alu instid0(SALU_CYCLE_1)
	s_and_not1_b32 vcc_lo, exec_lo, s20
	s_cbranch_vccnz .LBB190_122
; %bb.114:
	s_cmp_lt_i32 s15, 6
	s_mov_b32 s20, -1
	s_cbranch_scc1 .LBB190_120
; %bb.115:
	s_cmp_gt_i32 s15, 6
	s_cbranch_scc0 .LBB190_117
; %bb.116:
	s_wait_xcnt 0x0
	v_cndmask_b32_e64 v2, 0, 1, s1
	s_mov_b32 s20, 0
	s_delay_alu instid0(VALU_DEP_1)
	v_cvt_f64_u32_e32 v[2:3], v2
	global_store_b64 v[0:1], v[2:3], off
.LBB190_117:
	s_and_not1_b32 vcc_lo, exec_lo, s20
	s_cbranch_vccnz .LBB190_119
; %bb.118:
	s_wait_xcnt 0x0
	v_cndmask_b32_e64 v2, 0, 1.0, s1
	global_store_b32 v[0:1], v2, off
.LBB190_119:
	s_mov_b32 s20, 0
.LBB190_120:
	s_delay_alu instid0(SALU_CYCLE_1)
	s_and_not1_b32 vcc_lo, exec_lo, s20
	s_cbranch_vccnz .LBB190_122
; %bb.121:
	s_wait_xcnt 0x0
	v_cndmask_b32_e64 v2, 0, 1.0, s1
	s_delay_alu instid0(VALU_DEP_1)
	v_cvt_f16_f32_e32 v2, v2
	global_store_b16 v[0:1], v2, off
.LBB190_122:
	s_mov_b32 s20, 0
.LBB190_123:
	s_delay_alu instid0(SALU_CYCLE_1)
	s_and_not1_b32 vcc_lo, exec_lo, s20
	s_cbranch_vccnz .LBB190_139
; %bb.124:
	s_cmp_lt_i32 s15, 2
	s_mov_b32 s20, -1
	s_cbranch_scc1 .LBB190_134
; %bb.125:
	s_cmp_lt_i32 s15, 3
	s_cbranch_scc1 .LBB190_131
; %bb.126:
	s_cmp_gt_i32 s15, 3
	s_cbranch_scc0 .LBB190_128
; %bb.127:
	s_mov_b32 s20, 0
	s_wait_xcnt 0x0
	v_cndmask_b32_e64 v2, 0, 1, s1
	v_mov_b32_e32 v3, s20
	global_store_b64 v[0:1], v[2:3], off
.LBB190_128:
	s_and_not1_b32 vcc_lo, exec_lo, s20
	s_cbranch_vccnz .LBB190_130
; %bb.129:
	s_wait_xcnt 0x0
	v_cndmask_b32_e64 v2, 0, 1, s1
	global_store_b32 v[0:1], v2, off
.LBB190_130:
	s_mov_b32 s20, 0
.LBB190_131:
	s_delay_alu instid0(SALU_CYCLE_1)
	s_and_not1_b32 vcc_lo, exec_lo, s20
	s_cbranch_vccnz .LBB190_133
; %bb.132:
	s_wait_xcnt 0x0
	v_cndmask_b32_e64 v2, 0, 1, s1
	global_store_b16 v[0:1], v2, off
.LBB190_133:
	s_mov_b32 s20, 0
.LBB190_134:
	s_delay_alu instid0(SALU_CYCLE_1)
	s_and_not1_b32 vcc_lo, exec_lo, s20
	s_cbranch_vccnz .LBB190_139
; %bb.135:
	s_wait_xcnt 0x0
	v_cndmask_b32_e64 v2, 0, 1, s1
	s_cmp_gt_i32 s15, 0
	s_mov_b32 s1, -1
	s_cbranch_scc0 .LBB190_137
; %bb.136:
	s_mov_b32 s1, 0
	global_store_b8 v[0:1], v2, off
.LBB190_137:
	s_and_not1_b32 vcc_lo, exec_lo, s1
	s_cbranch_vccnz .LBB190_139
; %bb.138:
	global_store_b8 v[0:1], v2, off
.LBB190_139:
.LBB190_140:
	v_add_nc_u32_e32 v4, 0x80, v4
	s_mov_b32 s1, -1
	s_branch .LBB190_251
.LBB190_141:
	s_mov_b32 s17, -1
                                        ; implicit-def: $vgpr2
.LBB190_142:
	s_mov_b32 s15, 0
.LBB190_143:
	s_delay_alu instid0(SALU_CYCLE_1)
	s_and_b32 vcc_lo, exec_lo, s15
	s_cbranch_vccz .LBB190_147
; %bb.144:
	s_cmp_eq_u32 s1, 29
	s_cbranch_scc0 .LBB190_146
; %bb.145:
	global_load_b64 v[2:3], v[0:1], off
	s_mov_b32 s2, -1
	s_mov_b32 s17, 0
	s_mov_b32 s15, 0
	s_wait_loadcnt 0x0
	v_clz_i32_u32_e32 v5, v3
	s_delay_alu instid0(VALU_DEP_1) | instskip(NEXT) | instid1(VALU_DEP_1)
	v_min_u32_e32 v5, 32, v5
	v_lshlrev_b64_e32 v[2:3], v5, v[2:3]
	s_delay_alu instid0(VALU_DEP_1) | instskip(NEXT) | instid1(VALU_DEP_1)
	v_min_u32_e32 v2, 1, v2
	v_dual_sub_nc_u32 v3, 32, v5 :: v_dual_bitop2_b32 v2, v3, v2 bitop3:0x54
	s_delay_alu instid0(VALU_DEP_1) | instskip(NEXT) | instid1(VALU_DEP_1)
	v_cvt_f32_u32_e32 v2, v2
	v_ldexp_f32 v2, v2, v3
	s_delay_alu instid0(VALU_DEP_1)
	v_cvt_f16_f32_e32 v2, v2
	s_branch .LBB190_148
.LBB190_146:
	s_mov_b32 s17, -1
                                        ; implicit-def: $vgpr2
.LBB190_147:
	s_mov_b32 s15, 0
.LBB190_148:
	s_delay_alu instid0(SALU_CYCLE_1)
	s_and_b32 vcc_lo, exec_lo, s15
	s_cbranch_vccz .LBB190_166
; %bb.149:
	s_cmp_lt_i32 s1, 27
	s_cbranch_scc1 .LBB190_152
; %bb.150:
	s_cmp_gt_i32 s1, 27
	s_cbranch_scc0 .LBB190_153
; %bb.151:
	global_load_b32 v2, v[0:1], off
	s_mov_b32 s2, 0
	s_wait_loadcnt 0x0
	v_cvt_f32_u32_e32 v2, v2
	s_delay_alu instid0(VALU_DEP_1)
	v_cvt_f16_f32_e32 v2, v2
	s_branch .LBB190_154
.LBB190_152:
	s_mov_b32 s2, -1
                                        ; implicit-def: $vgpr2
	s_branch .LBB190_157
.LBB190_153:
	s_mov_b32 s2, -1
                                        ; implicit-def: $vgpr2
.LBB190_154:
	s_delay_alu instid0(SALU_CYCLE_1)
	s_and_not1_b32 vcc_lo, exec_lo, s2
	s_cbranch_vccnz .LBB190_156
; %bb.155:
	global_load_u16 v2, v[0:1], off
	s_wait_loadcnt 0x0
	v_cvt_f16_u16_e32 v2, v2
.LBB190_156:
	s_mov_b32 s2, 0
.LBB190_157:
	s_delay_alu instid0(SALU_CYCLE_1)
	s_and_not1_b32 vcc_lo, exec_lo, s2
	s_cbranch_vccnz .LBB190_165
; %bb.158:
	global_load_u8 v3, v[0:1], off
	s_mov_b32 s2, 0
	s_mov_b32 s15, exec_lo
	s_wait_loadcnt 0x0
	v_cmpx_lt_i16_e32 0x7f, v3
	s_xor_b32 s15, exec_lo, s15
	s_cbranch_execz .LBB190_178
; %bb.159:
	s_mov_b32 s2, -1
	s_mov_b32 s20, exec_lo
	v_cmpx_eq_u16_e32 0x80, v3
; %bb.160:
	s_xor_b32 s2, exec_lo, -1
; %bb.161:
	s_or_b32 exec_lo, exec_lo, s20
	s_delay_alu instid0(SALU_CYCLE_1)
	s_and_b32 s2, s2, exec_lo
	s_or_saveexec_b32 s15, s15
	v_mov_b32_e32 v2, 0x7e00
	s_xor_b32 exec_lo, exec_lo, s15
	s_cbranch_execnz .LBB190_179
.LBB190_162:
	s_or_b32 exec_lo, exec_lo, s15
	s_and_saveexec_b32 s15, s2
	s_cbranch_execz .LBB190_164
.LBB190_163:
	v_and_b32_e32 v2, 0xffff, v3
	s_delay_alu instid0(VALU_DEP_1) | instskip(SKIP_1) | instid1(VALU_DEP_2)
	v_dual_lshlrev_b32 v3, 24, v3 :: v_dual_bitop2_b32 v5, 7, v2 bitop3:0x40
	v_bfe_u32 v8, v2, 3, 4
	v_and_b32_e32 v3, 0x80000000, v3
	s_delay_alu instid0(VALU_DEP_3) | instskip(NEXT) | instid1(VALU_DEP_3)
	v_clz_i32_u32_e32 v6, v5
	v_cmp_eq_u32_e32 vcc_lo, 0, v8
	s_delay_alu instid0(VALU_DEP_2) | instskip(NEXT) | instid1(VALU_DEP_1)
	v_min_u32_e32 v6, 32, v6
	v_subrev_nc_u32_e32 v7, 28, v6
	v_sub_nc_u32_e32 v6, 29, v6
	s_delay_alu instid0(VALU_DEP_2) | instskip(NEXT) | instid1(VALU_DEP_2)
	v_lshlrev_b32_e32 v2, v7, v2
	v_cndmask_b32_e32 v6, v8, v6, vcc_lo
	s_delay_alu instid0(VALU_DEP_2) | instskip(NEXT) | instid1(VALU_DEP_1)
	v_and_b32_e32 v2, 7, v2
	v_cndmask_b32_e32 v2, v5, v2, vcc_lo
	s_delay_alu instid0(VALU_DEP_3) | instskip(NEXT) | instid1(VALU_DEP_2)
	v_lshl_add_u32 v5, v6, 23, 0x3b800000
	v_lshlrev_b32_e32 v2, 20, v2
	s_delay_alu instid0(VALU_DEP_1) | instskip(NEXT) | instid1(VALU_DEP_1)
	v_or3_b32 v2, v3, v5, v2
	v_cvt_f16_f32_e32 v2, v2
.LBB190_164:
	s_or_b32 exec_lo, exec_lo, s15
.LBB190_165:
	s_mov_b32 s2, -1
.LBB190_166:
	s_branch .LBB190_201
.LBB190_167:
	s_cmp_gt_i32 s1, 22
	s_cbranch_scc0 .LBB190_177
; %bb.168:
	s_cmp_lt_i32 s1, 24
	s_cbranch_scc1 .LBB190_180
; %bb.169:
	s_cmp_gt_i32 s1, 24
	s_cbranch_scc0 .LBB190_181
; %bb.170:
	global_load_u8 v3, v[0:1], off
	s_mov_b32 s2, 0
	s_mov_b32 s15, exec_lo
	s_wait_loadcnt 0x0
	v_cmpx_lt_i16_e32 0x7f, v3
	s_xor_b32 s15, exec_lo, s15
	s_cbranch_execz .LBB190_193
; %bb.171:
	s_mov_b32 s2, -1
	s_mov_b32 s20, exec_lo
	v_cmpx_eq_u16_e32 0x80, v3
; %bb.172:
	s_xor_b32 s2, exec_lo, -1
; %bb.173:
	s_or_b32 exec_lo, exec_lo, s20
	s_delay_alu instid0(SALU_CYCLE_1)
	s_and_b32 s2, s2, exec_lo
	s_or_saveexec_b32 s15, s15
	v_mov_b32_e32 v2, 0x7e00
	s_xor_b32 exec_lo, exec_lo, s15
	s_cbranch_execnz .LBB190_194
.LBB190_174:
	s_or_b32 exec_lo, exec_lo, s15
	s_and_saveexec_b32 s15, s2
	s_cbranch_execz .LBB190_176
.LBB190_175:
	v_and_b32_e32 v2, 0xffff, v3
	s_delay_alu instid0(VALU_DEP_1) | instskip(SKIP_1) | instid1(VALU_DEP_2)
	v_dual_lshlrev_b32 v3, 24, v3 :: v_dual_bitop2_b32 v5, 3, v2 bitop3:0x40
	v_bfe_u32 v8, v2, 2, 5
	v_and_b32_e32 v3, 0x80000000, v3
	s_delay_alu instid0(VALU_DEP_3) | instskip(NEXT) | instid1(VALU_DEP_3)
	v_clz_i32_u32_e32 v6, v5
	v_cmp_eq_u32_e32 vcc_lo, 0, v8
	s_delay_alu instid0(VALU_DEP_2) | instskip(NEXT) | instid1(VALU_DEP_1)
	v_min_u32_e32 v6, 32, v6
	v_subrev_nc_u32_e32 v7, 29, v6
	v_sub_nc_u32_e32 v6, 30, v6
	s_delay_alu instid0(VALU_DEP_2) | instskip(NEXT) | instid1(VALU_DEP_2)
	v_lshlrev_b32_e32 v2, v7, v2
	v_cndmask_b32_e32 v6, v8, v6, vcc_lo
	s_delay_alu instid0(VALU_DEP_2) | instskip(NEXT) | instid1(VALU_DEP_1)
	v_and_b32_e32 v2, 3, v2
	v_cndmask_b32_e32 v2, v5, v2, vcc_lo
	s_delay_alu instid0(VALU_DEP_3) | instskip(NEXT) | instid1(VALU_DEP_2)
	v_lshl_add_u32 v5, v6, 23, 0x37800000
	v_lshlrev_b32_e32 v2, 21, v2
	s_delay_alu instid0(VALU_DEP_1) | instskip(NEXT) | instid1(VALU_DEP_1)
	v_or3_b32 v2, v3, v5, v2
	v_cvt_f16_f32_e32 v2, v2
.LBB190_176:
	s_or_b32 exec_lo, exec_lo, s15
	s_mov_b32 s2, 0
	s_branch .LBB190_182
.LBB190_177:
	s_mov_b32 s15, -1
                                        ; implicit-def: $vgpr2
	s_branch .LBB190_188
.LBB190_178:
	s_or_saveexec_b32 s15, s15
	v_mov_b32_e32 v2, 0x7e00
	s_xor_b32 exec_lo, exec_lo, s15
	s_cbranch_execz .LBB190_162
.LBB190_179:
	v_cmp_ne_u16_e32 vcc_lo, 0, v3
	v_mov_b32_e32 v2, v3
	s_and_not1_b32 s2, s2, exec_lo
	s_and_b32 s20, vcc_lo, exec_lo
	s_delay_alu instid0(SALU_CYCLE_1)
	s_or_b32 s2, s2, s20
	s_or_b32 exec_lo, exec_lo, s15
	s_and_saveexec_b32 s15, s2
	s_cbranch_execnz .LBB190_163
	s_branch .LBB190_164
.LBB190_180:
	s_mov_b32 s2, -1
                                        ; implicit-def: $vgpr2
	s_branch .LBB190_185
.LBB190_181:
	s_mov_b32 s2, -1
                                        ; implicit-def: $vgpr2
.LBB190_182:
	s_delay_alu instid0(SALU_CYCLE_1)
	s_and_b32 vcc_lo, exec_lo, s2
	s_cbranch_vccz .LBB190_184
; %bb.183:
	global_load_u8 v2, v[0:1], off
	s_wait_loadcnt 0x0
	v_lshlrev_b32_e32 v2, 24, v2
	s_delay_alu instid0(VALU_DEP_1) | instskip(NEXT) | instid1(VALU_DEP_1)
	v_and_b32_e32 v3, 0x7f000000, v2
	v_clz_i32_u32_e32 v5, v3
	v_add_nc_u32_e32 v7, 0x1000000, v3
	v_cmp_ne_u32_e32 vcc_lo, 0, v3
	s_delay_alu instid0(VALU_DEP_3) | instskip(NEXT) | instid1(VALU_DEP_1)
	v_min_u32_e32 v5, 32, v5
	v_sub_nc_u32_e64 v5, v5, 4 clamp
	s_delay_alu instid0(VALU_DEP_1) | instskip(NEXT) | instid1(VALU_DEP_1)
	v_dual_lshlrev_b32 v6, v5, v3 :: v_dual_lshlrev_b32 v5, 23, v5
	v_lshrrev_b32_e32 v6, 4, v6
	s_delay_alu instid0(VALU_DEP_1) | instskip(NEXT) | instid1(VALU_DEP_1)
	v_dual_sub_nc_u32 v5, v6, v5 :: v_dual_ashrrev_i32 v6, 8, v7
	v_add_nc_u32_e32 v5, 0x3c000000, v5
	s_delay_alu instid0(VALU_DEP_1) | instskip(NEXT) | instid1(VALU_DEP_1)
	v_and_or_b32 v5, 0x7f800000, v6, v5
	v_cndmask_b32_e32 v3, 0, v5, vcc_lo
	s_delay_alu instid0(VALU_DEP_1) | instskip(NEXT) | instid1(VALU_DEP_1)
	v_and_or_b32 v2, 0x80000000, v2, v3
	v_cvt_f16_f32_e32 v2, v2
.LBB190_184:
	s_mov_b32 s2, 0
.LBB190_185:
	s_delay_alu instid0(SALU_CYCLE_1)
	s_and_not1_b32 vcc_lo, exec_lo, s2
	s_cbranch_vccnz .LBB190_187
; %bb.186:
	global_load_u8 v2, v[0:1], off
	s_wait_loadcnt 0x0
	v_lshlrev_b32_e32 v3, 25, v2
	v_lshlrev_b16 v2, 8, v2
	s_delay_alu instid0(VALU_DEP_2) | instskip(NEXT) | instid1(VALU_DEP_2)
	v_cmp_gt_u32_e32 vcc_lo, 0x8000000, v3
	v_and_or_b32 v6, 0x7f00, v2, 0.5
	v_lshrrev_b32_e32 v5, 4, v3
	v_bfe_i32 v2, v2, 0, 16
	s_delay_alu instid0(VALU_DEP_3) | instskip(NEXT) | instid1(VALU_DEP_3)
	v_add_f32_e32 v6, -0.5, v6
	v_or_b32_e32 v5, 0x70000000, v5
	s_delay_alu instid0(VALU_DEP_1) | instskip(NEXT) | instid1(VALU_DEP_1)
	v_mul_f32_e32 v5, 0x7800000, v5
	v_cndmask_b32_e32 v3, v5, v6, vcc_lo
	s_delay_alu instid0(VALU_DEP_1) | instskip(NEXT) | instid1(VALU_DEP_1)
	v_and_or_b32 v2, 0x80000000, v2, v3
	v_cvt_f16_f32_e32 v2, v2
.LBB190_187:
	s_mov_b32 s15, 0
	s_mov_b32 s2, -1
.LBB190_188:
	s_and_not1_b32 vcc_lo, exec_lo, s15
	s_cbranch_vccnz .LBB190_201
; %bb.189:
	s_cmp_gt_i32 s1, 14
	s_cbranch_scc0 .LBB190_192
; %bb.190:
	s_cmp_eq_u32 s1, 15
	s_cbranch_scc0 .LBB190_195
; %bb.191:
	global_load_u16 v2, v[0:1], off
	s_mov_b32 s2, -1
	s_mov_b32 s17, 0
	s_wait_loadcnt 0x0
	v_lshlrev_b32_e32 v2, 16, v2
	s_delay_alu instid0(VALU_DEP_1)
	v_cvt_f16_f32_e32 v2, v2
	s_branch .LBB190_196
.LBB190_192:
	s_mov_b32 s15, -1
                                        ; implicit-def: $vgpr2
	s_branch .LBB190_197
.LBB190_193:
	s_or_saveexec_b32 s15, s15
	v_mov_b32_e32 v2, 0x7e00
	s_xor_b32 exec_lo, exec_lo, s15
	s_cbranch_execz .LBB190_174
.LBB190_194:
	v_cmp_ne_u16_e32 vcc_lo, 0, v3
	v_mov_b32_e32 v2, v3
	s_and_not1_b32 s2, s2, exec_lo
	s_and_b32 s20, vcc_lo, exec_lo
	s_delay_alu instid0(SALU_CYCLE_1)
	s_or_b32 s2, s2, s20
	s_or_b32 exec_lo, exec_lo, s15
	s_and_saveexec_b32 s15, s2
	s_cbranch_execnz .LBB190_175
	s_branch .LBB190_176
.LBB190_195:
	s_mov_b32 s17, -1
                                        ; implicit-def: $vgpr2
.LBB190_196:
	s_mov_b32 s15, 0
.LBB190_197:
	s_delay_alu instid0(SALU_CYCLE_1)
	s_and_b32 vcc_lo, exec_lo, s15
	s_cbranch_vccz .LBB190_201
; %bb.198:
	s_cmp_eq_u32 s1, 11
	s_cbranch_scc0 .LBB190_200
; %bb.199:
	global_load_u8 v2, v[0:1], off
	s_mov_b32 s17, 0
	s_mov_b32 s2, -1
	s_wait_loadcnt 0x0
	v_cmp_ne_u16_e32 vcc_lo, 0, v2
	v_cndmask_b32_e64 v2, 0, 0x3c00, vcc_lo
	s_branch .LBB190_201
.LBB190_200:
	s_mov_b32 s17, -1
                                        ; implicit-def: $vgpr2
.LBB190_201:
	s_branch .LBB190_10
.LBB190_202:
	s_cmp_lt_i32 s1, 5
	s_cbranch_scc1 .LBB190_207
; %bb.203:
	s_cmp_lt_i32 s1, 8
	s_cbranch_scc1 .LBB190_208
; %bb.204:
	;; [unrolled: 3-line block ×3, first 2 shown]
	s_cmp_gt_i32 s1, 9
	s_cbranch_scc0 .LBB190_210
; %bb.206:
	global_load_b64 v[2:3], v[0:1], off
	s_mov_b32 s2, 0
	s_wait_loadcnt 0x0
	v_and_or_b32 v2, 0x1ff, v3, v2
	v_lshrrev_b32_e32 v5, 8, v3
	v_bfe_u32 v6, v3, 20, 11
	v_lshrrev_b32_e32 v3, 16, v3
	s_delay_alu instid0(VALU_DEP_4) | instskip(NEXT) | instid1(VALU_DEP_3)
	v_cmp_ne_u32_e32 vcc_lo, 0, v2
	v_sub_nc_u32_e32 v7, 0x3f1, v6
	v_add_nc_u32_e32 v6, 0xfffffc10, v6
	v_cndmask_b32_e64 v2, 0, 1, vcc_lo
	s_delay_alu instid0(VALU_DEP_1) | instskip(NEXT) | instid1(VALU_DEP_4)
	v_and_or_b32 v2, 0xffe, v5, v2
	v_med3_i32 v5, v7, 0, 13
	s_delay_alu instid0(VALU_DEP_2) | instskip(NEXT) | instid1(VALU_DEP_1)
	v_or_b32_e32 v7, 0x1000, v2
	v_lshrrev_b32_e32 v8, v5, v7
	s_delay_alu instid0(VALU_DEP_1) | instskip(NEXT) | instid1(VALU_DEP_1)
	v_lshlrev_b32_e32 v5, v5, v8
	v_cmp_ne_u32_e32 vcc_lo, v5, v7
	v_lshl_or_b32 v7, v6, 12, v2
	v_cndmask_b32_e64 v5, 0, 1, vcc_lo
	v_cmp_gt_i32_e32 vcc_lo, 1, v6
	s_delay_alu instid0(VALU_DEP_2) | instskip(NEXT) | instid1(VALU_DEP_1)
	v_or_b32_e32 v5, v8, v5
	v_cndmask_b32_e32 v5, v7, v5, vcc_lo
	s_delay_alu instid0(VALU_DEP_1) | instskip(NEXT) | instid1(VALU_DEP_1)
	v_dual_lshrrev_b32 v5, 2, v5 :: v_dual_bitop2_b32 v7, 7, v5 bitop3:0x40
	v_cmp_lt_i32_e32 vcc_lo, 5, v7
	v_cndmask_b32_e64 v8, 0, 1, vcc_lo
	v_cmp_eq_u32_e32 vcc_lo, 3, v7
	v_cndmask_b32_e64 v7, 0, 1, vcc_lo
	v_cmp_ne_u32_e32 vcc_lo, 0, v2
	s_delay_alu instid0(VALU_DEP_2) | instskip(NEXT) | instid1(VALU_DEP_1)
	v_or_b32_e32 v7, v7, v8
	v_dual_mov_b32 v8, 0x7e00 :: v_dual_add_nc_u32 v5, v5, v7
	s_delay_alu instid0(VALU_DEP_1) | instskip(SKIP_1) | instid1(VALU_DEP_3)
	v_cndmask_b32_e32 v2, 0x7c00, v8, vcc_lo
	v_cmp_gt_i32_e32 vcc_lo, 31, v6
	v_cndmask_b32_e32 v5, 0x7c00, v5, vcc_lo
	v_cmp_eq_u32_e32 vcc_lo, 0x40f, v6
	s_delay_alu instid0(VALU_DEP_2) | instskip(NEXT) | instid1(VALU_DEP_1)
	v_cndmask_b32_e32 v2, v5, v2, vcc_lo
	v_and_or_b32 v2, 0x8000, v3, v2
	s_branch .LBB190_211
.LBB190_207:
                                        ; implicit-def: $vgpr2
	s_branch .LBB190_229
.LBB190_208:
	s_mov_b32 s2, -1
                                        ; implicit-def: $vgpr2
	s_branch .LBB190_217
.LBB190_209:
	s_mov_b32 s2, -1
                                        ; implicit-def: $vgpr2
	s_branch .LBB190_214
.LBB190_210:
	s_mov_b32 s2, -1
                                        ; implicit-def: $vgpr2
.LBB190_211:
	s_delay_alu instid0(SALU_CYCLE_1)
	s_and_not1_b32 vcc_lo, exec_lo, s2
	s_cbranch_vccnz .LBB190_213
; %bb.212:
	global_load_b32 v2, v[0:1], off
	s_wait_loadcnt 0x0
	v_cvt_f16_f32_e32 v2, v2
.LBB190_213:
	s_mov_b32 s2, 0
.LBB190_214:
	s_delay_alu instid0(SALU_CYCLE_1)
	s_and_not1_b32 vcc_lo, exec_lo, s2
	s_cbranch_vccnz .LBB190_216
; %bb.215:
	global_load_b32 v2, v[0:1], off
.LBB190_216:
	s_mov_b32 s2, 0
.LBB190_217:
	s_delay_alu instid0(SALU_CYCLE_1)
	s_and_not1_b32 vcc_lo, exec_lo, s2
	s_cbranch_vccnz .LBB190_228
; %bb.218:
	s_cmp_lt_i32 s1, 6
	s_cbranch_scc1 .LBB190_221
; %bb.219:
	s_cmp_gt_i32 s1, 6
	s_cbranch_scc0 .LBB190_222
; %bb.220:
	s_wait_loadcnt 0x0
	global_load_b64 v[2:3], v[0:1], off
	s_mov_b32 s2, 0
	s_wait_loadcnt 0x0
	v_and_or_b32 v2, 0x1ff, v3, v2
	v_lshrrev_b32_e32 v5, 8, v3
	v_bfe_u32 v6, v3, 20, 11
	v_lshrrev_b32_e32 v3, 16, v3
	s_delay_alu instid0(VALU_DEP_4) | instskip(NEXT) | instid1(VALU_DEP_3)
	v_cmp_ne_u32_e32 vcc_lo, 0, v2
	v_sub_nc_u32_e32 v7, 0x3f1, v6
	v_add_nc_u32_e32 v6, 0xfffffc10, v6
	v_cndmask_b32_e64 v2, 0, 1, vcc_lo
	s_delay_alu instid0(VALU_DEP_1) | instskip(NEXT) | instid1(VALU_DEP_4)
	v_and_or_b32 v2, 0xffe, v5, v2
	v_med3_i32 v5, v7, 0, 13
	s_delay_alu instid0(VALU_DEP_2) | instskip(NEXT) | instid1(VALU_DEP_1)
	v_or_b32_e32 v7, 0x1000, v2
	v_lshrrev_b32_e32 v8, v5, v7
	s_delay_alu instid0(VALU_DEP_1) | instskip(NEXT) | instid1(VALU_DEP_1)
	v_lshlrev_b32_e32 v5, v5, v8
	v_cmp_ne_u32_e32 vcc_lo, v5, v7
	v_lshl_or_b32 v7, v6, 12, v2
	v_cndmask_b32_e64 v5, 0, 1, vcc_lo
	v_cmp_gt_i32_e32 vcc_lo, 1, v6
	s_delay_alu instid0(VALU_DEP_2) | instskip(NEXT) | instid1(VALU_DEP_1)
	v_or_b32_e32 v5, v8, v5
	v_cndmask_b32_e32 v5, v7, v5, vcc_lo
	s_delay_alu instid0(VALU_DEP_1) | instskip(NEXT) | instid1(VALU_DEP_1)
	v_dual_lshrrev_b32 v5, 2, v5 :: v_dual_bitop2_b32 v7, 7, v5 bitop3:0x40
	v_cmp_lt_i32_e32 vcc_lo, 5, v7
	v_cndmask_b32_e64 v8, 0, 1, vcc_lo
	v_cmp_eq_u32_e32 vcc_lo, 3, v7
	v_cndmask_b32_e64 v7, 0, 1, vcc_lo
	v_cmp_ne_u32_e32 vcc_lo, 0, v2
	s_delay_alu instid0(VALU_DEP_2) | instskip(NEXT) | instid1(VALU_DEP_1)
	v_or_b32_e32 v7, v7, v8
	v_dual_mov_b32 v8, 0x7e00 :: v_dual_add_nc_u32 v5, v5, v7
	s_delay_alu instid0(VALU_DEP_1) | instskip(SKIP_1) | instid1(VALU_DEP_3)
	v_cndmask_b32_e32 v2, 0x7c00, v8, vcc_lo
	v_cmp_gt_i32_e32 vcc_lo, 31, v6
	v_cndmask_b32_e32 v5, 0x7c00, v5, vcc_lo
	v_cmp_eq_u32_e32 vcc_lo, 0x40f, v6
	s_delay_alu instid0(VALU_DEP_2) | instskip(NEXT) | instid1(VALU_DEP_1)
	v_cndmask_b32_e32 v2, v5, v2, vcc_lo
	v_and_or_b32 v2, 0x8000, v3, v2
	s_branch .LBB190_223
.LBB190_221:
	s_mov_b32 s2, -1
                                        ; implicit-def: $vgpr2
	s_branch .LBB190_226
.LBB190_222:
	s_mov_b32 s2, -1
                                        ; implicit-def: $vgpr2
.LBB190_223:
	s_delay_alu instid0(SALU_CYCLE_1)
	s_and_not1_b32 vcc_lo, exec_lo, s2
	s_cbranch_vccnz .LBB190_225
; %bb.224:
	s_wait_loadcnt 0x0
	global_load_b32 v2, v[0:1], off
	s_wait_loadcnt 0x0
	v_cvt_f16_f32_e32 v2, v2
.LBB190_225:
	s_mov_b32 s2, 0
.LBB190_226:
	s_delay_alu instid0(SALU_CYCLE_1)
	s_and_not1_b32 vcc_lo, exec_lo, s2
	s_cbranch_vccnz .LBB190_228
; %bb.227:
	s_wait_loadcnt 0x0
	global_load_u16 v2, v[0:1], off
.LBB190_228:
	s_cbranch_execnz .LBB190_248
.LBB190_229:
	s_cmp_lt_i32 s1, 2
	s_cbranch_scc1 .LBB190_233
; %bb.230:
	s_cmp_lt_i32 s1, 3
	s_cbranch_scc1 .LBB190_234
; %bb.231:
	s_cmp_gt_i32 s1, 3
	s_cbranch_scc0 .LBB190_235
; %bb.232:
	s_wait_loadcnt 0x0
	global_load_b64 v[2:3], v[0:1], off
	s_mov_b32 s2, 0
	s_wait_loadcnt 0x0
	v_xor_b32_e32 v5, v2, v3
	v_cls_i32_e32 v6, v3
	s_delay_alu instid0(VALU_DEP_2) | instskip(NEXT) | instid1(VALU_DEP_1)
	v_ashrrev_i32_e32 v5, 31, v5
	v_add_nc_u32_e32 v5, 32, v5
	s_delay_alu instid0(VALU_DEP_1) | instskip(NEXT) | instid1(VALU_DEP_1)
	v_add_min_u32_e64 v5, v6, -1, v5
	v_lshlrev_b64_e32 v[2:3], v5, v[2:3]
	s_delay_alu instid0(VALU_DEP_1) | instskip(NEXT) | instid1(VALU_DEP_1)
	v_min_u32_e32 v2, 1, v2
	v_dual_sub_nc_u32 v3, 32, v5 :: v_dual_bitop2_b32 v2, v3, v2 bitop3:0x54
	s_delay_alu instid0(VALU_DEP_1) | instskip(NEXT) | instid1(VALU_DEP_1)
	v_cvt_f32_i32_e32 v2, v2
	v_ldexp_f32 v2, v2, v3
	s_delay_alu instid0(VALU_DEP_1)
	v_cvt_f16_f32_e32 v2, v2
	s_branch .LBB190_236
.LBB190_233:
	s_mov_b32 s2, -1
                                        ; implicit-def: $vgpr2
	s_branch .LBB190_242
.LBB190_234:
	s_mov_b32 s2, -1
                                        ; implicit-def: $vgpr2
	s_branch .LBB190_239
.LBB190_235:
	s_mov_b32 s2, -1
                                        ; implicit-def: $vgpr2
.LBB190_236:
	s_delay_alu instid0(SALU_CYCLE_1)
	s_and_not1_b32 vcc_lo, exec_lo, s2
	s_cbranch_vccnz .LBB190_238
; %bb.237:
	s_wait_loadcnt 0x0
	global_load_b32 v2, v[0:1], off
	s_wait_loadcnt 0x0
	v_cvt_f32_i32_e32 v2, v2
	s_delay_alu instid0(VALU_DEP_1)
	v_cvt_f16_f32_e32 v2, v2
.LBB190_238:
	s_mov_b32 s2, 0
.LBB190_239:
	s_delay_alu instid0(SALU_CYCLE_1)
	s_and_not1_b32 vcc_lo, exec_lo, s2
	s_cbranch_vccnz .LBB190_241
; %bb.240:
	s_wait_loadcnt 0x0
	global_load_u16 v2, v[0:1], off
	s_wait_loadcnt 0x0
	v_cvt_f16_i16_e32 v2, v2
.LBB190_241:
	s_mov_b32 s2, 0
.LBB190_242:
	s_delay_alu instid0(SALU_CYCLE_1)
	s_and_not1_b32 vcc_lo, exec_lo, s2
	s_cbranch_vccnz .LBB190_248
; %bb.243:
	s_cmp_gt_i32 s1, 0
	s_mov_b32 s1, 0
	s_cbranch_scc0 .LBB190_245
; %bb.244:
	s_wait_loadcnt 0x0
	global_load_i8 v2, v[0:1], off
	s_wait_loadcnt 0x0
	v_cvt_f16_i16_e32 v2, v2
	s_branch .LBB190_246
.LBB190_245:
	s_mov_b32 s1, -1
                                        ; implicit-def: $vgpr2
.LBB190_246:
	s_delay_alu instid0(SALU_CYCLE_1)
	s_and_not1_b32 vcc_lo, exec_lo, s1
	s_cbranch_vccnz .LBB190_248
; %bb.247:
	global_load_u8 v0, v[0:1], off
	s_wait_loadcnt 0x0
	v_cvt_f16_u16_e32 v2, v0
.LBB190_248:
	s_branch .LBB190_11
.LBB190_249:
	s_mov_b32 s2, 0
.LBB190_250:
	s_mov_b32 s1, 0
                                        ; implicit-def: $vgpr4
.LBB190_251:
	s_and_b32 s15, s2, exec_lo
	s_and_b32 s17, s17, exec_lo
	s_or_not1_b32 s1, s1, exec_lo
.LBB190_252:
	s_wait_xcnt 0x0
	s_or_b32 exec_lo, exec_lo, s18
	s_mov_b32 s21, 0
	s_mov_b32 s20, 0
                                        ; implicit-def: $vgpr0_vgpr1
                                        ; implicit-def: $vgpr2
	s_and_saveexec_b32 s18, s1
	s_cbranch_execz .LBB190_261
; %bb.253:
	s_mov_b32 s23, -1
	s_mov_b32 s19, s17
	s_mov_b32 s20, s15
	s_mov_b32 s21, exec_lo
	v_cmpx_gt_i32_e64 s16, v4
	s_cbranch_execz .LBB190_515
; %bb.254:
	v_mul_lo_u32 v0, v4, s9
	s_and_b32 s1, 0xffff, s13
	s_delay_alu instid0(SALU_CYCLE_1) | instskip(NEXT) | instid1(VALU_DEP_1)
	s_cmp_lt_i32 s1, 11
	v_ashrrev_i32_e32 v1, 31, v0
	s_delay_alu instid0(VALU_DEP_1)
	v_add_nc_u64_e32 v[0:1], s[6:7], v[0:1]
	s_cbranch_scc1 .LBB190_264
; %bb.255:
	s_cmp_gt_i32 s1, 25
	s_cbranch_scc0 .LBB190_273
; %bb.256:
	s_cmp_gt_i32 s1, 28
	s_cbranch_scc0 .LBB190_275
	;; [unrolled: 3-line block ×4, first 2 shown]
; %bb.259:
	s_cmp_eq_u32 s1, 46
	s_mov_b32 s20, 0
	s_cbranch_scc0 .LBB190_285
; %bb.260:
	s_wait_loadcnt 0x0
	global_load_b32 v2, v[0:1], off
	s_mov_b32 s2, -1
	s_mov_b32 s19, 0
	s_wait_loadcnt 0x0
	v_lshlrev_b32_e32 v2, 16, v2
	s_delay_alu instid0(VALU_DEP_1)
	v_cvt_f16_f32_e32 v2, v2
	s_branch .LBB190_287
.LBB190_261:
	s_or_b32 exec_lo, exec_lo, s18
	s_mov_b32 s1, 0
	s_and_saveexec_b32 s2, s17
	s_cbranch_execnz .LBB190_863
.LBB190_262:
	s_or_b32 exec_lo, exec_lo, s2
	s_and_saveexec_b32 s2, s19
	s_delay_alu instid0(SALU_CYCLE_1)
	s_xor_b32 s2, exec_lo, s2
	s_cbranch_execz .LBB190_864
.LBB190_263:
	s_wait_loadcnt 0x0
	global_load_u8 v2, v[0:1], off
	s_or_b32 s20, s20, exec_lo
	s_wait_loadcnt 0x0
	v_cmp_ne_u16_e32 vcc_lo, 0, v2
	v_cndmask_b32_e64 v2, 0, 0x3c00, vcc_lo
	s_wait_xcnt 0x0
	s_or_b32 exec_lo, exec_lo, s2
	s_and_saveexec_b32 s2, s21
	s_cbranch_execz .LBB190_910
	s_branch .LBB190_865
.LBB190_264:
	s_mov_b32 s2, 0
	s_mov_b32 s19, s17
                                        ; implicit-def: $vgpr2
	s_cbranch_execnz .LBB190_464
.LBB190_265:
	s_and_not1_b32 vcc_lo, exec_lo, s2
	s_cbranch_vccnz .LBB190_512
.LBB190_266:
	s_wait_loadcnt 0x0
	s_delay_alu instid0(VALU_DEP_1) | instskip(SKIP_3) | instid1(SALU_CYCLE_1)
	v_cmp_eq_f16_e32 vcc_lo, s11, v2
	s_wait_xcnt 0x0
	v_mul_lo_u32 v0, v4, s8
	s_and_b32 s20, s3, 0xff
	s_cmp_lt_i32 s20, 11
	v_cndmask_b32_e64 v1, 0, 1, vcc_lo
	v_cmp_neq_f16_e32 vcc_lo, s11, v2
	v_cndmask_b32_e64 v2, 0, 1, vcc_lo
	s_delay_alu instid0(VALU_DEP_1) | instskip(NEXT) | instid1(VALU_DEP_1)
	v_dual_cndmask_b32 v2, v2, v1, s0 :: v_dual_ashrrev_i32 v1, 31, v0
	v_and_b32_e32 v2, 1, v2
	s_delay_alu instid0(VALU_DEP_2) | instskip(NEXT) | instid1(VALU_DEP_2)
	v_add_nc_u64_e32 v[0:1], s[4:5], v[0:1]
	v_cmp_eq_u32_e64 s1, 1, v2
	s_cbranch_scc1 .LBB190_274
; %bb.267:
	s_and_b32 s22, 0xffff, s20
	s_delay_alu instid0(SALU_CYCLE_1)
	s_cmp_gt_i32 s22, 25
	s_cbranch_scc0 .LBB190_276
; %bb.268:
	s_cmp_gt_i32 s22, 28
	s_cbranch_scc0 .LBB190_278
; %bb.269:
	;; [unrolled: 3-line block ×4, first 2 shown]
	s_mov_b32 s24, 0
	s_mov_b32 s2, -1
	s_cmp_eq_u32 s22, 46
	s_mov_b32 s23, 0
	s_cbranch_scc0 .LBB190_291
; %bb.272:
	v_cndmask_b32_e64 v2, 0, 1.0, s1
	s_mov_b32 s23, -1
	s_mov_b32 s2, 0
	s_delay_alu instid0(VALU_DEP_1) | instskip(NEXT) | instid1(VALU_DEP_1)
	v_bfe_u32 v3, v2, 16, 1
	v_add3_u32 v2, v2, v3, 0x7fff
	s_delay_alu instid0(VALU_DEP_1)
	v_lshrrev_b32_e32 v2, 16, v2
	global_store_b32 v[0:1], v2, off
	s_branch .LBB190_291
.LBB190_273:
	s_mov_b32 s20, -1
	s_mov_b32 s2, 0
	s_mov_b32 s19, s17
                                        ; implicit-def: $vgpr2
	s_branch .LBB190_428
.LBB190_274:
	s_mov_b32 s22, -1
	s_mov_b32 s23, 0
	s_mov_b32 s2, s15
	s_branch .LBB190_360
.LBB190_275:
	s_mov_b32 s20, -1
	s_mov_b32 s2, 0
	s_mov_b32 s19, s17
                                        ; implicit-def: $vgpr2
	s_branch .LBB190_409
.LBB190_276:
	s_mov_b32 s24, -1
	s_mov_b32 s23, 0
	s_mov_b32 s2, s15
	s_branch .LBB190_318
.LBB190_277:
	s_mov_b32 s20, -1
	s_mov_b32 s2, 0
	s_mov_b32 s19, s17
                                        ; implicit-def: $vgpr2
	s_branch .LBB190_404
.LBB190_278:
	s_mov_b32 s24, -1
	s_mov_b32 s23, 0
	s_mov_b32 s2, s15
	s_branch .LBB190_301
.LBB190_279:
	s_and_not1_saveexec_b32 s23, s23
	s_cbranch_execz .LBB190_54
.LBB190_280:
	v_add_f32_e32 v2, 0x46000000, v3
	s_and_not1_b32 s22, s22, exec_lo
	s_delay_alu instid0(VALU_DEP_1) | instskip(NEXT) | instid1(VALU_DEP_1)
	v_and_b32_e32 v2, 0xff, v2
	v_cmp_ne_u32_e32 vcc_lo, 0, v2
	s_and_b32 s24, vcc_lo, exec_lo
	s_delay_alu instid0(SALU_CYCLE_1)
	s_or_b32 s22, s22, s24
	s_or_b32 exec_lo, exec_lo, s23
	v_mov_b32_e32 v5, 0
	s_and_saveexec_b32 s23, s22
	s_cbranch_execnz .LBB190_55
	s_branch .LBB190_56
.LBB190_281:
	s_mov_b32 s20, -1
	s_mov_b32 s2, 0
	s_mov_b32 s19, s17
	s_branch .LBB190_286
.LBB190_282:
	s_mov_b32 s24, -1
	s_mov_b32 s23, 0
	s_mov_b32 s2, s15
	s_branch .LBB190_297
.LBB190_283:
	s_and_not1_saveexec_b32 s23, s23
	s_cbranch_execz .LBB190_67
.LBB190_284:
	v_add_f32_e32 v2, 0x42800000, v3
	s_and_not1_b32 s22, s22, exec_lo
	s_delay_alu instid0(VALU_DEP_1) | instskip(NEXT) | instid1(VALU_DEP_1)
	v_and_b32_e32 v2, 0xff, v2
	v_cmp_ne_u32_e32 vcc_lo, 0, v2
	s_and_b32 s24, vcc_lo, exec_lo
	s_delay_alu instid0(SALU_CYCLE_1)
	s_or_b32 s22, s22, s24
	s_or_b32 exec_lo, exec_lo, s23
	v_mov_b32_e32 v5, 0
	s_and_saveexec_b32 s23, s22
	s_cbranch_execnz .LBB190_68
	s_branch .LBB190_69
.LBB190_285:
	s_mov_b32 s19, -1
	s_mov_b32 s2, 0
.LBB190_286:
                                        ; implicit-def: $vgpr2
.LBB190_287:
	s_and_b32 vcc_lo, exec_lo, s20
	s_cbranch_vccz .LBB190_403
; %bb.288:
	s_cmp_eq_u32 s1, 44
	s_cbranch_scc0 .LBB190_402
; %bb.289:
	s_wait_loadcnt 0x0
	global_load_u8 v2, v[0:1], off
	s_mov_b32 s19, 0
	s_mov_b32 s2, -1
	s_wait_loadcnt 0x0
	v_lshlrev_b32_e32 v3, 23, v2
	v_cmp_ne_u32_e32 vcc_lo, 0xff, v2
	s_delay_alu instid0(VALU_DEP_2) | instskip(NEXT) | instid1(VALU_DEP_1)
	v_cvt_f16_f32_e32 v3, v3
	v_cndmask_b32_e32 v3, 0x7e00, v3, vcc_lo
	v_cmp_ne_u32_e32 vcc_lo, 0, v2
	s_delay_alu instid0(VALU_DEP_2)
	v_cndmask_b32_e32 v2, 0, v3, vcc_lo
	s_branch .LBB190_403
.LBB190_290:
	s_mov_b32 s24, -1
	s_mov_b32 s23, 0
	s_mov_b32 s2, s15
.LBB190_291:
	s_and_b32 vcc_lo, exec_lo, s24
	s_cbranch_vccz .LBB190_296
; %bb.292:
	s_cmp_eq_u32 s22, 44
	s_mov_b32 s2, -1
	s_cbranch_scc0 .LBB190_296
; %bb.293:
	v_cndmask_b32_e64 v5, 0, 1.0, s1
	s_mov_b32 s23, exec_lo
	s_wait_xcnt 0x0
	s_delay_alu instid0(VALU_DEP_1) | instskip(NEXT) | instid1(VALU_DEP_1)
	v_dual_mov_b32 v3, 0xff :: v_dual_lshrrev_b32 v2, 23, v5
	v_cmpx_ne_u32_e32 0xff, v2
; %bb.294:
	v_and_b32_e32 v3, 0x400000, v5
	v_and_or_b32 v5, 0x3fffff, v5, v2
	s_delay_alu instid0(VALU_DEP_2) | instskip(NEXT) | instid1(VALU_DEP_2)
	v_cmp_ne_u32_e32 vcc_lo, 0, v3
	v_cmp_ne_u32_e64 s2, 0, v5
	s_and_b32 s2, vcc_lo, s2
	s_delay_alu instid0(SALU_CYCLE_1) | instskip(NEXT) | instid1(VALU_DEP_1)
	v_cndmask_b32_e64 v3, 0, 1, s2
	v_add_nc_u32_e32 v3, v2, v3
; %bb.295:
	s_or_b32 exec_lo, exec_lo, s23
	s_mov_b32 s23, -1
	s_mov_b32 s2, 0
	global_store_b8 v[0:1], v3, off
.LBB190_296:
	s_mov_b32 s24, 0
.LBB190_297:
	s_delay_alu instid0(SALU_CYCLE_1)
	s_and_b32 vcc_lo, exec_lo, s24
	s_cbranch_vccz .LBB190_300
; %bb.298:
	s_cmp_eq_u32 s22, 29
	s_mov_b32 s2, -1
	s_cbranch_scc0 .LBB190_300
; %bb.299:
	s_mov_b32 s2, 0
	s_wait_xcnt 0x0
	v_cndmask_b32_e64 v2, 0, 1, s1
	v_mov_b32_e32 v3, s2
	s_mov_b32 s23, -1
	s_mov_b32 s24, 0
	global_store_b64 v[0:1], v[2:3], off
	s_branch .LBB190_301
.LBB190_300:
	s_mov_b32 s24, 0
.LBB190_301:
	s_delay_alu instid0(SALU_CYCLE_1)
	s_and_b32 vcc_lo, exec_lo, s24
	s_cbranch_vccz .LBB190_317
; %bb.302:
	s_cmp_lt_i32 s22, 27
	s_mov_b32 s23, -1
	s_cbranch_scc1 .LBB190_308
; %bb.303:
	s_cmp_gt_i32 s22, 27
	s_cbranch_scc0 .LBB190_305
; %bb.304:
	s_wait_xcnt 0x0
	v_cndmask_b32_e64 v2, 0, 1, s1
	s_mov_b32 s23, 0
	global_store_b32 v[0:1], v2, off
.LBB190_305:
	s_and_not1_b32 vcc_lo, exec_lo, s23
	s_cbranch_vccnz .LBB190_307
; %bb.306:
	s_wait_xcnt 0x0
	v_cndmask_b32_e64 v2, 0, 1, s1
	global_store_b16 v[0:1], v2, off
.LBB190_307:
	s_mov_b32 s23, 0
.LBB190_308:
	s_delay_alu instid0(SALU_CYCLE_1)
	s_and_not1_b32 vcc_lo, exec_lo, s23
	s_cbranch_vccnz .LBB190_316
; %bb.309:
	s_wait_xcnt 0x0
	v_cndmask_b32_e64 v3, 0, 1.0, s1
	v_mov_b32_e32 v5, 0x80
	s_mov_b32 s23, exec_lo
	s_delay_alu instid0(VALU_DEP_2)
	v_cmpx_gt_u32_e32 0x43800000, v3
	s_cbranch_execz .LBB190_315
; %bb.310:
	s_mov_b32 s24, 0
	s_mov_b32 s25, exec_lo
                                        ; implicit-def: $vgpr2
	v_cmpx_lt_u32_e32 0x3bffffff, v3
	s_xor_b32 s25, exec_lo, s25
	s_cbranch_execz .LBB190_528
; %bb.311:
	v_bfe_u32 v2, v3, 20, 1
	s_mov_b32 s24, exec_lo
	s_delay_alu instid0(VALU_DEP_1) | instskip(NEXT) | instid1(VALU_DEP_1)
	v_add3_u32 v2, v3, v2, 0x487ffff
                                        ; implicit-def: $vgpr3
	v_lshrrev_b32_e32 v2, 20, v2
	s_and_not1_saveexec_b32 s25, s25
	s_cbranch_execnz .LBB190_529
.LBB190_312:
	s_or_b32 exec_lo, exec_lo, s25
	v_mov_b32_e32 v5, 0
	s_and_saveexec_b32 s25, s24
.LBB190_313:
	v_mov_b32_e32 v5, v2
.LBB190_314:
	s_or_b32 exec_lo, exec_lo, s25
.LBB190_315:
	s_delay_alu instid0(SALU_CYCLE_1)
	s_or_b32 exec_lo, exec_lo, s23
	global_store_b8 v[0:1], v5, off
.LBB190_316:
	s_mov_b32 s23, -1
.LBB190_317:
	s_mov_b32 s24, 0
.LBB190_318:
	s_delay_alu instid0(SALU_CYCLE_1)
	s_and_b32 vcc_lo, exec_lo, s24
	s_cbranch_vccz .LBB190_359
; %bb.319:
	s_cmp_gt_i32 s22, 22
	s_mov_b32 s24, -1
	s_cbranch_scc0 .LBB190_351
; %bb.320:
	s_cmp_lt_i32 s22, 24
	s_mov_b32 s23, -1
	s_cbranch_scc1 .LBB190_340
; %bb.321:
	s_cmp_gt_i32 s22, 24
	s_cbranch_scc0 .LBB190_329
; %bb.322:
	s_wait_xcnt 0x0
	v_cndmask_b32_e64 v3, 0, 1.0, s1
	v_mov_b32_e32 v5, 0x80
	s_mov_b32 s23, exec_lo
	s_delay_alu instid0(VALU_DEP_2)
	v_cmpx_gt_u32_e32 0x47800000, v3
	s_cbranch_execz .LBB190_328
; %bb.323:
	s_mov_b32 s24, 0
	s_mov_b32 s25, exec_lo
                                        ; implicit-def: $vgpr2
	v_cmpx_lt_u32_e32 0x37ffffff, v3
	s_xor_b32 s25, exec_lo, s25
	s_cbranch_execz .LBB190_531
; %bb.324:
	v_bfe_u32 v2, v3, 21, 1
	s_mov_b32 s24, exec_lo
	s_delay_alu instid0(VALU_DEP_1) | instskip(NEXT) | instid1(VALU_DEP_1)
	v_add3_u32 v2, v3, v2, 0x88fffff
                                        ; implicit-def: $vgpr3
	v_lshrrev_b32_e32 v2, 21, v2
	s_and_not1_saveexec_b32 s25, s25
	s_cbranch_execnz .LBB190_532
.LBB190_325:
	s_or_b32 exec_lo, exec_lo, s25
	v_mov_b32_e32 v5, 0
	s_and_saveexec_b32 s25, s24
.LBB190_326:
	v_mov_b32_e32 v5, v2
.LBB190_327:
	s_or_b32 exec_lo, exec_lo, s25
.LBB190_328:
	s_delay_alu instid0(SALU_CYCLE_1)
	s_or_b32 exec_lo, exec_lo, s23
	s_mov_b32 s23, 0
	global_store_b8 v[0:1], v5, off
.LBB190_329:
	s_and_b32 vcc_lo, exec_lo, s23
	s_cbranch_vccz .LBB190_339
; %bb.330:
	s_wait_xcnt 0x0
	v_cndmask_b32_e64 v3, 0, 1.0, s1
	s_mov_b32 s23, exec_lo
                                        ; implicit-def: $vgpr2
	s_delay_alu instid0(VALU_DEP_1)
	v_cmpx_gt_u32_e32 0x43f00000, v3
	s_xor_b32 s23, exec_lo, s23
	s_cbranch_execz .LBB190_336
; %bb.331:
	s_mov_b32 s24, exec_lo
                                        ; implicit-def: $vgpr2
	v_cmpx_lt_u32_e32 0x3c7fffff, v3
	s_xor_b32 s24, exec_lo, s24
; %bb.332:
	v_bfe_u32 v2, v3, 20, 1
	s_delay_alu instid0(VALU_DEP_1) | instskip(NEXT) | instid1(VALU_DEP_1)
	v_add3_u32 v2, v3, v2, 0x407ffff
	v_and_b32_e32 v3, 0xff00000, v2
	v_lshrrev_b32_e32 v2, 20, v2
	s_delay_alu instid0(VALU_DEP_2) | instskip(NEXT) | instid1(VALU_DEP_2)
	v_cmp_ne_u32_e32 vcc_lo, 0x7f00000, v3
                                        ; implicit-def: $vgpr3
	v_cndmask_b32_e32 v2, 0x7e, v2, vcc_lo
; %bb.333:
	s_and_not1_saveexec_b32 s24, s24
; %bb.334:
	v_add_f32_e32 v2, 0x46800000, v3
; %bb.335:
	s_or_b32 exec_lo, exec_lo, s24
                                        ; implicit-def: $vgpr3
.LBB190_336:
	s_and_not1_saveexec_b32 s23, s23
; %bb.337:
	v_mov_b32_e32 v2, 0x7f
	v_cmp_lt_u32_e32 vcc_lo, 0x7f800000, v3
	s_delay_alu instid0(VALU_DEP_2)
	v_cndmask_b32_e32 v2, 0x7e, v2, vcc_lo
; %bb.338:
	s_or_b32 exec_lo, exec_lo, s23
	global_store_b8 v[0:1], v2, off
.LBB190_339:
	s_mov_b32 s23, 0
.LBB190_340:
	s_delay_alu instid0(SALU_CYCLE_1)
	s_and_not1_b32 vcc_lo, exec_lo, s23
	s_cbranch_vccnz .LBB190_350
; %bb.341:
	s_wait_xcnt 0x0
	v_cndmask_b32_e64 v3, 0, 1.0, s1
	s_mov_b32 s23, exec_lo
                                        ; implicit-def: $vgpr2
	s_delay_alu instid0(VALU_DEP_1)
	v_cmpx_gt_u32_e32 0x47800000, v3
	s_xor_b32 s23, exec_lo, s23
	s_cbranch_execz .LBB190_347
; %bb.342:
	s_mov_b32 s24, exec_lo
                                        ; implicit-def: $vgpr2
	v_cmpx_lt_u32_e32 0x387fffff, v3
	s_xor_b32 s24, exec_lo, s24
; %bb.343:
	v_bfe_u32 v2, v3, 21, 1
	s_delay_alu instid0(VALU_DEP_1) | instskip(NEXT) | instid1(VALU_DEP_1)
	v_add3_u32 v2, v3, v2, 0x80fffff
                                        ; implicit-def: $vgpr3
	v_lshrrev_b32_e32 v2, 21, v2
; %bb.344:
	s_and_not1_saveexec_b32 s24, s24
; %bb.345:
	v_add_f32_e32 v2, 0x43000000, v3
; %bb.346:
	s_or_b32 exec_lo, exec_lo, s24
                                        ; implicit-def: $vgpr3
.LBB190_347:
	s_and_not1_saveexec_b32 s23, s23
; %bb.348:
	v_mov_b32_e32 v2, 0x7f
	v_cmp_lt_u32_e32 vcc_lo, 0x7f800000, v3
	s_delay_alu instid0(VALU_DEP_2)
	v_cndmask_b32_e32 v2, 0x7c, v2, vcc_lo
; %bb.349:
	s_or_b32 exec_lo, exec_lo, s23
	global_store_b8 v[0:1], v2, off
.LBB190_350:
	s_mov_b32 s24, 0
	s_mov_b32 s23, -1
.LBB190_351:
	s_and_not1_b32 vcc_lo, exec_lo, s24
	s_cbranch_vccnz .LBB190_359
; %bb.352:
	s_cmp_gt_i32 s22, 14
	s_mov_b32 s24, -1
	s_cbranch_scc0 .LBB190_356
; %bb.353:
	s_cmp_eq_u32 s22, 15
	s_mov_b32 s2, -1
	s_cbranch_scc0 .LBB190_355
; %bb.354:
	s_wait_xcnt 0x0
	v_cndmask_b32_e64 v2, 0, 1.0, s1
	s_mov_b32 s23, -1
	s_mov_b32 s2, 0
	s_delay_alu instid0(VALU_DEP_1) | instskip(NEXT) | instid1(VALU_DEP_1)
	v_bfe_u32 v3, v2, 16, 1
	v_add3_u32 v2, v2, v3, 0x7fff
	global_store_d16_hi_b16 v[0:1], v2, off
.LBB190_355:
	s_mov_b32 s24, 0
.LBB190_356:
	s_delay_alu instid0(SALU_CYCLE_1)
	s_and_b32 vcc_lo, exec_lo, s24
	s_cbranch_vccz .LBB190_359
; %bb.357:
	s_cmp_eq_u32 s22, 11
	s_mov_b32 s2, -1
	s_cbranch_scc0 .LBB190_359
; %bb.358:
	s_wait_xcnt 0x0
	v_cndmask_b32_e64 v2, 0, 1, s1
	s_mov_b32 s23, -1
	s_mov_b32 s2, 0
	global_store_b8 v[0:1], v2, off
.LBB190_359:
	s_mov_b32 s22, 0
.LBB190_360:
	s_delay_alu instid0(SALU_CYCLE_1)
	s_and_b32 vcc_lo, exec_lo, s22
	s_cbranch_vccz .LBB190_399
; %bb.361:
	s_and_b32 s20, 0xffff, s20
	s_mov_b32 s22, -1
	s_cmp_lt_i32 s20, 5
	s_cbranch_scc1 .LBB190_382
; %bb.362:
	s_cmp_lt_i32 s20, 8
	s_cbranch_scc1 .LBB190_372
; %bb.363:
	s_cmp_lt_i32 s20, 9
	s_cbranch_scc1 .LBB190_369
; %bb.364:
	s_cmp_gt_i32 s20, 9
	s_cbranch_scc0 .LBB190_366
; %bb.365:
	s_wait_xcnt 0x0
	v_cndmask_b32_e64 v2, 0, 1, s1
	v_mov_b32_e32 v8, 0
	s_mov_b32 s22, 0
	s_delay_alu instid0(VALU_DEP_2) | instskip(NEXT) | instid1(VALU_DEP_2)
	v_cvt_f64_u32_e32 v[6:7], v2
	v_mov_b32_e32 v9, v8
	global_store_b128 v[0:1], v[6:9], off
.LBB190_366:
	s_and_not1_b32 vcc_lo, exec_lo, s22
	s_cbranch_vccnz .LBB190_368
; %bb.367:
	s_wait_xcnt 0x0
	v_cndmask_b32_e64 v2, 0, 1.0, s1
	v_mov_b32_e32 v3, 0
	global_store_b64 v[0:1], v[2:3], off
.LBB190_368:
	s_mov_b32 s22, 0
.LBB190_369:
	s_delay_alu instid0(SALU_CYCLE_1)
	s_and_not1_b32 vcc_lo, exec_lo, s22
	s_cbranch_vccnz .LBB190_371
; %bb.370:
	s_wait_xcnt 0x0
	v_cndmask_b32_e64 v2, 0, 1.0, s1
	s_delay_alu instid0(VALU_DEP_1) | instskip(NEXT) | instid1(VALU_DEP_1)
	v_cvt_f16_f32_e32 v2, v2
	v_and_b32_e32 v2, 0xffff, v2
	global_store_b32 v[0:1], v2, off
.LBB190_371:
	s_mov_b32 s22, 0
.LBB190_372:
	s_delay_alu instid0(SALU_CYCLE_1)
	s_and_not1_b32 vcc_lo, exec_lo, s22
	s_cbranch_vccnz .LBB190_381
; %bb.373:
	s_cmp_lt_i32 s20, 6
	s_mov_b32 s22, -1
	s_cbranch_scc1 .LBB190_379
; %bb.374:
	s_cmp_gt_i32 s20, 6
	s_cbranch_scc0 .LBB190_376
; %bb.375:
	s_wait_xcnt 0x0
	v_cndmask_b32_e64 v2, 0, 1, s1
	s_mov_b32 s22, 0
	s_delay_alu instid0(VALU_DEP_1)
	v_cvt_f64_u32_e32 v[2:3], v2
	global_store_b64 v[0:1], v[2:3], off
.LBB190_376:
	s_and_not1_b32 vcc_lo, exec_lo, s22
	s_cbranch_vccnz .LBB190_378
; %bb.377:
	s_wait_xcnt 0x0
	v_cndmask_b32_e64 v2, 0, 1.0, s1
	global_store_b32 v[0:1], v2, off
.LBB190_378:
	s_mov_b32 s22, 0
.LBB190_379:
	s_delay_alu instid0(SALU_CYCLE_1)
	s_and_not1_b32 vcc_lo, exec_lo, s22
	s_cbranch_vccnz .LBB190_381
; %bb.380:
	s_wait_xcnt 0x0
	v_cndmask_b32_e64 v2, 0, 1.0, s1
	s_delay_alu instid0(VALU_DEP_1)
	v_cvt_f16_f32_e32 v2, v2
	global_store_b16 v[0:1], v2, off
.LBB190_381:
	s_mov_b32 s22, 0
.LBB190_382:
	s_delay_alu instid0(SALU_CYCLE_1)
	s_and_not1_b32 vcc_lo, exec_lo, s22
	s_cbranch_vccnz .LBB190_398
; %bb.383:
	s_cmp_lt_i32 s20, 2
	s_mov_b32 s22, -1
	s_cbranch_scc1 .LBB190_393
; %bb.384:
	s_cmp_lt_i32 s20, 3
	s_cbranch_scc1 .LBB190_390
; %bb.385:
	s_cmp_gt_i32 s20, 3
	s_cbranch_scc0 .LBB190_387
; %bb.386:
	s_mov_b32 s22, 0
	s_wait_xcnt 0x0
	v_cndmask_b32_e64 v2, 0, 1, s1
	v_mov_b32_e32 v3, s22
	global_store_b64 v[0:1], v[2:3], off
.LBB190_387:
	s_and_not1_b32 vcc_lo, exec_lo, s22
	s_cbranch_vccnz .LBB190_389
; %bb.388:
	s_wait_xcnt 0x0
	v_cndmask_b32_e64 v2, 0, 1, s1
	global_store_b32 v[0:1], v2, off
.LBB190_389:
	s_mov_b32 s22, 0
.LBB190_390:
	s_delay_alu instid0(SALU_CYCLE_1)
	s_and_not1_b32 vcc_lo, exec_lo, s22
	s_cbranch_vccnz .LBB190_392
; %bb.391:
	s_wait_xcnt 0x0
	v_cndmask_b32_e64 v2, 0, 1, s1
	global_store_b16 v[0:1], v2, off
.LBB190_392:
	s_mov_b32 s22, 0
.LBB190_393:
	s_delay_alu instid0(SALU_CYCLE_1)
	s_and_not1_b32 vcc_lo, exec_lo, s22
	s_cbranch_vccnz .LBB190_398
; %bb.394:
	s_wait_xcnt 0x0
	v_cndmask_b32_e64 v2, 0, 1, s1
	s_cmp_gt_i32 s20, 0
	s_mov_b32 s1, -1
	s_cbranch_scc0 .LBB190_396
; %bb.395:
	s_mov_b32 s1, 0
	global_store_b8 v[0:1], v2, off
.LBB190_396:
	s_and_not1_b32 vcc_lo, exec_lo, s1
	s_cbranch_vccnz .LBB190_398
; %bb.397:
	global_store_b8 v[0:1], v2, off
.LBB190_398:
	s_mov_b32 s23, -1
.LBB190_399:
	s_delay_alu instid0(SALU_CYCLE_1)
	s_and_not1_b32 vcc_lo, exec_lo, s23
	s_cbranch_vccnz .LBB190_401
; %bb.400:
	v_add_nc_u32_e32 v4, 0x80, v4
	s_mov_b32 s1, -1
	s_branch .LBB190_514
.LBB190_401:
	s_mov_b32 s1, 0
	s_branch .LBB190_513
.LBB190_402:
	s_mov_b32 s19, -1
                                        ; implicit-def: $vgpr2
.LBB190_403:
	s_mov_b32 s20, 0
.LBB190_404:
	s_delay_alu instid0(SALU_CYCLE_1)
	s_and_b32 vcc_lo, exec_lo, s20
	s_cbranch_vccz .LBB190_408
; %bb.405:
	s_cmp_eq_u32 s1, 29
	s_cbranch_scc0 .LBB190_407
; %bb.406:
	s_wait_loadcnt 0x0
	global_load_b64 v[2:3], v[0:1], off
	s_mov_b32 s2, -1
	s_mov_b32 s19, 0
	s_mov_b32 s20, 0
	s_wait_loadcnt 0x0
	v_clz_i32_u32_e32 v5, v3
	s_delay_alu instid0(VALU_DEP_1) | instskip(NEXT) | instid1(VALU_DEP_1)
	v_min_u32_e32 v5, 32, v5
	v_lshlrev_b64_e32 v[2:3], v5, v[2:3]
	s_delay_alu instid0(VALU_DEP_1) | instskip(NEXT) | instid1(VALU_DEP_1)
	v_min_u32_e32 v2, 1, v2
	v_dual_sub_nc_u32 v3, 32, v5 :: v_dual_bitop2_b32 v2, v3, v2 bitop3:0x54
	s_delay_alu instid0(VALU_DEP_1) | instskip(NEXT) | instid1(VALU_DEP_1)
	v_cvt_f32_u32_e32 v2, v2
	v_ldexp_f32 v2, v2, v3
	s_delay_alu instid0(VALU_DEP_1)
	v_cvt_f16_f32_e32 v2, v2
	s_branch .LBB190_409
.LBB190_407:
	s_mov_b32 s19, -1
                                        ; implicit-def: $vgpr2
.LBB190_408:
	s_mov_b32 s20, 0
.LBB190_409:
	s_delay_alu instid0(SALU_CYCLE_1)
	s_and_b32 vcc_lo, exec_lo, s20
	s_cbranch_vccz .LBB190_427
; %bb.410:
	s_cmp_lt_i32 s1, 27
	s_cbranch_scc1 .LBB190_413
; %bb.411:
	s_cmp_gt_i32 s1, 27
	s_cbranch_scc0 .LBB190_414
; %bb.412:
	s_wait_loadcnt 0x0
	global_load_b32 v2, v[0:1], off
	s_mov_b32 s2, 0
	s_wait_loadcnt 0x0
	v_cvt_f32_u32_e32 v2, v2
	s_delay_alu instid0(VALU_DEP_1)
	v_cvt_f16_f32_e32 v2, v2
	s_branch .LBB190_415
.LBB190_413:
	s_mov_b32 s2, -1
                                        ; implicit-def: $vgpr2
	s_branch .LBB190_418
.LBB190_414:
	s_mov_b32 s2, -1
                                        ; implicit-def: $vgpr2
.LBB190_415:
	s_delay_alu instid0(SALU_CYCLE_1)
	s_and_not1_b32 vcc_lo, exec_lo, s2
	s_cbranch_vccnz .LBB190_417
; %bb.416:
	s_wait_loadcnt 0x0
	global_load_u16 v2, v[0:1], off
	s_wait_loadcnt 0x0
	v_cvt_f16_u16_e32 v2, v2
.LBB190_417:
	s_mov_b32 s2, 0
.LBB190_418:
	s_delay_alu instid0(SALU_CYCLE_1)
	s_and_not1_b32 vcc_lo, exec_lo, s2
	s_cbranch_vccnz .LBB190_426
; %bb.419:
	global_load_u8 v3, v[0:1], off
	s_mov_b32 s2, 0
	s_mov_b32 s20, exec_lo
	s_wait_loadcnt 0x0
	v_cmpx_lt_i16_e32 0x7f, v3
	s_xor_b32 s20, exec_lo, s20
	s_cbranch_execz .LBB190_440
; %bb.420:
	s_mov_b32 s2, -1
	s_mov_b32 s22, exec_lo
	v_cmpx_eq_u16_e32 0x80, v3
; %bb.421:
	s_xor_b32 s2, exec_lo, -1
; %bb.422:
	s_or_b32 exec_lo, exec_lo, s22
	s_delay_alu instid0(SALU_CYCLE_1)
	s_and_b32 s2, s2, exec_lo
	s_or_saveexec_b32 s20, s20
	v_mov_b32_e32 v2, 0x7e00
	s_xor_b32 exec_lo, exec_lo, s20
	s_cbranch_execnz .LBB190_441
.LBB190_423:
	s_or_b32 exec_lo, exec_lo, s20
	s_and_saveexec_b32 s20, s2
	s_cbranch_execz .LBB190_425
.LBB190_424:
	v_and_b32_e32 v2, 0xffff, v3
	s_delay_alu instid0(VALU_DEP_1) | instskip(SKIP_1) | instid1(VALU_DEP_2)
	v_dual_lshlrev_b32 v3, 24, v3 :: v_dual_bitop2_b32 v5, 7, v2 bitop3:0x40
	v_bfe_u32 v8, v2, 3, 4
	v_and_b32_e32 v3, 0x80000000, v3
	s_delay_alu instid0(VALU_DEP_3) | instskip(NEXT) | instid1(VALU_DEP_3)
	v_clz_i32_u32_e32 v6, v5
	v_cmp_eq_u32_e32 vcc_lo, 0, v8
	s_delay_alu instid0(VALU_DEP_2) | instskip(NEXT) | instid1(VALU_DEP_1)
	v_min_u32_e32 v6, 32, v6
	v_subrev_nc_u32_e32 v7, 28, v6
	v_sub_nc_u32_e32 v6, 29, v6
	s_delay_alu instid0(VALU_DEP_2) | instskip(NEXT) | instid1(VALU_DEP_2)
	v_lshlrev_b32_e32 v2, v7, v2
	v_cndmask_b32_e32 v6, v8, v6, vcc_lo
	s_delay_alu instid0(VALU_DEP_2) | instskip(NEXT) | instid1(VALU_DEP_1)
	v_and_b32_e32 v2, 7, v2
	v_cndmask_b32_e32 v2, v5, v2, vcc_lo
	s_delay_alu instid0(VALU_DEP_3) | instskip(NEXT) | instid1(VALU_DEP_2)
	v_lshl_add_u32 v5, v6, 23, 0x3b800000
	v_lshlrev_b32_e32 v2, 20, v2
	s_delay_alu instid0(VALU_DEP_1) | instskip(NEXT) | instid1(VALU_DEP_1)
	v_or3_b32 v2, v3, v5, v2
	v_cvt_f16_f32_e32 v2, v2
.LBB190_425:
	s_or_b32 exec_lo, exec_lo, s20
.LBB190_426:
	s_mov_b32 s2, -1
.LBB190_427:
	s_mov_b32 s20, 0
.LBB190_428:
	s_delay_alu instid0(SALU_CYCLE_1)
	s_and_b32 vcc_lo, exec_lo, s20
	s_cbranch_vccz .LBB190_463
; %bb.429:
	s_cmp_gt_i32 s1, 22
	s_cbranch_scc0 .LBB190_439
; %bb.430:
	s_cmp_lt_i32 s1, 24
	s_cbranch_scc1 .LBB190_442
; %bb.431:
	s_cmp_gt_i32 s1, 24
	s_cbranch_scc0 .LBB190_443
; %bb.432:
	global_load_u8 v3, v[0:1], off
	s_mov_b32 s2, 0
	s_mov_b32 s20, exec_lo
	s_wait_loadcnt 0x0
	v_cmpx_lt_i16_e32 0x7f, v3
	s_xor_b32 s20, exec_lo, s20
	s_cbranch_execz .LBB190_455
; %bb.433:
	s_mov_b32 s2, -1
	s_mov_b32 s22, exec_lo
	v_cmpx_eq_u16_e32 0x80, v3
; %bb.434:
	s_xor_b32 s2, exec_lo, -1
; %bb.435:
	s_or_b32 exec_lo, exec_lo, s22
	s_delay_alu instid0(SALU_CYCLE_1)
	s_and_b32 s2, s2, exec_lo
	s_or_saveexec_b32 s20, s20
	v_mov_b32_e32 v2, 0x7e00
	s_xor_b32 exec_lo, exec_lo, s20
	s_cbranch_execnz .LBB190_456
.LBB190_436:
	s_or_b32 exec_lo, exec_lo, s20
	s_and_saveexec_b32 s20, s2
	s_cbranch_execz .LBB190_438
.LBB190_437:
	v_and_b32_e32 v2, 0xffff, v3
	s_delay_alu instid0(VALU_DEP_1) | instskip(SKIP_1) | instid1(VALU_DEP_2)
	v_dual_lshlrev_b32 v3, 24, v3 :: v_dual_bitop2_b32 v5, 3, v2 bitop3:0x40
	v_bfe_u32 v8, v2, 2, 5
	v_and_b32_e32 v3, 0x80000000, v3
	s_delay_alu instid0(VALU_DEP_3) | instskip(NEXT) | instid1(VALU_DEP_3)
	v_clz_i32_u32_e32 v6, v5
	v_cmp_eq_u32_e32 vcc_lo, 0, v8
	s_delay_alu instid0(VALU_DEP_2) | instskip(NEXT) | instid1(VALU_DEP_1)
	v_min_u32_e32 v6, 32, v6
	v_subrev_nc_u32_e32 v7, 29, v6
	v_sub_nc_u32_e32 v6, 30, v6
	s_delay_alu instid0(VALU_DEP_2) | instskip(NEXT) | instid1(VALU_DEP_2)
	v_lshlrev_b32_e32 v2, v7, v2
	v_cndmask_b32_e32 v6, v8, v6, vcc_lo
	s_delay_alu instid0(VALU_DEP_2) | instskip(NEXT) | instid1(VALU_DEP_1)
	v_and_b32_e32 v2, 3, v2
	v_cndmask_b32_e32 v2, v5, v2, vcc_lo
	s_delay_alu instid0(VALU_DEP_3) | instskip(NEXT) | instid1(VALU_DEP_2)
	v_lshl_add_u32 v5, v6, 23, 0x37800000
	v_lshlrev_b32_e32 v2, 21, v2
	s_delay_alu instid0(VALU_DEP_1) | instskip(NEXT) | instid1(VALU_DEP_1)
	v_or3_b32 v2, v3, v5, v2
	v_cvt_f16_f32_e32 v2, v2
.LBB190_438:
	s_or_b32 exec_lo, exec_lo, s20
	s_mov_b32 s2, 0
	s_branch .LBB190_444
.LBB190_439:
	s_mov_b32 s20, -1
                                        ; implicit-def: $vgpr2
	s_branch .LBB190_450
.LBB190_440:
	s_or_saveexec_b32 s20, s20
	v_mov_b32_e32 v2, 0x7e00
	s_xor_b32 exec_lo, exec_lo, s20
	s_cbranch_execz .LBB190_423
.LBB190_441:
	v_cmp_ne_u16_e32 vcc_lo, 0, v3
	v_mov_b32_e32 v2, v3
	s_and_not1_b32 s2, s2, exec_lo
	s_and_b32 s22, vcc_lo, exec_lo
	s_delay_alu instid0(SALU_CYCLE_1)
	s_or_b32 s2, s2, s22
	s_or_b32 exec_lo, exec_lo, s20
	s_and_saveexec_b32 s20, s2
	s_cbranch_execnz .LBB190_424
	s_branch .LBB190_425
.LBB190_442:
	s_mov_b32 s2, -1
                                        ; implicit-def: $vgpr2
	s_branch .LBB190_447
.LBB190_443:
	s_mov_b32 s2, -1
                                        ; implicit-def: $vgpr2
.LBB190_444:
	s_delay_alu instid0(SALU_CYCLE_1)
	s_and_b32 vcc_lo, exec_lo, s2
	s_cbranch_vccz .LBB190_446
; %bb.445:
	s_wait_loadcnt 0x0
	global_load_u8 v2, v[0:1], off
	s_wait_loadcnt 0x0
	v_lshlrev_b32_e32 v2, 24, v2
	s_delay_alu instid0(VALU_DEP_1) | instskip(NEXT) | instid1(VALU_DEP_1)
	v_and_b32_e32 v3, 0x7f000000, v2
	v_clz_i32_u32_e32 v5, v3
	v_add_nc_u32_e32 v7, 0x1000000, v3
	v_cmp_ne_u32_e32 vcc_lo, 0, v3
	s_delay_alu instid0(VALU_DEP_3) | instskip(NEXT) | instid1(VALU_DEP_1)
	v_min_u32_e32 v5, 32, v5
	v_sub_nc_u32_e64 v5, v5, 4 clamp
	s_delay_alu instid0(VALU_DEP_1) | instskip(NEXT) | instid1(VALU_DEP_1)
	v_dual_lshlrev_b32 v6, v5, v3 :: v_dual_lshlrev_b32 v5, 23, v5
	v_lshrrev_b32_e32 v6, 4, v6
	s_delay_alu instid0(VALU_DEP_1) | instskip(NEXT) | instid1(VALU_DEP_1)
	v_dual_sub_nc_u32 v5, v6, v5 :: v_dual_ashrrev_i32 v6, 8, v7
	v_add_nc_u32_e32 v5, 0x3c000000, v5
	s_delay_alu instid0(VALU_DEP_1) | instskip(NEXT) | instid1(VALU_DEP_1)
	v_and_or_b32 v5, 0x7f800000, v6, v5
	v_cndmask_b32_e32 v3, 0, v5, vcc_lo
	s_delay_alu instid0(VALU_DEP_1) | instskip(NEXT) | instid1(VALU_DEP_1)
	v_and_or_b32 v2, 0x80000000, v2, v3
	v_cvt_f16_f32_e32 v2, v2
.LBB190_446:
	s_mov_b32 s2, 0
.LBB190_447:
	s_delay_alu instid0(SALU_CYCLE_1)
	s_and_not1_b32 vcc_lo, exec_lo, s2
	s_cbranch_vccnz .LBB190_449
; %bb.448:
	s_wait_loadcnt 0x0
	global_load_u8 v2, v[0:1], off
	s_wait_loadcnt 0x0
	v_lshlrev_b32_e32 v3, 25, v2
	v_lshlrev_b16 v2, 8, v2
	s_delay_alu instid0(VALU_DEP_2) | instskip(NEXT) | instid1(VALU_DEP_2)
	v_cmp_gt_u32_e32 vcc_lo, 0x8000000, v3
	v_and_or_b32 v6, 0x7f00, v2, 0.5
	v_lshrrev_b32_e32 v5, 4, v3
	v_bfe_i32 v2, v2, 0, 16
	s_delay_alu instid0(VALU_DEP_3) | instskip(NEXT) | instid1(VALU_DEP_3)
	v_add_f32_e32 v6, -0.5, v6
	v_or_b32_e32 v5, 0x70000000, v5
	s_delay_alu instid0(VALU_DEP_1) | instskip(NEXT) | instid1(VALU_DEP_1)
	v_mul_f32_e32 v5, 0x7800000, v5
	v_cndmask_b32_e32 v3, v5, v6, vcc_lo
	s_delay_alu instid0(VALU_DEP_1) | instskip(NEXT) | instid1(VALU_DEP_1)
	v_and_or_b32 v2, 0x80000000, v2, v3
	v_cvt_f16_f32_e32 v2, v2
.LBB190_449:
	s_mov_b32 s20, 0
	s_mov_b32 s2, -1
.LBB190_450:
	s_and_not1_b32 vcc_lo, exec_lo, s20
	s_cbranch_vccnz .LBB190_463
; %bb.451:
	s_cmp_gt_i32 s1, 14
	s_cbranch_scc0 .LBB190_454
; %bb.452:
	s_cmp_eq_u32 s1, 15
	s_cbranch_scc0 .LBB190_457
; %bb.453:
	s_wait_loadcnt 0x0
	global_load_u16 v2, v[0:1], off
	s_mov_b32 s2, -1
	s_mov_b32 s19, 0
	s_wait_loadcnt 0x0
	v_lshlrev_b32_e32 v2, 16, v2
	s_delay_alu instid0(VALU_DEP_1)
	v_cvt_f16_f32_e32 v2, v2
	s_branch .LBB190_458
.LBB190_454:
	s_mov_b32 s20, -1
                                        ; implicit-def: $vgpr2
	s_branch .LBB190_459
.LBB190_455:
	s_or_saveexec_b32 s20, s20
	v_mov_b32_e32 v2, 0x7e00
	s_xor_b32 exec_lo, exec_lo, s20
	s_cbranch_execz .LBB190_436
.LBB190_456:
	v_cmp_ne_u16_e32 vcc_lo, 0, v3
	v_mov_b32_e32 v2, v3
	s_and_not1_b32 s2, s2, exec_lo
	s_and_b32 s22, vcc_lo, exec_lo
	s_delay_alu instid0(SALU_CYCLE_1)
	s_or_b32 s2, s2, s22
	s_or_b32 exec_lo, exec_lo, s20
	s_and_saveexec_b32 s20, s2
	s_cbranch_execnz .LBB190_437
	s_branch .LBB190_438
.LBB190_457:
	s_mov_b32 s19, -1
                                        ; implicit-def: $vgpr2
.LBB190_458:
	s_mov_b32 s20, 0
.LBB190_459:
	s_delay_alu instid0(SALU_CYCLE_1)
	s_and_b32 vcc_lo, exec_lo, s20
	s_cbranch_vccz .LBB190_463
; %bb.460:
	s_cmp_eq_u32 s1, 11
	s_cbranch_scc0 .LBB190_462
; %bb.461:
	s_wait_loadcnt 0x0
	global_load_u8 v2, v[0:1], off
	s_mov_b32 s19, 0
	s_mov_b32 s2, -1
	s_wait_loadcnt 0x0
	v_cmp_ne_u16_e32 vcc_lo, 0, v2
	v_cndmask_b32_e64 v2, 0, 0x3c00, vcc_lo
	s_branch .LBB190_463
.LBB190_462:
	s_mov_b32 s19, -1
                                        ; implicit-def: $vgpr2
.LBB190_463:
	s_branch .LBB190_265
.LBB190_464:
	s_cmp_lt_i32 s1, 5
	s_cbranch_scc1 .LBB190_469
; %bb.465:
	s_cmp_lt_i32 s1, 8
	s_cbranch_scc1 .LBB190_470
; %bb.466:
	;; [unrolled: 3-line block ×3, first 2 shown]
	s_cmp_gt_i32 s1, 9
	s_cbranch_scc0 .LBB190_472
; %bb.468:
	s_wait_loadcnt 0x0
	global_load_b64 v[2:3], v[0:1], off
	s_mov_b32 s2, 0
	s_wait_loadcnt 0x0
	v_and_or_b32 v2, 0x1ff, v3, v2
	v_lshrrev_b32_e32 v5, 8, v3
	v_bfe_u32 v6, v3, 20, 11
	v_lshrrev_b32_e32 v3, 16, v3
	s_delay_alu instid0(VALU_DEP_4) | instskip(NEXT) | instid1(VALU_DEP_3)
	v_cmp_ne_u32_e32 vcc_lo, 0, v2
	v_sub_nc_u32_e32 v7, 0x3f1, v6
	v_add_nc_u32_e32 v6, 0xfffffc10, v6
	v_cndmask_b32_e64 v2, 0, 1, vcc_lo
	s_delay_alu instid0(VALU_DEP_1) | instskip(NEXT) | instid1(VALU_DEP_4)
	v_and_or_b32 v2, 0xffe, v5, v2
	v_med3_i32 v5, v7, 0, 13
	s_delay_alu instid0(VALU_DEP_2) | instskip(NEXT) | instid1(VALU_DEP_1)
	v_or_b32_e32 v7, 0x1000, v2
	v_lshrrev_b32_e32 v8, v5, v7
	s_delay_alu instid0(VALU_DEP_1) | instskip(NEXT) | instid1(VALU_DEP_1)
	v_lshlrev_b32_e32 v5, v5, v8
	v_cmp_ne_u32_e32 vcc_lo, v5, v7
	v_lshl_or_b32 v7, v6, 12, v2
	v_cndmask_b32_e64 v5, 0, 1, vcc_lo
	v_cmp_gt_i32_e32 vcc_lo, 1, v6
	s_delay_alu instid0(VALU_DEP_2) | instskip(NEXT) | instid1(VALU_DEP_1)
	v_or_b32_e32 v5, v8, v5
	v_cndmask_b32_e32 v5, v7, v5, vcc_lo
	s_delay_alu instid0(VALU_DEP_1) | instskip(NEXT) | instid1(VALU_DEP_1)
	v_dual_lshrrev_b32 v5, 2, v5 :: v_dual_bitop2_b32 v7, 7, v5 bitop3:0x40
	v_cmp_lt_i32_e32 vcc_lo, 5, v7
	v_cndmask_b32_e64 v8, 0, 1, vcc_lo
	v_cmp_eq_u32_e32 vcc_lo, 3, v7
	v_cndmask_b32_e64 v7, 0, 1, vcc_lo
	v_cmp_ne_u32_e32 vcc_lo, 0, v2
	s_delay_alu instid0(VALU_DEP_2) | instskip(NEXT) | instid1(VALU_DEP_1)
	v_or_b32_e32 v7, v7, v8
	v_dual_mov_b32 v8, 0x7e00 :: v_dual_add_nc_u32 v5, v5, v7
	s_delay_alu instid0(VALU_DEP_1) | instskip(SKIP_1) | instid1(VALU_DEP_3)
	v_cndmask_b32_e32 v2, 0x7c00, v8, vcc_lo
	v_cmp_gt_i32_e32 vcc_lo, 31, v6
	v_cndmask_b32_e32 v5, 0x7c00, v5, vcc_lo
	v_cmp_eq_u32_e32 vcc_lo, 0x40f, v6
	s_delay_alu instid0(VALU_DEP_2) | instskip(NEXT) | instid1(VALU_DEP_1)
	v_cndmask_b32_e32 v2, v5, v2, vcc_lo
	v_and_or_b32 v2, 0x8000, v3, v2
	s_branch .LBB190_473
.LBB190_469:
	s_mov_b32 s2, -1
                                        ; implicit-def: $vgpr2
	s_branch .LBB190_491
.LBB190_470:
	s_mov_b32 s2, -1
                                        ; implicit-def: $vgpr2
	s_branch .LBB190_479
.LBB190_471:
	s_mov_b32 s2, -1
                                        ; implicit-def: $vgpr2
	s_branch .LBB190_476
.LBB190_472:
	s_mov_b32 s2, -1
                                        ; implicit-def: $vgpr2
.LBB190_473:
	s_delay_alu instid0(SALU_CYCLE_1)
	s_and_not1_b32 vcc_lo, exec_lo, s2
	s_cbranch_vccnz .LBB190_475
; %bb.474:
	s_wait_loadcnt 0x0
	global_load_b32 v2, v[0:1], off
	s_wait_loadcnt 0x0
	v_cvt_f16_f32_e32 v2, v2
.LBB190_475:
	s_mov_b32 s2, 0
.LBB190_476:
	s_delay_alu instid0(SALU_CYCLE_1)
	s_and_not1_b32 vcc_lo, exec_lo, s2
	s_cbranch_vccnz .LBB190_478
; %bb.477:
	s_wait_loadcnt 0x0
	global_load_b32 v2, v[0:1], off
.LBB190_478:
	s_mov_b32 s2, 0
.LBB190_479:
	s_delay_alu instid0(SALU_CYCLE_1)
	s_and_not1_b32 vcc_lo, exec_lo, s2
	s_cbranch_vccnz .LBB190_490
; %bb.480:
	s_cmp_lt_i32 s1, 6
	s_cbranch_scc1 .LBB190_483
; %bb.481:
	s_cmp_gt_i32 s1, 6
	s_cbranch_scc0 .LBB190_484
; %bb.482:
	s_wait_loadcnt 0x0
	global_load_b64 v[2:3], v[0:1], off
	s_mov_b32 s2, 0
	s_wait_loadcnt 0x0
	v_and_or_b32 v2, 0x1ff, v3, v2
	v_lshrrev_b32_e32 v5, 8, v3
	v_bfe_u32 v6, v3, 20, 11
	v_lshrrev_b32_e32 v3, 16, v3
	s_delay_alu instid0(VALU_DEP_4) | instskip(NEXT) | instid1(VALU_DEP_3)
	v_cmp_ne_u32_e32 vcc_lo, 0, v2
	v_sub_nc_u32_e32 v7, 0x3f1, v6
	v_add_nc_u32_e32 v6, 0xfffffc10, v6
	v_cndmask_b32_e64 v2, 0, 1, vcc_lo
	s_delay_alu instid0(VALU_DEP_1) | instskip(NEXT) | instid1(VALU_DEP_4)
	v_and_or_b32 v2, 0xffe, v5, v2
	v_med3_i32 v5, v7, 0, 13
	s_delay_alu instid0(VALU_DEP_2) | instskip(NEXT) | instid1(VALU_DEP_1)
	v_or_b32_e32 v7, 0x1000, v2
	v_lshrrev_b32_e32 v8, v5, v7
	s_delay_alu instid0(VALU_DEP_1) | instskip(NEXT) | instid1(VALU_DEP_1)
	v_lshlrev_b32_e32 v5, v5, v8
	v_cmp_ne_u32_e32 vcc_lo, v5, v7
	v_lshl_or_b32 v7, v6, 12, v2
	v_cndmask_b32_e64 v5, 0, 1, vcc_lo
	v_cmp_gt_i32_e32 vcc_lo, 1, v6
	s_delay_alu instid0(VALU_DEP_2) | instskip(NEXT) | instid1(VALU_DEP_1)
	v_or_b32_e32 v5, v8, v5
	v_cndmask_b32_e32 v5, v7, v5, vcc_lo
	s_delay_alu instid0(VALU_DEP_1) | instskip(NEXT) | instid1(VALU_DEP_1)
	v_dual_lshrrev_b32 v5, 2, v5 :: v_dual_bitop2_b32 v7, 7, v5 bitop3:0x40
	v_cmp_lt_i32_e32 vcc_lo, 5, v7
	v_cndmask_b32_e64 v8, 0, 1, vcc_lo
	v_cmp_eq_u32_e32 vcc_lo, 3, v7
	v_cndmask_b32_e64 v7, 0, 1, vcc_lo
	v_cmp_ne_u32_e32 vcc_lo, 0, v2
	s_delay_alu instid0(VALU_DEP_2) | instskip(NEXT) | instid1(VALU_DEP_1)
	v_or_b32_e32 v7, v7, v8
	v_dual_mov_b32 v8, 0x7e00 :: v_dual_add_nc_u32 v5, v5, v7
	s_delay_alu instid0(VALU_DEP_1) | instskip(SKIP_1) | instid1(VALU_DEP_3)
	v_cndmask_b32_e32 v2, 0x7c00, v8, vcc_lo
	v_cmp_gt_i32_e32 vcc_lo, 31, v6
	v_cndmask_b32_e32 v5, 0x7c00, v5, vcc_lo
	v_cmp_eq_u32_e32 vcc_lo, 0x40f, v6
	s_delay_alu instid0(VALU_DEP_2) | instskip(NEXT) | instid1(VALU_DEP_1)
	v_cndmask_b32_e32 v2, v5, v2, vcc_lo
	v_and_or_b32 v2, 0x8000, v3, v2
	s_branch .LBB190_485
.LBB190_483:
	s_mov_b32 s2, -1
                                        ; implicit-def: $vgpr2
	s_branch .LBB190_488
.LBB190_484:
	s_mov_b32 s2, -1
                                        ; implicit-def: $vgpr2
.LBB190_485:
	s_delay_alu instid0(SALU_CYCLE_1)
	s_and_not1_b32 vcc_lo, exec_lo, s2
	s_cbranch_vccnz .LBB190_487
; %bb.486:
	s_wait_loadcnt 0x0
	global_load_b32 v2, v[0:1], off
	s_wait_loadcnt 0x0
	v_cvt_f16_f32_e32 v2, v2
.LBB190_487:
	s_mov_b32 s2, 0
.LBB190_488:
	s_delay_alu instid0(SALU_CYCLE_1)
	s_and_not1_b32 vcc_lo, exec_lo, s2
	s_cbranch_vccnz .LBB190_490
; %bb.489:
	s_wait_loadcnt 0x0
	global_load_u16 v2, v[0:1], off
.LBB190_490:
	s_mov_b32 s2, 0
.LBB190_491:
	s_delay_alu instid0(SALU_CYCLE_1)
	s_and_not1_b32 vcc_lo, exec_lo, s2
	s_cbranch_vccnz .LBB190_511
; %bb.492:
	s_cmp_lt_i32 s1, 2
	s_cbranch_scc1 .LBB190_496
; %bb.493:
	s_cmp_lt_i32 s1, 3
	s_cbranch_scc1 .LBB190_497
; %bb.494:
	s_cmp_gt_i32 s1, 3
	s_cbranch_scc0 .LBB190_498
; %bb.495:
	s_wait_loadcnt 0x0
	global_load_b64 v[2:3], v[0:1], off
	s_mov_b32 s2, 0
	s_wait_loadcnt 0x0
	v_xor_b32_e32 v5, v2, v3
	v_cls_i32_e32 v6, v3
	s_delay_alu instid0(VALU_DEP_2) | instskip(NEXT) | instid1(VALU_DEP_1)
	v_ashrrev_i32_e32 v5, 31, v5
	v_add_nc_u32_e32 v5, 32, v5
	s_delay_alu instid0(VALU_DEP_1) | instskip(NEXT) | instid1(VALU_DEP_1)
	v_add_min_u32_e64 v5, v6, -1, v5
	v_lshlrev_b64_e32 v[2:3], v5, v[2:3]
	s_delay_alu instid0(VALU_DEP_1) | instskip(NEXT) | instid1(VALU_DEP_1)
	v_min_u32_e32 v2, 1, v2
	v_dual_sub_nc_u32 v3, 32, v5 :: v_dual_bitop2_b32 v2, v3, v2 bitop3:0x54
	s_delay_alu instid0(VALU_DEP_1) | instskip(NEXT) | instid1(VALU_DEP_1)
	v_cvt_f32_i32_e32 v2, v2
	v_ldexp_f32 v2, v2, v3
	s_delay_alu instid0(VALU_DEP_1)
	v_cvt_f16_f32_e32 v2, v2
	s_branch .LBB190_499
.LBB190_496:
	s_mov_b32 s2, -1
                                        ; implicit-def: $vgpr2
	s_branch .LBB190_505
.LBB190_497:
	s_mov_b32 s2, -1
                                        ; implicit-def: $vgpr2
	s_branch .LBB190_502
.LBB190_498:
	s_mov_b32 s2, -1
                                        ; implicit-def: $vgpr2
.LBB190_499:
	s_delay_alu instid0(SALU_CYCLE_1)
	s_and_not1_b32 vcc_lo, exec_lo, s2
	s_cbranch_vccnz .LBB190_501
; %bb.500:
	s_wait_loadcnt 0x0
	global_load_b32 v2, v[0:1], off
	s_wait_loadcnt 0x0
	v_cvt_f32_i32_e32 v2, v2
	s_delay_alu instid0(VALU_DEP_1)
	v_cvt_f16_f32_e32 v2, v2
.LBB190_501:
	s_mov_b32 s2, 0
.LBB190_502:
	s_delay_alu instid0(SALU_CYCLE_1)
	s_and_not1_b32 vcc_lo, exec_lo, s2
	s_cbranch_vccnz .LBB190_504
; %bb.503:
	s_wait_loadcnt 0x0
	global_load_u16 v2, v[0:1], off
	s_wait_loadcnt 0x0
	v_cvt_f16_i16_e32 v2, v2
.LBB190_504:
	s_mov_b32 s2, 0
.LBB190_505:
	s_delay_alu instid0(SALU_CYCLE_1)
	s_and_not1_b32 vcc_lo, exec_lo, s2
	s_cbranch_vccnz .LBB190_511
; %bb.506:
	s_cmp_gt_i32 s1, 0
	s_mov_b32 s1, 0
	s_cbranch_scc0 .LBB190_508
; %bb.507:
	s_wait_loadcnt 0x0
	global_load_i8 v2, v[0:1], off
	s_wait_loadcnt 0x0
	v_cvt_f16_i16_e32 v2, v2
	s_branch .LBB190_509
.LBB190_508:
	s_mov_b32 s1, -1
                                        ; implicit-def: $vgpr2
.LBB190_509:
	s_delay_alu instid0(SALU_CYCLE_1)
	s_and_not1_b32 vcc_lo, exec_lo, s1
	s_cbranch_vccnz .LBB190_511
; %bb.510:
	global_load_u8 v0, v[0:1], off
	s_wait_loadcnt 0x0
	v_cvt_f16_u16_e32 v2, v0
.LBB190_511:
	s_branch .LBB190_266
.LBB190_512:
	s_mov_b32 s1, 0
	s_mov_b32 s2, s15
.LBB190_513:
                                        ; implicit-def: $vgpr4
.LBB190_514:
	s_and_not1_b32 s20, s15, exec_lo
	s_and_b32 s2, s2, exec_lo
	s_and_not1_b32 s22, s17, exec_lo
	s_and_b32 s19, s19, exec_lo
	s_or_b32 s20, s20, s2
	s_or_b32 s19, s22, s19
	s_or_not1_b32 s23, s1, exec_lo
.LBB190_515:
	s_wait_xcnt 0x0
	s_or_b32 exec_lo, exec_lo, s21
	s_mov_b32 s1, 0
	s_mov_b32 s2, 0
	;; [unrolled: 1-line block ×3, first 2 shown]
                                        ; implicit-def: $vgpr0_vgpr1
                                        ; implicit-def: $vgpr2
	s_and_saveexec_b32 s21, s23
	s_cbranch_execz .LBB190_862
; %bb.516:
	s_mov_b32 s26, -1
	s_mov_b32 s1, s19
	s_mov_b32 s2, s20
	s_mov_b32 s22, exec_lo
	v_cmpx_gt_i32_e64 s16, v4
	s_cbranch_execz .LBB190_776
; %bb.517:
	v_mul_lo_u32 v0, v4, s9
	s_and_b32 s1, 0xffff, s13
	s_delay_alu instid0(SALU_CYCLE_1) | instskip(NEXT) | instid1(VALU_DEP_1)
	s_cmp_lt_i32 s1, 11
	v_ashrrev_i32_e32 v1, 31, v0
	s_delay_alu instid0(VALU_DEP_1)
	v_add_nc_u64_e32 v[0:1], s[6:7], v[0:1]
	s_cbranch_scc1 .LBB190_524
; %bb.518:
	s_cmp_gt_i32 s1, 25
	s_cbranch_scc0 .LBB190_525
; %bb.519:
	s_cmp_gt_i32 s1, 28
	s_cbranch_scc0 .LBB190_526
	;; [unrolled: 3-line block ×4, first 2 shown]
; %bb.522:
	s_cmp_eq_u32 s1, 46
	s_mov_b32 s24, 0
	s_cbranch_scc0 .LBB190_533
; %bb.523:
	s_wait_loadcnt 0x0
	global_load_b32 v2, v[0:1], off
	s_mov_b32 s2, -1
	s_mov_b32 s23, 0
	s_wait_loadcnt 0x0
	v_lshlrev_b32_e32 v2, 16, v2
	s_delay_alu instid0(VALU_DEP_1)
	v_cvt_f16_f32_e32 v2, v2
	s_branch .LBB190_535
.LBB190_524:
	s_mov_b32 s24, -1
	s_mov_b32 s2, 0
	s_mov_b32 s23, s19
                                        ; implicit-def: $vgpr2
	s_branch .LBB190_600
.LBB190_525:
	s_mov_b32 s24, -1
	s_mov_b32 s2, 0
	s_mov_b32 s23, s19
                                        ; implicit-def: $vgpr2
	s_branch .LBB190_564
.LBB190_526:
	s_mov_b32 s24, -1
	s_mov_b32 s2, 0
	s_mov_b32 s23, s19
                                        ; implicit-def: $vgpr2
	s_branch .LBB190_545
.LBB190_527:
	s_mov_b32 s24, -1
	s_mov_b32 s2, 0
	s_mov_b32 s23, s19
                                        ; implicit-def: $vgpr2
	s_branch .LBB190_540
.LBB190_528:
	s_and_not1_saveexec_b32 s25, s25
	s_cbranch_execz .LBB190_312
.LBB190_529:
	v_add_f32_e32 v2, 0x46000000, v3
	s_and_not1_b32 s24, s24, exec_lo
	s_delay_alu instid0(VALU_DEP_1) | instskip(NEXT) | instid1(VALU_DEP_1)
	v_and_b32_e32 v2, 0xff, v2
	v_cmp_ne_u32_e32 vcc_lo, 0, v2
	s_and_b32 s26, vcc_lo, exec_lo
	s_delay_alu instid0(SALU_CYCLE_1)
	s_or_b32 s24, s24, s26
	s_or_b32 exec_lo, exec_lo, s25
	v_mov_b32_e32 v5, 0
	s_and_saveexec_b32 s25, s24
	s_cbranch_execnz .LBB190_313
	s_branch .LBB190_314
.LBB190_530:
	s_mov_b32 s24, -1
	s_mov_b32 s2, 0
	s_mov_b32 s23, s19
	s_branch .LBB190_534
.LBB190_531:
	s_and_not1_saveexec_b32 s25, s25
	s_cbranch_execz .LBB190_325
.LBB190_532:
	v_add_f32_e32 v2, 0x42800000, v3
	s_and_not1_b32 s24, s24, exec_lo
	s_delay_alu instid0(VALU_DEP_1) | instskip(NEXT) | instid1(VALU_DEP_1)
	v_and_b32_e32 v2, 0xff, v2
	v_cmp_ne_u32_e32 vcc_lo, 0, v2
	s_and_b32 s26, vcc_lo, exec_lo
	s_delay_alu instid0(SALU_CYCLE_1)
	s_or_b32 s24, s24, s26
	s_or_b32 exec_lo, exec_lo, s25
	v_mov_b32_e32 v5, 0
	s_and_saveexec_b32 s25, s24
	s_cbranch_execnz .LBB190_326
	s_branch .LBB190_327
.LBB190_533:
	s_mov_b32 s23, -1
	s_mov_b32 s2, 0
.LBB190_534:
                                        ; implicit-def: $vgpr2
.LBB190_535:
	s_and_b32 vcc_lo, exec_lo, s24
	s_cbranch_vccz .LBB190_539
; %bb.536:
	s_cmp_eq_u32 s1, 44
	s_cbranch_scc0 .LBB190_538
; %bb.537:
	s_wait_loadcnt 0x0
	global_load_u8 v2, v[0:1], off
	s_mov_b32 s23, 0
	s_mov_b32 s2, -1
	s_wait_loadcnt 0x0
	v_lshlrev_b32_e32 v3, 23, v2
	v_cmp_ne_u32_e32 vcc_lo, 0xff, v2
	s_delay_alu instid0(VALU_DEP_2) | instskip(NEXT) | instid1(VALU_DEP_1)
	v_cvt_f16_f32_e32 v3, v3
	v_cndmask_b32_e32 v3, 0x7e00, v3, vcc_lo
	v_cmp_ne_u32_e32 vcc_lo, 0, v2
	s_delay_alu instid0(VALU_DEP_2)
	v_cndmask_b32_e32 v2, 0, v3, vcc_lo
	s_branch .LBB190_539
.LBB190_538:
	s_mov_b32 s23, -1
                                        ; implicit-def: $vgpr2
.LBB190_539:
	s_mov_b32 s24, 0
.LBB190_540:
	s_delay_alu instid0(SALU_CYCLE_1)
	s_and_b32 vcc_lo, exec_lo, s24
	s_cbranch_vccz .LBB190_544
; %bb.541:
	s_cmp_eq_u32 s1, 29
	s_cbranch_scc0 .LBB190_543
; %bb.542:
	s_wait_loadcnt 0x0
	global_load_b64 v[2:3], v[0:1], off
	s_mov_b32 s2, -1
	s_mov_b32 s23, 0
	s_mov_b32 s24, 0
	s_wait_loadcnt 0x0
	v_clz_i32_u32_e32 v5, v3
	s_delay_alu instid0(VALU_DEP_1) | instskip(NEXT) | instid1(VALU_DEP_1)
	v_min_u32_e32 v5, 32, v5
	v_lshlrev_b64_e32 v[2:3], v5, v[2:3]
	s_delay_alu instid0(VALU_DEP_1) | instskip(NEXT) | instid1(VALU_DEP_1)
	v_min_u32_e32 v2, 1, v2
	v_dual_sub_nc_u32 v3, 32, v5 :: v_dual_bitop2_b32 v2, v3, v2 bitop3:0x54
	s_delay_alu instid0(VALU_DEP_1) | instskip(NEXT) | instid1(VALU_DEP_1)
	v_cvt_f32_u32_e32 v2, v2
	v_ldexp_f32 v2, v2, v3
	s_delay_alu instid0(VALU_DEP_1)
	v_cvt_f16_f32_e32 v2, v2
	s_branch .LBB190_545
.LBB190_543:
	s_mov_b32 s23, -1
                                        ; implicit-def: $vgpr2
.LBB190_544:
	s_mov_b32 s24, 0
.LBB190_545:
	s_delay_alu instid0(SALU_CYCLE_1)
	s_and_b32 vcc_lo, exec_lo, s24
	s_cbranch_vccz .LBB190_563
; %bb.546:
	s_cmp_lt_i32 s1, 27
	s_cbranch_scc1 .LBB190_549
; %bb.547:
	s_cmp_gt_i32 s1, 27
	s_cbranch_scc0 .LBB190_550
; %bb.548:
	s_wait_loadcnt 0x0
	global_load_b32 v2, v[0:1], off
	s_mov_b32 s2, 0
	s_wait_loadcnt 0x0
	v_cvt_f32_u32_e32 v2, v2
	s_delay_alu instid0(VALU_DEP_1)
	v_cvt_f16_f32_e32 v2, v2
	s_branch .LBB190_551
.LBB190_549:
	s_mov_b32 s2, -1
                                        ; implicit-def: $vgpr2
	s_branch .LBB190_554
.LBB190_550:
	s_mov_b32 s2, -1
                                        ; implicit-def: $vgpr2
.LBB190_551:
	s_delay_alu instid0(SALU_CYCLE_1)
	s_and_not1_b32 vcc_lo, exec_lo, s2
	s_cbranch_vccnz .LBB190_553
; %bb.552:
	s_wait_loadcnt 0x0
	global_load_u16 v2, v[0:1], off
	s_wait_loadcnt 0x0
	v_cvt_f16_u16_e32 v2, v2
.LBB190_553:
	s_mov_b32 s2, 0
.LBB190_554:
	s_delay_alu instid0(SALU_CYCLE_1)
	s_and_not1_b32 vcc_lo, exec_lo, s2
	s_cbranch_vccnz .LBB190_562
; %bb.555:
	global_load_u8 v3, v[0:1], off
	s_mov_b32 s2, 0
	s_mov_b32 s24, exec_lo
	s_wait_loadcnt 0x0
	v_cmpx_lt_i16_e32 0x7f, v3
	s_xor_b32 s24, exec_lo, s24
	s_cbranch_execz .LBB190_576
; %bb.556:
	s_mov_b32 s2, -1
	s_mov_b32 s25, exec_lo
	v_cmpx_eq_u16_e32 0x80, v3
; %bb.557:
	s_xor_b32 s2, exec_lo, -1
; %bb.558:
	s_or_b32 exec_lo, exec_lo, s25
	s_delay_alu instid0(SALU_CYCLE_1)
	s_and_b32 s2, s2, exec_lo
	s_or_saveexec_b32 s24, s24
	v_mov_b32_e32 v2, 0x7e00
	s_xor_b32 exec_lo, exec_lo, s24
	s_cbranch_execnz .LBB190_577
.LBB190_559:
	s_or_b32 exec_lo, exec_lo, s24
	s_and_saveexec_b32 s24, s2
	s_cbranch_execz .LBB190_561
.LBB190_560:
	v_and_b32_e32 v2, 0xffff, v3
	s_delay_alu instid0(VALU_DEP_1) | instskip(SKIP_1) | instid1(VALU_DEP_2)
	v_dual_lshlrev_b32 v3, 24, v3 :: v_dual_bitop2_b32 v5, 7, v2 bitop3:0x40
	v_bfe_u32 v8, v2, 3, 4
	v_and_b32_e32 v3, 0x80000000, v3
	s_delay_alu instid0(VALU_DEP_3) | instskip(NEXT) | instid1(VALU_DEP_3)
	v_clz_i32_u32_e32 v6, v5
	v_cmp_eq_u32_e32 vcc_lo, 0, v8
	s_delay_alu instid0(VALU_DEP_2) | instskip(NEXT) | instid1(VALU_DEP_1)
	v_min_u32_e32 v6, 32, v6
	v_subrev_nc_u32_e32 v7, 28, v6
	v_sub_nc_u32_e32 v6, 29, v6
	s_delay_alu instid0(VALU_DEP_2) | instskip(NEXT) | instid1(VALU_DEP_2)
	v_lshlrev_b32_e32 v2, v7, v2
	v_cndmask_b32_e32 v6, v8, v6, vcc_lo
	s_delay_alu instid0(VALU_DEP_2) | instskip(NEXT) | instid1(VALU_DEP_1)
	v_and_b32_e32 v2, 7, v2
	v_cndmask_b32_e32 v2, v5, v2, vcc_lo
	s_delay_alu instid0(VALU_DEP_3) | instskip(NEXT) | instid1(VALU_DEP_2)
	v_lshl_add_u32 v5, v6, 23, 0x3b800000
	v_lshlrev_b32_e32 v2, 20, v2
	s_delay_alu instid0(VALU_DEP_1) | instskip(NEXT) | instid1(VALU_DEP_1)
	v_or3_b32 v2, v3, v5, v2
	v_cvt_f16_f32_e32 v2, v2
.LBB190_561:
	s_or_b32 exec_lo, exec_lo, s24
.LBB190_562:
	s_mov_b32 s2, -1
.LBB190_563:
	s_mov_b32 s24, 0
.LBB190_564:
	s_delay_alu instid0(SALU_CYCLE_1)
	s_and_b32 vcc_lo, exec_lo, s24
	s_cbranch_vccz .LBB190_599
; %bb.565:
	s_cmp_gt_i32 s1, 22
	s_cbranch_scc0 .LBB190_575
; %bb.566:
	s_cmp_lt_i32 s1, 24
	s_cbranch_scc1 .LBB190_578
; %bb.567:
	s_cmp_gt_i32 s1, 24
	s_cbranch_scc0 .LBB190_579
; %bb.568:
	global_load_u8 v3, v[0:1], off
	s_mov_b32 s2, 0
	s_mov_b32 s24, exec_lo
	s_wait_loadcnt 0x0
	v_cmpx_lt_i16_e32 0x7f, v3
	s_xor_b32 s24, exec_lo, s24
	s_cbranch_execz .LBB190_591
; %bb.569:
	s_mov_b32 s2, -1
	s_mov_b32 s25, exec_lo
	v_cmpx_eq_u16_e32 0x80, v3
; %bb.570:
	s_xor_b32 s2, exec_lo, -1
; %bb.571:
	s_or_b32 exec_lo, exec_lo, s25
	s_delay_alu instid0(SALU_CYCLE_1)
	s_and_b32 s2, s2, exec_lo
	s_or_saveexec_b32 s24, s24
	v_mov_b32_e32 v2, 0x7e00
	s_xor_b32 exec_lo, exec_lo, s24
	s_cbranch_execnz .LBB190_592
.LBB190_572:
	s_or_b32 exec_lo, exec_lo, s24
	s_and_saveexec_b32 s24, s2
	s_cbranch_execz .LBB190_574
.LBB190_573:
	v_and_b32_e32 v2, 0xffff, v3
	s_delay_alu instid0(VALU_DEP_1) | instskip(SKIP_1) | instid1(VALU_DEP_2)
	v_dual_lshlrev_b32 v3, 24, v3 :: v_dual_bitop2_b32 v5, 3, v2 bitop3:0x40
	v_bfe_u32 v8, v2, 2, 5
	v_and_b32_e32 v3, 0x80000000, v3
	s_delay_alu instid0(VALU_DEP_3) | instskip(NEXT) | instid1(VALU_DEP_3)
	v_clz_i32_u32_e32 v6, v5
	v_cmp_eq_u32_e32 vcc_lo, 0, v8
	s_delay_alu instid0(VALU_DEP_2) | instskip(NEXT) | instid1(VALU_DEP_1)
	v_min_u32_e32 v6, 32, v6
	v_subrev_nc_u32_e32 v7, 29, v6
	v_sub_nc_u32_e32 v6, 30, v6
	s_delay_alu instid0(VALU_DEP_2) | instskip(NEXT) | instid1(VALU_DEP_2)
	v_lshlrev_b32_e32 v2, v7, v2
	v_cndmask_b32_e32 v6, v8, v6, vcc_lo
	s_delay_alu instid0(VALU_DEP_2) | instskip(NEXT) | instid1(VALU_DEP_1)
	v_and_b32_e32 v2, 3, v2
	v_cndmask_b32_e32 v2, v5, v2, vcc_lo
	s_delay_alu instid0(VALU_DEP_3) | instskip(NEXT) | instid1(VALU_DEP_2)
	v_lshl_add_u32 v5, v6, 23, 0x37800000
	v_lshlrev_b32_e32 v2, 21, v2
	s_delay_alu instid0(VALU_DEP_1) | instskip(NEXT) | instid1(VALU_DEP_1)
	v_or3_b32 v2, v3, v5, v2
	v_cvt_f16_f32_e32 v2, v2
.LBB190_574:
	s_or_b32 exec_lo, exec_lo, s24
	s_mov_b32 s2, 0
	s_branch .LBB190_580
.LBB190_575:
	s_mov_b32 s24, -1
                                        ; implicit-def: $vgpr2
	s_branch .LBB190_586
.LBB190_576:
	s_or_saveexec_b32 s24, s24
	v_mov_b32_e32 v2, 0x7e00
	s_xor_b32 exec_lo, exec_lo, s24
	s_cbranch_execz .LBB190_559
.LBB190_577:
	v_cmp_ne_u16_e32 vcc_lo, 0, v3
	v_mov_b32_e32 v2, v3
	s_and_not1_b32 s2, s2, exec_lo
	s_and_b32 s25, vcc_lo, exec_lo
	s_delay_alu instid0(SALU_CYCLE_1)
	s_or_b32 s2, s2, s25
	s_or_b32 exec_lo, exec_lo, s24
	s_and_saveexec_b32 s24, s2
	s_cbranch_execnz .LBB190_560
	s_branch .LBB190_561
.LBB190_578:
	s_mov_b32 s2, -1
                                        ; implicit-def: $vgpr2
	s_branch .LBB190_583
.LBB190_579:
	s_mov_b32 s2, -1
                                        ; implicit-def: $vgpr2
.LBB190_580:
	s_delay_alu instid0(SALU_CYCLE_1)
	s_and_b32 vcc_lo, exec_lo, s2
	s_cbranch_vccz .LBB190_582
; %bb.581:
	s_wait_loadcnt 0x0
	global_load_u8 v2, v[0:1], off
	s_wait_loadcnt 0x0
	v_lshlrev_b32_e32 v2, 24, v2
	s_delay_alu instid0(VALU_DEP_1) | instskip(NEXT) | instid1(VALU_DEP_1)
	v_and_b32_e32 v3, 0x7f000000, v2
	v_clz_i32_u32_e32 v5, v3
	v_add_nc_u32_e32 v7, 0x1000000, v3
	v_cmp_ne_u32_e32 vcc_lo, 0, v3
	s_delay_alu instid0(VALU_DEP_3) | instskip(NEXT) | instid1(VALU_DEP_1)
	v_min_u32_e32 v5, 32, v5
	v_sub_nc_u32_e64 v5, v5, 4 clamp
	s_delay_alu instid0(VALU_DEP_1) | instskip(NEXT) | instid1(VALU_DEP_1)
	v_dual_lshlrev_b32 v6, v5, v3 :: v_dual_lshlrev_b32 v5, 23, v5
	v_lshrrev_b32_e32 v6, 4, v6
	s_delay_alu instid0(VALU_DEP_1) | instskip(NEXT) | instid1(VALU_DEP_1)
	v_dual_sub_nc_u32 v5, v6, v5 :: v_dual_ashrrev_i32 v6, 8, v7
	v_add_nc_u32_e32 v5, 0x3c000000, v5
	s_delay_alu instid0(VALU_DEP_1) | instskip(NEXT) | instid1(VALU_DEP_1)
	v_and_or_b32 v5, 0x7f800000, v6, v5
	v_cndmask_b32_e32 v3, 0, v5, vcc_lo
	s_delay_alu instid0(VALU_DEP_1) | instskip(NEXT) | instid1(VALU_DEP_1)
	v_and_or_b32 v2, 0x80000000, v2, v3
	v_cvt_f16_f32_e32 v2, v2
.LBB190_582:
	s_mov_b32 s2, 0
.LBB190_583:
	s_delay_alu instid0(SALU_CYCLE_1)
	s_and_not1_b32 vcc_lo, exec_lo, s2
	s_cbranch_vccnz .LBB190_585
; %bb.584:
	s_wait_loadcnt 0x0
	global_load_u8 v2, v[0:1], off
	s_wait_loadcnt 0x0
	v_lshlrev_b32_e32 v3, 25, v2
	v_lshlrev_b16 v2, 8, v2
	s_delay_alu instid0(VALU_DEP_2) | instskip(NEXT) | instid1(VALU_DEP_2)
	v_cmp_gt_u32_e32 vcc_lo, 0x8000000, v3
	v_and_or_b32 v6, 0x7f00, v2, 0.5
	v_lshrrev_b32_e32 v5, 4, v3
	v_bfe_i32 v2, v2, 0, 16
	s_delay_alu instid0(VALU_DEP_3) | instskip(NEXT) | instid1(VALU_DEP_3)
	v_add_f32_e32 v6, -0.5, v6
	v_or_b32_e32 v5, 0x70000000, v5
	s_delay_alu instid0(VALU_DEP_1) | instskip(NEXT) | instid1(VALU_DEP_1)
	v_mul_f32_e32 v5, 0x7800000, v5
	v_cndmask_b32_e32 v3, v5, v6, vcc_lo
	s_delay_alu instid0(VALU_DEP_1) | instskip(NEXT) | instid1(VALU_DEP_1)
	v_and_or_b32 v2, 0x80000000, v2, v3
	v_cvt_f16_f32_e32 v2, v2
.LBB190_585:
	s_mov_b32 s24, 0
	s_mov_b32 s2, -1
.LBB190_586:
	s_and_not1_b32 vcc_lo, exec_lo, s24
	s_cbranch_vccnz .LBB190_599
; %bb.587:
	s_cmp_gt_i32 s1, 14
	s_cbranch_scc0 .LBB190_590
; %bb.588:
	s_cmp_eq_u32 s1, 15
	s_cbranch_scc0 .LBB190_593
; %bb.589:
	s_wait_loadcnt 0x0
	global_load_u16 v2, v[0:1], off
	s_mov_b32 s2, -1
	s_mov_b32 s23, 0
	s_wait_loadcnt 0x0
	v_lshlrev_b32_e32 v2, 16, v2
	s_delay_alu instid0(VALU_DEP_1)
	v_cvt_f16_f32_e32 v2, v2
	s_branch .LBB190_594
.LBB190_590:
	s_mov_b32 s24, -1
                                        ; implicit-def: $vgpr2
	s_branch .LBB190_595
.LBB190_591:
	s_or_saveexec_b32 s24, s24
	v_mov_b32_e32 v2, 0x7e00
	s_xor_b32 exec_lo, exec_lo, s24
	s_cbranch_execz .LBB190_572
.LBB190_592:
	v_cmp_ne_u16_e32 vcc_lo, 0, v3
	v_mov_b32_e32 v2, v3
	s_and_not1_b32 s2, s2, exec_lo
	s_and_b32 s25, vcc_lo, exec_lo
	s_delay_alu instid0(SALU_CYCLE_1)
	s_or_b32 s2, s2, s25
	s_or_b32 exec_lo, exec_lo, s24
	s_and_saveexec_b32 s24, s2
	s_cbranch_execnz .LBB190_573
	s_branch .LBB190_574
.LBB190_593:
	s_mov_b32 s23, -1
                                        ; implicit-def: $vgpr2
.LBB190_594:
	s_mov_b32 s24, 0
.LBB190_595:
	s_delay_alu instid0(SALU_CYCLE_1)
	s_and_b32 vcc_lo, exec_lo, s24
	s_cbranch_vccz .LBB190_599
; %bb.596:
	s_cmp_eq_u32 s1, 11
	s_cbranch_scc0 .LBB190_598
; %bb.597:
	s_wait_loadcnt 0x0
	global_load_u8 v2, v[0:1], off
	s_mov_b32 s23, 0
	s_mov_b32 s2, -1
	s_wait_loadcnt 0x0
	v_cmp_ne_u16_e32 vcc_lo, 0, v2
	v_cndmask_b32_e64 v2, 0, 0x3c00, vcc_lo
	s_branch .LBB190_599
.LBB190_598:
	s_mov_b32 s23, -1
                                        ; implicit-def: $vgpr2
.LBB190_599:
	s_mov_b32 s24, 0
.LBB190_600:
	s_delay_alu instid0(SALU_CYCLE_1)
	s_and_b32 vcc_lo, exec_lo, s24
	s_cbranch_vccz .LBB190_649
; %bb.601:
	s_cmp_lt_i32 s1, 5
	s_cbranch_scc1 .LBB190_606
; %bb.602:
	s_cmp_lt_i32 s1, 8
	s_cbranch_scc1 .LBB190_607
	;; [unrolled: 3-line block ×3, first 2 shown]
; %bb.604:
	s_cmp_gt_i32 s1, 9
	s_cbranch_scc0 .LBB190_609
; %bb.605:
	s_wait_loadcnt 0x0
	global_load_b64 v[2:3], v[0:1], off
	s_mov_b32 s2, 0
	s_wait_loadcnt 0x0
	v_and_or_b32 v2, 0x1ff, v3, v2
	v_lshrrev_b32_e32 v5, 8, v3
	v_bfe_u32 v6, v3, 20, 11
	v_lshrrev_b32_e32 v3, 16, v3
	s_delay_alu instid0(VALU_DEP_4) | instskip(NEXT) | instid1(VALU_DEP_3)
	v_cmp_ne_u32_e32 vcc_lo, 0, v2
	v_sub_nc_u32_e32 v7, 0x3f1, v6
	v_add_nc_u32_e32 v6, 0xfffffc10, v6
	v_cndmask_b32_e64 v2, 0, 1, vcc_lo
	s_delay_alu instid0(VALU_DEP_1) | instskip(NEXT) | instid1(VALU_DEP_4)
	v_and_or_b32 v2, 0xffe, v5, v2
	v_med3_i32 v5, v7, 0, 13
	s_delay_alu instid0(VALU_DEP_2) | instskip(NEXT) | instid1(VALU_DEP_1)
	v_or_b32_e32 v7, 0x1000, v2
	v_lshrrev_b32_e32 v8, v5, v7
	s_delay_alu instid0(VALU_DEP_1) | instskip(NEXT) | instid1(VALU_DEP_1)
	v_lshlrev_b32_e32 v5, v5, v8
	v_cmp_ne_u32_e32 vcc_lo, v5, v7
	v_lshl_or_b32 v7, v6, 12, v2
	v_cndmask_b32_e64 v5, 0, 1, vcc_lo
	v_cmp_gt_i32_e32 vcc_lo, 1, v6
	s_delay_alu instid0(VALU_DEP_2) | instskip(NEXT) | instid1(VALU_DEP_1)
	v_or_b32_e32 v5, v8, v5
	v_cndmask_b32_e32 v5, v7, v5, vcc_lo
	s_delay_alu instid0(VALU_DEP_1) | instskip(NEXT) | instid1(VALU_DEP_1)
	v_dual_lshrrev_b32 v5, 2, v5 :: v_dual_bitop2_b32 v7, 7, v5 bitop3:0x40
	v_cmp_lt_i32_e32 vcc_lo, 5, v7
	v_cndmask_b32_e64 v8, 0, 1, vcc_lo
	v_cmp_eq_u32_e32 vcc_lo, 3, v7
	v_cndmask_b32_e64 v7, 0, 1, vcc_lo
	v_cmp_ne_u32_e32 vcc_lo, 0, v2
	s_delay_alu instid0(VALU_DEP_2) | instskip(NEXT) | instid1(VALU_DEP_1)
	v_or_b32_e32 v7, v7, v8
	v_dual_mov_b32 v8, 0x7e00 :: v_dual_add_nc_u32 v5, v5, v7
	s_delay_alu instid0(VALU_DEP_1) | instskip(SKIP_1) | instid1(VALU_DEP_3)
	v_cndmask_b32_e32 v2, 0x7c00, v8, vcc_lo
	v_cmp_gt_i32_e32 vcc_lo, 31, v6
	v_cndmask_b32_e32 v5, 0x7c00, v5, vcc_lo
	v_cmp_eq_u32_e32 vcc_lo, 0x40f, v6
	s_delay_alu instid0(VALU_DEP_2) | instskip(NEXT) | instid1(VALU_DEP_1)
	v_cndmask_b32_e32 v2, v5, v2, vcc_lo
	v_and_or_b32 v2, 0x8000, v3, v2
	s_branch .LBB190_610
.LBB190_606:
	s_mov_b32 s2, -1
                                        ; implicit-def: $vgpr2
	s_branch .LBB190_628
.LBB190_607:
	s_mov_b32 s2, -1
                                        ; implicit-def: $vgpr2
	s_branch .LBB190_616
.LBB190_608:
	s_mov_b32 s2, -1
                                        ; implicit-def: $vgpr2
	s_branch .LBB190_613
.LBB190_609:
	s_mov_b32 s2, -1
                                        ; implicit-def: $vgpr2
.LBB190_610:
	s_delay_alu instid0(SALU_CYCLE_1)
	s_and_not1_b32 vcc_lo, exec_lo, s2
	s_cbranch_vccnz .LBB190_612
; %bb.611:
	s_wait_loadcnt 0x0
	global_load_b32 v2, v[0:1], off
	s_wait_loadcnt 0x0
	v_cvt_f16_f32_e32 v2, v2
.LBB190_612:
	s_mov_b32 s2, 0
.LBB190_613:
	s_delay_alu instid0(SALU_CYCLE_1)
	s_and_not1_b32 vcc_lo, exec_lo, s2
	s_cbranch_vccnz .LBB190_615
; %bb.614:
	s_wait_loadcnt 0x0
	global_load_b32 v2, v[0:1], off
.LBB190_615:
	s_mov_b32 s2, 0
.LBB190_616:
	s_delay_alu instid0(SALU_CYCLE_1)
	s_and_not1_b32 vcc_lo, exec_lo, s2
	s_cbranch_vccnz .LBB190_627
; %bb.617:
	s_cmp_lt_i32 s1, 6
	s_cbranch_scc1 .LBB190_620
; %bb.618:
	s_cmp_gt_i32 s1, 6
	s_cbranch_scc0 .LBB190_621
; %bb.619:
	s_wait_loadcnt 0x0
	global_load_b64 v[2:3], v[0:1], off
	s_mov_b32 s2, 0
	s_wait_loadcnt 0x0
	v_and_or_b32 v2, 0x1ff, v3, v2
	v_lshrrev_b32_e32 v5, 8, v3
	v_bfe_u32 v6, v3, 20, 11
	v_lshrrev_b32_e32 v3, 16, v3
	s_delay_alu instid0(VALU_DEP_4) | instskip(NEXT) | instid1(VALU_DEP_3)
	v_cmp_ne_u32_e32 vcc_lo, 0, v2
	v_sub_nc_u32_e32 v7, 0x3f1, v6
	v_add_nc_u32_e32 v6, 0xfffffc10, v6
	v_cndmask_b32_e64 v2, 0, 1, vcc_lo
	s_delay_alu instid0(VALU_DEP_1) | instskip(NEXT) | instid1(VALU_DEP_4)
	v_and_or_b32 v2, 0xffe, v5, v2
	v_med3_i32 v5, v7, 0, 13
	s_delay_alu instid0(VALU_DEP_2) | instskip(NEXT) | instid1(VALU_DEP_1)
	v_or_b32_e32 v7, 0x1000, v2
	v_lshrrev_b32_e32 v8, v5, v7
	s_delay_alu instid0(VALU_DEP_1) | instskip(NEXT) | instid1(VALU_DEP_1)
	v_lshlrev_b32_e32 v5, v5, v8
	v_cmp_ne_u32_e32 vcc_lo, v5, v7
	v_lshl_or_b32 v7, v6, 12, v2
	v_cndmask_b32_e64 v5, 0, 1, vcc_lo
	v_cmp_gt_i32_e32 vcc_lo, 1, v6
	s_delay_alu instid0(VALU_DEP_2) | instskip(NEXT) | instid1(VALU_DEP_1)
	v_or_b32_e32 v5, v8, v5
	v_cndmask_b32_e32 v5, v7, v5, vcc_lo
	s_delay_alu instid0(VALU_DEP_1) | instskip(NEXT) | instid1(VALU_DEP_1)
	v_dual_lshrrev_b32 v5, 2, v5 :: v_dual_bitop2_b32 v7, 7, v5 bitop3:0x40
	v_cmp_lt_i32_e32 vcc_lo, 5, v7
	v_cndmask_b32_e64 v8, 0, 1, vcc_lo
	v_cmp_eq_u32_e32 vcc_lo, 3, v7
	v_cndmask_b32_e64 v7, 0, 1, vcc_lo
	v_cmp_ne_u32_e32 vcc_lo, 0, v2
	s_delay_alu instid0(VALU_DEP_2) | instskip(NEXT) | instid1(VALU_DEP_1)
	v_or_b32_e32 v7, v7, v8
	v_dual_mov_b32 v8, 0x7e00 :: v_dual_add_nc_u32 v5, v5, v7
	s_delay_alu instid0(VALU_DEP_1) | instskip(SKIP_1) | instid1(VALU_DEP_3)
	v_cndmask_b32_e32 v2, 0x7c00, v8, vcc_lo
	v_cmp_gt_i32_e32 vcc_lo, 31, v6
	v_cndmask_b32_e32 v5, 0x7c00, v5, vcc_lo
	v_cmp_eq_u32_e32 vcc_lo, 0x40f, v6
	s_delay_alu instid0(VALU_DEP_2) | instskip(NEXT) | instid1(VALU_DEP_1)
	v_cndmask_b32_e32 v2, v5, v2, vcc_lo
	v_and_or_b32 v2, 0x8000, v3, v2
	s_branch .LBB190_622
.LBB190_620:
	s_mov_b32 s2, -1
                                        ; implicit-def: $vgpr2
	s_branch .LBB190_625
.LBB190_621:
	s_mov_b32 s2, -1
                                        ; implicit-def: $vgpr2
.LBB190_622:
	s_delay_alu instid0(SALU_CYCLE_1)
	s_and_not1_b32 vcc_lo, exec_lo, s2
	s_cbranch_vccnz .LBB190_624
; %bb.623:
	s_wait_loadcnt 0x0
	global_load_b32 v2, v[0:1], off
	s_wait_loadcnt 0x0
	v_cvt_f16_f32_e32 v2, v2
.LBB190_624:
	s_mov_b32 s2, 0
.LBB190_625:
	s_delay_alu instid0(SALU_CYCLE_1)
	s_and_not1_b32 vcc_lo, exec_lo, s2
	s_cbranch_vccnz .LBB190_627
; %bb.626:
	s_wait_loadcnt 0x0
	global_load_u16 v2, v[0:1], off
.LBB190_627:
	s_mov_b32 s2, 0
.LBB190_628:
	s_delay_alu instid0(SALU_CYCLE_1)
	s_and_not1_b32 vcc_lo, exec_lo, s2
	s_cbranch_vccnz .LBB190_648
; %bb.629:
	s_cmp_lt_i32 s1, 2
	s_cbranch_scc1 .LBB190_633
; %bb.630:
	s_cmp_lt_i32 s1, 3
	s_cbranch_scc1 .LBB190_634
; %bb.631:
	s_cmp_gt_i32 s1, 3
	s_cbranch_scc0 .LBB190_635
; %bb.632:
	s_wait_loadcnt 0x0
	global_load_b64 v[2:3], v[0:1], off
	s_mov_b32 s2, 0
	s_wait_loadcnt 0x0
	v_xor_b32_e32 v5, v2, v3
	v_cls_i32_e32 v6, v3
	s_delay_alu instid0(VALU_DEP_2) | instskip(NEXT) | instid1(VALU_DEP_1)
	v_ashrrev_i32_e32 v5, 31, v5
	v_add_nc_u32_e32 v5, 32, v5
	s_delay_alu instid0(VALU_DEP_1) | instskip(NEXT) | instid1(VALU_DEP_1)
	v_add_min_u32_e64 v5, v6, -1, v5
	v_lshlrev_b64_e32 v[2:3], v5, v[2:3]
	s_delay_alu instid0(VALU_DEP_1) | instskip(NEXT) | instid1(VALU_DEP_1)
	v_min_u32_e32 v2, 1, v2
	v_dual_sub_nc_u32 v3, 32, v5 :: v_dual_bitop2_b32 v2, v3, v2 bitop3:0x54
	s_delay_alu instid0(VALU_DEP_1) | instskip(NEXT) | instid1(VALU_DEP_1)
	v_cvt_f32_i32_e32 v2, v2
	v_ldexp_f32 v2, v2, v3
	s_delay_alu instid0(VALU_DEP_1)
	v_cvt_f16_f32_e32 v2, v2
	s_branch .LBB190_636
.LBB190_633:
	s_mov_b32 s2, -1
                                        ; implicit-def: $vgpr2
	s_branch .LBB190_642
.LBB190_634:
	s_mov_b32 s2, -1
                                        ; implicit-def: $vgpr2
	s_branch .LBB190_639
.LBB190_635:
	s_mov_b32 s2, -1
                                        ; implicit-def: $vgpr2
.LBB190_636:
	s_delay_alu instid0(SALU_CYCLE_1)
	s_and_not1_b32 vcc_lo, exec_lo, s2
	s_cbranch_vccnz .LBB190_638
; %bb.637:
	s_wait_loadcnt 0x0
	global_load_b32 v2, v[0:1], off
	s_wait_loadcnt 0x0
	v_cvt_f32_i32_e32 v2, v2
	s_delay_alu instid0(VALU_DEP_1)
	v_cvt_f16_f32_e32 v2, v2
.LBB190_638:
	s_mov_b32 s2, 0
.LBB190_639:
	s_delay_alu instid0(SALU_CYCLE_1)
	s_and_not1_b32 vcc_lo, exec_lo, s2
	s_cbranch_vccnz .LBB190_641
; %bb.640:
	s_wait_loadcnt 0x0
	global_load_u16 v2, v[0:1], off
	s_wait_loadcnt 0x0
	v_cvt_f16_i16_e32 v2, v2
.LBB190_641:
	s_mov_b32 s2, 0
.LBB190_642:
	s_delay_alu instid0(SALU_CYCLE_1)
	s_and_not1_b32 vcc_lo, exec_lo, s2
	s_cbranch_vccnz .LBB190_648
; %bb.643:
	s_cmp_gt_i32 s1, 0
	s_mov_b32 s1, 0
	s_cbranch_scc0 .LBB190_645
; %bb.644:
	s_wait_loadcnt 0x0
	global_load_i8 v2, v[0:1], off
	s_wait_loadcnt 0x0
	v_cvt_f16_i16_e32 v2, v2
	s_branch .LBB190_646
.LBB190_645:
	s_mov_b32 s1, -1
                                        ; implicit-def: $vgpr2
.LBB190_646:
	s_delay_alu instid0(SALU_CYCLE_1)
	s_and_not1_b32 vcc_lo, exec_lo, s1
	s_cbranch_vccnz .LBB190_648
; %bb.647:
	global_load_u8 v0, v[0:1], off
	s_wait_loadcnt 0x0
	v_cvt_f16_u16_e32 v2, v0
.LBB190_648:
	s_mov_b32 s2, -1
.LBB190_649:
	s_delay_alu instid0(SALU_CYCLE_1)
	s_and_not1_b32 vcc_lo, exec_lo, s2
	s_cbranch_vccnz .LBB190_657
; %bb.650:
	s_wait_loadcnt 0x0
	v_cmp_eq_f16_e32 vcc_lo, s11, v2
	s_wait_xcnt 0x0
	v_mul_lo_u32 v0, v4, s8
	s_and_b32 s24, s3, 0xff
	s_delay_alu instid0(SALU_CYCLE_1) | instskip(SKIP_3) | instid1(VALU_DEP_1)
	s_cmp_lt_i32 s24, 11
	v_cndmask_b32_e64 v1, 0, 1, vcc_lo
	v_cmp_neq_f16_e32 vcc_lo, s11, v2
	v_cndmask_b32_e64 v2, 0, 1, vcc_lo
	v_dual_cndmask_b32 v2, v2, v1, s0 :: v_dual_ashrrev_i32 v1, 31, v0
	s_delay_alu instid0(VALU_DEP_1) | instskip(NEXT) | instid1(VALU_DEP_2)
	v_and_b32_e32 v2, 1, v2
	v_add_nc_u64_e32 v[0:1], s[4:5], v[0:1]
	s_delay_alu instid0(VALU_DEP_2)
	v_cmp_eq_u32_e64 s1, 1, v2
	s_cbranch_scc1 .LBB190_658
; %bb.651:
	s_and_b32 s25, 0xffff, s24
	s_delay_alu instid0(SALU_CYCLE_1)
	s_cmp_gt_i32 s25, 25
	s_cbranch_scc0 .LBB190_659
; %bb.652:
	s_cmp_gt_i32 s25, 28
	s_cbranch_scc0 .LBB190_660
; %bb.653:
	;; [unrolled: 3-line block ×4, first 2 shown]
	s_mov_b32 s27, 0
	s_mov_b32 s2, -1
	s_cmp_eq_u32 s25, 46
	s_mov_b32 s26, 0
	s_cbranch_scc0 .LBB190_663
; %bb.656:
	v_cndmask_b32_e64 v2, 0, 1.0, s1
	s_mov_b32 s26, -1
	s_mov_b32 s2, 0
	s_delay_alu instid0(VALU_DEP_1) | instskip(NEXT) | instid1(VALU_DEP_1)
	v_bfe_u32 v3, v2, 16, 1
	v_add3_u32 v2, v2, v3, 0x7fff
	s_delay_alu instid0(VALU_DEP_1)
	v_lshrrev_b32_e32 v2, 16, v2
	global_store_b32 v[0:1], v2, off
	s_branch .LBB190_663
.LBB190_657:
	s_mov_b32 s24, 0
	s_mov_b32 s2, s20
	s_branch .LBB190_774
.LBB190_658:
	s_mov_b32 s25, -1
	s_mov_b32 s26, 0
	s_mov_b32 s2, s20
	s_branch .LBB190_732
.LBB190_659:
	s_mov_b32 s27, -1
	s_mov_b32 s26, 0
	s_mov_b32 s2, s20
	s_branch .LBB190_690
.LBB190_660:
	s_mov_b32 s27, -1
	s_mov_b32 s26, 0
	s_mov_b32 s2, s20
	s_branch .LBB190_673
.LBB190_661:
	s_mov_b32 s27, -1
	s_mov_b32 s26, 0
	s_mov_b32 s2, s20
	s_branch .LBB190_669
.LBB190_662:
	s_mov_b32 s27, -1
	s_mov_b32 s26, 0
	s_mov_b32 s2, s20
.LBB190_663:
	s_and_b32 vcc_lo, exec_lo, s27
	s_cbranch_vccz .LBB190_668
; %bb.664:
	s_cmp_eq_u32 s25, 44
	s_mov_b32 s2, -1
	s_cbranch_scc0 .LBB190_668
; %bb.665:
	v_cndmask_b32_e64 v5, 0, 1.0, s1
	s_mov_b32 s26, exec_lo
	s_wait_xcnt 0x0
	s_delay_alu instid0(VALU_DEP_1) | instskip(NEXT) | instid1(VALU_DEP_1)
	v_dual_mov_b32 v3, 0xff :: v_dual_lshrrev_b32 v2, 23, v5
	v_cmpx_ne_u32_e32 0xff, v2
; %bb.666:
	v_and_b32_e32 v3, 0x400000, v5
	v_and_or_b32 v5, 0x3fffff, v5, v2
	s_delay_alu instid0(VALU_DEP_2) | instskip(NEXT) | instid1(VALU_DEP_2)
	v_cmp_ne_u32_e32 vcc_lo, 0, v3
	v_cmp_ne_u32_e64 s2, 0, v5
	s_and_b32 s2, vcc_lo, s2
	s_delay_alu instid0(SALU_CYCLE_1) | instskip(NEXT) | instid1(VALU_DEP_1)
	v_cndmask_b32_e64 v3, 0, 1, s2
	v_add_nc_u32_e32 v3, v2, v3
; %bb.667:
	s_or_b32 exec_lo, exec_lo, s26
	s_mov_b32 s26, -1
	s_mov_b32 s2, 0
	global_store_b8 v[0:1], v3, off
.LBB190_668:
	s_mov_b32 s27, 0
.LBB190_669:
	s_delay_alu instid0(SALU_CYCLE_1)
	s_and_b32 vcc_lo, exec_lo, s27
	s_cbranch_vccz .LBB190_672
; %bb.670:
	s_cmp_eq_u32 s25, 29
	s_mov_b32 s2, -1
	s_cbranch_scc0 .LBB190_672
; %bb.671:
	s_mov_b32 s2, 0
	s_wait_xcnt 0x0
	v_cndmask_b32_e64 v2, 0, 1, s1
	v_mov_b32_e32 v3, s2
	s_mov_b32 s26, -1
	s_mov_b32 s27, 0
	global_store_b64 v[0:1], v[2:3], off
	s_branch .LBB190_673
.LBB190_672:
	s_mov_b32 s27, 0
.LBB190_673:
	s_delay_alu instid0(SALU_CYCLE_1)
	s_and_b32 vcc_lo, exec_lo, s27
	s_cbranch_vccz .LBB190_689
; %bb.674:
	s_cmp_lt_i32 s25, 27
	s_mov_b32 s26, -1
	s_cbranch_scc1 .LBB190_680
; %bb.675:
	s_cmp_gt_i32 s25, 27
	s_cbranch_scc0 .LBB190_677
; %bb.676:
	s_wait_xcnt 0x0
	v_cndmask_b32_e64 v2, 0, 1, s1
	s_mov_b32 s26, 0
	global_store_b32 v[0:1], v2, off
.LBB190_677:
	s_and_not1_b32 vcc_lo, exec_lo, s26
	s_cbranch_vccnz .LBB190_679
; %bb.678:
	s_wait_xcnt 0x0
	v_cndmask_b32_e64 v2, 0, 1, s1
	global_store_b16 v[0:1], v2, off
.LBB190_679:
	s_mov_b32 s26, 0
.LBB190_680:
	s_delay_alu instid0(SALU_CYCLE_1)
	s_and_not1_b32 vcc_lo, exec_lo, s26
	s_cbranch_vccnz .LBB190_688
; %bb.681:
	s_wait_xcnt 0x0
	v_cndmask_b32_e64 v3, 0, 1.0, s1
	v_mov_b32_e32 v5, 0x80
	s_mov_b32 s26, exec_lo
	s_delay_alu instid0(VALU_DEP_2)
	v_cmpx_gt_u32_e32 0x43800000, v3
	s_cbranch_execz .LBB190_687
; %bb.682:
	s_mov_b32 s27, 0
	s_mov_b32 s28, exec_lo
                                        ; implicit-def: $vgpr2
	v_cmpx_lt_u32_e32 0x3bffffff, v3
	s_xor_b32 s28, exec_lo, s28
	s_cbranch_execz .LBB190_789
; %bb.683:
	v_bfe_u32 v2, v3, 20, 1
	s_mov_b32 s27, exec_lo
	s_delay_alu instid0(VALU_DEP_1) | instskip(NEXT) | instid1(VALU_DEP_1)
	v_add3_u32 v2, v3, v2, 0x487ffff
                                        ; implicit-def: $vgpr3
	v_lshrrev_b32_e32 v2, 20, v2
	s_and_not1_saveexec_b32 s28, s28
	s_cbranch_execnz .LBB190_790
.LBB190_684:
	s_or_b32 exec_lo, exec_lo, s28
	v_mov_b32_e32 v5, 0
	s_and_saveexec_b32 s28, s27
.LBB190_685:
	v_mov_b32_e32 v5, v2
.LBB190_686:
	s_or_b32 exec_lo, exec_lo, s28
.LBB190_687:
	s_delay_alu instid0(SALU_CYCLE_1)
	s_or_b32 exec_lo, exec_lo, s26
	global_store_b8 v[0:1], v5, off
.LBB190_688:
	s_mov_b32 s26, -1
.LBB190_689:
	s_mov_b32 s27, 0
.LBB190_690:
	s_delay_alu instid0(SALU_CYCLE_1)
	s_and_b32 vcc_lo, exec_lo, s27
	s_cbranch_vccz .LBB190_731
; %bb.691:
	s_cmp_gt_i32 s25, 22
	s_mov_b32 s27, -1
	s_cbranch_scc0 .LBB190_723
; %bb.692:
	s_cmp_lt_i32 s25, 24
	s_mov_b32 s26, -1
	s_cbranch_scc1 .LBB190_712
; %bb.693:
	s_cmp_gt_i32 s25, 24
	s_cbranch_scc0 .LBB190_701
; %bb.694:
	s_wait_xcnt 0x0
	v_cndmask_b32_e64 v3, 0, 1.0, s1
	v_mov_b32_e32 v5, 0x80
	s_mov_b32 s26, exec_lo
	s_delay_alu instid0(VALU_DEP_2)
	v_cmpx_gt_u32_e32 0x47800000, v3
	s_cbranch_execz .LBB190_700
; %bb.695:
	s_mov_b32 s27, 0
	s_mov_b32 s28, exec_lo
                                        ; implicit-def: $vgpr2
	v_cmpx_lt_u32_e32 0x37ffffff, v3
	s_xor_b32 s28, exec_lo, s28
	s_cbranch_execz .LBB190_792
; %bb.696:
	v_bfe_u32 v2, v3, 21, 1
	s_mov_b32 s27, exec_lo
	s_delay_alu instid0(VALU_DEP_1) | instskip(NEXT) | instid1(VALU_DEP_1)
	v_add3_u32 v2, v3, v2, 0x88fffff
                                        ; implicit-def: $vgpr3
	v_lshrrev_b32_e32 v2, 21, v2
	s_and_not1_saveexec_b32 s28, s28
	s_cbranch_execnz .LBB190_793
.LBB190_697:
	s_or_b32 exec_lo, exec_lo, s28
	v_mov_b32_e32 v5, 0
	s_and_saveexec_b32 s28, s27
.LBB190_698:
	v_mov_b32_e32 v5, v2
.LBB190_699:
	s_or_b32 exec_lo, exec_lo, s28
.LBB190_700:
	s_delay_alu instid0(SALU_CYCLE_1)
	s_or_b32 exec_lo, exec_lo, s26
	s_mov_b32 s26, 0
	global_store_b8 v[0:1], v5, off
.LBB190_701:
	s_and_b32 vcc_lo, exec_lo, s26
	s_cbranch_vccz .LBB190_711
; %bb.702:
	s_wait_xcnt 0x0
	v_cndmask_b32_e64 v3, 0, 1.0, s1
	s_mov_b32 s26, exec_lo
                                        ; implicit-def: $vgpr2
	s_delay_alu instid0(VALU_DEP_1)
	v_cmpx_gt_u32_e32 0x43f00000, v3
	s_xor_b32 s26, exec_lo, s26
	s_cbranch_execz .LBB190_708
; %bb.703:
	s_mov_b32 s27, exec_lo
                                        ; implicit-def: $vgpr2
	v_cmpx_lt_u32_e32 0x3c7fffff, v3
	s_xor_b32 s27, exec_lo, s27
; %bb.704:
	v_bfe_u32 v2, v3, 20, 1
	s_delay_alu instid0(VALU_DEP_1) | instskip(NEXT) | instid1(VALU_DEP_1)
	v_add3_u32 v2, v3, v2, 0x407ffff
	v_and_b32_e32 v3, 0xff00000, v2
	v_lshrrev_b32_e32 v2, 20, v2
	s_delay_alu instid0(VALU_DEP_2) | instskip(NEXT) | instid1(VALU_DEP_2)
	v_cmp_ne_u32_e32 vcc_lo, 0x7f00000, v3
                                        ; implicit-def: $vgpr3
	v_cndmask_b32_e32 v2, 0x7e, v2, vcc_lo
; %bb.705:
	s_and_not1_saveexec_b32 s27, s27
; %bb.706:
	v_add_f32_e32 v2, 0x46800000, v3
; %bb.707:
	s_or_b32 exec_lo, exec_lo, s27
                                        ; implicit-def: $vgpr3
.LBB190_708:
	s_and_not1_saveexec_b32 s26, s26
; %bb.709:
	v_mov_b32_e32 v2, 0x7f
	v_cmp_lt_u32_e32 vcc_lo, 0x7f800000, v3
	s_delay_alu instid0(VALU_DEP_2)
	v_cndmask_b32_e32 v2, 0x7e, v2, vcc_lo
; %bb.710:
	s_or_b32 exec_lo, exec_lo, s26
	global_store_b8 v[0:1], v2, off
.LBB190_711:
	s_mov_b32 s26, 0
.LBB190_712:
	s_delay_alu instid0(SALU_CYCLE_1)
	s_and_not1_b32 vcc_lo, exec_lo, s26
	s_cbranch_vccnz .LBB190_722
; %bb.713:
	s_wait_xcnt 0x0
	v_cndmask_b32_e64 v3, 0, 1.0, s1
	s_mov_b32 s26, exec_lo
                                        ; implicit-def: $vgpr2
	s_delay_alu instid0(VALU_DEP_1)
	v_cmpx_gt_u32_e32 0x47800000, v3
	s_xor_b32 s26, exec_lo, s26
	s_cbranch_execz .LBB190_719
; %bb.714:
	s_mov_b32 s27, exec_lo
                                        ; implicit-def: $vgpr2
	v_cmpx_lt_u32_e32 0x387fffff, v3
	s_xor_b32 s27, exec_lo, s27
; %bb.715:
	v_bfe_u32 v2, v3, 21, 1
	s_delay_alu instid0(VALU_DEP_1) | instskip(NEXT) | instid1(VALU_DEP_1)
	v_add3_u32 v2, v3, v2, 0x80fffff
                                        ; implicit-def: $vgpr3
	v_lshrrev_b32_e32 v2, 21, v2
; %bb.716:
	s_and_not1_saveexec_b32 s27, s27
; %bb.717:
	v_add_f32_e32 v2, 0x43000000, v3
; %bb.718:
	s_or_b32 exec_lo, exec_lo, s27
                                        ; implicit-def: $vgpr3
.LBB190_719:
	s_and_not1_saveexec_b32 s26, s26
; %bb.720:
	v_mov_b32_e32 v2, 0x7f
	v_cmp_lt_u32_e32 vcc_lo, 0x7f800000, v3
	s_delay_alu instid0(VALU_DEP_2)
	v_cndmask_b32_e32 v2, 0x7c, v2, vcc_lo
; %bb.721:
	s_or_b32 exec_lo, exec_lo, s26
	global_store_b8 v[0:1], v2, off
.LBB190_722:
	s_mov_b32 s27, 0
	s_mov_b32 s26, -1
.LBB190_723:
	s_and_not1_b32 vcc_lo, exec_lo, s27
	s_cbranch_vccnz .LBB190_731
; %bb.724:
	s_cmp_gt_i32 s25, 14
	s_mov_b32 s27, -1
	s_cbranch_scc0 .LBB190_728
; %bb.725:
	s_cmp_eq_u32 s25, 15
	s_mov_b32 s2, -1
	s_cbranch_scc0 .LBB190_727
; %bb.726:
	s_wait_xcnt 0x0
	v_cndmask_b32_e64 v2, 0, 1.0, s1
	s_mov_b32 s26, -1
	s_mov_b32 s2, 0
	s_delay_alu instid0(VALU_DEP_1) | instskip(NEXT) | instid1(VALU_DEP_1)
	v_bfe_u32 v3, v2, 16, 1
	v_add3_u32 v2, v2, v3, 0x7fff
	global_store_d16_hi_b16 v[0:1], v2, off
.LBB190_727:
	s_mov_b32 s27, 0
.LBB190_728:
	s_delay_alu instid0(SALU_CYCLE_1)
	s_and_b32 vcc_lo, exec_lo, s27
	s_cbranch_vccz .LBB190_731
; %bb.729:
	s_cmp_eq_u32 s25, 11
	s_mov_b32 s2, -1
	s_cbranch_scc0 .LBB190_731
; %bb.730:
	s_wait_xcnt 0x0
	v_cndmask_b32_e64 v2, 0, 1, s1
	s_mov_b32 s26, -1
	s_mov_b32 s2, 0
	global_store_b8 v[0:1], v2, off
.LBB190_731:
	s_mov_b32 s25, 0
.LBB190_732:
	s_delay_alu instid0(SALU_CYCLE_1)
	s_and_b32 vcc_lo, exec_lo, s25
	s_cbranch_vccz .LBB190_771
; %bb.733:
	s_and_b32 s24, 0xffff, s24
	s_mov_b32 s25, -1
	s_cmp_lt_i32 s24, 5
	s_cbranch_scc1 .LBB190_754
; %bb.734:
	s_cmp_lt_i32 s24, 8
	s_cbranch_scc1 .LBB190_744
; %bb.735:
	;; [unrolled: 3-line block ×3, first 2 shown]
	s_cmp_gt_i32 s24, 9
	s_cbranch_scc0 .LBB190_738
; %bb.737:
	s_wait_xcnt 0x0
	v_cndmask_b32_e64 v2, 0, 1, s1
	v_mov_b32_e32 v8, 0
	s_mov_b32 s25, 0
	s_delay_alu instid0(VALU_DEP_2) | instskip(NEXT) | instid1(VALU_DEP_2)
	v_cvt_f64_u32_e32 v[6:7], v2
	v_mov_b32_e32 v9, v8
	global_store_b128 v[0:1], v[6:9], off
.LBB190_738:
	s_and_not1_b32 vcc_lo, exec_lo, s25
	s_cbranch_vccnz .LBB190_740
; %bb.739:
	s_wait_xcnt 0x0
	v_cndmask_b32_e64 v2, 0, 1.0, s1
	v_mov_b32_e32 v3, 0
	global_store_b64 v[0:1], v[2:3], off
.LBB190_740:
	s_mov_b32 s25, 0
.LBB190_741:
	s_delay_alu instid0(SALU_CYCLE_1)
	s_and_not1_b32 vcc_lo, exec_lo, s25
	s_cbranch_vccnz .LBB190_743
; %bb.742:
	s_wait_xcnt 0x0
	v_cndmask_b32_e64 v2, 0, 1.0, s1
	s_delay_alu instid0(VALU_DEP_1) | instskip(NEXT) | instid1(VALU_DEP_1)
	v_cvt_f16_f32_e32 v2, v2
	v_and_b32_e32 v2, 0xffff, v2
	global_store_b32 v[0:1], v2, off
.LBB190_743:
	s_mov_b32 s25, 0
.LBB190_744:
	s_delay_alu instid0(SALU_CYCLE_1)
	s_and_not1_b32 vcc_lo, exec_lo, s25
	s_cbranch_vccnz .LBB190_753
; %bb.745:
	s_cmp_lt_i32 s24, 6
	s_mov_b32 s25, -1
	s_cbranch_scc1 .LBB190_751
; %bb.746:
	s_cmp_gt_i32 s24, 6
	s_cbranch_scc0 .LBB190_748
; %bb.747:
	s_wait_xcnt 0x0
	v_cndmask_b32_e64 v2, 0, 1, s1
	s_mov_b32 s25, 0
	s_delay_alu instid0(VALU_DEP_1)
	v_cvt_f64_u32_e32 v[2:3], v2
	global_store_b64 v[0:1], v[2:3], off
.LBB190_748:
	s_and_not1_b32 vcc_lo, exec_lo, s25
	s_cbranch_vccnz .LBB190_750
; %bb.749:
	s_wait_xcnt 0x0
	v_cndmask_b32_e64 v2, 0, 1.0, s1
	global_store_b32 v[0:1], v2, off
.LBB190_750:
	s_mov_b32 s25, 0
.LBB190_751:
	s_delay_alu instid0(SALU_CYCLE_1)
	s_and_not1_b32 vcc_lo, exec_lo, s25
	s_cbranch_vccnz .LBB190_753
; %bb.752:
	s_wait_xcnt 0x0
	v_cndmask_b32_e64 v2, 0, 1.0, s1
	s_delay_alu instid0(VALU_DEP_1)
	v_cvt_f16_f32_e32 v2, v2
	global_store_b16 v[0:1], v2, off
.LBB190_753:
	s_mov_b32 s25, 0
.LBB190_754:
	s_delay_alu instid0(SALU_CYCLE_1)
	s_and_not1_b32 vcc_lo, exec_lo, s25
	s_cbranch_vccnz .LBB190_770
; %bb.755:
	s_cmp_lt_i32 s24, 2
	s_mov_b32 s25, -1
	s_cbranch_scc1 .LBB190_765
; %bb.756:
	s_cmp_lt_i32 s24, 3
	s_cbranch_scc1 .LBB190_762
; %bb.757:
	s_cmp_gt_i32 s24, 3
	s_cbranch_scc0 .LBB190_759
; %bb.758:
	s_mov_b32 s25, 0
	s_wait_xcnt 0x0
	v_cndmask_b32_e64 v2, 0, 1, s1
	v_mov_b32_e32 v3, s25
	global_store_b64 v[0:1], v[2:3], off
.LBB190_759:
	s_and_not1_b32 vcc_lo, exec_lo, s25
	s_cbranch_vccnz .LBB190_761
; %bb.760:
	s_wait_xcnt 0x0
	v_cndmask_b32_e64 v2, 0, 1, s1
	global_store_b32 v[0:1], v2, off
.LBB190_761:
	s_mov_b32 s25, 0
.LBB190_762:
	s_delay_alu instid0(SALU_CYCLE_1)
	s_and_not1_b32 vcc_lo, exec_lo, s25
	s_cbranch_vccnz .LBB190_764
; %bb.763:
	s_wait_xcnt 0x0
	v_cndmask_b32_e64 v2, 0, 1, s1
	global_store_b16 v[0:1], v2, off
.LBB190_764:
	s_mov_b32 s25, 0
.LBB190_765:
	s_delay_alu instid0(SALU_CYCLE_1)
	s_and_not1_b32 vcc_lo, exec_lo, s25
	s_cbranch_vccnz .LBB190_770
; %bb.766:
	s_wait_xcnt 0x0
	v_cndmask_b32_e64 v2, 0, 1, s1
	s_cmp_gt_i32 s24, 0
	s_mov_b32 s1, -1
	s_cbranch_scc0 .LBB190_768
; %bb.767:
	s_mov_b32 s1, 0
	global_store_b8 v[0:1], v2, off
.LBB190_768:
	s_and_not1_b32 vcc_lo, exec_lo, s1
	s_cbranch_vccnz .LBB190_770
; %bb.769:
	global_store_b8 v[0:1], v2, off
.LBB190_770:
	s_mov_b32 s26, -1
.LBB190_771:
	s_delay_alu instid0(SALU_CYCLE_1)
	s_and_not1_b32 vcc_lo, exec_lo, s26
	s_cbranch_vccnz .LBB190_773
; %bb.772:
	v_add_nc_u32_e32 v4, 0x80, v4
	s_mov_b32 s24, -1
	s_branch .LBB190_775
.LBB190_773:
	s_mov_b32 s24, 0
.LBB190_774:
                                        ; implicit-def: $vgpr4
.LBB190_775:
	s_and_not1_b32 s1, s20, exec_lo
	s_and_b32 s2, s2, exec_lo
	s_and_not1_b32 s25, s19, exec_lo
	s_and_b32 s23, s23, exec_lo
	s_or_b32 s2, s1, s2
	s_or_b32 s1, s25, s23
	s_or_not1_b32 s26, s24, exec_lo
.LBB190_776:
	s_wait_xcnt 0x0
	s_or_b32 exec_lo, exec_lo, s22
	s_mov_b32 s23, 0
	s_mov_b32 s24, 0
	;; [unrolled: 1-line block ×3, first 2 shown]
                                        ; implicit-def: $vgpr0_vgpr1
                                        ; implicit-def: $vgpr2
	s_and_saveexec_b32 s22, s26
	s_cbranch_execz .LBB190_861
; %bb.777:
	v_cmp_gt_i32_e32 vcc_lo, s16, v4
	s_mov_b32 s27, s1
	s_mov_b32 s26, 0
	;; [unrolled: 1-line block ×3, first 2 shown]
                                        ; implicit-def: $vgpr0_vgpr1
                                        ; implicit-def: $vgpr2
	s_and_saveexec_b32 s16, vcc_lo
	s_cbranch_execz .LBB190_860
; %bb.778:
	v_mul_lo_u32 v0, v4, s9
	s_and_b32 s23, 0xffff, s13
	s_delay_alu instid0(SALU_CYCLE_1) | instskip(NEXT) | instid1(VALU_DEP_1)
	s_cmp_lt_i32 s23, 11
	v_ashrrev_i32_e32 v1, 31, v0
	s_delay_alu instid0(VALU_DEP_1)
	v_add_nc_u64_e32 v[0:1], s[6:7], v[0:1]
	s_cbranch_scc1 .LBB190_785
; %bb.779:
	s_cmp_gt_i32 s23, 25
	s_cbranch_scc0 .LBB190_786
; %bb.780:
	s_cmp_gt_i32 s23, 28
	s_cbranch_scc0 .LBB190_787
	;; [unrolled: 3-line block ×4, first 2 shown]
; %bb.783:
	s_cmp_eq_u32 s23, 46
	s_mov_b32 s27, 0
	s_cbranch_scc0 .LBB190_794
; %bb.784:
	s_wait_loadcnt 0x0
	global_load_b32 v2, v[0:1], off
	s_mov_b32 s26, -1
	s_wait_loadcnt 0x0
	v_lshlrev_b32_e32 v2, 16, v2
	s_delay_alu instid0(VALU_DEP_1)
	v_cvt_f16_f32_e32 v2, v2
	s_branch .LBB190_796
.LBB190_785:
	s_mov_b32 s23, -1
	s_mov_b32 s24, s1
                                        ; implicit-def: $vgpr2
	s_branch .LBB190_859
.LBB190_786:
	s_mov_b32 s27, -1
	s_mov_b32 s24, s1
                                        ; implicit-def: $vgpr2
	s_branch .LBB190_825
.LBB190_787:
	s_mov_b32 s27, -1
	s_mov_b32 s24, s1
                                        ; implicit-def: $vgpr2
	s_branch .LBB190_806
.LBB190_788:
	s_mov_b32 s27, -1
	s_mov_b32 s24, s1
                                        ; implicit-def: $vgpr2
	s_branch .LBB190_801
.LBB190_789:
	s_and_not1_saveexec_b32 s28, s28
	s_cbranch_execz .LBB190_684
.LBB190_790:
	v_add_f32_e32 v2, 0x46000000, v3
	s_and_not1_b32 s27, s27, exec_lo
	s_delay_alu instid0(VALU_DEP_1) | instskip(NEXT) | instid1(VALU_DEP_1)
	v_and_b32_e32 v2, 0xff, v2
	v_cmp_ne_u32_e32 vcc_lo, 0, v2
	s_and_b32 s29, vcc_lo, exec_lo
	s_delay_alu instid0(SALU_CYCLE_1)
	s_or_b32 s27, s27, s29
	s_or_b32 exec_lo, exec_lo, s28
	v_mov_b32_e32 v5, 0
	s_and_saveexec_b32 s28, s27
	s_cbranch_execnz .LBB190_685
	s_branch .LBB190_686
.LBB190_791:
	s_mov_b32 s27, -1
	s_mov_b32 s24, s1
	s_branch .LBB190_795
.LBB190_792:
	s_and_not1_saveexec_b32 s28, s28
	s_cbranch_execz .LBB190_697
.LBB190_793:
	v_add_f32_e32 v2, 0x42800000, v3
	s_and_not1_b32 s27, s27, exec_lo
	s_delay_alu instid0(VALU_DEP_1) | instskip(NEXT) | instid1(VALU_DEP_1)
	v_and_b32_e32 v2, 0xff, v2
	v_cmp_ne_u32_e32 vcc_lo, 0, v2
	s_and_b32 s29, vcc_lo, exec_lo
	s_delay_alu instid0(SALU_CYCLE_1)
	s_or_b32 s27, s27, s29
	s_or_b32 exec_lo, exec_lo, s28
	v_mov_b32_e32 v5, 0
	s_and_saveexec_b32 s28, s27
	s_cbranch_execnz .LBB190_698
	s_branch .LBB190_699
.LBB190_794:
	s_mov_b32 s24, -1
.LBB190_795:
                                        ; implicit-def: $vgpr2
.LBB190_796:
	s_and_b32 vcc_lo, exec_lo, s27
	s_cbranch_vccz .LBB190_800
; %bb.797:
	s_cmp_eq_u32 s23, 44
	s_cbranch_scc0 .LBB190_799
; %bb.798:
	s_wait_loadcnt 0x0
	global_load_u8 v2, v[0:1], off
	s_mov_b32 s24, 0
	s_mov_b32 s26, -1
	s_wait_loadcnt 0x0
	v_lshlrev_b32_e32 v3, 23, v2
	v_cmp_ne_u32_e32 vcc_lo, 0xff, v2
	s_delay_alu instid0(VALU_DEP_2) | instskip(NEXT) | instid1(VALU_DEP_1)
	v_cvt_f16_f32_e32 v3, v3
	v_cndmask_b32_e32 v3, 0x7e00, v3, vcc_lo
	v_cmp_ne_u32_e32 vcc_lo, 0, v2
	s_delay_alu instid0(VALU_DEP_2)
	v_cndmask_b32_e32 v2, 0, v3, vcc_lo
	s_branch .LBB190_800
.LBB190_799:
	s_mov_b32 s24, -1
                                        ; implicit-def: $vgpr2
.LBB190_800:
	s_mov_b32 s27, 0
.LBB190_801:
	s_delay_alu instid0(SALU_CYCLE_1)
	s_and_b32 vcc_lo, exec_lo, s27
	s_cbranch_vccz .LBB190_805
; %bb.802:
	s_cmp_eq_u32 s23, 29
	s_cbranch_scc0 .LBB190_804
; %bb.803:
	s_wait_loadcnt 0x0
	global_load_b64 v[2:3], v[0:1], off
	s_mov_b32 s24, 0
	s_mov_b32 s26, -1
	s_mov_b32 s27, 0
	s_wait_loadcnt 0x0
	v_clz_i32_u32_e32 v5, v3
	s_delay_alu instid0(VALU_DEP_1) | instskip(NEXT) | instid1(VALU_DEP_1)
	v_min_u32_e32 v5, 32, v5
	v_lshlrev_b64_e32 v[2:3], v5, v[2:3]
	s_delay_alu instid0(VALU_DEP_1) | instskip(NEXT) | instid1(VALU_DEP_1)
	v_min_u32_e32 v2, 1, v2
	v_dual_sub_nc_u32 v3, 32, v5 :: v_dual_bitop2_b32 v2, v3, v2 bitop3:0x54
	s_delay_alu instid0(VALU_DEP_1) | instskip(NEXT) | instid1(VALU_DEP_1)
	v_cvt_f32_u32_e32 v2, v2
	v_ldexp_f32 v2, v2, v3
	s_delay_alu instid0(VALU_DEP_1)
	v_cvt_f16_f32_e32 v2, v2
	s_branch .LBB190_806
.LBB190_804:
	s_mov_b32 s24, -1
                                        ; implicit-def: $vgpr2
.LBB190_805:
	s_mov_b32 s27, 0
.LBB190_806:
	s_delay_alu instid0(SALU_CYCLE_1)
	s_and_b32 vcc_lo, exec_lo, s27
	s_cbranch_vccz .LBB190_824
; %bb.807:
	s_cmp_lt_i32 s23, 27
	s_cbranch_scc1 .LBB190_810
; %bb.808:
	s_cmp_gt_i32 s23, 27
	s_cbranch_scc0 .LBB190_811
; %bb.809:
	s_wait_loadcnt 0x0
	global_load_b32 v2, v[0:1], off
	s_mov_b32 s26, 0
	s_wait_loadcnt 0x0
	v_cvt_f32_u32_e32 v2, v2
	s_delay_alu instid0(VALU_DEP_1)
	v_cvt_f16_f32_e32 v2, v2
	s_branch .LBB190_812
.LBB190_810:
	s_mov_b32 s26, -1
                                        ; implicit-def: $vgpr2
	s_branch .LBB190_815
.LBB190_811:
	s_mov_b32 s26, -1
                                        ; implicit-def: $vgpr2
.LBB190_812:
	s_delay_alu instid0(SALU_CYCLE_1)
	s_and_not1_b32 vcc_lo, exec_lo, s26
	s_cbranch_vccnz .LBB190_814
; %bb.813:
	s_wait_loadcnt 0x0
	global_load_u16 v2, v[0:1], off
	s_wait_loadcnt 0x0
	v_cvt_f16_u16_e32 v2, v2
.LBB190_814:
	s_mov_b32 s26, 0
.LBB190_815:
	s_delay_alu instid0(SALU_CYCLE_1)
	s_and_not1_b32 vcc_lo, exec_lo, s26
	s_cbranch_vccnz .LBB190_823
; %bb.816:
	global_load_u8 v3, v[0:1], off
	s_mov_b32 s26, 0
	s_mov_b32 s27, exec_lo
	s_wait_loadcnt 0x0
	v_cmpx_lt_i16_e32 0x7f, v3
	s_xor_b32 s27, exec_lo, s27
	s_cbranch_execz .LBB190_837
; %bb.817:
	s_mov_b32 s26, -1
	s_mov_b32 s28, exec_lo
	v_cmpx_eq_u16_e32 0x80, v3
; %bb.818:
	s_xor_b32 s26, exec_lo, -1
; %bb.819:
	s_or_b32 exec_lo, exec_lo, s28
	s_delay_alu instid0(SALU_CYCLE_1)
	s_and_b32 s26, s26, exec_lo
	s_or_saveexec_b32 s27, s27
	v_mov_b32_e32 v2, 0x7e00
	s_xor_b32 exec_lo, exec_lo, s27
	s_cbranch_execnz .LBB190_838
.LBB190_820:
	s_or_b32 exec_lo, exec_lo, s27
	s_and_saveexec_b32 s27, s26
	s_cbranch_execz .LBB190_822
.LBB190_821:
	v_and_b32_e32 v2, 0xffff, v3
	s_delay_alu instid0(VALU_DEP_1) | instskip(SKIP_1) | instid1(VALU_DEP_2)
	v_dual_lshlrev_b32 v3, 24, v3 :: v_dual_bitop2_b32 v5, 7, v2 bitop3:0x40
	v_bfe_u32 v8, v2, 3, 4
	v_and_b32_e32 v3, 0x80000000, v3
	s_delay_alu instid0(VALU_DEP_3) | instskip(NEXT) | instid1(VALU_DEP_3)
	v_clz_i32_u32_e32 v6, v5
	v_cmp_eq_u32_e32 vcc_lo, 0, v8
	s_delay_alu instid0(VALU_DEP_2) | instskip(NEXT) | instid1(VALU_DEP_1)
	v_min_u32_e32 v6, 32, v6
	v_subrev_nc_u32_e32 v7, 28, v6
	v_sub_nc_u32_e32 v6, 29, v6
	s_delay_alu instid0(VALU_DEP_2) | instskip(NEXT) | instid1(VALU_DEP_2)
	v_lshlrev_b32_e32 v2, v7, v2
	v_cndmask_b32_e32 v6, v8, v6, vcc_lo
	s_delay_alu instid0(VALU_DEP_2) | instskip(NEXT) | instid1(VALU_DEP_1)
	v_and_b32_e32 v2, 7, v2
	v_cndmask_b32_e32 v2, v5, v2, vcc_lo
	s_delay_alu instid0(VALU_DEP_3) | instskip(NEXT) | instid1(VALU_DEP_2)
	v_lshl_add_u32 v5, v6, 23, 0x3b800000
	v_lshlrev_b32_e32 v2, 20, v2
	s_delay_alu instid0(VALU_DEP_1) | instskip(NEXT) | instid1(VALU_DEP_1)
	v_or3_b32 v2, v3, v5, v2
	v_cvt_f16_f32_e32 v2, v2
.LBB190_822:
	s_or_b32 exec_lo, exec_lo, s27
.LBB190_823:
	s_mov_b32 s26, -1
.LBB190_824:
	s_mov_b32 s27, 0
.LBB190_825:
	s_delay_alu instid0(SALU_CYCLE_1)
	s_and_b32 vcc_lo, exec_lo, s27
	s_cbranch_vccz .LBB190_858
; %bb.826:
	s_cmp_gt_i32 s23, 22
	s_cbranch_scc0 .LBB190_836
; %bb.827:
	s_cmp_lt_i32 s23, 24
	s_cbranch_scc1 .LBB190_839
; %bb.828:
	s_cmp_gt_i32 s23, 24
	s_cbranch_scc0 .LBB190_840
; %bb.829:
	global_load_u8 v3, v[0:1], off
	s_mov_b32 s26, exec_lo
	s_wait_loadcnt 0x0
	v_cmpx_lt_i16_e32 0x7f, v3
	s_xor_b32 s26, exec_lo, s26
	s_cbranch_execz .LBB190_852
; %bb.830:
	s_mov_b32 s25, -1
	s_mov_b32 s27, exec_lo
	v_cmpx_eq_u16_e32 0x80, v3
; %bb.831:
	s_xor_b32 s25, exec_lo, -1
; %bb.832:
	s_or_b32 exec_lo, exec_lo, s27
	s_delay_alu instid0(SALU_CYCLE_1)
	s_and_b32 s25, s25, exec_lo
	s_or_saveexec_b32 s26, s26
	v_mov_b32_e32 v2, 0x7e00
	s_xor_b32 exec_lo, exec_lo, s26
	s_cbranch_execnz .LBB190_853
.LBB190_833:
	s_or_b32 exec_lo, exec_lo, s26
	s_and_saveexec_b32 s26, s25
	s_cbranch_execz .LBB190_835
.LBB190_834:
	v_and_b32_e32 v2, 0xffff, v3
	s_delay_alu instid0(VALU_DEP_1) | instskip(SKIP_1) | instid1(VALU_DEP_2)
	v_dual_lshlrev_b32 v3, 24, v3 :: v_dual_bitop2_b32 v5, 3, v2 bitop3:0x40
	v_bfe_u32 v8, v2, 2, 5
	v_and_b32_e32 v3, 0x80000000, v3
	s_delay_alu instid0(VALU_DEP_3) | instskip(NEXT) | instid1(VALU_DEP_3)
	v_clz_i32_u32_e32 v6, v5
	v_cmp_eq_u32_e32 vcc_lo, 0, v8
	s_delay_alu instid0(VALU_DEP_2) | instskip(NEXT) | instid1(VALU_DEP_1)
	v_min_u32_e32 v6, 32, v6
	v_subrev_nc_u32_e32 v7, 29, v6
	v_sub_nc_u32_e32 v6, 30, v6
	s_delay_alu instid0(VALU_DEP_2) | instskip(NEXT) | instid1(VALU_DEP_2)
	v_lshlrev_b32_e32 v2, v7, v2
	v_cndmask_b32_e32 v6, v8, v6, vcc_lo
	s_delay_alu instid0(VALU_DEP_2) | instskip(NEXT) | instid1(VALU_DEP_1)
	v_and_b32_e32 v2, 3, v2
	v_cndmask_b32_e32 v2, v5, v2, vcc_lo
	s_delay_alu instid0(VALU_DEP_3) | instskip(NEXT) | instid1(VALU_DEP_2)
	v_lshl_add_u32 v5, v6, 23, 0x37800000
	v_lshlrev_b32_e32 v2, 21, v2
	s_delay_alu instid0(VALU_DEP_1) | instskip(NEXT) | instid1(VALU_DEP_1)
	v_or3_b32 v2, v3, v5, v2
	v_cvt_f16_f32_e32 v2, v2
.LBB190_835:
	s_or_b32 exec_lo, exec_lo, s26
	s_mov_b32 s25, 0
	s_branch .LBB190_841
.LBB190_836:
	s_mov_b32 s25, -1
                                        ; implicit-def: $vgpr2
	s_branch .LBB190_847
.LBB190_837:
	s_or_saveexec_b32 s27, s27
	v_mov_b32_e32 v2, 0x7e00
	s_xor_b32 exec_lo, exec_lo, s27
	s_cbranch_execz .LBB190_820
.LBB190_838:
	v_cmp_ne_u16_e32 vcc_lo, 0, v3
	v_mov_b32_e32 v2, v3
	s_and_not1_b32 s26, s26, exec_lo
	s_and_b32 s28, vcc_lo, exec_lo
	s_delay_alu instid0(SALU_CYCLE_1)
	s_or_b32 s26, s26, s28
	s_or_b32 exec_lo, exec_lo, s27
	s_and_saveexec_b32 s27, s26
	s_cbranch_execnz .LBB190_821
	s_branch .LBB190_822
.LBB190_839:
	s_mov_b32 s25, -1
                                        ; implicit-def: $vgpr2
	s_branch .LBB190_844
.LBB190_840:
	s_mov_b32 s25, -1
                                        ; implicit-def: $vgpr2
.LBB190_841:
	s_delay_alu instid0(SALU_CYCLE_1)
	s_and_b32 vcc_lo, exec_lo, s25
	s_cbranch_vccz .LBB190_843
; %bb.842:
	s_wait_loadcnt 0x0
	global_load_u8 v2, v[0:1], off
	s_wait_loadcnt 0x0
	v_lshlrev_b32_e32 v2, 24, v2
	s_delay_alu instid0(VALU_DEP_1) | instskip(NEXT) | instid1(VALU_DEP_1)
	v_and_b32_e32 v3, 0x7f000000, v2
	v_clz_i32_u32_e32 v5, v3
	v_add_nc_u32_e32 v7, 0x1000000, v3
	v_cmp_ne_u32_e32 vcc_lo, 0, v3
	s_delay_alu instid0(VALU_DEP_3) | instskip(NEXT) | instid1(VALU_DEP_1)
	v_min_u32_e32 v5, 32, v5
	v_sub_nc_u32_e64 v5, v5, 4 clamp
	s_delay_alu instid0(VALU_DEP_1) | instskip(NEXT) | instid1(VALU_DEP_1)
	v_dual_lshlrev_b32 v6, v5, v3 :: v_dual_lshlrev_b32 v5, 23, v5
	v_lshrrev_b32_e32 v6, 4, v6
	s_delay_alu instid0(VALU_DEP_1) | instskip(NEXT) | instid1(VALU_DEP_1)
	v_dual_sub_nc_u32 v5, v6, v5 :: v_dual_ashrrev_i32 v6, 8, v7
	v_add_nc_u32_e32 v5, 0x3c000000, v5
	s_delay_alu instid0(VALU_DEP_1) | instskip(NEXT) | instid1(VALU_DEP_1)
	v_and_or_b32 v5, 0x7f800000, v6, v5
	v_cndmask_b32_e32 v3, 0, v5, vcc_lo
	s_delay_alu instid0(VALU_DEP_1) | instskip(NEXT) | instid1(VALU_DEP_1)
	v_and_or_b32 v2, 0x80000000, v2, v3
	v_cvt_f16_f32_e32 v2, v2
.LBB190_843:
	s_mov_b32 s25, 0
.LBB190_844:
	s_delay_alu instid0(SALU_CYCLE_1)
	s_and_not1_b32 vcc_lo, exec_lo, s25
	s_cbranch_vccnz .LBB190_846
; %bb.845:
	s_wait_loadcnt 0x0
	global_load_u8 v2, v[0:1], off
	s_wait_loadcnt 0x0
	v_lshlrev_b32_e32 v3, 25, v2
	v_lshlrev_b16 v2, 8, v2
	s_delay_alu instid0(VALU_DEP_2) | instskip(NEXT) | instid1(VALU_DEP_2)
	v_cmp_gt_u32_e32 vcc_lo, 0x8000000, v3
	v_and_or_b32 v6, 0x7f00, v2, 0.5
	v_lshrrev_b32_e32 v5, 4, v3
	v_bfe_i32 v2, v2, 0, 16
	s_delay_alu instid0(VALU_DEP_3) | instskip(NEXT) | instid1(VALU_DEP_3)
	v_add_f32_e32 v6, -0.5, v6
	v_or_b32_e32 v5, 0x70000000, v5
	s_delay_alu instid0(VALU_DEP_1) | instskip(NEXT) | instid1(VALU_DEP_1)
	v_mul_f32_e32 v5, 0x7800000, v5
	v_cndmask_b32_e32 v3, v5, v6, vcc_lo
	s_delay_alu instid0(VALU_DEP_1) | instskip(NEXT) | instid1(VALU_DEP_1)
	v_and_or_b32 v2, 0x80000000, v2, v3
	v_cvt_f16_f32_e32 v2, v2
.LBB190_846:
	s_mov_b32 s25, 0
	s_mov_b32 s26, -1
.LBB190_847:
	s_and_not1_b32 vcc_lo, exec_lo, s25
	s_mov_b32 s25, 0
	s_cbranch_vccnz .LBB190_858
; %bb.848:
	s_cmp_gt_i32 s23, 14
	s_cbranch_scc0 .LBB190_851
; %bb.849:
	s_cmp_eq_u32 s23, 15
	s_cbranch_scc0 .LBB190_854
; %bb.850:
	s_wait_loadcnt 0x0
	global_load_u16 v2, v[0:1], off
	s_mov_b32 s24, 0
	s_mov_b32 s26, -1
	s_wait_loadcnt 0x0
	v_lshlrev_b32_e32 v2, 16, v2
	s_delay_alu instid0(VALU_DEP_1)
	v_cvt_f16_f32_e32 v2, v2
	s_branch .LBB190_856
.LBB190_851:
	s_mov_b32 s25, -1
	s_branch .LBB190_855
.LBB190_852:
	s_or_saveexec_b32 s26, s26
	v_mov_b32_e32 v2, 0x7e00
	s_xor_b32 exec_lo, exec_lo, s26
	s_cbranch_execz .LBB190_833
.LBB190_853:
	v_cmp_ne_u16_e32 vcc_lo, 0, v3
	v_mov_b32_e32 v2, v3
	s_and_not1_b32 s25, s25, exec_lo
	s_and_b32 s27, vcc_lo, exec_lo
	s_delay_alu instid0(SALU_CYCLE_1)
	s_or_b32 s25, s25, s27
	s_or_b32 exec_lo, exec_lo, s26
	s_and_saveexec_b32 s26, s25
	s_cbranch_execnz .LBB190_834
	s_branch .LBB190_835
.LBB190_854:
	s_mov_b32 s24, -1
.LBB190_855:
                                        ; implicit-def: $vgpr2
.LBB190_856:
	s_and_b32 vcc_lo, exec_lo, s25
	s_mov_b32 s25, 0
	s_cbranch_vccz .LBB190_858
; %bb.857:
	s_cmp_lg_u32 s23, 11
	s_mov_b32 s25, -1
	s_cselect_b32 s23, -1, 0
	s_and_not1_b32 s24, s24, exec_lo
	s_and_b32 s23, s23, exec_lo
	s_delay_alu instid0(SALU_CYCLE_1)
	s_or_b32 s24, s24, s23
.LBB190_858:
	s_mov_b32 s23, 0
.LBB190_859:
	s_and_not1_b32 s27, s1, exec_lo
	s_and_b32 s24, s24, exec_lo
	s_and_b32 s28, s26, exec_lo
	;; [unrolled: 1-line block ×4, first 2 shown]
	s_or_b32 s27, s27, s24
.LBB190_860:
	s_wait_xcnt 0x0
	s_or_b32 exec_lo, exec_lo, s16
	s_delay_alu instid0(SALU_CYCLE_1)
	s_and_not1_b32 s1, s1, exec_lo
	s_and_b32 s16, s27, exec_lo
	s_and_b32 s25, s28, exec_lo
	;; [unrolled: 1-line block ×4, first 2 shown]
	s_or_b32 s1, s1, s16
.LBB190_861:
	s_or_b32 exec_lo, exec_lo, s22
	s_delay_alu instid0(SALU_CYCLE_1)
	s_and_not1_b32 s16, s20, exec_lo
	s_and_b32 s2, s2, exec_lo
	s_and_b32 s22, s25, exec_lo
	s_or_b32 s20, s16, s2
	s_and_not1_b32 s16, s19, exec_lo
	s_and_b32 s19, s1, exec_lo
	s_and_b32 s2, s24, exec_lo
	;; [unrolled: 1-line block ×3, first 2 shown]
	s_or_b32 s19, s16, s19
.LBB190_862:
	s_or_b32 exec_lo, exec_lo, s21
	s_delay_alu instid0(SALU_CYCLE_1)
	s_and_not1_b32 s15, s15, exec_lo
	s_and_b32 s16, s20, exec_lo
	s_and_b32 s21, s2, exec_lo
	s_or_b32 s15, s15, s16
	s_and_not1_b32 s2, s17, exec_lo
	s_and_b32 s16, s19, exec_lo
	s_and_b32 s20, s22, exec_lo
	;; [unrolled: 1-line block ×3, first 2 shown]
	s_or_b32 s17, s2, s16
	s_or_b32 exec_lo, exec_lo, s18
	s_mov_b32 s1, 0
	s_and_saveexec_b32 s2, s17
	s_cbranch_execz .LBB190_262
.LBB190_863:
	s_mov_b32 s1, exec_lo
	s_and_not1_b32 s19, s19, exec_lo
	s_trap 2
	s_or_b32 exec_lo, exec_lo, s2
	s_and_saveexec_b32 s2, s19
	s_delay_alu instid0(SALU_CYCLE_1)
	s_xor_b32 s2, exec_lo, s2
	s_cbranch_execnz .LBB190_263
.LBB190_864:
	s_or_b32 exec_lo, exec_lo, s2
	s_and_saveexec_b32 s2, s21
	s_cbranch_execz .LBB190_910
.LBB190_865:
	s_sext_i32_i16 s16, s13
	s_delay_alu instid0(SALU_CYCLE_1)
	s_cmp_lt_i32 s16, 5
	s_cbranch_scc1 .LBB190_870
; %bb.866:
	s_cmp_lt_i32 s16, 8
	s_cbranch_scc1 .LBB190_871
; %bb.867:
	;; [unrolled: 3-line block ×3, first 2 shown]
	s_cmp_gt_i32 s16, 9
	s_cbranch_scc0 .LBB190_873
; %bb.869:
	s_wait_loadcnt 0x0
	global_load_b64 v[2:3], v[0:1], off
	s_mov_b32 s16, 0
	s_wait_loadcnt 0x0
	v_and_or_b32 v2, 0x1ff, v3, v2
	v_lshrrev_b32_e32 v5, 8, v3
	v_bfe_u32 v6, v3, 20, 11
	v_lshrrev_b32_e32 v3, 16, v3
	s_delay_alu instid0(VALU_DEP_4) | instskip(NEXT) | instid1(VALU_DEP_3)
	v_cmp_ne_u32_e32 vcc_lo, 0, v2
	v_sub_nc_u32_e32 v7, 0x3f1, v6
	v_add_nc_u32_e32 v6, 0xfffffc10, v6
	v_cndmask_b32_e64 v2, 0, 1, vcc_lo
	s_delay_alu instid0(VALU_DEP_1) | instskip(NEXT) | instid1(VALU_DEP_4)
	v_and_or_b32 v2, 0xffe, v5, v2
	v_med3_i32 v5, v7, 0, 13
	s_delay_alu instid0(VALU_DEP_2) | instskip(NEXT) | instid1(VALU_DEP_1)
	v_or_b32_e32 v7, 0x1000, v2
	v_lshrrev_b32_e32 v8, v5, v7
	s_delay_alu instid0(VALU_DEP_1) | instskip(NEXT) | instid1(VALU_DEP_1)
	v_lshlrev_b32_e32 v5, v5, v8
	v_cmp_ne_u32_e32 vcc_lo, v5, v7
	v_lshl_or_b32 v7, v6, 12, v2
	v_cndmask_b32_e64 v5, 0, 1, vcc_lo
	v_cmp_gt_i32_e32 vcc_lo, 1, v6
	s_delay_alu instid0(VALU_DEP_2) | instskip(NEXT) | instid1(VALU_DEP_1)
	v_or_b32_e32 v5, v8, v5
	v_cndmask_b32_e32 v5, v7, v5, vcc_lo
	s_delay_alu instid0(VALU_DEP_1) | instskip(NEXT) | instid1(VALU_DEP_1)
	v_dual_lshrrev_b32 v5, 2, v5 :: v_dual_bitop2_b32 v7, 7, v5 bitop3:0x40
	v_cmp_lt_i32_e32 vcc_lo, 5, v7
	v_cndmask_b32_e64 v8, 0, 1, vcc_lo
	v_cmp_eq_u32_e32 vcc_lo, 3, v7
	v_cndmask_b32_e64 v7, 0, 1, vcc_lo
	v_cmp_ne_u32_e32 vcc_lo, 0, v2
	s_delay_alu instid0(VALU_DEP_2) | instskip(NEXT) | instid1(VALU_DEP_1)
	v_or_b32_e32 v7, v7, v8
	v_dual_mov_b32 v8, 0x7e00 :: v_dual_add_nc_u32 v5, v5, v7
	s_delay_alu instid0(VALU_DEP_1) | instskip(SKIP_1) | instid1(VALU_DEP_3)
	v_cndmask_b32_e32 v2, 0x7c00, v8, vcc_lo
	v_cmp_gt_i32_e32 vcc_lo, 31, v6
	v_cndmask_b32_e32 v5, 0x7c00, v5, vcc_lo
	v_cmp_eq_u32_e32 vcc_lo, 0x40f, v6
	s_delay_alu instid0(VALU_DEP_2) | instskip(NEXT) | instid1(VALU_DEP_1)
	v_cndmask_b32_e32 v2, v5, v2, vcc_lo
	v_and_or_b32 v2, 0x8000, v3, v2
	s_branch .LBB190_874
.LBB190_870:
                                        ; implicit-def: $vgpr2
	s_branch .LBB190_891
.LBB190_871:
                                        ; implicit-def: $vgpr2
	s_branch .LBB190_880
.LBB190_872:
	s_mov_b32 s16, -1
                                        ; implicit-def: $vgpr2
	s_branch .LBB190_877
.LBB190_873:
	s_mov_b32 s16, -1
                                        ; implicit-def: $vgpr2
.LBB190_874:
	s_delay_alu instid0(SALU_CYCLE_1)
	s_and_not1_b32 vcc_lo, exec_lo, s16
	s_cbranch_vccnz .LBB190_876
; %bb.875:
	s_wait_loadcnt 0x0
	global_load_b32 v2, v[0:1], off
	s_wait_loadcnt 0x0
	v_cvt_f16_f32_e32 v2, v2
.LBB190_876:
	s_mov_b32 s16, 0
.LBB190_877:
	s_delay_alu instid0(SALU_CYCLE_1)
	s_and_not1_b32 vcc_lo, exec_lo, s16
	s_cbranch_vccnz .LBB190_879
; %bb.878:
	s_wait_loadcnt 0x0
	global_load_b32 v2, v[0:1], off
.LBB190_879:
	s_cbranch_execnz .LBB190_890
.LBB190_880:
	s_sext_i32_i16 s16, s13
	s_delay_alu instid0(SALU_CYCLE_1)
	s_cmp_lt_i32 s16, 6
	s_cbranch_scc1 .LBB190_883
; %bb.881:
	s_cmp_gt_i32 s16, 6
	s_cbranch_scc0 .LBB190_884
; %bb.882:
	s_wait_loadcnt 0x0
	global_load_b64 v[2:3], v[0:1], off
	s_mov_b32 s16, 0
	s_wait_loadcnt 0x0
	v_and_or_b32 v2, 0x1ff, v3, v2
	v_lshrrev_b32_e32 v5, 8, v3
	v_bfe_u32 v6, v3, 20, 11
	v_lshrrev_b32_e32 v3, 16, v3
	s_delay_alu instid0(VALU_DEP_4) | instskip(NEXT) | instid1(VALU_DEP_3)
	v_cmp_ne_u32_e32 vcc_lo, 0, v2
	v_sub_nc_u32_e32 v7, 0x3f1, v6
	v_add_nc_u32_e32 v6, 0xfffffc10, v6
	v_cndmask_b32_e64 v2, 0, 1, vcc_lo
	s_delay_alu instid0(VALU_DEP_1) | instskip(NEXT) | instid1(VALU_DEP_4)
	v_and_or_b32 v2, 0xffe, v5, v2
	v_med3_i32 v5, v7, 0, 13
	s_delay_alu instid0(VALU_DEP_2) | instskip(NEXT) | instid1(VALU_DEP_1)
	v_or_b32_e32 v7, 0x1000, v2
	v_lshrrev_b32_e32 v8, v5, v7
	s_delay_alu instid0(VALU_DEP_1) | instskip(NEXT) | instid1(VALU_DEP_1)
	v_lshlrev_b32_e32 v5, v5, v8
	v_cmp_ne_u32_e32 vcc_lo, v5, v7
	v_lshl_or_b32 v7, v6, 12, v2
	v_cndmask_b32_e64 v5, 0, 1, vcc_lo
	v_cmp_gt_i32_e32 vcc_lo, 1, v6
	s_delay_alu instid0(VALU_DEP_2) | instskip(NEXT) | instid1(VALU_DEP_1)
	v_or_b32_e32 v5, v8, v5
	v_cndmask_b32_e32 v5, v7, v5, vcc_lo
	s_delay_alu instid0(VALU_DEP_1) | instskip(NEXT) | instid1(VALU_DEP_1)
	v_dual_lshrrev_b32 v5, 2, v5 :: v_dual_bitop2_b32 v7, 7, v5 bitop3:0x40
	v_cmp_lt_i32_e32 vcc_lo, 5, v7
	v_cndmask_b32_e64 v8, 0, 1, vcc_lo
	v_cmp_eq_u32_e32 vcc_lo, 3, v7
	v_cndmask_b32_e64 v7, 0, 1, vcc_lo
	v_cmp_ne_u32_e32 vcc_lo, 0, v2
	s_delay_alu instid0(VALU_DEP_2) | instskip(NEXT) | instid1(VALU_DEP_1)
	v_or_b32_e32 v7, v7, v8
	v_dual_mov_b32 v8, 0x7e00 :: v_dual_add_nc_u32 v5, v5, v7
	s_delay_alu instid0(VALU_DEP_1) | instskip(SKIP_1) | instid1(VALU_DEP_3)
	v_cndmask_b32_e32 v2, 0x7c00, v8, vcc_lo
	v_cmp_gt_i32_e32 vcc_lo, 31, v6
	v_cndmask_b32_e32 v5, 0x7c00, v5, vcc_lo
	v_cmp_eq_u32_e32 vcc_lo, 0x40f, v6
	s_delay_alu instid0(VALU_DEP_2) | instskip(NEXT) | instid1(VALU_DEP_1)
	v_cndmask_b32_e32 v2, v5, v2, vcc_lo
	v_and_or_b32 v2, 0x8000, v3, v2
	s_branch .LBB190_885
.LBB190_883:
	s_mov_b32 s16, -1
                                        ; implicit-def: $vgpr2
	s_branch .LBB190_888
.LBB190_884:
	s_mov_b32 s16, -1
                                        ; implicit-def: $vgpr2
.LBB190_885:
	s_delay_alu instid0(SALU_CYCLE_1)
	s_and_not1_b32 vcc_lo, exec_lo, s16
	s_cbranch_vccnz .LBB190_887
; %bb.886:
	s_wait_loadcnt 0x0
	global_load_b32 v2, v[0:1], off
	s_wait_loadcnt 0x0
	v_cvt_f16_f32_e32 v2, v2
.LBB190_887:
	s_mov_b32 s16, 0
.LBB190_888:
	s_delay_alu instid0(SALU_CYCLE_1)
	s_and_not1_b32 vcc_lo, exec_lo, s16
	s_cbranch_vccnz .LBB190_890
; %bb.889:
	s_wait_loadcnt 0x0
	global_load_u16 v2, v[0:1], off
.LBB190_890:
	s_cbranch_execnz .LBB190_909
.LBB190_891:
	s_sext_i32_i16 s16, s13
	s_delay_alu instid0(SALU_CYCLE_1)
	s_cmp_lt_i32 s16, 2
	s_cbranch_scc1 .LBB190_895
; %bb.892:
	s_cmp_lt_i32 s16, 3
	s_cbranch_scc1 .LBB190_896
; %bb.893:
	s_cmp_gt_i32 s16, 3
	s_cbranch_scc0 .LBB190_897
; %bb.894:
	s_wait_loadcnt 0x0
	global_load_b64 v[2:3], v[0:1], off
	s_mov_b32 s16, 0
	s_wait_loadcnt 0x0
	v_xor_b32_e32 v5, v2, v3
	v_cls_i32_e32 v6, v3
	s_delay_alu instid0(VALU_DEP_2) | instskip(NEXT) | instid1(VALU_DEP_1)
	v_ashrrev_i32_e32 v5, 31, v5
	v_add_nc_u32_e32 v5, 32, v5
	s_delay_alu instid0(VALU_DEP_1) | instskip(NEXT) | instid1(VALU_DEP_1)
	v_add_min_u32_e64 v5, v6, -1, v5
	v_lshlrev_b64_e32 v[2:3], v5, v[2:3]
	s_delay_alu instid0(VALU_DEP_1) | instskip(NEXT) | instid1(VALU_DEP_1)
	v_min_u32_e32 v2, 1, v2
	v_dual_sub_nc_u32 v3, 32, v5 :: v_dual_bitop2_b32 v2, v3, v2 bitop3:0x54
	s_delay_alu instid0(VALU_DEP_1) | instskip(NEXT) | instid1(VALU_DEP_1)
	v_cvt_f32_i32_e32 v2, v2
	v_ldexp_f32 v2, v2, v3
	s_delay_alu instid0(VALU_DEP_1)
	v_cvt_f16_f32_e32 v2, v2
	s_branch .LBB190_898
.LBB190_895:
                                        ; implicit-def: $vgpr2
	s_branch .LBB190_904
.LBB190_896:
	s_mov_b32 s16, -1
                                        ; implicit-def: $vgpr2
	s_branch .LBB190_901
.LBB190_897:
	s_mov_b32 s16, -1
                                        ; implicit-def: $vgpr2
.LBB190_898:
	s_delay_alu instid0(SALU_CYCLE_1)
	s_and_not1_b32 vcc_lo, exec_lo, s16
	s_cbranch_vccnz .LBB190_900
; %bb.899:
	s_wait_loadcnt 0x0
	global_load_b32 v2, v[0:1], off
	s_wait_loadcnt 0x0
	v_cvt_f32_i32_e32 v2, v2
	s_delay_alu instid0(VALU_DEP_1)
	v_cvt_f16_f32_e32 v2, v2
.LBB190_900:
	s_mov_b32 s16, 0
.LBB190_901:
	s_delay_alu instid0(SALU_CYCLE_1)
	s_and_not1_b32 vcc_lo, exec_lo, s16
	s_cbranch_vccnz .LBB190_903
; %bb.902:
	s_wait_loadcnt 0x0
	global_load_u16 v2, v[0:1], off
	s_wait_loadcnt 0x0
	v_cvt_f16_i16_e32 v2, v2
.LBB190_903:
	s_cbranch_execnz .LBB190_909
.LBB190_904:
	s_sext_i32_i16 s16, s13
	s_delay_alu instid0(SALU_CYCLE_1)
	s_cmp_gt_i32 s16, 0
	s_mov_b32 s16, 0
	s_cbranch_scc0 .LBB190_906
; %bb.905:
	s_wait_loadcnt 0x0
	global_load_i8 v2, v[0:1], off
	s_wait_loadcnt 0x0
	v_cvt_f16_i16_e32 v2, v2
	s_branch .LBB190_907
.LBB190_906:
	s_mov_b32 s16, -1
                                        ; implicit-def: $vgpr2
.LBB190_907:
	s_delay_alu instid0(SALU_CYCLE_1)
	s_and_not1_b32 vcc_lo, exec_lo, s16
	s_cbranch_vccnz .LBB190_909
; %bb.908:
	global_load_u8 v0, v[0:1], off
	s_wait_loadcnt 0x0
	v_cvt_f16_u16_e32 v2, v0
.LBB190_909:
	s_or_b32 s20, s20, exec_lo
.LBB190_910:
	s_wait_xcnt 0x0
	s_or_b32 exec_lo, exec_lo, s2
	s_mov_b32 s19, 0
	s_mov_b32 s18, 0
                                        ; implicit-def: $sgpr2
                                        ; implicit-def: $sgpr16
                                        ; implicit-def: $vgpr0_vgpr1
	s_and_saveexec_b32 s17, s20
	s_cbranch_execz .LBB190_918
; %bb.911:
	s_wait_loadcnt 0x0
	v_cmp_eq_f16_e32 vcc_lo, s11, v2
	v_mul_lo_u32 v0, v4, s8
	s_and_b32 s16, s3, 0xff
	s_delay_alu instid0(SALU_CYCLE_1) | instskip(SKIP_3) | instid1(VALU_DEP_1)
	s_cmp_lt_i32 s16, 11
	v_cndmask_b32_e64 v1, 0, 1, vcc_lo
	v_cmp_neq_f16_e32 vcc_lo, s11, v2
	v_cndmask_b32_e64 v2, 0, 1, vcc_lo
	v_dual_cndmask_b32 v2, v2, v1, s0 :: v_dual_ashrrev_i32 v1, 31, v0
	s_delay_alu instid0(VALU_DEP_1) | instskip(NEXT) | instid1(VALU_DEP_2)
	v_and_b32_e32 v2, 1, v2
	v_add_nc_u64_e32 v[0:1], s[4:5], v[0:1]
	s_delay_alu instid0(VALU_DEP_2)
	v_cmp_eq_u32_e64 s2, 1, v2
	s_cbranch_scc1 .LBB190_921
; %bb.912:
	s_and_b32 s18, 0xffff, s16
	s_mov_b32 s19, -1
	s_cmp_gt_i32 s18, 25
	s_mov_b32 s0, s15
	s_cbranch_scc0 .LBB190_949
; %bb.913:
	s_cmp_gt_i32 s18, 28
	s_mov_b32 s0, s15
	s_cbranch_scc0 .LBB190_933
; %bb.914:
	;; [unrolled: 4-line block ×4, first 2 shown]
	s_cmp_eq_u32 s18, 46
	s_mov_b32 s0, -1
	s_cbranch_scc0 .LBB190_922
; %bb.917:
	v_cndmask_b32_e64 v2, 0, 1.0, s2
	s_mov_b32 s0, 0
	s_mov_b32 s19, 0
	s_delay_alu instid0(VALU_DEP_1) | instskip(NEXT) | instid1(VALU_DEP_1)
	v_bfe_u32 v3, v2, 16, 1
	v_add3_u32 v2, v2, v3, 0x7fff
	s_delay_alu instid0(VALU_DEP_1)
	v_lshrrev_b32_e32 v2, 16, v2
	global_store_b32 v[0:1], v2, off
	s_branch .LBB190_923
.LBB190_918:
	s_or_b32 exec_lo, exec_lo, s17
	s_and_saveexec_b32 s0, s15
	s_cbranch_execnz .LBB190_991
.LBB190_919:
	s_or_b32 exec_lo, exec_lo, s0
	s_and_saveexec_b32 s0, s19
	s_delay_alu instid0(SALU_CYCLE_1)
	s_xor_b32 s0, exec_lo, s0
	s_cbranch_execz .LBB190_992
.LBB190_920:
	s_wait_loadcnt 0x0
	v_cndmask_b32_e64 v2, 0, 1, s2
	global_store_b8 v[0:1], v2, off
	s_wait_xcnt 0x0
	s_or_b32 exec_lo, exec_lo, s0
	s_and_saveexec_b32 s0, s18
	s_delay_alu instid0(SALU_CYCLE_1)
	s_xor_b32 s0, exec_lo, s0
	s_cbranch_execz .LBB190_1030
	s_branch .LBB190_993
.LBB190_921:
	s_mov_b32 s20, 0
	s_mov_b32 s19, -1
	s_mov_b32 s0, s15
	s_branch .LBB190_990
.LBB190_922:
	s_mov_b32 s19, 0
.LBB190_923:
	s_delay_alu instid0(SALU_CYCLE_1)
	s_and_b32 vcc_lo, exec_lo, s19
	s_cbranch_vccz .LBB190_928
; %bb.924:
	s_cmp_eq_u32 s18, 44
	s_mov_b32 s0, -1
	s_cbranch_scc0 .LBB190_928
; %bb.925:
	v_cndmask_b32_e64 v4, 0, 1.0, s2
	s_mov_b32 s19, exec_lo
	s_wait_xcnt 0x0
	s_delay_alu instid0(VALU_DEP_1) | instskip(NEXT) | instid1(VALU_DEP_1)
	v_dual_mov_b32 v3, 0xff :: v_dual_lshrrev_b32 v2, 23, v4
	v_cmpx_ne_u32_e32 0xff, v2
; %bb.926:
	v_and_b32_e32 v3, 0x400000, v4
	v_and_or_b32 v4, 0x3fffff, v4, v2
	s_delay_alu instid0(VALU_DEP_2) | instskip(NEXT) | instid1(VALU_DEP_2)
	v_cmp_ne_u32_e32 vcc_lo, 0, v3
	v_cmp_ne_u32_e64 s0, 0, v4
	s_and_b32 s0, vcc_lo, s0
	s_delay_alu instid0(SALU_CYCLE_1) | instskip(NEXT) | instid1(VALU_DEP_1)
	v_cndmask_b32_e64 v3, 0, 1, s0
	v_add_nc_u32_e32 v3, v2, v3
; %bb.927:
	s_or_b32 exec_lo, exec_lo, s19
	s_mov_b32 s0, 0
	global_store_b8 v[0:1], v3, off
.LBB190_928:
	s_mov_b32 s19, 0
.LBB190_929:
	s_delay_alu instid0(SALU_CYCLE_1)
	s_and_b32 vcc_lo, exec_lo, s19
	s_cbranch_vccz .LBB190_932
; %bb.930:
	s_cmp_eq_u32 s18, 29
	s_mov_b32 s0, -1
	s_cbranch_scc0 .LBB190_932
; %bb.931:
	s_mov_b32 s0, 0
	s_wait_xcnt 0x0
	v_cndmask_b32_e64 v2, 0, 1, s2
	v_mov_b32_e32 v3, s0
	s_mov_b32 s19, 0
	global_store_b64 v[0:1], v[2:3], off
	s_branch .LBB190_933
.LBB190_932:
	s_mov_b32 s19, 0
.LBB190_933:
	s_delay_alu instid0(SALU_CYCLE_1)
	s_and_b32 vcc_lo, exec_lo, s19
	s_cbranch_vccz .LBB190_948
; %bb.934:
	s_cmp_lt_i32 s18, 27
	s_mov_b32 s19, -1
	s_cbranch_scc1 .LBB190_940
; %bb.935:
	s_wait_xcnt 0x0
	v_cndmask_b32_e64 v2, 0, 1, s2
	s_cmp_gt_i32 s18, 27
	s_cbranch_scc0 .LBB190_937
; %bb.936:
	s_mov_b32 s19, 0
	global_store_b32 v[0:1], v2, off
.LBB190_937:
	s_and_not1_b32 vcc_lo, exec_lo, s19
	s_cbranch_vccnz .LBB190_939
; %bb.938:
	global_store_b16 v[0:1], v2, off
.LBB190_939:
	s_mov_b32 s19, 0
.LBB190_940:
	s_delay_alu instid0(SALU_CYCLE_1)
	s_and_not1_b32 vcc_lo, exec_lo, s19
	s_cbranch_vccnz .LBB190_948
; %bb.941:
	s_wait_xcnt 0x0
	v_cndmask_b32_e64 v3, 0, 1.0, s2
	v_mov_b32_e32 v4, 0x80
	s_mov_b32 s19, exec_lo
	s_delay_alu instid0(VALU_DEP_2)
	v_cmpx_gt_u32_e32 0x43800000, v3
	s_cbranch_execz .LBB190_947
; %bb.942:
	s_mov_b32 s20, 0
	s_mov_b32 s21, exec_lo
                                        ; implicit-def: $vgpr2
	v_cmpx_lt_u32_e32 0x3bffffff, v3
	s_xor_b32 s21, exec_lo, s21
	s_cbranch_execz .LBB190_1045
; %bb.943:
	v_bfe_u32 v2, v3, 20, 1
	s_mov_b32 s20, exec_lo
	s_delay_alu instid0(VALU_DEP_1) | instskip(NEXT) | instid1(VALU_DEP_1)
	v_add3_u32 v2, v3, v2, 0x487ffff
                                        ; implicit-def: $vgpr3
	v_lshrrev_b32_e32 v2, 20, v2
	s_and_not1_saveexec_b32 s21, s21
	s_cbranch_execnz .LBB190_1046
.LBB190_944:
	s_or_b32 exec_lo, exec_lo, s21
	v_mov_b32_e32 v4, 0
	s_and_saveexec_b32 s21, s20
.LBB190_945:
	v_mov_b32_e32 v4, v2
.LBB190_946:
	s_or_b32 exec_lo, exec_lo, s21
.LBB190_947:
	s_delay_alu instid0(SALU_CYCLE_1)
	s_or_b32 exec_lo, exec_lo, s19
	global_store_b8 v[0:1], v4, off
.LBB190_948:
	s_mov_b32 s19, 0
.LBB190_949:
	s_delay_alu instid0(SALU_CYCLE_1)
	s_and_b32 vcc_lo, exec_lo, s19
	s_mov_b32 s19, 0
	s_cbranch_vccz .LBB190_989
; %bb.950:
	s_cmp_gt_i32 s18, 22
	s_mov_b32 s20, -1
	s_cbranch_scc0 .LBB190_982
; %bb.951:
	s_cmp_lt_i32 s18, 24
	s_cbranch_scc1 .LBB190_971
; %bb.952:
	s_cmp_gt_i32 s18, 24
	s_cbranch_scc0 .LBB190_960
; %bb.953:
	s_wait_xcnt 0x0
	v_cndmask_b32_e64 v3, 0, 1.0, s2
	v_mov_b32_e32 v4, 0x80
	s_mov_b32 s20, exec_lo
	s_delay_alu instid0(VALU_DEP_2)
	v_cmpx_gt_u32_e32 0x47800000, v3
	s_cbranch_execz .LBB190_959
; %bb.954:
	s_mov_b32 s21, 0
	s_mov_b32 s22, exec_lo
                                        ; implicit-def: $vgpr2
	v_cmpx_lt_u32_e32 0x37ffffff, v3
	s_xor_b32 s22, exec_lo, s22
	s_cbranch_execz .LBB190_1171
; %bb.955:
	v_bfe_u32 v2, v3, 21, 1
	s_mov_b32 s21, exec_lo
	s_delay_alu instid0(VALU_DEP_1) | instskip(NEXT) | instid1(VALU_DEP_1)
	v_add3_u32 v2, v3, v2, 0x88fffff
                                        ; implicit-def: $vgpr3
	v_lshrrev_b32_e32 v2, 21, v2
	s_and_not1_saveexec_b32 s22, s22
	s_cbranch_execnz .LBB190_1172
.LBB190_956:
	s_or_b32 exec_lo, exec_lo, s22
	v_mov_b32_e32 v4, 0
	s_and_saveexec_b32 s22, s21
.LBB190_957:
	v_mov_b32_e32 v4, v2
.LBB190_958:
	s_or_b32 exec_lo, exec_lo, s22
.LBB190_959:
	s_delay_alu instid0(SALU_CYCLE_1)
	s_or_b32 exec_lo, exec_lo, s20
	s_mov_b32 s20, 0
	global_store_b8 v[0:1], v4, off
.LBB190_960:
	s_and_b32 vcc_lo, exec_lo, s20
	s_cbranch_vccz .LBB190_970
; %bb.961:
	s_wait_xcnt 0x0
	v_cndmask_b32_e64 v3, 0, 1.0, s2
	s_mov_b32 s20, exec_lo
                                        ; implicit-def: $vgpr2
	s_delay_alu instid0(VALU_DEP_1)
	v_cmpx_gt_u32_e32 0x43f00000, v3
	s_xor_b32 s20, exec_lo, s20
	s_cbranch_execz .LBB190_967
; %bb.962:
	s_mov_b32 s21, exec_lo
                                        ; implicit-def: $vgpr2
	v_cmpx_lt_u32_e32 0x3c7fffff, v3
	s_xor_b32 s21, exec_lo, s21
; %bb.963:
	v_bfe_u32 v2, v3, 20, 1
	s_delay_alu instid0(VALU_DEP_1) | instskip(NEXT) | instid1(VALU_DEP_1)
	v_add3_u32 v2, v3, v2, 0x407ffff
	v_and_b32_e32 v3, 0xff00000, v2
	v_lshrrev_b32_e32 v2, 20, v2
	s_delay_alu instid0(VALU_DEP_2) | instskip(NEXT) | instid1(VALU_DEP_2)
	v_cmp_ne_u32_e32 vcc_lo, 0x7f00000, v3
                                        ; implicit-def: $vgpr3
	v_cndmask_b32_e32 v2, 0x7e, v2, vcc_lo
; %bb.964:
	s_and_not1_saveexec_b32 s21, s21
; %bb.965:
	v_add_f32_e32 v2, 0x46800000, v3
; %bb.966:
	s_or_b32 exec_lo, exec_lo, s21
                                        ; implicit-def: $vgpr3
.LBB190_967:
	s_and_not1_saveexec_b32 s20, s20
; %bb.968:
	v_mov_b32_e32 v2, 0x7f
	v_cmp_lt_u32_e32 vcc_lo, 0x7f800000, v3
	s_delay_alu instid0(VALU_DEP_2)
	v_cndmask_b32_e32 v2, 0x7e, v2, vcc_lo
; %bb.969:
	s_or_b32 exec_lo, exec_lo, s20
	global_store_b8 v[0:1], v2, off
.LBB190_970:
	s_mov_b32 s20, 0
.LBB190_971:
	s_delay_alu instid0(SALU_CYCLE_1)
	s_and_not1_b32 vcc_lo, exec_lo, s20
	s_cbranch_vccnz .LBB190_981
; %bb.972:
	s_wait_xcnt 0x0
	v_cndmask_b32_e64 v3, 0, 1.0, s2
	s_mov_b32 s20, exec_lo
                                        ; implicit-def: $vgpr2
	s_delay_alu instid0(VALU_DEP_1)
	v_cmpx_gt_u32_e32 0x47800000, v3
	s_xor_b32 s20, exec_lo, s20
	s_cbranch_execz .LBB190_978
; %bb.973:
	s_mov_b32 s21, exec_lo
                                        ; implicit-def: $vgpr2
	v_cmpx_lt_u32_e32 0x387fffff, v3
	s_xor_b32 s21, exec_lo, s21
; %bb.974:
	v_bfe_u32 v2, v3, 21, 1
	s_delay_alu instid0(VALU_DEP_1) | instskip(NEXT) | instid1(VALU_DEP_1)
	v_add3_u32 v2, v3, v2, 0x80fffff
                                        ; implicit-def: $vgpr3
	v_lshrrev_b32_e32 v2, 21, v2
; %bb.975:
	s_and_not1_saveexec_b32 s21, s21
; %bb.976:
	v_add_f32_e32 v2, 0x43000000, v3
; %bb.977:
	s_or_b32 exec_lo, exec_lo, s21
                                        ; implicit-def: $vgpr3
.LBB190_978:
	s_and_not1_saveexec_b32 s20, s20
; %bb.979:
	v_mov_b32_e32 v2, 0x7f
	v_cmp_lt_u32_e32 vcc_lo, 0x7f800000, v3
	s_delay_alu instid0(VALU_DEP_2)
	v_cndmask_b32_e32 v2, 0x7c, v2, vcc_lo
; %bb.980:
	s_or_b32 exec_lo, exec_lo, s20
	global_store_b8 v[0:1], v2, off
.LBB190_981:
	s_mov_b32 s20, 0
.LBB190_982:
	s_delay_alu instid0(SALU_CYCLE_1)
	s_and_not1_b32 vcc_lo, exec_lo, s20
	s_mov_b32 s20, 0
	s_cbranch_vccnz .LBB190_990
; %bb.983:
	s_cmp_gt_i32 s18, 14
	s_mov_b32 s20, -1
	s_cbranch_scc0 .LBB190_987
; %bb.984:
	s_cmp_eq_u32 s18, 15
	s_mov_b32 s0, -1
	s_cbranch_scc0 .LBB190_986
; %bb.985:
	s_wait_xcnt 0x0
	v_cndmask_b32_e64 v2, 0, 1.0, s2
	s_mov_b32 s0, 0
	s_delay_alu instid0(VALU_DEP_1) | instskip(NEXT) | instid1(VALU_DEP_1)
	v_bfe_u32 v3, v2, 16, 1
	v_add3_u32 v2, v2, v3, 0x7fff
	global_store_d16_hi_b16 v[0:1], v2, off
.LBB190_986:
	s_mov_b32 s20, 0
.LBB190_987:
	s_delay_alu instid0(SALU_CYCLE_1)
	s_and_b32 vcc_lo, exec_lo, s20
	s_mov_b32 s20, 0
	s_cbranch_vccz .LBB190_990
; %bb.988:
	s_cmp_lg_u32 s18, 11
	s_mov_b32 s20, -1
	s_cselect_b32 s18, -1, 0
	s_and_not1_b32 s0, s0, exec_lo
	s_and_b32 s18, s18, exec_lo
	s_delay_alu instid0(SALU_CYCLE_1)
	s_or_b32 s0, s0, s18
	s_branch .LBB190_990
.LBB190_989:
	s_mov_b32 s20, 0
.LBB190_990:
	s_and_not1_b32 s15, s15, exec_lo
	s_and_b32 s0, s0, exec_lo
	s_and_b32 s18, s19, exec_lo
	;; [unrolled: 1-line block ×3, first 2 shown]
	s_or_b32 s15, s15, s0
	s_wait_xcnt 0x0
	s_or_b32 exec_lo, exec_lo, s17
	s_and_saveexec_b32 s0, s15
	s_cbranch_execz .LBB190_919
.LBB190_991:
	s_or_b32 s1, s1, exec_lo
	s_and_not1_b32 s19, s19, exec_lo
	s_trap 2
	s_or_b32 exec_lo, exec_lo, s0
	s_and_saveexec_b32 s0, s19
	s_delay_alu instid0(SALU_CYCLE_1)
	s_xor_b32 s0, exec_lo, s0
	s_cbranch_execnz .LBB190_920
.LBB190_992:
	s_or_b32 exec_lo, exec_lo, s0
	s_and_saveexec_b32 s0, s18
	s_delay_alu instid0(SALU_CYCLE_1)
	s_xor_b32 s0, exec_lo, s0
	s_cbranch_execz .LBB190_1030
.LBB190_993:
	s_sext_i32_i16 s17, s16
	s_mov_b32 s15, -1
	s_cmp_lt_i32 s17, 5
	s_cbranch_scc1 .LBB190_1014
; %bb.994:
	s_cmp_lt_i32 s17, 8
	s_cbranch_scc1 .LBB190_1004
; %bb.995:
	;; [unrolled: 3-line block ×3, first 2 shown]
	s_cmp_gt_i32 s17, 9
	s_cbranch_scc0 .LBB190_998
; %bb.997:
	s_wait_loadcnt 0x0
	v_cndmask_b32_e64 v2, 0, 1, s2
	v_mov_b32_e32 v4, 0
	s_mov_b32 s15, 0
	s_delay_alu instid0(VALU_DEP_2) | instskip(NEXT) | instid1(VALU_DEP_2)
	v_cvt_f64_u32_e32 v[2:3], v2
	v_mov_b32_e32 v5, v4
	global_store_b128 v[0:1], v[2:5], off
.LBB190_998:
	s_and_not1_b32 vcc_lo, exec_lo, s15
	s_cbranch_vccnz .LBB190_1000
; %bb.999:
	s_wait_loadcnt 0x0
	v_cndmask_b32_e64 v2, 0, 1.0, s2
	v_mov_b32_e32 v3, 0
	global_store_b64 v[0:1], v[2:3], off
.LBB190_1000:
	s_mov_b32 s15, 0
.LBB190_1001:
	s_delay_alu instid0(SALU_CYCLE_1)
	s_and_not1_b32 vcc_lo, exec_lo, s15
	s_cbranch_vccnz .LBB190_1003
; %bb.1002:
	s_wait_loadcnt 0x0
	v_cndmask_b32_e64 v2, 0, 1.0, s2
	s_delay_alu instid0(VALU_DEP_1) | instskip(NEXT) | instid1(VALU_DEP_1)
	v_cvt_f16_f32_e32 v2, v2
	v_and_b32_e32 v2, 0xffff, v2
	global_store_b32 v[0:1], v2, off
.LBB190_1003:
	s_mov_b32 s15, 0
.LBB190_1004:
	s_delay_alu instid0(SALU_CYCLE_1)
	s_and_not1_b32 vcc_lo, exec_lo, s15
	s_cbranch_vccnz .LBB190_1013
; %bb.1005:
	s_sext_i32_i16 s17, s16
	s_mov_b32 s15, -1
	s_cmp_lt_i32 s17, 6
	s_cbranch_scc1 .LBB190_1011
; %bb.1006:
	s_cmp_gt_i32 s17, 6
	s_cbranch_scc0 .LBB190_1008
; %bb.1007:
	s_wait_loadcnt 0x0
	v_cndmask_b32_e64 v2, 0, 1, s2
	s_mov_b32 s15, 0
	s_delay_alu instid0(VALU_DEP_1)
	v_cvt_f64_u32_e32 v[2:3], v2
	global_store_b64 v[0:1], v[2:3], off
.LBB190_1008:
	s_and_not1_b32 vcc_lo, exec_lo, s15
	s_cbranch_vccnz .LBB190_1010
; %bb.1009:
	s_wait_loadcnt 0x0
	v_cndmask_b32_e64 v2, 0, 1.0, s2
	global_store_b32 v[0:1], v2, off
.LBB190_1010:
	s_mov_b32 s15, 0
.LBB190_1011:
	s_delay_alu instid0(SALU_CYCLE_1)
	s_and_not1_b32 vcc_lo, exec_lo, s15
	s_cbranch_vccnz .LBB190_1013
; %bb.1012:
	s_wait_loadcnt 0x0
	v_cndmask_b32_e64 v2, 0, 1.0, s2
	s_delay_alu instid0(VALU_DEP_1)
	v_cvt_f16_f32_e32 v2, v2
	global_store_b16 v[0:1], v2, off
.LBB190_1013:
	s_mov_b32 s15, 0
.LBB190_1014:
	s_delay_alu instid0(SALU_CYCLE_1)
	s_and_not1_b32 vcc_lo, exec_lo, s15
	s_cbranch_vccnz .LBB190_1030
; %bb.1015:
	s_sext_i32_i16 s17, s16
	s_mov_b32 s15, -1
	s_cmp_lt_i32 s17, 2
	s_cbranch_scc1 .LBB190_1025
; %bb.1016:
	s_cmp_lt_i32 s17, 3
	s_cbranch_scc1 .LBB190_1022
; %bb.1017:
	s_cmp_gt_i32 s17, 3
	s_cbranch_scc0 .LBB190_1019
; %bb.1018:
	s_mov_b32 s15, 0
	s_wait_loadcnt 0x0
	v_cndmask_b32_e64 v2, 0, 1, s2
	v_mov_b32_e32 v3, s15
	global_store_b64 v[0:1], v[2:3], off
.LBB190_1019:
	s_and_not1_b32 vcc_lo, exec_lo, s15
	s_cbranch_vccnz .LBB190_1021
; %bb.1020:
	s_wait_loadcnt 0x0
	v_cndmask_b32_e64 v2, 0, 1, s2
	global_store_b32 v[0:1], v2, off
.LBB190_1021:
	s_mov_b32 s15, 0
.LBB190_1022:
	s_delay_alu instid0(SALU_CYCLE_1)
	s_and_not1_b32 vcc_lo, exec_lo, s15
	s_cbranch_vccnz .LBB190_1024
; %bb.1023:
	s_wait_loadcnt 0x0
	v_cndmask_b32_e64 v2, 0, 1, s2
	global_store_b16 v[0:1], v2, off
.LBB190_1024:
	s_mov_b32 s15, 0
.LBB190_1025:
	s_delay_alu instid0(SALU_CYCLE_1)
	s_and_not1_b32 vcc_lo, exec_lo, s15
	s_cbranch_vccnz .LBB190_1030
; %bb.1026:
	s_wait_loadcnt 0x0
	v_cndmask_b32_e64 v2, 0, 1, s2
	s_sext_i32_i16 s15, s16
	s_mov_b32 s2, -1
	s_cmp_gt_i32 s15, 0
	s_cbranch_scc0 .LBB190_1028
; %bb.1027:
	s_mov_b32 s2, 0
	global_store_b8 v[0:1], v2, off
.LBB190_1028:
	s_and_not1_b32 vcc_lo, exec_lo, s2
	s_cbranch_vccnz .LBB190_1030
; %bb.1029:
	global_store_b8 v[0:1], v2, off
.LBB190_1030:
	s_wait_xcnt 0x0
	s_or_b32 exec_lo, exec_lo, s0
	s_delay_alu instid0(SALU_CYCLE_1)
	s_and_b32 s15, s1, exec_lo
                                        ; implicit-def: $vgpr4
.LBB190_1031:
	s_or_saveexec_b32 s14, s14
	s_mov_b32 s0, 0
                                        ; implicit-def: $sgpr1
                                        ; implicit-def: $sgpr16
                                        ; implicit-def: $vgpr0_vgpr1
	s_xor_b32 exec_lo, exec_lo, s14
	s_cbranch_execz .LBB190_1982
; %bb.1032:
	v_mul_lo_u32 v0, s9, v4
	s_and_b32 s0, 0xffff, s13
	s_delay_alu instid0(SALU_CYCLE_1) | instskip(NEXT) | instid1(VALU_DEP_1)
	s_cmp_lt_i32 s0, 11
	v_ashrrev_i32_e32 v1, 31, v0
	s_wait_loadcnt 0x0
	s_delay_alu instid0(VALU_DEP_1)
	v_add_nc_u64_e32 v[2:3], s[6:7], v[0:1]
	s_cbranch_scc1 .LBB190_1039
; %bb.1033:
	s_cmp_gt_i32 s0, 25
	s_mov_b32 s2, 0
	s_cbranch_scc0 .LBB190_1041
; %bb.1034:
	s_cmp_gt_i32 s0, 28
	s_cbranch_scc0 .LBB190_1042
; %bb.1035:
	s_cmp_gt_i32 s0, 43
	;; [unrolled: 3-line block ×3, first 2 shown]
	s_cbranch_scc0 .LBB190_1044
; %bb.1037:
	s_cmp_eq_u32 s0, 46
	s_cbranch_scc0 .LBB190_1047
; %bb.1038:
	global_load_b32 v1, v[2:3], off
	s_mov_b32 s1, 0
	s_mov_b32 s13, -1
	s_wait_loadcnt 0x0
	v_lshlrev_b32_e32 v1, 16, v1
	s_delay_alu instid0(VALU_DEP_1)
	v_cvt_f16_f32_e32 v5, v1
	s_branch .LBB190_1049
.LBB190_1039:
	s_mov_b32 s13, 0
	s_mov_b32 s12, s15
                                        ; implicit-def: $vgpr5
	s_cbranch_execnz .LBB190_1112
.LBB190_1040:
	s_and_not1_b32 vcc_lo, exec_lo, s13
	s_cbranch_vccz .LBB190_1157
	s_branch .LBB190_1980
.LBB190_1041:
	s_mov_b32 s13, 0
	s_mov_b32 s1, 0
                                        ; implicit-def: $vgpr5
	s_cbranch_execnz .LBB190_1077
	s_branch .LBB190_1108
.LBB190_1042:
	s_mov_b32 s12, -1
	s_mov_b32 s13, 0
	s_mov_b32 s1, 0
                                        ; implicit-def: $vgpr5
	s_branch .LBB190_1058
.LBB190_1043:
	s_mov_b32 s13, 0
	s_mov_b32 s1, 0
                                        ; implicit-def: $vgpr5
	s_cbranch_execnz .LBB190_1054
	s_branch .LBB190_1057
.LBB190_1044:
	s_mov_b32 s12, -1
	s_mov_b32 s13, 0
	s_mov_b32 s1, 0
	s_branch .LBB190_1048
.LBB190_1045:
	s_and_not1_saveexec_b32 s21, s21
	s_cbranch_execz .LBB190_944
.LBB190_1046:
	v_add_f32_e32 v2, 0x46000000, v3
	s_and_not1_b32 s20, s20, exec_lo
	s_delay_alu instid0(VALU_DEP_1) | instskip(NEXT) | instid1(VALU_DEP_1)
	v_and_b32_e32 v2, 0xff, v2
	v_cmp_ne_u32_e32 vcc_lo, 0, v2
	s_and_b32 s22, vcc_lo, exec_lo
	s_delay_alu instid0(SALU_CYCLE_1)
	s_or_b32 s20, s20, s22
	s_or_b32 exec_lo, exec_lo, s21
	v_mov_b32_e32 v4, 0
	s_and_saveexec_b32 s21, s20
	s_cbranch_execnz .LBB190_945
	s_branch .LBB190_946
.LBB190_1047:
	s_mov_b32 s1, -1
	s_mov_b32 s13, 0
.LBB190_1048:
                                        ; implicit-def: $vgpr5
.LBB190_1049:
	s_and_b32 vcc_lo, exec_lo, s12
	s_cbranch_vccz .LBB190_1052
; %bb.1050:
	s_cmp_eq_u32 s0, 44
	s_cbranch_scc0 .LBB190_1053
; %bb.1051:
	global_load_u8 v1, v[2:3], off
	s_mov_b32 s1, 0
	s_mov_b32 s13, -1
	s_wait_loadcnt 0x0
	v_lshlrev_b32_e32 v5, 23, v1
	v_cmp_ne_u32_e32 vcc_lo, 0xff, v1
	s_delay_alu instid0(VALU_DEP_2) | instskip(NEXT) | instid1(VALU_DEP_1)
	v_cvt_f16_f32_e32 v5, v5
	v_cndmask_b32_e32 v5, 0x7e00, v5, vcc_lo
	v_cmp_ne_u32_e32 vcc_lo, 0, v1
	s_delay_alu instid0(VALU_DEP_2)
	v_cndmask_b32_e32 v5, 0, v5, vcc_lo
.LBB190_1052:
	s_branch .LBB190_1057
.LBB190_1053:
	s_mov_b32 s1, -1
                                        ; implicit-def: $vgpr5
	s_branch .LBB190_1057
.LBB190_1054:
	s_cmp_eq_u32 s0, 29
	s_cbranch_scc0 .LBB190_1056
; %bb.1055:
	global_load_b64 v[6:7], v[2:3], off
	s_mov_b32 s1, 0
	s_mov_b32 s13, -1
	s_mov_b32 s12, 0
	s_wait_loadcnt 0x0
	v_clz_i32_u32_e32 v1, v7
	s_delay_alu instid0(VALU_DEP_1) | instskip(NEXT) | instid1(VALU_DEP_1)
	v_min_u32_e32 v1, 32, v1
	v_lshlrev_b64_e32 v[6:7], v1, v[6:7]
	v_sub_nc_u32_e32 v1, 32, v1
	s_delay_alu instid0(VALU_DEP_2) | instskip(NEXT) | instid1(VALU_DEP_1)
	v_min_u32_e32 v5, 1, v6
	v_or_b32_e32 v5, v7, v5
	s_delay_alu instid0(VALU_DEP_1) | instskip(NEXT) | instid1(VALU_DEP_1)
	v_cvt_f32_u32_e32 v5, v5
	v_ldexp_f32 v1, v5, v1
	s_delay_alu instid0(VALU_DEP_1)
	v_cvt_f16_f32_e32 v5, v1
	s_branch .LBB190_1058
.LBB190_1056:
	s_mov_b32 s1, -1
                                        ; implicit-def: $vgpr5
.LBB190_1057:
	s_mov_b32 s12, 0
.LBB190_1058:
	s_delay_alu instid0(SALU_CYCLE_1)
	s_and_b32 vcc_lo, exec_lo, s12
	s_cbranch_vccz .LBB190_1076
; %bb.1059:
	s_cmp_lt_i32 s0, 27
	s_cbranch_scc1 .LBB190_1062
; %bb.1060:
	s_cmp_gt_i32 s0, 27
	s_cbranch_scc0 .LBB190_1063
; %bb.1061:
	global_load_b32 v1, v[2:3], off
	s_mov_b32 s12, 0
	s_wait_loadcnt 0x0
	v_cvt_f32_u32_e32 v1, v1
	s_delay_alu instid0(VALU_DEP_1)
	v_cvt_f16_f32_e32 v5, v1
	s_branch .LBB190_1064
.LBB190_1062:
	s_mov_b32 s12, -1
                                        ; implicit-def: $vgpr5
	s_branch .LBB190_1067
.LBB190_1063:
	s_mov_b32 s12, -1
                                        ; implicit-def: $vgpr5
.LBB190_1064:
	s_delay_alu instid0(SALU_CYCLE_1)
	s_and_not1_b32 vcc_lo, exec_lo, s12
	s_cbranch_vccnz .LBB190_1066
; %bb.1065:
	global_load_u16 v1, v[2:3], off
	s_wait_loadcnt 0x0
	v_cvt_f16_u16_e32 v5, v1
.LBB190_1066:
	s_mov_b32 s12, 0
.LBB190_1067:
	s_delay_alu instid0(SALU_CYCLE_1)
	s_and_not1_b32 vcc_lo, exec_lo, s12
	s_cbranch_vccnz .LBB190_1075
; %bb.1068:
	global_load_u8 v1, v[2:3], off
	s_mov_b32 s12, 0
	s_mov_b32 s13, exec_lo
	s_wait_loadcnt 0x0
	v_cmpx_lt_i16_e32 0x7f, v1
	s_xor_b32 s13, exec_lo, s13
	s_cbranch_execz .LBB190_1088
; %bb.1069:
	s_mov_b32 s12, -1
	s_mov_b32 s16, exec_lo
	v_cmpx_eq_u16_e32 0x80, v1
; %bb.1070:
	s_xor_b32 s12, exec_lo, -1
; %bb.1071:
	s_or_b32 exec_lo, exec_lo, s16
	s_delay_alu instid0(SALU_CYCLE_1)
	s_and_b32 s12, s12, exec_lo
	s_or_saveexec_b32 s13, s13
	v_mov_b32_e32 v5, 0x7e00
	s_xor_b32 exec_lo, exec_lo, s13
	s_cbranch_execnz .LBB190_1089
.LBB190_1072:
	s_or_b32 exec_lo, exec_lo, s13
	s_and_saveexec_b32 s13, s12
	s_cbranch_execz .LBB190_1074
.LBB190_1073:
	v_and_b32_e32 v5, 0xffff, v1
	s_delay_alu instid0(VALU_DEP_1) | instskip(SKIP_1) | instid1(VALU_DEP_2)
	v_and_b32_e32 v6, 7, v5
	v_bfe_u32 v9, v5, 3, 4
	v_clz_i32_u32_e32 v7, v6
	s_delay_alu instid0(VALU_DEP_2) | instskip(NEXT) | instid1(VALU_DEP_2)
	v_cmp_eq_u32_e32 vcc_lo, 0, v9
	v_min_u32_e32 v7, 32, v7
	s_delay_alu instid0(VALU_DEP_1) | instskip(NEXT) | instid1(VALU_DEP_1)
	v_subrev_nc_u32_e32 v8, 28, v7
	v_dual_lshlrev_b32 v5, v8, v5 :: v_dual_sub_nc_u32 v7, 29, v7
	s_delay_alu instid0(VALU_DEP_1) | instskip(NEXT) | instid1(VALU_DEP_2)
	v_and_b32_e32 v5, 7, v5
	v_dual_lshlrev_b32 v1, 24, v1 :: v_dual_cndmask_b32 v7, v9, v7, vcc_lo
	s_delay_alu instid0(VALU_DEP_2) | instskip(NEXT) | instid1(VALU_DEP_2)
	v_cndmask_b32_e32 v5, v6, v5, vcc_lo
	v_and_b32_e32 v1, 0x80000000, v1
	s_delay_alu instid0(VALU_DEP_3) | instskip(NEXT) | instid1(VALU_DEP_3)
	v_lshl_add_u32 v6, v7, 23, 0x3b800000
	v_lshlrev_b32_e32 v5, 20, v5
	s_delay_alu instid0(VALU_DEP_1) | instskip(NEXT) | instid1(VALU_DEP_1)
	v_or3_b32 v1, v1, v6, v5
	v_cvt_f16_f32_e32 v5, v1
.LBB190_1074:
	s_or_b32 exec_lo, exec_lo, s13
.LBB190_1075:
	s_mov_b32 s13, -1
.LBB190_1076:
	s_branch .LBB190_1108
.LBB190_1077:
	s_cmp_gt_i32 s0, 22
	s_cbranch_scc0 .LBB190_1087
; %bb.1078:
	s_cmp_lt_i32 s0, 24
	s_cbranch_scc1 .LBB190_1090
; %bb.1079:
	s_cmp_gt_i32 s0, 24
	s_cbranch_scc0 .LBB190_1091
; %bb.1080:
	global_load_u8 v1, v[2:3], off
	s_mov_b32 s12, exec_lo
	s_wait_loadcnt 0x0
	v_cmpx_lt_i16_e32 0x7f, v1
	s_xor_b32 s12, exec_lo, s12
	s_cbranch_execz .LBB190_1102
; %bb.1081:
	s_mov_b32 s2, -1
	s_mov_b32 s13, exec_lo
	v_cmpx_eq_u16_e32 0x80, v1
; %bb.1082:
	s_xor_b32 s2, exec_lo, -1
; %bb.1083:
	s_or_b32 exec_lo, exec_lo, s13
	s_delay_alu instid0(SALU_CYCLE_1)
	s_and_b32 s2, s2, exec_lo
	s_or_saveexec_b32 s12, s12
	v_mov_b32_e32 v5, 0x7e00
	s_xor_b32 exec_lo, exec_lo, s12
	s_cbranch_execnz .LBB190_1103
.LBB190_1084:
	s_or_b32 exec_lo, exec_lo, s12
	s_and_saveexec_b32 s12, s2
	s_cbranch_execz .LBB190_1086
.LBB190_1085:
	v_and_b32_e32 v5, 0xffff, v1
	s_delay_alu instid0(VALU_DEP_1) | instskip(SKIP_1) | instid1(VALU_DEP_2)
	v_and_b32_e32 v6, 3, v5
	v_bfe_u32 v9, v5, 2, 5
	v_clz_i32_u32_e32 v7, v6
	s_delay_alu instid0(VALU_DEP_2) | instskip(NEXT) | instid1(VALU_DEP_2)
	v_cmp_eq_u32_e32 vcc_lo, 0, v9
	v_min_u32_e32 v7, 32, v7
	s_delay_alu instid0(VALU_DEP_1) | instskip(NEXT) | instid1(VALU_DEP_1)
	v_subrev_nc_u32_e32 v8, 29, v7
	v_dual_lshlrev_b32 v5, v8, v5 :: v_dual_sub_nc_u32 v7, 30, v7
	s_delay_alu instid0(VALU_DEP_1) | instskip(NEXT) | instid1(VALU_DEP_2)
	v_and_b32_e32 v5, 3, v5
	v_dual_lshlrev_b32 v1, 24, v1 :: v_dual_cndmask_b32 v7, v9, v7, vcc_lo
	s_delay_alu instid0(VALU_DEP_2) | instskip(NEXT) | instid1(VALU_DEP_2)
	v_cndmask_b32_e32 v5, v6, v5, vcc_lo
	v_and_b32_e32 v1, 0x80000000, v1
	s_delay_alu instid0(VALU_DEP_3) | instskip(NEXT) | instid1(VALU_DEP_3)
	v_lshl_add_u32 v6, v7, 23, 0x37800000
	v_lshlrev_b32_e32 v5, 21, v5
	s_delay_alu instid0(VALU_DEP_1) | instskip(NEXT) | instid1(VALU_DEP_1)
	v_or3_b32 v1, v1, v6, v5
	v_cvt_f16_f32_e32 v5, v1
.LBB190_1086:
	s_or_b32 exec_lo, exec_lo, s12
	s_mov_b32 s2, 0
	s_branch .LBB190_1092
.LBB190_1087:
                                        ; implicit-def: $vgpr5
	s_mov_b32 s2, 0
	s_branch .LBB190_1098
.LBB190_1088:
	s_or_saveexec_b32 s13, s13
	v_mov_b32_e32 v5, 0x7e00
	s_xor_b32 exec_lo, exec_lo, s13
	s_cbranch_execz .LBB190_1072
.LBB190_1089:
	v_cmp_ne_u16_e32 vcc_lo, 0, v1
	v_mov_b32_e32 v5, v1
	s_and_not1_b32 s12, s12, exec_lo
	s_and_b32 s16, vcc_lo, exec_lo
	s_delay_alu instid0(SALU_CYCLE_1)
	s_or_b32 s12, s12, s16
	s_or_b32 exec_lo, exec_lo, s13
	s_and_saveexec_b32 s13, s12
	s_cbranch_execnz .LBB190_1073
	s_branch .LBB190_1074
.LBB190_1090:
	s_mov_b32 s2, -1
                                        ; implicit-def: $vgpr5
	s_branch .LBB190_1095
.LBB190_1091:
	s_mov_b32 s2, -1
                                        ; implicit-def: $vgpr5
.LBB190_1092:
	s_delay_alu instid0(SALU_CYCLE_1)
	s_and_b32 vcc_lo, exec_lo, s2
	s_cbranch_vccz .LBB190_1094
; %bb.1093:
	global_load_u8 v1, v[2:3], off
	s_wait_loadcnt 0x0
	v_lshlrev_b32_e32 v1, 24, v1
	s_delay_alu instid0(VALU_DEP_1) | instskip(NEXT) | instid1(VALU_DEP_1)
	v_and_b32_e32 v5, 0x7f000000, v1
	v_clz_i32_u32_e32 v6, v5
	v_cmp_ne_u32_e32 vcc_lo, 0, v5
	v_add_nc_u32_e32 v8, 0x1000000, v5
	s_delay_alu instid0(VALU_DEP_3) | instskip(NEXT) | instid1(VALU_DEP_1)
	v_min_u32_e32 v6, 32, v6
	v_sub_nc_u32_e64 v6, v6, 4 clamp
	s_delay_alu instid0(VALU_DEP_1) | instskip(NEXT) | instid1(VALU_DEP_1)
	v_dual_lshlrev_b32 v7, v6, v5 :: v_dual_lshlrev_b32 v6, 23, v6
	v_lshrrev_b32_e32 v7, 4, v7
	s_delay_alu instid0(VALU_DEP_1) | instskip(NEXT) | instid1(VALU_DEP_1)
	v_dual_sub_nc_u32 v6, v7, v6 :: v_dual_ashrrev_i32 v7, 8, v8
	v_add_nc_u32_e32 v6, 0x3c000000, v6
	s_delay_alu instid0(VALU_DEP_1) | instskip(NEXT) | instid1(VALU_DEP_1)
	v_and_or_b32 v6, 0x7f800000, v7, v6
	v_cndmask_b32_e32 v5, 0, v6, vcc_lo
	s_delay_alu instid0(VALU_DEP_1) | instskip(NEXT) | instid1(VALU_DEP_1)
	v_and_or_b32 v1, 0x80000000, v1, v5
	v_cvt_f16_f32_e32 v5, v1
.LBB190_1094:
	s_mov_b32 s2, 0
.LBB190_1095:
	s_delay_alu instid0(SALU_CYCLE_1)
	s_and_not1_b32 vcc_lo, exec_lo, s2
	s_cbranch_vccnz .LBB190_1097
; %bb.1096:
	global_load_u8 v1, v[2:3], off
	s_wait_loadcnt 0x0
	v_lshlrev_b32_e32 v5, 25, v1
	v_lshlrev_b16 v1, 8, v1
	s_delay_alu instid0(VALU_DEP_1) | instskip(SKIP_1) | instid1(VALU_DEP_2)
	v_and_or_b32 v7, 0x7f00, v1, 0.5
	v_bfe_i32 v1, v1, 0, 16
	v_dual_add_f32 v7, -0.5, v7 :: v_dual_lshrrev_b32 v6, 4, v5
	v_cmp_gt_u32_e32 vcc_lo, 0x8000000, v5
	s_delay_alu instid0(VALU_DEP_2) | instskip(NEXT) | instid1(VALU_DEP_1)
	v_or_b32_e32 v6, 0x70000000, v6
	v_mul_f32_e32 v6, 0x7800000, v6
	s_delay_alu instid0(VALU_DEP_1) | instskip(NEXT) | instid1(VALU_DEP_1)
	v_cndmask_b32_e32 v5, v6, v7, vcc_lo
	v_and_or_b32 v1, 0x80000000, v1, v5
	s_delay_alu instid0(VALU_DEP_1)
	v_cvt_f16_f32_e32 v5, v1
.LBB190_1097:
	s_mov_b32 s13, -1
	s_mov_b32 s2, 0
	s_cbranch_execnz .LBB190_1108
.LBB190_1098:
	s_cmp_gt_i32 s0, 14
	s_cbranch_scc0 .LBB190_1101
; %bb.1099:
	s_cmp_eq_u32 s0, 15
	s_cbranch_scc0 .LBB190_1104
; %bb.1100:
	global_load_u16 v1, v[2:3], off
	s_mov_b32 s1, 0
	s_mov_b32 s13, -1
	s_wait_loadcnt 0x0
	v_lshlrev_b32_e32 v1, 16, v1
	s_delay_alu instid0(VALU_DEP_1)
	v_cvt_f16_f32_e32 v5, v1
	s_branch .LBB190_1106
.LBB190_1101:
	s_mov_b32 s2, -1
	s_branch .LBB190_1105
.LBB190_1102:
	s_or_saveexec_b32 s12, s12
	v_mov_b32_e32 v5, 0x7e00
	s_xor_b32 exec_lo, exec_lo, s12
	s_cbranch_execz .LBB190_1084
.LBB190_1103:
	v_cmp_ne_u16_e32 vcc_lo, 0, v1
	v_mov_b32_e32 v5, v1
	s_and_not1_b32 s2, s2, exec_lo
	s_and_b32 s13, vcc_lo, exec_lo
	s_delay_alu instid0(SALU_CYCLE_1)
	s_or_b32 s2, s2, s13
	s_or_b32 exec_lo, exec_lo, s12
	s_and_saveexec_b32 s12, s2
	s_cbranch_execnz .LBB190_1085
	s_branch .LBB190_1086
.LBB190_1104:
	s_mov_b32 s1, -1
.LBB190_1105:
                                        ; implicit-def: $vgpr5
.LBB190_1106:
	s_and_b32 vcc_lo, exec_lo, s2
	s_mov_b32 s2, 0
	s_cbranch_vccz .LBB190_1108
; %bb.1107:
	s_cmp_lg_u32 s0, 11
	s_mov_b32 s2, -1
	s_cselect_b32 s1, -1, 0
.LBB190_1108:
	s_delay_alu instid0(SALU_CYCLE_1)
	s_and_b32 vcc_lo, exec_lo, s1
	s_mov_b32 s12, s15
	s_cbranch_vccnz .LBB190_1169
; %bb.1109:
	s_and_not1_b32 vcc_lo, exec_lo, s2
	s_cbranch_vccnz .LBB190_1111
.LBB190_1110:
	global_load_u8 v1, v[2:3], off
	s_mov_b32 s13, -1
	s_wait_loadcnt 0x0
	v_cmp_ne_u16_e32 vcc_lo, 0, v1
	v_cndmask_b32_e64 v5, 0, 0x3c00, vcc_lo
.LBB190_1111:
	s_branch .LBB190_1040
.LBB190_1112:
	s_cmp_lt_i32 s0, 5
	s_cbranch_scc1 .LBB190_1117
; %bb.1113:
	s_cmp_lt_i32 s0, 8
	s_cbranch_scc1 .LBB190_1118
; %bb.1114:
	;; [unrolled: 3-line block ×3, first 2 shown]
	s_cmp_gt_i32 s0, 9
	s_cbranch_scc0 .LBB190_1120
; %bb.1116:
	global_load_b64 v[6:7], v[2:3], off
	s_mov_b32 s1, 0
	s_wait_loadcnt 0x0
	v_and_or_b32 v1, 0x1ff, v7, v6
	v_lshrrev_b32_e32 v5, 8, v7
	v_bfe_u32 v6, v7, 20, 11
	s_delay_alu instid0(VALU_DEP_3) | instskip(NEXT) | instid1(VALU_DEP_2)
	v_cmp_ne_u32_e32 vcc_lo, 0, v1
	v_sub_nc_u32_e32 v8, 0x3f1, v6
	v_add_nc_u32_e32 v6, 0xfffffc10, v6
	v_cndmask_b32_e64 v1, 0, 1, vcc_lo
	s_delay_alu instid0(VALU_DEP_1) | instskip(NEXT) | instid1(VALU_DEP_4)
	v_and_or_b32 v1, 0xffe, v5, v1
	v_med3_i32 v5, v8, 0, 13
	s_delay_alu instid0(VALU_DEP_2) | instskip(NEXT) | instid1(VALU_DEP_1)
	v_or_b32_e32 v8, 0x1000, v1
	v_lshrrev_b32_e32 v9, v5, v8
	s_delay_alu instid0(VALU_DEP_1) | instskip(NEXT) | instid1(VALU_DEP_1)
	v_lshlrev_b32_e32 v5, v5, v9
	v_cmp_ne_u32_e32 vcc_lo, v5, v8
	v_lshl_or_b32 v8, v6, 12, v1
	v_cndmask_b32_e64 v5, 0, 1, vcc_lo
	v_cmp_gt_i32_e32 vcc_lo, 1, v6
	s_delay_alu instid0(VALU_DEP_2) | instskip(NEXT) | instid1(VALU_DEP_1)
	v_or_b32_e32 v5, v9, v5
	v_cndmask_b32_e32 v5, v8, v5, vcc_lo
	s_delay_alu instid0(VALU_DEP_1) | instskip(NEXT) | instid1(VALU_DEP_1)
	v_dual_lshrrev_b32 v5, 2, v5 :: v_dual_bitop2_b32 v8, 7, v5 bitop3:0x40
	v_cmp_lt_i32_e32 vcc_lo, 5, v8
	v_cndmask_b32_e64 v9, 0, 1, vcc_lo
	v_cmp_eq_u32_e32 vcc_lo, 3, v8
	v_cndmask_b32_e64 v8, 0, 1, vcc_lo
	v_cmp_ne_u32_e32 vcc_lo, 0, v1
	s_delay_alu instid0(VALU_DEP_2) | instskip(SKIP_1) | instid1(VALU_DEP_2)
	v_or_b32_e32 v8, v8, v9
	v_mov_b32_e32 v9, 0x7e00
	v_add_nc_u32_e32 v5, v5, v8
	s_delay_alu instid0(VALU_DEP_2) | instskip(SKIP_1) | instid1(VALU_DEP_3)
	v_cndmask_b32_e32 v1, 0x7c00, v9, vcc_lo
	v_cmp_gt_i32_e32 vcc_lo, 31, v6
	v_cndmask_b32_e32 v5, 0x7c00, v5, vcc_lo
	v_cmp_eq_u32_e32 vcc_lo, 0x40f, v6
	s_delay_alu instid0(VALU_DEP_2) | instskip(NEXT) | instid1(VALU_DEP_1)
	v_dual_cndmask_b32 v1, v5, v1, vcc_lo :: v_dual_lshrrev_b32 v5, 16, v7
	v_and_or_b32 v5, 0x8000, v5, v1
	s_branch .LBB190_1121
.LBB190_1117:
                                        ; implicit-def: $vgpr5
	s_branch .LBB190_1138
.LBB190_1118:
                                        ; implicit-def: $vgpr5
	s_branch .LBB190_1127
.LBB190_1119:
	s_mov_b32 s1, -1
                                        ; implicit-def: $vgpr5
	s_branch .LBB190_1124
.LBB190_1120:
	s_mov_b32 s1, -1
                                        ; implicit-def: $vgpr5
.LBB190_1121:
	s_delay_alu instid0(SALU_CYCLE_1)
	s_and_not1_b32 vcc_lo, exec_lo, s1
	s_cbranch_vccnz .LBB190_1123
; %bb.1122:
	global_load_b32 v1, v[2:3], off
	s_wait_loadcnt 0x0
	v_cvt_f16_f32_e32 v5, v1
.LBB190_1123:
	s_mov_b32 s1, 0
.LBB190_1124:
	s_delay_alu instid0(SALU_CYCLE_1)
	s_and_not1_b32 vcc_lo, exec_lo, s1
	s_cbranch_vccnz .LBB190_1126
; %bb.1125:
	global_load_b32 v5, v[2:3], off
.LBB190_1126:
	s_cbranch_execnz .LBB190_1137
.LBB190_1127:
	s_cmp_lt_i32 s0, 6
	s_cbranch_scc1 .LBB190_1130
; %bb.1128:
	s_cmp_gt_i32 s0, 6
	s_cbranch_scc0 .LBB190_1131
; %bb.1129:
	global_load_b64 v[6:7], v[2:3], off
	s_mov_b32 s1, 0
	s_wait_loadcnt 0x0
	v_and_or_b32 v1, 0x1ff, v7, v6
	v_lshrrev_b32_e32 v5, 8, v7
	v_bfe_u32 v6, v7, 20, 11
	s_delay_alu instid0(VALU_DEP_3) | instskip(NEXT) | instid1(VALU_DEP_2)
	v_cmp_ne_u32_e32 vcc_lo, 0, v1
	v_sub_nc_u32_e32 v8, 0x3f1, v6
	v_add_nc_u32_e32 v6, 0xfffffc10, v6
	v_cndmask_b32_e64 v1, 0, 1, vcc_lo
	s_delay_alu instid0(VALU_DEP_1) | instskip(NEXT) | instid1(VALU_DEP_4)
	v_and_or_b32 v1, 0xffe, v5, v1
	v_med3_i32 v5, v8, 0, 13
	s_delay_alu instid0(VALU_DEP_2) | instskip(NEXT) | instid1(VALU_DEP_1)
	v_or_b32_e32 v8, 0x1000, v1
	v_lshrrev_b32_e32 v9, v5, v8
	s_delay_alu instid0(VALU_DEP_1) | instskip(NEXT) | instid1(VALU_DEP_1)
	v_lshlrev_b32_e32 v5, v5, v9
	v_cmp_ne_u32_e32 vcc_lo, v5, v8
	v_lshl_or_b32 v8, v6, 12, v1
	v_cndmask_b32_e64 v5, 0, 1, vcc_lo
	v_cmp_gt_i32_e32 vcc_lo, 1, v6
	s_delay_alu instid0(VALU_DEP_2) | instskip(NEXT) | instid1(VALU_DEP_1)
	v_or_b32_e32 v5, v9, v5
	v_cndmask_b32_e32 v5, v8, v5, vcc_lo
	s_delay_alu instid0(VALU_DEP_1) | instskip(NEXT) | instid1(VALU_DEP_1)
	v_dual_lshrrev_b32 v5, 2, v5 :: v_dual_bitop2_b32 v8, 7, v5 bitop3:0x40
	v_cmp_lt_i32_e32 vcc_lo, 5, v8
	v_cndmask_b32_e64 v9, 0, 1, vcc_lo
	v_cmp_eq_u32_e32 vcc_lo, 3, v8
	v_cndmask_b32_e64 v8, 0, 1, vcc_lo
	v_cmp_ne_u32_e32 vcc_lo, 0, v1
	s_delay_alu instid0(VALU_DEP_2) | instskip(SKIP_1) | instid1(VALU_DEP_2)
	v_or_b32_e32 v8, v8, v9
	v_mov_b32_e32 v9, 0x7e00
	v_add_nc_u32_e32 v5, v5, v8
	s_delay_alu instid0(VALU_DEP_2) | instskip(SKIP_1) | instid1(VALU_DEP_3)
	v_cndmask_b32_e32 v1, 0x7c00, v9, vcc_lo
	v_cmp_gt_i32_e32 vcc_lo, 31, v6
	v_cndmask_b32_e32 v5, 0x7c00, v5, vcc_lo
	v_cmp_eq_u32_e32 vcc_lo, 0x40f, v6
	s_delay_alu instid0(VALU_DEP_2) | instskip(NEXT) | instid1(VALU_DEP_1)
	v_dual_cndmask_b32 v1, v5, v1, vcc_lo :: v_dual_lshrrev_b32 v5, 16, v7
	v_and_or_b32 v5, 0x8000, v5, v1
	s_branch .LBB190_1132
.LBB190_1130:
	s_mov_b32 s1, -1
                                        ; implicit-def: $vgpr5
	s_branch .LBB190_1135
.LBB190_1131:
	s_mov_b32 s1, -1
                                        ; implicit-def: $vgpr5
.LBB190_1132:
	s_delay_alu instid0(SALU_CYCLE_1)
	s_and_not1_b32 vcc_lo, exec_lo, s1
	s_cbranch_vccnz .LBB190_1134
; %bb.1133:
	global_load_b32 v1, v[2:3], off
	s_wait_loadcnt 0x0
	v_cvt_f16_f32_e32 v5, v1
.LBB190_1134:
	s_mov_b32 s1, 0
.LBB190_1135:
	s_delay_alu instid0(SALU_CYCLE_1)
	s_and_not1_b32 vcc_lo, exec_lo, s1
	s_cbranch_vccnz .LBB190_1137
; %bb.1136:
	s_wait_loadcnt 0x0
	global_load_u16 v5, v[2:3], off
.LBB190_1137:
	s_cbranch_execnz .LBB190_1156
.LBB190_1138:
	s_cmp_lt_i32 s0, 2
	s_cbranch_scc1 .LBB190_1142
; %bb.1139:
	s_cmp_lt_i32 s0, 3
	s_cbranch_scc1 .LBB190_1143
; %bb.1140:
	s_cmp_gt_i32 s0, 3
	s_cbranch_scc0 .LBB190_1144
; %bb.1141:
	global_load_b64 v[6:7], v[2:3], off
	s_mov_b32 s1, 0
	s_wait_loadcnt 0x0
	v_xor_b32_e32 v1, v6, v7
	v_cls_i32_e32 v5, v7
	s_delay_alu instid0(VALU_DEP_2) | instskip(NEXT) | instid1(VALU_DEP_1)
	v_ashrrev_i32_e32 v1, 31, v1
	v_add_nc_u32_e32 v1, 32, v1
	s_delay_alu instid0(VALU_DEP_1) | instskip(NEXT) | instid1(VALU_DEP_1)
	v_add_min_u32_e64 v1, v5, -1, v1
	v_lshlrev_b64_e32 v[6:7], v1, v[6:7]
	v_sub_nc_u32_e32 v1, 32, v1
	s_delay_alu instid0(VALU_DEP_2) | instskip(NEXT) | instid1(VALU_DEP_1)
	v_min_u32_e32 v5, 1, v6
	v_or_b32_e32 v5, v7, v5
	s_delay_alu instid0(VALU_DEP_1) | instskip(NEXT) | instid1(VALU_DEP_1)
	v_cvt_f32_i32_e32 v5, v5
	v_ldexp_f32 v1, v5, v1
	s_delay_alu instid0(VALU_DEP_1)
	v_cvt_f16_f32_e32 v5, v1
	s_branch .LBB190_1145
.LBB190_1142:
                                        ; implicit-def: $vgpr5
	s_branch .LBB190_1151
.LBB190_1143:
	s_mov_b32 s1, -1
                                        ; implicit-def: $vgpr5
	s_branch .LBB190_1148
.LBB190_1144:
	s_mov_b32 s1, -1
                                        ; implicit-def: $vgpr5
.LBB190_1145:
	s_delay_alu instid0(SALU_CYCLE_1)
	s_and_not1_b32 vcc_lo, exec_lo, s1
	s_cbranch_vccnz .LBB190_1147
; %bb.1146:
	global_load_b32 v1, v[2:3], off
	s_wait_loadcnt 0x0
	v_cvt_f32_i32_e32 v1, v1
	s_delay_alu instid0(VALU_DEP_1)
	v_cvt_f16_f32_e32 v5, v1
.LBB190_1147:
	s_mov_b32 s1, 0
.LBB190_1148:
	s_delay_alu instid0(SALU_CYCLE_1)
	s_and_not1_b32 vcc_lo, exec_lo, s1
	s_cbranch_vccnz .LBB190_1150
; %bb.1149:
	global_load_u16 v1, v[2:3], off
	s_wait_loadcnt 0x0
	v_cvt_f16_i16_e32 v5, v1
.LBB190_1150:
	s_cbranch_execnz .LBB190_1156
.LBB190_1151:
	s_cmp_gt_i32 s0, 0
	s_mov_b32 s1, 0
	s_cbranch_scc0 .LBB190_1153
; %bb.1152:
	global_load_i8 v1, v[2:3], off
	s_wait_loadcnt 0x0
	v_cvt_f16_i16_e32 v5, v1
	s_branch .LBB190_1154
.LBB190_1153:
	s_mov_b32 s1, -1
                                        ; implicit-def: $vgpr5
.LBB190_1154:
	s_delay_alu instid0(SALU_CYCLE_1)
	s_and_not1_b32 vcc_lo, exec_lo, s1
	s_cbranch_vccnz .LBB190_1156
; %bb.1155:
	global_load_u8 v1, v[2:3], off
	s_wait_loadcnt 0x0
	v_cvt_f16_u16_e32 v5, v1
.LBB190_1156:
.LBB190_1157:
	s_lshl_b32 s1, s9, 7
	s_cmp_lt_i32 s0, 11
	v_add_nc_u32_e32 v0, s1, v0
	s_delay_alu instid0(VALU_DEP_1) | instskip(SKIP_1) | instid1(VALU_DEP_1)
	v_ashrrev_i32_e32 v1, 31, v0
	s_wait_xcnt 0x0
	v_add_nc_u64_e32 v[2:3], s[6:7], v[0:1]
	s_cbranch_scc1 .LBB190_1164
; %bb.1158:
	s_cmp_gt_i32 s0, 25
	s_mov_b32 s9, 0
	s_cbranch_scc0 .LBB190_1166
; %bb.1159:
	s_cmp_gt_i32 s0, 28
	s_cbranch_scc0 .LBB190_1167
; %bb.1160:
	s_cmp_gt_i32 s0, 43
	;; [unrolled: 3-line block ×3, first 2 shown]
	s_cbranch_scc0 .LBB190_1170
; %bb.1162:
	s_cmp_eq_u32 s0, 46
	s_mov_b32 s16, 0
	s_cbranch_scc0 .LBB190_1173
; %bb.1163:
	global_load_b32 v1, v[2:3], off
	s_mov_b32 s2, 0
	s_mov_b32 s13, -1
	s_wait_loadcnt 0x0
	v_lshlrev_b32_e32 v1, 16, v1
	s_delay_alu instid0(VALU_DEP_1)
	v_cvt_f16_f32_e32 v6, v1
	s_branch .LBB190_1175
.LBB190_1164:
	s_mov_b32 s13, 0
                                        ; implicit-def: $vgpr6
	s_cbranch_execnz .LBB190_1240
.LBB190_1165:
	s_and_not1_b32 vcc_lo, exec_lo, s13
	s_cbranch_vccnz .LBB190_1980
	s_branch .LBB190_1287
.LBB190_1166:
	s_mov_b32 s13, 0
	s_mov_b32 s2, 0
                                        ; implicit-def: $vgpr6
	s_cbranch_execnz .LBB190_1204
	s_branch .LBB190_1236
.LBB190_1167:
	s_mov_b32 s16, -1
	s_mov_b32 s13, 0
	s_mov_b32 s2, 0
                                        ; implicit-def: $vgpr6
	s_branch .LBB190_1185
.LBB190_1168:
	s_mov_b32 s16, -1
	s_mov_b32 s13, 0
	s_mov_b32 s2, 0
                                        ; implicit-def: $vgpr6
	s_branch .LBB190_1180
.LBB190_1169:
	s_or_b32 s12, s15, exec_lo
	s_trap 2
	s_cbranch_execz .LBB190_1110
	s_branch .LBB190_1111
.LBB190_1170:
	s_mov_b32 s16, -1
	s_mov_b32 s13, 0
	s_mov_b32 s2, 0
	s_branch .LBB190_1174
.LBB190_1171:
	s_and_not1_saveexec_b32 s22, s22
	s_cbranch_execz .LBB190_956
.LBB190_1172:
	v_add_f32_e32 v2, 0x42800000, v3
	s_and_not1_b32 s21, s21, exec_lo
	s_delay_alu instid0(VALU_DEP_1) | instskip(NEXT) | instid1(VALU_DEP_1)
	v_and_b32_e32 v2, 0xff, v2
	v_cmp_ne_u32_e32 vcc_lo, 0, v2
	s_and_b32 s23, vcc_lo, exec_lo
	s_delay_alu instid0(SALU_CYCLE_1)
	s_or_b32 s21, s21, s23
	s_or_b32 exec_lo, exec_lo, s22
	v_mov_b32_e32 v4, 0
	s_and_saveexec_b32 s22, s21
	s_cbranch_execnz .LBB190_957
	s_branch .LBB190_958
.LBB190_1173:
	s_mov_b32 s2, -1
	s_mov_b32 s13, 0
.LBB190_1174:
                                        ; implicit-def: $vgpr6
.LBB190_1175:
	s_and_b32 vcc_lo, exec_lo, s16
	s_cbranch_vccz .LBB190_1179
; %bb.1176:
	s_cmp_eq_u32 s0, 44
	s_cbranch_scc0 .LBB190_1178
; %bb.1177:
	global_load_u8 v1, v[2:3], off
	s_mov_b32 s2, 0
	s_mov_b32 s13, -1
	s_wait_loadcnt 0x0
	v_lshlrev_b32_e32 v6, 23, v1
	v_cmp_ne_u32_e32 vcc_lo, 0xff, v1
	s_delay_alu instid0(VALU_DEP_2) | instskip(NEXT) | instid1(VALU_DEP_1)
	v_cvt_f16_f32_e32 v6, v6
	v_cndmask_b32_e32 v6, 0x7e00, v6, vcc_lo
	v_cmp_ne_u32_e32 vcc_lo, 0, v1
	s_delay_alu instid0(VALU_DEP_2)
	v_cndmask_b32_e32 v6, 0, v6, vcc_lo
	s_branch .LBB190_1179
.LBB190_1178:
	s_mov_b32 s2, -1
                                        ; implicit-def: $vgpr6
.LBB190_1179:
	s_mov_b32 s16, 0
.LBB190_1180:
	s_delay_alu instid0(SALU_CYCLE_1)
	s_and_b32 vcc_lo, exec_lo, s16
	s_cbranch_vccz .LBB190_1184
; %bb.1181:
	s_cmp_eq_u32 s0, 29
	s_cbranch_scc0 .LBB190_1183
; %bb.1182:
	global_load_b64 v[6:7], v[2:3], off
	s_mov_b32 s2, 0
	s_mov_b32 s13, -1
	s_mov_b32 s16, 0
	s_wait_loadcnt 0x0
	v_clz_i32_u32_e32 v1, v7
	s_delay_alu instid0(VALU_DEP_1) | instskip(NEXT) | instid1(VALU_DEP_1)
	v_min_u32_e32 v1, 32, v1
	v_lshlrev_b64_e32 v[6:7], v1, v[6:7]
	v_sub_nc_u32_e32 v1, 32, v1
	s_delay_alu instid0(VALU_DEP_2) | instskip(NEXT) | instid1(VALU_DEP_1)
	v_min_u32_e32 v6, 1, v6
	v_or_b32_e32 v6, v7, v6
	s_delay_alu instid0(VALU_DEP_1) | instskip(NEXT) | instid1(VALU_DEP_1)
	v_cvt_f32_u32_e32 v6, v6
	v_ldexp_f32 v1, v6, v1
	s_delay_alu instid0(VALU_DEP_1)
	v_cvt_f16_f32_e32 v6, v1
	s_branch .LBB190_1185
.LBB190_1183:
	s_mov_b32 s2, -1
                                        ; implicit-def: $vgpr6
.LBB190_1184:
	s_mov_b32 s16, 0
.LBB190_1185:
	s_delay_alu instid0(SALU_CYCLE_1)
	s_and_b32 vcc_lo, exec_lo, s16
	s_cbranch_vccz .LBB190_1203
; %bb.1186:
	s_cmp_lt_i32 s0, 27
	s_cbranch_scc1 .LBB190_1189
; %bb.1187:
	s_cmp_gt_i32 s0, 27
	s_cbranch_scc0 .LBB190_1190
; %bb.1188:
	global_load_b32 v1, v[2:3], off
	s_mov_b32 s13, 0
	s_wait_loadcnt 0x0
	v_cvt_f32_u32_e32 v1, v1
	s_delay_alu instid0(VALU_DEP_1)
	v_cvt_f16_f32_e32 v6, v1
	s_branch .LBB190_1191
.LBB190_1189:
	s_mov_b32 s13, -1
                                        ; implicit-def: $vgpr6
	s_branch .LBB190_1194
.LBB190_1190:
	s_mov_b32 s13, -1
                                        ; implicit-def: $vgpr6
.LBB190_1191:
	s_delay_alu instid0(SALU_CYCLE_1)
	s_and_not1_b32 vcc_lo, exec_lo, s13
	s_cbranch_vccnz .LBB190_1193
; %bb.1192:
	global_load_u16 v1, v[2:3], off
	s_wait_loadcnt 0x0
	v_cvt_f16_u16_e32 v6, v1
.LBB190_1193:
	s_mov_b32 s13, 0
.LBB190_1194:
	s_delay_alu instid0(SALU_CYCLE_1)
	s_and_not1_b32 vcc_lo, exec_lo, s13
	s_cbranch_vccnz .LBB190_1202
; %bb.1195:
	global_load_u8 v1, v[2:3], off
	s_mov_b32 s13, 0
	s_mov_b32 s16, exec_lo
	s_wait_loadcnt 0x0
	v_cmpx_lt_i16_e32 0x7f, v1
	s_xor_b32 s16, exec_lo, s16
	s_cbranch_execz .LBB190_1215
; %bb.1196:
	s_mov_b32 s13, -1
	s_mov_b32 s17, exec_lo
	v_cmpx_eq_u16_e32 0x80, v1
; %bb.1197:
	s_xor_b32 s13, exec_lo, -1
; %bb.1198:
	s_or_b32 exec_lo, exec_lo, s17
	s_delay_alu instid0(SALU_CYCLE_1)
	s_and_b32 s13, s13, exec_lo
	s_or_saveexec_b32 s16, s16
	v_mov_b32_e32 v6, 0x7e00
	s_xor_b32 exec_lo, exec_lo, s16
	s_cbranch_execnz .LBB190_1216
.LBB190_1199:
	s_or_b32 exec_lo, exec_lo, s16
	s_and_saveexec_b32 s16, s13
	s_cbranch_execz .LBB190_1201
.LBB190_1200:
	v_and_b32_e32 v6, 0xffff, v1
	s_delay_alu instid0(VALU_DEP_1) | instskip(SKIP_1) | instid1(VALU_DEP_2)
	v_and_b32_e32 v7, 7, v6
	v_bfe_u32 v10, v6, 3, 4
	v_clz_i32_u32_e32 v8, v7
	s_delay_alu instid0(VALU_DEP_2) | instskip(NEXT) | instid1(VALU_DEP_2)
	v_cmp_eq_u32_e32 vcc_lo, 0, v10
	v_min_u32_e32 v8, 32, v8
	s_delay_alu instid0(VALU_DEP_1) | instskip(NEXT) | instid1(VALU_DEP_1)
	v_subrev_nc_u32_e32 v9, 28, v8
	v_dual_lshlrev_b32 v6, v9, v6 :: v_dual_sub_nc_u32 v8, 29, v8
	s_delay_alu instid0(VALU_DEP_1) | instskip(NEXT) | instid1(VALU_DEP_1)
	v_dual_lshlrev_b32 v1, 24, v1 :: v_dual_bitop2_b32 v6, 7, v6 bitop3:0x40
	v_dual_cndmask_b32 v8, v10, v8, vcc_lo :: v_dual_cndmask_b32 v6, v7, v6, vcc_lo
	s_delay_alu instid0(VALU_DEP_2) | instskip(NEXT) | instid1(VALU_DEP_2)
	v_and_b32_e32 v1, 0x80000000, v1
	v_lshl_add_u32 v7, v8, 23, 0x3b800000
	s_delay_alu instid0(VALU_DEP_3) | instskip(NEXT) | instid1(VALU_DEP_1)
	v_lshlrev_b32_e32 v6, 20, v6
	v_or3_b32 v1, v1, v7, v6
	s_delay_alu instid0(VALU_DEP_1)
	v_cvt_f16_f32_e32 v6, v1
.LBB190_1201:
	s_or_b32 exec_lo, exec_lo, s16
.LBB190_1202:
	s_mov_b32 s13, -1
.LBB190_1203:
	s_branch .LBB190_1236
.LBB190_1204:
	s_cmp_gt_i32 s0, 22
	s_cbranch_scc0 .LBB190_1214
; %bb.1205:
	s_cmp_lt_i32 s0, 24
	s_cbranch_scc1 .LBB190_1217
; %bb.1206:
	s_cmp_gt_i32 s0, 24
	s_cbranch_scc0 .LBB190_1218
; %bb.1207:
	global_load_u8 v1, v[2:3], off
	s_mov_b32 s13, exec_lo
	s_wait_loadcnt 0x0
	v_cmpx_lt_i16_e32 0x7f, v1
	s_xor_b32 s13, exec_lo, s13
	s_cbranch_execz .LBB190_1230
; %bb.1208:
	s_mov_b32 s9, -1
	s_mov_b32 s16, exec_lo
	v_cmpx_eq_u16_e32 0x80, v1
; %bb.1209:
	s_xor_b32 s9, exec_lo, -1
; %bb.1210:
	s_or_b32 exec_lo, exec_lo, s16
	s_delay_alu instid0(SALU_CYCLE_1)
	s_and_b32 s9, s9, exec_lo
	s_or_saveexec_b32 s13, s13
	v_mov_b32_e32 v6, 0x7e00
	s_xor_b32 exec_lo, exec_lo, s13
	s_cbranch_execnz .LBB190_1231
.LBB190_1211:
	s_or_b32 exec_lo, exec_lo, s13
	s_and_saveexec_b32 s13, s9
	s_cbranch_execz .LBB190_1213
.LBB190_1212:
	v_and_b32_e32 v6, 0xffff, v1
	s_delay_alu instid0(VALU_DEP_1) | instskip(SKIP_1) | instid1(VALU_DEP_2)
	v_and_b32_e32 v7, 3, v6
	v_bfe_u32 v10, v6, 2, 5
	v_clz_i32_u32_e32 v8, v7
	s_delay_alu instid0(VALU_DEP_2) | instskip(NEXT) | instid1(VALU_DEP_2)
	v_cmp_eq_u32_e32 vcc_lo, 0, v10
	v_min_u32_e32 v8, 32, v8
	s_delay_alu instid0(VALU_DEP_1) | instskip(NEXT) | instid1(VALU_DEP_1)
	v_subrev_nc_u32_e32 v9, 29, v8
	v_dual_lshlrev_b32 v6, v9, v6 :: v_dual_sub_nc_u32 v8, 30, v8
	s_delay_alu instid0(VALU_DEP_1) | instskip(NEXT) | instid1(VALU_DEP_1)
	v_dual_lshlrev_b32 v1, 24, v1 :: v_dual_bitop2_b32 v6, 3, v6 bitop3:0x40
	v_dual_cndmask_b32 v8, v10, v8, vcc_lo :: v_dual_cndmask_b32 v6, v7, v6, vcc_lo
	s_delay_alu instid0(VALU_DEP_2) | instskip(NEXT) | instid1(VALU_DEP_2)
	v_and_b32_e32 v1, 0x80000000, v1
	v_lshl_add_u32 v7, v8, 23, 0x37800000
	s_delay_alu instid0(VALU_DEP_3) | instskip(NEXT) | instid1(VALU_DEP_1)
	v_lshlrev_b32_e32 v6, 21, v6
	v_or3_b32 v1, v1, v7, v6
	s_delay_alu instid0(VALU_DEP_1)
	v_cvt_f16_f32_e32 v6, v1
.LBB190_1213:
	s_or_b32 exec_lo, exec_lo, s13
	s_mov_b32 s9, 0
	s_branch .LBB190_1219
.LBB190_1214:
	s_mov_b32 s9, -1
                                        ; implicit-def: $vgpr6
	s_branch .LBB190_1225
.LBB190_1215:
	s_or_saveexec_b32 s16, s16
	v_mov_b32_e32 v6, 0x7e00
	s_xor_b32 exec_lo, exec_lo, s16
	s_cbranch_execz .LBB190_1199
.LBB190_1216:
	v_cmp_ne_u16_e32 vcc_lo, 0, v1
	v_mov_b32_e32 v6, v1
	s_and_not1_b32 s13, s13, exec_lo
	s_and_b32 s17, vcc_lo, exec_lo
	s_delay_alu instid0(SALU_CYCLE_1)
	s_or_b32 s13, s13, s17
	s_or_b32 exec_lo, exec_lo, s16
	s_and_saveexec_b32 s16, s13
	s_cbranch_execnz .LBB190_1200
	s_branch .LBB190_1201
.LBB190_1217:
	s_mov_b32 s9, -1
                                        ; implicit-def: $vgpr6
	s_branch .LBB190_1222
.LBB190_1218:
	s_mov_b32 s9, -1
                                        ; implicit-def: $vgpr6
.LBB190_1219:
	s_delay_alu instid0(SALU_CYCLE_1)
	s_and_b32 vcc_lo, exec_lo, s9
	s_cbranch_vccz .LBB190_1221
; %bb.1220:
	global_load_u8 v1, v[2:3], off
	s_wait_loadcnt 0x0
	v_lshlrev_b32_e32 v1, 24, v1
	s_delay_alu instid0(VALU_DEP_1) | instskip(NEXT) | instid1(VALU_DEP_1)
	v_and_b32_e32 v6, 0x7f000000, v1
	v_clz_i32_u32_e32 v7, v6
	v_cmp_ne_u32_e32 vcc_lo, 0, v6
	v_add_nc_u32_e32 v9, 0x1000000, v6
	s_delay_alu instid0(VALU_DEP_3) | instskip(NEXT) | instid1(VALU_DEP_1)
	v_min_u32_e32 v7, 32, v7
	v_sub_nc_u32_e64 v7, v7, 4 clamp
	s_delay_alu instid0(VALU_DEP_1) | instskip(NEXT) | instid1(VALU_DEP_1)
	v_dual_lshlrev_b32 v8, v7, v6 :: v_dual_lshlrev_b32 v7, 23, v7
	v_lshrrev_b32_e32 v8, 4, v8
	s_delay_alu instid0(VALU_DEP_1) | instskip(NEXT) | instid1(VALU_DEP_1)
	v_dual_sub_nc_u32 v7, v8, v7 :: v_dual_ashrrev_i32 v8, 8, v9
	v_add_nc_u32_e32 v7, 0x3c000000, v7
	s_delay_alu instid0(VALU_DEP_1) | instskip(NEXT) | instid1(VALU_DEP_1)
	v_and_or_b32 v7, 0x7f800000, v8, v7
	v_cndmask_b32_e32 v6, 0, v7, vcc_lo
	s_delay_alu instid0(VALU_DEP_1) | instskip(NEXT) | instid1(VALU_DEP_1)
	v_and_or_b32 v1, 0x80000000, v1, v6
	v_cvt_f16_f32_e32 v6, v1
.LBB190_1221:
	s_mov_b32 s9, 0
.LBB190_1222:
	s_delay_alu instid0(SALU_CYCLE_1)
	s_and_not1_b32 vcc_lo, exec_lo, s9
	s_cbranch_vccnz .LBB190_1224
; %bb.1223:
	global_load_u8 v1, v[2:3], off
	s_wait_loadcnt 0x0
	v_lshlrev_b32_e32 v6, 25, v1
	v_lshlrev_b16 v1, 8, v1
	s_delay_alu instid0(VALU_DEP_1) | instskip(SKIP_1) | instid1(VALU_DEP_2)
	v_and_or_b32 v8, 0x7f00, v1, 0.5
	v_bfe_i32 v1, v1, 0, 16
	v_dual_add_f32 v8, -0.5, v8 :: v_dual_lshrrev_b32 v7, 4, v6
	v_cmp_gt_u32_e32 vcc_lo, 0x8000000, v6
	s_delay_alu instid0(VALU_DEP_2) | instskip(NEXT) | instid1(VALU_DEP_1)
	v_or_b32_e32 v7, 0x70000000, v7
	v_mul_f32_e32 v7, 0x7800000, v7
	s_delay_alu instid0(VALU_DEP_1) | instskip(NEXT) | instid1(VALU_DEP_1)
	v_cndmask_b32_e32 v6, v7, v8, vcc_lo
	v_and_or_b32 v1, 0x80000000, v1, v6
	s_delay_alu instid0(VALU_DEP_1)
	v_cvt_f16_f32_e32 v6, v1
.LBB190_1224:
	s_mov_b32 s9, 0
	s_mov_b32 s13, -1
.LBB190_1225:
	s_and_not1_b32 vcc_lo, exec_lo, s9
	s_mov_b32 s9, 0
	s_cbranch_vccnz .LBB190_1236
; %bb.1226:
	s_cmp_gt_i32 s0, 14
	s_cbranch_scc0 .LBB190_1229
; %bb.1227:
	s_cmp_eq_u32 s0, 15
	s_cbranch_scc0 .LBB190_1232
; %bb.1228:
	global_load_u16 v1, v[2:3], off
	s_mov_b32 s2, 0
	s_mov_b32 s13, -1
	s_wait_loadcnt 0x0
	v_lshlrev_b32_e32 v1, 16, v1
	s_delay_alu instid0(VALU_DEP_1)
	v_cvt_f16_f32_e32 v6, v1
	s_branch .LBB190_1234
.LBB190_1229:
	s_mov_b32 s9, -1
	s_branch .LBB190_1233
.LBB190_1230:
	s_or_saveexec_b32 s13, s13
	v_mov_b32_e32 v6, 0x7e00
	s_xor_b32 exec_lo, exec_lo, s13
	s_cbranch_execz .LBB190_1211
.LBB190_1231:
	v_cmp_ne_u16_e32 vcc_lo, 0, v1
	v_mov_b32_e32 v6, v1
	s_and_not1_b32 s9, s9, exec_lo
	s_and_b32 s16, vcc_lo, exec_lo
	s_delay_alu instid0(SALU_CYCLE_1)
	s_or_b32 s9, s9, s16
	s_or_b32 exec_lo, exec_lo, s13
	s_and_saveexec_b32 s13, s9
	s_cbranch_execnz .LBB190_1212
	s_branch .LBB190_1213
.LBB190_1232:
	s_mov_b32 s2, -1
.LBB190_1233:
                                        ; implicit-def: $vgpr6
.LBB190_1234:
	s_and_b32 vcc_lo, exec_lo, s9
	s_mov_b32 s9, 0
	s_cbranch_vccz .LBB190_1236
; %bb.1235:
	s_cmp_lg_u32 s0, 11
	s_mov_b32 s9, -1
	s_cselect_b32 s2, -1, 0
.LBB190_1236:
	s_delay_alu instid0(SALU_CYCLE_1)
	s_and_b32 vcc_lo, exec_lo, s2
	s_cbranch_vccnz .LBB190_1299
; %bb.1237:
	s_and_not1_b32 vcc_lo, exec_lo, s9
	s_cbranch_vccnz .LBB190_1239
.LBB190_1238:
	global_load_u8 v1, v[2:3], off
	s_mov_b32 s13, -1
	s_wait_loadcnt 0x0
	v_cmp_ne_u16_e32 vcc_lo, 0, v1
	v_cndmask_b32_e64 v6, 0, 0x3c00, vcc_lo
.LBB190_1239:
	s_branch .LBB190_1165
.LBB190_1240:
	s_cmp_lt_i32 s0, 5
	s_cbranch_scc1 .LBB190_1245
; %bb.1241:
	s_cmp_lt_i32 s0, 8
	s_cbranch_scc1 .LBB190_1246
; %bb.1242:
	;; [unrolled: 3-line block ×3, first 2 shown]
	s_cmp_gt_i32 s0, 9
	s_cbranch_scc0 .LBB190_1248
; %bb.1244:
	global_load_b64 v[6:7], v[2:3], off
	s_mov_b32 s2, 0
	s_wait_loadcnt 0x0
	v_and_or_b32 v1, 0x1ff, v7, v6
	v_lshrrev_b32_e32 v6, 8, v7
	v_bfe_u32 v8, v7, 20, 11
	s_delay_alu instid0(VALU_DEP_3) | instskip(NEXT) | instid1(VALU_DEP_2)
	v_cmp_ne_u32_e32 vcc_lo, 0, v1
	v_sub_nc_u32_e32 v9, 0x3f1, v8
	v_add_nc_u32_e32 v8, 0xfffffc10, v8
	v_cndmask_b32_e64 v1, 0, 1, vcc_lo
	s_delay_alu instid0(VALU_DEP_1) | instskip(NEXT) | instid1(VALU_DEP_4)
	v_and_or_b32 v1, 0xffe, v6, v1
	v_med3_i32 v6, v9, 0, 13
	s_delay_alu instid0(VALU_DEP_2) | instskip(NEXT) | instid1(VALU_DEP_1)
	v_or_b32_e32 v9, 0x1000, v1
	v_lshrrev_b32_e32 v10, v6, v9
	s_delay_alu instid0(VALU_DEP_1) | instskip(NEXT) | instid1(VALU_DEP_1)
	v_lshlrev_b32_e32 v6, v6, v10
	v_cmp_ne_u32_e32 vcc_lo, v6, v9
	v_lshl_or_b32 v9, v8, 12, v1
	v_cndmask_b32_e64 v6, 0, 1, vcc_lo
	v_cmp_gt_i32_e32 vcc_lo, 1, v8
	s_delay_alu instid0(VALU_DEP_2) | instskip(NEXT) | instid1(VALU_DEP_1)
	v_or_b32_e32 v6, v10, v6
	v_cndmask_b32_e32 v6, v9, v6, vcc_lo
	s_delay_alu instid0(VALU_DEP_1) | instskip(NEXT) | instid1(VALU_DEP_1)
	v_dual_lshrrev_b32 v6, 2, v6 :: v_dual_bitop2_b32 v9, 7, v6 bitop3:0x40
	v_cmp_lt_i32_e32 vcc_lo, 5, v9
	v_cndmask_b32_e64 v10, 0, 1, vcc_lo
	v_cmp_eq_u32_e32 vcc_lo, 3, v9
	v_cndmask_b32_e64 v9, 0, 1, vcc_lo
	v_cmp_ne_u32_e32 vcc_lo, 0, v1
	s_delay_alu instid0(VALU_DEP_2) | instskip(SKIP_1) | instid1(VALU_DEP_1)
	v_or_b32_e32 v9, v9, v10
	v_mov_b32_e32 v10, 0x7e00
	v_dual_cndmask_b32 v1, 0x7c00, v10 :: v_dual_add_nc_u32 v6, v6, v9
	v_cmp_gt_i32_e32 vcc_lo, 31, v8
	s_delay_alu instid0(VALU_DEP_2) | instskip(SKIP_1) | instid1(VALU_DEP_2)
	v_cndmask_b32_e32 v6, 0x7c00, v6, vcc_lo
	v_cmp_eq_u32_e32 vcc_lo, 0x40f, v8
	v_dual_cndmask_b32 v1, v6, v1 :: v_dual_lshrrev_b32 v6, 16, v7
	s_delay_alu instid0(VALU_DEP_1)
	v_and_or_b32 v6, 0x8000, v6, v1
	s_branch .LBB190_1249
.LBB190_1245:
                                        ; implicit-def: $vgpr6
	s_branch .LBB190_1267
.LBB190_1246:
	s_mov_b32 s2, -1
                                        ; implicit-def: $vgpr6
	s_branch .LBB190_1255
.LBB190_1247:
	s_mov_b32 s2, -1
                                        ; implicit-def: $vgpr6
	s_branch .LBB190_1252
.LBB190_1248:
	s_mov_b32 s2, -1
                                        ; implicit-def: $vgpr6
.LBB190_1249:
	s_delay_alu instid0(SALU_CYCLE_1)
	s_and_not1_b32 vcc_lo, exec_lo, s2
	s_cbranch_vccnz .LBB190_1251
; %bb.1250:
	global_load_b32 v1, v[2:3], off
	s_wait_loadcnt 0x0
	v_cvt_f16_f32_e32 v6, v1
.LBB190_1251:
	s_mov_b32 s2, 0
.LBB190_1252:
	s_delay_alu instid0(SALU_CYCLE_1)
	s_and_not1_b32 vcc_lo, exec_lo, s2
	s_cbranch_vccnz .LBB190_1254
; %bb.1253:
	global_load_b32 v6, v[2:3], off
.LBB190_1254:
	s_mov_b32 s2, 0
.LBB190_1255:
	s_delay_alu instid0(SALU_CYCLE_1)
	s_and_not1_b32 vcc_lo, exec_lo, s2
	s_cbranch_vccnz .LBB190_1266
; %bb.1256:
	s_cmp_lt_i32 s0, 6
	s_cbranch_scc1 .LBB190_1259
; %bb.1257:
	s_cmp_gt_i32 s0, 6
	s_cbranch_scc0 .LBB190_1260
; %bb.1258:
	s_wait_loadcnt 0x0
	global_load_b64 v[6:7], v[2:3], off
	s_mov_b32 s2, 0
	s_wait_loadcnt 0x0
	v_and_or_b32 v1, 0x1ff, v7, v6
	v_lshrrev_b32_e32 v6, 8, v7
	v_bfe_u32 v8, v7, 20, 11
	s_delay_alu instid0(VALU_DEP_3) | instskip(NEXT) | instid1(VALU_DEP_2)
	v_cmp_ne_u32_e32 vcc_lo, 0, v1
	v_sub_nc_u32_e32 v9, 0x3f1, v8
	v_add_nc_u32_e32 v8, 0xfffffc10, v8
	v_cndmask_b32_e64 v1, 0, 1, vcc_lo
	s_delay_alu instid0(VALU_DEP_1) | instskip(NEXT) | instid1(VALU_DEP_4)
	v_and_or_b32 v1, 0xffe, v6, v1
	v_med3_i32 v6, v9, 0, 13
	s_delay_alu instid0(VALU_DEP_2) | instskip(NEXT) | instid1(VALU_DEP_1)
	v_or_b32_e32 v9, 0x1000, v1
	v_lshrrev_b32_e32 v10, v6, v9
	s_delay_alu instid0(VALU_DEP_1) | instskip(NEXT) | instid1(VALU_DEP_1)
	v_lshlrev_b32_e32 v6, v6, v10
	v_cmp_ne_u32_e32 vcc_lo, v6, v9
	v_lshl_or_b32 v9, v8, 12, v1
	v_cndmask_b32_e64 v6, 0, 1, vcc_lo
	v_cmp_gt_i32_e32 vcc_lo, 1, v8
	s_delay_alu instid0(VALU_DEP_2) | instskip(NEXT) | instid1(VALU_DEP_1)
	v_or_b32_e32 v6, v10, v6
	v_cndmask_b32_e32 v6, v9, v6, vcc_lo
	s_delay_alu instid0(VALU_DEP_1) | instskip(NEXT) | instid1(VALU_DEP_1)
	v_dual_lshrrev_b32 v6, 2, v6 :: v_dual_bitop2_b32 v9, 7, v6 bitop3:0x40
	v_cmp_lt_i32_e32 vcc_lo, 5, v9
	v_cndmask_b32_e64 v10, 0, 1, vcc_lo
	v_cmp_eq_u32_e32 vcc_lo, 3, v9
	v_cndmask_b32_e64 v9, 0, 1, vcc_lo
	v_cmp_ne_u32_e32 vcc_lo, 0, v1
	s_delay_alu instid0(VALU_DEP_2) | instskip(SKIP_1) | instid1(VALU_DEP_1)
	v_or_b32_e32 v9, v9, v10
	v_mov_b32_e32 v10, 0x7e00
	v_dual_cndmask_b32 v1, 0x7c00, v10 :: v_dual_add_nc_u32 v6, v6, v9
	v_cmp_gt_i32_e32 vcc_lo, 31, v8
	s_delay_alu instid0(VALU_DEP_2) | instskip(SKIP_1) | instid1(VALU_DEP_2)
	v_cndmask_b32_e32 v6, 0x7c00, v6, vcc_lo
	v_cmp_eq_u32_e32 vcc_lo, 0x40f, v8
	v_dual_cndmask_b32 v1, v6, v1 :: v_dual_lshrrev_b32 v6, 16, v7
	s_delay_alu instid0(VALU_DEP_1)
	v_and_or_b32 v6, 0x8000, v6, v1
	s_branch .LBB190_1261
.LBB190_1259:
	s_mov_b32 s2, -1
                                        ; implicit-def: $vgpr6
	s_branch .LBB190_1264
.LBB190_1260:
	s_mov_b32 s2, -1
                                        ; implicit-def: $vgpr6
.LBB190_1261:
	s_delay_alu instid0(SALU_CYCLE_1)
	s_and_not1_b32 vcc_lo, exec_lo, s2
	s_cbranch_vccnz .LBB190_1263
; %bb.1262:
	global_load_b32 v1, v[2:3], off
	s_wait_loadcnt 0x0
	v_cvt_f16_f32_e32 v6, v1
.LBB190_1263:
	s_mov_b32 s2, 0
.LBB190_1264:
	s_delay_alu instid0(SALU_CYCLE_1)
	s_and_not1_b32 vcc_lo, exec_lo, s2
	s_cbranch_vccnz .LBB190_1266
; %bb.1265:
	s_wait_loadcnt 0x0
	global_load_u16 v6, v[2:3], off
.LBB190_1266:
	s_cbranch_execnz .LBB190_1286
.LBB190_1267:
	s_cmp_lt_i32 s0, 2
	s_cbranch_scc1 .LBB190_1271
; %bb.1268:
	s_cmp_lt_i32 s0, 3
	s_cbranch_scc1 .LBB190_1272
; %bb.1269:
	s_cmp_gt_i32 s0, 3
	s_cbranch_scc0 .LBB190_1273
; %bb.1270:
	s_wait_loadcnt 0x0
	global_load_b64 v[6:7], v[2:3], off
	s_mov_b32 s2, 0
	s_wait_loadcnt 0x0
	v_xor_b32_e32 v1, v6, v7
	v_cls_i32_e32 v8, v7
	s_delay_alu instid0(VALU_DEP_2) | instskip(NEXT) | instid1(VALU_DEP_1)
	v_ashrrev_i32_e32 v1, 31, v1
	v_add_nc_u32_e32 v1, 32, v1
	s_delay_alu instid0(VALU_DEP_1) | instskip(NEXT) | instid1(VALU_DEP_1)
	v_add_min_u32_e64 v1, v8, -1, v1
	v_lshlrev_b64_e32 v[6:7], v1, v[6:7]
	v_sub_nc_u32_e32 v1, 32, v1
	s_delay_alu instid0(VALU_DEP_2) | instskip(NEXT) | instid1(VALU_DEP_1)
	v_min_u32_e32 v6, 1, v6
	v_or_b32_e32 v6, v7, v6
	s_delay_alu instid0(VALU_DEP_1) | instskip(NEXT) | instid1(VALU_DEP_1)
	v_cvt_f32_i32_e32 v6, v6
	v_ldexp_f32 v1, v6, v1
	s_delay_alu instid0(VALU_DEP_1)
	v_cvt_f16_f32_e32 v6, v1
	s_branch .LBB190_1274
.LBB190_1271:
	s_mov_b32 s2, -1
                                        ; implicit-def: $vgpr6
	s_branch .LBB190_1280
.LBB190_1272:
	s_mov_b32 s2, -1
                                        ; implicit-def: $vgpr6
	s_branch .LBB190_1277
.LBB190_1273:
	s_mov_b32 s2, -1
                                        ; implicit-def: $vgpr6
.LBB190_1274:
	s_delay_alu instid0(SALU_CYCLE_1)
	s_and_not1_b32 vcc_lo, exec_lo, s2
	s_cbranch_vccnz .LBB190_1276
; %bb.1275:
	global_load_b32 v1, v[2:3], off
	s_wait_loadcnt 0x0
	v_cvt_f32_i32_e32 v1, v1
	s_delay_alu instid0(VALU_DEP_1)
	v_cvt_f16_f32_e32 v6, v1
.LBB190_1276:
	s_mov_b32 s2, 0
.LBB190_1277:
	s_delay_alu instid0(SALU_CYCLE_1)
	s_and_not1_b32 vcc_lo, exec_lo, s2
	s_cbranch_vccnz .LBB190_1279
; %bb.1278:
	global_load_u16 v1, v[2:3], off
	s_wait_loadcnt 0x0
	v_cvt_f16_i16_e32 v6, v1
.LBB190_1279:
	s_mov_b32 s2, 0
.LBB190_1280:
	s_delay_alu instid0(SALU_CYCLE_1)
	s_and_not1_b32 vcc_lo, exec_lo, s2
	s_cbranch_vccnz .LBB190_1286
; %bb.1281:
	s_cmp_gt_i32 s0, 0
	s_mov_b32 s2, 0
	s_cbranch_scc0 .LBB190_1283
; %bb.1282:
	global_load_i8 v1, v[2:3], off
	s_wait_loadcnt 0x0
	v_cvt_f16_i16_e32 v6, v1
	s_branch .LBB190_1284
.LBB190_1283:
	s_mov_b32 s2, -1
                                        ; implicit-def: $vgpr6
.LBB190_1284:
	s_delay_alu instid0(SALU_CYCLE_1)
	s_and_not1_b32 vcc_lo, exec_lo, s2
	s_cbranch_vccnz .LBB190_1286
; %bb.1285:
	global_load_u8 v1, v[2:3], off
	s_wait_loadcnt 0x0
	v_cvt_f16_u16_e32 v6, v1
.LBB190_1286:
.LBB190_1287:
	v_add_nc_u32_e32 v0, s1, v0
	s_cmp_lt_i32 s0, 11
	s_delay_alu instid0(VALU_DEP_1) | instskip(SKIP_1) | instid1(VALU_DEP_1)
	v_ashrrev_i32_e32 v1, 31, v0
	s_wait_xcnt 0x0
	v_add_nc_u64_e32 v[2:3], s[6:7], v[0:1]
	s_cbranch_scc1 .LBB190_1294
; %bb.1288:
	s_cmp_gt_i32 s0, 25
	s_mov_b32 s9, 0
	s_cbranch_scc0 .LBB190_1296
; %bb.1289:
	s_cmp_gt_i32 s0, 28
	s_cbranch_scc0 .LBB190_1297
; %bb.1290:
	s_cmp_gt_i32 s0, 43
	;; [unrolled: 3-line block ×3, first 2 shown]
	s_cbranch_scc0 .LBB190_1300
; %bb.1292:
	s_cmp_eq_u32 s0, 46
	s_mov_b32 s16, 0
	s_cbranch_scc0 .LBB190_1301
; %bb.1293:
	global_load_b32 v1, v[2:3], off
	s_mov_b32 s2, 0
	s_mov_b32 s13, -1
	s_wait_loadcnt 0x0
	v_lshlrev_b32_e32 v1, 16, v1
	s_delay_alu instid0(VALU_DEP_1)
	v_cvt_f16_f32_e32 v7, v1
	s_branch .LBB190_1303
.LBB190_1294:
	s_mov_b32 s13, 0
                                        ; implicit-def: $vgpr7
	s_cbranch_execnz .LBB190_1369
.LBB190_1295:
	s_and_not1_b32 vcc_lo, exec_lo, s13
	s_cbranch_vccnz .LBB190_1980
	s_branch .LBB190_1417
.LBB190_1296:
	s_mov_b32 s16, -1
	s_mov_b32 s13, 0
	s_mov_b32 s2, 0
                                        ; implicit-def: $vgpr7
	s_branch .LBB190_1332
.LBB190_1297:
	s_mov_b32 s16, -1
	s_mov_b32 s13, 0
	s_mov_b32 s2, 0
                                        ; implicit-def: $vgpr7
	s_branch .LBB190_1313
.LBB190_1298:
	s_mov_b32 s16, -1
	s_mov_b32 s13, 0
	s_mov_b32 s2, 0
                                        ; implicit-def: $vgpr7
	s_branch .LBB190_1308
.LBB190_1299:
	s_or_b32 s12, s12, exec_lo
	s_trap 2
	s_cbranch_execz .LBB190_1238
	s_branch .LBB190_1239
.LBB190_1300:
	s_mov_b32 s16, -1
	s_mov_b32 s13, 0
	s_mov_b32 s2, 0
	s_branch .LBB190_1302
.LBB190_1301:
	s_mov_b32 s2, -1
	s_mov_b32 s13, 0
.LBB190_1302:
                                        ; implicit-def: $vgpr7
.LBB190_1303:
	s_and_b32 vcc_lo, exec_lo, s16
	s_cbranch_vccz .LBB190_1307
; %bb.1304:
	s_cmp_eq_u32 s0, 44
	s_cbranch_scc0 .LBB190_1306
; %bb.1305:
	global_load_u8 v1, v[2:3], off
	s_mov_b32 s2, 0
	s_mov_b32 s13, -1
	s_wait_loadcnt 0x0
	v_lshlrev_b32_e32 v7, 23, v1
	v_cmp_ne_u32_e32 vcc_lo, 0xff, v1
	s_delay_alu instid0(VALU_DEP_2) | instskip(NEXT) | instid1(VALU_DEP_1)
	v_cvt_f16_f32_e32 v7, v7
	v_cndmask_b32_e32 v7, 0x7e00, v7, vcc_lo
	v_cmp_ne_u32_e32 vcc_lo, 0, v1
	s_delay_alu instid0(VALU_DEP_2)
	v_cndmask_b32_e32 v7, 0, v7, vcc_lo
	s_branch .LBB190_1307
.LBB190_1306:
	s_mov_b32 s2, -1
                                        ; implicit-def: $vgpr7
.LBB190_1307:
	s_mov_b32 s16, 0
.LBB190_1308:
	s_delay_alu instid0(SALU_CYCLE_1)
	s_and_b32 vcc_lo, exec_lo, s16
	s_cbranch_vccz .LBB190_1312
; %bb.1309:
	s_cmp_eq_u32 s0, 29
	s_cbranch_scc0 .LBB190_1311
; %bb.1310:
	global_load_b64 v[8:9], v[2:3], off
	s_mov_b32 s2, 0
	s_mov_b32 s13, -1
	s_mov_b32 s16, 0
	s_wait_loadcnt 0x0
	v_clz_i32_u32_e32 v1, v9
	s_delay_alu instid0(VALU_DEP_1) | instskip(NEXT) | instid1(VALU_DEP_1)
	v_min_u32_e32 v1, 32, v1
	v_lshlrev_b64_e32 v[8:9], v1, v[8:9]
	v_sub_nc_u32_e32 v1, 32, v1
	s_delay_alu instid0(VALU_DEP_2) | instskip(NEXT) | instid1(VALU_DEP_1)
	v_min_u32_e32 v7, 1, v8
	v_or_b32_e32 v7, v9, v7
	s_delay_alu instid0(VALU_DEP_1) | instskip(NEXT) | instid1(VALU_DEP_1)
	v_cvt_f32_u32_e32 v7, v7
	v_ldexp_f32 v1, v7, v1
	s_delay_alu instid0(VALU_DEP_1)
	v_cvt_f16_f32_e32 v7, v1
	s_branch .LBB190_1313
.LBB190_1311:
	s_mov_b32 s2, -1
                                        ; implicit-def: $vgpr7
.LBB190_1312:
	s_mov_b32 s16, 0
.LBB190_1313:
	s_delay_alu instid0(SALU_CYCLE_1)
	s_and_b32 vcc_lo, exec_lo, s16
	s_cbranch_vccz .LBB190_1331
; %bb.1314:
	s_cmp_lt_i32 s0, 27
	s_cbranch_scc1 .LBB190_1317
; %bb.1315:
	s_cmp_gt_i32 s0, 27
	s_cbranch_scc0 .LBB190_1318
; %bb.1316:
	global_load_b32 v1, v[2:3], off
	s_mov_b32 s13, 0
	s_wait_loadcnt 0x0
	v_cvt_f32_u32_e32 v1, v1
	s_delay_alu instid0(VALU_DEP_1)
	v_cvt_f16_f32_e32 v7, v1
	s_branch .LBB190_1319
.LBB190_1317:
	s_mov_b32 s13, -1
                                        ; implicit-def: $vgpr7
	s_branch .LBB190_1322
.LBB190_1318:
	s_mov_b32 s13, -1
                                        ; implicit-def: $vgpr7
.LBB190_1319:
	s_delay_alu instid0(SALU_CYCLE_1)
	s_and_not1_b32 vcc_lo, exec_lo, s13
	s_cbranch_vccnz .LBB190_1321
; %bb.1320:
	global_load_u16 v1, v[2:3], off
	s_wait_loadcnt 0x0
	v_cvt_f16_u16_e32 v7, v1
.LBB190_1321:
	s_mov_b32 s13, 0
.LBB190_1322:
	s_delay_alu instid0(SALU_CYCLE_1)
	s_and_not1_b32 vcc_lo, exec_lo, s13
	s_cbranch_vccnz .LBB190_1330
; %bb.1323:
	global_load_u8 v1, v[2:3], off
	s_mov_b32 s13, 0
	s_mov_b32 s16, exec_lo
	s_wait_loadcnt 0x0
	v_cmpx_lt_i16_e32 0x7f, v1
	s_xor_b32 s16, exec_lo, s16
	s_cbranch_execz .LBB190_1344
; %bb.1324:
	s_mov_b32 s13, -1
	s_mov_b32 s17, exec_lo
	v_cmpx_eq_u16_e32 0x80, v1
; %bb.1325:
	s_xor_b32 s13, exec_lo, -1
; %bb.1326:
	s_or_b32 exec_lo, exec_lo, s17
	s_delay_alu instid0(SALU_CYCLE_1)
	s_and_b32 s13, s13, exec_lo
	s_or_saveexec_b32 s16, s16
	v_mov_b32_e32 v7, 0x7e00
	s_xor_b32 exec_lo, exec_lo, s16
	s_cbranch_execnz .LBB190_1345
.LBB190_1327:
	s_or_b32 exec_lo, exec_lo, s16
	s_and_saveexec_b32 s16, s13
	s_cbranch_execz .LBB190_1329
.LBB190_1328:
	v_and_b32_e32 v7, 0xffff, v1
	s_delay_alu instid0(VALU_DEP_1) | instskip(SKIP_1) | instid1(VALU_DEP_2)
	v_and_b32_e32 v8, 7, v7
	v_bfe_u32 v11, v7, 3, 4
	v_clz_i32_u32_e32 v9, v8
	s_delay_alu instid0(VALU_DEP_2) | instskip(NEXT) | instid1(VALU_DEP_2)
	v_cmp_eq_u32_e32 vcc_lo, 0, v11
	v_min_u32_e32 v9, 32, v9
	s_delay_alu instid0(VALU_DEP_1) | instskip(NEXT) | instid1(VALU_DEP_1)
	v_subrev_nc_u32_e32 v10, 28, v9
	v_dual_lshlrev_b32 v7, v10, v7 :: v_dual_sub_nc_u32 v9, 29, v9
	s_delay_alu instid0(VALU_DEP_1) | instskip(NEXT) | instid1(VALU_DEP_1)
	v_dual_lshlrev_b32 v1, 24, v1 :: v_dual_bitop2_b32 v7, 7, v7 bitop3:0x40
	v_dual_cndmask_b32 v7, v8, v7, vcc_lo :: v_dual_cndmask_b32 v9, v11, v9, vcc_lo
	s_delay_alu instid0(VALU_DEP_2) | instskip(NEXT) | instid1(VALU_DEP_2)
	v_and_b32_e32 v1, 0x80000000, v1
	v_lshlrev_b32_e32 v7, 20, v7
	s_delay_alu instid0(VALU_DEP_3) | instskip(NEXT) | instid1(VALU_DEP_1)
	v_lshl_add_u32 v8, v9, 23, 0x3b800000
	v_or3_b32 v1, v1, v8, v7
	s_delay_alu instid0(VALU_DEP_1)
	v_cvt_f16_f32_e32 v7, v1
.LBB190_1329:
	s_or_b32 exec_lo, exec_lo, s16
.LBB190_1330:
	s_mov_b32 s13, -1
.LBB190_1331:
	s_mov_b32 s16, 0
.LBB190_1332:
	s_delay_alu instid0(SALU_CYCLE_1)
	s_and_b32 vcc_lo, exec_lo, s16
	s_cbranch_vccz .LBB190_1365
; %bb.1333:
	s_cmp_gt_i32 s0, 22
	s_cbranch_scc0 .LBB190_1343
; %bb.1334:
	s_cmp_lt_i32 s0, 24
	s_cbranch_scc1 .LBB190_1346
; %bb.1335:
	s_cmp_gt_i32 s0, 24
	s_cbranch_scc0 .LBB190_1347
; %bb.1336:
	global_load_u8 v1, v[2:3], off
	s_mov_b32 s13, exec_lo
	s_wait_loadcnt 0x0
	v_cmpx_lt_i16_e32 0x7f, v1
	s_xor_b32 s13, exec_lo, s13
	s_cbranch_execz .LBB190_1359
; %bb.1337:
	s_mov_b32 s9, -1
	s_mov_b32 s16, exec_lo
	v_cmpx_eq_u16_e32 0x80, v1
; %bb.1338:
	s_xor_b32 s9, exec_lo, -1
; %bb.1339:
	s_or_b32 exec_lo, exec_lo, s16
	s_delay_alu instid0(SALU_CYCLE_1)
	s_and_b32 s9, s9, exec_lo
	s_or_saveexec_b32 s13, s13
	v_mov_b32_e32 v7, 0x7e00
	s_xor_b32 exec_lo, exec_lo, s13
	s_cbranch_execnz .LBB190_1360
.LBB190_1340:
	s_or_b32 exec_lo, exec_lo, s13
	s_and_saveexec_b32 s13, s9
	s_cbranch_execz .LBB190_1342
.LBB190_1341:
	v_and_b32_e32 v7, 0xffff, v1
	s_delay_alu instid0(VALU_DEP_1) | instskip(SKIP_1) | instid1(VALU_DEP_2)
	v_and_b32_e32 v8, 3, v7
	v_bfe_u32 v11, v7, 2, 5
	v_clz_i32_u32_e32 v9, v8
	s_delay_alu instid0(VALU_DEP_2) | instskip(NEXT) | instid1(VALU_DEP_2)
	v_cmp_eq_u32_e32 vcc_lo, 0, v11
	v_min_u32_e32 v9, 32, v9
	s_delay_alu instid0(VALU_DEP_1) | instskip(NEXT) | instid1(VALU_DEP_1)
	v_subrev_nc_u32_e32 v10, 29, v9
	v_dual_lshlrev_b32 v7, v10, v7 :: v_dual_sub_nc_u32 v9, 30, v9
	s_delay_alu instid0(VALU_DEP_1) | instskip(NEXT) | instid1(VALU_DEP_1)
	v_dual_lshlrev_b32 v1, 24, v1 :: v_dual_bitop2_b32 v7, 3, v7 bitop3:0x40
	v_dual_cndmask_b32 v7, v8, v7, vcc_lo :: v_dual_cndmask_b32 v9, v11, v9, vcc_lo
	s_delay_alu instid0(VALU_DEP_2) | instskip(NEXT) | instid1(VALU_DEP_2)
	v_and_b32_e32 v1, 0x80000000, v1
	v_lshlrev_b32_e32 v7, 21, v7
	s_delay_alu instid0(VALU_DEP_3) | instskip(NEXT) | instid1(VALU_DEP_1)
	v_lshl_add_u32 v8, v9, 23, 0x37800000
	v_or3_b32 v1, v1, v8, v7
	s_delay_alu instid0(VALU_DEP_1)
	v_cvt_f16_f32_e32 v7, v1
.LBB190_1342:
	s_or_b32 exec_lo, exec_lo, s13
	s_mov_b32 s9, 0
	s_branch .LBB190_1348
.LBB190_1343:
	s_mov_b32 s9, -1
                                        ; implicit-def: $vgpr7
	s_branch .LBB190_1354
.LBB190_1344:
	s_or_saveexec_b32 s16, s16
	v_mov_b32_e32 v7, 0x7e00
	s_xor_b32 exec_lo, exec_lo, s16
	s_cbranch_execz .LBB190_1327
.LBB190_1345:
	v_cmp_ne_u16_e32 vcc_lo, 0, v1
	v_mov_b32_e32 v7, v1
	s_and_not1_b32 s13, s13, exec_lo
	s_and_b32 s17, vcc_lo, exec_lo
	s_delay_alu instid0(SALU_CYCLE_1)
	s_or_b32 s13, s13, s17
	s_or_b32 exec_lo, exec_lo, s16
	s_and_saveexec_b32 s16, s13
	s_cbranch_execnz .LBB190_1328
	s_branch .LBB190_1329
.LBB190_1346:
	s_mov_b32 s9, -1
                                        ; implicit-def: $vgpr7
	s_branch .LBB190_1351
.LBB190_1347:
	s_mov_b32 s9, -1
                                        ; implicit-def: $vgpr7
.LBB190_1348:
	s_delay_alu instid0(SALU_CYCLE_1)
	s_and_b32 vcc_lo, exec_lo, s9
	s_cbranch_vccz .LBB190_1350
; %bb.1349:
	global_load_u8 v1, v[2:3], off
	s_wait_loadcnt 0x0
	v_lshlrev_b32_e32 v1, 24, v1
	s_delay_alu instid0(VALU_DEP_1) | instskip(NEXT) | instid1(VALU_DEP_1)
	v_and_b32_e32 v7, 0x7f000000, v1
	v_clz_i32_u32_e32 v8, v7
	v_cmp_ne_u32_e32 vcc_lo, 0, v7
	v_add_nc_u32_e32 v10, 0x1000000, v7
	s_delay_alu instid0(VALU_DEP_3) | instskip(NEXT) | instid1(VALU_DEP_1)
	v_min_u32_e32 v8, 32, v8
	v_sub_nc_u32_e64 v8, v8, 4 clamp
	s_delay_alu instid0(VALU_DEP_1) | instskip(NEXT) | instid1(VALU_DEP_1)
	v_dual_lshlrev_b32 v9, v8, v7 :: v_dual_lshlrev_b32 v8, 23, v8
	v_lshrrev_b32_e32 v9, 4, v9
	s_delay_alu instid0(VALU_DEP_1) | instskip(NEXT) | instid1(VALU_DEP_1)
	v_dual_sub_nc_u32 v8, v9, v8 :: v_dual_ashrrev_i32 v9, 8, v10
	v_add_nc_u32_e32 v8, 0x3c000000, v8
	s_delay_alu instid0(VALU_DEP_1) | instskip(NEXT) | instid1(VALU_DEP_1)
	v_and_or_b32 v8, 0x7f800000, v9, v8
	v_cndmask_b32_e32 v7, 0, v8, vcc_lo
	s_delay_alu instid0(VALU_DEP_1) | instskip(NEXT) | instid1(VALU_DEP_1)
	v_and_or_b32 v1, 0x80000000, v1, v7
	v_cvt_f16_f32_e32 v7, v1
.LBB190_1350:
	s_mov_b32 s9, 0
.LBB190_1351:
	s_delay_alu instid0(SALU_CYCLE_1)
	s_and_not1_b32 vcc_lo, exec_lo, s9
	s_cbranch_vccnz .LBB190_1353
; %bb.1352:
	global_load_u8 v1, v[2:3], off
	s_wait_loadcnt 0x0
	v_lshlrev_b32_e32 v7, 25, v1
	v_lshlrev_b16 v1, 8, v1
	s_delay_alu instid0(VALU_DEP_1) | instskip(NEXT) | instid1(VALU_DEP_3)
	v_and_or_b32 v9, 0x7f00, v1, 0.5
	v_lshrrev_b32_e32 v8, 4, v7
	v_bfe_i32 v1, v1, 0, 16
	s_delay_alu instid0(VALU_DEP_3) | instskip(NEXT) | instid1(VALU_DEP_3)
	v_add_f32_e32 v9, -0.5, v9
	v_or_b32_e32 v8, 0x70000000, v8
	s_delay_alu instid0(VALU_DEP_1) | instskip(SKIP_1) | instid1(VALU_DEP_2)
	v_mul_f32_e32 v8, 0x7800000, v8
	v_cmp_gt_u32_e32 vcc_lo, 0x8000000, v7
	v_cndmask_b32_e32 v7, v8, v9, vcc_lo
	s_delay_alu instid0(VALU_DEP_1) | instskip(NEXT) | instid1(VALU_DEP_1)
	v_and_or_b32 v1, 0x80000000, v1, v7
	v_cvt_f16_f32_e32 v7, v1
.LBB190_1353:
	s_mov_b32 s9, 0
	s_mov_b32 s13, -1
.LBB190_1354:
	s_and_not1_b32 vcc_lo, exec_lo, s9
	s_mov_b32 s9, 0
	s_cbranch_vccnz .LBB190_1365
; %bb.1355:
	s_cmp_gt_i32 s0, 14
	s_cbranch_scc0 .LBB190_1358
; %bb.1356:
	s_cmp_eq_u32 s0, 15
	s_cbranch_scc0 .LBB190_1361
; %bb.1357:
	global_load_u16 v1, v[2:3], off
	s_mov_b32 s2, 0
	s_mov_b32 s13, -1
	s_wait_loadcnt 0x0
	v_lshlrev_b32_e32 v1, 16, v1
	s_delay_alu instid0(VALU_DEP_1)
	v_cvt_f16_f32_e32 v7, v1
	s_branch .LBB190_1363
.LBB190_1358:
	s_mov_b32 s9, -1
	s_branch .LBB190_1362
.LBB190_1359:
	s_or_saveexec_b32 s13, s13
	v_mov_b32_e32 v7, 0x7e00
	s_xor_b32 exec_lo, exec_lo, s13
	s_cbranch_execz .LBB190_1340
.LBB190_1360:
	v_cmp_ne_u16_e32 vcc_lo, 0, v1
	v_mov_b32_e32 v7, v1
	s_and_not1_b32 s9, s9, exec_lo
	s_and_b32 s16, vcc_lo, exec_lo
	s_delay_alu instid0(SALU_CYCLE_1)
	s_or_b32 s9, s9, s16
	s_or_b32 exec_lo, exec_lo, s13
	s_and_saveexec_b32 s13, s9
	s_cbranch_execnz .LBB190_1341
	s_branch .LBB190_1342
.LBB190_1361:
	s_mov_b32 s2, -1
.LBB190_1362:
                                        ; implicit-def: $vgpr7
.LBB190_1363:
	s_and_b32 vcc_lo, exec_lo, s9
	s_mov_b32 s9, 0
	s_cbranch_vccz .LBB190_1365
; %bb.1364:
	s_cmp_lg_u32 s0, 11
	s_mov_b32 s9, -1
	s_cselect_b32 s2, -1, 0
.LBB190_1365:
	s_delay_alu instid0(SALU_CYCLE_1)
	s_and_b32 vcc_lo, exec_lo, s2
	s_cbranch_vccnz .LBB190_1428
; %bb.1366:
	s_and_not1_b32 vcc_lo, exec_lo, s9
	s_cbranch_vccnz .LBB190_1368
.LBB190_1367:
	global_load_u8 v1, v[2:3], off
	s_mov_b32 s13, -1
	s_wait_loadcnt 0x0
	v_cmp_ne_u16_e32 vcc_lo, 0, v1
	v_cndmask_b32_e64 v7, 0, 0x3c00, vcc_lo
.LBB190_1368:
	s_branch .LBB190_1295
.LBB190_1369:
	s_cmp_lt_i32 s0, 5
	s_cbranch_scc1 .LBB190_1374
; %bb.1370:
	s_cmp_lt_i32 s0, 8
	s_cbranch_scc1 .LBB190_1375
; %bb.1371:
	;; [unrolled: 3-line block ×3, first 2 shown]
	s_cmp_gt_i32 s0, 9
	s_cbranch_scc0 .LBB190_1377
; %bb.1373:
	global_load_b64 v[8:9], v[2:3], off
	s_mov_b32 s2, 0
	s_wait_loadcnt 0x0
	v_and_or_b32 v1, 0x1ff, v9, v8
	v_lshrrev_b32_e32 v7, 8, v9
	v_bfe_u32 v8, v9, 20, 11
	s_delay_alu instid0(VALU_DEP_3) | instskip(NEXT) | instid1(VALU_DEP_2)
	v_cmp_ne_u32_e32 vcc_lo, 0, v1
	v_sub_nc_u32_e32 v10, 0x3f1, v8
	v_add_nc_u32_e32 v8, 0xfffffc10, v8
	v_cndmask_b32_e64 v1, 0, 1, vcc_lo
	s_delay_alu instid0(VALU_DEP_1) | instskip(NEXT) | instid1(VALU_DEP_4)
	v_and_or_b32 v1, 0xffe, v7, v1
	v_med3_i32 v7, v10, 0, 13
	s_delay_alu instid0(VALU_DEP_2) | instskip(NEXT) | instid1(VALU_DEP_1)
	v_or_b32_e32 v10, 0x1000, v1
	v_lshrrev_b32_e32 v11, v7, v10
	s_delay_alu instid0(VALU_DEP_1) | instskip(NEXT) | instid1(VALU_DEP_1)
	v_lshlrev_b32_e32 v7, v7, v11
	v_cmp_ne_u32_e32 vcc_lo, v7, v10
	v_lshl_or_b32 v10, v8, 12, v1
	v_cndmask_b32_e64 v7, 0, 1, vcc_lo
	v_cmp_gt_i32_e32 vcc_lo, 1, v8
	s_delay_alu instid0(VALU_DEP_2) | instskip(NEXT) | instid1(VALU_DEP_1)
	v_or_b32_e32 v7, v11, v7
	v_cndmask_b32_e32 v7, v10, v7, vcc_lo
	s_delay_alu instid0(VALU_DEP_1) | instskip(NEXT) | instid1(VALU_DEP_1)
	v_dual_lshrrev_b32 v7, 2, v7 :: v_dual_bitop2_b32 v10, 7, v7 bitop3:0x40
	v_cmp_lt_i32_e32 vcc_lo, 5, v10
	v_cndmask_b32_e64 v11, 0, 1, vcc_lo
	v_cmp_eq_u32_e32 vcc_lo, 3, v10
	v_cndmask_b32_e64 v10, 0, 1, vcc_lo
	v_cmp_ne_u32_e32 vcc_lo, 0, v1
	s_delay_alu instid0(VALU_DEP_2) | instskip(SKIP_1) | instid1(VALU_DEP_2)
	v_or_b32_e32 v10, v10, v11
	v_mov_b32_e32 v11, 0x7e00
	v_add_nc_u32_e32 v7, v7, v10
	s_delay_alu instid0(VALU_DEP_2) | instskip(SKIP_1) | instid1(VALU_DEP_3)
	v_cndmask_b32_e32 v1, 0x7c00, v11, vcc_lo
	v_cmp_gt_i32_e32 vcc_lo, 31, v8
	v_cndmask_b32_e32 v7, 0x7c00, v7, vcc_lo
	v_cmp_eq_u32_e32 vcc_lo, 0x40f, v8
	s_delay_alu instid0(VALU_DEP_2) | instskip(SKIP_1) | instid1(VALU_DEP_1)
	v_cndmask_b32_e32 v1, v7, v1, vcc_lo
	v_lshrrev_b32_e32 v7, 16, v9
	v_and_or_b32 v7, 0x8000, v7, v1
	s_branch .LBB190_1378
.LBB190_1374:
	s_mov_b32 s2, -1
                                        ; implicit-def: $vgpr7
	s_branch .LBB190_1396
.LBB190_1375:
	s_mov_b32 s2, -1
                                        ; implicit-def: $vgpr7
	s_branch .LBB190_1384
.LBB190_1376:
	s_mov_b32 s2, -1
                                        ; implicit-def: $vgpr7
	s_branch .LBB190_1381
.LBB190_1377:
	s_mov_b32 s2, -1
                                        ; implicit-def: $vgpr7
.LBB190_1378:
	s_delay_alu instid0(SALU_CYCLE_1)
	s_and_not1_b32 vcc_lo, exec_lo, s2
	s_cbranch_vccnz .LBB190_1380
; %bb.1379:
	global_load_b32 v1, v[2:3], off
	s_wait_loadcnt 0x0
	v_cvt_f16_f32_e32 v7, v1
.LBB190_1380:
	s_mov_b32 s2, 0
.LBB190_1381:
	s_delay_alu instid0(SALU_CYCLE_1)
	s_and_not1_b32 vcc_lo, exec_lo, s2
	s_cbranch_vccnz .LBB190_1383
; %bb.1382:
	global_load_b32 v7, v[2:3], off
.LBB190_1383:
	s_mov_b32 s2, 0
.LBB190_1384:
	s_delay_alu instid0(SALU_CYCLE_1)
	s_and_not1_b32 vcc_lo, exec_lo, s2
	s_cbranch_vccnz .LBB190_1395
; %bb.1385:
	s_cmp_lt_i32 s0, 6
	s_cbranch_scc1 .LBB190_1388
; %bb.1386:
	s_cmp_gt_i32 s0, 6
	s_cbranch_scc0 .LBB190_1389
; %bb.1387:
	global_load_b64 v[8:9], v[2:3], off
	s_mov_b32 s2, 0
	s_wait_loadcnt 0x0
	v_and_or_b32 v1, 0x1ff, v9, v8
	v_lshrrev_b32_e32 v7, 8, v9
	v_bfe_u32 v8, v9, 20, 11
	s_delay_alu instid0(VALU_DEP_3) | instskip(NEXT) | instid1(VALU_DEP_2)
	v_cmp_ne_u32_e32 vcc_lo, 0, v1
	v_sub_nc_u32_e32 v10, 0x3f1, v8
	v_add_nc_u32_e32 v8, 0xfffffc10, v8
	v_cndmask_b32_e64 v1, 0, 1, vcc_lo
	s_delay_alu instid0(VALU_DEP_1) | instskip(NEXT) | instid1(VALU_DEP_4)
	v_and_or_b32 v1, 0xffe, v7, v1
	v_med3_i32 v7, v10, 0, 13
	s_delay_alu instid0(VALU_DEP_2) | instskip(NEXT) | instid1(VALU_DEP_1)
	v_or_b32_e32 v10, 0x1000, v1
	v_lshrrev_b32_e32 v11, v7, v10
	s_delay_alu instid0(VALU_DEP_1) | instskip(NEXT) | instid1(VALU_DEP_1)
	v_lshlrev_b32_e32 v7, v7, v11
	v_cmp_ne_u32_e32 vcc_lo, v7, v10
	v_lshl_or_b32 v10, v8, 12, v1
	v_cndmask_b32_e64 v7, 0, 1, vcc_lo
	v_cmp_gt_i32_e32 vcc_lo, 1, v8
	s_delay_alu instid0(VALU_DEP_2) | instskip(NEXT) | instid1(VALU_DEP_1)
	v_or_b32_e32 v7, v11, v7
	v_cndmask_b32_e32 v7, v10, v7, vcc_lo
	s_delay_alu instid0(VALU_DEP_1) | instskip(NEXT) | instid1(VALU_DEP_1)
	v_dual_lshrrev_b32 v7, 2, v7 :: v_dual_bitop2_b32 v10, 7, v7 bitop3:0x40
	v_cmp_lt_i32_e32 vcc_lo, 5, v10
	v_cndmask_b32_e64 v11, 0, 1, vcc_lo
	v_cmp_eq_u32_e32 vcc_lo, 3, v10
	v_cndmask_b32_e64 v10, 0, 1, vcc_lo
	v_cmp_ne_u32_e32 vcc_lo, 0, v1
	s_delay_alu instid0(VALU_DEP_2) | instskip(SKIP_1) | instid1(VALU_DEP_2)
	v_or_b32_e32 v10, v10, v11
	v_mov_b32_e32 v11, 0x7e00
	v_add_nc_u32_e32 v7, v7, v10
	s_delay_alu instid0(VALU_DEP_2) | instskip(SKIP_1) | instid1(VALU_DEP_3)
	v_cndmask_b32_e32 v1, 0x7c00, v11, vcc_lo
	v_cmp_gt_i32_e32 vcc_lo, 31, v8
	v_cndmask_b32_e32 v7, 0x7c00, v7, vcc_lo
	v_cmp_eq_u32_e32 vcc_lo, 0x40f, v8
	s_delay_alu instid0(VALU_DEP_2) | instskip(SKIP_1) | instid1(VALU_DEP_1)
	v_cndmask_b32_e32 v1, v7, v1, vcc_lo
	v_lshrrev_b32_e32 v7, 16, v9
	v_and_or_b32 v7, 0x8000, v7, v1
	s_branch .LBB190_1390
.LBB190_1388:
	s_mov_b32 s2, -1
                                        ; implicit-def: $vgpr7
	s_branch .LBB190_1393
.LBB190_1389:
	s_mov_b32 s2, -1
                                        ; implicit-def: $vgpr7
.LBB190_1390:
	s_delay_alu instid0(SALU_CYCLE_1)
	s_and_not1_b32 vcc_lo, exec_lo, s2
	s_cbranch_vccnz .LBB190_1392
; %bb.1391:
	global_load_b32 v1, v[2:3], off
	s_wait_loadcnt 0x0
	v_cvt_f16_f32_e32 v7, v1
.LBB190_1392:
	s_mov_b32 s2, 0
.LBB190_1393:
	s_delay_alu instid0(SALU_CYCLE_1)
	s_and_not1_b32 vcc_lo, exec_lo, s2
	s_cbranch_vccnz .LBB190_1395
; %bb.1394:
	s_wait_loadcnt 0x0
	global_load_u16 v7, v[2:3], off
.LBB190_1395:
	s_mov_b32 s2, 0
.LBB190_1396:
	s_delay_alu instid0(SALU_CYCLE_1)
	s_and_not1_b32 vcc_lo, exec_lo, s2
	s_cbranch_vccnz .LBB190_1416
; %bb.1397:
	s_cmp_lt_i32 s0, 2
	s_cbranch_scc1 .LBB190_1401
; %bb.1398:
	s_cmp_lt_i32 s0, 3
	s_cbranch_scc1 .LBB190_1402
; %bb.1399:
	s_cmp_gt_i32 s0, 3
	s_cbranch_scc0 .LBB190_1403
; %bb.1400:
	global_load_b64 v[8:9], v[2:3], off
	s_mov_b32 s2, 0
	s_wait_loadcnt 0x0
	v_xor_b32_e32 v1, v8, v9
	v_cls_i32_e32 v7, v9
	s_delay_alu instid0(VALU_DEP_2) | instskip(NEXT) | instid1(VALU_DEP_1)
	v_ashrrev_i32_e32 v1, 31, v1
	v_add_nc_u32_e32 v1, 32, v1
	s_delay_alu instid0(VALU_DEP_1) | instskip(NEXT) | instid1(VALU_DEP_1)
	v_add_min_u32_e64 v1, v7, -1, v1
	v_lshlrev_b64_e32 v[8:9], v1, v[8:9]
	v_sub_nc_u32_e32 v1, 32, v1
	s_delay_alu instid0(VALU_DEP_2) | instskip(NEXT) | instid1(VALU_DEP_1)
	v_min_u32_e32 v7, 1, v8
	v_or_b32_e32 v7, v9, v7
	s_delay_alu instid0(VALU_DEP_1) | instskip(NEXT) | instid1(VALU_DEP_1)
	v_cvt_f32_i32_e32 v7, v7
	v_ldexp_f32 v1, v7, v1
	s_delay_alu instid0(VALU_DEP_1)
	v_cvt_f16_f32_e32 v7, v1
	s_branch .LBB190_1404
.LBB190_1401:
	s_mov_b32 s2, -1
                                        ; implicit-def: $vgpr7
	s_branch .LBB190_1410
.LBB190_1402:
	s_mov_b32 s2, -1
                                        ; implicit-def: $vgpr7
	s_branch .LBB190_1407
.LBB190_1403:
	s_mov_b32 s2, -1
                                        ; implicit-def: $vgpr7
.LBB190_1404:
	s_delay_alu instid0(SALU_CYCLE_1)
	s_and_not1_b32 vcc_lo, exec_lo, s2
	s_cbranch_vccnz .LBB190_1406
; %bb.1405:
	global_load_b32 v1, v[2:3], off
	s_wait_loadcnt 0x0
	v_cvt_f32_i32_e32 v1, v1
	s_delay_alu instid0(VALU_DEP_1)
	v_cvt_f16_f32_e32 v7, v1
.LBB190_1406:
	s_mov_b32 s2, 0
.LBB190_1407:
	s_delay_alu instid0(SALU_CYCLE_1)
	s_and_not1_b32 vcc_lo, exec_lo, s2
	s_cbranch_vccnz .LBB190_1409
; %bb.1408:
	global_load_u16 v1, v[2:3], off
	s_wait_loadcnt 0x0
	v_cvt_f16_i16_e32 v7, v1
.LBB190_1409:
	s_mov_b32 s2, 0
.LBB190_1410:
	s_delay_alu instid0(SALU_CYCLE_1)
	s_and_not1_b32 vcc_lo, exec_lo, s2
	s_cbranch_vccnz .LBB190_1416
; %bb.1411:
	s_cmp_gt_i32 s0, 0
	s_mov_b32 s2, 0
	s_cbranch_scc0 .LBB190_1413
; %bb.1412:
	global_load_i8 v1, v[2:3], off
	s_wait_loadcnt 0x0
	v_cvt_f16_i16_e32 v7, v1
	s_branch .LBB190_1414
.LBB190_1413:
	s_mov_b32 s2, -1
                                        ; implicit-def: $vgpr7
.LBB190_1414:
	s_delay_alu instid0(SALU_CYCLE_1)
	s_and_not1_b32 vcc_lo, exec_lo, s2
	s_cbranch_vccnz .LBB190_1416
; %bb.1415:
	global_load_u8 v1, v[2:3], off
	s_wait_loadcnt 0x0
	v_cvt_f16_u16_e32 v7, v1
.LBB190_1416:
.LBB190_1417:
	v_add_nc_u32_e32 v0, s1, v0
	s_cmp_lt_i32 s0, 11
	s_delay_alu instid0(VALU_DEP_1) | instskip(NEXT) | instid1(VALU_DEP_1)
	v_ashrrev_i32_e32 v1, 31, v0
	v_add_nc_u64_e32 v[0:1], s[6:7], v[0:1]
	s_cbranch_scc1 .LBB190_1424
; %bb.1418:
	s_cmp_gt_i32 s0, 25
	s_mov_b32 s2, 0
	s_cbranch_scc0 .LBB190_1425
; %bb.1419:
	s_cmp_gt_i32 s0, 28
	s_cbranch_scc0 .LBB190_1426
; %bb.1420:
	s_cmp_gt_i32 s0, 43
	;; [unrolled: 3-line block ×3, first 2 shown]
	s_cbranch_scc0 .LBB190_1429
; %bb.1422:
	s_cmp_eq_u32 s0, 46
	s_mov_b32 s7, 0
	s_cbranch_scc0 .LBB190_1430
; %bb.1423:
	global_load_b32 v2, v[0:1], off
	s_mov_b32 s1, 0
	s_mov_b32 s6, -1
	s_wait_loadcnt 0x0
	v_lshlrev_b32_e32 v2, 16, v2
	s_delay_alu instid0(VALU_DEP_1)
	v_cvt_f16_f32_e32 v8, v2
	s_branch .LBB190_1432
.LBB190_1424:
	s_mov_b32 s1, -1
	s_mov_b32 s6, 0
                                        ; implicit-def: $vgpr8
	s_branch .LBB190_1498
.LBB190_1425:
	s_mov_b32 s7, -1
	s_mov_b32 s6, 0
	s_mov_b32 s1, 0
                                        ; implicit-def: $vgpr8
	s_branch .LBB190_1461
.LBB190_1426:
	s_mov_b32 s7, -1
	s_mov_b32 s6, 0
	s_mov_b32 s1, 0
                                        ; implicit-def: $vgpr8
	s_branch .LBB190_1442
.LBB190_1427:
	s_mov_b32 s7, -1
	s_mov_b32 s6, 0
	s_mov_b32 s1, 0
                                        ; implicit-def: $vgpr8
	s_branch .LBB190_1437
.LBB190_1428:
	s_or_b32 s12, s12, exec_lo
	s_trap 2
	s_cbranch_execz .LBB190_1367
	s_branch .LBB190_1368
.LBB190_1429:
	s_mov_b32 s7, -1
	s_mov_b32 s6, 0
	s_mov_b32 s1, 0
	s_branch .LBB190_1431
.LBB190_1430:
	s_mov_b32 s1, -1
	s_mov_b32 s6, 0
.LBB190_1431:
                                        ; implicit-def: $vgpr8
.LBB190_1432:
	s_and_b32 vcc_lo, exec_lo, s7
	s_cbranch_vccz .LBB190_1436
; %bb.1433:
	s_cmp_eq_u32 s0, 44
	s_cbranch_scc0 .LBB190_1435
; %bb.1434:
	global_load_u8 v2, v[0:1], off
	s_mov_b32 s1, 0
	s_mov_b32 s6, -1
	s_wait_loadcnt 0x0
	v_lshlrev_b32_e32 v3, 23, v2
	v_cmp_ne_u32_e32 vcc_lo, 0xff, v2
	s_delay_alu instid0(VALU_DEP_2) | instskip(NEXT) | instid1(VALU_DEP_1)
	v_cvt_f16_f32_e32 v3, v3
	v_cndmask_b32_e32 v3, 0x7e00, v3, vcc_lo
	v_cmp_ne_u32_e32 vcc_lo, 0, v2
	s_delay_alu instid0(VALU_DEP_2)
	v_cndmask_b32_e32 v8, 0, v3, vcc_lo
	s_branch .LBB190_1436
.LBB190_1435:
	s_mov_b32 s1, -1
                                        ; implicit-def: $vgpr8
.LBB190_1436:
	s_mov_b32 s7, 0
.LBB190_1437:
	s_delay_alu instid0(SALU_CYCLE_1)
	s_and_b32 vcc_lo, exec_lo, s7
	s_cbranch_vccz .LBB190_1441
; %bb.1438:
	s_cmp_eq_u32 s0, 29
	s_cbranch_scc0 .LBB190_1440
; %bb.1439:
	global_load_b64 v[2:3], v[0:1], off
	s_mov_b32 s1, 0
	s_mov_b32 s6, -1
	s_mov_b32 s7, 0
	s_wait_loadcnt 0x0
	v_clz_i32_u32_e32 v8, v3
	s_delay_alu instid0(VALU_DEP_1) | instskip(NEXT) | instid1(VALU_DEP_1)
	v_min_u32_e32 v8, 32, v8
	v_lshlrev_b64_e32 v[2:3], v8, v[2:3]
	s_delay_alu instid0(VALU_DEP_1) | instskip(NEXT) | instid1(VALU_DEP_1)
	v_min_u32_e32 v2, 1, v2
	v_dual_sub_nc_u32 v3, 32, v8 :: v_dual_bitop2_b32 v2, v3, v2 bitop3:0x54
	s_delay_alu instid0(VALU_DEP_1) | instskip(NEXT) | instid1(VALU_DEP_1)
	v_cvt_f32_u32_e32 v2, v2
	v_ldexp_f32 v2, v2, v3
	s_delay_alu instid0(VALU_DEP_1)
	v_cvt_f16_f32_e32 v8, v2
	s_branch .LBB190_1442
.LBB190_1440:
	s_mov_b32 s1, -1
                                        ; implicit-def: $vgpr8
.LBB190_1441:
	s_mov_b32 s7, 0
.LBB190_1442:
	s_delay_alu instid0(SALU_CYCLE_1)
	s_and_b32 vcc_lo, exec_lo, s7
	s_cbranch_vccz .LBB190_1460
; %bb.1443:
	s_cmp_lt_i32 s0, 27
	s_cbranch_scc1 .LBB190_1446
; %bb.1444:
	s_cmp_gt_i32 s0, 27
	s_cbranch_scc0 .LBB190_1447
; %bb.1445:
	global_load_b32 v2, v[0:1], off
	s_mov_b32 s6, 0
	s_wait_loadcnt 0x0
	v_cvt_f32_u32_e32 v2, v2
	s_delay_alu instid0(VALU_DEP_1)
	v_cvt_f16_f32_e32 v8, v2
	s_branch .LBB190_1448
.LBB190_1446:
	s_mov_b32 s6, -1
                                        ; implicit-def: $vgpr8
	s_branch .LBB190_1451
.LBB190_1447:
	s_mov_b32 s6, -1
                                        ; implicit-def: $vgpr8
.LBB190_1448:
	s_delay_alu instid0(SALU_CYCLE_1)
	s_and_not1_b32 vcc_lo, exec_lo, s6
	s_cbranch_vccnz .LBB190_1450
; %bb.1449:
	global_load_u16 v2, v[0:1], off
	s_wait_loadcnt 0x0
	v_cvt_f16_u16_e32 v8, v2
.LBB190_1450:
	s_mov_b32 s6, 0
.LBB190_1451:
	s_delay_alu instid0(SALU_CYCLE_1)
	s_and_not1_b32 vcc_lo, exec_lo, s6
	s_cbranch_vccnz .LBB190_1459
; %bb.1452:
	global_load_u8 v2, v[0:1], off
	s_mov_b32 s6, 0
	s_mov_b32 s7, exec_lo
	s_wait_loadcnt 0x0
	v_cmpx_lt_i16_e32 0x7f, v2
	s_xor_b32 s7, exec_lo, s7
	s_cbranch_execz .LBB190_1473
; %bb.1453:
	s_mov_b32 s6, -1
	s_mov_b32 s9, exec_lo
	v_cmpx_eq_u16_e32 0x80, v2
; %bb.1454:
	s_xor_b32 s6, exec_lo, -1
; %bb.1455:
	s_or_b32 exec_lo, exec_lo, s9
	s_delay_alu instid0(SALU_CYCLE_1)
	s_and_b32 s6, s6, exec_lo
	s_or_saveexec_b32 s7, s7
	v_mov_b32_e32 v8, 0x7e00
	s_xor_b32 exec_lo, exec_lo, s7
	s_cbranch_execnz .LBB190_1474
.LBB190_1456:
	s_or_b32 exec_lo, exec_lo, s7
	s_and_saveexec_b32 s7, s6
	s_cbranch_execz .LBB190_1458
.LBB190_1457:
	v_and_b32_e32 v3, 0xffff, v2
	s_delay_alu instid0(VALU_DEP_1) | instskip(SKIP_1) | instid1(VALU_DEP_2)
	v_and_b32_e32 v8, 7, v3
	v_bfe_u32 v11, v3, 3, 4
	v_clz_i32_u32_e32 v9, v8
	s_delay_alu instid0(VALU_DEP_2) | instskip(NEXT) | instid1(VALU_DEP_2)
	v_cmp_eq_u32_e32 vcc_lo, 0, v11
	v_min_u32_e32 v9, 32, v9
	s_delay_alu instid0(VALU_DEP_1) | instskip(NEXT) | instid1(VALU_DEP_1)
	v_subrev_nc_u32_e32 v10, 28, v9
	v_dual_lshlrev_b32 v3, v10, v3 :: v_dual_sub_nc_u32 v9, 29, v9
	s_delay_alu instid0(VALU_DEP_1) | instskip(NEXT) | instid1(VALU_DEP_1)
	v_dual_lshlrev_b32 v2, 24, v2 :: v_dual_bitop2_b32 v3, 7, v3 bitop3:0x40
	v_dual_cndmask_b32 v9, v11, v9, vcc_lo :: v_dual_cndmask_b32 v3, v8, v3, vcc_lo
	s_delay_alu instid0(VALU_DEP_2) | instskip(NEXT) | instid1(VALU_DEP_2)
	v_and_b32_e32 v2, 0x80000000, v2
	v_lshl_add_u32 v8, v9, 23, 0x3b800000
	s_delay_alu instid0(VALU_DEP_3) | instskip(NEXT) | instid1(VALU_DEP_1)
	v_lshlrev_b32_e32 v3, 20, v3
	v_or3_b32 v2, v2, v8, v3
	s_delay_alu instid0(VALU_DEP_1)
	v_cvt_f16_f32_e32 v8, v2
.LBB190_1458:
	s_or_b32 exec_lo, exec_lo, s7
.LBB190_1459:
	s_mov_b32 s6, -1
.LBB190_1460:
	s_mov_b32 s7, 0
.LBB190_1461:
	s_delay_alu instid0(SALU_CYCLE_1)
	s_and_b32 vcc_lo, exec_lo, s7
	s_cbranch_vccz .LBB190_1494
; %bb.1462:
	s_cmp_gt_i32 s0, 22
	s_cbranch_scc0 .LBB190_1472
; %bb.1463:
	s_cmp_lt_i32 s0, 24
	s_cbranch_scc1 .LBB190_1475
; %bb.1464:
	s_cmp_gt_i32 s0, 24
	s_cbranch_scc0 .LBB190_1476
; %bb.1465:
	global_load_u8 v2, v[0:1], off
	s_mov_b32 s6, exec_lo
	s_wait_loadcnt 0x0
	v_cmpx_lt_i16_e32 0x7f, v2
	s_xor_b32 s6, exec_lo, s6
	s_cbranch_execz .LBB190_1488
; %bb.1466:
	s_mov_b32 s2, -1
	s_mov_b32 s7, exec_lo
	v_cmpx_eq_u16_e32 0x80, v2
; %bb.1467:
	s_xor_b32 s2, exec_lo, -1
; %bb.1468:
	s_or_b32 exec_lo, exec_lo, s7
	s_delay_alu instid0(SALU_CYCLE_1)
	s_and_b32 s2, s2, exec_lo
	s_or_saveexec_b32 s6, s6
	v_mov_b32_e32 v8, 0x7e00
	s_xor_b32 exec_lo, exec_lo, s6
	s_cbranch_execnz .LBB190_1489
.LBB190_1469:
	s_or_b32 exec_lo, exec_lo, s6
	s_and_saveexec_b32 s6, s2
	s_cbranch_execz .LBB190_1471
.LBB190_1470:
	v_and_b32_e32 v3, 0xffff, v2
	s_delay_alu instid0(VALU_DEP_1) | instskip(SKIP_1) | instid1(VALU_DEP_2)
	v_and_b32_e32 v8, 3, v3
	v_bfe_u32 v11, v3, 2, 5
	v_clz_i32_u32_e32 v9, v8
	s_delay_alu instid0(VALU_DEP_2) | instskip(NEXT) | instid1(VALU_DEP_2)
	v_cmp_eq_u32_e32 vcc_lo, 0, v11
	v_min_u32_e32 v9, 32, v9
	s_delay_alu instid0(VALU_DEP_1) | instskip(NEXT) | instid1(VALU_DEP_1)
	v_subrev_nc_u32_e32 v10, 29, v9
	v_dual_lshlrev_b32 v3, v10, v3 :: v_dual_sub_nc_u32 v9, 30, v9
	s_delay_alu instid0(VALU_DEP_1) | instskip(NEXT) | instid1(VALU_DEP_1)
	v_dual_lshlrev_b32 v2, 24, v2 :: v_dual_bitop2_b32 v3, 3, v3 bitop3:0x40
	v_dual_cndmask_b32 v9, v11, v9, vcc_lo :: v_dual_cndmask_b32 v3, v8, v3, vcc_lo
	s_delay_alu instid0(VALU_DEP_2) | instskip(NEXT) | instid1(VALU_DEP_2)
	v_and_b32_e32 v2, 0x80000000, v2
	v_lshl_add_u32 v8, v9, 23, 0x37800000
	s_delay_alu instid0(VALU_DEP_3) | instskip(NEXT) | instid1(VALU_DEP_1)
	v_lshlrev_b32_e32 v3, 21, v3
	v_or3_b32 v2, v2, v8, v3
	s_delay_alu instid0(VALU_DEP_1)
	v_cvt_f16_f32_e32 v8, v2
.LBB190_1471:
	s_or_b32 exec_lo, exec_lo, s6
	s_mov_b32 s2, 0
	s_branch .LBB190_1477
.LBB190_1472:
	s_mov_b32 s2, -1
                                        ; implicit-def: $vgpr8
	s_branch .LBB190_1483
.LBB190_1473:
	s_or_saveexec_b32 s7, s7
	v_mov_b32_e32 v8, 0x7e00
	s_xor_b32 exec_lo, exec_lo, s7
	s_cbranch_execz .LBB190_1456
.LBB190_1474:
	v_cmp_ne_u16_e32 vcc_lo, 0, v2
	v_mov_b32_e32 v8, v2
	s_and_not1_b32 s6, s6, exec_lo
	s_and_b32 s9, vcc_lo, exec_lo
	s_delay_alu instid0(SALU_CYCLE_1)
	s_or_b32 s6, s6, s9
	s_or_b32 exec_lo, exec_lo, s7
	s_and_saveexec_b32 s7, s6
	s_cbranch_execnz .LBB190_1457
	s_branch .LBB190_1458
.LBB190_1475:
	s_mov_b32 s2, -1
                                        ; implicit-def: $vgpr8
	s_branch .LBB190_1480
.LBB190_1476:
	s_mov_b32 s2, -1
                                        ; implicit-def: $vgpr8
.LBB190_1477:
	s_delay_alu instid0(SALU_CYCLE_1)
	s_and_b32 vcc_lo, exec_lo, s2
	s_cbranch_vccz .LBB190_1479
; %bb.1478:
	global_load_u8 v2, v[0:1], off
	s_wait_loadcnt 0x0
	v_lshlrev_b32_e32 v2, 24, v2
	s_delay_alu instid0(VALU_DEP_1) | instskip(NEXT) | instid1(VALU_DEP_1)
	v_and_b32_e32 v3, 0x7f000000, v2
	v_clz_i32_u32_e32 v8, v3
	v_cmp_ne_u32_e32 vcc_lo, 0, v3
	v_add_nc_u32_e32 v10, 0x1000000, v3
	s_delay_alu instid0(VALU_DEP_3) | instskip(NEXT) | instid1(VALU_DEP_1)
	v_min_u32_e32 v8, 32, v8
	v_sub_nc_u32_e64 v8, v8, 4 clamp
	s_delay_alu instid0(VALU_DEP_1) | instskip(NEXT) | instid1(VALU_DEP_1)
	v_dual_lshlrev_b32 v9, v8, v3 :: v_dual_lshlrev_b32 v8, 23, v8
	v_lshrrev_b32_e32 v9, 4, v9
	s_delay_alu instid0(VALU_DEP_1) | instskip(NEXT) | instid1(VALU_DEP_1)
	v_dual_sub_nc_u32 v8, v9, v8 :: v_dual_ashrrev_i32 v9, 8, v10
	v_add_nc_u32_e32 v8, 0x3c000000, v8
	s_delay_alu instid0(VALU_DEP_1) | instskip(NEXT) | instid1(VALU_DEP_1)
	v_and_or_b32 v8, 0x7f800000, v9, v8
	v_cndmask_b32_e32 v3, 0, v8, vcc_lo
	s_delay_alu instid0(VALU_DEP_1) | instskip(NEXT) | instid1(VALU_DEP_1)
	v_and_or_b32 v2, 0x80000000, v2, v3
	v_cvt_f16_f32_e32 v8, v2
.LBB190_1479:
	s_mov_b32 s2, 0
.LBB190_1480:
	s_delay_alu instid0(SALU_CYCLE_1)
	s_and_not1_b32 vcc_lo, exec_lo, s2
	s_cbranch_vccnz .LBB190_1482
; %bb.1481:
	global_load_u8 v2, v[0:1], off
	s_wait_loadcnt 0x0
	v_lshlrev_b32_e32 v3, 25, v2
	v_lshlrev_b16 v2, 8, v2
	s_delay_alu instid0(VALU_DEP_1) | instskip(SKIP_1) | instid1(VALU_DEP_2)
	v_and_or_b32 v9, 0x7f00, v2, 0.5
	v_bfe_i32 v2, v2, 0, 16
	v_dual_add_f32 v9, -0.5, v9 :: v_dual_lshrrev_b32 v8, 4, v3
	v_cmp_gt_u32_e32 vcc_lo, 0x8000000, v3
	s_delay_alu instid0(VALU_DEP_2) | instskip(NEXT) | instid1(VALU_DEP_1)
	v_or_b32_e32 v8, 0x70000000, v8
	v_mul_f32_e32 v8, 0x7800000, v8
	s_delay_alu instid0(VALU_DEP_1) | instskip(NEXT) | instid1(VALU_DEP_1)
	v_cndmask_b32_e32 v3, v8, v9, vcc_lo
	v_and_or_b32 v2, 0x80000000, v2, v3
	s_delay_alu instid0(VALU_DEP_1)
	v_cvt_f16_f32_e32 v8, v2
.LBB190_1482:
	s_mov_b32 s2, 0
	s_mov_b32 s6, -1
.LBB190_1483:
	s_and_not1_b32 vcc_lo, exec_lo, s2
	s_mov_b32 s2, 0
	s_cbranch_vccnz .LBB190_1494
; %bb.1484:
	s_cmp_gt_i32 s0, 14
	s_cbranch_scc0 .LBB190_1487
; %bb.1485:
	s_cmp_eq_u32 s0, 15
	s_cbranch_scc0 .LBB190_1490
; %bb.1486:
	global_load_u16 v2, v[0:1], off
	s_mov_b32 s1, 0
	s_mov_b32 s6, -1
	s_wait_loadcnt 0x0
	v_lshlrev_b32_e32 v2, 16, v2
	s_delay_alu instid0(VALU_DEP_1)
	v_cvt_f16_f32_e32 v8, v2
	s_branch .LBB190_1492
.LBB190_1487:
	s_mov_b32 s2, -1
	s_branch .LBB190_1491
.LBB190_1488:
	s_or_saveexec_b32 s6, s6
	v_mov_b32_e32 v8, 0x7e00
	s_xor_b32 exec_lo, exec_lo, s6
	s_cbranch_execz .LBB190_1469
.LBB190_1489:
	v_cmp_ne_u16_e32 vcc_lo, 0, v2
	v_mov_b32_e32 v8, v2
	s_and_not1_b32 s2, s2, exec_lo
	s_and_b32 s7, vcc_lo, exec_lo
	s_delay_alu instid0(SALU_CYCLE_1)
	s_or_b32 s2, s2, s7
	s_or_b32 exec_lo, exec_lo, s6
	s_and_saveexec_b32 s6, s2
	s_cbranch_execnz .LBB190_1470
	s_branch .LBB190_1471
.LBB190_1490:
	s_mov_b32 s1, -1
.LBB190_1491:
                                        ; implicit-def: $vgpr8
.LBB190_1492:
	s_and_b32 vcc_lo, exec_lo, s2
	s_mov_b32 s2, 0
	s_cbranch_vccz .LBB190_1494
; %bb.1493:
	s_cmp_lg_u32 s0, 11
	s_mov_b32 s2, -1
	s_cselect_b32 s1, -1, 0
.LBB190_1494:
	s_delay_alu instid0(SALU_CYCLE_1)
	s_and_b32 vcc_lo, exec_lo, s1
	s_cbranch_vccnz .LBB190_2026
; %bb.1495:
	s_and_not1_b32 vcc_lo, exec_lo, s2
	s_cbranch_vccnz .LBB190_1497
.LBB190_1496:
	global_load_u8 v2, v[0:1], off
	s_mov_b32 s6, -1
	s_wait_loadcnt 0x0
	v_cmp_ne_u16_e32 vcc_lo, 0, v2
	v_cndmask_b32_e64 v8, 0, 0x3c00, vcc_lo
.LBB190_1497:
	s_mov_b32 s1, 0
.LBB190_1498:
	s_delay_alu instid0(SALU_CYCLE_1)
	s_and_b32 vcc_lo, exec_lo, s1
	s_cbranch_vccz .LBB190_1547
; %bb.1499:
	s_cmp_lt_i32 s0, 5
	s_cbranch_scc1 .LBB190_1504
; %bb.1500:
	s_cmp_lt_i32 s0, 8
	s_cbranch_scc1 .LBB190_1505
	;; [unrolled: 3-line block ×3, first 2 shown]
; %bb.1502:
	s_cmp_gt_i32 s0, 9
	s_cbranch_scc0 .LBB190_1507
; %bb.1503:
	global_load_b64 v[2:3], v[0:1], off
	s_mov_b32 s1, 0
	s_wait_loadcnt 0x0
	v_and_or_b32 v2, 0x1ff, v3, v2
	v_lshrrev_b32_e32 v8, 8, v3
	v_bfe_u32 v9, v3, 20, 11
	v_lshrrev_b32_e32 v3, 16, v3
	s_delay_alu instid0(VALU_DEP_4) | instskip(NEXT) | instid1(VALU_DEP_3)
	v_cmp_ne_u32_e32 vcc_lo, 0, v2
	v_sub_nc_u32_e32 v10, 0x3f1, v9
	v_add_nc_u32_e32 v9, 0xfffffc10, v9
	v_cndmask_b32_e64 v2, 0, 1, vcc_lo
	s_delay_alu instid0(VALU_DEP_1) | instskip(NEXT) | instid1(VALU_DEP_4)
	v_and_or_b32 v2, 0xffe, v8, v2
	v_med3_i32 v8, v10, 0, 13
	s_delay_alu instid0(VALU_DEP_2) | instskip(NEXT) | instid1(VALU_DEP_1)
	v_or_b32_e32 v10, 0x1000, v2
	v_lshrrev_b32_e32 v11, v8, v10
	s_delay_alu instid0(VALU_DEP_1) | instskip(NEXT) | instid1(VALU_DEP_1)
	v_lshlrev_b32_e32 v8, v8, v11
	v_cmp_ne_u32_e32 vcc_lo, v8, v10
	v_lshl_or_b32 v10, v9, 12, v2
	v_cndmask_b32_e64 v8, 0, 1, vcc_lo
	v_cmp_gt_i32_e32 vcc_lo, 1, v9
	s_delay_alu instid0(VALU_DEP_2) | instskip(NEXT) | instid1(VALU_DEP_1)
	v_or_b32_e32 v8, v11, v8
	v_cndmask_b32_e32 v8, v10, v8, vcc_lo
	s_delay_alu instid0(VALU_DEP_1) | instskip(NEXT) | instid1(VALU_DEP_1)
	v_dual_lshrrev_b32 v8, 2, v8 :: v_dual_bitop2_b32 v10, 7, v8 bitop3:0x40
	v_cmp_lt_i32_e32 vcc_lo, 5, v10
	v_cndmask_b32_e64 v11, 0, 1, vcc_lo
	v_cmp_eq_u32_e32 vcc_lo, 3, v10
	v_cndmask_b32_e64 v10, 0, 1, vcc_lo
	v_cmp_ne_u32_e32 vcc_lo, 0, v2
	s_delay_alu instid0(VALU_DEP_2) | instskip(NEXT) | instid1(VALU_DEP_1)
	v_or_b32_e32 v10, v10, v11
	v_dual_mov_b32 v11, 0x7e00 :: v_dual_add_nc_u32 v8, v8, v10
	s_delay_alu instid0(VALU_DEP_1) | instskip(SKIP_1) | instid1(VALU_DEP_3)
	v_cndmask_b32_e32 v2, 0x7c00, v11, vcc_lo
	v_cmp_gt_i32_e32 vcc_lo, 31, v9
	v_cndmask_b32_e32 v8, 0x7c00, v8, vcc_lo
	v_cmp_eq_u32_e32 vcc_lo, 0x40f, v9
	s_delay_alu instid0(VALU_DEP_2) | instskip(NEXT) | instid1(VALU_DEP_1)
	v_cndmask_b32_e32 v2, v8, v2, vcc_lo
	v_and_or_b32 v8, 0x8000, v3, v2
	s_branch .LBB190_1508
.LBB190_1504:
	s_mov_b32 s1, -1
                                        ; implicit-def: $vgpr8
	s_branch .LBB190_1526
.LBB190_1505:
	s_mov_b32 s1, -1
                                        ; implicit-def: $vgpr8
	s_branch .LBB190_1514
.LBB190_1506:
	s_mov_b32 s1, -1
                                        ; implicit-def: $vgpr8
	s_branch .LBB190_1511
.LBB190_1507:
	s_mov_b32 s1, -1
                                        ; implicit-def: $vgpr8
.LBB190_1508:
	s_delay_alu instid0(SALU_CYCLE_1)
	s_and_not1_b32 vcc_lo, exec_lo, s1
	s_cbranch_vccnz .LBB190_1510
; %bb.1509:
	global_load_b32 v2, v[0:1], off
	s_wait_loadcnt 0x0
	v_cvt_f16_f32_e32 v8, v2
.LBB190_1510:
	s_mov_b32 s1, 0
.LBB190_1511:
	s_delay_alu instid0(SALU_CYCLE_1)
	s_and_not1_b32 vcc_lo, exec_lo, s1
	s_cbranch_vccnz .LBB190_1513
; %bb.1512:
	global_load_b32 v8, v[0:1], off
.LBB190_1513:
	s_mov_b32 s1, 0
.LBB190_1514:
	s_delay_alu instid0(SALU_CYCLE_1)
	s_and_not1_b32 vcc_lo, exec_lo, s1
	s_cbranch_vccnz .LBB190_1525
; %bb.1515:
	s_cmp_lt_i32 s0, 6
	s_cbranch_scc1 .LBB190_1518
; %bb.1516:
	s_cmp_gt_i32 s0, 6
	s_cbranch_scc0 .LBB190_1519
; %bb.1517:
	global_load_b64 v[2:3], v[0:1], off
	s_mov_b32 s1, 0
	s_wait_loadcnt 0x0
	v_and_or_b32 v2, 0x1ff, v3, v2
	v_lshrrev_b32_e32 v8, 8, v3
	v_bfe_u32 v9, v3, 20, 11
	v_lshrrev_b32_e32 v3, 16, v3
	s_delay_alu instid0(VALU_DEP_4) | instskip(NEXT) | instid1(VALU_DEP_3)
	v_cmp_ne_u32_e32 vcc_lo, 0, v2
	v_sub_nc_u32_e32 v10, 0x3f1, v9
	v_add_nc_u32_e32 v9, 0xfffffc10, v9
	v_cndmask_b32_e64 v2, 0, 1, vcc_lo
	s_delay_alu instid0(VALU_DEP_1) | instskip(NEXT) | instid1(VALU_DEP_4)
	v_and_or_b32 v2, 0xffe, v8, v2
	v_med3_i32 v8, v10, 0, 13
	s_delay_alu instid0(VALU_DEP_2) | instskip(NEXT) | instid1(VALU_DEP_1)
	v_or_b32_e32 v10, 0x1000, v2
	v_lshrrev_b32_e32 v11, v8, v10
	s_delay_alu instid0(VALU_DEP_1) | instskip(NEXT) | instid1(VALU_DEP_1)
	v_lshlrev_b32_e32 v8, v8, v11
	v_cmp_ne_u32_e32 vcc_lo, v8, v10
	v_lshl_or_b32 v10, v9, 12, v2
	v_cndmask_b32_e64 v8, 0, 1, vcc_lo
	v_cmp_gt_i32_e32 vcc_lo, 1, v9
	s_delay_alu instid0(VALU_DEP_2) | instskip(NEXT) | instid1(VALU_DEP_1)
	v_or_b32_e32 v8, v11, v8
	v_cndmask_b32_e32 v8, v10, v8, vcc_lo
	s_delay_alu instid0(VALU_DEP_1) | instskip(NEXT) | instid1(VALU_DEP_1)
	v_dual_lshrrev_b32 v8, 2, v8 :: v_dual_bitop2_b32 v10, 7, v8 bitop3:0x40
	v_cmp_lt_i32_e32 vcc_lo, 5, v10
	v_cndmask_b32_e64 v11, 0, 1, vcc_lo
	v_cmp_eq_u32_e32 vcc_lo, 3, v10
	v_cndmask_b32_e64 v10, 0, 1, vcc_lo
	v_cmp_ne_u32_e32 vcc_lo, 0, v2
	s_delay_alu instid0(VALU_DEP_2) | instskip(NEXT) | instid1(VALU_DEP_1)
	v_or_b32_e32 v10, v10, v11
	v_dual_mov_b32 v11, 0x7e00 :: v_dual_add_nc_u32 v8, v8, v10
	s_delay_alu instid0(VALU_DEP_1) | instskip(SKIP_1) | instid1(VALU_DEP_3)
	v_cndmask_b32_e32 v2, 0x7c00, v11, vcc_lo
	v_cmp_gt_i32_e32 vcc_lo, 31, v9
	v_cndmask_b32_e32 v8, 0x7c00, v8, vcc_lo
	v_cmp_eq_u32_e32 vcc_lo, 0x40f, v9
	s_delay_alu instid0(VALU_DEP_2) | instskip(NEXT) | instid1(VALU_DEP_1)
	v_cndmask_b32_e32 v2, v8, v2, vcc_lo
	v_and_or_b32 v8, 0x8000, v3, v2
	s_branch .LBB190_1520
.LBB190_1518:
	s_mov_b32 s1, -1
                                        ; implicit-def: $vgpr8
	s_branch .LBB190_1523
.LBB190_1519:
	s_mov_b32 s1, -1
                                        ; implicit-def: $vgpr8
.LBB190_1520:
	s_delay_alu instid0(SALU_CYCLE_1)
	s_and_not1_b32 vcc_lo, exec_lo, s1
	s_cbranch_vccnz .LBB190_1522
; %bb.1521:
	global_load_b32 v2, v[0:1], off
	s_wait_loadcnt 0x0
	v_cvt_f16_f32_e32 v8, v2
.LBB190_1522:
	s_mov_b32 s1, 0
.LBB190_1523:
	s_delay_alu instid0(SALU_CYCLE_1)
	s_and_not1_b32 vcc_lo, exec_lo, s1
	s_cbranch_vccnz .LBB190_1525
; %bb.1524:
	s_wait_loadcnt 0x0
	global_load_u16 v8, v[0:1], off
.LBB190_1525:
	s_mov_b32 s1, 0
.LBB190_1526:
	s_delay_alu instid0(SALU_CYCLE_1)
	s_and_not1_b32 vcc_lo, exec_lo, s1
	s_cbranch_vccnz .LBB190_1546
; %bb.1527:
	s_cmp_lt_i32 s0, 2
	s_cbranch_scc1 .LBB190_1531
; %bb.1528:
	s_cmp_lt_i32 s0, 3
	s_cbranch_scc1 .LBB190_1532
; %bb.1529:
	s_cmp_gt_i32 s0, 3
	s_cbranch_scc0 .LBB190_1533
; %bb.1530:
	global_load_b64 v[2:3], v[0:1], off
	s_mov_b32 s1, 0
	s_wait_loadcnt 0x0
	v_xor_b32_e32 v8, v2, v3
	v_cls_i32_e32 v9, v3
	s_delay_alu instid0(VALU_DEP_2) | instskip(NEXT) | instid1(VALU_DEP_1)
	v_ashrrev_i32_e32 v8, 31, v8
	v_add_nc_u32_e32 v8, 32, v8
	s_delay_alu instid0(VALU_DEP_1) | instskip(NEXT) | instid1(VALU_DEP_1)
	v_add_min_u32_e64 v8, v9, -1, v8
	v_lshlrev_b64_e32 v[2:3], v8, v[2:3]
	s_delay_alu instid0(VALU_DEP_1) | instskip(NEXT) | instid1(VALU_DEP_1)
	v_min_u32_e32 v2, 1, v2
	v_dual_sub_nc_u32 v3, 32, v8 :: v_dual_bitop2_b32 v2, v3, v2 bitop3:0x54
	s_delay_alu instid0(VALU_DEP_1) | instskip(NEXT) | instid1(VALU_DEP_1)
	v_cvt_f32_i32_e32 v2, v2
	v_ldexp_f32 v2, v2, v3
	s_delay_alu instid0(VALU_DEP_1)
	v_cvt_f16_f32_e32 v8, v2
	s_branch .LBB190_1534
.LBB190_1531:
	s_mov_b32 s1, -1
                                        ; implicit-def: $vgpr8
	s_branch .LBB190_1540
.LBB190_1532:
	s_mov_b32 s1, -1
                                        ; implicit-def: $vgpr8
	s_branch .LBB190_1537
.LBB190_1533:
	s_mov_b32 s1, -1
                                        ; implicit-def: $vgpr8
.LBB190_1534:
	s_delay_alu instid0(SALU_CYCLE_1)
	s_and_not1_b32 vcc_lo, exec_lo, s1
	s_cbranch_vccnz .LBB190_1536
; %bb.1535:
	global_load_b32 v2, v[0:1], off
	s_wait_loadcnt 0x0
	v_cvt_f32_i32_e32 v2, v2
	s_delay_alu instid0(VALU_DEP_1)
	v_cvt_f16_f32_e32 v8, v2
.LBB190_1536:
	s_mov_b32 s1, 0
.LBB190_1537:
	s_delay_alu instid0(SALU_CYCLE_1)
	s_and_not1_b32 vcc_lo, exec_lo, s1
	s_cbranch_vccnz .LBB190_1539
; %bb.1538:
	global_load_u16 v2, v[0:1], off
	s_wait_loadcnt 0x0
	v_cvt_f16_i16_e32 v8, v2
.LBB190_1539:
	s_mov_b32 s1, 0
.LBB190_1540:
	s_delay_alu instid0(SALU_CYCLE_1)
	s_and_not1_b32 vcc_lo, exec_lo, s1
	s_cbranch_vccnz .LBB190_1546
; %bb.1541:
	s_cmp_gt_i32 s0, 0
	s_mov_b32 s0, 0
	s_cbranch_scc0 .LBB190_1543
; %bb.1542:
	global_load_i8 v2, v[0:1], off
	s_wait_loadcnt 0x0
	v_cvt_f16_i16_e32 v8, v2
	s_branch .LBB190_1544
.LBB190_1543:
	s_mov_b32 s0, -1
                                        ; implicit-def: $vgpr8
.LBB190_1544:
	s_delay_alu instid0(SALU_CYCLE_1)
	s_and_not1_b32 vcc_lo, exec_lo, s0
	s_cbranch_vccnz .LBB190_1546
; %bb.1545:
	global_load_u8 v0, v[0:1], off
	s_wait_loadcnt 0x0
	v_cvt_f16_u16_e32 v8, v0
.LBB190_1546:
	s_mov_b32 s6, -1
.LBB190_1547:
	s_delay_alu instid0(SALU_CYCLE_1)
	s_and_not1_b32 vcc_lo, exec_lo, s6
	s_cbranch_vccnz .LBB190_1980
; %bb.1548:
	s_wait_loadcnt 0x0
	v_cmp_eq_f16_e32 vcc_lo, s11, v5
	s_wait_xcnt 0x0
	v_mul_lo_u32 v0, s8, v4
	s_cmp_eq_u32 s10, 0
	s_mov_b32 s7, 0
	s_cselect_b32 s0, -1, 0
	v_cndmask_b32_e64 v1, 0, 1, vcc_lo
	v_cmp_neq_f16_e32 vcc_lo, s11, v5
	s_and_b32 s16, s3, 0xff
	s_mov_b32 s2, -1
	s_cmp_lt_i32 s16, 11
	v_cndmask_b32_e64 v2, 0, 1, vcc_lo
	s_delay_alu instid0(VALU_DEP_1) | instskip(NEXT) | instid1(VALU_DEP_1)
	v_dual_cndmask_b32 v2, v2, v1, s0 :: v_dual_ashrrev_i32 v1, 31, v0
	v_and_b32_e32 v4, 1, v2
	s_delay_alu instid0(VALU_DEP_2) | instskip(NEXT) | instid1(VALU_DEP_2)
	v_add_nc_u64_e32 v[2:3], s[4:5], v[0:1]
	v_cmp_eq_u32_e64 s1, 1, v4
	s_cbranch_scc1 .LBB190_1627
; %bb.1549:
	s_and_b32 s3, 0xffff, s16
	s_mov_b32 s9, -1
	s_mov_b32 s6, 0
	s_cmp_gt_i32 s3, 25
	s_mov_b32 s2, 0
	s_cbranch_scc0 .LBB190_1582
; %bb.1550:
	s_cmp_gt_i32 s3, 28
	s_cbranch_scc0 .LBB190_1565
; %bb.1551:
	s_cmp_gt_i32 s3, 43
	;; [unrolled: 3-line block ×3, first 2 shown]
	s_cbranch_scc0 .LBB190_1555
; %bb.1553:
	s_mov_b32 s2, -1
	s_mov_b32 s9, 0
	s_cmp_eq_u32 s3, 46
	s_cbranch_scc0 .LBB190_1555
; %bb.1554:
	v_cndmask_b32_e64 v1, 0, 1.0, s1
	s_mov_b32 s2, 0
	s_mov_b32 s7, -1
	s_delay_alu instid0(VALU_DEP_1) | instskip(NEXT) | instid1(VALU_DEP_1)
	v_bfe_u32 v4, v1, 16, 1
	v_add3_u32 v1, v1, v4, 0x7fff
	s_delay_alu instid0(VALU_DEP_1)
	v_lshrrev_b32_e32 v1, 16, v1
	global_store_b32 v[2:3], v1, off
.LBB190_1555:
	s_and_b32 vcc_lo, exec_lo, s9
	s_cbranch_vccz .LBB190_1560
; %bb.1556:
	s_cmp_eq_u32 s3, 44
	s_mov_b32 s2, -1
	s_cbranch_scc0 .LBB190_1560
; %bb.1557:
	v_cndmask_b32_e64 v5, 0, 1.0, s1
	s_mov_b32 s7, exec_lo
	s_wait_xcnt 0x0
	s_delay_alu instid0(VALU_DEP_1) | instskip(NEXT) | instid1(VALU_DEP_1)
	v_dual_mov_b32 v4, 0xff :: v_dual_lshrrev_b32 v1, 23, v5
	v_cmpx_ne_u32_e32 0xff, v1
; %bb.1558:
	v_and_b32_e32 v4, 0x400000, v5
	v_and_or_b32 v5, 0x3fffff, v5, v1
	s_delay_alu instid0(VALU_DEP_2) | instskip(NEXT) | instid1(VALU_DEP_2)
	v_cmp_ne_u32_e32 vcc_lo, 0, v4
	v_cmp_ne_u32_e64 s2, 0, v5
	s_and_b32 s2, vcc_lo, s2
	s_delay_alu instid0(SALU_CYCLE_1) | instskip(NEXT) | instid1(VALU_DEP_1)
	v_cndmask_b32_e64 v4, 0, 1, s2
	v_add_nc_u32_e32 v4, v1, v4
; %bb.1559:
	s_or_b32 exec_lo, exec_lo, s7
	s_mov_b32 s2, 0
	s_mov_b32 s7, -1
	global_store_b8 v[2:3], v4, off
.LBB190_1560:
	s_mov_b32 s9, 0
.LBB190_1561:
	s_delay_alu instid0(SALU_CYCLE_1)
	s_and_b32 vcc_lo, exec_lo, s9
	s_cbranch_vccz .LBB190_1564
; %bb.1562:
	s_cmp_eq_u32 s3, 29
	s_mov_b32 s2, -1
	s_cbranch_scc0 .LBB190_1564
; %bb.1563:
	s_mov_b32 s2, 0
	s_wait_xcnt 0x0
	v_cndmask_b32_e64 v4, 0, 1, s1
	v_mov_b32_e32 v5, s2
	s_mov_b32 s7, -1
	global_store_b64 v[2:3], v[4:5], off
.LBB190_1564:
	s_mov_b32 s9, 0
.LBB190_1565:
	s_delay_alu instid0(SALU_CYCLE_1)
	s_and_b32 vcc_lo, exec_lo, s9
	s_cbranch_vccz .LBB190_1581
; %bb.1566:
	s_cmp_lt_i32 s3, 27
	s_mov_b32 s7, -1
	s_cbranch_scc1 .LBB190_1572
; %bb.1567:
	s_cmp_gt_i32 s3, 27
	s_cbranch_scc0 .LBB190_1569
; %bb.1568:
	s_wait_xcnt 0x0
	v_cndmask_b32_e64 v1, 0, 1, s1
	s_mov_b32 s7, 0
	global_store_b32 v[2:3], v1, off
.LBB190_1569:
	s_and_not1_b32 vcc_lo, exec_lo, s7
	s_cbranch_vccnz .LBB190_1571
; %bb.1570:
	s_wait_xcnt 0x0
	v_cndmask_b32_e64 v1, 0, 1, s1
	global_store_b16 v[2:3], v1, off
.LBB190_1571:
	s_mov_b32 s7, 0
.LBB190_1572:
	s_delay_alu instid0(SALU_CYCLE_1)
	s_and_not1_b32 vcc_lo, exec_lo, s7
	s_cbranch_vccnz .LBB190_1580
; %bb.1573:
	s_wait_xcnt 0x0
	v_cndmask_b32_e64 v4, 0, 1.0, s1
	v_mov_b32_e32 v5, 0x80
	s_mov_b32 s7, exec_lo
	s_delay_alu instid0(VALU_DEP_2)
	v_cmpx_gt_u32_e32 0x43800000, v4
	s_cbranch_execz .LBB190_1579
; %bb.1574:
	s_mov_b32 s9, 0
	s_mov_b32 s10, exec_lo
                                        ; implicit-def: $vgpr1
	v_cmpx_lt_u32_e32 0x3bffffff, v4
	s_xor_b32 s10, exec_lo, s10
	s_cbranch_execz .LBB190_2027
; %bb.1575:
	v_bfe_u32 v1, v4, 20, 1
	s_mov_b32 s9, exec_lo
	s_delay_alu instid0(VALU_DEP_1) | instskip(NEXT) | instid1(VALU_DEP_1)
	v_add3_u32 v1, v4, v1, 0x487ffff
                                        ; implicit-def: $vgpr4
	v_lshrrev_b32_e32 v1, 20, v1
	s_and_not1_saveexec_b32 s10, s10
	s_cbranch_execnz .LBB190_2028
.LBB190_1576:
	s_or_b32 exec_lo, exec_lo, s10
	v_mov_b32_e32 v5, 0
	s_and_saveexec_b32 s10, s9
.LBB190_1577:
	v_mov_b32_e32 v5, v1
.LBB190_1578:
	s_or_b32 exec_lo, exec_lo, s10
.LBB190_1579:
	s_delay_alu instid0(SALU_CYCLE_1)
	s_or_b32 exec_lo, exec_lo, s7
	global_store_b8 v[2:3], v5, off
.LBB190_1580:
	s_mov_b32 s7, -1
.LBB190_1581:
	s_mov_b32 s9, 0
.LBB190_1582:
	s_delay_alu instid0(SALU_CYCLE_1)
	s_and_b32 vcc_lo, exec_lo, s9
	s_cbranch_vccz .LBB190_1622
; %bb.1583:
	s_cmp_gt_i32 s3, 22
	s_mov_b32 s6, -1
	s_cbranch_scc0 .LBB190_1615
; %bb.1584:
	s_cmp_lt_i32 s3, 24
	s_cbranch_scc1 .LBB190_1604
; %bb.1585:
	s_cmp_gt_i32 s3, 24
	s_cbranch_scc0 .LBB190_1593
; %bb.1586:
	s_wait_xcnt 0x0
	v_cndmask_b32_e64 v4, 0, 1.0, s1
	v_mov_b32_e32 v5, 0x80
	s_mov_b32 s6, exec_lo
	s_delay_alu instid0(VALU_DEP_2)
	v_cmpx_gt_u32_e32 0x47800000, v4
	s_cbranch_execz .LBB190_1592
; %bb.1587:
	s_mov_b32 s7, 0
	s_mov_b32 s9, exec_lo
                                        ; implicit-def: $vgpr1
	v_cmpx_lt_u32_e32 0x37ffffff, v4
	s_xor_b32 s9, exec_lo, s9
	s_cbranch_execz .LBB190_2030
; %bb.1588:
	v_bfe_u32 v1, v4, 21, 1
	s_mov_b32 s7, exec_lo
	s_delay_alu instid0(VALU_DEP_1) | instskip(NEXT) | instid1(VALU_DEP_1)
	v_add3_u32 v1, v4, v1, 0x88fffff
                                        ; implicit-def: $vgpr4
	v_lshrrev_b32_e32 v1, 21, v1
	s_and_not1_saveexec_b32 s9, s9
	s_cbranch_execnz .LBB190_2031
.LBB190_1589:
	s_or_b32 exec_lo, exec_lo, s9
	v_mov_b32_e32 v5, 0
	s_and_saveexec_b32 s9, s7
.LBB190_1590:
	v_mov_b32_e32 v5, v1
.LBB190_1591:
	s_or_b32 exec_lo, exec_lo, s9
.LBB190_1592:
	s_delay_alu instid0(SALU_CYCLE_1)
	s_or_b32 exec_lo, exec_lo, s6
	s_mov_b32 s6, 0
	global_store_b8 v[2:3], v5, off
.LBB190_1593:
	s_and_b32 vcc_lo, exec_lo, s6
	s_cbranch_vccz .LBB190_1603
; %bb.1594:
	s_wait_xcnt 0x0
	v_cndmask_b32_e64 v4, 0, 1.0, s1
	s_mov_b32 s6, exec_lo
                                        ; implicit-def: $vgpr1
	s_delay_alu instid0(VALU_DEP_1)
	v_cmpx_gt_u32_e32 0x43f00000, v4
	s_xor_b32 s6, exec_lo, s6
	s_cbranch_execz .LBB190_1600
; %bb.1595:
	s_mov_b32 s7, exec_lo
                                        ; implicit-def: $vgpr1
	v_cmpx_lt_u32_e32 0x3c7fffff, v4
	s_xor_b32 s7, exec_lo, s7
; %bb.1596:
	v_bfe_u32 v1, v4, 20, 1
	s_delay_alu instid0(VALU_DEP_1) | instskip(NEXT) | instid1(VALU_DEP_1)
	v_add3_u32 v1, v4, v1, 0x407ffff
	v_and_b32_e32 v4, 0xff00000, v1
	v_lshrrev_b32_e32 v1, 20, v1
	s_delay_alu instid0(VALU_DEP_2) | instskip(NEXT) | instid1(VALU_DEP_2)
	v_cmp_ne_u32_e32 vcc_lo, 0x7f00000, v4
                                        ; implicit-def: $vgpr4
	v_cndmask_b32_e32 v1, 0x7e, v1, vcc_lo
; %bb.1597:
	s_and_not1_saveexec_b32 s7, s7
; %bb.1598:
	v_add_f32_e32 v1, 0x46800000, v4
; %bb.1599:
	s_or_b32 exec_lo, exec_lo, s7
                                        ; implicit-def: $vgpr4
.LBB190_1600:
	s_and_not1_saveexec_b32 s6, s6
; %bb.1601:
	v_mov_b32_e32 v1, 0x7f
	v_cmp_lt_u32_e32 vcc_lo, 0x7f800000, v4
	s_delay_alu instid0(VALU_DEP_2)
	v_cndmask_b32_e32 v1, 0x7e, v1, vcc_lo
; %bb.1602:
	s_or_b32 exec_lo, exec_lo, s6
	global_store_b8 v[2:3], v1, off
.LBB190_1603:
	s_mov_b32 s6, 0
.LBB190_1604:
	s_delay_alu instid0(SALU_CYCLE_1)
	s_and_not1_b32 vcc_lo, exec_lo, s6
	s_cbranch_vccnz .LBB190_1614
; %bb.1605:
	s_wait_xcnt 0x0
	v_cndmask_b32_e64 v4, 0, 1.0, s1
	s_mov_b32 s6, exec_lo
                                        ; implicit-def: $vgpr1
	s_delay_alu instid0(VALU_DEP_1)
	v_cmpx_gt_u32_e32 0x47800000, v4
	s_xor_b32 s6, exec_lo, s6
	s_cbranch_execz .LBB190_1611
; %bb.1606:
	s_mov_b32 s7, exec_lo
                                        ; implicit-def: $vgpr1
	v_cmpx_lt_u32_e32 0x387fffff, v4
	s_xor_b32 s7, exec_lo, s7
; %bb.1607:
	v_bfe_u32 v1, v4, 21, 1
	s_delay_alu instid0(VALU_DEP_1) | instskip(NEXT) | instid1(VALU_DEP_1)
	v_add3_u32 v1, v4, v1, 0x80fffff
                                        ; implicit-def: $vgpr4
	v_lshrrev_b32_e32 v1, 21, v1
; %bb.1608:
	s_and_not1_saveexec_b32 s7, s7
; %bb.1609:
	v_add_f32_e32 v1, 0x43000000, v4
; %bb.1610:
	s_or_b32 exec_lo, exec_lo, s7
                                        ; implicit-def: $vgpr4
.LBB190_1611:
	s_and_not1_saveexec_b32 s6, s6
; %bb.1612:
	v_mov_b32_e32 v1, 0x7f
	v_cmp_lt_u32_e32 vcc_lo, 0x7f800000, v4
	s_delay_alu instid0(VALU_DEP_2)
	v_cndmask_b32_e32 v1, 0x7c, v1, vcc_lo
; %bb.1613:
	s_or_b32 exec_lo, exec_lo, s6
	global_store_b8 v[2:3], v1, off
.LBB190_1614:
	s_mov_b32 s6, 0
	s_mov_b32 s7, -1
.LBB190_1615:
	s_and_not1_b32 vcc_lo, exec_lo, s6
	s_mov_b32 s6, 0
	s_cbranch_vccnz .LBB190_1622
; %bb.1616:
	s_cmp_gt_i32 s3, 14
	s_mov_b32 s6, -1
	s_cbranch_scc0 .LBB190_1620
; %bb.1617:
	s_cmp_eq_u32 s3, 15
	s_mov_b32 s2, -1
	s_cbranch_scc0 .LBB190_1619
; %bb.1618:
	s_wait_xcnt 0x0
	v_cndmask_b32_e64 v1, 0, 1.0, s1
	s_mov_b32 s2, 0
	s_mov_b32 s7, -1
	s_delay_alu instid0(VALU_DEP_1) | instskip(NEXT) | instid1(VALU_DEP_1)
	v_bfe_u32 v4, v1, 16, 1
	v_add3_u32 v1, v1, v4, 0x7fff
	global_store_d16_hi_b16 v[2:3], v1, off
.LBB190_1619:
	s_mov_b32 s6, 0
.LBB190_1620:
	s_delay_alu instid0(SALU_CYCLE_1)
	s_and_b32 vcc_lo, exec_lo, s6
	s_mov_b32 s6, 0
	s_cbranch_vccz .LBB190_1622
; %bb.1621:
	s_cmp_lg_u32 s3, 11
	s_mov_b32 s6, -1
	s_cselect_b32 s2, -1, 0
.LBB190_1622:
	s_delay_alu instid0(SALU_CYCLE_1)
	s_and_b32 vcc_lo, exec_lo, s2
	s_cbranch_vccnz .LBB190_2029
; %bb.1623:
	s_and_not1_b32 vcc_lo, exec_lo, s6
	s_cbranch_vccnz .LBB190_1625
.LBB190_1624:
	s_wait_xcnt 0x0
	v_cndmask_b32_e64 v1, 0, 1, s1
	s_mov_b32 s7, -1
	global_store_b8 v[2:3], v1, off
.LBB190_1625:
.LBB190_1626:
	s_and_not1_b32 vcc_lo, exec_lo, s7
	s_cbranch_vccnz .LBB190_1980
	s_branch .LBB190_1666
.LBB190_1627:
	s_and_b32 vcc_lo, exec_lo, s2
	s_cbranch_vccz .LBB190_1626
; %bb.1628:
	s_and_b32 s2, 0xffff, s16
	s_mov_b32 s3, -1
	s_cmp_lt_i32 s2, 5
	s_cbranch_scc1 .LBB190_1649
; %bb.1629:
	s_cmp_lt_i32 s2, 8
	s_cbranch_scc1 .LBB190_1639
; %bb.1630:
	;; [unrolled: 3-line block ×3, first 2 shown]
	s_cmp_gt_i32 s2, 9
	s_cbranch_scc0 .LBB190_1633
; %bb.1632:
	s_wait_xcnt 0x0
	v_cndmask_b32_e64 v1, 0, 1, s1
	v_mov_b32_e32 v12, 0
	s_mov_b32 s3, 0
	s_delay_alu instid0(VALU_DEP_2) | instskip(NEXT) | instid1(VALU_DEP_2)
	v_cvt_f64_u32_e32 v[10:11], v1
	v_mov_b32_e32 v13, v12
	global_store_b128 v[2:3], v[10:13], off
.LBB190_1633:
	s_and_not1_b32 vcc_lo, exec_lo, s3
	s_cbranch_vccnz .LBB190_1635
; %bb.1634:
	s_wait_xcnt 0x0
	v_cndmask_b32_e64 v4, 0, 1.0, s1
	v_mov_b32_e32 v5, 0
	global_store_b64 v[2:3], v[4:5], off
.LBB190_1635:
	s_mov_b32 s3, 0
.LBB190_1636:
	s_delay_alu instid0(SALU_CYCLE_1)
	s_and_not1_b32 vcc_lo, exec_lo, s3
	s_cbranch_vccnz .LBB190_1638
; %bb.1637:
	s_wait_xcnt 0x0
	v_cndmask_b32_e64 v1, 0, 1.0, s1
	s_delay_alu instid0(VALU_DEP_1) | instskip(NEXT) | instid1(VALU_DEP_1)
	v_cvt_f16_f32_e32 v1, v1
	v_and_b32_e32 v1, 0xffff, v1
	global_store_b32 v[2:3], v1, off
.LBB190_1638:
	s_mov_b32 s3, 0
.LBB190_1639:
	s_delay_alu instid0(SALU_CYCLE_1)
	s_and_not1_b32 vcc_lo, exec_lo, s3
	s_cbranch_vccnz .LBB190_1648
; %bb.1640:
	s_cmp_lt_i32 s2, 6
	s_mov_b32 s3, -1
	s_cbranch_scc1 .LBB190_1646
; %bb.1641:
	s_cmp_gt_i32 s2, 6
	s_cbranch_scc0 .LBB190_1643
; %bb.1642:
	s_wait_xcnt 0x0
	v_cndmask_b32_e64 v1, 0, 1, s1
	s_mov_b32 s3, 0
	s_delay_alu instid0(VALU_DEP_1)
	v_cvt_f64_u32_e32 v[4:5], v1
	global_store_b64 v[2:3], v[4:5], off
.LBB190_1643:
	s_and_not1_b32 vcc_lo, exec_lo, s3
	s_cbranch_vccnz .LBB190_1645
; %bb.1644:
	s_wait_xcnt 0x0
	v_cndmask_b32_e64 v1, 0, 1.0, s1
	global_store_b32 v[2:3], v1, off
.LBB190_1645:
	s_mov_b32 s3, 0
.LBB190_1646:
	s_delay_alu instid0(SALU_CYCLE_1)
	s_and_not1_b32 vcc_lo, exec_lo, s3
	s_cbranch_vccnz .LBB190_1648
; %bb.1647:
	s_wait_xcnt 0x0
	v_cndmask_b32_e64 v1, 0, 1.0, s1
	s_delay_alu instid0(VALU_DEP_1)
	v_cvt_f16_f32_e32 v1, v1
	global_store_b16 v[2:3], v1, off
.LBB190_1648:
	s_mov_b32 s3, 0
.LBB190_1649:
	s_delay_alu instid0(SALU_CYCLE_1)
	s_and_not1_b32 vcc_lo, exec_lo, s3
	s_cbranch_vccnz .LBB190_1665
; %bb.1650:
	s_cmp_lt_i32 s2, 2
	s_mov_b32 s3, -1
	s_cbranch_scc1 .LBB190_1660
; %bb.1651:
	s_cmp_lt_i32 s2, 3
	s_cbranch_scc1 .LBB190_1657
; %bb.1652:
	s_cmp_gt_i32 s2, 3
	s_cbranch_scc0 .LBB190_1654
; %bb.1653:
	s_mov_b32 s3, 0
	s_wait_xcnt 0x0
	v_cndmask_b32_e64 v4, 0, 1, s1
	v_mov_b32_e32 v5, s3
	global_store_b64 v[2:3], v[4:5], off
.LBB190_1654:
	s_and_not1_b32 vcc_lo, exec_lo, s3
	s_cbranch_vccnz .LBB190_1656
; %bb.1655:
	s_wait_xcnt 0x0
	v_cndmask_b32_e64 v1, 0, 1, s1
	global_store_b32 v[2:3], v1, off
.LBB190_1656:
	s_mov_b32 s3, 0
.LBB190_1657:
	s_delay_alu instid0(SALU_CYCLE_1)
	s_and_not1_b32 vcc_lo, exec_lo, s3
	s_cbranch_vccnz .LBB190_1659
; %bb.1658:
	s_wait_xcnt 0x0
	v_cndmask_b32_e64 v1, 0, 1, s1
	global_store_b16 v[2:3], v1, off
.LBB190_1659:
	s_mov_b32 s3, 0
.LBB190_1660:
	s_delay_alu instid0(SALU_CYCLE_1)
	s_and_not1_b32 vcc_lo, exec_lo, s3
	s_cbranch_vccnz .LBB190_1665
; %bb.1661:
	s_wait_xcnt 0x0
	v_cndmask_b32_e64 v1, 0, 1, s1
	s_cmp_gt_i32 s2, 0
	s_mov_b32 s1, -1
	s_cbranch_scc0 .LBB190_1663
; %bb.1662:
	s_mov_b32 s1, 0
	global_store_b8 v[2:3], v1, off
.LBB190_1663:
	s_and_not1_b32 vcc_lo, exec_lo, s1
	s_cbranch_vccnz .LBB190_1665
; %bb.1664:
	global_store_b8 v[2:3], v1, off
.LBB190_1665:
.LBB190_1666:
	v_cmp_eq_f16_e32 vcc_lo, s11, v6
	s_lshl_b32 s3, s8, 7
	s_cmp_lt_i32 s16, 11
	s_wait_xcnt 0x0
	v_cndmask_b32_e64 v1, 0, 1, vcc_lo
	v_cmp_neq_f16_e32 vcc_lo, s11, v6
	v_cndmask_b32_e64 v2, 0, 1, vcc_lo
	s_delay_alu instid0(VALU_DEP_1) | instskip(NEXT) | instid1(VALU_DEP_1)
	v_dual_add_nc_u32 v0, s3, v0 :: v_dual_cndmask_b32 v2, v2, v1, s0
	v_dual_ashrrev_i32 v1, 31, v0 :: v_dual_bitop2_b32 v4, 1, v2 bitop3:0x40
	s_delay_alu instid0(VALU_DEP_1) | instskip(NEXT) | instid1(VALU_DEP_2)
	v_add_nc_u64_e32 v[2:3], s[4:5], v[0:1]
	v_cmp_eq_u32_e64 s1, 1, v4
	s_cbranch_scc1 .LBB190_1744
; %bb.1667:
	s_and_b32 s6, 0xffff, s16
	s_mov_b32 s9, -1
	s_mov_b32 s7, 0
	s_cmp_gt_i32 s6, 25
	s_mov_b32 s8, 0
	s_mov_b32 s2, 0
	s_cbranch_scc0 .LBB190_1700
; %bb.1668:
	s_cmp_gt_i32 s6, 28
	s_cbranch_scc0 .LBB190_1683
; %bb.1669:
	s_cmp_gt_i32 s6, 43
	;; [unrolled: 3-line block ×3, first 2 shown]
	s_cbranch_scc0 .LBB190_1673
; %bb.1671:
	s_mov_b32 s2, -1
	s_mov_b32 s9, 0
	s_cmp_eq_u32 s6, 46
	s_cbranch_scc0 .LBB190_1673
; %bb.1672:
	v_cndmask_b32_e64 v1, 0, 1.0, s1
	s_mov_b32 s2, 0
	s_mov_b32 s8, -1
	s_delay_alu instid0(VALU_DEP_1) | instskip(NEXT) | instid1(VALU_DEP_1)
	v_bfe_u32 v4, v1, 16, 1
	v_add3_u32 v1, v1, v4, 0x7fff
	s_delay_alu instid0(VALU_DEP_1)
	v_lshrrev_b32_e32 v1, 16, v1
	global_store_b32 v[2:3], v1, off
.LBB190_1673:
	s_and_b32 vcc_lo, exec_lo, s9
	s_cbranch_vccz .LBB190_1678
; %bb.1674:
	s_cmp_eq_u32 s6, 44
	s_mov_b32 s2, -1
	s_cbranch_scc0 .LBB190_1678
; %bb.1675:
	v_cndmask_b32_e64 v5, 0, 1.0, s1
	s_mov_b32 s8, exec_lo
	s_wait_xcnt 0x0
	s_delay_alu instid0(VALU_DEP_1) | instskip(NEXT) | instid1(VALU_DEP_1)
	v_dual_mov_b32 v4, 0xff :: v_dual_lshrrev_b32 v1, 23, v5
	v_cmpx_ne_u32_e32 0xff, v1
; %bb.1676:
	v_and_b32_e32 v4, 0x400000, v5
	v_and_or_b32 v5, 0x3fffff, v5, v1
	s_delay_alu instid0(VALU_DEP_2) | instskip(NEXT) | instid1(VALU_DEP_2)
	v_cmp_ne_u32_e32 vcc_lo, 0, v4
	v_cmp_ne_u32_e64 s2, 0, v5
	s_and_b32 s2, vcc_lo, s2
	s_delay_alu instid0(SALU_CYCLE_1) | instskip(NEXT) | instid1(VALU_DEP_1)
	v_cndmask_b32_e64 v4, 0, 1, s2
	v_add_nc_u32_e32 v4, v1, v4
; %bb.1677:
	s_or_b32 exec_lo, exec_lo, s8
	s_mov_b32 s2, 0
	s_mov_b32 s8, -1
	global_store_b8 v[2:3], v4, off
.LBB190_1678:
	s_mov_b32 s9, 0
.LBB190_1679:
	s_delay_alu instid0(SALU_CYCLE_1)
	s_and_b32 vcc_lo, exec_lo, s9
	s_cbranch_vccz .LBB190_1682
; %bb.1680:
	s_cmp_eq_u32 s6, 29
	s_mov_b32 s2, -1
	s_cbranch_scc0 .LBB190_1682
; %bb.1681:
	s_mov_b32 s2, 0
	s_wait_xcnt 0x0
	v_cndmask_b32_e64 v4, 0, 1, s1
	v_mov_b32_e32 v5, s2
	s_mov_b32 s8, -1
	global_store_b64 v[2:3], v[4:5], off
.LBB190_1682:
	s_mov_b32 s9, 0
.LBB190_1683:
	s_delay_alu instid0(SALU_CYCLE_1)
	s_and_b32 vcc_lo, exec_lo, s9
	s_cbranch_vccz .LBB190_1699
; %bb.1684:
	s_cmp_lt_i32 s6, 27
	s_mov_b32 s8, -1
	s_cbranch_scc1 .LBB190_1690
; %bb.1685:
	s_cmp_gt_i32 s6, 27
	s_cbranch_scc0 .LBB190_1687
; %bb.1686:
	s_wait_xcnt 0x0
	v_cndmask_b32_e64 v1, 0, 1, s1
	s_mov_b32 s8, 0
	global_store_b32 v[2:3], v1, off
.LBB190_1687:
	s_and_not1_b32 vcc_lo, exec_lo, s8
	s_cbranch_vccnz .LBB190_1689
; %bb.1688:
	s_wait_xcnt 0x0
	v_cndmask_b32_e64 v1, 0, 1, s1
	global_store_b16 v[2:3], v1, off
.LBB190_1689:
	s_mov_b32 s8, 0
.LBB190_1690:
	s_delay_alu instid0(SALU_CYCLE_1)
	s_and_not1_b32 vcc_lo, exec_lo, s8
	s_cbranch_vccnz .LBB190_1698
; %bb.1691:
	s_wait_xcnt 0x0
	v_cndmask_b32_e64 v4, 0, 1.0, s1
	v_mov_b32_e32 v5, 0x80
	s_mov_b32 s8, exec_lo
	s_delay_alu instid0(VALU_DEP_2)
	v_cmpx_gt_u32_e32 0x43800000, v4
	s_cbranch_execz .LBB190_1697
; %bb.1692:
	s_mov_b32 s9, 0
	s_mov_b32 s10, exec_lo
                                        ; implicit-def: $vgpr1
	v_cmpx_lt_u32_e32 0x3bffffff, v4
	s_xor_b32 s10, exec_lo, s10
	s_cbranch_execz .LBB190_2032
; %bb.1693:
	v_bfe_u32 v1, v4, 20, 1
	s_mov_b32 s9, exec_lo
	s_delay_alu instid0(VALU_DEP_1) | instskip(NEXT) | instid1(VALU_DEP_1)
	v_add3_u32 v1, v4, v1, 0x487ffff
                                        ; implicit-def: $vgpr4
	v_lshrrev_b32_e32 v1, 20, v1
	s_and_not1_saveexec_b32 s10, s10
	s_cbranch_execnz .LBB190_2033
.LBB190_1694:
	s_or_b32 exec_lo, exec_lo, s10
	v_mov_b32_e32 v5, 0
	s_and_saveexec_b32 s10, s9
.LBB190_1695:
	v_mov_b32_e32 v5, v1
.LBB190_1696:
	s_or_b32 exec_lo, exec_lo, s10
.LBB190_1697:
	s_delay_alu instid0(SALU_CYCLE_1)
	s_or_b32 exec_lo, exec_lo, s8
	global_store_b8 v[2:3], v5, off
.LBB190_1698:
	s_mov_b32 s8, -1
.LBB190_1699:
	s_mov_b32 s9, 0
.LBB190_1700:
	s_delay_alu instid0(SALU_CYCLE_1)
	s_and_b32 vcc_lo, exec_lo, s9
	s_cbranch_vccz .LBB190_1740
; %bb.1701:
	s_cmp_gt_i32 s6, 22
	s_mov_b32 s7, -1
	s_cbranch_scc0 .LBB190_1733
; %bb.1702:
	s_cmp_lt_i32 s6, 24
	s_cbranch_scc1 .LBB190_1722
; %bb.1703:
	s_cmp_gt_i32 s6, 24
	s_cbranch_scc0 .LBB190_1711
; %bb.1704:
	s_wait_xcnt 0x0
	v_cndmask_b32_e64 v4, 0, 1.0, s1
	v_mov_b32_e32 v5, 0x80
	s_mov_b32 s7, exec_lo
	s_delay_alu instid0(VALU_DEP_2)
	v_cmpx_gt_u32_e32 0x47800000, v4
	s_cbranch_execz .LBB190_1710
; %bb.1705:
	s_mov_b32 s8, 0
	s_mov_b32 s9, exec_lo
                                        ; implicit-def: $vgpr1
	v_cmpx_lt_u32_e32 0x37ffffff, v4
	s_xor_b32 s9, exec_lo, s9
	s_cbranch_execz .LBB190_2035
; %bb.1706:
	v_bfe_u32 v1, v4, 21, 1
	s_mov_b32 s8, exec_lo
	s_delay_alu instid0(VALU_DEP_1) | instskip(NEXT) | instid1(VALU_DEP_1)
	v_add3_u32 v1, v4, v1, 0x88fffff
                                        ; implicit-def: $vgpr4
	v_lshrrev_b32_e32 v1, 21, v1
	s_and_not1_saveexec_b32 s9, s9
	s_cbranch_execnz .LBB190_2036
.LBB190_1707:
	s_or_b32 exec_lo, exec_lo, s9
	v_mov_b32_e32 v5, 0
	s_and_saveexec_b32 s9, s8
.LBB190_1708:
	v_mov_b32_e32 v5, v1
.LBB190_1709:
	s_or_b32 exec_lo, exec_lo, s9
.LBB190_1710:
	s_delay_alu instid0(SALU_CYCLE_1)
	s_or_b32 exec_lo, exec_lo, s7
	s_mov_b32 s7, 0
	global_store_b8 v[2:3], v5, off
.LBB190_1711:
	s_and_b32 vcc_lo, exec_lo, s7
	s_cbranch_vccz .LBB190_1721
; %bb.1712:
	s_wait_xcnt 0x0
	v_cndmask_b32_e64 v4, 0, 1.0, s1
	s_mov_b32 s7, exec_lo
                                        ; implicit-def: $vgpr1
	s_delay_alu instid0(VALU_DEP_1)
	v_cmpx_gt_u32_e32 0x43f00000, v4
	s_xor_b32 s7, exec_lo, s7
	s_cbranch_execz .LBB190_1718
; %bb.1713:
	s_mov_b32 s8, exec_lo
                                        ; implicit-def: $vgpr1
	v_cmpx_lt_u32_e32 0x3c7fffff, v4
	s_xor_b32 s8, exec_lo, s8
; %bb.1714:
	v_bfe_u32 v1, v4, 20, 1
	s_delay_alu instid0(VALU_DEP_1) | instskip(NEXT) | instid1(VALU_DEP_1)
	v_add3_u32 v1, v4, v1, 0x407ffff
	v_and_b32_e32 v4, 0xff00000, v1
	v_lshrrev_b32_e32 v1, 20, v1
	s_delay_alu instid0(VALU_DEP_2) | instskip(NEXT) | instid1(VALU_DEP_2)
	v_cmp_ne_u32_e32 vcc_lo, 0x7f00000, v4
                                        ; implicit-def: $vgpr4
	v_cndmask_b32_e32 v1, 0x7e, v1, vcc_lo
; %bb.1715:
	s_and_not1_saveexec_b32 s8, s8
; %bb.1716:
	v_add_f32_e32 v1, 0x46800000, v4
; %bb.1717:
	s_or_b32 exec_lo, exec_lo, s8
                                        ; implicit-def: $vgpr4
.LBB190_1718:
	s_and_not1_saveexec_b32 s7, s7
; %bb.1719:
	v_mov_b32_e32 v1, 0x7f
	v_cmp_lt_u32_e32 vcc_lo, 0x7f800000, v4
	s_delay_alu instid0(VALU_DEP_2)
	v_cndmask_b32_e32 v1, 0x7e, v1, vcc_lo
; %bb.1720:
	s_or_b32 exec_lo, exec_lo, s7
	global_store_b8 v[2:3], v1, off
.LBB190_1721:
	s_mov_b32 s7, 0
.LBB190_1722:
	s_delay_alu instid0(SALU_CYCLE_1)
	s_and_not1_b32 vcc_lo, exec_lo, s7
	s_cbranch_vccnz .LBB190_1732
; %bb.1723:
	s_wait_xcnt 0x0
	v_cndmask_b32_e64 v4, 0, 1.0, s1
	s_mov_b32 s7, exec_lo
                                        ; implicit-def: $vgpr1
	s_delay_alu instid0(VALU_DEP_1)
	v_cmpx_gt_u32_e32 0x47800000, v4
	s_xor_b32 s7, exec_lo, s7
	s_cbranch_execz .LBB190_1729
; %bb.1724:
	s_mov_b32 s8, exec_lo
                                        ; implicit-def: $vgpr1
	v_cmpx_lt_u32_e32 0x387fffff, v4
	s_xor_b32 s8, exec_lo, s8
; %bb.1725:
	v_bfe_u32 v1, v4, 21, 1
	s_delay_alu instid0(VALU_DEP_1) | instskip(NEXT) | instid1(VALU_DEP_1)
	v_add3_u32 v1, v4, v1, 0x80fffff
                                        ; implicit-def: $vgpr4
	v_lshrrev_b32_e32 v1, 21, v1
; %bb.1726:
	s_and_not1_saveexec_b32 s8, s8
; %bb.1727:
	v_add_f32_e32 v1, 0x43000000, v4
; %bb.1728:
	s_or_b32 exec_lo, exec_lo, s8
                                        ; implicit-def: $vgpr4
.LBB190_1729:
	s_and_not1_saveexec_b32 s7, s7
; %bb.1730:
	v_mov_b32_e32 v1, 0x7f
	v_cmp_lt_u32_e32 vcc_lo, 0x7f800000, v4
	s_delay_alu instid0(VALU_DEP_2)
	v_cndmask_b32_e32 v1, 0x7c, v1, vcc_lo
; %bb.1731:
	s_or_b32 exec_lo, exec_lo, s7
	global_store_b8 v[2:3], v1, off
.LBB190_1732:
	s_mov_b32 s7, 0
	s_mov_b32 s8, -1
.LBB190_1733:
	s_and_not1_b32 vcc_lo, exec_lo, s7
	s_mov_b32 s7, 0
	s_cbranch_vccnz .LBB190_1740
; %bb.1734:
	s_cmp_gt_i32 s6, 14
	s_mov_b32 s7, -1
	s_cbranch_scc0 .LBB190_1738
; %bb.1735:
	s_cmp_eq_u32 s6, 15
	s_mov_b32 s2, -1
	s_cbranch_scc0 .LBB190_1737
; %bb.1736:
	s_wait_xcnt 0x0
	v_cndmask_b32_e64 v1, 0, 1.0, s1
	s_mov_b32 s2, 0
	s_mov_b32 s8, -1
	s_delay_alu instid0(VALU_DEP_1) | instskip(NEXT) | instid1(VALU_DEP_1)
	v_bfe_u32 v4, v1, 16, 1
	v_add3_u32 v1, v1, v4, 0x7fff
	global_store_d16_hi_b16 v[2:3], v1, off
.LBB190_1737:
	s_mov_b32 s7, 0
.LBB190_1738:
	s_delay_alu instid0(SALU_CYCLE_1)
	s_and_b32 vcc_lo, exec_lo, s7
	s_mov_b32 s7, 0
	s_cbranch_vccz .LBB190_1740
; %bb.1739:
	s_cmp_lg_u32 s6, 11
	s_mov_b32 s7, -1
	s_cselect_b32 s2, -1, 0
.LBB190_1740:
	s_delay_alu instid0(SALU_CYCLE_1)
	s_and_b32 vcc_lo, exec_lo, s2
	s_cbranch_vccnz .LBB190_2034
; %bb.1741:
	s_and_not1_b32 vcc_lo, exec_lo, s7
	s_cbranch_vccnz .LBB190_1743
.LBB190_1742:
	s_wait_xcnt 0x0
	v_cndmask_b32_e64 v1, 0, 1, s1
	s_mov_b32 s8, -1
	global_store_b8 v[2:3], v1, off
.LBB190_1743:
	s_mov_b32 s2, 0
	s_branch .LBB190_1745
.LBB190_1744:
	s_mov_b32 s2, -1
	s_mov_b32 s8, 0
.LBB190_1745:
	s_and_b32 vcc_lo, exec_lo, s2
	s_cbranch_vccz .LBB190_1784
; %bb.1746:
	s_and_b32 s2, 0xffff, s16
	s_mov_b32 s6, -1
	s_cmp_lt_i32 s2, 5
	s_cbranch_scc1 .LBB190_1767
; %bb.1747:
	s_cmp_lt_i32 s2, 8
	s_cbranch_scc1 .LBB190_1757
; %bb.1748:
	;; [unrolled: 3-line block ×3, first 2 shown]
	s_cmp_gt_i32 s2, 9
	s_cbranch_scc0 .LBB190_1751
; %bb.1750:
	s_wait_xcnt 0x0
	v_cndmask_b32_e64 v1, 0, 1, s1
	v_mov_b32_e32 v12, 0
	s_mov_b32 s6, 0
	s_delay_alu instid0(VALU_DEP_2) | instskip(NEXT) | instid1(VALU_DEP_2)
	v_cvt_f64_u32_e32 v[10:11], v1
	v_mov_b32_e32 v13, v12
	global_store_b128 v[2:3], v[10:13], off
.LBB190_1751:
	s_and_not1_b32 vcc_lo, exec_lo, s6
	s_cbranch_vccnz .LBB190_1753
; %bb.1752:
	s_wait_xcnt 0x0
	v_cndmask_b32_e64 v4, 0, 1.0, s1
	v_mov_b32_e32 v5, 0
	global_store_b64 v[2:3], v[4:5], off
.LBB190_1753:
	s_mov_b32 s6, 0
.LBB190_1754:
	s_delay_alu instid0(SALU_CYCLE_1)
	s_and_not1_b32 vcc_lo, exec_lo, s6
	s_cbranch_vccnz .LBB190_1756
; %bb.1755:
	s_wait_xcnt 0x0
	v_cndmask_b32_e64 v1, 0, 1.0, s1
	s_delay_alu instid0(VALU_DEP_1) | instskip(NEXT) | instid1(VALU_DEP_1)
	v_cvt_f16_f32_e32 v1, v1
	v_and_b32_e32 v1, 0xffff, v1
	global_store_b32 v[2:3], v1, off
.LBB190_1756:
	s_mov_b32 s6, 0
.LBB190_1757:
	s_delay_alu instid0(SALU_CYCLE_1)
	s_and_not1_b32 vcc_lo, exec_lo, s6
	s_cbranch_vccnz .LBB190_1766
; %bb.1758:
	s_cmp_lt_i32 s2, 6
	s_mov_b32 s6, -1
	s_cbranch_scc1 .LBB190_1764
; %bb.1759:
	s_cmp_gt_i32 s2, 6
	s_cbranch_scc0 .LBB190_1761
; %bb.1760:
	s_wait_xcnt 0x0
	v_cndmask_b32_e64 v1, 0, 1, s1
	s_mov_b32 s6, 0
	s_delay_alu instid0(VALU_DEP_1)
	v_cvt_f64_u32_e32 v[4:5], v1
	global_store_b64 v[2:3], v[4:5], off
.LBB190_1761:
	s_and_not1_b32 vcc_lo, exec_lo, s6
	s_cbranch_vccnz .LBB190_1763
; %bb.1762:
	s_wait_xcnt 0x0
	v_cndmask_b32_e64 v1, 0, 1.0, s1
	global_store_b32 v[2:3], v1, off
.LBB190_1763:
	s_mov_b32 s6, 0
.LBB190_1764:
	s_delay_alu instid0(SALU_CYCLE_1)
	s_and_not1_b32 vcc_lo, exec_lo, s6
	s_cbranch_vccnz .LBB190_1766
; %bb.1765:
	s_wait_xcnt 0x0
	v_cndmask_b32_e64 v1, 0, 1.0, s1
	s_delay_alu instid0(VALU_DEP_1)
	v_cvt_f16_f32_e32 v1, v1
	global_store_b16 v[2:3], v1, off
.LBB190_1766:
	s_mov_b32 s6, 0
.LBB190_1767:
	s_delay_alu instid0(SALU_CYCLE_1)
	s_and_not1_b32 vcc_lo, exec_lo, s6
	s_cbranch_vccnz .LBB190_1783
; %bb.1768:
	s_cmp_lt_i32 s2, 2
	s_mov_b32 s6, -1
	s_cbranch_scc1 .LBB190_1778
; %bb.1769:
	s_cmp_lt_i32 s2, 3
	s_cbranch_scc1 .LBB190_1775
; %bb.1770:
	s_cmp_gt_i32 s2, 3
	s_cbranch_scc0 .LBB190_1772
; %bb.1771:
	s_mov_b32 s6, 0
	s_wait_xcnt 0x0
	v_cndmask_b32_e64 v4, 0, 1, s1
	v_mov_b32_e32 v5, s6
	global_store_b64 v[2:3], v[4:5], off
.LBB190_1772:
	s_and_not1_b32 vcc_lo, exec_lo, s6
	s_cbranch_vccnz .LBB190_1774
; %bb.1773:
	s_wait_xcnt 0x0
	v_cndmask_b32_e64 v1, 0, 1, s1
	global_store_b32 v[2:3], v1, off
.LBB190_1774:
	s_mov_b32 s6, 0
.LBB190_1775:
	s_delay_alu instid0(SALU_CYCLE_1)
	s_and_not1_b32 vcc_lo, exec_lo, s6
	s_cbranch_vccnz .LBB190_1777
; %bb.1776:
	s_wait_xcnt 0x0
	v_cndmask_b32_e64 v1, 0, 1, s1
	global_store_b16 v[2:3], v1, off
.LBB190_1777:
	s_mov_b32 s6, 0
.LBB190_1778:
	s_delay_alu instid0(SALU_CYCLE_1)
	s_and_not1_b32 vcc_lo, exec_lo, s6
	s_cbranch_vccnz .LBB190_1783
; %bb.1779:
	s_wait_xcnt 0x0
	v_cndmask_b32_e64 v1, 0, 1, s1
	s_cmp_gt_i32 s2, 0
	s_mov_b32 s1, -1
	s_cbranch_scc0 .LBB190_1781
; %bb.1780:
	s_mov_b32 s1, 0
	global_store_b8 v[2:3], v1, off
.LBB190_1781:
	s_and_not1_b32 vcc_lo, exec_lo, s1
	s_cbranch_vccnz .LBB190_1783
; %bb.1782:
	global_store_b8 v[2:3], v1, off
.LBB190_1783:
	s_mov_b32 s8, -1
.LBB190_1784:
	s_delay_alu instid0(SALU_CYCLE_1)
	s_and_not1_b32 vcc_lo, exec_lo, s8
	s_cbranch_vccnz .LBB190_1980
; %bb.1785:
	v_cmp_eq_f16_e32 vcc_lo, s11, v7
	s_cmp_lt_i32 s16, 11
	s_wait_xcnt 0x0
	v_cndmask_b32_e64 v1, 0, 1, vcc_lo
	v_cmp_neq_f16_e32 vcc_lo, s11, v7
	v_cndmask_b32_e64 v2, 0, 1, vcc_lo
	s_delay_alu instid0(VALU_DEP_1) | instskip(NEXT) | instid1(VALU_DEP_1)
	v_dual_add_nc_u32 v0, s3, v0 :: v_dual_cndmask_b32 v2, v2, v1, s0
	v_dual_ashrrev_i32 v1, 31, v0 :: v_dual_bitop2_b32 v4, 1, v2 bitop3:0x40
	s_delay_alu instid0(VALU_DEP_1) | instskip(NEXT) | instid1(VALU_DEP_2)
	v_add_nc_u64_e32 v[2:3], s[4:5], v[0:1]
	v_cmp_eq_u32_e64 s1, 1, v4
	s_cbranch_scc1 .LBB190_1863
; %bb.1786:
	s_and_b32 s6, 0xffff, s16
	s_mov_b32 s9, -1
	s_mov_b32 s7, 0
	s_cmp_gt_i32 s6, 25
	s_mov_b32 s8, 0
	s_mov_b32 s2, 0
	s_cbranch_scc0 .LBB190_1819
; %bb.1787:
	s_cmp_gt_i32 s6, 28
	s_cbranch_scc0 .LBB190_1802
; %bb.1788:
	s_cmp_gt_i32 s6, 43
	;; [unrolled: 3-line block ×3, first 2 shown]
	s_cbranch_scc0 .LBB190_1792
; %bb.1790:
	s_mov_b32 s2, -1
	s_mov_b32 s9, 0
	s_cmp_eq_u32 s6, 46
	s_cbranch_scc0 .LBB190_1792
; %bb.1791:
	v_cndmask_b32_e64 v1, 0, 1.0, s1
	s_mov_b32 s2, 0
	s_mov_b32 s8, -1
	s_delay_alu instid0(VALU_DEP_1) | instskip(NEXT) | instid1(VALU_DEP_1)
	v_bfe_u32 v4, v1, 16, 1
	v_add3_u32 v1, v1, v4, 0x7fff
	s_delay_alu instid0(VALU_DEP_1)
	v_lshrrev_b32_e32 v1, 16, v1
	global_store_b32 v[2:3], v1, off
.LBB190_1792:
	s_and_b32 vcc_lo, exec_lo, s9
	s_cbranch_vccz .LBB190_1797
; %bb.1793:
	s_cmp_eq_u32 s6, 44
	s_mov_b32 s2, -1
	s_cbranch_scc0 .LBB190_1797
; %bb.1794:
	v_cndmask_b32_e64 v5, 0, 1.0, s1
	s_mov_b32 s8, exec_lo
	s_wait_xcnt 0x0
	s_delay_alu instid0(VALU_DEP_1) | instskip(NEXT) | instid1(VALU_DEP_1)
	v_dual_mov_b32 v4, 0xff :: v_dual_lshrrev_b32 v1, 23, v5
	v_cmpx_ne_u32_e32 0xff, v1
; %bb.1795:
	v_and_b32_e32 v4, 0x400000, v5
	v_and_or_b32 v5, 0x3fffff, v5, v1
	s_delay_alu instid0(VALU_DEP_2) | instskip(NEXT) | instid1(VALU_DEP_2)
	v_cmp_ne_u32_e32 vcc_lo, 0, v4
	v_cmp_ne_u32_e64 s2, 0, v5
	s_and_b32 s2, vcc_lo, s2
	s_delay_alu instid0(SALU_CYCLE_1) | instskip(NEXT) | instid1(VALU_DEP_1)
	v_cndmask_b32_e64 v4, 0, 1, s2
	v_add_nc_u32_e32 v4, v1, v4
; %bb.1796:
	s_or_b32 exec_lo, exec_lo, s8
	s_mov_b32 s2, 0
	s_mov_b32 s8, -1
	global_store_b8 v[2:3], v4, off
.LBB190_1797:
	s_mov_b32 s9, 0
.LBB190_1798:
	s_delay_alu instid0(SALU_CYCLE_1)
	s_and_b32 vcc_lo, exec_lo, s9
	s_cbranch_vccz .LBB190_1801
; %bb.1799:
	s_cmp_eq_u32 s6, 29
	s_mov_b32 s2, -1
	s_cbranch_scc0 .LBB190_1801
; %bb.1800:
	s_mov_b32 s2, 0
	s_wait_xcnt 0x0
	v_cndmask_b32_e64 v4, 0, 1, s1
	v_mov_b32_e32 v5, s2
	s_mov_b32 s8, -1
	global_store_b64 v[2:3], v[4:5], off
.LBB190_1801:
	s_mov_b32 s9, 0
.LBB190_1802:
	s_delay_alu instid0(SALU_CYCLE_1)
	s_and_b32 vcc_lo, exec_lo, s9
	s_cbranch_vccz .LBB190_1818
; %bb.1803:
	s_cmp_lt_i32 s6, 27
	s_mov_b32 s8, -1
	s_cbranch_scc1 .LBB190_1809
; %bb.1804:
	s_cmp_gt_i32 s6, 27
	s_cbranch_scc0 .LBB190_1806
; %bb.1805:
	s_wait_xcnt 0x0
	v_cndmask_b32_e64 v1, 0, 1, s1
	s_mov_b32 s8, 0
	global_store_b32 v[2:3], v1, off
.LBB190_1806:
	s_and_not1_b32 vcc_lo, exec_lo, s8
	s_cbranch_vccnz .LBB190_1808
; %bb.1807:
	s_wait_xcnt 0x0
	v_cndmask_b32_e64 v1, 0, 1, s1
	global_store_b16 v[2:3], v1, off
.LBB190_1808:
	s_mov_b32 s8, 0
.LBB190_1809:
	s_delay_alu instid0(SALU_CYCLE_1)
	s_and_not1_b32 vcc_lo, exec_lo, s8
	s_cbranch_vccnz .LBB190_1817
; %bb.1810:
	s_wait_xcnt 0x0
	v_cndmask_b32_e64 v4, 0, 1.0, s1
	v_mov_b32_e32 v5, 0x80
	s_mov_b32 s8, exec_lo
	s_delay_alu instid0(VALU_DEP_2)
	v_cmpx_gt_u32_e32 0x43800000, v4
	s_cbranch_execz .LBB190_1816
; %bb.1811:
	s_mov_b32 s9, 0
	s_mov_b32 s10, exec_lo
                                        ; implicit-def: $vgpr1
	v_cmpx_lt_u32_e32 0x3bffffff, v4
	s_xor_b32 s10, exec_lo, s10
	s_cbranch_execz .LBB190_2037
; %bb.1812:
	v_bfe_u32 v1, v4, 20, 1
	s_mov_b32 s9, exec_lo
	s_delay_alu instid0(VALU_DEP_1) | instskip(NEXT) | instid1(VALU_DEP_1)
	v_add3_u32 v1, v4, v1, 0x487ffff
                                        ; implicit-def: $vgpr4
	v_lshrrev_b32_e32 v1, 20, v1
	s_and_not1_saveexec_b32 s10, s10
	s_cbranch_execnz .LBB190_2038
.LBB190_1813:
	s_or_b32 exec_lo, exec_lo, s10
	v_mov_b32_e32 v5, 0
	s_and_saveexec_b32 s10, s9
.LBB190_1814:
	v_mov_b32_e32 v5, v1
.LBB190_1815:
	s_or_b32 exec_lo, exec_lo, s10
.LBB190_1816:
	s_delay_alu instid0(SALU_CYCLE_1)
	s_or_b32 exec_lo, exec_lo, s8
	global_store_b8 v[2:3], v5, off
.LBB190_1817:
	s_mov_b32 s8, -1
.LBB190_1818:
	s_mov_b32 s9, 0
.LBB190_1819:
	s_delay_alu instid0(SALU_CYCLE_1)
	s_and_b32 vcc_lo, exec_lo, s9
	s_cbranch_vccz .LBB190_1859
; %bb.1820:
	s_cmp_gt_i32 s6, 22
	s_mov_b32 s7, -1
	s_cbranch_scc0 .LBB190_1852
; %bb.1821:
	s_cmp_lt_i32 s6, 24
	s_cbranch_scc1 .LBB190_1841
; %bb.1822:
	s_cmp_gt_i32 s6, 24
	s_cbranch_scc0 .LBB190_1830
; %bb.1823:
	s_wait_xcnt 0x0
	v_cndmask_b32_e64 v4, 0, 1.0, s1
	v_mov_b32_e32 v5, 0x80
	s_mov_b32 s7, exec_lo
	s_delay_alu instid0(VALU_DEP_2)
	v_cmpx_gt_u32_e32 0x47800000, v4
	s_cbranch_execz .LBB190_1829
; %bb.1824:
	s_mov_b32 s8, 0
	s_mov_b32 s9, exec_lo
                                        ; implicit-def: $vgpr1
	v_cmpx_lt_u32_e32 0x37ffffff, v4
	s_xor_b32 s9, exec_lo, s9
	s_cbranch_execz .LBB190_2040
; %bb.1825:
	v_bfe_u32 v1, v4, 21, 1
	s_mov_b32 s8, exec_lo
	s_delay_alu instid0(VALU_DEP_1) | instskip(NEXT) | instid1(VALU_DEP_1)
	v_add3_u32 v1, v4, v1, 0x88fffff
                                        ; implicit-def: $vgpr4
	v_lshrrev_b32_e32 v1, 21, v1
	s_and_not1_saveexec_b32 s9, s9
	s_cbranch_execnz .LBB190_2041
.LBB190_1826:
	s_or_b32 exec_lo, exec_lo, s9
	v_mov_b32_e32 v5, 0
	s_and_saveexec_b32 s9, s8
.LBB190_1827:
	v_mov_b32_e32 v5, v1
.LBB190_1828:
	s_or_b32 exec_lo, exec_lo, s9
.LBB190_1829:
	s_delay_alu instid0(SALU_CYCLE_1)
	s_or_b32 exec_lo, exec_lo, s7
	s_mov_b32 s7, 0
	global_store_b8 v[2:3], v5, off
.LBB190_1830:
	s_and_b32 vcc_lo, exec_lo, s7
	s_cbranch_vccz .LBB190_1840
; %bb.1831:
	s_wait_xcnt 0x0
	v_cndmask_b32_e64 v4, 0, 1.0, s1
	s_mov_b32 s7, exec_lo
                                        ; implicit-def: $vgpr1
	s_delay_alu instid0(VALU_DEP_1)
	v_cmpx_gt_u32_e32 0x43f00000, v4
	s_xor_b32 s7, exec_lo, s7
	s_cbranch_execz .LBB190_1837
; %bb.1832:
	s_mov_b32 s8, exec_lo
                                        ; implicit-def: $vgpr1
	v_cmpx_lt_u32_e32 0x3c7fffff, v4
	s_xor_b32 s8, exec_lo, s8
; %bb.1833:
	v_bfe_u32 v1, v4, 20, 1
	s_delay_alu instid0(VALU_DEP_1) | instskip(NEXT) | instid1(VALU_DEP_1)
	v_add3_u32 v1, v4, v1, 0x407ffff
	v_and_b32_e32 v4, 0xff00000, v1
	v_lshrrev_b32_e32 v1, 20, v1
	s_delay_alu instid0(VALU_DEP_2) | instskip(NEXT) | instid1(VALU_DEP_2)
	v_cmp_ne_u32_e32 vcc_lo, 0x7f00000, v4
                                        ; implicit-def: $vgpr4
	v_cndmask_b32_e32 v1, 0x7e, v1, vcc_lo
; %bb.1834:
	s_and_not1_saveexec_b32 s8, s8
; %bb.1835:
	v_add_f32_e32 v1, 0x46800000, v4
; %bb.1836:
	s_or_b32 exec_lo, exec_lo, s8
                                        ; implicit-def: $vgpr4
.LBB190_1837:
	s_and_not1_saveexec_b32 s7, s7
; %bb.1838:
	v_mov_b32_e32 v1, 0x7f
	v_cmp_lt_u32_e32 vcc_lo, 0x7f800000, v4
	s_delay_alu instid0(VALU_DEP_2)
	v_cndmask_b32_e32 v1, 0x7e, v1, vcc_lo
; %bb.1839:
	s_or_b32 exec_lo, exec_lo, s7
	global_store_b8 v[2:3], v1, off
.LBB190_1840:
	s_mov_b32 s7, 0
.LBB190_1841:
	s_delay_alu instid0(SALU_CYCLE_1)
	s_and_not1_b32 vcc_lo, exec_lo, s7
	s_cbranch_vccnz .LBB190_1851
; %bb.1842:
	s_wait_xcnt 0x0
	v_cndmask_b32_e64 v4, 0, 1.0, s1
	s_mov_b32 s7, exec_lo
                                        ; implicit-def: $vgpr1
	s_delay_alu instid0(VALU_DEP_1)
	v_cmpx_gt_u32_e32 0x47800000, v4
	s_xor_b32 s7, exec_lo, s7
	s_cbranch_execz .LBB190_1848
; %bb.1843:
	s_mov_b32 s8, exec_lo
                                        ; implicit-def: $vgpr1
	v_cmpx_lt_u32_e32 0x387fffff, v4
	s_xor_b32 s8, exec_lo, s8
; %bb.1844:
	v_bfe_u32 v1, v4, 21, 1
	s_delay_alu instid0(VALU_DEP_1) | instskip(NEXT) | instid1(VALU_DEP_1)
	v_add3_u32 v1, v4, v1, 0x80fffff
                                        ; implicit-def: $vgpr4
	v_lshrrev_b32_e32 v1, 21, v1
; %bb.1845:
	s_and_not1_saveexec_b32 s8, s8
; %bb.1846:
	v_add_f32_e32 v1, 0x43000000, v4
; %bb.1847:
	s_or_b32 exec_lo, exec_lo, s8
                                        ; implicit-def: $vgpr4
.LBB190_1848:
	s_and_not1_saveexec_b32 s7, s7
; %bb.1849:
	v_mov_b32_e32 v1, 0x7f
	v_cmp_lt_u32_e32 vcc_lo, 0x7f800000, v4
	s_delay_alu instid0(VALU_DEP_2)
	v_cndmask_b32_e32 v1, 0x7c, v1, vcc_lo
; %bb.1850:
	s_or_b32 exec_lo, exec_lo, s7
	global_store_b8 v[2:3], v1, off
.LBB190_1851:
	s_mov_b32 s7, 0
	s_mov_b32 s8, -1
.LBB190_1852:
	s_and_not1_b32 vcc_lo, exec_lo, s7
	s_mov_b32 s7, 0
	s_cbranch_vccnz .LBB190_1859
; %bb.1853:
	s_cmp_gt_i32 s6, 14
	s_mov_b32 s7, -1
	s_cbranch_scc0 .LBB190_1857
; %bb.1854:
	s_cmp_eq_u32 s6, 15
	s_mov_b32 s2, -1
	s_cbranch_scc0 .LBB190_1856
; %bb.1855:
	s_wait_xcnt 0x0
	v_cndmask_b32_e64 v1, 0, 1.0, s1
	s_mov_b32 s2, 0
	s_mov_b32 s8, -1
	s_delay_alu instid0(VALU_DEP_1) | instskip(NEXT) | instid1(VALU_DEP_1)
	v_bfe_u32 v4, v1, 16, 1
	v_add3_u32 v1, v1, v4, 0x7fff
	global_store_d16_hi_b16 v[2:3], v1, off
.LBB190_1856:
	s_mov_b32 s7, 0
.LBB190_1857:
	s_delay_alu instid0(SALU_CYCLE_1)
	s_and_b32 vcc_lo, exec_lo, s7
	s_mov_b32 s7, 0
	s_cbranch_vccz .LBB190_1859
; %bb.1858:
	s_cmp_lg_u32 s6, 11
	s_mov_b32 s7, -1
	s_cselect_b32 s2, -1, 0
.LBB190_1859:
	s_delay_alu instid0(SALU_CYCLE_1)
	s_and_b32 vcc_lo, exec_lo, s2
	s_cbranch_vccnz .LBB190_2039
; %bb.1860:
	s_and_not1_b32 vcc_lo, exec_lo, s7
	s_cbranch_vccnz .LBB190_1862
.LBB190_1861:
	s_wait_xcnt 0x0
	v_cndmask_b32_e64 v1, 0, 1, s1
	s_mov_b32 s8, -1
	global_store_b8 v[2:3], v1, off
.LBB190_1862:
	s_mov_b32 s2, 0
	s_branch .LBB190_1864
.LBB190_1863:
	s_mov_b32 s2, -1
	s_mov_b32 s8, 0
.LBB190_1864:
	s_and_b32 vcc_lo, exec_lo, s2
	s_cbranch_vccz .LBB190_1903
; %bb.1865:
	s_and_b32 s2, 0xffff, s16
	s_mov_b32 s6, -1
	s_cmp_lt_i32 s2, 5
	s_cbranch_scc1 .LBB190_1886
; %bb.1866:
	s_cmp_lt_i32 s2, 8
	s_cbranch_scc1 .LBB190_1876
; %bb.1867:
	;; [unrolled: 3-line block ×3, first 2 shown]
	s_cmp_gt_i32 s2, 9
	s_cbranch_scc0 .LBB190_1870
; %bb.1869:
	s_wait_xcnt 0x0
	v_cndmask_b32_e64 v1, 0, 1, s1
	v_mov_b32_e32 v6, 0
	s_mov_b32 s6, 0
	s_delay_alu instid0(VALU_DEP_2) | instskip(NEXT) | instid1(VALU_DEP_2)
	v_cvt_f64_u32_e32 v[4:5], v1
	v_mov_b32_e32 v7, v6
	global_store_b128 v[2:3], v[4:7], off
.LBB190_1870:
	s_and_not1_b32 vcc_lo, exec_lo, s6
	s_cbranch_vccnz .LBB190_1872
; %bb.1871:
	s_wait_xcnt 0x0
	v_cndmask_b32_e64 v4, 0, 1.0, s1
	v_mov_b32_e32 v5, 0
	global_store_b64 v[2:3], v[4:5], off
.LBB190_1872:
	s_mov_b32 s6, 0
.LBB190_1873:
	s_delay_alu instid0(SALU_CYCLE_1)
	s_and_not1_b32 vcc_lo, exec_lo, s6
	s_cbranch_vccnz .LBB190_1875
; %bb.1874:
	s_wait_xcnt 0x0
	v_cndmask_b32_e64 v1, 0, 1.0, s1
	s_delay_alu instid0(VALU_DEP_1) | instskip(NEXT) | instid1(VALU_DEP_1)
	v_cvt_f16_f32_e32 v1, v1
	v_and_b32_e32 v1, 0xffff, v1
	global_store_b32 v[2:3], v1, off
.LBB190_1875:
	s_mov_b32 s6, 0
.LBB190_1876:
	s_delay_alu instid0(SALU_CYCLE_1)
	s_and_not1_b32 vcc_lo, exec_lo, s6
	s_cbranch_vccnz .LBB190_1885
; %bb.1877:
	s_cmp_lt_i32 s2, 6
	s_mov_b32 s6, -1
	s_cbranch_scc1 .LBB190_1883
; %bb.1878:
	s_cmp_gt_i32 s2, 6
	s_cbranch_scc0 .LBB190_1880
; %bb.1879:
	s_wait_xcnt 0x0
	v_cndmask_b32_e64 v1, 0, 1, s1
	s_mov_b32 s6, 0
	s_delay_alu instid0(VALU_DEP_1)
	v_cvt_f64_u32_e32 v[4:5], v1
	global_store_b64 v[2:3], v[4:5], off
.LBB190_1880:
	s_and_not1_b32 vcc_lo, exec_lo, s6
	s_cbranch_vccnz .LBB190_1882
; %bb.1881:
	s_wait_xcnt 0x0
	v_cndmask_b32_e64 v1, 0, 1.0, s1
	global_store_b32 v[2:3], v1, off
.LBB190_1882:
	s_mov_b32 s6, 0
.LBB190_1883:
	s_delay_alu instid0(SALU_CYCLE_1)
	s_and_not1_b32 vcc_lo, exec_lo, s6
	s_cbranch_vccnz .LBB190_1885
; %bb.1884:
	s_wait_xcnt 0x0
	v_cndmask_b32_e64 v1, 0, 1.0, s1
	s_delay_alu instid0(VALU_DEP_1)
	v_cvt_f16_f32_e32 v1, v1
	global_store_b16 v[2:3], v1, off
.LBB190_1885:
	s_mov_b32 s6, 0
.LBB190_1886:
	s_delay_alu instid0(SALU_CYCLE_1)
	s_and_not1_b32 vcc_lo, exec_lo, s6
	s_cbranch_vccnz .LBB190_1902
; %bb.1887:
	s_cmp_lt_i32 s2, 2
	s_mov_b32 s6, -1
	s_cbranch_scc1 .LBB190_1897
; %bb.1888:
	s_cmp_lt_i32 s2, 3
	s_cbranch_scc1 .LBB190_1894
; %bb.1889:
	s_cmp_gt_i32 s2, 3
	s_cbranch_scc0 .LBB190_1891
; %bb.1890:
	s_mov_b32 s6, 0
	s_wait_xcnt 0x0
	v_cndmask_b32_e64 v4, 0, 1, s1
	v_mov_b32_e32 v5, s6
	global_store_b64 v[2:3], v[4:5], off
.LBB190_1891:
	s_and_not1_b32 vcc_lo, exec_lo, s6
	s_cbranch_vccnz .LBB190_1893
; %bb.1892:
	s_wait_xcnt 0x0
	v_cndmask_b32_e64 v1, 0, 1, s1
	global_store_b32 v[2:3], v1, off
.LBB190_1893:
	s_mov_b32 s6, 0
.LBB190_1894:
	s_delay_alu instid0(SALU_CYCLE_1)
	s_and_not1_b32 vcc_lo, exec_lo, s6
	s_cbranch_vccnz .LBB190_1896
; %bb.1895:
	s_wait_xcnt 0x0
	v_cndmask_b32_e64 v1, 0, 1, s1
	global_store_b16 v[2:3], v1, off
.LBB190_1896:
	s_mov_b32 s6, 0
.LBB190_1897:
	s_delay_alu instid0(SALU_CYCLE_1)
	s_and_not1_b32 vcc_lo, exec_lo, s6
	s_cbranch_vccnz .LBB190_1902
; %bb.1898:
	s_wait_xcnt 0x0
	v_cndmask_b32_e64 v1, 0, 1, s1
	s_cmp_gt_i32 s2, 0
	s_mov_b32 s1, -1
	s_cbranch_scc0 .LBB190_1900
; %bb.1899:
	s_mov_b32 s1, 0
	global_store_b8 v[2:3], v1, off
.LBB190_1900:
	s_and_not1_b32 vcc_lo, exec_lo, s1
	s_cbranch_vccnz .LBB190_1902
; %bb.1901:
	global_store_b8 v[2:3], v1, off
.LBB190_1902:
	s_mov_b32 s8, -1
.LBB190_1903:
	s_delay_alu instid0(SALU_CYCLE_1)
	s_and_not1_b32 vcc_lo, exec_lo, s8
	s_cbranch_vccnz .LBB190_1980
; %bb.1904:
	v_cmp_eq_f16_e32 vcc_lo, s11, v8
	s_cmp_lt_i32 s16, 11
	s_wait_xcnt 0x0
	v_cndmask_b32_e64 v1, 0, 1, vcc_lo
	v_cmp_neq_f16_e32 vcc_lo, s11, v8
	v_cndmask_b32_e64 v2, 0, 1, vcc_lo
	s_delay_alu instid0(VALU_DEP_1) | instskip(NEXT) | instid1(VALU_DEP_1)
	v_dual_add_nc_u32 v0, s3, v0 :: v_dual_cndmask_b32 v2, v2, v1, s0
	v_dual_ashrrev_i32 v1, 31, v0 :: v_dual_bitop2_b32 v2, 1, v2 bitop3:0x40
	s_delay_alu instid0(VALU_DEP_1) | instskip(NEXT) | instid1(VALU_DEP_2)
	v_add_nc_u64_e32 v[0:1], s[4:5], v[0:1]
	v_cmp_eq_u32_e64 s1, 1, v2
	s_cbranch_scc1 .LBB190_2025
; %bb.1905:
	s_and_b32 s2, 0xffff, s16
	s_mov_b32 s4, -1
	s_mov_b32 s3, 0
	s_cmp_gt_i32 s2, 25
	s_mov_b32 s0, 0
	s_cbranch_scc0 .LBB190_1938
; %bb.1906:
	s_cmp_gt_i32 s2, 28
	s_cbranch_scc0 .LBB190_1922
; %bb.1907:
	s_cmp_gt_i32 s2, 43
	;; [unrolled: 3-line block ×3, first 2 shown]
	s_cbranch_scc0 .LBB190_1912
; %bb.1909:
	s_cmp_eq_u32 s2, 46
	s_mov_b32 s0, -1
	s_cbranch_scc0 .LBB190_1911
; %bb.1910:
	v_cndmask_b32_e64 v2, 0, 1.0, s1
	s_mov_b32 s0, 0
	s_delay_alu instid0(VALU_DEP_1) | instskip(NEXT) | instid1(VALU_DEP_1)
	v_bfe_u32 v3, v2, 16, 1
	v_add3_u32 v2, v2, v3, 0x7fff
	s_delay_alu instid0(VALU_DEP_1)
	v_lshrrev_b32_e32 v2, 16, v2
	global_store_b32 v[0:1], v2, off
.LBB190_1911:
	s_mov_b32 s4, 0
.LBB190_1912:
	s_delay_alu instid0(SALU_CYCLE_1)
	s_and_b32 vcc_lo, exec_lo, s4
	s_cbranch_vccz .LBB190_1917
; %bb.1913:
	s_cmp_eq_u32 s2, 44
	s_mov_b32 s0, -1
	s_cbranch_scc0 .LBB190_1917
; %bb.1914:
	v_cndmask_b32_e64 v4, 0, 1.0, s1
	s_mov_b32 s4, exec_lo
	s_wait_xcnt 0x0
	s_delay_alu instid0(VALU_DEP_1) | instskip(NEXT) | instid1(VALU_DEP_1)
	v_dual_mov_b32 v3, 0xff :: v_dual_lshrrev_b32 v2, 23, v4
	v_cmpx_ne_u32_e32 0xff, v2
; %bb.1915:
	v_and_b32_e32 v3, 0x400000, v4
	v_and_or_b32 v4, 0x3fffff, v4, v2
	s_delay_alu instid0(VALU_DEP_2) | instskip(NEXT) | instid1(VALU_DEP_2)
	v_cmp_ne_u32_e32 vcc_lo, 0, v3
	v_cmp_ne_u32_e64 s0, 0, v4
	s_and_b32 s0, vcc_lo, s0
	s_delay_alu instid0(SALU_CYCLE_1) | instskip(NEXT) | instid1(VALU_DEP_1)
	v_cndmask_b32_e64 v3, 0, 1, s0
	v_add_nc_u32_e32 v3, v2, v3
; %bb.1916:
	s_or_b32 exec_lo, exec_lo, s4
	s_mov_b32 s0, 0
	global_store_b8 v[0:1], v3, off
.LBB190_1917:
	s_mov_b32 s4, 0
.LBB190_1918:
	s_delay_alu instid0(SALU_CYCLE_1)
	s_and_b32 vcc_lo, exec_lo, s4
	s_cbranch_vccz .LBB190_1921
; %bb.1919:
	s_cmp_eq_u32 s2, 29
	s_mov_b32 s0, -1
	s_cbranch_scc0 .LBB190_1921
; %bb.1920:
	s_mov_b32 s0, 0
	s_wait_xcnt 0x0
	v_cndmask_b32_e64 v2, 0, 1, s1
	v_mov_b32_e32 v3, s0
	global_store_b64 v[0:1], v[2:3], off
.LBB190_1921:
	s_mov_b32 s4, 0
.LBB190_1922:
	s_delay_alu instid0(SALU_CYCLE_1)
	s_and_b32 vcc_lo, exec_lo, s4
	s_cbranch_vccz .LBB190_1937
; %bb.1923:
	s_cmp_lt_i32 s2, 27
	s_mov_b32 s4, -1
	s_cbranch_scc1 .LBB190_1929
; %bb.1924:
	s_wait_xcnt 0x0
	v_cndmask_b32_e64 v2, 0, 1, s1
	s_cmp_gt_i32 s2, 27
	s_cbranch_scc0 .LBB190_1926
; %bb.1925:
	s_mov_b32 s4, 0
	global_store_b32 v[0:1], v2, off
.LBB190_1926:
	s_and_not1_b32 vcc_lo, exec_lo, s4
	s_cbranch_vccnz .LBB190_1928
; %bb.1927:
	global_store_b16 v[0:1], v2, off
.LBB190_1928:
	s_mov_b32 s4, 0
.LBB190_1929:
	s_delay_alu instid0(SALU_CYCLE_1)
	s_and_not1_b32 vcc_lo, exec_lo, s4
	s_cbranch_vccnz .LBB190_1937
; %bb.1930:
	s_wait_xcnt 0x0
	v_cndmask_b32_e64 v3, 0, 1.0, s1
	v_mov_b32_e32 v4, 0x80
	s_mov_b32 s4, exec_lo
	s_delay_alu instid0(VALU_DEP_2)
	v_cmpx_gt_u32_e32 0x43800000, v3
	s_cbranch_execz .LBB190_1936
; %bb.1931:
	s_mov_b32 s5, 0
	s_mov_b32 s6, exec_lo
                                        ; implicit-def: $vgpr2
	v_cmpx_lt_u32_e32 0x3bffffff, v3
	s_xor_b32 s6, exec_lo, s6
	s_cbranch_execz .LBB190_2042
; %bb.1932:
	v_bfe_u32 v2, v3, 20, 1
	s_mov_b32 s5, exec_lo
	s_delay_alu instid0(VALU_DEP_1) | instskip(NEXT) | instid1(VALU_DEP_1)
	v_add3_u32 v2, v3, v2, 0x487ffff
                                        ; implicit-def: $vgpr3
	v_lshrrev_b32_e32 v2, 20, v2
	s_and_not1_saveexec_b32 s6, s6
	s_cbranch_execnz .LBB190_2043
.LBB190_1933:
	s_or_b32 exec_lo, exec_lo, s6
	v_mov_b32_e32 v4, 0
	s_and_saveexec_b32 s6, s5
.LBB190_1934:
	v_mov_b32_e32 v4, v2
.LBB190_1935:
	s_or_b32 exec_lo, exec_lo, s6
.LBB190_1936:
	s_delay_alu instid0(SALU_CYCLE_1)
	s_or_b32 exec_lo, exec_lo, s4
	global_store_b8 v[0:1], v4, off
.LBB190_1937:
	s_mov_b32 s4, 0
.LBB190_1938:
	s_delay_alu instid0(SALU_CYCLE_1)
	s_and_b32 vcc_lo, exec_lo, s4
	s_cbranch_vccz .LBB190_1978
; %bb.1939:
	s_cmp_gt_i32 s2, 22
	s_mov_b32 s3, -1
	s_cbranch_scc0 .LBB190_1971
; %bb.1940:
	s_cmp_lt_i32 s2, 24
	s_cbranch_scc1 .LBB190_1960
; %bb.1941:
	s_cmp_gt_i32 s2, 24
	s_cbranch_scc0 .LBB190_1949
; %bb.1942:
	s_wait_xcnt 0x0
	v_cndmask_b32_e64 v3, 0, 1.0, s1
	v_mov_b32_e32 v4, 0x80
	s_mov_b32 s3, exec_lo
	s_delay_alu instid0(VALU_DEP_2)
	v_cmpx_gt_u32_e32 0x47800000, v3
	s_cbranch_execz .LBB190_1948
; %bb.1943:
	s_mov_b32 s4, 0
	s_mov_b32 s5, exec_lo
                                        ; implicit-def: $vgpr2
	v_cmpx_lt_u32_e32 0x37ffffff, v3
	s_xor_b32 s5, exec_lo, s5
	s_cbranch_execz .LBB190_2045
; %bb.1944:
	v_bfe_u32 v2, v3, 21, 1
	s_mov_b32 s4, exec_lo
	s_delay_alu instid0(VALU_DEP_1) | instskip(NEXT) | instid1(VALU_DEP_1)
	v_add3_u32 v2, v3, v2, 0x88fffff
                                        ; implicit-def: $vgpr3
	v_lshrrev_b32_e32 v2, 21, v2
	s_and_not1_saveexec_b32 s5, s5
	s_cbranch_execnz .LBB190_2046
.LBB190_1945:
	s_or_b32 exec_lo, exec_lo, s5
	v_mov_b32_e32 v4, 0
	s_and_saveexec_b32 s5, s4
.LBB190_1946:
	v_mov_b32_e32 v4, v2
.LBB190_1947:
	s_or_b32 exec_lo, exec_lo, s5
.LBB190_1948:
	s_delay_alu instid0(SALU_CYCLE_1)
	s_or_b32 exec_lo, exec_lo, s3
	s_mov_b32 s3, 0
	global_store_b8 v[0:1], v4, off
.LBB190_1949:
	s_and_b32 vcc_lo, exec_lo, s3
	s_cbranch_vccz .LBB190_1959
; %bb.1950:
	s_wait_xcnt 0x0
	v_cndmask_b32_e64 v3, 0, 1.0, s1
	s_mov_b32 s3, exec_lo
                                        ; implicit-def: $vgpr2
	s_delay_alu instid0(VALU_DEP_1)
	v_cmpx_gt_u32_e32 0x43f00000, v3
	s_xor_b32 s3, exec_lo, s3
	s_cbranch_execz .LBB190_1956
; %bb.1951:
	s_mov_b32 s4, exec_lo
                                        ; implicit-def: $vgpr2
	v_cmpx_lt_u32_e32 0x3c7fffff, v3
	s_xor_b32 s4, exec_lo, s4
; %bb.1952:
	v_bfe_u32 v2, v3, 20, 1
	s_delay_alu instid0(VALU_DEP_1) | instskip(NEXT) | instid1(VALU_DEP_1)
	v_add3_u32 v2, v3, v2, 0x407ffff
	v_and_b32_e32 v3, 0xff00000, v2
	v_lshrrev_b32_e32 v2, 20, v2
	s_delay_alu instid0(VALU_DEP_2) | instskip(NEXT) | instid1(VALU_DEP_2)
	v_cmp_ne_u32_e32 vcc_lo, 0x7f00000, v3
                                        ; implicit-def: $vgpr3
	v_cndmask_b32_e32 v2, 0x7e, v2, vcc_lo
; %bb.1953:
	s_and_not1_saveexec_b32 s4, s4
; %bb.1954:
	v_add_f32_e32 v2, 0x46800000, v3
; %bb.1955:
	s_or_b32 exec_lo, exec_lo, s4
                                        ; implicit-def: $vgpr3
.LBB190_1956:
	s_and_not1_saveexec_b32 s3, s3
; %bb.1957:
	v_mov_b32_e32 v2, 0x7f
	v_cmp_lt_u32_e32 vcc_lo, 0x7f800000, v3
	s_delay_alu instid0(VALU_DEP_2)
	v_cndmask_b32_e32 v2, 0x7e, v2, vcc_lo
; %bb.1958:
	s_or_b32 exec_lo, exec_lo, s3
	global_store_b8 v[0:1], v2, off
.LBB190_1959:
	s_mov_b32 s3, 0
.LBB190_1960:
	s_delay_alu instid0(SALU_CYCLE_1)
	s_and_not1_b32 vcc_lo, exec_lo, s3
	s_cbranch_vccnz .LBB190_1970
; %bb.1961:
	s_wait_xcnt 0x0
	v_cndmask_b32_e64 v3, 0, 1.0, s1
	s_mov_b32 s3, exec_lo
                                        ; implicit-def: $vgpr2
	s_delay_alu instid0(VALU_DEP_1)
	v_cmpx_gt_u32_e32 0x47800000, v3
	s_xor_b32 s3, exec_lo, s3
	s_cbranch_execz .LBB190_1967
; %bb.1962:
	s_mov_b32 s4, exec_lo
                                        ; implicit-def: $vgpr2
	v_cmpx_lt_u32_e32 0x387fffff, v3
	s_xor_b32 s4, exec_lo, s4
; %bb.1963:
	v_bfe_u32 v2, v3, 21, 1
	s_delay_alu instid0(VALU_DEP_1) | instskip(NEXT) | instid1(VALU_DEP_1)
	v_add3_u32 v2, v3, v2, 0x80fffff
                                        ; implicit-def: $vgpr3
	v_lshrrev_b32_e32 v2, 21, v2
; %bb.1964:
	s_and_not1_saveexec_b32 s4, s4
; %bb.1965:
	v_add_f32_e32 v2, 0x43000000, v3
; %bb.1966:
	s_or_b32 exec_lo, exec_lo, s4
                                        ; implicit-def: $vgpr3
.LBB190_1967:
	s_and_not1_saveexec_b32 s3, s3
; %bb.1968:
	v_mov_b32_e32 v2, 0x7f
	v_cmp_lt_u32_e32 vcc_lo, 0x7f800000, v3
	s_delay_alu instid0(VALU_DEP_2)
	v_cndmask_b32_e32 v2, 0x7c, v2, vcc_lo
; %bb.1969:
	s_or_b32 exec_lo, exec_lo, s3
	global_store_b8 v[0:1], v2, off
.LBB190_1970:
	s_mov_b32 s3, 0
.LBB190_1971:
	s_delay_alu instid0(SALU_CYCLE_1)
	s_and_not1_b32 vcc_lo, exec_lo, s3
	s_mov_b32 s3, 0
	s_cbranch_vccnz .LBB190_1978
; %bb.1972:
	s_cmp_gt_i32 s2, 14
	s_mov_b32 s3, -1
	s_cbranch_scc0 .LBB190_1976
; %bb.1973:
	s_cmp_eq_u32 s2, 15
	s_mov_b32 s0, -1
	s_cbranch_scc0 .LBB190_1975
; %bb.1974:
	s_wait_xcnt 0x0
	v_cndmask_b32_e64 v2, 0, 1.0, s1
	s_mov_b32 s0, 0
	s_delay_alu instid0(VALU_DEP_1) | instskip(NEXT) | instid1(VALU_DEP_1)
	v_bfe_u32 v3, v2, 16, 1
	v_add3_u32 v2, v2, v3, 0x7fff
	global_store_d16_hi_b16 v[0:1], v2, off
.LBB190_1975:
	s_mov_b32 s3, 0
.LBB190_1976:
	s_delay_alu instid0(SALU_CYCLE_1)
	s_and_b32 vcc_lo, exec_lo, s3
	s_mov_b32 s3, 0
	s_cbranch_vccz .LBB190_1978
; %bb.1977:
	s_cmp_lg_u32 s2, 11
	s_mov_b32 s3, -1
	s_cselect_b32 s0, -1, 0
.LBB190_1978:
	s_delay_alu instid0(SALU_CYCLE_1)
	s_and_b32 vcc_lo, exec_lo, s0
	s_cbranch_vccnz .LBB190_2044
.LBB190_1979:
	s_mov_b32 s0, 0
	s_branch .LBB190_1981
.LBB190_1980:
	s_mov_b32 s0, 0
	s_mov_b32 s3, 0
                                        ; implicit-def: $sgpr1
                                        ; implicit-def: $sgpr16
                                        ; implicit-def: $vgpr0_vgpr1
.LBB190_1981:
	s_and_not1_b32 s2, s15, exec_lo
	s_and_b32 s4, s12, exec_lo
	s_and_b32 s0, s0, exec_lo
	;; [unrolled: 1-line block ×3, first 2 shown]
	s_or_b32 s15, s2, s4
.LBB190_1982:
	s_wait_xcnt 0x0
	s_or_b32 exec_lo, exec_lo, s14
	s_and_saveexec_b32 s2, s15
	s_cbranch_execz .LBB190_1985
; %bb.1983:
	; divergent unreachable
	s_or_b32 exec_lo, exec_lo, s2
	s_and_saveexec_b32 s2, s12
	s_delay_alu instid0(SALU_CYCLE_1)
	s_xor_b32 s2, exec_lo, s2
	s_cbranch_execnz .LBB190_1986
.LBB190_1984:
	s_or_b32 exec_lo, exec_lo, s2
	s_and_saveexec_b32 s2, s0
	s_cbranch_execnz .LBB190_1987
	s_branch .LBB190_2024
.LBB190_1985:
	s_or_b32 exec_lo, exec_lo, s2
	s_and_saveexec_b32 s2, s12
	s_delay_alu instid0(SALU_CYCLE_1)
	s_xor_b32 s2, exec_lo, s2
	s_cbranch_execz .LBB190_1984
.LBB190_1986:
	s_wait_loadcnt 0x0
	v_cndmask_b32_e64 v2, 0, 1, s1
	global_store_b8 v[0:1], v2, off
	s_wait_xcnt 0x0
	s_or_b32 exec_lo, exec_lo, s2
	s_and_saveexec_b32 s2, s0
	s_cbranch_execz .LBB190_2024
.LBB190_1987:
	s_sext_i32_i16 s2, s16
	s_mov_b32 s0, -1
	s_cmp_lt_i32 s2, 5
	s_cbranch_scc1 .LBB190_2008
; %bb.1988:
	s_cmp_lt_i32 s2, 8
	s_cbranch_scc1 .LBB190_1998
; %bb.1989:
	;; [unrolled: 3-line block ×3, first 2 shown]
	s_cmp_gt_i32 s2, 9
	s_cbranch_scc0 .LBB190_1992
; %bb.1991:
	s_wait_loadcnt 0x0
	v_cndmask_b32_e64 v2, 0, 1, s1
	v_mov_b32_e32 v4, 0
	s_mov_b32 s0, 0
	s_delay_alu instid0(VALU_DEP_2) | instskip(NEXT) | instid1(VALU_DEP_2)
	v_cvt_f64_u32_e32 v[2:3], v2
	v_mov_b32_e32 v5, v4
	global_store_b128 v[0:1], v[2:5], off
.LBB190_1992:
	s_and_not1_b32 vcc_lo, exec_lo, s0
	s_cbranch_vccnz .LBB190_1994
; %bb.1993:
	s_wait_loadcnt 0x0
	v_cndmask_b32_e64 v2, 0, 1.0, s1
	v_mov_b32_e32 v3, 0
	global_store_b64 v[0:1], v[2:3], off
.LBB190_1994:
	s_mov_b32 s0, 0
.LBB190_1995:
	s_delay_alu instid0(SALU_CYCLE_1)
	s_and_not1_b32 vcc_lo, exec_lo, s0
	s_cbranch_vccnz .LBB190_1997
; %bb.1996:
	s_wait_loadcnt 0x0
	v_cndmask_b32_e64 v2, 0, 1.0, s1
	s_delay_alu instid0(VALU_DEP_1) | instskip(NEXT) | instid1(VALU_DEP_1)
	v_cvt_f16_f32_e32 v2, v2
	v_and_b32_e32 v2, 0xffff, v2
	global_store_b32 v[0:1], v2, off
.LBB190_1997:
	s_mov_b32 s0, 0
.LBB190_1998:
	s_delay_alu instid0(SALU_CYCLE_1)
	s_and_not1_b32 vcc_lo, exec_lo, s0
	s_cbranch_vccnz .LBB190_2007
; %bb.1999:
	s_sext_i32_i16 s2, s16
	s_mov_b32 s0, -1
	s_cmp_lt_i32 s2, 6
	s_cbranch_scc1 .LBB190_2005
; %bb.2000:
	s_cmp_gt_i32 s2, 6
	s_cbranch_scc0 .LBB190_2002
; %bb.2001:
	s_wait_loadcnt 0x0
	v_cndmask_b32_e64 v2, 0, 1, s1
	s_mov_b32 s0, 0
	s_delay_alu instid0(VALU_DEP_1)
	v_cvt_f64_u32_e32 v[2:3], v2
	global_store_b64 v[0:1], v[2:3], off
.LBB190_2002:
	s_and_not1_b32 vcc_lo, exec_lo, s0
	s_cbranch_vccnz .LBB190_2004
; %bb.2003:
	s_wait_loadcnt 0x0
	v_cndmask_b32_e64 v2, 0, 1.0, s1
	global_store_b32 v[0:1], v2, off
.LBB190_2004:
	s_mov_b32 s0, 0
.LBB190_2005:
	s_delay_alu instid0(SALU_CYCLE_1)
	s_and_not1_b32 vcc_lo, exec_lo, s0
	s_cbranch_vccnz .LBB190_2007
; %bb.2006:
	s_wait_loadcnt 0x0
	v_cndmask_b32_e64 v2, 0, 1.0, s1
	s_delay_alu instid0(VALU_DEP_1)
	v_cvt_f16_f32_e32 v2, v2
	global_store_b16 v[0:1], v2, off
.LBB190_2007:
	s_mov_b32 s0, 0
.LBB190_2008:
	s_delay_alu instid0(SALU_CYCLE_1)
	s_and_not1_b32 vcc_lo, exec_lo, s0
	s_cbranch_vccnz .LBB190_2024
; %bb.2009:
	s_sext_i32_i16 s2, s16
	s_mov_b32 s0, -1
	s_cmp_lt_i32 s2, 2
	s_cbranch_scc1 .LBB190_2019
; %bb.2010:
	s_cmp_lt_i32 s2, 3
	s_cbranch_scc1 .LBB190_2016
; %bb.2011:
	s_cmp_gt_i32 s2, 3
	s_cbranch_scc0 .LBB190_2013
; %bb.2012:
	s_mov_b32 s0, 0
	s_wait_loadcnt 0x0
	v_cndmask_b32_e64 v2, 0, 1, s1
	v_mov_b32_e32 v3, s0
	global_store_b64 v[0:1], v[2:3], off
.LBB190_2013:
	s_and_not1_b32 vcc_lo, exec_lo, s0
	s_cbranch_vccnz .LBB190_2015
; %bb.2014:
	s_wait_loadcnt 0x0
	v_cndmask_b32_e64 v2, 0, 1, s1
	global_store_b32 v[0:1], v2, off
.LBB190_2015:
	s_mov_b32 s0, 0
.LBB190_2016:
	s_delay_alu instid0(SALU_CYCLE_1)
	s_and_not1_b32 vcc_lo, exec_lo, s0
	s_cbranch_vccnz .LBB190_2018
; %bb.2017:
	s_wait_loadcnt 0x0
	v_cndmask_b32_e64 v2, 0, 1, s1
	global_store_b16 v[0:1], v2, off
.LBB190_2018:
	s_mov_b32 s0, 0
.LBB190_2019:
	s_delay_alu instid0(SALU_CYCLE_1)
	s_and_not1_b32 vcc_lo, exec_lo, s0
	s_cbranch_vccnz .LBB190_2024
; %bb.2020:
	s_wait_loadcnt 0x0
	v_cndmask_b32_e64 v2, 0, 1, s1
	s_sext_i32_i16 s0, s16
	s_delay_alu instid0(SALU_CYCLE_1)
	s_cmp_gt_i32 s0, 0
	s_mov_b32 s0, -1
	s_cbranch_scc0 .LBB190_2022
; %bb.2021:
	s_mov_b32 s0, 0
	global_store_b8 v[0:1], v2, off
.LBB190_2022:
	s_and_not1_b32 vcc_lo, exec_lo, s0
	s_cbranch_vccnz .LBB190_2024
; %bb.2023:
	global_store_b8 v[0:1], v2, off
	s_endpgm
.LBB190_2024:
	s_endpgm
.LBB190_2025:
	s_mov_b32 s3, 0
	s_mov_b32 s0, -1
	s_branch .LBB190_1981
.LBB190_2026:
	s_or_b32 s12, s12, exec_lo
	s_trap 2
	s_cbranch_execz .LBB190_1496
	s_branch .LBB190_1497
.LBB190_2027:
	s_and_not1_saveexec_b32 s10, s10
	s_cbranch_execz .LBB190_1576
.LBB190_2028:
	v_add_f32_e32 v1, 0x46000000, v4
	s_and_not1_b32 s9, s9, exec_lo
	s_delay_alu instid0(VALU_DEP_1) | instskip(NEXT) | instid1(VALU_DEP_1)
	v_and_b32_e32 v1, 0xff, v1
	v_cmp_ne_u32_e32 vcc_lo, 0, v1
	s_and_b32 s13, vcc_lo, exec_lo
	s_delay_alu instid0(SALU_CYCLE_1)
	s_or_b32 s9, s9, s13
	s_or_b32 exec_lo, exec_lo, s10
	v_mov_b32_e32 v5, 0
	s_and_saveexec_b32 s10, s9
	s_cbranch_execnz .LBB190_1577
	s_branch .LBB190_1578
.LBB190_2029:
	s_or_b32 s12, s12, exec_lo
	s_trap 2
	s_cbranch_execz .LBB190_1624
	s_branch .LBB190_1625
.LBB190_2030:
	s_and_not1_saveexec_b32 s9, s9
	s_cbranch_execz .LBB190_1589
.LBB190_2031:
	v_add_f32_e32 v1, 0x42800000, v4
	s_and_not1_b32 s7, s7, exec_lo
	s_delay_alu instid0(VALU_DEP_1) | instskip(NEXT) | instid1(VALU_DEP_1)
	v_and_b32_e32 v1, 0xff, v1
	v_cmp_ne_u32_e32 vcc_lo, 0, v1
	s_and_b32 s10, vcc_lo, exec_lo
	s_delay_alu instid0(SALU_CYCLE_1)
	s_or_b32 s7, s7, s10
	s_or_b32 exec_lo, exec_lo, s9
	v_mov_b32_e32 v5, 0
	s_and_saveexec_b32 s9, s7
	s_cbranch_execnz .LBB190_1590
	s_branch .LBB190_1591
.LBB190_2032:
	s_and_not1_saveexec_b32 s10, s10
	s_cbranch_execz .LBB190_1694
.LBB190_2033:
	v_add_f32_e32 v1, 0x46000000, v4
	s_and_not1_b32 s9, s9, exec_lo
	s_delay_alu instid0(VALU_DEP_1) | instskip(NEXT) | instid1(VALU_DEP_1)
	v_and_b32_e32 v1, 0xff, v1
	v_cmp_ne_u32_e32 vcc_lo, 0, v1
	s_and_b32 s13, vcc_lo, exec_lo
	s_delay_alu instid0(SALU_CYCLE_1)
	s_or_b32 s9, s9, s13
	s_or_b32 exec_lo, exec_lo, s10
	v_mov_b32_e32 v5, 0
	s_and_saveexec_b32 s10, s9
	s_cbranch_execnz .LBB190_1695
	s_branch .LBB190_1696
.LBB190_2034:
	s_or_b32 s12, s12, exec_lo
	s_trap 2
	s_cbranch_execz .LBB190_1742
	s_branch .LBB190_1743
.LBB190_2035:
	s_and_not1_saveexec_b32 s9, s9
	s_cbranch_execz .LBB190_1707
.LBB190_2036:
	v_add_f32_e32 v1, 0x42800000, v4
	s_and_not1_b32 s8, s8, exec_lo
	s_delay_alu instid0(VALU_DEP_1) | instskip(NEXT) | instid1(VALU_DEP_1)
	v_and_b32_e32 v1, 0xff, v1
	v_cmp_ne_u32_e32 vcc_lo, 0, v1
	s_and_b32 s10, vcc_lo, exec_lo
	s_delay_alu instid0(SALU_CYCLE_1)
	s_or_b32 s8, s8, s10
	s_or_b32 exec_lo, exec_lo, s9
	v_mov_b32_e32 v5, 0
	s_and_saveexec_b32 s9, s8
	s_cbranch_execnz .LBB190_1708
	s_branch .LBB190_1709
.LBB190_2037:
	s_and_not1_saveexec_b32 s10, s10
	s_cbranch_execz .LBB190_1813
.LBB190_2038:
	v_add_f32_e32 v1, 0x46000000, v4
	s_and_not1_b32 s9, s9, exec_lo
	s_delay_alu instid0(VALU_DEP_1) | instskip(NEXT) | instid1(VALU_DEP_1)
	v_and_b32_e32 v1, 0xff, v1
	v_cmp_ne_u32_e32 vcc_lo, 0, v1
	s_and_b32 s13, vcc_lo, exec_lo
	s_delay_alu instid0(SALU_CYCLE_1)
	s_or_b32 s9, s9, s13
	s_or_b32 exec_lo, exec_lo, s10
	v_mov_b32_e32 v5, 0
	s_and_saveexec_b32 s10, s9
	s_cbranch_execnz .LBB190_1814
	s_branch .LBB190_1815
.LBB190_2039:
	s_or_b32 s12, s12, exec_lo
	s_trap 2
	s_cbranch_execz .LBB190_1861
	s_branch .LBB190_1862
.LBB190_2040:
	s_and_not1_saveexec_b32 s9, s9
	s_cbranch_execz .LBB190_1826
.LBB190_2041:
	v_add_f32_e32 v1, 0x42800000, v4
	s_and_not1_b32 s8, s8, exec_lo
	s_delay_alu instid0(VALU_DEP_1) | instskip(NEXT) | instid1(VALU_DEP_1)
	v_and_b32_e32 v1, 0xff, v1
	v_cmp_ne_u32_e32 vcc_lo, 0, v1
	s_and_b32 s10, vcc_lo, exec_lo
	s_delay_alu instid0(SALU_CYCLE_1)
	s_or_b32 s8, s8, s10
	s_or_b32 exec_lo, exec_lo, s9
	v_mov_b32_e32 v5, 0
	s_and_saveexec_b32 s9, s8
	s_cbranch_execnz .LBB190_1827
	s_branch .LBB190_1828
.LBB190_2042:
	s_and_not1_saveexec_b32 s6, s6
	s_cbranch_execz .LBB190_1933
.LBB190_2043:
	v_add_f32_e32 v2, 0x46000000, v3
	s_and_not1_b32 s5, s5, exec_lo
	s_delay_alu instid0(VALU_DEP_1) | instskip(NEXT) | instid1(VALU_DEP_1)
	v_and_b32_e32 v2, 0xff, v2
	v_cmp_ne_u32_e32 vcc_lo, 0, v2
	s_and_b32 s7, vcc_lo, exec_lo
	s_delay_alu instid0(SALU_CYCLE_1)
	s_or_b32 s5, s5, s7
	s_or_b32 exec_lo, exec_lo, s6
	v_mov_b32_e32 v4, 0
	s_and_saveexec_b32 s6, s5
	s_cbranch_execnz .LBB190_1934
	s_branch .LBB190_1935
.LBB190_2044:
	s_mov_b32 s3, 0
	s_or_b32 s12, s12, exec_lo
	s_trap 2
	s_branch .LBB190_1979
.LBB190_2045:
	s_and_not1_saveexec_b32 s5, s5
	s_cbranch_execz .LBB190_1945
.LBB190_2046:
	v_add_f32_e32 v2, 0x42800000, v3
	s_and_not1_b32 s4, s4, exec_lo
	s_delay_alu instid0(VALU_DEP_1) | instskip(NEXT) | instid1(VALU_DEP_1)
	v_and_b32_e32 v2, 0xff, v2
	v_cmp_ne_u32_e32 vcc_lo, 0, v2
	s_and_b32 s6, vcc_lo, exec_lo
	s_delay_alu instid0(SALU_CYCLE_1)
	s_or_b32 s4, s4, s6
	s_or_b32 exec_lo, exec_lo, s5
	v_mov_b32_e32 v4, 0
	s_and_saveexec_b32 s5, s4
	s_cbranch_execnz .LBB190_1946
	s_branch .LBB190_1947
	.section	.rodata,"a",@progbits
	.p2align	6, 0x0
	.amdhsa_kernel _ZN2at6native32elementwise_kernel_manual_unrollILi128ELi4EZNS0_15gpu_kernel_implINS0_13AUnaryFunctorIN3c104HalfES5_bNS0_12_GLOBAL__N_116CompareEqFunctorIS5_EEEEEEvRNS_18TensorIteratorBaseERKT_EUlibE_EEviT1_
		.amdhsa_group_segment_fixed_size 0
		.amdhsa_private_segment_fixed_size 0
		.amdhsa_kernarg_size 48
		.amdhsa_user_sgpr_count 2
		.amdhsa_user_sgpr_dispatch_ptr 0
		.amdhsa_user_sgpr_queue_ptr 0
		.amdhsa_user_sgpr_kernarg_segment_ptr 1
		.amdhsa_user_sgpr_dispatch_id 0
		.amdhsa_user_sgpr_kernarg_preload_length 0
		.amdhsa_user_sgpr_kernarg_preload_offset 0
		.amdhsa_user_sgpr_private_segment_size 0
		.amdhsa_wavefront_size32 1
		.amdhsa_uses_dynamic_stack 0
		.amdhsa_enable_private_segment 0
		.amdhsa_system_sgpr_workgroup_id_x 1
		.amdhsa_system_sgpr_workgroup_id_y 0
		.amdhsa_system_sgpr_workgroup_id_z 0
		.amdhsa_system_sgpr_workgroup_info 0
		.amdhsa_system_vgpr_workitem_id 0
		.amdhsa_next_free_vgpr 14
		.amdhsa_next_free_sgpr 30
		.amdhsa_named_barrier_count 0
		.amdhsa_reserve_vcc 1
		.amdhsa_float_round_mode_32 0
		.amdhsa_float_round_mode_16_64 0
		.amdhsa_float_denorm_mode_32 3
		.amdhsa_float_denorm_mode_16_64 3
		.amdhsa_fp16_overflow 0
		.amdhsa_memory_ordered 1
		.amdhsa_forward_progress 1
		.amdhsa_inst_pref_size 255
		.amdhsa_round_robin_scheduling 0
		.amdhsa_exception_fp_ieee_invalid_op 0
		.amdhsa_exception_fp_denorm_src 0
		.amdhsa_exception_fp_ieee_div_zero 0
		.amdhsa_exception_fp_ieee_overflow 0
		.amdhsa_exception_fp_ieee_underflow 0
		.amdhsa_exception_fp_ieee_inexact 0
		.amdhsa_exception_int_div_zero 0
	.end_amdhsa_kernel
	.section	.text._ZN2at6native32elementwise_kernel_manual_unrollILi128ELi4EZNS0_15gpu_kernel_implINS0_13AUnaryFunctorIN3c104HalfES5_bNS0_12_GLOBAL__N_116CompareEqFunctorIS5_EEEEEEvRNS_18TensorIteratorBaseERKT_EUlibE_EEviT1_,"axG",@progbits,_ZN2at6native32elementwise_kernel_manual_unrollILi128ELi4EZNS0_15gpu_kernel_implINS0_13AUnaryFunctorIN3c104HalfES5_bNS0_12_GLOBAL__N_116CompareEqFunctorIS5_EEEEEEvRNS_18TensorIteratorBaseERKT_EUlibE_EEviT1_,comdat
.Lfunc_end190:
	.size	_ZN2at6native32elementwise_kernel_manual_unrollILi128ELi4EZNS0_15gpu_kernel_implINS0_13AUnaryFunctorIN3c104HalfES5_bNS0_12_GLOBAL__N_116CompareEqFunctorIS5_EEEEEEvRNS_18TensorIteratorBaseERKT_EUlibE_EEviT1_, .Lfunc_end190-_ZN2at6native32elementwise_kernel_manual_unrollILi128ELi4EZNS0_15gpu_kernel_implINS0_13AUnaryFunctorIN3c104HalfES5_bNS0_12_GLOBAL__N_116CompareEqFunctorIS5_EEEEEEvRNS_18TensorIteratorBaseERKT_EUlibE_EEviT1_
                                        ; -- End function
	.set _ZN2at6native32elementwise_kernel_manual_unrollILi128ELi4EZNS0_15gpu_kernel_implINS0_13AUnaryFunctorIN3c104HalfES5_bNS0_12_GLOBAL__N_116CompareEqFunctorIS5_EEEEEEvRNS_18TensorIteratorBaseERKT_EUlibE_EEviT1_.num_vgpr, 14
	.set _ZN2at6native32elementwise_kernel_manual_unrollILi128ELi4EZNS0_15gpu_kernel_implINS0_13AUnaryFunctorIN3c104HalfES5_bNS0_12_GLOBAL__N_116CompareEqFunctorIS5_EEEEEEvRNS_18TensorIteratorBaseERKT_EUlibE_EEviT1_.num_agpr, 0
	.set _ZN2at6native32elementwise_kernel_manual_unrollILi128ELi4EZNS0_15gpu_kernel_implINS0_13AUnaryFunctorIN3c104HalfES5_bNS0_12_GLOBAL__N_116CompareEqFunctorIS5_EEEEEEvRNS_18TensorIteratorBaseERKT_EUlibE_EEviT1_.numbered_sgpr, 30
	.set _ZN2at6native32elementwise_kernel_manual_unrollILi128ELi4EZNS0_15gpu_kernel_implINS0_13AUnaryFunctorIN3c104HalfES5_bNS0_12_GLOBAL__N_116CompareEqFunctorIS5_EEEEEEvRNS_18TensorIteratorBaseERKT_EUlibE_EEviT1_.num_named_barrier, 0
	.set _ZN2at6native32elementwise_kernel_manual_unrollILi128ELi4EZNS0_15gpu_kernel_implINS0_13AUnaryFunctorIN3c104HalfES5_bNS0_12_GLOBAL__N_116CompareEqFunctorIS5_EEEEEEvRNS_18TensorIteratorBaseERKT_EUlibE_EEviT1_.private_seg_size, 0
	.set _ZN2at6native32elementwise_kernel_manual_unrollILi128ELi4EZNS0_15gpu_kernel_implINS0_13AUnaryFunctorIN3c104HalfES5_bNS0_12_GLOBAL__N_116CompareEqFunctorIS5_EEEEEEvRNS_18TensorIteratorBaseERKT_EUlibE_EEviT1_.uses_vcc, 1
	.set _ZN2at6native32elementwise_kernel_manual_unrollILi128ELi4EZNS0_15gpu_kernel_implINS0_13AUnaryFunctorIN3c104HalfES5_bNS0_12_GLOBAL__N_116CompareEqFunctorIS5_EEEEEEvRNS_18TensorIteratorBaseERKT_EUlibE_EEviT1_.uses_flat_scratch, 0
	.set _ZN2at6native32elementwise_kernel_manual_unrollILi128ELi4EZNS0_15gpu_kernel_implINS0_13AUnaryFunctorIN3c104HalfES5_bNS0_12_GLOBAL__N_116CompareEqFunctorIS5_EEEEEEvRNS_18TensorIteratorBaseERKT_EUlibE_EEviT1_.has_dyn_sized_stack, 0
	.set _ZN2at6native32elementwise_kernel_manual_unrollILi128ELi4EZNS0_15gpu_kernel_implINS0_13AUnaryFunctorIN3c104HalfES5_bNS0_12_GLOBAL__N_116CompareEqFunctorIS5_EEEEEEvRNS_18TensorIteratorBaseERKT_EUlibE_EEviT1_.has_recursion, 0
	.set _ZN2at6native32elementwise_kernel_manual_unrollILi128ELi4EZNS0_15gpu_kernel_implINS0_13AUnaryFunctorIN3c104HalfES5_bNS0_12_GLOBAL__N_116CompareEqFunctorIS5_EEEEEEvRNS_18TensorIteratorBaseERKT_EUlibE_EEviT1_.has_indirect_call, 0
	.section	.AMDGPU.csdata,"",@progbits
; Kernel info:
; codeLenInByte = 40776
; TotalNumSgprs: 32
; NumVgprs: 14
; ScratchSize: 0
; MemoryBound: 0
; FloatMode: 240
; IeeeMode: 1
; LDSByteSize: 0 bytes/workgroup (compile time only)
; SGPRBlocks: 0
; VGPRBlocks: 0
; NumSGPRsForWavesPerEU: 32
; NumVGPRsForWavesPerEU: 14
; NamedBarCnt: 0
; Occupancy: 16
; WaveLimiterHint : 0
; COMPUTE_PGM_RSRC2:SCRATCH_EN: 0
; COMPUTE_PGM_RSRC2:USER_SGPR: 2
; COMPUTE_PGM_RSRC2:TRAP_HANDLER: 0
; COMPUTE_PGM_RSRC2:TGID_X_EN: 1
; COMPUTE_PGM_RSRC2:TGID_Y_EN: 0
; COMPUTE_PGM_RSRC2:TGID_Z_EN: 0
; COMPUTE_PGM_RSRC2:TIDIG_COMP_CNT: 0
	.section	.text._ZN2at6native32elementwise_kernel_manual_unrollILi128ELi4EZNS0_15gpu_kernel_implINS0_13AUnaryFunctorIN3c104HalfES5_bNS0_12_GLOBAL__N_116CompareEqFunctorIS5_EEEEEEvRNS_18TensorIteratorBaseERKT_EUlibE0_EEviT1_,"axG",@progbits,_ZN2at6native32elementwise_kernel_manual_unrollILi128ELi4EZNS0_15gpu_kernel_implINS0_13AUnaryFunctorIN3c104HalfES5_bNS0_12_GLOBAL__N_116CompareEqFunctorIS5_EEEEEEvRNS_18TensorIteratorBaseERKT_EUlibE0_EEviT1_,comdat
	.globl	_ZN2at6native32elementwise_kernel_manual_unrollILi128ELi4EZNS0_15gpu_kernel_implINS0_13AUnaryFunctorIN3c104HalfES5_bNS0_12_GLOBAL__N_116CompareEqFunctorIS5_EEEEEEvRNS_18TensorIteratorBaseERKT_EUlibE0_EEviT1_ ; -- Begin function _ZN2at6native32elementwise_kernel_manual_unrollILi128ELi4EZNS0_15gpu_kernel_implINS0_13AUnaryFunctorIN3c104HalfES5_bNS0_12_GLOBAL__N_116CompareEqFunctorIS5_EEEEEEvRNS_18TensorIteratorBaseERKT_EUlibE0_EEviT1_
	.p2align	8
	.type	_ZN2at6native32elementwise_kernel_manual_unrollILi128ELi4EZNS0_15gpu_kernel_implINS0_13AUnaryFunctorIN3c104HalfES5_bNS0_12_GLOBAL__N_116CompareEqFunctorIS5_EEEEEEvRNS_18TensorIteratorBaseERKT_EUlibE0_EEviT1_,@function
_ZN2at6native32elementwise_kernel_manual_unrollILi128ELi4EZNS0_15gpu_kernel_implINS0_13AUnaryFunctorIN3c104HalfES5_bNS0_12_GLOBAL__N_116CompareEqFunctorIS5_EEEEEEvRNS_18TensorIteratorBaseERKT_EUlibE0_EEviT1_: ; @_ZN2at6native32elementwise_kernel_manual_unrollILi128ELi4EZNS0_15gpu_kernel_implINS0_13AUnaryFunctorIN3c104HalfES5_bNS0_12_GLOBAL__N_116CompareEqFunctorIS5_EEEEEEvRNS_18TensorIteratorBaseERKT_EUlibE0_EEviT1_
; %bb.0:
	s_clause 0x1
	s_load_b32 s19, s[0:1], 0x8
	s_load_b32 s40, s[0:1], 0x0
	s_bfe_u32 s2, ttmp6, 0x4000c
	s_and_b32 s3, ttmp6, 15
	s_add_co_i32 s2, s2, 1
	s_getreg_b32 s4, hwreg(HW_REG_IB_STS2, 6, 4)
	s_mul_i32 s2, ttmp9, s2
	s_mov_b32 s36, 0
	s_add_co_i32 s3, s3, s2
	s_cmp_eq_u32 s4, 0
	s_mov_b32 s29, -1
	s_cselect_b32 s2, ttmp9, s3
	s_add_nc_u64 s[20:21], s[0:1], 8
	v_lshl_or_b32 v0, s2, 9, v0
	s_mov_b32 s11, 0
	s_wait_xcnt 0x0
	s_mov_b32 s0, exec_lo
	s_delay_alu instid0(VALU_DEP_1) | instskip(SKIP_2) | instid1(SALU_CYCLE_1)
	v_or_b32_e32 v9, 0x180, v0
	s_wait_kmcnt 0x0
	s_add_co_i32 s33, s19, -1
	s_cmp_gt_u32 s33, 1
	s_cselect_b32 s37, -1, 0
	v_cmpx_le_i32_e64 s40, v9
	s_xor_b32 s38, exec_lo, s0
	s_cbranch_execz .LBB191_1096
; %bb.1:
	s_clause 0x4
	s_load_b128 s[8:11], s[20:21], 0x4
	s_load_b96 s[16:18], s[20:21], 0x158
	s_load_b64 s[2:3], s[20:21], 0x14
	s_load_b128 s[12:15], s[20:21], 0xc4
	s_load_b128 s[4:7], s[20:21], 0x148
	s_cmp_lg_u32 s19, 0
	s_mov_b32 s23, 0
	s_cselect_b32 s42, -1, 0
	s_min_u32 s41, s33, 15
	s_cmp_gt_u32 s19, 1
	s_add_nc_u64 s[26:27], s[20:21], 0xc4
	s_cselect_b32 s39, -1, 0
	s_mov_b32 s25, s23
	s_mov_b32 s43, s23
	s_mov_b32 s44, exec_lo
	s_wait_kmcnt 0x0
	s_mov_b32 s22, s9
	s_bfe_u32 s9, s18, 0x80008
	s_cmp_eq_u32 s16, 0
	s_mov_b32 s24, s2
	s_cselect_b32 s0, -1, 0
	s_mov_b32 s16, s23
	v_cmpx_gt_i32_e64 s40, v0
	s_cbranch_execz .LBB191_267
; %bb.2:
	s_and_not1_b32 vcc_lo, exec_lo, s37
	s_cbranch_vccnz .LBB191_8
; %bb.3:
	s_and_not1_b32 vcc_lo, exec_lo, s42
	s_cbranch_vccnz .LBB191_9
; %bb.4:
	s_add_co_i32 s1, s41, 1
	s_cmp_eq_u32 s33, 2
	s_cbranch_scc1 .LBB191_10
; %bb.5:
	v_dual_mov_b32 v2, 0 :: v_dual_mov_b32 v4, 0
	v_mov_b32_e32 v1, v0
	s_and_b32 s28, s1, 28
	s_mov_b32 s2, 0
	s_mov_b64 s[30:31], s[20:21]
	s_mov_b64 s[34:35], s[26:27]
.LBB191_6:                              ; =>This Inner Loop Header: Depth=1
	s_clause 0x1
	s_load_b256 s[48:55], s[30:31], 0x4
	s_load_b128 s[64:67], s[30:31], 0x24
	s_load_b256 s[56:63], s[34:35], 0x0
	s_add_co_i32 s2, s2, 4
	s_wait_xcnt 0x0
	s_add_nc_u64 s[30:31], s[30:31], 48
	s_cmp_lg_u32 s28, s2
	s_add_nc_u64 s[34:35], s[34:35], 32
	s_wait_kmcnt 0x0
	v_mul_hi_u32 v3, s49, v1
	s_delay_alu instid0(VALU_DEP_1) | instskip(NEXT) | instid1(VALU_DEP_1)
	v_add_nc_u32_e32 v3, v1, v3
	v_lshrrev_b32_e32 v3, s50, v3
	s_delay_alu instid0(VALU_DEP_1) | instskip(NEXT) | instid1(VALU_DEP_1)
	v_mul_hi_u32 v5, s52, v3
	v_add_nc_u32_e32 v5, v3, v5
	s_delay_alu instid0(VALU_DEP_1) | instskip(NEXT) | instid1(VALU_DEP_1)
	v_lshrrev_b32_e32 v5, s53, v5
	v_mul_hi_u32 v6, s55, v5
	s_delay_alu instid0(VALU_DEP_1) | instskip(SKIP_1) | instid1(VALU_DEP_1)
	v_add_nc_u32_e32 v6, v5, v6
	v_mul_lo_u32 v7, v3, s48
	v_sub_nc_u32_e32 v1, v1, v7
	v_mul_lo_u32 v7, v5, s51
	s_delay_alu instid0(VALU_DEP_4) | instskip(NEXT) | instid1(VALU_DEP_3)
	v_lshrrev_b32_e32 v6, s64, v6
	v_mad_u32 v4, v1, s57, v4
	v_mad_u32 v1, v1, s56, v2
	s_delay_alu instid0(VALU_DEP_4) | instskip(NEXT) | instid1(VALU_DEP_4)
	v_sub_nc_u32_e32 v2, v3, v7
	v_mul_hi_u32 v8, s66, v6
	v_mul_lo_u32 v3, v6, s54
	s_delay_alu instid0(VALU_DEP_3) | instskip(SKIP_1) | instid1(VALU_DEP_3)
	v_mad_u32 v4, v2, s59, v4
	v_mad_u32 v2, v2, s58, v1
	v_dual_add_nc_u32 v7, v6, v8 :: v_dual_sub_nc_u32 v3, v5, v3
	s_delay_alu instid0(VALU_DEP_1) | instskip(NEXT) | instid1(VALU_DEP_2)
	v_lshrrev_b32_e32 v1, s67, v7
	v_mad_u32 v4, v3, s61, v4
	s_delay_alu instid0(VALU_DEP_4) | instskip(NEXT) | instid1(VALU_DEP_3)
	v_mad_u32 v2, v3, s60, v2
	v_mul_lo_u32 v5, v1, s65
	s_delay_alu instid0(VALU_DEP_1) | instskip(NEXT) | instid1(VALU_DEP_1)
	v_sub_nc_u32_e32 v3, v6, v5
	v_mad_u32 v4, v3, s63, v4
	s_delay_alu instid0(VALU_DEP_4)
	v_mad_u32 v2, v3, s62, v2
	s_cbranch_scc1 .LBB191_6
; %bb.7:
	s_delay_alu instid0(VALU_DEP_2)
	v_mov_b32_e32 v3, v4
	s_and_b32 s1, s1, 3
	s_mov_b32 s29, 0
	s_cmp_eq_u32 s1, 0
	s_cbranch_scc0 .LBB191_11
	s_branch .LBB191_14
.LBB191_8:
                                        ; implicit-def: $vgpr4
                                        ; implicit-def: $vgpr2
	s_branch .LBB191_15
.LBB191_9:
	v_dual_mov_b32 v4, 0 :: v_dual_mov_b32 v2, 0
	s_branch .LBB191_14
.LBB191_10:
	v_mov_b64_e32 v[2:3], 0
	v_mov_b32_e32 v1, v0
	s_mov_b32 s28, 0
                                        ; implicit-def: $vgpr4
	s_and_b32 s1, s1, 3
	s_mov_b32 s29, 0
	s_cmp_eq_u32 s1, 0
	s_cbranch_scc1 .LBB191_14
.LBB191_11:
	s_lshl_b32 s30, s28, 3
	s_mov_b32 s31, s29
	s_mul_u64 s[34:35], s[28:29], 12
	s_add_nc_u64 s[30:31], s[20:21], s[30:31]
	s_delay_alu instid0(SALU_CYCLE_1)
	s_add_nc_u64 s[28:29], s[30:31], 0xc4
	s_add_nc_u64 s[30:31], s[20:21], s[34:35]
.LBB191_12:                             ; =>This Inner Loop Header: Depth=1
	s_load_b96 s[48:50], s[30:31], 0x4
	s_load_b64 s[34:35], s[28:29], 0x0
	s_add_co_i32 s1, s1, -1
	s_wait_xcnt 0x0
	s_add_nc_u64 s[30:31], s[30:31], 12
	s_cmp_lg_u32 s1, 0
	s_add_nc_u64 s[28:29], s[28:29], 8
	s_wait_kmcnt 0x0
	v_mul_hi_u32 v4, s49, v1
	s_delay_alu instid0(VALU_DEP_1) | instskip(NEXT) | instid1(VALU_DEP_1)
	v_add_nc_u32_e32 v4, v1, v4
	v_lshrrev_b32_e32 v4, s50, v4
	s_delay_alu instid0(VALU_DEP_1) | instskip(NEXT) | instid1(VALU_DEP_1)
	v_mul_lo_u32 v5, v4, s48
	v_sub_nc_u32_e32 v1, v1, v5
	s_delay_alu instid0(VALU_DEP_1)
	v_mad_u32 v3, v1, s35, v3
	v_mad_u32 v2, v1, s34, v2
	v_mov_b32_e32 v1, v4
	s_cbranch_scc1 .LBB191_12
; %bb.13:
	s_delay_alu instid0(VALU_DEP_3)
	v_mov_b32_e32 v4, v3
.LBB191_14:
	s_cbranch_execnz .LBB191_17
.LBB191_15:
	v_mov_b32_e32 v1, 0
	s_and_not1_b32 vcc_lo, exec_lo, s39
	s_delay_alu instid0(VALU_DEP_1) | instskip(NEXT) | instid1(VALU_DEP_1)
	v_mul_u64_e32 v[2:3], s[22:23], v[0:1]
	v_add_nc_u32_e32 v2, v0, v3
	s_delay_alu instid0(VALU_DEP_1) | instskip(NEXT) | instid1(VALU_DEP_1)
	v_lshrrev_b32_e32 v6, s10, v2
	v_mul_lo_u32 v2, v6, s8
	s_delay_alu instid0(VALU_DEP_1) | instskip(NEXT) | instid1(VALU_DEP_1)
	v_sub_nc_u32_e32 v2, v0, v2
	v_mul_lo_u32 v4, v2, s13
	v_mul_lo_u32 v2, v2, s12
	s_cbranch_vccnz .LBB191_17
; %bb.16:
	v_mov_b32_e32 v7, v1
	s_delay_alu instid0(VALU_DEP_1) | instskip(NEXT) | instid1(VALU_DEP_1)
	v_mul_u64_e32 v[8:9], s[24:25], v[6:7]
	v_add_nc_u32_e32 v1, v6, v9
	s_delay_alu instid0(VALU_DEP_1) | instskip(NEXT) | instid1(VALU_DEP_1)
	v_lshrrev_b32_e32 v1, s3, v1
	v_mul_lo_u32 v1, v1, s11
	s_delay_alu instid0(VALU_DEP_1) | instskip(NEXT) | instid1(VALU_DEP_1)
	v_sub_nc_u32_e32 v1, v6, v1
	v_mad_u32 v2, v1, s14, v2
	v_mad_u32 v4, v1, s15, v4
.LBB191_17:
	v_mov_b32_e32 v5, 0
	s_and_b32 s1, 0xffff, s9
	s_delay_alu instid0(SALU_CYCLE_1) | instskip(NEXT) | instid1(VALU_DEP_1)
	s_cmp_lt_i32 s1, 11
	v_add_nc_u64_e32 v[4:5], s[6:7], v[4:5]
	s_cbranch_scc1 .LBB191_24
; %bb.18:
	s_cmp_gt_i32 s1, 25
	s_cbranch_scc0 .LBB191_33
; %bb.19:
	s_cmp_gt_i32 s1, 28
	s_cbranch_scc0 .LBB191_36
	;; [unrolled: 3-line block ×4, first 2 shown]
; %bb.22:
	s_cmp_eq_u32 s1, 46
	s_mov_b32 s16, 0
	s_cbranch_scc0 .LBB191_42
; %bb.23:
	global_load_b32 v1, v[4:5], off
	s_mov_b32 s2, -1
	s_mov_b32 s28, 0
	s_wait_loadcnt 0x0
	v_lshlrev_b32_e32 v1, 16, v1
	s_delay_alu instid0(VALU_DEP_1)
	v_cvt_f16_f32_e32 v1, v1
	s_branch .LBB191_44
.LBB191_24:
	s_mov_b32 s28, 0
	s_mov_b32 s2, 0
                                        ; implicit-def: $vgpr1
	s_cbranch_execnz .LBB191_217
.LBB191_25:
	s_and_not1_b32 vcc_lo, exec_lo, s2
	s_cbranch_vccnz .LBB191_264
.LBB191_26:
	s_wait_loadcnt 0x0
	s_delay_alu instid0(VALU_DEP_1) | instskip(SKIP_1) | instid1(SALU_CYCLE_1)
	v_cmp_eq_f16_e32 vcc_lo, s17, v1
	s_and_b32 s16, s18, 0xff
	s_cmp_lt_i32 s16, 11
	v_cndmask_b32_e64 v3, 0, 1, vcc_lo
	v_cmp_neq_f16_e32 vcc_lo, s17, v1
	v_cndmask_b32_e64 v1, 0, 1, vcc_lo
	s_delay_alu instid0(VALU_DEP_1) | instskip(NEXT) | instid1(VALU_DEP_1)
	v_dual_cndmask_b32 v1, v1, v3, s0 :: v_dual_mov_b32 v3, 0
	v_and_b32_e32 v1, 1, v1
	s_delay_alu instid0(VALU_DEP_2) | instskip(NEXT) | instid1(VALU_DEP_2)
	v_add_nc_u64_e32 v[2:3], s[4:5], v[2:3]
	v_cmp_eq_u32_e64 s1, 1, v1
	s_cbranch_scc1 .LBB191_34
; %bb.27:
	s_and_b32 s29, 0xffff, s16
	s_delay_alu instid0(SALU_CYCLE_1)
	s_cmp_gt_i32 s29, 25
	s_cbranch_scc0 .LBB191_37
; %bb.28:
	s_cmp_gt_i32 s29, 28
	s_cbranch_scc0 .LBB191_39
; %bb.29:
	s_cmp_gt_i32 s29, 43
	s_cbranch_scc0 .LBB191_41
; %bb.30:
	s_cmp_gt_i32 s29, 45
	s_cbranch_scc0 .LBB191_47
; %bb.31:
	s_mov_b32 s31, 0
	s_mov_b32 s2, -1
	s_cmp_eq_u32 s29, 46
	s_mov_b32 s30, 0
	s_cbranch_scc0 .LBB191_48
; %bb.32:
	v_cndmask_b32_e64 v1, 0, 1.0, s1
	s_mov_b32 s30, -1
	s_mov_b32 s2, 0
	s_delay_alu instid0(VALU_DEP_1) | instskip(NEXT) | instid1(VALU_DEP_1)
	v_bfe_u32 v4, v1, 16, 1
	v_add3_u32 v1, v1, v4, 0x7fff
	s_delay_alu instid0(VALU_DEP_1)
	v_lshrrev_b32_e32 v1, 16, v1
	global_store_b32 v[2:3], v1, off
	s_branch .LBB191_48
.LBB191_33:
	s_mov_b32 s28, 0
	s_mov_b32 s2, 0
                                        ; implicit-def: $vgpr1
	s_cbranch_execnz .LBB191_182
	s_branch .LBB191_216
.LBB191_34:
	s_mov_b32 s2, 0
	s_mov_b32 s30, 0
	s_cbranch_execnz .LBB191_117
.LBB191_35:
	s_and_not1_b32 vcc_lo, exec_lo, s30
	s_cbranch_vccz .LBB191_155
	s_branch .LBB191_265
.LBB191_36:
	s_mov_b32 s16, -1
	s_mov_b32 s28, 0
	s_mov_b32 s2, 0
                                        ; implicit-def: $vgpr1
	s_branch .LBB191_163
.LBB191_37:
	s_mov_b32 s31, -1
	s_mov_b32 s2, 0
	s_mov_b32 s30, 0
	s_branch .LBB191_75
.LBB191_38:
	s_mov_b32 s16, -1
	s_mov_b32 s28, 0
	s_mov_b32 s2, 0
                                        ; implicit-def: $vgpr1
	s_branch .LBB191_158
.LBB191_39:
	s_mov_b32 s31, -1
	s_mov_b32 s2, 0
	s_mov_b32 s30, 0
	s_branch .LBB191_58
.LBB191_40:
	s_mov_b32 s16, -1
	s_mov_b32 s28, 0
	s_branch .LBB191_43
.LBB191_41:
	s_mov_b32 s31, -1
	s_mov_b32 s2, 0
	s_mov_b32 s30, 0
	s_branch .LBB191_54
.LBB191_42:
	s_mov_b32 s28, -1
.LBB191_43:
	s_mov_b32 s2, 0
                                        ; implicit-def: $vgpr1
.LBB191_44:
	s_and_b32 vcc_lo, exec_lo, s16
	s_cbranch_vccz .LBB191_157
; %bb.45:
	s_cmp_eq_u32 s1, 44
	s_cbranch_scc0 .LBB191_156
; %bb.46:
	global_load_u8 v1, v[4:5], off
	s_mov_b32 s28, 0
	s_mov_b32 s2, -1
	s_wait_loadcnt 0x0
	v_lshlrev_b32_e32 v3, 23, v1
	v_cmp_ne_u32_e32 vcc_lo, 0xff, v1
	s_delay_alu instid0(VALU_DEP_2) | instskip(NEXT) | instid1(VALU_DEP_1)
	v_cvt_f16_f32_e32 v3, v3
	v_cndmask_b32_e32 v3, 0x7e00, v3, vcc_lo
	v_cmp_ne_u32_e32 vcc_lo, 0, v1
	s_delay_alu instid0(VALU_DEP_2)
	v_cndmask_b32_e32 v1, 0, v3, vcc_lo
	s_branch .LBB191_157
.LBB191_47:
	s_mov_b32 s31, -1
	s_mov_b32 s2, 0
	s_mov_b32 s30, 0
.LBB191_48:
	s_and_b32 vcc_lo, exec_lo, s31
	s_cbranch_vccz .LBB191_53
; %bb.49:
	s_cmp_eq_u32 s29, 44
	s_mov_b32 s2, -1
	s_cbranch_scc0 .LBB191_53
; %bb.50:
	v_cndmask_b32_e64 v5, 0, 1.0, s1
	s_mov_b32 s30, exec_lo
	s_wait_xcnt 0x0
	s_delay_alu instid0(VALU_DEP_1) | instskip(NEXT) | instid1(VALU_DEP_1)
	v_dual_mov_b32 v4, 0xff :: v_dual_lshrrev_b32 v1, 23, v5
	v_cmpx_ne_u32_e32 0xff, v1
; %bb.51:
	v_and_b32_e32 v4, 0x400000, v5
	v_and_or_b32 v5, 0x3fffff, v5, v1
	s_delay_alu instid0(VALU_DEP_2) | instskip(NEXT) | instid1(VALU_DEP_2)
	v_cmp_ne_u32_e32 vcc_lo, 0, v4
	v_cmp_ne_u32_e64 s2, 0, v5
	s_and_b32 s2, vcc_lo, s2
	s_delay_alu instid0(SALU_CYCLE_1) | instskip(NEXT) | instid1(VALU_DEP_1)
	v_cndmask_b32_e64 v4, 0, 1, s2
	v_add_nc_u32_e32 v4, v1, v4
; %bb.52:
	s_or_b32 exec_lo, exec_lo, s30
	s_mov_b32 s30, -1
	s_mov_b32 s2, 0
	global_store_b8 v[2:3], v4, off
.LBB191_53:
	s_mov_b32 s31, 0
.LBB191_54:
	s_delay_alu instid0(SALU_CYCLE_1)
	s_and_b32 vcc_lo, exec_lo, s31
	s_cbranch_vccz .LBB191_57
; %bb.55:
	s_cmp_eq_u32 s29, 29
	s_mov_b32 s2, -1
	s_cbranch_scc0 .LBB191_57
; %bb.56:
	s_mov_b32 s2, 0
	s_wait_xcnt 0x0
	v_cndmask_b32_e64 v4, 0, 1, s1
	v_mov_b32_e32 v5, s2
	s_mov_b32 s30, -1
	s_mov_b32 s31, 0
	global_store_b64 v[2:3], v[4:5], off
	s_branch .LBB191_58
.LBB191_57:
	s_mov_b32 s31, 0
.LBB191_58:
	s_delay_alu instid0(SALU_CYCLE_1)
	s_and_b32 vcc_lo, exec_lo, s31
	s_cbranch_vccz .LBB191_74
; %bb.59:
	s_cmp_lt_i32 s29, 27
	s_mov_b32 s30, -1
	s_cbranch_scc1 .LBB191_65
; %bb.60:
	s_cmp_gt_i32 s29, 27
	s_cbranch_scc0 .LBB191_62
; %bb.61:
	s_wait_xcnt 0x0
	v_cndmask_b32_e64 v1, 0, 1, s1
	s_mov_b32 s30, 0
	global_store_b32 v[2:3], v1, off
.LBB191_62:
	s_and_not1_b32 vcc_lo, exec_lo, s30
	s_cbranch_vccnz .LBB191_64
; %bb.63:
	s_wait_xcnt 0x0
	v_cndmask_b32_e64 v1, 0, 1, s1
	global_store_b16 v[2:3], v1, off
.LBB191_64:
	s_mov_b32 s30, 0
.LBB191_65:
	s_delay_alu instid0(SALU_CYCLE_1)
	s_and_not1_b32 vcc_lo, exec_lo, s30
	s_cbranch_vccnz .LBB191_73
; %bb.66:
	s_wait_xcnt 0x0
	v_cndmask_b32_e64 v4, 0, 1.0, s1
	v_mov_b32_e32 v5, 0x80
	s_mov_b32 s30, exec_lo
	s_delay_alu instid0(VALU_DEP_2)
	v_cmpx_gt_u32_e32 0x43800000, v4
	s_cbranch_execz .LBB191_72
; %bb.67:
	s_mov_b32 s31, 0
	s_mov_b32 s34, exec_lo
                                        ; implicit-def: $vgpr1
	v_cmpx_lt_u32_e32 0x3bffffff, v4
	s_xor_b32 s34, exec_lo, s34
	s_cbranch_execz .LBB191_310
; %bb.68:
	v_bfe_u32 v1, v4, 20, 1
	s_mov_b32 s31, exec_lo
	s_delay_alu instid0(VALU_DEP_1) | instskip(NEXT) | instid1(VALU_DEP_1)
	v_add3_u32 v1, v4, v1, 0x487ffff
                                        ; implicit-def: $vgpr4
	v_lshrrev_b32_e32 v1, 20, v1
	s_and_not1_saveexec_b32 s34, s34
	s_cbranch_execnz .LBB191_311
.LBB191_69:
	s_or_b32 exec_lo, exec_lo, s34
	v_mov_b32_e32 v5, 0
	s_and_saveexec_b32 s34, s31
.LBB191_70:
	v_mov_b32_e32 v5, v1
.LBB191_71:
	s_or_b32 exec_lo, exec_lo, s34
.LBB191_72:
	s_delay_alu instid0(SALU_CYCLE_1)
	s_or_b32 exec_lo, exec_lo, s30
	global_store_b8 v[2:3], v5, off
.LBB191_73:
	s_mov_b32 s30, -1
.LBB191_74:
	s_mov_b32 s31, 0
.LBB191_75:
	s_delay_alu instid0(SALU_CYCLE_1)
	s_and_b32 vcc_lo, exec_lo, s31
	s_cbranch_vccz .LBB191_116
; %bb.76:
	s_cmp_gt_i32 s29, 22
	s_mov_b32 s31, -1
	s_cbranch_scc0 .LBB191_108
; %bb.77:
	s_cmp_lt_i32 s29, 24
	s_mov_b32 s30, -1
	s_cbranch_scc1 .LBB191_97
; %bb.78:
	s_cmp_gt_i32 s29, 24
	s_cbranch_scc0 .LBB191_86
; %bb.79:
	s_wait_xcnt 0x0
	v_cndmask_b32_e64 v4, 0, 1.0, s1
	v_mov_b32_e32 v5, 0x80
	s_mov_b32 s30, exec_lo
	s_delay_alu instid0(VALU_DEP_2)
	v_cmpx_gt_u32_e32 0x47800000, v4
	s_cbranch_execz .LBB191_85
; %bb.80:
	s_mov_b32 s31, 0
	s_mov_b32 s34, exec_lo
                                        ; implicit-def: $vgpr1
	v_cmpx_lt_u32_e32 0x37ffffff, v4
	s_xor_b32 s34, exec_lo, s34
	s_cbranch_execz .LBB191_314
; %bb.81:
	v_bfe_u32 v1, v4, 21, 1
	s_mov_b32 s31, exec_lo
	s_delay_alu instid0(VALU_DEP_1) | instskip(NEXT) | instid1(VALU_DEP_1)
	v_add3_u32 v1, v4, v1, 0x88fffff
                                        ; implicit-def: $vgpr4
	v_lshrrev_b32_e32 v1, 21, v1
	s_and_not1_saveexec_b32 s34, s34
	s_cbranch_execnz .LBB191_315
.LBB191_82:
	s_or_b32 exec_lo, exec_lo, s34
	v_mov_b32_e32 v5, 0
	s_and_saveexec_b32 s34, s31
.LBB191_83:
	v_mov_b32_e32 v5, v1
.LBB191_84:
	s_or_b32 exec_lo, exec_lo, s34
.LBB191_85:
	s_delay_alu instid0(SALU_CYCLE_1)
	s_or_b32 exec_lo, exec_lo, s30
	s_mov_b32 s30, 0
	global_store_b8 v[2:3], v5, off
.LBB191_86:
	s_and_b32 vcc_lo, exec_lo, s30
	s_cbranch_vccz .LBB191_96
; %bb.87:
	s_wait_xcnt 0x0
	v_cndmask_b32_e64 v4, 0, 1.0, s1
	s_mov_b32 s30, exec_lo
                                        ; implicit-def: $vgpr1
	s_delay_alu instid0(VALU_DEP_1)
	v_cmpx_gt_u32_e32 0x43f00000, v4
	s_xor_b32 s30, exec_lo, s30
	s_cbranch_execz .LBB191_93
; %bb.88:
	s_mov_b32 s31, exec_lo
                                        ; implicit-def: $vgpr1
	v_cmpx_lt_u32_e32 0x3c7fffff, v4
	s_xor_b32 s31, exec_lo, s31
; %bb.89:
	v_bfe_u32 v1, v4, 20, 1
	s_delay_alu instid0(VALU_DEP_1) | instskip(NEXT) | instid1(VALU_DEP_1)
	v_add3_u32 v1, v4, v1, 0x407ffff
	v_and_b32_e32 v4, 0xff00000, v1
	v_lshrrev_b32_e32 v1, 20, v1
	s_delay_alu instid0(VALU_DEP_2) | instskip(NEXT) | instid1(VALU_DEP_2)
	v_cmp_ne_u32_e32 vcc_lo, 0x7f00000, v4
                                        ; implicit-def: $vgpr4
	v_cndmask_b32_e32 v1, 0x7e, v1, vcc_lo
; %bb.90:
	s_and_not1_saveexec_b32 s31, s31
; %bb.91:
	v_add_f32_e32 v1, 0x46800000, v4
; %bb.92:
	s_or_b32 exec_lo, exec_lo, s31
                                        ; implicit-def: $vgpr4
.LBB191_93:
	s_and_not1_saveexec_b32 s30, s30
; %bb.94:
	v_mov_b32_e32 v1, 0x7f
	v_cmp_lt_u32_e32 vcc_lo, 0x7f800000, v4
	s_delay_alu instid0(VALU_DEP_2)
	v_cndmask_b32_e32 v1, 0x7e, v1, vcc_lo
; %bb.95:
	s_or_b32 exec_lo, exec_lo, s30
	global_store_b8 v[2:3], v1, off
.LBB191_96:
	s_mov_b32 s30, 0
.LBB191_97:
	s_delay_alu instid0(SALU_CYCLE_1)
	s_and_not1_b32 vcc_lo, exec_lo, s30
	s_cbranch_vccnz .LBB191_107
; %bb.98:
	s_wait_xcnt 0x0
	v_cndmask_b32_e64 v4, 0, 1.0, s1
	s_mov_b32 s30, exec_lo
                                        ; implicit-def: $vgpr1
	s_delay_alu instid0(VALU_DEP_1)
	v_cmpx_gt_u32_e32 0x47800000, v4
	s_xor_b32 s30, exec_lo, s30
	s_cbranch_execz .LBB191_104
; %bb.99:
	s_mov_b32 s31, exec_lo
                                        ; implicit-def: $vgpr1
	v_cmpx_lt_u32_e32 0x387fffff, v4
	s_xor_b32 s31, exec_lo, s31
; %bb.100:
	v_bfe_u32 v1, v4, 21, 1
	s_delay_alu instid0(VALU_DEP_1) | instskip(NEXT) | instid1(VALU_DEP_1)
	v_add3_u32 v1, v4, v1, 0x80fffff
                                        ; implicit-def: $vgpr4
	v_lshrrev_b32_e32 v1, 21, v1
; %bb.101:
	s_and_not1_saveexec_b32 s31, s31
; %bb.102:
	v_add_f32_e32 v1, 0x43000000, v4
; %bb.103:
	s_or_b32 exec_lo, exec_lo, s31
                                        ; implicit-def: $vgpr4
.LBB191_104:
	s_and_not1_saveexec_b32 s30, s30
; %bb.105:
	v_mov_b32_e32 v1, 0x7f
	v_cmp_lt_u32_e32 vcc_lo, 0x7f800000, v4
	s_delay_alu instid0(VALU_DEP_2)
	v_cndmask_b32_e32 v1, 0x7c, v1, vcc_lo
; %bb.106:
	s_or_b32 exec_lo, exec_lo, s30
	global_store_b8 v[2:3], v1, off
.LBB191_107:
	s_mov_b32 s31, 0
	s_mov_b32 s30, -1
.LBB191_108:
	s_and_not1_b32 vcc_lo, exec_lo, s31
	s_cbranch_vccnz .LBB191_116
; %bb.109:
	s_cmp_gt_i32 s29, 14
	s_mov_b32 s31, -1
	s_cbranch_scc0 .LBB191_113
; %bb.110:
	s_cmp_eq_u32 s29, 15
	s_mov_b32 s2, -1
	s_cbranch_scc0 .LBB191_112
; %bb.111:
	s_wait_xcnt 0x0
	v_cndmask_b32_e64 v1, 0, 1.0, s1
	s_mov_b32 s30, -1
	s_mov_b32 s2, 0
	s_delay_alu instid0(VALU_DEP_1) | instskip(NEXT) | instid1(VALU_DEP_1)
	v_bfe_u32 v4, v1, 16, 1
	v_add3_u32 v1, v1, v4, 0x7fff
	global_store_d16_hi_b16 v[2:3], v1, off
.LBB191_112:
	s_mov_b32 s31, 0
.LBB191_113:
	s_delay_alu instid0(SALU_CYCLE_1)
	s_and_b32 vcc_lo, exec_lo, s31
	s_cbranch_vccz .LBB191_116
; %bb.114:
	s_cmp_eq_u32 s29, 11
	s_mov_b32 s2, -1
	s_cbranch_scc0 .LBB191_116
; %bb.115:
	s_wait_xcnt 0x0
	v_cndmask_b32_e64 v1, 0, 1, s1
	s_mov_b32 s30, -1
	s_mov_b32 s2, 0
	global_store_b8 v[2:3], v1, off
.LBB191_116:
	s_branch .LBB191_35
.LBB191_117:
	s_and_b32 s16, 0xffff, s16
	s_mov_b32 s29, -1
	s_cmp_lt_i32 s16, 5
	s_cbranch_scc1 .LBB191_138
; %bb.118:
	s_cmp_lt_i32 s16, 8
	s_cbranch_scc1 .LBB191_128
; %bb.119:
	;; [unrolled: 3-line block ×3, first 2 shown]
	s_cmp_gt_i32 s16, 9
	s_cbranch_scc0 .LBB191_122
; %bb.121:
	s_wait_xcnt 0x0
	v_cndmask_b32_e64 v1, 0, 1, s1
	v_mov_b32_e32 v6, 0
	s_mov_b32 s29, 0
	s_delay_alu instid0(VALU_DEP_2) | instskip(NEXT) | instid1(VALU_DEP_2)
	v_cvt_f64_u32_e32 v[4:5], v1
	v_mov_b32_e32 v7, v6
	global_store_b128 v[2:3], v[4:7], off
.LBB191_122:
	s_and_not1_b32 vcc_lo, exec_lo, s29
	s_cbranch_vccnz .LBB191_124
; %bb.123:
	s_wait_xcnt 0x0
	v_cndmask_b32_e64 v4, 0, 1.0, s1
	v_mov_b32_e32 v5, 0
	global_store_b64 v[2:3], v[4:5], off
.LBB191_124:
	s_mov_b32 s29, 0
.LBB191_125:
	s_delay_alu instid0(SALU_CYCLE_1)
	s_and_not1_b32 vcc_lo, exec_lo, s29
	s_cbranch_vccnz .LBB191_127
; %bb.126:
	s_wait_xcnt 0x0
	v_cndmask_b32_e64 v1, 0, 1.0, s1
	s_delay_alu instid0(VALU_DEP_1) | instskip(NEXT) | instid1(VALU_DEP_1)
	v_cvt_f16_f32_e32 v1, v1
	v_and_b32_e32 v1, 0xffff, v1
	global_store_b32 v[2:3], v1, off
.LBB191_127:
	s_mov_b32 s29, 0
.LBB191_128:
	s_delay_alu instid0(SALU_CYCLE_1)
	s_and_not1_b32 vcc_lo, exec_lo, s29
	s_cbranch_vccnz .LBB191_137
; %bb.129:
	s_cmp_lt_i32 s16, 6
	s_mov_b32 s29, -1
	s_cbranch_scc1 .LBB191_135
; %bb.130:
	s_cmp_gt_i32 s16, 6
	s_cbranch_scc0 .LBB191_132
; %bb.131:
	s_wait_xcnt 0x0
	v_cndmask_b32_e64 v1, 0, 1, s1
	s_mov_b32 s29, 0
	s_delay_alu instid0(VALU_DEP_1)
	v_cvt_f64_u32_e32 v[4:5], v1
	global_store_b64 v[2:3], v[4:5], off
.LBB191_132:
	s_and_not1_b32 vcc_lo, exec_lo, s29
	s_cbranch_vccnz .LBB191_134
; %bb.133:
	s_wait_xcnt 0x0
	v_cndmask_b32_e64 v1, 0, 1.0, s1
	global_store_b32 v[2:3], v1, off
.LBB191_134:
	s_mov_b32 s29, 0
.LBB191_135:
	s_delay_alu instid0(SALU_CYCLE_1)
	s_and_not1_b32 vcc_lo, exec_lo, s29
	s_cbranch_vccnz .LBB191_137
; %bb.136:
	s_wait_xcnt 0x0
	v_cndmask_b32_e64 v1, 0, 1.0, s1
	s_delay_alu instid0(VALU_DEP_1)
	v_cvt_f16_f32_e32 v1, v1
	global_store_b16 v[2:3], v1, off
.LBB191_137:
	s_mov_b32 s29, 0
.LBB191_138:
	s_delay_alu instid0(SALU_CYCLE_1)
	s_and_not1_b32 vcc_lo, exec_lo, s29
	s_cbranch_vccnz .LBB191_154
; %bb.139:
	s_cmp_lt_i32 s16, 2
	s_mov_b32 s29, -1
	s_cbranch_scc1 .LBB191_149
; %bb.140:
	s_cmp_lt_i32 s16, 3
	s_cbranch_scc1 .LBB191_146
; %bb.141:
	s_cmp_gt_i32 s16, 3
	s_cbranch_scc0 .LBB191_143
; %bb.142:
	s_mov_b32 s29, 0
	s_wait_xcnt 0x0
	v_cndmask_b32_e64 v4, 0, 1, s1
	v_mov_b32_e32 v5, s29
	global_store_b64 v[2:3], v[4:5], off
.LBB191_143:
	s_and_not1_b32 vcc_lo, exec_lo, s29
	s_cbranch_vccnz .LBB191_145
; %bb.144:
	s_wait_xcnt 0x0
	v_cndmask_b32_e64 v1, 0, 1, s1
	global_store_b32 v[2:3], v1, off
.LBB191_145:
	s_mov_b32 s29, 0
.LBB191_146:
	s_delay_alu instid0(SALU_CYCLE_1)
	s_and_not1_b32 vcc_lo, exec_lo, s29
	s_cbranch_vccnz .LBB191_148
; %bb.147:
	s_wait_xcnt 0x0
	v_cndmask_b32_e64 v1, 0, 1, s1
	global_store_b16 v[2:3], v1, off
.LBB191_148:
	s_mov_b32 s29, 0
.LBB191_149:
	s_delay_alu instid0(SALU_CYCLE_1)
	s_and_not1_b32 vcc_lo, exec_lo, s29
	s_cbranch_vccnz .LBB191_154
; %bb.150:
	s_cmp_gt_i32 s16, 0
	s_mov_b32 s16, -1
	s_cbranch_scc0 .LBB191_152
; %bb.151:
	s_wait_xcnt 0x0
	v_cndmask_b32_e64 v1, 0, 1, s1
	s_mov_b32 s16, 0
	global_store_b8 v[2:3], v1, off
.LBB191_152:
	s_and_not1_b32 vcc_lo, exec_lo, s16
	s_cbranch_vccnz .LBB191_154
; %bb.153:
	s_wait_xcnt 0x0
	v_cndmask_b32_e64 v1, 0, 1, s1
	global_store_b8 v[2:3], v1, off
.LBB191_154:
.LBB191_155:
	v_add_nc_u32_e32 v0, 0x80, v0
	s_mov_b32 s1, -1
	s_branch .LBB191_266
.LBB191_156:
	s_mov_b32 s28, -1
                                        ; implicit-def: $vgpr1
.LBB191_157:
	s_mov_b32 s16, 0
.LBB191_158:
	s_delay_alu instid0(SALU_CYCLE_1)
	s_and_b32 vcc_lo, exec_lo, s16
	s_cbranch_vccz .LBB191_162
; %bb.159:
	s_cmp_eq_u32 s1, 29
	s_cbranch_scc0 .LBB191_161
; %bb.160:
	global_load_b64 v[6:7], v[4:5], off
	s_mov_b32 s2, -1
	s_mov_b32 s28, 0
	s_mov_b32 s16, 0
	s_wait_loadcnt 0x0
	v_clz_i32_u32_e32 v1, v7
	s_delay_alu instid0(VALU_DEP_1) | instskip(NEXT) | instid1(VALU_DEP_1)
	v_min_u32_e32 v1, 32, v1
	v_lshlrev_b64_e32 v[6:7], v1, v[6:7]
	v_sub_nc_u32_e32 v1, 32, v1
	s_delay_alu instid0(VALU_DEP_2) | instskip(NEXT) | instid1(VALU_DEP_1)
	v_min_u32_e32 v3, 1, v6
	v_or_b32_e32 v3, v7, v3
	s_delay_alu instid0(VALU_DEP_1) | instskip(NEXT) | instid1(VALU_DEP_1)
	v_cvt_f32_u32_e32 v3, v3
	v_ldexp_f32 v1, v3, v1
	s_delay_alu instid0(VALU_DEP_1)
	v_cvt_f16_f32_e32 v1, v1
	s_branch .LBB191_163
.LBB191_161:
	s_mov_b32 s28, -1
                                        ; implicit-def: $vgpr1
.LBB191_162:
	s_mov_b32 s16, 0
.LBB191_163:
	s_delay_alu instid0(SALU_CYCLE_1)
	s_and_b32 vcc_lo, exec_lo, s16
	s_cbranch_vccz .LBB191_181
; %bb.164:
	s_cmp_lt_i32 s1, 27
	s_cbranch_scc1 .LBB191_167
; %bb.165:
	s_cmp_gt_i32 s1, 27
	s_cbranch_scc0 .LBB191_168
; %bb.166:
	global_load_b32 v1, v[4:5], off
	s_mov_b32 s2, 0
	s_wait_loadcnt 0x0
	v_cvt_f32_u32_e32 v1, v1
	s_delay_alu instid0(VALU_DEP_1)
	v_cvt_f16_f32_e32 v1, v1
	s_branch .LBB191_169
.LBB191_167:
	s_mov_b32 s2, -1
                                        ; implicit-def: $vgpr1
	s_branch .LBB191_172
.LBB191_168:
	s_mov_b32 s2, -1
                                        ; implicit-def: $vgpr1
.LBB191_169:
	s_delay_alu instid0(SALU_CYCLE_1)
	s_and_not1_b32 vcc_lo, exec_lo, s2
	s_cbranch_vccnz .LBB191_171
; %bb.170:
	global_load_u16 v1, v[4:5], off
	s_wait_loadcnt 0x0
	v_cvt_f16_u16_e32 v1, v1
.LBB191_171:
	s_mov_b32 s2, 0
.LBB191_172:
	s_delay_alu instid0(SALU_CYCLE_1)
	s_and_not1_b32 vcc_lo, exec_lo, s2
	s_cbranch_vccnz .LBB191_180
; %bb.173:
	global_load_u8 v3, v[4:5], off
	s_mov_b32 s2, 0
	s_mov_b32 s16, exec_lo
	s_wait_loadcnt 0x0
	v_cmpx_lt_i16_e32 0x7f, v3
	s_xor_b32 s16, exec_lo, s16
	s_cbranch_execz .LBB191_193
; %bb.174:
	s_mov_b32 s2, -1
	s_mov_b32 s29, exec_lo
	v_cmpx_eq_u16_e32 0x80, v3
; %bb.175:
	s_xor_b32 s2, exec_lo, -1
; %bb.176:
	s_or_b32 exec_lo, exec_lo, s29
	s_delay_alu instid0(SALU_CYCLE_1)
	s_and_b32 s2, s2, exec_lo
	s_or_saveexec_b32 s16, s16
	v_mov_b32_e32 v1, 0x7e00
	s_xor_b32 exec_lo, exec_lo, s16
	s_cbranch_execnz .LBB191_194
.LBB191_177:
	s_or_b32 exec_lo, exec_lo, s16
	s_and_saveexec_b32 s16, s2
	s_cbranch_execz .LBB191_179
.LBB191_178:
	v_and_b32_e32 v1, 0xffff, v3
	s_delay_alu instid0(VALU_DEP_1) | instskip(SKIP_1) | instid1(VALU_DEP_2)
	v_and_b32_e32 v6, 7, v1
	v_bfe_u32 v9, v1, 3, 4
	v_clz_i32_u32_e32 v7, v6
	s_delay_alu instid0(VALU_DEP_2) | instskip(NEXT) | instid1(VALU_DEP_2)
	v_cmp_eq_u32_e32 vcc_lo, 0, v9
	v_min_u32_e32 v7, 32, v7
	s_delay_alu instid0(VALU_DEP_1) | instskip(NEXT) | instid1(VALU_DEP_1)
	v_subrev_nc_u32_e32 v8, 28, v7
	v_dual_lshlrev_b32 v1, v8, v1 :: v_dual_sub_nc_u32 v7, 29, v7
	s_delay_alu instid0(VALU_DEP_1) | instskip(NEXT) | instid1(VALU_DEP_1)
	v_dual_lshlrev_b32 v3, 24, v3 :: v_dual_bitop2_b32 v1, 7, v1 bitop3:0x40
	v_dual_cndmask_b32 v1, v6, v1, vcc_lo :: v_dual_cndmask_b32 v7, v9, v7, vcc_lo
	s_delay_alu instid0(VALU_DEP_2) | instskip(NEXT) | instid1(VALU_DEP_2)
	v_and_b32_e32 v3, 0x80000000, v3
	v_lshlrev_b32_e32 v1, 20, v1
	s_delay_alu instid0(VALU_DEP_3) | instskip(NEXT) | instid1(VALU_DEP_1)
	v_lshl_add_u32 v6, v7, 23, 0x3b800000
	v_or3_b32 v1, v3, v6, v1
	s_delay_alu instid0(VALU_DEP_1)
	v_cvt_f16_f32_e32 v1, v1
.LBB191_179:
	s_or_b32 exec_lo, exec_lo, s16
.LBB191_180:
	s_mov_b32 s2, -1
.LBB191_181:
	s_branch .LBB191_216
.LBB191_182:
	s_cmp_gt_i32 s1, 22
	s_cbranch_scc0 .LBB191_192
; %bb.183:
	s_cmp_lt_i32 s1, 24
	s_cbranch_scc1 .LBB191_195
; %bb.184:
	s_cmp_gt_i32 s1, 24
	s_cbranch_scc0 .LBB191_196
; %bb.185:
	global_load_u8 v3, v[4:5], off
	s_mov_b32 s2, 0
	s_mov_b32 s16, exec_lo
	s_wait_loadcnt 0x0
	v_cmpx_lt_i16_e32 0x7f, v3
	s_xor_b32 s16, exec_lo, s16
	s_cbranch_execz .LBB191_208
; %bb.186:
	s_mov_b32 s2, -1
	s_mov_b32 s29, exec_lo
	v_cmpx_eq_u16_e32 0x80, v3
; %bb.187:
	s_xor_b32 s2, exec_lo, -1
; %bb.188:
	s_or_b32 exec_lo, exec_lo, s29
	s_delay_alu instid0(SALU_CYCLE_1)
	s_and_b32 s2, s2, exec_lo
	s_or_saveexec_b32 s16, s16
	v_mov_b32_e32 v1, 0x7e00
	s_xor_b32 exec_lo, exec_lo, s16
	s_cbranch_execnz .LBB191_209
.LBB191_189:
	s_or_b32 exec_lo, exec_lo, s16
	s_and_saveexec_b32 s16, s2
	s_cbranch_execz .LBB191_191
.LBB191_190:
	v_and_b32_e32 v1, 0xffff, v3
	s_delay_alu instid0(VALU_DEP_1) | instskip(SKIP_1) | instid1(VALU_DEP_2)
	v_and_b32_e32 v6, 3, v1
	v_bfe_u32 v9, v1, 2, 5
	v_clz_i32_u32_e32 v7, v6
	s_delay_alu instid0(VALU_DEP_2) | instskip(NEXT) | instid1(VALU_DEP_2)
	v_cmp_eq_u32_e32 vcc_lo, 0, v9
	v_min_u32_e32 v7, 32, v7
	s_delay_alu instid0(VALU_DEP_1) | instskip(NEXT) | instid1(VALU_DEP_1)
	v_subrev_nc_u32_e32 v8, 29, v7
	v_dual_lshlrev_b32 v1, v8, v1 :: v_dual_sub_nc_u32 v7, 30, v7
	s_delay_alu instid0(VALU_DEP_1) | instskip(NEXT) | instid1(VALU_DEP_1)
	v_dual_lshlrev_b32 v3, 24, v3 :: v_dual_bitop2_b32 v1, 3, v1 bitop3:0x40
	v_dual_cndmask_b32 v1, v6, v1, vcc_lo :: v_dual_cndmask_b32 v7, v9, v7, vcc_lo
	s_delay_alu instid0(VALU_DEP_2) | instskip(NEXT) | instid1(VALU_DEP_2)
	v_and_b32_e32 v3, 0x80000000, v3
	v_lshlrev_b32_e32 v1, 21, v1
	s_delay_alu instid0(VALU_DEP_3) | instskip(NEXT) | instid1(VALU_DEP_1)
	v_lshl_add_u32 v6, v7, 23, 0x37800000
	v_or3_b32 v1, v3, v6, v1
	s_delay_alu instid0(VALU_DEP_1)
	v_cvt_f16_f32_e32 v1, v1
.LBB191_191:
	s_or_b32 exec_lo, exec_lo, s16
	s_mov_b32 s2, 0
	s_branch .LBB191_197
.LBB191_192:
	s_mov_b32 s16, -1
                                        ; implicit-def: $vgpr1
	s_branch .LBB191_203
.LBB191_193:
	s_or_saveexec_b32 s16, s16
	v_mov_b32_e32 v1, 0x7e00
	s_xor_b32 exec_lo, exec_lo, s16
	s_cbranch_execz .LBB191_177
.LBB191_194:
	v_cmp_ne_u16_e32 vcc_lo, 0, v3
	v_mov_b32_e32 v1, v3
	s_and_not1_b32 s2, s2, exec_lo
	s_and_b32 s29, vcc_lo, exec_lo
	s_delay_alu instid0(SALU_CYCLE_1)
	s_or_b32 s2, s2, s29
	s_or_b32 exec_lo, exec_lo, s16
	s_and_saveexec_b32 s16, s2
	s_cbranch_execnz .LBB191_178
	s_branch .LBB191_179
.LBB191_195:
	s_mov_b32 s2, -1
                                        ; implicit-def: $vgpr1
	s_branch .LBB191_200
.LBB191_196:
	s_mov_b32 s2, -1
                                        ; implicit-def: $vgpr1
.LBB191_197:
	s_delay_alu instid0(SALU_CYCLE_1)
	s_and_b32 vcc_lo, exec_lo, s2
	s_cbranch_vccz .LBB191_199
; %bb.198:
	global_load_u8 v1, v[4:5], off
	s_wait_loadcnt 0x0
	v_lshlrev_b32_e32 v1, 24, v1
	s_delay_alu instid0(VALU_DEP_1) | instskip(NEXT) | instid1(VALU_DEP_1)
	v_and_b32_e32 v3, 0x7f000000, v1
	v_clz_i32_u32_e32 v6, v3
	v_cmp_ne_u32_e32 vcc_lo, 0, v3
	v_add_nc_u32_e32 v8, 0x1000000, v3
	s_delay_alu instid0(VALU_DEP_3) | instskip(NEXT) | instid1(VALU_DEP_1)
	v_min_u32_e32 v6, 32, v6
	v_sub_nc_u32_e64 v6, v6, 4 clamp
	s_delay_alu instid0(VALU_DEP_1) | instskip(NEXT) | instid1(VALU_DEP_1)
	v_dual_lshlrev_b32 v7, v6, v3 :: v_dual_lshlrev_b32 v6, 23, v6
	v_lshrrev_b32_e32 v7, 4, v7
	s_delay_alu instid0(VALU_DEP_1) | instskip(NEXT) | instid1(VALU_DEP_1)
	v_dual_sub_nc_u32 v6, v7, v6 :: v_dual_ashrrev_i32 v7, 8, v8
	v_add_nc_u32_e32 v6, 0x3c000000, v6
	s_delay_alu instid0(VALU_DEP_1) | instskip(NEXT) | instid1(VALU_DEP_1)
	v_and_or_b32 v6, 0x7f800000, v7, v6
	v_cndmask_b32_e32 v3, 0, v6, vcc_lo
	s_delay_alu instid0(VALU_DEP_1) | instskip(NEXT) | instid1(VALU_DEP_1)
	v_and_or_b32 v1, 0x80000000, v1, v3
	v_cvt_f16_f32_e32 v1, v1
.LBB191_199:
	s_mov_b32 s2, 0
.LBB191_200:
	s_delay_alu instid0(SALU_CYCLE_1)
	s_and_not1_b32 vcc_lo, exec_lo, s2
	s_cbranch_vccnz .LBB191_202
; %bb.201:
	global_load_u8 v1, v[4:5], off
	s_wait_loadcnt 0x0
	v_lshlrev_b32_e32 v3, 25, v1
	v_lshlrev_b16 v1, 8, v1
	s_delay_alu instid0(VALU_DEP_1) | instskip(SKIP_1) | instid1(VALU_DEP_2)
	v_and_or_b32 v7, 0x7f00, v1, 0.5
	v_bfe_i32 v1, v1, 0, 16
	v_add_f32_e32 v7, -0.5, v7
	v_lshrrev_b32_e32 v6, 4, v3
	v_cmp_gt_u32_e32 vcc_lo, 0x8000000, v3
	s_delay_alu instid0(VALU_DEP_2) | instskip(NEXT) | instid1(VALU_DEP_1)
	v_or_b32_e32 v6, 0x70000000, v6
	v_mul_f32_e32 v6, 0x7800000, v6
	s_delay_alu instid0(VALU_DEP_1) | instskip(NEXT) | instid1(VALU_DEP_1)
	v_cndmask_b32_e32 v3, v6, v7, vcc_lo
	v_and_or_b32 v1, 0x80000000, v1, v3
	s_delay_alu instid0(VALU_DEP_1)
	v_cvt_f16_f32_e32 v1, v1
.LBB191_202:
	s_mov_b32 s16, 0
	s_mov_b32 s2, -1
.LBB191_203:
	s_and_not1_b32 vcc_lo, exec_lo, s16
	s_cbranch_vccnz .LBB191_216
; %bb.204:
	s_cmp_gt_i32 s1, 14
	s_cbranch_scc0 .LBB191_207
; %bb.205:
	s_cmp_eq_u32 s1, 15
	s_cbranch_scc0 .LBB191_210
; %bb.206:
	global_load_u16 v1, v[4:5], off
	s_mov_b32 s2, -1
	s_mov_b32 s28, 0
	s_wait_loadcnt 0x0
	v_lshlrev_b32_e32 v1, 16, v1
	s_delay_alu instid0(VALU_DEP_1)
	v_cvt_f16_f32_e32 v1, v1
	s_branch .LBB191_211
.LBB191_207:
	s_mov_b32 s16, -1
                                        ; implicit-def: $vgpr1
	s_branch .LBB191_212
.LBB191_208:
	s_or_saveexec_b32 s16, s16
	v_mov_b32_e32 v1, 0x7e00
	s_xor_b32 exec_lo, exec_lo, s16
	s_cbranch_execz .LBB191_189
.LBB191_209:
	v_cmp_ne_u16_e32 vcc_lo, 0, v3
	v_mov_b32_e32 v1, v3
	s_and_not1_b32 s2, s2, exec_lo
	s_and_b32 s29, vcc_lo, exec_lo
	s_delay_alu instid0(SALU_CYCLE_1)
	s_or_b32 s2, s2, s29
	s_or_b32 exec_lo, exec_lo, s16
	s_and_saveexec_b32 s16, s2
	s_cbranch_execnz .LBB191_190
	s_branch .LBB191_191
.LBB191_210:
	s_mov_b32 s28, -1
                                        ; implicit-def: $vgpr1
.LBB191_211:
	s_mov_b32 s16, 0
.LBB191_212:
	s_delay_alu instid0(SALU_CYCLE_1)
	s_and_b32 vcc_lo, exec_lo, s16
	s_cbranch_vccz .LBB191_216
; %bb.213:
	s_cmp_eq_u32 s1, 11
	s_cbranch_scc0 .LBB191_215
; %bb.214:
	global_load_u8 v1, v[4:5], off
	s_mov_b32 s28, 0
	s_mov_b32 s2, -1
	s_wait_loadcnt 0x0
	v_cmp_ne_u16_e32 vcc_lo, 0, v1
	v_cndmask_b32_e64 v1, 0, 0x3c00, vcc_lo
	s_branch .LBB191_216
.LBB191_215:
	s_mov_b32 s28, -1
                                        ; implicit-def: $vgpr1
.LBB191_216:
	s_branch .LBB191_25
.LBB191_217:
	s_cmp_lt_i32 s1, 5
	s_cbranch_scc1 .LBB191_222
; %bb.218:
	s_cmp_lt_i32 s1, 8
	s_cbranch_scc1 .LBB191_223
; %bb.219:
	;; [unrolled: 3-line block ×3, first 2 shown]
	s_cmp_gt_i32 s1, 9
	s_cbranch_scc0 .LBB191_225
; %bb.221:
	global_load_b64 v[6:7], v[4:5], off
	s_mov_b32 s2, 0
	s_wait_loadcnt 0x0
	v_and_or_b32 v1, 0x1ff, v7, v6
	v_lshrrev_b32_e32 v3, 8, v7
	v_bfe_u32 v6, v7, 20, 11
	s_delay_alu instid0(VALU_DEP_3) | instskip(NEXT) | instid1(VALU_DEP_2)
	v_cmp_ne_u32_e32 vcc_lo, 0, v1
	v_sub_nc_u32_e32 v8, 0x3f1, v6
	v_add_nc_u32_e32 v6, 0xfffffc10, v6
	v_cndmask_b32_e64 v1, 0, 1, vcc_lo
	s_delay_alu instid0(VALU_DEP_1) | instskip(NEXT) | instid1(VALU_DEP_4)
	v_and_or_b32 v1, 0xffe, v3, v1
	v_med3_i32 v3, v8, 0, 13
	s_delay_alu instid0(VALU_DEP_2) | instskip(NEXT) | instid1(VALU_DEP_1)
	v_or_b32_e32 v8, 0x1000, v1
	v_lshrrev_b32_e32 v9, v3, v8
	s_delay_alu instid0(VALU_DEP_1) | instskip(NEXT) | instid1(VALU_DEP_1)
	v_lshlrev_b32_e32 v3, v3, v9
	v_cmp_ne_u32_e32 vcc_lo, v3, v8
	v_lshl_or_b32 v8, v6, 12, v1
	v_cndmask_b32_e64 v3, 0, 1, vcc_lo
	v_cmp_gt_i32_e32 vcc_lo, 1, v6
	s_delay_alu instid0(VALU_DEP_2) | instskip(NEXT) | instid1(VALU_DEP_1)
	v_or_b32_e32 v3, v9, v3
	v_cndmask_b32_e32 v3, v8, v3, vcc_lo
	s_delay_alu instid0(VALU_DEP_1) | instskip(NEXT) | instid1(VALU_DEP_1)
	v_dual_lshrrev_b32 v3, 2, v3 :: v_dual_bitop2_b32 v8, 7, v3 bitop3:0x40
	v_cmp_lt_i32_e32 vcc_lo, 5, v8
	v_cndmask_b32_e64 v9, 0, 1, vcc_lo
	v_cmp_eq_u32_e32 vcc_lo, 3, v8
	v_cndmask_b32_e64 v8, 0, 1, vcc_lo
	v_cmp_ne_u32_e32 vcc_lo, 0, v1
	s_delay_alu instid0(VALU_DEP_2) | instskip(SKIP_1) | instid1(VALU_DEP_2)
	v_or_b32_e32 v8, v8, v9
	v_mov_b32_e32 v9, 0x7e00
	v_add_nc_u32_e32 v3, v3, v8
	s_delay_alu instid0(VALU_DEP_2) | instskip(SKIP_1) | instid1(VALU_DEP_3)
	v_cndmask_b32_e32 v1, 0x7c00, v9, vcc_lo
	v_cmp_gt_i32_e32 vcc_lo, 31, v6
	v_cndmask_b32_e32 v3, 0x7c00, v3, vcc_lo
	v_cmp_eq_u32_e32 vcc_lo, 0x40f, v6
	s_delay_alu instid0(VALU_DEP_2) | instskip(NEXT) | instid1(VALU_DEP_1)
	v_dual_cndmask_b32 v1, v3, v1, vcc_lo :: v_dual_lshrrev_b32 v3, 16, v7
	v_and_or_b32 v1, 0x8000, v3, v1
	s_branch .LBB191_226
.LBB191_222:
                                        ; implicit-def: $vgpr1
	s_branch .LBB191_244
.LBB191_223:
	s_mov_b32 s2, -1
                                        ; implicit-def: $vgpr1
	s_branch .LBB191_232
.LBB191_224:
	s_mov_b32 s2, -1
                                        ; implicit-def: $vgpr1
	s_branch .LBB191_229
.LBB191_225:
	s_mov_b32 s2, -1
                                        ; implicit-def: $vgpr1
.LBB191_226:
	s_delay_alu instid0(SALU_CYCLE_1)
	s_and_not1_b32 vcc_lo, exec_lo, s2
	s_cbranch_vccnz .LBB191_228
; %bb.227:
	global_load_b32 v1, v[4:5], off
	s_wait_loadcnt 0x0
	v_cvt_f16_f32_e32 v1, v1
.LBB191_228:
	s_mov_b32 s2, 0
.LBB191_229:
	s_delay_alu instid0(SALU_CYCLE_1)
	s_and_not1_b32 vcc_lo, exec_lo, s2
	s_cbranch_vccnz .LBB191_231
; %bb.230:
	global_load_b32 v1, v[4:5], off
.LBB191_231:
	s_mov_b32 s2, 0
.LBB191_232:
	s_delay_alu instid0(SALU_CYCLE_1)
	s_and_not1_b32 vcc_lo, exec_lo, s2
	s_cbranch_vccnz .LBB191_243
; %bb.233:
	s_cmp_lt_i32 s1, 6
	s_cbranch_scc1 .LBB191_236
; %bb.234:
	s_cmp_gt_i32 s1, 6
	s_cbranch_scc0 .LBB191_237
; %bb.235:
	global_load_b64 v[6:7], v[4:5], off
	s_mov_b32 s2, 0
	s_wait_loadcnt 0x0
	v_and_or_b32 v1, 0x1ff, v7, v6
	v_lshrrev_b32_e32 v3, 8, v7
	v_bfe_u32 v6, v7, 20, 11
	s_delay_alu instid0(VALU_DEP_3) | instskip(NEXT) | instid1(VALU_DEP_2)
	v_cmp_ne_u32_e32 vcc_lo, 0, v1
	v_sub_nc_u32_e32 v8, 0x3f1, v6
	v_add_nc_u32_e32 v6, 0xfffffc10, v6
	v_cndmask_b32_e64 v1, 0, 1, vcc_lo
	s_delay_alu instid0(VALU_DEP_1) | instskip(NEXT) | instid1(VALU_DEP_4)
	v_and_or_b32 v1, 0xffe, v3, v1
	v_med3_i32 v3, v8, 0, 13
	s_delay_alu instid0(VALU_DEP_2) | instskip(NEXT) | instid1(VALU_DEP_1)
	v_or_b32_e32 v8, 0x1000, v1
	v_lshrrev_b32_e32 v9, v3, v8
	s_delay_alu instid0(VALU_DEP_1) | instskip(NEXT) | instid1(VALU_DEP_1)
	v_lshlrev_b32_e32 v3, v3, v9
	v_cmp_ne_u32_e32 vcc_lo, v3, v8
	v_lshl_or_b32 v8, v6, 12, v1
	v_cndmask_b32_e64 v3, 0, 1, vcc_lo
	v_cmp_gt_i32_e32 vcc_lo, 1, v6
	s_delay_alu instid0(VALU_DEP_2) | instskip(NEXT) | instid1(VALU_DEP_1)
	v_or_b32_e32 v3, v9, v3
	v_cndmask_b32_e32 v3, v8, v3, vcc_lo
	s_delay_alu instid0(VALU_DEP_1) | instskip(NEXT) | instid1(VALU_DEP_1)
	v_dual_lshrrev_b32 v3, 2, v3 :: v_dual_bitop2_b32 v8, 7, v3 bitop3:0x40
	v_cmp_lt_i32_e32 vcc_lo, 5, v8
	v_cndmask_b32_e64 v9, 0, 1, vcc_lo
	v_cmp_eq_u32_e32 vcc_lo, 3, v8
	v_cndmask_b32_e64 v8, 0, 1, vcc_lo
	v_cmp_ne_u32_e32 vcc_lo, 0, v1
	s_delay_alu instid0(VALU_DEP_2) | instskip(SKIP_1) | instid1(VALU_DEP_2)
	v_or_b32_e32 v8, v8, v9
	v_mov_b32_e32 v9, 0x7e00
	v_add_nc_u32_e32 v3, v3, v8
	s_delay_alu instid0(VALU_DEP_2) | instskip(SKIP_1) | instid1(VALU_DEP_3)
	v_cndmask_b32_e32 v1, 0x7c00, v9, vcc_lo
	v_cmp_gt_i32_e32 vcc_lo, 31, v6
	v_cndmask_b32_e32 v3, 0x7c00, v3, vcc_lo
	v_cmp_eq_u32_e32 vcc_lo, 0x40f, v6
	s_delay_alu instid0(VALU_DEP_2) | instskip(NEXT) | instid1(VALU_DEP_1)
	v_dual_cndmask_b32 v1, v3, v1, vcc_lo :: v_dual_lshrrev_b32 v3, 16, v7
	v_and_or_b32 v1, 0x8000, v3, v1
	s_branch .LBB191_238
.LBB191_236:
	s_mov_b32 s2, -1
                                        ; implicit-def: $vgpr1
	s_branch .LBB191_241
.LBB191_237:
	s_mov_b32 s2, -1
                                        ; implicit-def: $vgpr1
.LBB191_238:
	s_delay_alu instid0(SALU_CYCLE_1)
	s_and_not1_b32 vcc_lo, exec_lo, s2
	s_cbranch_vccnz .LBB191_240
; %bb.239:
	s_wait_loadcnt 0x0
	global_load_b32 v1, v[4:5], off
	s_wait_loadcnt 0x0
	v_cvt_f16_f32_e32 v1, v1
.LBB191_240:
	s_mov_b32 s2, 0
.LBB191_241:
	s_delay_alu instid0(SALU_CYCLE_1)
	s_and_not1_b32 vcc_lo, exec_lo, s2
	s_cbranch_vccnz .LBB191_243
; %bb.242:
	s_wait_loadcnt 0x0
	global_load_u16 v1, v[4:5], off
.LBB191_243:
	s_cbranch_execnz .LBB191_263
.LBB191_244:
	s_cmp_lt_i32 s1, 2
	s_cbranch_scc1 .LBB191_248
; %bb.245:
	s_cmp_lt_i32 s1, 3
	s_cbranch_scc1 .LBB191_249
; %bb.246:
	s_cmp_gt_i32 s1, 3
	s_cbranch_scc0 .LBB191_250
; %bb.247:
	global_load_b64 v[6:7], v[4:5], off
	s_mov_b32 s2, 0
	s_wait_loadcnt 0x0
	v_xor_b32_e32 v1, v6, v7
	v_cls_i32_e32 v3, v7
	s_delay_alu instid0(VALU_DEP_2) | instskip(NEXT) | instid1(VALU_DEP_1)
	v_ashrrev_i32_e32 v1, 31, v1
	v_add_nc_u32_e32 v1, 32, v1
	s_delay_alu instid0(VALU_DEP_1) | instskip(NEXT) | instid1(VALU_DEP_1)
	v_add_min_u32_e64 v1, v3, -1, v1
	v_lshlrev_b64_e32 v[6:7], v1, v[6:7]
	v_sub_nc_u32_e32 v1, 32, v1
	s_delay_alu instid0(VALU_DEP_2) | instskip(NEXT) | instid1(VALU_DEP_1)
	v_min_u32_e32 v3, 1, v6
	v_or_b32_e32 v3, v7, v3
	s_delay_alu instid0(VALU_DEP_1) | instskip(NEXT) | instid1(VALU_DEP_1)
	v_cvt_f32_i32_e32 v3, v3
	v_ldexp_f32 v1, v3, v1
	s_delay_alu instid0(VALU_DEP_1)
	v_cvt_f16_f32_e32 v1, v1
	s_branch .LBB191_251
.LBB191_248:
	s_mov_b32 s2, -1
                                        ; implicit-def: $vgpr1
	s_branch .LBB191_257
.LBB191_249:
	s_mov_b32 s2, -1
                                        ; implicit-def: $vgpr1
	s_branch .LBB191_254
.LBB191_250:
	s_mov_b32 s2, -1
                                        ; implicit-def: $vgpr1
.LBB191_251:
	s_delay_alu instid0(SALU_CYCLE_1)
	s_and_not1_b32 vcc_lo, exec_lo, s2
	s_cbranch_vccnz .LBB191_253
; %bb.252:
	s_wait_loadcnt 0x0
	global_load_b32 v1, v[4:5], off
	s_wait_loadcnt 0x0
	v_cvt_f32_i32_e32 v1, v1
	s_delay_alu instid0(VALU_DEP_1)
	v_cvt_f16_f32_e32 v1, v1
.LBB191_253:
	s_mov_b32 s2, 0
.LBB191_254:
	s_delay_alu instid0(SALU_CYCLE_1)
	s_and_not1_b32 vcc_lo, exec_lo, s2
	s_cbranch_vccnz .LBB191_256
; %bb.255:
	s_wait_loadcnt 0x0
	global_load_u16 v1, v[4:5], off
	s_wait_loadcnt 0x0
	v_cvt_f16_i16_e32 v1, v1
.LBB191_256:
	s_mov_b32 s2, 0
.LBB191_257:
	s_delay_alu instid0(SALU_CYCLE_1)
	s_and_not1_b32 vcc_lo, exec_lo, s2
	s_cbranch_vccnz .LBB191_263
; %bb.258:
	s_cmp_gt_i32 s1, 0
	s_mov_b32 s1, 0
	s_cbranch_scc0 .LBB191_260
; %bb.259:
	s_wait_loadcnt 0x0
	global_load_i8 v1, v[4:5], off
	s_wait_loadcnt 0x0
	v_cvt_f16_i16_e32 v1, v1
	s_branch .LBB191_261
.LBB191_260:
	s_mov_b32 s1, -1
                                        ; implicit-def: $vgpr1
.LBB191_261:
	s_delay_alu instid0(SALU_CYCLE_1)
	s_and_not1_b32 vcc_lo, exec_lo, s1
	s_cbranch_vccnz .LBB191_263
; %bb.262:
	s_wait_loadcnt 0x0
	global_load_u8 v1, v[4:5], off
	s_wait_loadcnt 0x0
	v_cvt_f16_u16_e32 v1, v1
.LBB191_263:
	s_branch .LBB191_26
.LBB191_264:
	s_mov_b32 s2, 0
.LBB191_265:
	s_mov_b32 s1, 0
                                        ; implicit-def: $vgpr0
.LBB191_266:
	s_and_b32 s16, s2, exec_lo
	s_and_b32 s43, s28, exec_lo
	s_or_not1_b32 s29, s1, exec_lo
.LBB191_267:
	s_wait_xcnt 0x0
	s_or_b32 exec_lo, exec_lo, s44
	s_mov_b32 s30, 0
	s_mov_b32 s28, 0
                                        ; implicit-def: $vgpr4_vgpr5
                                        ; implicit-def: $vgpr2
                                        ; implicit-def: $vgpr3
	s_and_saveexec_b32 s44, s29
	s_cbranch_execz .LBB191_275
; %bb.268:
	s_mov_b32 s28, -1
	s_mov_b32 s45, s43
	s_mov_b32 s46, s16
	s_mov_b32 s47, exec_lo
	v_cmpx_gt_i32_e64 s40, v0
	s_cbranch_execz .LBB191_546
; %bb.269:
	s_and_not1_b32 vcc_lo, exec_lo, s37
	s_cbranch_vccnz .LBB191_278
; %bb.270:
	s_and_not1_b32 vcc_lo, exec_lo, s42
	s_cbranch_vccnz .LBB191_279
; %bb.271:
	s_add_co_i32 s1, s41, 1
	s_cmp_eq_u32 s33, 2
	s_cbranch_scc1 .LBB191_280
; %bb.272:
	v_dual_mov_b32 v2, 0 :: v_dual_mov_b32 v4, 0
	s_wait_loadcnt 0x0
	v_mov_b32_e32 v1, v0
	s_and_b32 s28, s1, 28
	s_mov_b32 s2, 0
	s_mov_b64 s[30:31], s[20:21]
	s_mov_b64 s[34:35], s[26:27]
.LBB191_273:                            ; =>This Inner Loop Header: Depth=1
	s_clause 0x1
	s_load_b256 s[48:55], s[30:31], 0x4
	s_load_b128 s[64:67], s[30:31], 0x24
	s_load_b256 s[56:63], s[34:35], 0x0
	s_add_co_i32 s2, s2, 4
	s_wait_xcnt 0x0
	s_add_nc_u64 s[30:31], s[30:31], 48
	s_cmp_eq_u32 s28, s2
	s_add_nc_u64 s[34:35], s[34:35], 32
	s_wait_kmcnt 0x0
	v_mul_hi_u32 v3, s49, v1
	s_delay_alu instid0(VALU_DEP_1) | instskip(NEXT) | instid1(VALU_DEP_1)
	v_add_nc_u32_e32 v3, v1, v3
	v_lshrrev_b32_e32 v3, s50, v3
	s_delay_alu instid0(VALU_DEP_1) | instskip(NEXT) | instid1(VALU_DEP_1)
	v_mul_hi_u32 v5, s52, v3
	v_add_nc_u32_e32 v5, v3, v5
	s_delay_alu instid0(VALU_DEP_1) | instskip(NEXT) | instid1(VALU_DEP_1)
	v_lshrrev_b32_e32 v5, s53, v5
	v_mul_hi_u32 v6, s55, v5
	s_delay_alu instid0(VALU_DEP_1) | instskip(SKIP_1) | instid1(VALU_DEP_1)
	v_add_nc_u32_e32 v6, v5, v6
	v_mul_lo_u32 v7, v3, s48
	v_sub_nc_u32_e32 v1, v1, v7
	v_mul_lo_u32 v7, v5, s51
	s_delay_alu instid0(VALU_DEP_4) | instskip(NEXT) | instid1(VALU_DEP_3)
	v_lshrrev_b32_e32 v6, s64, v6
	v_mad_u32 v4, v1, s57, v4
	v_mad_u32 v1, v1, s56, v2
	s_delay_alu instid0(VALU_DEP_4) | instskip(NEXT) | instid1(VALU_DEP_4)
	v_sub_nc_u32_e32 v2, v3, v7
	v_mul_hi_u32 v8, s66, v6
	v_mul_lo_u32 v3, v6, s54
	s_delay_alu instid0(VALU_DEP_3) | instskip(SKIP_1) | instid1(VALU_DEP_3)
	v_mad_u32 v4, v2, s59, v4
	v_mad_u32 v2, v2, s58, v1
	v_dual_add_nc_u32 v7, v6, v8 :: v_dual_sub_nc_u32 v3, v5, v3
	s_delay_alu instid0(VALU_DEP_1) | instskip(NEXT) | instid1(VALU_DEP_2)
	v_lshrrev_b32_e32 v1, s67, v7
	v_mad_u32 v4, v3, s61, v4
	s_delay_alu instid0(VALU_DEP_4) | instskip(NEXT) | instid1(VALU_DEP_3)
	v_mad_u32 v2, v3, s60, v2
	v_mul_lo_u32 v5, v1, s65
	s_delay_alu instid0(VALU_DEP_1) | instskip(NEXT) | instid1(VALU_DEP_1)
	v_sub_nc_u32_e32 v3, v6, v5
	v_mad_u32 v4, v3, s63, v4
	s_delay_alu instid0(VALU_DEP_4)
	v_mad_u32 v2, v3, s62, v2
	s_cbranch_scc0 .LBB191_273
; %bb.274:
	s_delay_alu instid0(VALU_DEP_2)
	v_mov_b32_e32 v3, v4
	s_branch .LBB191_281
.LBB191_275:
	s_or_b32 exec_lo, exec_lo, s44
	s_mov_b32 s1, 0
	s_and_saveexec_b32 s2, s43
	s_cbranch_execnz .LBB191_928
.LBB191_276:
	s_or_b32 exec_lo, exec_lo, s2
	s_and_saveexec_b32 s2, s23
	s_delay_alu instid0(SALU_CYCLE_1)
	s_xor_b32 s2, exec_lo, s2
	s_cbranch_execz .LBB191_929
.LBB191_277:
	global_load_u8 v0, v[4:5], off
	s_or_b32 s28, s28, exec_lo
	s_wait_loadcnt 0x0
	v_cmp_ne_u16_e32 vcc_lo, 0, v0
	v_cndmask_b32_e64 v3, 0, 0x3c00, vcc_lo
	s_wait_xcnt 0x0
	s_or_b32 exec_lo, exec_lo, s2
	s_and_saveexec_b32 s2, s30
	s_cbranch_execz .LBB191_975
	s_branch .LBB191_930
.LBB191_278:
                                        ; implicit-def: $vgpr4
                                        ; implicit-def: $vgpr2
	s_branch .LBB191_286
.LBB191_279:
	v_dual_mov_b32 v4, 0 :: v_dual_mov_b32 v2, 0
	s_branch .LBB191_285
.LBB191_280:
	v_mov_b64_e32 v[2:3], 0
	s_wait_loadcnt 0x0
	v_mov_b32_e32 v1, v0
	s_mov_b32 s28, 0
                                        ; implicit-def: $vgpr4
.LBB191_281:
	s_and_b32 s1, s1, 3
	s_mov_b32 s29, 0
	s_cmp_eq_u32 s1, 0
	s_cbranch_scc1 .LBB191_285
; %bb.282:
	s_lshl_b32 s30, s28, 3
	s_mov_b32 s31, s29
	s_mul_u64 s[34:35], s[28:29], 12
	s_add_nc_u64 s[30:31], s[20:21], s[30:31]
	s_delay_alu instid0(SALU_CYCLE_1)
	s_add_nc_u64 s[28:29], s[30:31], 0xc4
	s_add_nc_u64 s[30:31], s[20:21], s[34:35]
.LBB191_283:                            ; =>This Inner Loop Header: Depth=1
	s_load_b96 s[48:50], s[30:31], 0x4
	s_load_b64 s[34:35], s[28:29], 0x0
	s_add_co_i32 s1, s1, -1
	s_wait_xcnt 0x0
	s_add_nc_u64 s[30:31], s[30:31], 12
	s_cmp_lg_u32 s1, 0
	s_add_nc_u64 s[28:29], s[28:29], 8
	s_wait_kmcnt 0x0
	v_mul_hi_u32 v4, s49, v1
	s_delay_alu instid0(VALU_DEP_1) | instskip(NEXT) | instid1(VALU_DEP_1)
	v_add_nc_u32_e32 v4, v1, v4
	v_lshrrev_b32_e32 v4, s50, v4
	s_delay_alu instid0(VALU_DEP_1) | instskip(NEXT) | instid1(VALU_DEP_1)
	v_mul_lo_u32 v5, v4, s48
	v_sub_nc_u32_e32 v1, v1, v5
	s_delay_alu instid0(VALU_DEP_1)
	v_mad_u32 v3, v1, s35, v3
	v_mad_u32 v2, v1, s34, v2
	v_mov_b32_e32 v1, v4
	s_cbranch_scc1 .LBB191_283
; %bb.284:
	s_delay_alu instid0(VALU_DEP_3)
	v_mov_b32_e32 v4, v3
.LBB191_285:
	s_cbranch_execnz .LBB191_288
.LBB191_286:
	s_wait_loadcnt 0x0
	v_mov_b32_e32 v1, 0
	s_and_not1_b32 vcc_lo, exec_lo, s39
	s_delay_alu instid0(VALU_DEP_1) | instskip(NEXT) | instid1(VALU_DEP_1)
	v_mul_u64_e32 v[2:3], s[22:23], v[0:1]
	v_add_nc_u32_e32 v2, v0, v3
	s_delay_alu instid0(VALU_DEP_1) | instskip(NEXT) | instid1(VALU_DEP_1)
	v_lshrrev_b32_e32 v6, s10, v2
	v_mul_lo_u32 v2, v6, s8
	s_delay_alu instid0(VALU_DEP_1) | instskip(NEXT) | instid1(VALU_DEP_1)
	v_sub_nc_u32_e32 v2, v0, v2
	v_mul_lo_u32 v4, v2, s13
	v_mul_lo_u32 v2, v2, s12
	s_cbranch_vccnz .LBB191_288
; %bb.287:
	v_mov_b32_e32 v7, v1
	s_delay_alu instid0(VALU_DEP_1) | instskip(NEXT) | instid1(VALU_DEP_1)
	v_mul_u64_e32 v[8:9], s[24:25], v[6:7]
	v_add_nc_u32_e32 v1, v6, v9
	s_delay_alu instid0(VALU_DEP_1) | instskip(NEXT) | instid1(VALU_DEP_1)
	v_lshrrev_b32_e32 v1, s3, v1
	v_mul_lo_u32 v1, v1, s11
	s_delay_alu instid0(VALU_DEP_1) | instskip(NEXT) | instid1(VALU_DEP_1)
	v_sub_nc_u32_e32 v1, v6, v1
	v_mad_u32 v2, v1, s14, v2
	v_mad_u32 v4, v1, s15, v4
.LBB191_288:
	v_mov_b32_e32 v5, 0
	s_and_b32 s1, 0xffff, s9
	s_delay_alu instid0(SALU_CYCLE_1) | instskip(NEXT) | instid1(VALU_DEP_1)
	s_cmp_lt_i32 s1, 11
	v_add_nc_u64_e32 v[4:5], s[6:7], v[4:5]
	s_cbranch_scc1 .LBB191_295
; %bb.289:
	s_cmp_gt_i32 s1, 25
	s_cbranch_scc0 .LBB191_304
; %bb.290:
	s_cmp_gt_i32 s1, 28
	s_cbranch_scc0 .LBB191_306
	;; [unrolled: 3-line block ×4, first 2 shown]
; %bb.293:
	s_cmp_eq_u32 s1, 46
	s_mov_b32 s29, 0
	s_cbranch_scc0 .LBB191_316
; %bb.294:
	s_wait_loadcnt 0x0
	global_load_b32 v1, v[4:5], off
	s_mov_b32 s2, -1
	s_mov_b32 s28, 0
	s_wait_loadcnt 0x0
	v_lshlrev_b32_e32 v1, 16, v1
	s_delay_alu instid0(VALU_DEP_1)
	v_cvt_f16_f32_e32 v1, v1
	s_branch .LBB191_318
.LBB191_295:
	s_mov_b32 s2, 0
	s_mov_b32 s28, s43
                                        ; implicit-def: $vgpr1
	s_cbranch_execnz .LBB191_495
.LBB191_296:
	s_and_not1_b32 vcc_lo, exec_lo, s2
	s_cbranch_vccnz .LBB191_543
.LBB191_297:
	s_wait_loadcnt 0x0
	s_delay_alu instid0(VALU_DEP_1) | instskip(SKIP_1) | instid1(SALU_CYCLE_1)
	v_cmp_eq_f16_e32 vcc_lo, s17, v1
	s_and_b32 s29, s18, 0xff
	s_cmp_lt_i32 s29, 11
	v_cndmask_b32_e64 v3, 0, 1, vcc_lo
	v_cmp_neq_f16_e32 vcc_lo, s17, v1
	v_cndmask_b32_e64 v1, 0, 1, vcc_lo
	s_delay_alu instid0(VALU_DEP_1) | instskip(NEXT) | instid1(VALU_DEP_1)
	v_dual_cndmask_b32 v1, v1, v3, s0 :: v_dual_mov_b32 v3, 0
	v_and_b32_e32 v1, 1, v1
	s_delay_alu instid0(VALU_DEP_2) | instskip(NEXT) | instid1(VALU_DEP_2)
	v_add_nc_u64_e32 v[2:3], s[4:5], v[2:3]
	v_cmp_eq_u32_e64 s1, 1, v1
	s_cbranch_scc1 .LBB191_305
; %bb.298:
	s_and_b32 s30, 0xffff, s29
	s_delay_alu instid0(SALU_CYCLE_1)
	s_cmp_gt_i32 s30, 25
	s_cbranch_scc0 .LBB191_307
; %bb.299:
	s_cmp_gt_i32 s30, 28
	s_cbranch_scc0 .LBB191_309
; %bb.300:
	;; [unrolled: 3-line block ×4, first 2 shown]
	s_mov_b32 s34, 0
	s_mov_b32 s2, -1
	s_cmp_eq_u32 s30, 46
	s_mov_b32 s31, 0
	s_cbranch_scc0 .LBB191_322
; %bb.303:
	v_cndmask_b32_e64 v1, 0, 1.0, s1
	s_mov_b32 s31, -1
	s_mov_b32 s2, 0
	s_wait_xcnt 0x0
	s_delay_alu instid0(VALU_DEP_1) | instskip(NEXT) | instid1(VALU_DEP_1)
	v_bfe_u32 v4, v1, 16, 1
	v_add3_u32 v1, v1, v4, 0x7fff
	s_delay_alu instid0(VALU_DEP_1)
	v_lshrrev_b32_e32 v1, 16, v1
	global_store_b32 v[2:3], v1, off
	s_branch .LBB191_322
.LBB191_304:
	s_mov_b32 s29, -1
	s_mov_b32 s2, 0
	s_mov_b32 s28, s43
                                        ; implicit-def: $vgpr1
	s_branch .LBB191_459
.LBB191_305:
	s_mov_b32 s30, -1
	s_mov_b32 s31, 0
	s_mov_b32 s2, s16
	s_branch .LBB191_391
.LBB191_306:
	s_mov_b32 s29, -1
	s_mov_b32 s2, 0
	s_mov_b32 s28, s43
                                        ; implicit-def: $vgpr1
	s_branch .LBB191_440
.LBB191_307:
	s_mov_b32 s34, -1
	s_mov_b32 s31, 0
	s_mov_b32 s2, s16
	s_branch .LBB191_349
.LBB191_308:
	s_mov_b32 s29, -1
	s_mov_b32 s2, 0
	s_mov_b32 s28, s43
                                        ; implicit-def: $vgpr1
	s_branch .LBB191_435
.LBB191_309:
	s_mov_b32 s34, -1
	s_mov_b32 s31, 0
	s_mov_b32 s2, s16
	s_branch .LBB191_332
.LBB191_310:
	s_and_not1_saveexec_b32 s34, s34
	s_cbranch_execz .LBB191_69
.LBB191_311:
	v_add_f32_e32 v1, 0x46000000, v4
	s_and_not1_b32 s31, s31, exec_lo
	s_delay_alu instid0(VALU_DEP_1) | instskip(NEXT) | instid1(VALU_DEP_1)
	v_and_b32_e32 v1, 0xff, v1
	v_cmp_ne_u32_e32 vcc_lo, 0, v1
	s_and_b32 s35, vcc_lo, exec_lo
	s_delay_alu instid0(SALU_CYCLE_1)
	s_or_b32 s31, s31, s35
	s_or_b32 exec_lo, exec_lo, s34
	v_mov_b32_e32 v5, 0
	s_and_saveexec_b32 s34, s31
	s_cbranch_execnz .LBB191_70
	s_branch .LBB191_71
.LBB191_312:
	s_mov_b32 s29, -1
	s_mov_b32 s2, 0
	s_mov_b32 s28, s43
	s_branch .LBB191_317
.LBB191_313:
	s_mov_b32 s34, -1
	s_mov_b32 s31, 0
	s_mov_b32 s2, s16
	s_branch .LBB191_328
.LBB191_314:
	s_and_not1_saveexec_b32 s34, s34
	s_cbranch_execz .LBB191_82
.LBB191_315:
	v_add_f32_e32 v1, 0x42800000, v4
	s_and_not1_b32 s31, s31, exec_lo
	s_delay_alu instid0(VALU_DEP_1) | instskip(NEXT) | instid1(VALU_DEP_1)
	v_and_b32_e32 v1, 0xff, v1
	v_cmp_ne_u32_e32 vcc_lo, 0, v1
	s_and_b32 s35, vcc_lo, exec_lo
	s_delay_alu instid0(SALU_CYCLE_1)
	s_or_b32 s31, s31, s35
	s_or_b32 exec_lo, exec_lo, s34
	v_mov_b32_e32 v5, 0
	s_and_saveexec_b32 s34, s31
	s_cbranch_execnz .LBB191_83
	s_branch .LBB191_84
.LBB191_316:
	s_mov_b32 s28, -1
	s_mov_b32 s2, 0
.LBB191_317:
                                        ; implicit-def: $vgpr1
.LBB191_318:
	s_and_b32 vcc_lo, exec_lo, s29
	s_cbranch_vccz .LBB191_434
; %bb.319:
	s_cmp_eq_u32 s1, 44
	s_cbranch_scc0 .LBB191_433
; %bb.320:
	s_wait_loadcnt 0x0
	global_load_u8 v1, v[4:5], off
	s_mov_b32 s28, 0
	s_mov_b32 s2, -1
	s_wait_loadcnt 0x0
	v_lshlrev_b32_e32 v3, 23, v1
	v_cmp_ne_u32_e32 vcc_lo, 0xff, v1
	s_delay_alu instid0(VALU_DEP_2) | instskip(NEXT) | instid1(VALU_DEP_1)
	v_cvt_f16_f32_e32 v3, v3
	v_cndmask_b32_e32 v3, 0x7e00, v3, vcc_lo
	v_cmp_ne_u32_e32 vcc_lo, 0, v1
	s_delay_alu instid0(VALU_DEP_2)
	v_cndmask_b32_e32 v1, 0, v3, vcc_lo
	s_branch .LBB191_434
.LBB191_321:
	s_mov_b32 s34, -1
	s_mov_b32 s31, 0
	s_mov_b32 s2, s16
.LBB191_322:
	s_and_b32 vcc_lo, exec_lo, s34
	s_cbranch_vccz .LBB191_327
; %bb.323:
	s_cmp_eq_u32 s30, 44
	s_mov_b32 s2, -1
	s_cbranch_scc0 .LBB191_327
; %bb.324:
	s_wait_xcnt 0x0
	v_cndmask_b32_e64 v5, 0, 1.0, s1
	s_mov_b32 s31, exec_lo
	s_delay_alu instid0(VALU_DEP_1) | instskip(NEXT) | instid1(VALU_DEP_1)
	v_dual_mov_b32 v4, 0xff :: v_dual_lshrrev_b32 v1, 23, v5
	v_cmpx_ne_u32_e32 0xff, v1
; %bb.325:
	v_and_b32_e32 v4, 0x400000, v5
	v_and_or_b32 v5, 0x3fffff, v5, v1
	s_delay_alu instid0(VALU_DEP_2) | instskip(NEXT) | instid1(VALU_DEP_2)
	v_cmp_ne_u32_e32 vcc_lo, 0, v4
	v_cmp_ne_u32_e64 s2, 0, v5
	s_and_b32 s2, vcc_lo, s2
	s_delay_alu instid0(SALU_CYCLE_1) | instskip(NEXT) | instid1(VALU_DEP_1)
	v_cndmask_b32_e64 v4, 0, 1, s2
	v_add_nc_u32_e32 v4, v1, v4
; %bb.326:
	s_or_b32 exec_lo, exec_lo, s31
	s_mov_b32 s31, -1
	s_mov_b32 s2, 0
	global_store_b8 v[2:3], v4, off
.LBB191_327:
	s_mov_b32 s34, 0
.LBB191_328:
	s_delay_alu instid0(SALU_CYCLE_1)
	s_and_b32 vcc_lo, exec_lo, s34
	s_cbranch_vccz .LBB191_331
; %bb.329:
	s_cmp_eq_u32 s30, 29
	s_mov_b32 s2, -1
	s_cbranch_scc0 .LBB191_331
; %bb.330:
	s_mov_b32 s2, 0
	s_wait_xcnt 0x0
	v_cndmask_b32_e64 v4, 0, 1, s1
	v_mov_b32_e32 v5, s2
	s_mov_b32 s31, -1
	s_mov_b32 s34, 0
	global_store_b64 v[2:3], v[4:5], off
	s_branch .LBB191_332
.LBB191_331:
	s_mov_b32 s34, 0
.LBB191_332:
	s_delay_alu instid0(SALU_CYCLE_1)
	s_and_b32 vcc_lo, exec_lo, s34
	s_cbranch_vccz .LBB191_348
; %bb.333:
	s_cmp_lt_i32 s30, 27
	s_mov_b32 s31, -1
	s_cbranch_scc1 .LBB191_339
; %bb.334:
	s_cmp_gt_i32 s30, 27
	s_cbranch_scc0 .LBB191_336
; %bb.335:
	s_wait_xcnt 0x0
	v_cndmask_b32_e64 v1, 0, 1, s1
	s_mov_b32 s31, 0
	global_store_b32 v[2:3], v1, off
.LBB191_336:
	s_and_not1_b32 vcc_lo, exec_lo, s31
	s_cbranch_vccnz .LBB191_338
; %bb.337:
	s_wait_xcnt 0x0
	v_cndmask_b32_e64 v1, 0, 1, s1
	global_store_b16 v[2:3], v1, off
.LBB191_338:
	s_mov_b32 s31, 0
.LBB191_339:
	s_delay_alu instid0(SALU_CYCLE_1)
	s_and_not1_b32 vcc_lo, exec_lo, s31
	s_cbranch_vccnz .LBB191_347
; %bb.340:
	s_wait_xcnt 0x0
	v_cndmask_b32_e64 v4, 0, 1.0, s1
	v_mov_b32_e32 v5, 0x80
	s_mov_b32 s31, exec_lo
	s_delay_alu instid0(VALU_DEP_2)
	v_cmpx_gt_u32_e32 0x43800000, v4
	s_cbranch_execz .LBB191_346
; %bb.341:
	s_mov_b32 s34, 0
	s_mov_b32 s35, exec_lo
                                        ; implicit-def: $vgpr1
	v_cmpx_lt_u32_e32 0x3bffffff, v4
	s_xor_b32 s35, exec_lo, s35
	s_cbranch_execz .LBB191_576
; %bb.342:
	v_bfe_u32 v1, v4, 20, 1
	s_mov_b32 s34, exec_lo
	s_delay_alu instid0(VALU_DEP_1) | instskip(NEXT) | instid1(VALU_DEP_1)
	v_add3_u32 v1, v4, v1, 0x487ffff
                                        ; implicit-def: $vgpr4
	v_lshrrev_b32_e32 v1, 20, v1
	s_and_not1_saveexec_b32 s35, s35
	s_cbranch_execnz .LBB191_577
.LBB191_343:
	s_or_b32 exec_lo, exec_lo, s35
	v_mov_b32_e32 v5, 0
	s_and_saveexec_b32 s35, s34
.LBB191_344:
	v_mov_b32_e32 v5, v1
.LBB191_345:
	s_or_b32 exec_lo, exec_lo, s35
.LBB191_346:
	s_delay_alu instid0(SALU_CYCLE_1)
	s_or_b32 exec_lo, exec_lo, s31
	global_store_b8 v[2:3], v5, off
.LBB191_347:
	s_mov_b32 s31, -1
.LBB191_348:
	s_mov_b32 s34, 0
.LBB191_349:
	s_delay_alu instid0(SALU_CYCLE_1)
	s_and_b32 vcc_lo, exec_lo, s34
	s_cbranch_vccz .LBB191_390
; %bb.350:
	s_cmp_gt_i32 s30, 22
	s_mov_b32 s34, -1
	s_cbranch_scc0 .LBB191_382
; %bb.351:
	s_cmp_lt_i32 s30, 24
	s_mov_b32 s31, -1
	s_cbranch_scc1 .LBB191_371
; %bb.352:
	s_cmp_gt_i32 s30, 24
	s_cbranch_scc0 .LBB191_360
; %bb.353:
	s_wait_xcnt 0x0
	v_cndmask_b32_e64 v4, 0, 1.0, s1
	v_mov_b32_e32 v5, 0x80
	s_mov_b32 s31, exec_lo
	s_delay_alu instid0(VALU_DEP_2)
	v_cmpx_gt_u32_e32 0x47800000, v4
	s_cbranch_execz .LBB191_359
; %bb.354:
	s_mov_b32 s34, 0
	s_mov_b32 s35, exec_lo
                                        ; implicit-def: $vgpr1
	v_cmpx_lt_u32_e32 0x37ffffff, v4
	s_xor_b32 s35, exec_lo, s35
	s_cbranch_execz .LBB191_579
; %bb.355:
	v_bfe_u32 v1, v4, 21, 1
	s_mov_b32 s34, exec_lo
	s_delay_alu instid0(VALU_DEP_1) | instskip(NEXT) | instid1(VALU_DEP_1)
	v_add3_u32 v1, v4, v1, 0x88fffff
                                        ; implicit-def: $vgpr4
	v_lshrrev_b32_e32 v1, 21, v1
	s_and_not1_saveexec_b32 s35, s35
	s_cbranch_execnz .LBB191_580
.LBB191_356:
	s_or_b32 exec_lo, exec_lo, s35
	v_mov_b32_e32 v5, 0
	s_and_saveexec_b32 s35, s34
.LBB191_357:
	v_mov_b32_e32 v5, v1
.LBB191_358:
	s_or_b32 exec_lo, exec_lo, s35
.LBB191_359:
	s_delay_alu instid0(SALU_CYCLE_1)
	s_or_b32 exec_lo, exec_lo, s31
	s_mov_b32 s31, 0
	global_store_b8 v[2:3], v5, off
.LBB191_360:
	s_and_b32 vcc_lo, exec_lo, s31
	s_cbranch_vccz .LBB191_370
; %bb.361:
	s_wait_xcnt 0x0
	v_cndmask_b32_e64 v4, 0, 1.0, s1
	s_mov_b32 s31, exec_lo
                                        ; implicit-def: $vgpr1
	s_delay_alu instid0(VALU_DEP_1)
	v_cmpx_gt_u32_e32 0x43f00000, v4
	s_xor_b32 s31, exec_lo, s31
	s_cbranch_execz .LBB191_367
; %bb.362:
	s_mov_b32 s34, exec_lo
                                        ; implicit-def: $vgpr1
	v_cmpx_lt_u32_e32 0x3c7fffff, v4
	s_xor_b32 s34, exec_lo, s34
; %bb.363:
	v_bfe_u32 v1, v4, 20, 1
	s_delay_alu instid0(VALU_DEP_1) | instskip(NEXT) | instid1(VALU_DEP_1)
	v_add3_u32 v1, v4, v1, 0x407ffff
	v_and_b32_e32 v4, 0xff00000, v1
	v_lshrrev_b32_e32 v1, 20, v1
	s_delay_alu instid0(VALU_DEP_2) | instskip(NEXT) | instid1(VALU_DEP_2)
	v_cmp_ne_u32_e32 vcc_lo, 0x7f00000, v4
                                        ; implicit-def: $vgpr4
	v_cndmask_b32_e32 v1, 0x7e, v1, vcc_lo
; %bb.364:
	s_and_not1_saveexec_b32 s34, s34
; %bb.365:
	v_add_f32_e32 v1, 0x46800000, v4
; %bb.366:
	s_or_b32 exec_lo, exec_lo, s34
                                        ; implicit-def: $vgpr4
.LBB191_367:
	s_and_not1_saveexec_b32 s31, s31
; %bb.368:
	v_mov_b32_e32 v1, 0x7f
	v_cmp_lt_u32_e32 vcc_lo, 0x7f800000, v4
	s_delay_alu instid0(VALU_DEP_2)
	v_cndmask_b32_e32 v1, 0x7e, v1, vcc_lo
; %bb.369:
	s_or_b32 exec_lo, exec_lo, s31
	global_store_b8 v[2:3], v1, off
.LBB191_370:
	s_mov_b32 s31, 0
.LBB191_371:
	s_delay_alu instid0(SALU_CYCLE_1)
	s_and_not1_b32 vcc_lo, exec_lo, s31
	s_cbranch_vccnz .LBB191_381
; %bb.372:
	s_wait_xcnt 0x0
	v_cndmask_b32_e64 v4, 0, 1.0, s1
	s_mov_b32 s31, exec_lo
                                        ; implicit-def: $vgpr1
	s_delay_alu instid0(VALU_DEP_1)
	v_cmpx_gt_u32_e32 0x47800000, v4
	s_xor_b32 s31, exec_lo, s31
	s_cbranch_execz .LBB191_378
; %bb.373:
	s_mov_b32 s34, exec_lo
                                        ; implicit-def: $vgpr1
	v_cmpx_lt_u32_e32 0x387fffff, v4
	s_xor_b32 s34, exec_lo, s34
; %bb.374:
	v_bfe_u32 v1, v4, 21, 1
	s_delay_alu instid0(VALU_DEP_1) | instskip(NEXT) | instid1(VALU_DEP_1)
	v_add3_u32 v1, v4, v1, 0x80fffff
                                        ; implicit-def: $vgpr4
	v_lshrrev_b32_e32 v1, 21, v1
; %bb.375:
	s_and_not1_saveexec_b32 s34, s34
; %bb.376:
	v_add_f32_e32 v1, 0x43000000, v4
; %bb.377:
	s_or_b32 exec_lo, exec_lo, s34
                                        ; implicit-def: $vgpr4
.LBB191_378:
	s_and_not1_saveexec_b32 s31, s31
; %bb.379:
	v_mov_b32_e32 v1, 0x7f
	v_cmp_lt_u32_e32 vcc_lo, 0x7f800000, v4
	s_delay_alu instid0(VALU_DEP_2)
	v_cndmask_b32_e32 v1, 0x7c, v1, vcc_lo
; %bb.380:
	s_or_b32 exec_lo, exec_lo, s31
	global_store_b8 v[2:3], v1, off
.LBB191_381:
	s_mov_b32 s34, 0
	s_mov_b32 s31, -1
.LBB191_382:
	s_and_not1_b32 vcc_lo, exec_lo, s34
	s_cbranch_vccnz .LBB191_390
; %bb.383:
	s_cmp_gt_i32 s30, 14
	s_mov_b32 s34, -1
	s_cbranch_scc0 .LBB191_387
; %bb.384:
	s_cmp_eq_u32 s30, 15
	s_mov_b32 s2, -1
	s_cbranch_scc0 .LBB191_386
; %bb.385:
	s_wait_xcnt 0x0
	v_cndmask_b32_e64 v1, 0, 1.0, s1
	s_mov_b32 s31, -1
	s_mov_b32 s2, 0
	s_delay_alu instid0(VALU_DEP_1) | instskip(NEXT) | instid1(VALU_DEP_1)
	v_bfe_u32 v4, v1, 16, 1
	v_add3_u32 v1, v1, v4, 0x7fff
	global_store_d16_hi_b16 v[2:3], v1, off
.LBB191_386:
	s_mov_b32 s34, 0
.LBB191_387:
	s_delay_alu instid0(SALU_CYCLE_1)
	s_and_b32 vcc_lo, exec_lo, s34
	s_cbranch_vccz .LBB191_390
; %bb.388:
	s_cmp_eq_u32 s30, 11
	s_mov_b32 s2, -1
	s_cbranch_scc0 .LBB191_390
; %bb.389:
	s_wait_xcnt 0x0
	v_cndmask_b32_e64 v1, 0, 1, s1
	s_mov_b32 s31, -1
	s_mov_b32 s2, 0
	global_store_b8 v[2:3], v1, off
.LBB191_390:
	s_mov_b32 s30, 0
.LBB191_391:
	s_delay_alu instid0(SALU_CYCLE_1)
	s_and_b32 vcc_lo, exec_lo, s30
	s_cbranch_vccz .LBB191_430
; %bb.392:
	s_and_b32 s29, 0xffff, s29
	s_mov_b32 s30, -1
	s_cmp_lt_i32 s29, 5
	s_cbranch_scc1 .LBB191_413
; %bb.393:
	s_cmp_lt_i32 s29, 8
	s_cbranch_scc1 .LBB191_403
; %bb.394:
	;; [unrolled: 3-line block ×3, first 2 shown]
	s_cmp_gt_i32 s29, 9
	s_cbranch_scc0 .LBB191_397
; %bb.396:
	s_wait_xcnt 0x0
	v_cndmask_b32_e64 v1, 0, 1, s1
	v_mov_b32_e32 v6, 0
	s_mov_b32 s30, 0
	s_delay_alu instid0(VALU_DEP_2) | instskip(NEXT) | instid1(VALU_DEP_2)
	v_cvt_f64_u32_e32 v[4:5], v1
	v_mov_b32_e32 v7, v6
	global_store_b128 v[2:3], v[4:7], off
.LBB191_397:
	s_and_not1_b32 vcc_lo, exec_lo, s30
	s_cbranch_vccnz .LBB191_399
; %bb.398:
	s_wait_xcnt 0x0
	v_cndmask_b32_e64 v4, 0, 1.0, s1
	v_mov_b32_e32 v5, 0
	global_store_b64 v[2:3], v[4:5], off
.LBB191_399:
	s_mov_b32 s30, 0
.LBB191_400:
	s_delay_alu instid0(SALU_CYCLE_1)
	s_and_not1_b32 vcc_lo, exec_lo, s30
	s_cbranch_vccnz .LBB191_402
; %bb.401:
	s_wait_xcnt 0x0
	v_cndmask_b32_e64 v1, 0, 1.0, s1
	s_delay_alu instid0(VALU_DEP_1) | instskip(NEXT) | instid1(VALU_DEP_1)
	v_cvt_f16_f32_e32 v1, v1
	v_and_b32_e32 v1, 0xffff, v1
	global_store_b32 v[2:3], v1, off
.LBB191_402:
	s_mov_b32 s30, 0
.LBB191_403:
	s_delay_alu instid0(SALU_CYCLE_1)
	s_and_not1_b32 vcc_lo, exec_lo, s30
	s_cbranch_vccnz .LBB191_412
; %bb.404:
	s_cmp_lt_i32 s29, 6
	s_mov_b32 s30, -1
	s_cbranch_scc1 .LBB191_410
; %bb.405:
	s_cmp_gt_i32 s29, 6
	s_cbranch_scc0 .LBB191_407
; %bb.406:
	s_wait_xcnt 0x0
	v_cndmask_b32_e64 v1, 0, 1, s1
	s_mov_b32 s30, 0
	s_delay_alu instid0(VALU_DEP_1)
	v_cvt_f64_u32_e32 v[4:5], v1
	global_store_b64 v[2:3], v[4:5], off
.LBB191_407:
	s_and_not1_b32 vcc_lo, exec_lo, s30
	s_cbranch_vccnz .LBB191_409
; %bb.408:
	s_wait_xcnt 0x0
	v_cndmask_b32_e64 v1, 0, 1.0, s1
	global_store_b32 v[2:3], v1, off
.LBB191_409:
	s_mov_b32 s30, 0
.LBB191_410:
	s_delay_alu instid0(SALU_CYCLE_1)
	s_and_not1_b32 vcc_lo, exec_lo, s30
	s_cbranch_vccnz .LBB191_412
; %bb.411:
	s_wait_xcnt 0x0
	v_cndmask_b32_e64 v1, 0, 1.0, s1
	s_delay_alu instid0(VALU_DEP_1)
	v_cvt_f16_f32_e32 v1, v1
	global_store_b16 v[2:3], v1, off
.LBB191_412:
	s_mov_b32 s30, 0
.LBB191_413:
	s_delay_alu instid0(SALU_CYCLE_1)
	s_and_not1_b32 vcc_lo, exec_lo, s30
	s_cbranch_vccnz .LBB191_429
; %bb.414:
	s_cmp_lt_i32 s29, 2
	s_mov_b32 s30, -1
	s_cbranch_scc1 .LBB191_424
; %bb.415:
	s_cmp_lt_i32 s29, 3
	s_cbranch_scc1 .LBB191_421
; %bb.416:
	s_cmp_gt_i32 s29, 3
	s_cbranch_scc0 .LBB191_418
; %bb.417:
	s_mov_b32 s30, 0
	s_wait_xcnt 0x0
	v_cndmask_b32_e64 v4, 0, 1, s1
	v_mov_b32_e32 v5, s30
	global_store_b64 v[2:3], v[4:5], off
.LBB191_418:
	s_and_not1_b32 vcc_lo, exec_lo, s30
	s_cbranch_vccnz .LBB191_420
; %bb.419:
	s_wait_xcnt 0x0
	v_cndmask_b32_e64 v1, 0, 1, s1
	global_store_b32 v[2:3], v1, off
.LBB191_420:
	s_mov_b32 s30, 0
.LBB191_421:
	s_delay_alu instid0(SALU_CYCLE_1)
	s_and_not1_b32 vcc_lo, exec_lo, s30
	s_cbranch_vccnz .LBB191_423
; %bb.422:
	s_wait_xcnt 0x0
	v_cndmask_b32_e64 v1, 0, 1, s1
	global_store_b16 v[2:3], v1, off
.LBB191_423:
	s_mov_b32 s30, 0
.LBB191_424:
	s_delay_alu instid0(SALU_CYCLE_1)
	s_and_not1_b32 vcc_lo, exec_lo, s30
	s_cbranch_vccnz .LBB191_429
; %bb.425:
	s_wait_xcnt 0x0
	v_cndmask_b32_e64 v1, 0, 1, s1
	s_cmp_gt_i32 s29, 0
	s_mov_b32 s1, -1
	s_cbranch_scc0 .LBB191_427
; %bb.426:
	s_mov_b32 s1, 0
	global_store_b8 v[2:3], v1, off
.LBB191_427:
	s_and_not1_b32 vcc_lo, exec_lo, s1
	s_cbranch_vccnz .LBB191_429
; %bb.428:
	global_store_b8 v[2:3], v1, off
.LBB191_429:
	s_mov_b32 s31, -1
.LBB191_430:
	s_delay_alu instid0(SALU_CYCLE_1)
	s_and_not1_b32 vcc_lo, exec_lo, s31
	s_cbranch_vccnz .LBB191_432
; %bb.431:
	v_add_nc_u32_e32 v0, 0x80, v0
	s_mov_b32 s1, -1
	s_branch .LBB191_545
.LBB191_432:
	s_mov_b32 s1, 0
	s_branch .LBB191_544
.LBB191_433:
	s_mov_b32 s28, -1
                                        ; implicit-def: $vgpr1
.LBB191_434:
	s_mov_b32 s29, 0
.LBB191_435:
	s_delay_alu instid0(SALU_CYCLE_1)
	s_and_b32 vcc_lo, exec_lo, s29
	s_cbranch_vccz .LBB191_439
; %bb.436:
	s_cmp_eq_u32 s1, 29
	s_cbranch_scc0 .LBB191_438
; %bb.437:
	global_load_b64 v[6:7], v[4:5], off
	s_mov_b32 s2, -1
	s_mov_b32 s28, 0
	s_mov_b32 s29, 0
	s_wait_loadcnt 0x0
	v_clz_i32_u32_e32 v1, v7
	s_delay_alu instid0(VALU_DEP_1) | instskip(NEXT) | instid1(VALU_DEP_1)
	v_min_u32_e32 v1, 32, v1
	v_lshlrev_b64_e32 v[6:7], v1, v[6:7]
	v_sub_nc_u32_e32 v1, 32, v1
	s_delay_alu instid0(VALU_DEP_2) | instskip(NEXT) | instid1(VALU_DEP_1)
	v_min_u32_e32 v3, 1, v6
	v_or_b32_e32 v3, v7, v3
	s_delay_alu instid0(VALU_DEP_1) | instskip(NEXT) | instid1(VALU_DEP_1)
	v_cvt_f32_u32_e32 v3, v3
	v_ldexp_f32 v1, v3, v1
	s_delay_alu instid0(VALU_DEP_1)
	v_cvt_f16_f32_e32 v1, v1
	s_branch .LBB191_440
.LBB191_438:
	s_mov_b32 s28, -1
                                        ; implicit-def: $vgpr1
.LBB191_439:
	s_mov_b32 s29, 0
.LBB191_440:
	s_delay_alu instid0(SALU_CYCLE_1)
	s_and_b32 vcc_lo, exec_lo, s29
	s_cbranch_vccz .LBB191_458
; %bb.441:
	s_cmp_lt_i32 s1, 27
	s_cbranch_scc1 .LBB191_444
; %bb.442:
	s_cmp_gt_i32 s1, 27
	s_cbranch_scc0 .LBB191_445
; %bb.443:
	s_wait_loadcnt 0x0
	global_load_b32 v1, v[4:5], off
	s_mov_b32 s2, 0
	s_wait_loadcnt 0x0
	v_cvt_f32_u32_e32 v1, v1
	s_delay_alu instid0(VALU_DEP_1)
	v_cvt_f16_f32_e32 v1, v1
	s_branch .LBB191_446
.LBB191_444:
	s_mov_b32 s2, -1
                                        ; implicit-def: $vgpr1
	s_branch .LBB191_449
.LBB191_445:
	s_mov_b32 s2, -1
                                        ; implicit-def: $vgpr1
.LBB191_446:
	s_delay_alu instid0(SALU_CYCLE_1)
	s_and_not1_b32 vcc_lo, exec_lo, s2
	s_cbranch_vccnz .LBB191_448
; %bb.447:
	s_wait_loadcnt 0x0
	global_load_u16 v1, v[4:5], off
	s_wait_loadcnt 0x0
	v_cvt_f16_u16_e32 v1, v1
.LBB191_448:
	s_mov_b32 s2, 0
.LBB191_449:
	s_delay_alu instid0(SALU_CYCLE_1)
	s_and_not1_b32 vcc_lo, exec_lo, s2
	s_cbranch_vccnz .LBB191_457
; %bb.450:
	global_load_u8 v3, v[4:5], off
	s_mov_b32 s2, 0
	s_mov_b32 s29, exec_lo
	s_wait_loadcnt 0x0
	v_cmpx_lt_i16_e32 0x7f, v3
	s_xor_b32 s29, exec_lo, s29
	s_cbranch_execz .LBB191_471
; %bb.451:
	s_mov_b32 s2, -1
	s_mov_b32 s30, exec_lo
	v_cmpx_eq_u16_e32 0x80, v3
; %bb.452:
	s_xor_b32 s2, exec_lo, -1
; %bb.453:
	s_or_b32 exec_lo, exec_lo, s30
	s_delay_alu instid0(SALU_CYCLE_1)
	s_and_b32 s2, s2, exec_lo
	s_or_saveexec_b32 s29, s29
	v_mov_b32_e32 v1, 0x7e00
	s_xor_b32 exec_lo, exec_lo, s29
	s_cbranch_execnz .LBB191_472
.LBB191_454:
	s_or_b32 exec_lo, exec_lo, s29
	s_and_saveexec_b32 s29, s2
	s_cbranch_execz .LBB191_456
.LBB191_455:
	v_and_b32_e32 v1, 0xffff, v3
	s_delay_alu instid0(VALU_DEP_1) | instskip(SKIP_1) | instid1(VALU_DEP_2)
	v_and_b32_e32 v6, 7, v1
	v_bfe_u32 v9, v1, 3, 4
	v_clz_i32_u32_e32 v7, v6
	s_delay_alu instid0(VALU_DEP_2) | instskip(NEXT) | instid1(VALU_DEP_2)
	v_cmp_eq_u32_e32 vcc_lo, 0, v9
	v_min_u32_e32 v7, 32, v7
	s_delay_alu instid0(VALU_DEP_1) | instskip(NEXT) | instid1(VALU_DEP_1)
	v_subrev_nc_u32_e32 v8, 28, v7
	v_dual_lshlrev_b32 v1, v8, v1 :: v_dual_sub_nc_u32 v7, 29, v7
	s_delay_alu instid0(VALU_DEP_1) | instskip(NEXT) | instid1(VALU_DEP_1)
	v_dual_lshlrev_b32 v3, 24, v3 :: v_dual_bitop2_b32 v1, 7, v1 bitop3:0x40
	v_dual_cndmask_b32 v1, v6, v1, vcc_lo :: v_dual_cndmask_b32 v7, v9, v7, vcc_lo
	s_delay_alu instid0(VALU_DEP_2) | instskip(NEXT) | instid1(VALU_DEP_2)
	v_and_b32_e32 v3, 0x80000000, v3
	v_lshlrev_b32_e32 v1, 20, v1
	s_delay_alu instid0(VALU_DEP_3) | instskip(NEXT) | instid1(VALU_DEP_1)
	v_lshl_add_u32 v6, v7, 23, 0x3b800000
	v_or3_b32 v1, v3, v6, v1
	s_delay_alu instid0(VALU_DEP_1)
	v_cvt_f16_f32_e32 v1, v1
.LBB191_456:
	s_or_b32 exec_lo, exec_lo, s29
.LBB191_457:
	s_mov_b32 s2, -1
.LBB191_458:
	s_mov_b32 s29, 0
.LBB191_459:
	s_delay_alu instid0(SALU_CYCLE_1)
	s_and_b32 vcc_lo, exec_lo, s29
	s_cbranch_vccz .LBB191_494
; %bb.460:
	s_cmp_gt_i32 s1, 22
	s_cbranch_scc0 .LBB191_470
; %bb.461:
	s_cmp_lt_i32 s1, 24
	s_cbranch_scc1 .LBB191_473
; %bb.462:
	s_cmp_gt_i32 s1, 24
	s_cbranch_scc0 .LBB191_474
; %bb.463:
	global_load_u8 v3, v[4:5], off
	s_mov_b32 s2, 0
	s_mov_b32 s29, exec_lo
	s_wait_loadcnt 0x0
	v_cmpx_lt_i16_e32 0x7f, v3
	s_xor_b32 s29, exec_lo, s29
	s_cbranch_execz .LBB191_486
; %bb.464:
	s_mov_b32 s2, -1
	s_mov_b32 s30, exec_lo
	v_cmpx_eq_u16_e32 0x80, v3
; %bb.465:
	s_xor_b32 s2, exec_lo, -1
; %bb.466:
	s_or_b32 exec_lo, exec_lo, s30
	s_delay_alu instid0(SALU_CYCLE_1)
	s_and_b32 s2, s2, exec_lo
	s_or_saveexec_b32 s29, s29
	v_mov_b32_e32 v1, 0x7e00
	s_xor_b32 exec_lo, exec_lo, s29
	s_cbranch_execnz .LBB191_487
.LBB191_467:
	s_or_b32 exec_lo, exec_lo, s29
	s_and_saveexec_b32 s29, s2
	s_cbranch_execz .LBB191_469
.LBB191_468:
	v_and_b32_e32 v1, 0xffff, v3
	s_delay_alu instid0(VALU_DEP_1) | instskip(SKIP_1) | instid1(VALU_DEP_2)
	v_and_b32_e32 v6, 3, v1
	v_bfe_u32 v9, v1, 2, 5
	v_clz_i32_u32_e32 v7, v6
	s_delay_alu instid0(VALU_DEP_2) | instskip(NEXT) | instid1(VALU_DEP_2)
	v_cmp_eq_u32_e32 vcc_lo, 0, v9
	v_min_u32_e32 v7, 32, v7
	s_delay_alu instid0(VALU_DEP_1) | instskip(NEXT) | instid1(VALU_DEP_1)
	v_subrev_nc_u32_e32 v8, 29, v7
	v_dual_lshlrev_b32 v1, v8, v1 :: v_dual_sub_nc_u32 v7, 30, v7
	s_delay_alu instid0(VALU_DEP_1) | instskip(NEXT) | instid1(VALU_DEP_1)
	v_dual_lshlrev_b32 v3, 24, v3 :: v_dual_bitop2_b32 v1, 3, v1 bitop3:0x40
	v_dual_cndmask_b32 v1, v6, v1, vcc_lo :: v_dual_cndmask_b32 v7, v9, v7, vcc_lo
	s_delay_alu instid0(VALU_DEP_2) | instskip(NEXT) | instid1(VALU_DEP_2)
	v_and_b32_e32 v3, 0x80000000, v3
	v_lshlrev_b32_e32 v1, 21, v1
	s_delay_alu instid0(VALU_DEP_3) | instskip(NEXT) | instid1(VALU_DEP_1)
	v_lshl_add_u32 v6, v7, 23, 0x37800000
	v_or3_b32 v1, v3, v6, v1
	s_delay_alu instid0(VALU_DEP_1)
	v_cvt_f16_f32_e32 v1, v1
.LBB191_469:
	s_or_b32 exec_lo, exec_lo, s29
	s_mov_b32 s2, 0
	s_branch .LBB191_475
.LBB191_470:
	s_mov_b32 s29, -1
                                        ; implicit-def: $vgpr1
	s_branch .LBB191_481
.LBB191_471:
	s_or_saveexec_b32 s29, s29
	v_mov_b32_e32 v1, 0x7e00
	s_xor_b32 exec_lo, exec_lo, s29
	s_cbranch_execz .LBB191_454
.LBB191_472:
	v_cmp_ne_u16_e32 vcc_lo, 0, v3
	v_mov_b32_e32 v1, v3
	s_and_not1_b32 s2, s2, exec_lo
	s_and_b32 s30, vcc_lo, exec_lo
	s_delay_alu instid0(SALU_CYCLE_1)
	s_or_b32 s2, s2, s30
	s_or_b32 exec_lo, exec_lo, s29
	s_and_saveexec_b32 s29, s2
	s_cbranch_execnz .LBB191_455
	s_branch .LBB191_456
.LBB191_473:
	s_mov_b32 s2, -1
                                        ; implicit-def: $vgpr1
	s_branch .LBB191_478
.LBB191_474:
	s_mov_b32 s2, -1
                                        ; implicit-def: $vgpr1
.LBB191_475:
	s_delay_alu instid0(SALU_CYCLE_1)
	s_and_b32 vcc_lo, exec_lo, s2
	s_cbranch_vccz .LBB191_477
; %bb.476:
	s_wait_loadcnt 0x0
	global_load_u8 v1, v[4:5], off
	s_wait_loadcnt 0x0
	v_lshlrev_b32_e32 v1, 24, v1
	s_delay_alu instid0(VALU_DEP_1) | instskip(NEXT) | instid1(VALU_DEP_1)
	v_and_b32_e32 v3, 0x7f000000, v1
	v_clz_i32_u32_e32 v6, v3
	v_cmp_ne_u32_e32 vcc_lo, 0, v3
	v_add_nc_u32_e32 v8, 0x1000000, v3
	s_delay_alu instid0(VALU_DEP_3) | instskip(NEXT) | instid1(VALU_DEP_1)
	v_min_u32_e32 v6, 32, v6
	v_sub_nc_u32_e64 v6, v6, 4 clamp
	s_delay_alu instid0(VALU_DEP_1) | instskip(NEXT) | instid1(VALU_DEP_1)
	v_dual_lshlrev_b32 v7, v6, v3 :: v_dual_lshlrev_b32 v6, 23, v6
	v_lshrrev_b32_e32 v7, 4, v7
	s_delay_alu instid0(VALU_DEP_1) | instskip(NEXT) | instid1(VALU_DEP_1)
	v_dual_sub_nc_u32 v6, v7, v6 :: v_dual_ashrrev_i32 v7, 8, v8
	v_add_nc_u32_e32 v6, 0x3c000000, v6
	s_delay_alu instid0(VALU_DEP_1) | instskip(NEXT) | instid1(VALU_DEP_1)
	v_and_or_b32 v6, 0x7f800000, v7, v6
	v_cndmask_b32_e32 v3, 0, v6, vcc_lo
	s_delay_alu instid0(VALU_DEP_1) | instskip(NEXT) | instid1(VALU_DEP_1)
	v_and_or_b32 v1, 0x80000000, v1, v3
	v_cvt_f16_f32_e32 v1, v1
.LBB191_477:
	s_mov_b32 s2, 0
.LBB191_478:
	s_delay_alu instid0(SALU_CYCLE_1)
	s_and_not1_b32 vcc_lo, exec_lo, s2
	s_cbranch_vccnz .LBB191_480
; %bb.479:
	s_wait_loadcnt 0x0
	global_load_u8 v1, v[4:5], off
	s_wait_loadcnt 0x0
	v_lshlrev_b32_e32 v3, 25, v1
	v_lshlrev_b16 v1, 8, v1
	s_delay_alu instid0(VALU_DEP_1) | instskip(SKIP_1) | instid1(VALU_DEP_2)
	v_and_or_b32 v7, 0x7f00, v1, 0.5
	v_bfe_i32 v1, v1, 0, 16
	v_add_f32_e32 v7, -0.5, v7
	v_lshrrev_b32_e32 v6, 4, v3
	v_cmp_gt_u32_e32 vcc_lo, 0x8000000, v3
	s_delay_alu instid0(VALU_DEP_2) | instskip(NEXT) | instid1(VALU_DEP_1)
	v_or_b32_e32 v6, 0x70000000, v6
	v_mul_f32_e32 v6, 0x7800000, v6
	s_delay_alu instid0(VALU_DEP_1) | instskip(NEXT) | instid1(VALU_DEP_1)
	v_cndmask_b32_e32 v3, v6, v7, vcc_lo
	v_and_or_b32 v1, 0x80000000, v1, v3
	s_delay_alu instid0(VALU_DEP_1)
	v_cvt_f16_f32_e32 v1, v1
.LBB191_480:
	s_mov_b32 s29, 0
	s_mov_b32 s2, -1
.LBB191_481:
	s_and_not1_b32 vcc_lo, exec_lo, s29
	s_cbranch_vccnz .LBB191_494
; %bb.482:
	s_cmp_gt_i32 s1, 14
	s_cbranch_scc0 .LBB191_485
; %bb.483:
	s_cmp_eq_u32 s1, 15
	s_cbranch_scc0 .LBB191_488
; %bb.484:
	s_wait_loadcnt 0x0
	global_load_u16 v1, v[4:5], off
	s_mov_b32 s2, -1
	s_mov_b32 s28, 0
	s_wait_loadcnt 0x0
	v_lshlrev_b32_e32 v1, 16, v1
	s_delay_alu instid0(VALU_DEP_1)
	v_cvt_f16_f32_e32 v1, v1
	s_branch .LBB191_489
.LBB191_485:
	s_mov_b32 s29, -1
                                        ; implicit-def: $vgpr1
	s_branch .LBB191_490
.LBB191_486:
	s_or_saveexec_b32 s29, s29
	v_mov_b32_e32 v1, 0x7e00
	s_xor_b32 exec_lo, exec_lo, s29
	s_cbranch_execz .LBB191_467
.LBB191_487:
	v_cmp_ne_u16_e32 vcc_lo, 0, v3
	v_mov_b32_e32 v1, v3
	s_and_not1_b32 s2, s2, exec_lo
	s_and_b32 s30, vcc_lo, exec_lo
	s_delay_alu instid0(SALU_CYCLE_1)
	s_or_b32 s2, s2, s30
	s_or_b32 exec_lo, exec_lo, s29
	s_and_saveexec_b32 s29, s2
	s_cbranch_execnz .LBB191_468
	s_branch .LBB191_469
.LBB191_488:
	s_mov_b32 s28, -1
                                        ; implicit-def: $vgpr1
.LBB191_489:
	s_mov_b32 s29, 0
.LBB191_490:
	s_delay_alu instid0(SALU_CYCLE_1)
	s_and_b32 vcc_lo, exec_lo, s29
	s_cbranch_vccz .LBB191_494
; %bb.491:
	s_cmp_eq_u32 s1, 11
	s_cbranch_scc0 .LBB191_493
; %bb.492:
	s_wait_loadcnt 0x0
	global_load_u8 v1, v[4:5], off
	s_mov_b32 s28, 0
	s_mov_b32 s2, -1
	s_wait_loadcnt 0x0
	v_cmp_ne_u16_e32 vcc_lo, 0, v1
	v_cndmask_b32_e64 v1, 0, 0x3c00, vcc_lo
	s_branch .LBB191_494
.LBB191_493:
	s_mov_b32 s28, -1
                                        ; implicit-def: $vgpr1
.LBB191_494:
	s_branch .LBB191_296
.LBB191_495:
	s_cmp_lt_i32 s1, 5
	s_cbranch_scc1 .LBB191_500
; %bb.496:
	s_cmp_lt_i32 s1, 8
	s_cbranch_scc1 .LBB191_501
; %bb.497:
	;; [unrolled: 3-line block ×3, first 2 shown]
	s_cmp_gt_i32 s1, 9
	s_cbranch_scc0 .LBB191_503
; %bb.499:
	global_load_b64 v[6:7], v[4:5], off
	s_mov_b32 s2, 0
	s_wait_loadcnt 0x0
	v_and_or_b32 v1, 0x1ff, v7, v6
	v_lshrrev_b32_e32 v3, 8, v7
	v_bfe_u32 v6, v7, 20, 11
	s_delay_alu instid0(VALU_DEP_3) | instskip(NEXT) | instid1(VALU_DEP_2)
	v_cmp_ne_u32_e32 vcc_lo, 0, v1
	v_sub_nc_u32_e32 v8, 0x3f1, v6
	v_add_nc_u32_e32 v6, 0xfffffc10, v6
	v_cndmask_b32_e64 v1, 0, 1, vcc_lo
	s_delay_alu instid0(VALU_DEP_1) | instskip(NEXT) | instid1(VALU_DEP_4)
	v_and_or_b32 v1, 0xffe, v3, v1
	v_med3_i32 v3, v8, 0, 13
	s_delay_alu instid0(VALU_DEP_2) | instskip(NEXT) | instid1(VALU_DEP_1)
	v_or_b32_e32 v8, 0x1000, v1
	v_lshrrev_b32_e32 v9, v3, v8
	s_delay_alu instid0(VALU_DEP_1) | instskip(NEXT) | instid1(VALU_DEP_1)
	v_lshlrev_b32_e32 v3, v3, v9
	v_cmp_ne_u32_e32 vcc_lo, v3, v8
	v_lshl_or_b32 v8, v6, 12, v1
	v_cndmask_b32_e64 v3, 0, 1, vcc_lo
	v_cmp_gt_i32_e32 vcc_lo, 1, v6
	s_delay_alu instid0(VALU_DEP_2) | instskip(NEXT) | instid1(VALU_DEP_1)
	v_or_b32_e32 v3, v9, v3
	v_cndmask_b32_e32 v3, v8, v3, vcc_lo
	s_delay_alu instid0(VALU_DEP_1) | instskip(NEXT) | instid1(VALU_DEP_1)
	v_dual_lshrrev_b32 v3, 2, v3 :: v_dual_bitop2_b32 v8, 7, v3 bitop3:0x40
	v_cmp_lt_i32_e32 vcc_lo, 5, v8
	v_cndmask_b32_e64 v9, 0, 1, vcc_lo
	v_cmp_eq_u32_e32 vcc_lo, 3, v8
	v_cndmask_b32_e64 v8, 0, 1, vcc_lo
	v_cmp_ne_u32_e32 vcc_lo, 0, v1
	s_delay_alu instid0(VALU_DEP_2) | instskip(SKIP_1) | instid1(VALU_DEP_2)
	v_or_b32_e32 v8, v8, v9
	v_mov_b32_e32 v9, 0x7e00
	v_add_nc_u32_e32 v3, v3, v8
	s_delay_alu instid0(VALU_DEP_2) | instskip(SKIP_1) | instid1(VALU_DEP_3)
	v_cndmask_b32_e32 v1, 0x7c00, v9, vcc_lo
	v_cmp_gt_i32_e32 vcc_lo, 31, v6
	v_cndmask_b32_e32 v3, 0x7c00, v3, vcc_lo
	v_cmp_eq_u32_e32 vcc_lo, 0x40f, v6
	s_delay_alu instid0(VALU_DEP_2) | instskip(NEXT) | instid1(VALU_DEP_1)
	v_dual_cndmask_b32 v1, v3, v1, vcc_lo :: v_dual_lshrrev_b32 v3, 16, v7
	v_and_or_b32 v1, 0x8000, v3, v1
	s_branch .LBB191_504
.LBB191_500:
	s_mov_b32 s2, -1
                                        ; implicit-def: $vgpr1
	s_branch .LBB191_522
.LBB191_501:
	s_mov_b32 s2, -1
                                        ; implicit-def: $vgpr1
	s_branch .LBB191_510
.LBB191_502:
	s_mov_b32 s2, -1
                                        ; implicit-def: $vgpr1
	s_branch .LBB191_507
.LBB191_503:
	s_mov_b32 s2, -1
                                        ; implicit-def: $vgpr1
.LBB191_504:
	s_delay_alu instid0(SALU_CYCLE_1)
	s_and_not1_b32 vcc_lo, exec_lo, s2
	s_cbranch_vccnz .LBB191_506
; %bb.505:
	s_wait_loadcnt 0x0
	global_load_b32 v1, v[4:5], off
	s_wait_loadcnt 0x0
	v_cvt_f16_f32_e32 v1, v1
.LBB191_506:
	s_mov_b32 s2, 0
.LBB191_507:
	s_delay_alu instid0(SALU_CYCLE_1)
	s_and_not1_b32 vcc_lo, exec_lo, s2
	s_cbranch_vccnz .LBB191_509
; %bb.508:
	s_wait_loadcnt 0x0
	global_load_b32 v1, v[4:5], off
.LBB191_509:
	s_mov_b32 s2, 0
.LBB191_510:
	s_delay_alu instid0(SALU_CYCLE_1)
	s_and_not1_b32 vcc_lo, exec_lo, s2
	s_cbranch_vccnz .LBB191_521
; %bb.511:
	s_cmp_lt_i32 s1, 6
	s_cbranch_scc1 .LBB191_514
; %bb.512:
	s_cmp_gt_i32 s1, 6
	s_cbranch_scc0 .LBB191_515
; %bb.513:
	global_load_b64 v[6:7], v[4:5], off
	s_mov_b32 s2, 0
	s_wait_loadcnt 0x0
	v_and_or_b32 v1, 0x1ff, v7, v6
	v_lshrrev_b32_e32 v3, 8, v7
	v_bfe_u32 v6, v7, 20, 11
	s_delay_alu instid0(VALU_DEP_3) | instskip(NEXT) | instid1(VALU_DEP_2)
	v_cmp_ne_u32_e32 vcc_lo, 0, v1
	v_sub_nc_u32_e32 v8, 0x3f1, v6
	v_add_nc_u32_e32 v6, 0xfffffc10, v6
	v_cndmask_b32_e64 v1, 0, 1, vcc_lo
	s_delay_alu instid0(VALU_DEP_1) | instskip(NEXT) | instid1(VALU_DEP_4)
	v_and_or_b32 v1, 0xffe, v3, v1
	v_med3_i32 v3, v8, 0, 13
	s_delay_alu instid0(VALU_DEP_2) | instskip(NEXT) | instid1(VALU_DEP_1)
	v_or_b32_e32 v8, 0x1000, v1
	v_lshrrev_b32_e32 v9, v3, v8
	s_delay_alu instid0(VALU_DEP_1) | instskip(NEXT) | instid1(VALU_DEP_1)
	v_lshlrev_b32_e32 v3, v3, v9
	v_cmp_ne_u32_e32 vcc_lo, v3, v8
	v_lshl_or_b32 v8, v6, 12, v1
	v_cndmask_b32_e64 v3, 0, 1, vcc_lo
	v_cmp_gt_i32_e32 vcc_lo, 1, v6
	s_delay_alu instid0(VALU_DEP_2) | instskip(NEXT) | instid1(VALU_DEP_1)
	v_or_b32_e32 v3, v9, v3
	v_cndmask_b32_e32 v3, v8, v3, vcc_lo
	s_delay_alu instid0(VALU_DEP_1) | instskip(NEXT) | instid1(VALU_DEP_1)
	v_dual_lshrrev_b32 v3, 2, v3 :: v_dual_bitop2_b32 v8, 7, v3 bitop3:0x40
	v_cmp_lt_i32_e32 vcc_lo, 5, v8
	v_cndmask_b32_e64 v9, 0, 1, vcc_lo
	v_cmp_eq_u32_e32 vcc_lo, 3, v8
	v_cndmask_b32_e64 v8, 0, 1, vcc_lo
	v_cmp_ne_u32_e32 vcc_lo, 0, v1
	s_delay_alu instid0(VALU_DEP_2) | instskip(SKIP_1) | instid1(VALU_DEP_2)
	v_or_b32_e32 v8, v8, v9
	v_mov_b32_e32 v9, 0x7e00
	v_add_nc_u32_e32 v3, v3, v8
	s_delay_alu instid0(VALU_DEP_2) | instskip(SKIP_1) | instid1(VALU_DEP_3)
	v_cndmask_b32_e32 v1, 0x7c00, v9, vcc_lo
	v_cmp_gt_i32_e32 vcc_lo, 31, v6
	v_cndmask_b32_e32 v3, 0x7c00, v3, vcc_lo
	v_cmp_eq_u32_e32 vcc_lo, 0x40f, v6
	s_delay_alu instid0(VALU_DEP_2) | instskip(NEXT) | instid1(VALU_DEP_1)
	v_dual_cndmask_b32 v1, v3, v1, vcc_lo :: v_dual_lshrrev_b32 v3, 16, v7
	v_and_or_b32 v1, 0x8000, v3, v1
	s_branch .LBB191_516
.LBB191_514:
	s_mov_b32 s2, -1
                                        ; implicit-def: $vgpr1
	s_branch .LBB191_519
.LBB191_515:
	s_mov_b32 s2, -1
                                        ; implicit-def: $vgpr1
.LBB191_516:
	s_delay_alu instid0(SALU_CYCLE_1)
	s_and_not1_b32 vcc_lo, exec_lo, s2
	s_cbranch_vccnz .LBB191_518
; %bb.517:
	s_wait_loadcnt 0x0
	global_load_b32 v1, v[4:5], off
	s_wait_loadcnt 0x0
	v_cvt_f16_f32_e32 v1, v1
.LBB191_518:
	s_mov_b32 s2, 0
.LBB191_519:
	s_delay_alu instid0(SALU_CYCLE_1)
	s_and_not1_b32 vcc_lo, exec_lo, s2
	s_cbranch_vccnz .LBB191_521
; %bb.520:
	s_wait_loadcnt 0x0
	global_load_u16 v1, v[4:5], off
.LBB191_521:
	s_mov_b32 s2, 0
.LBB191_522:
	s_delay_alu instid0(SALU_CYCLE_1)
	s_and_not1_b32 vcc_lo, exec_lo, s2
	s_cbranch_vccnz .LBB191_542
; %bb.523:
	s_cmp_lt_i32 s1, 2
	s_cbranch_scc1 .LBB191_527
; %bb.524:
	s_cmp_lt_i32 s1, 3
	s_cbranch_scc1 .LBB191_528
; %bb.525:
	s_cmp_gt_i32 s1, 3
	s_cbranch_scc0 .LBB191_529
; %bb.526:
	global_load_b64 v[6:7], v[4:5], off
	s_mov_b32 s2, 0
	s_wait_loadcnt 0x0
	v_xor_b32_e32 v1, v6, v7
	v_cls_i32_e32 v3, v7
	s_delay_alu instid0(VALU_DEP_2) | instskip(NEXT) | instid1(VALU_DEP_1)
	v_ashrrev_i32_e32 v1, 31, v1
	v_add_nc_u32_e32 v1, 32, v1
	s_delay_alu instid0(VALU_DEP_1) | instskip(NEXT) | instid1(VALU_DEP_1)
	v_add_min_u32_e64 v1, v3, -1, v1
	v_lshlrev_b64_e32 v[6:7], v1, v[6:7]
	v_sub_nc_u32_e32 v1, 32, v1
	s_delay_alu instid0(VALU_DEP_2) | instskip(NEXT) | instid1(VALU_DEP_1)
	v_min_u32_e32 v3, 1, v6
	v_or_b32_e32 v3, v7, v3
	s_delay_alu instid0(VALU_DEP_1) | instskip(NEXT) | instid1(VALU_DEP_1)
	v_cvt_f32_i32_e32 v3, v3
	v_ldexp_f32 v1, v3, v1
	s_delay_alu instid0(VALU_DEP_1)
	v_cvt_f16_f32_e32 v1, v1
	s_branch .LBB191_530
.LBB191_527:
	s_mov_b32 s2, -1
                                        ; implicit-def: $vgpr1
	s_branch .LBB191_536
.LBB191_528:
	s_mov_b32 s2, -1
                                        ; implicit-def: $vgpr1
	s_branch .LBB191_533
.LBB191_529:
	s_mov_b32 s2, -1
                                        ; implicit-def: $vgpr1
.LBB191_530:
	s_delay_alu instid0(SALU_CYCLE_1)
	s_and_not1_b32 vcc_lo, exec_lo, s2
	s_cbranch_vccnz .LBB191_532
; %bb.531:
	s_wait_loadcnt 0x0
	global_load_b32 v1, v[4:5], off
	s_wait_loadcnt 0x0
	v_cvt_f32_i32_e32 v1, v1
	s_delay_alu instid0(VALU_DEP_1)
	v_cvt_f16_f32_e32 v1, v1
.LBB191_532:
	s_mov_b32 s2, 0
.LBB191_533:
	s_delay_alu instid0(SALU_CYCLE_1)
	s_and_not1_b32 vcc_lo, exec_lo, s2
	s_cbranch_vccnz .LBB191_535
; %bb.534:
	s_wait_loadcnt 0x0
	global_load_u16 v1, v[4:5], off
	s_wait_loadcnt 0x0
	v_cvt_f16_i16_e32 v1, v1
.LBB191_535:
	s_mov_b32 s2, 0
.LBB191_536:
	s_delay_alu instid0(SALU_CYCLE_1)
	s_and_not1_b32 vcc_lo, exec_lo, s2
	s_cbranch_vccnz .LBB191_542
; %bb.537:
	s_cmp_gt_i32 s1, 0
	s_mov_b32 s1, 0
	s_cbranch_scc0 .LBB191_539
; %bb.538:
	s_wait_loadcnt 0x0
	global_load_i8 v1, v[4:5], off
	s_wait_loadcnt 0x0
	v_cvt_f16_i16_e32 v1, v1
	s_branch .LBB191_540
.LBB191_539:
	s_mov_b32 s1, -1
                                        ; implicit-def: $vgpr1
.LBB191_540:
	s_delay_alu instid0(SALU_CYCLE_1)
	s_and_not1_b32 vcc_lo, exec_lo, s1
	s_cbranch_vccnz .LBB191_542
; %bb.541:
	s_wait_loadcnt 0x0
	global_load_u8 v1, v[4:5], off
	s_wait_loadcnt 0x0
	v_cvt_f16_u16_e32 v1, v1
.LBB191_542:
	s_branch .LBB191_297
.LBB191_543:
	s_mov_b32 s1, 0
	s_mov_b32 s2, s16
.LBB191_544:
                                        ; implicit-def: $vgpr0
.LBB191_545:
	s_and_not1_b32 s29, s16, exec_lo
	s_and_b32 s2, s2, exec_lo
	s_and_not1_b32 s30, s43, exec_lo
	s_and_b32 s28, s28, exec_lo
	s_or_b32 s46, s29, s2
	s_or_b32 s45, s30, s28
	s_or_not1_b32 s28, s1, exec_lo
.LBB191_546:
	s_wait_xcnt 0x0
	s_or_b32 exec_lo, exec_lo, s47
	s_mov_b32 s1, 0
	s_mov_b32 s2, 0
	;; [unrolled: 1-line block ×3, first 2 shown]
                                        ; implicit-def: $vgpr4_vgpr5
                                        ; implicit-def: $vgpr2
                                        ; implicit-def: $vgpr3
	s_and_saveexec_b32 s47, s28
	s_cbranch_execz .LBB191_927
; %bb.547:
	s_mov_b32 s31, -1
	s_mov_b32 s1, s45
	s_mov_b32 s2, s46
	s_mov_b32 s48, exec_lo
	v_cmpx_gt_i32_e64 s40, v0
	s_cbranch_execz .LBB191_824
; %bb.548:
	s_and_not1_b32 vcc_lo, exec_lo, s37
	s_cbranch_vccnz .LBB191_554
; %bb.549:
	s_and_not1_b32 vcc_lo, exec_lo, s42
	s_cbranch_vccnz .LBB191_555
; %bb.550:
	s_add_co_i32 s1, s41, 1
	s_cmp_eq_u32 s33, 2
	s_cbranch_scc1 .LBB191_556
; %bb.551:
	v_dual_mov_b32 v2, 0 :: v_dual_mov_b32 v4, 0
	s_wait_loadcnt 0x0
	v_mov_b32_e32 v1, v0
	s_and_b32 s28, s1, 28
	s_mov_b32 s2, 0
	s_mov_b64 s[30:31], s[20:21]
	s_mov_b64 s[34:35], s[26:27]
.LBB191_552:                            ; =>This Inner Loop Header: Depth=1
	s_clause 0x1
	s_load_b256 s[52:59], s[30:31], 0x4
	s_load_b128 s[68:71], s[30:31], 0x24
	s_load_b256 s[60:67], s[34:35], 0x0
	s_add_co_i32 s2, s2, 4
	s_wait_xcnt 0x0
	s_add_nc_u64 s[30:31], s[30:31], 48
	s_cmp_eq_u32 s28, s2
	s_add_nc_u64 s[34:35], s[34:35], 32
	s_wait_kmcnt 0x0
	v_mul_hi_u32 v3, s53, v1
	s_delay_alu instid0(VALU_DEP_1) | instskip(NEXT) | instid1(VALU_DEP_1)
	v_add_nc_u32_e32 v3, v1, v3
	v_lshrrev_b32_e32 v3, s54, v3
	s_delay_alu instid0(VALU_DEP_1) | instskip(NEXT) | instid1(VALU_DEP_1)
	v_mul_hi_u32 v5, s56, v3
	v_add_nc_u32_e32 v5, v3, v5
	s_delay_alu instid0(VALU_DEP_1) | instskip(NEXT) | instid1(VALU_DEP_1)
	v_lshrrev_b32_e32 v5, s57, v5
	v_mul_hi_u32 v6, s59, v5
	s_delay_alu instid0(VALU_DEP_1) | instskip(SKIP_1) | instid1(VALU_DEP_1)
	v_add_nc_u32_e32 v6, v5, v6
	v_mul_lo_u32 v7, v3, s52
	v_sub_nc_u32_e32 v1, v1, v7
	v_mul_lo_u32 v7, v5, s55
	s_delay_alu instid0(VALU_DEP_4) | instskip(NEXT) | instid1(VALU_DEP_3)
	v_lshrrev_b32_e32 v6, s68, v6
	v_mad_u32 v4, v1, s61, v4
	v_mad_u32 v1, v1, s60, v2
	s_delay_alu instid0(VALU_DEP_4) | instskip(NEXT) | instid1(VALU_DEP_4)
	v_sub_nc_u32_e32 v2, v3, v7
	v_mul_hi_u32 v8, s70, v6
	v_mul_lo_u32 v3, v6, s58
	s_delay_alu instid0(VALU_DEP_3) | instskip(SKIP_1) | instid1(VALU_DEP_3)
	v_mad_u32 v4, v2, s63, v4
	v_mad_u32 v2, v2, s62, v1
	v_dual_add_nc_u32 v7, v6, v8 :: v_dual_sub_nc_u32 v3, v5, v3
	s_delay_alu instid0(VALU_DEP_1) | instskip(NEXT) | instid1(VALU_DEP_2)
	v_lshrrev_b32_e32 v1, s71, v7
	v_mad_u32 v4, v3, s65, v4
	s_delay_alu instid0(VALU_DEP_4) | instskip(NEXT) | instid1(VALU_DEP_3)
	v_mad_u32 v2, v3, s64, v2
	v_mul_lo_u32 v5, v1, s69
	s_delay_alu instid0(VALU_DEP_1) | instskip(NEXT) | instid1(VALU_DEP_1)
	v_sub_nc_u32_e32 v3, v6, v5
	v_mad_u32 v4, v3, s67, v4
	s_delay_alu instid0(VALU_DEP_4)
	v_mad_u32 v2, v3, s66, v2
	s_cbranch_scc0 .LBB191_552
; %bb.553:
	s_delay_alu instid0(VALU_DEP_2)
	v_mov_b32_e32 v3, v4
	s_branch .LBB191_557
.LBB191_554:
	s_mov_b32 s1, -1
                                        ; implicit-def: $vgpr4
                                        ; implicit-def: $vgpr2
	s_branch .LBB191_562
.LBB191_555:
	v_dual_mov_b32 v4, 0 :: v_dual_mov_b32 v2, 0
	s_branch .LBB191_561
.LBB191_556:
	v_mov_b64_e32 v[2:3], 0
	s_wait_loadcnt 0x0
	v_mov_b32_e32 v1, v0
	s_mov_b32 s28, 0
                                        ; implicit-def: $vgpr4
.LBB191_557:
	s_and_b32 s1, s1, 3
	s_mov_b32 s29, 0
	s_cmp_eq_u32 s1, 0
	s_cbranch_scc1 .LBB191_561
; %bb.558:
	s_lshl_b32 s30, s28, 3
	s_mov_b32 s31, s29
	s_mul_u64 s[34:35], s[28:29], 12
	s_add_nc_u64 s[30:31], s[20:21], s[30:31]
	s_delay_alu instid0(SALU_CYCLE_1)
	s_add_nc_u64 s[28:29], s[30:31], 0xc4
	s_add_nc_u64 s[30:31], s[20:21], s[34:35]
.LBB191_559:                            ; =>This Inner Loop Header: Depth=1
	s_load_b96 s[52:54], s[30:31], 0x4
	s_load_b64 s[34:35], s[28:29], 0x0
	s_add_co_i32 s1, s1, -1
	s_wait_xcnt 0x0
	s_add_nc_u64 s[30:31], s[30:31], 12
	s_cmp_lg_u32 s1, 0
	s_add_nc_u64 s[28:29], s[28:29], 8
	s_wait_kmcnt 0x0
	v_mul_hi_u32 v4, s53, v1
	s_delay_alu instid0(VALU_DEP_1) | instskip(NEXT) | instid1(VALU_DEP_1)
	v_add_nc_u32_e32 v4, v1, v4
	v_lshrrev_b32_e32 v4, s54, v4
	s_delay_alu instid0(VALU_DEP_1) | instskip(NEXT) | instid1(VALU_DEP_1)
	v_mul_lo_u32 v5, v4, s52
	v_sub_nc_u32_e32 v1, v1, v5
	s_delay_alu instid0(VALU_DEP_1)
	v_mad_u32 v3, v1, s35, v3
	v_mad_u32 v2, v1, s34, v2
	v_mov_b32_e32 v1, v4
	s_cbranch_scc1 .LBB191_559
; %bb.560:
	s_delay_alu instid0(VALU_DEP_3)
	v_mov_b32_e32 v4, v3
.LBB191_561:
	s_mov_b32 s1, 0
.LBB191_562:
	s_delay_alu instid0(SALU_CYCLE_1)
	s_and_not1_b32 vcc_lo, exec_lo, s1
	s_cbranch_vccnz .LBB191_565
; %bb.563:
	s_wait_loadcnt 0x0
	v_mov_b32_e32 v1, 0
	s_and_not1_b32 vcc_lo, exec_lo, s39
	s_delay_alu instid0(VALU_DEP_1) | instskip(NEXT) | instid1(VALU_DEP_1)
	v_mul_u64_e32 v[2:3], s[22:23], v[0:1]
	v_add_nc_u32_e32 v2, v0, v3
	s_delay_alu instid0(VALU_DEP_1) | instskip(NEXT) | instid1(VALU_DEP_1)
	v_lshrrev_b32_e32 v6, s10, v2
	v_mul_lo_u32 v2, v6, s8
	s_delay_alu instid0(VALU_DEP_1) | instskip(NEXT) | instid1(VALU_DEP_1)
	v_sub_nc_u32_e32 v2, v0, v2
	v_mul_lo_u32 v4, v2, s13
	v_mul_lo_u32 v2, v2, s12
	s_cbranch_vccnz .LBB191_565
; %bb.564:
	v_mov_b32_e32 v7, v1
	s_delay_alu instid0(VALU_DEP_1) | instskip(NEXT) | instid1(VALU_DEP_1)
	v_mul_u64_e32 v[8:9], s[24:25], v[6:7]
	v_add_nc_u32_e32 v1, v6, v9
	s_delay_alu instid0(VALU_DEP_1) | instskip(NEXT) | instid1(VALU_DEP_1)
	v_lshrrev_b32_e32 v1, s3, v1
	v_mul_lo_u32 v1, v1, s11
	s_delay_alu instid0(VALU_DEP_1) | instskip(NEXT) | instid1(VALU_DEP_1)
	v_sub_nc_u32_e32 v1, v6, v1
	v_mad_u32 v2, v1, s14, v2
	v_mad_u32 v4, v1, s15, v4
.LBB191_565:
	v_mov_b32_e32 v5, 0
	s_and_b32 s1, 0xffff, s9
	s_delay_alu instid0(SALU_CYCLE_1) | instskip(NEXT) | instid1(VALU_DEP_1)
	s_cmp_lt_i32 s1, 11
	v_add_nc_u64_e32 v[4:5], s[6:7], v[4:5]
	s_cbranch_scc1 .LBB191_572
; %bb.566:
	s_cmp_gt_i32 s1, 25
	s_cbranch_scc0 .LBB191_573
; %bb.567:
	s_cmp_gt_i32 s1, 28
	s_cbranch_scc0 .LBB191_574
	;; [unrolled: 3-line block ×4, first 2 shown]
; %bb.570:
	s_cmp_eq_u32 s1, 46
	s_mov_b32 s29, 0
	s_cbranch_scc0 .LBB191_581
; %bb.571:
	s_wait_loadcnt 0x0
	global_load_b32 v1, v[4:5], off
	s_mov_b32 s2, -1
	s_mov_b32 s28, 0
	s_wait_loadcnt 0x0
	v_lshlrev_b32_e32 v1, 16, v1
	s_delay_alu instid0(VALU_DEP_1)
	v_cvt_f16_f32_e32 v1, v1
	s_branch .LBB191_583
.LBB191_572:
	s_mov_b32 s29, -1
	s_mov_b32 s2, 0
	s_mov_b32 s28, s45
                                        ; implicit-def: $vgpr1
	s_branch .LBB191_648
.LBB191_573:
	s_mov_b32 s29, -1
	s_mov_b32 s2, 0
	s_mov_b32 s28, s45
                                        ; implicit-def: $vgpr1
	s_branch .LBB191_612
.LBB191_574:
	s_mov_b32 s29, -1
	s_mov_b32 s2, 0
	s_mov_b32 s28, s45
                                        ; implicit-def: $vgpr1
	s_branch .LBB191_593
.LBB191_575:
	s_mov_b32 s29, -1
	s_mov_b32 s2, 0
	s_mov_b32 s28, s45
                                        ; implicit-def: $vgpr1
	s_branch .LBB191_588
.LBB191_576:
	s_and_not1_saveexec_b32 s35, s35
	s_cbranch_execz .LBB191_343
.LBB191_577:
	v_add_f32_e32 v1, 0x46000000, v4
	s_and_not1_b32 s34, s34, exec_lo
	s_delay_alu instid0(VALU_DEP_1) | instskip(NEXT) | instid1(VALU_DEP_1)
	v_and_b32_e32 v1, 0xff, v1
	v_cmp_ne_u32_e32 vcc_lo, 0, v1
	s_and_b32 s45, vcc_lo, exec_lo
	s_delay_alu instid0(SALU_CYCLE_1)
	s_or_b32 s34, s34, s45
	s_or_b32 exec_lo, exec_lo, s35
	v_mov_b32_e32 v5, 0
	s_and_saveexec_b32 s35, s34
	s_cbranch_execnz .LBB191_344
	s_branch .LBB191_345
.LBB191_578:
	s_mov_b32 s29, -1
	s_mov_b32 s2, 0
	s_mov_b32 s28, s45
	s_branch .LBB191_582
.LBB191_579:
	s_and_not1_saveexec_b32 s35, s35
	s_cbranch_execz .LBB191_356
.LBB191_580:
	v_add_f32_e32 v1, 0x42800000, v4
	s_and_not1_b32 s34, s34, exec_lo
	s_delay_alu instid0(VALU_DEP_1) | instskip(NEXT) | instid1(VALU_DEP_1)
	v_and_b32_e32 v1, 0xff, v1
	v_cmp_ne_u32_e32 vcc_lo, 0, v1
	s_and_b32 s45, vcc_lo, exec_lo
	s_delay_alu instid0(SALU_CYCLE_1)
	s_or_b32 s34, s34, s45
	s_or_b32 exec_lo, exec_lo, s35
	v_mov_b32_e32 v5, 0
	s_and_saveexec_b32 s35, s34
	s_cbranch_execnz .LBB191_357
	s_branch .LBB191_358
.LBB191_581:
	s_mov_b32 s28, -1
	s_mov_b32 s2, 0
.LBB191_582:
                                        ; implicit-def: $vgpr1
.LBB191_583:
	s_and_b32 vcc_lo, exec_lo, s29
	s_cbranch_vccz .LBB191_587
; %bb.584:
	s_cmp_eq_u32 s1, 44
	s_cbranch_scc0 .LBB191_586
; %bb.585:
	s_wait_loadcnt 0x0
	global_load_u8 v1, v[4:5], off
	s_mov_b32 s28, 0
	s_mov_b32 s2, -1
	s_wait_loadcnt 0x0
	v_lshlrev_b32_e32 v3, 23, v1
	v_cmp_ne_u32_e32 vcc_lo, 0xff, v1
	s_delay_alu instid0(VALU_DEP_2) | instskip(NEXT) | instid1(VALU_DEP_1)
	v_cvt_f16_f32_e32 v3, v3
	v_cndmask_b32_e32 v3, 0x7e00, v3, vcc_lo
	v_cmp_ne_u32_e32 vcc_lo, 0, v1
	s_delay_alu instid0(VALU_DEP_2)
	v_cndmask_b32_e32 v1, 0, v3, vcc_lo
	s_branch .LBB191_587
.LBB191_586:
	s_mov_b32 s28, -1
                                        ; implicit-def: $vgpr1
.LBB191_587:
	s_mov_b32 s29, 0
.LBB191_588:
	s_delay_alu instid0(SALU_CYCLE_1)
	s_and_b32 vcc_lo, exec_lo, s29
	s_cbranch_vccz .LBB191_592
; %bb.589:
	s_cmp_eq_u32 s1, 29
	s_cbranch_scc0 .LBB191_591
; %bb.590:
	global_load_b64 v[6:7], v[4:5], off
	s_mov_b32 s2, -1
	s_mov_b32 s28, 0
	s_mov_b32 s29, 0
	s_wait_loadcnt 0x0
	v_clz_i32_u32_e32 v1, v7
	s_delay_alu instid0(VALU_DEP_1) | instskip(NEXT) | instid1(VALU_DEP_1)
	v_min_u32_e32 v1, 32, v1
	v_lshlrev_b64_e32 v[6:7], v1, v[6:7]
	v_sub_nc_u32_e32 v1, 32, v1
	s_delay_alu instid0(VALU_DEP_2) | instskip(NEXT) | instid1(VALU_DEP_1)
	v_min_u32_e32 v3, 1, v6
	v_or_b32_e32 v3, v7, v3
	s_delay_alu instid0(VALU_DEP_1) | instskip(NEXT) | instid1(VALU_DEP_1)
	v_cvt_f32_u32_e32 v3, v3
	v_ldexp_f32 v1, v3, v1
	s_delay_alu instid0(VALU_DEP_1)
	v_cvt_f16_f32_e32 v1, v1
	s_branch .LBB191_593
.LBB191_591:
	s_mov_b32 s28, -1
                                        ; implicit-def: $vgpr1
.LBB191_592:
	s_mov_b32 s29, 0
.LBB191_593:
	s_delay_alu instid0(SALU_CYCLE_1)
	s_and_b32 vcc_lo, exec_lo, s29
	s_cbranch_vccz .LBB191_611
; %bb.594:
	s_cmp_lt_i32 s1, 27
	s_cbranch_scc1 .LBB191_597
; %bb.595:
	s_cmp_gt_i32 s1, 27
	s_cbranch_scc0 .LBB191_598
; %bb.596:
	s_wait_loadcnt 0x0
	global_load_b32 v1, v[4:5], off
	s_mov_b32 s2, 0
	s_wait_loadcnt 0x0
	v_cvt_f32_u32_e32 v1, v1
	s_delay_alu instid0(VALU_DEP_1)
	v_cvt_f16_f32_e32 v1, v1
	s_branch .LBB191_599
.LBB191_597:
	s_mov_b32 s2, -1
                                        ; implicit-def: $vgpr1
	s_branch .LBB191_602
.LBB191_598:
	s_mov_b32 s2, -1
                                        ; implicit-def: $vgpr1
.LBB191_599:
	s_delay_alu instid0(SALU_CYCLE_1)
	s_and_not1_b32 vcc_lo, exec_lo, s2
	s_cbranch_vccnz .LBB191_601
; %bb.600:
	s_wait_loadcnt 0x0
	global_load_u16 v1, v[4:5], off
	s_wait_loadcnt 0x0
	v_cvt_f16_u16_e32 v1, v1
.LBB191_601:
	s_mov_b32 s2, 0
.LBB191_602:
	s_delay_alu instid0(SALU_CYCLE_1)
	s_and_not1_b32 vcc_lo, exec_lo, s2
	s_cbranch_vccnz .LBB191_610
; %bb.603:
	global_load_u8 v3, v[4:5], off
	s_mov_b32 s2, 0
	s_mov_b32 s29, exec_lo
	s_wait_loadcnt 0x0
	v_cmpx_lt_i16_e32 0x7f, v3
	s_xor_b32 s29, exec_lo, s29
	s_cbranch_execz .LBB191_624
; %bb.604:
	s_mov_b32 s2, -1
	s_mov_b32 s30, exec_lo
	v_cmpx_eq_u16_e32 0x80, v3
; %bb.605:
	s_xor_b32 s2, exec_lo, -1
; %bb.606:
	s_or_b32 exec_lo, exec_lo, s30
	s_delay_alu instid0(SALU_CYCLE_1)
	s_and_b32 s2, s2, exec_lo
	s_or_saveexec_b32 s29, s29
	v_mov_b32_e32 v1, 0x7e00
	s_xor_b32 exec_lo, exec_lo, s29
	s_cbranch_execnz .LBB191_625
.LBB191_607:
	s_or_b32 exec_lo, exec_lo, s29
	s_and_saveexec_b32 s29, s2
	s_cbranch_execz .LBB191_609
.LBB191_608:
	v_and_b32_e32 v1, 0xffff, v3
	s_delay_alu instid0(VALU_DEP_1) | instskip(SKIP_1) | instid1(VALU_DEP_2)
	v_and_b32_e32 v6, 7, v1
	v_bfe_u32 v9, v1, 3, 4
	v_clz_i32_u32_e32 v7, v6
	s_delay_alu instid0(VALU_DEP_2) | instskip(NEXT) | instid1(VALU_DEP_2)
	v_cmp_eq_u32_e32 vcc_lo, 0, v9
	v_min_u32_e32 v7, 32, v7
	s_delay_alu instid0(VALU_DEP_1) | instskip(NEXT) | instid1(VALU_DEP_1)
	v_subrev_nc_u32_e32 v8, 28, v7
	v_dual_lshlrev_b32 v1, v8, v1 :: v_dual_sub_nc_u32 v7, 29, v7
	s_delay_alu instid0(VALU_DEP_1) | instskip(NEXT) | instid1(VALU_DEP_1)
	v_dual_lshlrev_b32 v3, 24, v3 :: v_dual_bitop2_b32 v1, 7, v1 bitop3:0x40
	v_dual_cndmask_b32 v1, v6, v1, vcc_lo :: v_dual_cndmask_b32 v7, v9, v7, vcc_lo
	s_delay_alu instid0(VALU_DEP_2) | instskip(NEXT) | instid1(VALU_DEP_2)
	v_and_b32_e32 v3, 0x80000000, v3
	v_lshlrev_b32_e32 v1, 20, v1
	s_delay_alu instid0(VALU_DEP_3) | instskip(NEXT) | instid1(VALU_DEP_1)
	v_lshl_add_u32 v6, v7, 23, 0x3b800000
	v_or3_b32 v1, v3, v6, v1
	s_delay_alu instid0(VALU_DEP_1)
	v_cvt_f16_f32_e32 v1, v1
.LBB191_609:
	s_or_b32 exec_lo, exec_lo, s29
.LBB191_610:
	s_mov_b32 s2, -1
.LBB191_611:
	s_mov_b32 s29, 0
.LBB191_612:
	s_delay_alu instid0(SALU_CYCLE_1)
	s_and_b32 vcc_lo, exec_lo, s29
	s_cbranch_vccz .LBB191_647
; %bb.613:
	s_cmp_gt_i32 s1, 22
	s_cbranch_scc0 .LBB191_623
; %bb.614:
	s_cmp_lt_i32 s1, 24
	s_cbranch_scc1 .LBB191_626
; %bb.615:
	s_cmp_gt_i32 s1, 24
	s_cbranch_scc0 .LBB191_627
; %bb.616:
	global_load_u8 v3, v[4:5], off
	s_mov_b32 s2, 0
	s_mov_b32 s29, exec_lo
	s_wait_loadcnt 0x0
	v_cmpx_lt_i16_e32 0x7f, v3
	s_xor_b32 s29, exec_lo, s29
	s_cbranch_execz .LBB191_639
; %bb.617:
	s_mov_b32 s2, -1
	s_mov_b32 s30, exec_lo
	v_cmpx_eq_u16_e32 0x80, v3
; %bb.618:
	s_xor_b32 s2, exec_lo, -1
; %bb.619:
	s_or_b32 exec_lo, exec_lo, s30
	s_delay_alu instid0(SALU_CYCLE_1)
	s_and_b32 s2, s2, exec_lo
	s_or_saveexec_b32 s29, s29
	v_mov_b32_e32 v1, 0x7e00
	s_xor_b32 exec_lo, exec_lo, s29
	s_cbranch_execnz .LBB191_640
.LBB191_620:
	s_or_b32 exec_lo, exec_lo, s29
	s_and_saveexec_b32 s29, s2
	s_cbranch_execz .LBB191_622
.LBB191_621:
	v_and_b32_e32 v1, 0xffff, v3
	s_delay_alu instid0(VALU_DEP_1) | instskip(SKIP_1) | instid1(VALU_DEP_2)
	v_and_b32_e32 v6, 3, v1
	v_bfe_u32 v9, v1, 2, 5
	v_clz_i32_u32_e32 v7, v6
	s_delay_alu instid0(VALU_DEP_2) | instskip(NEXT) | instid1(VALU_DEP_2)
	v_cmp_eq_u32_e32 vcc_lo, 0, v9
	v_min_u32_e32 v7, 32, v7
	s_delay_alu instid0(VALU_DEP_1) | instskip(NEXT) | instid1(VALU_DEP_1)
	v_subrev_nc_u32_e32 v8, 29, v7
	v_dual_lshlrev_b32 v1, v8, v1 :: v_dual_sub_nc_u32 v7, 30, v7
	s_delay_alu instid0(VALU_DEP_1) | instskip(NEXT) | instid1(VALU_DEP_1)
	v_dual_lshlrev_b32 v3, 24, v3 :: v_dual_bitop2_b32 v1, 3, v1 bitop3:0x40
	v_dual_cndmask_b32 v1, v6, v1, vcc_lo :: v_dual_cndmask_b32 v7, v9, v7, vcc_lo
	s_delay_alu instid0(VALU_DEP_2) | instskip(NEXT) | instid1(VALU_DEP_2)
	v_and_b32_e32 v3, 0x80000000, v3
	v_lshlrev_b32_e32 v1, 21, v1
	s_delay_alu instid0(VALU_DEP_3) | instskip(NEXT) | instid1(VALU_DEP_1)
	v_lshl_add_u32 v6, v7, 23, 0x37800000
	v_or3_b32 v1, v3, v6, v1
	s_delay_alu instid0(VALU_DEP_1)
	v_cvt_f16_f32_e32 v1, v1
.LBB191_622:
	s_or_b32 exec_lo, exec_lo, s29
	s_mov_b32 s2, 0
	s_branch .LBB191_628
.LBB191_623:
	s_mov_b32 s29, -1
                                        ; implicit-def: $vgpr1
	s_branch .LBB191_634
.LBB191_624:
	s_or_saveexec_b32 s29, s29
	v_mov_b32_e32 v1, 0x7e00
	s_xor_b32 exec_lo, exec_lo, s29
	s_cbranch_execz .LBB191_607
.LBB191_625:
	v_cmp_ne_u16_e32 vcc_lo, 0, v3
	v_mov_b32_e32 v1, v3
	s_and_not1_b32 s2, s2, exec_lo
	s_and_b32 s30, vcc_lo, exec_lo
	s_delay_alu instid0(SALU_CYCLE_1)
	s_or_b32 s2, s2, s30
	s_or_b32 exec_lo, exec_lo, s29
	s_and_saveexec_b32 s29, s2
	s_cbranch_execnz .LBB191_608
	s_branch .LBB191_609
.LBB191_626:
	s_mov_b32 s2, -1
                                        ; implicit-def: $vgpr1
	s_branch .LBB191_631
.LBB191_627:
	s_mov_b32 s2, -1
                                        ; implicit-def: $vgpr1
.LBB191_628:
	s_delay_alu instid0(SALU_CYCLE_1)
	s_and_b32 vcc_lo, exec_lo, s2
	s_cbranch_vccz .LBB191_630
; %bb.629:
	s_wait_loadcnt 0x0
	global_load_u8 v1, v[4:5], off
	s_wait_loadcnt 0x0
	v_lshlrev_b32_e32 v1, 24, v1
	s_delay_alu instid0(VALU_DEP_1) | instskip(NEXT) | instid1(VALU_DEP_1)
	v_and_b32_e32 v3, 0x7f000000, v1
	v_clz_i32_u32_e32 v6, v3
	v_cmp_ne_u32_e32 vcc_lo, 0, v3
	v_add_nc_u32_e32 v8, 0x1000000, v3
	s_delay_alu instid0(VALU_DEP_3) | instskip(NEXT) | instid1(VALU_DEP_1)
	v_min_u32_e32 v6, 32, v6
	v_sub_nc_u32_e64 v6, v6, 4 clamp
	s_delay_alu instid0(VALU_DEP_1) | instskip(NEXT) | instid1(VALU_DEP_1)
	v_dual_lshlrev_b32 v7, v6, v3 :: v_dual_lshlrev_b32 v6, 23, v6
	v_lshrrev_b32_e32 v7, 4, v7
	s_delay_alu instid0(VALU_DEP_1) | instskip(NEXT) | instid1(VALU_DEP_1)
	v_dual_sub_nc_u32 v6, v7, v6 :: v_dual_ashrrev_i32 v7, 8, v8
	v_add_nc_u32_e32 v6, 0x3c000000, v6
	s_delay_alu instid0(VALU_DEP_1) | instskip(NEXT) | instid1(VALU_DEP_1)
	v_and_or_b32 v6, 0x7f800000, v7, v6
	v_cndmask_b32_e32 v3, 0, v6, vcc_lo
	s_delay_alu instid0(VALU_DEP_1) | instskip(NEXT) | instid1(VALU_DEP_1)
	v_and_or_b32 v1, 0x80000000, v1, v3
	v_cvt_f16_f32_e32 v1, v1
.LBB191_630:
	s_mov_b32 s2, 0
.LBB191_631:
	s_delay_alu instid0(SALU_CYCLE_1)
	s_and_not1_b32 vcc_lo, exec_lo, s2
	s_cbranch_vccnz .LBB191_633
; %bb.632:
	s_wait_loadcnt 0x0
	global_load_u8 v1, v[4:5], off
	s_wait_loadcnt 0x0
	v_lshlrev_b32_e32 v3, 25, v1
	v_lshlrev_b16 v1, 8, v1
	s_delay_alu instid0(VALU_DEP_1) | instskip(SKIP_1) | instid1(VALU_DEP_2)
	v_and_or_b32 v7, 0x7f00, v1, 0.5
	v_bfe_i32 v1, v1, 0, 16
	v_add_f32_e32 v7, -0.5, v7
	v_lshrrev_b32_e32 v6, 4, v3
	v_cmp_gt_u32_e32 vcc_lo, 0x8000000, v3
	s_delay_alu instid0(VALU_DEP_2) | instskip(NEXT) | instid1(VALU_DEP_1)
	v_or_b32_e32 v6, 0x70000000, v6
	v_mul_f32_e32 v6, 0x7800000, v6
	s_delay_alu instid0(VALU_DEP_1) | instskip(NEXT) | instid1(VALU_DEP_1)
	v_cndmask_b32_e32 v3, v6, v7, vcc_lo
	v_and_or_b32 v1, 0x80000000, v1, v3
	s_delay_alu instid0(VALU_DEP_1)
	v_cvt_f16_f32_e32 v1, v1
.LBB191_633:
	s_mov_b32 s29, 0
	s_mov_b32 s2, -1
.LBB191_634:
	s_and_not1_b32 vcc_lo, exec_lo, s29
	s_cbranch_vccnz .LBB191_647
; %bb.635:
	s_cmp_gt_i32 s1, 14
	s_cbranch_scc0 .LBB191_638
; %bb.636:
	s_cmp_eq_u32 s1, 15
	s_cbranch_scc0 .LBB191_641
; %bb.637:
	s_wait_loadcnt 0x0
	global_load_u16 v1, v[4:5], off
	s_mov_b32 s2, -1
	s_mov_b32 s28, 0
	s_wait_loadcnt 0x0
	v_lshlrev_b32_e32 v1, 16, v1
	s_delay_alu instid0(VALU_DEP_1)
	v_cvt_f16_f32_e32 v1, v1
	s_branch .LBB191_642
.LBB191_638:
	s_mov_b32 s29, -1
                                        ; implicit-def: $vgpr1
	s_branch .LBB191_643
.LBB191_639:
	s_or_saveexec_b32 s29, s29
	v_mov_b32_e32 v1, 0x7e00
	s_xor_b32 exec_lo, exec_lo, s29
	s_cbranch_execz .LBB191_620
.LBB191_640:
	v_cmp_ne_u16_e32 vcc_lo, 0, v3
	v_mov_b32_e32 v1, v3
	s_and_not1_b32 s2, s2, exec_lo
	s_and_b32 s30, vcc_lo, exec_lo
	s_delay_alu instid0(SALU_CYCLE_1)
	s_or_b32 s2, s2, s30
	s_or_b32 exec_lo, exec_lo, s29
	s_and_saveexec_b32 s29, s2
	s_cbranch_execnz .LBB191_621
	s_branch .LBB191_622
.LBB191_641:
	s_mov_b32 s28, -1
                                        ; implicit-def: $vgpr1
.LBB191_642:
	s_mov_b32 s29, 0
.LBB191_643:
	s_delay_alu instid0(SALU_CYCLE_1)
	s_and_b32 vcc_lo, exec_lo, s29
	s_cbranch_vccz .LBB191_647
; %bb.644:
	s_cmp_eq_u32 s1, 11
	s_cbranch_scc0 .LBB191_646
; %bb.645:
	s_wait_loadcnt 0x0
	global_load_u8 v1, v[4:5], off
	s_mov_b32 s28, 0
	s_mov_b32 s2, -1
	s_wait_loadcnt 0x0
	v_cmp_ne_u16_e32 vcc_lo, 0, v1
	v_cndmask_b32_e64 v1, 0, 0x3c00, vcc_lo
	s_branch .LBB191_647
.LBB191_646:
	s_mov_b32 s28, -1
                                        ; implicit-def: $vgpr1
.LBB191_647:
	s_mov_b32 s29, 0
.LBB191_648:
	s_delay_alu instid0(SALU_CYCLE_1)
	s_and_b32 vcc_lo, exec_lo, s29
	s_cbranch_vccz .LBB191_697
; %bb.649:
	s_cmp_lt_i32 s1, 5
	s_cbranch_scc1 .LBB191_654
; %bb.650:
	s_cmp_lt_i32 s1, 8
	s_cbranch_scc1 .LBB191_655
; %bb.651:
	s_cmp_lt_i32 s1, 9
	s_cbranch_scc1 .LBB191_656
; %bb.652:
	s_cmp_gt_i32 s1, 9
	s_cbranch_scc0 .LBB191_657
; %bb.653:
	global_load_b64 v[6:7], v[4:5], off
	s_mov_b32 s2, 0
	s_wait_loadcnt 0x0
	v_and_or_b32 v1, 0x1ff, v7, v6
	v_lshrrev_b32_e32 v3, 8, v7
	v_bfe_u32 v6, v7, 20, 11
	s_delay_alu instid0(VALU_DEP_3) | instskip(NEXT) | instid1(VALU_DEP_2)
	v_cmp_ne_u32_e32 vcc_lo, 0, v1
	v_sub_nc_u32_e32 v8, 0x3f1, v6
	v_add_nc_u32_e32 v6, 0xfffffc10, v6
	v_cndmask_b32_e64 v1, 0, 1, vcc_lo
	s_delay_alu instid0(VALU_DEP_1) | instskip(NEXT) | instid1(VALU_DEP_4)
	v_and_or_b32 v1, 0xffe, v3, v1
	v_med3_i32 v3, v8, 0, 13
	s_delay_alu instid0(VALU_DEP_2) | instskip(NEXT) | instid1(VALU_DEP_1)
	v_or_b32_e32 v8, 0x1000, v1
	v_lshrrev_b32_e32 v9, v3, v8
	s_delay_alu instid0(VALU_DEP_1) | instskip(NEXT) | instid1(VALU_DEP_1)
	v_lshlrev_b32_e32 v3, v3, v9
	v_cmp_ne_u32_e32 vcc_lo, v3, v8
	v_lshl_or_b32 v8, v6, 12, v1
	v_cndmask_b32_e64 v3, 0, 1, vcc_lo
	v_cmp_gt_i32_e32 vcc_lo, 1, v6
	s_delay_alu instid0(VALU_DEP_2) | instskip(NEXT) | instid1(VALU_DEP_1)
	v_or_b32_e32 v3, v9, v3
	v_cndmask_b32_e32 v3, v8, v3, vcc_lo
	s_delay_alu instid0(VALU_DEP_1) | instskip(NEXT) | instid1(VALU_DEP_1)
	v_dual_lshrrev_b32 v3, 2, v3 :: v_dual_bitop2_b32 v8, 7, v3 bitop3:0x40
	v_cmp_lt_i32_e32 vcc_lo, 5, v8
	v_cndmask_b32_e64 v9, 0, 1, vcc_lo
	v_cmp_eq_u32_e32 vcc_lo, 3, v8
	v_cndmask_b32_e64 v8, 0, 1, vcc_lo
	v_cmp_ne_u32_e32 vcc_lo, 0, v1
	s_delay_alu instid0(VALU_DEP_2) | instskip(SKIP_1) | instid1(VALU_DEP_2)
	v_or_b32_e32 v8, v8, v9
	v_mov_b32_e32 v9, 0x7e00
	v_add_nc_u32_e32 v3, v3, v8
	s_delay_alu instid0(VALU_DEP_2) | instskip(SKIP_1) | instid1(VALU_DEP_3)
	v_cndmask_b32_e32 v1, 0x7c00, v9, vcc_lo
	v_cmp_gt_i32_e32 vcc_lo, 31, v6
	v_cndmask_b32_e32 v3, 0x7c00, v3, vcc_lo
	v_cmp_eq_u32_e32 vcc_lo, 0x40f, v6
	s_delay_alu instid0(VALU_DEP_2) | instskip(NEXT) | instid1(VALU_DEP_1)
	v_dual_cndmask_b32 v1, v3, v1, vcc_lo :: v_dual_lshrrev_b32 v3, 16, v7
	v_and_or_b32 v1, 0x8000, v3, v1
	s_branch .LBB191_658
.LBB191_654:
	s_mov_b32 s2, -1
                                        ; implicit-def: $vgpr1
	s_branch .LBB191_676
.LBB191_655:
	s_mov_b32 s2, -1
                                        ; implicit-def: $vgpr1
	s_branch .LBB191_664
.LBB191_656:
	s_mov_b32 s2, -1
                                        ; implicit-def: $vgpr1
	s_branch .LBB191_661
.LBB191_657:
	s_mov_b32 s2, -1
                                        ; implicit-def: $vgpr1
.LBB191_658:
	s_delay_alu instid0(SALU_CYCLE_1)
	s_and_not1_b32 vcc_lo, exec_lo, s2
	s_cbranch_vccnz .LBB191_660
; %bb.659:
	s_wait_loadcnt 0x0
	global_load_b32 v1, v[4:5], off
	s_wait_loadcnt 0x0
	v_cvt_f16_f32_e32 v1, v1
.LBB191_660:
	s_mov_b32 s2, 0
.LBB191_661:
	s_delay_alu instid0(SALU_CYCLE_1)
	s_and_not1_b32 vcc_lo, exec_lo, s2
	s_cbranch_vccnz .LBB191_663
; %bb.662:
	s_wait_loadcnt 0x0
	global_load_b32 v1, v[4:5], off
.LBB191_663:
	s_mov_b32 s2, 0
.LBB191_664:
	s_delay_alu instid0(SALU_CYCLE_1)
	s_and_not1_b32 vcc_lo, exec_lo, s2
	s_cbranch_vccnz .LBB191_675
; %bb.665:
	s_cmp_lt_i32 s1, 6
	s_cbranch_scc1 .LBB191_668
; %bb.666:
	s_cmp_gt_i32 s1, 6
	s_cbranch_scc0 .LBB191_669
; %bb.667:
	global_load_b64 v[6:7], v[4:5], off
	s_mov_b32 s2, 0
	s_wait_loadcnt 0x0
	v_and_or_b32 v1, 0x1ff, v7, v6
	v_lshrrev_b32_e32 v3, 8, v7
	v_bfe_u32 v6, v7, 20, 11
	s_delay_alu instid0(VALU_DEP_3) | instskip(NEXT) | instid1(VALU_DEP_2)
	v_cmp_ne_u32_e32 vcc_lo, 0, v1
	v_sub_nc_u32_e32 v8, 0x3f1, v6
	v_add_nc_u32_e32 v6, 0xfffffc10, v6
	v_cndmask_b32_e64 v1, 0, 1, vcc_lo
	s_delay_alu instid0(VALU_DEP_1) | instskip(NEXT) | instid1(VALU_DEP_4)
	v_and_or_b32 v1, 0xffe, v3, v1
	v_med3_i32 v3, v8, 0, 13
	s_delay_alu instid0(VALU_DEP_2) | instskip(NEXT) | instid1(VALU_DEP_1)
	v_or_b32_e32 v8, 0x1000, v1
	v_lshrrev_b32_e32 v9, v3, v8
	s_delay_alu instid0(VALU_DEP_1) | instskip(NEXT) | instid1(VALU_DEP_1)
	v_lshlrev_b32_e32 v3, v3, v9
	v_cmp_ne_u32_e32 vcc_lo, v3, v8
	v_lshl_or_b32 v8, v6, 12, v1
	v_cndmask_b32_e64 v3, 0, 1, vcc_lo
	v_cmp_gt_i32_e32 vcc_lo, 1, v6
	s_delay_alu instid0(VALU_DEP_2) | instskip(NEXT) | instid1(VALU_DEP_1)
	v_or_b32_e32 v3, v9, v3
	v_cndmask_b32_e32 v3, v8, v3, vcc_lo
	s_delay_alu instid0(VALU_DEP_1) | instskip(NEXT) | instid1(VALU_DEP_1)
	v_dual_lshrrev_b32 v3, 2, v3 :: v_dual_bitop2_b32 v8, 7, v3 bitop3:0x40
	v_cmp_lt_i32_e32 vcc_lo, 5, v8
	v_cndmask_b32_e64 v9, 0, 1, vcc_lo
	v_cmp_eq_u32_e32 vcc_lo, 3, v8
	v_cndmask_b32_e64 v8, 0, 1, vcc_lo
	v_cmp_ne_u32_e32 vcc_lo, 0, v1
	s_delay_alu instid0(VALU_DEP_2) | instskip(SKIP_1) | instid1(VALU_DEP_2)
	v_or_b32_e32 v8, v8, v9
	v_mov_b32_e32 v9, 0x7e00
	v_add_nc_u32_e32 v3, v3, v8
	s_delay_alu instid0(VALU_DEP_2) | instskip(SKIP_1) | instid1(VALU_DEP_3)
	v_cndmask_b32_e32 v1, 0x7c00, v9, vcc_lo
	v_cmp_gt_i32_e32 vcc_lo, 31, v6
	v_cndmask_b32_e32 v3, 0x7c00, v3, vcc_lo
	v_cmp_eq_u32_e32 vcc_lo, 0x40f, v6
	s_delay_alu instid0(VALU_DEP_2) | instskip(NEXT) | instid1(VALU_DEP_1)
	v_dual_cndmask_b32 v1, v3, v1, vcc_lo :: v_dual_lshrrev_b32 v3, 16, v7
	v_and_or_b32 v1, 0x8000, v3, v1
	s_branch .LBB191_670
.LBB191_668:
	s_mov_b32 s2, -1
                                        ; implicit-def: $vgpr1
	s_branch .LBB191_673
.LBB191_669:
	s_mov_b32 s2, -1
                                        ; implicit-def: $vgpr1
.LBB191_670:
	s_delay_alu instid0(SALU_CYCLE_1)
	s_and_not1_b32 vcc_lo, exec_lo, s2
	s_cbranch_vccnz .LBB191_672
; %bb.671:
	s_wait_loadcnt 0x0
	global_load_b32 v1, v[4:5], off
	s_wait_loadcnt 0x0
	v_cvt_f16_f32_e32 v1, v1
.LBB191_672:
	s_mov_b32 s2, 0
.LBB191_673:
	s_delay_alu instid0(SALU_CYCLE_1)
	s_and_not1_b32 vcc_lo, exec_lo, s2
	s_cbranch_vccnz .LBB191_675
; %bb.674:
	s_wait_loadcnt 0x0
	global_load_u16 v1, v[4:5], off
.LBB191_675:
	s_mov_b32 s2, 0
.LBB191_676:
	s_delay_alu instid0(SALU_CYCLE_1)
	s_and_not1_b32 vcc_lo, exec_lo, s2
	s_cbranch_vccnz .LBB191_696
; %bb.677:
	s_cmp_lt_i32 s1, 2
	s_cbranch_scc1 .LBB191_681
; %bb.678:
	s_cmp_lt_i32 s1, 3
	s_cbranch_scc1 .LBB191_682
; %bb.679:
	s_cmp_gt_i32 s1, 3
	s_cbranch_scc0 .LBB191_683
; %bb.680:
	global_load_b64 v[6:7], v[4:5], off
	s_mov_b32 s2, 0
	s_wait_loadcnt 0x0
	v_xor_b32_e32 v1, v6, v7
	v_cls_i32_e32 v3, v7
	s_delay_alu instid0(VALU_DEP_2) | instskip(NEXT) | instid1(VALU_DEP_1)
	v_ashrrev_i32_e32 v1, 31, v1
	v_add_nc_u32_e32 v1, 32, v1
	s_delay_alu instid0(VALU_DEP_1) | instskip(NEXT) | instid1(VALU_DEP_1)
	v_add_min_u32_e64 v1, v3, -1, v1
	v_lshlrev_b64_e32 v[6:7], v1, v[6:7]
	v_sub_nc_u32_e32 v1, 32, v1
	s_delay_alu instid0(VALU_DEP_2) | instskip(NEXT) | instid1(VALU_DEP_1)
	v_min_u32_e32 v3, 1, v6
	v_or_b32_e32 v3, v7, v3
	s_delay_alu instid0(VALU_DEP_1) | instskip(NEXT) | instid1(VALU_DEP_1)
	v_cvt_f32_i32_e32 v3, v3
	v_ldexp_f32 v1, v3, v1
	s_delay_alu instid0(VALU_DEP_1)
	v_cvt_f16_f32_e32 v1, v1
	s_branch .LBB191_684
.LBB191_681:
	s_mov_b32 s2, -1
                                        ; implicit-def: $vgpr1
	s_branch .LBB191_690
.LBB191_682:
	s_mov_b32 s2, -1
                                        ; implicit-def: $vgpr1
	s_branch .LBB191_687
.LBB191_683:
	s_mov_b32 s2, -1
                                        ; implicit-def: $vgpr1
.LBB191_684:
	s_delay_alu instid0(SALU_CYCLE_1)
	s_and_not1_b32 vcc_lo, exec_lo, s2
	s_cbranch_vccnz .LBB191_686
; %bb.685:
	s_wait_loadcnt 0x0
	global_load_b32 v1, v[4:5], off
	s_wait_loadcnt 0x0
	v_cvt_f32_i32_e32 v1, v1
	s_delay_alu instid0(VALU_DEP_1)
	v_cvt_f16_f32_e32 v1, v1
.LBB191_686:
	s_mov_b32 s2, 0
.LBB191_687:
	s_delay_alu instid0(SALU_CYCLE_1)
	s_and_not1_b32 vcc_lo, exec_lo, s2
	s_cbranch_vccnz .LBB191_689
; %bb.688:
	s_wait_loadcnt 0x0
	global_load_u16 v1, v[4:5], off
	s_wait_loadcnt 0x0
	v_cvt_f16_i16_e32 v1, v1
.LBB191_689:
	s_mov_b32 s2, 0
.LBB191_690:
	s_delay_alu instid0(SALU_CYCLE_1)
	s_and_not1_b32 vcc_lo, exec_lo, s2
	s_cbranch_vccnz .LBB191_696
; %bb.691:
	s_cmp_gt_i32 s1, 0
	s_mov_b32 s1, 0
	s_cbranch_scc0 .LBB191_693
; %bb.692:
	s_wait_loadcnt 0x0
	global_load_i8 v1, v[4:5], off
	s_wait_loadcnt 0x0
	v_cvt_f16_i16_e32 v1, v1
	s_branch .LBB191_694
.LBB191_693:
	s_mov_b32 s1, -1
                                        ; implicit-def: $vgpr1
.LBB191_694:
	s_delay_alu instid0(SALU_CYCLE_1)
	s_and_not1_b32 vcc_lo, exec_lo, s1
	s_cbranch_vccnz .LBB191_696
; %bb.695:
	s_wait_loadcnt 0x0
	global_load_u8 v1, v[4:5], off
	s_wait_loadcnt 0x0
	v_cvt_f16_u16_e32 v1, v1
.LBB191_696:
	s_mov_b32 s2, -1
.LBB191_697:
	s_delay_alu instid0(SALU_CYCLE_1)
	s_and_not1_b32 vcc_lo, exec_lo, s2
	s_cbranch_vccnz .LBB191_705
; %bb.698:
	s_wait_loadcnt 0x0
	v_cmp_eq_f16_e32 vcc_lo, s17, v1
	s_and_b32 s29, s18, 0xff
	s_delay_alu instid0(SALU_CYCLE_1) | instskip(SKIP_3) | instid1(VALU_DEP_1)
	s_cmp_lt_i32 s29, 11
	v_cndmask_b32_e64 v3, 0, 1, vcc_lo
	v_cmp_neq_f16_e32 vcc_lo, s17, v1
	v_cndmask_b32_e64 v1, 0, 1, vcc_lo
	v_dual_cndmask_b32 v1, v1, v3, s0 :: v_dual_mov_b32 v3, 0
	s_delay_alu instid0(VALU_DEP_1) | instskip(NEXT) | instid1(VALU_DEP_2)
	v_and_b32_e32 v1, 1, v1
	v_add_nc_u64_e32 v[2:3], s[4:5], v[2:3]
	s_delay_alu instid0(VALU_DEP_2)
	v_cmp_eq_u32_e64 s1, 1, v1
	s_cbranch_scc1 .LBB191_706
; %bb.699:
	s_and_b32 s30, 0xffff, s29
	s_delay_alu instid0(SALU_CYCLE_1)
	s_cmp_gt_i32 s30, 25
	s_cbranch_scc0 .LBB191_707
; %bb.700:
	s_cmp_gt_i32 s30, 28
	s_cbranch_scc0 .LBB191_708
; %bb.701:
	;; [unrolled: 3-line block ×4, first 2 shown]
	s_mov_b32 s34, 0
	s_mov_b32 s2, -1
	s_cmp_eq_u32 s30, 46
	s_mov_b32 s31, 0
	s_cbranch_scc0 .LBB191_711
; %bb.704:
	v_cndmask_b32_e64 v1, 0, 1.0, s1
	s_mov_b32 s31, -1
	s_mov_b32 s2, 0
	s_wait_xcnt 0x0
	s_delay_alu instid0(VALU_DEP_1) | instskip(NEXT) | instid1(VALU_DEP_1)
	v_bfe_u32 v4, v1, 16, 1
	v_add3_u32 v1, v1, v4, 0x7fff
	s_delay_alu instid0(VALU_DEP_1)
	v_lshrrev_b32_e32 v1, 16, v1
	global_store_b32 v[2:3], v1, off
	s_branch .LBB191_711
.LBB191_705:
	s_mov_b32 s29, 0
	s_mov_b32 s2, s46
	s_branch .LBB191_822
.LBB191_706:
	s_mov_b32 s30, -1
	s_mov_b32 s31, 0
	s_mov_b32 s2, s46
	s_branch .LBB191_780
.LBB191_707:
	s_mov_b32 s34, -1
	s_mov_b32 s31, 0
	s_mov_b32 s2, s46
	s_branch .LBB191_738
.LBB191_708:
	s_mov_b32 s34, -1
	s_mov_b32 s31, 0
	s_mov_b32 s2, s46
	s_branch .LBB191_721
.LBB191_709:
	s_mov_b32 s34, -1
	s_mov_b32 s31, 0
	s_mov_b32 s2, s46
	s_branch .LBB191_717
.LBB191_710:
	s_mov_b32 s34, -1
	s_mov_b32 s31, 0
	s_mov_b32 s2, s46
.LBB191_711:
	s_and_b32 vcc_lo, exec_lo, s34
	s_cbranch_vccz .LBB191_716
; %bb.712:
	s_cmp_eq_u32 s30, 44
	s_mov_b32 s2, -1
	s_cbranch_scc0 .LBB191_716
; %bb.713:
	s_wait_xcnt 0x0
	v_cndmask_b32_e64 v5, 0, 1.0, s1
	s_mov_b32 s31, exec_lo
	s_delay_alu instid0(VALU_DEP_1) | instskip(NEXT) | instid1(VALU_DEP_1)
	v_dual_mov_b32 v4, 0xff :: v_dual_lshrrev_b32 v1, 23, v5
	v_cmpx_ne_u32_e32 0xff, v1
; %bb.714:
	v_and_b32_e32 v4, 0x400000, v5
	v_and_or_b32 v5, 0x3fffff, v5, v1
	s_delay_alu instid0(VALU_DEP_2) | instskip(NEXT) | instid1(VALU_DEP_2)
	v_cmp_ne_u32_e32 vcc_lo, 0, v4
	v_cmp_ne_u32_e64 s2, 0, v5
	s_and_b32 s2, vcc_lo, s2
	s_delay_alu instid0(SALU_CYCLE_1) | instskip(NEXT) | instid1(VALU_DEP_1)
	v_cndmask_b32_e64 v4, 0, 1, s2
	v_add_nc_u32_e32 v4, v1, v4
; %bb.715:
	s_or_b32 exec_lo, exec_lo, s31
	s_mov_b32 s31, -1
	s_mov_b32 s2, 0
	global_store_b8 v[2:3], v4, off
.LBB191_716:
	s_mov_b32 s34, 0
.LBB191_717:
	s_delay_alu instid0(SALU_CYCLE_1)
	s_and_b32 vcc_lo, exec_lo, s34
	s_cbranch_vccz .LBB191_720
; %bb.718:
	s_cmp_eq_u32 s30, 29
	s_mov_b32 s2, -1
	s_cbranch_scc0 .LBB191_720
; %bb.719:
	s_mov_b32 s2, 0
	s_wait_xcnt 0x0
	v_cndmask_b32_e64 v4, 0, 1, s1
	v_mov_b32_e32 v5, s2
	s_mov_b32 s31, -1
	s_mov_b32 s34, 0
	global_store_b64 v[2:3], v[4:5], off
	s_branch .LBB191_721
.LBB191_720:
	s_mov_b32 s34, 0
.LBB191_721:
	s_delay_alu instid0(SALU_CYCLE_1)
	s_and_b32 vcc_lo, exec_lo, s34
	s_cbranch_vccz .LBB191_737
; %bb.722:
	s_cmp_lt_i32 s30, 27
	s_mov_b32 s31, -1
	s_cbranch_scc1 .LBB191_728
; %bb.723:
	s_cmp_gt_i32 s30, 27
	s_cbranch_scc0 .LBB191_725
; %bb.724:
	s_wait_xcnt 0x0
	v_cndmask_b32_e64 v1, 0, 1, s1
	s_mov_b32 s31, 0
	global_store_b32 v[2:3], v1, off
.LBB191_725:
	s_and_not1_b32 vcc_lo, exec_lo, s31
	s_cbranch_vccnz .LBB191_727
; %bb.726:
	s_wait_xcnt 0x0
	v_cndmask_b32_e64 v1, 0, 1, s1
	global_store_b16 v[2:3], v1, off
.LBB191_727:
	s_mov_b32 s31, 0
.LBB191_728:
	s_delay_alu instid0(SALU_CYCLE_1)
	s_and_not1_b32 vcc_lo, exec_lo, s31
	s_cbranch_vccnz .LBB191_736
; %bb.729:
	s_wait_xcnt 0x0
	v_cndmask_b32_e64 v4, 0, 1.0, s1
	v_mov_b32_e32 v5, 0x80
	s_mov_b32 s31, exec_lo
	s_delay_alu instid0(VALU_DEP_2)
	v_cmpx_gt_u32_e32 0x43800000, v4
	s_cbranch_execz .LBB191_735
; %bb.730:
	s_mov_b32 s34, 0
	s_mov_b32 s35, exec_lo
                                        ; implicit-def: $vgpr1
	v_cmpx_lt_u32_e32 0x3bffffff, v4
	s_xor_b32 s35, exec_lo, s35
	s_cbranch_execz .LBB191_854
; %bb.731:
	v_bfe_u32 v1, v4, 20, 1
	s_mov_b32 s34, exec_lo
	s_delay_alu instid0(VALU_DEP_1) | instskip(NEXT) | instid1(VALU_DEP_1)
	v_add3_u32 v1, v4, v1, 0x487ffff
                                        ; implicit-def: $vgpr4
	v_lshrrev_b32_e32 v1, 20, v1
	s_and_not1_saveexec_b32 s35, s35
	s_cbranch_execnz .LBB191_855
.LBB191_732:
	s_or_b32 exec_lo, exec_lo, s35
	v_mov_b32_e32 v5, 0
	s_and_saveexec_b32 s35, s34
.LBB191_733:
	v_mov_b32_e32 v5, v1
.LBB191_734:
	s_or_b32 exec_lo, exec_lo, s35
.LBB191_735:
	s_delay_alu instid0(SALU_CYCLE_1)
	s_or_b32 exec_lo, exec_lo, s31
	global_store_b8 v[2:3], v5, off
.LBB191_736:
	s_mov_b32 s31, -1
.LBB191_737:
	s_mov_b32 s34, 0
.LBB191_738:
	s_delay_alu instid0(SALU_CYCLE_1)
	s_and_b32 vcc_lo, exec_lo, s34
	s_cbranch_vccz .LBB191_779
; %bb.739:
	s_cmp_gt_i32 s30, 22
	s_mov_b32 s34, -1
	s_cbranch_scc0 .LBB191_771
; %bb.740:
	s_cmp_lt_i32 s30, 24
	s_mov_b32 s31, -1
	s_cbranch_scc1 .LBB191_760
; %bb.741:
	s_cmp_gt_i32 s30, 24
	s_cbranch_scc0 .LBB191_749
; %bb.742:
	s_wait_xcnt 0x0
	v_cndmask_b32_e64 v4, 0, 1.0, s1
	v_mov_b32_e32 v5, 0x80
	s_mov_b32 s31, exec_lo
	s_delay_alu instid0(VALU_DEP_2)
	v_cmpx_gt_u32_e32 0x47800000, v4
	s_cbranch_execz .LBB191_748
; %bb.743:
	s_mov_b32 s34, 0
	s_mov_b32 s35, exec_lo
                                        ; implicit-def: $vgpr1
	v_cmpx_lt_u32_e32 0x37ffffff, v4
	s_xor_b32 s35, exec_lo, s35
	s_cbranch_execz .LBB191_857
; %bb.744:
	v_bfe_u32 v1, v4, 21, 1
	s_mov_b32 s34, exec_lo
	s_delay_alu instid0(VALU_DEP_1) | instskip(NEXT) | instid1(VALU_DEP_1)
	v_add3_u32 v1, v4, v1, 0x88fffff
                                        ; implicit-def: $vgpr4
	v_lshrrev_b32_e32 v1, 21, v1
	s_and_not1_saveexec_b32 s35, s35
	s_cbranch_execnz .LBB191_858
.LBB191_745:
	s_or_b32 exec_lo, exec_lo, s35
	v_mov_b32_e32 v5, 0
	s_and_saveexec_b32 s35, s34
.LBB191_746:
	v_mov_b32_e32 v5, v1
.LBB191_747:
	s_or_b32 exec_lo, exec_lo, s35
.LBB191_748:
	s_delay_alu instid0(SALU_CYCLE_1)
	s_or_b32 exec_lo, exec_lo, s31
	s_mov_b32 s31, 0
	global_store_b8 v[2:3], v5, off
.LBB191_749:
	s_and_b32 vcc_lo, exec_lo, s31
	s_cbranch_vccz .LBB191_759
; %bb.750:
	s_wait_xcnt 0x0
	v_cndmask_b32_e64 v4, 0, 1.0, s1
	s_mov_b32 s31, exec_lo
                                        ; implicit-def: $vgpr1
	s_delay_alu instid0(VALU_DEP_1)
	v_cmpx_gt_u32_e32 0x43f00000, v4
	s_xor_b32 s31, exec_lo, s31
	s_cbranch_execz .LBB191_756
; %bb.751:
	s_mov_b32 s34, exec_lo
                                        ; implicit-def: $vgpr1
	v_cmpx_lt_u32_e32 0x3c7fffff, v4
	s_xor_b32 s34, exec_lo, s34
; %bb.752:
	v_bfe_u32 v1, v4, 20, 1
	s_delay_alu instid0(VALU_DEP_1) | instskip(NEXT) | instid1(VALU_DEP_1)
	v_add3_u32 v1, v4, v1, 0x407ffff
	v_and_b32_e32 v4, 0xff00000, v1
	v_lshrrev_b32_e32 v1, 20, v1
	s_delay_alu instid0(VALU_DEP_2) | instskip(NEXT) | instid1(VALU_DEP_2)
	v_cmp_ne_u32_e32 vcc_lo, 0x7f00000, v4
                                        ; implicit-def: $vgpr4
	v_cndmask_b32_e32 v1, 0x7e, v1, vcc_lo
; %bb.753:
	s_and_not1_saveexec_b32 s34, s34
; %bb.754:
	v_add_f32_e32 v1, 0x46800000, v4
; %bb.755:
	s_or_b32 exec_lo, exec_lo, s34
                                        ; implicit-def: $vgpr4
.LBB191_756:
	s_and_not1_saveexec_b32 s31, s31
; %bb.757:
	v_mov_b32_e32 v1, 0x7f
	v_cmp_lt_u32_e32 vcc_lo, 0x7f800000, v4
	s_delay_alu instid0(VALU_DEP_2)
	v_cndmask_b32_e32 v1, 0x7e, v1, vcc_lo
; %bb.758:
	s_or_b32 exec_lo, exec_lo, s31
	global_store_b8 v[2:3], v1, off
.LBB191_759:
	s_mov_b32 s31, 0
.LBB191_760:
	s_delay_alu instid0(SALU_CYCLE_1)
	s_and_not1_b32 vcc_lo, exec_lo, s31
	s_cbranch_vccnz .LBB191_770
; %bb.761:
	s_wait_xcnt 0x0
	v_cndmask_b32_e64 v4, 0, 1.0, s1
	s_mov_b32 s31, exec_lo
                                        ; implicit-def: $vgpr1
	s_delay_alu instid0(VALU_DEP_1)
	v_cmpx_gt_u32_e32 0x47800000, v4
	s_xor_b32 s31, exec_lo, s31
	s_cbranch_execz .LBB191_767
; %bb.762:
	s_mov_b32 s34, exec_lo
                                        ; implicit-def: $vgpr1
	v_cmpx_lt_u32_e32 0x387fffff, v4
	s_xor_b32 s34, exec_lo, s34
; %bb.763:
	v_bfe_u32 v1, v4, 21, 1
	s_delay_alu instid0(VALU_DEP_1) | instskip(NEXT) | instid1(VALU_DEP_1)
	v_add3_u32 v1, v4, v1, 0x80fffff
                                        ; implicit-def: $vgpr4
	v_lshrrev_b32_e32 v1, 21, v1
; %bb.764:
	s_and_not1_saveexec_b32 s34, s34
; %bb.765:
	v_add_f32_e32 v1, 0x43000000, v4
; %bb.766:
	s_or_b32 exec_lo, exec_lo, s34
                                        ; implicit-def: $vgpr4
.LBB191_767:
	s_and_not1_saveexec_b32 s31, s31
; %bb.768:
	v_mov_b32_e32 v1, 0x7f
	v_cmp_lt_u32_e32 vcc_lo, 0x7f800000, v4
	s_delay_alu instid0(VALU_DEP_2)
	v_cndmask_b32_e32 v1, 0x7c, v1, vcc_lo
; %bb.769:
	s_or_b32 exec_lo, exec_lo, s31
	global_store_b8 v[2:3], v1, off
.LBB191_770:
	s_mov_b32 s34, 0
	s_mov_b32 s31, -1
.LBB191_771:
	s_and_not1_b32 vcc_lo, exec_lo, s34
	s_cbranch_vccnz .LBB191_779
; %bb.772:
	s_cmp_gt_i32 s30, 14
	s_mov_b32 s34, -1
	s_cbranch_scc0 .LBB191_776
; %bb.773:
	s_cmp_eq_u32 s30, 15
	s_mov_b32 s2, -1
	s_cbranch_scc0 .LBB191_775
; %bb.774:
	s_wait_xcnt 0x0
	v_cndmask_b32_e64 v1, 0, 1.0, s1
	s_mov_b32 s31, -1
	s_mov_b32 s2, 0
	s_delay_alu instid0(VALU_DEP_1) | instskip(NEXT) | instid1(VALU_DEP_1)
	v_bfe_u32 v4, v1, 16, 1
	v_add3_u32 v1, v1, v4, 0x7fff
	global_store_d16_hi_b16 v[2:3], v1, off
.LBB191_775:
	s_mov_b32 s34, 0
.LBB191_776:
	s_delay_alu instid0(SALU_CYCLE_1)
	s_and_b32 vcc_lo, exec_lo, s34
	s_cbranch_vccz .LBB191_779
; %bb.777:
	s_cmp_eq_u32 s30, 11
	s_mov_b32 s2, -1
	s_cbranch_scc0 .LBB191_779
; %bb.778:
	s_wait_xcnt 0x0
	v_cndmask_b32_e64 v1, 0, 1, s1
	s_mov_b32 s31, -1
	s_mov_b32 s2, 0
	global_store_b8 v[2:3], v1, off
.LBB191_779:
	s_mov_b32 s30, 0
.LBB191_780:
	s_delay_alu instid0(SALU_CYCLE_1)
	s_and_b32 vcc_lo, exec_lo, s30
	s_cbranch_vccz .LBB191_819
; %bb.781:
	s_and_b32 s29, 0xffff, s29
	s_mov_b32 s30, -1
	s_cmp_lt_i32 s29, 5
	s_cbranch_scc1 .LBB191_802
; %bb.782:
	s_cmp_lt_i32 s29, 8
	s_cbranch_scc1 .LBB191_792
; %bb.783:
	;; [unrolled: 3-line block ×3, first 2 shown]
	s_cmp_gt_i32 s29, 9
	s_cbranch_scc0 .LBB191_786
; %bb.785:
	s_wait_xcnt 0x0
	v_cndmask_b32_e64 v1, 0, 1, s1
	v_mov_b32_e32 v6, 0
	s_mov_b32 s30, 0
	s_delay_alu instid0(VALU_DEP_2) | instskip(NEXT) | instid1(VALU_DEP_2)
	v_cvt_f64_u32_e32 v[4:5], v1
	v_mov_b32_e32 v7, v6
	global_store_b128 v[2:3], v[4:7], off
.LBB191_786:
	s_and_not1_b32 vcc_lo, exec_lo, s30
	s_cbranch_vccnz .LBB191_788
; %bb.787:
	s_wait_xcnt 0x0
	v_cndmask_b32_e64 v4, 0, 1.0, s1
	v_mov_b32_e32 v5, 0
	global_store_b64 v[2:3], v[4:5], off
.LBB191_788:
	s_mov_b32 s30, 0
.LBB191_789:
	s_delay_alu instid0(SALU_CYCLE_1)
	s_and_not1_b32 vcc_lo, exec_lo, s30
	s_cbranch_vccnz .LBB191_791
; %bb.790:
	s_wait_xcnt 0x0
	v_cndmask_b32_e64 v1, 0, 1.0, s1
	s_delay_alu instid0(VALU_DEP_1) | instskip(NEXT) | instid1(VALU_DEP_1)
	v_cvt_f16_f32_e32 v1, v1
	v_and_b32_e32 v1, 0xffff, v1
	global_store_b32 v[2:3], v1, off
.LBB191_791:
	s_mov_b32 s30, 0
.LBB191_792:
	s_delay_alu instid0(SALU_CYCLE_1)
	s_and_not1_b32 vcc_lo, exec_lo, s30
	s_cbranch_vccnz .LBB191_801
; %bb.793:
	s_cmp_lt_i32 s29, 6
	s_mov_b32 s30, -1
	s_cbranch_scc1 .LBB191_799
; %bb.794:
	s_cmp_gt_i32 s29, 6
	s_cbranch_scc0 .LBB191_796
; %bb.795:
	s_wait_xcnt 0x0
	v_cndmask_b32_e64 v1, 0, 1, s1
	s_mov_b32 s30, 0
	s_delay_alu instid0(VALU_DEP_1)
	v_cvt_f64_u32_e32 v[4:5], v1
	global_store_b64 v[2:3], v[4:5], off
.LBB191_796:
	s_and_not1_b32 vcc_lo, exec_lo, s30
	s_cbranch_vccnz .LBB191_798
; %bb.797:
	s_wait_xcnt 0x0
	v_cndmask_b32_e64 v1, 0, 1.0, s1
	global_store_b32 v[2:3], v1, off
.LBB191_798:
	s_mov_b32 s30, 0
.LBB191_799:
	s_delay_alu instid0(SALU_CYCLE_1)
	s_and_not1_b32 vcc_lo, exec_lo, s30
	s_cbranch_vccnz .LBB191_801
; %bb.800:
	s_wait_xcnt 0x0
	v_cndmask_b32_e64 v1, 0, 1.0, s1
	s_delay_alu instid0(VALU_DEP_1)
	v_cvt_f16_f32_e32 v1, v1
	global_store_b16 v[2:3], v1, off
.LBB191_801:
	s_mov_b32 s30, 0
.LBB191_802:
	s_delay_alu instid0(SALU_CYCLE_1)
	s_and_not1_b32 vcc_lo, exec_lo, s30
	s_cbranch_vccnz .LBB191_818
; %bb.803:
	s_cmp_lt_i32 s29, 2
	s_mov_b32 s30, -1
	s_cbranch_scc1 .LBB191_813
; %bb.804:
	s_cmp_lt_i32 s29, 3
	s_cbranch_scc1 .LBB191_810
; %bb.805:
	s_cmp_gt_i32 s29, 3
	s_cbranch_scc0 .LBB191_807
; %bb.806:
	s_mov_b32 s30, 0
	s_wait_xcnt 0x0
	v_cndmask_b32_e64 v4, 0, 1, s1
	v_mov_b32_e32 v5, s30
	global_store_b64 v[2:3], v[4:5], off
.LBB191_807:
	s_and_not1_b32 vcc_lo, exec_lo, s30
	s_cbranch_vccnz .LBB191_809
; %bb.808:
	s_wait_xcnt 0x0
	v_cndmask_b32_e64 v1, 0, 1, s1
	global_store_b32 v[2:3], v1, off
.LBB191_809:
	s_mov_b32 s30, 0
.LBB191_810:
	s_delay_alu instid0(SALU_CYCLE_1)
	s_and_not1_b32 vcc_lo, exec_lo, s30
	s_cbranch_vccnz .LBB191_812
; %bb.811:
	s_wait_xcnt 0x0
	v_cndmask_b32_e64 v1, 0, 1, s1
	global_store_b16 v[2:3], v1, off
.LBB191_812:
	s_mov_b32 s30, 0
.LBB191_813:
	s_delay_alu instid0(SALU_CYCLE_1)
	s_and_not1_b32 vcc_lo, exec_lo, s30
	s_cbranch_vccnz .LBB191_818
; %bb.814:
	s_wait_xcnt 0x0
	v_cndmask_b32_e64 v1, 0, 1, s1
	s_cmp_gt_i32 s29, 0
	s_mov_b32 s1, -1
	s_cbranch_scc0 .LBB191_816
; %bb.815:
	s_mov_b32 s1, 0
	global_store_b8 v[2:3], v1, off
.LBB191_816:
	s_and_not1_b32 vcc_lo, exec_lo, s1
	s_cbranch_vccnz .LBB191_818
; %bb.817:
	global_store_b8 v[2:3], v1, off
.LBB191_818:
	s_mov_b32 s31, -1
.LBB191_819:
	s_delay_alu instid0(SALU_CYCLE_1)
	s_and_not1_b32 vcc_lo, exec_lo, s31
	s_cbranch_vccnz .LBB191_821
; %bb.820:
	v_add_nc_u32_e32 v0, 0x80, v0
	s_mov_b32 s29, -1
	s_branch .LBB191_823
.LBB191_821:
	s_mov_b32 s29, 0
.LBB191_822:
                                        ; implicit-def: $vgpr0
.LBB191_823:
	s_and_not1_b32 s1, s46, exec_lo
	s_and_b32 s2, s2, exec_lo
	s_and_not1_b32 s30, s45, exec_lo
	s_and_b32 s28, s28, exec_lo
	s_or_b32 s2, s1, s2
	s_or_b32 s1, s30, s28
	s_or_not1_b32 s31, s29, exec_lo
.LBB191_824:
	s_wait_xcnt 0x0
	s_or_b32 exec_lo, exec_lo, s48
	s_mov_b32 s28, 0
	s_mov_b32 s30, 0
	;; [unrolled: 1-line block ×3, first 2 shown]
                                        ; implicit-def: $vgpr4_vgpr5
                                        ; implicit-def: $vgpr2
                                        ; implicit-def: $vgpr3
	s_and_saveexec_b32 s34, s31
	s_cbranch_execz .LBB191_926
; %bb.825:
	s_mov_b32 s31, s1
	s_mov_b32 s35, exec_lo
                                        ; implicit-def: $vgpr4_vgpr5
                                        ; implicit-def: $vgpr2
                                        ; implicit-def: $vgpr3
	v_cmpx_gt_i32_e64 s40, v0
	s_cbranch_execz .LBB191_925
; %bb.826:
	s_and_not1_b32 vcc_lo, exec_lo, s37
	s_cbranch_vccnz .LBB191_832
; %bb.827:
	s_and_not1_b32 vcc_lo, exec_lo, s42
	s_cbranch_vccnz .LBB191_833
; %bb.828:
	s_add_co_i32 s41, s41, 1
	s_cmp_eq_u32 s33, 2
	s_cbranch_scc1 .LBB191_834
; %bb.829:
	v_dual_mov_b32 v2, 0 :: v_dual_mov_b32 v4, 0
	s_wait_loadcnt 0x0
	v_mov_b32_e32 v1, v0
	s_and_b32 s28, s41, 28
	s_mov_b64 s[30:31], s[20:21]
.LBB191_830:                            ; =>This Inner Loop Header: Depth=1
	s_clause 0x1
	s_load_b256 s[48:55], s[30:31], 0x4
	s_load_b128 s[64:67], s[30:31], 0x24
	s_load_b256 s[56:63], s[26:27], 0x0
	s_add_co_i32 s29, s29, 4
	s_wait_xcnt 0x0
	s_add_nc_u64 s[30:31], s[30:31], 48
	s_cmp_eq_u32 s28, s29
	s_add_nc_u64 s[26:27], s[26:27], 32
	s_wait_kmcnt 0x0
	v_mul_hi_u32 v3, s49, v1
	s_delay_alu instid0(VALU_DEP_1) | instskip(NEXT) | instid1(VALU_DEP_1)
	v_add_nc_u32_e32 v3, v1, v3
	v_lshrrev_b32_e32 v3, s50, v3
	s_delay_alu instid0(VALU_DEP_1) | instskip(NEXT) | instid1(VALU_DEP_1)
	v_mul_hi_u32 v5, s52, v3
	v_add_nc_u32_e32 v5, v3, v5
	s_delay_alu instid0(VALU_DEP_1) | instskip(NEXT) | instid1(VALU_DEP_1)
	v_lshrrev_b32_e32 v5, s53, v5
	v_mul_hi_u32 v6, s55, v5
	s_delay_alu instid0(VALU_DEP_1) | instskip(SKIP_1) | instid1(VALU_DEP_1)
	v_add_nc_u32_e32 v6, v5, v6
	v_mul_lo_u32 v7, v3, s48
	v_sub_nc_u32_e32 v1, v1, v7
	v_mul_lo_u32 v7, v5, s51
	s_delay_alu instid0(VALU_DEP_4) | instskip(NEXT) | instid1(VALU_DEP_3)
	v_lshrrev_b32_e32 v6, s64, v6
	v_mad_u32 v4, v1, s57, v4
	v_mad_u32 v1, v1, s56, v2
	s_delay_alu instid0(VALU_DEP_4) | instskip(NEXT) | instid1(VALU_DEP_4)
	v_sub_nc_u32_e32 v2, v3, v7
	v_mul_hi_u32 v8, s66, v6
	v_mul_lo_u32 v3, v6, s54
	s_delay_alu instid0(VALU_DEP_3) | instskip(SKIP_1) | instid1(VALU_DEP_3)
	v_mad_u32 v4, v2, s59, v4
	v_mad_u32 v2, v2, s58, v1
	v_dual_add_nc_u32 v7, v6, v8 :: v_dual_sub_nc_u32 v3, v5, v3
	s_delay_alu instid0(VALU_DEP_1) | instskip(NEXT) | instid1(VALU_DEP_2)
	v_lshrrev_b32_e32 v1, s67, v7
	v_mad_u32 v4, v3, s61, v4
	s_delay_alu instid0(VALU_DEP_4) | instskip(NEXT) | instid1(VALU_DEP_3)
	v_mad_u32 v2, v3, s60, v2
	v_mul_lo_u32 v5, v1, s65
	s_delay_alu instid0(VALU_DEP_1) | instskip(NEXT) | instid1(VALU_DEP_1)
	v_sub_nc_u32_e32 v3, v6, v5
	v_mad_u32 v4, v3, s63, v4
	s_delay_alu instid0(VALU_DEP_4)
	v_mad_u32 v2, v3, s62, v2
	s_cbranch_scc0 .LBB191_830
; %bb.831:
	s_delay_alu instid0(VALU_DEP_2)
	v_mov_b32_e32 v3, v4
	s_branch .LBB191_835
.LBB191_832:
	s_mov_b32 s26, -1
                                        ; implicit-def: $vgpr4
                                        ; implicit-def: $vgpr2
	s_branch .LBB191_840
.LBB191_833:
	v_dual_mov_b32 v4, 0 :: v_dual_mov_b32 v2, 0
	s_branch .LBB191_839
.LBB191_834:
	v_mov_b64_e32 v[2:3], 0
	s_wait_loadcnt 0x0
	v_mov_b32_e32 v1, v0
                                        ; implicit-def: $vgpr4
.LBB191_835:
	s_and_b32 s30, s41, 3
	s_mov_b32 s29, 0
	s_cmp_eq_u32 s30, 0
	s_cbranch_scc1 .LBB191_839
; %bb.836:
	s_lshl_b32 s26, s28, 3
	s_mov_b32 s27, s29
	s_mul_u64 s[28:29], s[28:29], 12
	s_add_nc_u64 s[26:27], s[20:21], s[26:27]
	s_add_nc_u64 s[28:29], s[20:21], s[28:29]
	;; [unrolled: 1-line block ×3, first 2 shown]
.LBB191_837:                            ; =>This Inner Loop Header: Depth=1
	s_load_b96 s[40:42], s[28:29], 0x4
	s_load_b64 s[48:49], s[26:27], 0x0
	s_add_co_i32 s30, s30, -1
	s_wait_xcnt 0x0
	s_add_nc_u64 s[28:29], s[28:29], 12
	s_cmp_lg_u32 s30, 0
	s_add_nc_u64 s[26:27], s[26:27], 8
	s_wait_kmcnt 0x0
	v_mul_hi_u32 v4, s41, v1
	s_delay_alu instid0(VALU_DEP_1) | instskip(NEXT) | instid1(VALU_DEP_1)
	v_add_nc_u32_e32 v4, v1, v4
	v_lshrrev_b32_e32 v4, s42, v4
	s_delay_alu instid0(VALU_DEP_1) | instskip(NEXT) | instid1(VALU_DEP_1)
	v_mul_lo_u32 v5, v4, s40
	v_sub_nc_u32_e32 v1, v1, v5
	s_delay_alu instid0(VALU_DEP_1)
	v_mad_u32 v3, v1, s49, v3
	v_mad_u32 v2, v1, s48, v2
	v_mov_b32_e32 v1, v4
	s_cbranch_scc1 .LBB191_837
; %bb.838:
	s_delay_alu instid0(VALU_DEP_3)
	v_mov_b32_e32 v4, v3
.LBB191_839:
	s_mov_b32 s26, 0
.LBB191_840:
	s_delay_alu instid0(SALU_CYCLE_1)
	s_and_not1_b32 vcc_lo, exec_lo, s26
	s_cbranch_vccnz .LBB191_843
; %bb.841:
	s_wait_loadcnt 0x0
	v_mov_b32_e32 v1, 0
	s_and_not1_b32 vcc_lo, exec_lo, s39
	s_delay_alu instid0(VALU_DEP_1) | instskip(NEXT) | instid1(VALU_DEP_1)
	v_mul_u64_e32 v[2:3], s[22:23], v[0:1]
	v_add_nc_u32_e32 v2, v0, v3
	s_delay_alu instid0(VALU_DEP_1) | instskip(NEXT) | instid1(VALU_DEP_1)
	v_lshrrev_b32_e32 v6, s10, v2
	v_mul_lo_u32 v2, v6, s8
	s_delay_alu instid0(VALU_DEP_1) | instskip(NEXT) | instid1(VALU_DEP_1)
	v_sub_nc_u32_e32 v0, v0, v2
	v_mul_lo_u32 v4, v0, s13
	v_mul_lo_u32 v2, v0, s12
	s_cbranch_vccnz .LBB191_843
; %bb.842:
	v_mov_b32_e32 v7, v1
	s_delay_alu instid0(VALU_DEP_1) | instskip(NEXT) | instid1(VALU_DEP_1)
	v_mul_u64_e32 v[0:1], s[24:25], v[6:7]
	v_add_nc_u32_e32 v0, v6, v1
	s_delay_alu instid0(VALU_DEP_1) | instskip(NEXT) | instid1(VALU_DEP_1)
	v_lshrrev_b32_e32 v0, s3, v0
	v_mul_lo_u32 v0, v0, s11
	s_delay_alu instid0(VALU_DEP_1) | instskip(NEXT) | instid1(VALU_DEP_1)
	v_sub_nc_u32_e32 v0, v6, v0
	v_mad_u32 v2, v0, s14, v2
	v_mad_u32 v4, v0, s15, v4
.LBB191_843:
	v_mov_b32_e32 v5, 0
	s_and_b32 s3, 0xffff, s9
	s_delay_alu instid0(SALU_CYCLE_1) | instskip(NEXT) | instid1(VALU_DEP_1)
	s_cmp_lt_i32 s3, 11
	v_add_nc_u64_e32 v[4:5], s[6:7], v[4:5]
	s_cbranch_scc1 .LBB191_850
; %bb.844:
	s_cmp_gt_i32 s3, 25
	s_mov_b32 s7, 0
	s_cbranch_scc0 .LBB191_851
; %bb.845:
	s_cmp_gt_i32 s3, 28
	s_cbranch_scc0 .LBB191_852
; %bb.846:
	s_cmp_gt_i32 s3, 43
	;; [unrolled: 3-line block ×3, first 2 shown]
	s_cbranch_scc0 .LBB191_856
; %bb.848:
	s_cmp_eq_u32 s3, 46
	s_mov_b32 s10, 0
	s_cbranch_scc0 .LBB191_859
; %bb.849:
	global_load_b32 v0, v[4:5], off
	s_mov_b32 s6, 0
	s_mov_b32 s8, -1
	s_wait_loadcnt 0x0
	v_lshlrev_b32_e32 v0, 16, v0
	s_delay_alu instid0(VALU_DEP_1)
	v_cvt_f16_f32_e32 v3, v0
	s_branch .LBB191_861
.LBB191_850:
	s_mov_b32 s3, -1
	s_mov_b32 s8, 0
	s_mov_b32 s7, 0
	;; [unrolled: 1-line block ×3, first 2 shown]
                                        ; implicit-def: $vgpr3
	s_branch .LBB191_924
.LBB191_851:
	s_mov_b32 s10, -1
	s_mov_b32 s8, 0
	s_mov_b32 s6, s1
                                        ; implicit-def: $vgpr3
	s_branch .LBB191_890
.LBB191_852:
	s_mov_b32 s10, -1
	s_mov_b32 s8, 0
	s_mov_b32 s6, s1
                                        ; implicit-def: $vgpr3
	s_branch .LBB191_871
.LBB191_853:
	s_mov_b32 s10, -1
	s_mov_b32 s8, 0
	s_mov_b32 s6, s1
                                        ; implicit-def: $vgpr3
	s_branch .LBB191_866
.LBB191_854:
	s_and_not1_saveexec_b32 s35, s35
	s_cbranch_execz .LBB191_732
.LBB191_855:
	v_add_f32_e32 v1, 0x46000000, v4
	s_and_not1_b32 s34, s34, exec_lo
	s_delay_alu instid0(VALU_DEP_1) | instskip(NEXT) | instid1(VALU_DEP_1)
	v_and_b32_e32 v1, 0xff, v1
	v_cmp_ne_u32_e32 vcc_lo, 0, v1
	s_and_b32 s49, vcc_lo, exec_lo
	s_delay_alu instid0(SALU_CYCLE_1)
	s_or_b32 s34, s34, s49
	s_or_b32 exec_lo, exec_lo, s35
	v_mov_b32_e32 v5, 0
	s_and_saveexec_b32 s35, s34
	s_cbranch_execnz .LBB191_733
	s_branch .LBB191_734
.LBB191_856:
	s_mov_b32 s10, -1
	s_mov_b32 s8, 0
	s_mov_b32 s6, s1
	s_branch .LBB191_860
.LBB191_857:
	s_and_not1_saveexec_b32 s35, s35
	s_cbranch_execz .LBB191_745
.LBB191_858:
	v_add_f32_e32 v1, 0x42800000, v4
	s_and_not1_b32 s34, s34, exec_lo
	s_delay_alu instid0(VALU_DEP_1) | instskip(NEXT) | instid1(VALU_DEP_1)
	v_and_b32_e32 v1, 0xff, v1
	v_cmp_ne_u32_e32 vcc_lo, 0, v1
	s_and_b32 s49, vcc_lo, exec_lo
	s_delay_alu instid0(SALU_CYCLE_1)
	s_or_b32 s34, s34, s49
	s_or_b32 exec_lo, exec_lo, s35
	v_mov_b32_e32 v5, 0
	s_and_saveexec_b32 s35, s34
	s_cbranch_execnz .LBB191_746
	s_branch .LBB191_747
.LBB191_859:
	s_mov_b32 s6, -1
	s_mov_b32 s8, 0
.LBB191_860:
                                        ; implicit-def: $vgpr3
.LBB191_861:
	s_and_b32 vcc_lo, exec_lo, s10
	s_cbranch_vccz .LBB191_865
; %bb.862:
	s_cmp_eq_u32 s3, 44
	s_cbranch_scc0 .LBB191_864
; %bb.863:
	global_load_u8 v0, v[4:5], off
	s_mov_b32 s6, 0
	s_mov_b32 s8, -1
	s_wait_loadcnt 0x0
	v_lshlrev_b32_e32 v1, 23, v0
	v_cmp_ne_u32_e32 vcc_lo, 0xff, v0
	s_delay_alu instid0(VALU_DEP_2) | instskip(NEXT) | instid1(VALU_DEP_1)
	v_cvt_f16_f32_e32 v1, v1
	v_cndmask_b32_e32 v1, 0x7e00, v1, vcc_lo
	v_cmp_ne_u32_e32 vcc_lo, 0, v0
	s_delay_alu instid0(VALU_DEP_2)
	v_cndmask_b32_e32 v3, 0, v1, vcc_lo
	s_branch .LBB191_865
.LBB191_864:
	s_mov_b32 s6, -1
                                        ; implicit-def: $vgpr3
.LBB191_865:
	s_mov_b32 s10, 0
.LBB191_866:
	s_delay_alu instid0(SALU_CYCLE_1)
	s_and_b32 vcc_lo, exec_lo, s10
	s_cbranch_vccz .LBB191_870
; %bb.867:
	s_cmp_eq_u32 s3, 29
	s_cbranch_scc0 .LBB191_869
; %bb.868:
	s_wait_loadcnt 0x0
	global_load_b64 v[0:1], v[4:5], off
	s_mov_b32 s6, 0
	s_mov_b32 s8, -1
	s_mov_b32 s10, 0
	s_wait_loadcnt 0x0
	v_clz_i32_u32_e32 v3, v1
	s_delay_alu instid0(VALU_DEP_1) | instskip(NEXT) | instid1(VALU_DEP_1)
	v_min_u32_e32 v3, 32, v3
	v_lshlrev_b64_e32 v[0:1], v3, v[0:1]
	s_delay_alu instid0(VALU_DEP_1) | instskip(NEXT) | instid1(VALU_DEP_1)
	v_min_u32_e32 v0, 1, v0
	v_dual_sub_nc_u32 v1, 32, v3 :: v_dual_bitop2_b32 v0, v1, v0 bitop3:0x54
	s_delay_alu instid0(VALU_DEP_1) | instskip(NEXT) | instid1(VALU_DEP_1)
	v_cvt_f32_u32_e32 v0, v0
	v_ldexp_f32 v0, v0, v1
	s_delay_alu instid0(VALU_DEP_1)
	v_cvt_f16_f32_e32 v3, v0
	s_branch .LBB191_871
.LBB191_869:
	s_mov_b32 s6, -1
                                        ; implicit-def: $vgpr3
.LBB191_870:
	s_mov_b32 s10, 0
.LBB191_871:
	s_delay_alu instid0(SALU_CYCLE_1)
	s_and_b32 vcc_lo, exec_lo, s10
	s_cbranch_vccz .LBB191_889
; %bb.872:
	s_cmp_lt_i32 s3, 27
	s_cbranch_scc1 .LBB191_875
; %bb.873:
	s_cmp_gt_i32 s3, 27
	s_cbranch_scc0 .LBB191_876
; %bb.874:
	global_load_b32 v0, v[4:5], off
	s_mov_b32 s8, 0
	s_wait_loadcnt 0x0
	v_cvt_f32_u32_e32 v0, v0
	s_delay_alu instid0(VALU_DEP_1)
	v_cvt_f16_f32_e32 v3, v0
	s_branch .LBB191_877
.LBB191_875:
	s_mov_b32 s8, -1
                                        ; implicit-def: $vgpr3
	s_branch .LBB191_880
.LBB191_876:
	s_mov_b32 s8, -1
                                        ; implicit-def: $vgpr3
.LBB191_877:
	s_delay_alu instid0(SALU_CYCLE_1)
	s_and_not1_b32 vcc_lo, exec_lo, s8
	s_cbranch_vccnz .LBB191_879
; %bb.878:
	global_load_u16 v0, v[4:5], off
	s_wait_loadcnt 0x0
	v_cvt_f16_u16_e32 v3, v0
.LBB191_879:
	s_mov_b32 s8, 0
.LBB191_880:
	s_delay_alu instid0(SALU_CYCLE_1)
	s_and_not1_b32 vcc_lo, exec_lo, s8
	s_cbranch_vccnz .LBB191_888
; %bb.881:
	global_load_u8 v0, v[4:5], off
	s_mov_b32 s8, 0
	s_mov_b32 s10, exec_lo
	s_wait_loadcnt 0x0
	v_cmpx_lt_i16_e32 0x7f, v0
	s_xor_b32 s10, exec_lo, s10
	s_cbranch_execz .LBB191_902
; %bb.882:
	s_mov_b32 s8, -1
	s_mov_b32 s11, exec_lo
	v_cmpx_eq_u16_e32 0x80, v0
; %bb.883:
	s_xor_b32 s8, exec_lo, -1
; %bb.884:
	s_or_b32 exec_lo, exec_lo, s11
	s_delay_alu instid0(SALU_CYCLE_1)
	s_and_b32 s8, s8, exec_lo
	s_or_saveexec_b32 s10, s10
	v_mov_b32_e32 v3, 0x7e00
	s_xor_b32 exec_lo, exec_lo, s10
	s_cbranch_execnz .LBB191_903
.LBB191_885:
	s_or_b32 exec_lo, exec_lo, s10
	s_and_saveexec_b32 s10, s8
	s_cbranch_execz .LBB191_887
.LBB191_886:
	v_and_b32_e32 v1, 0xffff, v0
	s_delay_alu instid0(VALU_DEP_1) | instskip(SKIP_1) | instid1(VALU_DEP_2)
	v_and_b32_e32 v3, 7, v1
	v_bfe_u32 v8, v1, 3, 4
	v_clz_i32_u32_e32 v6, v3
	s_delay_alu instid0(VALU_DEP_2) | instskip(NEXT) | instid1(VALU_DEP_2)
	v_cmp_eq_u32_e32 vcc_lo, 0, v8
	v_min_u32_e32 v6, 32, v6
	s_delay_alu instid0(VALU_DEP_1) | instskip(NEXT) | instid1(VALU_DEP_1)
	v_subrev_nc_u32_e32 v7, 28, v6
	v_dual_lshlrev_b32 v1, v7, v1 :: v_dual_sub_nc_u32 v6, 29, v6
	s_delay_alu instid0(VALU_DEP_1) | instskip(NEXT) | instid1(VALU_DEP_1)
	v_dual_lshlrev_b32 v0, 24, v0 :: v_dual_bitop2_b32 v1, 7, v1 bitop3:0x40
	v_dual_cndmask_b32 v6, v8, v6 :: v_dual_cndmask_b32 v1, v3, v1
	s_delay_alu instid0(VALU_DEP_2) | instskip(NEXT) | instid1(VALU_DEP_2)
	v_and_b32_e32 v0, 0x80000000, v0
	v_lshl_add_u32 v3, v6, 23, 0x3b800000
	s_delay_alu instid0(VALU_DEP_3) | instskip(NEXT) | instid1(VALU_DEP_1)
	v_lshlrev_b32_e32 v1, 20, v1
	v_or3_b32 v0, v0, v3, v1
	s_delay_alu instid0(VALU_DEP_1)
	v_cvt_f16_f32_e32 v3, v0
.LBB191_887:
	s_or_b32 exec_lo, exec_lo, s10
.LBB191_888:
	s_mov_b32 s8, -1
.LBB191_889:
	s_mov_b32 s10, 0
.LBB191_890:
	s_delay_alu instid0(SALU_CYCLE_1)
	s_and_b32 vcc_lo, exec_lo, s10
	s_cbranch_vccz .LBB191_923
; %bb.891:
	s_cmp_gt_i32 s3, 22
	s_cbranch_scc0 .LBB191_901
; %bb.892:
	s_cmp_lt_i32 s3, 24
	s_cbranch_scc1 .LBB191_904
; %bb.893:
	s_cmp_gt_i32 s3, 24
	s_cbranch_scc0 .LBB191_905
; %bb.894:
	global_load_u8 v0, v[4:5], off
	s_mov_b32 s8, exec_lo
	s_wait_loadcnt 0x0
	v_cmpx_lt_i16_e32 0x7f, v0
	s_xor_b32 s8, exec_lo, s8
	s_cbranch_execz .LBB191_917
; %bb.895:
	s_mov_b32 s7, -1
	s_mov_b32 s10, exec_lo
	v_cmpx_eq_u16_e32 0x80, v0
; %bb.896:
	s_xor_b32 s7, exec_lo, -1
; %bb.897:
	s_or_b32 exec_lo, exec_lo, s10
	s_delay_alu instid0(SALU_CYCLE_1)
	s_and_b32 s7, s7, exec_lo
	s_or_saveexec_b32 s8, s8
	v_mov_b32_e32 v3, 0x7e00
	s_xor_b32 exec_lo, exec_lo, s8
	s_cbranch_execnz .LBB191_918
.LBB191_898:
	s_or_b32 exec_lo, exec_lo, s8
	s_and_saveexec_b32 s8, s7
	s_cbranch_execz .LBB191_900
.LBB191_899:
	v_and_b32_e32 v1, 0xffff, v0
	s_delay_alu instid0(VALU_DEP_1) | instskip(SKIP_1) | instid1(VALU_DEP_2)
	v_and_b32_e32 v3, 3, v1
	v_bfe_u32 v8, v1, 2, 5
	v_clz_i32_u32_e32 v6, v3
	s_delay_alu instid0(VALU_DEP_2) | instskip(NEXT) | instid1(VALU_DEP_2)
	v_cmp_eq_u32_e32 vcc_lo, 0, v8
	v_min_u32_e32 v6, 32, v6
	s_delay_alu instid0(VALU_DEP_1) | instskip(NEXT) | instid1(VALU_DEP_1)
	v_subrev_nc_u32_e32 v7, 29, v6
	v_dual_lshlrev_b32 v1, v7, v1 :: v_dual_sub_nc_u32 v6, 30, v6
	s_delay_alu instid0(VALU_DEP_1) | instskip(NEXT) | instid1(VALU_DEP_1)
	v_dual_lshlrev_b32 v0, 24, v0 :: v_dual_bitop2_b32 v1, 3, v1 bitop3:0x40
	v_dual_cndmask_b32 v6, v8, v6 :: v_dual_cndmask_b32 v1, v3, v1
	s_delay_alu instid0(VALU_DEP_2) | instskip(NEXT) | instid1(VALU_DEP_2)
	v_and_b32_e32 v0, 0x80000000, v0
	v_lshl_add_u32 v3, v6, 23, 0x37800000
	s_delay_alu instid0(VALU_DEP_3) | instskip(NEXT) | instid1(VALU_DEP_1)
	v_lshlrev_b32_e32 v1, 21, v1
	v_or3_b32 v0, v0, v3, v1
	s_delay_alu instid0(VALU_DEP_1)
	v_cvt_f16_f32_e32 v3, v0
.LBB191_900:
	s_or_b32 exec_lo, exec_lo, s8
	s_mov_b32 s7, 0
	s_branch .LBB191_906
.LBB191_901:
	s_mov_b32 s7, -1
                                        ; implicit-def: $vgpr3
	s_branch .LBB191_912
.LBB191_902:
	s_or_saveexec_b32 s10, s10
	v_mov_b32_e32 v3, 0x7e00
	s_xor_b32 exec_lo, exec_lo, s10
	s_cbranch_execz .LBB191_885
.LBB191_903:
	v_cmp_ne_u16_e32 vcc_lo, 0, v0
	v_mov_b32_e32 v3, v0
	s_and_not1_b32 s8, s8, exec_lo
	s_and_b32 s11, vcc_lo, exec_lo
	s_delay_alu instid0(SALU_CYCLE_1)
	s_or_b32 s8, s8, s11
	s_or_b32 exec_lo, exec_lo, s10
	s_and_saveexec_b32 s10, s8
	s_cbranch_execnz .LBB191_886
	s_branch .LBB191_887
.LBB191_904:
	s_mov_b32 s7, -1
                                        ; implicit-def: $vgpr3
	s_branch .LBB191_909
.LBB191_905:
	s_mov_b32 s7, -1
                                        ; implicit-def: $vgpr3
.LBB191_906:
	s_delay_alu instid0(SALU_CYCLE_1)
	s_and_b32 vcc_lo, exec_lo, s7
	s_cbranch_vccz .LBB191_908
; %bb.907:
	global_load_u8 v0, v[4:5], off
	s_wait_loadcnt 0x0
	v_lshlrev_b32_e32 v0, 24, v0
	s_delay_alu instid0(VALU_DEP_1) | instskip(NEXT) | instid1(VALU_DEP_1)
	v_and_b32_e32 v1, 0x7f000000, v0
	v_clz_i32_u32_e32 v3, v1
	v_add_nc_u32_e32 v7, 0x1000000, v1
	v_cmp_ne_u32_e32 vcc_lo, 0, v1
	s_delay_alu instid0(VALU_DEP_3) | instskip(NEXT) | instid1(VALU_DEP_1)
	v_min_u32_e32 v3, 32, v3
	v_sub_nc_u32_e64 v3, v3, 4 clamp
	s_delay_alu instid0(VALU_DEP_1) | instskip(NEXT) | instid1(VALU_DEP_1)
	v_dual_lshlrev_b32 v6, v3, v1 :: v_dual_lshlrev_b32 v3, 23, v3
	v_lshrrev_b32_e32 v6, 4, v6
	s_delay_alu instid0(VALU_DEP_1) | instskip(SKIP_1) | instid1(VALU_DEP_2)
	v_sub_nc_u32_e32 v3, v6, v3
	v_ashrrev_i32_e32 v6, 8, v7
	v_add_nc_u32_e32 v3, 0x3c000000, v3
	s_delay_alu instid0(VALU_DEP_1) | instskip(NEXT) | instid1(VALU_DEP_1)
	v_and_or_b32 v3, 0x7f800000, v6, v3
	v_cndmask_b32_e32 v1, 0, v3, vcc_lo
	s_delay_alu instid0(VALU_DEP_1) | instskip(NEXT) | instid1(VALU_DEP_1)
	v_and_or_b32 v0, 0x80000000, v0, v1
	v_cvt_f16_f32_e32 v3, v0
.LBB191_908:
	s_mov_b32 s7, 0
.LBB191_909:
	s_delay_alu instid0(SALU_CYCLE_1)
	s_and_not1_b32 vcc_lo, exec_lo, s7
	s_cbranch_vccnz .LBB191_911
; %bb.910:
	global_load_u8 v0, v[4:5], off
	s_wait_loadcnt 0x0
	v_lshlrev_b32_e32 v1, 25, v0
	v_lshlrev_b16 v0, 8, v0
	s_delay_alu instid0(VALU_DEP_1) | instskip(SKIP_1) | instid1(VALU_DEP_2)
	v_and_or_b32 v6, 0x7f00, v0, 0.5
	v_bfe_i32 v0, v0, 0, 16
	v_dual_add_f32 v6, -0.5, v6 :: v_dual_lshrrev_b32 v3, 4, v1
	v_cmp_gt_u32_e32 vcc_lo, 0x8000000, v1
	s_delay_alu instid0(VALU_DEP_2) | instskip(NEXT) | instid1(VALU_DEP_1)
	v_or_b32_e32 v3, 0x70000000, v3
	v_mul_f32_e32 v3, 0x7800000, v3
	s_delay_alu instid0(VALU_DEP_1) | instskip(NEXT) | instid1(VALU_DEP_1)
	v_cndmask_b32_e32 v1, v3, v6, vcc_lo
	v_and_or_b32 v0, 0x80000000, v0, v1
	s_delay_alu instid0(VALU_DEP_1)
	v_cvt_f16_f32_e32 v3, v0
.LBB191_911:
	s_mov_b32 s7, 0
	s_mov_b32 s8, -1
.LBB191_912:
	s_and_not1_b32 vcc_lo, exec_lo, s7
	s_mov_b32 s7, 0
	s_cbranch_vccnz .LBB191_923
; %bb.913:
	s_cmp_gt_i32 s3, 14
	s_cbranch_scc0 .LBB191_916
; %bb.914:
	s_cmp_eq_u32 s3, 15
	s_cbranch_scc0 .LBB191_919
; %bb.915:
	global_load_u16 v0, v[4:5], off
	s_mov_b32 s6, 0
	s_mov_b32 s8, -1
	s_wait_loadcnt 0x0
	v_lshlrev_b32_e32 v0, 16, v0
	s_delay_alu instid0(VALU_DEP_1)
	v_cvt_f16_f32_e32 v3, v0
	s_branch .LBB191_921
.LBB191_916:
	s_mov_b32 s7, -1
	s_branch .LBB191_920
.LBB191_917:
	s_or_saveexec_b32 s8, s8
	v_mov_b32_e32 v3, 0x7e00
	s_xor_b32 exec_lo, exec_lo, s8
	s_cbranch_execz .LBB191_898
.LBB191_918:
	v_cmp_ne_u16_e32 vcc_lo, 0, v0
	v_mov_b32_e32 v3, v0
	s_and_not1_b32 s7, s7, exec_lo
	s_and_b32 s10, vcc_lo, exec_lo
	s_delay_alu instid0(SALU_CYCLE_1)
	s_or_b32 s7, s7, s10
	s_or_b32 exec_lo, exec_lo, s8
	s_and_saveexec_b32 s8, s7
	s_cbranch_execnz .LBB191_899
	s_branch .LBB191_900
.LBB191_919:
	s_mov_b32 s6, -1
.LBB191_920:
                                        ; implicit-def: $vgpr3
.LBB191_921:
	s_and_b32 vcc_lo, exec_lo, s7
	s_mov_b32 s7, 0
	s_cbranch_vccz .LBB191_923
; %bb.922:
	s_cmp_lg_u32 s3, 11
	s_mov_b32 s7, -1
	s_cselect_b32 s3, -1, 0
	s_and_not1_b32 s6, s6, exec_lo
	s_and_b32 s3, s3, exec_lo
	s_delay_alu instid0(SALU_CYCLE_1)
	s_or_b32 s6, s6, s3
.LBB191_923:
	s_mov_b32 s3, 0
.LBB191_924:
	s_delay_alu instid0(SALU_CYCLE_1)
	s_and_b32 s30, s3, exec_lo
	s_and_not1_b32 s3, s1, exec_lo
	s_and_b32 s6, s6, exec_lo
	s_and_b32 s29, s8, exec_lo
	;; [unrolled: 1-line block ×3, first 2 shown]
	s_or_b32 s31, s3, s6
.LBB191_925:
	s_wait_xcnt 0x0
	s_or_b32 exec_lo, exec_lo, s35
	s_delay_alu instid0(SALU_CYCLE_1)
	s_and_not1_b32 s1, s1, exec_lo
	s_and_b32 s3, s31, exec_lo
	s_and_b32 s29, s29, exec_lo
	;; [unrolled: 1-line block ×4, first 2 shown]
	s_or_b32 s1, s1, s3
.LBB191_926:
	s_or_b32 exec_lo, exec_lo, s34
	s_delay_alu instid0(SALU_CYCLE_1)
	s_and_not1_b32 s3, s46, exec_lo
	s_and_b32 s2, s2, exec_lo
	s_and_b32 s6, s1, exec_lo
	s_or_b32 s46, s3, s2
	s_and_not1_b32 s3, s45, exec_lo
	s_and_b32 s29, s29, exec_lo
	s_and_b32 s2, s30, exec_lo
	;; [unrolled: 1-line block ×3, first 2 shown]
	s_or_b32 s45, s3, s6
.LBB191_927:
	s_or_b32 exec_lo, exec_lo, s47
	s_delay_alu instid0(SALU_CYCLE_1)
	s_and_not1_b32 s3, s16, exec_lo
	s_and_b32 s6, s46, exec_lo
	s_and_b32 s30, s2, exec_lo
	s_or_b32 s16, s3, s6
	s_and_not1_b32 s2, s43, exec_lo
	s_and_b32 s3, s45, exec_lo
	s_and_b32 s28, s29, exec_lo
	s_and_b32 s23, s1, exec_lo
	s_or_b32 s43, s2, s3
	s_or_b32 exec_lo, exec_lo, s44
	s_mov_b32 s1, 0
	s_and_saveexec_b32 s2, s43
	s_cbranch_execz .LBB191_276
.LBB191_928:
	s_mov_b32 s1, exec_lo
	s_and_not1_b32 s23, s23, exec_lo
	s_trap 2
	s_or_b32 exec_lo, exec_lo, s2
	s_and_saveexec_b32 s2, s23
	s_delay_alu instid0(SALU_CYCLE_1)
	s_xor_b32 s2, exec_lo, s2
	s_cbranch_execnz .LBB191_277
.LBB191_929:
	s_or_b32 exec_lo, exec_lo, s2
	s_and_saveexec_b32 s2, s30
	s_cbranch_execz .LBB191_975
.LBB191_930:
	s_sext_i32_i16 s3, s9
	s_delay_alu instid0(SALU_CYCLE_1)
	s_cmp_lt_i32 s3, 5
	s_cbranch_scc1 .LBB191_935
; %bb.931:
	s_cmp_lt_i32 s3, 8
	s_cbranch_scc1 .LBB191_936
; %bb.932:
	;; [unrolled: 3-line block ×3, first 2 shown]
	s_cmp_gt_i32 s3, 9
	s_cbranch_scc0 .LBB191_938
; %bb.934:
	s_wait_loadcnt 0x0
	global_load_b64 v[0:1], v[4:5], off
	s_mov_b32 s3, 0
	s_wait_loadcnt 0x0
	v_and_or_b32 v0, 0x1ff, v1, v0
	v_lshrrev_b32_e32 v3, 8, v1
	v_bfe_u32 v6, v1, 20, 11
	v_lshrrev_b32_e32 v1, 16, v1
	s_delay_alu instid0(VALU_DEP_4) | instskip(NEXT) | instid1(VALU_DEP_3)
	v_cmp_ne_u32_e32 vcc_lo, 0, v0
	v_sub_nc_u32_e32 v7, 0x3f1, v6
	v_cndmask_b32_e64 v0, 0, 1, vcc_lo
	s_delay_alu instid0(VALU_DEP_1) | instskip(NEXT) | instid1(VALU_DEP_3)
	v_and_or_b32 v0, 0xffe, v3, v0
	v_med3_i32 v3, v7, 0, 13
	s_delay_alu instid0(VALU_DEP_2) | instskip(NEXT) | instid1(VALU_DEP_1)
	v_or_b32_e32 v7, 0x1000, v0
	v_lshrrev_b32_e32 v8, v3, v7
	s_delay_alu instid0(VALU_DEP_1) | instskip(NEXT) | instid1(VALU_DEP_1)
	v_lshlrev_b32_e32 v3, v3, v8
	v_cmp_ne_u32_e32 vcc_lo, v3, v7
	v_cndmask_b32_e64 v3, 0, 1, vcc_lo
	s_delay_alu instid0(VALU_DEP_1) | instskip(SKIP_1) | instid1(VALU_DEP_1)
	v_or_b32_e32 v3, v8, v3
	v_add_nc_u32_e32 v6, 0xfffffc10, v6
	v_lshl_or_b32 v7, v6, 12, v0
	v_cmp_gt_i32_e32 vcc_lo, 1, v6
	s_delay_alu instid0(VALU_DEP_2) | instskip(NEXT) | instid1(VALU_DEP_1)
	v_cndmask_b32_e32 v3, v7, v3, vcc_lo
	v_dual_lshrrev_b32 v3, 2, v3 :: v_dual_bitop2_b32 v7, 7, v3 bitop3:0x40
	s_delay_alu instid0(VALU_DEP_1) | instskip(SKIP_4) | instid1(VALU_DEP_2)
	v_cmp_lt_i32_e32 vcc_lo, 5, v7
	v_cndmask_b32_e64 v8, 0, 1, vcc_lo
	v_cmp_eq_u32_e32 vcc_lo, 3, v7
	v_cndmask_b32_e64 v7, 0, 1, vcc_lo
	v_cmp_ne_u32_e32 vcc_lo, 0, v0
	v_or_b32_e32 v7, v7, v8
	s_delay_alu instid0(VALU_DEP_1) | instskip(NEXT) | instid1(VALU_DEP_1)
	v_dual_mov_b32 v8, 0x7e00 :: v_dual_add_nc_u32 v3, v3, v7
	v_cndmask_b32_e32 v0, 0x7c00, v8, vcc_lo
	v_cmp_gt_i32_e32 vcc_lo, 31, v6
	s_delay_alu instid0(VALU_DEP_3) | instskip(SKIP_1) | instid1(VALU_DEP_2)
	v_cndmask_b32_e32 v3, 0x7c00, v3, vcc_lo
	v_cmp_eq_u32_e32 vcc_lo, 0x40f, v6
	v_cndmask_b32_e32 v0, v3, v0, vcc_lo
	s_delay_alu instid0(VALU_DEP_1)
	v_and_or_b32 v3, 0x8000, v1, v0
	s_branch .LBB191_939
.LBB191_935:
                                        ; implicit-def: $vgpr3
	s_branch .LBB191_956
.LBB191_936:
                                        ; implicit-def: $vgpr3
	s_branch .LBB191_945
.LBB191_937:
	s_mov_b32 s3, -1
                                        ; implicit-def: $vgpr3
	s_branch .LBB191_942
.LBB191_938:
	s_mov_b32 s3, -1
                                        ; implicit-def: $vgpr3
.LBB191_939:
	s_delay_alu instid0(SALU_CYCLE_1)
	s_and_not1_b32 vcc_lo, exec_lo, s3
	s_cbranch_vccnz .LBB191_941
; %bb.940:
	global_load_b32 v0, v[4:5], off
	s_wait_loadcnt 0x0
	v_cvt_f16_f32_e32 v3, v0
.LBB191_941:
	s_mov_b32 s3, 0
.LBB191_942:
	s_delay_alu instid0(SALU_CYCLE_1)
	s_and_not1_b32 vcc_lo, exec_lo, s3
	s_cbranch_vccnz .LBB191_944
; %bb.943:
	global_load_b32 v3, v[4:5], off
.LBB191_944:
	s_cbranch_execnz .LBB191_955
.LBB191_945:
	s_sext_i32_i16 s3, s9
	s_delay_alu instid0(SALU_CYCLE_1)
	s_cmp_lt_i32 s3, 6
	s_cbranch_scc1 .LBB191_948
; %bb.946:
	s_cmp_gt_i32 s3, 6
	s_cbranch_scc0 .LBB191_949
; %bb.947:
	s_wait_loadcnt 0x0
	global_load_b64 v[0:1], v[4:5], off
	s_mov_b32 s3, 0
	s_wait_loadcnt 0x0
	v_and_or_b32 v0, 0x1ff, v1, v0
	v_lshrrev_b32_e32 v3, 8, v1
	v_bfe_u32 v6, v1, 20, 11
	v_lshrrev_b32_e32 v1, 16, v1
	s_delay_alu instid0(VALU_DEP_4) | instskip(NEXT) | instid1(VALU_DEP_3)
	v_cmp_ne_u32_e32 vcc_lo, 0, v0
	v_sub_nc_u32_e32 v7, 0x3f1, v6
	v_cndmask_b32_e64 v0, 0, 1, vcc_lo
	s_delay_alu instid0(VALU_DEP_1) | instskip(NEXT) | instid1(VALU_DEP_3)
	v_and_or_b32 v0, 0xffe, v3, v0
	v_med3_i32 v3, v7, 0, 13
	s_delay_alu instid0(VALU_DEP_2) | instskip(NEXT) | instid1(VALU_DEP_1)
	v_or_b32_e32 v7, 0x1000, v0
	v_lshrrev_b32_e32 v8, v3, v7
	s_delay_alu instid0(VALU_DEP_1) | instskip(NEXT) | instid1(VALU_DEP_1)
	v_lshlrev_b32_e32 v3, v3, v8
	v_cmp_ne_u32_e32 vcc_lo, v3, v7
	v_cndmask_b32_e64 v3, 0, 1, vcc_lo
	s_delay_alu instid0(VALU_DEP_1) | instskip(SKIP_1) | instid1(VALU_DEP_1)
	v_or_b32_e32 v3, v8, v3
	v_add_nc_u32_e32 v6, 0xfffffc10, v6
	v_lshl_or_b32 v7, v6, 12, v0
	v_cmp_gt_i32_e32 vcc_lo, 1, v6
	s_delay_alu instid0(VALU_DEP_2) | instskip(NEXT) | instid1(VALU_DEP_1)
	v_cndmask_b32_e32 v3, v7, v3, vcc_lo
	v_dual_lshrrev_b32 v3, 2, v3 :: v_dual_bitop2_b32 v7, 7, v3 bitop3:0x40
	s_delay_alu instid0(VALU_DEP_1) | instskip(SKIP_4) | instid1(VALU_DEP_2)
	v_cmp_lt_i32_e32 vcc_lo, 5, v7
	v_cndmask_b32_e64 v8, 0, 1, vcc_lo
	v_cmp_eq_u32_e32 vcc_lo, 3, v7
	v_cndmask_b32_e64 v7, 0, 1, vcc_lo
	v_cmp_ne_u32_e32 vcc_lo, 0, v0
	v_or_b32_e32 v7, v7, v8
	s_delay_alu instid0(VALU_DEP_1) | instskip(NEXT) | instid1(VALU_DEP_1)
	v_dual_mov_b32 v8, 0x7e00 :: v_dual_add_nc_u32 v3, v3, v7
	v_cndmask_b32_e32 v0, 0x7c00, v8, vcc_lo
	v_cmp_gt_i32_e32 vcc_lo, 31, v6
	s_delay_alu instid0(VALU_DEP_3) | instskip(SKIP_1) | instid1(VALU_DEP_2)
	v_cndmask_b32_e32 v3, 0x7c00, v3, vcc_lo
	v_cmp_eq_u32_e32 vcc_lo, 0x40f, v6
	v_cndmask_b32_e32 v0, v3, v0, vcc_lo
	s_delay_alu instid0(VALU_DEP_1)
	v_and_or_b32 v3, 0x8000, v1, v0
	s_branch .LBB191_950
.LBB191_948:
	s_mov_b32 s3, -1
                                        ; implicit-def: $vgpr3
	s_branch .LBB191_953
.LBB191_949:
	s_mov_b32 s3, -1
                                        ; implicit-def: $vgpr3
.LBB191_950:
	s_delay_alu instid0(SALU_CYCLE_1)
	s_and_not1_b32 vcc_lo, exec_lo, s3
	s_cbranch_vccnz .LBB191_952
; %bb.951:
	global_load_b32 v0, v[4:5], off
	s_wait_loadcnt 0x0
	v_cvt_f16_f32_e32 v3, v0
.LBB191_952:
	s_mov_b32 s3, 0
.LBB191_953:
	s_delay_alu instid0(SALU_CYCLE_1)
	s_and_not1_b32 vcc_lo, exec_lo, s3
	s_cbranch_vccnz .LBB191_955
; %bb.954:
	s_wait_loadcnt 0x0
	global_load_u16 v3, v[4:5], off
.LBB191_955:
	s_cbranch_execnz .LBB191_974
.LBB191_956:
	s_sext_i32_i16 s3, s9
	s_delay_alu instid0(SALU_CYCLE_1)
	s_cmp_lt_i32 s3, 2
	s_cbranch_scc1 .LBB191_960
; %bb.957:
	s_cmp_lt_i32 s3, 3
	s_cbranch_scc1 .LBB191_961
; %bb.958:
	s_cmp_gt_i32 s3, 3
	s_cbranch_scc0 .LBB191_962
; %bb.959:
	s_wait_loadcnt 0x0
	global_load_b64 v[0:1], v[4:5], off
	s_mov_b32 s3, 0
	s_wait_loadcnt 0x0
	v_xor_b32_e32 v3, v0, v1
	v_cls_i32_e32 v6, v1
	s_delay_alu instid0(VALU_DEP_2) | instskip(NEXT) | instid1(VALU_DEP_1)
	v_ashrrev_i32_e32 v3, 31, v3
	v_add_nc_u32_e32 v3, 32, v3
	s_delay_alu instid0(VALU_DEP_1) | instskip(NEXT) | instid1(VALU_DEP_1)
	v_add_min_u32_e64 v3, v6, -1, v3
	v_lshlrev_b64_e32 v[0:1], v3, v[0:1]
	s_delay_alu instid0(VALU_DEP_1) | instskip(NEXT) | instid1(VALU_DEP_1)
	v_min_u32_e32 v0, 1, v0
	v_dual_sub_nc_u32 v1, 32, v3 :: v_dual_bitop2_b32 v0, v1, v0 bitop3:0x54
	s_delay_alu instid0(VALU_DEP_1) | instskip(NEXT) | instid1(VALU_DEP_1)
	v_cvt_f32_i32_e32 v0, v0
	v_ldexp_f32 v0, v0, v1
	s_delay_alu instid0(VALU_DEP_1)
	v_cvt_f16_f32_e32 v3, v0
	s_branch .LBB191_963
.LBB191_960:
                                        ; implicit-def: $vgpr3
	s_branch .LBB191_969
.LBB191_961:
	s_mov_b32 s3, -1
                                        ; implicit-def: $vgpr3
	s_branch .LBB191_966
.LBB191_962:
	s_mov_b32 s3, -1
                                        ; implicit-def: $vgpr3
.LBB191_963:
	s_delay_alu instid0(SALU_CYCLE_1)
	s_and_not1_b32 vcc_lo, exec_lo, s3
	s_cbranch_vccnz .LBB191_965
; %bb.964:
	global_load_b32 v0, v[4:5], off
	s_wait_loadcnt 0x0
	v_cvt_f32_i32_e32 v0, v0
	s_delay_alu instid0(VALU_DEP_1)
	v_cvt_f16_f32_e32 v3, v0
.LBB191_965:
	s_mov_b32 s3, 0
.LBB191_966:
	s_delay_alu instid0(SALU_CYCLE_1)
	s_and_not1_b32 vcc_lo, exec_lo, s3
	s_cbranch_vccnz .LBB191_968
; %bb.967:
	global_load_u16 v0, v[4:5], off
	s_wait_loadcnt 0x0
	v_cvt_f16_i16_e32 v3, v0
.LBB191_968:
	s_cbranch_execnz .LBB191_974
.LBB191_969:
	s_sext_i32_i16 s3, s9
	s_delay_alu instid0(SALU_CYCLE_1)
	s_cmp_gt_i32 s3, 0
	s_mov_b32 s3, 0
	s_cbranch_scc0 .LBB191_971
; %bb.970:
	global_load_i8 v0, v[4:5], off
	s_wait_loadcnt 0x0
	v_cvt_f16_i16_e32 v3, v0
	s_branch .LBB191_972
.LBB191_971:
	s_mov_b32 s3, -1
                                        ; implicit-def: $vgpr3
.LBB191_972:
	s_delay_alu instid0(SALU_CYCLE_1)
	s_and_not1_b32 vcc_lo, exec_lo, s3
	s_cbranch_vccnz .LBB191_974
; %bb.973:
	global_load_u8 v0, v[4:5], off
	s_wait_loadcnt 0x0
	v_cvt_f16_u16_e32 v3, v0
.LBB191_974:
	s_or_b32 s28, s28, exec_lo
.LBB191_975:
	s_wait_xcnt 0x0
	s_or_b32 exec_lo, exec_lo, s2
	s_mov_b32 s8, 0
	s_mov_b32 s7, 0
                                        ; implicit-def: $sgpr2
                                        ; implicit-def: $sgpr3
                                        ; implicit-def: $vgpr0_vgpr1
	s_and_saveexec_b32 s6, s28
	s_cbranch_execz .LBB191_983
; %bb.976:
	s_wait_loadcnt 0x0
	v_cmp_eq_f16_e32 vcc_lo, s17, v3
	s_and_b32 s3, s18, 0xff
	s_delay_alu instid0(SALU_CYCLE_1) | instskip(SKIP_4) | instid1(VALU_DEP_1)
	s_cmp_lt_i32 s3, 11
	v_cndmask_b32_e64 v0, 0, 1, vcc_lo
	v_cmp_neq_f16_e32 vcc_lo, s17, v3
	v_mov_b32_e32 v3, 0
	v_cndmask_b32_e64 v1, 0, 1, vcc_lo
	v_cndmask_b32_e64 v0, v1, v0, s0
	s_delay_alu instid0(VALU_DEP_1) | instskip(NEXT) | instid1(VALU_DEP_4)
	v_and_b32_e32 v4, 1, v0
	v_add_nc_u64_e32 v[0:1], s[4:5], v[2:3]
	s_delay_alu instid0(VALU_DEP_2)
	v_cmp_eq_u32_e64 s2, 1, v4
	s_cbranch_scc1 .LBB191_986
; %bb.977:
	s_and_b32 s4, 0xffff, s3
	s_mov_b32 s5, -1
	s_cmp_gt_i32 s4, 25
	s_mov_b32 s0, s16
	s_cbranch_scc0 .LBB191_1014
; %bb.978:
	s_cmp_gt_i32 s4, 28
	s_mov_b32 s0, s16
	s_cbranch_scc0 .LBB191_998
; %bb.979:
	;; [unrolled: 4-line block ×4, first 2 shown]
	s_cmp_eq_u32 s4, 46
	s_mov_b32 s0, -1
	s_cbranch_scc0 .LBB191_987
; %bb.982:
	v_cndmask_b32_e64 v2, 0, 1.0, s2
	s_mov_b32 s0, 0
	s_mov_b32 s5, 0
	s_delay_alu instid0(VALU_DEP_1) | instskip(NEXT) | instid1(VALU_DEP_1)
	v_bfe_u32 v3, v2, 16, 1
	v_add3_u32 v2, v2, v3, 0x7fff
	s_delay_alu instid0(VALU_DEP_1)
	v_lshrrev_b32_e32 v2, 16, v2
	global_store_b32 v[0:1], v2, off
	s_branch .LBB191_988
.LBB191_983:
	s_or_b32 exec_lo, exec_lo, s6
	s_and_saveexec_b32 s0, s16
	s_cbranch_execnz .LBB191_1056
.LBB191_984:
	s_or_b32 exec_lo, exec_lo, s0
	s_and_saveexec_b32 s0, s8
	s_delay_alu instid0(SALU_CYCLE_1)
	s_xor_b32 s0, exec_lo, s0
	s_cbranch_execz .LBB191_1057
.LBB191_985:
	v_cndmask_b32_e64 v2, 0, 1, s2
	s_wait_loadcnt 0x0
	global_store_b8 v[0:1], v2, off
	s_wait_xcnt 0x0
	s_or_b32 exec_lo, exec_lo, s0
	s_and_saveexec_b32 s0, s7
	s_delay_alu instid0(SALU_CYCLE_1)
	s_xor_b32 s0, exec_lo, s0
	s_cbranch_execz .LBB191_1095
	s_branch .LBB191_1058
.LBB191_986:
	s_mov_b32 s5, -1
	s_mov_b32 s0, s16
	s_branch .LBB191_1055
.LBB191_987:
	s_mov_b32 s5, 0
.LBB191_988:
	s_delay_alu instid0(SALU_CYCLE_1)
	s_and_b32 vcc_lo, exec_lo, s5
	s_cbranch_vccz .LBB191_993
; %bb.989:
	s_cmp_eq_u32 s4, 44
	s_mov_b32 s0, -1
	s_cbranch_scc0 .LBB191_993
; %bb.990:
	v_cndmask_b32_e64 v4, 0, 1.0, s2
	s_mov_b32 s5, exec_lo
	s_wait_xcnt 0x0
	s_delay_alu instid0(VALU_DEP_1) | instskip(NEXT) | instid1(VALU_DEP_1)
	v_dual_mov_b32 v3, 0xff :: v_dual_lshrrev_b32 v2, 23, v4
	v_cmpx_ne_u32_e32 0xff, v2
; %bb.991:
	v_and_b32_e32 v3, 0x400000, v4
	v_and_or_b32 v4, 0x3fffff, v4, v2
	s_delay_alu instid0(VALU_DEP_2) | instskip(NEXT) | instid1(VALU_DEP_2)
	v_cmp_ne_u32_e32 vcc_lo, 0, v3
	v_cmp_ne_u32_e64 s0, 0, v4
	s_and_b32 s0, vcc_lo, s0
	s_delay_alu instid0(SALU_CYCLE_1) | instskip(NEXT) | instid1(VALU_DEP_1)
	v_cndmask_b32_e64 v3, 0, 1, s0
	v_add_nc_u32_e32 v3, v2, v3
; %bb.992:
	s_or_b32 exec_lo, exec_lo, s5
	s_mov_b32 s0, 0
	global_store_b8 v[0:1], v3, off
.LBB191_993:
	s_mov_b32 s5, 0
.LBB191_994:
	s_delay_alu instid0(SALU_CYCLE_1)
	s_and_b32 vcc_lo, exec_lo, s5
	s_cbranch_vccz .LBB191_997
; %bb.995:
	s_cmp_eq_u32 s4, 29
	s_mov_b32 s0, -1
	s_cbranch_scc0 .LBB191_997
; %bb.996:
	s_mov_b32 s0, 0
	s_wait_xcnt 0x0
	v_cndmask_b32_e64 v2, 0, 1, s2
	v_mov_b32_e32 v3, s0
	s_mov_b32 s5, 0
	global_store_b64 v[0:1], v[2:3], off
	s_branch .LBB191_998
.LBB191_997:
	s_mov_b32 s5, 0
.LBB191_998:
	s_delay_alu instid0(SALU_CYCLE_1)
	s_and_b32 vcc_lo, exec_lo, s5
	s_cbranch_vccz .LBB191_1013
; %bb.999:
	s_cmp_lt_i32 s4, 27
	s_mov_b32 s5, -1
	s_cbranch_scc1 .LBB191_1005
; %bb.1000:
	s_cmp_gt_i32 s4, 27
	s_cbranch_scc0 .LBB191_1002
; %bb.1001:
	s_wait_xcnt 0x0
	v_cndmask_b32_e64 v2, 0, 1, s2
	s_mov_b32 s5, 0
	global_store_b32 v[0:1], v2, off
.LBB191_1002:
	s_and_not1_b32 vcc_lo, exec_lo, s5
	s_cbranch_vccnz .LBB191_1004
; %bb.1003:
	s_wait_xcnt 0x0
	v_cndmask_b32_e64 v2, 0, 1, s2
	global_store_b16 v[0:1], v2, off
.LBB191_1004:
	s_mov_b32 s5, 0
.LBB191_1005:
	s_delay_alu instid0(SALU_CYCLE_1)
	s_and_not1_b32 vcc_lo, exec_lo, s5
	s_cbranch_vccnz .LBB191_1013
; %bb.1006:
	s_wait_xcnt 0x0
	v_cndmask_b32_e64 v3, 0, 1.0, s2
	v_mov_b32_e32 v4, 0x80
	s_mov_b32 s5, exec_lo
	s_delay_alu instid0(VALU_DEP_2)
	v_cmpx_gt_u32_e32 0x43800000, v3
	s_cbranch_execz .LBB191_1012
; %bb.1007:
	s_mov_b32 s8, exec_lo
                                        ; implicit-def: $vgpr2
	v_cmpx_lt_u32_e32 0x3bffffff, v3
	s_xor_b32 s8, exec_lo, s8
	s_cbranch_execz .LBB191_1170
; %bb.1008:
	v_bfe_u32 v2, v3, 20, 1
	s_mov_b32 s7, exec_lo
	s_delay_alu instid0(VALU_DEP_1) | instskip(NEXT) | instid1(VALU_DEP_1)
	v_add3_u32 v2, v3, v2, 0x487ffff
                                        ; implicit-def: $vgpr3
	v_lshrrev_b32_e32 v2, 20, v2
	s_and_not1_saveexec_b32 s8, s8
	s_cbranch_execnz .LBB191_1171
.LBB191_1009:
	s_or_b32 exec_lo, exec_lo, s8
	v_mov_b32_e32 v4, 0
	s_and_saveexec_b32 s8, s7
.LBB191_1010:
	v_mov_b32_e32 v4, v2
.LBB191_1011:
	s_or_b32 exec_lo, exec_lo, s8
.LBB191_1012:
	s_delay_alu instid0(SALU_CYCLE_1)
	s_or_b32 exec_lo, exec_lo, s5
	global_store_b8 v[0:1], v4, off
.LBB191_1013:
	s_mov_b32 s5, 0
.LBB191_1014:
	s_delay_alu instid0(SALU_CYCLE_1)
	s_and_b32 vcc_lo, exec_lo, s5
	s_mov_b32 s5, 0
	s_cbranch_vccz .LBB191_1054
; %bb.1015:
	s_cmp_gt_i32 s4, 22
	s_mov_b32 s7, -1
	s_cbranch_scc0 .LBB191_1047
; %bb.1016:
	s_cmp_lt_i32 s4, 24
	s_cbranch_scc1 .LBB191_1036
; %bb.1017:
	s_cmp_gt_i32 s4, 24
	s_cbranch_scc0 .LBB191_1025
; %bb.1018:
	s_wait_xcnt 0x0
	v_cndmask_b32_e64 v3, 0, 1.0, s2
	v_mov_b32_e32 v4, 0x80
	s_mov_b32 s7, exec_lo
	s_delay_alu instid0(VALU_DEP_2)
	v_cmpx_gt_u32_e32 0x47800000, v3
	s_cbranch_execz .LBB191_1024
; %bb.1019:
	s_mov_b32 s8, 0
	s_mov_b32 s9, exec_lo
                                        ; implicit-def: $vgpr2
	v_cmpx_lt_u32_e32 0x37ffffff, v3
	s_xor_b32 s9, exec_lo, s9
	s_cbranch_execz .LBB191_1296
; %bb.1020:
	v_bfe_u32 v2, v3, 21, 1
	s_mov_b32 s8, exec_lo
	s_delay_alu instid0(VALU_DEP_1) | instskip(NEXT) | instid1(VALU_DEP_1)
	v_add3_u32 v2, v3, v2, 0x88fffff
                                        ; implicit-def: $vgpr3
	v_lshrrev_b32_e32 v2, 21, v2
	s_and_not1_saveexec_b32 s9, s9
	s_cbranch_execnz .LBB191_1297
.LBB191_1021:
	s_or_b32 exec_lo, exec_lo, s9
	v_mov_b32_e32 v4, 0
	s_and_saveexec_b32 s9, s8
.LBB191_1022:
	v_mov_b32_e32 v4, v2
.LBB191_1023:
	s_or_b32 exec_lo, exec_lo, s9
.LBB191_1024:
	s_delay_alu instid0(SALU_CYCLE_1)
	s_or_b32 exec_lo, exec_lo, s7
	s_mov_b32 s7, 0
	global_store_b8 v[0:1], v4, off
.LBB191_1025:
	s_and_b32 vcc_lo, exec_lo, s7
	s_cbranch_vccz .LBB191_1035
; %bb.1026:
	s_wait_xcnt 0x0
	v_cndmask_b32_e64 v3, 0, 1.0, s2
	s_mov_b32 s7, exec_lo
                                        ; implicit-def: $vgpr2
	s_delay_alu instid0(VALU_DEP_1)
	v_cmpx_gt_u32_e32 0x43f00000, v3
	s_xor_b32 s7, exec_lo, s7
	s_cbranch_execz .LBB191_1032
; %bb.1027:
	s_mov_b32 s8, exec_lo
                                        ; implicit-def: $vgpr2
	v_cmpx_lt_u32_e32 0x3c7fffff, v3
	s_xor_b32 s8, exec_lo, s8
; %bb.1028:
	v_bfe_u32 v2, v3, 20, 1
	s_delay_alu instid0(VALU_DEP_1) | instskip(NEXT) | instid1(VALU_DEP_1)
	v_add3_u32 v2, v3, v2, 0x407ffff
	v_and_b32_e32 v3, 0xff00000, v2
	v_lshrrev_b32_e32 v2, 20, v2
	s_delay_alu instid0(VALU_DEP_2) | instskip(NEXT) | instid1(VALU_DEP_2)
	v_cmp_ne_u32_e32 vcc_lo, 0x7f00000, v3
                                        ; implicit-def: $vgpr3
	v_cndmask_b32_e32 v2, 0x7e, v2, vcc_lo
; %bb.1029:
	s_and_not1_saveexec_b32 s8, s8
; %bb.1030:
	v_add_f32_e32 v2, 0x46800000, v3
; %bb.1031:
	s_or_b32 exec_lo, exec_lo, s8
                                        ; implicit-def: $vgpr3
.LBB191_1032:
	s_and_not1_saveexec_b32 s7, s7
; %bb.1033:
	v_mov_b32_e32 v2, 0x7f
	v_cmp_lt_u32_e32 vcc_lo, 0x7f800000, v3
	s_delay_alu instid0(VALU_DEP_2)
	v_cndmask_b32_e32 v2, 0x7e, v2, vcc_lo
; %bb.1034:
	s_or_b32 exec_lo, exec_lo, s7
	global_store_b8 v[0:1], v2, off
.LBB191_1035:
	s_mov_b32 s7, 0
.LBB191_1036:
	s_delay_alu instid0(SALU_CYCLE_1)
	s_and_not1_b32 vcc_lo, exec_lo, s7
	s_cbranch_vccnz .LBB191_1046
; %bb.1037:
	s_wait_xcnt 0x0
	v_cndmask_b32_e64 v3, 0, 1.0, s2
	s_mov_b32 s7, exec_lo
                                        ; implicit-def: $vgpr2
	s_delay_alu instid0(VALU_DEP_1)
	v_cmpx_gt_u32_e32 0x47800000, v3
	s_xor_b32 s7, exec_lo, s7
	s_cbranch_execz .LBB191_1043
; %bb.1038:
	s_mov_b32 s8, exec_lo
                                        ; implicit-def: $vgpr2
	v_cmpx_lt_u32_e32 0x387fffff, v3
	s_xor_b32 s8, exec_lo, s8
; %bb.1039:
	v_bfe_u32 v2, v3, 21, 1
	s_delay_alu instid0(VALU_DEP_1) | instskip(NEXT) | instid1(VALU_DEP_1)
	v_add3_u32 v2, v3, v2, 0x80fffff
                                        ; implicit-def: $vgpr3
	v_lshrrev_b32_e32 v2, 21, v2
; %bb.1040:
	s_and_not1_saveexec_b32 s8, s8
; %bb.1041:
	v_add_f32_e32 v2, 0x43000000, v3
; %bb.1042:
	s_or_b32 exec_lo, exec_lo, s8
                                        ; implicit-def: $vgpr3
.LBB191_1043:
	s_and_not1_saveexec_b32 s7, s7
; %bb.1044:
	v_mov_b32_e32 v2, 0x7f
	v_cmp_lt_u32_e32 vcc_lo, 0x7f800000, v3
	s_delay_alu instid0(VALU_DEP_2)
	v_cndmask_b32_e32 v2, 0x7c, v2, vcc_lo
; %bb.1045:
	s_or_b32 exec_lo, exec_lo, s7
	global_store_b8 v[0:1], v2, off
.LBB191_1046:
	s_mov_b32 s7, 0
.LBB191_1047:
	s_delay_alu instid0(SALU_CYCLE_1)
	s_and_not1_b32 vcc_lo, exec_lo, s7
	s_mov_b32 s8, 0
	s_cbranch_vccnz .LBB191_1055
; %bb.1048:
	s_cmp_gt_i32 s4, 14
	s_mov_b32 s7, -1
	s_cbranch_scc0 .LBB191_1052
; %bb.1049:
	s_cmp_eq_u32 s4, 15
	s_mov_b32 s0, -1
	s_cbranch_scc0 .LBB191_1051
; %bb.1050:
	s_wait_xcnt 0x0
	v_cndmask_b32_e64 v2, 0, 1.0, s2
	s_mov_b32 s0, 0
	s_delay_alu instid0(VALU_DEP_1) | instskip(NEXT) | instid1(VALU_DEP_1)
	v_bfe_u32 v3, v2, 16, 1
	v_add3_u32 v2, v2, v3, 0x7fff
	global_store_d16_hi_b16 v[0:1], v2, off
.LBB191_1051:
	s_mov_b32 s7, 0
.LBB191_1052:
	s_delay_alu instid0(SALU_CYCLE_1)
	s_and_b32 vcc_lo, exec_lo, s7
	s_cbranch_vccz .LBB191_1055
; %bb.1053:
	s_cmp_lg_u32 s4, 11
	s_mov_b32 s8, -1
	s_cselect_b32 s4, -1, 0
	s_and_not1_b32 s0, s0, exec_lo
	s_and_b32 s4, s4, exec_lo
	s_delay_alu instid0(SALU_CYCLE_1)
	s_or_b32 s0, s0, s4
	s_branch .LBB191_1055
.LBB191_1054:
	s_mov_b32 s8, 0
.LBB191_1055:
	s_and_not1_b32 s4, s16, exec_lo
	s_and_b32 s0, s0, exec_lo
	s_and_b32 s7, s5, exec_lo
	;; [unrolled: 1-line block ×3, first 2 shown]
	s_or_b32 s16, s4, s0
	s_wait_xcnt 0x0
	s_or_b32 exec_lo, exec_lo, s6
	s_and_saveexec_b32 s0, s16
	s_cbranch_execz .LBB191_984
.LBB191_1056:
	s_or_b32 s1, s1, exec_lo
	s_and_not1_b32 s8, s8, exec_lo
	s_trap 2
	s_or_b32 exec_lo, exec_lo, s0
	s_and_saveexec_b32 s0, s8
	s_delay_alu instid0(SALU_CYCLE_1)
	s_xor_b32 s0, exec_lo, s0
	s_cbranch_execnz .LBB191_985
.LBB191_1057:
	s_or_b32 exec_lo, exec_lo, s0
	s_and_saveexec_b32 s0, s7
	s_delay_alu instid0(SALU_CYCLE_1)
	s_xor_b32 s0, exec_lo, s0
	s_cbranch_execz .LBB191_1095
.LBB191_1058:
	s_sext_i32_i16 s5, s3
	s_mov_b32 s4, -1
	s_cmp_lt_i32 s5, 5
	s_cbranch_scc1 .LBB191_1079
; %bb.1059:
	s_cmp_lt_i32 s5, 8
	s_cbranch_scc1 .LBB191_1069
; %bb.1060:
	;; [unrolled: 3-line block ×3, first 2 shown]
	s_cmp_gt_i32 s5, 9
	s_cbranch_scc0 .LBB191_1063
; %bb.1062:
	v_cndmask_b32_e64 v2, 0, 1, s2
	v_mov_b32_e32 v4, 0
	s_mov_b32 s4, 0
	s_wait_loadcnt 0x0
	s_delay_alu instid0(VALU_DEP_2) | instskip(NEXT) | instid1(VALU_DEP_2)
	v_cvt_f64_u32_e32 v[2:3], v2
	v_mov_b32_e32 v5, v4
	global_store_b128 v[0:1], v[2:5], off
.LBB191_1063:
	s_and_not1_b32 vcc_lo, exec_lo, s4
	s_cbranch_vccnz .LBB191_1065
; %bb.1064:
	s_wait_xcnt 0x0
	v_cndmask_b32_e64 v2, 0, 1.0, s2
	s_wait_loadcnt 0x0
	v_mov_b32_e32 v3, 0
	global_store_b64 v[0:1], v[2:3], off
.LBB191_1065:
	s_mov_b32 s4, 0
.LBB191_1066:
	s_delay_alu instid0(SALU_CYCLE_1)
	s_and_not1_b32 vcc_lo, exec_lo, s4
	s_cbranch_vccnz .LBB191_1068
; %bb.1067:
	s_wait_xcnt 0x0
	v_cndmask_b32_e64 v2, 0, 1.0, s2
	s_delay_alu instid0(VALU_DEP_1) | instskip(NEXT) | instid1(VALU_DEP_1)
	v_cvt_f16_f32_e32 v2, v2
	v_and_b32_e32 v2, 0xffff, v2
	s_wait_loadcnt 0x0
	global_store_b32 v[0:1], v2, off
.LBB191_1068:
	s_mov_b32 s4, 0
.LBB191_1069:
	s_delay_alu instid0(SALU_CYCLE_1)
	s_and_not1_b32 vcc_lo, exec_lo, s4
	s_cbranch_vccnz .LBB191_1078
; %bb.1070:
	s_sext_i32_i16 s5, s3
	s_mov_b32 s4, -1
	s_cmp_lt_i32 s5, 6
	s_cbranch_scc1 .LBB191_1076
; %bb.1071:
	s_cmp_gt_i32 s5, 6
	s_cbranch_scc0 .LBB191_1073
; %bb.1072:
	s_wait_xcnt 0x0
	v_cndmask_b32_e64 v2, 0, 1, s2
	s_mov_b32 s4, 0
	s_wait_loadcnt 0x0
	s_delay_alu instid0(VALU_DEP_1)
	v_cvt_f64_u32_e32 v[2:3], v2
	global_store_b64 v[0:1], v[2:3], off
.LBB191_1073:
	s_and_not1_b32 vcc_lo, exec_lo, s4
	s_cbranch_vccnz .LBB191_1075
; %bb.1074:
	s_wait_xcnt 0x0
	v_cndmask_b32_e64 v2, 0, 1.0, s2
	s_wait_loadcnt 0x0
	global_store_b32 v[0:1], v2, off
.LBB191_1075:
	s_mov_b32 s4, 0
.LBB191_1076:
	s_delay_alu instid0(SALU_CYCLE_1)
	s_and_not1_b32 vcc_lo, exec_lo, s4
	s_cbranch_vccnz .LBB191_1078
; %bb.1077:
	s_wait_xcnt 0x0
	v_cndmask_b32_e64 v2, 0, 1.0, s2
	s_delay_alu instid0(VALU_DEP_1)
	v_cvt_f16_f32_e32 v2, v2
	s_wait_loadcnt 0x0
	global_store_b16 v[0:1], v2, off
.LBB191_1078:
	s_mov_b32 s4, 0
.LBB191_1079:
	s_delay_alu instid0(SALU_CYCLE_1)
	s_and_not1_b32 vcc_lo, exec_lo, s4
	s_cbranch_vccnz .LBB191_1095
; %bb.1080:
	s_sext_i32_i16 s5, s3
	s_mov_b32 s4, -1
	s_cmp_lt_i32 s5, 2
	s_cbranch_scc1 .LBB191_1090
; %bb.1081:
	s_cmp_lt_i32 s5, 3
	s_cbranch_scc1 .LBB191_1087
; %bb.1082:
	s_cmp_gt_i32 s5, 3
	s_cbranch_scc0 .LBB191_1084
; %bb.1083:
	s_mov_b32 s4, 0
	s_wait_xcnt 0x0
	v_cndmask_b32_e64 v2, 0, 1, s2
	s_wait_loadcnt 0x0
	v_mov_b32_e32 v3, s4
	global_store_b64 v[0:1], v[2:3], off
.LBB191_1084:
	s_and_not1_b32 vcc_lo, exec_lo, s4
	s_cbranch_vccnz .LBB191_1086
; %bb.1085:
	s_wait_xcnt 0x0
	v_cndmask_b32_e64 v2, 0, 1, s2
	s_wait_loadcnt 0x0
	global_store_b32 v[0:1], v2, off
.LBB191_1086:
	s_mov_b32 s4, 0
.LBB191_1087:
	s_delay_alu instid0(SALU_CYCLE_1)
	s_and_not1_b32 vcc_lo, exec_lo, s4
	s_cbranch_vccnz .LBB191_1089
; %bb.1088:
	s_wait_xcnt 0x0
	v_cndmask_b32_e64 v2, 0, 1, s2
	s_wait_loadcnt 0x0
	global_store_b16 v[0:1], v2, off
.LBB191_1089:
	s_mov_b32 s4, 0
.LBB191_1090:
	s_delay_alu instid0(SALU_CYCLE_1)
	s_and_not1_b32 vcc_lo, exec_lo, s4
	s_cbranch_vccnz .LBB191_1095
; %bb.1091:
	s_sext_i32_i16 s3, s3
	s_delay_alu instid0(SALU_CYCLE_1)
	s_cmp_gt_i32 s3, 0
	s_mov_b32 s3, -1
	s_cbranch_scc0 .LBB191_1093
; %bb.1092:
	s_wait_xcnt 0x0
	v_cndmask_b32_e64 v2, 0, 1, s2
	s_mov_b32 s3, 0
	s_wait_loadcnt 0x0
	global_store_b8 v[0:1], v2, off
.LBB191_1093:
	s_and_not1_b32 vcc_lo, exec_lo, s3
	s_cbranch_vccnz .LBB191_1095
; %bb.1094:
	s_wait_xcnt 0x0
	v_cndmask_b32_e64 v2, 0, 1, s2
	s_wait_loadcnt 0x0
	global_store_b8 v[0:1], v2, off
.LBB191_1095:
	s_wait_xcnt 0x0
	s_or_b32 exec_lo, exec_lo, s0
	s_delay_alu instid0(SALU_CYCLE_1)
	s_and_b32 s11, s1, exec_lo
                                        ; implicit-def: $vgpr9
                                        ; implicit-def: $vgpr0
.LBB191_1096:
	s_or_saveexec_b32 s12, s38
	s_mov_b32 s0, 0
                                        ; implicit-def: $sgpr1
                                        ; implicit-def: $vgpr2_vgpr3
                                        ; implicit-def: $sgpr6
	s_xor_b32 exec_lo, exec_lo, s12
	s_cbranch_execz .LBB191_2107
; %bb.1097:
	s_wait_loadcnt 0x0
	v_cndmask_b32_e64 v1, 0, 1, s37
	s_and_not1_b32 vcc_lo, exec_lo, s37
	s_cbranch_vccnz .LBB191_1103
; %bb.1098:
	s_cmp_lg_u32 s19, 0
	s_mov_b32 s6, 0
	s_cbranch_scc0 .LBB191_1104
; %bb.1099:
	s_min_u32 s1, s33, 15
	s_delay_alu instid0(SALU_CYCLE_1)
	s_add_co_i32 s1, s1, 1
	s_cmp_eq_u32 s33, 2
	s_cbranch_scc1 .LBB191_1105
; %bb.1100:
	v_dual_mov_b32 v6, 0 :: v_dual_mov_b32 v14, 0
	v_mov_b32_e32 v2, v0
	s_and_b32 s0, s1, 28
	s_add_nc_u64 s[2:3], s[20:21], 0xc4
	s_mov_b32 s7, 0
	s_mov_b64 s[4:5], s[20:21]
.LBB191_1101:                           ; =>This Inner Loop Header: Depth=1
	s_clause 0x1
	s_load_b256 s[24:31], s[4:5], 0x4
	s_load_b128 s[44:47], s[4:5], 0x24
	s_load_b256 s[36:43], s[2:3], 0x0
	s_add_co_i32 s7, s7, 4
	s_wait_xcnt 0x0
	s_add_nc_u64 s[4:5], s[4:5], 48
	s_cmp_lg_u32 s0, s7
	s_add_nc_u64 s[2:3], s[2:3], 32
	s_wait_kmcnt 0x0
	v_mul_hi_u32 v3, s25, v2
	s_delay_alu instid0(VALU_DEP_1) | instskip(NEXT) | instid1(VALU_DEP_1)
	v_add_nc_u32_e32 v3, v2, v3
	v_lshrrev_b32_e32 v3, s26, v3
	s_delay_alu instid0(VALU_DEP_1) | instskip(NEXT) | instid1(VALU_DEP_1)
	v_mul_hi_u32 v4, s28, v3
	v_add_nc_u32_e32 v4, v3, v4
	s_delay_alu instid0(VALU_DEP_1) | instskip(NEXT) | instid1(VALU_DEP_1)
	v_lshrrev_b32_e32 v4, s29, v4
	v_mul_hi_u32 v5, s31, v4
	s_delay_alu instid0(VALU_DEP_1) | instskip(SKIP_1) | instid1(VALU_DEP_1)
	v_add_nc_u32_e32 v5, v4, v5
	v_mul_lo_u32 v7, v3, s24
	v_sub_nc_u32_e32 v2, v2, v7
	v_mul_lo_u32 v7, v4, s27
	s_delay_alu instid0(VALU_DEP_4) | instskip(NEXT) | instid1(VALU_DEP_3)
	v_lshrrev_b32_e32 v5, s44, v5
	v_mad_u32 v10, v2, s37, v14
	v_mad_u32 v2, v2, s36, v6
	s_delay_alu instid0(VALU_DEP_4) | instskip(NEXT) | instid1(VALU_DEP_4)
	v_sub_nc_u32_e32 v3, v3, v7
	v_mul_hi_u32 v8, s46, v5
	v_mul_lo_u32 v6, v5, s30
	s_delay_alu instid0(VALU_DEP_1) | instskip(NEXT) | instid1(VALU_DEP_4)
	v_dual_add_nc_u32 v7, v5, v8 :: v_dual_sub_nc_u32 v4, v4, v6
	v_mad_u32 v8, v3, s39, v10
	v_mad_u32 v3, v3, s38, v2
	s_delay_alu instid0(VALU_DEP_3) | instskip(NEXT) | instid1(VALU_DEP_1)
	v_lshrrev_b32_e32 v2, s47, v7
	v_mul_lo_u32 v6, v2, s45
	s_delay_alu instid0(VALU_DEP_4) | instskip(NEXT) | instid1(VALU_DEP_4)
	v_mad_u32 v7, v4, s41, v8
	v_mad_u32 v3, v4, s40, v3
	s_delay_alu instid0(VALU_DEP_3) | instskip(NEXT) | instid1(VALU_DEP_1)
	v_sub_nc_u32_e32 v4, v5, v6
	v_mad_u32 v14, v4, s43, v7
	s_delay_alu instid0(VALU_DEP_3)
	v_mad_u32 v6, v4, s42, v3
	s_cbranch_scc1 .LBB191_1101
; %bb.1102:
	s_delay_alu instid0(VALU_DEP_2)
	v_mov_b32_e32 v7, v14
	s_and_b32 s4, s1, 3
	s_mov_b32 s1, 0
	s_cmp_eq_u32 s4, 0
	s_cbranch_scc0 .LBB191_1106
	s_branch .LBB191_1109
.LBB191_1103:
	s_mov_b32 s6, -1
                                        ; implicit-def: $vgpr14
                                        ; implicit-def: $vgpr6
	s_branch .LBB191_1109
.LBB191_1104:
	v_dual_mov_b32 v14, 0 :: v_dual_mov_b32 v6, 0
	s_branch .LBB191_1109
.LBB191_1105:
	v_mov_b64_e32 v[6:7], 0
	v_mov_b32_e32 v2, v0
                                        ; implicit-def: $vgpr14
	s_and_b32 s4, s1, 3
	s_mov_b32 s1, 0
	s_cmp_eq_u32 s4, 0
	s_cbranch_scc1 .LBB191_1109
.LBB191_1106:
	s_lshl_b32 s2, s0, 3
	s_mov_b32 s3, s1
	s_mul_u64 s[8:9], s[0:1], 12
	s_add_nc_u64 s[2:3], s[20:21], s[2:3]
	s_delay_alu instid0(SALU_CYCLE_1)
	s_add_nc_u64 s[0:1], s[2:3], 0xc4
	s_add_nc_u64 s[2:3], s[20:21], s[8:9]
.LBB191_1107:                           ; =>This Inner Loop Header: Depth=1
	s_load_b96 s[8:10], s[2:3], 0x4
	s_load_b64 s[14:15], s[0:1], 0x0
	s_add_co_i32 s4, s4, -1
	s_wait_xcnt 0x0
	s_add_nc_u64 s[2:3], s[2:3], 12
	s_cmp_lg_u32 s4, 0
	s_add_nc_u64 s[0:1], s[0:1], 8
	s_wait_kmcnt 0x0
	v_mul_hi_u32 v3, s9, v2
	s_delay_alu instid0(VALU_DEP_1) | instskip(NEXT) | instid1(VALU_DEP_1)
	v_add_nc_u32_e32 v3, v2, v3
	v_lshrrev_b32_e32 v3, s10, v3
	s_delay_alu instid0(VALU_DEP_1) | instskip(NEXT) | instid1(VALU_DEP_1)
	v_mul_lo_u32 v4, v3, s8
	v_sub_nc_u32_e32 v2, v2, v4
	s_delay_alu instid0(VALU_DEP_1)
	v_mad_u32 v7, v2, s15, v7
	v_mad_u32 v6, v2, s14, v6
	v_mov_b32_e32 v2, v3
	s_cbranch_scc1 .LBB191_1107
; %bb.1108:
	s_delay_alu instid0(VALU_DEP_3)
	v_mov_b32_e32 v14, v7
.LBB191_1109:
	s_and_not1_b32 vcc_lo, exec_lo, s6
	s_cbranch_vccnz .LBB191_1112
; %bb.1110:
	s_clause 0x1
	s_load_b96 s[0:2], s[20:21], 0x4
	s_load_b64 s[4:5], s[20:21], 0xc4
	s_cmp_lt_u32 s19, 2
	s_wait_kmcnt 0x0
	v_mul_hi_u32 v2, s1, v0
	s_delay_alu instid0(VALU_DEP_1) | instskip(NEXT) | instid1(VALU_DEP_1)
	v_add_nc_u32_e32 v2, v0, v2
	v_lshrrev_b32_e32 v2, s2, v2
	s_delay_alu instid0(VALU_DEP_1) | instskip(NEXT) | instid1(VALU_DEP_1)
	v_mul_lo_u32 v3, v2, s0
	v_sub_nc_u32_e32 v3, v0, v3
	s_delay_alu instid0(VALU_DEP_1)
	v_mul_lo_u32 v14, v3, s5
	v_mul_lo_u32 v6, v3, s4
	s_cbranch_scc1 .LBB191_1112
; %bb.1111:
	s_clause 0x1
	s_load_b96 s[0:2], s[20:21], 0x10
	s_load_b64 s[4:5], s[20:21], 0xcc
	s_wait_kmcnt 0x0
	v_mul_hi_u32 v3, s1, v2
	s_delay_alu instid0(VALU_DEP_1) | instskip(NEXT) | instid1(VALU_DEP_1)
	v_add_nc_u32_e32 v3, v2, v3
	v_lshrrev_b32_e32 v3, s2, v3
	s_delay_alu instid0(VALU_DEP_1) | instskip(NEXT) | instid1(VALU_DEP_1)
	v_mul_lo_u32 v3, v3, s0
	v_sub_nc_u32_e32 v2, v2, v3
	s_delay_alu instid0(VALU_DEP_1)
	v_mad_u32 v6, v2, s4, v6
	v_mad_u32 v14, v2, s5, v14
.LBB191_1112:
	v_cmp_ne_u32_e32 vcc_lo, 1, v1
	v_add_nc_u32_e32 v2, 0x80, v0
	s_cbranch_vccnz .LBB191_1118
; %bb.1113:
	s_cmp_lg_u32 s19, 0
	s_mov_b32 s6, 0
	s_cbranch_scc0 .LBB191_1119
; %bb.1114:
	s_min_u32 s1, s33, 15
	s_delay_alu instid0(SALU_CYCLE_1)
	s_add_co_i32 s1, s1, 1
	s_cmp_eq_u32 s33, 2
	s_cbranch_scc1 .LBB191_1120
; %bb.1115:
	v_dual_mov_b32 v4, 0 :: v_dual_mov_b32 v12, 0
	v_mov_b32_e32 v3, v2
	s_and_b32 s0, s1, 28
	s_add_nc_u64 s[2:3], s[20:21], 0xc4
	s_mov_b32 s7, 0
	s_mov_b64 s[4:5], s[20:21]
.LBB191_1116:                           ; =>This Inner Loop Header: Depth=1
	s_clause 0x1
	s_load_b256 s[24:31], s[4:5], 0x4
	s_load_b128 s[44:47], s[4:5], 0x24
	s_load_b256 s[36:43], s[2:3], 0x0
	s_add_co_i32 s7, s7, 4
	s_wait_xcnt 0x0
	s_add_nc_u64 s[4:5], s[4:5], 48
	s_cmp_lg_u32 s0, s7
	s_add_nc_u64 s[2:3], s[2:3], 32
	s_wait_kmcnt 0x0
	v_mul_hi_u32 v5, s25, v3
	s_delay_alu instid0(VALU_DEP_1) | instskip(NEXT) | instid1(VALU_DEP_1)
	v_add_nc_u32_e32 v5, v3, v5
	v_lshrrev_b32_e32 v5, s26, v5
	s_delay_alu instid0(VALU_DEP_1) | instskip(NEXT) | instid1(VALU_DEP_1)
	v_mul_hi_u32 v7, s28, v5
	v_add_nc_u32_e32 v7, v5, v7
	s_delay_alu instid0(VALU_DEP_1) | instskip(NEXT) | instid1(VALU_DEP_1)
	v_lshrrev_b32_e32 v7, s29, v7
	v_mul_hi_u32 v8, s31, v7
	s_delay_alu instid0(VALU_DEP_1) | instskip(SKIP_1) | instid1(VALU_DEP_1)
	v_add_nc_u32_e32 v8, v7, v8
	v_mul_lo_u32 v10, v5, s24
	v_sub_nc_u32_e32 v3, v3, v10
	v_mul_lo_u32 v10, v7, s27
	s_delay_alu instid0(VALU_DEP_4) | instskip(NEXT) | instid1(VALU_DEP_3)
	v_lshrrev_b32_e32 v8, s44, v8
	v_mad_u32 v12, v3, s37, v12
	v_mad_u32 v3, v3, s36, v4
	s_delay_alu instid0(VALU_DEP_4) | instskip(NEXT) | instid1(VALU_DEP_4)
	v_sub_nc_u32_e32 v4, v5, v10
	v_mul_hi_u32 v11, s46, v8
	v_mul_lo_u32 v5, v8, s30
	s_delay_alu instid0(VALU_DEP_1) | instskip(NEXT) | instid1(VALU_DEP_4)
	v_dual_add_nc_u32 v10, v8, v11 :: v_dual_sub_nc_u32 v5, v7, v5
	v_mad_u32 v11, v4, s39, v12
	v_mad_u32 v4, v4, s38, v3
	s_delay_alu instid0(VALU_DEP_3) | instskip(NEXT) | instid1(VALU_DEP_1)
	v_lshrrev_b32_e32 v3, s47, v10
	v_mul_lo_u32 v7, v3, s45
	s_delay_alu instid0(VALU_DEP_4) | instskip(NEXT) | instid1(VALU_DEP_4)
	v_mad_u32 v10, v5, s41, v11
	v_mad_u32 v4, v5, s40, v4
	s_delay_alu instid0(VALU_DEP_3) | instskip(NEXT) | instid1(VALU_DEP_1)
	v_sub_nc_u32_e32 v5, v8, v7
	v_mad_u32 v12, v5, s43, v10
	s_delay_alu instid0(VALU_DEP_3)
	v_mad_u32 v4, v5, s42, v4
	s_cbranch_scc1 .LBB191_1116
; %bb.1117:
	s_delay_alu instid0(VALU_DEP_2)
	v_mov_b32_e32 v5, v12
	s_and_b32 s4, s1, 3
	s_mov_b32 s1, 0
	s_cmp_eq_u32 s4, 0
	s_cbranch_scc0 .LBB191_1121
	s_branch .LBB191_1124
.LBB191_1118:
	s_mov_b32 s6, -1
                                        ; implicit-def: $vgpr12
                                        ; implicit-def: $vgpr4
	s_branch .LBB191_1124
.LBB191_1119:
	v_dual_mov_b32 v12, 0 :: v_dual_mov_b32 v4, 0
	s_branch .LBB191_1124
.LBB191_1120:
	v_mov_b64_e32 v[4:5], 0
	v_mov_b32_e32 v3, v2
	s_mov_b32 s0, 0
                                        ; implicit-def: $vgpr12
	s_and_b32 s4, s1, 3
	s_mov_b32 s1, 0
	s_cmp_eq_u32 s4, 0
	s_cbranch_scc1 .LBB191_1124
.LBB191_1121:
	s_lshl_b32 s2, s0, 3
	s_mov_b32 s3, s1
	s_mul_u64 s[8:9], s[0:1], 12
	s_add_nc_u64 s[2:3], s[20:21], s[2:3]
	s_delay_alu instid0(SALU_CYCLE_1)
	s_add_nc_u64 s[0:1], s[2:3], 0xc4
	s_add_nc_u64 s[2:3], s[20:21], s[8:9]
.LBB191_1122:                           ; =>This Inner Loop Header: Depth=1
	s_load_b96 s[8:10], s[2:3], 0x4
	s_load_b64 s[14:15], s[0:1], 0x0
	s_add_co_i32 s4, s4, -1
	s_wait_xcnt 0x0
	s_add_nc_u64 s[2:3], s[2:3], 12
	s_cmp_lg_u32 s4, 0
	s_add_nc_u64 s[0:1], s[0:1], 8
	s_wait_kmcnt 0x0
	v_mul_hi_u32 v7, s9, v3
	s_delay_alu instid0(VALU_DEP_1) | instskip(NEXT) | instid1(VALU_DEP_1)
	v_add_nc_u32_e32 v7, v3, v7
	v_lshrrev_b32_e32 v7, s10, v7
	s_delay_alu instid0(VALU_DEP_1) | instskip(NEXT) | instid1(VALU_DEP_1)
	v_mul_lo_u32 v8, v7, s8
	v_sub_nc_u32_e32 v3, v3, v8
	s_delay_alu instid0(VALU_DEP_1)
	v_mad_u32 v5, v3, s15, v5
	v_mad_u32 v4, v3, s14, v4
	v_mov_b32_e32 v3, v7
	s_cbranch_scc1 .LBB191_1122
; %bb.1123:
	s_delay_alu instid0(VALU_DEP_3)
	v_mov_b32_e32 v12, v5
.LBB191_1124:
	s_and_not1_b32 vcc_lo, exec_lo, s6
	s_cbranch_vccnz .LBB191_1127
; %bb.1125:
	s_clause 0x1
	s_load_b96 s[0:2], s[20:21], 0x4
	s_load_b64 s[4:5], s[20:21], 0xc4
	s_cmp_lt_u32 s19, 2
	s_wait_kmcnt 0x0
	v_mul_hi_u32 v3, s1, v2
	s_delay_alu instid0(VALU_DEP_1) | instskip(NEXT) | instid1(VALU_DEP_1)
	v_add_nc_u32_e32 v3, v2, v3
	v_lshrrev_b32_e32 v3, s2, v3
	s_delay_alu instid0(VALU_DEP_1) | instskip(NEXT) | instid1(VALU_DEP_1)
	v_mul_lo_u32 v4, v3, s0
	v_sub_nc_u32_e32 v2, v2, v4
	s_delay_alu instid0(VALU_DEP_1)
	v_mul_lo_u32 v12, v2, s5
	v_mul_lo_u32 v4, v2, s4
	s_cbranch_scc1 .LBB191_1127
; %bb.1126:
	s_clause 0x1
	s_load_b96 s[0:2], s[20:21], 0x10
	s_load_b64 s[4:5], s[20:21], 0xcc
	s_wait_kmcnt 0x0
	v_mul_hi_u32 v2, s1, v3
	s_delay_alu instid0(VALU_DEP_1) | instskip(NEXT) | instid1(VALU_DEP_1)
	v_add_nc_u32_e32 v2, v3, v2
	v_lshrrev_b32_e32 v2, s2, v2
	s_delay_alu instid0(VALU_DEP_1) | instskip(NEXT) | instid1(VALU_DEP_1)
	v_mul_lo_u32 v2, v2, s0
	v_sub_nc_u32_e32 v2, v3, v2
	s_delay_alu instid0(VALU_DEP_1)
	v_mad_u32 v4, v2, s4, v4
	v_mad_u32 v12, v2, s5, v12
.LBB191_1127:
	v_cmp_ne_u32_e32 vcc_lo, 1, v1
	v_add_nc_u32_e32 v0, 0x100, v0
	s_cbranch_vccnz .LBB191_1133
; %bb.1128:
	s_cmp_lg_u32 s19, 0
	s_mov_b32 s6, 0
	s_cbranch_scc0 .LBB191_1134
; %bb.1129:
	s_min_u32 s1, s33, 15
	s_delay_alu instid0(SALU_CYCLE_1)
	s_add_co_i32 s1, s1, 1
	s_cmp_eq_u32 s33, 2
	s_cbranch_scc1 .LBB191_1135
; %bb.1130:
	v_dual_mov_b32 v2, 0 :: v_dual_mov_b32 v10, 0
	v_mov_b32_e32 v5, v0
	s_and_b32 s0, s1, 28
	s_add_nc_u64 s[2:3], s[20:21], 0xc4
	s_mov_b32 s7, 0
	s_mov_b64 s[4:5], s[20:21]
.LBB191_1131:                           ; =>This Inner Loop Header: Depth=1
	s_clause 0x1
	s_load_b256 s[24:31], s[4:5], 0x4
	s_load_b128 s[44:47], s[4:5], 0x24
	s_load_b256 s[36:43], s[2:3], 0x0
	s_add_co_i32 s7, s7, 4
	s_wait_xcnt 0x0
	s_add_nc_u64 s[4:5], s[4:5], 48
	s_cmp_lg_u32 s0, s7
	s_add_nc_u64 s[2:3], s[2:3], 32
	s_wait_kmcnt 0x0
	v_mul_hi_u32 v3, s25, v5
	s_delay_alu instid0(VALU_DEP_1) | instskip(NEXT) | instid1(VALU_DEP_1)
	v_add_nc_u32_e32 v3, v5, v3
	v_lshrrev_b32_e32 v3, s26, v3
	s_delay_alu instid0(VALU_DEP_1) | instskip(NEXT) | instid1(VALU_DEP_1)
	v_mul_hi_u32 v7, s28, v3
	v_add_nc_u32_e32 v7, v3, v7
	s_delay_alu instid0(VALU_DEP_1) | instskip(NEXT) | instid1(VALU_DEP_1)
	v_lshrrev_b32_e32 v7, s29, v7
	v_mul_hi_u32 v8, s31, v7
	s_delay_alu instid0(VALU_DEP_1) | instskip(NEXT) | instid1(VALU_DEP_1)
	v_add_nc_u32_e32 v8, v7, v8
	v_lshrrev_b32_e32 v8, s44, v8
	v_mul_lo_u32 v11, v3, s24
	s_delay_alu instid0(VALU_DEP_2) | instskip(NEXT) | instid1(VALU_DEP_2)
	v_mul_hi_u32 v13, s46, v8
	v_sub_nc_u32_e32 v5, v5, v11
	s_delay_alu instid0(VALU_DEP_1) | instskip(SKIP_1) | instid1(VALU_DEP_4)
	v_mad_u32 v10, v5, s37, v10
	v_mad_u32 v2, v5, s36, v2
	v_add_nc_u32_e32 v5, v8, v13
	s_delay_alu instid0(VALU_DEP_1) | instskip(SKIP_1) | instid1(VALU_DEP_1)
	v_lshrrev_b32_e32 v5, s47, v5
	v_mul_lo_u32 v11, v7, s27
	v_sub_nc_u32_e32 v3, v3, v11
	v_mul_lo_u32 v11, v8, s30
	s_delay_alu instid0(VALU_DEP_2) | instskip(SKIP_1) | instid1(VALU_DEP_3)
	v_mad_u32 v10, v3, s39, v10
	v_mad_u32 v2, v3, s38, v2
	v_sub_nc_u32_e32 v3, v7, v11
	v_mul_lo_u32 v7, v5, s45
	s_delay_alu instid0(VALU_DEP_2) | instskip(NEXT) | instid1(VALU_DEP_4)
	v_mad_u32 v10, v3, s41, v10
	v_mad_u32 v2, v3, s40, v2
	s_delay_alu instid0(VALU_DEP_3) | instskip(NEXT) | instid1(VALU_DEP_1)
	v_sub_nc_u32_e32 v3, v8, v7
	v_mad_u32 v10, v3, s43, v10
	s_delay_alu instid0(VALU_DEP_3)
	v_mad_u32 v2, v3, s42, v2
	s_cbranch_scc1 .LBB191_1131
; %bb.1132:
	s_delay_alu instid0(VALU_DEP_2)
	v_mov_b32_e32 v3, v10
	s_and_b32 s4, s1, 3
	s_mov_b32 s1, 0
	s_cmp_eq_u32 s4, 0
	s_cbranch_scc0 .LBB191_1136
	s_branch .LBB191_1139
.LBB191_1133:
	s_mov_b32 s6, -1
                                        ; implicit-def: $vgpr10
                                        ; implicit-def: $vgpr2
	s_branch .LBB191_1139
.LBB191_1134:
	v_dual_mov_b32 v10, 0 :: v_dual_mov_b32 v2, 0
	s_branch .LBB191_1139
.LBB191_1135:
	v_mov_b64_e32 v[2:3], 0
	v_mov_b32_e32 v5, v0
	s_mov_b32 s0, 0
                                        ; implicit-def: $vgpr10
	s_and_b32 s4, s1, 3
	s_mov_b32 s1, 0
	s_cmp_eq_u32 s4, 0
	s_cbranch_scc1 .LBB191_1139
.LBB191_1136:
	s_lshl_b32 s2, s0, 3
	s_mov_b32 s3, s1
	s_mul_u64 s[8:9], s[0:1], 12
	s_add_nc_u64 s[2:3], s[20:21], s[2:3]
	s_delay_alu instid0(SALU_CYCLE_1)
	s_add_nc_u64 s[0:1], s[2:3], 0xc4
	s_add_nc_u64 s[2:3], s[20:21], s[8:9]
.LBB191_1137:                           ; =>This Inner Loop Header: Depth=1
	s_load_b96 s[8:10], s[2:3], 0x4
	s_load_b64 s[14:15], s[0:1], 0x0
	s_add_co_i32 s4, s4, -1
	s_wait_xcnt 0x0
	s_add_nc_u64 s[2:3], s[2:3], 12
	s_cmp_lg_u32 s4, 0
	s_add_nc_u64 s[0:1], s[0:1], 8
	s_wait_kmcnt 0x0
	v_mul_hi_u32 v7, s9, v5
	s_delay_alu instid0(VALU_DEP_1) | instskip(NEXT) | instid1(VALU_DEP_1)
	v_add_nc_u32_e32 v7, v5, v7
	v_lshrrev_b32_e32 v7, s10, v7
	s_delay_alu instid0(VALU_DEP_1) | instskip(NEXT) | instid1(VALU_DEP_1)
	v_mul_lo_u32 v8, v7, s8
	v_sub_nc_u32_e32 v5, v5, v8
	s_delay_alu instid0(VALU_DEP_1)
	v_mad_u32 v3, v5, s15, v3
	v_mad_u32 v2, v5, s14, v2
	v_mov_b32_e32 v5, v7
	s_cbranch_scc1 .LBB191_1137
; %bb.1138:
	s_delay_alu instid0(VALU_DEP_3)
	v_mov_b32_e32 v10, v3
.LBB191_1139:
	s_and_not1_b32 vcc_lo, exec_lo, s6
	s_cbranch_vccnz .LBB191_1142
; %bb.1140:
	s_clause 0x1
	s_load_b96 s[0:2], s[20:21], 0x4
	s_load_b64 s[4:5], s[20:21], 0xc4
	s_cmp_lt_u32 s19, 2
	s_wait_kmcnt 0x0
	v_mul_hi_u32 v2, s1, v0
	s_delay_alu instid0(VALU_DEP_1) | instskip(NEXT) | instid1(VALU_DEP_1)
	v_add_nc_u32_e32 v2, v0, v2
	v_lshrrev_b32_e32 v3, s2, v2
	s_delay_alu instid0(VALU_DEP_1) | instskip(NEXT) | instid1(VALU_DEP_1)
	v_mul_lo_u32 v2, v3, s0
	v_sub_nc_u32_e32 v0, v0, v2
	s_delay_alu instid0(VALU_DEP_1)
	v_mul_lo_u32 v10, v0, s5
	v_mul_lo_u32 v2, v0, s4
	s_cbranch_scc1 .LBB191_1142
; %bb.1141:
	s_clause 0x1
	s_load_b96 s[0:2], s[20:21], 0x10
	s_load_b64 s[4:5], s[20:21], 0xcc
	s_wait_kmcnt 0x0
	v_mul_hi_u32 v0, s1, v3
	s_delay_alu instid0(VALU_DEP_1) | instskip(NEXT) | instid1(VALU_DEP_1)
	v_add_nc_u32_e32 v0, v3, v0
	v_lshrrev_b32_e32 v0, s2, v0
	s_delay_alu instid0(VALU_DEP_1) | instskip(NEXT) | instid1(VALU_DEP_1)
	v_mul_lo_u32 v0, v0, s0
	v_sub_nc_u32_e32 v0, v3, v0
	s_delay_alu instid0(VALU_DEP_1)
	v_mad_u32 v2, v0, s4, v2
	v_mad_u32 v10, v0, s5, v10
.LBB191_1142:
	v_cmp_ne_u32_e32 vcc_lo, 1, v1
	s_cbranch_vccnz .LBB191_1148
; %bb.1143:
	s_cmp_lg_u32 s19, 0
	s_mov_b32 s6, 0
	s_cbranch_scc0 .LBB191_1149
; %bb.1144:
	s_min_u32 s1, s33, 15
	s_delay_alu instid0(SALU_CYCLE_1)
	s_add_co_i32 s1, s1, 1
	s_cmp_eq_u32 s33, 2
	s_cbranch_scc1 .LBB191_1150
; %bb.1145:
	v_dual_mov_b32 v0, 0 :: v_dual_mov_b32 v8, 0
	v_mov_b32_e32 v3, v9
	s_and_b32 s0, s1, 28
	s_add_nc_u64 s[2:3], s[20:21], 0xc4
	s_mov_b32 s7, 0
	s_mov_b64 s[4:5], s[20:21]
.LBB191_1146:                           ; =>This Inner Loop Header: Depth=1
	s_clause 0x1
	s_load_b256 s[24:31], s[4:5], 0x4
	s_load_b128 s[44:47], s[4:5], 0x24
	s_load_b256 s[36:43], s[2:3], 0x0
	s_add_co_i32 s7, s7, 4
	s_wait_xcnt 0x0
	s_add_nc_u64 s[4:5], s[4:5], 48
	s_cmp_lg_u32 s0, s7
	s_add_nc_u64 s[2:3], s[2:3], 32
	s_wait_kmcnt 0x0
	v_mul_hi_u32 v1, s25, v3
	s_delay_alu instid0(VALU_DEP_1) | instskip(NEXT) | instid1(VALU_DEP_1)
	v_add_nc_u32_e32 v1, v3, v1
	v_lshrrev_b32_e32 v1, s26, v1
	s_delay_alu instid0(VALU_DEP_1) | instskip(NEXT) | instid1(VALU_DEP_1)
	v_mul_lo_u32 v11, v1, s24
	v_sub_nc_u32_e32 v3, v3, v11
	v_mul_hi_u32 v5, s28, v1
	s_delay_alu instid0(VALU_DEP_2) | instskip(SKIP_1) | instid1(VALU_DEP_3)
	v_mad_u32 v8, v3, s37, v8
	v_mad_u32 v0, v3, s36, v0
	v_add_nc_u32_e32 v5, v1, v5
	s_delay_alu instid0(VALU_DEP_1) | instskip(NEXT) | instid1(VALU_DEP_1)
	v_lshrrev_b32_e32 v5, s29, v5
	v_mul_lo_u32 v11, v5, s27
	s_delay_alu instid0(VALU_DEP_1) | instskip(SKIP_1) | instid1(VALU_DEP_2)
	v_sub_nc_u32_e32 v1, v1, v11
	v_mul_hi_u32 v7, s31, v5
	v_mad_u32 v8, v1, s39, v8
	v_mad_u32 v0, v1, s38, v0
	s_delay_alu instid0(VALU_DEP_3) | instskip(NEXT) | instid1(VALU_DEP_1)
	v_add_nc_u32_e32 v7, v5, v7
	v_lshrrev_b32_e32 v7, s44, v7
	s_delay_alu instid0(VALU_DEP_1) | instskip(SKIP_1) | instid1(VALU_DEP_1)
	v_mul_hi_u32 v13, s46, v7
	v_mul_lo_u32 v11, v7, s30
	v_dual_add_nc_u32 v3, v7, v13 :: v_dual_sub_nc_u32 v1, v5, v11
	s_delay_alu instid0(VALU_DEP_1) | instskip(NEXT) | instid1(VALU_DEP_2)
	v_lshrrev_b32_e32 v3, s47, v3
	v_mad_u32 v8, v1, s41, v8
	v_mad_u32 v0, v1, s40, v0
	s_delay_alu instid0(VALU_DEP_3) | instskip(NEXT) | instid1(VALU_DEP_1)
	v_mul_lo_u32 v5, v3, s45
	v_sub_nc_u32_e32 v1, v7, v5
	s_delay_alu instid0(VALU_DEP_1) | instskip(NEXT) | instid1(VALU_DEP_4)
	v_mad_u32 v8, v1, s43, v8
	v_mad_u32 v0, v1, s42, v0
	s_cbranch_scc1 .LBB191_1146
; %bb.1147:
	s_delay_alu instid0(VALU_DEP_2)
	v_mov_b32_e32 v1, v8
	s_and_b32 s4, s1, 3
	s_mov_b32 s1, 0
	s_cmp_eq_u32 s4, 0
	s_cbranch_scc0 .LBB191_1151
	s_branch .LBB191_1154
.LBB191_1148:
	s_mov_b32 s6, -1
                                        ; implicit-def: $vgpr8
                                        ; implicit-def: $vgpr0
	s_branch .LBB191_1154
.LBB191_1149:
	v_dual_mov_b32 v8, 0 :: v_dual_mov_b32 v0, 0
	s_branch .LBB191_1154
.LBB191_1150:
	v_mov_b64_e32 v[0:1], 0
	v_mov_b32_e32 v3, v9
	s_mov_b32 s0, 0
                                        ; implicit-def: $vgpr8
	s_and_b32 s4, s1, 3
	s_mov_b32 s1, 0
	s_cmp_eq_u32 s4, 0
	s_cbranch_scc1 .LBB191_1154
.LBB191_1151:
	s_lshl_b32 s2, s0, 3
	s_mov_b32 s3, s1
	s_mul_u64 s[8:9], s[0:1], 12
	s_add_nc_u64 s[2:3], s[20:21], s[2:3]
	s_delay_alu instid0(SALU_CYCLE_1)
	s_add_nc_u64 s[0:1], s[2:3], 0xc4
	s_add_nc_u64 s[2:3], s[20:21], s[8:9]
.LBB191_1152:                           ; =>This Inner Loop Header: Depth=1
	s_load_b96 s[8:10], s[2:3], 0x4
	s_load_b64 s[14:15], s[0:1], 0x0
	s_add_co_i32 s4, s4, -1
	s_wait_xcnt 0x0
	s_add_nc_u64 s[2:3], s[2:3], 12
	s_cmp_lg_u32 s4, 0
	s_add_nc_u64 s[0:1], s[0:1], 8
	s_wait_kmcnt 0x0
	v_mul_hi_u32 v5, s9, v3
	s_delay_alu instid0(VALU_DEP_1) | instskip(NEXT) | instid1(VALU_DEP_1)
	v_add_nc_u32_e32 v5, v3, v5
	v_lshrrev_b32_e32 v5, s10, v5
	s_delay_alu instid0(VALU_DEP_1) | instskip(NEXT) | instid1(VALU_DEP_1)
	v_mul_lo_u32 v7, v5, s8
	v_sub_nc_u32_e32 v3, v3, v7
	s_delay_alu instid0(VALU_DEP_1)
	v_mad_u32 v1, v3, s15, v1
	v_mad_u32 v0, v3, s14, v0
	v_mov_b32_e32 v3, v5
	s_cbranch_scc1 .LBB191_1152
; %bb.1153:
	s_delay_alu instid0(VALU_DEP_3)
	v_mov_b32_e32 v8, v1
.LBB191_1154:
	s_and_not1_b32 vcc_lo, exec_lo, s6
	s_cbranch_vccnz .LBB191_1157
; %bb.1155:
	s_clause 0x1
	s_load_b96 s[0:2], s[20:21], 0x4
	s_load_b64 s[4:5], s[20:21], 0xc4
	s_cmp_lt_u32 s19, 2
	s_wait_kmcnt 0x0
	v_mul_hi_u32 v0, s1, v9
	s_delay_alu instid0(VALU_DEP_1) | instskip(NEXT) | instid1(VALU_DEP_1)
	v_add_nc_u32_e32 v0, v9, v0
	v_lshrrev_b32_e32 v1, s2, v0
	s_delay_alu instid0(VALU_DEP_1) | instskip(NEXT) | instid1(VALU_DEP_1)
	v_mul_lo_u32 v0, v1, s0
	v_sub_nc_u32_e32 v0, v9, v0
	s_delay_alu instid0(VALU_DEP_1)
	v_mul_lo_u32 v8, v0, s5
	v_mul_lo_u32 v0, v0, s4
	s_cbranch_scc1 .LBB191_1157
; %bb.1156:
	s_clause 0x1
	s_load_b96 s[0:2], s[20:21], 0x10
	s_load_b64 s[4:5], s[20:21], 0xcc
	s_wait_kmcnt 0x0
	v_mul_hi_u32 v3, s1, v1
	s_delay_alu instid0(VALU_DEP_1) | instskip(NEXT) | instid1(VALU_DEP_1)
	v_add_nc_u32_e32 v3, v1, v3
	v_lshrrev_b32_e32 v3, s2, v3
	s_delay_alu instid0(VALU_DEP_1) | instskip(NEXT) | instid1(VALU_DEP_1)
	v_mul_lo_u32 v3, v3, s0
	v_sub_nc_u32_e32 v1, v1, v3
	s_delay_alu instid0(VALU_DEP_1)
	v_mad_u32 v0, v1, s4, v0
	v_mad_u32 v8, v1, s5, v8
.LBB191_1157:
	v_mov_b32_e32 v15, 0
	s_load_b128 s[4:7], s[20:21], 0x148
	global_load_u8 v1, v15, s[20:21] offset:353
	s_wait_kmcnt 0x0
	v_add_nc_u64_e32 v[14:15], s[6:7], v[14:15]
	s_wait_loadcnt 0x0
	v_and_b32_e32 v3, 0xffff, v1
	v_readfirstlane_b32 s0, v1
	s_delay_alu instid0(VALU_DEP_2)
	v_cmp_gt_i32_e32 vcc_lo, 11, v3
	s_cbranch_vccnz .LBB191_1164
; %bb.1158:
	s_and_b32 s1, 0xffff, s0
	s_mov_b32 s8, 0
	s_cmp_gt_i32 s1, 25
	s_cbranch_scc0 .LBB191_1166
; %bb.1159:
	s_cmp_gt_i32 s1, 28
	s_cbranch_scc0 .LBB191_1167
; %bb.1160:
	;; [unrolled: 3-line block ×4, first 2 shown]
	s_cmp_eq_u32 s1, 46
	s_mov_b32 s3, 0
	s_cbranch_scc0 .LBB191_1172
; %bb.1163:
	global_load_b32 v1, v[14:15], off
	s_mov_b32 s2, 0
	s_mov_b32 s9, -1
	s_wait_loadcnt 0x0
	v_lshlrev_b32_e32 v1, 16, v1
	s_delay_alu instid0(VALU_DEP_1)
	v_cvt_f16_f32_e32 v1, v1
	s_branch .LBB191_1174
.LBB191_1164:
	s_mov_b32 s9, 0
	s_mov_b32 s3, s11
                                        ; implicit-def: $vgpr1
	s_cbranch_execnz .LBB191_1237
.LBB191_1165:
	s_and_not1_b32 vcc_lo, exec_lo, s9
	s_cbranch_vccz .LBB191_1282
	s_branch .LBB191_2105
.LBB191_1166:
	s_mov_b32 s9, 0
	s_mov_b32 s2, 0
                                        ; implicit-def: $vgpr1
	s_cbranch_execnz .LBB191_1202
	s_branch .LBB191_1233
.LBB191_1167:
	s_mov_b32 s3, -1
	s_mov_b32 s9, 0
	s_mov_b32 s2, 0
                                        ; implicit-def: $vgpr1
	s_branch .LBB191_1183
.LBB191_1168:
	s_mov_b32 s9, 0
	s_mov_b32 s2, 0
                                        ; implicit-def: $vgpr1
	s_cbranch_execnz .LBB191_1179
	s_branch .LBB191_1182
.LBB191_1169:
	s_mov_b32 s3, -1
	s_mov_b32 s9, 0
	s_mov_b32 s2, 0
	s_branch .LBB191_1173
.LBB191_1170:
	s_and_not1_saveexec_b32 s8, s8
	s_cbranch_execz .LBB191_1009
.LBB191_1171:
	v_add_f32_e32 v2, 0x46000000, v3
	s_and_not1_b32 s7, s7, exec_lo
	s_delay_alu instid0(VALU_DEP_1) | instskip(NEXT) | instid1(VALU_DEP_1)
	v_and_b32_e32 v2, 0xff, v2
	v_cmp_ne_u32_e32 vcc_lo, 0, v2
	s_and_b32 s9, vcc_lo, exec_lo
	s_delay_alu instid0(SALU_CYCLE_1)
	s_or_b32 s7, s7, s9
	s_or_b32 exec_lo, exec_lo, s8
	v_mov_b32_e32 v4, 0
	s_and_saveexec_b32 s8, s7
	s_cbranch_execnz .LBB191_1010
	s_branch .LBB191_1011
.LBB191_1172:
	s_mov_b32 s2, -1
	s_mov_b32 s9, 0
.LBB191_1173:
                                        ; implicit-def: $vgpr1
.LBB191_1174:
	s_and_b32 vcc_lo, exec_lo, s3
	s_cbranch_vccz .LBB191_1177
; %bb.1175:
	s_cmp_eq_u32 s1, 44
	s_cbranch_scc0 .LBB191_1178
; %bb.1176:
	global_load_u8 v1, v[14:15], off
	s_mov_b32 s2, 0
	s_mov_b32 s9, -1
	s_wait_loadcnt 0x0
	v_lshlrev_b32_e32 v3, 23, v1
	v_cmp_ne_u32_e32 vcc_lo, 0xff, v1
	s_delay_alu instid0(VALU_DEP_2) | instskip(NEXT) | instid1(VALU_DEP_1)
	v_cvt_f16_f32_e32 v3, v3
	v_cndmask_b32_e32 v3, 0x7e00, v3, vcc_lo
	v_cmp_ne_u32_e32 vcc_lo, 0, v1
	s_delay_alu instid0(VALU_DEP_2)
	v_cndmask_b32_e32 v1, 0, v3, vcc_lo
.LBB191_1177:
	s_branch .LBB191_1182
.LBB191_1178:
	s_mov_b32 s2, -1
                                        ; implicit-def: $vgpr1
	s_branch .LBB191_1182
.LBB191_1179:
	s_cmp_eq_u32 s1, 29
	s_cbranch_scc0 .LBB191_1181
; %bb.1180:
	global_load_b64 v[16:17], v[14:15], off
	s_mov_b32 s2, 0
	s_mov_b32 s9, -1
	s_mov_b32 s3, 0
	s_wait_loadcnt 0x0
	v_clz_i32_u32_e32 v1, v17
	s_delay_alu instid0(VALU_DEP_1) | instskip(NEXT) | instid1(VALU_DEP_1)
	v_min_u32_e32 v1, 32, v1
	v_lshlrev_b64_e32 v[16:17], v1, v[16:17]
	v_sub_nc_u32_e32 v1, 32, v1
	s_delay_alu instid0(VALU_DEP_2) | instskip(NEXT) | instid1(VALU_DEP_1)
	v_min_u32_e32 v3, 1, v16
	v_or_b32_e32 v3, v17, v3
	s_delay_alu instid0(VALU_DEP_1) | instskip(NEXT) | instid1(VALU_DEP_1)
	v_cvt_f32_u32_e32 v3, v3
	v_ldexp_f32 v1, v3, v1
	s_delay_alu instid0(VALU_DEP_1)
	v_cvt_f16_f32_e32 v1, v1
	s_branch .LBB191_1183
.LBB191_1181:
	s_mov_b32 s2, -1
                                        ; implicit-def: $vgpr1
.LBB191_1182:
	s_mov_b32 s3, 0
.LBB191_1183:
	s_delay_alu instid0(SALU_CYCLE_1)
	s_and_b32 vcc_lo, exec_lo, s3
	s_cbranch_vccz .LBB191_1201
; %bb.1184:
	s_cmp_lt_i32 s1, 27
	s_cbranch_scc1 .LBB191_1187
; %bb.1185:
	s_cmp_gt_i32 s1, 27
	s_cbranch_scc0 .LBB191_1188
; %bb.1186:
	global_load_b32 v1, v[14:15], off
	s_mov_b32 s3, 0
	s_wait_loadcnt 0x0
	v_cvt_f32_u32_e32 v1, v1
	s_delay_alu instid0(VALU_DEP_1)
	v_cvt_f16_f32_e32 v1, v1
	s_branch .LBB191_1189
.LBB191_1187:
	s_mov_b32 s3, -1
                                        ; implicit-def: $vgpr1
	s_branch .LBB191_1192
.LBB191_1188:
	s_mov_b32 s3, -1
                                        ; implicit-def: $vgpr1
.LBB191_1189:
	s_delay_alu instid0(SALU_CYCLE_1)
	s_and_not1_b32 vcc_lo, exec_lo, s3
	s_cbranch_vccnz .LBB191_1191
; %bb.1190:
	global_load_u16 v1, v[14:15], off
	s_wait_loadcnt 0x0
	v_cvt_f16_u16_e32 v1, v1
.LBB191_1191:
	s_mov_b32 s3, 0
.LBB191_1192:
	s_delay_alu instid0(SALU_CYCLE_1)
	s_and_not1_b32 vcc_lo, exec_lo, s3
	s_cbranch_vccnz .LBB191_1200
; %bb.1193:
	global_load_u8 v3, v[14:15], off
	s_mov_b32 s3, 0
	s_mov_b32 s9, exec_lo
	s_wait_loadcnt 0x0
	v_cmpx_lt_i16_e32 0x7f, v3
	s_xor_b32 s9, exec_lo, s9
	s_cbranch_execz .LBB191_1213
; %bb.1194:
	s_mov_b32 s3, -1
	s_mov_b32 s10, exec_lo
	v_cmpx_eq_u16_e32 0x80, v3
; %bb.1195:
	s_xor_b32 s3, exec_lo, -1
; %bb.1196:
	s_or_b32 exec_lo, exec_lo, s10
	s_delay_alu instid0(SALU_CYCLE_1)
	s_and_b32 s3, s3, exec_lo
	s_or_saveexec_b32 s9, s9
	v_mov_b32_e32 v1, 0x7e00
	s_xor_b32 exec_lo, exec_lo, s9
	s_cbranch_execnz .LBB191_1214
.LBB191_1197:
	s_or_b32 exec_lo, exec_lo, s9
	s_and_saveexec_b32 s9, s3
	s_cbranch_execz .LBB191_1199
.LBB191_1198:
	v_and_b32_e32 v1, 0xffff, v3
	s_delay_alu instid0(VALU_DEP_1) | instskip(SKIP_1) | instid1(VALU_DEP_2)
	v_and_b32_e32 v5, 7, v1
	v_bfe_u32 v11, v1, 3, 4
	v_clz_i32_u32_e32 v7, v5
	s_delay_alu instid0(VALU_DEP_2) | instskip(NEXT) | instid1(VALU_DEP_2)
	v_cmp_eq_u32_e32 vcc_lo, 0, v11
	v_min_u32_e32 v7, 32, v7
	s_delay_alu instid0(VALU_DEP_1) | instskip(NEXT) | instid1(VALU_DEP_1)
	v_subrev_nc_u32_e32 v9, 28, v7
	v_dual_lshlrev_b32 v1, v9, v1 :: v_dual_sub_nc_u32 v7, 29, v7
	s_delay_alu instid0(VALU_DEP_1) | instskip(NEXT) | instid1(VALU_DEP_1)
	v_dual_lshlrev_b32 v3, 24, v3 :: v_dual_bitop2_b32 v1, 7, v1 bitop3:0x40
	v_dual_cndmask_b32 v1, v5, v1, vcc_lo :: v_dual_cndmask_b32 v7, v11, v7, vcc_lo
	s_delay_alu instid0(VALU_DEP_2) | instskip(NEXT) | instid1(VALU_DEP_2)
	v_and_b32_e32 v3, 0x80000000, v3
	v_lshlrev_b32_e32 v1, 20, v1
	s_delay_alu instid0(VALU_DEP_3) | instskip(NEXT) | instid1(VALU_DEP_1)
	v_lshl_add_u32 v5, v7, 23, 0x3b800000
	v_or3_b32 v1, v3, v5, v1
	s_delay_alu instid0(VALU_DEP_1)
	v_cvt_f16_f32_e32 v1, v1
.LBB191_1199:
	s_or_b32 exec_lo, exec_lo, s9
.LBB191_1200:
	s_mov_b32 s9, -1
.LBB191_1201:
	s_branch .LBB191_1233
.LBB191_1202:
	s_cmp_gt_i32 s1, 22
	s_cbranch_scc0 .LBB191_1212
; %bb.1203:
	s_cmp_lt_i32 s1, 24
	s_cbranch_scc1 .LBB191_1215
; %bb.1204:
	s_cmp_gt_i32 s1, 24
	s_cbranch_scc0 .LBB191_1216
; %bb.1205:
	global_load_u8 v3, v[14:15], off
	s_mov_b32 s3, 0
	s_mov_b32 s8, exec_lo
	s_wait_loadcnt 0x0
	v_cmpx_lt_i16_e32 0x7f, v3
	s_xor_b32 s8, exec_lo, s8
	s_cbranch_execz .LBB191_1227
; %bb.1206:
	s_mov_b32 s3, -1
	s_mov_b32 s9, exec_lo
	v_cmpx_eq_u16_e32 0x80, v3
; %bb.1207:
	s_xor_b32 s3, exec_lo, -1
; %bb.1208:
	s_or_b32 exec_lo, exec_lo, s9
	s_delay_alu instid0(SALU_CYCLE_1)
	s_and_b32 s3, s3, exec_lo
	s_or_saveexec_b32 s8, s8
	v_mov_b32_e32 v1, 0x7e00
	s_xor_b32 exec_lo, exec_lo, s8
	s_cbranch_execnz .LBB191_1228
.LBB191_1209:
	s_or_b32 exec_lo, exec_lo, s8
	s_and_saveexec_b32 s8, s3
	s_cbranch_execz .LBB191_1211
.LBB191_1210:
	v_and_b32_e32 v1, 0xffff, v3
	s_delay_alu instid0(VALU_DEP_1) | instskip(SKIP_1) | instid1(VALU_DEP_2)
	v_and_b32_e32 v5, 3, v1
	v_bfe_u32 v11, v1, 2, 5
	v_clz_i32_u32_e32 v7, v5
	s_delay_alu instid0(VALU_DEP_2) | instskip(NEXT) | instid1(VALU_DEP_2)
	v_cmp_eq_u32_e32 vcc_lo, 0, v11
	v_min_u32_e32 v7, 32, v7
	s_delay_alu instid0(VALU_DEP_1) | instskip(NEXT) | instid1(VALU_DEP_1)
	v_subrev_nc_u32_e32 v9, 29, v7
	v_dual_lshlrev_b32 v1, v9, v1 :: v_dual_sub_nc_u32 v7, 30, v7
	s_delay_alu instid0(VALU_DEP_1) | instskip(NEXT) | instid1(VALU_DEP_1)
	v_dual_lshlrev_b32 v3, 24, v3 :: v_dual_bitop2_b32 v1, 3, v1 bitop3:0x40
	v_dual_cndmask_b32 v1, v5, v1, vcc_lo :: v_dual_cndmask_b32 v7, v11, v7, vcc_lo
	s_delay_alu instid0(VALU_DEP_2) | instskip(NEXT) | instid1(VALU_DEP_2)
	v_and_b32_e32 v3, 0x80000000, v3
	v_lshlrev_b32_e32 v1, 21, v1
	s_delay_alu instid0(VALU_DEP_3) | instskip(NEXT) | instid1(VALU_DEP_1)
	v_lshl_add_u32 v5, v7, 23, 0x37800000
	v_or3_b32 v1, v3, v5, v1
	s_delay_alu instid0(VALU_DEP_1)
	v_cvt_f16_f32_e32 v1, v1
.LBB191_1211:
	s_or_b32 exec_lo, exec_lo, s8
	s_mov_b32 s3, 0
	s_branch .LBB191_1217
.LBB191_1212:
                                        ; implicit-def: $vgpr1
	s_mov_b32 s8, 0
	s_branch .LBB191_1223
.LBB191_1213:
	s_or_saveexec_b32 s9, s9
	v_mov_b32_e32 v1, 0x7e00
	s_xor_b32 exec_lo, exec_lo, s9
	s_cbranch_execz .LBB191_1197
.LBB191_1214:
	v_cmp_ne_u16_e32 vcc_lo, 0, v3
	v_mov_b32_e32 v1, v3
	s_and_not1_b32 s3, s3, exec_lo
	s_and_b32 s10, vcc_lo, exec_lo
	s_delay_alu instid0(SALU_CYCLE_1)
	s_or_b32 s3, s3, s10
	s_or_b32 exec_lo, exec_lo, s9
	s_and_saveexec_b32 s9, s3
	s_cbranch_execnz .LBB191_1198
	s_branch .LBB191_1199
.LBB191_1215:
	s_mov_b32 s3, -1
                                        ; implicit-def: $vgpr1
	s_branch .LBB191_1220
.LBB191_1216:
	s_mov_b32 s3, -1
                                        ; implicit-def: $vgpr1
.LBB191_1217:
	s_delay_alu instid0(SALU_CYCLE_1)
	s_and_b32 vcc_lo, exec_lo, s3
	s_cbranch_vccz .LBB191_1219
; %bb.1218:
	global_load_u8 v1, v[14:15], off
	s_wait_loadcnt 0x0
	v_lshlrev_b32_e32 v1, 24, v1
	s_delay_alu instid0(VALU_DEP_1) | instskip(NEXT) | instid1(VALU_DEP_1)
	v_and_b32_e32 v3, 0x7f000000, v1
	v_clz_i32_u32_e32 v5, v3
	v_add_nc_u32_e32 v9, 0x1000000, v3
	v_cmp_ne_u32_e32 vcc_lo, 0, v3
	s_delay_alu instid0(VALU_DEP_3) | instskip(NEXT) | instid1(VALU_DEP_1)
	v_min_u32_e32 v5, 32, v5
	v_sub_nc_u32_e64 v5, v5, 4 clamp
	s_delay_alu instid0(VALU_DEP_1) | instskip(NEXT) | instid1(VALU_DEP_1)
	v_dual_lshlrev_b32 v7, v5, v3 :: v_dual_lshlrev_b32 v5, 23, v5
	v_lshrrev_b32_e32 v7, 4, v7
	s_delay_alu instid0(VALU_DEP_1) | instskip(SKIP_1) | instid1(VALU_DEP_2)
	v_sub_nc_u32_e32 v5, v7, v5
	v_ashrrev_i32_e32 v7, 8, v9
	v_add_nc_u32_e32 v5, 0x3c000000, v5
	s_delay_alu instid0(VALU_DEP_1) | instskip(NEXT) | instid1(VALU_DEP_1)
	v_and_or_b32 v5, 0x7f800000, v7, v5
	v_cndmask_b32_e32 v3, 0, v5, vcc_lo
	s_delay_alu instid0(VALU_DEP_1) | instskip(NEXT) | instid1(VALU_DEP_1)
	v_and_or_b32 v1, 0x80000000, v1, v3
	v_cvt_f16_f32_e32 v1, v1
.LBB191_1219:
	s_mov_b32 s3, 0
.LBB191_1220:
	s_delay_alu instid0(SALU_CYCLE_1)
	s_and_not1_b32 vcc_lo, exec_lo, s3
	s_cbranch_vccnz .LBB191_1222
; %bb.1221:
	global_load_u8 v1, v[14:15], off
	s_wait_loadcnt 0x0
	v_lshlrev_b32_e32 v3, 25, v1
	v_lshlrev_b16 v1, 8, v1
	s_delay_alu instid0(VALU_DEP_1) | instskip(SKIP_1) | instid1(VALU_DEP_2)
	v_and_or_b32 v7, 0x7f00, v1, 0.5
	v_bfe_i32 v1, v1, 0, 16
	v_add_f32_e32 v7, -0.5, v7
	v_lshrrev_b32_e32 v5, 4, v3
	v_cmp_gt_u32_e32 vcc_lo, 0x8000000, v3
	s_delay_alu instid0(VALU_DEP_2) | instskip(NEXT) | instid1(VALU_DEP_1)
	v_or_b32_e32 v5, 0x70000000, v5
	v_mul_f32_e32 v5, 0x7800000, v5
	s_delay_alu instid0(VALU_DEP_1) | instskip(NEXT) | instid1(VALU_DEP_1)
	v_cndmask_b32_e32 v3, v5, v7, vcc_lo
	v_and_or_b32 v1, 0x80000000, v1, v3
	s_delay_alu instid0(VALU_DEP_1)
	v_cvt_f16_f32_e32 v1, v1
.LBB191_1222:
	s_mov_b32 s9, -1
	s_mov_b32 s8, 0
	s_cbranch_execnz .LBB191_1233
.LBB191_1223:
	s_cmp_gt_i32 s1, 14
	s_cbranch_scc0 .LBB191_1226
; %bb.1224:
	s_cmp_eq_u32 s1, 15
	s_cbranch_scc0 .LBB191_1229
; %bb.1225:
	global_load_u16 v1, v[14:15], off
	s_mov_b32 s2, 0
	s_mov_b32 s9, -1
	s_wait_loadcnt 0x0
	v_lshlrev_b32_e32 v1, 16, v1
	s_delay_alu instid0(VALU_DEP_1)
	v_cvt_f16_f32_e32 v1, v1
	s_branch .LBB191_1230
.LBB191_1226:
	s_mov_b32 s3, -1
                                        ; implicit-def: $vgpr1
	s_branch .LBB191_1231
.LBB191_1227:
	s_or_saveexec_b32 s8, s8
	v_mov_b32_e32 v1, 0x7e00
	s_xor_b32 exec_lo, exec_lo, s8
	s_cbranch_execz .LBB191_1209
.LBB191_1228:
	v_cmp_ne_u16_e32 vcc_lo, 0, v3
	v_mov_b32_e32 v1, v3
	s_and_not1_b32 s3, s3, exec_lo
	s_and_b32 s9, vcc_lo, exec_lo
	s_delay_alu instid0(SALU_CYCLE_1)
	s_or_b32 s3, s3, s9
	s_or_b32 exec_lo, exec_lo, s8
	s_and_saveexec_b32 s8, s3
	s_cbranch_execnz .LBB191_1210
	s_branch .LBB191_1211
.LBB191_1229:
	s_mov_b32 s2, -1
                                        ; implicit-def: $vgpr1
.LBB191_1230:
	s_mov_b32 s3, 0
.LBB191_1231:
	s_delay_alu instid0(SALU_CYCLE_1)
	s_and_b32 vcc_lo, exec_lo, s3
	s_cbranch_vccz .LBB191_1233
; %bb.1232:
	s_cmp_lg_u32 s1, 11
	s_mov_b32 s8, -1
	s_cselect_b32 s2, -1, 0
.LBB191_1233:
	s_delay_alu instid0(SALU_CYCLE_1)
	s_and_b32 vcc_lo, exec_lo, s2
	s_mov_b32 s3, s11
	s_cbranch_vccnz .LBB191_1294
; %bb.1234:
	s_and_not1_b32 vcc_lo, exec_lo, s8
	s_cbranch_vccnz .LBB191_1236
.LBB191_1235:
	global_load_u8 v1, v[14:15], off
	s_mov_b32 s9, -1
	s_wait_loadcnt 0x0
	v_cmp_ne_u16_e32 vcc_lo, 0, v1
	v_cndmask_b32_e64 v1, 0, 0x3c00, vcc_lo
.LBB191_1236:
	s_branch .LBB191_1165
.LBB191_1237:
	s_and_b32 s1, 0xffff, s0
	s_delay_alu instid0(SALU_CYCLE_1)
	s_cmp_lt_i32 s1, 5
	s_cbranch_scc1 .LBB191_1242
; %bb.1238:
	s_cmp_lt_i32 s1, 8
	s_cbranch_scc1 .LBB191_1243
; %bb.1239:
	;; [unrolled: 3-line block ×3, first 2 shown]
	s_cmp_gt_i32 s1, 9
	s_cbranch_scc0 .LBB191_1245
; %bb.1241:
	global_load_b64 v[16:17], v[14:15], off
	s_mov_b32 s2, 0
	s_wait_loadcnt 0x0
	v_and_or_b32 v1, 0x1ff, v17, v16
	v_lshrrev_b32_e32 v3, 8, v17
	v_bfe_u32 v5, v17, 20, 11
	s_delay_alu instid0(VALU_DEP_3) | instskip(NEXT) | instid1(VALU_DEP_2)
	v_cmp_ne_u32_e32 vcc_lo, 0, v1
	v_sub_nc_u32_e32 v7, 0x3f1, v5
	v_add_nc_u32_e32 v5, 0xfffffc10, v5
	v_cndmask_b32_e64 v1, 0, 1, vcc_lo
	s_delay_alu instid0(VALU_DEP_1) | instskip(NEXT) | instid1(VALU_DEP_4)
	v_and_or_b32 v1, 0xffe, v3, v1
	v_med3_i32 v3, v7, 0, 13
	s_delay_alu instid0(VALU_DEP_2) | instskip(NEXT) | instid1(VALU_DEP_1)
	v_or_b32_e32 v7, 0x1000, v1
	v_lshrrev_b32_e32 v9, v3, v7
	s_delay_alu instid0(VALU_DEP_1) | instskip(NEXT) | instid1(VALU_DEP_1)
	v_lshlrev_b32_e32 v3, v3, v9
	v_cmp_ne_u32_e32 vcc_lo, v3, v7
	v_lshl_or_b32 v7, v5, 12, v1
	v_cndmask_b32_e64 v3, 0, 1, vcc_lo
	v_cmp_gt_i32_e32 vcc_lo, 1, v5
	s_delay_alu instid0(VALU_DEP_2) | instskip(NEXT) | instid1(VALU_DEP_1)
	v_or_b32_e32 v3, v9, v3
	v_cndmask_b32_e32 v3, v7, v3, vcc_lo
	s_delay_alu instid0(VALU_DEP_1) | instskip(NEXT) | instid1(VALU_DEP_1)
	v_and_b32_e32 v7, 7, v3
	v_cmp_lt_i32_e32 vcc_lo, 5, v7
	v_cndmask_b32_e64 v9, 0, 1, vcc_lo
	v_cmp_eq_u32_e32 vcc_lo, 3, v7
	v_cndmask_b32_e64 v7, 0, 1, vcc_lo
	v_cmp_ne_u32_e32 vcc_lo, 0, v1
	s_delay_alu instid0(VALU_DEP_2) | instskip(SKIP_1) | instid1(VALU_DEP_2)
	v_dual_lshrrev_b32 v3, 2, v3 :: v_dual_bitop2_b32 v7, v7, v9 bitop3:0x54
	v_mov_b32_e32 v9, 0x7e00
	v_add_nc_u32_e32 v3, v3, v7
	s_delay_alu instid0(VALU_DEP_2) | instskip(SKIP_1) | instid1(VALU_DEP_3)
	v_cndmask_b32_e32 v1, 0x7c00, v9, vcc_lo
	v_cmp_gt_i32_e32 vcc_lo, 31, v5
	v_cndmask_b32_e32 v3, 0x7c00, v3, vcc_lo
	v_cmp_eq_u32_e32 vcc_lo, 0x40f, v5
	s_delay_alu instid0(VALU_DEP_2) | instskip(SKIP_1) | instid1(VALU_DEP_1)
	v_cndmask_b32_e32 v1, v3, v1, vcc_lo
	v_lshrrev_b32_e32 v3, 16, v17
	v_and_or_b32 v1, 0x8000, v3, v1
	s_branch .LBB191_1246
.LBB191_1242:
                                        ; implicit-def: $vgpr1
	s_branch .LBB191_1263
.LBB191_1243:
                                        ; implicit-def: $vgpr1
	s_branch .LBB191_1252
.LBB191_1244:
	s_mov_b32 s2, -1
                                        ; implicit-def: $vgpr1
	s_branch .LBB191_1249
.LBB191_1245:
	s_mov_b32 s2, -1
                                        ; implicit-def: $vgpr1
.LBB191_1246:
	s_delay_alu instid0(SALU_CYCLE_1)
	s_and_not1_b32 vcc_lo, exec_lo, s2
	s_cbranch_vccnz .LBB191_1248
; %bb.1247:
	global_load_b32 v1, v[14:15], off
	s_wait_loadcnt 0x0
	v_cvt_f16_f32_e32 v1, v1
.LBB191_1248:
	s_mov_b32 s2, 0
.LBB191_1249:
	s_delay_alu instid0(SALU_CYCLE_1)
	s_and_not1_b32 vcc_lo, exec_lo, s2
	s_cbranch_vccnz .LBB191_1251
; %bb.1250:
	global_load_b32 v1, v[14:15], off
.LBB191_1251:
	s_cbranch_execnz .LBB191_1262
.LBB191_1252:
	s_cmp_lt_i32 s1, 6
	s_cbranch_scc1 .LBB191_1255
; %bb.1253:
	s_cmp_gt_i32 s1, 6
	s_cbranch_scc0 .LBB191_1256
; %bb.1254:
	global_load_b64 v[16:17], v[14:15], off
	s_mov_b32 s2, 0
	s_wait_loadcnt 0x0
	v_and_or_b32 v1, 0x1ff, v17, v16
	v_lshrrev_b32_e32 v3, 8, v17
	v_bfe_u32 v5, v17, 20, 11
	s_delay_alu instid0(VALU_DEP_3) | instskip(NEXT) | instid1(VALU_DEP_2)
	v_cmp_ne_u32_e32 vcc_lo, 0, v1
	v_sub_nc_u32_e32 v7, 0x3f1, v5
	v_add_nc_u32_e32 v5, 0xfffffc10, v5
	v_cndmask_b32_e64 v1, 0, 1, vcc_lo
	s_delay_alu instid0(VALU_DEP_1) | instskip(NEXT) | instid1(VALU_DEP_4)
	v_and_or_b32 v1, 0xffe, v3, v1
	v_med3_i32 v3, v7, 0, 13
	s_delay_alu instid0(VALU_DEP_2) | instskip(NEXT) | instid1(VALU_DEP_1)
	v_or_b32_e32 v7, 0x1000, v1
	v_lshrrev_b32_e32 v9, v3, v7
	s_delay_alu instid0(VALU_DEP_1) | instskip(NEXT) | instid1(VALU_DEP_1)
	v_lshlrev_b32_e32 v3, v3, v9
	v_cmp_ne_u32_e32 vcc_lo, v3, v7
	v_lshl_or_b32 v7, v5, 12, v1
	v_cndmask_b32_e64 v3, 0, 1, vcc_lo
	v_cmp_gt_i32_e32 vcc_lo, 1, v5
	s_delay_alu instid0(VALU_DEP_2) | instskip(NEXT) | instid1(VALU_DEP_1)
	v_or_b32_e32 v3, v9, v3
	v_cndmask_b32_e32 v3, v7, v3, vcc_lo
	s_delay_alu instid0(VALU_DEP_1) | instskip(NEXT) | instid1(VALU_DEP_1)
	v_and_b32_e32 v7, 7, v3
	v_cmp_lt_i32_e32 vcc_lo, 5, v7
	v_cndmask_b32_e64 v9, 0, 1, vcc_lo
	v_cmp_eq_u32_e32 vcc_lo, 3, v7
	v_cndmask_b32_e64 v7, 0, 1, vcc_lo
	v_cmp_ne_u32_e32 vcc_lo, 0, v1
	s_delay_alu instid0(VALU_DEP_2) | instskip(SKIP_1) | instid1(VALU_DEP_2)
	v_dual_lshrrev_b32 v3, 2, v3 :: v_dual_bitop2_b32 v7, v7, v9 bitop3:0x54
	v_mov_b32_e32 v9, 0x7e00
	v_add_nc_u32_e32 v3, v3, v7
	s_delay_alu instid0(VALU_DEP_2) | instskip(SKIP_1) | instid1(VALU_DEP_3)
	v_cndmask_b32_e32 v1, 0x7c00, v9, vcc_lo
	v_cmp_gt_i32_e32 vcc_lo, 31, v5
	v_cndmask_b32_e32 v3, 0x7c00, v3, vcc_lo
	v_cmp_eq_u32_e32 vcc_lo, 0x40f, v5
	s_delay_alu instid0(VALU_DEP_2) | instskip(SKIP_1) | instid1(VALU_DEP_1)
	v_cndmask_b32_e32 v1, v3, v1, vcc_lo
	v_lshrrev_b32_e32 v3, 16, v17
	v_and_or_b32 v1, 0x8000, v3, v1
	s_branch .LBB191_1257
.LBB191_1255:
	s_mov_b32 s2, -1
                                        ; implicit-def: $vgpr1
	s_branch .LBB191_1260
.LBB191_1256:
	s_mov_b32 s2, -1
                                        ; implicit-def: $vgpr1
.LBB191_1257:
	s_delay_alu instid0(SALU_CYCLE_1)
	s_and_not1_b32 vcc_lo, exec_lo, s2
	s_cbranch_vccnz .LBB191_1259
; %bb.1258:
	s_wait_loadcnt 0x0
	global_load_b32 v1, v[14:15], off
	s_wait_loadcnt 0x0
	v_cvt_f16_f32_e32 v1, v1
.LBB191_1259:
	s_mov_b32 s2, 0
.LBB191_1260:
	s_delay_alu instid0(SALU_CYCLE_1)
	s_and_not1_b32 vcc_lo, exec_lo, s2
	s_cbranch_vccnz .LBB191_1262
; %bb.1261:
	s_wait_loadcnt 0x0
	global_load_u16 v1, v[14:15], off
.LBB191_1262:
	s_cbranch_execnz .LBB191_1281
.LBB191_1263:
	s_cmp_lt_i32 s1, 2
	s_cbranch_scc1 .LBB191_1267
; %bb.1264:
	s_cmp_lt_i32 s1, 3
	s_cbranch_scc1 .LBB191_1268
; %bb.1265:
	s_cmp_gt_i32 s1, 3
	s_cbranch_scc0 .LBB191_1269
; %bb.1266:
	global_load_b64 v[16:17], v[14:15], off
	s_mov_b32 s2, 0
	s_wait_loadcnt 0x0
	v_xor_b32_e32 v1, v16, v17
	v_cls_i32_e32 v3, v17
	s_delay_alu instid0(VALU_DEP_2) | instskip(NEXT) | instid1(VALU_DEP_1)
	v_ashrrev_i32_e32 v1, 31, v1
	v_add_nc_u32_e32 v1, 32, v1
	s_delay_alu instid0(VALU_DEP_1) | instskip(NEXT) | instid1(VALU_DEP_1)
	v_add_min_u32_e64 v1, v3, -1, v1
	v_lshlrev_b64_e32 v[16:17], v1, v[16:17]
	v_sub_nc_u32_e32 v1, 32, v1
	s_delay_alu instid0(VALU_DEP_2) | instskip(NEXT) | instid1(VALU_DEP_1)
	v_min_u32_e32 v3, 1, v16
	v_or_b32_e32 v3, v17, v3
	s_delay_alu instid0(VALU_DEP_1) | instskip(NEXT) | instid1(VALU_DEP_1)
	v_cvt_f32_i32_e32 v3, v3
	v_ldexp_f32 v1, v3, v1
	s_delay_alu instid0(VALU_DEP_1)
	v_cvt_f16_f32_e32 v1, v1
	s_branch .LBB191_1270
.LBB191_1267:
                                        ; implicit-def: $vgpr1
	s_branch .LBB191_1276
.LBB191_1268:
	s_mov_b32 s2, -1
                                        ; implicit-def: $vgpr1
	s_branch .LBB191_1273
.LBB191_1269:
	s_mov_b32 s2, -1
                                        ; implicit-def: $vgpr1
.LBB191_1270:
	s_delay_alu instid0(SALU_CYCLE_1)
	s_and_not1_b32 vcc_lo, exec_lo, s2
	s_cbranch_vccnz .LBB191_1272
; %bb.1271:
	s_wait_loadcnt 0x0
	global_load_b32 v1, v[14:15], off
	s_wait_loadcnt 0x0
	v_cvt_f32_i32_e32 v1, v1
	s_delay_alu instid0(VALU_DEP_1)
	v_cvt_f16_f32_e32 v1, v1
.LBB191_1272:
	s_mov_b32 s2, 0
.LBB191_1273:
	s_delay_alu instid0(SALU_CYCLE_1)
	s_and_not1_b32 vcc_lo, exec_lo, s2
	s_cbranch_vccnz .LBB191_1275
; %bb.1274:
	s_wait_loadcnt 0x0
	global_load_u16 v1, v[14:15], off
	s_wait_loadcnt 0x0
	v_cvt_f16_i16_e32 v1, v1
.LBB191_1275:
	s_cbranch_execnz .LBB191_1281
.LBB191_1276:
	s_cmp_gt_i32 s1, 0
	s_mov_b32 s1, 0
	s_cbranch_scc0 .LBB191_1278
; %bb.1277:
	s_wait_loadcnt 0x0
	global_load_i8 v1, v[14:15], off
	s_wait_loadcnt 0x0
	v_cvt_f16_i16_e32 v1, v1
	s_branch .LBB191_1279
.LBB191_1278:
	s_mov_b32 s1, -1
                                        ; implicit-def: $vgpr1
.LBB191_1279:
	s_delay_alu instid0(SALU_CYCLE_1)
	s_and_not1_b32 vcc_lo, exec_lo, s1
	s_cbranch_vccnz .LBB191_1281
; %bb.1280:
	s_wait_loadcnt 0x0
	global_load_u8 v1, v[14:15], off
	s_wait_loadcnt 0x0
	v_cvt_f16_u16_e32 v1, v1
.LBB191_1281:
.LBB191_1282:
	v_mov_b32_e32 v13, 0
	s_and_b32 s0, 0xffff, s0
	s_delay_alu instid0(SALU_CYCLE_1) | instskip(NEXT) | instid1(VALU_DEP_1)
	s_cmp_lt_i32 s0, 11
	v_add_nc_u64_e32 v[12:13], s[6:7], v[12:13]
	s_cbranch_scc1 .LBB191_1289
; %bb.1283:
	s_cmp_gt_i32 s0, 25
	s_mov_b32 s2, 0
	s_cbranch_scc0 .LBB191_1291
; %bb.1284:
	s_cmp_gt_i32 s0, 28
	s_cbranch_scc0 .LBB191_1292
; %bb.1285:
	s_cmp_gt_i32 s0, 43
	;; [unrolled: 3-line block ×3, first 2 shown]
	s_cbranch_scc0 .LBB191_1295
; %bb.1287:
	s_cmp_eq_u32 s0, 46
	s_mov_b32 s9, 0
	s_cbranch_scc0 .LBB191_1298
; %bb.1288:
	global_load_b32 v3, v[12:13], off
	s_mov_b32 s1, 0
	s_mov_b32 s8, -1
	s_wait_loadcnt 0x0
	v_lshlrev_b32_e32 v3, 16, v3
	s_delay_alu instid0(VALU_DEP_1)
	v_cvt_f16_f32_e32 v3, v3
	s_branch .LBB191_1300
.LBB191_1289:
	s_mov_b32 s8, 0
                                        ; implicit-def: $vgpr3
	s_cbranch_execnz .LBB191_1365
.LBB191_1290:
	s_and_not1_b32 vcc_lo, exec_lo, s8
	s_cbranch_vccnz .LBB191_2105
	s_branch .LBB191_1412
.LBB191_1291:
	s_mov_b32 s8, 0
	s_mov_b32 s1, 0
                                        ; implicit-def: $vgpr3
	s_cbranch_execnz .LBB191_1329
	s_branch .LBB191_1361
.LBB191_1292:
	s_mov_b32 s9, -1
	s_mov_b32 s8, 0
	s_mov_b32 s1, 0
                                        ; implicit-def: $vgpr3
	s_branch .LBB191_1310
.LBB191_1293:
	s_mov_b32 s9, -1
	s_mov_b32 s8, 0
	s_mov_b32 s1, 0
                                        ; implicit-def: $vgpr3
	s_branch .LBB191_1305
.LBB191_1294:
	s_or_b32 s3, s11, exec_lo
	s_trap 2
	s_cbranch_execz .LBB191_1235
	s_branch .LBB191_1236
.LBB191_1295:
	s_mov_b32 s9, -1
	s_mov_b32 s8, 0
	s_mov_b32 s1, 0
	s_branch .LBB191_1299
.LBB191_1296:
	s_and_not1_saveexec_b32 s9, s9
	s_cbranch_execz .LBB191_1021
.LBB191_1297:
	v_add_f32_e32 v2, 0x42800000, v3
	s_and_not1_b32 s8, s8, exec_lo
	s_delay_alu instid0(VALU_DEP_1) | instskip(NEXT) | instid1(VALU_DEP_1)
	v_and_b32_e32 v2, 0xff, v2
	v_cmp_ne_u32_e32 vcc_lo, 0, v2
	s_and_b32 s10, vcc_lo, exec_lo
	s_delay_alu instid0(SALU_CYCLE_1)
	s_or_b32 s8, s8, s10
	s_or_b32 exec_lo, exec_lo, s9
	v_mov_b32_e32 v4, 0
	s_and_saveexec_b32 s9, s8
	s_cbranch_execnz .LBB191_1022
	s_branch .LBB191_1023
.LBB191_1298:
	s_mov_b32 s1, -1
	s_mov_b32 s8, 0
.LBB191_1299:
                                        ; implicit-def: $vgpr3
.LBB191_1300:
	s_and_b32 vcc_lo, exec_lo, s9
	s_cbranch_vccz .LBB191_1304
; %bb.1301:
	s_cmp_eq_u32 s0, 44
	s_cbranch_scc0 .LBB191_1303
; %bb.1302:
	global_load_u8 v3, v[12:13], off
	s_mov_b32 s1, 0
	s_mov_b32 s8, -1
	s_wait_loadcnt 0x0
	v_lshlrev_b32_e32 v5, 23, v3
	v_cmp_ne_u32_e32 vcc_lo, 0xff, v3
	s_delay_alu instid0(VALU_DEP_2) | instskip(NEXT) | instid1(VALU_DEP_1)
	v_cvt_f16_f32_e32 v5, v5
	v_cndmask_b32_e32 v5, 0x7e00, v5, vcc_lo
	v_cmp_ne_u32_e32 vcc_lo, 0, v3
	s_delay_alu instid0(VALU_DEP_2)
	v_cndmask_b32_e32 v3, 0, v5, vcc_lo
	s_branch .LBB191_1304
.LBB191_1303:
	s_mov_b32 s1, -1
                                        ; implicit-def: $vgpr3
.LBB191_1304:
	s_mov_b32 s9, 0
.LBB191_1305:
	s_delay_alu instid0(SALU_CYCLE_1)
	s_and_b32 vcc_lo, exec_lo, s9
	s_cbranch_vccz .LBB191_1309
; %bb.1306:
	s_cmp_eq_u32 s0, 29
	s_cbranch_scc0 .LBB191_1308
; %bb.1307:
	global_load_b64 v[14:15], v[12:13], off
	s_mov_b32 s1, 0
	s_mov_b32 s8, -1
	s_mov_b32 s9, 0
	s_wait_loadcnt 0x0
	v_clz_i32_u32_e32 v3, v15
	s_delay_alu instid0(VALU_DEP_1) | instskip(NEXT) | instid1(VALU_DEP_1)
	v_min_u32_e32 v3, 32, v3
	v_lshlrev_b64_e32 v[14:15], v3, v[14:15]
	v_sub_nc_u32_e32 v3, 32, v3
	s_delay_alu instid0(VALU_DEP_2) | instskip(NEXT) | instid1(VALU_DEP_1)
	v_min_u32_e32 v5, 1, v14
	v_or_b32_e32 v5, v15, v5
	s_delay_alu instid0(VALU_DEP_1) | instskip(NEXT) | instid1(VALU_DEP_1)
	v_cvt_f32_u32_e32 v5, v5
	v_ldexp_f32 v3, v5, v3
	s_delay_alu instid0(VALU_DEP_1)
	v_cvt_f16_f32_e32 v3, v3
	s_branch .LBB191_1310
.LBB191_1308:
	s_mov_b32 s1, -1
                                        ; implicit-def: $vgpr3
.LBB191_1309:
	s_mov_b32 s9, 0
.LBB191_1310:
	s_delay_alu instid0(SALU_CYCLE_1)
	s_and_b32 vcc_lo, exec_lo, s9
	s_cbranch_vccz .LBB191_1328
; %bb.1311:
	s_cmp_lt_i32 s0, 27
	s_cbranch_scc1 .LBB191_1314
; %bb.1312:
	s_cmp_gt_i32 s0, 27
	s_cbranch_scc0 .LBB191_1315
; %bb.1313:
	global_load_b32 v3, v[12:13], off
	s_mov_b32 s8, 0
	s_wait_loadcnt 0x0
	v_cvt_f32_u32_e32 v3, v3
	s_delay_alu instid0(VALU_DEP_1)
	v_cvt_f16_f32_e32 v3, v3
	s_branch .LBB191_1316
.LBB191_1314:
	s_mov_b32 s8, -1
                                        ; implicit-def: $vgpr3
	s_branch .LBB191_1319
.LBB191_1315:
	s_mov_b32 s8, -1
                                        ; implicit-def: $vgpr3
.LBB191_1316:
	s_delay_alu instid0(SALU_CYCLE_1)
	s_and_not1_b32 vcc_lo, exec_lo, s8
	s_cbranch_vccnz .LBB191_1318
; %bb.1317:
	global_load_u16 v3, v[12:13], off
	s_wait_loadcnt 0x0
	v_cvt_f16_u16_e32 v3, v3
.LBB191_1318:
	s_mov_b32 s8, 0
.LBB191_1319:
	s_delay_alu instid0(SALU_CYCLE_1)
	s_and_not1_b32 vcc_lo, exec_lo, s8
	s_cbranch_vccnz .LBB191_1327
; %bb.1320:
	global_load_u8 v5, v[12:13], off
	s_mov_b32 s8, 0
	s_mov_b32 s9, exec_lo
	s_wait_loadcnt 0x0
	v_cmpx_lt_i16_e32 0x7f, v5
	s_xor_b32 s9, exec_lo, s9
	s_cbranch_execz .LBB191_1340
; %bb.1321:
	s_mov_b32 s8, -1
	s_mov_b32 s10, exec_lo
	v_cmpx_eq_u16_e32 0x80, v5
; %bb.1322:
	s_xor_b32 s8, exec_lo, -1
; %bb.1323:
	s_or_b32 exec_lo, exec_lo, s10
	s_delay_alu instid0(SALU_CYCLE_1)
	s_and_b32 s8, s8, exec_lo
	s_or_saveexec_b32 s9, s9
	v_mov_b32_e32 v3, 0x7e00
	s_xor_b32 exec_lo, exec_lo, s9
	s_cbranch_execnz .LBB191_1341
.LBB191_1324:
	s_or_b32 exec_lo, exec_lo, s9
	s_and_saveexec_b32 s9, s8
	s_cbranch_execz .LBB191_1326
.LBB191_1325:
	v_and_b32_e32 v3, 0xffff, v5
	s_delay_alu instid0(VALU_DEP_1) | instskip(SKIP_1) | instid1(VALU_DEP_2)
	v_and_b32_e32 v7, 7, v3
	v_bfe_u32 v14, v3, 3, 4
	v_clz_i32_u32_e32 v9, v7
	s_delay_alu instid0(VALU_DEP_2) | instskip(NEXT) | instid1(VALU_DEP_2)
	v_cmp_eq_u32_e32 vcc_lo, 0, v14
	v_min_u32_e32 v9, 32, v9
	s_delay_alu instid0(VALU_DEP_1) | instskip(NEXT) | instid1(VALU_DEP_1)
	v_subrev_nc_u32_e32 v11, 28, v9
	v_dual_lshlrev_b32 v3, v11, v3 :: v_dual_sub_nc_u32 v9, 29, v9
	s_delay_alu instid0(VALU_DEP_1) | instskip(NEXT) | instid1(VALU_DEP_1)
	v_dual_lshlrev_b32 v5, 24, v5 :: v_dual_bitop2_b32 v3, 7, v3 bitop3:0x40
	v_dual_cndmask_b32 v3, v7, v3, vcc_lo :: v_dual_cndmask_b32 v9, v14, v9, vcc_lo
	s_delay_alu instid0(VALU_DEP_2) | instskip(NEXT) | instid1(VALU_DEP_2)
	v_and_b32_e32 v5, 0x80000000, v5
	v_lshlrev_b32_e32 v3, 20, v3
	s_delay_alu instid0(VALU_DEP_3) | instskip(NEXT) | instid1(VALU_DEP_1)
	v_lshl_add_u32 v7, v9, 23, 0x3b800000
	v_or3_b32 v3, v5, v7, v3
	s_delay_alu instid0(VALU_DEP_1)
	v_cvt_f16_f32_e32 v3, v3
.LBB191_1326:
	s_or_b32 exec_lo, exec_lo, s9
.LBB191_1327:
	s_mov_b32 s8, -1
.LBB191_1328:
	s_branch .LBB191_1361
.LBB191_1329:
	s_cmp_gt_i32 s0, 22
	s_cbranch_scc0 .LBB191_1339
; %bb.1330:
	s_cmp_lt_i32 s0, 24
	s_cbranch_scc1 .LBB191_1342
; %bb.1331:
	s_cmp_gt_i32 s0, 24
	s_cbranch_scc0 .LBB191_1343
; %bb.1332:
	global_load_u8 v5, v[12:13], off
	s_mov_b32 s8, exec_lo
	s_wait_loadcnt 0x0
	v_cmpx_lt_i16_e32 0x7f, v5
	s_xor_b32 s8, exec_lo, s8
	s_cbranch_execz .LBB191_1355
; %bb.1333:
	s_mov_b32 s2, -1
	s_mov_b32 s9, exec_lo
	v_cmpx_eq_u16_e32 0x80, v5
; %bb.1334:
	s_xor_b32 s2, exec_lo, -1
; %bb.1335:
	s_or_b32 exec_lo, exec_lo, s9
	s_delay_alu instid0(SALU_CYCLE_1)
	s_and_b32 s2, s2, exec_lo
	s_or_saveexec_b32 s8, s8
	v_mov_b32_e32 v3, 0x7e00
	s_xor_b32 exec_lo, exec_lo, s8
	s_cbranch_execnz .LBB191_1356
.LBB191_1336:
	s_or_b32 exec_lo, exec_lo, s8
	s_and_saveexec_b32 s8, s2
	s_cbranch_execz .LBB191_1338
.LBB191_1337:
	v_and_b32_e32 v3, 0xffff, v5
	s_delay_alu instid0(VALU_DEP_1) | instskip(SKIP_1) | instid1(VALU_DEP_2)
	v_and_b32_e32 v7, 3, v3
	v_bfe_u32 v14, v3, 2, 5
	v_clz_i32_u32_e32 v9, v7
	s_delay_alu instid0(VALU_DEP_2) | instskip(NEXT) | instid1(VALU_DEP_2)
	v_cmp_eq_u32_e32 vcc_lo, 0, v14
	v_min_u32_e32 v9, 32, v9
	s_delay_alu instid0(VALU_DEP_1) | instskip(NEXT) | instid1(VALU_DEP_1)
	v_subrev_nc_u32_e32 v11, 29, v9
	v_dual_lshlrev_b32 v3, v11, v3 :: v_dual_sub_nc_u32 v9, 30, v9
	s_delay_alu instid0(VALU_DEP_1) | instskip(NEXT) | instid1(VALU_DEP_1)
	v_dual_lshlrev_b32 v5, 24, v5 :: v_dual_bitop2_b32 v3, 3, v3 bitop3:0x40
	v_dual_cndmask_b32 v3, v7, v3, vcc_lo :: v_dual_cndmask_b32 v9, v14, v9, vcc_lo
	s_delay_alu instid0(VALU_DEP_2) | instskip(NEXT) | instid1(VALU_DEP_2)
	v_and_b32_e32 v5, 0x80000000, v5
	v_lshlrev_b32_e32 v3, 21, v3
	s_delay_alu instid0(VALU_DEP_3) | instskip(NEXT) | instid1(VALU_DEP_1)
	v_lshl_add_u32 v7, v9, 23, 0x37800000
	v_or3_b32 v3, v5, v7, v3
	s_delay_alu instid0(VALU_DEP_1)
	v_cvt_f16_f32_e32 v3, v3
.LBB191_1338:
	s_or_b32 exec_lo, exec_lo, s8
	s_mov_b32 s2, 0
	s_branch .LBB191_1344
.LBB191_1339:
	s_mov_b32 s2, -1
                                        ; implicit-def: $vgpr3
	s_branch .LBB191_1350
.LBB191_1340:
	s_or_saveexec_b32 s9, s9
	v_mov_b32_e32 v3, 0x7e00
	s_xor_b32 exec_lo, exec_lo, s9
	s_cbranch_execz .LBB191_1324
.LBB191_1341:
	v_cmp_ne_u16_e32 vcc_lo, 0, v5
	v_mov_b32_e32 v3, v5
	s_and_not1_b32 s8, s8, exec_lo
	s_and_b32 s10, vcc_lo, exec_lo
	s_delay_alu instid0(SALU_CYCLE_1)
	s_or_b32 s8, s8, s10
	s_or_b32 exec_lo, exec_lo, s9
	s_and_saveexec_b32 s9, s8
	s_cbranch_execnz .LBB191_1325
	s_branch .LBB191_1326
.LBB191_1342:
	s_mov_b32 s2, -1
                                        ; implicit-def: $vgpr3
	s_branch .LBB191_1347
.LBB191_1343:
	s_mov_b32 s2, -1
                                        ; implicit-def: $vgpr3
.LBB191_1344:
	s_delay_alu instid0(SALU_CYCLE_1)
	s_and_b32 vcc_lo, exec_lo, s2
	s_cbranch_vccz .LBB191_1346
; %bb.1345:
	global_load_u8 v3, v[12:13], off
	s_wait_loadcnt 0x0
	v_lshlrev_b32_e32 v3, 24, v3
	s_delay_alu instid0(VALU_DEP_1) | instskip(NEXT) | instid1(VALU_DEP_1)
	v_and_b32_e32 v5, 0x7f000000, v3
	v_clz_i32_u32_e32 v7, v5
	v_add_nc_u32_e32 v11, 0x1000000, v5
	v_cmp_ne_u32_e32 vcc_lo, 0, v5
	s_delay_alu instid0(VALU_DEP_3) | instskip(NEXT) | instid1(VALU_DEP_1)
	v_min_u32_e32 v7, 32, v7
	v_sub_nc_u32_e64 v7, v7, 4 clamp
	s_delay_alu instid0(VALU_DEP_1) | instskip(NEXT) | instid1(VALU_DEP_1)
	v_dual_lshlrev_b32 v9, v7, v5 :: v_dual_lshlrev_b32 v7, 23, v7
	v_lshrrev_b32_e32 v9, 4, v9
	s_delay_alu instid0(VALU_DEP_1) | instskip(SKIP_1) | instid1(VALU_DEP_2)
	v_sub_nc_u32_e32 v7, v9, v7
	v_ashrrev_i32_e32 v9, 8, v11
	v_add_nc_u32_e32 v7, 0x3c000000, v7
	s_delay_alu instid0(VALU_DEP_1) | instskip(NEXT) | instid1(VALU_DEP_1)
	v_and_or_b32 v7, 0x7f800000, v9, v7
	v_cndmask_b32_e32 v5, 0, v7, vcc_lo
	s_delay_alu instid0(VALU_DEP_1) | instskip(NEXT) | instid1(VALU_DEP_1)
	v_and_or_b32 v3, 0x80000000, v3, v5
	v_cvt_f16_f32_e32 v3, v3
.LBB191_1346:
	s_mov_b32 s2, 0
.LBB191_1347:
	s_delay_alu instid0(SALU_CYCLE_1)
	s_and_not1_b32 vcc_lo, exec_lo, s2
	s_cbranch_vccnz .LBB191_1349
; %bb.1348:
	global_load_u8 v3, v[12:13], off
	s_wait_loadcnt 0x0
	v_lshlrev_b32_e32 v5, 25, v3
	v_lshlrev_b16 v3, 8, v3
	s_delay_alu instid0(VALU_DEP_1) | instskip(SKIP_1) | instid1(VALU_DEP_2)
	v_and_or_b32 v9, 0x7f00, v3, 0.5
	v_bfe_i32 v3, v3, 0, 16
	v_add_f32_e32 v9, -0.5, v9
	v_lshrrev_b32_e32 v7, 4, v5
	v_cmp_gt_u32_e32 vcc_lo, 0x8000000, v5
	s_delay_alu instid0(VALU_DEP_2) | instskip(NEXT) | instid1(VALU_DEP_1)
	v_or_b32_e32 v7, 0x70000000, v7
	v_mul_f32_e32 v7, 0x7800000, v7
	s_delay_alu instid0(VALU_DEP_1) | instskip(NEXT) | instid1(VALU_DEP_1)
	v_cndmask_b32_e32 v5, v7, v9, vcc_lo
	v_and_or_b32 v3, 0x80000000, v3, v5
	s_delay_alu instid0(VALU_DEP_1)
	v_cvt_f16_f32_e32 v3, v3
.LBB191_1349:
	s_mov_b32 s2, 0
	s_mov_b32 s8, -1
.LBB191_1350:
	s_and_not1_b32 vcc_lo, exec_lo, s2
	s_mov_b32 s2, 0
	s_cbranch_vccnz .LBB191_1361
; %bb.1351:
	s_cmp_gt_i32 s0, 14
	s_cbranch_scc0 .LBB191_1354
; %bb.1352:
	s_cmp_eq_u32 s0, 15
	s_cbranch_scc0 .LBB191_1357
; %bb.1353:
	global_load_u16 v3, v[12:13], off
	s_mov_b32 s1, 0
	s_mov_b32 s8, -1
	s_wait_loadcnt 0x0
	v_lshlrev_b32_e32 v3, 16, v3
	s_delay_alu instid0(VALU_DEP_1)
	v_cvt_f16_f32_e32 v3, v3
	s_branch .LBB191_1359
.LBB191_1354:
	s_mov_b32 s2, -1
	s_branch .LBB191_1358
.LBB191_1355:
	s_or_saveexec_b32 s8, s8
	v_mov_b32_e32 v3, 0x7e00
	s_xor_b32 exec_lo, exec_lo, s8
	s_cbranch_execz .LBB191_1336
.LBB191_1356:
	v_cmp_ne_u16_e32 vcc_lo, 0, v5
	v_mov_b32_e32 v3, v5
	s_and_not1_b32 s2, s2, exec_lo
	s_and_b32 s9, vcc_lo, exec_lo
	s_delay_alu instid0(SALU_CYCLE_1)
	s_or_b32 s2, s2, s9
	s_or_b32 exec_lo, exec_lo, s8
	s_and_saveexec_b32 s8, s2
	s_cbranch_execnz .LBB191_1337
	s_branch .LBB191_1338
.LBB191_1357:
	s_mov_b32 s1, -1
.LBB191_1358:
                                        ; implicit-def: $vgpr3
.LBB191_1359:
	s_and_b32 vcc_lo, exec_lo, s2
	s_mov_b32 s2, 0
	s_cbranch_vccz .LBB191_1361
; %bb.1360:
	s_cmp_lg_u32 s0, 11
	s_mov_b32 s2, -1
	s_cselect_b32 s1, -1, 0
.LBB191_1361:
	s_delay_alu instid0(SALU_CYCLE_1)
	s_and_b32 vcc_lo, exec_lo, s1
	s_cbranch_vccnz .LBB191_1424
; %bb.1362:
	s_and_not1_b32 vcc_lo, exec_lo, s2
	s_cbranch_vccnz .LBB191_1364
.LBB191_1363:
	global_load_u8 v3, v[12:13], off
	s_mov_b32 s8, -1
	s_wait_loadcnt 0x0
	v_cmp_ne_u16_e32 vcc_lo, 0, v3
	v_cndmask_b32_e64 v3, 0, 0x3c00, vcc_lo
.LBB191_1364:
	s_branch .LBB191_1290
.LBB191_1365:
	s_cmp_lt_i32 s0, 5
	s_cbranch_scc1 .LBB191_1370
; %bb.1366:
	s_cmp_lt_i32 s0, 8
	s_cbranch_scc1 .LBB191_1371
; %bb.1367:
	;; [unrolled: 3-line block ×3, first 2 shown]
	s_cmp_gt_i32 s0, 9
	s_cbranch_scc0 .LBB191_1373
; %bb.1369:
	global_load_b64 v[14:15], v[12:13], off
	s_mov_b32 s1, 0
	s_wait_loadcnt 0x0
	v_and_or_b32 v3, 0x1ff, v15, v14
	v_lshrrev_b32_e32 v5, 8, v15
	v_bfe_u32 v7, v15, 20, 11
	s_delay_alu instid0(VALU_DEP_3) | instskip(NEXT) | instid1(VALU_DEP_2)
	v_cmp_ne_u32_e32 vcc_lo, 0, v3
	v_sub_nc_u32_e32 v9, 0x3f1, v7
	v_add_nc_u32_e32 v7, 0xfffffc10, v7
	v_cndmask_b32_e64 v3, 0, 1, vcc_lo
	s_delay_alu instid0(VALU_DEP_1) | instskip(NEXT) | instid1(VALU_DEP_4)
	v_and_or_b32 v3, 0xffe, v5, v3
	v_med3_i32 v5, v9, 0, 13
	s_delay_alu instid0(VALU_DEP_2) | instskip(NEXT) | instid1(VALU_DEP_1)
	v_or_b32_e32 v9, 0x1000, v3
	v_lshrrev_b32_e32 v11, v5, v9
	s_delay_alu instid0(VALU_DEP_1) | instskip(NEXT) | instid1(VALU_DEP_1)
	v_lshlrev_b32_e32 v5, v5, v11
	v_cmp_ne_u32_e32 vcc_lo, v5, v9
	v_lshl_or_b32 v9, v7, 12, v3
	v_cndmask_b32_e64 v5, 0, 1, vcc_lo
	v_cmp_gt_i32_e32 vcc_lo, 1, v7
	s_delay_alu instid0(VALU_DEP_2) | instskip(NEXT) | instid1(VALU_DEP_1)
	v_or_b32_e32 v5, v11, v5
	v_cndmask_b32_e32 v5, v9, v5, vcc_lo
	s_delay_alu instid0(VALU_DEP_1) | instskip(NEXT) | instid1(VALU_DEP_1)
	v_and_b32_e32 v9, 7, v5
	v_cmp_lt_i32_e32 vcc_lo, 5, v9
	v_cndmask_b32_e64 v11, 0, 1, vcc_lo
	v_cmp_eq_u32_e32 vcc_lo, 3, v9
	v_cndmask_b32_e64 v9, 0, 1, vcc_lo
	v_cmp_ne_u32_e32 vcc_lo, 0, v3
	s_delay_alu instid0(VALU_DEP_2) | instskip(SKIP_1) | instid1(VALU_DEP_2)
	v_dual_lshrrev_b32 v5, 2, v5 :: v_dual_bitop2_b32 v9, v9, v11 bitop3:0x54
	v_mov_b32_e32 v11, 0x7e00
	v_add_nc_u32_e32 v5, v5, v9
	s_delay_alu instid0(VALU_DEP_2) | instskip(SKIP_1) | instid1(VALU_DEP_3)
	v_cndmask_b32_e32 v3, 0x7c00, v11, vcc_lo
	v_cmp_gt_i32_e32 vcc_lo, 31, v7
	v_cndmask_b32_e32 v5, 0x7c00, v5, vcc_lo
	v_cmp_eq_u32_e32 vcc_lo, 0x40f, v7
	s_delay_alu instid0(VALU_DEP_2) | instskip(SKIP_1) | instid1(VALU_DEP_1)
	v_cndmask_b32_e32 v3, v5, v3, vcc_lo
	v_lshrrev_b32_e32 v5, 16, v15
	v_and_or_b32 v3, 0x8000, v5, v3
	s_branch .LBB191_1374
.LBB191_1370:
                                        ; implicit-def: $vgpr3
	s_branch .LBB191_1392
.LBB191_1371:
	s_mov_b32 s1, -1
                                        ; implicit-def: $vgpr3
	s_branch .LBB191_1380
.LBB191_1372:
	s_mov_b32 s1, -1
                                        ; implicit-def: $vgpr3
	s_branch .LBB191_1377
.LBB191_1373:
	s_mov_b32 s1, -1
                                        ; implicit-def: $vgpr3
.LBB191_1374:
	s_delay_alu instid0(SALU_CYCLE_1)
	s_and_not1_b32 vcc_lo, exec_lo, s1
	s_cbranch_vccnz .LBB191_1376
; %bb.1375:
	global_load_b32 v3, v[12:13], off
	s_wait_loadcnt 0x0
	v_cvt_f16_f32_e32 v3, v3
.LBB191_1376:
	s_mov_b32 s1, 0
.LBB191_1377:
	s_delay_alu instid0(SALU_CYCLE_1)
	s_and_not1_b32 vcc_lo, exec_lo, s1
	s_cbranch_vccnz .LBB191_1379
; %bb.1378:
	global_load_b32 v3, v[12:13], off
.LBB191_1379:
	s_mov_b32 s1, 0
.LBB191_1380:
	s_delay_alu instid0(SALU_CYCLE_1)
	s_and_not1_b32 vcc_lo, exec_lo, s1
	s_cbranch_vccnz .LBB191_1391
; %bb.1381:
	s_cmp_lt_i32 s0, 6
	s_cbranch_scc1 .LBB191_1384
; %bb.1382:
	s_cmp_gt_i32 s0, 6
	s_cbranch_scc0 .LBB191_1385
; %bb.1383:
	global_load_b64 v[14:15], v[12:13], off
	s_mov_b32 s1, 0
	s_wait_loadcnt 0x0
	v_and_or_b32 v3, 0x1ff, v15, v14
	v_lshrrev_b32_e32 v5, 8, v15
	v_bfe_u32 v7, v15, 20, 11
	s_delay_alu instid0(VALU_DEP_3) | instskip(NEXT) | instid1(VALU_DEP_2)
	v_cmp_ne_u32_e32 vcc_lo, 0, v3
	v_sub_nc_u32_e32 v9, 0x3f1, v7
	v_add_nc_u32_e32 v7, 0xfffffc10, v7
	v_cndmask_b32_e64 v3, 0, 1, vcc_lo
	s_delay_alu instid0(VALU_DEP_1) | instskip(NEXT) | instid1(VALU_DEP_4)
	v_and_or_b32 v3, 0xffe, v5, v3
	v_med3_i32 v5, v9, 0, 13
	s_delay_alu instid0(VALU_DEP_2) | instskip(NEXT) | instid1(VALU_DEP_1)
	v_or_b32_e32 v9, 0x1000, v3
	v_lshrrev_b32_e32 v11, v5, v9
	s_delay_alu instid0(VALU_DEP_1) | instskip(NEXT) | instid1(VALU_DEP_1)
	v_lshlrev_b32_e32 v5, v5, v11
	v_cmp_ne_u32_e32 vcc_lo, v5, v9
	v_lshl_or_b32 v9, v7, 12, v3
	v_cndmask_b32_e64 v5, 0, 1, vcc_lo
	v_cmp_gt_i32_e32 vcc_lo, 1, v7
	s_delay_alu instid0(VALU_DEP_2) | instskip(NEXT) | instid1(VALU_DEP_1)
	v_or_b32_e32 v5, v11, v5
	v_cndmask_b32_e32 v5, v9, v5, vcc_lo
	s_delay_alu instid0(VALU_DEP_1) | instskip(NEXT) | instid1(VALU_DEP_1)
	v_and_b32_e32 v9, 7, v5
	v_cmp_lt_i32_e32 vcc_lo, 5, v9
	v_cndmask_b32_e64 v11, 0, 1, vcc_lo
	v_cmp_eq_u32_e32 vcc_lo, 3, v9
	v_cndmask_b32_e64 v9, 0, 1, vcc_lo
	v_cmp_ne_u32_e32 vcc_lo, 0, v3
	s_delay_alu instid0(VALU_DEP_2) | instskip(SKIP_1) | instid1(VALU_DEP_2)
	v_dual_lshrrev_b32 v5, 2, v5 :: v_dual_bitop2_b32 v9, v9, v11 bitop3:0x54
	v_mov_b32_e32 v11, 0x7e00
	v_add_nc_u32_e32 v5, v5, v9
	s_delay_alu instid0(VALU_DEP_2) | instskip(SKIP_1) | instid1(VALU_DEP_3)
	v_cndmask_b32_e32 v3, 0x7c00, v11, vcc_lo
	v_cmp_gt_i32_e32 vcc_lo, 31, v7
	v_cndmask_b32_e32 v5, 0x7c00, v5, vcc_lo
	v_cmp_eq_u32_e32 vcc_lo, 0x40f, v7
	s_delay_alu instid0(VALU_DEP_2) | instskip(SKIP_1) | instid1(VALU_DEP_1)
	v_cndmask_b32_e32 v3, v5, v3, vcc_lo
	v_lshrrev_b32_e32 v5, 16, v15
	v_and_or_b32 v3, 0x8000, v5, v3
	s_branch .LBB191_1386
.LBB191_1384:
	s_mov_b32 s1, -1
                                        ; implicit-def: $vgpr3
	s_branch .LBB191_1389
.LBB191_1385:
	s_mov_b32 s1, -1
                                        ; implicit-def: $vgpr3
.LBB191_1386:
	s_delay_alu instid0(SALU_CYCLE_1)
	s_and_not1_b32 vcc_lo, exec_lo, s1
	s_cbranch_vccnz .LBB191_1388
; %bb.1387:
	s_wait_loadcnt 0x0
	global_load_b32 v3, v[12:13], off
	s_wait_loadcnt 0x0
	v_cvt_f16_f32_e32 v3, v3
.LBB191_1388:
	s_mov_b32 s1, 0
.LBB191_1389:
	s_delay_alu instid0(SALU_CYCLE_1)
	s_and_not1_b32 vcc_lo, exec_lo, s1
	s_cbranch_vccnz .LBB191_1391
; %bb.1390:
	s_wait_loadcnt 0x0
	global_load_u16 v3, v[12:13], off
.LBB191_1391:
	s_cbranch_execnz .LBB191_1411
.LBB191_1392:
	s_cmp_lt_i32 s0, 2
	s_cbranch_scc1 .LBB191_1396
; %bb.1393:
	s_cmp_lt_i32 s0, 3
	s_cbranch_scc1 .LBB191_1397
; %bb.1394:
	s_cmp_gt_i32 s0, 3
	s_cbranch_scc0 .LBB191_1398
; %bb.1395:
	global_load_b64 v[14:15], v[12:13], off
	s_mov_b32 s1, 0
	s_wait_loadcnt 0x0
	v_xor_b32_e32 v3, v14, v15
	v_cls_i32_e32 v5, v15
	s_delay_alu instid0(VALU_DEP_2) | instskip(NEXT) | instid1(VALU_DEP_1)
	v_ashrrev_i32_e32 v3, 31, v3
	v_add_nc_u32_e32 v3, 32, v3
	s_delay_alu instid0(VALU_DEP_1) | instskip(NEXT) | instid1(VALU_DEP_1)
	v_add_min_u32_e64 v3, v5, -1, v3
	v_lshlrev_b64_e32 v[14:15], v3, v[14:15]
	v_sub_nc_u32_e32 v3, 32, v3
	s_delay_alu instid0(VALU_DEP_2) | instskip(NEXT) | instid1(VALU_DEP_1)
	v_min_u32_e32 v5, 1, v14
	v_or_b32_e32 v5, v15, v5
	s_delay_alu instid0(VALU_DEP_1) | instskip(NEXT) | instid1(VALU_DEP_1)
	v_cvt_f32_i32_e32 v5, v5
	v_ldexp_f32 v3, v5, v3
	s_delay_alu instid0(VALU_DEP_1)
	v_cvt_f16_f32_e32 v3, v3
	s_branch .LBB191_1399
.LBB191_1396:
	s_mov_b32 s1, -1
                                        ; implicit-def: $vgpr3
	s_branch .LBB191_1405
.LBB191_1397:
	s_mov_b32 s1, -1
                                        ; implicit-def: $vgpr3
	s_branch .LBB191_1402
.LBB191_1398:
	s_mov_b32 s1, -1
                                        ; implicit-def: $vgpr3
.LBB191_1399:
	s_delay_alu instid0(SALU_CYCLE_1)
	s_and_not1_b32 vcc_lo, exec_lo, s1
	s_cbranch_vccnz .LBB191_1401
; %bb.1400:
	s_wait_loadcnt 0x0
	global_load_b32 v3, v[12:13], off
	s_wait_loadcnt 0x0
	v_cvt_f32_i32_e32 v3, v3
	s_delay_alu instid0(VALU_DEP_1)
	v_cvt_f16_f32_e32 v3, v3
.LBB191_1401:
	s_mov_b32 s1, 0
.LBB191_1402:
	s_delay_alu instid0(SALU_CYCLE_1)
	s_and_not1_b32 vcc_lo, exec_lo, s1
	s_cbranch_vccnz .LBB191_1404
; %bb.1403:
	s_wait_loadcnt 0x0
	global_load_u16 v3, v[12:13], off
	s_wait_loadcnt 0x0
	v_cvt_f16_i16_e32 v3, v3
.LBB191_1404:
	s_mov_b32 s1, 0
.LBB191_1405:
	s_delay_alu instid0(SALU_CYCLE_1)
	s_and_not1_b32 vcc_lo, exec_lo, s1
	s_cbranch_vccnz .LBB191_1411
; %bb.1406:
	s_cmp_gt_i32 s0, 0
	s_mov_b32 s1, 0
	s_cbranch_scc0 .LBB191_1408
; %bb.1407:
	s_wait_loadcnt 0x0
	global_load_i8 v3, v[12:13], off
	s_wait_loadcnt 0x0
	v_cvt_f16_i16_e32 v3, v3
	s_branch .LBB191_1409
.LBB191_1408:
	s_mov_b32 s1, -1
                                        ; implicit-def: $vgpr3
.LBB191_1409:
	s_delay_alu instid0(SALU_CYCLE_1)
	s_and_not1_b32 vcc_lo, exec_lo, s1
	s_cbranch_vccnz .LBB191_1411
; %bb.1410:
	s_wait_loadcnt 0x0
	global_load_u8 v3, v[12:13], off
	s_wait_loadcnt 0x0
	v_cvt_f16_u16_e32 v3, v3
.LBB191_1411:
.LBB191_1412:
	v_mov_b32_e32 v11, 0
	s_cmp_lt_i32 s0, 11
	s_delay_alu instid0(VALU_DEP_1)
	v_add_nc_u64_e32 v[10:11], s[6:7], v[10:11]
	s_cbranch_scc1 .LBB191_1419
; %bb.1413:
	s_cmp_gt_i32 s0, 25
	s_mov_b32 s2, 0
	s_cbranch_scc0 .LBB191_1421
; %bb.1414:
	s_cmp_gt_i32 s0, 28
	s_cbranch_scc0 .LBB191_1422
; %bb.1415:
	s_cmp_gt_i32 s0, 43
	;; [unrolled: 3-line block ×3, first 2 shown]
	s_cbranch_scc0 .LBB191_1425
; %bb.1417:
	s_cmp_eq_u32 s0, 46
	s_mov_b32 s9, 0
	s_cbranch_scc0 .LBB191_1426
; %bb.1418:
	global_load_b32 v5, v[10:11], off
	s_mov_b32 s1, 0
	s_mov_b32 s8, -1
	s_wait_loadcnt 0x0
	v_lshlrev_b32_e32 v5, 16, v5
	s_wait_xcnt 0x1
	s_delay_alu instid0(VALU_DEP_1)
	v_cvt_f16_f32_e32 v12, v5
	s_branch .LBB191_1428
.LBB191_1419:
	s_mov_b32 s8, 0
                                        ; implicit-def: $vgpr12
	s_cbranch_execnz .LBB191_1494
.LBB191_1420:
	s_and_not1_b32 vcc_lo, exec_lo, s8
	s_cbranch_vccnz .LBB191_2105
	s_branch .LBB191_1542
.LBB191_1421:
	s_mov_b32 s9, -1
	s_mov_b32 s8, 0
	s_mov_b32 s1, 0
                                        ; implicit-def: $vgpr12
	s_branch .LBB191_1457
.LBB191_1422:
	s_mov_b32 s9, -1
	s_mov_b32 s8, 0
	s_mov_b32 s1, 0
                                        ; implicit-def: $vgpr12
	s_branch .LBB191_1438
.LBB191_1423:
	s_mov_b32 s9, -1
	s_mov_b32 s8, 0
	s_mov_b32 s1, 0
                                        ; implicit-def: $vgpr12
	s_branch .LBB191_1433
.LBB191_1424:
	s_or_b32 s3, s3, exec_lo
	s_trap 2
	s_cbranch_execz .LBB191_1363
	s_branch .LBB191_1364
.LBB191_1425:
	s_mov_b32 s9, -1
	s_mov_b32 s8, 0
	s_mov_b32 s1, 0
	s_branch .LBB191_1427
.LBB191_1426:
	s_mov_b32 s1, -1
	s_mov_b32 s8, 0
.LBB191_1427:
                                        ; implicit-def: $vgpr12
.LBB191_1428:
	s_and_b32 vcc_lo, exec_lo, s9
	s_cbranch_vccz .LBB191_1432
; %bb.1429:
	s_cmp_eq_u32 s0, 44
	s_cbranch_scc0 .LBB191_1431
; %bb.1430:
	global_load_u8 v5, v[10:11], off
	s_mov_b32 s1, 0
	s_mov_b32 s8, -1
	s_wait_loadcnt 0x0
	v_lshlrev_b32_e32 v7, 23, v5
	v_cmp_ne_u32_e32 vcc_lo, 0xff, v5
	s_delay_alu instid0(VALU_DEP_2) | instskip(NEXT) | instid1(VALU_DEP_1)
	v_cvt_f16_f32_e32 v7, v7
	v_cndmask_b32_e32 v7, 0x7e00, v7, vcc_lo
	v_cmp_ne_u32_e32 vcc_lo, 0, v5
	s_wait_xcnt 0x1
	s_delay_alu instid0(VALU_DEP_2)
	v_cndmask_b32_e32 v12, 0, v7, vcc_lo
	s_branch .LBB191_1432
.LBB191_1431:
	s_mov_b32 s1, -1
                                        ; implicit-def: $vgpr12
.LBB191_1432:
	s_mov_b32 s9, 0
.LBB191_1433:
	s_delay_alu instid0(SALU_CYCLE_1)
	s_and_b32 vcc_lo, exec_lo, s9
	s_cbranch_vccz .LBB191_1437
; %bb.1434:
	s_cmp_eq_u32 s0, 29
	s_cbranch_scc0 .LBB191_1436
; %bb.1435:
	global_load_b64 v[12:13], v[10:11], off
	s_mov_b32 s1, 0
	s_mov_b32 s8, -1
	s_mov_b32 s9, 0
	s_wait_loadcnt 0x0
	v_clz_i32_u32_e32 v5, v13
	s_delay_alu instid0(VALU_DEP_1) | instskip(NEXT) | instid1(VALU_DEP_1)
	v_min_u32_e32 v5, 32, v5
	v_lshlrev_b64_e32 v[12:13], v5, v[12:13]
	v_sub_nc_u32_e32 v5, 32, v5
	s_delay_alu instid0(VALU_DEP_2) | instskip(NEXT) | instid1(VALU_DEP_1)
	v_min_u32_e32 v7, 1, v12
	v_or_b32_e32 v7, v13, v7
	s_delay_alu instid0(VALU_DEP_1) | instskip(NEXT) | instid1(VALU_DEP_1)
	v_cvt_f32_u32_e32 v7, v7
	v_ldexp_f32 v5, v7, v5
	s_delay_alu instid0(VALU_DEP_1)
	v_cvt_f16_f32_e32 v12, v5
	s_branch .LBB191_1438
.LBB191_1436:
	s_mov_b32 s1, -1
                                        ; implicit-def: $vgpr12
.LBB191_1437:
	s_mov_b32 s9, 0
.LBB191_1438:
	s_delay_alu instid0(SALU_CYCLE_1)
	s_and_b32 vcc_lo, exec_lo, s9
	s_cbranch_vccz .LBB191_1456
; %bb.1439:
	s_cmp_lt_i32 s0, 27
	s_cbranch_scc1 .LBB191_1442
; %bb.1440:
	s_cmp_gt_i32 s0, 27
	s_cbranch_scc0 .LBB191_1443
; %bb.1441:
	global_load_b32 v5, v[10:11], off
	s_mov_b32 s8, 0
	s_wait_loadcnt 0x0
	v_cvt_f32_u32_e32 v5, v5
	s_wait_xcnt 0x1
	s_delay_alu instid0(VALU_DEP_1)
	v_cvt_f16_f32_e32 v12, v5
	s_branch .LBB191_1444
.LBB191_1442:
	s_mov_b32 s8, -1
                                        ; implicit-def: $vgpr12
	s_branch .LBB191_1447
.LBB191_1443:
	s_mov_b32 s8, -1
                                        ; implicit-def: $vgpr12
.LBB191_1444:
	s_delay_alu instid0(SALU_CYCLE_1)
	s_and_not1_b32 vcc_lo, exec_lo, s8
	s_cbranch_vccnz .LBB191_1446
; %bb.1445:
	global_load_u16 v5, v[10:11], off
	s_wait_loadcnt 0x0
	s_wait_xcnt 0x1
	v_cvt_f16_u16_e32 v12, v5
.LBB191_1446:
	s_mov_b32 s8, 0
.LBB191_1447:
	s_delay_alu instid0(SALU_CYCLE_1)
	s_and_not1_b32 vcc_lo, exec_lo, s8
	s_cbranch_vccnz .LBB191_1455
; %bb.1448:
	global_load_u8 v5, v[10:11], off
	s_mov_b32 s8, 0
	s_mov_b32 s9, exec_lo
	s_wait_loadcnt 0x0
	v_cmpx_lt_i16_e32 0x7f, v5
	s_xor_b32 s9, exec_lo, s9
	s_cbranch_execz .LBB191_1469
; %bb.1449:
	s_mov_b32 s8, -1
	s_mov_b32 s10, exec_lo
	v_cmpx_eq_u16_e32 0x80, v5
; %bb.1450:
	s_xor_b32 s8, exec_lo, -1
; %bb.1451:
	s_or_b32 exec_lo, exec_lo, s10
	s_delay_alu instid0(SALU_CYCLE_1)
	s_and_b32 s8, s8, exec_lo
	s_or_saveexec_b32 s9, s9
	v_mov_b32_e32 v12, 0x7e00
	s_xor_b32 exec_lo, exec_lo, s9
	s_cbranch_execnz .LBB191_1470
.LBB191_1452:
	s_or_b32 exec_lo, exec_lo, s9
	s_and_saveexec_b32 s9, s8
	s_cbranch_execz .LBB191_1454
.LBB191_1453:
	v_and_b32_e32 v7, 0xffff, v5
	s_delay_alu instid0(VALU_DEP_1) | instskip(SKIP_1) | instid1(VALU_DEP_2)
	v_and_b32_e32 v9, 7, v7
	v_bfe_u32 v14, v7, 3, 4
	v_clz_i32_u32_e32 v12, v9
	s_delay_alu instid0(VALU_DEP_2) | instskip(NEXT) | instid1(VALU_DEP_2)
	v_cmp_eq_u32_e32 vcc_lo, 0, v14
	v_min_u32_e32 v12, 32, v12
	s_delay_alu instid0(VALU_DEP_1) | instskip(NEXT) | instid1(VALU_DEP_1)
	v_subrev_nc_u32_e32 v13, 28, v12
	v_dual_lshlrev_b32 v7, v13, v7 :: v_dual_sub_nc_u32 v12, 29, v12
	s_delay_alu instid0(VALU_DEP_1) | instskip(NEXT) | instid1(VALU_DEP_1)
	v_dual_lshlrev_b32 v5, 24, v5 :: v_dual_bitop2_b32 v7, 7, v7 bitop3:0x40
	v_dual_cndmask_b32 v12, v14, v12 :: v_dual_cndmask_b32 v7, v9, v7
	s_delay_alu instid0(VALU_DEP_2) | instskip(NEXT) | instid1(VALU_DEP_2)
	v_and_b32_e32 v5, 0x80000000, v5
	v_lshl_add_u32 v9, v12, 23, 0x3b800000
	s_delay_alu instid0(VALU_DEP_3) | instskip(NEXT) | instid1(VALU_DEP_1)
	v_lshlrev_b32_e32 v7, 20, v7
	v_or3_b32 v5, v5, v9, v7
	s_delay_alu instid0(VALU_DEP_1)
	v_cvt_f16_f32_e32 v12, v5
.LBB191_1454:
	s_or_b32 exec_lo, exec_lo, s9
.LBB191_1455:
	s_mov_b32 s8, -1
.LBB191_1456:
	s_mov_b32 s9, 0
.LBB191_1457:
	s_delay_alu instid0(SALU_CYCLE_1)
	s_and_b32 vcc_lo, exec_lo, s9
	s_cbranch_vccz .LBB191_1490
; %bb.1458:
	s_cmp_gt_i32 s0, 22
	s_cbranch_scc0 .LBB191_1468
; %bb.1459:
	s_cmp_lt_i32 s0, 24
	s_cbranch_scc1 .LBB191_1471
; %bb.1460:
	s_cmp_gt_i32 s0, 24
	s_cbranch_scc0 .LBB191_1472
; %bb.1461:
	global_load_u8 v5, v[10:11], off
	s_mov_b32 s8, exec_lo
	s_wait_loadcnt 0x0
	v_cmpx_lt_i16_e32 0x7f, v5
	s_xor_b32 s8, exec_lo, s8
	s_cbranch_execz .LBB191_1484
; %bb.1462:
	s_mov_b32 s2, -1
	s_mov_b32 s9, exec_lo
	v_cmpx_eq_u16_e32 0x80, v5
; %bb.1463:
	s_xor_b32 s2, exec_lo, -1
; %bb.1464:
	s_or_b32 exec_lo, exec_lo, s9
	s_delay_alu instid0(SALU_CYCLE_1)
	s_and_b32 s2, s2, exec_lo
	s_or_saveexec_b32 s8, s8
	v_mov_b32_e32 v12, 0x7e00
	s_xor_b32 exec_lo, exec_lo, s8
	s_cbranch_execnz .LBB191_1485
.LBB191_1465:
	s_or_b32 exec_lo, exec_lo, s8
	s_and_saveexec_b32 s8, s2
	s_cbranch_execz .LBB191_1467
.LBB191_1466:
	v_and_b32_e32 v7, 0xffff, v5
	s_delay_alu instid0(VALU_DEP_1) | instskip(SKIP_1) | instid1(VALU_DEP_2)
	v_and_b32_e32 v9, 3, v7
	v_bfe_u32 v14, v7, 2, 5
	v_clz_i32_u32_e32 v12, v9
	s_delay_alu instid0(VALU_DEP_2) | instskip(NEXT) | instid1(VALU_DEP_2)
	v_cmp_eq_u32_e32 vcc_lo, 0, v14
	v_min_u32_e32 v12, 32, v12
	s_delay_alu instid0(VALU_DEP_1) | instskip(NEXT) | instid1(VALU_DEP_1)
	v_subrev_nc_u32_e32 v13, 29, v12
	v_dual_lshlrev_b32 v7, v13, v7 :: v_dual_sub_nc_u32 v12, 30, v12
	s_delay_alu instid0(VALU_DEP_1) | instskip(NEXT) | instid1(VALU_DEP_1)
	v_dual_lshlrev_b32 v5, 24, v5 :: v_dual_bitop2_b32 v7, 3, v7 bitop3:0x40
	v_dual_cndmask_b32 v12, v14, v12 :: v_dual_cndmask_b32 v7, v9, v7
	s_delay_alu instid0(VALU_DEP_2) | instskip(NEXT) | instid1(VALU_DEP_2)
	v_and_b32_e32 v5, 0x80000000, v5
	v_lshl_add_u32 v9, v12, 23, 0x37800000
	s_delay_alu instid0(VALU_DEP_3) | instskip(NEXT) | instid1(VALU_DEP_1)
	v_lshlrev_b32_e32 v7, 21, v7
	v_or3_b32 v5, v5, v9, v7
	s_delay_alu instid0(VALU_DEP_1)
	v_cvt_f16_f32_e32 v12, v5
.LBB191_1467:
	s_or_b32 exec_lo, exec_lo, s8
	s_mov_b32 s2, 0
	s_branch .LBB191_1473
.LBB191_1468:
	s_mov_b32 s2, -1
                                        ; implicit-def: $vgpr12
	s_branch .LBB191_1479
.LBB191_1469:
	s_or_saveexec_b32 s9, s9
	v_mov_b32_e32 v12, 0x7e00
	s_xor_b32 exec_lo, exec_lo, s9
	s_cbranch_execz .LBB191_1452
.LBB191_1470:
	v_cmp_ne_u16_e32 vcc_lo, 0, v5
	v_mov_b32_e32 v12, v5
	s_and_not1_b32 s8, s8, exec_lo
	s_and_b32 s10, vcc_lo, exec_lo
	s_delay_alu instid0(SALU_CYCLE_1)
	s_or_b32 s8, s8, s10
	s_or_b32 exec_lo, exec_lo, s9
	s_and_saveexec_b32 s9, s8
	s_cbranch_execnz .LBB191_1453
	s_branch .LBB191_1454
.LBB191_1471:
	s_mov_b32 s2, -1
                                        ; implicit-def: $vgpr12
	s_branch .LBB191_1476
.LBB191_1472:
	s_mov_b32 s2, -1
                                        ; implicit-def: $vgpr12
.LBB191_1473:
	s_delay_alu instid0(SALU_CYCLE_1)
	s_and_b32 vcc_lo, exec_lo, s2
	s_cbranch_vccz .LBB191_1475
; %bb.1474:
	global_load_u8 v5, v[10:11], off
	s_wait_loadcnt 0x0
	v_lshlrev_b32_e32 v5, 24, v5
	s_delay_alu instid0(VALU_DEP_1) | instskip(NEXT) | instid1(VALU_DEP_1)
	v_and_b32_e32 v7, 0x7f000000, v5
	v_clz_i32_u32_e32 v9, v7
	s_wait_xcnt 0x1
	v_add_nc_u32_e32 v13, 0x1000000, v7
	v_cmp_ne_u32_e32 vcc_lo, 0, v7
	s_delay_alu instid0(VALU_DEP_3) | instskip(NEXT) | instid1(VALU_DEP_1)
	v_min_u32_e32 v9, 32, v9
	v_sub_nc_u32_e64 v9, v9, 4 clamp
	s_delay_alu instid0(VALU_DEP_1) | instskip(NEXT) | instid1(VALU_DEP_1)
	v_dual_lshlrev_b32 v12, v9, v7 :: v_dual_lshlrev_b32 v9, 23, v9
	v_lshrrev_b32_e32 v12, 4, v12
	s_delay_alu instid0(VALU_DEP_1) | instskip(SKIP_1) | instid1(VALU_DEP_2)
	v_sub_nc_u32_e32 v9, v12, v9
	v_ashrrev_i32_e32 v12, 8, v13
	v_add_nc_u32_e32 v9, 0x3c000000, v9
	s_delay_alu instid0(VALU_DEP_1) | instskip(NEXT) | instid1(VALU_DEP_1)
	v_and_or_b32 v9, 0x7f800000, v12, v9
	v_cndmask_b32_e32 v7, 0, v9, vcc_lo
	s_delay_alu instid0(VALU_DEP_1) | instskip(NEXT) | instid1(VALU_DEP_1)
	v_and_or_b32 v5, 0x80000000, v5, v7
	v_cvt_f16_f32_e32 v12, v5
.LBB191_1475:
	s_mov_b32 s2, 0
.LBB191_1476:
	s_delay_alu instid0(SALU_CYCLE_1)
	s_and_not1_b32 vcc_lo, exec_lo, s2
	s_cbranch_vccnz .LBB191_1478
; %bb.1477:
	global_load_u8 v5, v[10:11], off
	s_wait_loadcnt 0x0
	v_lshlrev_b32_e32 v7, 25, v5
	v_lshlrev_b16 v5, 8, v5
	s_wait_xcnt 0x1
	s_delay_alu instid0(VALU_DEP_1) | instskip(SKIP_1) | instid1(VALU_DEP_2)
	v_and_or_b32 v12, 0x7f00, v5, 0.5
	v_bfe_i32 v5, v5, 0, 16
	v_dual_add_f32 v12, -0.5, v12 :: v_dual_lshrrev_b32 v9, 4, v7
	v_cmp_gt_u32_e32 vcc_lo, 0x8000000, v7
	s_delay_alu instid0(VALU_DEP_2) | instskip(NEXT) | instid1(VALU_DEP_1)
	v_or_b32_e32 v9, 0x70000000, v9
	v_mul_f32_e32 v9, 0x7800000, v9
	s_delay_alu instid0(VALU_DEP_1) | instskip(NEXT) | instid1(VALU_DEP_1)
	v_cndmask_b32_e32 v7, v9, v12, vcc_lo
	v_and_or_b32 v5, 0x80000000, v5, v7
	s_delay_alu instid0(VALU_DEP_1)
	v_cvt_f16_f32_e32 v12, v5
.LBB191_1478:
	s_mov_b32 s2, 0
	s_mov_b32 s8, -1
.LBB191_1479:
	s_and_not1_b32 vcc_lo, exec_lo, s2
	s_mov_b32 s2, 0
	s_cbranch_vccnz .LBB191_1490
; %bb.1480:
	s_cmp_gt_i32 s0, 14
	s_cbranch_scc0 .LBB191_1483
; %bb.1481:
	s_cmp_eq_u32 s0, 15
	s_cbranch_scc0 .LBB191_1486
; %bb.1482:
	global_load_u16 v5, v[10:11], off
	s_mov_b32 s1, 0
	s_mov_b32 s8, -1
	s_wait_loadcnt 0x0
	v_lshlrev_b32_e32 v5, 16, v5
	s_wait_xcnt 0x1
	s_delay_alu instid0(VALU_DEP_1)
	v_cvt_f16_f32_e32 v12, v5
	s_branch .LBB191_1488
.LBB191_1483:
	s_mov_b32 s2, -1
	s_branch .LBB191_1487
.LBB191_1484:
	s_or_saveexec_b32 s8, s8
	v_mov_b32_e32 v12, 0x7e00
	s_xor_b32 exec_lo, exec_lo, s8
	s_cbranch_execz .LBB191_1465
.LBB191_1485:
	v_cmp_ne_u16_e32 vcc_lo, 0, v5
	v_mov_b32_e32 v12, v5
	s_and_not1_b32 s2, s2, exec_lo
	s_and_b32 s9, vcc_lo, exec_lo
	s_delay_alu instid0(SALU_CYCLE_1)
	s_or_b32 s2, s2, s9
	s_or_b32 exec_lo, exec_lo, s8
	s_and_saveexec_b32 s8, s2
	s_cbranch_execnz .LBB191_1466
	s_branch .LBB191_1467
.LBB191_1486:
	s_mov_b32 s1, -1
.LBB191_1487:
                                        ; implicit-def: $vgpr12
.LBB191_1488:
	s_and_b32 vcc_lo, exec_lo, s2
	s_mov_b32 s2, 0
	s_cbranch_vccz .LBB191_1490
; %bb.1489:
	s_cmp_lg_u32 s0, 11
	s_mov_b32 s2, -1
	s_cselect_b32 s1, -1, 0
.LBB191_1490:
	s_delay_alu instid0(SALU_CYCLE_1)
	s_and_b32 vcc_lo, exec_lo, s1
	s_cbranch_vccnz .LBB191_1553
; %bb.1491:
	s_and_not1_b32 vcc_lo, exec_lo, s2
	s_cbranch_vccnz .LBB191_1493
.LBB191_1492:
	global_load_u8 v5, v[10:11], off
	s_mov_b32 s8, -1
	s_wait_loadcnt 0x0
	v_cmp_ne_u16_e32 vcc_lo, 0, v5
	s_wait_xcnt 0x1
	v_cndmask_b32_e64 v12, 0, 0x3c00, vcc_lo
.LBB191_1493:
	s_branch .LBB191_1420
.LBB191_1494:
	s_cmp_lt_i32 s0, 5
	s_cbranch_scc1 .LBB191_1499
; %bb.1495:
	s_cmp_lt_i32 s0, 8
	s_cbranch_scc1 .LBB191_1500
; %bb.1496:
	;; [unrolled: 3-line block ×3, first 2 shown]
	s_cmp_gt_i32 s0, 9
	s_cbranch_scc0 .LBB191_1502
; %bb.1498:
	global_load_b64 v[12:13], v[10:11], off
	s_mov_b32 s1, 0
	s_wait_loadcnt 0x0
	v_and_or_b32 v5, 0x1ff, v13, v12
	v_lshrrev_b32_e32 v7, 8, v13
	v_bfe_u32 v9, v13, 20, 11
	s_delay_alu instid0(VALU_DEP_3) | instskip(NEXT) | instid1(VALU_DEP_2)
	v_cmp_ne_u32_e32 vcc_lo, 0, v5
	v_sub_nc_u32_e32 v12, 0x3f1, v9
	v_add_nc_u32_e32 v9, 0xfffffc10, v9
	v_cndmask_b32_e64 v5, 0, 1, vcc_lo
	s_delay_alu instid0(VALU_DEP_1) | instskip(NEXT) | instid1(VALU_DEP_4)
	v_and_or_b32 v5, 0xffe, v7, v5
	v_med3_i32 v7, v12, 0, 13
	s_delay_alu instid0(VALU_DEP_2) | instskip(NEXT) | instid1(VALU_DEP_1)
	v_or_b32_e32 v12, 0x1000, v5
	v_lshrrev_b32_e32 v14, v7, v12
	s_delay_alu instid0(VALU_DEP_1) | instskip(NEXT) | instid1(VALU_DEP_1)
	v_lshlrev_b32_e32 v7, v7, v14
	v_cmp_ne_u32_e32 vcc_lo, v7, v12
	v_lshl_or_b32 v12, v9, 12, v5
	v_cndmask_b32_e64 v7, 0, 1, vcc_lo
	v_cmp_gt_i32_e32 vcc_lo, 1, v9
	s_delay_alu instid0(VALU_DEP_2) | instskip(NEXT) | instid1(VALU_DEP_1)
	v_or_b32_e32 v7, v14, v7
	v_cndmask_b32_e32 v7, v12, v7, vcc_lo
	s_delay_alu instid0(VALU_DEP_1) | instskip(NEXT) | instid1(VALU_DEP_1)
	v_dual_lshrrev_b32 v7, 2, v7 :: v_dual_bitop2_b32 v12, 7, v7 bitop3:0x40
	v_cmp_lt_i32_e32 vcc_lo, 5, v12
	v_cndmask_b32_e64 v14, 0, 1, vcc_lo
	v_cmp_eq_u32_e32 vcc_lo, 3, v12
	v_cndmask_b32_e64 v12, 0, 1, vcc_lo
	v_cmp_ne_u32_e32 vcc_lo, 0, v5
	s_delay_alu instid0(VALU_DEP_2) | instskip(NEXT) | instid1(VALU_DEP_1)
	v_or_b32_e32 v12, v12, v14
	v_dual_mov_b32 v14, 0x7e00 :: v_dual_add_nc_u32 v7, v7, v12
	s_delay_alu instid0(VALU_DEP_1) | instskip(SKIP_1) | instid1(VALU_DEP_3)
	v_cndmask_b32_e32 v5, 0x7c00, v14, vcc_lo
	v_cmp_gt_i32_e32 vcc_lo, 31, v9
	v_cndmask_b32_e32 v7, 0x7c00, v7, vcc_lo
	v_cmp_eq_u32_e32 vcc_lo, 0x40f, v9
	s_delay_alu instid0(VALU_DEP_2) | instskip(SKIP_1) | instid1(VALU_DEP_1)
	v_cndmask_b32_e32 v5, v7, v5, vcc_lo
	v_lshrrev_b32_e32 v7, 16, v13
	v_and_or_b32 v12, 0x8000, v7, v5
	s_branch .LBB191_1503
.LBB191_1499:
	s_mov_b32 s1, -1
                                        ; implicit-def: $vgpr12
	s_branch .LBB191_1521
.LBB191_1500:
	s_mov_b32 s1, -1
                                        ; implicit-def: $vgpr12
	s_branch .LBB191_1509
.LBB191_1501:
	s_mov_b32 s1, -1
                                        ; implicit-def: $vgpr12
	s_branch .LBB191_1506
.LBB191_1502:
	s_mov_b32 s1, -1
                                        ; implicit-def: $vgpr12
.LBB191_1503:
	s_delay_alu instid0(SALU_CYCLE_1)
	s_and_not1_b32 vcc_lo, exec_lo, s1
	s_cbranch_vccnz .LBB191_1505
; %bb.1504:
	global_load_b32 v5, v[10:11], off
	s_wait_loadcnt 0x0
	s_wait_xcnt 0x1
	v_cvt_f16_f32_e32 v12, v5
.LBB191_1505:
	s_mov_b32 s1, 0
.LBB191_1506:
	s_delay_alu instid0(SALU_CYCLE_1)
	s_and_not1_b32 vcc_lo, exec_lo, s1
	s_cbranch_vccnz .LBB191_1508
; %bb.1507:
	global_load_b32 v12, v[10:11], off
.LBB191_1508:
	s_mov_b32 s1, 0
.LBB191_1509:
	s_delay_alu instid0(SALU_CYCLE_1)
	s_and_not1_b32 vcc_lo, exec_lo, s1
	s_cbranch_vccnz .LBB191_1520
; %bb.1510:
	s_cmp_lt_i32 s0, 6
	s_cbranch_scc1 .LBB191_1513
; %bb.1511:
	s_cmp_gt_i32 s0, 6
	s_cbranch_scc0 .LBB191_1514
; %bb.1512:
	s_wait_loadcnt 0x0
	global_load_b64 v[12:13], v[10:11], off
	s_mov_b32 s1, 0
	s_wait_loadcnt 0x0
	v_and_or_b32 v5, 0x1ff, v13, v12
	v_lshrrev_b32_e32 v7, 8, v13
	v_bfe_u32 v9, v13, 20, 11
	s_delay_alu instid0(VALU_DEP_3) | instskip(NEXT) | instid1(VALU_DEP_2)
	v_cmp_ne_u32_e32 vcc_lo, 0, v5
	v_sub_nc_u32_e32 v12, 0x3f1, v9
	v_add_nc_u32_e32 v9, 0xfffffc10, v9
	v_cndmask_b32_e64 v5, 0, 1, vcc_lo
	s_delay_alu instid0(VALU_DEP_1) | instskip(NEXT) | instid1(VALU_DEP_4)
	v_and_or_b32 v5, 0xffe, v7, v5
	v_med3_i32 v7, v12, 0, 13
	s_delay_alu instid0(VALU_DEP_2) | instskip(NEXT) | instid1(VALU_DEP_1)
	v_or_b32_e32 v12, 0x1000, v5
	v_lshrrev_b32_e32 v14, v7, v12
	s_delay_alu instid0(VALU_DEP_1) | instskip(NEXT) | instid1(VALU_DEP_1)
	v_lshlrev_b32_e32 v7, v7, v14
	v_cmp_ne_u32_e32 vcc_lo, v7, v12
	v_lshl_or_b32 v12, v9, 12, v5
	v_cndmask_b32_e64 v7, 0, 1, vcc_lo
	v_cmp_gt_i32_e32 vcc_lo, 1, v9
	s_delay_alu instid0(VALU_DEP_2) | instskip(NEXT) | instid1(VALU_DEP_1)
	v_or_b32_e32 v7, v14, v7
	v_cndmask_b32_e32 v7, v12, v7, vcc_lo
	s_delay_alu instid0(VALU_DEP_1) | instskip(NEXT) | instid1(VALU_DEP_1)
	v_dual_lshrrev_b32 v7, 2, v7 :: v_dual_bitop2_b32 v12, 7, v7 bitop3:0x40
	v_cmp_lt_i32_e32 vcc_lo, 5, v12
	v_cndmask_b32_e64 v14, 0, 1, vcc_lo
	v_cmp_eq_u32_e32 vcc_lo, 3, v12
	v_cndmask_b32_e64 v12, 0, 1, vcc_lo
	v_cmp_ne_u32_e32 vcc_lo, 0, v5
	s_delay_alu instid0(VALU_DEP_2) | instskip(NEXT) | instid1(VALU_DEP_1)
	v_or_b32_e32 v12, v12, v14
	v_dual_mov_b32 v14, 0x7e00 :: v_dual_add_nc_u32 v7, v7, v12
	s_delay_alu instid0(VALU_DEP_1) | instskip(SKIP_1) | instid1(VALU_DEP_3)
	v_cndmask_b32_e32 v5, 0x7c00, v14, vcc_lo
	v_cmp_gt_i32_e32 vcc_lo, 31, v9
	v_cndmask_b32_e32 v7, 0x7c00, v7, vcc_lo
	v_cmp_eq_u32_e32 vcc_lo, 0x40f, v9
	s_delay_alu instid0(VALU_DEP_2) | instskip(SKIP_1) | instid1(VALU_DEP_1)
	v_cndmask_b32_e32 v5, v7, v5, vcc_lo
	v_lshrrev_b32_e32 v7, 16, v13
	v_and_or_b32 v12, 0x8000, v7, v5
	s_branch .LBB191_1515
.LBB191_1513:
	s_mov_b32 s1, -1
                                        ; implicit-def: $vgpr12
	s_branch .LBB191_1518
.LBB191_1514:
	s_mov_b32 s1, -1
                                        ; implicit-def: $vgpr12
.LBB191_1515:
	s_delay_alu instid0(SALU_CYCLE_1)
	s_and_not1_b32 vcc_lo, exec_lo, s1
	s_cbranch_vccnz .LBB191_1517
; %bb.1516:
	global_load_b32 v5, v[10:11], off
	s_wait_loadcnt 0x0
	s_wait_xcnt 0x1
	v_cvt_f16_f32_e32 v12, v5
.LBB191_1517:
	s_mov_b32 s1, 0
.LBB191_1518:
	s_delay_alu instid0(SALU_CYCLE_1)
	s_and_not1_b32 vcc_lo, exec_lo, s1
	s_cbranch_vccnz .LBB191_1520
; %bb.1519:
	s_wait_loadcnt 0x0
	global_load_u16 v12, v[10:11], off
.LBB191_1520:
	s_mov_b32 s1, 0
.LBB191_1521:
	s_delay_alu instid0(SALU_CYCLE_1)
	s_and_not1_b32 vcc_lo, exec_lo, s1
	s_cbranch_vccnz .LBB191_1541
; %bb.1522:
	s_cmp_lt_i32 s0, 2
	s_cbranch_scc1 .LBB191_1526
; %bb.1523:
	s_cmp_lt_i32 s0, 3
	s_cbranch_scc1 .LBB191_1527
; %bb.1524:
	s_cmp_gt_i32 s0, 3
	s_cbranch_scc0 .LBB191_1528
; %bb.1525:
	s_wait_loadcnt 0x0
	global_load_b64 v[12:13], v[10:11], off
	s_mov_b32 s1, 0
	s_wait_loadcnt 0x0
	v_xor_b32_e32 v5, v12, v13
	v_cls_i32_e32 v7, v13
	s_delay_alu instid0(VALU_DEP_2) | instskip(NEXT) | instid1(VALU_DEP_1)
	v_ashrrev_i32_e32 v5, 31, v5
	v_add_nc_u32_e32 v5, 32, v5
	s_delay_alu instid0(VALU_DEP_1) | instskip(NEXT) | instid1(VALU_DEP_1)
	v_add_min_u32_e64 v5, v7, -1, v5
	v_lshlrev_b64_e32 v[12:13], v5, v[12:13]
	v_sub_nc_u32_e32 v5, 32, v5
	s_delay_alu instid0(VALU_DEP_2) | instskip(NEXT) | instid1(VALU_DEP_1)
	v_min_u32_e32 v7, 1, v12
	v_or_b32_e32 v7, v13, v7
	s_delay_alu instid0(VALU_DEP_1) | instskip(NEXT) | instid1(VALU_DEP_1)
	v_cvt_f32_i32_e32 v7, v7
	v_ldexp_f32 v5, v7, v5
	s_delay_alu instid0(VALU_DEP_1)
	v_cvt_f16_f32_e32 v12, v5
	s_branch .LBB191_1529
.LBB191_1526:
	s_mov_b32 s1, -1
                                        ; implicit-def: $vgpr12
	s_branch .LBB191_1535
.LBB191_1527:
	s_mov_b32 s1, -1
                                        ; implicit-def: $vgpr12
	s_branch .LBB191_1532
.LBB191_1528:
	s_mov_b32 s1, -1
                                        ; implicit-def: $vgpr12
.LBB191_1529:
	s_delay_alu instid0(SALU_CYCLE_1)
	s_and_not1_b32 vcc_lo, exec_lo, s1
	s_cbranch_vccnz .LBB191_1531
; %bb.1530:
	global_load_b32 v5, v[10:11], off
	s_wait_loadcnt 0x0
	v_cvt_f32_i32_e32 v5, v5
	s_wait_xcnt 0x1
	s_delay_alu instid0(VALU_DEP_1)
	v_cvt_f16_f32_e32 v12, v5
.LBB191_1531:
	s_mov_b32 s1, 0
.LBB191_1532:
	s_delay_alu instid0(SALU_CYCLE_1)
	s_and_not1_b32 vcc_lo, exec_lo, s1
	s_cbranch_vccnz .LBB191_1534
; %bb.1533:
	global_load_u16 v5, v[10:11], off
	s_wait_loadcnt 0x0
	s_wait_xcnt 0x1
	v_cvt_f16_i16_e32 v12, v5
.LBB191_1534:
	s_mov_b32 s1, 0
.LBB191_1535:
	s_delay_alu instid0(SALU_CYCLE_1)
	s_and_not1_b32 vcc_lo, exec_lo, s1
	s_cbranch_vccnz .LBB191_1541
; %bb.1536:
	s_cmp_gt_i32 s0, 0
	s_mov_b32 s1, 0
	s_cbranch_scc0 .LBB191_1538
; %bb.1537:
	global_load_i8 v5, v[10:11], off
	s_wait_loadcnt 0x0
	s_wait_xcnt 0x1
	v_cvt_f16_i16_e32 v12, v5
	s_branch .LBB191_1539
.LBB191_1538:
	s_mov_b32 s1, -1
                                        ; implicit-def: $vgpr12
.LBB191_1539:
	s_delay_alu instid0(SALU_CYCLE_1)
	s_and_not1_b32 vcc_lo, exec_lo, s1
	s_cbranch_vccnz .LBB191_1541
; %bb.1540:
	global_load_u8 v5, v[10:11], off
	s_wait_loadcnt 0x0
	s_wait_xcnt 0x1
	v_cvt_f16_u16_e32 v12, v5
.LBB191_1541:
.LBB191_1542:
	v_mov_b32_e32 v9, 0
	s_cmp_lt_i32 s0, 11
	s_delay_alu instid0(VALU_DEP_1)
	v_add_nc_u64_e32 v[8:9], s[6:7], v[8:9]
	s_cbranch_scc1 .LBB191_1549
; %bb.1543:
	s_cmp_gt_i32 s0, 25
	s_mov_b32 s2, 0
	s_cbranch_scc0 .LBB191_1550
; %bb.1544:
	s_cmp_gt_i32 s0, 28
	s_cbranch_scc0 .LBB191_1551
; %bb.1545:
	s_cmp_gt_i32 s0, 43
	;; [unrolled: 3-line block ×3, first 2 shown]
	s_cbranch_scc0 .LBB191_1554
; %bb.1547:
	s_cmp_eq_u32 s0, 46
	s_mov_b32 s7, 0
	s_cbranch_scc0 .LBB191_1555
; %bb.1548:
	global_load_b32 v5, v[8:9], off
	s_mov_b32 s1, 0
	s_mov_b32 s6, -1
	s_wait_loadcnt 0x0
	v_lshlrev_b32_e32 v5, 16, v5
	s_wait_xcnt 0x1
	s_delay_alu instid0(VALU_DEP_1)
	v_cvt_f16_f32_e32 v10, v5
	s_branch .LBB191_1557
.LBB191_1549:
	s_mov_b32 s1, -1
	s_mov_b32 s6, 0
                                        ; implicit-def: $vgpr10
	s_branch .LBB191_1623
.LBB191_1550:
	s_mov_b32 s7, -1
	s_mov_b32 s6, 0
	s_mov_b32 s1, 0
                                        ; implicit-def: $vgpr10
	s_branch .LBB191_1586
.LBB191_1551:
	s_mov_b32 s7, -1
	s_mov_b32 s6, 0
	s_mov_b32 s1, 0
                                        ; implicit-def: $vgpr10
	s_branch .LBB191_1567
.LBB191_1552:
	s_mov_b32 s7, -1
	s_mov_b32 s6, 0
	s_mov_b32 s1, 0
                                        ; implicit-def: $vgpr10
	s_branch .LBB191_1562
.LBB191_1553:
	s_or_b32 s3, s3, exec_lo
	s_trap 2
	s_cbranch_execz .LBB191_1492
	s_branch .LBB191_1493
.LBB191_1554:
	s_mov_b32 s7, -1
	s_mov_b32 s6, 0
	s_mov_b32 s1, 0
	s_branch .LBB191_1556
.LBB191_1555:
	s_mov_b32 s1, -1
	s_mov_b32 s6, 0
.LBB191_1556:
                                        ; implicit-def: $vgpr10
.LBB191_1557:
	s_and_b32 vcc_lo, exec_lo, s7
	s_cbranch_vccz .LBB191_1561
; %bb.1558:
	s_cmp_eq_u32 s0, 44
	s_cbranch_scc0 .LBB191_1560
; %bb.1559:
	global_load_u8 v5, v[8:9], off
	s_mov_b32 s1, 0
	s_mov_b32 s6, -1
	s_wait_loadcnt 0x0
	v_lshlrev_b32_e32 v7, 23, v5
	v_cmp_ne_u32_e32 vcc_lo, 0xff, v5
	s_delay_alu instid0(VALU_DEP_2) | instskip(NEXT) | instid1(VALU_DEP_1)
	v_cvt_f16_f32_e32 v7, v7
	v_cndmask_b32_e32 v7, 0x7e00, v7, vcc_lo
	v_cmp_ne_u32_e32 vcc_lo, 0, v5
	s_wait_xcnt 0x1
	s_delay_alu instid0(VALU_DEP_2)
	v_cndmask_b32_e32 v10, 0, v7, vcc_lo
	s_branch .LBB191_1561
.LBB191_1560:
	s_mov_b32 s1, -1
                                        ; implicit-def: $vgpr10
.LBB191_1561:
	s_mov_b32 s7, 0
.LBB191_1562:
	s_delay_alu instid0(SALU_CYCLE_1)
	s_and_b32 vcc_lo, exec_lo, s7
	s_cbranch_vccz .LBB191_1566
; %bb.1563:
	s_cmp_eq_u32 s0, 29
	s_cbranch_scc0 .LBB191_1565
; %bb.1564:
	global_load_b64 v[10:11], v[8:9], off
	s_mov_b32 s1, 0
	s_mov_b32 s6, -1
	s_mov_b32 s7, 0
	s_wait_loadcnt 0x0
	v_clz_i32_u32_e32 v5, v11
	s_delay_alu instid0(VALU_DEP_1) | instskip(NEXT) | instid1(VALU_DEP_1)
	v_min_u32_e32 v5, 32, v5
	v_lshlrev_b64_e32 v[10:11], v5, v[10:11]
	v_sub_nc_u32_e32 v5, 32, v5
	s_delay_alu instid0(VALU_DEP_2) | instskip(NEXT) | instid1(VALU_DEP_1)
	v_min_u32_e32 v7, 1, v10
	v_or_b32_e32 v7, v11, v7
	s_delay_alu instid0(VALU_DEP_1) | instskip(NEXT) | instid1(VALU_DEP_1)
	v_cvt_f32_u32_e32 v7, v7
	v_ldexp_f32 v5, v7, v5
	s_delay_alu instid0(VALU_DEP_1)
	v_cvt_f16_f32_e32 v10, v5
	s_branch .LBB191_1567
.LBB191_1565:
	s_mov_b32 s1, -1
                                        ; implicit-def: $vgpr10
.LBB191_1566:
	s_mov_b32 s7, 0
.LBB191_1567:
	s_delay_alu instid0(SALU_CYCLE_1)
	s_and_b32 vcc_lo, exec_lo, s7
	s_cbranch_vccz .LBB191_1585
; %bb.1568:
	s_cmp_lt_i32 s0, 27
	s_cbranch_scc1 .LBB191_1571
; %bb.1569:
	s_cmp_gt_i32 s0, 27
	s_cbranch_scc0 .LBB191_1572
; %bb.1570:
	global_load_b32 v5, v[8:9], off
	s_mov_b32 s6, 0
	s_wait_loadcnt 0x0
	v_cvt_f32_u32_e32 v5, v5
	s_wait_xcnt 0x1
	s_delay_alu instid0(VALU_DEP_1)
	v_cvt_f16_f32_e32 v10, v5
	s_branch .LBB191_1573
.LBB191_1571:
	s_mov_b32 s6, -1
                                        ; implicit-def: $vgpr10
	s_branch .LBB191_1576
.LBB191_1572:
	s_mov_b32 s6, -1
                                        ; implicit-def: $vgpr10
.LBB191_1573:
	s_delay_alu instid0(SALU_CYCLE_1)
	s_and_not1_b32 vcc_lo, exec_lo, s6
	s_cbranch_vccnz .LBB191_1575
; %bb.1574:
	global_load_u16 v5, v[8:9], off
	s_wait_loadcnt 0x0
	s_wait_xcnt 0x1
	v_cvt_f16_u16_e32 v10, v5
.LBB191_1575:
	s_mov_b32 s6, 0
.LBB191_1576:
	s_delay_alu instid0(SALU_CYCLE_1)
	s_and_not1_b32 vcc_lo, exec_lo, s6
	s_cbranch_vccnz .LBB191_1584
; %bb.1577:
	global_load_u8 v5, v[8:9], off
	s_mov_b32 s6, 0
	s_mov_b32 s7, exec_lo
	s_wait_loadcnt 0x0
	v_cmpx_lt_i16_e32 0x7f, v5
	s_xor_b32 s7, exec_lo, s7
	s_cbranch_execz .LBB191_1598
; %bb.1578:
	s_mov_b32 s6, -1
	s_mov_b32 s8, exec_lo
	v_cmpx_eq_u16_e32 0x80, v5
; %bb.1579:
	s_xor_b32 s6, exec_lo, -1
; %bb.1580:
	s_or_b32 exec_lo, exec_lo, s8
	s_delay_alu instid0(SALU_CYCLE_1)
	s_and_b32 s6, s6, exec_lo
	s_or_saveexec_b32 s7, s7
	v_mov_b32_e32 v10, 0x7e00
	s_xor_b32 exec_lo, exec_lo, s7
	s_cbranch_execnz .LBB191_1599
.LBB191_1581:
	s_or_b32 exec_lo, exec_lo, s7
	s_and_saveexec_b32 s7, s6
	s_cbranch_execz .LBB191_1583
.LBB191_1582:
	v_and_b32_e32 v7, 0xffff, v5
	s_delay_alu instid0(VALU_DEP_1) | instskip(SKIP_1) | instid1(VALU_DEP_2)
	v_dual_lshlrev_b32 v5, 24, v5 :: v_dual_bitop2_b32 v10, 7, v7 bitop3:0x40
	v_bfe_u32 v14, v7, 3, 4
	v_and_b32_e32 v5, 0x80000000, v5
	s_delay_alu instid0(VALU_DEP_3) | instskip(NEXT) | instid1(VALU_DEP_3)
	v_clz_i32_u32_e32 v11, v10
	v_cmp_eq_u32_e32 vcc_lo, 0, v14
	s_delay_alu instid0(VALU_DEP_2) | instskip(NEXT) | instid1(VALU_DEP_1)
	v_min_u32_e32 v11, 32, v11
	v_subrev_nc_u32_e32 v13, 28, v11
	v_sub_nc_u32_e32 v11, 29, v11
	s_delay_alu instid0(VALU_DEP_2) | instskip(NEXT) | instid1(VALU_DEP_2)
	v_lshlrev_b32_e32 v7, v13, v7
	v_cndmask_b32_e32 v11, v14, v11, vcc_lo
	s_delay_alu instid0(VALU_DEP_2) | instskip(NEXT) | instid1(VALU_DEP_1)
	v_and_b32_e32 v7, 7, v7
	v_cndmask_b32_e32 v7, v10, v7, vcc_lo
	s_delay_alu instid0(VALU_DEP_3) | instskip(NEXT) | instid1(VALU_DEP_2)
	v_lshl_add_u32 v10, v11, 23, 0x3b800000
	v_lshlrev_b32_e32 v7, 20, v7
	s_delay_alu instid0(VALU_DEP_1) | instskip(NEXT) | instid1(VALU_DEP_1)
	v_or3_b32 v5, v5, v10, v7
	v_cvt_f16_f32_e32 v10, v5
.LBB191_1583:
	s_or_b32 exec_lo, exec_lo, s7
.LBB191_1584:
	s_mov_b32 s6, -1
.LBB191_1585:
	s_mov_b32 s7, 0
.LBB191_1586:
	s_delay_alu instid0(SALU_CYCLE_1)
	s_and_b32 vcc_lo, exec_lo, s7
	s_cbranch_vccz .LBB191_1619
; %bb.1587:
	s_cmp_gt_i32 s0, 22
	s_cbranch_scc0 .LBB191_1597
; %bb.1588:
	s_cmp_lt_i32 s0, 24
	s_cbranch_scc1 .LBB191_1600
; %bb.1589:
	s_cmp_gt_i32 s0, 24
	s_cbranch_scc0 .LBB191_1601
; %bb.1590:
	global_load_u8 v5, v[8:9], off
	s_mov_b32 s6, exec_lo
	s_wait_loadcnt 0x0
	v_cmpx_lt_i16_e32 0x7f, v5
	s_xor_b32 s6, exec_lo, s6
	s_cbranch_execz .LBB191_1613
; %bb.1591:
	s_mov_b32 s2, -1
	s_mov_b32 s7, exec_lo
	v_cmpx_eq_u16_e32 0x80, v5
; %bb.1592:
	s_xor_b32 s2, exec_lo, -1
; %bb.1593:
	s_or_b32 exec_lo, exec_lo, s7
	s_delay_alu instid0(SALU_CYCLE_1)
	s_and_b32 s2, s2, exec_lo
	s_or_saveexec_b32 s6, s6
	v_mov_b32_e32 v10, 0x7e00
	s_xor_b32 exec_lo, exec_lo, s6
	s_cbranch_execnz .LBB191_1614
.LBB191_1594:
	s_or_b32 exec_lo, exec_lo, s6
	s_and_saveexec_b32 s6, s2
	s_cbranch_execz .LBB191_1596
.LBB191_1595:
	v_and_b32_e32 v7, 0xffff, v5
	s_delay_alu instid0(VALU_DEP_1) | instskip(SKIP_1) | instid1(VALU_DEP_2)
	v_dual_lshlrev_b32 v5, 24, v5 :: v_dual_bitop2_b32 v10, 3, v7 bitop3:0x40
	v_bfe_u32 v14, v7, 2, 5
	v_and_b32_e32 v5, 0x80000000, v5
	s_delay_alu instid0(VALU_DEP_3) | instskip(NEXT) | instid1(VALU_DEP_3)
	v_clz_i32_u32_e32 v11, v10
	v_cmp_eq_u32_e32 vcc_lo, 0, v14
	s_delay_alu instid0(VALU_DEP_2) | instskip(NEXT) | instid1(VALU_DEP_1)
	v_min_u32_e32 v11, 32, v11
	v_subrev_nc_u32_e32 v13, 29, v11
	v_sub_nc_u32_e32 v11, 30, v11
	s_delay_alu instid0(VALU_DEP_2) | instskip(NEXT) | instid1(VALU_DEP_2)
	v_lshlrev_b32_e32 v7, v13, v7
	v_cndmask_b32_e32 v11, v14, v11, vcc_lo
	s_delay_alu instid0(VALU_DEP_2) | instskip(NEXT) | instid1(VALU_DEP_1)
	v_and_b32_e32 v7, 3, v7
	v_cndmask_b32_e32 v7, v10, v7, vcc_lo
	s_delay_alu instid0(VALU_DEP_3) | instskip(NEXT) | instid1(VALU_DEP_2)
	v_lshl_add_u32 v10, v11, 23, 0x37800000
	v_lshlrev_b32_e32 v7, 21, v7
	s_delay_alu instid0(VALU_DEP_1) | instskip(NEXT) | instid1(VALU_DEP_1)
	v_or3_b32 v5, v5, v10, v7
	v_cvt_f16_f32_e32 v10, v5
.LBB191_1596:
	s_or_b32 exec_lo, exec_lo, s6
	s_mov_b32 s2, 0
	s_branch .LBB191_1602
.LBB191_1597:
	s_mov_b32 s2, -1
                                        ; implicit-def: $vgpr10
	s_branch .LBB191_1608
.LBB191_1598:
	s_or_saveexec_b32 s7, s7
	v_mov_b32_e32 v10, 0x7e00
	s_xor_b32 exec_lo, exec_lo, s7
	s_cbranch_execz .LBB191_1581
.LBB191_1599:
	v_cmp_ne_u16_e32 vcc_lo, 0, v5
	v_mov_b32_e32 v10, v5
	s_and_not1_b32 s6, s6, exec_lo
	s_and_b32 s8, vcc_lo, exec_lo
	s_delay_alu instid0(SALU_CYCLE_1)
	s_or_b32 s6, s6, s8
	s_or_b32 exec_lo, exec_lo, s7
	s_and_saveexec_b32 s7, s6
	s_cbranch_execnz .LBB191_1582
	s_branch .LBB191_1583
.LBB191_1600:
	s_mov_b32 s2, -1
                                        ; implicit-def: $vgpr10
	s_branch .LBB191_1605
.LBB191_1601:
	s_mov_b32 s2, -1
                                        ; implicit-def: $vgpr10
.LBB191_1602:
	s_delay_alu instid0(SALU_CYCLE_1)
	s_and_b32 vcc_lo, exec_lo, s2
	s_cbranch_vccz .LBB191_1604
; %bb.1603:
	global_load_u8 v5, v[8:9], off
	s_wait_loadcnt 0x0
	v_lshlrev_b32_e32 v5, 24, v5
	s_delay_alu instid0(VALU_DEP_1) | instskip(SKIP_1) | instid1(VALU_DEP_1)
	v_and_b32_e32 v7, 0x7f000000, v5
	s_wait_xcnt 0x1
	v_clz_i32_u32_e32 v10, v7
	v_add_nc_u32_e32 v13, 0x1000000, v7
	v_cmp_ne_u32_e32 vcc_lo, 0, v7
	s_delay_alu instid0(VALU_DEP_3) | instskip(NEXT) | instid1(VALU_DEP_1)
	v_min_u32_e32 v10, 32, v10
	v_sub_nc_u32_e64 v10, v10, 4 clamp
	s_delay_alu instid0(VALU_DEP_1) | instskip(NEXT) | instid1(VALU_DEP_1)
	v_dual_lshlrev_b32 v11, v10, v7 :: v_dual_lshlrev_b32 v10, 23, v10
	v_lshrrev_b32_e32 v11, 4, v11
	s_delay_alu instid0(VALU_DEP_1) | instskip(NEXT) | instid1(VALU_DEP_1)
	v_dual_sub_nc_u32 v10, v11, v10 :: v_dual_ashrrev_i32 v11, 8, v13
	v_add_nc_u32_e32 v10, 0x3c000000, v10
	s_delay_alu instid0(VALU_DEP_1) | instskip(NEXT) | instid1(VALU_DEP_1)
	v_and_or_b32 v10, 0x7f800000, v11, v10
	v_cndmask_b32_e32 v7, 0, v10, vcc_lo
	s_delay_alu instid0(VALU_DEP_1) | instskip(NEXT) | instid1(VALU_DEP_1)
	v_and_or_b32 v5, 0x80000000, v5, v7
	v_cvt_f16_f32_e32 v10, v5
.LBB191_1604:
	s_mov_b32 s2, 0
.LBB191_1605:
	s_delay_alu instid0(SALU_CYCLE_1)
	s_and_not1_b32 vcc_lo, exec_lo, s2
	s_cbranch_vccnz .LBB191_1607
; %bb.1606:
	global_load_u8 v5, v[8:9], off
	s_wait_loadcnt 0x0
	v_lshlrev_b32_e32 v7, 25, v5
	v_lshlrev_b16 v5, 8, v5
	s_wait_xcnt 0x1
	s_delay_alu instid0(VALU_DEP_1) | instskip(SKIP_1) | instid1(VALU_DEP_2)
	v_and_or_b32 v11, 0x7f00, v5, 0.5
	v_bfe_i32 v5, v5, 0, 16
	v_add_f32_e32 v11, -0.5, v11
	v_lshrrev_b32_e32 v10, 4, v7
	v_cmp_gt_u32_e32 vcc_lo, 0x8000000, v7
	s_delay_alu instid0(VALU_DEP_2) | instskip(NEXT) | instid1(VALU_DEP_1)
	v_or_b32_e32 v10, 0x70000000, v10
	v_mul_f32_e32 v10, 0x7800000, v10
	s_delay_alu instid0(VALU_DEP_1) | instskip(NEXT) | instid1(VALU_DEP_1)
	v_cndmask_b32_e32 v7, v10, v11, vcc_lo
	v_and_or_b32 v5, 0x80000000, v5, v7
	s_delay_alu instid0(VALU_DEP_1)
	v_cvt_f16_f32_e32 v10, v5
.LBB191_1607:
	s_mov_b32 s2, 0
	s_mov_b32 s6, -1
.LBB191_1608:
	s_and_not1_b32 vcc_lo, exec_lo, s2
	s_mov_b32 s2, 0
	s_cbranch_vccnz .LBB191_1619
; %bb.1609:
	s_cmp_gt_i32 s0, 14
	s_cbranch_scc0 .LBB191_1612
; %bb.1610:
	s_cmp_eq_u32 s0, 15
	s_cbranch_scc0 .LBB191_1615
; %bb.1611:
	global_load_u16 v5, v[8:9], off
	s_mov_b32 s1, 0
	s_mov_b32 s6, -1
	s_wait_loadcnt 0x0
	v_lshlrev_b32_e32 v5, 16, v5
	s_wait_xcnt 0x1
	s_delay_alu instid0(VALU_DEP_1)
	v_cvt_f16_f32_e32 v10, v5
	s_branch .LBB191_1617
.LBB191_1612:
	s_mov_b32 s2, -1
	s_branch .LBB191_1616
.LBB191_1613:
	s_or_saveexec_b32 s6, s6
	v_mov_b32_e32 v10, 0x7e00
	s_xor_b32 exec_lo, exec_lo, s6
	s_cbranch_execz .LBB191_1594
.LBB191_1614:
	v_cmp_ne_u16_e32 vcc_lo, 0, v5
	v_mov_b32_e32 v10, v5
	s_and_not1_b32 s2, s2, exec_lo
	s_and_b32 s7, vcc_lo, exec_lo
	s_delay_alu instid0(SALU_CYCLE_1)
	s_or_b32 s2, s2, s7
	s_or_b32 exec_lo, exec_lo, s6
	s_and_saveexec_b32 s6, s2
	s_cbranch_execnz .LBB191_1595
	s_branch .LBB191_1596
.LBB191_1615:
	s_mov_b32 s1, -1
.LBB191_1616:
                                        ; implicit-def: $vgpr10
.LBB191_1617:
	s_and_b32 vcc_lo, exec_lo, s2
	s_mov_b32 s2, 0
	s_cbranch_vccz .LBB191_1619
; %bb.1618:
	s_cmp_lg_u32 s0, 11
	s_mov_b32 s2, -1
	s_cselect_b32 s1, -1, 0
.LBB191_1619:
	s_delay_alu instid0(SALU_CYCLE_1)
	s_and_b32 vcc_lo, exec_lo, s1
	s_cbranch_vccnz .LBB191_2151
; %bb.1620:
	s_and_not1_b32 vcc_lo, exec_lo, s2
	s_cbranch_vccnz .LBB191_1622
.LBB191_1621:
	global_load_u8 v5, v[8:9], off
	s_mov_b32 s6, -1
	s_wait_loadcnt 0x0
	v_cmp_ne_u16_e32 vcc_lo, 0, v5
	s_wait_xcnt 0x1
	v_cndmask_b32_e64 v10, 0, 0x3c00, vcc_lo
.LBB191_1622:
	s_mov_b32 s1, 0
.LBB191_1623:
	s_delay_alu instid0(SALU_CYCLE_1)
	s_and_b32 vcc_lo, exec_lo, s1
	s_cbranch_vccz .LBB191_1672
; %bb.1624:
	s_cmp_lt_i32 s0, 5
	s_cbranch_scc1 .LBB191_1629
; %bb.1625:
	s_cmp_lt_i32 s0, 8
	s_cbranch_scc1 .LBB191_1630
	;; [unrolled: 3-line block ×3, first 2 shown]
; %bb.1627:
	s_cmp_gt_i32 s0, 9
	s_cbranch_scc0 .LBB191_1632
; %bb.1628:
	global_load_b64 v[10:11], v[8:9], off
	s_mov_b32 s1, 0
	s_wait_loadcnt 0x0
	v_and_or_b32 v5, 0x1ff, v11, v10
	v_lshrrev_b32_e32 v7, 8, v11
	v_bfe_u32 v10, v11, 20, 11
	s_delay_alu instid0(VALU_DEP_3) | instskip(NEXT) | instid1(VALU_DEP_2)
	v_cmp_ne_u32_e32 vcc_lo, 0, v5
	v_sub_nc_u32_e32 v13, 0x3f1, v10
	v_add_nc_u32_e32 v10, 0xfffffc10, v10
	v_cndmask_b32_e64 v5, 0, 1, vcc_lo
	s_delay_alu instid0(VALU_DEP_1) | instskip(NEXT) | instid1(VALU_DEP_4)
	v_and_or_b32 v5, 0xffe, v7, v5
	v_med3_i32 v7, v13, 0, 13
	s_delay_alu instid0(VALU_DEP_2) | instskip(NEXT) | instid1(VALU_DEP_1)
	v_or_b32_e32 v13, 0x1000, v5
	v_lshrrev_b32_e32 v14, v7, v13
	s_delay_alu instid0(VALU_DEP_1) | instskip(NEXT) | instid1(VALU_DEP_1)
	v_lshlrev_b32_e32 v7, v7, v14
	v_cmp_ne_u32_e32 vcc_lo, v7, v13
	v_lshl_or_b32 v13, v10, 12, v5
	v_cndmask_b32_e64 v7, 0, 1, vcc_lo
	v_cmp_gt_i32_e32 vcc_lo, 1, v10
	s_delay_alu instid0(VALU_DEP_2) | instskip(NEXT) | instid1(VALU_DEP_1)
	v_or_b32_e32 v7, v14, v7
	v_cndmask_b32_e32 v7, v13, v7, vcc_lo
	s_delay_alu instid0(VALU_DEP_1) | instskip(NEXT) | instid1(VALU_DEP_1)
	v_dual_lshrrev_b32 v7, 2, v7 :: v_dual_bitop2_b32 v13, 7, v7 bitop3:0x40
	v_cmp_lt_i32_e32 vcc_lo, 5, v13
	v_cndmask_b32_e64 v14, 0, 1, vcc_lo
	v_cmp_eq_u32_e32 vcc_lo, 3, v13
	v_cndmask_b32_e64 v13, 0, 1, vcc_lo
	v_cmp_ne_u32_e32 vcc_lo, 0, v5
	s_delay_alu instid0(VALU_DEP_2) | instskip(NEXT) | instid1(VALU_DEP_1)
	v_or_b32_e32 v13, v13, v14
	v_dual_mov_b32 v14, 0x7e00 :: v_dual_add_nc_u32 v7, v7, v13
	s_delay_alu instid0(VALU_DEP_1) | instskip(SKIP_1) | instid1(VALU_DEP_3)
	v_cndmask_b32_e32 v5, 0x7c00, v14, vcc_lo
	v_cmp_gt_i32_e32 vcc_lo, 31, v10
	v_cndmask_b32_e32 v7, 0x7c00, v7, vcc_lo
	v_cmp_eq_u32_e32 vcc_lo, 0x40f, v10
	s_delay_alu instid0(VALU_DEP_2) | instskip(NEXT) | instid1(VALU_DEP_1)
	v_dual_cndmask_b32 v5, v7, v5, vcc_lo :: v_dual_lshrrev_b32 v7, 16, v11
	v_and_or_b32 v10, 0x8000, v7, v5
	s_branch .LBB191_1633
.LBB191_1629:
	s_mov_b32 s1, -1
                                        ; implicit-def: $vgpr10
	s_branch .LBB191_1651
.LBB191_1630:
	s_mov_b32 s1, -1
                                        ; implicit-def: $vgpr10
	s_branch .LBB191_1639
.LBB191_1631:
	s_mov_b32 s1, -1
                                        ; implicit-def: $vgpr10
	s_branch .LBB191_1636
.LBB191_1632:
	s_mov_b32 s1, -1
                                        ; implicit-def: $vgpr10
.LBB191_1633:
	s_delay_alu instid0(SALU_CYCLE_1)
	s_and_not1_b32 vcc_lo, exec_lo, s1
	s_cbranch_vccnz .LBB191_1635
; %bb.1634:
	global_load_b32 v5, v[8:9], off
	s_wait_loadcnt 0x0
	s_wait_xcnt 0x1
	v_cvt_f16_f32_e32 v10, v5
.LBB191_1635:
	s_mov_b32 s1, 0
.LBB191_1636:
	s_delay_alu instid0(SALU_CYCLE_1)
	s_and_not1_b32 vcc_lo, exec_lo, s1
	s_cbranch_vccnz .LBB191_1638
; %bb.1637:
	global_load_b32 v10, v[8:9], off
.LBB191_1638:
	s_mov_b32 s1, 0
.LBB191_1639:
	s_delay_alu instid0(SALU_CYCLE_1)
	s_and_not1_b32 vcc_lo, exec_lo, s1
	s_cbranch_vccnz .LBB191_1650
; %bb.1640:
	s_cmp_lt_i32 s0, 6
	s_cbranch_scc1 .LBB191_1643
; %bb.1641:
	s_cmp_gt_i32 s0, 6
	s_cbranch_scc0 .LBB191_1644
; %bb.1642:
	s_wait_loadcnt 0x0
	global_load_b64 v[10:11], v[8:9], off
	s_mov_b32 s1, 0
	s_wait_loadcnt 0x0
	v_and_or_b32 v5, 0x1ff, v11, v10
	v_lshrrev_b32_e32 v7, 8, v11
	v_bfe_u32 v10, v11, 20, 11
	s_delay_alu instid0(VALU_DEP_3) | instskip(NEXT) | instid1(VALU_DEP_2)
	v_cmp_ne_u32_e32 vcc_lo, 0, v5
	v_sub_nc_u32_e32 v13, 0x3f1, v10
	v_add_nc_u32_e32 v10, 0xfffffc10, v10
	v_cndmask_b32_e64 v5, 0, 1, vcc_lo
	s_delay_alu instid0(VALU_DEP_1) | instskip(NEXT) | instid1(VALU_DEP_4)
	v_and_or_b32 v5, 0xffe, v7, v5
	v_med3_i32 v7, v13, 0, 13
	s_delay_alu instid0(VALU_DEP_2) | instskip(NEXT) | instid1(VALU_DEP_1)
	v_or_b32_e32 v13, 0x1000, v5
	v_lshrrev_b32_e32 v14, v7, v13
	s_delay_alu instid0(VALU_DEP_1) | instskip(NEXT) | instid1(VALU_DEP_1)
	v_lshlrev_b32_e32 v7, v7, v14
	v_cmp_ne_u32_e32 vcc_lo, v7, v13
	v_lshl_or_b32 v13, v10, 12, v5
	v_cndmask_b32_e64 v7, 0, 1, vcc_lo
	v_cmp_gt_i32_e32 vcc_lo, 1, v10
	s_delay_alu instid0(VALU_DEP_2) | instskip(NEXT) | instid1(VALU_DEP_1)
	v_or_b32_e32 v7, v14, v7
	v_cndmask_b32_e32 v7, v13, v7, vcc_lo
	s_delay_alu instid0(VALU_DEP_1) | instskip(NEXT) | instid1(VALU_DEP_1)
	v_dual_lshrrev_b32 v7, 2, v7 :: v_dual_bitop2_b32 v13, 7, v7 bitop3:0x40
	v_cmp_lt_i32_e32 vcc_lo, 5, v13
	v_cndmask_b32_e64 v14, 0, 1, vcc_lo
	v_cmp_eq_u32_e32 vcc_lo, 3, v13
	v_cndmask_b32_e64 v13, 0, 1, vcc_lo
	v_cmp_ne_u32_e32 vcc_lo, 0, v5
	s_delay_alu instid0(VALU_DEP_2) | instskip(NEXT) | instid1(VALU_DEP_1)
	v_or_b32_e32 v13, v13, v14
	v_dual_mov_b32 v14, 0x7e00 :: v_dual_add_nc_u32 v7, v7, v13
	s_delay_alu instid0(VALU_DEP_1) | instskip(SKIP_1) | instid1(VALU_DEP_3)
	v_cndmask_b32_e32 v5, 0x7c00, v14, vcc_lo
	v_cmp_gt_i32_e32 vcc_lo, 31, v10
	v_cndmask_b32_e32 v7, 0x7c00, v7, vcc_lo
	v_cmp_eq_u32_e32 vcc_lo, 0x40f, v10
	s_delay_alu instid0(VALU_DEP_2) | instskip(NEXT) | instid1(VALU_DEP_1)
	v_dual_cndmask_b32 v5, v7, v5, vcc_lo :: v_dual_lshrrev_b32 v7, 16, v11
	v_and_or_b32 v10, 0x8000, v7, v5
	s_branch .LBB191_1645
.LBB191_1643:
	s_mov_b32 s1, -1
                                        ; implicit-def: $vgpr10
	s_branch .LBB191_1648
.LBB191_1644:
	s_mov_b32 s1, -1
                                        ; implicit-def: $vgpr10
.LBB191_1645:
	s_delay_alu instid0(SALU_CYCLE_1)
	s_and_not1_b32 vcc_lo, exec_lo, s1
	s_cbranch_vccnz .LBB191_1647
; %bb.1646:
	global_load_b32 v5, v[8:9], off
	s_wait_loadcnt 0x0
	s_wait_xcnt 0x1
	v_cvt_f16_f32_e32 v10, v5
.LBB191_1647:
	s_mov_b32 s1, 0
.LBB191_1648:
	s_delay_alu instid0(SALU_CYCLE_1)
	s_and_not1_b32 vcc_lo, exec_lo, s1
	s_cbranch_vccnz .LBB191_1650
; %bb.1649:
	s_wait_loadcnt 0x0
	global_load_u16 v10, v[8:9], off
.LBB191_1650:
	s_mov_b32 s1, 0
.LBB191_1651:
	s_delay_alu instid0(SALU_CYCLE_1)
	s_and_not1_b32 vcc_lo, exec_lo, s1
	s_cbranch_vccnz .LBB191_1671
; %bb.1652:
	s_cmp_lt_i32 s0, 2
	s_cbranch_scc1 .LBB191_1656
; %bb.1653:
	s_cmp_lt_i32 s0, 3
	s_cbranch_scc1 .LBB191_1657
; %bb.1654:
	s_cmp_gt_i32 s0, 3
	s_cbranch_scc0 .LBB191_1658
; %bb.1655:
	s_wait_loadcnt 0x0
	global_load_b64 v[10:11], v[8:9], off
	s_mov_b32 s1, 0
	s_wait_loadcnt 0x0
	v_xor_b32_e32 v5, v10, v11
	v_cls_i32_e32 v7, v11
	s_delay_alu instid0(VALU_DEP_2) | instskip(NEXT) | instid1(VALU_DEP_1)
	v_ashrrev_i32_e32 v5, 31, v5
	v_add_nc_u32_e32 v5, 32, v5
	s_delay_alu instid0(VALU_DEP_1) | instskip(NEXT) | instid1(VALU_DEP_1)
	v_add_min_u32_e64 v5, v7, -1, v5
	v_lshlrev_b64_e32 v[10:11], v5, v[10:11]
	v_sub_nc_u32_e32 v5, 32, v5
	s_delay_alu instid0(VALU_DEP_2) | instskip(NEXT) | instid1(VALU_DEP_1)
	v_min_u32_e32 v7, 1, v10
	v_or_b32_e32 v7, v11, v7
	s_delay_alu instid0(VALU_DEP_1) | instskip(NEXT) | instid1(VALU_DEP_1)
	v_cvt_f32_i32_e32 v7, v7
	v_ldexp_f32 v5, v7, v5
	s_delay_alu instid0(VALU_DEP_1)
	v_cvt_f16_f32_e32 v10, v5
	s_branch .LBB191_1659
.LBB191_1656:
	s_mov_b32 s1, -1
                                        ; implicit-def: $vgpr10
	s_branch .LBB191_1665
.LBB191_1657:
	s_mov_b32 s1, -1
                                        ; implicit-def: $vgpr10
	s_branch .LBB191_1662
.LBB191_1658:
	s_mov_b32 s1, -1
                                        ; implicit-def: $vgpr10
.LBB191_1659:
	s_delay_alu instid0(SALU_CYCLE_1)
	s_and_not1_b32 vcc_lo, exec_lo, s1
	s_cbranch_vccnz .LBB191_1661
; %bb.1660:
	global_load_b32 v5, v[8:9], off
	s_wait_loadcnt 0x0
	v_cvt_f32_i32_e32 v5, v5
	s_wait_xcnt 0x1
	s_delay_alu instid0(VALU_DEP_1)
	v_cvt_f16_f32_e32 v10, v5
.LBB191_1661:
	s_mov_b32 s1, 0
.LBB191_1662:
	s_delay_alu instid0(SALU_CYCLE_1)
	s_and_not1_b32 vcc_lo, exec_lo, s1
	s_cbranch_vccnz .LBB191_1664
; %bb.1663:
	global_load_u16 v5, v[8:9], off
	s_wait_loadcnt 0x0
	s_wait_xcnt 0x1
	v_cvt_f16_i16_e32 v10, v5
.LBB191_1664:
	s_mov_b32 s1, 0
.LBB191_1665:
	s_delay_alu instid0(SALU_CYCLE_1)
	s_and_not1_b32 vcc_lo, exec_lo, s1
	s_cbranch_vccnz .LBB191_1671
; %bb.1666:
	s_cmp_gt_i32 s0, 0
	s_mov_b32 s0, 0
	s_cbranch_scc0 .LBB191_1668
; %bb.1667:
	global_load_i8 v5, v[8:9], off
	s_wait_loadcnt 0x0
	s_wait_xcnt 0x1
	v_cvt_f16_i16_e32 v10, v5
	s_branch .LBB191_1669
.LBB191_1668:
	s_mov_b32 s0, -1
                                        ; implicit-def: $vgpr10
.LBB191_1669:
	s_delay_alu instid0(SALU_CYCLE_1)
	s_and_not1_b32 vcc_lo, exec_lo, s0
	s_cbranch_vccnz .LBB191_1671
; %bb.1670:
	global_load_u8 v5, v[8:9], off
	s_wait_loadcnt 0x0
	s_wait_xcnt 0x1
	v_cvt_f16_u16_e32 v10, v5
.LBB191_1671:
	s_mov_b32 s6, -1
.LBB191_1672:
	s_delay_alu instid0(SALU_CYCLE_1)
	s_and_not1_b32 vcc_lo, exec_lo, s6
	s_cbranch_vccnz .LBB191_2105
; %bb.1673:
	s_load_b96 s[8:10], s[20:21], 0x158
	s_mov_b32 s2, -1
	v_mov_b32_e32 v7, 0
	s_delay_alu instid0(VALU_DEP_1)
	v_add_nc_u64_e32 v[6:7], s[4:5], v[6:7]
	s_wait_loadcnt 0x0
	s_wait_kmcnt 0x0
	v_cmp_eq_f16_e32 vcc_lo, s9, v1
	s_cmp_eq_u32 s8, 0
	s_cselect_b32 s0, -1, 0
	s_and_b32 s6, s10, 0xff
	v_cndmask_b32_e64 v5, 0, 1, vcc_lo
	v_cmp_neq_f16_e32 vcc_lo, s9, v1
	s_mov_b32 s10, 0
	s_cmp_lt_i32 s6, 11
	v_cndmask_b32_e64 v1, 0, 1, vcc_lo
	s_delay_alu instid0(VALU_DEP_1) | instskip(NEXT) | instid1(VALU_DEP_1)
	v_cndmask_b32_e64 v1, v1, v5, s0
	v_and_b32_e32 v1, 1, v1
	s_delay_alu instid0(VALU_DEP_1)
	v_cmp_eq_u32_e64 s1, 1, v1
	s_cbranch_scc1 .LBB191_1752
; %bb.1674:
	s_and_b32 s7, 0xffff, s6
	s_mov_b32 s13, -1
	s_mov_b32 s8, 0
	s_cmp_gt_i32 s7, 25
	s_mov_b32 s2, 0
	s_cbranch_scc0 .LBB191_1707
; %bb.1675:
	s_cmp_gt_i32 s7, 28
	s_cbranch_scc0 .LBB191_1690
; %bb.1676:
	s_cmp_gt_i32 s7, 43
	;; [unrolled: 3-line block ×3, first 2 shown]
	s_cbranch_scc0 .LBB191_1680
; %bb.1678:
	s_mov_b32 s2, -1
	s_mov_b32 s13, 0
	s_cmp_eq_u32 s7, 46
	s_cbranch_scc0 .LBB191_1680
; %bb.1679:
	v_cndmask_b32_e64 v1, 0, 1.0, s1
	s_mov_b32 s2, 0
	s_mov_b32 s10, -1
	s_delay_alu instid0(VALU_DEP_1) | instskip(NEXT) | instid1(VALU_DEP_1)
	v_bfe_u32 v5, v1, 16, 1
	v_add3_u32 v1, v1, v5, 0x7fff
	s_delay_alu instid0(VALU_DEP_1)
	v_lshrrev_b32_e32 v1, 16, v1
	global_store_b32 v[6:7], v1, off
.LBB191_1680:
	s_and_b32 vcc_lo, exec_lo, s13
	s_cbranch_vccz .LBB191_1685
; %bb.1681:
	s_cmp_eq_u32 s7, 44
	s_mov_b32 s2, -1
	s_cbranch_scc0 .LBB191_1685
; %bb.1682:
	v_cndmask_b32_e64 v8, 0, 1.0, s1
	v_mov_b32_e32 v5, 0xff
	s_mov_b32 s10, exec_lo
	s_wait_xcnt 0x0
	s_delay_alu instid0(VALU_DEP_2) | instskip(NEXT) | instid1(VALU_DEP_1)
	v_lshrrev_b32_e32 v1, 23, v8
	v_cmpx_ne_u32_e32 0xff, v1
; %bb.1683:
	v_and_b32_e32 v5, 0x400000, v8
	v_and_or_b32 v8, 0x3fffff, v8, v1
	s_delay_alu instid0(VALU_DEP_2) | instskip(NEXT) | instid1(VALU_DEP_2)
	v_cmp_ne_u32_e32 vcc_lo, 0, v5
	v_cmp_ne_u32_e64 s2, 0, v8
	s_and_b32 s2, vcc_lo, s2
	s_delay_alu instid0(SALU_CYCLE_1) | instskip(NEXT) | instid1(VALU_DEP_1)
	v_cndmask_b32_e64 v5, 0, 1, s2
	v_add_nc_u32_e32 v5, v1, v5
; %bb.1684:
	s_or_b32 exec_lo, exec_lo, s10
	s_mov_b32 s2, 0
	s_mov_b32 s10, -1
	global_store_b8 v[6:7], v5, off
.LBB191_1685:
	s_mov_b32 s13, 0
.LBB191_1686:
	s_delay_alu instid0(SALU_CYCLE_1)
	s_and_b32 vcc_lo, exec_lo, s13
	s_cbranch_vccz .LBB191_1689
; %bb.1687:
	s_cmp_eq_u32 s7, 29
	s_mov_b32 s2, -1
	s_cbranch_scc0 .LBB191_1689
; %bb.1688:
	s_mov_b32 s2, 0
	v_cndmask_b32_e64 v8, 0, 1, s1
	v_mov_b32_e32 v9, s2
	s_mov_b32 s10, -1
	global_store_b64 v[6:7], v[8:9], off
.LBB191_1689:
	s_mov_b32 s13, 0
.LBB191_1690:
	s_delay_alu instid0(SALU_CYCLE_1)
	s_and_b32 vcc_lo, exec_lo, s13
	s_cbranch_vccz .LBB191_1706
; %bb.1691:
	s_cmp_lt_i32 s7, 27
	s_mov_b32 s10, -1
	s_cbranch_scc1 .LBB191_1697
; %bb.1692:
	s_cmp_gt_i32 s7, 27
	s_cbranch_scc0 .LBB191_1694
; %bb.1693:
	s_wait_xcnt 0x0
	v_cndmask_b32_e64 v1, 0, 1, s1
	s_mov_b32 s10, 0
	global_store_b32 v[6:7], v1, off
.LBB191_1694:
	s_and_not1_b32 vcc_lo, exec_lo, s10
	s_cbranch_vccnz .LBB191_1696
; %bb.1695:
	s_wait_xcnt 0x0
	v_cndmask_b32_e64 v1, 0, 1, s1
	global_store_b16 v[6:7], v1, off
.LBB191_1696:
	s_mov_b32 s10, 0
.LBB191_1697:
	s_delay_alu instid0(SALU_CYCLE_1)
	s_and_not1_b32 vcc_lo, exec_lo, s10
	s_cbranch_vccnz .LBB191_1705
; %bb.1698:
	s_wait_xcnt 0x0
	v_cndmask_b32_e64 v5, 0, 1.0, s1
	v_mov_b32_e32 v8, 0x80
	s_mov_b32 s10, exec_lo
	s_delay_alu instid0(VALU_DEP_2)
	v_cmpx_gt_u32_e32 0x43800000, v5
	s_cbranch_execz .LBB191_1704
; %bb.1699:
	s_mov_b32 s13, 0
	s_mov_b32 s14, exec_lo
                                        ; implicit-def: $vgpr1
	v_cmpx_lt_u32_e32 0x3bffffff, v5
	s_xor_b32 s14, exec_lo, s14
	s_cbranch_execz .LBB191_2152
; %bb.1700:
	v_bfe_u32 v1, v5, 20, 1
	s_mov_b32 s13, exec_lo
	s_delay_alu instid0(VALU_DEP_1) | instskip(NEXT) | instid1(VALU_DEP_1)
	v_add3_u32 v1, v5, v1, 0x487ffff
                                        ; implicit-def: $vgpr5
	v_lshrrev_b32_e32 v1, 20, v1
	s_and_not1_saveexec_b32 s14, s14
	s_cbranch_execnz .LBB191_2153
.LBB191_1701:
	s_or_b32 exec_lo, exec_lo, s14
	v_mov_b32_e32 v8, 0
	s_and_saveexec_b32 s14, s13
.LBB191_1702:
	v_mov_b32_e32 v8, v1
.LBB191_1703:
	s_or_b32 exec_lo, exec_lo, s14
.LBB191_1704:
	s_delay_alu instid0(SALU_CYCLE_1)
	s_or_b32 exec_lo, exec_lo, s10
	global_store_b8 v[6:7], v8, off
.LBB191_1705:
	s_mov_b32 s10, -1
.LBB191_1706:
	s_mov_b32 s13, 0
.LBB191_1707:
	s_delay_alu instid0(SALU_CYCLE_1)
	s_and_b32 vcc_lo, exec_lo, s13
	s_cbranch_vccz .LBB191_1747
; %bb.1708:
	s_cmp_gt_i32 s7, 22
	s_mov_b32 s8, -1
	s_cbranch_scc0 .LBB191_1740
; %bb.1709:
	s_cmp_lt_i32 s7, 24
	s_cbranch_scc1 .LBB191_1729
; %bb.1710:
	s_cmp_gt_i32 s7, 24
	s_cbranch_scc0 .LBB191_1718
; %bb.1711:
	s_wait_xcnt 0x0
	v_cndmask_b32_e64 v5, 0, 1.0, s1
	v_mov_b32_e32 v8, 0x80
	s_mov_b32 s8, exec_lo
	s_delay_alu instid0(VALU_DEP_2)
	v_cmpx_gt_u32_e32 0x47800000, v5
	s_cbranch_execz .LBB191_1717
; %bb.1712:
	s_mov_b32 s10, 0
	s_mov_b32 s13, exec_lo
                                        ; implicit-def: $vgpr1
	v_cmpx_lt_u32_e32 0x37ffffff, v5
	s_xor_b32 s13, exec_lo, s13
	s_cbranch_execz .LBB191_2155
; %bb.1713:
	v_bfe_u32 v1, v5, 21, 1
	s_mov_b32 s10, exec_lo
	s_delay_alu instid0(VALU_DEP_1) | instskip(NEXT) | instid1(VALU_DEP_1)
	v_add3_u32 v1, v5, v1, 0x88fffff
                                        ; implicit-def: $vgpr5
	v_lshrrev_b32_e32 v1, 21, v1
	s_and_not1_saveexec_b32 s13, s13
	s_cbranch_execnz .LBB191_2156
.LBB191_1714:
	s_or_b32 exec_lo, exec_lo, s13
	v_mov_b32_e32 v8, 0
	s_and_saveexec_b32 s13, s10
.LBB191_1715:
	v_mov_b32_e32 v8, v1
.LBB191_1716:
	s_or_b32 exec_lo, exec_lo, s13
.LBB191_1717:
	s_delay_alu instid0(SALU_CYCLE_1)
	s_or_b32 exec_lo, exec_lo, s8
	s_mov_b32 s8, 0
	global_store_b8 v[6:7], v8, off
.LBB191_1718:
	s_and_b32 vcc_lo, exec_lo, s8
	s_cbranch_vccz .LBB191_1728
; %bb.1719:
	s_wait_xcnt 0x0
	v_cndmask_b32_e64 v5, 0, 1.0, s1
	s_mov_b32 s8, exec_lo
                                        ; implicit-def: $vgpr1
	s_delay_alu instid0(VALU_DEP_1)
	v_cmpx_gt_u32_e32 0x43f00000, v5
	s_xor_b32 s8, exec_lo, s8
	s_cbranch_execz .LBB191_1725
; %bb.1720:
	s_mov_b32 s10, exec_lo
                                        ; implicit-def: $vgpr1
	v_cmpx_lt_u32_e32 0x3c7fffff, v5
	s_xor_b32 s10, exec_lo, s10
; %bb.1721:
	v_bfe_u32 v1, v5, 20, 1
	s_delay_alu instid0(VALU_DEP_1) | instskip(NEXT) | instid1(VALU_DEP_1)
	v_add3_u32 v1, v5, v1, 0x407ffff
	v_and_b32_e32 v5, 0xff00000, v1
	v_lshrrev_b32_e32 v1, 20, v1
	s_delay_alu instid0(VALU_DEP_2) | instskip(NEXT) | instid1(VALU_DEP_2)
	v_cmp_ne_u32_e32 vcc_lo, 0x7f00000, v5
                                        ; implicit-def: $vgpr5
	v_cndmask_b32_e32 v1, 0x7e, v1, vcc_lo
; %bb.1722:
	s_and_not1_saveexec_b32 s10, s10
; %bb.1723:
	v_add_f32_e32 v1, 0x46800000, v5
; %bb.1724:
	s_or_b32 exec_lo, exec_lo, s10
                                        ; implicit-def: $vgpr5
.LBB191_1725:
	s_and_not1_saveexec_b32 s8, s8
; %bb.1726:
	v_mov_b32_e32 v1, 0x7f
	v_cmp_lt_u32_e32 vcc_lo, 0x7f800000, v5
	s_delay_alu instid0(VALU_DEP_2)
	v_cndmask_b32_e32 v1, 0x7e, v1, vcc_lo
; %bb.1727:
	s_or_b32 exec_lo, exec_lo, s8
	global_store_b8 v[6:7], v1, off
.LBB191_1728:
	s_mov_b32 s8, 0
.LBB191_1729:
	s_delay_alu instid0(SALU_CYCLE_1)
	s_and_not1_b32 vcc_lo, exec_lo, s8
	s_cbranch_vccnz .LBB191_1739
; %bb.1730:
	s_wait_xcnt 0x0
	v_cndmask_b32_e64 v5, 0, 1.0, s1
	s_mov_b32 s8, exec_lo
                                        ; implicit-def: $vgpr1
	s_delay_alu instid0(VALU_DEP_1)
	v_cmpx_gt_u32_e32 0x47800000, v5
	s_xor_b32 s8, exec_lo, s8
	s_cbranch_execz .LBB191_1736
; %bb.1731:
	s_mov_b32 s10, exec_lo
                                        ; implicit-def: $vgpr1
	v_cmpx_lt_u32_e32 0x387fffff, v5
	s_xor_b32 s10, exec_lo, s10
; %bb.1732:
	v_bfe_u32 v1, v5, 21, 1
	s_delay_alu instid0(VALU_DEP_1) | instskip(NEXT) | instid1(VALU_DEP_1)
	v_add3_u32 v1, v5, v1, 0x80fffff
                                        ; implicit-def: $vgpr5
	v_lshrrev_b32_e32 v1, 21, v1
; %bb.1733:
	s_and_not1_saveexec_b32 s10, s10
; %bb.1734:
	v_add_f32_e32 v1, 0x43000000, v5
; %bb.1735:
	s_or_b32 exec_lo, exec_lo, s10
                                        ; implicit-def: $vgpr5
.LBB191_1736:
	s_and_not1_saveexec_b32 s8, s8
; %bb.1737:
	v_mov_b32_e32 v1, 0x7f
	v_cmp_lt_u32_e32 vcc_lo, 0x7f800000, v5
	s_delay_alu instid0(VALU_DEP_2)
	v_cndmask_b32_e32 v1, 0x7c, v1, vcc_lo
; %bb.1738:
	s_or_b32 exec_lo, exec_lo, s8
	global_store_b8 v[6:7], v1, off
.LBB191_1739:
	s_mov_b32 s8, 0
	s_mov_b32 s10, -1
.LBB191_1740:
	s_and_not1_b32 vcc_lo, exec_lo, s8
	s_mov_b32 s8, 0
	s_cbranch_vccnz .LBB191_1747
; %bb.1741:
	s_cmp_gt_i32 s7, 14
	s_mov_b32 s8, -1
	s_cbranch_scc0 .LBB191_1745
; %bb.1742:
	s_cmp_eq_u32 s7, 15
	s_mov_b32 s2, -1
	s_cbranch_scc0 .LBB191_1744
; %bb.1743:
	s_wait_xcnt 0x0
	v_cndmask_b32_e64 v1, 0, 1.0, s1
	s_mov_b32 s2, 0
	s_mov_b32 s10, -1
	s_delay_alu instid0(VALU_DEP_1) | instskip(NEXT) | instid1(VALU_DEP_1)
	v_bfe_u32 v5, v1, 16, 1
	v_add3_u32 v1, v1, v5, 0x7fff
	global_store_d16_hi_b16 v[6:7], v1, off
.LBB191_1744:
	s_mov_b32 s8, 0
.LBB191_1745:
	s_delay_alu instid0(SALU_CYCLE_1)
	s_and_b32 vcc_lo, exec_lo, s8
	s_mov_b32 s8, 0
	s_cbranch_vccz .LBB191_1747
; %bb.1746:
	s_cmp_lg_u32 s7, 11
	s_mov_b32 s8, -1
	s_cselect_b32 s2, -1, 0
.LBB191_1747:
	s_delay_alu instid0(SALU_CYCLE_1)
	s_and_b32 vcc_lo, exec_lo, s2
	s_cbranch_vccnz .LBB191_2154
; %bb.1748:
	s_and_not1_b32 vcc_lo, exec_lo, s8
	s_cbranch_vccnz .LBB191_1750
.LBB191_1749:
	s_wait_xcnt 0x0
	v_cndmask_b32_e64 v1, 0, 1, s1
	s_mov_b32 s10, -1
	global_store_b8 v[6:7], v1, off
.LBB191_1750:
.LBB191_1751:
	s_and_not1_b32 vcc_lo, exec_lo, s10
	s_cbranch_vccnz .LBB191_2105
	s_branch .LBB191_1791
.LBB191_1752:
	s_and_b32 vcc_lo, exec_lo, s2
	s_cbranch_vccz .LBB191_1751
; %bb.1753:
	s_and_b32 s2, 0xffff, s6
	s_mov_b32 s7, -1
	s_cmp_lt_i32 s2, 5
	s_cbranch_scc1 .LBB191_1774
; %bb.1754:
	s_cmp_lt_i32 s2, 8
	s_cbranch_scc1 .LBB191_1764
; %bb.1755:
	;; [unrolled: 3-line block ×3, first 2 shown]
	s_cmp_gt_i32 s2, 9
	s_cbranch_scc0 .LBB191_1758
; %bb.1757:
	s_wait_xcnt 0x0
	v_cndmask_b32_e64 v1, 0, 1, s1
	v_mov_b32_e32 v16, 0
	s_mov_b32 s7, 0
	s_delay_alu instid0(VALU_DEP_2) | instskip(NEXT) | instid1(VALU_DEP_2)
	v_cvt_f64_u32_e32 v[14:15], v1
	v_mov_b32_e32 v17, v16
	global_store_b128 v[6:7], v[14:17], off
.LBB191_1758:
	s_and_not1_b32 vcc_lo, exec_lo, s7
	s_cbranch_vccnz .LBB191_1760
; %bb.1759:
	s_wait_xcnt 0x0
	v_cndmask_b32_e64 v8, 0, 1.0, s1
	v_mov_b32_e32 v9, 0
	global_store_b64 v[6:7], v[8:9], off
.LBB191_1760:
	s_mov_b32 s7, 0
.LBB191_1761:
	s_delay_alu instid0(SALU_CYCLE_1)
	s_and_not1_b32 vcc_lo, exec_lo, s7
	s_cbranch_vccnz .LBB191_1763
; %bb.1762:
	s_wait_xcnt 0x0
	v_cndmask_b32_e64 v1, 0, 1.0, s1
	s_delay_alu instid0(VALU_DEP_1) | instskip(NEXT) | instid1(VALU_DEP_1)
	v_cvt_f16_f32_e32 v1, v1
	v_and_b32_e32 v1, 0xffff, v1
	global_store_b32 v[6:7], v1, off
.LBB191_1763:
	s_mov_b32 s7, 0
.LBB191_1764:
	s_delay_alu instid0(SALU_CYCLE_1)
	s_and_not1_b32 vcc_lo, exec_lo, s7
	s_cbranch_vccnz .LBB191_1773
; %bb.1765:
	s_cmp_lt_i32 s2, 6
	s_mov_b32 s7, -1
	s_cbranch_scc1 .LBB191_1771
; %bb.1766:
	s_cmp_gt_i32 s2, 6
	s_cbranch_scc0 .LBB191_1768
; %bb.1767:
	s_wait_xcnt 0x0
	v_cndmask_b32_e64 v1, 0, 1, s1
	s_mov_b32 s7, 0
	s_delay_alu instid0(VALU_DEP_1)
	v_cvt_f64_u32_e32 v[8:9], v1
	global_store_b64 v[6:7], v[8:9], off
.LBB191_1768:
	s_and_not1_b32 vcc_lo, exec_lo, s7
	s_cbranch_vccnz .LBB191_1770
; %bb.1769:
	s_wait_xcnt 0x0
	v_cndmask_b32_e64 v1, 0, 1.0, s1
	global_store_b32 v[6:7], v1, off
.LBB191_1770:
	s_mov_b32 s7, 0
.LBB191_1771:
	s_delay_alu instid0(SALU_CYCLE_1)
	s_and_not1_b32 vcc_lo, exec_lo, s7
	s_cbranch_vccnz .LBB191_1773
; %bb.1772:
	s_wait_xcnt 0x0
	v_cndmask_b32_e64 v1, 0, 1.0, s1
	s_delay_alu instid0(VALU_DEP_1)
	v_cvt_f16_f32_e32 v1, v1
	global_store_b16 v[6:7], v1, off
.LBB191_1773:
	s_mov_b32 s7, 0
.LBB191_1774:
	s_delay_alu instid0(SALU_CYCLE_1)
	s_and_not1_b32 vcc_lo, exec_lo, s7
	s_cbranch_vccnz .LBB191_1790
; %bb.1775:
	s_cmp_lt_i32 s2, 2
	s_mov_b32 s7, -1
	s_cbranch_scc1 .LBB191_1785
; %bb.1776:
	s_cmp_lt_i32 s2, 3
	s_cbranch_scc1 .LBB191_1782
; %bb.1777:
	s_cmp_gt_i32 s2, 3
	s_cbranch_scc0 .LBB191_1779
; %bb.1778:
	s_mov_b32 s7, 0
	s_wait_xcnt 0x0
	v_cndmask_b32_e64 v8, 0, 1, s1
	v_mov_b32_e32 v9, s7
	global_store_b64 v[6:7], v[8:9], off
.LBB191_1779:
	s_and_not1_b32 vcc_lo, exec_lo, s7
	s_cbranch_vccnz .LBB191_1781
; %bb.1780:
	s_wait_xcnt 0x0
	v_cndmask_b32_e64 v1, 0, 1, s1
	global_store_b32 v[6:7], v1, off
.LBB191_1781:
	s_mov_b32 s7, 0
.LBB191_1782:
	s_delay_alu instid0(SALU_CYCLE_1)
	s_and_not1_b32 vcc_lo, exec_lo, s7
	s_cbranch_vccnz .LBB191_1784
; %bb.1783:
	s_wait_xcnt 0x0
	v_cndmask_b32_e64 v1, 0, 1, s1
	global_store_b16 v[6:7], v1, off
.LBB191_1784:
	s_mov_b32 s7, 0
.LBB191_1785:
	s_delay_alu instid0(SALU_CYCLE_1)
	s_and_not1_b32 vcc_lo, exec_lo, s7
	s_cbranch_vccnz .LBB191_1790
; %bb.1786:
	s_wait_xcnt 0x0
	v_cndmask_b32_e64 v1, 0, 1, s1
	s_cmp_gt_i32 s2, 0
	s_mov_b32 s1, -1
	s_cbranch_scc0 .LBB191_1788
; %bb.1787:
	s_mov_b32 s1, 0
	global_store_b8 v[6:7], v1, off
.LBB191_1788:
	s_and_not1_b32 vcc_lo, exec_lo, s1
	s_cbranch_vccnz .LBB191_1790
; %bb.1789:
	global_store_b8 v[6:7], v1, off
.LBB191_1790:
.LBB191_1791:
	v_cmp_eq_f16_e32 vcc_lo, s9, v3
	s_and_b32 s7, 0xffff, s6
	s_wait_xcnt 0x0
	v_mov_b32_e32 v5, 0
	s_cmp_lt_i32 s7, 11
	v_cndmask_b32_e64 v1, 0, 1, vcc_lo
	v_cmp_neq_f16_e32 vcc_lo, s9, v3
	s_delay_alu instid0(VALU_DEP_3) | instskip(SKIP_1) | instid1(VALU_DEP_1)
	v_add_nc_u64_e32 v[4:5], s[4:5], v[4:5]
	v_cndmask_b32_e64 v3, 0, 1, vcc_lo
	v_cndmask_b32_e64 v1, v3, v1, s0
	s_delay_alu instid0(VALU_DEP_1) | instskip(NEXT) | instid1(VALU_DEP_1)
	v_and_b32_e32 v1, 1, v1
	v_cmp_eq_u32_e64 s1, 1, v1
	s_cbranch_scc1 .LBB191_1869
; %bb.1792:
	s_mov_b32 s13, -1
	s_mov_b32 s8, 0
	s_cmp_gt_i32 s7, 25
	s_mov_b32 s10, 0
	s_mov_b32 s2, 0
	s_cbranch_scc0 .LBB191_1825
; %bb.1793:
	s_cmp_gt_i32 s7, 28
	s_cbranch_scc0 .LBB191_1808
; %bb.1794:
	s_cmp_gt_i32 s7, 43
	;; [unrolled: 3-line block ×3, first 2 shown]
	s_cbranch_scc0 .LBB191_1798
; %bb.1796:
	s_mov_b32 s2, -1
	s_mov_b32 s13, 0
	s_cmp_eq_u32 s7, 46
	s_cbranch_scc0 .LBB191_1798
; %bb.1797:
	v_cndmask_b32_e64 v1, 0, 1.0, s1
	s_mov_b32 s2, 0
	s_mov_b32 s10, -1
	s_delay_alu instid0(VALU_DEP_1) | instskip(NEXT) | instid1(VALU_DEP_1)
	v_bfe_u32 v3, v1, 16, 1
	v_add3_u32 v1, v1, v3, 0x7fff
	s_delay_alu instid0(VALU_DEP_1)
	v_lshrrev_b32_e32 v1, 16, v1
	global_store_b32 v[4:5], v1, off
.LBB191_1798:
	s_and_b32 vcc_lo, exec_lo, s13
	s_cbranch_vccz .LBB191_1803
; %bb.1799:
	s_cmp_eq_u32 s7, 44
	s_mov_b32 s2, -1
	s_cbranch_scc0 .LBB191_1803
; %bb.1800:
	v_cndmask_b32_e64 v6, 0, 1.0, s1
	v_mov_b32_e32 v3, 0xff
	s_mov_b32 s10, exec_lo
	s_wait_xcnt 0x0
	s_delay_alu instid0(VALU_DEP_2) | instskip(NEXT) | instid1(VALU_DEP_1)
	v_lshrrev_b32_e32 v1, 23, v6
	v_cmpx_ne_u32_e32 0xff, v1
; %bb.1801:
	v_and_b32_e32 v3, 0x400000, v6
	v_and_or_b32 v6, 0x3fffff, v6, v1
	s_delay_alu instid0(VALU_DEP_2) | instskip(NEXT) | instid1(VALU_DEP_2)
	v_cmp_ne_u32_e32 vcc_lo, 0, v3
	v_cmp_ne_u32_e64 s2, 0, v6
	s_and_b32 s2, vcc_lo, s2
	s_delay_alu instid0(SALU_CYCLE_1) | instskip(NEXT) | instid1(VALU_DEP_1)
	v_cndmask_b32_e64 v3, 0, 1, s2
	v_add_nc_u32_e32 v3, v1, v3
; %bb.1802:
	s_or_b32 exec_lo, exec_lo, s10
	s_mov_b32 s2, 0
	s_mov_b32 s10, -1
	global_store_b8 v[4:5], v3, off
.LBB191_1803:
	s_mov_b32 s13, 0
.LBB191_1804:
	s_delay_alu instid0(SALU_CYCLE_1)
	s_and_b32 vcc_lo, exec_lo, s13
	s_cbranch_vccz .LBB191_1807
; %bb.1805:
	s_cmp_eq_u32 s7, 29
	s_mov_b32 s2, -1
	s_cbranch_scc0 .LBB191_1807
; %bb.1806:
	s_mov_b32 s2, 0
	v_cndmask_b32_e64 v6, 0, 1, s1
	v_mov_b32_e32 v7, s2
	s_mov_b32 s10, -1
	global_store_b64 v[4:5], v[6:7], off
.LBB191_1807:
	s_mov_b32 s13, 0
.LBB191_1808:
	s_delay_alu instid0(SALU_CYCLE_1)
	s_and_b32 vcc_lo, exec_lo, s13
	s_cbranch_vccz .LBB191_1824
; %bb.1809:
	s_cmp_lt_i32 s7, 27
	s_mov_b32 s10, -1
	s_cbranch_scc1 .LBB191_1815
; %bb.1810:
	s_cmp_gt_i32 s7, 27
	s_cbranch_scc0 .LBB191_1812
; %bb.1811:
	s_wait_xcnt 0x0
	v_cndmask_b32_e64 v1, 0, 1, s1
	s_mov_b32 s10, 0
	global_store_b32 v[4:5], v1, off
.LBB191_1812:
	s_and_not1_b32 vcc_lo, exec_lo, s10
	s_cbranch_vccnz .LBB191_1814
; %bb.1813:
	s_wait_xcnt 0x0
	v_cndmask_b32_e64 v1, 0, 1, s1
	global_store_b16 v[4:5], v1, off
.LBB191_1814:
	s_mov_b32 s10, 0
.LBB191_1815:
	s_delay_alu instid0(SALU_CYCLE_1)
	s_and_not1_b32 vcc_lo, exec_lo, s10
	s_cbranch_vccnz .LBB191_1823
; %bb.1816:
	s_wait_xcnt 0x0
	v_cndmask_b32_e64 v3, 0, 1.0, s1
	v_mov_b32_e32 v6, 0x80
	s_mov_b32 s10, exec_lo
	s_delay_alu instid0(VALU_DEP_2)
	v_cmpx_gt_u32_e32 0x43800000, v3
	s_cbranch_execz .LBB191_1822
; %bb.1817:
	s_mov_b32 s13, 0
	s_mov_b32 s14, exec_lo
                                        ; implicit-def: $vgpr1
	v_cmpx_lt_u32_e32 0x3bffffff, v3
	s_xor_b32 s14, exec_lo, s14
	s_cbranch_execz .LBB191_2157
; %bb.1818:
	v_bfe_u32 v1, v3, 20, 1
	s_mov_b32 s13, exec_lo
	s_delay_alu instid0(VALU_DEP_1) | instskip(NEXT) | instid1(VALU_DEP_1)
	v_add3_u32 v1, v3, v1, 0x487ffff
                                        ; implicit-def: $vgpr3
	v_lshrrev_b32_e32 v1, 20, v1
	s_and_not1_saveexec_b32 s14, s14
	s_cbranch_execnz .LBB191_2158
.LBB191_1819:
	s_or_b32 exec_lo, exec_lo, s14
	v_mov_b32_e32 v6, 0
	s_and_saveexec_b32 s14, s13
.LBB191_1820:
	v_mov_b32_e32 v6, v1
.LBB191_1821:
	s_or_b32 exec_lo, exec_lo, s14
.LBB191_1822:
	s_delay_alu instid0(SALU_CYCLE_1)
	s_or_b32 exec_lo, exec_lo, s10
	global_store_b8 v[4:5], v6, off
.LBB191_1823:
	s_mov_b32 s10, -1
.LBB191_1824:
	s_mov_b32 s13, 0
.LBB191_1825:
	s_delay_alu instid0(SALU_CYCLE_1)
	s_and_b32 vcc_lo, exec_lo, s13
	s_cbranch_vccz .LBB191_1865
; %bb.1826:
	s_cmp_gt_i32 s7, 22
	s_mov_b32 s8, -1
	s_cbranch_scc0 .LBB191_1858
; %bb.1827:
	s_cmp_lt_i32 s7, 24
	s_cbranch_scc1 .LBB191_1847
; %bb.1828:
	s_cmp_gt_i32 s7, 24
	s_cbranch_scc0 .LBB191_1836
; %bb.1829:
	s_wait_xcnt 0x0
	v_cndmask_b32_e64 v3, 0, 1.0, s1
	v_mov_b32_e32 v6, 0x80
	s_mov_b32 s8, exec_lo
	s_delay_alu instid0(VALU_DEP_2)
	v_cmpx_gt_u32_e32 0x47800000, v3
	s_cbranch_execz .LBB191_1835
; %bb.1830:
	s_mov_b32 s10, 0
	s_mov_b32 s13, exec_lo
                                        ; implicit-def: $vgpr1
	v_cmpx_lt_u32_e32 0x37ffffff, v3
	s_xor_b32 s13, exec_lo, s13
	s_cbranch_execz .LBB191_2160
; %bb.1831:
	v_bfe_u32 v1, v3, 21, 1
	s_mov_b32 s10, exec_lo
	s_delay_alu instid0(VALU_DEP_1) | instskip(NEXT) | instid1(VALU_DEP_1)
	v_add3_u32 v1, v3, v1, 0x88fffff
                                        ; implicit-def: $vgpr3
	v_lshrrev_b32_e32 v1, 21, v1
	s_and_not1_saveexec_b32 s13, s13
	s_cbranch_execnz .LBB191_2161
.LBB191_1832:
	s_or_b32 exec_lo, exec_lo, s13
	v_mov_b32_e32 v6, 0
	s_and_saveexec_b32 s13, s10
.LBB191_1833:
	v_mov_b32_e32 v6, v1
.LBB191_1834:
	s_or_b32 exec_lo, exec_lo, s13
.LBB191_1835:
	s_delay_alu instid0(SALU_CYCLE_1)
	s_or_b32 exec_lo, exec_lo, s8
	s_mov_b32 s8, 0
	global_store_b8 v[4:5], v6, off
.LBB191_1836:
	s_and_b32 vcc_lo, exec_lo, s8
	s_cbranch_vccz .LBB191_1846
; %bb.1837:
	s_wait_xcnt 0x0
	v_cndmask_b32_e64 v3, 0, 1.0, s1
	s_mov_b32 s8, exec_lo
                                        ; implicit-def: $vgpr1
	s_delay_alu instid0(VALU_DEP_1)
	v_cmpx_gt_u32_e32 0x43f00000, v3
	s_xor_b32 s8, exec_lo, s8
	s_cbranch_execz .LBB191_1843
; %bb.1838:
	s_mov_b32 s10, exec_lo
                                        ; implicit-def: $vgpr1
	v_cmpx_lt_u32_e32 0x3c7fffff, v3
	s_xor_b32 s10, exec_lo, s10
; %bb.1839:
	v_bfe_u32 v1, v3, 20, 1
	s_delay_alu instid0(VALU_DEP_1) | instskip(NEXT) | instid1(VALU_DEP_1)
	v_add3_u32 v1, v3, v1, 0x407ffff
	v_and_b32_e32 v3, 0xff00000, v1
	v_lshrrev_b32_e32 v1, 20, v1
	s_delay_alu instid0(VALU_DEP_2) | instskip(NEXT) | instid1(VALU_DEP_2)
	v_cmp_ne_u32_e32 vcc_lo, 0x7f00000, v3
                                        ; implicit-def: $vgpr3
	v_cndmask_b32_e32 v1, 0x7e, v1, vcc_lo
; %bb.1840:
	s_and_not1_saveexec_b32 s10, s10
; %bb.1841:
	v_add_f32_e32 v1, 0x46800000, v3
; %bb.1842:
	s_or_b32 exec_lo, exec_lo, s10
                                        ; implicit-def: $vgpr3
.LBB191_1843:
	s_and_not1_saveexec_b32 s8, s8
; %bb.1844:
	v_mov_b32_e32 v1, 0x7f
	v_cmp_lt_u32_e32 vcc_lo, 0x7f800000, v3
	s_delay_alu instid0(VALU_DEP_2)
	v_cndmask_b32_e32 v1, 0x7e, v1, vcc_lo
; %bb.1845:
	s_or_b32 exec_lo, exec_lo, s8
	global_store_b8 v[4:5], v1, off
.LBB191_1846:
	s_mov_b32 s8, 0
.LBB191_1847:
	s_delay_alu instid0(SALU_CYCLE_1)
	s_and_not1_b32 vcc_lo, exec_lo, s8
	s_cbranch_vccnz .LBB191_1857
; %bb.1848:
	s_wait_xcnt 0x0
	v_cndmask_b32_e64 v3, 0, 1.0, s1
	s_mov_b32 s8, exec_lo
                                        ; implicit-def: $vgpr1
	s_delay_alu instid0(VALU_DEP_1)
	v_cmpx_gt_u32_e32 0x47800000, v3
	s_xor_b32 s8, exec_lo, s8
	s_cbranch_execz .LBB191_1854
; %bb.1849:
	s_mov_b32 s10, exec_lo
                                        ; implicit-def: $vgpr1
	v_cmpx_lt_u32_e32 0x387fffff, v3
	s_xor_b32 s10, exec_lo, s10
; %bb.1850:
	v_bfe_u32 v1, v3, 21, 1
	s_delay_alu instid0(VALU_DEP_1) | instskip(NEXT) | instid1(VALU_DEP_1)
	v_add3_u32 v1, v3, v1, 0x80fffff
                                        ; implicit-def: $vgpr3
	v_lshrrev_b32_e32 v1, 21, v1
; %bb.1851:
	s_and_not1_saveexec_b32 s10, s10
; %bb.1852:
	v_add_f32_e32 v1, 0x43000000, v3
; %bb.1853:
	s_or_b32 exec_lo, exec_lo, s10
                                        ; implicit-def: $vgpr3
.LBB191_1854:
	s_and_not1_saveexec_b32 s8, s8
; %bb.1855:
	v_mov_b32_e32 v1, 0x7f
	v_cmp_lt_u32_e32 vcc_lo, 0x7f800000, v3
	s_delay_alu instid0(VALU_DEP_2)
	v_cndmask_b32_e32 v1, 0x7c, v1, vcc_lo
; %bb.1856:
	s_or_b32 exec_lo, exec_lo, s8
	global_store_b8 v[4:5], v1, off
.LBB191_1857:
	s_mov_b32 s8, 0
	s_mov_b32 s10, -1
.LBB191_1858:
	s_and_not1_b32 vcc_lo, exec_lo, s8
	s_mov_b32 s8, 0
	s_cbranch_vccnz .LBB191_1865
; %bb.1859:
	s_cmp_gt_i32 s7, 14
	s_mov_b32 s8, -1
	s_cbranch_scc0 .LBB191_1863
; %bb.1860:
	s_cmp_eq_u32 s7, 15
	s_mov_b32 s2, -1
	s_cbranch_scc0 .LBB191_1862
; %bb.1861:
	s_wait_xcnt 0x0
	v_cndmask_b32_e64 v1, 0, 1.0, s1
	s_mov_b32 s2, 0
	s_mov_b32 s10, -1
	s_delay_alu instid0(VALU_DEP_1) | instskip(NEXT) | instid1(VALU_DEP_1)
	v_bfe_u32 v3, v1, 16, 1
	v_add3_u32 v1, v1, v3, 0x7fff
	global_store_d16_hi_b16 v[4:5], v1, off
.LBB191_1862:
	s_mov_b32 s8, 0
.LBB191_1863:
	s_delay_alu instid0(SALU_CYCLE_1)
	s_and_b32 vcc_lo, exec_lo, s8
	s_mov_b32 s8, 0
	s_cbranch_vccz .LBB191_1865
; %bb.1864:
	s_cmp_lg_u32 s7, 11
	s_mov_b32 s8, -1
	s_cselect_b32 s2, -1, 0
.LBB191_1865:
	s_delay_alu instid0(SALU_CYCLE_1)
	s_and_b32 vcc_lo, exec_lo, s2
	s_cbranch_vccnz .LBB191_2159
; %bb.1866:
	s_and_not1_b32 vcc_lo, exec_lo, s8
	s_cbranch_vccnz .LBB191_1868
.LBB191_1867:
	s_wait_xcnt 0x0
	v_cndmask_b32_e64 v1, 0, 1, s1
	s_mov_b32 s10, -1
	global_store_b8 v[4:5], v1, off
.LBB191_1868:
	s_mov_b32 s2, 0
	s_branch .LBB191_1870
.LBB191_1869:
	s_mov_b32 s2, -1
	s_mov_b32 s10, 0
.LBB191_1870:
	s_and_b32 vcc_lo, exec_lo, s2
	s_cbranch_vccz .LBB191_1909
; %bb.1871:
	s_cmp_lt_i32 s7, 5
	s_mov_b32 s2, -1
	s_cbranch_scc1 .LBB191_1892
; %bb.1872:
	s_cmp_lt_i32 s7, 8
	s_cbranch_scc1 .LBB191_1882
; %bb.1873:
	s_cmp_lt_i32 s7, 9
	s_cbranch_scc1 .LBB191_1879
; %bb.1874:
	s_cmp_gt_i32 s7, 9
	s_cbranch_scc0 .LBB191_1876
; %bb.1875:
	s_wait_xcnt 0x0
	v_cndmask_b32_e64 v1, 0, 1, s1
	v_mov_b32_e32 v8, 0
	s_mov_b32 s2, 0
	s_delay_alu instid0(VALU_DEP_2) | instskip(NEXT) | instid1(VALU_DEP_2)
	v_cvt_f64_u32_e32 v[6:7], v1
	v_mov_b32_e32 v9, v8
	global_store_b128 v[4:5], v[6:9], off
.LBB191_1876:
	s_and_not1_b32 vcc_lo, exec_lo, s2
	s_cbranch_vccnz .LBB191_1878
; %bb.1877:
	s_wait_xcnt 0x0
	v_cndmask_b32_e64 v6, 0, 1.0, s1
	v_mov_b32_e32 v7, 0
	global_store_b64 v[4:5], v[6:7], off
.LBB191_1878:
	s_mov_b32 s2, 0
.LBB191_1879:
	s_delay_alu instid0(SALU_CYCLE_1)
	s_and_not1_b32 vcc_lo, exec_lo, s2
	s_cbranch_vccnz .LBB191_1881
; %bb.1880:
	s_wait_xcnt 0x0
	v_cndmask_b32_e64 v1, 0, 1.0, s1
	s_delay_alu instid0(VALU_DEP_1) | instskip(NEXT) | instid1(VALU_DEP_1)
	v_cvt_f16_f32_e32 v1, v1
	v_and_b32_e32 v1, 0xffff, v1
	global_store_b32 v[4:5], v1, off
.LBB191_1881:
	s_mov_b32 s2, 0
.LBB191_1882:
	s_delay_alu instid0(SALU_CYCLE_1)
	s_and_not1_b32 vcc_lo, exec_lo, s2
	s_cbranch_vccnz .LBB191_1891
; %bb.1883:
	s_cmp_lt_i32 s7, 6
	s_mov_b32 s2, -1
	s_cbranch_scc1 .LBB191_1889
; %bb.1884:
	s_cmp_gt_i32 s7, 6
	s_cbranch_scc0 .LBB191_1886
; %bb.1885:
	s_wait_xcnt 0x0
	v_cndmask_b32_e64 v1, 0, 1, s1
	s_mov_b32 s2, 0
	s_delay_alu instid0(VALU_DEP_1)
	v_cvt_f64_u32_e32 v[6:7], v1
	global_store_b64 v[4:5], v[6:7], off
.LBB191_1886:
	s_and_not1_b32 vcc_lo, exec_lo, s2
	s_cbranch_vccnz .LBB191_1888
; %bb.1887:
	s_wait_xcnt 0x0
	v_cndmask_b32_e64 v1, 0, 1.0, s1
	global_store_b32 v[4:5], v1, off
.LBB191_1888:
	s_mov_b32 s2, 0
.LBB191_1889:
	s_delay_alu instid0(SALU_CYCLE_1)
	s_and_not1_b32 vcc_lo, exec_lo, s2
	s_cbranch_vccnz .LBB191_1891
; %bb.1890:
	s_wait_xcnt 0x0
	v_cndmask_b32_e64 v1, 0, 1.0, s1
	s_delay_alu instid0(VALU_DEP_1)
	v_cvt_f16_f32_e32 v1, v1
	global_store_b16 v[4:5], v1, off
.LBB191_1891:
	s_mov_b32 s2, 0
.LBB191_1892:
	s_delay_alu instid0(SALU_CYCLE_1)
	s_and_not1_b32 vcc_lo, exec_lo, s2
	s_cbranch_vccnz .LBB191_1908
; %bb.1893:
	s_cmp_lt_i32 s7, 2
	s_mov_b32 s2, -1
	s_cbranch_scc1 .LBB191_1903
; %bb.1894:
	s_cmp_lt_i32 s7, 3
	s_cbranch_scc1 .LBB191_1900
; %bb.1895:
	s_cmp_gt_i32 s7, 3
	s_cbranch_scc0 .LBB191_1897
; %bb.1896:
	s_mov_b32 s2, 0
	s_wait_xcnt 0x0
	v_cndmask_b32_e64 v6, 0, 1, s1
	v_mov_b32_e32 v7, s2
	global_store_b64 v[4:5], v[6:7], off
.LBB191_1897:
	s_and_not1_b32 vcc_lo, exec_lo, s2
	s_cbranch_vccnz .LBB191_1899
; %bb.1898:
	s_wait_xcnt 0x0
	v_cndmask_b32_e64 v1, 0, 1, s1
	global_store_b32 v[4:5], v1, off
.LBB191_1899:
	s_mov_b32 s2, 0
.LBB191_1900:
	s_delay_alu instid0(SALU_CYCLE_1)
	s_and_not1_b32 vcc_lo, exec_lo, s2
	s_cbranch_vccnz .LBB191_1902
; %bb.1901:
	s_wait_xcnt 0x0
	v_cndmask_b32_e64 v1, 0, 1, s1
	global_store_b16 v[4:5], v1, off
.LBB191_1902:
	s_mov_b32 s2, 0
.LBB191_1903:
	s_delay_alu instid0(SALU_CYCLE_1)
	s_and_not1_b32 vcc_lo, exec_lo, s2
	s_cbranch_vccnz .LBB191_1908
; %bb.1904:
	s_wait_xcnt 0x0
	v_cndmask_b32_e64 v1, 0, 1, s1
	s_cmp_gt_i32 s7, 0
	s_mov_b32 s1, -1
	s_cbranch_scc0 .LBB191_1906
; %bb.1905:
	s_mov_b32 s1, 0
	global_store_b8 v[4:5], v1, off
.LBB191_1906:
	s_and_not1_b32 vcc_lo, exec_lo, s1
	s_cbranch_vccnz .LBB191_1908
; %bb.1907:
	global_store_b8 v[4:5], v1, off
.LBB191_1908:
	s_mov_b32 s10, -1
.LBB191_1909:
	s_delay_alu instid0(SALU_CYCLE_1)
	s_and_not1_b32 vcc_lo, exec_lo, s10
	s_cbranch_vccnz .LBB191_2105
; %bb.1910:
	v_cmp_eq_f16_e32 vcc_lo, s9, v12
	s_cmp_lt_i32 s7, 11
	s_wait_xcnt 0x0
	v_cndmask_b32_e64 v1, 0, 1, vcc_lo
	v_cmp_neq_f16_e32 vcc_lo, s9, v12
	v_cndmask_b32_e64 v3, 0, 1, vcc_lo
	s_delay_alu instid0(VALU_DEP_1) | instskip(NEXT) | instid1(VALU_DEP_1)
	v_dual_cndmask_b32 v1, v3, v1, s0 :: v_dual_mov_b32 v3, 0
	v_and_b32_e32 v1, 1, v1
	s_delay_alu instid0(VALU_DEP_2) | instskip(NEXT) | instid1(VALU_DEP_2)
	v_add_nc_u64_e32 v[2:3], s[4:5], v[2:3]
	v_cmp_eq_u32_e64 s1, 1, v1
	s_cbranch_scc1 .LBB191_1988
; %bb.1911:
	s_mov_b32 s13, -1
	s_mov_b32 s8, 0
	s_cmp_gt_i32 s7, 25
	s_mov_b32 s10, 0
	s_mov_b32 s2, 0
	s_cbranch_scc0 .LBB191_1944
; %bb.1912:
	s_cmp_gt_i32 s7, 28
	s_cbranch_scc0 .LBB191_1927
; %bb.1913:
	s_cmp_gt_i32 s7, 43
	;; [unrolled: 3-line block ×3, first 2 shown]
	s_cbranch_scc0 .LBB191_1917
; %bb.1915:
	s_mov_b32 s2, -1
	s_mov_b32 s13, 0
	s_cmp_eq_u32 s7, 46
	s_cbranch_scc0 .LBB191_1917
; %bb.1916:
	v_cndmask_b32_e64 v1, 0, 1.0, s1
	s_mov_b32 s2, 0
	s_mov_b32 s10, -1
	s_delay_alu instid0(VALU_DEP_1) | instskip(NEXT) | instid1(VALU_DEP_1)
	v_bfe_u32 v4, v1, 16, 1
	v_add3_u32 v1, v1, v4, 0x7fff
	s_delay_alu instid0(VALU_DEP_1)
	v_lshrrev_b32_e32 v1, 16, v1
	global_store_b32 v[2:3], v1, off
.LBB191_1917:
	s_and_b32 vcc_lo, exec_lo, s13
	s_cbranch_vccz .LBB191_1922
; %bb.1918:
	s_cmp_eq_u32 s7, 44
	s_mov_b32 s2, -1
	s_cbranch_scc0 .LBB191_1922
; %bb.1919:
	v_cndmask_b32_e64 v5, 0, 1.0, s1
	s_mov_b32 s10, exec_lo
	s_wait_xcnt 0x0
	s_delay_alu instid0(VALU_DEP_1) | instskip(NEXT) | instid1(VALU_DEP_1)
	v_dual_mov_b32 v4, 0xff :: v_dual_lshrrev_b32 v1, 23, v5
	v_cmpx_ne_u32_e32 0xff, v1
; %bb.1920:
	v_and_b32_e32 v4, 0x400000, v5
	v_and_or_b32 v5, 0x3fffff, v5, v1
	s_delay_alu instid0(VALU_DEP_2) | instskip(NEXT) | instid1(VALU_DEP_2)
	v_cmp_ne_u32_e32 vcc_lo, 0, v4
	v_cmp_ne_u32_e64 s2, 0, v5
	s_and_b32 s2, vcc_lo, s2
	s_delay_alu instid0(SALU_CYCLE_1) | instskip(NEXT) | instid1(VALU_DEP_1)
	v_cndmask_b32_e64 v4, 0, 1, s2
	v_add_nc_u32_e32 v4, v1, v4
; %bb.1921:
	s_or_b32 exec_lo, exec_lo, s10
	s_mov_b32 s2, 0
	s_mov_b32 s10, -1
	global_store_b8 v[2:3], v4, off
.LBB191_1922:
	s_mov_b32 s13, 0
.LBB191_1923:
	s_delay_alu instid0(SALU_CYCLE_1)
	s_and_b32 vcc_lo, exec_lo, s13
	s_cbranch_vccz .LBB191_1926
; %bb.1924:
	s_cmp_eq_u32 s7, 29
	s_mov_b32 s2, -1
	s_cbranch_scc0 .LBB191_1926
; %bb.1925:
	s_mov_b32 s2, 0
	s_wait_xcnt 0x0
	v_cndmask_b32_e64 v4, 0, 1, s1
	v_mov_b32_e32 v5, s2
	s_mov_b32 s10, -1
	global_store_b64 v[2:3], v[4:5], off
.LBB191_1926:
	s_mov_b32 s13, 0
.LBB191_1927:
	s_delay_alu instid0(SALU_CYCLE_1)
	s_and_b32 vcc_lo, exec_lo, s13
	s_cbranch_vccz .LBB191_1943
; %bb.1928:
	s_cmp_lt_i32 s7, 27
	s_mov_b32 s10, -1
	s_cbranch_scc1 .LBB191_1934
; %bb.1929:
	s_cmp_gt_i32 s7, 27
	s_cbranch_scc0 .LBB191_1931
; %bb.1930:
	s_wait_xcnt 0x0
	v_cndmask_b32_e64 v1, 0, 1, s1
	s_mov_b32 s10, 0
	global_store_b32 v[2:3], v1, off
.LBB191_1931:
	s_and_not1_b32 vcc_lo, exec_lo, s10
	s_cbranch_vccnz .LBB191_1933
; %bb.1932:
	s_wait_xcnt 0x0
	v_cndmask_b32_e64 v1, 0, 1, s1
	global_store_b16 v[2:3], v1, off
.LBB191_1933:
	s_mov_b32 s10, 0
.LBB191_1934:
	s_delay_alu instid0(SALU_CYCLE_1)
	s_and_not1_b32 vcc_lo, exec_lo, s10
	s_cbranch_vccnz .LBB191_1942
; %bb.1935:
	s_wait_xcnt 0x0
	v_cndmask_b32_e64 v4, 0, 1.0, s1
	v_mov_b32_e32 v5, 0x80
	s_mov_b32 s10, exec_lo
	s_delay_alu instid0(VALU_DEP_2)
	v_cmpx_gt_u32_e32 0x43800000, v4
	s_cbranch_execz .LBB191_1941
; %bb.1936:
	s_mov_b32 s13, 0
	s_mov_b32 s14, exec_lo
                                        ; implicit-def: $vgpr1
	v_cmpx_lt_u32_e32 0x3bffffff, v4
	s_xor_b32 s14, exec_lo, s14
	s_cbranch_execz .LBB191_2162
; %bb.1937:
	v_bfe_u32 v1, v4, 20, 1
	s_mov_b32 s13, exec_lo
	s_delay_alu instid0(VALU_DEP_1) | instskip(NEXT) | instid1(VALU_DEP_1)
	v_add3_u32 v1, v4, v1, 0x487ffff
                                        ; implicit-def: $vgpr4
	v_lshrrev_b32_e32 v1, 20, v1
	s_and_not1_saveexec_b32 s14, s14
	s_cbranch_execnz .LBB191_2163
.LBB191_1938:
	s_or_b32 exec_lo, exec_lo, s14
	v_mov_b32_e32 v5, 0
	s_and_saveexec_b32 s14, s13
.LBB191_1939:
	v_mov_b32_e32 v5, v1
.LBB191_1940:
	s_or_b32 exec_lo, exec_lo, s14
.LBB191_1941:
	s_delay_alu instid0(SALU_CYCLE_1)
	s_or_b32 exec_lo, exec_lo, s10
	global_store_b8 v[2:3], v5, off
.LBB191_1942:
	s_mov_b32 s10, -1
.LBB191_1943:
	s_mov_b32 s13, 0
.LBB191_1944:
	s_delay_alu instid0(SALU_CYCLE_1)
	s_and_b32 vcc_lo, exec_lo, s13
	s_cbranch_vccz .LBB191_1984
; %bb.1945:
	s_cmp_gt_i32 s7, 22
	s_mov_b32 s8, -1
	s_cbranch_scc0 .LBB191_1977
; %bb.1946:
	s_cmp_lt_i32 s7, 24
	s_cbranch_scc1 .LBB191_1966
; %bb.1947:
	s_cmp_gt_i32 s7, 24
	s_cbranch_scc0 .LBB191_1955
; %bb.1948:
	s_wait_xcnt 0x0
	v_cndmask_b32_e64 v4, 0, 1.0, s1
	v_mov_b32_e32 v5, 0x80
	s_mov_b32 s8, exec_lo
	s_delay_alu instid0(VALU_DEP_2)
	v_cmpx_gt_u32_e32 0x47800000, v4
	s_cbranch_execz .LBB191_1954
; %bb.1949:
	s_mov_b32 s10, 0
	s_mov_b32 s13, exec_lo
                                        ; implicit-def: $vgpr1
	v_cmpx_lt_u32_e32 0x37ffffff, v4
	s_xor_b32 s13, exec_lo, s13
	s_cbranch_execz .LBB191_2165
; %bb.1950:
	v_bfe_u32 v1, v4, 21, 1
	s_mov_b32 s10, exec_lo
	s_delay_alu instid0(VALU_DEP_1) | instskip(NEXT) | instid1(VALU_DEP_1)
	v_add3_u32 v1, v4, v1, 0x88fffff
                                        ; implicit-def: $vgpr4
	v_lshrrev_b32_e32 v1, 21, v1
	s_and_not1_saveexec_b32 s13, s13
	s_cbranch_execnz .LBB191_2166
.LBB191_1951:
	s_or_b32 exec_lo, exec_lo, s13
	v_mov_b32_e32 v5, 0
	s_and_saveexec_b32 s13, s10
.LBB191_1952:
	v_mov_b32_e32 v5, v1
.LBB191_1953:
	s_or_b32 exec_lo, exec_lo, s13
.LBB191_1954:
	s_delay_alu instid0(SALU_CYCLE_1)
	s_or_b32 exec_lo, exec_lo, s8
	s_mov_b32 s8, 0
	global_store_b8 v[2:3], v5, off
.LBB191_1955:
	s_and_b32 vcc_lo, exec_lo, s8
	s_cbranch_vccz .LBB191_1965
; %bb.1956:
	s_wait_xcnt 0x0
	v_cndmask_b32_e64 v4, 0, 1.0, s1
	s_mov_b32 s8, exec_lo
                                        ; implicit-def: $vgpr1
	s_delay_alu instid0(VALU_DEP_1)
	v_cmpx_gt_u32_e32 0x43f00000, v4
	s_xor_b32 s8, exec_lo, s8
	s_cbranch_execz .LBB191_1962
; %bb.1957:
	s_mov_b32 s10, exec_lo
                                        ; implicit-def: $vgpr1
	v_cmpx_lt_u32_e32 0x3c7fffff, v4
	s_xor_b32 s10, exec_lo, s10
; %bb.1958:
	v_bfe_u32 v1, v4, 20, 1
	s_delay_alu instid0(VALU_DEP_1) | instskip(NEXT) | instid1(VALU_DEP_1)
	v_add3_u32 v1, v4, v1, 0x407ffff
	v_and_b32_e32 v4, 0xff00000, v1
	v_lshrrev_b32_e32 v1, 20, v1
	s_delay_alu instid0(VALU_DEP_2) | instskip(NEXT) | instid1(VALU_DEP_2)
	v_cmp_ne_u32_e32 vcc_lo, 0x7f00000, v4
                                        ; implicit-def: $vgpr4
	v_cndmask_b32_e32 v1, 0x7e, v1, vcc_lo
; %bb.1959:
	s_and_not1_saveexec_b32 s10, s10
; %bb.1960:
	v_add_f32_e32 v1, 0x46800000, v4
; %bb.1961:
	s_or_b32 exec_lo, exec_lo, s10
                                        ; implicit-def: $vgpr4
.LBB191_1962:
	s_and_not1_saveexec_b32 s8, s8
; %bb.1963:
	v_mov_b32_e32 v1, 0x7f
	v_cmp_lt_u32_e32 vcc_lo, 0x7f800000, v4
	s_delay_alu instid0(VALU_DEP_2)
	v_cndmask_b32_e32 v1, 0x7e, v1, vcc_lo
; %bb.1964:
	s_or_b32 exec_lo, exec_lo, s8
	global_store_b8 v[2:3], v1, off
.LBB191_1965:
	s_mov_b32 s8, 0
.LBB191_1966:
	s_delay_alu instid0(SALU_CYCLE_1)
	s_and_not1_b32 vcc_lo, exec_lo, s8
	s_cbranch_vccnz .LBB191_1976
; %bb.1967:
	s_wait_xcnt 0x0
	v_cndmask_b32_e64 v4, 0, 1.0, s1
	s_mov_b32 s8, exec_lo
                                        ; implicit-def: $vgpr1
	s_delay_alu instid0(VALU_DEP_1)
	v_cmpx_gt_u32_e32 0x47800000, v4
	s_xor_b32 s8, exec_lo, s8
	s_cbranch_execz .LBB191_1973
; %bb.1968:
	s_mov_b32 s10, exec_lo
                                        ; implicit-def: $vgpr1
	v_cmpx_lt_u32_e32 0x387fffff, v4
	s_xor_b32 s10, exec_lo, s10
; %bb.1969:
	v_bfe_u32 v1, v4, 21, 1
	s_delay_alu instid0(VALU_DEP_1) | instskip(NEXT) | instid1(VALU_DEP_1)
	v_add3_u32 v1, v4, v1, 0x80fffff
                                        ; implicit-def: $vgpr4
	v_lshrrev_b32_e32 v1, 21, v1
; %bb.1970:
	s_and_not1_saveexec_b32 s10, s10
; %bb.1971:
	v_add_f32_e32 v1, 0x43000000, v4
; %bb.1972:
	s_or_b32 exec_lo, exec_lo, s10
                                        ; implicit-def: $vgpr4
.LBB191_1973:
	s_and_not1_saveexec_b32 s8, s8
; %bb.1974:
	v_mov_b32_e32 v1, 0x7f
	v_cmp_lt_u32_e32 vcc_lo, 0x7f800000, v4
	s_delay_alu instid0(VALU_DEP_2)
	v_cndmask_b32_e32 v1, 0x7c, v1, vcc_lo
; %bb.1975:
	s_or_b32 exec_lo, exec_lo, s8
	global_store_b8 v[2:3], v1, off
.LBB191_1976:
	s_mov_b32 s8, 0
	s_mov_b32 s10, -1
.LBB191_1977:
	s_and_not1_b32 vcc_lo, exec_lo, s8
	s_mov_b32 s8, 0
	s_cbranch_vccnz .LBB191_1984
; %bb.1978:
	s_cmp_gt_i32 s7, 14
	s_mov_b32 s8, -1
	s_cbranch_scc0 .LBB191_1982
; %bb.1979:
	s_cmp_eq_u32 s7, 15
	s_mov_b32 s2, -1
	s_cbranch_scc0 .LBB191_1981
; %bb.1980:
	s_wait_xcnt 0x0
	v_cndmask_b32_e64 v1, 0, 1.0, s1
	s_mov_b32 s2, 0
	s_mov_b32 s10, -1
	s_delay_alu instid0(VALU_DEP_1) | instskip(NEXT) | instid1(VALU_DEP_1)
	v_bfe_u32 v4, v1, 16, 1
	v_add3_u32 v1, v1, v4, 0x7fff
	global_store_d16_hi_b16 v[2:3], v1, off
.LBB191_1981:
	s_mov_b32 s8, 0
.LBB191_1982:
	s_delay_alu instid0(SALU_CYCLE_1)
	s_and_b32 vcc_lo, exec_lo, s8
	s_mov_b32 s8, 0
	s_cbranch_vccz .LBB191_1984
; %bb.1983:
	s_cmp_lg_u32 s7, 11
	s_mov_b32 s8, -1
	s_cselect_b32 s2, -1, 0
.LBB191_1984:
	s_delay_alu instid0(SALU_CYCLE_1)
	s_and_b32 vcc_lo, exec_lo, s2
	s_cbranch_vccnz .LBB191_2164
; %bb.1985:
	s_and_not1_b32 vcc_lo, exec_lo, s8
	s_cbranch_vccnz .LBB191_1987
.LBB191_1986:
	s_wait_xcnt 0x0
	v_cndmask_b32_e64 v1, 0, 1, s1
	s_mov_b32 s10, -1
	global_store_b8 v[2:3], v1, off
.LBB191_1987:
	s_mov_b32 s2, 0
	s_branch .LBB191_1989
.LBB191_1988:
	s_mov_b32 s2, -1
	s_mov_b32 s10, 0
.LBB191_1989:
	s_and_b32 vcc_lo, exec_lo, s2
	s_cbranch_vccz .LBB191_2028
; %bb.1990:
	s_cmp_lt_i32 s7, 5
	s_mov_b32 s2, -1
	s_cbranch_scc1 .LBB191_2011
; %bb.1991:
	s_cmp_lt_i32 s7, 8
	s_cbranch_scc1 .LBB191_2001
; %bb.1992:
	s_cmp_lt_i32 s7, 9
	s_cbranch_scc1 .LBB191_1998
; %bb.1993:
	s_cmp_gt_i32 s7, 9
	s_cbranch_scc0 .LBB191_1995
; %bb.1994:
	s_wait_xcnt 0x0
	v_cndmask_b32_e64 v1, 0, 1, s1
	v_mov_b32_e32 v6, 0
	s_mov_b32 s2, 0
	s_delay_alu instid0(VALU_DEP_2) | instskip(NEXT) | instid1(VALU_DEP_2)
	v_cvt_f64_u32_e32 v[4:5], v1
	v_mov_b32_e32 v7, v6
	global_store_b128 v[2:3], v[4:7], off
.LBB191_1995:
	s_and_not1_b32 vcc_lo, exec_lo, s2
	s_cbranch_vccnz .LBB191_1997
; %bb.1996:
	s_wait_xcnt 0x0
	v_cndmask_b32_e64 v4, 0, 1.0, s1
	v_mov_b32_e32 v5, 0
	global_store_b64 v[2:3], v[4:5], off
.LBB191_1997:
	s_mov_b32 s2, 0
.LBB191_1998:
	s_delay_alu instid0(SALU_CYCLE_1)
	s_and_not1_b32 vcc_lo, exec_lo, s2
	s_cbranch_vccnz .LBB191_2000
; %bb.1999:
	s_wait_xcnt 0x0
	v_cndmask_b32_e64 v1, 0, 1.0, s1
	s_delay_alu instid0(VALU_DEP_1) | instskip(NEXT) | instid1(VALU_DEP_1)
	v_cvt_f16_f32_e32 v1, v1
	v_and_b32_e32 v1, 0xffff, v1
	global_store_b32 v[2:3], v1, off
.LBB191_2000:
	s_mov_b32 s2, 0
.LBB191_2001:
	s_delay_alu instid0(SALU_CYCLE_1)
	s_and_not1_b32 vcc_lo, exec_lo, s2
	s_cbranch_vccnz .LBB191_2010
; %bb.2002:
	s_cmp_lt_i32 s7, 6
	s_mov_b32 s2, -1
	s_cbranch_scc1 .LBB191_2008
; %bb.2003:
	s_cmp_gt_i32 s7, 6
	s_cbranch_scc0 .LBB191_2005
; %bb.2004:
	s_wait_xcnt 0x0
	v_cndmask_b32_e64 v1, 0, 1, s1
	s_mov_b32 s2, 0
	s_delay_alu instid0(VALU_DEP_1)
	v_cvt_f64_u32_e32 v[4:5], v1
	global_store_b64 v[2:3], v[4:5], off
.LBB191_2005:
	s_and_not1_b32 vcc_lo, exec_lo, s2
	s_cbranch_vccnz .LBB191_2007
; %bb.2006:
	s_wait_xcnt 0x0
	v_cndmask_b32_e64 v1, 0, 1.0, s1
	global_store_b32 v[2:3], v1, off
.LBB191_2007:
	s_mov_b32 s2, 0
.LBB191_2008:
	s_delay_alu instid0(SALU_CYCLE_1)
	s_and_not1_b32 vcc_lo, exec_lo, s2
	s_cbranch_vccnz .LBB191_2010
; %bb.2009:
	s_wait_xcnt 0x0
	v_cndmask_b32_e64 v1, 0, 1.0, s1
	s_delay_alu instid0(VALU_DEP_1)
	v_cvt_f16_f32_e32 v1, v1
	global_store_b16 v[2:3], v1, off
.LBB191_2010:
	s_mov_b32 s2, 0
.LBB191_2011:
	s_delay_alu instid0(SALU_CYCLE_1)
	s_and_not1_b32 vcc_lo, exec_lo, s2
	s_cbranch_vccnz .LBB191_2027
; %bb.2012:
	s_cmp_lt_i32 s7, 2
	s_mov_b32 s2, -1
	s_cbranch_scc1 .LBB191_2022
; %bb.2013:
	s_cmp_lt_i32 s7, 3
	s_cbranch_scc1 .LBB191_2019
; %bb.2014:
	s_cmp_gt_i32 s7, 3
	s_cbranch_scc0 .LBB191_2016
; %bb.2015:
	s_mov_b32 s2, 0
	s_wait_xcnt 0x0
	v_cndmask_b32_e64 v4, 0, 1, s1
	v_mov_b32_e32 v5, s2
	global_store_b64 v[2:3], v[4:5], off
.LBB191_2016:
	s_and_not1_b32 vcc_lo, exec_lo, s2
	s_cbranch_vccnz .LBB191_2018
; %bb.2017:
	s_wait_xcnt 0x0
	v_cndmask_b32_e64 v1, 0, 1, s1
	global_store_b32 v[2:3], v1, off
.LBB191_2018:
	s_mov_b32 s2, 0
.LBB191_2019:
	s_delay_alu instid0(SALU_CYCLE_1)
	s_and_not1_b32 vcc_lo, exec_lo, s2
	s_cbranch_vccnz .LBB191_2021
; %bb.2020:
	s_wait_xcnt 0x0
	v_cndmask_b32_e64 v1, 0, 1, s1
	global_store_b16 v[2:3], v1, off
.LBB191_2021:
	s_mov_b32 s2, 0
.LBB191_2022:
	s_delay_alu instid0(SALU_CYCLE_1)
	s_and_not1_b32 vcc_lo, exec_lo, s2
	s_cbranch_vccnz .LBB191_2027
; %bb.2023:
	s_cmp_gt_i32 s7, 0
	s_mov_b32 s2, -1
	s_cbranch_scc0 .LBB191_2025
; %bb.2024:
	s_wait_xcnt 0x0
	v_cndmask_b32_e64 v1, 0, 1, s1
	s_mov_b32 s2, 0
	global_store_b8 v[2:3], v1, off
.LBB191_2025:
	s_and_not1_b32 vcc_lo, exec_lo, s2
	s_cbranch_vccnz .LBB191_2027
; %bb.2026:
	s_wait_xcnt 0x0
	v_cndmask_b32_e64 v1, 0, 1, s1
	global_store_b8 v[2:3], v1, off
.LBB191_2027:
	s_mov_b32 s10, -1
.LBB191_2028:
	s_delay_alu instid0(SALU_CYCLE_1)
	s_and_not1_b32 vcc_lo, exec_lo, s10
	s_cbranch_vccnz .LBB191_2105
; %bb.2029:
	v_cmp_eq_f16_e32 vcc_lo, s9, v10
	s_cmp_lt_i32 s7, 11
	s_wait_xcnt 0x0
	v_cndmask_b32_e64 v1, 0, 1, vcc_lo
	v_cmp_neq_f16_e32 vcc_lo, s9, v10
	v_cndmask_b32_e64 v2, 0, 1, vcc_lo
	s_delay_alu instid0(VALU_DEP_1) | instskip(NEXT) | instid1(VALU_DEP_1)
	v_dual_cndmask_b32 v2, v2, v1, s0 :: v_dual_mov_b32 v1, 0
	v_and_b32_e32 v4, 1, v2
	s_delay_alu instid0(VALU_DEP_2) | instskip(NEXT) | instid1(VALU_DEP_2)
	v_add_nc_u64_e32 v[2:3], s[4:5], v[0:1]
	v_cmp_eq_u32_e64 s1, 1, v4
	s_cbranch_scc1 .LBB191_2150
; %bb.2030:
	s_mov_b32 s4, -1
	s_mov_b32 s2, 0
	s_cmp_gt_i32 s7, 25
	s_mov_b32 s0, 0
	s_cbranch_scc0 .LBB191_2063
; %bb.2031:
	s_cmp_gt_i32 s7, 28
	s_cbranch_scc0 .LBB191_2047
; %bb.2032:
	s_cmp_gt_i32 s7, 43
	;; [unrolled: 3-line block ×3, first 2 shown]
	s_cbranch_scc0 .LBB191_2037
; %bb.2034:
	s_cmp_eq_u32 s7, 46
	s_mov_b32 s0, -1
	s_cbranch_scc0 .LBB191_2036
; %bb.2035:
	v_cndmask_b32_e64 v0, 0, 1.0, s1
	s_mov_b32 s0, 0
	s_delay_alu instid0(VALU_DEP_1) | instskip(NEXT) | instid1(VALU_DEP_1)
	v_bfe_u32 v1, v0, 16, 1
	v_add3_u32 v0, v0, v1, 0x7fff
	s_delay_alu instid0(VALU_DEP_1)
	v_lshrrev_b32_e32 v0, 16, v0
	global_store_b32 v[2:3], v0, off
.LBB191_2036:
	s_mov_b32 s4, 0
.LBB191_2037:
	s_delay_alu instid0(SALU_CYCLE_1)
	s_and_b32 vcc_lo, exec_lo, s4
	s_cbranch_vccz .LBB191_2042
; %bb.2038:
	s_cmp_eq_u32 s7, 44
	s_mov_b32 s0, -1
	s_cbranch_scc0 .LBB191_2042
; %bb.2039:
	v_cndmask_b32_e64 v4, 0, 1.0, s1
	s_mov_b32 s4, exec_lo
	s_wait_xcnt 0x0
	s_delay_alu instid0(VALU_DEP_1) | instskip(NEXT) | instid1(VALU_DEP_1)
	v_dual_mov_b32 v1, 0xff :: v_dual_lshrrev_b32 v0, 23, v4
	v_cmpx_ne_u32_e32 0xff, v0
; %bb.2040:
	v_and_b32_e32 v1, 0x400000, v4
	v_and_or_b32 v4, 0x3fffff, v4, v0
	s_delay_alu instid0(VALU_DEP_2) | instskip(NEXT) | instid1(VALU_DEP_2)
	v_cmp_ne_u32_e32 vcc_lo, 0, v1
	v_cmp_ne_u32_e64 s0, 0, v4
	s_and_b32 s0, vcc_lo, s0
	s_delay_alu instid0(SALU_CYCLE_1) | instskip(NEXT) | instid1(VALU_DEP_1)
	v_cndmask_b32_e64 v1, 0, 1, s0
	v_add_nc_u32_e32 v1, v0, v1
; %bb.2041:
	s_or_b32 exec_lo, exec_lo, s4
	s_mov_b32 s0, 0
	global_store_b8 v[2:3], v1, off
.LBB191_2042:
	s_mov_b32 s4, 0
.LBB191_2043:
	s_delay_alu instid0(SALU_CYCLE_1)
	s_and_b32 vcc_lo, exec_lo, s4
	s_cbranch_vccz .LBB191_2046
; %bb.2044:
	s_cmp_eq_u32 s7, 29
	s_mov_b32 s0, -1
	s_cbranch_scc0 .LBB191_2046
; %bb.2045:
	s_mov_b32 s0, 0
	s_wait_xcnt 0x0
	v_cndmask_b32_e64 v0, 0, 1, s1
	v_mov_b32_e32 v1, s0
	global_store_b64 v[2:3], v[0:1], off
.LBB191_2046:
	s_mov_b32 s4, 0
.LBB191_2047:
	s_delay_alu instid0(SALU_CYCLE_1)
	s_and_b32 vcc_lo, exec_lo, s4
	s_cbranch_vccz .LBB191_2062
; %bb.2048:
	s_cmp_lt_i32 s7, 27
	s_mov_b32 s4, -1
	s_cbranch_scc1 .LBB191_2054
; %bb.2049:
	s_cmp_gt_i32 s7, 27
	s_cbranch_scc0 .LBB191_2051
; %bb.2050:
	s_wait_xcnt 0x0
	v_cndmask_b32_e64 v0, 0, 1, s1
	s_mov_b32 s4, 0
	global_store_b32 v[2:3], v0, off
.LBB191_2051:
	s_and_not1_b32 vcc_lo, exec_lo, s4
	s_cbranch_vccnz .LBB191_2053
; %bb.2052:
	s_wait_xcnt 0x0
	v_cndmask_b32_e64 v0, 0, 1, s1
	global_store_b16 v[2:3], v0, off
.LBB191_2053:
	s_mov_b32 s4, 0
.LBB191_2054:
	s_delay_alu instid0(SALU_CYCLE_1)
	s_and_not1_b32 vcc_lo, exec_lo, s4
	s_cbranch_vccnz .LBB191_2062
; %bb.2055:
	s_wait_xcnt 0x0
	v_cndmask_b32_e64 v1, 0, 1.0, s1
	v_mov_b32_e32 v4, 0x80
	s_mov_b32 s4, exec_lo
	s_delay_alu instid0(VALU_DEP_2)
	v_cmpx_gt_u32_e32 0x43800000, v1
	s_cbranch_execz .LBB191_2061
; %bb.2056:
	s_mov_b32 s5, 0
	s_mov_b32 s8, exec_lo
                                        ; implicit-def: $vgpr0
	v_cmpx_lt_u32_e32 0x3bffffff, v1
	s_xor_b32 s8, exec_lo, s8
	s_cbranch_execz .LBB191_2167
; %bb.2057:
	v_bfe_u32 v0, v1, 20, 1
	s_mov_b32 s5, exec_lo
	s_delay_alu instid0(VALU_DEP_1) | instskip(NEXT) | instid1(VALU_DEP_1)
	v_add3_u32 v0, v1, v0, 0x487ffff
                                        ; implicit-def: $vgpr1
	v_lshrrev_b32_e32 v0, 20, v0
	s_and_not1_saveexec_b32 s8, s8
	s_cbranch_execnz .LBB191_2168
.LBB191_2058:
	s_or_b32 exec_lo, exec_lo, s8
	v_mov_b32_e32 v4, 0
	s_and_saveexec_b32 s8, s5
.LBB191_2059:
	v_mov_b32_e32 v4, v0
.LBB191_2060:
	s_or_b32 exec_lo, exec_lo, s8
.LBB191_2061:
	s_delay_alu instid0(SALU_CYCLE_1)
	s_or_b32 exec_lo, exec_lo, s4
	global_store_b8 v[2:3], v4, off
.LBB191_2062:
	s_mov_b32 s4, 0
.LBB191_2063:
	s_delay_alu instid0(SALU_CYCLE_1)
	s_and_b32 vcc_lo, exec_lo, s4
	s_cbranch_vccz .LBB191_2103
; %bb.2064:
	s_cmp_gt_i32 s7, 22
	s_mov_b32 s2, -1
	s_cbranch_scc0 .LBB191_2096
; %bb.2065:
	s_cmp_lt_i32 s7, 24
	s_cbranch_scc1 .LBB191_2085
; %bb.2066:
	s_cmp_gt_i32 s7, 24
	s_cbranch_scc0 .LBB191_2074
; %bb.2067:
	s_wait_xcnt 0x0
	v_cndmask_b32_e64 v1, 0, 1.0, s1
	v_mov_b32_e32 v4, 0x80
	s_mov_b32 s2, exec_lo
	s_delay_alu instid0(VALU_DEP_2)
	v_cmpx_gt_u32_e32 0x47800000, v1
	s_cbranch_execz .LBB191_2073
; %bb.2068:
	s_mov_b32 s4, 0
	s_mov_b32 s5, exec_lo
                                        ; implicit-def: $vgpr0
	v_cmpx_lt_u32_e32 0x37ffffff, v1
	s_xor_b32 s5, exec_lo, s5
	s_cbranch_execz .LBB191_2170
; %bb.2069:
	v_bfe_u32 v0, v1, 21, 1
	s_mov_b32 s4, exec_lo
	s_delay_alu instid0(VALU_DEP_1) | instskip(NEXT) | instid1(VALU_DEP_1)
	v_add3_u32 v0, v1, v0, 0x88fffff
                                        ; implicit-def: $vgpr1
	v_lshrrev_b32_e32 v0, 21, v0
	s_and_not1_saveexec_b32 s5, s5
	s_cbranch_execnz .LBB191_2171
.LBB191_2070:
	s_or_b32 exec_lo, exec_lo, s5
	v_mov_b32_e32 v4, 0
	s_and_saveexec_b32 s5, s4
.LBB191_2071:
	v_mov_b32_e32 v4, v0
.LBB191_2072:
	s_or_b32 exec_lo, exec_lo, s5
.LBB191_2073:
	s_delay_alu instid0(SALU_CYCLE_1)
	s_or_b32 exec_lo, exec_lo, s2
	s_mov_b32 s2, 0
	global_store_b8 v[2:3], v4, off
.LBB191_2074:
	s_and_b32 vcc_lo, exec_lo, s2
	s_cbranch_vccz .LBB191_2084
; %bb.2075:
	s_wait_xcnt 0x0
	v_cndmask_b32_e64 v1, 0, 1.0, s1
	s_mov_b32 s2, exec_lo
                                        ; implicit-def: $vgpr0
	s_delay_alu instid0(VALU_DEP_1)
	v_cmpx_gt_u32_e32 0x43f00000, v1
	s_xor_b32 s2, exec_lo, s2
	s_cbranch_execz .LBB191_2081
; %bb.2076:
	s_mov_b32 s4, exec_lo
                                        ; implicit-def: $vgpr0
	v_cmpx_lt_u32_e32 0x3c7fffff, v1
	s_xor_b32 s4, exec_lo, s4
; %bb.2077:
	v_bfe_u32 v0, v1, 20, 1
	s_delay_alu instid0(VALU_DEP_1) | instskip(NEXT) | instid1(VALU_DEP_1)
	v_add3_u32 v0, v1, v0, 0x407ffff
	v_and_b32_e32 v1, 0xff00000, v0
	v_lshrrev_b32_e32 v0, 20, v0
	s_delay_alu instid0(VALU_DEP_2) | instskip(NEXT) | instid1(VALU_DEP_2)
	v_cmp_ne_u32_e32 vcc_lo, 0x7f00000, v1
                                        ; implicit-def: $vgpr1
	v_cndmask_b32_e32 v0, 0x7e, v0, vcc_lo
; %bb.2078:
	s_and_not1_saveexec_b32 s4, s4
; %bb.2079:
	v_add_f32_e32 v0, 0x46800000, v1
; %bb.2080:
	s_or_b32 exec_lo, exec_lo, s4
                                        ; implicit-def: $vgpr1
.LBB191_2081:
	s_and_not1_saveexec_b32 s2, s2
; %bb.2082:
	v_mov_b32_e32 v0, 0x7f
	v_cmp_lt_u32_e32 vcc_lo, 0x7f800000, v1
	s_delay_alu instid0(VALU_DEP_2)
	v_cndmask_b32_e32 v0, 0x7e, v0, vcc_lo
; %bb.2083:
	s_or_b32 exec_lo, exec_lo, s2
	global_store_b8 v[2:3], v0, off
.LBB191_2084:
	s_mov_b32 s2, 0
.LBB191_2085:
	s_delay_alu instid0(SALU_CYCLE_1)
	s_and_not1_b32 vcc_lo, exec_lo, s2
	s_cbranch_vccnz .LBB191_2095
; %bb.2086:
	s_wait_xcnt 0x0
	v_cndmask_b32_e64 v1, 0, 1.0, s1
	s_mov_b32 s2, exec_lo
                                        ; implicit-def: $vgpr0
	s_delay_alu instid0(VALU_DEP_1)
	v_cmpx_gt_u32_e32 0x47800000, v1
	s_xor_b32 s2, exec_lo, s2
	s_cbranch_execz .LBB191_2092
; %bb.2087:
	s_mov_b32 s4, exec_lo
                                        ; implicit-def: $vgpr0
	v_cmpx_lt_u32_e32 0x387fffff, v1
	s_xor_b32 s4, exec_lo, s4
; %bb.2088:
	v_bfe_u32 v0, v1, 21, 1
	s_delay_alu instid0(VALU_DEP_1) | instskip(NEXT) | instid1(VALU_DEP_1)
	v_add3_u32 v0, v1, v0, 0x80fffff
                                        ; implicit-def: $vgpr1
	v_lshrrev_b32_e32 v0, 21, v0
; %bb.2089:
	s_and_not1_saveexec_b32 s4, s4
; %bb.2090:
	v_add_f32_e32 v0, 0x43000000, v1
; %bb.2091:
	s_or_b32 exec_lo, exec_lo, s4
                                        ; implicit-def: $vgpr1
.LBB191_2092:
	s_and_not1_saveexec_b32 s2, s2
; %bb.2093:
	v_mov_b32_e32 v0, 0x7f
	v_cmp_lt_u32_e32 vcc_lo, 0x7f800000, v1
	s_delay_alu instid0(VALU_DEP_2)
	v_cndmask_b32_e32 v0, 0x7c, v0, vcc_lo
; %bb.2094:
	s_or_b32 exec_lo, exec_lo, s2
	global_store_b8 v[2:3], v0, off
.LBB191_2095:
	s_mov_b32 s2, 0
.LBB191_2096:
	s_delay_alu instid0(SALU_CYCLE_1)
	s_and_not1_b32 vcc_lo, exec_lo, s2
	s_mov_b32 s2, 0
	s_cbranch_vccnz .LBB191_2103
; %bb.2097:
	s_cmp_gt_i32 s7, 14
	s_mov_b32 s2, -1
	s_cbranch_scc0 .LBB191_2101
; %bb.2098:
	s_cmp_eq_u32 s7, 15
	s_mov_b32 s0, -1
	s_cbranch_scc0 .LBB191_2100
; %bb.2099:
	s_wait_xcnt 0x0
	v_cndmask_b32_e64 v0, 0, 1.0, s1
	s_mov_b32 s0, 0
	s_delay_alu instid0(VALU_DEP_1) | instskip(NEXT) | instid1(VALU_DEP_1)
	v_bfe_u32 v1, v0, 16, 1
	v_add3_u32 v0, v0, v1, 0x7fff
	global_store_d16_hi_b16 v[2:3], v0, off
.LBB191_2100:
	s_mov_b32 s2, 0
.LBB191_2101:
	s_delay_alu instid0(SALU_CYCLE_1)
	s_and_b32 vcc_lo, exec_lo, s2
	s_mov_b32 s2, 0
	s_cbranch_vccz .LBB191_2103
; %bb.2102:
	s_cmp_lg_u32 s7, 11
	s_mov_b32 s2, -1
	s_cselect_b32 s0, -1, 0
.LBB191_2103:
	s_delay_alu instid0(SALU_CYCLE_1)
	s_and_b32 vcc_lo, exec_lo, s0
	s_cbranch_vccnz .LBB191_2169
.LBB191_2104:
	s_mov_b32 s0, 0
	s_branch .LBB191_2106
.LBB191_2105:
	s_mov_b32 s0, 0
	s_mov_b32 s2, 0
                                        ; implicit-def: $sgpr1
                                        ; implicit-def: $vgpr2_vgpr3
                                        ; implicit-def: $sgpr6
.LBB191_2106:
	s_and_not1_b32 s4, s11, exec_lo
	s_and_b32 s3, s3, exec_lo
	s_and_b32 s0, s0, exec_lo
	;; [unrolled: 1-line block ×3, first 2 shown]
	s_or_b32 s11, s4, s3
.LBB191_2107:
	s_wait_xcnt 0x0
	s_or_b32 exec_lo, exec_lo, s12
	s_and_saveexec_b32 s2, s11
	s_cbranch_execz .LBB191_2110
; %bb.2108:
	; divergent unreachable
	s_or_b32 exec_lo, exec_lo, s2
	s_and_saveexec_b32 s2, s36
	s_delay_alu instid0(SALU_CYCLE_1)
	s_xor_b32 s2, exec_lo, s2
	s_cbranch_execnz .LBB191_2111
.LBB191_2109:
	s_or_b32 exec_lo, exec_lo, s2
	s_and_saveexec_b32 s2, s0
	s_cbranch_execnz .LBB191_2112
	s_branch .LBB191_2149
.LBB191_2110:
	s_or_b32 exec_lo, exec_lo, s2
	s_and_saveexec_b32 s2, s36
	s_delay_alu instid0(SALU_CYCLE_1)
	s_xor_b32 s2, exec_lo, s2
	s_cbranch_execz .LBB191_2109
.LBB191_2111:
	v_cndmask_b32_e64 v0, 0, 1, s1
	s_wait_loadcnt 0x0
	global_store_b8 v[2:3], v0, off
	s_wait_xcnt 0x0
	s_or_b32 exec_lo, exec_lo, s2
	s_and_saveexec_b32 s2, s0
	s_cbranch_execz .LBB191_2149
.LBB191_2112:
	s_sext_i32_i16 s2, s6
	s_mov_b32 s0, -1
	s_cmp_lt_i32 s2, 5
	s_cbranch_scc1 .LBB191_2133
; %bb.2113:
	s_cmp_lt_i32 s2, 8
	s_cbranch_scc1 .LBB191_2123
; %bb.2114:
	;; [unrolled: 3-line block ×3, first 2 shown]
	s_cmp_gt_i32 s2, 9
	s_cbranch_scc0 .LBB191_2117
; %bb.2116:
	v_cndmask_b32_e64 v0, 0, 1, s1
	v_mov_b32_e32 v6, 0
	s_mov_b32 s0, 0
	s_delay_alu instid0(VALU_DEP_2) | instskip(NEXT) | instid1(VALU_DEP_2)
	v_cvt_f64_u32_e32 v[4:5], v0
	v_mov_b32_e32 v7, v6
	s_wait_loadcnt 0x0
	global_store_b128 v[2:3], v[4:7], off
.LBB191_2117:
	s_and_not1_b32 vcc_lo, exec_lo, s0
	s_cbranch_vccnz .LBB191_2119
; %bb.2118:
	v_cndmask_b32_e64 v0, 0, 1.0, s1
	s_wait_loadcnt 0x0
	v_mov_b32_e32 v1, 0
	global_store_b64 v[2:3], v[0:1], off
.LBB191_2119:
	s_mov_b32 s0, 0
.LBB191_2120:
	s_delay_alu instid0(SALU_CYCLE_1)
	s_and_not1_b32 vcc_lo, exec_lo, s0
	s_cbranch_vccnz .LBB191_2122
; %bb.2121:
	s_wait_xcnt 0x0
	v_cndmask_b32_e64 v0, 0, 1.0, s1
	s_delay_alu instid0(VALU_DEP_1) | instskip(NEXT) | instid1(VALU_DEP_1)
	v_cvt_f16_f32_e32 v0, v0
	v_and_b32_e32 v0, 0xffff, v0
	s_wait_loadcnt 0x0
	global_store_b32 v[2:3], v0, off
.LBB191_2122:
	s_mov_b32 s0, 0
.LBB191_2123:
	s_delay_alu instid0(SALU_CYCLE_1)
	s_and_not1_b32 vcc_lo, exec_lo, s0
	s_cbranch_vccnz .LBB191_2132
; %bb.2124:
	s_sext_i32_i16 s2, s6
	s_mov_b32 s0, -1
	s_cmp_lt_i32 s2, 6
	s_cbranch_scc1 .LBB191_2130
; %bb.2125:
	s_cmp_gt_i32 s2, 6
	s_cbranch_scc0 .LBB191_2127
; %bb.2126:
	s_wait_xcnt 0x0
	v_cndmask_b32_e64 v0, 0, 1, s1
	s_mov_b32 s0, 0
	s_wait_loadcnt 0x0
	s_delay_alu instid0(VALU_DEP_1)
	v_cvt_f64_u32_e32 v[0:1], v0
	global_store_b64 v[2:3], v[0:1], off
.LBB191_2127:
	s_and_not1_b32 vcc_lo, exec_lo, s0
	s_cbranch_vccnz .LBB191_2129
; %bb.2128:
	s_wait_xcnt 0x0
	v_cndmask_b32_e64 v0, 0, 1.0, s1
	s_wait_loadcnt 0x0
	global_store_b32 v[2:3], v0, off
.LBB191_2129:
	s_mov_b32 s0, 0
.LBB191_2130:
	s_delay_alu instid0(SALU_CYCLE_1)
	s_and_not1_b32 vcc_lo, exec_lo, s0
	s_cbranch_vccnz .LBB191_2132
; %bb.2131:
	s_wait_xcnt 0x0
	v_cndmask_b32_e64 v0, 0, 1.0, s1
	s_delay_alu instid0(VALU_DEP_1)
	v_cvt_f16_f32_e32 v0, v0
	s_wait_loadcnt 0x0
	global_store_b16 v[2:3], v0, off
.LBB191_2132:
	s_mov_b32 s0, 0
.LBB191_2133:
	s_delay_alu instid0(SALU_CYCLE_1)
	s_and_not1_b32 vcc_lo, exec_lo, s0
	s_cbranch_vccnz .LBB191_2149
; %bb.2134:
	s_sext_i32_i16 s2, s6
	s_mov_b32 s0, -1
	s_cmp_lt_i32 s2, 2
	s_cbranch_scc1 .LBB191_2144
; %bb.2135:
	s_cmp_lt_i32 s2, 3
	s_cbranch_scc1 .LBB191_2141
; %bb.2136:
	s_cmp_gt_i32 s2, 3
	s_cbranch_scc0 .LBB191_2138
; %bb.2137:
	s_mov_b32 s0, 0
	s_wait_xcnt 0x0
	v_cndmask_b32_e64 v0, 0, 1, s1
	s_wait_loadcnt 0x0
	v_mov_b32_e32 v1, s0
	global_store_b64 v[2:3], v[0:1], off
.LBB191_2138:
	s_and_not1_b32 vcc_lo, exec_lo, s0
	s_cbranch_vccnz .LBB191_2140
; %bb.2139:
	s_wait_xcnt 0x0
	v_cndmask_b32_e64 v0, 0, 1, s1
	s_wait_loadcnt 0x0
	global_store_b32 v[2:3], v0, off
.LBB191_2140:
	s_mov_b32 s0, 0
.LBB191_2141:
	s_delay_alu instid0(SALU_CYCLE_1)
	s_and_not1_b32 vcc_lo, exec_lo, s0
	s_cbranch_vccnz .LBB191_2143
; %bb.2142:
	s_wait_xcnt 0x0
	v_cndmask_b32_e64 v0, 0, 1, s1
	s_wait_loadcnt 0x0
	global_store_b16 v[2:3], v0, off
.LBB191_2143:
	s_mov_b32 s0, 0
.LBB191_2144:
	s_delay_alu instid0(SALU_CYCLE_1)
	s_and_not1_b32 vcc_lo, exec_lo, s0
	s_cbranch_vccnz .LBB191_2149
; %bb.2145:
	s_sext_i32_i16 s0, s6
	s_delay_alu instid0(SALU_CYCLE_1)
	s_cmp_gt_i32 s0, 0
	s_mov_b32 s0, -1
	s_cbranch_scc0 .LBB191_2147
; %bb.2146:
	s_wait_xcnt 0x0
	v_cndmask_b32_e64 v0, 0, 1, s1
	s_mov_b32 s0, 0
	s_wait_loadcnt 0x0
	global_store_b8 v[2:3], v0, off
.LBB191_2147:
	s_and_not1_b32 vcc_lo, exec_lo, s0
	s_cbranch_vccnz .LBB191_2149
; %bb.2148:
	s_wait_xcnt 0x0
	v_cndmask_b32_e64 v0, 0, 1, s1
	s_wait_loadcnt 0x0
	global_store_b8 v[2:3], v0, off
	s_endpgm
.LBB191_2149:
	s_endpgm
.LBB191_2150:
	s_mov_b32 s2, 0
	s_mov_b32 s0, -1
	s_branch .LBB191_2106
.LBB191_2151:
	s_or_b32 s3, s3, exec_lo
	s_trap 2
	s_cbranch_execz .LBB191_1621
	s_branch .LBB191_1622
.LBB191_2152:
	s_and_not1_saveexec_b32 s14, s14
	s_cbranch_execz .LBB191_1701
.LBB191_2153:
	v_add_f32_e32 v1, 0x46000000, v5
	s_and_not1_b32 s13, s13, exec_lo
	s_delay_alu instid0(VALU_DEP_1) | instskip(NEXT) | instid1(VALU_DEP_1)
	v_and_b32_e32 v1, 0xff, v1
	v_cmp_ne_u32_e32 vcc_lo, 0, v1
	s_and_b32 s15, vcc_lo, exec_lo
	s_delay_alu instid0(SALU_CYCLE_1)
	s_or_b32 s13, s13, s15
	s_or_b32 exec_lo, exec_lo, s14
	v_mov_b32_e32 v8, 0
	s_and_saveexec_b32 s14, s13
	s_cbranch_execnz .LBB191_1702
	s_branch .LBB191_1703
.LBB191_2154:
	s_or_b32 s3, s3, exec_lo
	s_trap 2
	s_cbranch_execz .LBB191_1749
	s_branch .LBB191_1750
.LBB191_2155:
	s_and_not1_saveexec_b32 s13, s13
	s_cbranch_execz .LBB191_1714
.LBB191_2156:
	v_add_f32_e32 v1, 0x42800000, v5
	s_and_not1_b32 s10, s10, exec_lo
	s_delay_alu instid0(VALU_DEP_1) | instskip(NEXT) | instid1(VALU_DEP_1)
	v_and_b32_e32 v1, 0xff, v1
	v_cmp_ne_u32_e32 vcc_lo, 0, v1
	s_and_b32 s14, vcc_lo, exec_lo
	s_delay_alu instid0(SALU_CYCLE_1)
	s_or_b32 s10, s10, s14
	s_or_b32 exec_lo, exec_lo, s13
	v_mov_b32_e32 v8, 0
	s_and_saveexec_b32 s13, s10
	s_cbranch_execnz .LBB191_1715
	s_branch .LBB191_1716
.LBB191_2157:
	s_and_not1_saveexec_b32 s14, s14
	s_cbranch_execz .LBB191_1819
.LBB191_2158:
	v_add_f32_e32 v1, 0x46000000, v3
	s_and_not1_b32 s13, s13, exec_lo
	s_delay_alu instid0(VALU_DEP_1) | instskip(NEXT) | instid1(VALU_DEP_1)
	v_and_b32_e32 v1, 0xff, v1
	v_cmp_ne_u32_e32 vcc_lo, 0, v1
	s_and_b32 s15, vcc_lo, exec_lo
	s_delay_alu instid0(SALU_CYCLE_1)
	s_or_b32 s13, s13, s15
	s_or_b32 exec_lo, exec_lo, s14
	v_mov_b32_e32 v6, 0
	s_and_saveexec_b32 s14, s13
	s_cbranch_execnz .LBB191_1820
	s_branch .LBB191_1821
.LBB191_2159:
	s_or_b32 s3, s3, exec_lo
	s_trap 2
	s_cbranch_execz .LBB191_1867
	s_branch .LBB191_1868
.LBB191_2160:
	s_and_not1_saveexec_b32 s13, s13
	s_cbranch_execz .LBB191_1832
.LBB191_2161:
	v_add_f32_e32 v1, 0x42800000, v3
	s_and_not1_b32 s10, s10, exec_lo
	s_delay_alu instid0(VALU_DEP_1) | instskip(NEXT) | instid1(VALU_DEP_1)
	v_and_b32_e32 v1, 0xff, v1
	v_cmp_ne_u32_e32 vcc_lo, 0, v1
	s_and_b32 s14, vcc_lo, exec_lo
	s_delay_alu instid0(SALU_CYCLE_1)
	s_or_b32 s10, s10, s14
	s_or_b32 exec_lo, exec_lo, s13
	v_mov_b32_e32 v6, 0
	s_and_saveexec_b32 s13, s10
	s_cbranch_execnz .LBB191_1833
	s_branch .LBB191_1834
.LBB191_2162:
	s_and_not1_saveexec_b32 s14, s14
	s_cbranch_execz .LBB191_1938
.LBB191_2163:
	v_add_f32_e32 v1, 0x46000000, v4
	s_and_not1_b32 s13, s13, exec_lo
	s_delay_alu instid0(VALU_DEP_1) | instskip(NEXT) | instid1(VALU_DEP_1)
	v_and_b32_e32 v1, 0xff, v1
	v_cmp_ne_u32_e32 vcc_lo, 0, v1
	s_and_b32 s15, vcc_lo, exec_lo
	s_delay_alu instid0(SALU_CYCLE_1)
	s_or_b32 s13, s13, s15
	s_or_b32 exec_lo, exec_lo, s14
	v_mov_b32_e32 v5, 0
	s_and_saveexec_b32 s14, s13
	s_cbranch_execnz .LBB191_1939
	s_branch .LBB191_1940
.LBB191_2164:
	s_or_b32 s3, s3, exec_lo
	s_trap 2
	s_cbranch_execz .LBB191_1986
	s_branch .LBB191_1987
.LBB191_2165:
	s_and_not1_saveexec_b32 s13, s13
	s_cbranch_execz .LBB191_1951
.LBB191_2166:
	v_add_f32_e32 v1, 0x42800000, v4
	s_and_not1_b32 s10, s10, exec_lo
	s_delay_alu instid0(VALU_DEP_1) | instskip(NEXT) | instid1(VALU_DEP_1)
	v_and_b32_e32 v1, 0xff, v1
	v_cmp_ne_u32_e32 vcc_lo, 0, v1
	s_and_b32 s14, vcc_lo, exec_lo
	s_delay_alu instid0(SALU_CYCLE_1)
	s_or_b32 s10, s10, s14
	s_or_b32 exec_lo, exec_lo, s13
	v_mov_b32_e32 v5, 0
	s_and_saveexec_b32 s13, s10
	s_cbranch_execnz .LBB191_1952
	s_branch .LBB191_1953
.LBB191_2167:
	s_and_not1_saveexec_b32 s8, s8
	s_cbranch_execz .LBB191_2058
.LBB191_2168:
	v_add_f32_e32 v0, 0x46000000, v1
	s_and_not1_b32 s5, s5, exec_lo
	s_delay_alu instid0(VALU_DEP_1) | instskip(NEXT) | instid1(VALU_DEP_1)
	v_and_b32_e32 v0, 0xff, v0
	v_cmp_ne_u32_e32 vcc_lo, 0, v0
	s_and_b32 s9, vcc_lo, exec_lo
	s_delay_alu instid0(SALU_CYCLE_1)
	s_or_b32 s5, s5, s9
	s_or_b32 exec_lo, exec_lo, s8
	v_mov_b32_e32 v4, 0
	s_and_saveexec_b32 s8, s5
	s_cbranch_execnz .LBB191_2059
	s_branch .LBB191_2060
.LBB191_2169:
	s_mov_b32 s2, 0
	s_or_b32 s3, s3, exec_lo
	s_trap 2
	s_branch .LBB191_2104
.LBB191_2170:
	s_and_not1_saveexec_b32 s5, s5
	s_cbranch_execz .LBB191_2070
.LBB191_2171:
	v_add_f32_e32 v0, 0x42800000, v1
	s_and_not1_b32 s4, s4, exec_lo
	s_delay_alu instid0(VALU_DEP_1) | instskip(NEXT) | instid1(VALU_DEP_1)
	v_and_b32_e32 v0, 0xff, v0
	v_cmp_ne_u32_e32 vcc_lo, 0, v0
	s_and_b32 s8, vcc_lo, exec_lo
	s_delay_alu instid0(SALU_CYCLE_1)
	s_or_b32 s4, s4, s8
	s_or_b32 exec_lo, exec_lo, s5
	v_mov_b32_e32 v4, 0
	s_and_saveexec_b32 s5, s4
	s_cbranch_execnz .LBB191_2071
	s_branch .LBB191_2072
	.section	.rodata,"a",@progbits
	.p2align	6, 0x0
	.amdhsa_kernel _ZN2at6native32elementwise_kernel_manual_unrollILi128ELi4EZNS0_15gpu_kernel_implINS0_13AUnaryFunctorIN3c104HalfES5_bNS0_12_GLOBAL__N_116CompareEqFunctorIS5_EEEEEEvRNS_18TensorIteratorBaseERKT_EUlibE0_EEviT1_
		.amdhsa_group_segment_fixed_size 0
		.amdhsa_private_segment_fixed_size 0
		.amdhsa_kernarg_size 368
		.amdhsa_user_sgpr_count 2
		.amdhsa_user_sgpr_dispatch_ptr 0
		.amdhsa_user_sgpr_queue_ptr 0
		.amdhsa_user_sgpr_kernarg_segment_ptr 1
		.amdhsa_user_sgpr_dispatch_id 0
		.amdhsa_user_sgpr_kernarg_preload_length 0
		.amdhsa_user_sgpr_kernarg_preload_offset 0
		.amdhsa_user_sgpr_private_segment_size 0
		.amdhsa_wavefront_size32 1
		.amdhsa_uses_dynamic_stack 0
		.amdhsa_enable_private_segment 0
		.amdhsa_system_sgpr_workgroup_id_x 1
		.amdhsa_system_sgpr_workgroup_id_y 0
		.amdhsa_system_sgpr_workgroup_id_z 0
		.amdhsa_system_sgpr_workgroup_info 0
		.amdhsa_system_vgpr_workitem_id 0
		.amdhsa_next_free_vgpr 18
		.amdhsa_next_free_sgpr 72
		.amdhsa_named_barrier_count 0
		.amdhsa_reserve_vcc 1
		.amdhsa_float_round_mode_32 0
		.amdhsa_float_round_mode_16_64 0
		.amdhsa_float_denorm_mode_32 3
		.amdhsa_float_denorm_mode_16_64 3
		.amdhsa_fp16_overflow 0
		.amdhsa_memory_ordered 1
		.amdhsa_forward_progress 1
		.amdhsa_inst_pref_size 255
		.amdhsa_round_robin_scheduling 0
		.amdhsa_exception_fp_ieee_invalid_op 0
		.amdhsa_exception_fp_denorm_src 0
		.amdhsa_exception_fp_ieee_div_zero 0
		.amdhsa_exception_fp_ieee_overflow 0
		.amdhsa_exception_fp_ieee_underflow 0
		.amdhsa_exception_fp_ieee_inexact 0
		.amdhsa_exception_int_div_zero 0
	.end_amdhsa_kernel
	.section	.text._ZN2at6native32elementwise_kernel_manual_unrollILi128ELi4EZNS0_15gpu_kernel_implINS0_13AUnaryFunctorIN3c104HalfES5_bNS0_12_GLOBAL__N_116CompareEqFunctorIS5_EEEEEEvRNS_18TensorIteratorBaseERKT_EUlibE0_EEviT1_,"axG",@progbits,_ZN2at6native32elementwise_kernel_manual_unrollILi128ELi4EZNS0_15gpu_kernel_implINS0_13AUnaryFunctorIN3c104HalfES5_bNS0_12_GLOBAL__N_116CompareEqFunctorIS5_EEEEEEvRNS_18TensorIteratorBaseERKT_EUlibE0_EEviT1_,comdat
.Lfunc_end191:
	.size	_ZN2at6native32elementwise_kernel_manual_unrollILi128ELi4EZNS0_15gpu_kernel_implINS0_13AUnaryFunctorIN3c104HalfES5_bNS0_12_GLOBAL__N_116CompareEqFunctorIS5_EEEEEEvRNS_18TensorIteratorBaseERKT_EUlibE0_EEviT1_, .Lfunc_end191-_ZN2at6native32elementwise_kernel_manual_unrollILi128ELi4EZNS0_15gpu_kernel_implINS0_13AUnaryFunctorIN3c104HalfES5_bNS0_12_GLOBAL__N_116CompareEqFunctorIS5_EEEEEEvRNS_18TensorIteratorBaseERKT_EUlibE0_EEviT1_
                                        ; -- End function
	.set _ZN2at6native32elementwise_kernel_manual_unrollILi128ELi4EZNS0_15gpu_kernel_implINS0_13AUnaryFunctorIN3c104HalfES5_bNS0_12_GLOBAL__N_116CompareEqFunctorIS5_EEEEEEvRNS_18TensorIteratorBaseERKT_EUlibE0_EEviT1_.num_vgpr, 18
	.set _ZN2at6native32elementwise_kernel_manual_unrollILi128ELi4EZNS0_15gpu_kernel_implINS0_13AUnaryFunctorIN3c104HalfES5_bNS0_12_GLOBAL__N_116CompareEqFunctorIS5_EEEEEEvRNS_18TensorIteratorBaseERKT_EUlibE0_EEviT1_.num_agpr, 0
	.set _ZN2at6native32elementwise_kernel_manual_unrollILi128ELi4EZNS0_15gpu_kernel_implINS0_13AUnaryFunctorIN3c104HalfES5_bNS0_12_GLOBAL__N_116CompareEqFunctorIS5_EEEEEEvRNS_18TensorIteratorBaseERKT_EUlibE0_EEviT1_.numbered_sgpr, 72
	.set _ZN2at6native32elementwise_kernel_manual_unrollILi128ELi4EZNS0_15gpu_kernel_implINS0_13AUnaryFunctorIN3c104HalfES5_bNS0_12_GLOBAL__N_116CompareEqFunctorIS5_EEEEEEvRNS_18TensorIteratorBaseERKT_EUlibE0_EEviT1_.num_named_barrier, 0
	.set _ZN2at6native32elementwise_kernel_manual_unrollILi128ELi4EZNS0_15gpu_kernel_implINS0_13AUnaryFunctorIN3c104HalfES5_bNS0_12_GLOBAL__N_116CompareEqFunctorIS5_EEEEEEvRNS_18TensorIteratorBaseERKT_EUlibE0_EEviT1_.private_seg_size, 0
	.set _ZN2at6native32elementwise_kernel_manual_unrollILi128ELi4EZNS0_15gpu_kernel_implINS0_13AUnaryFunctorIN3c104HalfES5_bNS0_12_GLOBAL__N_116CompareEqFunctorIS5_EEEEEEvRNS_18TensorIteratorBaseERKT_EUlibE0_EEviT1_.uses_vcc, 1
	.set _ZN2at6native32elementwise_kernel_manual_unrollILi128ELi4EZNS0_15gpu_kernel_implINS0_13AUnaryFunctorIN3c104HalfES5_bNS0_12_GLOBAL__N_116CompareEqFunctorIS5_EEEEEEvRNS_18TensorIteratorBaseERKT_EUlibE0_EEviT1_.uses_flat_scratch, 0
	.set _ZN2at6native32elementwise_kernel_manual_unrollILi128ELi4EZNS0_15gpu_kernel_implINS0_13AUnaryFunctorIN3c104HalfES5_bNS0_12_GLOBAL__N_116CompareEqFunctorIS5_EEEEEEvRNS_18TensorIteratorBaseERKT_EUlibE0_EEviT1_.has_dyn_sized_stack, 0
	.set _ZN2at6native32elementwise_kernel_manual_unrollILi128ELi4EZNS0_15gpu_kernel_implINS0_13AUnaryFunctorIN3c104HalfES5_bNS0_12_GLOBAL__N_116CompareEqFunctorIS5_EEEEEEvRNS_18TensorIteratorBaseERKT_EUlibE0_EEviT1_.has_recursion, 0
	.set _ZN2at6native32elementwise_kernel_manual_unrollILi128ELi4EZNS0_15gpu_kernel_implINS0_13AUnaryFunctorIN3c104HalfES5_bNS0_12_GLOBAL__N_116CompareEqFunctorIS5_EEEEEEvRNS_18TensorIteratorBaseERKT_EUlibE0_EEviT1_.has_indirect_call, 0
	.section	.AMDGPU.csdata,"",@progbits
; Kernel info:
; codeLenInByte = 46848
; TotalNumSgprs: 74
; NumVgprs: 18
; ScratchSize: 0
; MemoryBound: 0
; FloatMode: 240
; IeeeMode: 1
; LDSByteSize: 0 bytes/workgroup (compile time only)
; SGPRBlocks: 0
; VGPRBlocks: 1
; NumSGPRsForWavesPerEU: 74
; NumVGPRsForWavesPerEU: 18
; NamedBarCnt: 0
; Occupancy: 16
; WaveLimiterHint : 1
; COMPUTE_PGM_RSRC2:SCRATCH_EN: 0
; COMPUTE_PGM_RSRC2:USER_SGPR: 2
; COMPUTE_PGM_RSRC2:TRAP_HANDLER: 0
; COMPUTE_PGM_RSRC2:TGID_X_EN: 1
; COMPUTE_PGM_RSRC2:TGID_Y_EN: 0
; COMPUTE_PGM_RSRC2:TGID_Z_EN: 0
; COMPUTE_PGM_RSRC2:TIDIG_COMP_CNT: 0
	.section	.text._ZN2at6native29vectorized_elementwise_kernelILi16ENS0_13BinaryFunctorIN3c108BFloat16ES4_bNS0_12_GLOBAL__N_116CompareEqFunctorIS4_EEEESt5arrayIPcLm3EEEEviT0_T1_,"axG",@progbits,_ZN2at6native29vectorized_elementwise_kernelILi16ENS0_13BinaryFunctorIN3c108BFloat16ES4_bNS0_12_GLOBAL__N_116CompareEqFunctorIS4_EEEESt5arrayIPcLm3EEEEviT0_T1_,comdat
	.globl	_ZN2at6native29vectorized_elementwise_kernelILi16ENS0_13BinaryFunctorIN3c108BFloat16ES4_bNS0_12_GLOBAL__N_116CompareEqFunctorIS4_EEEESt5arrayIPcLm3EEEEviT0_T1_ ; -- Begin function _ZN2at6native29vectorized_elementwise_kernelILi16ENS0_13BinaryFunctorIN3c108BFloat16ES4_bNS0_12_GLOBAL__N_116CompareEqFunctorIS4_EEEESt5arrayIPcLm3EEEEviT0_T1_
	.p2align	8
	.type	_ZN2at6native29vectorized_elementwise_kernelILi16ENS0_13BinaryFunctorIN3c108BFloat16ES4_bNS0_12_GLOBAL__N_116CompareEqFunctorIS4_EEEESt5arrayIPcLm3EEEEviT0_T1_,@function
_ZN2at6native29vectorized_elementwise_kernelILi16ENS0_13BinaryFunctorIN3c108BFloat16ES4_bNS0_12_GLOBAL__N_116CompareEqFunctorIS4_EEEESt5arrayIPcLm3EEEEviT0_T1_: ; @_ZN2at6native29vectorized_elementwise_kernelILi16ENS0_13BinaryFunctorIN3c108BFloat16ES4_bNS0_12_GLOBAL__N_116CompareEqFunctorIS4_EEEESt5arrayIPcLm3EEEEviT0_T1_
; %bb.0:
	s_clause 0x2
	s_load_b64 s[8:9], s[0:1], 0x0
	s_load_b128 s[4:7], s[0:1], 0x8
	s_load_b64 s[10:11], s[0:1], 0x18
	s_wait_xcnt 0x0
	s_bfe_u32 s0, ttmp6, 0x4000c
	s_and_b32 s1, ttmp6, 15
	s_add_co_i32 s0, s0, 1
	s_getreg_b32 s2, hwreg(HW_REG_IB_STS2, 6, 4)
	s_mul_i32 s0, ttmp9, s0
	s_delay_alu instid0(SALU_CYCLE_1) | instskip(SKIP_2) | instid1(SALU_CYCLE_1)
	s_add_co_i32 s1, s1, s0
	s_cmp_eq_u32 s2, 0
	s_cselect_b32 s0, ttmp9, s1
	s_lshl_b32 s2, s0, 12
	s_mov_b32 s0, -1
	s_wait_kmcnt 0x0
	s_sub_co_i32 s1, s8, s2
	s_delay_alu instid0(SALU_CYCLE_1)
	s_cmp_gt_i32 s1, 0xfff
	s_cbranch_scc0 .LBB192_2
; %bb.1:
	s_ashr_i32 s3, s2, 31
	v_lshlrev_b32_e32 v1, 5, v0
	s_lshl_b64 s[12:13], s[2:3], 1
	s_cmp_eq_u32 s9, 0
	s_add_nc_u64 s[14:15], s[6:7], s[12:13]
	s_add_nc_u64 s[12:13], s[10:11], s[12:13]
	global_load_b128 v[2:5], v1, s[14:15]
	s_mov_b32 s0, 0
	s_wait_loadcnt 0x0
	v_lshlrev_b32_e32 v18, 16, v2
	s_clause 0x2
	global_load_b128 v[6:9], v1, s[12:13]
	global_load_b128 v[10:13], v1, s[14:15] offset:16
	global_load_b128 v[14:17], v1, s[12:13] offset:16
	s_wait_xcnt 0x0
	v_dual_lshlrev_b32 v1, 16, v3 :: v_dual_lshlrev_b32 v19, 16, v5
	v_lshlrev_b32_e32 v20, 16, v4
	v_and_b32_e32 v3, 0xffff0000, v3
	v_and_b32_e32 v2, 0xffff0000, v2
	;; [unrolled: 1-line block ×4, first 2 shown]
	s_add_nc_u64 s[12:13], s[4:5], s[2:3]
	s_wait_loadcnt 0x2
	v_lshlrev_b32_e32 v21, 16, v7
	v_and_b32_e32 v7, 0xffff0000, v7
	v_dual_lshlrev_b32 v22, 16, v6 :: v_dual_lshlrev_b32 v23, 16, v9
	v_and_b32_e32 v6, 0xffff0000, v6
	s_delay_alu instid0(VALU_DEP_4)
	v_cmp_eq_f32_e32 vcc_lo, v1, v21
	v_and_b32_e32 v9, 0xffff0000, v9
	s_wait_loadcnt 0x1
	v_dual_lshlrev_b32 v24, 16, v8 :: v_dual_lshlrev_b32 v25, 16, v11
	v_and_b32_e32 v8, 0xffff0000, v8
	v_cndmask_b32_e64 v33, 0, 1, vcc_lo
	v_cmp_neq_f32_e32 vcc_lo, v1, v21
	s_wait_loadcnt 0x0
	v_dual_lshlrev_b32 v28, 16, v12 :: v_dual_lshlrev_b32 v29, 16, v15
	v_and_b32_e32 v11, 0xffff0000, v11
	v_and_b32_e32 v15, 0xffff0000, v15
	v_cndmask_b32_e64 v1, 0, 1, vcc_lo
	v_cmp_eq_f32_e32 vcc_lo, v3, v7
	v_dual_lshlrev_b32 v26, 16, v10 :: v_dual_lshlrev_b32 v27, 16, v13
	v_dual_lshlrev_b32 v30, 16, v14 :: v_dual_lshlrev_b32 v31, 16, v17
	v_cndmask_b32_e64 v21, 0, 1, vcc_lo
	v_cmp_neq_f32_e32 vcc_lo, v3, v7
	v_and_b32_e32 v10, 0xffff0000, v10
	v_and_b32_e32 v14, 0xffff0000, v14
	;; [unrolled: 1-line block ×4, first 2 shown]
	v_cndmask_b32_e64 v3, 0, 1, vcc_lo
	v_cmp_eq_f32_e32 vcc_lo, v18, v22
	v_lshlrev_b32_e32 v32, 16, v16
	v_and_b32_e32 v12, 0xffff0000, v12
	v_and_b32_e32 v16, 0xffff0000, v16
	v_cndmask_b32_e64 v7, 0, 1, vcc_lo
	v_cmp_neq_f32_e32 vcc_lo, v18, v22
	v_cndmask_b32_e64 v18, 0, 1, vcc_lo
	v_cmp_eq_f32_e32 vcc_lo, v2, v6
	v_cndmask_b32_e64 v22, 0, 1, vcc_lo
	v_cmp_neq_f32_e32 vcc_lo, v2, v6
	v_cndmask_b32_e64 v2, 0, 1, vcc_lo
	v_cmp_eq_f32_e32 vcc_lo, v19, v23
	v_cndmask_b32_e64 v6, 0, 1, vcc_lo
	v_cmp_neq_f32_e32 vcc_lo, v19, v23
	v_cndmask_b32_e64 v19, 0, 1, vcc_lo
	v_cmp_eq_f32_e32 vcc_lo, v5, v9
	v_cndmask_b32_e64 v23, 0, 1, vcc_lo
	v_cmp_neq_f32_e32 vcc_lo, v5, v9
	v_cndmask_b32_e64 v5, 0, 1, vcc_lo
	v_cmp_eq_f32_e32 vcc_lo, v20, v24
	v_cndmask_b32_e64 v9, 0, 1, vcc_lo
	v_cmp_neq_f32_e32 vcc_lo, v20, v24
	v_cndmask_b32_e64 v20, 0, 1, vcc_lo
	v_cmp_eq_f32_e32 vcc_lo, v4, v8
	v_cndmask_b32_e64 v24, 0, 1, vcc_lo
	v_cmp_neq_f32_e32 vcc_lo, v4, v8
	v_cndmask_b32_e64 v4, 0, 1, vcc_lo
	v_cmp_eq_f32_e32 vcc_lo, v25, v29
	v_cndmask_b32_e64 v8, 0, 1, vcc_lo
	v_cmp_neq_f32_e32 vcc_lo, v25, v29
	v_cndmask_b32_e64 v25, 0, 1, vcc_lo
	v_cmp_eq_f32_e32 vcc_lo, v11, v15
	v_cndmask_b32_e64 v29, 0, 1, vcc_lo
	v_cmp_neq_f32_e32 vcc_lo, v11, v15
	v_cndmask_b32_e64 v11, 0, 1, vcc_lo
	v_cmp_eq_f32_e32 vcc_lo, v26, v30
	v_cndmask_b32_e64 v15, 0, 1, vcc_lo
	v_cmp_neq_f32_e32 vcc_lo, v26, v30
	v_cndmask_b32_e64 v26, 0, 1, vcc_lo
	v_cmp_eq_f32_e32 vcc_lo, v10, v14
	v_cndmask_b32_e64 v30, 0, 1, vcc_lo
	v_cmp_neq_f32_e32 vcc_lo, v10, v14
	v_cndmask_b32_e64 v10, 0, 1, vcc_lo
	v_cmp_eq_f32_e32 vcc_lo, v27, v31
	v_cndmask_b32_e64 v14, 0, 1, vcc_lo
	v_cmp_neq_f32_e32 vcc_lo, v27, v31
	v_cndmask_b32_e64 v27, 0, 1, vcc_lo
	v_cmp_eq_f32_e32 vcc_lo, v13, v17
	v_cndmask_b32_e64 v31, 0, 1, vcc_lo
	v_cmp_neq_f32_e32 vcc_lo, v13, v17
	v_cndmask_b32_e64 v13, 0, 1, vcc_lo
	v_cmp_eq_f32_e32 vcc_lo, v28, v32
	v_cndmask_b32_e64 v17, 0, 1, vcc_lo
	v_cmp_neq_f32_e32 vcc_lo, v28, v32
	v_cndmask_b32_e64 v28, 0, 1, vcc_lo
	v_cmp_eq_f32_e32 vcc_lo, v12, v16
	v_cndmask_b32_e64 v32, 0, 1, vcc_lo
	v_cmp_neq_f32_e32 vcc_lo, v12, v16
	v_cndmask_b32_e64 v12, 0, 1, vcc_lo
	s_cselect_b32 vcc_lo, -1, 0
	v_dual_cndmask_b32 v4, v4, v24 :: v_dual_cndmask_b32 v11, v11, v29
	v_dual_cndmask_b32 v2, v2, v22 :: v_dual_cndmask_b32 v5, v5, v23
	;; [unrolled: 1-line block ×3, first 2 shown]
	s_delay_alu instid0(VALU_DEP_3) | instskip(SKIP_1) | instid1(VALU_DEP_4)
	v_dual_cndmask_b32 v10, v10, v30, vcc_lo :: v_dual_bitop2_b32 v11, 1, v11 bitop3:0x40
	v_dual_cndmask_b32 v13, v13, v31 :: v_dual_cndmask_b32 v12, v12, v32
	v_and_b32_e32 v5, 1, v5
	s_delay_alu instid0(VALU_DEP_3) | instskip(SKIP_2) | instid1(VALU_DEP_3)
	v_lshlrev_b16 v11, 8, v11
	v_dual_cndmask_b32 v3, v3, v21, vcc_lo :: v_dual_cndmask_b32 v7, v18, v7, vcc_lo
	v_dual_cndmask_b32 v6, v19, v6 :: v_dual_cndmask_b32 v9, v20, v9
	v_bitop3_b16 v8, v8, v11, 1 bitop3:0xec
	v_dual_cndmask_b32 v14, v27, v14, vcc_lo :: v_dual_bitop2_b32 v13, 1, v13 bitop3:0x40
	v_cndmask_b32_e32 v16, v28, v17, vcc_lo
	v_lshlrev_b16 v5, 8, v5
	s_delay_alu instid0(VALU_DEP_4) | instskip(NEXT) | instid1(VALU_DEP_4)
	v_lshlrev_b32_e32 v8, 16, v8
	v_lshlrev_b16 v13, 8, v13
	v_dual_cndmask_b32 v1, v1, v33, vcc_lo :: v_dual_bitop2_b32 v12, 1, v12 bitop3:0x40
	s_delay_alu instid0(VALU_DEP_4) | instskip(SKIP_1) | instid1(VALU_DEP_4)
	v_bitop3_b16 v5, v6, v5, 1 bitop3:0xec
	v_and_b32_e32 v4, 1, v4
	v_bitop3_b16 v6, v14, v13, 1 bitop3:0xec
	v_and_b32_e32 v3, 1, v3
	v_and_b32_e32 v10, 1, v10
	v_lshlrev_b16 v12, 8, v12
	s_delay_alu instid0(VALU_DEP_4) | instskip(NEXT) | instid1(VALU_DEP_4)
	v_dual_lshlrev_b32 v5, 16, v5 :: v_dual_lshlrev_b32 v6, 16, v6
	v_lshlrev_b16 v3, 8, v3
	v_lshlrev_b16 v4, 8, v4
	;; [unrolled: 1-line block ×3, first 2 shown]
	s_delay_alu instid0(VALU_DEP_3) | instskip(SKIP_1) | instid1(VALU_DEP_4)
	v_bitop3_b16 v1, v1, v3, 1 bitop3:0xec
	v_and_b32_e32 v2, 1, v2
	v_bitop3_b16 v4, v9, v4, 1 bitop3:0xec
	v_bitop3_b16 v3, v16, v12, 1 bitop3:0xec
	s_delay_alu instid0(VALU_DEP_4) | instskip(NEXT) | instid1(VALU_DEP_4)
	v_lshlrev_b32_e32 v1, 16, v1
	v_lshlrev_b16 v2, 8, v2
	s_delay_alu instid0(VALU_DEP_4) | instskip(NEXT) | instid1(VALU_DEP_4)
	v_and_b32_e32 v4, 0xffff, v4
	v_and_b32_e32 v9, 0xffff, v3
	s_delay_alu instid0(VALU_DEP_3) | instskip(SKIP_1) | instid1(VALU_DEP_4)
	v_bitop3_b16 v2, v7, v2, 1 bitop3:0xec
	v_bitop3_b16 v7, v15, v10, 1 bitop3:0xec
	v_or_b32_e32 v3, v4, v5
	s_delay_alu instid0(VALU_DEP_4) | instskip(NEXT) | instid1(VALU_DEP_4)
	v_or_b32_e32 v5, v9, v6
	v_and_b32_e32 v2, 0xffff, v2
	s_delay_alu instid0(VALU_DEP_4) | instskip(NEXT) | instid1(VALU_DEP_2)
	v_and_b32_e32 v7, 0xffff, v7
	v_or_b32_e32 v2, v2, v1
	s_delay_alu instid0(VALU_DEP_2)
	v_or_b32_e32 v4, v7, v8
	global_store_b128 v0, v[2:5], s[12:13] scale_offset
.LBB192_2:
	s_and_not1_b32 vcc_lo, exec_lo, s0
	s_cbranch_vccnz .LBB192_52
; %bb.3:
	v_cmp_gt_i32_e32 vcc_lo, s1, v0
	s_wait_xcnt 0x0
	v_dual_mov_b32 v1, 0 :: v_dual_bitop2_b32 v2, s2, v0 bitop3:0x54
	v_or_b32_e32 v3, 0x100, v0
	v_dual_mov_b32 v29, v0 :: v_dual_mov_b32 v5, 0
	v_mov_b32_e32 v7, 0
	s_and_saveexec_b32 s0, vcc_lo
	s_cbranch_execz .LBB192_5
; %bb.4:
	s_clause 0x1
	global_load_u16 v4, v2, s[6:7] scale_offset
	global_load_u16 v6, v2, s[10:11] scale_offset
	v_or_b32_e32 v29, 0x100, v0
	s_wait_loadcnt 0x0
	v_dual_lshlrev_b32 v5, 16, v4 :: v_dual_lshlrev_b32 v7, 16, v6
.LBB192_5:
	s_wait_xcnt 0x0
	s_or_b32 exec_lo, exec_lo, s0
	v_mov_b32_e32 v8, 0
	s_mov_b32 s3, exec_lo
	v_cmpx_gt_i32_e64 s1, v29
	s_cbranch_execz .LBB192_7
; %bb.6:
	v_add_nc_u32_e32 v1, s2, v29
	v_add_nc_u32_e32 v29, 0x100, v29
	s_clause 0x1
	global_load_u16 v4, v1, s[6:7] scale_offset
	global_load_u16 v6, v1, s[10:11] scale_offset
	s_wait_loadcnt 0x0
	v_dual_lshlrev_b32 v1, 16, v4 :: v_dual_lshlrev_b32 v8, 16, v6
.LBB192_7:
	s_or_b32 exec_lo, exec_lo, s3
	v_dual_mov_b32 v4, 0 :: v_dual_mov_b32 v10, 0
	v_mov_b32_e32 v11, 0
	s_mov_b32 s3, exec_lo
	v_cmpx_gt_i32_e64 s1, v29
	s_cbranch_execz .LBB192_9
; %bb.8:
	v_add_nc_u32_e32 v6, s2, v29
	v_add_nc_u32_e32 v29, 0x100, v29
	s_clause 0x1
	global_load_u16 v9, v6, s[6:7] scale_offset
	global_load_u16 v11, v6, s[10:11] scale_offset
	s_wait_loadcnt 0x0
	v_dual_lshlrev_b32 v10, 16, v9 :: v_dual_lshlrev_b32 v11, 16, v11
.LBB192_9:
	s_wait_xcnt 0x0
	s_or_b32 exec_lo, exec_lo, s3
	v_mov_b32_e32 v12, 0
	s_mov_b32 s3, exec_lo
	v_cmpx_gt_i32_e64 s1, v29
	s_cbranch_execz .LBB192_11
; %bb.10:
	v_add_nc_u32_e32 v4, s2, v29
	v_add_nc_u32_e32 v29, 0x100, v29
	s_clause 0x1
	global_load_u16 v6, v4, s[6:7] scale_offset
	global_load_u16 v9, v4, s[10:11] scale_offset
	s_wait_loadcnt 0x0
	v_dual_lshlrev_b32 v4, 16, v6 :: v_dual_lshlrev_b32 v12, 16, v9
.LBB192_11:
	s_or_b32 exec_lo, exec_lo, s3
	v_dual_mov_b32 v6, 0 :: v_dual_mov_b32 v14, 0
	v_mov_b32_e32 v15, 0
	s_mov_b32 s3, exec_lo
	v_cmpx_gt_i32_e64 s1, v29
	s_cbranch_execz .LBB192_13
; %bb.12:
	v_add_nc_u32_e32 v9, s2, v29
	v_add_nc_u32_e32 v29, 0x100, v29
	s_clause 0x1
	global_load_u16 v13, v9, s[6:7] scale_offset
	global_load_u16 v15, v9, s[10:11] scale_offset
	s_wait_loadcnt 0x0
	v_dual_lshlrev_b32 v14, 16, v13 :: v_dual_lshlrev_b32 v15, 16, v15
.LBB192_13:
	s_wait_xcnt 0x0
	s_or_b32 exec_lo, exec_lo, s3
	v_mov_b32_e32 v16, 0
	s_mov_b32 s3, exec_lo
	v_cmpx_gt_i32_e64 s1, v29
	s_cbranch_execz .LBB192_15
; %bb.14:
	v_add_nc_u32_e32 v6, s2, v29
	v_add_nc_u32_e32 v29, 0x100, v29
	s_clause 0x1
	global_load_u16 v9, v6, s[6:7] scale_offset
	global_load_u16 v13, v6, s[10:11] scale_offset
	s_wait_loadcnt 0x1
	s_wait_xcnt 0x0
	v_lshlrev_b32_e32 v6, 16, v9
	s_wait_loadcnt 0x0
	v_lshlrev_b32_e32 v16, 16, v13
.LBB192_15:
	s_or_b32 exec_lo, exec_lo, s3
	v_dual_mov_b32 v9, 0 :: v_dual_mov_b32 v18, 0
	v_mov_b32_e32 v19, 0
	s_mov_b32 s3, exec_lo
	v_cmpx_gt_i32_e64 s1, v29
	s_cbranch_execz .LBB192_17
; %bb.16:
	v_add_nc_u32_e32 v13, s2, v29
	v_add_nc_u32_e32 v29, 0x100, v29
	s_clause 0x1
	global_load_u16 v17, v13, s[6:7] scale_offset
	global_load_u16 v19, v13, s[10:11] scale_offset
	s_wait_loadcnt 0x0
	v_dual_lshlrev_b32 v18, 16, v17 :: v_dual_lshlrev_b32 v19, 16, v19
.LBB192_17:
	s_wait_xcnt 0x0
	s_or_b32 exec_lo, exec_lo, s3
	v_mov_b32_e32 v20, 0
	s_mov_b32 s3, exec_lo
	v_cmpx_gt_i32_e64 s1, v29
	s_cbranch_execz .LBB192_19
; %bb.18:
	v_add_nc_u32_e32 v9, s2, v29
	v_add_nc_u32_e32 v29, 0x100, v29
	s_clause 0x1
	global_load_u16 v13, v9, s[6:7] scale_offset
	global_load_u16 v17, v9, s[10:11] scale_offset
	s_wait_loadcnt 0x1
	s_wait_xcnt 0x0
	v_lshlrev_b32_e32 v9, 16, v13
	s_wait_loadcnt 0x0
	v_lshlrev_b32_e32 v20, 16, v17
.LBB192_19:
	;; [unrolled: 33-line block ×4, first 2 shown]
	s_or_b32 exec_lo, exec_lo, s3
	v_dual_mov_b32 v21, 0 :: v_dual_mov_b32 v30, 0
	v_mov_b32_e32 v31, 0
	s_mov_b32 s3, exec_lo
	v_cmpx_gt_i32_e64 s1, v29
	s_cbranch_execz .LBB192_29
; %bb.28:
	v_add_nc_u32_e32 v25, s2, v29
	v_add_nc_u32_e32 v29, 0x100, v29
	s_clause 0x1
	global_load_u16 v30, v25, s[6:7] scale_offset
	global_load_u16 v31, v25, s[10:11] scale_offset
	s_wait_loadcnt 0x0
	v_dual_lshlrev_b32 v30, 16, v30 :: v_dual_lshlrev_b32 v31, 16, v31
.LBB192_29:
	s_wait_xcnt 0x0
	s_or_b32 exec_lo, exec_lo, s3
	v_mov_b32_e32 v32, 0
	s_mov_b32 s3, exec_lo
	v_cmpx_gt_i32_e64 s1, v29
	s_cbranch_execz .LBB192_31
; %bb.30:
	v_add_nc_u32_e32 v21, s2, v29
	v_add_nc_u32_e32 v29, 0x100, v29
	s_clause 0x1
	global_load_u16 v25, v21, s[6:7] scale_offset
	global_load_u16 v32, v21, s[10:11] scale_offset
	s_wait_loadcnt 0x0
	v_dual_lshlrev_b32 v21, 16, v25 :: v_dual_lshlrev_b32 v32, 16, v32
.LBB192_31:
	s_or_b32 exec_lo, exec_lo, s3
	v_dual_mov_b32 v25, 0 :: v_dual_mov_b32 v33, 0
	v_mov_b32_e32 v34, 0
	s_mov_b32 s3, exec_lo
	v_cmpx_gt_i32_e64 s1, v29
	s_cbranch_execz .LBB192_33
; %bb.32:
	v_add_nc_u32_e32 v33, s2, v29
	v_add_nc_u32_e32 v29, 0x100, v29
	s_clause 0x1
	global_load_u16 v34, v33, s[6:7] scale_offset
	global_load_u16 v35, v33, s[10:11] scale_offset
	s_wait_loadcnt 0x0
	v_dual_lshlrev_b32 v33, 16, v34 :: v_dual_lshlrev_b32 v34, 16, v35
.LBB192_33:
	s_or_b32 exec_lo, exec_lo, s3
	v_mov_b32_e32 v35, 0
	s_mov_b32 s3, exec_lo
	v_cmpx_gt_i32_e64 s1, v29
	s_cbranch_execz .LBB192_35
; %bb.34:
	v_add_nc_u32_e32 v25, s2, v29
	s_clause 0x1
	global_load_u16 v29, v25, s[6:7] scale_offset
	global_load_u16 v35, v25, s[10:11] scale_offset
	s_wait_loadcnt 0x0
	v_dual_lshlrev_b32 v25, 16, v29 :: v_dual_lshlrev_b32 v35, 16, v35
.LBB192_35:
	s_or_b32 exec_lo, exec_lo, s3
	s_cmp_eq_u32 s9, 0
	s_cselect_b32 s0, -1, 0
	s_and_saveexec_b32 s3, vcc_lo
	s_cbranch_execnz .LBB192_53
; %bb.36:
	s_or_b32 exec_lo, exec_lo, s3
	s_delay_alu instid0(SALU_CYCLE_1)
	s_mov_b32 s3, exec_lo
	v_cmpx_gt_i32_e64 s1, v0
	s_cbranch_execnz .LBB192_54
.LBB192_37:
	s_or_b32 exec_lo, exec_lo, s3
	s_delay_alu instid0(SALU_CYCLE_1)
	s_mov_b32 s3, exec_lo
	v_cmpx_gt_i32_e64 s1, v0
	s_cbranch_execnz .LBB192_55
.LBB192_38:
	s_or_b32 exec_lo, exec_lo, s3
	s_delay_alu instid0(SALU_CYCLE_1)
	s_mov_b32 s3, exec_lo
	v_cmpx_gt_i32_e64 s1, v0
	s_cbranch_execnz .LBB192_56
.LBB192_39:
	s_or_b32 exec_lo, exec_lo, s3
	s_delay_alu instid0(SALU_CYCLE_1)
	s_mov_b32 s3, exec_lo
	v_cmpx_gt_i32_e64 s1, v0
	s_cbranch_execnz .LBB192_57
.LBB192_40:
	s_or_b32 exec_lo, exec_lo, s3
	s_delay_alu instid0(SALU_CYCLE_1)
	s_mov_b32 s3, exec_lo
	v_cmpx_gt_i32_e64 s1, v0
	s_cbranch_execnz .LBB192_58
.LBB192_41:
	s_or_b32 exec_lo, exec_lo, s3
	s_delay_alu instid0(SALU_CYCLE_1)
	s_mov_b32 s3, exec_lo
	v_cmpx_gt_i32_e64 s1, v0
	s_cbranch_execnz .LBB192_59
.LBB192_42:
	s_or_b32 exec_lo, exec_lo, s3
	s_delay_alu instid0(SALU_CYCLE_1)
	s_mov_b32 s3, exec_lo
	v_cmpx_gt_i32_e64 s1, v0
	s_cbranch_execnz .LBB192_60
.LBB192_43:
	s_or_b32 exec_lo, exec_lo, s3
	s_delay_alu instid0(SALU_CYCLE_1)
	s_mov_b32 s3, exec_lo
	v_cmpx_gt_i32_e64 s1, v0
	s_cbranch_execnz .LBB192_61
.LBB192_44:
	s_or_b32 exec_lo, exec_lo, s3
	s_delay_alu instid0(SALU_CYCLE_1)
	s_mov_b32 s3, exec_lo
	v_cmpx_gt_i32_e64 s1, v0
	s_cbranch_execnz .LBB192_62
.LBB192_45:
	s_or_b32 exec_lo, exec_lo, s3
	s_delay_alu instid0(SALU_CYCLE_1)
	s_mov_b32 s3, exec_lo
	v_cmpx_gt_i32_e64 s1, v0
	s_cbranch_execnz .LBB192_63
.LBB192_46:
	s_or_b32 exec_lo, exec_lo, s3
	s_delay_alu instid0(SALU_CYCLE_1)
	s_mov_b32 s3, exec_lo
	v_cmpx_gt_i32_e64 s1, v0
	s_cbranch_execnz .LBB192_64
.LBB192_47:
	s_or_b32 exec_lo, exec_lo, s3
	s_delay_alu instid0(SALU_CYCLE_1)
	s_mov_b32 s3, exec_lo
	v_cmpx_gt_i32_e64 s1, v0
	s_cbranch_execnz .LBB192_65
.LBB192_48:
	s_or_b32 exec_lo, exec_lo, s3
	s_delay_alu instid0(SALU_CYCLE_1)
	s_mov_b32 s3, exec_lo
	v_cmpx_gt_i32_e64 s1, v0
	s_cbranch_execnz .LBB192_66
.LBB192_49:
	s_or_b32 exec_lo, exec_lo, s3
	s_delay_alu instid0(SALU_CYCLE_1)
	s_mov_b32 s3, exec_lo
	v_cmpx_gt_i32_e64 s1, v0
	s_cbranch_execnz .LBB192_67
.LBB192_50:
	s_or_b32 exec_lo, exec_lo, s3
	v_cmp_gt_i32_e32 vcc_lo, s1, v0
	s_and_saveexec_b32 s1, vcc_lo
	s_cbranch_execz .LBB192_52
.LBB192_51:
	v_cmp_eq_f32_e32 vcc_lo, v25, v35
	v_add_nc_u32_e32 v0, s2, v0
	v_cndmask_b32_e64 v1, 0, 1, vcc_lo
	v_cmp_neq_f32_e32 vcc_lo, v25, v35
	v_cndmask_b32_e64 v2, 0, 1, vcc_lo
	s_delay_alu instid0(VALU_DEP_1) | instskip(NEXT) | instid1(VALU_DEP_1)
	v_cndmask_b32_e64 v1, v2, v1, s0
	v_and_b32_e32 v1, 1, v1
	global_store_b8 v0, v1, s[4:5]
.LBB192_52:
	s_endpgm
.LBB192_53:
	v_cmp_eq_f32_e32 vcc_lo, v5, v7
	v_cndmask_b32_e64 v0, 0, 1, vcc_lo
	v_cmp_neq_f32_e32 vcc_lo, v5, v7
	v_cndmask_b32_e64 v5, 0, 1, vcc_lo
	s_delay_alu instid0(VALU_DEP_1) | instskip(NEXT) | instid1(VALU_DEP_1)
	v_cndmask_b32_e64 v0, v5, v0, s0
	v_dual_mov_b32 v0, v3 :: v_dual_bitop2_b32 v5, 1, v0 bitop3:0x40
	global_store_b8 v2, v5, s[4:5]
	s_wait_xcnt 0x0
	s_or_b32 exec_lo, exec_lo, s3
	s_delay_alu instid0(SALU_CYCLE_1)
	s_mov_b32 s3, exec_lo
	v_cmpx_gt_i32_e64 s1, v0
	s_cbranch_execz .LBB192_37
.LBB192_54:
	v_cmp_eq_f32_e32 vcc_lo, v1, v8
	v_cndmask_b32_e64 v2, 0, 1, vcc_lo
	v_cmp_neq_f32_e32 vcc_lo, v1, v8
	v_cndmask_b32_e64 v1, 0, 1, vcc_lo
	s_delay_alu instid0(VALU_DEP_1) | instskip(SKIP_1) | instid1(VALU_DEP_2)
	v_dual_cndmask_b32 v1, v1, v2, s0 :: v_dual_add_nc_u32 v2, s2, v0
	v_add_nc_u32_e32 v0, 0x100, v0
	v_and_b32_e32 v1, 1, v1
	global_store_b8 v2, v1, s[4:5]
	s_wait_xcnt 0x0
	s_or_b32 exec_lo, exec_lo, s3
	s_delay_alu instid0(SALU_CYCLE_1)
	s_mov_b32 s3, exec_lo
	v_cmpx_gt_i32_e64 s1, v0
	s_cbranch_execz .LBB192_38
.LBB192_55:
	v_cmp_eq_f32_e32 vcc_lo, v10, v11
	v_cndmask_b32_e64 v1, 0, 1, vcc_lo
	v_cmp_neq_f32_e32 vcc_lo, v10, v11
	v_cndmask_b32_e64 v2, 0, 1, vcc_lo
	s_delay_alu instid0(VALU_DEP_1) | instskip(SKIP_1) | instid1(VALU_DEP_2)
	v_dual_cndmask_b32 v1, v2, v1, s0 :: v_dual_add_nc_u32 v2, s2, v0
	v_add_nc_u32_e32 v0, 0x100, v0
	v_and_b32_e32 v1, 1, v1
	global_store_b8 v2, v1, s[4:5]
	s_wait_xcnt 0x0
	s_or_b32 exec_lo, exec_lo, s3
	s_delay_alu instid0(SALU_CYCLE_1)
	s_mov_b32 s3, exec_lo
	v_cmpx_gt_i32_e64 s1, v0
	s_cbranch_execz .LBB192_39
.LBB192_56:
	v_cmp_eq_f32_e32 vcc_lo, v4, v12
	v_cndmask_b32_e64 v1, 0, 1, vcc_lo
	v_cmp_neq_f32_e32 vcc_lo, v4, v12
	v_cndmask_b32_e64 v2, 0, 1, vcc_lo
	s_delay_alu instid0(VALU_DEP_1) | instskip(SKIP_1) | instid1(VALU_DEP_2)
	v_dual_cndmask_b32 v1, v2, v1, s0 :: v_dual_add_nc_u32 v2, s2, v0
	v_add_nc_u32_e32 v0, 0x100, v0
	v_and_b32_e32 v1, 1, v1
	global_store_b8 v2, v1, s[4:5]
	s_wait_xcnt 0x0
	s_or_b32 exec_lo, exec_lo, s3
	s_delay_alu instid0(SALU_CYCLE_1)
	s_mov_b32 s3, exec_lo
	v_cmpx_gt_i32_e64 s1, v0
	s_cbranch_execz .LBB192_40
.LBB192_57:
	v_cmp_eq_f32_e32 vcc_lo, v14, v15
	v_cndmask_b32_e64 v1, 0, 1, vcc_lo
	v_cmp_neq_f32_e32 vcc_lo, v14, v15
	v_cndmask_b32_e64 v2, 0, 1, vcc_lo
	s_delay_alu instid0(VALU_DEP_1) | instskip(SKIP_1) | instid1(VALU_DEP_2)
	v_dual_cndmask_b32 v1, v2, v1, s0 :: v_dual_add_nc_u32 v2, s2, v0
	v_add_nc_u32_e32 v0, 0x100, v0
	v_and_b32_e32 v1, 1, v1
	global_store_b8 v2, v1, s[4:5]
	s_wait_xcnt 0x0
	s_or_b32 exec_lo, exec_lo, s3
	s_delay_alu instid0(SALU_CYCLE_1)
	s_mov_b32 s3, exec_lo
	v_cmpx_gt_i32_e64 s1, v0
	s_cbranch_execz .LBB192_41
.LBB192_58:
	v_cmp_eq_f32_e32 vcc_lo, v6, v16
	v_cndmask_b32_e64 v1, 0, 1, vcc_lo
	v_cmp_neq_f32_e32 vcc_lo, v6, v16
	v_cndmask_b32_e64 v2, 0, 1, vcc_lo
	s_delay_alu instid0(VALU_DEP_1) | instskip(SKIP_1) | instid1(VALU_DEP_2)
	v_dual_cndmask_b32 v1, v2, v1, s0 :: v_dual_add_nc_u32 v2, s2, v0
	v_add_nc_u32_e32 v0, 0x100, v0
	v_and_b32_e32 v1, 1, v1
	global_store_b8 v2, v1, s[4:5]
	s_wait_xcnt 0x0
	s_or_b32 exec_lo, exec_lo, s3
	s_delay_alu instid0(SALU_CYCLE_1)
	s_mov_b32 s3, exec_lo
	v_cmpx_gt_i32_e64 s1, v0
	s_cbranch_execz .LBB192_42
.LBB192_59:
	v_cmp_eq_f32_e32 vcc_lo, v18, v19
	v_cndmask_b32_e64 v1, 0, 1, vcc_lo
	v_cmp_neq_f32_e32 vcc_lo, v18, v19
	v_cndmask_b32_e64 v2, 0, 1, vcc_lo
	s_delay_alu instid0(VALU_DEP_1) | instskip(SKIP_1) | instid1(VALU_DEP_2)
	v_dual_cndmask_b32 v1, v2, v1, s0 :: v_dual_add_nc_u32 v2, s2, v0
	v_add_nc_u32_e32 v0, 0x100, v0
	v_and_b32_e32 v1, 1, v1
	global_store_b8 v2, v1, s[4:5]
	s_wait_xcnt 0x0
	s_or_b32 exec_lo, exec_lo, s3
	s_delay_alu instid0(SALU_CYCLE_1)
	s_mov_b32 s3, exec_lo
	v_cmpx_gt_i32_e64 s1, v0
	s_cbranch_execz .LBB192_43
.LBB192_60:
	v_cmp_eq_f32_e32 vcc_lo, v9, v20
	v_cndmask_b32_e64 v1, 0, 1, vcc_lo
	v_cmp_neq_f32_e32 vcc_lo, v9, v20
	v_cndmask_b32_e64 v2, 0, 1, vcc_lo
	s_delay_alu instid0(VALU_DEP_1) | instskip(SKIP_1) | instid1(VALU_DEP_2)
	v_dual_cndmask_b32 v1, v2, v1, s0 :: v_dual_add_nc_u32 v2, s2, v0
	v_add_nc_u32_e32 v0, 0x100, v0
	v_and_b32_e32 v1, 1, v1
	global_store_b8 v2, v1, s[4:5]
	s_wait_xcnt 0x0
	s_or_b32 exec_lo, exec_lo, s3
	s_delay_alu instid0(SALU_CYCLE_1)
	s_mov_b32 s3, exec_lo
	v_cmpx_gt_i32_e64 s1, v0
	s_cbranch_execz .LBB192_44
.LBB192_61:
	v_cmp_eq_f32_e32 vcc_lo, v22, v23
	v_cndmask_b32_e64 v1, 0, 1, vcc_lo
	v_cmp_neq_f32_e32 vcc_lo, v22, v23
	v_cndmask_b32_e64 v2, 0, 1, vcc_lo
	s_delay_alu instid0(VALU_DEP_1) | instskip(SKIP_1) | instid1(VALU_DEP_2)
	v_dual_cndmask_b32 v1, v2, v1, s0 :: v_dual_add_nc_u32 v2, s2, v0
	v_add_nc_u32_e32 v0, 0x100, v0
	v_and_b32_e32 v1, 1, v1
	global_store_b8 v2, v1, s[4:5]
	s_wait_xcnt 0x0
	s_or_b32 exec_lo, exec_lo, s3
	s_delay_alu instid0(SALU_CYCLE_1)
	s_mov_b32 s3, exec_lo
	v_cmpx_gt_i32_e64 s1, v0
	s_cbranch_execz .LBB192_45
.LBB192_62:
	v_cmp_eq_f32_e32 vcc_lo, v13, v24
	v_cndmask_b32_e64 v1, 0, 1, vcc_lo
	v_cmp_neq_f32_e32 vcc_lo, v13, v24
	v_cndmask_b32_e64 v2, 0, 1, vcc_lo
	s_delay_alu instid0(VALU_DEP_1) | instskip(SKIP_1) | instid1(VALU_DEP_2)
	v_dual_cndmask_b32 v1, v2, v1, s0 :: v_dual_add_nc_u32 v2, s2, v0
	v_add_nc_u32_e32 v0, 0x100, v0
	v_and_b32_e32 v1, 1, v1
	global_store_b8 v2, v1, s[4:5]
	s_wait_xcnt 0x0
	s_or_b32 exec_lo, exec_lo, s3
	s_delay_alu instid0(SALU_CYCLE_1)
	s_mov_b32 s3, exec_lo
	v_cmpx_gt_i32_e64 s1, v0
	s_cbranch_execz .LBB192_46
.LBB192_63:
	v_cmp_eq_f32_e32 vcc_lo, v26, v27
	v_cndmask_b32_e64 v1, 0, 1, vcc_lo
	v_cmp_neq_f32_e32 vcc_lo, v26, v27
	v_cndmask_b32_e64 v2, 0, 1, vcc_lo
	s_delay_alu instid0(VALU_DEP_1) | instskip(SKIP_1) | instid1(VALU_DEP_2)
	v_dual_cndmask_b32 v1, v2, v1, s0 :: v_dual_add_nc_u32 v2, s2, v0
	v_add_nc_u32_e32 v0, 0x100, v0
	v_and_b32_e32 v1, 1, v1
	global_store_b8 v2, v1, s[4:5]
	s_wait_xcnt 0x0
	s_or_b32 exec_lo, exec_lo, s3
	s_delay_alu instid0(SALU_CYCLE_1)
	s_mov_b32 s3, exec_lo
	v_cmpx_gt_i32_e64 s1, v0
	s_cbranch_execz .LBB192_47
.LBB192_64:
	v_cmp_eq_f32_e32 vcc_lo, v17, v28
	v_cndmask_b32_e64 v1, 0, 1, vcc_lo
	v_cmp_neq_f32_e32 vcc_lo, v17, v28
	v_cndmask_b32_e64 v2, 0, 1, vcc_lo
	s_delay_alu instid0(VALU_DEP_1) | instskip(SKIP_1) | instid1(VALU_DEP_2)
	v_dual_cndmask_b32 v1, v2, v1, s0 :: v_dual_add_nc_u32 v2, s2, v0
	v_add_nc_u32_e32 v0, 0x100, v0
	v_and_b32_e32 v1, 1, v1
	global_store_b8 v2, v1, s[4:5]
	s_wait_xcnt 0x0
	s_or_b32 exec_lo, exec_lo, s3
	s_delay_alu instid0(SALU_CYCLE_1)
	s_mov_b32 s3, exec_lo
	v_cmpx_gt_i32_e64 s1, v0
	s_cbranch_execz .LBB192_48
.LBB192_65:
	v_cmp_eq_f32_e32 vcc_lo, v30, v31
	v_cndmask_b32_e64 v1, 0, 1, vcc_lo
	v_cmp_neq_f32_e32 vcc_lo, v30, v31
	v_cndmask_b32_e64 v2, 0, 1, vcc_lo
	s_delay_alu instid0(VALU_DEP_1) | instskip(SKIP_1) | instid1(VALU_DEP_2)
	v_dual_cndmask_b32 v1, v2, v1, s0 :: v_dual_add_nc_u32 v2, s2, v0
	v_add_nc_u32_e32 v0, 0x100, v0
	v_and_b32_e32 v1, 1, v1
	global_store_b8 v2, v1, s[4:5]
	s_wait_xcnt 0x0
	s_or_b32 exec_lo, exec_lo, s3
	s_delay_alu instid0(SALU_CYCLE_1)
	s_mov_b32 s3, exec_lo
	v_cmpx_gt_i32_e64 s1, v0
	s_cbranch_execz .LBB192_49
.LBB192_66:
	v_cmp_eq_f32_e32 vcc_lo, v21, v32
	v_cndmask_b32_e64 v1, 0, 1, vcc_lo
	v_cmp_neq_f32_e32 vcc_lo, v21, v32
	v_cndmask_b32_e64 v2, 0, 1, vcc_lo
	s_delay_alu instid0(VALU_DEP_1) | instskip(SKIP_1) | instid1(VALU_DEP_2)
	v_dual_cndmask_b32 v1, v2, v1, s0 :: v_dual_add_nc_u32 v2, s2, v0
	v_add_nc_u32_e32 v0, 0x100, v0
	v_and_b32_e32 v1, 1, v1
	global_store_b8 v2, v1, s[4:5]
	s_wait_xcnt 0x0
	s_or_b32 exec_lo, exec_lo, s3
	s_delay_alu instid0(SALU_CYCLE_1)
	s_mov_b32 s3, exec_lo
	v_cmpx_gt_i32_e64 s1, v0
	s_cbranch_execz .LBB192_50
.LBB192_67:
	v_cmp_eq_f32_e32 vcc_lo, v33, v34
	v_cndmask_b32_e64 v1, 0, 1, vcc_lo
	v_cmp_neq_f32_e32 vcc_lo, v33, v34
	v_cndmask_b32_e64 v2, 0, 1, vcc_lo
	s_delay_alu instid0(VALU_DEP_1) | instskip(SKIP_1) | instid1(VALU_DEP_2)
	v_dual_cndmask_b32 v1, v2, v1, s0 :: v_dual_add_nc_u32 v2, s2, v0
	v_add_nc_u32_e32 v0, 0x100, v0
	v_and_b32_e32 v1, 1, v1
	global_store_b8 v2, v1, s[4:5]
	s_wait_xcnt 0x0
	s_or_b32 exec_lo, exec_lo, s3
	v_cmp_gt_i32_e32 vcc_lo, s1, v0
	s_and_saveexec_b32 s1, vcc_lo
	s_cbranch_execnz .LBB192_51
	s_branch .LBB192_52
	.section	.rodata,"a",@progbits
	.p2align	6, 0x0
	.amdhsa_kernel _ZN2at6native29vectorized_elementwise_kernelILi16ENS0_13BinaryFunctorIN3c108BFloat16ES4_bNS0_12_GLOBAL__N_116CompareEqFunctorIS4_EEEESt5arrayIPcLm3EEEEviT0_T1_
		.amdhsa_group_segment_fixed_size 0
		.amdhsa_private_segment_fixed_size 0
		.amdhsa_kernarg_size 32
		.amdhsa_user_sgpr_count 2
		.amdhsa_user_sgpr_dispatch_ptr 0
		.amdhsa_user_sgpr_queue_ptr 0
		.amdhsa_user_sgpr_kernarg_segment_ptr 1
		.amdhsa_user_sgpr_dispatch_id 0
		.amdhsa_user_sgpr_kernarg_preload_length 0
		.amdhsa_user_sgpr_kernarg_preload_offset 0
		.amdhsa_user_sgpr_private_segment_size 0
		.amdhsa_wavefront_size32 1
		.amdhsa_uses_dynamic_stack 0
		.amdhsa_enable_private_segment 0
		.amdhsa_system_sgpr_workgroup_id_x 1
		.amdhsa_system_sgpr_workgroup_id_y 0
		.amdhsa_system_sgpr_workgroup_id_z 0
		.amdhsa_system_sgpr_workgroup_info 0
		.amdhsa_system_vgpr_workitem_id 0
		.amdhsa_next_free_vgpr 36
		.amdhsa_next_free_sgpr 16
		.amdhsa_named_barrier_count 0
		.amdhsa_reserve_vcc 1
		.amdhsa_float_round_mode_32 0
		.amdhsa_float_round_mode_16_64 0
		.amdhsa_float_denorm_mode_32 3
		.amdhsa_float_denorm_mode_16_64 3
		.amdhsa_fp16_overflow 0
		.amdhsa_memory_ordered 1
		.amdhsa_forward_progress 1
		.amdhsa_inst_pref_size 35
		.amdhsa_round_robin_scheduling 0
		.amdhsa_exception_fp_ieee_invalid_op 0
		.amdhsa_exception_fp_denorm_src 0
		.amdhsa_exception_fp_ieee_div_zero 0
		.amdhsa_exception_fp_ieee_overflow 0
		.amdhsa_exception_fp_ieee_underflow 0
		.amdhsa_exception_fp_ieee_inexact 0
		.amdhsa_exception_int_div_zero 0
	.end_amdhsa_kernel
	.section	.text._ZN2at6native29vectorized_elementwise_kernelILi16ENS0_13BinaryFunctorIN3c108BFloat16ES4_bNS0_12_GLOBAL__N_116CompareEqFunctorIS4_EEEESt5arrayIPcLm3EEEEviT0_T1_,"axG",@progbits,_ZN2at6native29vectorized_elementwise_kernelILi16ENS0_13BinaryFunctorIN3c108BFloat16ES4_bNS0_12_GLOBAL__N_116CompareEqFunctorIS4_EEEESt5arrayIPcLm3EEEEviT0_T1_,comdat
.Lfunc_end192:
	.size	_ZN2at6native29vectorized_elementwise_kernelILi16ENS0_13BinaryFunctorIN3c108BFloat16ES4_bNS0_12_GLOBAL__N_116CompareEqFunctorIS4_EEEESt5arrayIPcLm3EEEEviT0_T1_, .Lfunc_end192-_ZN2at6native29vectorized_elementwise_kernelILi16ENS0_13BinaryFunctorIN3c108BFloat16ES4_bNS0_12_GLOBAL__N_116CompareEqFunctorIS4_EEEESt5arrayIPcLm3EEEEviT0_T1_
                                        ; -- End function
	.set _ZN2at6native29vectorized_elementwise_kernelILi16ENS0_13BinaryFunctorIN3c108BFloat16ES4_bNS0_12_GLOBAL__N_116CompareEqFunctorIS4_EEEESt5arrayIPcLm3EEEEviT0_T1_.num_vgpr, 36
	.set _ZN2at6native29vectorized_elementwise_kernelILi16ENS0_13BinaryFunctorIN3c108BFloat16ES4_bNS0_12_GLOBAL__N_116CompareEqFunctorIS4_EEEESt5arrayIPcLm3EEEEviT0_T1_.num_agpr, 0
	.set _ZN2at6native29vectorized_elementwise_kernelILi16ENS0_13BinaryFunctorIN3c108BFloat16ES4_bNS0_12_GLOBAL__N_116CompareEqFunctorIS4_EEEESt5arrayIPcLm3EEEEviT0_T1_.numbered_sgpr, 16
	.set _ZN2at6native29vectorized_elementwise_kernelILi16ENS0_13BinaryFunctorIN3c108BFloat16ES4_bNS0_12_GLOBAL__N_116CompareEqFunctorIS4_EEEESt5arrayIPcLm3EEEEviT0_T1_.num_named_barrier, 0
	.set _ZN2at6native29vectorized_elementwise_kernelILi16ENS0_13BinaryFunctorIN3c108BFloat16ES4_bNS0_12_GLOBAL__N_116CompareEqFunctorIS4_EEEESt5arrayIPcLm3EEEEviT0_T1_.private_seg_size, 0
	.set _ZN2at6native29vectorized_elementwise_kernelILi16ENS0_13BinaryFunctorIN3c108BFloat16ES4_bNS0_12_GLOBAL__N_116CompareEqFunctorIS4_EEEESt5arrayIPcLm3EEEEviT0_T1_.uses_vcc, 1
	.set _ZN2at6native29vectorized_elementwise_kernelILi16ENS0_13BinaryFunctorIN3c108BFloat16ES4_bNS0_12_GLOBAL__N_116CompareEqFunctorIS4_EEEESt5arrayIPcLm3EEEEviT0_T1_.uses_flat_scratch, 0
	.set _ZN2at6native29vectorized_elementwise_kernelILi16ENS0_13BinaryFunctorIN3c108BFloat16ES4_bNS0_12_GLOBAL__N_116CompareEqFunctorIS4_EEEESt5arrayIPcLm3EEEEviT0_T1_.has_dyn_sized_stack, 0
	.set _ZN2at6native29vectorized_elementwise_kernelILi16ENS0_13BinaryFunctorIN3c108BFloat16ES4_bNS0_12_GLOBAL__N_116CompareEqFunctorIS4_EEEESt5arrayIPcLm3EEEEviT0_T1_.has_recursion, 0
	.set _ZN2at6native29vectorized_elementwise_kernelILi16ENS0_13BinaryFunctorIN3c108BFloat16ES4_bNS0_12_GLOBAL__N_116CompareEqFunctorIS4_EEEESt5arrayIPcLm3EEEEviT0_T1_.has_indirect_call, 0
	.section	.AMDGPU.csdata,"",@progbits
; Kernel info:
; codeLenInByte = 4404
; TotalNumSgprs: 18
; NumVgprs: 36
; ScratchSize: 0
; MemoryBound: 0
; FloatMode: 240
; IeeeMode: 1
; LDSByteSize: 0 bytes/workgroup (compile time only)
; SGPRBlocks: 0
; VGPRBlocks: 2
; NumSGPRsForWavesPerEU: 18
; NumVGPRsForWavesPerEU: 36
; NamedBarCnt: 0
; Occupancy: 16
; WaveLimiterHint : 0
; COMPUTE_PGM_RSRC2:SCRATCH_EN: 0
; COMPUTE_PGM_RSRC2:USER_SGPR: 2
; COMPUTE_PGM_RSRC2:TRAP_HANDLER: 0
; COMPUTE_PGM_RSRC2:TGID_X_EN: 1
; COMPUTE_PGM_RSRC2:TGID_Y_EN: 0
; COMPUTE_PGM_RSRC2:TGID_Z_EN: 0
; COMPUTE_PGM_RSRC2:TIDIG_COMP_CNT: 0
	.section	.text._ZN2at6native29vectorized_elementwise_kernelILi8ENS0_13BinaryFunctorIN3c108BFloat16ES4_bNS0_12_GLOBAL__N_116CompareEqFunctorIS4_EEEESt5arrayIPcLm3EEEEviT0_T1_,"axG",@progbits,_ZN2at6native29vectorized_elementwise_kernelILi8ENS0_13BinaryFunctorIN3c108BFloat16ES4_bNS0_12_GLOBAL__N_116CompareEqFunctorIS4_EEEESt5arrayIPcLm3EEEEviT0_T1_,comdat
	.globl	_ZN2at6native29vectorized_elementwise_kernelILi8ENS0_13BinaryFunctorIN3c108BFloat16ES4_bNS0_12_GLOBAL__N_116CompareEqFunctorIS4_EEEESt5arrayIPcLm3EEEEviT0_T1_ ; -- Begin function _ZN2at6native29vectorized_elementwise_kernelILi8ENS0_13BinaryFunctorIN3c108BFloat16ES4_bNS0_12_GLOBAL__N_116CompareEqFunctorIS4_EEEESt5arrayIPcLm3EEEEviT0_T1_
	.p2align	8
	.type	_ZN2at6native29vectorized_elementwise_kernelILi8ENS0_13BinaryFunctorIN3c108BFloat16ES4_bNS0_12_GLOBAL__N_116CompareEqFunctorIS4_EEEESt5arrayIPcLm3EEEEviT0_T1_,@function
_ZN2at6native29vectorized_elementwise_kernelILi8ENS0_13BinaryFunctorIN3c108BFloat16ES4_bNS0_12_GLOBAL__N_116CompareEqFunctorIS4_EEEESt5arrayIPcLm3EEEEviT0_T1_: ; @_ZN2at6native29vectorized_elementwise_kernelILi8ENS0_13BinaryFunctorIN3c108BFloat16ES4_bNS0_12_GLOBAL__N_116CompareEqFunctorIS4_EEEESt5arrayIPcLm3EEEEviT0_T1_
; %bb.0:
	s_clause 0x2
	s_load_b64 s[8:9], s[0:1], 0x0
	s_load_b128 s[4:7], s[0:1], 0x8
	s_load_b64 s[10:11], s[0:1], 0x18
	s_wait_xcnt 0x0
	s_bfe_u32 s0, ttmp6, 0x4000c
	s_and_b32 s1, ttmp6, 15
	s_add_co_i32 s0, s0, 1
	s_getreg_b32 s2, hwreg(HW_REG_IB_STS2, 6, 4)
	s_mul_i32 s0, ttmp9, s0
	s_delay_alu instid0(SALU_CYCLE_1) | instskip(SKIP_2) | instid1(SALU_CYCLE_1)
	s_add_co_i32 s1, s1, s0
	s_cmp_eq_u32 s2, 0
	s_cselect_b32 s0, ttmp9, s1
	s_lshl_b32 s2, s0, 12
	s_mov_b32 s0, -1
	s_wait_kmcnt 0x0
	s_sub_co_i32 s1, s8, s2
	s_delay_alu instid0(SALU_CYCLE_1)
	s_cmp_gt_i32 s1, 0xfff
	s_cbranch_scc0 .LBB193_2
; %bb.1:
	s_ashr_i32 s3, s2, 31
	v_or3_b32 v1, 0, 0, 0
	s_lshl_b64 s[12:13], s[2:3], 1
	s_cmp_eq_u32 s9, 0
	s_add_nc_u64 s[14:15], s[10:11], s[12:13]
	s_add_nc_u64 s[12:13], s[6:7], s[12:13]
	s_clause 0x3
	global_load_b128 v[2:5], v0, s[14:15] scale_offset
	global_load_b128 v[6:9], v0, s[12:13] scale_offset
	global_load_b128 v[10:13], v0, s[14:15] offset:4096 scale_offset
	global_load_b128 v[14:17], v0, s[12:13] offset:4096 scale_offset
	s_wait_xcnt 0x0
	s_add_nc_u64 s[12:13], s[4:5], s[2:3]
	s_mov_b32 s0, 0
	s_wait_loadcnt 0x3
	v_dual_lshlrev_b32 v18, 16, v2 :: v_dual_lshlrev_b32 v20, 16, v3
	s_wait_loadcnt 0x2
	v_dual_lshlrev_b32 v19, 16, v6 :: v_dual_lshlrev_b32 v21, 16, v7
	v_and_b32_e32 v2, 0xffff0000, v2
	v_and_b32_e32 v6, 0xffff0000, v6
	;; [unrolled: 1-line block ×3, first 2 shown]
	s_delay_alu instid0(VALU_DEP_4)
	v_cmp_eq_f32_e32 vcc_lo, v19, v18
	v_and_b32_e32 v7, 0xffff0000, v7
	v_dual_lshlrev_b32 v22, 16, v4 :: v_dual_lshlrev_b32 v24, 16, v5
	v_dual_lshlrev_b32 v23, 16, v8 :: v_dual_lshlrev_b32 v25, 16, v9
	v_cndmask_b32_e64 v34, 0, 1, vcc_lo
	v_cmp_neq_f32_e32 vcc_lo, v19, v18
	v_and_b32_e32 v4, 0xffff0000, v4
	v_and_b32_e32 v8, 0xffff0000, v8
	;; [unrolled: 1-line block ×4, first 2 shown]
	v_cndmask_b32_e64 v18, 0, 1, vcc_lo
	v_cmp_eq_f32_e32 vcc_lo, v6, v2
	s_wait_loadcnt 0x1
	v_dual_lshlrev_b32 v26, 16, v10 :: v_dual_lshlrev_b32 v28, 16, v11
	s_wait_loadcnt 0x0
	v_dual_lshlrev_b32 v27, 16, v14 :: v_dual_lshlrev_b32 v29, 16, v15
	v_cndmask_b32_e64 v19, 0, 1, vcc_lo
	v_cmp_neq_f32_e32 vcc_lo, v6, v2
	v_and_b32_e32 v10, 0xffff0000, v10
	v_and_b32_e32 v14, 0xffff0000, v14
	;; [unrolled: 1-line block ×4, first 2 shown]
	v_cndmask_b32_e64 v2, 0, 1, vcc_lo
	v_cmp_eq_f32_e32 vcc_lo, v21, v20
	v_dual_lshlrev_b32 v30, 16, v12 :: v_dual_lshlrev_b32 v32, 16, v13
	v_dual_lshlrev_b32 v31, 16, v16 :: v_dual_lshlrev_b32 v33, 16, v17
	v_cndmask_b32_e64 v6, 0, 1, vcc_lo
	v_cmp_neq_f32_e32 vcc_lo, v21, v20
	v_and_b32_e32 v12, 0xffff0000, v12
	v_and_b32_e32 v16, 0xffff0000, v16
	;; [unrolled: 1-line block ×4, first 2 shown]
	v_cndmask_b32_e64 v20, 0, 1, vcc_lo
	v_cmp_eq_f32_e32 vcc_lo, v7, v3
	v_cndmask_b32_e64 v21, 0, 1, vcc_lo
	v_cmp_neq_f32_e32 vcc_lo, v7, v3
	v_cndmask_b32_e64 v3, 0, 1, vcc_lo
	v_cmp_eq_f32_e32 vcc_lo, v23, v22
	v_cndmask_b32_e64 v7, 0, 1, vcc_lo
	v_cmp_neq_f32_e32 vcc_lo, v23, v22
	;; [unrolled: 4-line block ×13, first 2 shown]
	v_cndmask_b32_e64 v13, 0, 1, vcc_lo
	s_cselect_b32 vcc_lo, -1, 0
	s_delay_alu instid0(SALU_CYCLE_1) | instskip(SKIP_2) | instid1(VALU_DEP_3)
	v_dual_cndmask_b32 v2, v2, v19, vcc_lo :: v_dual_cndmask_b32 v6, v20, v6, vcc_lo
	v_dual_cndmask_b32 v17, v18, v34, vcc_lo :: v_dual_cndmask_b32 v3, v3, v21, vcc_lo
	v_dual_cndmask_b32 v7, v22, v7 :: v_dual_cndmask_b32 v8, v24, v8
	v_dual_cndmask_b32 v4, v4, v23, vcc_lo :: v_dual_bitop2_b32 v2, 1, v2 bitop3:0x40
	v_cndmask_b32_e32 v5, v5, v25, vcc_lo
	v_dual_cndmask_b32 v9, v26, v9 :: v_dual_cndmask_b32 v14, v28, v14
	v_dual_cndmask_b32 v10, v10, v27 :: v_dual_cndmask_b32 v11, v11, v29
	;; [unrolled: 1-line block ×4, first 2 shown]
	v_and_b32_e32 v6, 1, v6
	v_cmp_eq_u32_e32 vcc_lo, 1, v2
	v_and_b32_e32 v3, 1, v3
	v_and_b32_e32 v7, 1, v7
	v_and_b32_e32 v4, 1, v4
	v_and_b32_e32 v8, 1, v8
	v_cndmask_b32_e64 v2, 0, 0x100, vcc_lo
	v_cmp_eq_u32_e32 vcc_lo, 1, v6
	v_and_b32_e32 v5, 1, v5
	v_and_b32_e32 v10, 1, v10
	v_and_b32_e32 v14, 1, v14
	v_and_b32_e32 v11, 1, v11
	v_cndmask_b32_e64 v6, 0, 0x10000, vcc_lo
	;; [unrolled: 6-line block ×3, first 2 shown]
	v_cmp_eq_u32_e32 vcc_lo, 1, v7
	v_and_b32_e32 v16, 1, v16
	v_or_b32_e32 v2, v2, v17
	v_and_b32_e32 v13, 1, v13
	v_cndmask_b32_e64 v7, 0, 1, vcc_lo
	v_cmp_eq_u32_e32 vcc_lo, 1, v4
	s_delay_alu instid0(VALU_DEP_4) | instskip(SKIP_2) | instid1(VALU_DEP_3)
	v_or3_b32 v2, v2, v6, v3
	v_cndmask_b32_e64 v4, 0, 0x100, vcc_lo
	v_cmp_eq_u32_e32 vcc_lo, 1, v8
	v_or3_b32 v2, v2, 0, 0
	s_delay_alu instid0(VALU_DEP_3) | instskip(SKIP_2) | instid1(VALU_DEP_4)
	v_or3_b32 v4, v1, v7, v4
	v_cndmask_b32_e64 v8, 0, 0x10000, vcc_lo
	v_cmp_eq_u32_e32 vcc_lo, 1, v5
	v_or3_b32 v2, v2, 0, 0
	v_cndmask_b32_e64 v5, 0, 0x1000000, vcc_lo
	v_cmp_eq_u32_e32 vcc_lo, 1, v10
	v_cndmask_b32_e64 v10, 0, 0x100, vcc_lo
	v_cmp_eq_u32_e32 vcc_lo, 1, v14
	s_delay_alu instid0(VALU_DEP_2) | instskip(SKIP_4) | instid1(VALU_DEP_2)
	v_or_b32_e32 v9, v10, v9
	v_cndmask_b32_e64 v14, 0, 0x10000, vcc_lo
	v_cmp_eq_u32_e32 vcc_lo, 1, v11
	v_cndmask_b32_e64 v11, 0, 0x1000000, vcc_lo
	v_cmp_eq_u32_e32 vcc_lo, 1, v15
	v_or3_b32 v3, v9, v14, v11
	v_cndmask_b32_e64 v15, 0, 1, vcc_lo
	v_cmp_eq_u32_e32 vcc_lo, 1, v12
	s_delay_alu instid0(VALU_DEP_3) | instskip(SKIP_3) | instid1(VALU_DEP_4)
	v_or3_b32 v7, v3, 0, 0
	v_or3_b32 v3, v4, v8, v5
	v_cndmask_b32_e64 v10, 0, 0x100, vcc_lo
	v_cmp_eq_u32_e32 vcc_lo, 1, v16
	v_or3_b32 v4, v7, 0, 0
	s_delay_alu instid0(VALU_DEP_3) | instskip(SKIP_3) | instid1(VALU_DEP_1)
	v_or3_b32 v1, v1, v15, v10
	v_cndmask_b32_e64 v12, 0, 0x10000, vcc_lo
	v_cmp_eq_u32_e32 vcc_lo, 1, v13
	v_cndmask_b32_e64 v6, 0, 0x1000000, vcc_lo
	v_or3_b32 v5, v1, v12, v6
	s_clause 0x1
	global_store_b64 v0, v[2:3], s[12:13] scale_offset
	global_store_b64 v0, v[4:5], s[12:13] offset:2048 scale_offset
.LBB193_2:
	s_and_not1_b32 vcc_lo, exec_lo, s0
	s_cbranch_vccnz .LBB193_52
; %bb.3:
	v_cmp_gt_i32_e32 vcc_lo, s1, v0
	s_wait_xcnt 0x1
	v_dual_mov_b32 v1, 0 :: v_dual_bitop2_b32 v2, s2, v0 bitop3:0x54
	v_or_b32_e32 v3, 0x100, v0
	s_wait_xcnt 0x0
	v_dual_mov_b32 v29, v0 :: v_dual_mov_b32 v5, 0
	v_mov_b32_e32 v7, 0
	s_and_saveexec_b32 s0, vcc_lo
	s_cbranch_execz .LBB193_5
; %bb.4:
	s_clause 0x1
	global_load_u16 v4, v2, s[6:7] scale_offset
	global_load_u16 v6, v2, s[10:11] scale_offset
	v_or_b32_e32 v29, 0x100, v0
	s_wait_loadcnt 0x0
	v_dual_lshlrev_b32 v5, 16, v4 :: v_dual_lshlrev_b32 v7, 16, v6
.LBB193_5:
	s_wait_xcnt 0x0
	s_or_b32 exec_lo, exec_lo, s0
	v_mov_b32_e32 v8, 0
	s_mov_b32 s3, exec_lo
	v_cmpx_gt_i32_e64 s1, v29
	s_cbranch_execz .LBB193_7
; %bb.6:
	v_add_nc_u32_e32 v1, s2, v29
	v_add_nc_u32_e32 v29, 0x100, v29
	s_clause 0x1
	global_load_u16 v4, v1, s[6:7] scale_offset
	global_load_u16 v6, v1, s[10:11] scale_offset
	s_wait_loadcnt 0x0
	v_dual_lshlrev_b32 v1, 16, v4 :: v_dual_lshlrev_b32 v8, 16, v6
.LBB193_7:
	s_or_b32 exec_lo, exec_lo, s3
	v_dual_mov_b32 v4, 0 :: v_dual_mov_b32 v10, 0
	v_mov_b32_e32 v11, 0
	s_mov_b32 s3, exec_lo
	v_cmpx_gt_i32_e64 s1, v29
	s_cbranch_execz .LBB193_9
; %bb.8:
	v_add_nc_u32_e32 v6, s2, v29
	v_add_nc_u32_e32 v29, 0x100, v29
	s_clause 0x1
	global_load_u16 v9, v6, s[6:7] scale_offset
	global_load_u16 v11, v6, s[10:11] scale_offset
	s_wait_loadcnt 0x0
	v_dual_lshlrev_b32 v10, 16, v9 :: v_dual_lshlrev_b32 v11, 16, v11
.LBB193_9:
	s_wait_xcnt 0x0
	s_or_b32 exec_lo, exec_lo, s3
	v_mov_b32_e32 v12, 0
	s_mov_b32 s3, exec_lo
	v_cmpx_gt_i32_e64 s1, v29
	s_cbranch_execz .LBB193_11
; %bb.10:
	v_add_nc_u32_e32 v4, s2, v29
	v_add_nc_u32_e32 v29, 0x100, v29
	s_clause 0x1
	global_load_u16 v6, v4, s[6:7] scale_offset
	global_load_u16 v9, v4, s[10:11] scale_offset
	s_wait_loadcnt 0x0
	v_dual_lshlrev_b32 v4, 16, v6 :: v_dual_lshlrev_b32 v12, 16, v9
.LBB193_11:
	s_or_b32 exec_lo, exec_lo, s3
	v_dual_mov_b32 v6, 0 :: v_dual_mov_b32 v14, 0
	v_mov_b32_e32 v15, 0
	s_mov_b32 s3, exec_lo
	v_cmpx_gt_i32_e64 s1, v29
	s_cbranch_execz .LBB193_13
; %bb.12:
	v_add_nc_u32_e32 v9, s2, v29
	v_add_nc_u32_e32 v29, 0x100, v29
	s_clause 0x1
	global_load_u16 v13, v9, s[6:7] scale_offset
	global_load_u16 v15, v9, s[10:11] scale_offset
	s_wait_loadcnt 0x0
	v_dual_lshlrev_b32 v14, 16, v13 :: v_dual_lshlrev_b32 v15, 16, v15
.LBB193_13:
	s_wait_xcnt 0x0
	s_or_b32 exec_lo, exec_lo, s3
	v_mov_b32_e32 v16, 0
	s_mov_b32 s3, exec_lo
	v_cmpx_gt_i32_e64 s1, v29
	s_cbranch_execz .LBB193_15
; %bb.14:
	v_add_nc_u32_e32 v6, s2, v29
	v_add_nc_u32_e32 v29, 0x100, v29
	s_clause 0x1
	global_load_u16 v9, v6, s[6:7] scale_offset
	global_load_u16 v13, v6, s[10:11] scale_offset
	s_wait_loadcnt 0x1
	s_wait_xcnt 0x0
	v_lshlrev_b32_e32 v6, 16, v9
	s_wait_loadcnt 0x0
	v_lshlrev_b32_e32 v16, 16, v13
.LBB193_15:
	s_or_b32 exec_lo, exec_lo, s3
	v_dual_mov_b32 v9, 0 :: v_dual_mov_b32 v18, 0
	v_mov_b32_e32 v19, 0
	s_mov_b32 s3, exec_lo
	v_cmpx_gt_i32_e64 s1, v29
	s_cbranch_execz .LBB193_17
; %bb.16:
	v_add_nc_u32_e32 v13, s2, v29
	v_add_nc_u32_e32 v29, 0x100, v29
	s_clause 0x1
	global_load_u16 v17, v13, s[6:7] scale_offset
	global_load_u16 v19, v13, s[10:11] scale_offset
	s_wait_loadcnt 0x0
	v_dual_lshlrev_b32 v18, 16, v17 :: v_dual_lshlrev_b32 v19, 16, v19
.LBB193_17:
	s_wait_xcnt 0x0
	s_or_b32 exec_lo, exec_lo, s3
	v_mov_b32_e32 v20, 0
	s_mov_b32 s3, exec_lo
	v_cmpx_gt_i32_e64 s1, v29
	s_cbranch_execz .LBB193_19
; %bb.18:
	v_add_nc_u32_e32 v9, s2, v29
	v_add_nc_u32_e32 v29, 0x100, v29
	s_clause 0x1
	global_load_u16 v13, v9, s[6:7] scale_offset
	global_load_u16 v17, v9, s[10:11] scale_offset
	s_wait_loadcnt 0x1
	s_wait_xcnt 0x0
	v_lshlrev_b32_e32 v9, 16, v13
	s_wait_loadcnt 0x0
	v_lshlrev_b32_e32 v20, 16, v17
.LBB193_19:
	s_or_b32 exec_lo, exec_lo, s3
	v_dual_mov_b32 v13, 0 :: v_dual_mov_b32 v22, 0
	v_mov_b32_e32 v23, 0
	s_mov_b32 s3, exec_lo
	v_cmpx_gt_i32_e64 s1, v29
	s_cbranch_execz .LBB193_21
; %bb.20:
	v_add_nc_u32_e32 v17, s2, v29
	v_add_nc_u32_e32 v29, 0x100, v29
	s_clause 0x1
	global_load_u16 v21, v17, s[6:7] scale_offset
	global_load_u16 v23, v17, s[10:11] scale_offset
	s_wait_loadcnt 0x0
	v_dual_lshlrev_b32 v22, 16, v21 :: v_dual_lshlrev_b32 v23, 16, v23
.LBB193_21:
	s_wait_xcnt 0x0
	s_or_b32 exec_lo, exec_lo, s3
	v_mov_b32_e32 v24, 0
	s_mov_b32 s3, exec_lo
	v_cmpx_gt_i32_e64 s1, v29
	s_cbranch_execz .LBB193_23
; %bb.22:
	v_add_nc_u32_e32 v13, s2, v29
	v_add_nc_u32_e32 v29, 0x100, v29
	s_clause 0x1
	global_load_u16 v17, v13, s[6:7] scale_offset
	global_load_u16 v21, v13, s[10:11] scale_offset
	s_wait_loadcnt 0x1
	s_wait_xcnt 0x0
	v_lshlrev_b32_e32 v13, 16, v17
	s_wait_loadcnt 0x0
	v_lshlrev_b32_e32 v24, 16, v21
.LBB193_23:
	s_or_b32 exec_lo, exec_lo, s3
	v_dual_mov_b32 v17, 0 :: v_dual_mov_b32 v26, 0
	v_mov_b32_e32 v27, 0
	s_mov_b32 s3, exec_lo
	v_cmpx_gt_i32_e64 s1, v29
	s_cbranch_execz .LBB193_25
; %bb.24:
	v_add_nc_u32_e32 v21, s2, v29
	v_add_nc_u32_e32 v29, 0x100, v29
	s_clause 0x1
	global_load_u16 v25, v21, s[6:7] scale_offset
	global_load_u16 v27, v21, s[10:11] scale_offset
	s_wait_loadcnt 0x0
	v_dual_lshlrev_b32 v26, 16, v25 :: v_dual_lshlrev_b32 v27, 16, v27
.LBB193_25:
	s_wait_xcnt 0x0
	s_or_b32 exec_lo, exec_lo, s3
	v_mov_b32_e32 v28, 0
	s_mov_b32 s3, exec_lo
	v_cmpx_gt_i32_e64 s1, v29
	s_cbranch_execz .LBB193_27
; %bb.26:
	v_add_nc_u32_e32 v17, s2, v29
	v_add_nc_u32_e32 v29, 0x100, v29
	s_clause 0x1
	global_load_u16 v21, v17, s[6:7] scale_offset
	global_load_u16 v25, v17, s[10:11] scale_offset
	s_wait_loadcnt 0x1
	s_wait_xcnt 0x0
	v_lshlrev_b32_e32 v17, 16, v21
	s_wait_loadcnt 0x0
	v_lshlrev_b32_e32 v28, 16, v25
.LBB193_27:
	s_or_b32 exec_lo, exec_lo, s3
	v_dual_mov_b32 v21, 0 :: v_dual_mov_b32 v30, 0
	v_mov_b32_e32 v31, 0
	s_mov_b32 s3, exec_lo
	v_cmpx_gt_i32_e64 s1, v29
	s_cbranch_execz .LBB193_29
; %bb.28:
	v_add_nc_u32_e32 v25, s2, v29
	v_add_nc_u32_e32 v29, 0x100, v29
	s_clause 0x1
	global_load_u16 v30, v25, s[6:7] scale_offset
	global_load_u16 v31, v25, s[10:11] scale_offset
	s_wait_loadcnt 0x0
	v_dual_lshlrev_b32 v30, 16, v30 :: v_dual_lshlrev_b32 v31, 16, v31
.LBB193_29:
	s_wait_xcnt 0x0
	s_or_b32 exec_lo, exec_lo, s3
	v_mov_b32_e32 v32, 0
	s_mov_b32 s3, exec_lo
	v_cmpx_gt_i32_e64 s1, v29
	s_cbranch_execz .LBB193_31
; %bb.30:
	v_add_nc_u32_e32 v21, s2, v29
	v_add_nc_u32_e32 v29, 0x100, v29
	s_clause 0x1
	global_load_u16 v25, v21, s[6:7] scale_offset
	global_load_u16 v32, v21, s[10:11] scale_offset
	s_wait_loadcnt 0x0
	v_dual_lshlrev_b32 v21, 16, v25 :: v_dual_lshlrev_b32 v32, 16, v32
.LBB193_31:
	s_or_b32 exec_lo, exec_lo, s3
	v_dual_mov_b32 v25, 0 :: v_dual_mov_b32 v33, 0
	v_mov_b32_e32 v34, 0
	s_mov_b32 s3, exec_lo
	v_cmpx_gt_i32_e64 s1, v29
	s_cbranch_execz .LBB193_33
; %bb.32:
	v_add_nc_u32_e32 v33, s2, v29
	v_add_nc_u32_e32 v29, 0x100, v29
	s_clause 0x1
	global_load_u16 v34, v33, s[6:7] scale_offset
	global_load_u16 v35, v33, s[10:11] scale_offset
	s_wait_loadcnt 0x0
	v_dual_lshlrev_b32 v33, 16, v34 :: v_dual_lshlrev_b32 v34, 16, v35
.LBB193_33:
	s_or_b32 exec_lo, exec_lo, s3
	v_mov_b32_e32 v35, 0
	s_mov_b32 s3, exec_lo
	v_cmpx_gt_i32_e64 s1, v29
	s_cbranch_execz .LBB193_35
; %bb.34:
	v_add_nc_u32_e32 v25, s2, v29
	s_clause 0x1
	global_load_u16 v29, v25, s[6:7] scale_offset
	global_load_u16 v35, v25, s[10:11] scale_offset
	s_wait_loadcnt 0x0
	v_dual_lshlrev_b32 v25, 16, v29 :: v_dual_lshlrev_b32 v35, 16, v35
.LBB193_35:
	s_or_b32 exec_lo, exec_lo, s3
	s_cmp_eq_u32 s9, 0
	s_cselect_b32 s0, -1, 0
	s_and_saveexec_b32 s3, vcc_lo
	s_cbranch_execnz .LBB193_53
; %bb.36:
	s_or_b32 exec_lo, exec_lo, s3
	s_delay_alu instid0(SALU_CYCLE_1)
	s_mov_b32 s3, exec_lo
	v_cmpx_gt_i32_e64 s1, v0
	s_cbranch_execnz .LBB193_54
.LBB193_37:
	s_or_b32 exec_lo, exec_lo, s3
	s_delay_alu instid0(SALU_CYCLE_1)
	s_mov_b32 s3, exec_lo
	v_cmpx_gt_i32_e64 s1, v0
	s_cbranch_execnz .LBB193_55
.LBB193_38:
	s_or_b32 exec_lo, exec_lo, s3
	s_delay_alu instid0(SALU_CYCLE_1)
	s_mov_b32 s3, exec_lo
	v_cmpx_gt_i32_e64 s1, v0
	s_cbranch_execnz .LBB193_56
.LBB193_39:
	s_or_b32 exec_lo, exec_lo, s3
	s_delay_alu instid0(SALU_CYCLE_1)
	s_mov_b32 s3, exec_lo
	v_cmpx_gt_i32_e64 s1, v0
	s_cbranch_execnz .LBB193_57
.LBB193_40:
	s_or_b32 exec_lo, exec_lo, s3
	s_delay_alu instid0(SALU_CYCLE_1)
	s_mov_b32 s3, exec_lo
	v_cmpx_gt_i32_e64 s1, v0
	s_cbranch_execnz .LBB193_58
.LBB193_41:
	s_or_b32 exec_lo, exec_lo, s3
	s_delay_alu instid0(SALU_CYCLE_1)
	s_mov_b32 s3, exec_lo
	v_cmpx_gt_i32_e64 s1, v0
	s_cbranch_execnz .LBB193_59
.LBB193_42:
	s_or_b32 exec_lo, exec_lo, s3
	s_delay_alu instid0(SALU_CYCLE_1)
	s_mov_b32 s3, exec_lo
	v_cmpx_gt_i32_e64 s1, v0
	s_cbranch_execnz .LBB193_60
.LBB193_43:
	s_or_b32 exec_lo, exec_lo, s3
	s_delay_alu instid0(SALU_CYCLE_1)
	s_mov_b32 s3, exec_lo
	v_cmpx_gt_i32_e64 s1, v0
	s_cbranch_execnz .LBB193_61
.LBB193_44:
	s_or_b32 exec_lo, exec_lo, s3
	s_delay_alu instid0(SALU_CYCLE_1)
	s_mov_b32 s3, exec_lo
	v_cmpx_gt_i32_e64 s1, v0
	s_cbranch_execnz .LBB193_62
.LBB193_45:
	s_or_b32 exec_lo, exec_lo, s3
	s_delay_alu instid0(SALU_CYCLE_1)
	s_mov_b32 s3, exec_lo
	v_cmpx_gt_i32_e64 s1, v0
	s_cbranch_execnz .LBB193_63
.LBB193_46:
	s_or_b32 exec_lo, exec_lo, s3
	s_delay_alu instid0(SALU_CYCLE_1)
	s_mov_b32 s3, exec_lo
	v_cmpx_gt_i32_e64 s1, v0
	s_cbranch_execnz .LBB193_64
.LBB193_47:
	s_or_b32 exec_lo, exec_lo, s3
	s_delay_alu instid0(SALU_CYCLE_1)
	s_mov_b32 s3, exec_lo
	v_cmpx_gt_i32_e64 s1, v0
	s_cbranch_execnz .LBB193_65
.LBB193_48:
	s_or_b32 exec_lo, exec_lo, s3
	s_delay_alu instid0(SALU_CYCLE_1)
	s_mov_b32 s3, exec_lo
	v_cmpx_gt_i32_e64 s1, v0
	s_cbranch_execnz .LBB193_66
.LBB193_49:
	s_or_b32 exec_lo, exec_lo, s3
	s_delay_alu instid0(SALU_CYCLE_1)
	s_mov_b32 s3, exec_lo
	v_cmpx_gt_i32_e64 s1, v0
	s_cbranch_execnz .LBB193_67
.LBB193_50:
	s_or_b32 exec_lo, exec_lo, s3
	v_cmp_gt_i32_e32 vcc_lo, s1, v0
	s_and_saveexec_b32 s1, vcc_lo
	s_cbranch_execz .LBB193_52
.LBB193_51:
	v_cmp_eq_f32_e32 vcc_lo, v25, v35
	v_add_nc_u32_e32 v0, s2, v0
	v_cndmask_b32_e64 v1, 0, 1, vcc_lo
	v_cmp_neq_f32_e32 vcc_lo, v25, v35
	v_cndmask_b32_e64 v2, 0, 1, vcc_lo
	s_delay_alu instid0(VALU_DEP_1) | instskip(NEXT) | instid1(VALU_DEP_1)
	v_cndmask_b32_e64 v1, v2, v1, s0
	v_and_b32_e32 v1, 1, v1
	global_store_b8 v0, v1, s[4:5]
.LBB193_52:
	s_endpgm
.LBB193_53:
	v_cmp_eq_f32_e32 vcc_lo, v5, v7
	v_cndmask_b32_e64 v0, 0, 1, vcc_lo
	v_cmp_neq_f32_e32 vcc_lo, v5, v7
	v_cndmask_b32_e64 v5, 0, 1, vcc_lo
	s_delay_alu instid0(VALU_DEP_1) | instskip(NEXT) | instid1(VALU_DEP_1)
	v_cndmask_b32_e64 v0, v5, v0, s0
	v_dual_mov_b32 v0, v3 :: v_dual_bitop2_b32 v5, 1, v0 bitop3:0x40
	global_store_b8 v2, v5, s[4:5]
	s_wait_xcnt 0x0
	s_or_b32 exec_lo, exec_lo, s3
	s_delay_alu instid0(SALU_CYCLE_1)
	s_mov_b32 s3, exec_lo
	v_cmpx_gt_i32_e64 s1, v0
	s_cbranch_execz .LBB193_37
.LBB193_54:
	v_cmp_eq_f32_e32 vcc_lo, v1, v8
	v_cndmask_b32_e64 v2, 0, 1, vcc_lo
	v_cmp_neq_f32_e32 vcc_lo, v1, v8
	v_cndmask_b32_e64 v1, 0, 1, vcc_lo
	s_delay_alu instid0(VALU_DEP_1) | instskip(SKIP_1) | instid1(VALU_DEP_2)
	v_dual_cndmask_b32 v1, v1, v2, s0 :: v_dual_add_nc_u32 v2, s2, v0
	v_add_nc_u32_e32 v0, 0x100, v0
	v_and_b32_e32 v1, 1, v1
	global_store_b8 v2, v1, s[4:5]
	s_wait_xcnt 0x0
	s_or_b32 exec_lo, exec_lo, s3
	s_delay_alu instid0(SALU_CYCLE_1)
	s_mov_b32 s3, exec_lo
	v_cmpx_gt_i32_e64 s1, v0
	s_cbranch_execz .LBB193_38
.LBB193_55:
	v_cmp_eq_f32_e32 vcc_lo, v10, v11
	v_cndmask_b32_e64 v1, 0, 1, vcc_lo
	v_cmp_neq_f32_e32 vcc_lo, v10, v11
	v_cndmask_b32_e64 v2, 0, 1, vcc_lo
	s_delay_alu instid0(VALU_DEP_1) | instskip(SKIP_1) | instid1(VALU_DEP_2)
	v_dual_cndmask_b32 v1, v2, v1, s0 :: v_dual_add_nc_u32 v2, s2, v0
	v_add_nc_u32_e32 v0, 0x100, v0
	v_and_b32_e32 v1, 1, v1
	global_store_b8 v2, v1, s[4:5]
	s_wait_xcnt 0x0
	s_or_b32 exec_lo, exec_lo, s3
	s_delay_alu instid0(SALU_CYCLE_1)
	s_mov_b32 s3, exec_lo
	v_cmpx_gt_i32_e64 s1, v0
	s_cbranch_execz .LBB193_39
.LBB193_56:
	v_cmp_eq_f32_e32 vcc_lo, v4, v12
	v_cndmask_b32_e64 v1, 0, 1, vcc_lo
	v_cmp_neq_f32_e32 vcc_lo, v4, v12
	v_cndmask_b32_e64 v2, 0, 1, vcc_lo
	s_delay_alu instid0(VALU_DEP_1) | instskip(SKIP_1) | instid1(VALU_DEP_2)
	v_dual_cndmask_b32 v1, v2, v1, s0 :: v_dual_add_nc_u32 v2, s2, v0
	v_add_nc_u32_e32 v0, 0x100, v0
	v_and_b32_e32 v1, 1, v1
	global_store_b8 v2, v1, s[4:5]
	s_wait_xcnt 0x0
	s_or_b32 exec_lo, exec_lo, s3
	s_delay_alu instid0(SALU_CYCLE_1)
	s_mov_b32 s3, exec_lo
	v_cmpx_gt_i32_e64 s1, v0
	s_cbranch_execz .LBB193_40
.LBB193_57:
	v_cmp_eq_f32_e32 vcc_lo, v14, v15
	v_cndmask_b32_e64 v1, 0, 1, vcc_lo
	v_cmp_neq_f32_e32 vcc_lo, v14, v15
	v_cndmask_b32_e64 v2, 0, 1, vcc_lo
	s_delay_alu instid0(VALU_DEP_1) | instskip(SKIP_1) | instid1(VALU_DEP_2)
	v_dual_cndmask_b32 v1, v2, v1, s0 :: v_dual_add_nc_u32 v2, s2, v0
	v_add_nc_u32_e32 v0, 0x100, v0
	v_and_b32_e32 v1, 1, v1
	global_store_b8 v2, v1, s[4:5]
	s_wait_xcnt 0x0
	s_or_b32 exec_lo, exec_lo, s3
	s_delay_alu instid0(SALU_CYCLE_1)
	s_mov_b32 s3, exec_lo
	v_cmpx_gt_i32_e64 s1, v0
	s_cbranch_execz .LBB193_41
.LBB193_58:
	v_cmp_eq_f32_e32 vcc_lo, v6, v16
	v_cndmask_b32_e64 v1, 0, 1, vcc_lo
	v_cmp_neq_f32_e32 vcc_lo, v6, v16
	v_cndmask_b32_e64 v2, 0, 1, vcc_lo
	s_delay_alu instid0(VALU_DEP_1) | instskip(SKIP_1) | instid1(VALU_DEP_2)
	v_dual_cndmask_b32 v1, v2, v1, s0 :: v_dual_add_nc_u32 v2, s2, v0
	v_add_nc_u32_e32 v0, 0x100, v0
	v_and_b32_e32 v1, 1, v1
	global_store_b8 v2, v1, s[4:5]
	s_wait_xcnt 0x0
	s_or_b32 exec_lo, exec_lo, s3
	s_delay_alu instid0(SALU_CYCLE_1)
	s_mov_b32 s3, exec_lo
	v_cmpx_gt_i32_e64 s1, v0
	s_cbranch_execz .LBB193_42
.LBB193_59:
	v_cmp_eq_f32_e32 vcc_lo, v18, v19
	v_cndmask_b32_e64 v1, 0, 1, vcc_lo
	v_cmp_neq_f32_e32 vcc_lo, v18, v19
	v_cndmask_b32_e64 v2, 0, 1, vcc_lo
	s_delay_alu instid0(VALU_DEP_1) | instskip(SKIP_1) | instid1(VALU_DEP_2)
	v_dual_cndmask_b32 v1, v2, v1, s0 :: v_dual_add_nc_u32 v2, s2, v0
	v_add_nc_u32_e32 v0, 0x100, v0
	v_and_b32_e32 v1, 1, v1
	global_store_b8 v2, v1, s[4:5]
	s_wait_xcnt 0x0
	s_or_b32 exec_lo, exec_lo, s3
	s_delay_alu instid0(SALU_CYCLE_1)
	s_mov_b32 s3, exec_lo
	v_cmpx_gt_i32_e64 s1, v0
	s_cbranch_execz .LBB193_43
.LBB193_60:
	v_cmp_eq_f32_e32 vcc_lo, v9, v20
	v_cndmask_b32_e64 v1, 0, 1, vcc_lo
	v_cmp_neq_f32_e32 vcc_lo, v9, v20
	v_cndmask_b32_e64 v2, 0, 1, vcc_lo
	s_delay_alu instid0(VALU_DEP_1) | instskip(SKIP_1) | instid1(VALU_DEP_2)
	v_dual_cndmask_b32 v1, v2, v1, s0 :: v_dual_add_nc_u32 v2, s2, v0
	v_add_nc_u32_e32 v0, 0x100, v0
	v_and_b32_e32 v1, 1, v1
	global_store_b8 v2, v1, s[4:5]
	s_wait_xcnt 0x0
	s_or_b32 exec_lo, exec_lo, s3
	s_delay_alu instid0(SALU_CYCLE_1)
	s_mov_b32 s3, exec_lo
	v_cmpx_gt_i32_e64 s1, v0
	s_cbranch_execz .LBB193_44
.LBB193_61:
	v_cmp_eq_f32_e32 vcc_lo, v22, v23
	v_cndmask_b32_e64 v1, 0, 1, vcc_lo
	v_cmp_neq_f32_e32 vcc_lo, v22, v23
	v_cndmask_b32_e64 v2, 0, 1, vcc_lo
	s_delay_alu instid0(VALU_DEP_1) | instskip(SKIP_1) | instid1(VALU_DEP_2)
	v_dual_cndmask_b32 v1, v2, v1, s0 :: v_dual_add_nc_u32 v2, s2, v0
	v_add_nc_u32_e32 v0, 0x100, v0
	v_and_b32_e32 v1, 1, v1
	global_store_b8 v2, v1, s[4:5]
	s_wait_xcnt 0x0
	s_or_b32 exec_lo, exec_lo, s3
	s_delay_alu instid0(SALU_CYCLE_1)
	s_mov_b32 s3, exec_lo
	v_cmpx_gt_i32_e64 s1, v0
	s_cbranch_execz .LBB193_45
.LBB193_62:
	v_cmp_eq_f32_e32 vcc_lo, v13, v24
	v_cndmask_b32_e64 v1, 0, 1, vcc_lo
	v_cmp_neq_f32_e32 vcc_lo, v13, v24
	v_cndmask_b32_e64 v2, 0, 1, vcc_lo
	s_delay_alu instid0(VALU_DEP_1) | instskip(SKIP_1) | instid1(VALU_DEP_2)
	v_dual_cndmask_b32 v1, v2, v1, s0 :: v_dual_add_nc_u32 v2, s2, v0
	v_add_nc_u32_e32 v0, 0x100, v0
	v_and_b32_e32 v1, 1, v1
	global_store_b8 v2, v1, s[4:5]
	s_wait_xcnt 0x0
	s_or_b32 exec_lo, exec_lo, s3
	s_delay_alu instid0(SALU_CYCLE_1)
	s_mov_b32 s3, exec_lo
	v_cmpx_gt_i32_e64 s1, v0
	s_cbranch_execz .LBB193_46
.LBB193_63:
	v_cmp_eq_f32_e32 vcc_lo, v26, v27
	v_cndmask_b32_e64 v1, 0, 1, vcc_lo
	v_cmp_neq_f32_e32 vcc_lo, v26, v27
	v_cndmask_b32_e64 v2, 0, 1, vcc_lo
	s_delay_alu instid0(VALU_DEP_1) | instskip(SKIP_1) | instid1(VALU_DEP_2)
	v_dual_cndmask_b32 v1, v2, v1, s0 :: v_dual_add_nc_u32 v2, s2, v0
	v_add_nc_u32_e32 v0, 0x100, v0
	v_and_b32_e32 v1, 1, v1
	global_store_b8 v2, v1, s[4:5]
	s_wait_xcnt 0x0
	s_or_b32 exec_lo, exec_lo, s3
	s_delay_alu instid0(SALU_CYCLE_1)
	s_mov_b32 s3, exec_lo
	v_cmpx_gt_i32_e64 s1, v0
	s_cbranch_execz .LBB193_47
.LBB193_64:
	v_cmp_eq_f32_e32 vcc_lo, v17, v28
	v_cndmask_b32_e64 v1, 0, 1, vcc_lo
	v_cmp_neq_f32_e32 vcc_lo, v17, v28
	v_cndmask_b32_e64 v2, 0, 1, vcc_lo
	s_delay_alu instid0(VALU_DEP_1) | instskip(SKIP_1) | instid1(VALU_DEP_2)
	v_dual_cndmask_b32 v1, v2, v1, s0 :: v_dual_add_nc_u32 v2, s2, v0
	v_add_nc_u32_e32 v0, 0x100, v0
	v_and_b32_e32 v1, 1, v1
	global_store_b8 v2, v1, s[4:5]
	s_wait_xcnt 0x0
	s_or_b32 exec_lo, exec_lo, s3
	s_delay_alu instid0(SALU_CYCLE_1)
	s_mov_b32 s3, exec_lo
	v_cmpx_gt_i32_e64 s1, v0
	s_cbranch_execz .LBB193_48
.LBB193_65:
	v_cmp_eq_f32_e32 vcc_lo, v30, v31
	v_cndmask_b32_e64 v1, 0, 1, vcc_lo
	v_cmp_neq_f32_e32 vcc_lo, v30, v31
	v_cndmask_b32_e64 v2, 0, 1, vcc_lo
	s_delay_alu instid0(VALU_DEP_1) | instskip(SKIP_1) | instid1(VALU_DEP_2)
	v_dual_cndmask_b32 v1, v2, v1, s0 :: v_dual_add_nc_u32 v2, s2, v0
	v_add_nc_u32_e32 v0, 0x100, v0
	v_and_b32_e32 v1, 1, v1
	global_store_b8 v2, v1, s[4:5]
	s_wait_xcnt 0x0
	s_or_b32 exec_lo, exec_lo, s3
	s_delay_alu instid0(SALU_CYCLE_1)
	s_mov_b32 s3, exec_lo
	v_cmpx_gt_i32_e64 s1, v0
	s_cbranch_execz .LBB193_49
.LBB193_66:
	v_cmp_eq_f32_e32 vcc_lo, v21, v32
	v_cndmask_b32_e64 v1, 0, 1, vcc_lo
	v_cmp_neq_f32_e32 vcc_lo, v21, v32
	v_cndmask_b32_e64 v2, 0, 1, vcc_lo
	s_delay_alu instid0(VALU_DEP_1) | instskip(SKIP_1) | instid1(VALU_DEP_2)
	v_dual_cndmask_b32 v1, v2, v1, s0 :: v_dual_add_nc_u32 v2, s2, v0
	v_add_nc_u32_e32 v0, 0x100, v0
	v_and_b32_e32 v1, 1, v1
	global_store_b8 v2, v1, s[4:5]
	s_wait_xcnt 0x0
	s_or_b32 exec_lo, exec_lo, s3
	s_delay_alu instid0(SALU_CYCLE_1)
	s_mov_b32 s3, exec_lo
	v_cmpx_gt_i32_e64 s1, v0
	s_cbranch_execz .LBB193_50
.LBB193_67:
	v_cmp_eq_f32_e32 vcc_lo, v33, v34
	v_cndmask_b32_e64 v1, 0, 1, vcc_lo
	v_cmp_neq_f32_e32 vcc_lo, v33, v34
	v_cndmask_b32_e64 v2, 0, 1, vcc_lo
	s_delay_alu instid0(VALU_DEP_1) | instskip(SKIP_1) | instid1(VALU_DEP_2)
	v_dual_cndmask_b32 v1, v2, v1, s0 :: v_dual_add_nc_u32 v2, s2, v0
	v_add_nc_u32_e32 v0, 0x100, v0
	v_and_b32_e32 v1, 1, v1
	global_store_b8 v2, v1, s[4:5]
	s_wait_xcnt 0x0
	s_or_b32 exec_lo, exec_lo, s3
	v_cmp_gt_i32_e32 vcc_lo, s1, v0
	s_and_saveexec_b32 s1, vcc_lo
	s_cbranch_execnz .LBB193_51
	s_branch .LBB193_52
	.section	.rodata,"a",@progbits
	.p2align	6, 0x0
	.amdhsa_kernel _ZN2at6native29vectorized_elementwise_kernelILi8ENS0_13BinaryFunctorIN3c108BFloat16ES4_bNS0_12_GLOBAL__N_116CompareEqFunctorIS4_EEEESt5arrayIPcLm3EEEEviT0_T1_
		.amdhsa_group_segment_fixed_size 0
		.amdhsa_private_segment_fixed_size 0
		.amdhsa_kernarg_size 32
		.amdhsa_user_sgpr_count 2
		.amdhsa_user_sgpr_dispatch_ptr 0
		.amdhsa_user_sgpr_queue_ptr 0
		.amdhsa_user_sgpr_kernarg_segment_ptr 1
		.amdhsa_user_sgpr_dispatch_id 0
		.amdhsa_user_sgpr_kernarg_preload_length 0
		.amdhsa_user_sgpr_kernarg_preload_offset 0
		.amdhsa_user_sgpr_private_segment_size 0
		.amdhsa_wavefront_size32 1
		.amdhsa_uses_dynamic_stack 0
		.amdhsa_enable_private_segment 0
		.amdhsa_system_sgpr_workgroup_id_x 1
		.amdhsa_system_sgpr_workgroup_id_y 0
		.amdhsa_system_sgpr_workgroup_id_z 0
		.amdhsa_system_sgpr_workgroup_info 0
		.amdhsa_system_vgpr_workitem_id 0
		.amdhsa_next_free_vgpr 36
		.amdhsa_next_free_sgpr 16
		.amdhsa_named_barrier_count 0
		.amdhsa_reserve_vcc 1
		.amdhsa_float_round_mode_32 0
		.amdhsa_float_round_mode_16_64 0
		.amdhsa_float_denorm_mode_32 3
		.amdhsa_float_denorm_mode_16_64 3
		.amdhsa_fp16_overflow 0
		.amdhsa_memory_ordered 1
		.amdhsa_forward_progress 1
		.amdhsa_inst_pref_size 36
		.amdhsa_round_robin_scheduling 0
		.amdhsa_exception_fp_ieee_invalid_op 0
		.amdhsa_exception_fp_denorm_src 0
		.amdhsa_exception_fp_ieee_div_zero 0
		.amdhsa_exception_fp_ieee_overflow 0
		.amdhsa_exception_fp_ieee_underflow 0
		.amdhsa_exception_fp_ieee_inexact 0
		.amdhsa_exception_int_div_zero 0
	.end_amdhsa_kernel
	.section	.text._ZN2at6native29vectorized_elementwise_kernelILi8ENS0_13BinaryFunctorIN3c108BFloat16ES4_bNS0_12_GLOBAL__N_116CompareEqFunctorIS4_EEEESt5arrayIPcLm3EEEEviT0_T1_,"axG",@progbits,_ZN2at6native29vectorized_elementwise_kernelILi8ENS0_13BinaryFunctorIN3c108BFloat16ES4_bNS0_12_GLOBAL__N_116CompareEqFunctorIS4_EEEESt5arrayIPcLm3EEEEviT0_T1_,comdat
.Lfunc_end193:
	.size	_ZN2at6native29vectorized_elementwise_kernelILi8ENS0_13BinaryFunctorIN3c108BFloat16ES4_bNS0_12_GLOBAL__N_116CompareEqFunctorIS4_EEEESt5arrayIPcLm3EEEEviT0_T1_, .Lfunc_end193-_ZN2at6native29vectorized_elementwise_kernelILi8ENS0_13BinaryFunctorIN3c108BFloat16ES4_bNS0_12_GLOBAL__N_116CompareEqFunctorIS4_EEEESt5arrayIPcLm3EEEEviT0_T1_
                                        ; -- End function
	.set _ZN2at6native29vectorized_elementwise_kernelILi8ENS0_13BinaryFunctorIN3c108BFloat16ES4_bNS0_12_GLOBAL__N_116CompareEqFunctorIS4_EEEESt5arrayIPcLm3EEEEviT0_T1_.num_vgpr, 36
	.set _ZN2at6native29vectorized_elementwise_kernelILi8ENS0_13BinaryFunctorIN3c108BFloat16ES4_bNS0_12_GLOBAL__N_116CompareEqFunctorIS4_EEEESt5arrayIPcLm3EEEEviT0_T1_.num_agpr, 0
	.set _ZN2at6native29vectorized_elementwise_kernelILi8ENS0_13BinaryFunctorIN3c108BFloat16ES4_bNS0_12_GLOBAL__N_116CompareEqFunctorIS4_EEEESt5arrayIPcLm3EEEEviT0_T1_.numbered_sgpr, 16
	.set _ZN2at6native29vectorized_elementwise_kernelILi8ENS0_13BinaryFunctorIN3c108BFloat16ES4_bNS0_12_GLOBAL__N_116CompareEqFunctorIS4_EEEESt5arrayIPcLm3EEEEviT0_T1_.num_named_barrier, 0
	.set _ZN2at6native29vectorized_elementwise_kernelILi8ENS0_13BinaryFunctorIN3c108BFloat16ES4_bNS0_12_GLOBAL__N_116CompareEqFunctorIS4_EEEESt5arrayIPcLm3EEEEviT0_T1_.private_seg_size, 0
	.set _ZN2at6native29vectorized_elementwise_kernelILi8ENS0_13BinaryFunctorIN3c108BFloat16ES4_bNS0_12_GLOBAL__N_116CompareEqFunctorIS4_EEEESt5arrayIPcLm3EEEEviT0_T1_.uses_vcc, 1
	.set _ZN2at6native29vectorized_elementwise_kernelILi8ENS0_13BinaryFunctorIN3c108BFloat16ES4_bNS0_12_GLOBAL__N_116CompareEqFunctorIS4_EEEESt5arrayIPcLm3EEEEviT0_T1_.uses_flat_scratch, 0
	.set _ZN2at6native29vectorized_elementwise_kernelILi8ENS0_13BinaryFunctorIN3c108BFloat16ES4_bNS0_12_GLOBAL__N_116CompareEqFunctorIS4_EEEESt5arrayIPcLm3EEEEviT0_T1_.has_dyn_sized_stack, 0
	.set _ZN2at6native29vectorized_elementwise_kernelILi8ENS0_13BinaryFunctorIN3c108BFloat16ES4_bNS0_12_GLOBAL__N_116CompareEqFunctorIS4_EEEESt5arrayIPcLm3EEEEviT0_T1_.has_recursion, 0
	.set _ZN2at6native29vectorized_elementwise_kernelILi8ENS0_13BinaryFunctorIN3c108BFloat16ES4_bNS0_12_GLOBAL__N_116CompareEqFunctorIS4_EEEESt5arrayIPcLm3EEEEviT0_T1_.has_indirect_call, 0
	.section	.AMDGPU.csdata,"",@progbits
; Kernel info:
; codeLenInByte = 4548
; TotalNumSgprs: 18
; NumVgprs: 36
; ScratchSize: 0
; MemoryBound: 0
; FloatMode: 240
; IeeeMode: 1
; LDSByteSize: 0 bytes/workgroup (compile time only)
; SGPRBlocks: 0
; VGPRBlocks: 2
; NumSGPRsForWavesPerEU: 18
; NumVGPRsForWavesPerEU: 36
; NamedBarCnt: 0
; Occupancy: 16
; WaveLimiterHint : 1
; COMPUTE_PGM_RSRC2:SCRATCH_EN: 0
; COMPUTE_PGM_RSRC2:USER_SGPR: 2
; COMPUTE_PGM_RSRC2:TRAP_HANDLER: 0
; COMPUTE_PGM_RSRC2:TGID_X_EN: 1
; COMPUTE_PGM_RSRC2:TGID_Y_EN: 0
; COMPUTE_PGM_RSRC2:TGID_Z_EN: 0
; COMPUTE_PGM_RSRC2:TIDIG_COMP_CNT: 0
	.section	.text._ZN2at6native29vectorized_elementwise_kernelILi4ENS0_13BinaryFunctorIN3c108BFloat16ES4_bNS0_12_GLOBAL__N_116CompareEqFunctorIS4_EEEESt5arrayIPcLm3EEEEviT0_T1_,"axG",@progbits,_ZN2at6native29vectorized_elementwise_kernelILi4ENS0_13BinaryFunctorIN3c108BFloat16ES4_bNS0_12_GLOBAL__N_116CompareEqFunctorIS4_EEEESt5arrayIPcLm3EEEEviT0_T1_,comdat
	.globl	_ZN2at6native29vectorized_elementwise_kernelILi4ENS0_13BinaryFunctorIN3c108BFloat16ES4_bNS0_12_GLOBAL__N_116CompareEqFunctorIS4_EEEESt5arrayIPcLm3EEEEviT0_T1_ ; -- Begin function _ZN2at6native29vectorized_elementwise_kernelILi4ENS0_13BinaryFunctorIN3c108BFloat16ES4_bNS0_12_GLOBAL__N_116CompareEqFunctorIS4_EEEESt5arrayIPcLm3EEEEviT0_T1_
	.p2align	8
	.type	_ZN2at6native29vectorized_elementwise_kernelILi4ENS0_13BinaryFunctorIN3c108BFloat16ES4_bNS0_12_GLOBAL__N_116CompareEqFunctorIS4_EEEESt5arrayIPcLm3EEEEviT0_T1_,@function
_ZN2at6native29vectorized_elementwise_kernelILi4ENS0_13BinaryFunctorIN3c108BFloat16ES4_bNS0_12_GLOBAL__N_116CompareEqFunctorIS4_EEEESt5arrayIPcLm3EEEEviT0_T1_: ; @_ZN2at6native29vectorized_elementwise_kernelILi4ENS0_13BinaryFunctorIN3c108BFloat16ES4_bNS0_12_GLOBAL__N_116CompareEqFunctorIS4_EEEESt5arrayIPcLm3EEEEviT0_T1_
; %bb.0:
	s_clause 0x2
	s_load_b64 s[8:9], s[0:1], 0x0
	s_load_b128 s[4:7], s[0:1], 0x8
	s_load_b64 s[10:11], s[0:1], 0x18
	s_wait_xcnt 0x0
	s_bfe_u32 s0, ttmp6, 0x4000c
	s_and_b32 s1, ttmp6, 15
	s_add_co_i32 s0, s0, 1
	s_getreg_b32 s2, hwreg(HW_REG_IB_STS2, 6, 4)
	s_mul_i32 s0, ttmp9, s0
	s_delay_alu instid0(SALU_CYCLE_1) | instskip(SKIP_2) | instid1(SALU_CYCLE_1)
	s_add_co_i32 s1, s1, s0
	s_cmp_eq_u32 s2, 0
	s_cselect_b32 s0, ttmp9, s1
	s_lshl_b32 s2, s0, 12
	s_mov_b32 s0, -1
	s_wait_kmcnt 0x0
	s_sub_co_i32 s1, s8, s2
	s_delay_alu instid0(SALU_CYCLE_1)
	s_cmp_gt_i32 s1, 0xfff
	s_cbranch_scc0 .LBB194_2
; %bb.1:
	s_ashr_i32 s3, s2, 31
	s_mov_b32 s0, 0
	s_lshl_b64 s[12:13], s[2:3], 1
	s_cmp_eq_u32 s9, 0
	s_add_nc_u64 s[14:15], s[10:11], s[12:13]
	s_add_nc_u64 s[12:13], s[6:7], s[12:13]
	s_clause 0x7
	global_load_b64 v[2:3], v0, s[14:15] scale_offset
	global_load_b64 v[4:5], v0, s[12:13] scale_offset
	global_load_b64 v[6:7], v0, s[14:15] offset:2048 scale_offset
	global_load_b64 v[8:9], v0, s[12:13] offset:2048 scale_offset
	;; [unrolled: 1-line block ×6, first 2 shown]
	s_wait_xcnt 0x0
	s_add_nc_u64 s[12:13], s[4:5], s[2:3]
	s_wait_loadcnt 0x6
	v_dual_lshlrev_b32 v1, 16, v2 :: v_dual_lshlrev_b32 v18, 16, v4
	v_and_b32_e32 v2, 0xffff0000, v2
	v_and_b32_e32 v4, 0xffff0000, v4
	v_dual_lshlrev_b32 v19, 16, v3 :: v_dual_lshlrev_b32 v20, 16, v5
	s_delay_alu instid0(VALU_DEP_4)
	v_cmp_eq_f32_e32 vcc_lo, v18, v1
	v_and_b32_e32 v3, 0xffff0000, v3
	v_and_b32_e32 v5, 0xffff0000, v5
	s_wait_loadcnt 0x4
	v_dual_lshlrev_b32 v21, 16, v6 :: v_dual_lshlrev_b32 v22, 16, v8
	v_cndmask_b32_e64 v33, 0, 1, vcc_lo
	v_cmp_neq_f32_e32 vcc_lo, v18, v1
	v_and_b32_e32 v6, 0xffff0000, v6
	v_and_b32_e32 v8, 0xffff0000, v8
	v_dual_lshlrev_b32 v23, 16, v7 :: v_dual_lshlrev_b32 v24, 16, v9
	v_cndmask_b32_e64 v1, 0, 1, vcc_lo
	v_cmp_eq_f32_e32 vcc_lo, v4, v2
	v_and_b32_e32 v7, 0xffff0000, v7
	v_and_b32_e32 v9, 0xffff0000, v9
	s_wait_loadcnt 0x2
	v_dual_lshlrev_b32 v25, 16, v10 :: v_dual_lshlrev_b32 v26, 16, v12
	v_cndmask_b32_e64 v18, 0, 1, vcc_lo
	v_cmp_neq_f32_e32 vcc_lo, v4, v2
	v_and_b32_e32 v10, 0xffff0000, v10
	v_and_b32_e32 v12, 0xffff0000, v12
	v_dual_lshlrev_b32 v27, 16, v11 :: v_dual_lshlrev_b32 v28, 16, v13
	v_cndmask_b32_e64 v2, 0, 1, vcc_lo
	;; [unrolled: 11-line block ×3, first 2 shown]
	v_cmp_eq_f32_e32 vcc_lo, v5, v3
	v_and_b32_e32 v15, 0xffff0000, v15
	v_and_b32_e32 v17, 0xffff0000, v17
	v_cndmask_b32_e64 v20, 0, 1, vcc_lo
	v_cmp_neq_f32_e32 vcc_lo, v5, v3
	v_cndmask_b32_e64 v3, 0, 1, vcc_lo
	v_cmp_eq_f32_e32 vcc_lo, v22, v21
	v_cndmask_b32_e64 v5, 0, 1, vcc_lo
	v_cmp_neq_f32_e32 vcc_lo, v22, v21
	v_cndmask_b32_e64 v21, 0, 1, vcc_lo
	v_cmp_eq_f32_e32 vcc_lo, v8, v6
	;; [unrolled: 4-line block ×12, first 2 shown]
	v_cndmask_b32_e64 v32, 0, 1, vcc_lo
	v_cmp_neq_f32_e32 vcc_lo, v17, v15
	v_cndmask_b32_e64 v15, 0, 1, vcc_lo
	s_cselect_b32 vcc_lo, -1, 0
	v_dual_cndmask_b32 v1, v1, v33 :: v_dual_cndmask_b32 v2, v2, v18
	v_dual_cndmask_b32 v4, v19, v4 :: v_dual_cndmask_b32 v5, v21, v5
	v_cndmask_b32_e32 v16, v31, v16, vcc_lo
	v_dual_cndmask_b32 v3, v3, v20 :: v_dual_cndmask_b32 v6, v6, v22
	s_delay_alu instid0(VALU_DEP_4)
	v_dual_cndmask_b32 v8, v23, v8, vcc_lo :: v_dual_bitop2_b32 v2, 1, v2 bitop3:0x40
	v_dual_cndmask_b32 v9, v25, v9, vcc_lo :: v_dual_cndmask_b32 v7, v7, v24, vcc_lo
	v_dual_cndmask_b32 v10, v10, v26, vcc_lo :: v_dual_cndmask_b32 v12, v27, v12, vcc_lo
	;; [unrolled: 1-line block ×3, first 2 shown]
	v_dual_cndmask_b32 v14, v14, v30 :: v_dual_cndmask_b32 v15, v15, v32
	v_and_b32_e32 v3, 1, v3
	v_and_b32_e32 v4, 1, v4
	v_cmp_eq_u32_e32 vcc_lo, 1, v2
	v_and_b32_e32 v6, 1, v6
	v_and_b32_e32 v8, 1, v8
	;; [unrolled: 1-line block ×4, first 2 shown]
	v_cndmask_b32_e64 v2, 0, 0x100, vcc_lo
	v_cmp_eq_u32_e32 vcc_lo, 1, v4
	v_and_b32_e32 v12, 1, v12
	v_and_b32_e32 v11, 1, v11
	;; [unrolled: 1-line block ×4, first 2 shown]
	v_cndmask_b32_e64 v4, 0, 0x10000, vcc_lo
	v_cmp_eq_u32_e32 vcc_lo, 1, v3
	v_and_b32_e32 v15, 1, v15
	v_and_or_b32 v1, v1, 1, v2
	v_cndmask_b32_e64 v3, 0, 0x1000000, vcc_lo
	v_cmp_eq_u32_e32 vcc_lo, 1, v6
	s_delay_alu instid0(VALU_DEP_2) | instskip(SKIP_2) | instid1(VALU_DEP_2)
	v_or3_b32 v1, v1, v4, v3
	v_cndmask_b32_e64 v6, 0, 0x100, vcc_lo
	v_cmp_eq_u32_e32 vcc_lo, 1, v8
	v_and_or_b32 v2, v5, 1, v6
	v_cndmask_b32_e64 v8, 0, 0x10000, vcc_lo
	v_cmp_eq_u32_e32 vcc_lo, 1, v7
	v_cndmask_b32_e64 v7, 0, 0x1000000, vcc_lo
	v_cmp_eq_u32_e32 vcc_lo, 1, v10
	s_delay_alu instid0(VALU_DEP_2) | instskip(SKIP_2) | instid1(VALU_DEP_2)
	v_or3_b32 v2, v2, v8, v7
	v_cndmask_b32_e64 v10, 0, 0x100, vcc_lo
	v_cmp_eq_u32_e32 vcc_lo, 1, v12
	v_and_or_b32 v5, v9, 1, v10
	v_cndmask_b32_e64 v12, 0, 0x10000, vcc_lo
	v_cmp_eq_u32_e32 vcc_lo, 1, v11
	;; [unrolled: 9-line block ×3, first 2 shown]
	v_cndmask_b32_e64 v15, 0, 0x1000000, vcc_lo
	s_delay_alu instid0(VALU_DEP_1)
	v_or3_b32 v4, v6, v16, v15
	s_clause 0x3
	global_store_b32 v0, v1, s[12:13] scale_offset
	global_store_b32 v0, v2, s[12:13] offset:1024 scale_offset
	global_store_b32 v0, v3, s[12:13] offset:2048 scale_offset
	;; [unrolled: 1-line block ×3, first 2 shown]
.LBB194_2:
	s_and_not1_b32 vcc_lo, exec_lo, s0
	s_cbranch_vccnz .LBB194_52
; %bb.3:
	v_cmp_gt_i32_e32 vcc_lo, s1, v0
	s_wait_xcnt 0x2
	v_dual_mov_b32 v1, 0 :: v_dual_bitop2_b32 v2, s2, v0 bitop3:0x54
	s_wait_xcnt 0x1
	v_or_b32_e32 v3, 0x100, v0
	v_dual_mov_b32 v29, v0 :: v_dual_mov_b32 v5, 0
	v_mov_b32_e32 v7, 0
	s_wait_xcnt 0x0
	s_and_saveexec_b32 s0, vcc_lo
	s_cbranch_execz .LBB194_5
; %bb.4:
	s_clause 0x1
	global_load_u16 v4, v2, s[6:7] scale_offset
	global_load_u16 v6, v2, s[10:11] scale_offset
	v_or_b32_e32 v29, 0x100, v0
	s_wait_loadcnt 0x0
	v_dual_lshlrev_b32 v5, 16, v4 :: v_dual_lshlrev_b32 v7, 16, v6
.LBB194_5:
	s_wait_xcnt 0x0
	s_or_b32 exec_lo, exec_lo, s0
	v_mov_b32_e32 v8, 0
	s_mov_b32 s3, exec_lo
	v_cmpx_gt_i32_e64 s1, v29
	s_cbranch_execz .LBB194_7
; %bb.6:
	v_add_nc_u32_e32 v1, s2, v29
	v_add_nc_u32_e32 v29, 0x100, v29
	s_clause 0x1
	global_load_u16 v4, v1, s[6:7] scale_offset
	global_load_u16 v6, v1, s[10:11] scale_offset
	s_wait_loadcnt 0x0
	v_dual_lshlrev_b32 v1, 16, v4 :: v_dual_lshlrev_b32 v8, 16, v6
.LBB194_7:
	s_or_b32 exec_lo, exec_lo, s3
	v_dual_mov_b32 v4, 0 :: v_dual_mov_b32 v10, 0
	v_mov_b32_e32 v11, 0
	s_mov_b32 s3, exec_lo
	v_cmpx_gt_i32_e64 s1, v29
	s_cbranch_execz .LBB194_9
; %bb.8:
	v_add_nc_u32_e32 v6, s2, v29
	v_add_nc_u32_e32 v29, 0x100, v29
	s_clause 0x1
	global_load_u16 v9, v6, s[6:7] scale_offset
	global_load_u16 v11, v6, s[10:11] scale_offset
	s_wait_loadcnt 0x0
	v_dual_lshlrev_b32 v10, 16, v9 :: v_dual_lshlrev_b32 v11, 16, v11
.LBB194_9:
	s_wait_xcnt 0x0
	s_or_b32 exec_lo, exec_lo, s3
	v_mov_b32_e32 v12, 0
	s_mov_b32 s3, exec_lo
	v_cmpx_gt_i32_e64 s1, v29
	s_cbranch_execz .LBB194_11
; %bb.10:
	v_add_nc_u32_e32 v4, s2, v29
	v_add_nc_u32_e32 v29, 0x100, v29
	s_clause 0x1
	global_load_u16 v6, v4, s[6:7] scale_offset
	global_load_u16 v9, v4, s[10:11] scale_offset
	s_wait_loadcnt 0x0
	v_dual_lshlrev_b32 v4, 16, v6 :: v_dual_lshlrev_b32 v12, 16, v9
.LBB194_11:
	s_or_b32 exec_lo, exec_lo, s3
	v_dual_mov_b32 v6, 0 :: v_dual_mov_b32 v14, 0
	v_mov_b32_e32 v15, 0
	s_mov_b32 s3, exec_lo
	v_cmpx_gt_i32_e64 s1, v29
	s_cbranch_execz .LBB194_13
; %bb.12:
	v_add_nc_u32_e32 v9, s2, v29
	v_add_nc_u32_e32 v29, 0x100, v29
	s_clause 0x1
	global_load_u16 v13, v9, s[6:7] scale_offset
	global_load_u16 v15, v9, s[10:11] scale_offset
	s_wait_loadcnt 0x0
	v_dual_lshlrev_b32 v14, 16, v13 :: v_dual_lshlrev_b32 v15, 16, v15
.LBB194_13:
	s_wait_xcnt 0x0
	s_or_b32 exec_lo, exec_lo, s3
	v_mov_b32_e32 v16, 0
	s_mov_b32 s3, exec_lo
	v_cmpx_gt_i32_e64 s1, v29
	s_cbranch_execz .LBB194_15
; %bb.14:
	v_add_nc_u32_e32 v6, s2, v29
	v_add_nc_u32_e32 v29, 0x100, v29
	s_clause 0x1
	global_load_u16 v9, v6, s[6:7] scale_offset
	global_load_u16 v13, v6, s[10:11] scale_offset
	s_wait_loadcnt 0x1
	s_wait_xcnt 0x0
	v_lshlrev_b32_e32 v6, 16, v9
	s_wait_loadcnt 0x0
	v_lshlrev_b32_e32 v16, 16, v13
.LBB194_15:
	s_or_b32 exec_lo, exec_lo, s3
	v_dual_mov_b32 v9, 0 :: v_dual_mov_b32 v18, 0
	v_mov_b32_e32 v19, 0
	s_mov_b32 s3, exec_lo
	v_cmpx_gt_i32_e64 s1, v29
	s_cbranch_execz .LBB194_17
; %bb.16:
	v_add_nc_u32_e32 v13, s2, v29
	v_add_nc_u32_e32 v29, 0x100, v29
	s_clause 0x1
	global_load_u16 v17, v13, s[6:7] scale_offset
	global_load_u16 v19, v13, s[10:11] scale_offset
	s_wait_loadcnt 0x0
	v_dual_lshlrev_b32 v18, 16, v17 :: v_dual_lshlrev_b32 v19, 16, v19
.LBB194_17:
	s_wait_xcnt 0x0
	s_or_b32 exec_lo, exec_lo, s3
	v_mov_b32_e32 v20, 0
	s_mov_b32 s3, exec_lo
	v_cmpx_gt_i32_e64 s1, v29
	s_cbranch_execz .LBB194_19
; %bb.18:
	v_add_nc_u32_e32 v9, s2, v29
	v_add_nc_u32_e32 v29, 0x100, v29
	s_clause 0x1
	global_load_u16 v13, v9, s[6:7] scale_offset
	global_load_u16 v17, v9, s[10:11] scale_offset
	s_wait_loadcnt 0x1
	s_wait_xcnt 0x0
	v_lshlrev_b32_e32 v9, 16, v13
	s_wait_loadcnt 0x0
	v_lshlrev_b32_e32 v20, 16, v17
.LBB194_19:
	;; [unrolled: 33-line block ×4, first 2 shown]
	s_or_b32 exec_lo, exec_lo, s3
	v_dual_mov_b32 v21, 0 :: v_dual_mov_b32 v30, 0
	v_mov_b32_e32 v31, 0
	s_mov_b32 s3, exec_lo
	v_cmpx_gt_i32_e64 s1, v29
	s_cbranch_execz .LBB194_29
; %bb.28:
	v_add_nc_u32_e32 v25, s2, v29
	v_add_nc_u32_e32 v29, 0x100, v29
	s_clause 0x1
	global_load_u16 v30, v25, s[6:7] scale_offset
	global_load_u16 v31, v25, s[10:11] scale_offset
	s_wait_loadcnt 0x0
	v_dual_lshlrev_b32 v30, 16, v30 :: v_dual_lshlrev_b32 v31, 16, v31
.LBB194_29:
	s_wait_xcnt 0x0
	s_or_b32 exec_lo, exec_lo, s3
	v_mov_b32_e32 v32, 0
	s_mov_b32 s3, exec_lo
	v_cmpx_gt_i32_e64 s1, v29
	s_cbranch_execz .LBB194_31
; %bb.30:
	v_add_nc_u32_e32 v21, s2, v29
	v_add_nc_u32_e32 v29, 0x100, v29
	s_clause 0x1
	global_load_u16 v25, v21, s[6:7] scale_offset
	global_load_u16 v32, v21, s[10:11] scale_offset
	s_wait_loadcnt 0x0
	v_dual_lshlrev_b32 v21, 16, v25 :: v_dual_lshlrev_b32 v32, 16, v32
.LBB194_31:
	s_or_b32 exec_lo, exec_lo, s3
	v_dual_mov_b32 v25, 0 :: v_dual_mov_b32 v33, 0
	v_mov_b32_e32 v34, 0
	s_mov_b32 s3, exec_lo
	v_cmpx_gt_i32_e64 s1, v29
	s_cbranch_execz .LBB194_33
; %bb.32:
	v_add_nc_u32_e32 v33, s2, v29
	v_add_nc_u32_e32 v29, 0x100, v29
	s_clause 0x1
	global_load_u16 v34, v33, s[6:7] scale_offset
	global_load_u16 v35, v33, s[10:11] scale_offset
	s_wait_loadcnt 0x0
	v_dual_lshlrev_b32 v33, 16, v34 :: v_dual_lshlrev_b32 v34, 16, v35
.LBB194_33:
	s_or_b32 exec_lo, exec_lo, s3
	v_mov_b32_e32 v35, 0
	s_mov_b32 s3, exec_lo
	v_cmpx_gt_i32_e64 s1, v29
	s_cbranch_execz .LBB194_35
; %bb.34:
	v_add_nc_u32_e32 v25, s2, v29
	s_clause 0x1
	global_load_u16 v29, v25, s[6:7] scale_offset
	global_load_u16 v35, v25, s[10:11] scale_offset
	s_wait_loadcnt 0x0
	v_dual_lshlrev_b32 v25, 16, v29 :: v_dual_lshlrev_b32 v35, 16, v35
.LBB194_35:
	s_or_b32 exec_lo, exec_lo, s3
	s_cmp_eq_u32 s9, 0
	s_cselect_b32 s0, -1, 0
	s_and_saveexec_b32 s3, vcc_lo
	s_cbranch_execnz .LBB194_53
; %bb.36:
	s_or_b32 exec_lo, exec_lo, s3
	s_delay_alu instid0(SALU_CYCLE_1)
	s_mov_b32 s3, exec_lo
	v_cmpx_gt_i32_e64 s1, v0
	s_cbranch_execnz .LBB194_54
.LBB194_37:
	s_or_b32 exec_lo, exec_lo, s3
	s_delay_alu instid0(SALU_CYCLE_1)
	s_mov_b32 s3, exec_lo
	v_cmpx_gt_i32_e64 s1, v0
	s_cbranch_execnz .LBB194_55
.LBB194_38:
	s_or_b32 exec_lo, exec_lo, s3
	s_delay_alu instid0(SALU_CYCLE_1)
	s_mov_b32 s3, exec_lo
	v_cmpx_gt_i32_e64 s1, v0
	s_cbranch_execnz .LBB194_56
.LBB194_39:
	s_or_b32 exec_lo, exec_lo, s3
	s_delay_alu instid0(SALU_CYCLE_1)
	s_mov_b32 s3, exec_lo
	v_cmpx_gt_i32_e64 s1, v0
	s_cbranch_execnz .LBB194_57
.LBB194_40:
	s_or_b32 exec_lo, exec_lo, s3
	s_delay_alu instid0(SALU_CYCLE_1)
	s_mov_b32 s3, exec_lo
	v_cmpx_gt_i32_e64 s1, v0
	s_cbranch_execnz .LBB194_58
.LBB194_41:
	s_or_b32 exec_lo, exec_lo, s3
	s_delay_alu instid0(SALU_CYCLE_1)
	s_mov_b32 s3, exec_lo
	v_cmpx_gt_i32_e64 s1, v0
	s_cbranch_execnz .LBB194_59
.LBB194_42:
	s_or_b32 exec_lo, exec_lo, s3
	s_delay_alu instid0(SALU_CYCLE_1)
	s_mov_b32 s3, exec_lo
	v_cmpx_gt_i32_e64 s1, v0
	s_cbranch_execnz .LBB194_60
.LBB194_43:
	s_or_b32 exec_lo, exec_lo, s3
	s_delay_alu instid0(SALU_CYCLE_1)
	s_mov_b32 s3, exec_lo
	v_cmpx_gt_i32_e64 s1, v0
	s_cbranch_execnz .LBB194_61
.LBB194_44:
	s_or_b32 exec_lo, exec_lo, s3
	s_delay_alu instid0(SALU_CYCLE_1)
	s_mov_b32 s3, exec_lo
	v_cmpx_gt_i32_e64 s1, v0
	s_cbranch_execnz .LBB194_62
.LBB194_45:
	s_or_b32 exec_lo, exec_lo, s3
	s_delay_alu instid0(SALU_CYCLE_1)
	s_mov_b32 s3, exec_lo
	v_cmpx_gt_i32_e64 s1, v0
	s_cbranch_execnz .LBB194_63
.LBB194_46:
	s_or_b32 exec_lo, exec_lo, s3
	s_delay_alu instid0(SALU_CYCLE_1)
	s_mov_b32 s3, exec_lo
	v_cmpx_gt_i32_e64 s1, v0
	s_cbranch_execnz .LBB194_64
.LBB194_47:
	s_or_b32 exec_lo, exec_lo, s3
	s_delay_alu instid0(SALU_CYCLE_1)
	s_mov_b32 s3, exec_lo
	v_cmpx_gt_i32_e64 s1, v0
	s_cbranch_execnz .LBB194_65
.LBB194_48:
	s_or_b32 exec_lo, exec_lo, s3
	s_delay_alu instid0(SALU_CYCLE_1)
	s_mov_b32 s3, exec_lo
	v_cmpx_gt_i32_e64 s1, v0
	s_cbranch_execnz .LBB194_66
.LBB194_49:
	s_or_b32 exec_lo, exec_lo, s3
	s_delay_alu instid0(SALU_CYCLE_1)
	s_mov_b32 s3, exec_lo
	v_cmpx_gt_i32_e64 s1, v0
	s_cbranch_execnz .LBB194_67
.LBB194_50:
	s_or_b32 exec_lo, exec_lo, s3
	v_cmp_gt_i32_e32 vcc_lo, s1, v0
	s_and_saveexec_b32 s1, vcc_lo
	s_cbranch_execz .LBB194_52
.LBB194_51:
	v_cmp_eq_f32_e32 vcc_lo, v25, v35
	v_add_nc_u32_e32 v0, s2, v0
	v_cndmask_b32_e64 v1, 0, 1, vcc_lo
	v_cmp_neq_f32_e32 vcc_lo, v25, v35
	v_cndmask_b32_e64 v2, 0, 1, vcc_lo
	s_delay_alu instid0(VALU_DEP_1) | instskip(NEXT) | instid1(VALU_DEP_1)
	v_cndmask_b32_e64 v1, v2, v1, s0
	v_and_b32_e32 v1, 1, v1
	global_store_b8 v0, v1, s[4:5]
.LBB194_52:
	s_endpgm
.LBB194_53:
	v_cmp_eq_f32_e32 vcc_lo, v5, v7
	v_cndmask_b32_e64 v0, 0, 1, vcc_lo
	v_cmp_neq_f32_e32 vcc_lo, v5, v7
	v_cndmask_b32_e64 v5, 0, 1, vcc_lo
	s_delay_alu instid0(VALU_DEP_1) | instskip(NEXT) | instid1(VALU_DEP_1)
	v_cndmask_b32_e64 v0, v5, v0, s0
	v_dual_mov_b32 v0, v3 :: v_dual_bitop2_b32 v5, 1, v0 bitop3:0x40
	global_store_b8 v2, v5, s[4:5]
	s_wait_xcnt 0x0
	s_or_b32 exec_lo, exec_lo, s3
	s_delay_alu instid0(SALU_CYCLE_1)
	s_mov_b32 s3, exec_lo
	v_cmpx_gt_i32_e64 s1, v0
	s_cbranch_execz .LBB194_37
.LBB194_54:
	v_cmp_eq_f32_e32 vcc_lo, v1, v8
	v_cndmask_b32_e64 v2, 0, 1, vcc_lo
	v_cmp_neq_f32_e32 vcc_lo, v1, v8
	v_cndmask_b32_e64 v1, 0, 1, vcc_lo
	s_delay_alu instid0(VALU_DEP_1) | instskip(SKIP_1) | instid1(VALU_DEP_2)
	v_dual_cndmask_b32 v1, v1, v2, s0 :: v_dual_add_nc_u32 v2, s2, v0
	v_add_nc_u32_e32 v0, 0x100, v0
	v_and_b32_e32 v1, 1, v1
	global_store_b8 v2, v1, s[4:5]
	s_wait_xcnt 0x0
	s_or_b32 exec_lo, exec_lo, s3
	s_delay_alu instid0(SALU_CYCLE_1)
	s_mov_b32 s3, exec_lo
	v_cmpx_gt_i32_e64 s1, v0
	s_cbranch_execz .LBB194_38
.LBB194_55:
	v_cmp_eq_f32_e32 vcc_lo, v10, v11
	v_cndmask_b32_e64 v1, 0, 1, vcc_lo
	v_cmp_neq_f32_e32 vcc_lo, v10, v11
	v_cndmask_b32_e64 v2, 0, 1, vcc_lo
	s_delay_alu instid0(VALU_DEP_1) | instskip(SKIP_1) | instid1(VALU_DEP_2)
	v_dual_cndmask_b32 v1, v2, v1, s0 :: v_dual_add_nc_u32 v2, s2, v0
	v_add_nc_u32_e32 v0, 0x100, v0
	v_and_b32_e32 v1, 1, v1
	global_store_b8 v2, v1, s[4:5]
	s_wait_xcnt 0x0
	s_or_b32 exec_lo, exec_lo, s3
	s_delay_alu instid0(SALU_CYCLE_1)
	s_mov_b32 s3, exec_lo
	v_cmpx_gt_i32_e64 s1, v0
	s_cbranch_execz .LBB194_39
.LBB194_56:
	v_cmp_eq_f32_e32 vcc_lo, v4, v12
	v_cndmask_b32_e64 v1, 0, 1, vcc_lo
	v_cmp_neq_f32_e32 vcc_lo, v4, v12
	v_cndmask_b32_e64 v2, 0, 1, vcc_lo
	s_delay_alu instid0(VALU_DEP_1) | instskip(SKIP_1) | instid1(VALU_DEP_2)
	v_dual_cndmask_b32 v1, v2, v1, s0 :: v_dual_add_nc_u32 v2, s2, v0
	v_add_nc_u32_e32 v0, 0x100, v0
	v_and_b32_e32 v1, 1, v1
	global_store_b8 v2, v1, s[4:5]
	s_wait_xcnt 0x0
	s_or_b32 exec_lo, exec_lo, s3
	s_delay_alu instid0(SALU_CYCLE_1)
	s_mov_b32 s3, exec_lo
	v_cmpx_gt_i32_e64 s1, v0
	s_cbranch_execz .LBB194_40
.LBB194_57:
	v_cmp_eq_f32_e32 vcc_lo, v14, v15
	v_cndmask_b32_e64 v1, 0, 1, vcc_lo
	v_cmp_neq_f32_e32 vcc_lo, v14, v15
	v_cndmask_b32_e64 v2, 0, 1, vcc_lo
	s_delay_alu instid0(VALU_DEP_1) | instskip(SKIP_1) | instid1(VALU_DEP_2)
	v_dual_cndmask_b32 v1, v2, v1, s0 :: v_dual_add_nc_u32 v2, s2, v0
	v_add_nc_u32_e32 v0, 0x100, v0
	v_and_b32_e32 v1, 1, v1
	global_store_b8 v2, v1, s[4:5]
	s_wait_xcnt 0x0
	s_or_b32 exec_lo, exec_lo, s3
	s_delay_alu instid0(SALU_CYCLE_1)
	s_mov_b32 s3, exec_lo
	v_cmpx_gt_i32_e64 s1, v0
	s_cbranch_execz .LBB194_41
.LBB194_58:
	v_cmp_eq_f32_e32 vcc_lo, v6, v16
	v_cndmask_b32_e64 v1, 0, 1, vcc_lo
	v_cmp_neq_f32_e32 vcc_lo, v6, v16
	v_cndmask_b32_e64 v2, 0, 1, vcc_lo
	s_delay_alu instid0(VALU_DEP_1) | instskip(SKIP_1) | instid1(VALU_DEP_2)
	v_dual_cndmask_b32 v1, v2, v1, s0 :: v_dual_add_nc_u32 v2, s2, v0
	v_add_nc_u32_e32 v0, 0x100, v0
	v_and_b32_e32 v1, 1, v1
	global_store_b8 v2, v1, s[4:5]
	s_wait_xcnt 0x0
	s_or_b32 exec_lo, exec_lo, s3
	s_delay_alu instid0(SALU_CYCLE_1)
	s_mov_b32 s3, exec_lo
	v_cmpx_gt_i32_e64 s1, v0
	s_cbranch_execz .LBB194_42
.LBB194_59:
	v_cmp_eq_f32_e32 vcc_lo, v18, v19
	v_cndmask_b32_e64 v1, 0, 1, vcc_lo
	v_cmp_neq_f32_e32 vcc_lo, v18, v19
	v_cndmask_b32_e64 v2, 0, 1, vcc_lo
	s_delay_alu instid0(VALU_DEP_1) | instskip(SKIP_1) | instid1(VALU_DEP_2)
	v_dual_cndmask_b32 v1, v2, v1, s0 :: v_dual_add_nc_u32 v2, s2, v0
	v_add_nc_u32_e32 v0, 0x100, v0
	v_and_b32_e32 v1, 1, v1
	global_store_b8 v2, v1, s[4:5]
	s_wait_xcnt 0x0
	s_or_b32 exec_lo, exec_lo, s3
	s_delay_alu instid0(SALU_CYCLE_1)
	s_mov_b32 s3, exec_lo
	v_cmpx_gt_i32_e64 s1, v0
	s_cbranch_execz .LBB194_43
.LBB194_60:
	v_cmp_eq_f32_e32 vcc_lo, v9, v20
	v_cndmask_b32_e64 v1, 0, 1, vcc_lo
	v_cmp_neq_f32_e32 vcc_lo, v9, v20
	v_cndmask_b32_e64 v2, 0, 1, vcc_lo
	s_delay_alu instid0(VALU_DEP_1) | instskip(SKIP_1) | instid1(VALU_DEP_2)
	v_dual_cndmask_b32 v1, v2, v1, s0 :: v_dual_add_nc_u32 v2, s2, v0
	v_add_nc_u32_e32 v0, 0x100, v0
	v_and_b32_e32 v1, 1, v1
	global_store_b8 v2, v1, s[4:5]
	s_wait_xcnt 0x0
	s_or_b32 exec_lo, exec_lo, s3
	s_delay_alu instid0(SALU_CYCLE_1)
	s_mov_b32 s3, exec_lo
	v_cmpx_gt_i32_e64 s1, v0
	s_cbranch_execz .LBB194_44
.LBB194_61:
	v_cmp_eq_f32_e32 vcc_lo, v22, v23
	v_cndmask_b32_e64 v1, 0, 1, vcc_lo
	v_cmp_neq_f32_e32 vcc_lo, v22, v23
	v_cndmask_b32_e64 v2, 0, 1, vcc_lo
	s_delay_alu instid0(VALU_DEP_1) | instskip(SKIP_1) | instid1(VALU_DEP_2)
	v_dual_cndmask_b32 v1, v2, v1, s0 :: v_dual_add_nc_u32 v2, s2, v0
	v_add_nc_u32_e32 v0, 0x100, v0
	v_and_b32_e32 v1, 1, v1
	global_store_b8 v2, v1, s[4:5]
	s_wait_xcnt 0x0
	s_or_b32 exec_lo, exec_lo, s3
	s_delay_alu instid0(SALU_CYCLE_1)
	s_mov_b32 s3, exec_lo
	v_cmpx_gt_i32_e64 s1, v0
	s_cbranch_execz .LBB194_45
.LBB194_62:
	v_cmp_eq_f32_e32 vcc_lo, v13, v24
	v_cndmask_b32_e64 v1, 0, 1, vcc_lo
	v_cmp_neq_f32_e32 vcc_lo, v13, v24
	v_cndmask_b32_e64 v2, 0, 1, vcc_lo
	s_delay_alu instid0(VALU_DEP_1) | instskip(SKIP_1) | instid1(VALU_DEP_2)
	v_dual_cndmask_b32 v1, v2, v1, s0 :: v_dual_add_nc_u32 v2, s2, v0
	v_add_nc_u32_e32 v0, 0x100, v0
	v_and_b32_e32 v1, 1, v1
	global_store_b8 v2, v1, s[4:5]
	s_wait_xcnt 0x0
	s_or_b32 exec_lo, exec_lo, s3
	s_delay_alu instid0(SALU_CYCLE_1)
	s_mov_b32 s3, exec_lo
	v_cmpx_gt_i32_e64 s1, v0
	s_cbranch_execz .LBB194_46
.LBB194_63:
	v_cmp_eq_f32_e32 vcc_lo, v26, v27
	v_cndmask_b32_e64 v1, 0, 1, vcc_lo
	v_cmp_neq_f32_e32 vcc_lo, v26, v27
	v_cndmask_b32_e64 v2, 0, 1, vcc_lo
	s_delay_alu instid0(VALU_DEP_1) | instskip(SKIP_1) | instid1(VALU_DEP_2)
	v_dual_cndmask_b32 v1, v2, v1, s0 :: v_dual_add_nc_u32 v2, s2, v0
	v_add_nc_u32_e32 v0, 0x100, v0
	v_and_b32_e32 v1, 1, v1
	global_store_b8 v2, v1, s[4:5]
	s_wait_xcnt 0x0
	s_or_b32 exec_lo, exec_lo, s3
	s_delay_alu instid0(SALU_CYCLE_1)
	s_mov_b32 s3, exec_lo
	v_cmpx_gt_i32_e64 s1, v0
	s_cbranch_execz .LBB194_47
.LBB194_64:
	v_cmp_eq_f32_e32 vcc_lo, v17, v28
	v_cndmask_b32_e64 v1, 0, 1, vcc_lo
	v_cmp_neq_f32_e32 vcc_lo, v17, v28
	v_cndmask_b32_e64 v2, 0, 1, vcc_lo
	s_delay_alu instid0(VALU_DEP_1) | instskip(SKIP_1) | instid1(VALU_DEP_2)
	v_dual_cndmask_b32 v1, v2, v1, s0 :: v_dual_add_nc_u32 v2, s2, v0
	v_add_nc_u32_e32 v0, 0x100, v0
	v_and_b32_e32 v1, 1, v1
	global_store_b8 v2, v1, s[4:5]
	s_wait_xcnt 0x0
	s_or_b32 exec_lo, exec_lo, s3
	s_delay_alu instid0(SALU_CYCLE_1)
	s_mov_b32 s3, exec_lo
	v_cmpx_gt_i32_e64 s1, v0
	s_cbranch_execz .LBB194_48
.LBB194_65:
	v_cmp_eq_f32_e32 vcc_lo, v30, v31
	v_cndmask_b32_e64 v1, 0, 1, vcc_lo
	v_cmp_neq_f32_e32 vcc_lo, v30, v31
	v_cndmask_b32_e64 v2, 0, 1, vcc_lo
	s_delay_alu instid0(VALU_DEP_1) | instskip(SKIP_1) | instid1(VALU_DEP_2)
	v_dual_cndmask_b32 v1, v2, v1, s0 :: v_dual_add_nc_u32 v2, s2, v0
	v_add_nc_u32_e32 v0, 0x100, v0
	v_and_b32_e32 v1, 1, v1
	global_store_b8 v2, v1, s[4:5]
	s_wait_xcnt 0x0
	s_or_b32 exec_lo, exec_lo, s3
	s_delay_alu instid0(SALU_CYCLE_1)
	s_mov_b32 s3, exec_lo
	v_cmpx_gt_i32_e64 s1, v0
	s_cbranch_execz .LBB194_49
.LBB194_66:
	v_cmp_eq_f32_e32 vcc_lo, v21, v32
	v_cndmask_b32_e64 v1, 0, 1, vcc_lo
	v_cmp_neq_f32_e32 vcc_lo, v21, v32
	v_cndmask_b32_e64 v2, 0, 1, vcc_lo
	s_delay_alu instid0(VALU_DEP_1) | instskip(SKIP_1) | instid1(VALU_DEP_2)
	v_dual_cndmask_b32 v1, v2, v1, s0 :: v_dual_add_nc_u32 v2, s2, v0
	v_add_nc_u32_e32 v0, 0x100, v0
	v_and_b32_e32 v1, 1, v1
	global_store_b8 v2, v1, s[4:5]
	s_wait_xcnt 0x0
	s_or_b32 exec_lo, exec_lo, s3
	s_delay_alu instid0(SALU_CYCLE_1)
	s_mov_b32 s3, exec_lo
	v_cmpx_gt_i32_e64 s1, v0
	s_cbranch_execz .LBB194_50
.LBB194_67:
	v_cmp_eq_f32_e32 vcc_lo, v33, v34
	v_cndmask_b32_e64 v1, 0, 1, vcc_lo
	v_cmp_neq_f32_e32 vcc_lo, v33, v34
	v_cndmask_b32_e64 v2, 0, 1, vcc_lo
	s_delay_alu instid0(VALU_DEP_1) | instskip(SKIP_1) | instid1(VALU_DEP_2)
	v_dual_cndmask_b32 v1, v2, v1, s0 :: v_dual_add_nc_u32 v2, s2, v0
	v_add_nc_u32_e32 v0, 0x100, v0
	v_and_b32_e32 v1, 1, v1
	global_store_b8 v2, v1, s[4:5]
	s_wait_xcnt 0x0
	s_or_b32 exec_lo, exec_lo, s3
	v_cmp_gt_i32_e32 vcc_lo, s1, v0
	s_and_saveexec_b32 s1, vcc_lo
	s_cbranch_execnz .LBB194_51
	s_branch .LBB194_52
	.section	.rodata,"a",@progbits
	.p2align	6, 0x0
	.amdhsa_kernel _ZN2at6native29vectorized_elementwise_kernelILi4ENS0_13BinaryFunctorIN3c108BFloat16ES4_bNS0_12_GLOBAL__N_116CompareEqFunctorIS4_EEEESt5arrayIPcLm3EEEEviT0_T1_
		.amdhsa_group_segment_fixed_size 0
		.amdhsa_private_segment_fixed_size 0
		.amdhsa_kernarg_size 32
		.amdhsa_user_sgpr_count 2
		.amdhsa_user_sgpr_dispatch_ptr 0
		.amdhsa_user_sgpr_queue_ptr 0
		.amdhsa_user_sgpr_kernarg_segment_ptr 1
		.amdhsa_user_sgpr_dispatch_id 0
		.amdhsa_user_sgpr_kernarg_preload_length 0
		.amdhsa_user_sgpr_kernarg_preload_offset 0
		.amdhsa_user_sgpr_private_segment_size 0
		.amdhsa_wavefront_size32 1
		.amdhsa_uses_dynamic_stack 0
		.amdhsa_enable_private_segment 0
		.amdhsa_system_sgpr_workgroup_id_x 1
		.amdhsa_system_sgpr_workgroup_id_y 0
		.amdhsa_system_sgpr_workgroup_id_z 0
		.amdhsa_system_sgpr_workgroup_info 0
		.amdhsa_system_vgpr_workitem_id 0
		.amdhsa_next_free_vgpr 36
		.amdhsa_next_free_sgpr 16
		.amdhsa_named_barrier_count 0
		.amdhsa_reserve_vcc 1
		.amdhsa_float_round_mode_32 0
		.amdhsa_float_round_mode_16_64 0
		.amdhsa_float_denorm_mode_32 3
		.amdhsa_float_denorm_mode_16_64 3
		.amdhsa_fp16_overflow 0
		.amdhsa_memory_ordered 1
		.amdhsa_forward_progress 1
		.amdhsa_inst_pref_size 36
		.amdhsa_round_robin_scheduling 0
		.amdhsa_exception_fp_ieee_invalid_op 0
		.amdhsa_exception_fp_denorm_src 0
		.amdhsa_exception_fp_ieee_div_zero 0
		.amdhsa_exception_fp_ieee_overflow 0
		.amdhsa_exception_fp_ieee_underflow 0
		.amdhsa_exception_fp_ieee_inexact 0
		.amdhsa_exception_int_div_zero 0
	.end_amdhsa_kernel
	.section	.text._ZN2at6native29vectorized_elementwise_kernelILi4ENS0_13BinaryFunctorIN3c108BFloat16ES4_bNS0_12_GLOBAL__N_116CompareEqFunctorIS4_EEEESt5arrayIPcLm3EEEEviT0_T1_,"axG",@progbits,_ZN2at6native29vectorized_elementwise_kernelILi4ENS0_13BinaryFunctorIN3c108BFloat16ES4_bNS0_12_GLOBAL__N_116CompareEqFunctorIS4_EEEESt5arrayIPcLm3EEEEviT0_T1_,comdat
.Lfunc_end194:
	.size	_ZN2at6native29vectorized_elementwise_kernelILi4ENS0_13BinaryFunctorIN3c108BFloat16ES4_bNS0_12_GLOBAL__N_116CompareEqFunctorIS4_EEEESt5arrayIPcLm3EEEEviT0_T1_, .Lfunc_end194-_ZN2at6native29vectorized_elementwise_kernelILi4ENS0_13BinaryFunctorIN3c108BFloat16ES4_bNS0_12_GLOBAL__N_116CompareEqFunctorIS4_EEEESt5arrayIPcLm3EEEEviT0_T1_
                                        ; -- End function
	.set _ZN2at6native29vectorized_elementwise_kernelILi4ENS0_13BinaryFunctorIN3c108BFloat16ES4_bNS0_12_GLOBAL__N_116CompareEqFunctorIS4_EEEESt5arrayIPcLm3EEEEviT0_T1_.num_vgpr, 36
	.set _ZN2at6native29vectorized_elementwise_kernelILi4ENS0_13BinaryFunctorIN3c108BFloat16ES4_bNS0_12_GLOBAL__N_116CompareEqFunctorIS4_EEEESt5arrayIPcLm3EEEEviT0_T1_.num_agpr, 0
	.set _ZN2at6native29vectorized_elementwise_kernelILi4ENS0_13BinaryFunctorIN3c108BFloat16ES4_bNS0_12_GLOBAL__N_116CompareEqFunctorIS4_EEEESt5arrayIPcLm3EEEEviT0_T1_.numbered_sgpr, 16
	.set _ZN2at6native29vectorized_elementwise_kernelILi4ENS0_13BinaryFunctorIN3c108BFloat16ES4_bNS0_12_GLOBAL__N_116CompareEqFunctorIS4_EEEESt5arrayIPcLm3EEEEviT0_T1_.num_named_barrier, 0
	.set _ZN2at6native29vectorized_elementwise_kernelILi4ENS0_13BinaryFunctorIN3c108BFloat16ES4_bNS0_12_GLOBAL__N_116CompareEqFunctorIS4_EEEESt5arrayIPcLm3EEEEviT0_T1_.private_seg_size, 0
	.set _ZN2at6native29vectorized_elementwise_kernelILi4ENS0_13BinaryFunctorIN3c108BFloat16ES4_bNS0_12_GLOBAL__N_116CompareEqFunctorIS4_EEEESt5arrayIPcLm3EEEEviT0_T1_.uses_vcc, 1
	.set _ZN2at6native29vectorized_elementwise_kernelILi4ENS0_13BinaryFunctorIN3c108BFloat16ES4_bNS0_12_GLOBAL__N_116CompareEqFunctorIS4_EEEESt5arrayIPcLm3EEEEviT0_T1_.uses_flat_scratch, 0
	.set _ZN2at6native29vectorized_elementwise_kernelILi4ENS0_13BinaryFunctorIN3c108BFloat16ES4_bNS0_12_GLOBAL__N_116CompareEqFunctorIS4_EEEESt5arrayIPcLm3EEEEviT0_T1_.has_dyn_sized_stack, 0
	.set _ZN2at6native29vectorized_elementwise_kernelILi4ENS0_13BinaryFunctorIN3c108BFloat16ES4_bNS0_12_GLOBAL__N_116CompareEqFunctorIS4_EEEESt5arrayIPcLm3EEEEviT0_T1_.has_recursion, 0
	.set _ZN2at6native29vectorized_elementwise_kernelILi4ENS0_13BinaryFunctorIN3c108BFloat16ES4_bNS0_12_GLOBAL__N_116CompareEqFunctorIS4_EEEESt5arrayIPcLm3EEEEviT0_T1_.has_indirect_call, 0
	.section	.AMDGPU.csdata,"",@progbits
; Kernel info:
; codeLenInByte = 4552
; TotalNumSgprs: 18
; NumVgprs: 36
; ScratchSize: 0
; MemoryBound: 0
; FloatMode: 240
; IeeeMode: 1
; LDSByteSize: 0 bytes/workgroup (compile time only)
; SGPRBlocks: 0
; VGPRBlocks: 2
; NumSGPRsForWavesPerEU: 18
; NumVGPRsForWavesPerEU: 36
; NamedBarCnt: 0
; Occupancy: 16
; WaveLimiterHint : 1
; COMPUTE_PGM_RSRC2:SCRATCH_EN: 0
; COMPUTE_PGM_RSRC2:USER_SGPR: 2
; COMPUTE_PGM_RSRC2:TRAP_HANDLER: 0
; COMPUTE_PGM_RSRC2:TGID_X_EN: 1
; COMPUTE_PGM_RSRC2:TGID_Y_EN: 0
; COMPUTE_PGM_RSRC2:TGID_Z_EN: 0
; COMPUTE_PGM_RSRC2:TIDIG_COMP_CNT: 0
	.section	.text._ZN2at6native29vectorized_elementwise_kernelILi2ENS0_13BinaryFunctorIN3c108BFloat16ES4_bNS0_12_GLOBAL__N_116CompareEqFunctorIS4_EEEESt5arrayIPcLm3EEEEviT0_T1_,"axG",@progbits,_ZN2at6native29vectorized_elementwise_kernelILi2ENS0_13BinaryFunctorIN3c108BFloat16ES4_bNS0_12_GLOBAL__N_116CompareEqFunctorIS4_EEEESt5arrayIPcLm3EEEEviT0_T1_,comdat
	.globl	_ZN2at6native29vectorized_elementwise_kernelILi2ENS0_13BinaryFunctorIN3c108BFloat16ES4_bNS0_12_GLOBAL__N_116CompareEqFunctorIS4_EEEESt5arrayIPcLm3EEEEviT0_T1_ ; -- Begin function _ZN2at6native29vectorized_elementwise_kernelILi2ENS0_13BinaryFunctorIN3c108BFloat16ES4_bNS0_12_GLOBAL__N_116CompareEqFunctorIS4_EEEESt5arrayIPcLm3EEEEviT0_T1_
	.p2align	8
	.type	_ZN2at6native29vectorized_elementwise_kernelILi2ENS0_13BinaryFunctorIN3c108BFloat16ES4_bNS0_12_GLOBAL__N_116CompareEqFunctorIS4_EEEESt5arrayIPcLm3EEEEviT0_T1_,@function
_ZN2at6native29vectorized_elementwise_kernelILi2ENS0_13BinaryFunctorIN3c108BFloat16ES4_bNS0_12_GLOBAL__N_116CompareEqFunctorIS4_EEEESt5arrayIPcLm3EEEEviT0_T1_: ; @_ZN2at6native29vectorized_elementwise_kernelILi2ENS0_13BinaryFunctorIN3c108BFloat16ES4_bNS0_12_GLOBAL__N_116CompareEqFunctorIS4_EEEESt5arrayIPcLm3EEEEviT0_T1_
; %bb.0:
	s_clause 0x2
	s_load_b64 s[8:9], s[0:1], 0x0
	s_load_b128 s[4:7], s[0:1], 0x8
	s_load_b64 s[10:11], s[0:1], 0x18
	s_wait_xcnt 0x0
	s_bfe_u32 s0, ttmp6, 0x4000c
	s_and_b32 s1, ttmp6, 15
	s_add_co_i32 s0, s0, 1
	s_getreg_b32 s2, hwreg(HW_REG_IB_STS2, 6, 4)
	s_mul_i32 s0, ttmp9, s0
	s_mov_b32 s12, -1
	s_add_co_i32 s1, s1, s0
	s_cmp_eq_u32 s2, 0
	s_cselect_b32 s0, ttmp9, s1
	s_delay_alu instid0(SALU_CYCLE_1) | instskip(SKIP_2) | instid1(SALU_CYCLE_1)
	s_lshl_b32 s2, s0, 12
	s_wait_kmcnt 0x0
	s_sub_co_i32 s8, s8, s2
	s_cmp_gt_i32 s8, 0xfff
	s_cbranch_scc0 .LBB195_2
; %bb.1:
	s_ashr_i32 s3, s2, 31
	s_delay_alu instid0(SALU_CYCLE_1)
	s_lshl_b64 s[0:1], s[2:3], 1
	s_cmp_eq_u32 s9, 0
	s_add_nc_u64 s[12:13], s[10:11], s[0:1]
	s_add_nc_u64 s[0:1], s[6:7], s[0:1]
	s_clause 0xf
	global_load_b32 v1, v0, s[12:13] scale_offset
	global_load_b32 v2, v0, s[0:1] scale_offset
	global_load_b32 v3, v0, s[12:13] offset:1024 scale_offset
	global_load_b32 v4, v0, s[0:1] offset:1024 scale_offset
	;; [unrolled: 1-line block ×13, first 2 shown]
	; meta instruction
	global_load_b32 v16, v0, s[0:1] offset:7168 scale_offset
	s_wait_xcnt 0x0
	s_add_nc_u64 s[0:1], s[4:5], s[2:3]
	s_mov_b32 s12, 0
	s_wait_loadcnt 0xe
	v_dual_lshlrev_b32 v17, 16, v1 :: v_dual_lshlrev_b32 v18, 16, v2
	v_and_b32_e32 v1, 0xffff0000, v1
	v_and_b32_e32 v2, 0xffff0000, v2
	s_wait_loadcnt 0xc
	v_dual_lshlrev_b32 v19, 16, v3 :: v_dual_lshlrev_b32 v20, 16, v4
	v_cmp_eq_f32_e32 vcc_lo, v18, v17
	v_and_b32_e32 v3, 0xffff0000, v3
	v_and_b32_e32 v4, 0xffff0000, v4
	s_wait_loadcnt 0xa
	v_dual_lshlrev_b32 v21, 16, v5 :: v_dual_lshlrev_b32 v22, 16, v6
	v_cndmask_b32_e64 v33, 0, 1, vcc_lo
	v_cmp_neq_f32_e32 vcc_lo, v18, v17
	v_and_b32_e32 v5, 0xffff0000, v5
	v_and_b32_e32 v6, 0xffff0000, v6
	s_wait_loadcnt 0x8
	v_dual_lshlrev_b32 v23, 16, v7 :: v_dual_lshlrev_b32 v24, 16, v8
	v_cndmask_b32_e64 v17, 0, 1, vcc_lo
	v_cmp_eq_f32_e32 vcc_lo, v2, v1
	v_and_b32_e32 v7, 0xffff0000, v7
	v_and_b32_e32 v8, 0xffff0000, v8
	s_wait_loadcnt 0x6
	v_dual_lshlrev_b32 v25, 16, v9 :: v_dual_lshlrev_b32 v26, 16, v10
	v_cndmask_b32_e64 v18, 0, 1, vcc_lo
	v_cmp_neq_f32_e32 vcc_lo, v2, v1
	v_and_b32_e32 v9, 0xffff0000, v9
	v_and_b32_e32 v10, 0xffff0000, v10
	s_wait_loadcnt 0x4
	v_dual_lshlrev_b32 v27, 16, v11 :: v_dual_lshlrev_b32 v28, 16, v12
	v_cndmask_b32_e64 v1, 0, 1, vcc_lo
	;; [unrolled: 12-line block ×3, first 2 shown]
	v_cmp_eq_f32_e32 vcc_lo, v4, v3
	v_and_b32_e32 v15, 0xffff0000, v15
	v_and_b32_e32 v16, 0xffff0000, v16
	v_cndmask_b32_e64 v20, 0, 1, vcc_lo
	v_cmp_neq_f32_e32 vcc_lo, v4, v3
	v_cndmask_b32_e64 v3, 0, 1, vcc_lo
	v_cmp_eq_f32_e32 vcc_lo, v22, v21
	v_cndmask_b32_e64 v4, 0, 1, vcc_lo
	v_cmp_neq_f32_e32 vcc_lo, v22, v21
	v_cndmask_b32_e64 v21, 0, 1, vcc_lo
	v_cmp_eq_f32_e32 vcc_lo, v6, v5
	;; [unrolled: 4-line block ×12, first 2 shown]
	v_cndmask_b32_e64 v32, 0, 1, vcc_lo
	v_cmp_neq_f32_e32 vcc_lo, v16, v15
	v_cndmask_b32_e64 v15, 0, 1, vcc_lo
	s_cselect_b32 vcc_lo, -1, 0
	s_delay_alu instid0(SALU_CYCLE_1) | instskip(SKIP_2) | instid1(VALU_DEP_3)
	v_dual_cndmask_b32 v1, v1, v18, vcc_lo :: v_dual_cndmask_b32 v3, v3, v20, vcc_lo
	v_dual_cndmask_b32 v16, v17, v33, vcc_lo :: v_dual_cndmask_b32 v2, v19, v2, vcc_lo
	;; [unrolled: 1-line block ×3, first 2 shown]
	v_dual_cndmask_b32 v5, v5, v22, vcc_lo :: v_dual_bitop2_b32 v1, 1, v1 bitop3:0x40
	v_cndmask_b32_e32 v7, v7, v24, vcc_lo
	v_dual_cndmask_b32 v8, v25, v8, vcc_lo :: v_dual_cndmask_b32 v10, v27, v10, vcc_lo
	v_dual_cndmask_b32 v9, v9, v26, vcc_lo :: v_dual_cndmask_b32 v11, v11, v28, vcc_lo
	;; [unrolled: 1-line block ×4, first 2 shown]
	v_and_b32_e32 v3, 1, v3
	v_cmp_eq_u32_e32 vcc_lo, 1, v1
	v_and_b32_e32 v5, 1, v5
	v_and_b32_e32 v7, 1, v7
	;; [unrolled: 1-line block ×4, first 2 shown]
	v_cndmask_b32_e64 v1, 0, 0x100, vcc_lo
	v_cmp_eq_u32_e32 vcc_lo, 1, v3
	v_and_b32_e32 v13, 1, v13
	v_and_b32_e32 v15, 1, v15
	s_delay_alu instid0(VALU_DEP_4) | instskip(SKIP_2) | instid1(VALU_DEP_2)
	v_bitop3_b16 v1, v1, v16, 1 bitop3:0xf8
	v_cndmask_b32_e64 v3, 0, 0x100, vcc_lo
	v_cmp_eq_u32_e32 vcc_lo, 1, v5
	v_bitop3_b16 v2, v3, v2, 1 bitop3:0xf8
	v_cndmask_b32_e64 v5, 0, 0x100, vcc_lo
	v_cmp_eq_u32_e32 vcc_lo, 1, v7
	s_delay_alu instid0(VALU_DEP_2) | instskip(SKIP_2) | instid1(VALU_DEP_2)
	v_bitop3_b16 v3, v5, v4, 1 bitop3:0xf8
	v_cndmask_b32_e64 v7, 0, 0x100, vcc_lo
	v_cmp_eq_u32_e32 vcc_lo, 1, v9
	v_bitop3_b16 v4, v7, v6, 1 bitop3:0xf8
	v_cndmask_b32_e64 v9, 0, 0x100, vcc_lo
	v_cmp_eq_u32_e32 vcc_lo, 1, v11
	s_delay_alu instid0(VALU_DEP_2) | instskip(SKIP_2) | instid1(VALU_DEP_2)
	v_bitop3_b16 v5, v9, v8, 1 bitop3:0xf8
	v_cndmask_b32_e64 v11, 0, 0x100, vcc_lo
	v_cmp_eq_u32_e32 vcc_lo, 1, v13
	v_bitop3_b16 v6, v11, v10, 1 bitop3:0xf8
	v_cndmask_b32_e64 v13, 0, 0x100, vcc_lo
	v_cmp_eq_u32_e32 vcc_lo, 1, v15
	s_delay_alu instid0(VALU_DEP_2) | instskip(SKIP_1) | instid1(VALU_DEP_1)
	v_bitop3_b16 v7, v13, v12, 1 bitop3:0xf8
	v_cndmask_b32_e64 v15, 0, 0x100, vcc_lo
	v_bitop3_b16 v8, v15, v14, 1 bitop3:0xf8
	s_clause 0x7
	global_store_b16 v0, v1, s[0:1] scale_offset
	global_store_b16 v0, v2, s[0:1] offset:512 scale_offset
	global_store_b16 v0, v3, s[0:1] offset:1024 scale_offset
	global_store_b16 v0, v4, s[0:1] offset:1536 scale_offset
	global_store_b16 v0, v5, s[0:1] offset:2048 scale_offset
	global_store_b16 v0, v6, s[0:1] offset:2560 scale_offset
	global_store_b16 v0, v7, s[0:1] offset:3072 scale_offset
	global_store_b16 v0, v8, s[0:1] offset:3584 scale_offset
.LBB195_2:
	s_and_not1_b32 vcc_lo, exec_lo, s12
	s_cbranch_vccnz .LBB195_52
; %bb.3:
	v_cmp_gt_i32_e32 vcc_lo, s8, v0
	s_wait_xcnt 0x6
	v_dual_mov_b32 v1, 0 :: v_dual_bitop2_b32 v2, s2, v0 bitop3:0x54
	s_wait_xcnt 0x5
	v_or_b32_e32 v3, 0x100, v0
	s_wait_xcnt 0x3
	v_dual_mov_b32 v29, v0 :: v_dual_mov_b32 v5, 0
	s_wait_xcnt 0x1
	v_mov_b32_e32 v7, 0
	s_wait_xcnt 0x0
	s_and_saveexec_b32 s0, vcc_lo
	s_cbranch_execz .LBB195_5
; %bb.4:
	s_clause 0x1
	global_load_u16 v4, v2, s[6:7] scale_offset
	global_load_u16 v6, v2, s[10:11] scale_offset
	v_or_b32_e32 v29, 0x100, v0
	s_wait_loadcnt 0x0
	v_dual_lshlrev_b32 v5, 16, v4 :: v_dual_lshlrev_b32 v7, 16, v6
.LBB195_5:
	s_wait_xcnt 0x0
	s_or_b32 exec_lo, exec_lo, s0
	v_mov_b32_e32 v8, 0
	s_mov_b32 s1, exec_lo
	v_cmpx_gt_i32_e64 s8, v29
	s_cbranch_execz .LBB195_7
; %bb.6:
	v_add_nc_u32_e32 v1, s2, v29
	v_add_nc_u32_e32 v29, 0x100, v29
	s_clause 0x1
	global_load_u16 v4, v1, s[6:7] scale_offset
	global_load_u16 v6, v1, s[10:11] scale_offset
	s_wait_loadcnt 0x0
	v_dual_lshlrev_b32 v1, 16, v4 :: v_dual_lshlrev_b32 v8, 16, v6
.LBB195_7:
	s_or_b32 exec_lo, exec_lo, s1
	v_dual_mov_b32 v4, 0 :: v_dual_mov_b32 v10, 0
	v_mov_b32_e32 v11, 0
	s_mov_b32 s1, exec_lo
	v_cmpx_gt_i32_e64 s8, v29
	s_cbranch_execz .LBB195_9
; %bb.8:
	v_add_nc_u32_e32 v6, s2, v29
	v_add_nc_u32_e32 v29, 0x100, v29
	s_clause 0x1
	global_load_u16 v9, v6, s[6:7] scale_offset
	global_load_u16 v11, v6, s[10:11] scale_offset
	s_wait_loadcnt 0x0
	v_dual_lshlrev_b32 v10, 16, v9 :: v_dual_lshlrev_b32 v11, 16, v11
.LBB195_9:
	s_wait_xcnt 0x0
	s_or_b32 exec_lo, exec_lo, s1
	v_mov_b32_e32 v12, 0
	s_mov_b32 s1, exec_lo
	v_cmpx_gt_i32_e64 s8, v29
	s_cbranch_execz .LBB195_11
; %bb.10:
	v_add_nc_u32_e32 v4, s2, v29
	v_add_nc_u32_e32 v29, 0x100, v29
	s_clause 0x1
	global_load_u16 v6, v4, s[6:7] scale_offset
	global_load_u16 v9, v4, s[10:11] scale_offset
	s_wait_loadcnt 0x0
	v_dual_lshlrev_b32 v4, 16, v6 :: v_dual_lshlrev_b32 v12, 16, v9
.LBB195_11:
	s_or_b32 exec_lo, exec_lo, s1
	v_dual_mov_b32 v6, 0 :: v_dual_mov_b32 v14, 0
	v_mov_b32_e32 v15, 0
	s_mov_b32 s1, exec_lo
	v_cmpx_gt_i32_e64 s8, v29
	s_cbranch_execz .LBB195_13
; %bb.12:
	v_add_nc_u32_e32 v9, s2, v29
	v_add_nc_u32_e32 v29, 0x100, v29
	s_clause 0x1
	global_load_u16 v13, v9, s[6:7] scale_offset
	global_load_u16 v15, v9, s[10:11] scale_offset
	s_wait_loadcnt 0x0
	v_dual_lshlrev_b32 v14, 16, v13 :: v_dual_lshlrev_b32 v15, 16, v15
.LBB195_13:
	s_wait_xcnt 0x0
	s_or_b32 exec_lo, exec_lo, s1
	v_mov_b32_e32 v16, 0
	s_mov_b32 s1, exec_lo
	v_cmpx_gt_i32_e64 s8, v29
	s_cbranch_execz .LBB195_15
; %bb.14:
	v_add_nc_u32_e32 v6, s2, v29
	v_add_nc_u32_e32 v29, 0x100, v29
	s_clause 0x1
	global_load_u16 v9, v6, s[6:7] scale_offset
	global_load_u16 v13, v6, s[10:11] scale_offset
	s_wait_loadcnt 0x1
	s_wait_xcnt 0x0
	v_lshlrev_b32_e32 v6, 16, v9
	s_wait_loadcnt 0x0
	v_lshlrev_b32_e32 v16, 16, v13
.LBB195_15:
	s_or_b32 exec_lo, exec_lo, s1
	v_dual_mov_b32 v9, 0 :: v_dual_mov_b32 v18, 0
	v_mov_b32_e32 v19, 0
	s_mov_b32 s1, exec_lo
	v_cmpx_gt_i32_e64 s8, v29
	s_cbranch_execz .LBB195_17
; %bb.16:
	v_add_nc_u32_e32 v13, s2, v29
	v_add_nc_u32_e32 v29, 0x100, v29
	s_clause 0x1
	global_load_u16 v17, v13, s[6:7] scale_offset
	global_load_u16 v19, v13, s[10:11] scale_offset
	s_wait_loadcnt 0x0
	v_dual_lshlrev_b32 v18, 16, v17 :: v_dual_lshlrev_b32 v19, 16, v19
.LBB195_17:
	s_wait_xcnt 0x0
	s_or_b32 exec_lo, exec_lo, s1
	v_mov_b32_e32 v20, 0
	s_mov_b32 s1, exec_lo
	v_cmpx_gt_i32_e64 s8, v29
	s_cbranch_execz .LBB195_19
; %bb.18:
	v_add_nc_u32_e32 v9, s2, v29
	v_add_nc_u32_e32 v29, 0x100, v29
	s_clause 0x1
	global_load_u16 v13, v9, s[6:7] scale_offset
	global_load_u16 v17, v9, s[10:11] scale_offset
	s_wait_loadcnt 0x1
	s_wait_xcnt 0x0
	v_lshlrev_b32_e32 v9, 16, v13
	s_wait_loadcnt 0x0
	v_lshlrev_b32_e32 v20, 16, v17
.LBB195_19:
	;; [unrolled: 33-line block ×4, first 2 shown]
	s_or_b32 exec_lo, exec_lo, s1
	v_dual_mov_b32 v21, 0 :: v_dual_mov_b32 v30, 0
	v_mov_b32_e32 v31, 0
	s_mov_b32 s1, exec_lo
	v_cmpx_gt_i32_e64 s8, v29
	s_cbranch_execz .LBB195_29
; %bb.28:
	v_add_nc_u32_e32 v25, s2, v29
	v_add_nc_u32_e32 v29, 0x100, v29
	s_clause 0x1
	global_load_u16 v30, v25, s[6:7] scale_offset
	global_load_u16 v31, v25, s[10:11] scale_offset
	s_wait_loadcnt 0x0
	v_dual_lshlrev_b32 v30, 16, v30 :: v_dual_lshlrev_b32 v31, 16, v31
.LBB195_29:
	s_wait_xcnt 0x0
	s_or_b32 exec_lo, exec_lo, s1
	v_mov_b32_e32 v32, 0
	s_mov_b32 s1, exec_lo
	v_cmpx_gt_i32_e64 s8, v29
	s_cbranch_execz .LBB195_31
; %bb.30:
	v_add_nc_u32_e32 v21, s2, v29
	v_add_nc_u32_e32 v29, 0x100, v29
	s_clause 0x1
	global_load_u16 v25, v21, s[6:7] scale_offset
	global_load_u16 v32, v21, s[10:11] scale_offset
	s_wait_loadcnt 0x0
	v_dual_lshlrev_b32 v21, 16, v25 :: v_dual_lshlrev_b32 v32, 16, v32
.LBB195_31:
	s_or_b32 exec_lo, exec_lo, s1
	v_dual_mov_b32 v25, 0 :: v_dual_mov_b32 v33, 0
	v_mov_b32_e32 v34, 0
	s_mov_b32 s1, exec_lo
	v_cmpx_gt_i32_e64 s8, v29
	s_cbranch_execz .LBB195_33
; %bb.32:
	v_add_nc_u32_e32 v33, s2, v29
	v_add_nc_u32_e32 v29, 0x100, v29
	s_clause 0x1
	global_load_u16 v34, v33, s[6:7] scale_offset
	global_load_u16 v35, v33, s[10:11] scale_offset
	s_wait_loadcnt 0x0
	v_dual_lshlrev_b32 v33, 16, v34 :: v_dual_lshlrev_b32 v34, 16, v35
.LBB195_33:
	s_or_b32 exec_lo, exec_lo, s1
	v_mov_b32_e32 v35, 0
	s_mov_b32 s1, exec_lo
	v_cmpx_gt_i32_e64 s8, v29
	s_cbranch_execz .LBB195_35
; %bb.34:
	v_add_nc_u32_e32 v25, s2, v29
	s_clause 0x1
	global_load_u16 v29, v25, s[6:7] scale_offset
	global_load_u16 v35, v25, s[10:11] scale_offset
	s_wait_loadcnt 0x0
	v_dual_lshlrev_b32 v25, 16, v29 :: v_dual_lshlrev_b32 v35, 16, v35
.LBB195_35:
	s_or_b32 exec_lo, exec_lo, s1
	s_cmp_eq_u32 s9, 0
	s_cselect_b32 s0, -1, 0
	s_and_saveexec_b32 s1, vcc_lo
	s_cbranch_execnz .LBB195_53
; %bb.36:
	s_or_b32 exec_lo, exec_lo, s1
	s_delay_alu instid0(SALU_CYCLE_1)
	s_mov_b32 s1, exec_lo
	v_cmpx_gt_i32_e64 s8, v0
	s_cbranch_execnz .LBB195_54
.LBB195_37:
	s_or_b32 exec_lo, exec_lo, s1
	s_delay_alu instid0(SALU_CYCLE_1)
	s_mov_b32 s1, exec_lo
	v_cmpx_gt_i32_e64 s8, v0
	s_cbranch_execnz .LBB195_55
.LBB195_38:
	s_or_b32 exec_lo, exec_lo, s1
	s_delay_alu instid0(SALU_CYCLE_1)
	s_mov_b32 s1, exec_lo
	v_cmpx_gt_i32_e64 s8, v0
	s_cbranch_execnz .LBB195_56
.LBB195_39:
	s_or_b32 exec_lo, exec_lo, s1
	s_delay_alu instid0(SALU_CYCLE_1)
	s_mov_b32 s1, exec_lo
	v_cmpx_gt_i32_e64 s8, v0
	s_cbranch_execnz .LBB195_57
.LBB195_40:
	s_or_b32 exec_lo, exec_lo, s1
	s_delay_alu instid0(SALU_CYCLE_1)
	s_mov_b32 s1, exec_lo
	v_cmpx_gt_i32_e64 s8, v0
	s_cbranch_execnz .LBB195_58
.LBB195_41:
	s_or_b32 exec_lo, exec_lo, s1
	s_delay_alu instid0(SALU_CYCLE_1)
	s_mov_b32 s1, exec_lo
	v_cmpx_gt_i32_e64 s8, v0
	s_cbranch_execnz .LBB195_59
.LBB195_42:
	s_or_b32 exec_lo, exec_lo, s1
	s_delay_alu instid0(SALU_CYCLE_1)
	s_mov_b32 s1, exec_lo
	v_cmpx_gt_i32_e64 s8, v0
	s_cbranch_execnz .LBB195_60
.LBB195_43:
	s_or_b32 exec_lo, exec_lo, s1
	s_delay_alu instid0(SALU_CYCLE_1)
	s_mov_b32 s1, exec_lo
	v_cmpx_gt_i32_e64 s8, v0
	s_cbranch_execnz .LBB195_61
.LBB195_44:
	s_or_b32 exec_lo, exec_lo, s1
	s_delay_alu instid0(SALU_CYCLE_1)
	s_mov_b32 s1, exec_lo
	v_cmpx_gt_i32_e64 s8, v0
	s_cbranch_execnz .LBB195_62
.LBB195_45:
	s_or_b32 exec_lo, exec_lo, s1
	s_delay_alu instid0(SALU_CYCLE_1)
	s_mov_b32 s1, exec_lo
	v_cmpx_gt_i32_e64 s8, v0
	s_cbranch_execnz .LBB195_63
.LBB195_46:
	s_or_b32 exec_lo, exec_lo, s1
	s_delay_alu instid0(SALU_CYCLE_1)
	s_mov_b32 s1, exec_lo
	v_cmpx_gt_i32_e64 s8, v0
	s_cbranch_execnz .LBB195_64
.LBB195_47:
	s_or_b32 exec_lo, exec_lo, s1
	s_delay_alu instid0(SALU_CYCLE_1)
	s_mov_b32 s1, exec_lo
	v_cmpx_gt_i32_e64 s8, v0
	s_cbranch_execnz .LBB195_65
.LBB195_48:
	s_or_b32 exec_lo, exec_lo, s1
	s_delay_alu instid0(SALU_CYCLE_1)
	s_mov_b32 s1, exec_lo
	v_cmpx_gt_i32_e64 s8, v0
	s_cbranch_execnz .LBB195_66
.LBB195_49:
	s_or_b32 exec_lo, exec_lo, s1
	s_delay_alu instid0(SALU_CYCLE_1)
	s_mov_b32 s1, exec_lo
	v_cmpx_gt_i32_e64 s8, v0
	s_cbranch_execnz .LBB195_67
.LBB195_50:
	s_or_b32 exec_lo, exec_lo, s1
	s_delay_alu instid0(SALU_CYCLE_1)
	s_mov_b32 s1, exec_lo
	v_cmpx_gt_i32_e64 s8, v0
	s_cbranch_execz .LBB195_52
.LBB195_51:
	v_cmp_eq_f32_e32 vcc_lo, v25, v35
	v_add_nc_u32_e32 v0, s2, v0
	v_cndmask_b32_e64 v1, 0, 1, vcc_lo
	v_cmp_neq_f32_e32 vcc_lo, v25, v35
	v_cndmask_b32_e64 v2, 0, 1, vcc_lo
	s_delay_alu instid0(VALU_DEP_1) | instskip(NEXT) | instid1(VALU_DEP_1)
	v_cndmask_b32_e64 v1, v2, v1, s0
	v_and_b32_e32 v1, 1, v1
	global_store_b8 v0, v1, s[4:5]
.LBB195_52:
	s_endpgm
.LBB195_53:
	v_cmp_eq_f32_e32 vcc_lo, v5, v7
	v_cndmask_b32_e64 v0, 0, 1, vcc_lo
	v_cmp_neq_f32_e32 vcc_lo, v5, v7
	v_cndmask_b32_e64 v5, 0, 1, vcc_lo
	s_delay_alu instid0(VALU_DEP_1) | instskip(NEXT) | instid1(VALU_DEP_1)
	v_cndmask_b32_e64 v0, v5, v0, s0
	v_dual_mov_b32 v0, v3 :: v_dual_bitop2_b32 v5, 1, v0 bitop3:0x40
	global_store_b8 v2, v5, s[4:5]
	s_wait_xcnt 0x0
	s_or_b32 exec_lo, exec_lo, s1
	s_delay_alu instid0(SALU_CYCLE_1)
	s_mov_b32 s1, exec_lo
	v_cmpx_gt_i32_e64 s8, v0
	s_cbranch_execz .LBB195_37
.LBB195_54:
	v_cmp_eq_f32_e32 vcc_lo, v1, v8
	v_cndmask_b32_e64 v2, 0, 1, vcc_lo
	v_cmp_neq_f32_e32 vcc_lo, v1, v8
	v_cndmask_b32_e64 v1, 0, 1, vcc_lo
	s_delay_alu instid0(VALU_DEP_1) | instskip(SKIP_1) | instid1(VALU_DEP_2)
	v_dual_cndmask_b32 v1, v1, v2, s0 :: v_dual_add_nc_u32 v2, s2, v0
	v_add_nc_u32_e32 v0, 0x100, v0
	v_and_b32_e32 v1, 1, v1
	global_store_b8 v2, v1, s[4:5]
	s_wait_xcnt 0x0
	s_or_b32 exec_lo, exec_lo, s1
	s_delay_alu instid0(SALU_CYCLE_1)
	s_mov_b32 s1, exec_lo
	v_cmpx_gt_i32_e64 s8, v0
	s_cbranch_execz .LBB195_38
.LBB195_55:
	v_cmp_eq_f32_e32 vcc_lo, v10, v11
	v_cndmask_b32_e64 v1, 0, 1, vcc_lo
	v_cmp_neq_f32_e32 vcc_lo, v10, v11
	v_cndmask_b32_e64 v2, 0, 1, vcc_lo
	s_delay_alu instid0(VALU_DEP_1) | instskip(SKIP_1) | instid1(VALU_DEP_2)
	v_dual_cndmask_b32 v1, v2, v1, s0 :: v_dual_add_nc_u32 v2, s2, v0
	v_add_nc_u32_e32 v0, 0x100, v0
	v_and_b32_e32 v1, 1, v1
	global_store_b8 v2, v1, s[4:5]
	s_wait_xcnt 0x0
	s_or_b32 exec_lo, exec_lo, s1
	s_delay_alu instid0(SALU_CYCLE_1)
	s_mov_b32 s1, exec_lo
	v_cmpx_gt_i32_e64 s8, v0
	s_cbranch_execz .LBB195_39
.LBB195_56:
	v_cmp_eq_f32_e32 vcc_lo, v4, v12
	v_cndmask_b32_e64 v1, 0, 1, vcc_lo
	v_cmp_neq_f32_e32 vcc_lo, v4, v12
	v_cndmask_b32_e64 v2, 0, 1, vcc_lo
	s_delay_alu instid0(VALU_DEP_1) | instskip(SKIP_1) | instid1(VALU_DEP_2)
	v_dual_cndmask_b32 v1, v2, v1, s0 :: v_dual_add_nc_u32 v2, s2, v0
	v_add_nc_u32_e32 v0, 0x100, v0
	v_and_b32_e32 v1, 1, v1
	global_store_b8 v2, v1, s[4:5]
	s_wait_xcnt 0x0
	s_or_b32 exec_lo, exec_lo, s1
	s_delay_alu instid0(SALU_CYCLE_1)
	s_mov_b32 s1, exec_lo
	v_cmpx_gt_i32_e64 s8, v0
	s_cbranch_execz .LBB195_40
.LBB195_57:
	v_cmp_eq_f32_e32 vcc_lo, v14, v15
	v_cndmask_b32_e64 v1, 0, 1, vcc_lo
	v_cmp_neq_f32_e32 vcc_lo, v14, v15
	v_cndmask_b32_e64 v2, 0, 1, vcc_lo
	s_delay_alu instid0(VALU_DEP_1) | instskip(SKIP_1) | instid1(VALU_DEP_2)
	v_dual_cndmask_b32 v1, v2, v1, s0 :: v_dual_add_nc_u32 v2, s2, v0
	v_add_nc_u32_e32 v0, 0x100, v0
	v_and_b32_e32 v1, 1, v1
	global_store_b8 v2, v1, s[4:5]
	s_wait_xcnt 0x0
	s_or_b32 exec_lo, exec_lo, s1
	s_delay_alu instid0(SALU_CYCLE_1)
	s_mov_b32 s1, exec_lo
	v_cmpx_gt_i32_e64 s8, v0
	s_cbranch_execz .LBB195_41
.LBB195_58:
	v_cmp_eq_f32_e32 vcc_lo, v6, v16
	v_cndmask_b32_e64 v1, 0, 1, vcc_lo
	v_cmp_neq_f32_e32 vcc_lo, v6, v16
	v_cndmask_b32_e64 v2, 0, 1, vcc_lo
	s_delay_alu instid0(VALU_DEP_1) | instskip(SKIP_1) | instid1(VALU_DEP_2)
	v_dual_cndmask_b32 v1, v2, v1, s0 :: v_dual_add_nc_u32 v2, s2, v0
	v_add_nc_u32_e32 v0, 0x100, v0
	v_and_b32_e32 v1, 1, v1
	global_store_b8 v2, v1, s[4:5]
	s_wait_xcnt 0x0
	s_or_b32 exec_lo, exec_lo, s1
	s_delay_alu instid0(SALU_CYCLE_1)
	s_mov_b32 s1, exec_lo
	v_cmpx_gt_i32_e64 s8, v0
	s_cbranch_execz .LBB195_42
.LBB195_59:
	v_cmp_eq_f32_e32 vcc_lo, v18, v19
	v_cndmask_b32_e64 v1, 0, 1, vcc_lo
	v_cmp_neq_f32_e32 vcc_lo, v18, v19
	v_cndmask_b32_e64 v2, 0, 1, vcc_lo
	s_delay_alu instid0(VALU_DEP_1) | instskip(SKIP_1) | instid1(VALU_DEP_2)
	v_dual_cndmask_b32 v1, v2, v1, s0 :: v_dual_add_nc_u32 v2, s2, v0
	v_add_nc_u32_e32 v0, 0x100, v0
	v_and_b32_e32 v1, 1, v1
	global_store_b8 v2, v1, s[4:5]
	s_wait_xcnt 0x0
	s_or_b32 exec_lo, exec_lo, s1
	s_delay_alu instid0(SALU_CYCLE_1)
	s_mov_b32 s1, exec_lo
	v_cmpx_gt_i32_e64 s8, v0
	s_cbranch_execz .LBB195_43
.LBB195_60:
	v_cmp_eq_f32_e32 vcc_lo, v9, v20
	v_cndmask_b32_e64 v1, 0, 1, vcc_lo
	v_cmp_neq_f32_e32 vcc_lo, v9, v20
	v_cndmask_b32_e64 v2, 0, 1, vcc_lo
	s_delay_alu instid0(VALU_DEP_1) | instskip(SKIP_1) | instid1(VALU_DEP_2)
	v_dual_cndmask_b32 v1, v2, v1, s0 :: v_dual_add_nc_u32 v2, s2, v0
	v_add_nc_u32_e32 v0, 0x100, v0
	v_and_b32_e32 v1, 1, v1
	global_store_b8 v2, v1, s[4:5]
	s_wait_xcnt 0x0
	s_or_b32 exec_lo, exec_lo, s1
	s_delay_alu instid0(SALU_CYCLE_1)
	s_mov_b32 s1, exec_lo
	v_cmpx_gt_i32_e64 s8, v0
	s_cbranch_execz .LBB195_44
.LBB195_61:
	v_cmp_eq_f32_e32 vcc_lo, v22, v23
	v_cndmask_b32_e64 v1, 0, 1, vcc_lo
	v_cmp_neq_f32_e32 vcc_lo, v22, v23
	v_cndmask_b32_e64 v2, 0, 1, vcc_lo
	s_delay_alu instid0(VALU_DEP_1) | instskip(SKIP_1) | instid1(VALU_DEP_2)
	v_dual_cndmask_b32 v1, v2, v1, s0 :: v_dual_add_nc_u32 v2, s2, v0
	v_add_nc_u32_e32 v0, 0x100, v0
	v_and_b32_e32 v1, 1, v1
	global_store_b8 v2, v1, s[4:5]
	s_wait_xcnt 0x0
	s_or_b32 exec_lo, exec_lo, s1
	s_delay_alu instid0(SALU_CYCLE_1)
	s_mov_b32 s1, exec_lo
	v_cmpx_gt_i32_e64 s8, v0
	s_cbranch_execz .LBB195_45
.LBB195_62:
	v_cmp_eq_f32_e32 vcc_lo, v13, v24
	v_cndmask_b32_e64 v1, 0, 1, vcc_lo
	v_cmp_neq_f32_e32 vcc_lo, v13, v24
	v_cndmask_b32_e64 v2, 0, 1, vcc_lo
	s_delay_alu instid0(VALU_DEP_1) | instskip(SKIP_1) | instid1(VALU_DEP_2)
	v_dual_cndmask_b32 v1, v2, v1, s0 :: v_dual_add_nc_u32 v2, s2, v0
	v_add_nc_u32_e32 v0, 0x100, v0
	v_and_b32_e32 v1, 1, v1
	global_store_b8 v2, v1, s[4:5]
	s_wait_xcnt 0x0
	s_or_b32 exec_lo, exec_lo, s1
	s_delay_alu instid0(SALU_CYCLE_1)
	s_mov_b32 s1, exec_lo
	v_cmpx_gt_i32_e64 s8, v0
	s_cbranch_execz .LBB195_46
.LBB195_63:
	v_cmp_eq_f32_e32 vcc_lo, v26, v27
	v_cndmask_b32_e64 v1, 0, 1, vcc_lo
	v_cmp_neq_f32_e32 vcc_lo, v26, v27
	v_cndmask_b32_e64 v2, 0, 1, vcc_lo
	s_delay_alu instid0(VALU_DEP_1) | instskip(SKIP_1) | instid1(VALU_DEP_2)
	v_dual_cndmask_b32 v1, v2, v1, s0 :: v_dual_add_nc_u32 v2, s2, v0
	v_add_nc_u32_e32 v0, 0x100, v0
	v_and_b32_e32 v1, 1, v1
	global_store_b8 v2, v1, s[4:5]
	s_wait_xcnt 0x0
	s_or_b32 exec_lo, exec_lo, s1
	s_delay_alu instid0(SALU_CYCLE_1)
	s_mov_b32 s1, exec_lo
	v_cmpx_gt_i32_e64 s8, v0
	s_cbranch_execz .LBB195_47
.LBB195_64:
	v_cmp_eq_f32_e32 vcc_lo, v17, v28
	v_cndmask_b32_e64 v1, 0, 1, vcc_lo
	v_cmp_neq_f32_e32 vcc_lo, v17, v28
	v_cndmask_b32_e64 v2, 0, 1, vcc_lo
	s_delay_alu instid0(VALU_DEP_1) | instskip(SKIP_1) | instid1(VALU_DEP_2)
	v_dual_cndmask_b32 v1, v2, v1, s0 :: v_dual_add_nc_u32 v2, s2, v0
	v_add_nc_u32_e32 v0, 0x100, v0
	v_and_b32_e32 v1, 1, v1
	global_store_b8 v2, v1, s[4:5]
	s_wait_xcnt 0x0
	s_or_b32 exec_lo, exec_lo, s1
	s_delay_alu instid0(SALU_CYCLE_1)
	s_mov_b32 s1, exec_lo
	v_cmpx_gt_i32_e64 s8, v0
	s_cbranch_execz .LBB195_48
.LBB195_65:
	v_cmp_eq_f32_e32 vcc_lo, v30, v31
	v_cndmask_b32_e64 v1, 0, 1, vcc_lo
	v_cmp_neq_f32_e32 vcc_lo, v30, v31
	v_cndmask_b32_e64 v2, 0, 1, vcc_lo
	s_delay_alu instid0(VALU_DEP_1) | instskip(SKIP_1) | instid1(VALU_DEP_2)
	v_dual_cndmask_b32 v1, v2, v1, s0 :: v_dual_add_nc_u32 v2, s2, v0
	v_add_nc_u32_e32 v0, 0x100, v0
	v_and_b32_e32 v1, 1, v1
	global_store_b8 v2, v1, s[4:5]
	s_wait_xcnt 0x0
	s_or_b32 exec_lo, exec_lo, s1
	s_delay_alu instid0(SALU_CYCLE_1)
	s_mov_b32 s1, exec_lo
	v_cmpx_gt_i32_e64 s8, v0
	s_cbranch_execz .LBB195_49
.LBB195_66:
	v_cmp_eq_f32_e32 vcc_lo, v21, v32
	v_cndmask_b32_e64 v1, 0, 1, vcc_lo
	v_cmp_neq_f32_e32 vcc_lo, v21, v32
	v_cndmask_b32_e64 v2, 0, 1, vcc_lo
	s_delay_alu instid0(VALU_DEP_1) | instskip(SKIP_1) | instid1(VALU_DEP_2)
	v_dual_cndmask_b32 v1, v2, v1, s0 :: v_dual_add_nc_u32 v2, s2, v0
	v_add_nc_u32_e32 v0, 0x100, v0
	v_and_b32_e32 v1, 1, v1
	global_store_b8 v2, v1, s[4:5]
	s_wait_xcnt 0x0
	s_or_b32 exec_lo, exec_lo, s1
	s_delay_alu instid0(SALU_CYCLE_1)
	s_mov_b32 s1, exec_lo
	v_cmpx_gt_i32_e64 s8, v0
	s_cbranch_execz .LBB195_50
.LBB195_67:
	v_cmp_eq_f32_e32 vcc_lo, v33, v34
	v_cndmask_b32_e64 v1, 0, 1, vcc_lo
	v_cmp_neq_f32_e32 vcc_lo, v33, v34
	v_cndmask_b32_e64 v2, 0, 1, vcc_lo
	s_delay_alu instid0(VALU_DEP_1) | instskip(SKIP_1) | instid1(VALU_DEP_2)
	v_dual_cndmask_b32 v1, v2, v1, s0 :: v_dual_add_nc_u32 v2, s2, v0
	v_add_nc_u32_e32 v0, 0x100, v0
	v_and_b32_e32 v1, 1, v1
	global_store_b8 v2, v1, s[4:5]
	s_wait_xcnt 0x0
	s_or_b32 exec_lo, exec_lo, s1
	s_delay_alu instid0(SALU_CYCLE_1)
	s_mov_b32 s1, exec_lo
	v_cmpx_gt_i32_e64 s8, v0
	s_cbranch_execnz .LBB195_51
	s_branch .LBB195_52
	.section	.rodata,"a",@progbits
	.p2align	6, 0x0
	.amdhsa_kernel _ZN2at6native29vectorized_elementwise_kernelILi2ENS0_13BinaryFunctorIN3c108BFloat16ES4_bNS0_12_GLOBAL__N_116CompareEqFunctorIS4_EEEESt5arrayIPcLm3EEEEviT0_T1_
		.amdhsa_group_segment_fixed_size 0
		.amdhsa_private_segment_fixed_size 0
		.amdhsa_kernarg_size 32
		.amdhsa_user_sgpr_count 2
		.amdhsa_user_sgpr_dispatch_ptr 0
		.amdhsa_user_sgpr_queue_ptr 0
		.amdhsa_user_sgpr_kernarg_segment_ptr 1
		.amdhsa_user_sgpr_dispatch_id 0
		.amdhsa_user_sgpr_kernarg_preload_length 0
		.amdhsa_user_sgpr_kernarg_preload_offset 0
		.amdhsa_user_sgpr_private_segment_size 0
		.amdhsa_wavefront_size32 1
		.amdhsa_uses_dynamic_stack 0
		.amdhsa_enable_private_segment 0
		.amdhsa_system_sgpr_workgroup_id_x 1
		.amdhsa_system_sgpr_workgroup_id_y 0
		.amdhsa_system_sgpr_workgroup_id_z 0
		.amdhsa_system_sgpr_workgroup_info 0
		.amdhsa_system_vgpr_workitem_id 0
		.amdhsa_next_free_vgpr 36
		.amdhsa_next_free_sgpr 14
		.amdhsa_named_barrier_count 0
		.amdhsa_reserve_vcc 1
		.amdhsa_float_round_mode_32 0
		.amdhsa_float_round_mode_16_64 0
		.amdhsa_float_denorm_mode_32 3
		.amdhsa_float_denorm_mode_16_64 3
		.amdhsa_fp16_overflow 0
		.amdhsa_memory_ordered 1
		.amdhsa_forward_progress 1
		.amdhsa_inst_pref_size 37
		.amdhsa_round_robin_scheduling 0
		.amdhsa_exception_fp_ieee_invalid_op 0
		.amdhsa_exception_fp_denorm_src 0
		.amdhsa_exception_fp_ieee_div_zero 0
		.amdhsa_exception_fp_ieee_overflow 0
		.amdhsa_exception_fp_ieee_underflow 0
		.amdhsa_exception_fp_ieee_inexact 0
		.amdhsa_exception_int_div_zero 0
	.end_amdhsa_kernel
	.section	.text._ZN2at6native29vectorized_elementwise_kernelILi2ENS0_13BinaryFunctorIN3c108BFloat16ES4_bNS0_12_GLOBAL__N_116CompareEqFunctorIS4_EEEESt5arrayIPcLm3EEEEviT0_T1_,"axG",@progbits,_ZN2at6native29vectorized_elementwise_kernelILi2ENS0_13BinaryFunctorIN3c108BFloat16ES4_bNS0_12_GLOBAL__N_116CompareEqFunctorIS4_EEEESt5arrayIPcLm3EEEEviT0_T1_,comdat
.Lfunc_end195:
	.size	_ZN2at6native29vectorized_elementwise_kernelILi2ENS0_13BinaryFunctorIN3c108BFloat16ES4_bNS0_12_GLOBAL__N_116CompareEqFunctorIS4_EEEESt5arrayIPcLm3EEEEviT0_T1_, .Lfunc_end195-_ZN2at6native29vectorized_elementwise_kernelILi2ENS0_13BinaryFunctorIN3c108BFloat16ES4_bNS0_12_GLOBAL__N_116CompareEqFunctorIS4_EEEESt5arrayIPcLm3EEEEviT0_T1_
                                        ; -- End function
	.set _ZN2at6native29vectorized_elementwise_kernelILi2ENS0_13BinaryFunctorIN3c108BFloat16ES4_bNS0_12_GLOBAL__N_116CompareEqFunctorIS4_EEEESt5arrayIPcLm3EEEEviT0_T1_.num_vgpr, 36
	.set _ZN2at6native29vectorized_elementwise_kernelILi2ENS0_13BinaryFunctorIN3c108BFloat16ES4_bNS0_12_GLOBAL__N_116CompareEqFunctorIS4_EEEESt5arrayIPcLm3EEEEviT0_T1_.num_agpr, 0
	.set _ZN2at6native29vectorized_elementwise_kernelILi2ENS0_13BinaryFunctorIN3c108BFloat16ES4_bNS0_12_GLOBAL__N_116CompareEqFunctorIS4_EEEESt5arrayIPcLm3EEEEviT0_T1_.numbered_sgpr, 14
	.set _ZN2at6native29vectorized_elementwise_kernelILi2ENS0_13BinaryFunctorIN3c108BFloat16ES4_bNS0_12_GLOBAL__N_116CompareEqFunctorIS4_EEEESt5arrayIPcLm3EEEEviT0_T1_.num_named_barrier, 0
	.set _ZN2at6native29vectorized_elementwise_kernelILi2ENS0_13BinaryFunctorIN3c108BFloat16ES4_bNS0_12_GLOBAL__N_116CompareEqFunctorIS4_EEEESt5arrayIPcLm3EEEEviT0_T1_.private_seg_size, 0
	.set _ZN2at6native29vectorized_elementwise_kernelILi2ENS0_13BinaryFunctorIN3c108BFloat16ES4_bNS0_12_GLOBAL__N_116CompareEqFunctorIS4_EEEESt5arrayIPcLm3EEEEviT0_T1_.uses_vcc, 1
	.set _ZN2at6native29vectorized_elementwise_kernelILi2ENS0_13BinaryFunctorIN3c108BFloat16ES4_bNS0_12_GLOBAL__N_116CompareEqFunctorIS4_EEEESt5arrayIPcLm3EEEEviT0_T1_.uses_flat_scratch, 0
	.set _ZN2at6native29vectorized_elementwise_kernelILi2ENS0_13BinaryFunctorIN3c108BFloat16ES4_bNS0_12_GLOBAL__N_116CompareEqFunctorIS4_EEEESt5arrayIPcLm3EEEEviT0_T1_.has_dyn_sized_stack, 0
	.set _ZN2at6native29vectorized_elementwise_kernelILi2ENS0_13BinaryFunctorIN3c108BFloat16ES4_bNS0_12_GLOBAL__N_116CompareEqFunctorIS4_EEEESt5arrayIPcLm3EEEEviT0_T1_.has_recursion, 0
	.set _ZN2at6native29vectorized_elementwise_kernelILi2ENS0_13BinaryFunctorIN3c108BFloat16ES4_bNS0_12_GLOBAL__N_116CompareEqFunctorIS4_EEEESt5arrayIPcLm3EEEEviT0_T1_.has_indirect_call, 0
	.section	.AMDGPU.csdata,"",@progbits
; Kernel info:
; codeLenInByte = 4668
; TotalNumSgprs: 16
; NumVgprs: 36
; ScratchSize: 0
; MemoryBound: 0
; FloatMode: 240
; IeeeMode: 1
; LDSByteSize: 0 bytes/workgroup (compile time only)
; SGPRBlocks: 0
; VGPRBlocks: 2
; NumSGPRsForWavesPerEU: 16
; NumVGPRsForWavesPerEU: 36
; NamedBarCnt: 0
; Occupancy: 16
; WaveLimiterHint : 1
; COMPUTE_PGM_RSRC2:SCRATCH_EN: 0
; COMPUTE_PGM_RSRC2:USER_SGPR: 2
; COMPUTE_PGM_RSRC2:TRAP_HANDLER: 0
; COMPUTE_PGM_RSRC2:TGID_X_EN: 1
; COMPUTE_PGM_RSRC2:TGID_Y_EN: 0
; COMPUTE_PGM_RSRC2:TGID_Z_EN: 0
; COMPUTE_PGM_RSRC2:TIDIG_COMP_CNT: 0
	.section	.text._ZN2at6native27unrolled_elementwise_kernelINS0_13BinaryFunctorIN3c108BFloat16ES4_bNS0_12_GLOBAL__N_116CompareEqFunctorIS4_EEEESt5arrayIPcLm3EELi4E23TrivialOffsetCalculatorILi2EjESC_ILi1EjENS0_6memory15LoadWithoutCastENSF_16StoreWithoutCastEEEviT_T0_T2_T3_T4_T5_,"axG",@progbits,_ZN2at6native27unrolled_elementwise_kernelINS0_13BinaryFunctorIN3c108BFloat16ES4_bNS0_12_GLOBAL__N_116CompareEqFunctorIS4_EEEESt5arrayIPcLm3EELi4E23TrivialOffsetCalculatorILi2EjESC_ILi1EjENS0_6memory15LoadWithoutCastENSF_16StoreWithoutCastEEEviT_T0_T2_T3_T4_T5_,comdat
	.globl	_ZN2at6native27unrolled_elementwise_kernelINS0_13BinaryFunctorIN3c108BFloat16ES4_bNS0_12_GLOBAL__N_116CompareEqFunctorIS4_EEEESt5arrayIPcLm3EELi4E23TrivialOffsetCalculatorILi2EjESC_ILi1EjENS0_6memory15LoadWithoutCastENSF_16StoreWithoutCastEEEviT_T0_T2_T3_T4_T5_ ; -- Begin function _ZN2at6native27unrolled_elementwise_kernelINS0_13BinaryFunctorIN3c108BFloat16ES4_bNS0_12_GLOBAL__N_116CompareEqFunctorIS4_EEEESt5arrayIPcLm3EELi4E23TrivialOffsetCalculatorILi2EjESC_ILi1EjENS0_6memory15LoadWithoutCastENSF_16StoreWithoutCastEEEviT_T0_T2_T3_T4_T5_
	.p2align	8
	.type	_ZN2at6native27unrolled_elementwise_kernelINS0_13BinaryFunctorIN3c108BFloat16ES4_bNS0_12_GLOBAL__N_116CompareEqFunctorIS4_EEEESt5arrayIPcLm3EELi4E23TrivialOffsetCalculatorILi2EjESC_ILi1EjENS0_6memory15LoadWithoutCastENSF_16StoreWithoutCastEEEviT_T0_T2_T3_T4_T5_,@function
_ZN2at6native27unrolled_elementwise_kernelINS0_13BinaryFunctorIN3c108BFloat16ES4_bNS0_12_GLOBAL__N_116CompareEqFunctorIS4_EEEESt5arrayIPcLm3EELi4E23TrivialOffsetCalculatorILi2EjESC_ILi1EjENS0_6memory15LoadWithoutCastENSF_16StoreWithoutCastEEEviT_T0_T2_T3_T4_T5_: ; @_ZN2at6native27unrolled_elementwise_kernelINS0_13BinaryFunctorIN3c108BFloat16ES4_bNS0_12_GLOBAL__N_116CompareEqFunctorIS4_EEEESt5arrayIPcLm3EELi4E23TrivialOffsetCalculatorILi2EjESC_ILi1EjENS0_6memory15LoadWithoutCastENSF_16StoreWithoutCastEEEviT_T0_T2_T3_T4_T5_
; %bb.0:
	s_load_b64 s[2:3], s[0:1], 0x0
	s_bfe_u32 s11, ttmp6, 0x4000c
	s_clause 0x1
	s_load_b128 s[4:7], s[0:1], 0x8
	s_load_b64 s[8:9], s[0:1], 0x18
	s_add_co_i32 s11, s11, 1
	s_and_b32 s10, ttmp6, 15
	s_wait_xcnt 0x0
	s_mul_i32 s1, ttmp9, s11
	s_getreg_b32 s0, hwreg(HW_REG_IB_STS2, 6, 4)
	s_add_co_i32 s10, s10, s1
	s_cmp_eq_u32 s0, 0
	v_dual_mov_b32 v3, 0 :: v_dual_mov_b32 v4, 0
	s_cselect_b32 s0, ttmp9, s10
	v_or_b32_e32 v1, 0x100, v0
	s_lshl_b32 s10, s0, 10
	s_delay_alu instid0(SALU_CYCLE_1) | instskip(SKIP_3) | instid1(SALU_CYCLE_1)
	v_dual_mov_b32 v8, v0 :: v_dual_bitop2_b32 v2, s10, v0 bitop3:0x54
	v_mov_b32_e32 v5, 0
	s_wait_kmcnt 0x0
	s_sub_co_i32 s2, s2, s10
	v_cmp_gt_i32_e32 vcc_lo, s2, v0
	s_and_saveexec_b32 s0, vcc_lo
	s_cbranch_execz .LBB196_2
; %bb.1:
	s_clause 0x1
	global_load_u16 v4, v2, s[6:7] scale_offset
	global_load_u16 v5, v2, s[8:9] scale_offset
	v_or_b32_e32 v8, 0x100, v0
	s_wait_loadcnt 0x0
	v_dual_lshlrev_b32 v4, 16, v4 :: v_dual_lshlrev_b32 v5, 16, v5
.LBB196_2:
	s_or_b32 exec_lo, exec_lo, s0
	v_mov_b32_e32 v7, 0
	s_mov_b32 s1, exec_lo
	v_cmpx_gt_i32_e64 s2, v8
	s_cbranch_execz .LBB196_4
; %bb.3:
	v_add_nc_u32_e32 v3, s10, v8
	v_add_nc_u32_e32 v8, 0x100, v8
	s_clause 0x1
	global_load_u16 v6, v3, s[6:7] scale_offset
	global_load_u16 v7, v3, s[8:9] scale_offset
	s_wait_loadcnt 0x0
	v_dual_lshlrev_b32 v3, 16, v6 :: v_dual_lshlrev_b32 v7, 16, v7
.LBB196_4:
	s_or_b32 exec_lo, exec_lo, s1
	v_dual_mov_b32 v6, 0 :: v_dual_mov_b32 v9, 0
	v_mov_b32_e32 v10, 0
	s_mov_b32 s1, exec_lo
	v_cmpx_gt_i32_e64 s2, v8
	s_cbranch_execz .LBB196_6
; %bb.5:
	v_add_nc_u32_e32 v9, s10, v8
	v_add_nc_u32_e32 v8, 0x100, v8
	s_clause 0x1
	global_load_u16 v10, v9, s[6:7] scale_offset
	global_load_u16 v11, v9, s[8:9] scale_offset
	s_wait_loadcnt 0x0
	v_dual_lshlrev_b32 v9, 16, v10 :: v_dual_lshlrev_b32 v10, 16, v11
.LBB196_6:
	s_or_b32 exec_lo, exec_lo, s1
	v_mov_b32_e32 v11, 0
	s_mov_b32 s1, exec_lo
	v_cmpx_gt_i32_e64 s2, v8
	s_cbranch_execz .LBB196_8
; %bb.7:
	v_add_nc_u32_e32 v6, s10, v8
	s_clause 0x1
	global_load_u16 v8, v6, s[6:7] scale_offset
	global_load_u16 v11, v6, s[8:9] scale_offset
	s_wait_loadcnt 0x0
	v_dual_lshlrev_b32 v6, 16, v8 :: v_dual_lshlrev_b32 v11, 16, v11
.LBB196_8:
	s_or_b32 exec_lo, exec_lo, s1
	v_cmp_eq_f32_e64 s0, v4, v5
	v_cmp_eq_f32_e64 s1, v9, v10
	s_cmp_eq_u32 s3, 0
	v_cndmask_b32_e64 v8, 0, 1, s0
	v_cmp_neq_f32_e64 s0, v4, v5
	s_delay_alu instid0(VALU_DEP_1) | instskip(SKIP_1) | instid1(VALU_DEP_1)
	v_cndmask_b32_e64 v4, 0, 1, s0
	v_cmp_eq_f32_e64 s0, v3, v7
	v_cndmask_b32_e64 v5, 0, 1, s0
	v_cmp_neq_f32_e64 s0, v3, v7
	v_cndmask_b32_e64 v7, 0, 1, s1
	v_cmp_neq_f32_e64 s1, v9, v10
	s_delay_alu instid0(VALU_DEP_3) | instskip(SKIP_1) | instid1(SALU_CYCLE_1)
	v_cndmask_b32_e64 v3, 0, 1, s0
	s_cselect_b32 s0, -1, 0
	v_cndmask_b32_e64 v4, v4, v8, s0
	v_cndmask_b32_e64 v8, 0, 1, s1
	s_delay_alu instid0(VALU_DEP_3) | instskip(SKIP_2) | instid1(VALU_DEP_2)
	v_cndmask_b32_e64 v3, v3, v5, s0
	v_cndmask_b32_e64 v5, 0, 1, vcc_lo
	v_cmp_eq_f32_e64 s1, v6, v11
	v_dual_cndmask_b32 v5, v8, v7, s0 :: v_dual_bitop2_b32 v4, v5, v4 bitop3:0x40
	s_delay_alu instid0(VALU_DEP_2) | instskip(SKIP_1) | instid1(VALU_DEP_3)
	v_cndmask_b32_e64 v7, 0, 1, s1
	v_cmp_gt_i32_e64 s1, s2, v1
	v_and_b32_e32 v5, 1, v5
	s_delay_alu instid0(VALU_DEP_1) | instskip(NEXT) | instid1(VALU_DEP_1)
	v_dual_lshlrev_b32 v5, 16, v5 :: v_dual_bitop2_b32 v3, 1, v3 bitop3:0x40
	v_lshlrev_b16 v3, 8, v3
	s_delay_alu instid0(VALU_DEP_1) | instskip(NEXT) | instid1(VALU_DEP_1)
	v_or_b32_e32 v3, v4, v3
	v_and_b32_e32 v3, 0xffff, v3
	s_delay_alu instid0(VALU_DEP_1) | instskip(SKIP_2) | instid1(VALU_DEP_2)
	v_cndmask_b32_e64 v3, v4, v3, s1
	v_cmp_neq_f32_e64 s1, v6, v11
	v_or_b32_e32 v6, 0x200, v0
	v_cndmask_b32_e64 v4, 0, 1, s1
	s_delay_alu instid0(VALU_DEP_1) | instskip(NEXT) | instid1(VALU_DEP_3)
	v_dual_cndmask_b32 v4, v4, v7, s0 :: v_dual_bitop2_b32 v5, v3, v5 bitop3:0x54
	v_cmp_gt_i32_e64 s0, s2, v6
	s_delay_alu instid0(VALU_DEP_1) | instskip(NEXT) | instid1(VALU_DEP_1)
	v_dual_cndmask_b32 v3, v3, v5, s0 :: v_dual_bitop2_b32 v4, 1, v4 bitop3:0x40
	v_lshlrev_b16 v4, 8, v4
	s_delay_alu instid0(VALU_DEP_2) | instskip(NEXT) | instid1(VALU_DEP_1)
	v_lshrrev_b32_e32 v5, 16, v3
	v_bitop3_b16 v4, v5, v4, 0xff bitop3:0xec
	v_or_b32_e32 v5, 0x300, v0
	s_delay_alu instid0(VALU_DEP_2) | instskip(NEXT) | instid1(VALU_DEP_2)
	v_lshlrev_b32_e32 v4, 16, v4
	v_cmp_gt_i32_e64 s0, s2, v5
	s_delay_alu instid0(VALU_DEP_2) | instskip(NEXT) | instid1(VALU_DEP_1)
	v_and_or_b32 v4, 0xffff, v3, v4
	v_cndmask_b32_e64 v3, v3, v4, s0
	s_and_saveexec_b32 s0, vcc_lo
	s_cbranch_execnz .LBB196_13
; %bb.9:
	s_or_b32 exec_lo, exec_lo, s0
	s_delay_alu instid0(SALU_CYCLE_1)
	s_mov_b32 s0, exec_lo
	v_cmpx_gt_i32_e64 s2, v0
	s_cbranch_execnz .LBB196_14
.LBB196_10:
	s_or_b32 exec_lo, exec_lo, s0
	s_delay_alu instid0(SALU_CYCLE_1)
	s_mov_b32 s0, exec_lo
	v_cmpx_gt_i32_e64 s2, v0
	s_cbranch_execnz .LBB196_15
.LBB196_11:
	s_or_b32 exec_lo, exec_lo, s0
	s_delay_alu instid0(SALU_CYCLE_1)
	s_mov_b32 s0, exec_lo
	v_cmpx_gt_i32_e64 s2, v0
	s_cbranch_execnz .LBB196_16
.LBB196_12:
	s_endpgm
.LBB196_13:
	v_mov_b32_e32 v0, v1
	global_store_b8 v2, v3, s[4:5]
	s_wait_xcnt 0x0
	s_or_b32 exec_lo, exec_lo, s0
	s_delay_alu instid0(SALU_CYCLE_1)
	s_mov_b32 s0, exec_lo
	v_cmpx_gt_i32_e64 s2, v0
	s_cbranch_execz .LBB196_10
.LBB196_14:
	v_add_nc_u32_e32 v1, 0x100, v0
	v_dual_add_nc_u32 v2, s10, v0 :: v_dual_lshrrev_b32 v4, 8, v3
	s_delay_alu instid0(VALU_DEP_2) | instskip(SKIP_3) | instid1(SALU_CYCLE_1)
	v_mov_b32_e32 v0, v1
	global_store_b8 v2, v4, s[4:5]
	s_wait_xcnt 0x0
	s_or_b32 exec_lo, exec_lo, s0
	s_mov_b32 s0, exec_lo
	v_cmpx_gt_i32_e64 s2, v0
	s_cbranch_execz .LBB196_11
.LBB196_15:
	v_add_nc_u32_e32 v1, 0x100, v0
	s_delay_alu instid0(VALU_DEP_1) | instskip(SKIP_3) | instid1(SALU_CYCLE_1)
	v_dual_add_nc_u32 v2, s10, v0 :: v_dual_mov_b32 v0, v1
	global_store_d16_hi_b8 v2, v3, s[4:5]
	s_wait_xcnt 0x0
	s_or_b32 exec_lo, exec_lo, s0
	s_mov_b32 s0, exec_lo
	v_cmpx_gt_i32_e64 s2, v0
	s_cbranch_execz .LBB196_12
.LBB196_16:
	v_dual_add_nc_u32 v0, s10, v0 :: v_dual_lshrrev_b32 v1, 24, v3
	global_store_b8 v0, v1, s[4:5]
	s_endpgm
	.section	.rodata,"a",@progbits
	.p2align	6, 0x0
	.amdhsa_kernel _ZN2at6native27unrolled_elementwise_kernelINS0_13BinaryFunctorIN3c108BFloat16ES4_bNS0_12_GLOBAL__N_116CompareEqFunctorIS4_EEEESt5arrayIPcLm3EELi4E23TrivialOffsetCalculatorILi2EjESC_ILi1EjENS0_6memory15LoadWithoutCastENSF_16StoreWithoutCastEEEviT_T0_T2_T3_T4_T5_
		.amdhsa_group_segment_fixed_size 0
		.amdhsa_private_segment_fixed_size 0
		.amdhsa_kernarg_size 36
		.amdhsa_user_sgpr_count 2
		.amdhsa_user_sgpr_dispatch_ptr 0
		.amdhsa_user_sgpr_queue_ptr 0
		.amdhsa_user_sgpr_kernarg_segment_ptr 1
		.amdhsa_user_sgpr_dispatch_id 0
		.amdhsa_user_sgpr_kernarg_preload_length 0
		.amdhsa_user_sgpr_kernarg_preload_offset 0
		.amdhsa_user_sgpr_private_segment_size 0
		.amdhsa_wavefront_size32 1
		.amdhsa_uses_dynamic_stack 0
		.amdhsa_enable_private_segment 0
		.amdhsa_system_sgpr_workgroup_id_x 1
		.amdhsa_system_sgpr_workgroup_id_y 0
		.amdhsa_system_sgpr_workgroup_id_z 0
		.amdhsa_system_sgpr_workgroup_info 0
		.amdhsa_system_vgpr_workitem_id 0
		.amdhsa_next_free_vgpr 12
		.amdhsa_next_free_sgpr 12
		.amdhsa_named_barrier_count 0
		.amdhsa_reserve_vcc 1
		.amdhsa_float_round_mode_32 0
		.amdhsa_float_round_mode_16_64 0
		.amdhsa_float_denorm_mode_32 3
		.amdhsa_float_denorm_mode_16_64 3
		.amdhsa_fp16_overflow 0
		.amdhsa_memory_ordered 1
		.amdhsa_forward_progress 1
		.amdhsa_inst_pref_size 9
		.amdhsa_round_robin_scheduling 0
		.amdhsa_exception_fp_ieee_invalid_op 0
		.amdhsa_exception_fp_denorm_src 0
		.amdhsa_exception_fp_ieee_div_zero 0
		.amdhsa_exception_fp_ieee_overflow 0
		.amdhsa_exception_fp_ieee_underflow 0
		.amdhsa_exception_fp_ieee_inexact 0
		.amdhsa_exception_int_div_zero 0
	.end_amdhsa_kernel
	.section	.text._ZN2at6native27unrolled_elementwise_kernelINS0_13BinaryFunctorIN3c108BFloat16ES4_bNS0_12_GLOBAL__N_116CompareEqFunctorIS4_EEEESt5arrayIPcLm3EELi4E23TrivialOffsetCalculatorILi2EjESC_ILi1EjENS0_6memory15LoadWithoutCastENSF_16StoreWithoutCastEEEviT_T0_T2_T3_T4_T5_,"axG",@progbits,_ZN2at6native27unrolled_elementwise_kernelINS0_13BinaryFunctorIN3c108BFloat16ES4_bNS0_12_GLOBAL__N_116CompareEqFunctorIS4_EEEESt5arrayIPcLm3EELi4E23TrivialOffsetCalculatorILi2EjESC_ILi1EjENS0_6memory15LoadWithoutCastENSF_16StoreWithoutCastEEEviT_T0_T2_T3_T4_T5_,comdat
.Lfunc_end196:
	.size	_ZN2at6native27unrolled_elementwise_kernelINS0_13BinaryFunctorIN3c108BFloat16ES4_bNS0_12_GLOBAL__N_116CompareEqFunctorIS4_EEEESt5arrayIPcLm3EELi4E23TrivialOffsetCalculatorILi2EjESC_ILi1EjENS0_6memory15LoadWithoutCastENSF_16StoreWithoutCastEEEviT_T0_T2_T3_T4_T5_, .Lfunc_end196-_ZN2at6native27unrolled_elementwise_kernelINS0_13BinaryFunctorIN3c108BFloat16ES4_bNS0_12_GLOBAL__N_116CompareEqFunctorIS4_EEEESt5arrayIPcLm3EELi4E23TrivialOffsetCalculatorILi2EjESC_ILi1EjENS0_6memory15LoadWithoutCastENSF_16StoreWithoutCastEEEviT_T0_T2_T3_T4_T5_
                                        ; -- End function
	.set _ZN2at6native27unrolled_elementwise_kernelINS0_13BinaryFunctorIN3c108BFloat16ES4_bNS0_12_GLOBAL__N_116CompareEqFunctorIS4_EEEESt5arrayIPcLm3EELi4E23TrivialOffsetCalculatorILi2EjESC_ILi1EjENS0_6memory15LoadWithoutCastENSF_16StoreWithoutCastEEEviT_T0_T2_T3_T4_T5_.num_vgpr, 12
	.set _ZN2at6native27unrolled_elementwise_kernelINS0_13BinaryFunctorIN3c108BFloat16ES4_bNS0_12_GLOBAL__N_116CompareEqFunctorIS4_EEEESt5arrayIPcLm3EELi4E23TrivialOffsetCalculatorILi2EjESC_ILi1EjENS0_6memory15LoadWithoutCastENSF_16StoreWithoutCastEEEviT_T0_T2_T3_T4_T5_.num_agpr, 0
	.set _ZN2at6native27unrolled_elementwise_kernelINS0_13BinaryFunctorIN3c108BFloat16ES4_bNS0_12_GLOBAL__N_116CompareEqFunctorIS4_EEEESt5arrayIPcLm3EELi4E23TrivialOffsetCalculatorILi2EjESC_ILi1EjENS0_6memory15LoadWithoutCastENSF_16StoreWithoutCastEEEviT_T0_T2_T3_T4_T5_.numbered_sgpr, 12
	.set _ZN2at6native27unrolled_elementwise_kernelINS0_13BinaryFunctorIN3c108BFloat16ES4_bNS0_12_GLOBAL__N_116CompareEqFunctorIS4_EEEESt5arrayIPcLm3EELi4E23TrivialOffsetCalculatorILi2EjESC_ILi1EjENS0_6memory15LoadWithoutCastENSF_16StoreWithoutCastEEEviT_T0_T2_T3_T4_T5_.num_named_barrier, 0
	.set _ZN2at6native27unrolled_elementwise_kernelINS0_13BinaryFunctorIN3c108BFloat16ES4_bNS0_12_GLOBAL__N_116CompareEqFunctorIS4_EEEESt5arrayIPcLm3EELi4E23TrivialOffsetCalculatorILi2EjESC_ILi1EjENS0_6memory15LoadWithoutCastENSF_16StoreWithoutCastEEEviT_T0_T2_T3_T4_T5_.private_seg_size, 0
	.set _ZN2at6native27unrolled_elementwise_kernelINS0_13BinaryFunctorIN3c108BFloat16ES4_bNS0_12_GLOBAL__N_116CompareEqFunctorIS4_EEEESt5arrayIPcLm3EELi4E23TrivialOffsetCalculatorILi2EjESC_ILi1EjENS0_6memory15LoadWithoutCastENSF_16StoreWithoutCastEEEviT_T0_T2_T3_T4_T5_.uses_vcc, 1
	.set _ZN2at6native27unrolled_elementwise_kernelINS0_13BinaryFunctorIN3c108BFloat16ES4_bNS0_12_GLOBAL__N_116CompareEqFunctorIS4_EEEESt5arrayIPcLm3EELi4E23TrivialOffsetCalculatorILi2EjESC_ILi1EjENS0_6memory15LoadWithoutCastENSF_16StoreWithoutCastEEEviT_T0_T2_T3_T4_T5_.uses_flat_scratch, 0
	.set _ZN2at6native27unrolled_elementwise_kernelINS0_13BinaryFunctorIN3c108BFloat16ES4_bNS0_12_GLOBAL__N_116CompareEqFunctorIS4_EEEESt5arrayIPcLm3EELi4E23TrivialOffsetCalculatorILi2EjESC_ILi1EjENS0_6memory15LoadWithoutCastENSF_16StoreWithoutCastEEEviT_T0_T2_T3_T4_T5_.has_dyn_sized_stack, 0
	.set _ZN2at6native27unrolled_elementwise_kernelINS0_13BinaryFunctorIN3c108BFloat16ES4_bNS0_12_GLOBAL__N_116CompareEqFunctorIS4_EEEESt5arrayIPcLm3EELi4E23TrivialOffsetCalculatorILi2EjESC_ILi1EjENS0_6memory15LoadWithoutCastENSF_16StoreWithoutCastEEEviT_T0_T2_T3_T4_T5_.has_recursion, 0
	.set _ZN2at6native27unrolled_elementwise_kernelINS0_13BinaryFunctorIN3c108BFloat16ES4_bNS0_12_GLOBAL__N_116CompareEqFunctorIS4_EEEESt5arrayIPcLm3EELi4E23TrivialOffsetCalculatorILi2EjESC_ILi1EjENS0_6memory15LoadWithoutCastENSF_16StoreWithoutCastEEEviT_T0_T2_T3_T4_T5_.has_indirect_call, 0
	.section	.AMDGPU.csdata,"",@progbits
; Kernel info:
; codeLenInByte = 1080
; TotalNumSgprs: 14
; NumVgprs: 12
; ScratchSize: 0
; MemoryBound: 0
; FloatMode: 240
; IeeeMode: 1
; LDSByteSize: 0 bytes/workgroup (compile time only)
; SGPRBlocks: 0
; VGPRBlocks: 0
; NumSGPRsForWavesPerEU: 14
; NumVGPRsForWavesPerEU: 12
; NamedBarCnt: 0
; Occupancy: 16
; WaveLimiterHint : 0
; COMPUTE_PGM_RSRC2:SCRATCH_EN: 0
; COMPUTE_PGM_RSRC2:USER_SGPR: 2
; COMPUTE_PGM_RSRC2:TRAP_HANDLER: 0
; COMPUTE_PGM_RSRC2:TGID_X_EN: 1
; COMPUTE_PGM_RSRC2:TGID_Y_EN: 0
; COMPUTE_PGM_RSRC2:TGID_Z_EN: 0
; COMPUTE_PGM_RSRC2:TIDIG_COMP_CNT: 0
	.section	.text._ZN2at6native32elementwise_kernel_manual_unrollILi128ELi8EZNS0_22gpu_kernel_impl_nocastINS0_13BinaryFunctorIN3c108BFloat16ES5_bNS0_12_GLOBAL__N_116CompareEqFunctorIS5_EEEEEEvRNS_18TensorIteratorBaseERKT_EUlibE_EEviT1_,"axG",@progbits,_ZN2at6native32elementwise_kernel_manual_unrollILi128ELi8EZNS0_22gpu_kernel_impl_nocastINS0_13BinaryFunctorIN3c108BFloat16ES5_bNS0_12_GLOBAL__N_116CompareEqFunctorIS5_EEEEEEvRNS_18TensorIteratorBaseERKT_EUlibE_EEviT1_,comdat
	.globl	_ZN2at6native32elementwise_kernel_manual_unrollILi128ELi8EZNS0_22gpu_kernel_impl_nocastINS0_13BinaryFunctorIN3c108BFloat16ES5_bNS0_12_GLOBAL__N_116CompareEqFunctorIS5_EEEEEEvRNS_18TensorIteratorBaseERKT_EUlibE_EEviT1_ ; -- Begin function _ZN2at6native32elementwise_kernel_manual_unrollILi128ELi8EZNS0_22gpu_kernel_impl_nocastINS0_13BinaryFunctorIN3c108BFloat16ES5_bNS0_12_GLOBAL__N_116CompareEqFunctorIS5_EEEEEEvRNS_18TensorIteratorBaseERKT_EUlibE_EEviT1_
	.p2align	8
	.type	_ZN2at6native32elementwise_kernel_manual_unrollILi128ELi8EZNS0_22gpu_kernel_impl_nocastINS0_13BinaryFunctorIN3c108BFloat16ES5_bNS0_12_GLOBAL__N_116CompareEqFunctorIS5_EEEEEEvRNS_18TensorIteratorBaseERKT_EUlibE_EEviT1_,@function
_ZN2at6native32elementwise_kernel_manual_unrollILi128ELi8EZNS0_22gpu_kernel_impl_nocastINS0_13BinaryFunctorIN3c108BFloat16ES5_bNS0_12_GLOBAL__N_116CompareEqFunctorIS5_EEEEEEvRNS_18TensorIteratorBaseERKT_EUlibE_EEviT1_: ; @_ZN2at6native32elementwise_kernel_manual_unrollILi128ELi8EZNS0_22gpu_kernel_impl_nocastINS0_13BinaryFunctorIN3c108BFloat16ES5_bNS0_12_GLOBAL__N_116CompareEqFunctorIS5_EEEEEEvRNS_18TensorIteratorBaseERKT_EUlibE_EEviT1_
; %bb.0:
	s_clause 0x1
	s_load_b32 s26, s[0:1], 0x8
	s_load_b32 s33, s[0:1], 0x0
	s_bfe_u32 s2, ttmp6, 0x4000c
	s_and_b32 s3, ttmp6, 15
	s_add_co_i32 s2, s2, 1
	s_getreg_b32 s4, hwreg(HW_REG_IB_STS2, 6, 4)
	s_mul_i32 s2, ttmp9, s2
	s_add_nc_u64 s[20:21], s[0:1], 8
	s_add_co_i32 s3, s3, s2
	s_cmp_eq_u32 s4, 0
	s_wait_xcnt 0x0
	s_mov_b32 s0, exec_lo
	s_cselect_b32 s2, ttmp9, s3
	s_mov_b32 s3, 0
	v_lshl_or_b32 v0, s2, 10, v0
	s_delay_alu instid0(VALU_DEP_1) | instskip(SKIP_2) | instid1(SALU_CYCLE_1)
	v_or_b32_e32 v4, 0x380, v0
	s_wait_kmcnt 0x0
	s_add_co_i32 s27, s26, -1
	s_cmp_gt_u32 s27, 1
	s_cselect_b32 s28, -1, 0
	v_cmpx_le_i32_e64 s33, v4
	s_xor_b32 s29, exec_lo, s0
	s_cbranch_execz .LBB197_106
; %bb.1:
	s_clause 0x5
	s_load_b128 s[8:11], s[20:21], 0x4
	s_load_b64 s[0:1], s[20:21], 0x14
	s_load_b96 s[16:18], s[20:21], 0x198
	s_load_b128 s[12:15], s[20:21], 0xc4
	s_load_b64 s[22:23], s[20:21], 0xd4
	s_load_b128 s[4:7], s[20:21], 0x188
	s_cmp_lg_u32 s26, 0
	s_mov_b32 s25, s3
	s_cselect_b32 s34, -1, 0
	s_min_u32 s31, s27, 15
	s_cmp_gt_u32 s26, 1
	s_cselect_b32 s30, -1, 0
	s_wait_kmcnt 0x0
	s_mov_b32 s2, s9
	s_mov_b32 s24, s0
	s_cmp_eq_u32 s18, 0
	s_mov_b32 s9, exec_lo
	s_cselect_b32 s0, -1, 0
	v_cmpx_gt_i32_e64 s33, v0
	s_cbranch_execnz .LBB197_9
; %bb.2:
	s_or_b32 exec_lo, exec_lo, s9
	s_delay_alu instid0(SALU_CYCLE_1)
	s_mov_b32 s9, exec_lo
	v_cmpx_gt_i32_e64 s33, v0
	s_cbranch_execnz .LBB197_21
.LBB197_3:
	s_or_b32 exec_lo, exec_lo, s9
	s_delay_alu instid0(SALU_CYCLE_1)
	s_mov_b32 s9, exec_lo
	v_cmpx_gt_i32_e64 s33, v0
	s_cbranch_execnz .LBB197_33
.LBB197_4:
	s_or_b32 exec_lo, exec_lo, s9
	s_delay_alu instid0(SALU_CYCLE_1)
	s_mov_b32 s9, exec_lo
	v_cmpx_gt_i32_e64 s33, v0
	s_cbranch_execnz .LBB197_45
.LBB197_5:
	s_or_b32 exec_lo, exec_lo, s9
	s_delay_alu instid0(SALU_CYCLE_1)
	s_mov_b32 s9, exec_lo
	v_cmpx_gt_i32_e64 s33, v0
	s_cbranch_execnz .LBB197_57
.LBB197_6:
	s_or_b32 exec_lo, exec_lo, s9
	s_delay_alu instid0(SALU_CYCLE_1)
	s_mov_b32 s9, exec_lo
	v_cmpx_gt_i32_e64 s33, v0
	s_cbranch_execnz .LBB197_69
.LBB197_7:
	s_or_b32 exec_lo, exec_lo, s9
	s_delay_alu instid0(SALU_CYCLE_1)
	s_mov_b32 s9, exec_lo
	v_cmpx_gt_i32_e64 s33, v0
	s_cbranch_execnz .LBB197_81
.LBB197_8:
	s_or_b32 exec_lo, exec_lo, s9
	s_delay_alu instid0(SALU_CYCLE_1)
	s_mov_b32 s9, exec_lo
	v_cmpx_gt_i32_e64 s33, v0
	s_cbranch_execnz .LBB197_93
	s_branch .LBB197_105
.LBB197_9:
	s_and_not1_b32 vcc_lo, exec_lo, s28
	s_cbranch_vccnz .LBB197_15
; %bb.10:
	s_and_not1_b32 vcc_lo, exec_lo, s34
	s_cbranch_vccnz .LBB197_16
; %bb.11:
	v_dual_mov_b32 v4, 0 :: v_dual_mov_b32 v1, v0
	v_dual_mov_b32 v6, 0 :: v_dual_mov_b32 v5, 0
	s_add_co_i32 s35, s31, 1
	s_mov_b64 s[18:19], 0xffffffffffffffe8
	s_and_b32 s35, s35, 30
	s_add_nc_u64 s[18:19], s[20:21], s[18:19]
.LBB197_12:                             ; =>This Inner Loop Header: Depth=1
	s_clause 0x1
	s_load_b128 s[36:39], s[18:19], 0x1c
	s_load_b64 s[44:45], s[18:19], 0x2c
	s_add_co_i32 s35, s35, -2
	s_delay_alu instid0(SALU_CYCLE_1) | instskip(SKIP_2) | instid1(VALU_DEP_1)
	s_cmp_lg_u32 s35, 0
	s_wait_kmcnt 0x0
	v_mul_hi_u32 v2, s37, v1
	v_add_nc_u32_e32 v2, v1, v2
	s_delay_alu instid0(VALU_DEP_1) | instskip(NEXT) | instid1(VALU_DEP_1)
	v_lshrrev_b32_e32 v2, s38, v2
	v_mul_hi_u32 v3, s44, v2
	v_mul_lo_u32 v7, v2, s36
	s_clause 0x1
	s_load_b128 s[40:43], s[18:19], 0xdc
	s_load_b64 s[36:37], s[18:19], 0xec
	s_wait_xcnt 0x0
	s_add_nc_u64 s[18:19], s[18:19], 24
	s_delay_alu instid0(VALU_DEP_2) | instskip(NEXT) | instid1(VALU_DEP_2)
	v_add_nc_u32_e32 v3, v2, v3
	v_sub_nc_u32_e32 v7, v1, v7
	s_delay_alu instid0(VALU_DEP_2) | instskip(SKIP_1) | instid1(VALU_DEP_2)
	v_lshrrev_b32_e32 v1, s45, v3
	s_wait_kmcnt 0x0
	v_mad_u32 v4, v7, s40, v4
	s_delay_alu instid0(VALU_DEP_2) | instskip(SKIP_2) | instid1(VALU_DEP_3)
	v_mul_lo_u32 v3, v1, s39
	v_mad_u32 v5, v7, s42, v5
	v_mad_u32 v6, v7, s41, v6
	v_sub_nc_u32_e32 v2, v2, v3
	s_delay_alu instid0(VALU_DEP_1) | instskip(NEXT) | instid1(VALU_DEP_4)
	v_mad_u32 v4, v2, s43, v4
	v_mad_u32 v5, v2, s37, v5
	s_delay_alu instid0(VALU_DEP_4)
	v_mad_u32 v6, v2, s36, v6
	s_cbranch_scc1 .LBB197_12
; %bb.13:
	s_bitcmp1_b32 s31, 0
	s_cselect_b32 s35, -1, 0
	s_delay_alu instid0(SALU_CYCLE_1)
	s_and_b32 vcc_lo, exec_lo, s35
	s_cbranch_vccnz .LBB197_17
; %bb.14:
	s_clause 0x1
	s_load_b96 s[36:38], s[18:19], 0x1c
	s_load_b96 s[40:42], s[18:19], 0xdc
	s_wait_xcnt 0x0
	s_wait_kmcnt 0x0
	v_mul_hi_u32 v2, s37, v1
	s_delay_alu instid0(VALU_DEP_1) | instskip(NEXT) | instid1(VALU_DEP_1)
	v_add_nc_u32_e32 v2, v1, v2
	v_lshrrev_b32_e32 v2, s38, v2
	s_delay_alu instid0(VALU_DEP_1) | instskip(NEXT) | instid1(VALU_DEP_1)
	v_mul_lo_u32 v2, v2, s36
	v_sub_nc_u32_e32 v1, v1, v2
	s_delay_alu instid0(VALU_DEP_1)
	v_mad_u32 v4, v1, s40, v4
	v_mad_u32 v6, v1, s41, v6
	;; [unrolled: 1-line block ×3, first 2 shown]
	s_cbranch_execz .LBB197_18
	s_branch .LBB197_20
.LBB197_15:
                                        ; implicit-def: $vgpr5
                                        ; implicit-def: $vgpr6
                                        ; implicit-def: $vgpr4
	s_branch .LBB197_18
.LBB197_16:
	v_dual_mov_b32 v5, 0 :: v_dual_mov_b32 v6, 0
	v_mov_b32_e32 v4, 0
.LBB197_17:
	s_cbranch_execnz .LBB197_20
.LBB197_18:
	v_mov_b32_e32 v1, 0
	s_and_not1_b32 vcc_lo, exec_lo, s30
	s_delay_alu instid0(VALU_DEP_1) | instskip(NEXT) | instid1(VALU_DEP_1)
	v_mul_u64_e32 v[2:3], s[2:3], v[0:1]
	v_add_nc_u32_e32 v2, v0, v3
	s_delay_alu instid0(VALU_DEP_1) | instskip(NEXT) | instid1(VALU_DEP_1)
	v_lshrrev_b32_e32 v2, s10, v2
	v_mul_lo_u32 v3, v2, s8
	s_delay_alu instid0(VALU_DEP_1) | instskip(NEXT) | instid1(VALU_DEP_1)
	v_sub_nc_u32_e32 v3, v0, v3
	v_mul_lo_u32 v4, v3, s12
	v_mul_lo_u32 v5, v3, s14
	;; [unrolled: 1-line block ×3, first 2 shown]
	s_cbranch_vccnz .LBB197_20
; %bb.19:
	v_mov_b32_e32 v3, v1
	s_delay_alu instid0(VALU_DEP_1) | instskip(NEXT) | instid1(VALU_DEP_1)
	v_mul_u64_e32 v[8:9], s[24:25], v[2:3]
	v_add_nc_u32_e32 v1, v2, v9
	s_delay_alu instid0(VALU_DEP_1) | instskip(NEXT) | instid1(VALU_DEP_1)
	v_lshrrev_b32_e32 v1, s1, v1
	v_mul_lo_u32 v1, v1, s11
	s_delay_alu instid0(VALU_DEP_1) | instskip(NEXT) | instid1(VALU_DEP_1)
	v_sub_nc_u32_e32 v1, v2, v1
	v_mad_u32 v4, v1, s15, v4
	v_mad_u32 v6, v1, s22, v6
	;; [unrolled: 1-line block ×3, first 2 shown]
.LBB197_20:
	global_load_u16 v1, v5, s[16:17]
	global_load_u16 v2, v6, s[6:7]
	v_add_nc_u32_e32 v0, 0x80, v0
	s_wait_loadcnt 0x0
	v_dual_lshlrev_b32 v1, 16, v1 :: v_dual_lshlrev_b32 v2, 16, v2
	s_delay_alu instid0(VALU_DEP_1) | instskip(SKIP_3) | instid1(VALU_DEP_1)
	v_cmp_eq_f32_e32 vcc_lo, v2, v1
	v_cndmask_b32_e64 v3, 0, 1, vcc_lo
	v_cmp_neq_f32_e32 vcc_lo, v2, v1
	v_cndmask_b32_e64 v1, 0, 1, vcc_lo
	v_cndmask_b32_e64 v1, v1, v3, s0
	s_delay_alu instid0(VALU_DEP_1) | instskip(SKIP_3) | instid1(SALU_CYCLE_1)
	v_and_b32_e32 v1, 1, v1
	global_store_b8 v4, v1, s[4:5]
	s_wait_xcnt 0x0
	s_or_b32 exec_lo, exec_lo, s9
	s_mov_b32 s9, exec_lo
	v_cmpx_gt_i32_e64 s33, v0
	s_cbranch_execz .LBB197_3
.LBB197_21:
	s_and_not1_b32 vcc_lo, exec_lo, s28
	s_cbranch_vccnz .LBB197_27
; %bb.22:
	s_and_not1_b32 vcc_lo, exec_lo, s34
	s_cbranch_vccnz .LBB197_28
; %bb.23:
	v_dual_mov_b32 v4, 0 :: v_dual_mov_b32 v1, v0
	v_dual_mov_b32 v6, 0 :: v_dual_mov_b32 v5, 0
	s_add_co_i32 s35, s31, 1
	s_mov_b64 s[18:19], 0xffffffffffffffe8
	s_and_b32 s35, s35, 30
	s_add_nc_u64 s[18:19], s[20:21], s[18:19]
.LBB197_24:                             ; =>This Inner Loop Header: Depth=1
	s_clause 0x1
	s_load_b128 s[36:39], s[18:19], 0x1c
	s_load_b64 s[44:45], s[18:19], 0x2c
	s_add_co_i32 s35, s35, -2
	s_delay_alu instid0(SALU_CYCLE_1) | instskip(SKIP_2) | instid1(VALU_DEP_1)
	s_cmp_eq_u32 s35, 0
	s_wait_kmcnt 0x0
	v_mul_hi_u32 v2, s37, v1
	v_add_nc_u32_e32 v2, v1, v2
	s_delay_alu instid0(VALU_DEP_1) | instskip(NEXT) | instid1(VALU_DEP_1)
	v_lshrrev_b32_e32 v2, s38, v2
	v_mul_hi_u32 v3, s44, v2
	v_mul_lo_u32 v7, v2, s36
	s_clause 0x1
	s_load_b128 s[40:43], s[18:19], 0xdc
	s_load_b64 s[36:37], s[18:19], 0xec
	s_wait_xcnt 0x0
	s_add_nc_u64 s[18:19], s[18:19], 24
	s_delay_alu instid0(VALU_DEP_2) | instskip(NEXT) | instid1(VALU_DEP_2)
	v_add_nc_u32_e32 v3, v2, v3
	v_sub_nc_u32_e32 v7, v1, v7
	s_delay_alu instid0(VALU_DEP_2) | instskip(SKIP_1) | instid1(VALU_DEP_2)
	v_lshrrev_b32_e32 v1, s45, v3
	s_wait_kmcnt 0x0
	v_mad_u32 v4, v7, s40, v4
	s_delay_alu instid0(VALU_DEP_2) | instskip(SKIP_2) | instid1(VALU_DEP_3)
	v_mul_lo_u32 v3, v1, s39
	v_mad_u32 v5, v7, s42, v5
	v_mad_u32 v6, v7, s41, v6
	v_sub_nc_u32_e32 v2, v2, v3
	s_delay_alu instid0(VALU_DEP_1) | instskip(NEXT) | instid1(VALU_DEP_4)
	v_mad_u32 v4, v2, s43, v4
	v_mad_u32 v5, v2, s37, v5
	s_delay_alu instid0(VALU_DEP_4)
	v_mad_u32 v6, v2, s36, v6
	s_cbranch_scc0 .LBB197_24
; %bb.25:
	s_bitcmp1_b32 s31, 0
	s_cselect_b32 s35, -1, 0
	s_delay_alu instid0(SALU_CYCLE_1)
	s_and_b32 vcc_lo, exec_lo, s35
	s_cbranch_vccnz .LBB197_29
; %bb.26:
	s_clause 0x1
	s_load_b96 s[36:38], s[18:19], 0x1c
	s_load_b96 s[40:42], s[18:19], 0xdc
	s_wait_kmcnt 0x0
	v_mul_hi_u32 v2, s37, v1
	s_delay_alu instid0(VALU_DEP_1) | instskip(NEXT) | instid1(VALU_DEP_1)
	v_add_nc_u32_e32 v2, v1, v2
	v_lshrrev_b32_e32 v2, s38, v2
	s_delay_alu instid0(VALU_DEP_1) | instskip(NEXT) | instid1(VALU_DEP_1)
	v_mul_lo_u32 v2, v2, s36
	v_sub_nc_u32_e32 v1, v1, v2
	s_delay_alu instid0(VALU_DEP_1)
	v_mad_u32 v4, v1, s40, v4
	v_mad_u32 v6, v1, s41, v6
	;; [unrolled: 1-line block ×3, first 2 shown]
	s_branch .LBB197_29
.LBB197_27:
                                        ; implicit-def: $vgpr5
                                        ; implicit-def: $vgpr6
                                        ; implicit-def: $vgpr4
	s_branch .LBB197_30
.LBB197_28:
	v_dual_mov_b32 v5, 0 :: v_dual_mov_b32 v6, 0
	v_mov_b32_e32 v4, 0
.LBB197_29:
	s_cbranch_execnz .LBB197_32
.LBB197_30:
	v_mov_b32_e32 v1, 0
	s_and_not1_b32 vcc_lo, exec_lo, s30
	s_delay_alu instid0(VALU_DEP_1) | instskip(NEXT) | instid1(VALU_DEP_1)
	v_mul_u64_e32 v[2:3], s[2:3], v[0:1]
	v_add_nc_u32_e32 v2, v0, v3
	s_delay_alu instid0(VALU_DEP_1) | instskip(NEXT) | instid1(VALU_DEP_1)
	v_lshrrev_b32_e32 v2, s10, v2
	v_mul_lo_u32 v3, v2, s8
	s_delay_alu instid0(VALU_DEP_1) | instskip(NEXT) | instid1(VALU_DEP_1)
	v_sub_nc_u32_e32 v3, v0, v3
	v_mul_lo_u32 v4, v3, s12
	v_mul_lo_u32 v5, v3, s14
	;; [unrolled: 1-line block ×3, first 2 shown]
	s_cbranch_vccnz .LBB197_32
; %bb.31:
	v_mov_b32_e32 v3, v1
	s_delay_alu instid0(VALU_DEP_1) | instskip(NEXT) | instid1(VALU_DEP_1)
	v_mul_u64_e32 v[8:9], s[24:25], v[2:3]
	v_add_nc_u32_e32 v1, v2, v9
	s_delay_alu instid0(VALU_DEP_1) | instskip(NEXT) | instid1(VALU_DEP_1)
	v_lshrrev_b32_e32 v1, s1, v1
	v_mul_lo_u32 v1, v1, s11
	s_delay_alu instid0(VALU_DEP_1) | instskip(NEXT) | instid1(VALU_DEP_1)
	v_sub_nc_u32_e32 v1, v2, v1
	v_mad_u32 v4, v1, s15, v4
	v_mad_u32 v6, v1, s22, v6
	;; [unrolled: 1-line block ×3, first 2 shown]
.LBB197_32:
	global_load_u16 v1, v5, s[16:17]
	global_load_u16 v2, v6, s[6:7]
	v_add_nc_u32_e32 v0, 0x80, v0
	s_wait_loadcnt 0x0
	v_dual_lshlrev_b32 v1, 16, v1 :: v_dual_lshlrev_b32 v2, 16, v2
	s_delay_alu instid0(VALU_DEP_1) | instskip(SKIP_3) | instid1(VALU_DEP_1)
	v_cmp_eq_f32_e32 vcc_lo, v2, v1
	v_cndmask_b32_e64 v3, 0, 1, vcc_lo
	v_cmp_neq_f32_e32 vcc_lo, v2, v1
	v_cndmask_b32_e64 v1, 0, 1, vcc_lo
	v_cndmask_b32_e64 v1, v1, v3, s0
	s_delay_alu instid0(VALU_DEP_1) | instskip(SKIP_3) | instid1(SALU_CYCLE_1)
	v_and_b32_e32 v1, 1, v1
	global_store_b8 v4, v1, s[4:5]
	s_wait_xcnt 0x0
	s_or_b32 exec_lo, exec_lo, s9
	s_mov_b32 s9, exec_lo
	v_cmpx_gt_i32_e64 s33, v0
	s_cbranch_execz .LBB197_4
.LBB197_33:
	s_and_not1_b32 vcc_lo, exec_lo, s28
	s_cbranch_vccnz .LBB197_39
; %bb.34:
	s_and_not1_b32 vcc_lo, exec_lo, s34
	s_cbranch_vccnz .LBB197_40
; %bb.35:
	v_dual_mov_b32 v4, 0 :: v_dual_mov_b32 v1, v0
	v_dual_mov_b32 v6, 0 :: v_dual_mov_b32 v5, 0
	s_add_co_i32 s35, s31, 1
	s_mov_b64 s[18:19], 0xffffffffffffffe8
	s_and_b32 s35, s35, 30
	s_add_nc_u64 s[18:19], s[20:21], s[18:19]
.LBB197_36:                             ; =>This Inner Loop Header: Depth=1
	s_clause 0x1
	s_load_b128 s[36:39], s[18:19], 0x1c
	s_load_b64 s[44:45], s[18:19], 0x2c
	s_add_co_i32 s35, s35, -2
	s_delay_alu instid0(SALU_CYCLE_1) | instskip(SKIP_2) | instid1(VALU_DEP_1)
	s_cmp_eq_u32 s35, 0
	s_wait_kmcnt 0x0
	v_mul_hi_u32 v2, s37, v1
	v_add_nc_u32_e32 v2, v1, v2
	s_delay_alu instid0(VALU_DEP_1) | instskip(NEXT) | instid1(VALU_DEP_1)
	v_lshrrev_b32_e32 v2, s38, v2
	v_mul_hi_u32 v3, s44, v2
	v_mul_lo_u32 v7, v2, s36
	s_clause 0x1
	s_load_b128 s[40:43], s[18:19], 0xdc
	s_load_b64 s[36:37], s[18:19], 0xec
	s_wait_xcnt 0x0
	s_add_nc_u64 s[18:19], s[18:19], 24
	s_delay_alu instid0(VALU_DEP_2) | instskip(NEXT) | instid1(VALU_DEP_2)
	v_add_nc_u32_e32 v3, v2, v3
	v_sub_nc_u32_e32 v7, v1, v7
	s_delay_alu instid0(VALU_DEP_2) | instskip(SKIP_1) | instid1(VALU_DEP_2)
	v_lshrrev_b32_e32 v1, s45, v3
	s_wait_kmcnt 0x0
	v_mad_u32 v4, v7, s40, v4
	s_delay_alu instid0(VALU_DEP_2) | instskip(SKIP_2) | instid1(VALU_DEP_3)
	v_mul_lo_u32 v3, v1, s39
	v_mad_u32 v5, v7, s42, v5
	v_mad_u32 v6, v7, s41, v6
	v_sub_nc_u32_e32 v2, v2, v3
	s_delay_alu instid0(VALU_DEP_1) | instskip(NEXT) | instid1(VALU_DEP_4)
	v_mad_u32 v4, v2, s43, v4
	v_mad_u32 v5, v2, s37, v5
	s_delay_alu instid0(VALU_DEP_4)
	v_mad_u32 v6, v2, s36, v6
	s_cbranch_scc0 .LBB197_36
; %bb.37:
	s_bitcmp1_b32 s31, 0
	s_cselect_b32 s35, -1, 0
	s_delay_alu instid0(SALU_CYCLE_1)
	s_and_b32 vcc_lo, exec_lo, s35
	s_cbranch_vccnz .LBB197_41
; %bb.38:
	s_clause 0x1
	s_load_b96 s[36:38], s[18:19], 0x1c
	s_load_b96 s[40:42], s[18:19], 0xdc
	s_wait_kmcnt 0x0
	v_mul_hi_u32 v2, s37, v1
	s_delay_alu instid0(VALU_DEP_1) | instskip(NEXT) | instid1(VALU_DEP_1)
	v_add_nc_u32_e32 v2, v1, v2
	v_lshrrev_b32_e32 v2, s38, v2
	s_delay_alu instid0(VALU_DEP_1) | instskip(NEXT) | instid1(VALU_DEP_1)
	v_mul_lo_u32 v2, v2, s36
	v_sub_nc_u32_e32 v1, v1, v2
	s_delay_alu instid0(VALU_DEP_1)
	v_mad_u32 v4, v1, s40, v4
	v_mad_u32 v6, v1, s41, v6
	;; [unrolled: 1-line block ×3, first 2 shown]
	s_branch .LBB197_41
.LBB197_39:
                                        ; implicit-def: $vgpr5
                                        ; implicit-def: $vgpr6
                                        ; implicit-def: $vgpr4
	s_branch .LBB197_42
.LBB197_40:
	v_dual_mov_b32 v5, 0 :: v_dual_mov_b32 v6, 0
	v_mov_b32_e32 v4, 0
.LBB197_41:
	s_cbranch_execnz .LBB197_44
.LBB197_42:
	v_mov_b32_e32 v1, 0
	s_and_not1_b32 vcc_lo, exec_lo, s30
	s_delay_alu instid0(VALU_DEP_1) | instskip(NEXT) | instid1(VALU_DEP_1)
	v_mul_u64_e32 v[2:3], s[2:3], v[0:1]
	v_add_nc_u32_e32 v2, v0, v3
	s_delay_alu instid0(VALU_DEP_1) | instskip(NEXT) | instid1(VALU_DEP_1)
	v_lshrrev_b32_e32 v2, s10, v2
	v_mul_lo_u32 v3, v2, s8
	s_delay_alu instid0(VALU_DEP_1) | instskip(NEXT) | instid1(VALU_DEP_1)
	v_sub_nc_u32_e32 v3, v0, v3
	v_mul_lo_u32 v4, v3, s12
	v_mul_lo_u32 v5, v3, s14
	;; [unrolled: 1-line block ×3, first 2 shown]
	s_cbranch_vccnz .LBB197_44
; %bb.43:
	v_mov_b32_e32 v3, v1
	s_delay_alu instid0(VALU_DEP_1) | instskip(NEXT) | instid1(VALU_DEP_1)
	v_mul_u64_e32 v[8:9], s[24:25], v[2:3]
	v_add_nc_u32_e32 v1, v2, v9
	s_delay_alu instid0(VALU_DEP_1) | instskip(NEXT) | instid1(VALU_DEP_1)
	v_lshrrev_b32_e32 v1, s1, v1
	v_mul_lo_u32 v1, v1, s11
	s_delay_alu instid0(VALU_DEP_1) | instskip(NEXT) | instid1(VALU_DEP_1)
	v_sub_nc_u32_e32 v1, v2, v1
	v_mad_u32 v4, v1, s15, v4
	v_mad_u32 v6, v1, s22, v6
	;; [unrolled: 1-line block ×3, first 2 shown]
.LBB197_44:
	global_load_u16 v1, v5, s[16:17]
	global_load_u16 v2, v6, s[6:7]
	v_add_nc_u32_e32 v0, 0x80, v0
	s_wait_loadcnt 0x0
	v_dual_lshlrev_b32 v1, 16, v1 :: v_dual_lshlrev_b32 v2, 16, v2
	s_delay_alu instid0(VALU_DEP_1) | instskip(SKIP_3) | instid1(VALU_DEP_1)
	v_cmp_eq_f32_e32 vcc_lo, v2, v1
	v_cndmask_b32_e64 v3, 0, 1, vcc_lo
	v_cmp_neq_f32_e32 vcc_lo, v2, v1
	v_cndmask_b32_e64 v1, 0, 1, vcc_lo
	v_cndmask_b32_e64 v1, v1, v3, s0
	s_delay_alu instid0(VALU_DEP_1) | instskip(SKIP_3) | instid1(SALU_CYCLE_1)
	v_and_b32_e32 v1, 1, v1
	global_store_b8 v4, v1, s[4:5]
	s_wait_xcnt 0x0
	s_or_b32 exec_lo, exec_lo, s9
	s_mov_b32 s9, exec_lo
	v_cmpx_gt_i32_e64 s33, v0
	s_cbranch_execz .LBB197_5
.LBB197_45:
	s_and_not1_b32 vcc_lo, exec_lo, s28
	s_cbranch_vccnz .LBB197_51
; %bb.46:
	s_and_not1_b32 vcc_lo, exec_lo, s34
	s_cbranch_vccnz .LBB197_52
; %bb.47:
	v_dual_mov_b32 v4, 0 :: v_dual_mov_b32 v1, v0
	v_dual_mov_b32 v6, 0 :: v_dual_mov_b32 v5, 0
	s_add_co_i32 s35, s31, 1
	s_mov_b64 s[18:19], 0xffffffffffffffe8
	s_and_b32 s35, s35, 30
	s_add_nc_u64 s[18:19], s[20:21], s[18:19]
.LBB197_48:                             ; =>This Inner Loop Header: Depth=1
	s_clause 0x1
	s_load_b128 s[36:39], s[18:19], 0x1c
	s_load_b64 s[44:45], s[18:19], 0x2c
	s_add_co_i32 s35, s35, -2
	s_delay_alu instid0(SALU_CYCLE_1) | instskip(SKIP_2) | instid1(VALU_DEP_1)
	s_cmp_eq_u32 s35, 0
	s_wait_kmcnt 0x0
	v_mul_hi_u32 v2, s37, v1
	v_add_nc_u32_e32 v2, v1, v2
	s_delay_alu instid0(VALU_DEP_1) | instskip(NEXT) | instid1(VALU_DEP_1)
	v_lshrrev_b32_e32 v2, s38, v2
	v_mul_hi_u32 v3, s44, v2
	v_mul_lo_u32 v7, v2, s36
	s_clause 0x1
	s_load_b128 s[40:43], s[18:19], 0xdc
	s_load_b64 s[36:37], s[18:19], 0xec
	s_wait_xcnt 0x0
	s_add_nc_u64 s[18:19], s[18:19], 24
	s_delay_alu instid0(VALU_DEP_2) | instskip(NEXT) | instid1(VALU_DEP_2)
	v_add_nc_u32_e32 v3, v2, v3
	v_sub_nc_u32_e32 v7, v1, v7
	s_delay_alu instid0(VALU_DEP_2) | instskip(SKIP_1) | instid1(VALU_DEP_2)
	v_lshrrev_b32_e32 v1, s45, v3
	s_wait_kmcnt 0x0
	v_mad_u32 v4, v7, s40, v4
	s_delay_alu instid0(VALU_DEP_2) | instskip(SKIP_2) | instid1(VALU_DEP_3)
	v_mul_lo_u32 v3, v1, s39
	v_mad_u32 v5, v7, s42, v5
	v_mad_u32 v6, v7, s41, v6
	v_sub_nc_u32_e32 v2, v2, v3
	s_delay_alu instid0(VALU_DEP_1) | instskip(NEXT) | instid1(VALU_DEP_4)
	v_mad_u32 v4, v2, s43, v4
	v_mad_u32 v5, v2, s37, v5
	s_delay_alu instid0(VALU_DEP_4)
	v_mad_u32 v6, v2, s36, v6
	s_cbranch_scc0 .LBB197_48
; %bb.49:
	s_bitcmp1_b32 s31, 0
	s_cselect_b32 s35, -1, 0
	s_delay_alu instid0(SALU_CYCLE_1)
	s_and_b32 vcc_lo, exec_lo, s35
	s_cbranch_vccnz .LBB197_53
; %bb.50:
	s_clause 0x1
	s_load_b96 s[36:38], s[18:19], 0x1c
	s_load_b96 s[40:42], s[18:19], 0xdc
	s_wait_kmcnt 0x0
	v_mul_hi_u32 v2, s37, v1
	s_delay_alu instid0(VALU_DEP_1) | instskip(NEXT) | instid1(VALU_DEP_1)
	v_add_nc_u32_e32 v2, v1, v2
	v_lshrrev_b32_e32 v2, s38, v2
	s_delay_alu instid0(VALU_DEP_1) | instskip(NEXT) | instid1(VALU_DEP_1)
	v_mul_lo_u32 v2, v2, s36
	v_sub_nc_u32_e32 v1, v1, v2
	s_delay_alu instid0(VALU_DEP_1)
	v_mad_u32 v4, v1, s40, v4
	v_mad_u32 v6, v1, s41, v6
	;; [unrolled: 1-line block ×3, first 2 shown]
	s_branch .LBB197_53
.LBB197_51:
                                        ; implicit-def: $vgpr5
                                        ; implicit-def: $vgpr6
                                        ; implicit-def: $vgpr4
	s_branch .LBB197_54
.LBB197_52:
	v_dual_mov_b32 v5, 0 :: v_dual_mov_b32 v6, 0
	v_mov_b32_e32 v4, 0
.LBB197_53:
	s_cbranch_execnz .LBB197_56
.LBB197_54:
	v_mov_b32_e32 v1, 0
	s_and_not1_b32 vcc_lo, exec_lo, s30
	s_delay_alu instid0(VALU_DEP_1) | instskip(NEXT) | instid1(VALU_DEP_1)
	v_mul_u64_e32 v[2:3], s[2:3], v[0:1]
	v_add_nc_u32_e32 v2, v0, v3
	s_delay_alu instid0(VALU_DEP_1) | instskip(NEXT) | instid1(VALU_DEP_1)
	v_lshrrev_b32_e32 v2, s10, v2
	v_mul_lo_u32 v3, v2, s8
	s_delay_alu instid0(VALU_DEP_1) | instskip(NEXT) | instid1(VALU_DEP_1)
	v_sub_nc_u32_e32 v3, v0, v3
	v_mul_lo_u32 v4, v3, s12
	v_mul_lo_u32 v5, v3, s14
	;; [unrolled: 1-line block ×3, first 2 shown]
	s_cbranch_vccnz .LBB197_56
; %bb.55:
	v_mov_b32_e32 v3, v1
	s_delay_alu instid0(VALU_DEP_1) | instskip(NEXT) | instid1(VALU_DEP_1)
	v_mul_u64_e32 v[8:9], s[24:25], v[2:3]
	v_add_nc_u32_e32 v1, v2, v9
	s_delay_alu instid0(VALU_DEP_1) | instskip(NEXT) | instid1(VALU_DEP_1)
	v_lshrrev_b32_e32 v1, s1, v1
	v_mul_lo_u32 v1, v1, s11
	s_delay_alu instid0(VALU_DEP_1) | instskip(NEXT) | instid1(VALU_DEP_1)
	v_sub_nc_u32_e32 v1, v2, v1
	v_mad_u32 v4, v1, s15, v4
	v_mad_u32 v6, v1, s22, v6
	;; [unrolled: 1-line block ×3, first 2 shown]
.LBB197_56:
	global_load_u16 v1, v5, s[16:17]
	global_load_u16 v2, v6, s[6:7]
	v_add_nc_u32_e32 v0, 0x80, v0
	s_wait_loadcnt 0x0
	v_dual_lshlrev_b32 v1, 16, v1 :: v_dual_lshlrev_b32 v2, 16, v2
	s_delay_alu instid0(VALU_DEP_1) | instskip(SKIP_3) | instid1(VALU_DEP_1)
	v_cmp_eq_f32_e32 vcc_lo, v2, v1
	v_cndmask_b32_e64 v3, 0, 1, vcc_lo
	v_cmp_neq_f32_e32 vcc_lo, v2, v1
	v_cndmask_b32_e64 v1, 0, 1, vcc_lo
	v_cndmask_b32_e64 v1, v1, v3, s0
	s_delay_alu instid0(VALU_DEP_1) | instskip(SKIP_3) | instid1(SALU_CYCLE_1)
	v_and_b32_e32 v1, 1, v1
	global_store_b8 v4, v1, s[4:5]
	s_wait_xcnt 0x0
	s_or_b32 exec_lo, exec_lo, s9
	s_mov_b32 s9, exec_lo
	v_cmpx_gt_i32_e64 s33, v0
	s_cbranch_execz .LBB197_6
.LBB197_57:
	s_and_not1_b32 vcc_lo, exec_lo, s28
	s_cbranch_vccnz .LBB197_63
; %bb.58:
	s_and_not1_b32 vcc_lo, exec_lo, s34
	s_cbranch_vccnz .LBB197_64
; %bb.59:
	v_dual_mov_b32 v4, 0 :: v_dual_mov_b32 v1, v0
	v_dual_mov_b32 v6, 0 :: v_dual_mov_b32 v5, 0
	s_add_co_i32 s35, s31, 1
	s_mov_b64 s[18:19], 0xffffffffffffffe8
	s_and_b32 s35, s35, 30
	s_add_nc_u64 s[18:19], s[20:21], s[18:19]
.LBB197_60:                             ; =>This Inner Loop Header: Depth=1
	s_clause 0x1
	s_load_b128 s[36:39], s[18:19], 0x1c
	s_load_b64 s[44:45], s[18:19], 0x2c
	s_add_co_i32 s35, s35, -2
	s_delay_alu instid0(SALU_CYCLE_1) | instskip(SKIP_2) | instid1(VALU_DEP_1)
	s_cmp_eq_u32 s35, 0
	s_wait_kmcnt 0x0
	v_mul_hi_u32 v2, s37, v1
	v_add_nc_u32_e32 v2, v1, v2
	s_delay_alu instid0(VALU_DEP_1) | instskip(NEXT) | instid1(VALU_DEP_1)
	v_lshrrev_b32_e32 v2, s38, v2
	v_mul_hi_u32 v3, s44, v2
	v_mul_lo_u32 v7, v2, s36
	s_clause 0x1
	s_load_b128 s[40:43], s[18:19], 0xdc
	s_load_b64 s[36:37], s[18:19], 0xec
	s_wait_xcnt 0x0
	s_add_nc_u64 s[18:19], s[18:19], 24
	s_delay_alu instid0(VALU_DEP_2) | instskip(NEXT) | instid1(VALU_DEP_2)
	v_add_nc_u32_e32 v3, v2, v3
	v_sub_nc_u32_e32 v7, v1, v7
	s_delay_alu instid0(VALU_DEP_2) | instskip(SKIP_1) | instid1(VALU_DEP_2)
	v_lshrrev_b32_e32 v1, s45, v3
	s_wait_kmcnt 0x0
	v_mad_u32 v4, v7, s40, v4
	s_delay_alu instid0(VALU_DEP_2) | instskip(SKIP_2) | instid1(VALU_DEP_3)
	v_mul_lo_u32 v3, v1, s39
	v_mad_u32 v5, v7, s42, v5
	v_mad_u32 v6, v7, s41, v6
	v_sub_nc_u32_e32 v2, v2, v3
	s_delay_alu instid0(VALU_DEP_1) | instskip(NEXT) | instid1(VALU_DEP_4)
	v_mad_u32 v4, v2, s43, v4
	v_mad_u32 v5, v2, s37, v5
	s_delay_alu instid0(VALU_DEP_4)
	v_mad_u32 v6, v2, s36, v6
	s_cbranch_scc0 .LBB197_60
; %bb.61:
	s_bitcmp1_b32 s31, 0
	s_cselect_b32 s35, -1, 0
	s_delay_alu instid0(SALU_CYCLE_1)
	s_and_b32 vcc_lo, exec_lo, s35
	s_cbranch_vccnz .LBB197_65
; %bb.62:
	s_clause 0x1
	s_load_b96 s[36:38], s[18:19], 0x1c
	s_load_b96 s[40:42], s[18:19], 0xdc
	s_wait_kmcnt 0x0
	v_mul_hi_u32 v2, s37, v1
	s_delay_alu instid0(VALU_DEP_1) | instskip(NEXT) | instid1(VALU_DEP_1)
	v_add_nc_u32_e32 v2, v1, v2
	v_lshrrev_b32_e32 v2, s38, v2
	s_delay_alu instid0(VALU_DEP_1) | instskip(NEXT) | instid1(VALU_DEP_1)
	v_mul_lo_u32 v2, v2, s36
	v_sub_nc_u32_e32 v1, v1, v2
	s_delay_alu instid0(VALU_DEP_1)
	v_mad_u32 v4, v1, s40, v4
	v_mad_u32 v6, v1, s41, v6
	v_mad_u32 v5, v1, s42, v5
	s_branch .LBB197_65
.LBB197_63:
                                        ; implicit-def: $vgpr5
                                        ; implicit-def: $vgpr6
                                        ; implicit-def: $vgpr4
	s_branch .LBB197_66
.LBB197_64:
	v_dual_mov_b32 v5, 0 :: v_dual_mov_b32 v6, 0
	v_mov_b32_e32 v4, 0
.LBB197_65:
	s_cbranch_execnz .LBB197_68
.LBB197_66:
	v_mov_b32_e32 v1, 0
	s_and_not1_b32 vcc_lo, exec_lo, s30
	s_delay_alu instid0(VALU_DEP_1) | instskip(NEXT) | instid1(VALU_DEP_1)
	v_mul_u64_e32 v[2:3], s[2:3], v[0:1]
	v_add_nc_u32_e32 v2, v0, v3
	s_delay_alu instid0(VALU_DEP_1) | instskip(NEXT) | instid1(VALU_DEP_1)
	v_lshrrev_b32_e32 v2, s10, v2
	v_mul_lo_u32 v3, v2, s8
	s_delay_alu instid0(VALU_DEP_1) | instskip(NEXT) | instid1(VALU_DEP_1)
	v_sub_nc_u32_e32 v3, v0, v3
	v_mul_lo_u32 v4, v3, s12
	v_mul_lo_u32 v5, v3, s14
	v_mul_lo_u32 v6, v3, s13
	s_cbranch_vccnz .LBB197_68
; %bb.67:
	v_mov_b32_e32 v3, v1
	s_delay_alu instid0(VALU_DEP_1) | instskip(NEXT) | instid1(VALU_DEP_1)
	v_mul_u64_e32 v[8:9], s[24:25], v[2:3]
	v_add_nc_u32_e32 v1, v2, v9
	s_delay_alu instid0(VALU_DEP_1) | instskip(NEXT) | instid1(VALU_DEP_1)
	v_lshrrev_b32_e32 v1, s1, v1
	v_mul_lo_u32 v1, v1, s11
	s_delay_alu instid0(VALU_DEP_1) | instskip(NEXT) | instid1(VALU_DEP_1)
	v_sub_nc_u32_e32 v1, v2, v1
	v_mad_u32 v4, v1, s15, v4
	v_mad_u32 v6, v1, s22, v6
	;; [unrolled: 1-line block ×3, first 2 shown]
.LBB197_68:
	global_load_u16 v1, v5, s[16:17]
	global_load_u16 v2, v6, s[6:7]
	v_add_nc_u32_e32 v0, 0x80, v0
	s_wait_loadcnt 0x0
	v_dual_lshlrev_b32 v1, 16, v1 :: v_dual_lshlrev_b32 v2, 16, v2
	s_delay_alu instid0(VALU_DEP_1) | instskip(SKIP_3) | instid1(VALU_DEP_1)
	v_cmp_eq_f32_e32 vcc_lo, v2, v1
	v_cndmask_b32_e64 v3, 0, 1, vcc_lo
	v_cmp_neq_f32_e32 vcc_lo, v2, v1
	v_cndmask_b32_e64 v1, 0, 1, vcc_lo
	v_cndmask_b32_e64 v1, v1, v3, s0
	s_delay_alu instid0(VALU_DEP_1) | instskip(SKIP_3) | instid1(SALU_CYCLE_1)
	v_and_b32_e32 v1, 1, v1
	global_store_b8 v4, v1, s[4:5]
	s_wait_xcnt 0x0
	s_or_b32 exec_lo, exec_lo, s9
	s_mov_b32 s9, exec_lo
	v_cmpx_gt_i32_e64 s33, v0
	s_cbranch_execz .LBB197_7
.LBB197_69:
	s_and_not1_b32 vcc_lo, exec_lo, s28
	s_cbranch_vccnz .LBB197_75
; %bb.70:
	s_and_not1_b32 vcc_lo, exec_lo, s34
	s_cbranch_vccnz .LBB197_76
; %bb.71:
	v_dual_mov_b32 v4, 0 :: v_dual_mov_b32 v1, v0
	v_dual_mov_b32 v6, 0 :: v_dual_mov_b32 v5, 0
	s_add_co_i32 s35, s31, 1
	s_mov_b64 s[18:19], 0xffffffffffffffe8
	s_and_b32 s35, s35, 30
	s_add_nc_u64 s[18:19], s[20:21], s[18:19]
.LBB197_72:                             ; =>This Inner Loop Header: Depth=1
	s_clause 0x1
	s_load_b128 s[36:39], s[18:19], 0x1c
	s_load_b64 s[44:45], s[18:19], 0x2c
	s_add_co_i32 s35, s35, -2
	s_delay_alu instid0(SALU_CYCLE_1) | instskip(SKIP_2) | instid1(VALU_DEP_1)
	s_cmp_eq_u32 s35, 0
	s_wait_kmcnt 0x0
	v_mul_hi_u32 v2, s37, v1
	v_add_nc_u32_e32 v2, v1, v2
	s_delay_alu instid0(VALU_DEP_1) | instskip(NEXT) | instid1(VALU_DEP_1)
	v_lshrrev_b32_e32 v2, s38, v2
	v_mul_hi_u32 v3, s44, v2
	v_mul_lo_u32 v7, v2, s36
	s_clause 0x1
	s_load_b128 s[40:43], s[18:19], 0xdc
	s_load_b64 s[36:37], s[18:19], 0xec
	s_wait_xcnt 0x0
	s_add_nc_u64 s[18:19], s[18:19], 24
	s_delay_alu instid0(VALU_DEP_2) | instskip(NEXT) | instid1(VALU_DEP_2)
	v_add_nc_u32_e32 v3, v2, v3
	v_sub_nc_u32_e32 v7, v1, v7
	s_delay_alu instid0(VALU_DEP_2) | instskip(SKIP_1) | instid1(VALU_DEP_2)
	v_lshrrev_b32_e32 v1, s45, v3
	s_wait_kmcnt 0x0
	v_mad_u32 v4, v7, s40, v4
	s_delay_alu instid0(VALU_DEP_2) | instskip(SKIP_2) | instid1(VALU_DEP_3)
	v_mul_lo_u32 v3, v1, s39
	v_mad_u32 v5, v7, s42, v5
	v_mad_u32 v6, v7, s41, v6
	v_sub_nc_u32_e32 v2, v2, v3
	s_delay_alu instid0(VALU_DEP_1) | instskip(NEXT) | instid1(VALU_DEP_4)
	v_mad_u32 v4, v2, s43, v4
	v_mad_u32 v5, v2, s37, v5
	s_delay_alu instid0(VALU_DEP_4)
	v_mad_u32 v6, v2, s36, v6
	s_cbranch_scc0 .LBB197_72
; %bb.73:
	s_bitcmp1_b32 s31, 0
	s_cselect_b32 s35, -1, 0
	s_delay_alu instid0(SALU_CYCLE_1)
	s_and_b32 vcc_lo, exec_lo, s35
	s_cbranch_vccnz .LBB197_77
; %bb.74:
	s_clause 0x1
	s_load_b96 s[36:38], s[18:19], 0x1c
	s_load_b96 s[40:42], s[18:19], 0xdc
	s_wait_kmcnt 0x0
	v_mul_hi_u32 v2, s37, v1
	s_delay_alu instid0(VALU_DEP_1) | instskip(NEXT) | instid1(VALU_DEP_1)
	v_add_nc_u32_e32 v2, v1, v2
	v_lshrrev_b32_e32 v2, s38, v2
	s_delay_alu instid0(VALU_DEP_1) | instskip(NEXT) | instid1(VALU_DEP_1)
	v_mul_lo_u32 v2, v2, s36
	v_sub_nc_u32_e32 v1, v1, v2
	s_delay_alu instid0(VALU_DEP_1)
	v_mad_u32 v4, v1, s40, v4
	v_mad_u32 v6, v1, s41, v6
	;; [unrolled: 1-line block ×3, first 2 shown]
	s_branch .LBB197_77
.LBB197_75:
                                        ; implicit-def: $vgpr5
                                        ; implicit-def: $vgpr6
                                        ; implicit-def: $vgpr4
	s_branch .LBB197_78
.LBB197_76:
	v_dual_mov_b32 v5, 0 :: v_dual_mov_b32 v6, 0
	v_mov_b32_e32 v4, 0
.LBB197_77:
	s_cbranch_execnz .LBB197_80
.LBB197_78:
	v_mov_b32_e32 v1, 0
	s_and_not1_b32 vcc_lo, exec_lo, s30
	s_delay_alu instid0(VALU_DEP_1) | instskip(NEXT) | instid1(VALU_DEP_1)
	v_mul_u64_e32 v[2:3], s[2:3], v[0:1]
	v_add_nc_u32_e32 v2, v0, v3
	s_delay_alu instid0(VALU_DEP_1) | instskip(NEXT) | instid1(VALU_DEP_1)
	v_lshrrev_b32_e32 v2, s10, v2
	v_mul_lo_u32 v3, v2, s8
	s_delay_alu instid0(VALU_DEP_1) | instskip(NEXT) | instid1(VALU_DEP_1)
	v_sub_nc_u32_e32 v3, v0, v3
	v_mul_lo_u32 v4, v3, s12
	v_mul_lo_u32 v5, v3, s14
	;; [unrolled: 1-line block ×3, first 2 shown]
	s_cbranch_vccnz .LBB197_80
; %bb.79:
	v_mov_b32_e32 v3, v1
	s_delay_alu instid0(VALU_DEP_1) | instskip(NEXT) | instid1(VALU_DEP_1)
	v_mul_u64_e32 v[8:9], s[24:25], v[2:3]
	v_add_nc_u32_e32 v1, v2, v9
	s_delay_alu instid0(VALU_DEP_1) | instskip(NEXT) | instid1(VALU_DEP_1)
	v_lshrrev_b32_e32 v1, s1, v1
	v_mul_lo_u32 v1, v1, s11
	s_delay_alu instid0(VALU_DEP_1) | instskip(NEXT) | instid1(VALU_DEP_1)
	v_sub_nc_u32_e32 v1, v2, v1
	v_mad_u32 v4, v1, s15, v4
	v_mad_u32 v6, v1, s22, v6
	;; [unrolled: 1-line block ×3, first 2 shown]
.LBB197_80:
	global_load_u16 v1, v5, s[16:17]
	global_load_u16 v2, v6, s[6:7]
	v_add_nc_u32_e32 v0, 0x80, v0
	s_wait_loadcnt 0x0
	v_dual_lshlrev_b32 v1, 16, v1 :: v_dual_lshlrev_b32 v2, 16, v2
	s_delay_alu instid0(VALU_DEP_1) | instskip(SKIP_3) | instid1(VALU_DEP_1)
	v_cmp_eq_f32_e32 vcc_lo, v2, v1
	v_cndmask_b32_e64 v3, 0, 1, vcc_lo
	v_cmp_neq_f32_e32 vcc_lo, v2, v1
	v_cndmask_b32_e64 v1, 0, 1, vcc_lo
	v_cndmask_b32_e64 v1, v1, v3, s0
	s_delay_alu instid0(VALU_DEP_1) | instskip(SKIP_3) | instid1(SALU_CYCLE_1)
	v_and_b32_e32 v1, 1, v1
	global_store_b8 v4, v1, s[4:5]
	s_wait_xcnt 0x0
	s_or_b32 exec_lo, exec_lo, s9
	s_mov_b32 s9, exec_lo
	v_cmpx_gt_i32_e64 s33, v0
	s_cbranch_execz .LBB197_8
.LBB197_81:
	s_and_not1_b32 vcc_lo, exec_lo, s28
	s_cbranch_vccnz .LBB197_87
; %bb.82:
	s_and_not1_b32 vcc_lo, exec_lo, s34
	s_cbranch_vccnz .LBB197_88
; %bb.83:
	v_dual_mov_b32 v4, 0 :: v_dual_mov_b32 v1, v0
	v_dual_mov_b32 v6, 0 :: v_dual_mov_b32 v5, 0
	s_add_co_i32 s35, s31, 1
	s_mov_b64 s[18:19], 0xffffffffffffffe8
	s_and_b32 s35, s35, 30
	s_add_nc_u64 s[18:19], s[20:21], s[18:19]
.LBB197_84:                             ; =>This Inner Loop Header: Depth=1
	s_clause 0x1
	s_load_b128 s[36:39], s[18:19], 0x1c
	s_load_b64 s[44:45], s[18:19], 0x2c
	s_add_co_i32 s35, s35, -2
	s_delay_alu instid0(SALU_CYCLE_1) | instskip(SKIP_2) | instid1(VALU_DEP_1)
	s_cmp_eq_u32 s35, 0
	s_wait_kmcnt 0x0
	v_mul_hi_u32 v2, s37, v1
	v_add_nc_u32_e32 v2, v1, v2
	s_delay_alu instid0(VALU_DEP_1) | instskip(NEXT) | instid1(VALU_DEP_1)
	v_lshrrev_b32_e32 v2, s38, v2
	v_mul_hi_u32 v3, s44, v2
	v_mul_lo_u32 v7, v2, s36
	s_clause 0x1
	s_load_b128 s[40:43], s[18:19], 0xdc
	s_load_b64 s[36:37], s[18:19], 0xec
	s_wait_xcnt 0x0
	s_add_nc_u64 s[18:19], s[18:19], 24
	s_delay_alu instid0(VALU_DEP_2) | instskip(NEXT) | instid1(VALU_DEP_2)
	v_add_nc_u32_e32 v3, v2, v3
	v_sub_nc_u32_e32 v7, v1, v7
	s_delay_alu instid0(VALU_DEP_2) | instskip(SKIP_1) | instid1(VALU_DEP_2)
	v_lshrrev_b32_e32 v1, s45, v3
	s_wait_kmcnt 0x0
	v_mad_u32 v4, v7, s40, v4
	s_delay_alu instid0(VALU_DEP_2) | instskip(SKIP_2) | instid1(VALU_DEP_3)
	v_mul_lo_u32 v3, v1, s39
	v_mad_u32 v5, v7, s42, v5
	v_mad_u32 v6, v7, s41, v6
	v_sub_nc_u32_e32 v2, v2, v3
	s_delay_alu instid0(VALU_DEP_1) | instskip(NEXT) | instid1(VALU_DEP_4)
	v_mad_u32 v4, v2, s43, v4
	v_mad_u32 v5, v2, s37, v5
	s_delay_alu instid0(VALU_DEP_4)
	v_mad_u32 v6, v2, s36, v6
	s_cbranch_scc0 .LBB197_84
; %bb.85:
	s_bitcmp1_b32 s31, 0
	s_cselect_b32 s35, -1, 0
	s_delay_alu instid0(SALU_CYCLE_1)
	s_and_b32 vcc_lo, exec_lo, s35
	s_cbranch_vccnz .LBB197_89
; %bb.86:
	s_clause 0x1
	s_load_b96 s[36:38], s[18:19], 0x1c
	s_load_b96 s[40:42], s[18:19], 0xdc
	s_wait_kmcnt 0x0
	v_mul_hi_u32 v2, s37, v1
	s_delay_alu instid0(VALU_DEP_1) | instskip(NEXT) | instid1(VALU_DEP_1)
	v_add_nc_u32_e32 v2, v1, v2
	v_lshrrev_b32_e32 v2, s38, v2
	s_delay_alu instid0(VALU_DEP_1) | instskip(NEXT) | instid1(VALU_DEP_1)
	v_mul_lo_u32 v2, v2, s36
	v_sub_nc_u32_e32 v1, v1, v2
	s_delay_alu instid0(VALU_DEP_1)
	v_mad_u32 v4, v1, s40, v4
	v_mad_u32 v6, v1, s41, v6
	;; [unrolled: 1-line block ×3, first 2 shown]
	s_branch .LBB197_89
.LBB197_87:
                                        ; implicit-def: $vgpr5
                                        ; implicit-def: $vgpr6
                                        ; implicit-def: $vgpr4
	s_branch .LBB197_90
.LBB197_88:
	v_dual_mov_b32 v5, 0 :: v_dual_mov_b32 v6, 0
	v_mov_b32_e32 v4, 0
.LBB197_89:
	s_cbranch_execnz .LBB197_92
.LBB197_90:
	v_mov_b32_e32 v1, 0
	s_and_not1_b32 vcc_lo, exec_lo, s30
	s_delay_alu instid0(VALU_DEP_1) | instskip(NEXT) | instid1(VALU_DEP_1)
	v_mul_u64_e32 v[2:3], s[2:3], v[0:1]
	v_add_nc_u32_e32 v2, v0, v3
	s_delay_alu instid0(VALU_DEP_1) | instskip(NEXT) | instid1(VALU_DEP_1)
	v_lshrrev_b32_e32 v2, s10, v2
	v_mul_lo_u32 v3, v2, s8
	s_delay_alu instid0(VALU_DEP_1) | instskip(NEXT) | instid1(VALU_DEP_1)
	v_sub_nc_u32_e32 v3, v0, v3
	v_mul_lo_u32 v4, v3, s12
	v_mul_lo_u32 v5, v3, s14
	;; [unrolled: 1-line block ×3, first 2 shown]
	s_cbranch_vccnz .LBB197_92
; %bb.91:
	v_mov_b32_e32 v3, v1
	s_delay_alu instid0(VALU_DEP_1) | instskip(NEXT) | instid1(VALU_DEP_1)
	v_mul_u64_e32 v[8:9], s[24:25], v[2:3]
	v_add_nc_u32_e32 v1, v2, v9
	s_delay_alu instid0(VALU_DEP_1) | instskip(NEXT) | instid1(VALU_DEP_1)
	v_lshrrev_b32_e32 v1, s1, v1
	v_mul_lo_u32 v1, v1, s11
	s_delay_alu instid0(VALU_DEP_1) | instskip(NEXT) | instid1(VALU_DEP_1)
	v_sub_nc_u32_e32 v1, v2, v1
	v_mad_u32 v4, v1, s15, v4
	v_mad_u32 v6, v1, s22, v6
	;; [unrolled: 1-line block ×3, first 2 shown]
.LBB197_92:
	global_load_u16 v1, v5, s[16:17]
	global_load_u16 v2, v6, s[6:7]
	v_add_nc_u32_e32 v0, 0x80, v0
	s_wait_loadcnt 0x0
	v_dual_lshlrev_b32 v1, 16, v1 :: v_dual_lshlrev_b32 v2, 16, v2
	s_delay_alu instid0(VALU_DEP_1) | instskip(SKIP_3) | instid1(VALU_DEP_1)
	v_cmp_eq_f32_e32 vcc_lo, v2, v1
	v_cndmask_b32_e64 v3, 0, 1, vcc_lo
	v_cmp_neq_f32_e32 vcc_lo, v2, v1
	v_cndmask_b32_e64 v1, 0, 1, vcc_lo
	v_cndmask_b32_e64 v1, v1, v3, s0
	s_delay_alu instid0(VALU_DEP_1) | instskip(SKIP_3) | instid1(SALU_CYCLE_1)
	v_and_b32_e32 v1, 1, v1
	global_store_b8 v4, v1, s[4:5]
	s_wait_xcnt 0x0
	s_or_b32 exec_lo, exec_lo, s9
	s_mov_b32 s9, exec_lo
	v_cmpx_gt_i32_e64 s33, v0
	s_cbranch_execz .LBB197_105
.LBB197_93:
	s_and_not1_b32 vcc_lo, exec_lo, s28
	s_cbranch_vccnz .LBB197_99
; %bb.94:
	s_and_not1_b32 vcc_lo, exec_lo, s34
	s_cbranch_vccnz .LBB197_100
; %bb.95:
	v_dual_mov_b32 v4, 0 :: v_dual_mov_b32 v1, v0
	v_dual_mov_b32 v6, 0 :: v_dual_mov_b32 v5, 0
	s_add_co_i32 s33, s31, 1
	s_mov_b64 s[18:19], 0xffffffffffffffe8
	s_and_b32 s33, s33, 30
	s_add_nc_u64 s[18:19], s[20:21], s[18:19]
.LBB197_96:                             ; =>This Inner Loop Header: Depth=1
	s_clause 0x1
	s_load_b128 s[36:39], s[18:19], 0x1c
	s_load_b64 s[34:35], s[18:19], 0x2c
	s_add_co_i32 s33, s33, -2
	s_delay_alu instid0(SALU_CYCLE_1) | instskip(SKIP_2) | instid1(VALU_DEP_1)
	s_cmp_eq_u32 s33, 0
	s_wait_kmcnt 0x0
	v_mul_hi_u32 v2, s37, v1
	v_add_nc_u32_e32 v2, v1, v2
	s_delay_alu instid0(VALU_DEP_1) | instskip(NEXT) | instid1(VALU_DEP_1)
	v_lshrrev_b32_e32 v2, s38, v2
	v_mul_hi_u32 v3, s34, v2
	v_mul_lo_u32 v7, v2, s36
	s_clause 0x1
	s_load_b128 s[40:43], s[18:19], 0xdc
	s_load_b64 s[36:37], s[18:19], 0xec
	s_wait_xcnt 0x0
	s_add_nc_u64 s[18:19], s[18:19], 24
	s_delay_alu instid0(VALU_DEP_2) | instskip(NEXT) | instid1(VALU_DEP_2)
	v_add_nc_u32_e32 v3, v2, v3
	v_sub_nc_u32_e32 v7, v1, v7
	s_delay_alu instid0(VALU_DEP_2) | instskip(SKIP_1) | instid1(VALU_DEP_2)
	v_lshrrev_b32_e32 v1, s35, v3
	s_wait_kmcnt 0x0
	v_mad_u32 v4, v7, s40, v4
	s_delay_alu instid0(VALU_DEP_2) | instskip(SKIP_2) | instid1(VALU_DEP_3)
	v_mul_lo_u32 v3, v1, s39
	v_mad_u32 v5, v7, s42, v5
	v_mad_u32 v6, v7, s41, v6
	v_sub_nc_u32_e32 v2, v2, v3
	s_delay_alu instid0(VALU_DEP_1) | instskip(NEXT) | instid1(VALU_DEP_4)
	v_mad_u32 v4, v2, s43, v4
	v_mad_u32 v5, v2, s37, v5
	s_delay_alu instid0(VALU_DEP_4)
	v_mad_u32 v6, v2, s36, v6
	s_cbranch_scc0 .LBB197_96
; %bb.97:
	s_bitcmp1_b32 s31, 0
	s_cselect_b32 s31, -1, 0
	s_delay_alu instid0(SALU_CYCLE_1)
	s_and_b32 vcc_lo, exec_lo, s31
	s_cbranch_vccnz .LBB197_101
; %bb.98:
	s_clause 0x1
	s_load_b96 s[36:38], s[18:19], 0x1c
	s_load_b96 s[40:42], s[18:19], 0xdc
	s_wait_kmcnt 0x0
	v_mul_hi_u32 v2, s37, v1
	s_delay_alu instid0(VALU_DEP_1) | instskip(NEXT) | instid1(VALU_DEP_1)
	v_add_nc_u32_e32 v2, v1, v2
	v_lshrrev_b32_e32 v2, s38, v2
	s_delay_alu instid0(VALU_DEP_1) | instskip(NEXT) | instid1(VALU_DEP_1)
	v_mul_lo_u32 v2, v2, s36
	v_sub_nc_u32_e32 v1, v1, v2
	s_delay_alu instid0(VALU_DEP_1)
	v_mad_u32 v4, v1, s40, v4
	v_mad_u32 v6, v1, s41, v6
	v_mad_u32 v5, v1, s42, v5
	s_branch .LBB197_101
.LBB197_99:
                                        ; implicit-def: $vgpr5
                                        ; implicit-def: $vgpr6
                                        ; implicit-def: $vgpr4
	s_branch .LBB197_102
.LBB197_100:
	v_dual_mov_b32 v5, 0 :: v_dual_mov_b32 v6, 0
	v_mov_b32_e32 v4, 0
.LBB197_101:
	s_cbranch_execnz .LBB197_104
.LBB197_102:
	v_mov_b32_e32 v1, 0
	s_and_not1_b32 vcc_lo, exec_lo, s30
	s_delay_alu instid0(VALU_DEP_1) | instskip(NEXT) | instid1(VALU_DEP_1)
	v_mul_u64_e32 v[2:3], s[2:3], v[0:1]
	v_add_nc_u32_e32 v2, v0, v3
	s_delay_alu instid0(VALU_DEP_1) | instskip(NEXT) | instid1(VALU_DEP_1)
	v_lshrrev_b32_e32 v2, s10, v2
	v_mul_lo_u32 v3, v2, s8
	s_delay_alu instid0(VALU_DEP_1) | instskip(NEXT) | instid1(VALU_DEP_1)
	v_sub_nc_u32_e32 v0, v0, v3
	v_mul_lo_u32 v4, v0, s12
	v_mul_lo_u32 v5, v0, s14
	;; [unrolled: 1-line block ×3, first 2 shown]
	s_cbranch_vccnz .LBB197_104
; %bb.103:
	v_mov_b32_e32 v3, v1
	s_delay_alu instid0(VALU_DEP_1) | instskip(NEXT) | instid1(VALU_DEP_1)
	v_mul_u64_e32 v[0:1], s[24:25], v[2:3]
	v_add_nc_u32_e32 v0, v2, v1
	s_delay_alu instid0(VALU_DEP_1) | instskip(NEXT) | instid1(VALU_DEP_1)
	v_lshrrev_b32_e32 v0, s1, v0
	v_mul_lo_u32 v0, v0, s11
	s_delay_alu instid0(VALU_DEP_1) | instskip(NEXT) | instid1(VALU_DEP_1)
	v_sub_nc_u32_e32 v0, v2, v0
	v_mad_u32 v4, v0, s15, v4
	v_mad_u32 v6, v0, s22, v6
	;; [unrolled: 1-line block ×3, first 2 shown]
.LBB197_104:
	global_load_u16 v0, v5, s[16:17]
	global_load_u16 v1, v6, s[6:7]
	s_wait_loadcnt 0x0
	v_dual_lshlrev_b32 v0, 16, v0 :: v_dual_lshlrev_b32 v1, 16, v1
	s_delay_alu instid0(VALU_DEP_1) | instskip(SKIP_3) | instid1(VALU_DEP_1)
	v_cmp_eq_f32_e32 vcc_lo, v1, v0
	v_cndmask_b32_e64 v2, 0, 1, vcc_lo
	v_cmp_neq_f32_e32 vcc_lo, v1, v0
	v_cndmask_b32_e64 v0, 0, 1, vcc_lo
	v_cndmask_b32_e64 v0, v0, v2, s0
	s_delay_alu instid0(VALU_DEP_1)
	v_and_b32_e32 v0, 1, v0
	global_store_b8 v4, v0, s[4:5]
.LBB197_105:
	s_wait_xcnt 0x0
	s_or_b32 exec_lo, exec_lo, s9
                                        ; implicit-def: $vgpr4
                                        ; implicit-def: $vgpr0
.LBB197_106:
	s_and_not1_saveexec_b32 s0, s29
	s_cbranch_execz .LBB197_113
; %bb.107:
	v_cndmask_b32_e64 v8, 0, 1, s28
	s_and_not1_b32 vcc_lo, exec_lo, s28
	s_cbranch_vccnz .LBB197_114
; %bb.108:
	s_cmp_lg_u32 s26, 0
	s_mov_b32 s2, 0
	s_cbranch_scc0 .LBB197_118
; %bb.109:
	s_min_u32 s3, s27, 15
	v_dual_mov_b32 v1, 0 :: v_dual_mov_b32 v5, v0
	v_dual_mov_b32 v2, 0 :: v_dual_mov_b32 v3, 0
	s_add_co_i32 s4, s3, 1
	s_mov_b64 s[0:1], 0xffffffffffffffe8
	s_and_b32 s4, s4, 30
	s_add_nc_u64 s[0:1], s[20:21], s[0:1]
.LBB197_110:                            ; =>This Inner Loop Header: Depth=1
	s_clause 0x1
	s_load_b128 s[8:11], s[0:1], 0x1c
	s_load_b64 s[6:7], s[0:1], 0x2c
	s_add_co_i32 s4, s4, -2
	s_delay_alu instid0(SALU_CYCLE_1) | instskip(SKIP_2) | instid1(VALU_DEP_1)
	s_cmp_lg_u32 s4, 0
	s_wait_kmcnt 0x0
	v_mul_hi_u32 v6, s9, v5
	v_add_nc_u32_e32 v6, v5, v6
	s_delay_alu instid0(VALU_DEP_1) | instskip(NEXT) | instid1(VALU_DEP_1)
	v_lshrrev_b32_e32 v6, s10, v6
	v_mul_hi_u32 v7, s6, v6
	v_mul_lo_u32 v9, v6, s8
	s_clause 0x1
	s_load_b128 s[12:15], s[0:1], 0xdc
	s_load_b64 s[8:9], s[0:1], 0xec
	s_wait_xcnt 0x0
	s_add_nc_u64 s[0:1], s[0:1], 24
	s_delay_alu instid0(VALU_DEP_1) | instskip(NEXT) | instid1(VALU_DEP_1)
	v_dual_add_nc_u32 v7, v6, v7 :: v_dual_sub_nc_u32 v9, v5, v9
	v_lshrrev_b32_e32 v5, s7, v7
	s_wait_kmcnt 0x0
	s_delay_alu instid0(VALU_DEP_2) | instskip(NEXT) | instid1(VALU_DEP_2)
	v_mad_u32 v1, v9, s12, v1
	v_mul_lo_u32 v7, v5, s11
	v_mad_u32 v3, v9, s14, v3
	v_mad_u32 v2, v9, s13, v2
	s_delay_alu instid0(VALU_DEP_3) | instskip(NEXT) | instid1(VALU_DEP_1)
	v_sub_nc_u32_e32 v6, v6, v7
	v_mad_u32 v1, v6, s15, v1
	s_delay_alu instid0(VALU_DEP_4) | instskip(NEXT) | instid1(VALU_DEP_4)
	v_mad_u32 v3, v6, s9, v3
	v_mad_u32 v2, v6, s8, v2
	s_cbranch_scc1 .LBB197_110
; %bb.111:
	s_bitcmp1_b32 s3, 0
	s_cselect_b32 s3, -1, 0
	s_delay_alu instid0(SALU_CYCLE_1)
	s_and_b32 vcc_lo, exec_lo, s3
	s_cbranch_vccnz .LBB197_115
; %bb.112:
	s_clause 0x1
	s_load_b96 s[4:6], s[0:1], 0x1c
	s_load_b96 s[8:10], s[0:1], 0xdc
	s_wait_kmcnt 0x0
	v_mul_hi_u32 v6, s5, v5
	s_delay_alu instid0(VALU_DEP_1) | instskip(NEXT) | instid1(VALU_DEP_1)
	v_add_nc_u32_e32 v6, v5, v6
	v_lshrrev_b32_e32 v6, s6, v6
	s_delay_alu instid0(VALU_DEP_1) | instskip(NEXT) | instid1(VALU_DEP_1)
	v_mul_lo_u32 v6, v6, s4
	v_sub_nc_u32_e32 v5, v5, v6
	s_delay_alu instid0(VALU_DEP_1)
	v_mad_u32 v1, v5, s8, v1
	v_mad_u32 v2, v5, s9, v2
	;; [unrolled: 1-line block ×3, first 2 shown]
	s_and_not1_b32 vcc_lo, exec_lo, s2
	s_cbranch_vccz .LBB197_116
	s_branch .LBB197_119
.LBB197_113:
	s_endpgm
.LBB197_114:
	s_mov_b32 s2, -1
                                        ; implicit-def: $vgpr3
                                        ; implicit-def: $vgpr2
                                        ; implicit-def: $vgpr1
.LBB197_115:
	s_delay_alu instid0(SALU_CYCLE_1)
	s_and_not1_b32 vcc_lo, exec_lo, s2
	s_cbranch_vccnz .LBB197_119
.LBB197_116:
	s_clause 0x1
	s_load_b96 s[0:2], s[20:21], 0x4
	s_load_b96 s[4:6], s[20:21], 0xc4
	s_cmp_lt_u32 s26, 2
	s_wait_kmcnt 0x0
	v_mul_hi_u32 v1, s1, v0
	s_delay_alu instid0(VALU_DEP_1) | instskip(NEXT) | instid1(VALU_DEP_1)
	v_add_nc_u32_e32 v1, v0, v1
	v_lshrrev_b32_e32 v5, s2, v1
	s_delay_alu instid0(VALU_DEP_1) | instskip(NEXT) | instid1(VALU_DEP_1)
	v_mul_lo_u32 v1, v5, s0
	v_sub_nc_u32_e32 v2, v0, v1
	s_delay_alu instid0(VALU_DEP_1)
	v_mul_lo_u32 v1, v2, s4
	v_mul_lo_u32 v3, v2, s6
	;; [unrolled: 1-line block ×3, first 2 shown]
	s_cbranch_scc1 .LBB197_119
; %bb.117:
	s_clause 0x1
	s_load_b96 s[0:2], s[20:21], 0x10
	s_load_b96 s[4:6], s[20:21], 0xd0
	s_wait_kmcnt 0x0
	v_mul_hi_u32 v6, s1, v5
	s_delay_alu instid0(VALU_DEP_1) | instskip(NEXT) | instid1(VALU_DEP_1)
	v_add_nc_u32_e32 v6, v5, v6
	v_lshrrev_b32_e32 v6, s2, v6
	s_delay_alu instid0(VALU_DEP_1) | instskip(NEXT) | instid1(VALU_DEP_1)
	v_mul_lo_u32 v6, v6, s0
	v_sub_nc_u32_e32 v5, v5, v6
	s_delay_alu instid0(VALU_DEP_1)
	v_mad_u32 v1, v5, s4, v1
	v_mad_u32 v2, v5, s5, v2
	v_mad_u32 v3, v5, s6, v3
	s_branch .LBB197_119
.LBB197_118:
	v_dual_mov_b32 v3, 0 :: v_dual_mov_b32 v2, 0
	v_mov_b32_e32 v1, 0
	s_and_not1_b32 vcc_lo, exec_lo, s2
	s_cbranch_vccz .LBB197_116
.LBB197_119:
	v_cmp_ne_u32_e32 vcc_lo, 1, v8
	v_add_nc_u32_e32 v9, 0x80, v0
	s_cbranch_vccnz .LBB197_125
; %bb.120:
	s_cmp_lg_u32 s26, 0
	s_mov_b32 s2, 0
	s_cbranch_scc0 .LBB197_129
; %bb.121:
	s_min_u32 s3, s27, 15
	v_dual_mov_b32 v5, 0 :: v_dual_mov_b32 v10, v9
	v_dual_mov_b32 v7, 0 :: v_dual_mov_b32 v6, 0
	s_add_co_i32 s4, s3, 1
	s_mov_b64 s[0:1], 0xffffffffffffffe8
	s_and_b32 s4, s4, 30
	s_add_nc_u64 s[0:1], s[20:21], s[0:1]
.LBB197_122:                            ; =>This Inner Loop Header: Depth=1
	s_clause 0x1
	s_load_b128 s[8:11], s[0:1], 0x1c
	s_load_b64 s[6:7], s[0:1], 0x2c
	s_add_co_i32 s4, s4, -2
	s_delay_alu instid0(SALU_CYCLE_1) | instskip(SKIP_2) | instid1(VALU_DEP_1)
	s_cmp_lg_u32 s4, 0
	s_wait_kmcnt 0x0
	v_mul_hi_u32 v11, s9, v10
	v_add_nc_u32_e32 v11, v10, v11
	s_delay_alu instid0(VALU_DEP_1) | instskip(NEXT) | instid1(VALU_DEP_1)
	v_lshrrev_b32_e32 v11, s10, v11
	v_mul_hi_u32 v12, s6, v11
	v_mul_lo_u32 v13, v11, s8
	s_clause 0x1
	s_load_b128 s[12:15], s[0:1], 0xdc
	s_load_b64 s[8:9], s[0:1], 0xec
	s_wait_xcnt 0x0
	s_add_nc_u64 s[0:1], s[0:1], 24
	s_delay_alu instid0(VALU_DEP_1) | instskip(NEXT) | instid1(VALU_DEP_1)
	v_dual_add_nc_u32 v12, v11, v12 :: v_dual_sub_nc_u32 v13, v10, v13
	v_lshrrev_b32_e32 v10, s7, v12
	s_wait_kmcnt 0x0
	s_delay_alu instid0(VALU_DEP_2) | instskip(NEXT) | instid1(VALU_DEP_2)
	v_mad_u32 v5, v13, s12, v5
	v_mul_lo_u32 v12, v10, s11
	v_mad_u32 v6, v13, s14, v6
	v_mad_u32 v7, v13, s13, v7
	s_delay_alu instid0(VALU_DEP_3) | instskip(NEXT) | instid1(VALU_DEP_1)
	v_sub_nc_u32_e32 v11, v11, v12
	v_mad_u32 v5, v11, s15, v5
	s_delay_alu instid0(VALU_DEP_4) | instskip(NEXT) | instid1(VALU_DEP_4)
	v_mad_u32 v6, v11, s9, v6
	v_mad_u32 v7, v11, s8, v7
	s_cbranch_scc1 .LBB197_122
; %bb.123:
	s_bitcmp1_b32 s3, 0
	s_cselect_b32 s3, -1, 0
	s_delay_alu instid0(SALU_CYCLE_1)
	s_and_b32 vcc_lo, exec_lo, s3
	s_cbranch_vccnz .LBB197_126
; %bb.124:
	s_clause 0x1
	s_load_b96 s[4:6], s[0:1], 0x1c
	s_load_b96 s[8:10], s[0:1], 0xdc
	s_wait_kmcnt 0x0
	v_mul_hi_u32 v11, s5, v10
	s_delay_alu instid0(VALU_DEP_1) | instskip(NEXT) | instid1(VALU_DEP_1)
	v_add_nc_u32_e32 v11, v10, v11
	v_lshrrev_b32_e32 v11, s6, v11
	s_delay_alu instid0(VALU_DEP_1) | instskip(NEXT) | instid1(VALU_DEP_1)
	v_mul_lo_u32 v11, v11, s4
	v_sub_nc_u32_e32 v10, v10, v11
	s_delay_alu instid0(VALU_DEP_1)
	v_mad_u32 v5, v10, s8, v5
	v_mad_u32 v7, v10, s9, v7
	v_mad_u32 v6, v10, s10, v6
	s_and_not1_b32 vcc_lo, exec_lo, s2
	s_cbranch_vccz .LBB197_127
	s_branch .LBB197_130
.LBB197_125:
	s_mov_b32 s2, -1
                                        ; implicit-def: $vgpr6
                                        ; implicit-def: $vgpr7
                                        ; implicit-def: $vgpr5
.LBB197_126:
	s_delay_alu instid0(SALU_CYCLE_1)
	s_and_not1_b32 vcc_lo, exec_lo, s2
	s_cbranch_vccnz .LBB197_130
.LBB197_127:
	s_clause 0x1
	s_load_b96 s[0:2], s[20:21], 0x4
	s_load_b96 s[4:6], s[20:21], 0xc4
	s_cmp_lt_u32 s26, 2
	s_wait_kmcnt 0x0
	v_mul_hi_u32 v5, s1, v9
	s_delay_alu instid0(VALU_DEP_1) | instskip(NEXT) | instid1(VALU_DEP_1)
	v_add_nc_u32_e32 v5, v9, v5
	v_lshrrev_b32_e32 v10, s2, v5
	s_delay_alu instid0(VALU_DEP_1) | instskip(NEXT) | instid1(VALU_DEP_1)
	v_mul_lo_u32 v5, v10, s0
	v_sub_nc_u32_e32 v7, v9, v5
	s_delay_alu instid0(VALU_DEP_1)
	v_mul_lo_u32 v5, v7, s4
	v_mul_lo_u32 v6, v7, s6
	;; [unrolled: 1-line block ×3, first 2 shown]
	s_cbranch_scc1 .LBB197_130
; %bb.128:
	s_clause 0x1
	s_load_b96 s[0:2], s[20:21], 0x10
	s_load_b96 s[4:6], s[20:21], 0xd0
	s_wait_kmcnt 0x0
	v_mul_hi_u32 v9, s1, v10
	s_delay_alu instid0(VALU_DEP_1) | instskip(NEXT) | instid1(VALU_DEP_1)
	v_add_nc_u32_e32 v9, v10, v9
	v_lshrrev_b32_e32 v9, s2, v9
	s_delay_alu instid0(VALU_DEP_1) | instskip(NEXT) | instid1(VALU_DEP_1)
	v_mul_lo_u32 v9, v9, s0
	v_sub_nc_u32_e32 v9, v10, v9
	s_delay_alu instid0(VALU_DEP_1)
	v_mad_u32 v5, v9, s4, v5
	v_mad_u32 v7, v9, s5, v7
	v_mad_u32 v6, v9, s6, v6
	s_branch .LBB197_130
.LBB197_129:
	v_dual_mov_b32 v6, 0 :: v_dual_mov_b32 v7, 0
	v_mov_b32_e32 v5, 0
	s_and_not1_b32 vcc_lo, exec_lo, s2
	s_cbranch_vccz .LBB197_127
.LBB197_130:
	v_cmp_ne_u32_e32 vcc_lo, 1, v8
	v_add_nc_u32_e32 v12, 0x100, v0
	s_cbranch_vccnz .LBB197_136
; %bb.131:
	s_cmp_lg_u32 s26, 0
	s_mov_b32 s2, 0
	s_cbranch_scc0 .LBB197_140
; %bb.132:
	s_min_u32 s3, s27, 15
	v_dual_mov_b32 v9, 0 :: v_dual_mov_b32 v13, v12
	v_dual_mov_b32 v11, 0 :: v_dual_mov_b32 v10, 0
	s_add_co_i32 s4, s3, 1
	s_mov_b64 s[0:1], 0xffffffffffffffe8
	s_and_b32 s4, s4, 30
	s_add_nc_u64 s[0:1], s[20:21], s[0:1]
.LBB197_133:                            ; =>This Inner Loop Header: Depth=1
	s_clause 0x1
	s_load_b128 s[8:11], s[0:1], 0x1c
	s_load_b64 s[6:7], s[0:1], 0x2c
	s_add_co_i32 s4, s4, -2
	s_delay_alu instid0(SALU_CYCLE_1) | instskip(SKIP_2) | instid1(VALU_DEP_1)
	s_cmp_lg_u32 s4, 0
	s_wait_kmcnt 0x0
	v_mul_hi_u32 v14, s9, v13
	v_add_nc_u32_e32 v14, v13, v14
	s_delay_alu instid0(VALU_DEP_1) | instskip(NEXT) | instid1(VALU_DEP_1)
	v_lshrrev_b32_e32 v14, s10, v14
	v_mul_hi_u32 v15, s6, v14
	v_mul_lo_u32 v16, v14, s8
	s_clause 0x1
	s_load_b128 s[12:15], s[0:1], 0xdc
	s_load_b64 s[8:9], s[0:1], 0xec
	s_wait_xcnt 0x0
	s_add_nc_u64 s[0:1], s[0:1], 24
	s_delay_alu instid0(VALU_DEP_1) | instskip(NEXT) | instid1(VALU_DEP_1)
	v_dual_add_nc_u32 v15, v14, v15 :: v_dual_sub_nc_u32 v16, v13, v16
	v_lshrrev_b32_e32 v13, s7, v15
	s_wait_kmcnt 0x0
	s_delay_alu instid0(VALU_DEP_2) | instskip(NEXT) | instid1(VALU_DEP_2)
	v_mad_u32 v9, v16, s12, v9
	v_mul_lo_u32 v15, v13, s11
	v_mad_u32 v10, v16, s14, v10
	v_mad_u32 v11, v16, s13, v11
	s_delay_alu instid0(VALU_DEP_3) | instskip(NEXT) | instid1(VALU_DEP_1)
	v_sub_nc_u32_e32 v14, v14, v15
	v_mad_u32 v9, v14, s15, v9
	s_delay_alu instid0(VALU_DEP_4) | instskip(NEXT) | instid1(VALU_DEP_4)
	v_mad_u32 v10, v14, s9, v10
	v_mad_u32 v11, v14, s8, v11
	s_cbranch_scc1 .LBB197_133
; %bb.134:
	s_bitcmp1_b32 s3, 0
	s_cselect_b32 s3, -1, 0
	s_delay_alu instid0(SALU_CYCLE_1)
	s_and_b32 vcc_lo, exec_lo, s3
	s_cbranch_vccnz .LBB197_137
; %bb.135:
	s_clause 0x1
	s_load_b96 s[4:6], s[0:1], 0x1c
	s_load_b96 s[8:10], s[0:1], 0xdc
	s_wait_kmcnt 0x0
	v_mul_hi_u32 v14, s5, v13
	s_delay_alu instid0(VALU_DEP_1) | instskip(NEXT) | instid1(VALU_DEP_1)
	v_add_nc_u32_e32 v14, v13, v14
	v_lshrrev_b32_e32 v14, s6, v14
	s_delay_alu instid0(VALU_DEP_1) | instskip(NEXT) | instid1(VALU_DEP_1)
	v_mul_lo_u32 v14, v14, s4
	v_sub_nc_u32_e32 v13, v13, v14
	s_delay_alu instid0(VALU_DEP_1)
	v_mad_u32 v9, v13, s8, v9
	v_mad_u32 v11, v13, s9, v11
	;; [unrolled: 1-line block ×3, first 2 shown]
	s_and_not1_b32 vcc_lo, exec_lo, s2
	s_cbranch_vccz .LBB197_138
	s_branch .LBB197_141
.LBB197_136:
	s_mov_b32 s2, -1
                                        ; implicit-def: $vgpr10
                                        ; implicit-def: $vgpr11
                                        ; implicit-def: $vgpr9
.LBB197_137:
	s_delay_alu instid0(SALU_CYCLE_1)
	s_and_not1_b32 vcc_lo, exec_lo, s2
	s_cbranch_vccnz .LBB197_141
.LBB197_138:
	s_clause 0x1
	s_load_b96 s[0:2], s[20:21], 0x4
	s_load_b96 s[4:6], s[20:21], 0xc4
	s_cmp_lt_u32 s26, 2
	s_wait_kmcnt 0x0
	v_mul_hi_u32 v9, s1, v12
	s_delay_alu instid0(VALU_DEP_1) | instskip(NEXT) | instid1(VALU_DEP_1)
	v_add_nc_u32_e32 v9, v12, v9
	v_lshrrev_b32_e32 v13, s2, v9
	s_delay_alu instid0(VALU_DEP_1) | instskip(NEXT) | instid1(VALU_DEP_1)
	v_mul_lo_u32 v9, v13, s0
	v_sub_nc_u32_e32 v11, v12, v9
	s_delay_alu instid0(VALU_DEP_1)
	v_mul_lo_u32 v9, v11, s4
	v_mul_lo_u32 v10, v11, s6
	;; [unrolled: 1-line block ×3, first 2 shown]
	s_cbranch_scc1 .LBB197_141
; %bb.139:
	s_clause 0x1
	s_load_b96 s[0:2], s[20:21], 0x10
	s_load_b96 s[4:6], s[20:21], 0xd0
	s_wait_kmcnt 0x0
	v_mul_hi_u32 v12, s1, v13
	s_delay_alu instid0(VALU_DEP_1) | instskip(NEXT) | instid1(VALU_DEP_1)
	v_add_nc_u32_e32 v12, v13, v12
	v_lshrrev_b32_e32 v12, s2, v12
	s_delay_alu instid0(VALU_DEP_1) | instskip(NEXT) | instid1(VALU_DEP_1)
	v_mul_lo_u32 v12, v12, s0
	v_sub_nc_u32_e32 v12, v13, v12
	s_delay_alu instid0(VALU_DEP_1)
	v_mad_u32 v9, v12, s4, v9
	v_mad_u32 v11, v12, s5, v11
	;; [unrolled: 1-line block ×3, first 2 shown]
	s_branch .LBB197_141
.LBB197_140:
	v_dual_mov_b32 v10, 0 :: v_dual_mov_b32 v11, 0
	v_mov_b32_e32 v9, 0
	s_and_not1_b32 vcc_lo, exec_lo, s2
	s_cbranch_vccz .LBB197_138
.LBB197_141:
	v_cmp_ne_u32_e32 vcc_lo, 1, v8
	v_add_nc_u32_e32 v15, 0x180, v0
	s_cbranch_vccnz .LBB197_147
; %bb.142:
	s_cmp_lg_u32 s26, 0
	s_mov_b32 s2, 0
	s_cbranch_scc0 .LBB197_151
; %bb.143:
	s_min_u32 s3, s27, 15
	v_dual_mov_b32 v12, 0 :: v_dual_mov_b32 v16, v15
	v_dual_mov_b32 v13, 0 :: v_dual_mov_b32 v14, 0
	s_add_co_i32 s4, s3, 1
	s_mov_b64 s[0:1], 0xffffffffffffffe8
	s_and_b32 s4, s4, 30
	s_add_nc_u64 s[0:1], s[20:21], s[0:1]
.LBB197_144:                            ; =>This Inner Loop Header: Depth=1
	s_clause 0x1
	s_load_b128 s[8:11], s[0:1], 0x1c
	s_load_b64 s[6:7], s[0:1], 0x2c
	s_add_co_i32 s4, s4, -2
	s_delay_alu instid0(SALU_CYCLE_1) | instskip(SKIP_2) | instid1(VALU_DEP_1)
	s_cmp_lg_u32 s4, 0
	s_wait_kmcnt 0x0
	v_mul_hi_u32 v17, s9, v16
	v_add_nc_u32_e32 v17, v16, v17
	s_delay_alu instid0(VALU_DEP_1) | instskip(NEXT) | instid1(VALU_DEP_1)
	v_lshrrev_b32_e32 v17, s10, v17
	v_mul_hi_u32 v18, s6, v17
	v_mul_lo_u32 v19, v17, s8
	s_clause 0x1
	s_load_b128 s[12:15], s[0:1], 0xdc
	s_load_b64 s[8:9], s[0:1], 0xec
	s_wait_xcnt 0x0
	s_add_nc_u64 s[0:1], s[0:1], 24
	s_delay_alu instid0(VALU_DEP_1) | instskip(NEXT) | instid1(VALU_DEP_1)
	v_dual_add_nc_u32 v18, v17, v18 :: v_dual_sub_nc_u32 v19, v16, v19
	v_lshrrev_b32_e32 v16, s7, v18
	s_wait_kmcnt 0x0
	s_delay_alu instid0(VALU_DEP_2) | instskip(NEXT) | instid1(VALU_DEP_2)
	v_mad_u32 v12, v19, s12, v12
	v_mul_lo_u32 v18, v16, s11
	v_mad_u32 v14, v19, s14, v14
	v_mad_u32 v13, v19, s13, v13
	s_delay_alu instid0(VALU_DEP_3) | instskip(NEXT) | instid1(VALU_DEP_1)
	v_sub_nc_u32_e32 v17, v17, v18
	v_mad_u32 v12, v17, s15, v12
	s_delay_alu instid0(VALU_DEP_4) | instskip(NEXT) | instid1(VALU_DEP_4)
	v_mad_u32 v14, v17, s9, v14
	v_mad_u32 v13, v17, s8, v13
	s_cbranch_scc1 .LBB197_144
; %bb.145:
	s_bitcmp1_b32 s3, 0
	s_cselect_b32 s3, -1, 0
	s_delay_alu instid0(SALU_CYCLE_1)
	s_and_b32 vcc_lo, exec_lo, s3
	s_cbranch_vccnz .LBB197_148
; %bb.146:
	s_clause 0x1
	s_load_b96 s[4:6], s[0:1], 0x1c
	s_load_b96 s[8:10], s[0:1], 0xdc
	s_wait_kmcnt 0x0
	v_mul_hi_u32 v17, s5, v16
	s_delay_alu instid0(VALU_DEP_1) | instskip(NEXT) | instid1(VALU_DEP_1)
	v_add_nc_u32_e32 v17, v16, v17
	v_lshrrev_b32_e32 v17, s6, v17
	s_delay_alu instid0(VALU_DEP_1) | instskip(NEXT) | instid1(VALU_DEP_1)
	v_mul_lo_u32 v17, v17, s4
	v_sub_nc_u32_e32 v16, v16, v17
	s_delay_alu instid0(VALU_DEP_1)
	v_mad_u32 v12, v16, s8, v12
	v_mad_u32 v13, v16, s9, v13
	;; [unrolled: 1-line block ×3, first 2 shown]
	s_and_not1_b32 vcc_lo, exec_lo, s2
	s_cbranch_vccz .LBB197_149
	s_branch .LBB197_152
.LBB197_147:
	s_mov_b32 s2, -1
                                        ; implicit-def: $vgpr14
                                        ; implicit-def: $vgpr13
                                        ; implicit-def: $vgpr12
.LBB197_148:
	s_delay_alu instid0(SALU_CYCLE_1)
	s_and_not1_b32 vcc_lo, exec_lo, s2
	s_cbranch_vccnz .LBB197_152
.LBB197_149:
	s_clause 0x1
	s_load_b96 s[0:2], s[20:21], 0x4
	s_load_b96 s[4:6], s[20:21], 0xc4
	s_cmp_lt_u32 s26, 2
	s_wait_kmcnt 0x0
	v_mul_hi_u32 v12, s1, v15
	s_delay_alu instid0(VALU_DEP_1) | instskip(NEXT) | instid1(VALU_DEP_1)
	v_add_nc_u32_e32 v12, v15, v12
	v_lshrrev_b32_e32 v16, s2, v12
	s_delay_alu instid0(VALU_DEP_1) | instskip(NEXT) | instid1(VALU_DEP_1)
	v_mul_lo_u32 v12, v16, s0
	v_sub_nc_u32_e32 v13, v15, v12
	s_delay_alu instid0(VALU_DEP_1)
	v_mul_lo_u32 v12, v13, s4
	v_mul_lo_u32 v14, v13, s6
	;; [unrolled: 1-line block ×3, first 2 shown]
	s_cbranch_scc1 .LBB197_152
; %bb.150:
	s_clause 0x1
	s_load_b96 s[0:2], s[20:21], 0x10
	s_load_b96 s[4:6], s[20:21], 0xd0
	s_wait_kmcnt 0x0
	v_mul_hi_u32 v15, s1, v16
	s_delay_alu instid0(VALU_DEP_1) | instskip(NEXT) | instid1(VALU_DEP_1)
	v_add_nc_u32_e32 v15, v16, v15
	v_lshrrev_b32_e32 v15, s2, v15
	s_delay_alu instid0(VALU_DEP_1) | instskip(NEXT) | instid1(VALU_DEP_1)
	v_mul_lo_u32 v15, v15, s0
	v_sub_nc_u32_e32 v15, v16, v15
	s_delay_alu instid0(VALU_DEP_1)
	v_mad_u32 v12, v15, s4, v12
	v_mad_u32 v13, v15, s5, v13
	;; [unrolled: 1-line block ×3, first 2 shown]
	s_branch .LBB197_152
.LBB197_151:
	v_dual_mov_b32 v14, 0 :: v_dual_mov_b32 v13, 0
	v_mov_b32_e32 v12, 0
	s_and_not1_b32 vcc_lo, exec_lo, s2
	s_cbranch_vccz .LBB197_149
.LBB197_152:
	v_cmp_ne_u32_e32 vcc_lo, 1, v8
	v_add_nc_u32_e32 v18, 0x200, v0
	s_cbranch_vccnz .LBB197_158
; %bb.153:
	s_cmp_lg_u32 s26, 0
	s_mov_b32 s2, 0
	s_cbranch_scc0 .LBB197_162
; %bb.154:
	s_min_u32 s3, s27, 15
	v_dual_mov_b32 v15, 0 :: v_dual_mov_b32 v19, v18
	v_dual_mov_b32 v17, 0 :: v_dual_mov_b32 v16, 0
	s_add_co_i32 s4, s3, 1
	s_mov_b64 s[0:1], 0xffffffffffffffe8
	s_and_b32 s4, s4, 30
	s_add_nc_u64 s[0:1], s[20:21], s[0:1]
.LBB197_155:                            ; =>This Inner Loop Header: Depth=1
	s_clause 0x1
	s_load_b128 s[8:11], s[0:1], 0x1c
	s_load_b64 s[6:7], s[0:1], 0x2c
	s_add_co_i32 s4, s4, -2
	s_delay_alu instid0(SALU_CYCLE_1) | instskip(SKIP_2) | instid1(VALU_DEP_1)
	s_cmp_lg_u32 s4, 0
	s_wait_kmcnt 0x0
	v_mul_hi_u32 v20, s9, v19
	v_add_nc_u32_e32 v20, v19, v20
	s_delay_alu instid0(VALU_DEP_1) | instskip(NEXT) | instid1(VALU_DEP_1)
	v_lshrrev_b32_e32 v20, s10, v20
	v_mul_hi_u32 v21, s6, v20
	v_mul_lo_u32 v22, v20, s8
	s_clause 0x1
	s_load_b128 s[12:15], s[0:1], 0xdc
	s_load_b64 s[8:9], s[0:1], 0xec
	s_wait_xcnt 0x0
	s_add_nc_u64 s[0:1], s[0:1], 24
	s_delay_alu instid0(VALU_DEP_1) | instskip(NEXT) | instid1(VALU_DEP_1)
	v_dual_add_nc_u32 v21, v20, v21 :: v_dual_sub_nc_u32 v22, v19, v22
	v_lshrrev_b32_e32 v19, s7, v21
	s_wait_kmcnt 0x0
	s_delay_alu instid0(VALU_DEP_2) | instskip(NEXT) | instid1(VALU_DEP_2)
	v_mad_u32 v15, v22, s12, v15
	v_mul_lo_u32 v21, v19, s11
	v_mad_u32 v16, v22, s14, v16
	v_mad_u32 v17, v22, s13, v17
	s_delay_alu instid0(VALU_DEP_3) | instskip(NEXT) | instid1(VALU_DEP_1)
	v_sub_nc_u32_e32 v20, v20, v21
	v_mad_u32 v15, v20, s15, v15
	s_delay_alu instid0(VALU_DEP_4) | instskip(NEXT) | instid1(VALU_DEP_4)
	v_mad_u32 v16, v20, s9, v16
	v_mad_u32 v17, v20, s8, v17
	s_cbranch_scc1 .LBB197_155
; %bb.156:
	s_bitcmp1_b32 s3, 0
	s_cselect_b32 s3, -1, 0
	s_delay_alu instid0(SALU_CYCLE_1)
	s_and_b32 vcc_lo, exec_lo, s3
	s_cbranch_vccnz .LBB197_159
; %bb.157:
	s_clause 0x1
	s_load_b96 s[4:6], s[0:1], 0x1c
	s_load_b96 s[8:10], s[0:1], 0xdc
	s_wait_kmcnt 0x0
	v_mul_hi_u32 v20, s5, v19
	s_delay_alu instid0(VALU_DEP_1) | instskip(NEXT) | instid1(VALU_DEP_1)
	v_add_nc_u32_e32 v20, v19, v20
	v_lshrrev_b32_e32 v20, s6, v20
	s_delay_alu instid0(VALU_DEP_1) | instskip(NEXT) | instid1(VALU_DEP_1)
	v_mul_lo_u32 v20, v20, s4
	v_sub_nc_u32_e32 v19, v19, v20
	s_delay_alu instid0(VALU_DEP_1)
	v_mad_u32 v15, v19, s8, v15
	v_mad_u32 v17, v19, s9, v17
	;; [unrolled: 1-line block ×3, first 2 shown]
	s_and_not1_b32 vcc_lo, exec_lo, s2
	s_cbranch_vccz .LBB197_160
	s_branch .LBB197_163
.LBB197_158:
	s_mov_b32 s2, -1
                                        ; implicit-def: $vgpr16
                                        ; implicit-def: $vgpr17
                                        ; implicit-def: $vgpr15
.LBB197_159:
	s_delay_alu instid0(SALU_CYCLE_1)
	s_and_not1_b32 vcc_lo, exec_lo, s2
	s_cbranch_vccnz .LBB197_163
.LBB197_160:
	s_clause 0x1
	s_load_b96 s[0:2], s[20:21], 0x4
	s_load_b96 s[4:6], s[20:21], 0xc4
	s_cmp_lt_u32 s26, 2
	s_wait_kmcnt 0x0
	v_mul_hi_u32 v15, s1, v18
	s_delay_alu instid0(VALU_DEP_1) | instskip(NEXT) | instid1(VALU_DEP_1)
	v_add_nc_u32_e32 v15, v18, v15
	v_lshrrev_b32_e32 v19, s2, v15
	s_delay_alu instid0(VALU_DEP_1) | instskip(NEXT) | instid1(VALU_DEP_1)
	v_mul_lo_u32 v15, v19, s0
	v_sub_nc_u32_e32 v17, v18, v15
	s_delay_alu instid0(VALU_DEP_1)
	v_mul_lo_u32 v15, v17, s4
	v_mul_lo_u32 v16, v17, s6
	;; [unrolled: 1-line block ×3, first 2 shown]
	s_cbranch_scc1 .LBB197_163
; %bb.161:
	s_clause 0x1
	s_load_b96 s[0:2], s[20:21], 0x10
	s_load_b96 s[4:6], s[20:21], 0xd0
	s_wait_kmcnt 0x0
	v_mul_hi_u32 v18, s1, v19
	s_delay_alu instid0(VALU_DEP_1) | instskip(NEXT) | instid1(VALU_DEP_1)
	v_add_nc_u32_e32 v18, v19, v18
	v_lshrrev_b32_e32 v18, s2, v18
	s_delay_alu instid0(VALU_DEP_1) | instskip(NEXT) | instid1(VALU_DEP_1)
	v_mul_lo_u32 v18, v18, s0
	v_sub_nc_u32_e32 v18, v19, v18
	s_delay_alu instid0(VALU_DEP_1)
	v_mad_u32 v15, v18, s4, v15
	v_mad_u32 v17, v18, s5, v17
	;; [unrolled: 1-line block ×3, first 2 shown]
	s_branch .LBB197_163
.LBB197_162:
	v_dual_mov_b32 v16, 0 :: v_dual_mov_b32 v17, 0
	v_mov_b32_e32 v15, 0
	s_and_not1_b32 vcc_lo, exec_lo, s2
	s_cbranch_vccz .LBB197_160
.LBB197_163:
	v_cmp_ne_u32_e32 vcc_lo, 1, v8
	v_add_nc_u32_e32 v21, 0x280, v0
	s_cbranch_vccnz .LBB197_169
; %bb.164:
	s_cmp_lg_u32 s26, 0
	s_mov_b32 s2, 0
	s_cbranch_scc0 .LBB197_173
; %bb.165:
	s_min_u32 s3, s27, 15
	v_dual_mov_b32 v18, 0 :: v_dual_mov_b32 v22, v21
	v_dual_mov_b32 v20, 0 :: v_dual_mov_b32 v19, 0
	s_add_co_i32 s4, s3, 1
	s_mov_b64 s[0:1], 0xffffffffffffffe8
	s_and_b32 s4, s4, 30
	s_add_nc_u64 s[0:1], s[20:21], s[0:1]
.LBB197_166:                            ; =>This Inner Loop Header: Depth=1
	s_clause 0x1
	s_load_b128 s[8:11], s[0:1], 0x1c
	s_load_b64 s[6:7], s[0:1], 0x2c
	s_add_co_i32 s4, s4, -2
	s_delay_alu instid0(SALU_CYCLE_1) | instskip(SKIP_2) | instid1(VALU_DEP_1)
	s_cmp_lg_u32 s4, 0
	s_wait_kmcnt 0x0
	v_mul_hi_u32 v23, s9, v22
	v_add_nc_u32_e32 v23, v22, v23
	s_delay_alu instid0(VALU_DEP_1) | instskip(NEXT) | instid1(VALU_DEP_1)
	v_lshrrev_b32_e32 v23, s10, v23
	v_mul_hi_u32 v24, s6, v23
	v_mul_lo_u32 v25, v23, s8
	s_clause 0x1
	s_load_b128 s[12:15], s[0:1], 0xdc
	s_load_b64 s[8:9], s[0:1], 0xec
	s_wait_xcnt 0x0
	s_add_nc_u64 s[0:1], s[0:1], 24
	s_delay_alu instid0(VALU_DEP_1) | instskip(NEXT) | instid1(VALU_DEP_1)
	v_dual_add_nc_u32 v24, v23, v24 :: v_dual_sub_nc_u32 v25, v22, v25
	v_lshrrev_b32_e32 v22, s7, v24
	s_wait_kmcnt 0x0
	s_delay_alu instid0(VALU_DEP_2) | instskip(NEXT) | instid1(VALU_DEP_2)
	v_mad_u32 v18, v25, s12, v18
	v_mul_lo_u32 v24, v22, s11
	v_mad_u32 v19, v25, s14, v19
	v_mad_u32 v20, v25, s13, v20
	s_delay_alu instid0(VALU_DEP_3) | instskip(NEXT) | instid1(VALU_DEP_1)
	v_sub_nc_u32_e32 v23, v23, v24
	v_mad_u32 v18, v23, s15, v18
	s_delay_alu instid0(VALU_DEP_4) | instskip(NEXT) | instid1(VALU_DEP_4)
	v_mad_u32 v19, v23, s9, v19
	v_mad_u32 v20, v23, s8, v20
	s_cbranch_scc1 .LBB197_166
; %bb.167:
	s_bitcmp1_b32 s3, 0
	s_cselect_b32 s3, -1, 0
	s_delay_alu instid0(SALU_CYCLE_1)
	s_and_b32 vcc_lo, exec_lo, s3
	s_cbranch_vccnz .LBB197_170
; %bb.168:
	s_clause 0x1
	s_load_b96 s[4:6], s[0:1], 0x1c
	s_load_b96 s[8:10], s[0:1], 0xdc
	s_wait_kmcnt 0x0
	v_mul_hi_u32 v23, s5, v22
	s_delay_alu instid0(VALU_DEP_1) | instskip(NEXT) | instid1(VALU_DEP_1)
	v_add_nc_u32_e32 v23, v22, v23
	v_lshrrev_b32_e32 v23, s6, v23
	s_delay_alu instid0(VALU_DEP_1) | instskip(NEXT) | instid1(VALU_DEP_1)
	v_mul_lo_u32 v23, v23, s4
	v_sub_nc_u32_e32 v22, v22, v23
	s_delay_alu instid0(VALU_DEP_1)
	v_mad_u32 v18, v22, s8, v18
	v_mad_u32 v20, v22, s9, v20
	;; [unrolled: 1-line block ×3, first 2 shown]
	s_and_not1_b32 vcc_lo, exec_lo, s2
	s_cbranch_vccz .LBB197_171
	s_branch .LBB197_174
.LBB197_169:
	s_mov_b32 s2, -1
                                        ; implicit-def: $vgpr19
                                        ; implicit-def: $vgpr20
                                        ; implicit-def: $vgpr18
.LBB197_170:
	s_delay_alu instid0(SALU_CYCLE_1)
	s_and_not1_b32 vcc_lo, exec_lo, s2
	s_cbranch_vccnz .LBB197_174
.LBB197_171:
	s_clause 0x1
	s_load_b96 s[0:2], s[20:21], 0x4
	s_load_b96 s[4:6], s[20:21], 0xc4
	s_cmp_lt_u32 s26, 2
	s_wait_kmcnt 0x0
	v_mul_hi_u32 v18, s1, v21
	s_delay_alu instid0(VALU_DEP_1) | instskip(NEXT) | instid1(VALU_DEP_1)
	v_add_nc_u32_e32 v18, v21, v18
	v_lshrrev_b32_e32 v22, s2, v18
	s_delay_alu instid0(VALU_DEP_1) | instskip(NEXT) | instid1(VALU_DEP_1)
	v_mul_lo_u32 v18, v22, s0
	v_sub_nc_u32_e32 v20, v21, v18
	s_delay_alu instid0(VALU_DEP_1)
	v_mul_lo_u32 v18, v20, s4
	v_mul_lo_u32 v19, v20, s6
	;; [unrolled: 1-line block ×3, first 2 shown]
	s_cbranch_scc1 .LBB197_174
; %bb.172:
	s_clause 0x1
	s_load_b96 s[0:2], s[20:21], 0x10
	s_load_b96 s[4:6], s[20:21], 0xd0
	s_wait_kmcnt 0x0
	v_mul_hi_u32 v21, s1, v22
	s_delay_alu instid0(VALU_DEP_1) | instskip(NEXT) | instid1(VALU_DEP_1)
	v_add_nc_u32_e32 v21, v22, v21
	v_lshrrev_b32_e32 v21, s2, v21
	s_delay_alu instid0(VALU_DEP_1) | instskip(NEXT) | instid1(VALU_DEP_1)
	v_mul_lo_u32 v21, v21, s0
	v_sub_nc_u32_e32 v21, v22, v21
	s_delay_alu instid0(VALU_DEP_1)
	v_mad_u32 v18, v21, s4, v18
	v_mad_u32 v20, v21, s5, v20
	;; [unrolled: 1-line block ×3, first 2 shown]
	s_branch .LBB197_174
.LBB197_173:
	v_dual_mov_b32 v19, 0 :: v_dual_mov_b32 v20, 0
	v_mov_b32_e32 v18, 0
	s_and_not1_b32 vcc_lo, exec_lo, s2
	s_cbranch_vccz .LBB197_171
.LBB197_174:
	v_cmp_ne_u32_e32 vcc_lo, 1, v8
	v_add_nc_u32_e32 v23, 0x300, v0
	s_cbranch_vccnz .LBB197_180
; %bb.175:
	s_cmp_lg_u32 s26, 0
	s_mov_b32 s2, 0
	s_cbranch_scc0 .LBB197_184
; %bb.176:
	s_min_u32 s3, s27, 15
	v_dual_mov_b32 v0, 0 :: v_dual_mov_b32 v24, v23
	v_dual_mov_b32 v21, 0 :: v_dual_mov_b32 v22, 0
	s_add_co_i32 s4, s3, 1
	s_mov_b64 s[0:1], 0xffffffffffffffe8
	s_and_b32 s4, s4, 30
	s_add_nc_u64 s[0:1], s[20:21], s[0:1]
.LBB197_177:                            ; =>This Inner Loop Header: Depth=1
	s_clause 0x1
	s_load_b128 s[8:11], s[0:1], 0x1c
	s_load_b64 s[6:7], s[0:1], 0x2c
	s_add_co_i32 s4, s4, -2
	s_delay_alu instid0(SALU_CYCLE_1) | instskip(SKIP_2) | instid1(VALU_DEP_1)
	s_cmp_lg_u32 s4, 0
	s_wait_kmcnt 0x0
	v_mul_hi_u32 v25, s9, v24
	v_add_nc_u32_e32 v25, v24, v25
	s_delay_alu instid0(VALU_DEP_1) | instskip(NEXT) | instid1(VALU_DEP_1)
	v_lshrrev_b32_e32 v25, s10, v25
	v_mul_hi_u32 v26, s6, v25
	v_mul_lo_u32 v27, v25, s8
	s_clause 0x1
	s_load_b128 s[12:15], s[0:1], 0xdc
	s_load_b64 s[8:9], s[0:1], 0xec
	s_wait_xcnt 0x0
	s_add_nc_u64 s[0:1], s[0:1], 24
	s_delay_alu instid0(VALU_DEP_1) | instskip(NEXT) | instid1(VALU_DEP_1)
	v_dual_add_nc_u32 v26, v25, v26 :: v_dual_sub_nc_u32 v27, v24, v27
	v_lshrrev_b32_e32 v24, s7, v26
	s_wait_kmcnt 0x0
	s_delay_alu instid0(VALU_DEP_2) | instskip(NEXT) | instid1(VALU_DEP_2)
	v_mad_u32 v0, v27, s12, v0
	v_mul_lo_u32 v26, v24, s11
	v_mad_u32 v22, v27, s14, v22
	v_mad_u32 v21, v27, s13, v21
	s_delay_alu instid0(VALU_DEP_3) | instskip(NEXT) | instid1(VALU_DEP_1)
	v_sub_nc_u32_e32 v25, v25, v26
	v_mad_u32 v0, v25, s15, v0
	s_delay_alu instid0(VALU_DEP_4) | instskip(NEXT) | instid1(VALU_DEP_4)
	v_mad_u32 v22, v25, s9, v22
	v_mad_u32 v21, v25, s8, v21
	s_cbranch_scc1 .LBB197_177
; %bb.178:
	s_bitcmp1_b32 s3, 0
	s_cselect_b32 s3, -1, 0
	s_delay_alu instid0(SALU_CYCLE_1)
	s_and_b32 vcc_lo, exec_lo, s3
	s_cbranch_vccnz .LBB197_181
; %bb.179:
	s_clause 0x1
	s_load_b96 s[4:6], s[0:1], 0x1c
	s_load_b96 s[8:10], s[0:1], 0xdc
	s_wait_kmcnt 0x0
	v_mul_hi_u32 v25, s5, v24
	s_delay_alu instid0(VALU_DEP_1) | instskip(NEXT) | instid1(VALU_DEP_1)
	v_add_nc_u32_e32 v25, v24, v25
	v_lshrrev_b32_e32 v25, s6, v25
	s_delay_alu instid0(VALU_DEP_1) | instskip(NEXT) | instid1(VALU_DEP_1)
	v_mul_lo_u32 v25, v25, s4
	v_sub_nc_u32_e32 v24, v24, v25
	s_delay_alu instid0(VALU_DEP_1)
	v_mad_u32 v0, v24, s8, v0
	v_mad_u32 v21, v24, s9, v21
	;; [unrolled: 1-line block ×3, first 2 shown]
	s_and_not1_b32 vcc_lo, exec_lo, s2
	s_cbranch_vccz .LBB197_182
	s_branch .LBB197_185
.LBB197_180:
	s_mov_b32 s2, -1
                                        ; implicit-def: $vgpr22
                                        ; implicit-def: $vgpr21
                                        ; implicit-def: $vgpr0
.LBB197_181:
	s_delay_alu instid0(SALU_CYCLE_1)
	s_and_not1_b32 vcc_lo, exec_lo, s2
	s_cbranch_vccnz .LBB197_185
.LBB197_182:
	s_clause 0x1
	s_load_b96 s[0:2], s[20:21], 0x4
	s_load_b96 s[4:6], s[20:21], 0xc4
	s_cmp_lt_u32 s26, 2
	s_wait_kmcnt 0x0
	v_mul_hi_u32 v0, s1, v23
	s_delay_alu instid0(VALU_DEP_1) | instskip(NEXT) | instid1(VALU_DEP_1)
	v_add_nc_u32_e32 v0, v23, v0
	v_lshrrev_b32_e32 v24, s2, v0
	s_delay_alu instid0(VALU_DEP_1) | instskip(NEXT) | instid1(VALU_DEP_1)
	v_mul_lo_u32 v0, v24, s0
	v_sub_nc_u32_e32 v21, v23, v0
	s_delay_alu instid0(VALU_DEP_1)
	v_mul_lo_u32 v0, v21, s4
	v_mul_lo_u32 v22, v21, s6
	;; [unrolled: 1-line block ×3, first 2 shown]
	s_cbranch_scc1 .LBB197_185
; %bb.183:
	s_clause 0x1
	s_load_b96 s[0:2], s[20:21], 0x10
	s_load_b96 s[4:6], s[20:21], 0xd0
	s_wait_kmcnt 0x0
	v_mul_hi_u32 v23, s1, v24
	s_delay_alu instid0(VALU_DEP_1) | instskip(NEXT) | instid1(VALU_DEP_1)
	v_add_nc_u32_e32 v23, v24, v23
	v_lshrrev_b32_e32 v23, s2, v23
	s_delay_alu instid0(VALU_DEP_1) | instskip(NEXT) | instid1(VALU_DEP_1)
	v_mul_lo_u32 v23, v23, s0
	v_sub_nc_u32_e32 v23, v24, v23
	s_delay_alu instid0(VALU_DEP_1)
	v_mad_u32 v0, v23, s4, v0
	v_mad_u32 v21, v23, s5, v21
	;; [unrolled: 1-line block ×3, first 2 shown]
	s_branch .LBB197_185
.LBB197_184:
	v_dual_mov_b32 v22, 0 :: v_dual_mov_b32 v21, 0
	v_mov_b32_e32 v0, 0
	s_and_not1_b32 vcc_lo, exec_lo, s2
	s_cbranch_vccz .LBB197_182
.LBB197_185:
	v_cmp_ne_u32_e32 vcc_lo, 1, v8
	s_cbranch_vccnz .LBB197_191
; %bb.186:
	s_cmp_lg_u32 s26, 0
	s_mov_b32 s2, 0
	s_cbranch_scc0 .LBB197_195
; %bb.187:
	s_min_u32 s3, s27, 15
	v_dual_mov_b32 v8, 0 :: v_dual_mov_b32 v25, v4
	v_dual_mov_b32 v23, 0 :: v_dual_mov_b32 v24, 0
	s_add_co_i32 s4, s3, 1
	s_mov_b64 s[0:1], 0xffffffffffffffe8
	s_and_b32 s4, s4, 30
	s_add_nc_u64 s[0:1], s[20:21], s[0:1]
.LBB197_188:                            ; =>This Inner Loop Header: Depth=1
	s_clause 0x1
	s_load_b128 s[8:11], s[0:1], 0x1c
	s_load_b64 s[6:7], s[0:1], 0x2c
	s_add_co_i32 s4, s4, -2
	s_delay_alu instid0(SALU_CYCLE_1) | instskip(SKIP_2) | instid1(VALU_DEP_1)
	s_cmp_lg_u32 s4, 0
	s_wait_kmcnt 0x0
	v_mul_hi_u32 v26, s9, v25
	v_add_nc_u32_e32 v26, v25, v26
	s_delay_alu instid0(VALU_DEP_1) | instskip(NEXT) | instid1(VALU_DEP_1)
	v_lshrrev_b32_e32 v26, s10, v26
	v_mul_hi_u32 v27, s6, v26
	v_mul_lo_u32 v28, v26, s8
	s_clause 0x1
	s_load_b128 s[12:15], s[0:1], 0xdc
	s_load_b64 s[8:9], s[0:1], 0xec
	s_wait_xcnt 0x0
	s_add_nc_u64 s[0:1], s[0:1], 24
	s_delay_alu instid0(VALU_DEP_1) | instskip(NEXT) | instid1(VALU_DEP_1)
	v_dual_add_nc_u32 v27, v26, v27 :: v_dual_sub_nc_u32 v28, v25, v28
	v_lshrrev_b32_e32 v25, s7, v27
	s_wait_kmcnt 0x0
	s_delay_alu instid0(VALU_DEP_2) | instskip(NEXT) | instid1(VALU_DEP_2)
	v_mad_u32 v8, v28, s12, v8
	v_mul_lo_u32 v27, v25, s11
	v_mad_u32 v24, v28, s14, v24
	v_mad_u32 v23, v28, s13, v23
	s_delay_alu instid0(VALU_DEP_3) | instskip(NEXT) | instid1(VALU_DEP_1)
	v_sub_nc_u32_e32 v26, v26, v27
	v_mad_u32 v8, v26, s15, v8
	s_delay_alu instid0(VALU_DEP_4) | instskip(NEXT) | instid1(VALU_DEP_4)
	v_mad_u32 v24, v26, s9, v24
	v_mad_u32 v23, v26, s8, v23
	s_cbranch_scc1 .LBB197_188
; %bb.189:
	s_bitcmp1_b32 s3, 0
	s_cselect_b32 s3, -1, 0
	s_delay_alu instid0(SALU_CYCLE_1)
	s_and_b32 vcc_lo, exec_lo, s3
	s_cbranch_vccnz .LBB197_192
; %bb.190:
	s_clause 0x1
	s_load_b96 s[4:6], s[0:1], 0x1c
	s_load_b96 s[8:10], s[0:1], 0xdc
	s_wait_kmcnt 0x0
	v_mul_hi_u32 v26, s5, v25
	s_delay_alu instid0(VALU_DEP_1) | instskip(NEXT) | instid1(VALU_DEP_1)
	v_add_nc_u32_e32 v26, v25, v26
	v_lshrrev_b32_e32 v26, s6, v26
	s_delay_alu instid0(VALU_DEP_1) | instskip(NEXT) | instid1(VALU_DEP_1)
	v_mul_lo_u32 v26, v26, s4
	v_sub_nc_u32_e32 v25, v25, v26
	s_delay_alu instid0(VALU_DEP_1)
	v_mad_u32 v8, v25, s8, v8
	v_mad_u32 v23, v25, s9, v23
	;; [unrolled: 1-line block ×3, first 2 shown]
	s_and_not1_b32 vcc_lo, exec_lo, s2
	s_cbranch_vccz .LBB197_193
	s_branch .LBB197_196
.LBB197_191:
	s_mov_b32 s2, -1
                                        ; implicit-def: $vgpr24
                                        ; implicit-def: $vgpr23
                                        ; implicit-def: $vgpr8
.LBB197_192:
	s_delay_alu instid0(SALU_CYCLE_1)
	s_and_not1_b32 vcc_lo, exec_lo, s2
	s_cbranch_vccnz .LBB197_196
.LBB197_193:
	s_clause 0x1
	s_load_b96 s[0:2], s[20:21], 0x4
	s_load_b96 s[4:6], s[20:21], 0xc4
	s_cmp_lt_u32 s26, 2
	s_wait_kmcnt 0x0
	v_mul_hi_u32 v8, s1, v4
	s_delay_alu instid0(VALU_DEP_1) | instskip(NEXT) | instid1(VALU_DEP_1)
	v_add_nc_u32_e32 v8, v4, v8
	v_lshrrev_b32_e32 v25, s2, v8
	s_delay_alu instid0(VALU_DEP_1) | instskip(NEXT) | instid1(VALU_DEP_1)
	v_mul_lo_u32 v8, v25, s0
	v_sub_nc_u32_e32 v4, v4, v8
	s_delay_alu instid0(VALU_DEP_1)
	v_mul_lo_u32 v8, v4, s4
	v_mul_lo_u32 v24, v4, s6
	;; [unrolled: 1-line block ×3, first 2 shown]
	s_cbranch_scc1 .LBB197_196
; %bb.194:
	s_clause 0x1
	s_load_b96 s[0:2], s[20:21], 0x10
	s_load_b96 s[4:6], s[20:21], 0xd0
	s_wait_kmcnt 0x0
	v_mul_hi_u32 v4, s1, v25
	s_delay_alu instid0(VALU_DEP_1) | instskip(NEXT) | instid1(VALU_DEP_1)
	v_add_nc_u32_e32 v4, v25, v4
	v_lshrrev_b32_e32 v4, s2, v4
	s_delay_alu instid0(VALU_DEP_1) | instskip(NEXT) | instid1(VALU_DEP_1)
	v_mul_lo_u32 v4, v4, s0
	v_sub_nc_u32_e32 v4, v25, v4
	s_delay_alu instid0(VALU_DEP_1)
	v_mad_u32 v8, v4, s4, v8
	v_mad_u32 v23, v4, s5, v23
	;; [unrolled: 1-line block ×3, first 2 shown]
	s_branch .LBB197_196
.LBB197_195:
	v_dual_mov_b32 v24, 0 :: v_dual_mov_b32 v23, 0
	v_mov_b32_e32 v8, 0
	s_and_not1_b32 vcc_lo, exec_lo, s2
	s_cbranch_vccz .LBB197_193
.LBB197_196:
	s_clause 0x1
	s_load_b96 s[4:6], s[20:21], 0x198
	s_load_b128 s[0:3], s[20:21], 0x188
	s_wait_kmcnt 0x0
	global_load_u16 v4, v3, s[4:5]
	global_load_u16 v25, v2, s[2:3]
	;; [unrolled: 1-line block ×15, first 2 shown]
                                        ; kill: killed $vgpr22
                                        ; kill: killed $vgpr17
                                        ; kill: killed $vgpr14
                                        ; kill: killed $vgpr7
                                        ; kill: killed $vgpr24
                                        ; kill: killed $vgpr20
                                        ; kill: killed $vgpr3
                                        ; kill: killed $sgpr4_sgpr5
                                        ; kill: killed $vgpr16
                                        ; kill: killed $vgpr11
                                        ; kill: killed $vgpr21
                                        ; kill: killed $vgpr6
                                        ; kill: killed $vgpr19
                                        ; kill: killed $vgpr13
                                        ; kill: killed $vgpr10
                                        ; kill: killed $vgpr2
	global_load_u16 v2, v23, s[2:3]
	s_cmp_eq_u32 s6, 0
	s_wait_loadcnt 0xe
	v_dual_lshlrev_b32 v3, 16, v4 :: v_dual_lshlrev_b32 v4, 16, v25
	s_wait_loadcnt 0xc
	s_wait_xcnt 0xc
	v_dual_lshlrev_b32 v6, 16, v26 :: v_dual_lshlrev_b32 v7, 16, v27
	s_wait_loadcnt 0xa
	s_wait_xcnt 0xa
	v_dual_lshlrev_b32 v10, 16, v28 :: v_dual_lshlrev_b32 v11, 16, v29
	v_cmp_eq_f32_e32 vcc_lo, v4, v3
	s_wait_loadcnt 0x8
	s_wait_xcnt 0x8
	v_dual_lshlrev_b32 v13, 16, v30 :: v_dual_lshlrev_b32 v14, 16, v31
	s_wait_loadcnt 0x6
	s_wait_xcnt 0x6
	v_dual_lshlrev_b32 v16, 16, v32 :: v_dual_lshlrev_b32 v17, 16, v33
	s_wait_xcnt 0x1
	v_cndmask_b32_e64 v24, 0, 1, vcc_lo
	v_cmp_neq_f32_e32 vcc_lo, v4, v3
	s_wait_loadcnt 0x4
	v_dual_lshlrev_b32 v19, 16, v34 :: v_dual_lshlrev_b32 v20, 16, v35
	s_wait_loadcnt 0x2
	v_dual_lshlrev_b32 v21, 16, v36 :: v_dual_lshlrev_b32 v22, 16, v37
	v_cndmask_b32_e64 v3, 0, 1, vcc_lo
	v_cmp_eq_f32_e32 vcc_lo, v7, v6
	s_wait_loadcnt 0x1
	s_wait_xcnt 0x0
	v_lshlrev_b32_e32 v23, 16, v38
	v_cndmask_b32_e64 v4, 0, 1, vcc_lo
	v_cmp_neq_f32_e32 vcc_lo, v7, v6
	v_cndmask_b32_e64 v6, 0, 1, vcc_lo
	v_cmp_eq_f32_e32 vcc_lo, v11, v10
	s_wait_loadcnt 0x0
	v_lshlrev_b32_e32 v2, 16, v2
	v_cndmask_b32_e64 v7, 0, 1, vcc_lo
	v_cmp_neq_f32_e32 vcc_lo, v11, v10
	v_cndmask_b32_e64 v10, 0, 1, vcc_lo
	v_cmp_eq_f32_e32 vcc_lo, v14, v13
	v_cndmask_b32_e64 v11, 0, 1, vcc_lo
	v_cmp_neq_f32_e32 vcc_lo, v14, v13
	v_cndmask_b32_e64 v13, 0, 1, vcc_lo
	v_cmp_eq_f32_e32 vcc_lo, v17, v16
	;; [unrolled: 4-line block ×5, first 2 shown]
	v_cndmask_b32_e64 v22, 0, 1, vcc_lo
	v_cmp_neq_f32_e32 vcc_lo, v2, v23
	v_cndmask_b32_e64 v2, 0, 1, vcc_lo
	s_cselect_b32 vcc_lo, -1, 0
	v_cndmask_b32_e32 v3, v3, v24, vcc_lo
	v_cndmask_b32_e32 v4, v6, v4, vcc_lo
	v_dual_cndmask_b32 v6, v10, v7, vcc_lo :: v_dual_cndmask_b32 v10, v16, v14, vcc_lo
	v_dual_cndmask_b32 v7, v13, v11, vcc_lo :: v_dual_cndmask_b32 v11, v19, v17, vcc_lo
	v_dual_cndmask_b32 v13, v21, v20 :: v_dual_cndmask_b32 v2, v2, v22
	v_and_b32_e32 v3, 1, v3
	v_and_b32_e32 v4, 1, v4
	;; [unrolled: 1-line block ×8, first 2 shown]
	s_clause 0x7
	global_store_b8 v1, v3, s[0:1]
	global_store_b8 v5, v4, s[0:1]
	;; [unrolled: 1-line block ×8, first 2 shown]
	s_endpgm
	.section	.rodata,"a",@progbits
	.p2align	6, 0x0
	.amdhsa_kernel _ZN2at6native32elementwise_kernel_manual_unrollILi128ELi8EZNS0_22gpu_kernel_impl_nocastINS0_13BinaryFunctorIN3c108BFloat16ES5_bNS0_12_GLOBAL__N_116CompareEqFunctorIS5_EEEEEEvRNS_18TensorIteratorBaseERKT_EUlibE_EEviT1_
		.amdhsa_group_segment_fixed_size 0
		.amdhsa_private_segment_fixed_size 0
		.amdhsa_kernarg_size 432
		.amdhsa_user_sgpr_count 2
		.amdhsa_user_sgpr_dispatch_ptr 0
		.amdhsa_user_sgpr_queue_ptr 0
		.amdhsa_user_sgpr_kernarg_segment_ptr 1
		.amdhsa_user_sgpr_dispatch_id 0
		.amdhsa_user_sgpr_kernarg_preload_length 0
		.amdhsa_user_sgpr_kernarg_preload_offset 0
		.amdhsa_user_sgpr_private_segment_size 0
		.amdhsa_wavefront_size32 1
		.amdhsa_uses_dynamic_stack 0
		.amdhsa_enable_private_segment 0
		.amdhsa_system_sgpr_workgroup_id_x 1
		.amdhsa_system_sgpr_workgroup_id_y 0
		.amdhsa_system_sgpr_workgroup_id_z 0
		.amdhsa_system_sgpr_workgroup_info 0
		.amdhsa_system_vgpr_workitem_id 0
		.amdhsa_next_free_vgpr 39
		.amdhsa_next_free_sgpr 46
		.amdhsa_named_barrier_count 0
		.amdhsa_reserve_vcc 1
		.amdhsa_float_round_mode_32 0
		.amdhsa_float_round_mode_16_64 0
		.amdhsa_float_denorm_mode_32 3
		.amdhsa_float_denorm_mode_16_64 3
		.amdhsa_fp16_overflow 0
		.amdhsa_memory_ordered 1
		.amdhsa_forward_progress 1
		.amdhsa_inst_pref_size 88
		.amdhsa_round_robin_scheduling 0
		.amdhsa_exception_fp_ieee_invalid_op 0
		.amdhsa_exception_fp_denorm_src 0
		.amdhsa_exception_fp_ieee_div_zero 0
		.amdhsa_exception_fp_ieee_overflow 0
		.amdhsa_exception_fp_ieee_underflow 0
		.amdhsa_exception_fp_ieee_inexact 0
		.amdhsa_exception_int_div_zero 0
	.end_amdhsa_kernel
	.section	.text._ZN2at6native32elementwise_kernel_manual_unrollILi128ELi8EZNS0_22gpu_kernel_impl_nocastINS0_13BinaryFunctorIN3c108BFloat16ES5_bNS0_12_GLOBAL__N_116CompareEqFunctorIS5_EEEEEEvRNS_18TensorIteratorBaseERKT_EUlibE_EEviT1_,"axG",@progbits,_ZN2at6native32elementwise_kernel_manual_unrollILi128ELi8EZNS0_22gpu_kernel_impl_nocastINS0_13BinaryFunctorIN3c108BFloat16ES5_bNS0_12_GLOBAL__N_116CompareEqFunctorIS5_EEEEEEvRNS_18TensorIteratorBaseERKT_EUlibE_EEviT1_,comdat
.Lfunc_end197:
	.size	_ZN2at6native32elementwise_kernel_manual_unrollILi128ELi8EZNS0_22gpu_kernel_impl_nocastINS0_13BinaryFunctorIN3c108BFloat16ES5_bNS0_12_GLOBAL__N_116CompareEqFunctorIS5_EEEEEEvRNS_18TensorIteratorBaseERKT_EUlibE_EEviT1_, .Lfunc_end197-_ZN2at6native32elementwise_kernel_manual_unrollILi128ELi8EZNS0_22gpu_kernel_impl_nocastINS0_13BinaryFunctorIN3c108BFloat16ES5_bNS0_12_GLOBAL__N_116CompareEqFunctorIS5_EEEEEEvRNS_18TensorIteratorBaseERKT_EUlibE_EEviT1_
                                        ; -- End function
	.set _ZN2at6native32elementwise_kernel_manual_unrollILi128ELi8EZNS0_22gpu_kernel_impl_nocastINS0_13BinaryFunctorIN3c108BFloat16ES5_bNS0_12_GLOBAL__N_116CompareEqFunctorIS5_EEEEEEvRNS_18TensorIteratorBaseERKT_EUlibE_EEviT1_.num_vgpr, 39
	.set _ZN2at6native32elementwise_kernel_manual_unrollILi128ELi8EZNS0_22gpu_kernel_impl_nocastINS0_13BinaryFunctorIN3c108BFloat16ES5_bNS0_12_GLOBAL__N_116CompareEqFunctorIS5_EEEEEEvRNS_18TensorIteratorBaseERKT_EUlibE_EEviT1_.num_agpr, 0
	.set _ZN2at6native32elementwise_kernel_manual_unrollILi128ELi8EZNS0_22gpu_kernel_impl_nocastINS0_13BinaryFunctorIN3c108BFloat16ES5_bNS0_12_GLOBAL__N_116CompareEqFunctorIS5_EEEEEEvRNS_18TensorIteratorBaseERKT_EUlibE_EEviT1_.numbered_sgpr, 46
	.set _ZN2at6native32elementwise_kernel_manual_unrollILi128ELi8EZNS0_22gpu_kernel_impl_nocastINS0_13BinaryFunctorIN3c108BFloat16ES5_bNS0_12_GLOBAL__N_116CompareEqFunctorIS5_EEEEEEvRNS_18TensorIteratorBaseERKT_EUlibE_EEviT1_.num_named_barrier, 0
	.set _ZN2at6native32elementwise_kernel_manual_unrollILi128ELi8EZNS0_22gpu_kernel_impl_nocastINS0_13BinaryFunctorIN3c108BFloat16ES5_bNS0_12_GLOBAL__N_116CompareEqFunctorIS5_EEEEEEvRNS_18TensorIteratorBaseERKT_EUlibE_EEviT1_.private_seg_size, 0
	.set _ZN2at6native32elementwise_kernel_manual_unrollILi128ELi8EZNS0_22gpu_kernel_impl_nocastINS0_13BinaryFunctorIN3c108BFloat16ES5_bNS0_12_GLOBAL__N_116CompareEqFunctorIS5_EEEEEEvRNS_18TensorIteratorBaseERKT_EUlibE_EEviT1_.uses_vcc, 1
	.set _ZN2at6native32elementwise_kernel_manual_unrollILi128ELi8EZNS0_22gpu_kernel_impl_nocastINS0_13BinaryFunctorIN3c108BFloat16ES5_bNS0_12_GLOBAL__N_116CompareEqFunctorIS5_EEEEEEvRNS_18TensorIteratorBaseERKT_EUlibE_EEviT1_.uses_flat_scratch, 0
	.set _ZN2at6native32elementwise_kernel_manual_unrollILi128ELi8EZNS0_22gpu_kernel_impl_nocastINS0_13BinaryFunctorIN3c108BFloat16ES5_bNS0_12_GLOBAL__N_116CompareEqFunctorIS5_EEEEEEvRNS_18TensorIteratorBaseERKT_EUlibE_EEviT1_.has_dyn_sized_stack, 0
	.set _ZN2at6native32elementwise_kernel_manual_unrollILi128ELi8EZNS0_22gpu_kernel_impl_nocastINS0_13BinaryFunctorIN3c108BFloat16ES5_bNS0_12_GLOBAL__N_116CompareEqFunctorIS5_EEEEEEvRNS_18TensorIteratorBaseERKT_EUlibE_EEviT1_.has_recursion, 0
	.set _ZN2at6native32elementwise_kernel_manual_unrollILi128ELi8EZNS0_22gpu_kernel_impl_nocastINS0_13BinaryFunctorIN3c108BFloat16ES5_bNS0_12_GLOBAL__N_116CompareEqFunctorIS5_EEEEEEvRNS_18TensorIteratorBaseERKT_EUlibE_EEviT1_.has_indirect_call, 0
	.section	.AMDGPU.csdata,"",@progbits
; Kernel info:
; codeLenInByte = 11244
; TotalNumSgprs: 48
; NumVgprs: 39
; ScratchSize: 0
; MemoryBound: 0
; FloatMode: 240
; IeeeMode: 1
; LDSByteSize: 0 bytes/workgroup (compile time only)
; SGPRBlocks: 0
; VGPRBlocks: 2
; NumSGPRsForWavesPerEU: 48
; NumVGPRsForWavesPerEU: 39
; NamedBarCnt: 0
; Occupancy: 16
; WaveLimiterHint : 1
; COMPUTE_PGM_RSRC2:SCRATCH_EN: 0
; COMPUTE_PGM_RSRC2:USER_SGPR: 2
; COMPUTE_PGM_RSRC2:TRAP_HANDLER: 0
; COMPUTE_PGM_RSRC2:TGID_X_EN: 1
; COMPUTE_PGM_RSRC2:TGID_Y_EN: 0
; COMPUTE_PGM_RSRC2:TGID_Z_EN: 0
; COMPUTE_PGM_RSRC2:TIDIG_COMP_CNT: 0
	.section	.text._ZN2at6native32elementwise_kernel_manual_unrollILi128ELi4EZNS0_15gpu_kernel_implINS0_13BinaryFunctorIN3c108BFloat16ES5_bNS0_12_GLOBAL__N_116CompareEqFunctorIS5_EEEEEEvRNS_18TensorIteratorBaseERKT_EUlibE_EEviT1_,"axG",@progbits,_ZN2at6native32elementwise_kernel_manual_unrollILi128ELi4EZNS0_15gpu_kernel_implINS0_13BinaryFunctorIN3c108BFloat16ES5_bNS0_12_GLOBAL__N_116CompareEqFunctorIS5_EEEEEEvRNS_18TensorIteratorBaseERKT_EUlibE_EEviT1_,comdat
	.globl	_ZN2at6native32elementwise_kernel_manual_unrollILi128ELi4EZNS0_15gpu_kernel_implINS0_13BinaryFunctorIN3c108BFloat16ES5_bNS0_12_GLOBAL__N_116CompareEqFunctorIS5_EEEEEEvRNS_18TensorIteratorBaseERKT_EUlibE_EEviT1_ ; -- Begin function _ZN2at6native32elementwise_kernel_manual_unrollILi128ELi4EZNS0_15gpu_kernel_implINS0_13BinaryFunctorIN3c108BFloat16ES5_bNS0_12_GLOBAL__N_116CompareEqFunctorIS5_EEEEEEvRNS_18TensorIteratorBaseERKT_EUlibE_EEviT1_
	.p2align	8
	.type	_ZN2at6native32elementwise_kernel_manual_unrollILi128ELi4EZNS0_15gpu_kernel_implINS0_13BinaryFunctorIN3c108BFloat16ES5_bNS0_12_GLOBAL__N_116CompareEqFunctorIS5_EEEEEEvRNS_18TensorIteratorBaseERKT_EUlibE_EEviT1_,@function
_ZN2at6native32elementwise_kernel_manual_unrollILi128ELi4EZNS0_15gpu_kernel_implINS0_13BinaryFunctorIN3c108BFloat16ES5_bNS0_12_GLOBAL__N_116CompareEqFunctorIS5_EEEEEEvRNS_18TensorIteratorBaseERKT_EUlibE_EEviT1_: ; @_ZN2at6native32elementwise_kernel_manual_unrollILi128ELi4EZNS0_15gpu_kernel_implINS0_13BinaryFunctorIN3c108BFloat16ES5_bNS0_12_GLOBAL__N_116CompareEqFunctorIS5_EEEEEEvRNS_18TensorIteratorBaseERKT_EUlibE_EEviT1_
; %bb.0:
	s_load_b32 s3, s[0:1], 0x30
	s_bfe_u32 s8, ttmp6, 0x4000c
	s_clause 0x1
	s_load_b32 s19, s[0:1], 0x0
	s_load_b128 s[4:7], s[0:1], 0x8
	s_add_co_i32 s14, s8, 1
	s_clause 0x1
	s_load_b64 s[12:13], s[0:1], 0x18
	s_load_b128 s[8:11], s[0:1], 0x20
	s_and_b32 s2, ttmp6, 15
	s_wait_xcnt 0x0
	s_mul_i32 s0, ttmp9, s14
	s_getreg_b32 s15, hwreg(HW_REG_IB_STS2, 6, 4)
	s_add_co_i32 s2, s2, s0
	s_mov_b32 s18, 0
	s_wait_kmcnt 0x0
	s_lshr_b32 s16, s3, 8
	s_lshr_b32 s14, s3, 16
	s_cmp_eq_u32 s15, 0
	s_mov_b32 s15, 0
	s_cselect_b32 s0, ttmp9, s2
	s_delay_alu instid0(SALU_CYCLE_1) | instskip(SKIP_1) | instid1(VALU_DEP_1)
	v_lshl_or_b32 v6, s0, 9, v0
	s_mov_b32 s0, exec_lo
	v_or_b32_e32 v0, 0x180, v6
	s_delay_alu instid0(VALU_DEP_1)
	v_cmpx_le_i32_e64 s19, v0
	s_xor_b32 s17, exec_lo, s0
	s_cbranch_execz .LBB198_1547
; %bb.1:
	s_cmp_eq_u32 s11, 0
	s_mov_b32 s23, 0
	s_cselect_b32 s0, -1, 0
	s_mov_b32 s1, -1
	s_mov_b32 s21, 0
	s_mov_b32 s20, 0
	s_mov_b32 s22, exec_lo
	v_cmpx_gt_i32_e64 s19, v6
	s_cbranch_execz .LBB198_382
; %bb.2:
	v_mul_lo_u32 v0, v6, s9
	s_and_b32 s1, s16, 0xff
	s_delay_alu instid0(SALU_CYCLE_1) | instskip(NEXT) | instid1(VALU_DEP_1)
	s_cmp_lt_i32 s1, 11
	v_ashrrev_i32_e32 v1, 31, v0
	s_delay_alu instid0(VALU_DEP_1)
	v_add_nc_u64_e32 v[0:1], s[6:7], v[0:1]
	s_cbranch_scc1 .LBB198_9
; %bb.3:
	s_and_b32 s2, 0xffff, s1
	s_delay_alu instid0(SALU_CYCLE_1)
	s_cmp_gt_i32 s2, 25
	s_cbranch_scc0 .LBB198_18
; %bb.4:
	s_cmp_gt_i32 s2, 28
	s_cbranch_scc0 .LBB198_28
; %bb.5:
	;; [unrolled: 3-line block ×4, first 2 shown]
	s_cmp_eq_u32 s2, 46
	s_cbranch_scc0 .LBB198_37
; %bb.8:
	global_load_b32 v2, v[0:1], off
	s_mov_b32 s18, -1
	s_branch .LBB198_39
.LBB198_9:
                                        ; implicit-def: $vgpr2
	s_cbranch_execnz .LBB198_105
.LBB198_10:
	s_and_not1_b32 vcc_lo, exec_lo, s18
	s_cbranch_vccnz .LBB198_152
.LBB198_11:
	s_wait_xcnt 0x0
	v_mul_lo_u32 v0, v6, s10
	s_and_b32 s1, s14, 0xff
	s_delay_alu instid0(SALU_CYCLE_1) | instskip(NEXT) | instid1(VALU_DEP_1)
	s_cmp_lt_i32 s1, 11
	v_ashrrev_i32_e32 v1, 31, v0
	s_delay_alu instid0(VALU_DEP_1)
	v_add_nc_u64_e32 v[0:1], s[12:13], v[0:1]
	s_cbranch_scc1 .LBB198_19
; %bb.12:
	s_and_b32 s2, 0xffff, s1
	s_delay_alu instid0(SALU_CYCLE_1)
	s_cmp_gt_i32 s2, 25
	s_cbranch_scc0 .LBB198_29
; %bb.13:
	s_cmp_gt_i32 s2, 28
	s_cbranch_scc0 .LBB198_32
; %bb.14:
	;; [unrolled: 3-line block ×4, first 2 shown]
	s_cmp_eq_u32 s2, 46
	s_mov_b32 s24, 0
	s_cbranch_scc0 .LBB198_153
; %bb.17:
	global_load_b32 v3, v[0:1], off
	s_mov_b32 s18, -1
	s_mov_b32 s20, 0
	s_branch .LBB198_155
.LBB198_18:
                                        ; implicit-def: $vgpr2
	s_cbranch_execnz .LBB198_70
	s_branch .LBB198_104
.LBB198_19:
	s_mov_b32 s20, 0
	s_mov_b32 s18, 0
                                        ; implicit-def: $vgpr3
	s_cbranch_execnz .LBB198_331
.LBB198_20:
	s_and_not1_b32 vcc_lo, exec_lo, s18
	s_cbranch_vccnz .LBB198_379
.LBB198_21:
	s_wait_loadcnt 0x0
	s_delay_alu instid0(VALU_DEP_1) | instskip(SKIP_2) | instid1(SALU_CYCLE_1)
	v_dual_lshlrev_b32 v1, 16, v3 :: v_dual_lshlrev_b32 v2, 16, v2
	v_mul_lo_u32 v0, v6, s8
	s_and_b32 s18, s3, 0xff
	s_cmp_lt_i32 s18, 11
	s_delay_alu instid0(VALU_DEP_2) | instskip(SKIP_3) | instid1(VALU_DEP_1)
	v_cmp_eq_f32_e32 vcc_lo, v2, v1
	v_cndmask_b32_e64 v3, 0, 1, vcc_lo
	v_cmp_neq_f32_e32 vcc_lo, v2, v1
	v_cndmask_b32_e64 v1, 0, 1, vcc_lo
	v_dual_cndmask_b32 v2, v1, v3, s0 :: v_dual_ashrrev_i32 v1, 31, v0
	s_delay_alu instid0(VALU_DEP_1) | instskip(NEXT) | instid1(VALU_DEP_2)
	v_and_b32_e32 v2, 1, v2
	v_add_nc_u64_e32 v[0:1], s[4:5], v[0:1]
	s_delay_alu instid0(VALU_DEP_2)
	v_cmp_eq_u32_e64 s1, 1, v2
	s_cbranch_scc1 .LBB198_30
; %bb.22:
	s_and_b32 s24, 0xffff, s18
	s_delay_alu instid0(SALU_CYCLE_1)
	s_cmp_gt_i32 s24, 25
	s_cbranch_scc0 .LBB198_33
; %bb.23:
	s_cmp_gt_i32 s24, 28
	s_cbranch_scc0 .LBB198_36
; %bb.24:
	;; [unrolled: 3-line block ×4, first 2 shown]
	s_mov_b32 s26, 0
	s_mov_b32 s2, -1
	s_cmp_eq_u32 s24, 46
	s_mov_b32 s25, 0
	s_cbranch_scc0 .LBB198_159
; %bb.27:
	v_cndmask_b32_e64 v2, 0, 1.0, s1
	s_mov_b32 s25, -1
	s_mov_b32 s2, 0
	s_delay_alu instid0(VALU_DEP_1) | instskip(NEXT) | instid1(VALU_DEP_1)
	v_bfe_u32 v3, v2, 16, 1
	v_add3_u32 v2, v2, v3, 0x7fff
	s_delay_alu instid0(VALU_DEP_1)
	v_lshrrev_b32_e32 v2, 16, v2
	global_store_b32 v[0:1], v2, off
	s_branch .LBB198_159
.LBB198_28:
	s_mov_b32 s20, -1
                                        ; implicit-def: $vgpr2
	s_branch .LBB198_51
.LBB198_29:
	s_mov_b32 s24, -1
	s_mov_b32 s20, 0
	s_mov_b32 s18, 0
                                        ; implicit-def: $vgpr3
	s_branch .LBB198_295
.LBB198_30:
	s_mov_b32 s24, -1
	s_mov_b32 s2, 0
	s_mov_b32 s25, 0
	s_branch .LBB198_228
.LBB198_31:
	s_mov_b32 s20, -1
                                        ; implicit-def: $vgpr2
	s_branch .LBB198_46
.LBB198_32:
	s_mov_b32 s24, -1
	s_mov_b32 s20, 0
	s_mov_b32 s18, 0
                                        ; implicit-def: $vgpr3
	s_branch .LBB198_276
.LBB198_33:
	s_mov_b32 s26, -1
	s_mov_b32 s2, 0
	s_mov_b32 s25, 0
	s_branch .LBB198_186
.LBB198_34:
	s_mov_b32 s20, -1
	s_branch .LBB198_38
.LBB198_35:
	s_mov_b32 s24, -1
	s_mov_b32 s20, 0
	s_mov_b32 s18, 0
                                        ; implicit-def: $vgpr3
	s_branch .LBB198_271
.LBB198_36:
	s_mov_b32 s26, -1
	s_mov_b32 s2, 0
	s_mov_b32 s25, 0
	s_branch .LBB198_169
.LBB198_37:
	s_mov_b32 s21, -1
.LBB198_38:
                                        ; implicit-def: $vgpr2
.LBB198_39:
	s_and_b32 vcc_lo, exec_lo, s20
	s_cbranch_vccz .LBB198_45
; %bb.40:
	s_cmp_eq_u32 s2, 44
	s_cbranch_scc0 .LBB198_44
; %bb.41:
	s_wait_loadcnt 0x0
	global_load_u8 v2, v[0:1], off
	s_mov_b32 s21, 0
	s_mov_b32 s18, -1
	s_wait_loadcnt 0x0
	v_lshlrev_b32_e32 v3, 23, v2
	v_cmp_ne_u32_e32 vcc_lo, 0xff, v2
	s_delay_alu instid0(VALU_DEP_2) | instskip(SKIP_1) | instid1(VALU_DEP_2)
	v_cndmask_b32_e32 v3, 0x7f800001, v3, vcc_lo
	v_cmp_ne_u32_e32 vcc_lo, 0, v2
	v_cndmask_b32_e32 v2, 0x400000, v3, vcc_lo
	s_delay_alu instid0(VALU_DEP_1) | instskip(NEXT) | instid1(VALU_DEP_1)
	v_add_nc_u32_e32 v3, 0x7fff, v2
	v_lshrrev_b32_e32 v3, 16, v3
	v_cmp_o_f32_e32 vcc_lo, v2, v2
	s_delay_alu instid0(VALU_DEP_2)
	v_cndmask_b32_e32 v2, 0x7fc0, v3, vcc_lo
	s_branch .LBB198_45
.LBB198_42:
	s_mov_b32 s24, -1
	s_mov_b32 s20, 0
	s_branch .LBB198_154
.LBB198_43:
	s_mov_b32 s26, -1
	s_mov_b32 s2, 0
	s_mov_b32 s25, 0
	s_branch .LBB198_165
.LBB198_44:
	s_mov_b32 s21, -1
                                        ; implicit-def: $vgpr2
.LBB198_45:
	s_mov_b32 s20, 0
.LBB198_46:
	s_delay_alu instid0(SALU_CYCLE_1)
	s_and_b32 vcc_lo, exec_lo, s20
	s_cbranch_vccz .LBB198_50
; %bb.47:
	s_cmp_eq_u32 s2, 29
	s_cbranch_scc0 .LBB198_49
; %bb.48:
	s_wait_loadcnt 0x0
	global_load_b64 v[2:3], v[0:1], off
	s_mov_b32 s18, -1
	s_mov_b32 s21, 0
	s_mov_b32 s20, 0
	s_wait_loadcnt 0x0
	v_clz_i32_u32_e32 v4, v3
	s_delay_alu instid0(VALU_DEP_1) | instskip(NEXT) | instid1(VALU_DEP_1)
	v_min_u32_e32 v4, 32, v4
	v_lshlrev_b64_e32 v[2:3], v4, v[2:3]
	s_delay_alu instid0(VALU_DEP_1) | instskip(NEXT) | instid1(VALU_DEP_1)
	v_min_u32_e32 v2, 1, v2
	v_dual_sub_nc_u32 v3, 32, v4 :: v_dual_bitop2_b32 v2, v3, v2 bitop3:0x54
	s_delay_alu instid0(VALU_DEP_1) | instskip(NEXT) | instid1(VALU_DEP_1)
	v_cvt_f32_u32_e32 v2, v2
	v_ldexp_f32 v2, v2, v3
	s_delay_alu instid0(VALU_DEP_1) | instskip(NEXT) | instid1(VALU_DEP_1)
	v_bfe_u32 v3, v2, 16, 1
	v_add3_u32 v2, v2, v3, 0x7fff
	s_delay_alu instid0(VALU_DEP_1)
	v_lshrrev_b32_e32 v2, 16, v2
	s_branch .LBB198_51
.LBB198_49:
	s_mov_b32 s21, -1
                                        ; implicit-def: $vgpr2
.LBB198_50:
	s_mov_b32 s20, 0
.LBB198_51:
	s_delay_alu instid0(SALU_CYCLE_1)
	s_and_b32 vcc_lo, exec_lo, s20
	s_cbranch_vccz .LBB198_69
; %bb.52:
	s_cmp_lt_i32 s2, 27
	s_cbranch_scc1 .LBB198_55
; %bb.53:
	s_cmp_gt_i32 s2, 27
	s_cbranch_scc0 .LBB198_56
; %bb.54:
	s_wait_loadcnt 0x0
	global_load_b32 v2, v[0:1], off
	s_mov_b32 s18, 0
	s_wait_loadcnt 0x0
	v_cvt_f32_u32_e32 v2, v2
	s_delay_alu instid0(VALU_DEP_1) | instskip(NEXT) | instid1(VALU_DEP_1)
	v_bfe_u32 v3, v2, 16, 1
	v_add3_u32 v2, v2, v3, 0x7fff
	s_delay_alu instid0(VALU_DEP_1)
	v_lshrrev_b32_e32 v2, 16, v2
	s_branch .LBB198_57
.LBB198_55:
	s_mov_b32 s18, -1
                                        ; implicit-def: $vgpr2
	s_branch .LBB198_60
.LBB198_56:
	s_mov_b32 s18, -1
                                        ; implicit-def: $vgpr2
.LBB198_57:
	s_delay_alu instid0(SALU_CYCLE_1)
	s_and_not1_b32 vcc_lo, exec_lo, s18
	s_cbranch_vccnz .LBB198_59
; %bb.58:
	s_wait_loadcnt 0x0
	global_load_u16 v2, v[0:1], off
	s_wait_loadcnt 0x0
	v_cvt_f32_u32_e32 v2, v2
	s_delay_alu instid0(VALU_DEP_1) | instskip(NEXT) | instid1(VALU_DEP_1)
	v_bfe_u32 v3, v2, 16, 1
	v_add3_u32 v2, v2, v3, 0x7fff
	s_delay_alu instid0(VALU_DEP_1)
	v_lshrrev_b32_e32 v2, 16, v2
.LBB198_59:
	s_mov_b32 s18, 0
.LBB198_60:
	s_delay_alu instid0(SALU_CYCLE_1)
	s_and_not1_b32 vcc_lo, exec_lo, s18
	s_cbranch_vccnz .LBB198_68
; %bb.61:
	s_wait_loadcnt 0x0
	global_load_u8 v2, v[0:1], off
	s_mov_b32 s18, 0
	s_mov_b32 s20, exec_lo
	s_wait_loadcnt 0x0
	v_cmpx_lt_i16_e32 0x7f, v2
	s_xor_b32 s20, exec_lo, s20
	s_cbranch_execz .LBB198_81
; %bb.62:
	s_mov_b32 s18, -1
	s_mov_b32 s24, exec_lo
	v_cmpx_eq_u16_e32 0x80, v2
; %bb.63:
	s_xor_b32 s18, exec_lo, -1
; %bb.64:
	s_or_b32 exec_lo, exec_lo, s24
	s_delay_alu instid0(SALU_CYCLE_1)
	s_and_b32 s18, s18, exec_lo
	s_or_saveexec_b32 s20, s20
	v_mov_b32_e32 v3, 0x7f800001
	s_xor_b32 exec_lo, exec_lo, s20
	s_cbranch_execnz .LBB198_82
.LBB198_65:
	s_or_b32 exec_lo, exec_lo, s20
	s_and_saveexec_b32 s20, s18
	s_cbranch_execz .LBB198_67
.LBB198_66:
	v_and_b32_e32 v3, 0xffff, v2
	s_delay_alu instid0(VALU_DEP_1) | instskip(SKIP_1) | instid1(VALU_DEP_2)
	v_and_b32_e32 v4, 7, v3
	v_bfe_u32 v8, v3, 3, 4
	v_clz_i32_u32_e32 v5, v4
	s_delay_alu instid0(VALU_DEP_2) | instskip(NEXT) | instid1(VALU_DEP_2)
	v_cmp_eq_u32_e32 vcc_lo, 0, v8
	v_min_u32_e32 v5, 32, v5
	s_delay_alu instid0(VALU_DEP_1) | instskip(NEXT) | instid1(VALU_DEP_1)
	v_subrev_nc_u32_e32 v7, 28, v5
	v_dual_lshlrev_b32 v3, v7, v3 :: v_dual_sub_nc_u32 v5, 29, v5
	s_delay_alu instid0(VALU_DEP_1) | instskip(NEXT) | instid1(VALU_DEP_2)
	v_dual_lshlrev_b32 v2, 24, v2 :: v_dual_bitop2_b32 v3, 7, v3 bitop3:0x40
	v_cndmask_b32_e32 v5, v8, v5, vcc_lo
	s_delay_alu instid0(VALU_DEP_2) | instskip(NEXT) | instid1(VALU_DEP_3)
	v_cndmask_b32_e32 v3, v4, v3, vcc_lo
	v_and_b32_e32 v2, 0x80000000, v2
	s_delay_alu instid0(VALU_DEP_3) | instskip(NEXT) | instid1(VALU_DEP_3)
	v_lshl_add_u32 v4, v5, 23, 0x3b800000
	v_lshlrev_b32_e32 v3, 20, v3
	s_delay_alu instid0(VALU_DEP_1)
	v_or3_b32 v3, v2, v4, v3
.LBB198_67:
	s_or_b32 exec_lo, exec_lo, s20
	s_delay_alu instid0(VALU_DEP_1) | instskip(SKIP_1) | instid1(VALU_DEP_2)
	v_bfe_u32 v2, v3, 16, 1
	v_cmp_o_f32_e32 vcc_lo, v3, v3
	v_add3_u32 v2, v3, v2, 0x7fff
	s_delay_alu instid0(VALU_DEP_1) | instskip(NEXT) | instid1(VALU_DEP_1)
	v_lshrrev_b32_e32 v2, 16, v2
	v_cndmask_b32_e32 v2, 0x7fc0, v2, vcc_lo
.LBB198_68:
	s_mov_b32 s18, -1
.LBB198_69:
	s_branch .LBB198_104
.LBB198_70:
	s_cmp_gt_i32 s2, 22
	s_cbranch_scc0 .LBB198_80
; %bb.71:
	s_cmp_lt_i32 s2, 24
	s_cbranch_scc1 .LBB198_83
; %bb.72:
	s_cmp_gt_i32 s2, 24
	s_cbranch_scc0 .LBB198_84
; %bb.73:
	s_wait_loadcnt 0x0
	global_load_u8 v2, v[0:1], off
	s_mov_b32 s18, 0
	s_mov_b32 s20, exec_lo
	s_wait_loadcnt 0x0
	v_cmpx_lt_i16_e32 0x7f, v2
	s_xor_b32 s20, exec_lo, s20
	s_cbranch_execz .LBB198_96
; %bb.74:
	s_mov_b32 s18, -1
	s_mov_b32 s24, exec_lo
	v_cmpx_eq_u16_e32 0x80, v2
; %bb.75:
	s_xor_b32 s18, exec_lo, -1
; %bb.76:
	s_or_b32 exec_lo, exec_lo, s24
	s_delay_alu instid0(SALU_CYCLE_1)
	s_and_b32 s18, s18, exec_lo
	s_or_saveexec_b32 s20, s20
	v_mov_b32_e32 v3, 0x7f800001
	s_xor_b32 exec_lo, exec_lo, s20
	s_cbranch_execnz .LBB198_97
.LBB198_77:
	s_or_b32 exec_lo, exec_lo, s20
	s_and_saveexec_b32 s20, s18
	s_cbranch_execz .LBB198_79
.LBB198_78:
	v_and_b32_e32 v3, 0xffff, v2
	s_delay_alu instid0(VALU_DEP_1) | instskip(SKIP_1) | instid1(VALU_DEP_2)
	v_and_b32_e32 v4, 3, v3
	v_bfe_u32 v8, v3, 2, 5
	v_clz_i32_u32_e32 v5, v4
	s_delay_alu instid0(VALU_DEP_2) | instskip(NEXT) | instid1(VALU_DEP_2)
	v_cmp_eq_u32_e32 vcc_lo, 0, v8
	v_min_u32_e32 v5, 32, v5
	s_delay_alu instid0(VALU_DEP_1) | instskip(NEXT) | instid1(VALU_DEP_1)
	v_subrev_nc_u32_e32 v7, 29, v5
	v_dual_lshlrev_b32 v3, v7, v3 :: v_dual_sub_nc_u32 v5, 30, v5
	s_delay_alu instid0(VALU_DEP_1) | instskip(NEXT) | instid1(VALU_DEP_2)
	v_dual_lshlrev_b32 v2, 24, v2 :: v_dual_bitop2_b32 v3, 3, v3 bitop3:0x40
	v_cndmask_b32_e32 v5, v8, v5, vcc_lo
	s_delay_alu instid0(VALU_DEP_2) | instskip(NEXT) | instid1(VALU_DEP_3)
	v_cndmask_b32_e32 v3, v4, v3, vcc_lo
	v_and_b32_e32 v2, 0x80000000, v2
	s_delay_alu instid0(VALU_DEP_3) | instskip(NEXT) | instid1(VALU_DEP_3)
	v_lshl_add_u32 v4, v5, 23, 0x37800000
	v_lshlrev_b32_e32 v3, 21, v3
	s_delay_alu instid0(VALU_DEP_1)
	v_or3_b32 v3, v2, v4, v3
.LBB198_79:
	s_or_b32 exec_lo, exec_lo, s20
	s_delay_alu instid0(VALU_DEP_1) | instskip(SKIP_2) | instid1(VALU_DEP_2)
	v_bfe_u32 v2, v3, 16, 1
	v_cmp_o_f32_e32 vcc_lo, v3, v3
	s_mov_b32 s18, 0
	v_add3_u32 v2, v3, v2, 0x7fff
	s_delay_alu instid0(VALU_DEP_1) | instskip(NEXT) | instid1(VALU_DEP_1)
	v_lshrrev_b32_e32 v2, 16, v2
	v_cndmask_b32_e32 v2, 0x7fc0, v2, vcc_lo
	s_branch .LBB198_85
.LBB198_80:
	s_mov_b32 s20, -1
                                        ; implicit-def: $vgpr2
	s_branch .LBB198_91
.LBB198_81:
	s_or_saveexec_b32 s20, s20
	v_mov_b32_e32 v3, 0x7f800001
	s_xor_b32 exec_lo, exec_lo, s20
	s_cbranch_execz .LBB198_65
.LBB198_82:
	v_cmp_ne_u16_e32 vcc_lo, 0, v2
	v_mov_b32_e32 v3, 0
	s_and_not1_b32 s18, s18, exec_lo
	s_and_b32 s24, vcc_lo, exec_lo
	s_delay_alu instid0(SALU_CYCLE_1)
	s_or_b32 s18, s18, s24
	s_or_b32 exec_lo, exec_lo, s20
	s_and_saveexec_b32 s20, s18
	s_cbranch_execnz .LBB198_66
	s_branch .LBB198_67
.LBB198_83:
	s_mov_b32 s18, -1
                                        ; implicit-def: $vgpr2
	s_branch .LBB198_88
.LBB198_84:
	s_mov_b32 s18, -1
                                        ; implicit-def: $vgpr2
.LBB198_85:
	s_delay_alu instid0(SALU_CYCLE_1)
	s_and_b32 vcc_lo, exec_lo, s18
	s_cbranch_vccz .LBB198_87
; %bb.86:
	s_wait_loadcnt 0x0
	global_load_u8 v2, v[0:1], off
	s_wait_loadcnt 0x0
	v_lshlrev_b32_e32 v2, 24, v2
	s_delay_alu instid0(VALU_DEP_1) | instskip(NEXT) | instid1(VALU_DEP_1)
	v_and_b32_e32 v3, 0x7f000000, v2
	v_clz_i32_u32_e32 v4, v3
	v_add_nc_u32_e32 v7, 0x1000000, v3
	v_cmp_ne_u32_e32 vcc_lo, 0, v3
	s_delay_alu instid0(VALU_DEP_3) | instskip(NEXT) | instid1(VALU_DEP_1)
	v_min_u32_e32 v4, 32, v4
	v_sub_nc_u32_e64 v4, v4, 4 clamp
	s_delay_alu instid0(VALU_DEP_1) | instskip(NEXT) | instid1(VALU_DEP_1)
	v_dual_lshlrev_b32 v5, v4, v3 :: v_dual_lshlrev_b32 v4, 23, v4
	v_lshrrev_b32_e32 v5, 4, v5
	s_delay_alu instid0(VALU_DEP_1) | instskip(NEXT) | instid1(VALU_DEP_1)
	v_dual_sub_nc_u32 v4, v5, v4 :: v_dual_ashrrev_i32 v5, 8, v7
	v_add_nc_u32_e32 v4, 0x3c000000, v4
	s_delay_alu instid0(VALU_DEP_1) | instskip(NEXT) | instid1(VALU_DEP_1)
	v_and_or_b32 v4, 0x7f800000, v5, v4
	v_cndmask_b32_e32 v3, 0, v4, vcc_lo
	s_delay_alu instid0(VALU_DEP_1) | instskip(SKIP_1) | instid1(VALU_DEP_2)
	v_and_or_b32 v2, 0x80000000, v2, v3
	v_bfe_u32 v3, v3, 16, 1
	v_cmp_o_f32_e32 vcc_lo, v2, v2
	s_delay_alu instid0(VALU_DEP_2) | instskip(NEXT) | instid1(VALU_DEP_1)
	v_add3_u32 v3, v2, v3, 0x7fff
	v_lshrrev_b32_e32 v3, 16, v3
	s_delay_alu instid0(VALU_DEP_1)
	v_cndmask_b32_e32 v2, 0x7fc0, v3, vcc_lo
.LBB198_87:
	s_mov_b32 s18, 0
.LBB198_88:
	s_delay_alu instid0(SALU_CYCLE_1)
	s_and_not1_b32 vcc_lo, exec_lo, s18
	s_cbranch_vccnz .LBB198_90
; %bb.89:
	s_wait_loadcnt 0x0
	global_load_u8 v2, v[0:1], off
	s_wait_loadcnt 0x0
	v_lshlrev_b32_e32 v3, 25, v2
	v_lshlrev_b16 v2, 8, v2
	s_delay_alu instid0(VALU_DEP_1) | instskip(SKIP_1) | instid1(VALU_DEP_2)
	v_and_or_b32 v5, 0x7f00, v2, 0.5
	v_bfe_i32 v2, v2, 0, 16
	v_dual_add_f32 v5, -0.5, v5 :: v_dual_lshrrev_b32 v4, 4, v3
	v_cmp_gt_u32_e32 vcc_lo, 0x8000000, v3
	s_delay_alu instid0(VALU_DEP_2) | instskip(NEXT) | instid1(VALU_DEP_1)
	v_or_b32_e32 v4, 0x70000000, v4
	v_mul_f32_e32 v4, 0x7800000, v4
	s_delay_alu instid0(VALU_DEP_1) | instskip(NEXT) | instid1(VALU_DEP_1)
	v_cndmask_b32_e32 v3, v4, v5, vcc_lo
	v_and_or_b32 v2, 0x80000000, v2, v3
	v_bfe_u32 v3, v3, 16, 1
	s_delay_alu instid0(VALU_DEP_2) | instskip(NEXT) | instid1(VALU_DEP_2)
	v_cmp_o_f32_e32 vcc_lo, v2, v2
	v_add3_u32 v3, v2, v3, 0x7fff
	s_delay_alu instid0(VALU_DEP_1) | instskip(NEXT) | instid1(VALU_DEP_1)
	v_lshrrev_b32_e32 v3, 16, v3
	v_cndmask_b32_e32 v2, 0x7fc0, v3, vcc_lo
.LBB198_90:
	s_mov_b32 s20, 0
	s_mov_b32 s18, -1
.LBB198_91:
	s_and_not1_b32 vcc_lo, exec_lo, s20
	s_cbranch_vccnz .LBB198_104
; %bb.92:
	s_cmp_gt_i32 s2, 14
	s_cbranch_scc0 .LBB198_95
; %bb.93:
	s_cmp_eq_u32 s2, 15
	s_cbranch_scc0 .LBB198_98
; %bb.94:
	s_wait_loadcnt 0x0
	global_load_u16 v2, v[0:1], off
	s_mov_b32 s18, -1
	s_mov_b32 s21, 0
	s_branch .LBB198_99
.LBB198_95:
	s_mov_b32 s20, -1
                                        ; implicit-def: $vgpr2
	s_branch .LBB198_100
.LBB198_96:
	s_or_saveexec_b32 s20, s20
	v_mov_b32_e32 v3, 0x7f800001
	s_xor_b32 exec_lo, exec_lo, s20
	s_cbranch_execz .LBB198_77
.LBB198_97:
	v_cmp_ne_u16_e32 vcc_lo, 0, v2
	v_mov_b32_e32 v3, 0
	s_and_not1_b32 s18, s18, exec_lo
	s_and_b32 s24, vcc_lo, exec_lo
	s_delay_alu instid0(SALU_CYCLE_1)
	s_or_b32 s18, s18, s24
	s_or_b32 exec_lo, exec_lo, s20
	s_and_saveexec_b32 s20, s18
	s_cbranch_execnz .LBB198_78
	s_branch .LBB198_79
.LBB198_98:
	s_mov_b32 s21, -1
                                        ; implicit-def: $vgpr2
.LBB198_99:
	s_mov_b32 s20, 0
.LBB198_100:
	s_delay_alu instid0(SALU_CYCLE_1)
	s_and_b32 vcc_lo, exec_lo, s20
	s_cbranch_vccz .LBB198_104
; %bb.101:
	s_cmp_eq_u32 s2, 11
	s_cbranch_scc0 .LBB198_103
; %bb.102:
	s_wait_loadcnt 0x0
	global_load_u8 v2, v[0:1], off
	s_mov_b32 s21, 0
	s_mov_b32 s18, -1
	s_wait_loadcnt 0x0
	v_cmp_ne_u16_e32 vcc_lo, 0, v2
	v_cndmask_b32_e64 v2, 0, 1.0, vcc_lo
	s_delay_alu instid0(VALU_DEP_1)
	v_lshrrev_b32_e32 v2, 16, v2
	s_branch .LBB198_104
.LBB198_103:
	s_mov_b32 s21, -1
                                        ; implicit-def: $vgpr2
.LBB198_104:
	s_branch .LBB198_10
.LBB198_105:
	s_and_b32 s1, 0xffff, s1
	s_delay_alu instid0(SALU_CYCLE_1)
	s_cmp_lt_i32 s1, 5
	s_cbranch_scc1 .LBB198_110
; %bb.106:
	s_cmp_lt_i32 s1, 8
	s_cbranch_scc1 .LBB198_111
; %bb.107:
	;; [unrolled: 3-line block ×3, first 2 shown]
	s_cmp_gt_i32 s1, 9
	s_cbranch_scc0 .LBB198_113
; %bb.109:
	s_wait_loadcnt 0x0
	global_load_b64 v[2:3], v[0:1], off
	s_mov_b32 s2, 0
	s_wait_loadcnt 0x0
	v_cvt_f32_f64_e32 v2, v[2:3]
	s_delay_alu instid0(VALU_DEP_1) | instskip(SKIP_1) | instid1(VALU_DEP_2)
	v_bfe_u32 v3, v2, 16, 1
	v_cmp_o_f32_e32 vcc_lo, v2, v2
	v_add3_u32 v3, v2, v3, 0x7fff
	s_delay_alu instid0(VALU_DEP_1) | instskip(NEXT) | instid1(VALU_DEP_1)
	v_lshrrev_b32_e32 v3, 16, v3
	v_cndmask_b32_e32 v2, 0x7fc0, v3, vcc_lo
	s_branch .LBB198_114
.LBB198_110:
                                        ; implicit-def: $vgpr2
	s_branch .LBB198_132
.LBB198_111:
	s_mov_b32 s2, -1
                                        ; implicit-def: $vgpr2
	s_branch .LBB198_120
.LBB198_112:
	s_mov_b32 s2, -1
                                        ; implicit-def: $vgpr2
	s_branch .LBB198_117
.LBB198_113:
	s_mov_b32 s2, -1
                                        ; implicit-def: $vgpr2
.LBB198_114:
	s_delay_alu instid0(SALU_CYCLE_1)
	s_and_not1_b32 vcc_lo, exec_lo, s2
	s_cbranch_vccnz .LBB198_116
; %bb.115:
	s_wait_loadcnt 0x0
	global_load_b32 v2, v[0:1], off
	s_wait_loadcnt 0x0
	v_bfe_u32 v3, v2, 16, 1
	v_cmp_o_f32_e32 vcc_lo, v2, v2
	s_delay_alu instid0(VALU_DEP_2) | instskip(NEXT) | instid1(VALU_DEP_1)
	v_add3_u32 v3, v2, v3, 0x7fff
	v_lshrrev_b32_e32 v3, 16, v3
	s_delay_alu instid0(VALU_DEP_1)
	v_cndmask_b32_e32 v2, 0x7fc0, v3, vcc_lo
.LBB198_116:
	s_mov_b32 s2, 0
.LBB198_117:
	s_delay_alu instid0(SALU_CYCLE_1)
	s_and_not1_b32 vcc_lo, exec_lo, s2
	s_cbranch_vccnz .LBB198_119
; %bb.118:
	s_wait_loadcnt 0x0
	global_load_b32 v2, v[0:1], off
	s_wait_loadcnt 0x0
	v_cvt_f32_f16_e32 v3, v2
	v_cmp_o_f16_e32 vcc_lo, v2, v2
	s_delay_alu instid0(VALU_DEP_2) | instskip(NEXT) | instid1(VALU_DEP_1)
	v_bfe_u32 v4, v3, 16, 1
	v_add3_u32 v3, v3, v4, 0x7fff
	s_delay_alu instid0(VALU_DEP_1) | instskip(NEXT) | instid1(VALU_DEP_1)
	v_lshrrev_b32_e32 v3, 16, v3
	v_cndmask_b32_e32 v2, 0x7fc0, v3, vcc_lo
.LBB198_119:
	s_mov_b32 s2, 0
.LBB198_120:
	s_delay_alu instid0(SALU_CYCLE_1)
	s_and_not1_b32 vcc_lo, exec_lo, s2
	s_cbranch_vccnz .LBB198_131
; %bb.121:
	s_cmp_lt_i32 s1, 6
	s_cbranch_scc1 .LBB198_124
; %bb.122:
	s_cmp_gt_i32 s1, 6
	s_cbranch_scc0 .LBB198_125
; %bb.123:
	s_wait_loadcnt 0x0
	global_load_b64 v[2:3], v[0:1], off
	s_mov_b32 s2, 0
	s_wait_loadcnt 0x0
	v_cvt_f32_f64_e32 v2, v[2:3]
	s_delay_alu instid0(VALU_DEP_1) | instskip(SKIP_1) | instid1(VALU_DEP_2)
	v_bfe_u32 v3, v2, 16, 1
	v_cmp_o_f32_e32 vcc_lo, v2, v2
	v_add3_u32 v3, v2, v3, 0x7fff
	s_delay_alu instid0(VALU_DEP_1) | instskip(NEXT) | instid1(VALU_DEP_1)
	v_lshrrev_b32_e32 v3, 16, v3
	v_cndmask_b32_e32 v2, 0x7fc0, v3, vcc_lo
	s_branch .LBB198_126
.LBB198_124:
	s_mov_b32 s2, -1
                                        ; implicit-def: $vgpr2
	s_branch .LBB198_129
.LBB198_125:
	s_mov_b32 s2, -1
                                        ; implicit-def: $vgpr2
.LBB198_126:
	s_delay_alu instid0(SALU_CYCLE_1)
	s_and_not1_b32 vcc_lo, exec_lo, s2
	s_cbranch_vccnz .LBB198_128
; %bb.127:
	s_wait_loadcnt 0x0
	global_load_b32 v2, v[0:1], off
	s_wait_loadcnt 0x0
	v_bfe_u32 v3, v2, 16, 1
	v_cmp_o_f32_e32 vcc_lo, v2, v2
	s_delay_alu instid0(VALU_DEP_2) | instskip(NEXT) | instid1(VALU_DEP_1)
	v_add3_u32 v3, v2, v3, 0x7fff
	v_lshrrev_b32_e32 v3, 16, v3
	s_delay_alu instid0(VALU_DEP_1)
	v_cndmask_b32_e32 v2, 0x7fc0, v3, vcc_lo
.LBB198_128:
	s_mov_b32 s2, 0
.LBB198_129:
	s_delay_alu instid0(SALU_CYCLE_1)
	s_and_not1_b32 vcc_lo, exec_lo, s2
	s_cbranch_vccnz .LBB198_131
; %bb.130:
	s_wait_loadcnt 0x0
	global_load_u16 v2, v[0:1], off
	s_wait_loadcnt 0x0
	v_cvt_f32_f16_e32 v3, v2
	v_cmp_o_f16_e32 vcc_lo, v2, v2
	s_delay_alu instid0(VALU_DEP_2) | instskip(NEXT) | instid1(VALU_DEP_1)
	v_bfe_u32 v4, v3, 16, 1
	v_add3_u32 v3, v3, v4, 0x7fff
	s_delay_alu instid0(VALU_DEP_1) | instskip(NEXT) | instid1(VALU_DEP_1)
	v_lshrrev_b32_e32 v3, 16, v3
	v_cndmask_b32_e32 v2, 0x7fc0, v3, vcc_lo
.LBB198_131:
	s_cbranch_execnz .LBB198_151
.LBB198_132:
	s_cmp_lt_i32 s1, 2
	s_cbranch_scc1 .LBB198_136
; %bb.133:
	s_cmp_lt_i32 s1, 3
	s_cbranch_scc1 .LBB198_137
; %bb.134:
	s_cmp_gt_i32 s1, 3
	s_cbranch_scc0 .LBB198_138
; %bb.135:
	s_wait_loadcnt 0x0
	global_load_b64 v[2:3], v[0:1], off
	s_mov_b32 s2, 0
	s_wait_loadcnt 0x0
	v_xor_b32_e32 v4, v2, v3
	v_cls_i32_e32 v5, v3
	s_delay_alu instid0(VALU_DEP_2) | instskip(NEXT) | instid1(VALU_DEP_1)
	v_ashrrev_i32_e32 v4, 31, v4
	v_add_nc_u32_e32 v4, 32, v4
	s_delay_alu instid0(VALU_DEP_1) | instskip(NEXT) | instid1(VALU_DEP_1)
	v_add_min_u32_e64 v4, v5, -1, v4
	v_lshlrev_b64_e32 v[2:3], v4, v[2:3]
	s_delay_alu instid0(VALU_DEP_1) | instskip(NEXT) | instid1(VALU_DEP_1)
	v_min_u32_e32 v2, 1, v2
	v_dual_sub_nc_u32 v3, 32, v4 :: v_dual_bitop2_b32 v2, v3, v2 bitop3:0x54
	s_delay_alu instid0(VALU_DEP_1) | instskip(NEXT) | instid1(VALU_DEP_1)
	v_cvt_f32_i32_e32 v2, v2
	v_ldexp_f32 v2, v2, v3
	s_delay_alu instid0(VALU_DEP_1) | instskip(NEXT) | instid1(VALU_DEP_1)
	v_bfe_u32 v3, v2, 16, 1
	v_add3_u32 v2, v2, v3, 0x7fff
	s_delay_alu instid0(VALU_DEP_1)
	v_lshrrev_b32_e32 v2, 16, v2
	s_branch .LBB198_139
.LBB198_136:
	s_mov_b32 s2, -1
                                        ; implicit-def: $vgpr2
	s_branch .LBB198_145
.LBB198_137:
	s_mov_b32 s2, -1
                                        ; implicit-def: $vgpr2
	s_branch .LBB198_142
.LBB198_138:
	s_mov_b32 s2, -1
                                        ; implicit-def: $vgpr2
.LBB198_139:
	s_delay_alu instid0(SALU_CYCLE_1)
	s_and_not1_b32 vcc_lo, exec_lo, s2
	s_cbranch_vccnz .LBB198_141
; %bb.140:
	s_wait_loadcnt 0x0
	global_load_b32 v2, v[0:1], off
	s_wait_loadcnt 0x0
	v_cvt_f32_i32_e32 v2, v2
	s_delay_alu instid0(VALU_DEP_1) | instskip(NEXT) | instid1(VALU_DEP_1)
	v_bfe_u32 v3, v2, 16, 1
	v_add3_u32 v2, v2, v3, 0x7fff
	s_delay_alu instid0(VALU_DEP_1)
	v_lshrrev_b32_e32 v2, 16, v2
.LBB198_141:
	s_mov_b32 s2, 0
.LBB198_142:
	s_delay_alu instid0(SALU_CYCLE_1)
	s_and_not1_b32 vcc_lo, exec_lo, s2
	s_cbranch_vccnz .LBB198_144
; %bb.143:
	s_wait_loadcnt 0x0
	global_load_i16 v2, v[0:1], off
	s_wait_loadcnt 0x0
	v_cvt_f32_i32_e32 v2, v2
	s_delay_alu instid0(VALU_DEP_1) | instskip(NEXT) | instid1(VALU_DEP_1)
	v_bfe_u32 v3, v2, 16, 1
	v_add3_u32 v2, v2, v3, 0x7fff
	s_delay_alu instid0(VALU_DEP_1)
	v_lshrrev_b32_e32 v2, 16, v2
.LBB198_144:
	s_mov_b32 s2, 0
.LBB198_145:
	s_delay_alu instid0(SALU_CYCLE_1)
	s_and_not1_b32 vcc_lo, exec_lo, s2
	s_cbranch_vccnz .LBB198_151
; %bb.146:
	s_cmp_gt_i32 s1, 0
	s_mov_b32 s1, 0
	s_cbranch_scc0 .LBB198_148
; %bb.147:
	s_wait_loadcnt 0x0
	global_load_i8 v2, v[0:1], off
	s_wait_loadcnt 0x0
	v_cvt_f32_i32_e32 v2, v2
	s_delay_alu instid0(VALU_DEP_1) | instskip(NEXT) | instid1(VALU_DEP_1)
	v_bfe_u32 v3, v2, 16, 1
	v_add3_u32 v2, v2, v3, 0x7fff
	s_delay_alu instid0(VALU_DEP_1)
	v_lshrrev_b32_e32 v2, 16, v2
	s_branch .LBB198_149
.LBB198_148:
	s_mov_b32 s1, -1
                                        ; implicit-def: $vgpr2
.LBB198_149:
	s_delay_alu instid0(SALU_CYCLE_1)
	s_and_not1_b32 vcc_lo, exec_lo, s1
	s_cbranch_vccnz .LBB198_151
; %bb.150:
	global_load_u8 v0, v[0:1], off
	s_wait_loadcnt 0x0
	v_cvt_f32_ubyte0_e32 v0, v0
	s_delay_alu instid0(VALU_DEP_1) | instskip(NEXT) | instid1(VALU_DEP_1)
	v_bfe_u32 v1, v0, 16, 1
	v_add3_u32 v0, v0, v1, 0x7fff
	s_delay_alu instid0(VALU_DEP_1)
	v_lshrrev_b32_e32 v2, 16, v0
.LBB198_151:
	s_branch .LBB198_11
.LBB198_152:
	s_mov_b32 s2, 0
	s_mov_b32 s20, 0
	s_branch .LBB198_380
.LBB198_153:
	s_mov_b32 s20, -1
.LBB198_154:
	s_mov_b32 s18, 0
                                        ; implicit-def: $vgpr3
.LBB198_155:
	s_and_b32 vcc_lo, exec_lo, s24
	s_cbranch_vccz .LBB198_270
; %bb.156:
	s_cmp_eq_u32 s2, 44
	s_cbranch_scc0 .LBB198_269
; %bb.157:
	s_wait_loadcnt 0x0
	global_load_u8 v3, v[0:1], off
	s_mov_b32 s20, 0
	s_mov_b32 s18, -1
	s_wait_loadcnt 0x0
	v_lshlrev_b32_e32 v4, 23, v3
	v_cmp_ne_u32_e32 vcc_lo, 0xff, v3
	s_delay_alu instid0(VALU_DEP_2) | instskip(SKIP_1) | instid1(VALU_DEP_2)
	v_cndmask_b32_e32 v4, 0x7f800001, v4, vcc_lo
	v_cmp_ne_u32_e32 vcc_lo, 0, v3
	v_cndmask_b32_e32 v3, 0x400000, v4, vcc_lo
	s_delay_alu instid0(VALU_DEP_1) | instskip(NEXT) | instid1(VALU_DEP_1)
	v_add_nc_u32_e32 v4, 0x7fff, v3
	v_lshrrev_b32_e32 v4, 16, v4
	v_cmp_o_f32_e32 vcc_lo, v3, v3
	s_delay_alu instid0(VALU_DEP_2)
	v_cndmask_b32_e32 v3, 0x7fc0, v4, vcc_lo
	s_branch .LBB198_270
.LBB198_158:
	s_mov_b32 s26, -1
	s_mov_b32 s2, 0
	s_mov_b32 s25, 0
.LBB198_159:
	s_and_b32 vcc_lo, exec_lo, s26
	s_cbranch_vccz .LBB198_164
; %bb.160:
	s_cmp_eq_u32 s24, 44
	s_mov_b32 s2, -1
	s_cbranch_scc0 .LBB198_164
; %bb.161:
	v_cndmask_b32_e64 v4, 0, 1.0, s1
	s_mov_b32 s25, exec_lo
	s_wait_xcnt 0x0
	s_delay_alu instid0(VALU_DEP_1) | instskip(NEXT) | instid1(VALU_DEP_1)
	v_dual_mov_b32 v3, 0xff :: v_dual_lshrrev_b32 v2, 23, v4
	v_cmpx_ne_u32_e32 0xff, v2
; %bb.162:
	v_and_b32_e32 v3, 0x400000, v4
	v_and_or_b32 v4, 0x3fffff, v4, v2
	s_delay_alu instid0(VALU_DEP_2) | instskip(NEXT) | instid1(VALU_DEP_2)
	v_cmp_ne_u32_e32 vcc_lo, 0, v3
	v_cmp_ne_u32_e64 s2, 0, v4
	s_and_b32 s2, vcc_lo, s2
	s_delay_alu instid0(SALU_CYCLE_1) | instskip(NEXT) | instid1(VALU_DEP_1)
	v_cndmask_b32_e64 v3, 0, 1, s2
	v_add_nc_u32_e32 v3, v2, v3
; %bb.163:
	s_or_b32 exec_lo, exec_lo, s25
	s_mov_b32 s25, -1
	s_mov_b32 s2, 0
	global_store_b8 v[0:1], v3, off
.LBB198_164:
	s_mov_b32 s26, 0
.LBB198_165:
	s_delay_alu instid0(SALU_CYCLE_1)
	s_and_b32 vcc_lo, exec_lo, s26
	s_cbranch_vccz .LBB198_168
; %bb.166:
	s_cmp_eq_u32 s24, 29
	s_mov_b32 s2, -1
	s_cbranch_scc0 .LBB198_168
; %bb.167:
	s_mov_b32 s2, 0
	s_wait_xcnt 0x0
	v_cndmask_b32_e64 v2, 0, 1, s1
	v_mov_b32_e32 v3, s2
	s_mov_b32 s25, -1
	s_mov_b32 s26, 0
	global_store_b64 v[0:1], v[2:3], off
	s_branch .LBB198_169
.LBB198_168:
	s_mov_b32 s26, 0
.LBB198_169:
	s_delay_alu instid0(SALU_CYCLE_1)
	s_and_b32 vcc_lo, exec_lo, s26
	s_cbranch_vccz .LBB198_185
; %bb.170:
	s_cmp_lt_i32 s24, 27
	s_mov_b32 s25, -1
	s_cbranch_scc1 .LBB198_176
; %bb.171:
	s_cmp_gt_i32 s24, 27
	s_cbranch_scc0 .LBB198_173
; %bb.172:
	s_wait_xcnt 0x0
	v_cndmask_b32_e64 v2, 0, 1, s1
	s_mov_b32 s25, 0
	global_store_b32 v[0:1], v2, off
.LBB198_173:
	s_and_not1_b32 vcc_lo, exec_lo, s25
	s_cbranch_vccnz .LBB198_175
; %bb.174:
	s_wait_xcnt 0x0
	v_cndmask_b32_e64 v2, 0, 1, s1
	global_store_b16 v[0:1], v2, off
.LBB198_175:
	s_mov_b32 s25, 0
.LBB198_176:
	s_delay_alu instid0(SALU_CYCLE_1)
	s_and_not1_b32 vcc_lo, exec_lo, s25
	s_cbranch_vccnz .LBB198_184
; %bb.177:
	s_wait_xcnt 0x0
	v_cndmask_b32_e64 v3, 0, 1.0, s1
	v_mov_b32_e32 v4, 0x80
	s_mov_b32 s25, exec_lo
	s_delay_alu instid0(VALU_DEP_2)
	v_cmpx_gt_u32_e32 0x43800000, v3
	s_cbranch_execz .LBB198_183
; %bb.178:
	s_mov_b32 s26, 0
	s_mov_b32 s27, exec_lo
                                        ; implicit-def: $vgpr2
	v_cmpx_lt_u32_e32 0x3bffffff, v3
	s_xor_b32 s27, exec_lo, s27
	s_cbranch_execz .LBB198_411
; %bb.179:
	v_bfe_u32 v2, v3, 20, 1
	s_mov_b32 s26, exec_lo
	s_delay_alu instid0(VALU_DEP_1) | instskip(NEXT) | instid1(VALU_DEP_1)
	v_add3_u32 v2, v3, v2, 0x487ffff
                                        ; implicit-def: $vgpr3
	v_lshrrev_b32_e32 v2, 20, v2
	s_and_not1_saveexec_b32 s27, s27
	s_cbranch_execnz .LBB198_412
.LBB198_180:
	s_or_b32 exec_lo, exec_lo, s27
	v_mov_b32_e32 v4, 0
	s_and_saveexec_b32 s27, s26
.LBB198_181:
	v_mov_b32_e32 v4, v2
.LBB198_182:
	s_or_b32 exec_lo, exec_lo, s27
.LBB198_183:
	s_delay_alu instid0(SALU_CYCLE_1)
	s_or_b32 exec_lo, exec_lo, s25
	global_store_b8 v[0:1], v4, off
.LBB198_184:
	s_mov_b32 s25, -1
.LBB198_185:
	s_mov_b32 s26, 0
.LBB198_186:
	s_delay_alu instid0(SALU_CYCLE_1)
	s_and_b32 vcc_lo, exec_lo, s26
	s_cbranch_vccz .LBB198_227
; %bb.187:
	s_cmp_gt_i32 s24, 22
	s_mov_b32 s26, -1
	s_cbranch_scc0 .LBB198_219
; %bb.188:
	s_cmp_lt_i32 s24, 24
	s_mov_b32 s25, -1
	s_cbranch_scc1 .LBB198_208
; %bb.189:
	s_cmp_gt_i32 s24, 24
	s_cbranch_scc0 .LBB198_197
; %bb.190:
	s_wait_xcnt 0x0
	v_cndmask_b32_e64 v3, 0, 1.0, s1
	v_mov_b32_e32 v4, 0x80
	s_mov_b32 s25, exec_lo
	s_delay_alu instid0(VALU_DEP_2)
	v_cmpx_gt_u32_e32 0x47800000, v3
	s_cbranch_execz .LBB198_196
; %bb.191:
	s_mov_b32 s26, 0
	s_mov_b32 s27, exec_lo
                                        ; implicit-def: $vgpr2
	v_cmpx_lt_u32_e32 0x37ffffff, v3
	s_xor_b32 s27, exec_lo, s27
	s_cbranch_execz .LBB198_530
; %bb.192:
	v_bfe_u32 v2, v3, 21, 1
	s_mov_b32 s26, exec_lo
	s_delay_alu instid0(VALU_DEP_1) | instskip(NEXT) | instid1(VALU_DEP_1)
	v_add3_u32 v2, v3, v2, 0x88fffff
                                        ; implicit-def: $vgpr3
	v_lshrrev_b32_e32 v2, 21, v2
	s_and_not1_saveexec_b32 s27, s27
	s_cbranch_execnz .LBB198_531
.LBB198_193:
	s_or_b32 exec_lo, exec_lo, s27
	v_mov_b32_e32 v4, 0
	s_and_saveexec_b32 s27, s26
.LBB198_194:
	v_mov_b32_e32 v4, v2
.LBB198_195:
	s_or_b32 exec_lo, exec_lo, s27
.LBB198_196:
	s_delay_alu instid0(SALU_CYCLE_1)
	s_or_b32 exec_lo, exec_lo, s25
	s_mov_b32 s25, 0
	global_store_b8 v[0:1], v4, off
.LBB198_197:
	s_and_b32 vcc_lo, exec_lo, s25
	s_cbranch_vccz .LBB198_207
; %bb.198:
	s_wait_xcnt 0x0
	v_cndmask_b32_e64 v3, 0, 1.0, s1
	s_mov_b32 s25, exec_lo
                                        ; implicit-def: $vgpr2
	s_delay_alu instid0(VALU_DEP_1)
	v_cmpx_gt_u32_e32 0x43f00000, v3
	s_xor_b32 s25, exec_lo, s25
	s_cbranch_execz .LBB198_204
; %bb.199:
	s_mov_b32 s26, exec_lo
                                        ; implicit-def: $vgpr2
	v_cmpx_lt_u32_e32 0x3c7fffff, v3
	s_xor_b32 s26, exec_lo, s26
; %bb.200:
	v_bfe_u32 v2, v3, 20, 1
	s_delay_alu instid0(VALU_DEP_1) | instskip(NEXT) | instid1(VALU_DEP_1)
	v_add3_u32 v2, v3, v2, 0x407ffff
	v_and_b32_e32 v3, 0xff00000, v2
	v_lshrrev_b32_e32 v2, 20, v2
	s_delay_alu instid0(VALU_DEP_2) | instskip(NEXT) | instid1(VALU_DEP_2)
	v_cmp_ne_u32_e32 vcc_lo, 0x7f00000, v3
                                        ; implicit-def: $vgpr3
	v_cndmask_b32_e32 v2, 0x7e, v2, vcc_lo
; %bb.201:
	s_and_not1_saveexec_b32 s26, s26
; %bb.202:
	v_add_f32_e32 v2, 0x46800000, v3
; %bb.203:
	s_or_b32 exec_lo, exec_lo, s26
                                        ; implicit-def: $vgpr3
.LBB198_204:
	s_and_not1_saveexec_b32 s25, s25
; %bb.205:
	v_mov_b32_e32 v2, 0x7f
	v_cmp_lt_u32_e32 vcc_lo, 0x7f800000, v3
	s_delay_alu instid0(VALU_DEP_2)
	v_cndmask_b32_e32 v2, 0x7e, v2, vcc_lo
; %bb.206:
	s_or_b32 exec_lo, exec_lo, s25
	global_store_b8 v[0:1], v2, off
.LBB198_207:
	s_mov_b32 s25, 0
.LBB198_208:
	s_delay_alu instid0(SALU_CYCLE_1)
	s_and_not1_b32 vcc_lo, exec_lo, s25
	s_cbranch_vccnz .LBB198_218
; %bb.209:
	s_wait_xcnt 0x0
	v_cndmask_b32_e64 v3, 0, 1.0, s1
	s_mov_b32 s25, exec_lo
                                        ; implicit-def: $vgpr2
	s_delay_alu instid0(VALU_DEP_1)
	v_cmpx_gt_u32_e32 0x47800000, v3
	s_xor_b32 s25, exec_lo, s25
	s_cbranch_execz .LBB198_215
; %bb.210:
	s_mov_b32 s26, exec_lo
                                        ; implicit-def: $vgpr2
	v_cmpx_lt_u32_e32 0x387fffff, v3
	s_xor_b32 s26, exec_lo, s26
; %bb.211:
	v_bfe_u32 v2, v3, 21, 1
	s_delay_alu instid0(VALU_DEP_1) | instskip(NEXT) | instid1(VALU_DEP_1)
	v_add3_u32 v2, v3, v2, 0x80fffff
                                        ; implicit-def: $vgpr3
	v_lshrrev_b32_e32 v2, 21, v2
; %bb.212:
	s_and_not1_saveexec_b32 s26, s26
; %bb.213:
	v_add_f32_e32 v2, 0x43000000, v3
; %bb.214:
	s_or_b32 exec_lo, exec_lo, s26
                                        ; implicit-def: $vgpr3
.LBB198_215:
	s_and_not1_saveexec_b32 s25, s25
; %bb.216:
	v_mov_b32_e32 v2, 0x7f
	v_cmp_lt_u32_e32 vcc_lo, 0x7f800000, v3
	s_delay_alu instid0(VALU_DEP_2)
	v_cndmask_b32_e32 v2, 0x7c, v2, vcc_lo
; %bb.217:
	s_or_b32 exec_lo, exec_lo, s25
	global_store_b8 v[0:1], v2, off
.LBB198_218:
	s_mov_b32 s26, 0
	s_mov_b32 s25, -1
.LBB198_219:
	s_and_not1_b32 vcc_lo, exec_lo, s26
	s_cbranch_vccnz .LBB198_227
; %bb.220:
	s_cmp_gt_i32 s24, 14
	s_mov_b32 s26, -1
	s_cbranch_scc0 .LBB198_224
; %bb.221:
	s_cmp_eq_u32 s24, 15
	s_mov_b32 s2, -1
	s_cbranch_scc0 .LBB198_223
; %bb.222:
	s_wait_xcnt 0x0
	v_cndmask_b32_e64 v2, 0, 1.0, s1
	s_mov_b32 s25, -1
	s_mov_b32 s2, 0
	s_delay_alu instid0(VALU_DEP_1) | instskip(NEXT) | instid1(VALU_DEP_1)
	v_bfe_u32 v3, v2, 16, 1
	v_add3_u32 v2, v2, v3, 0x7fff
	global_store_d16_hi_b16 v[0:1], v2, off
.LBB198_223:
	s_mov_b32 s26, 0
.LBB198_224:
	s_delay_alu instid0(SALU_CYCLE_1)
	s_and_b32 vcc_lo, exec_lo, s26
	s_cbranch_vccz .LBB198_227
; %bb.225:
	s_cmp_eq_u32 s24, 11
	s_mov_b32 s2, -1
	s_cbranch_scc0 .LBB198_227
; %bb.226:
	s_wait_xcnt 0x0
	v_cndmask_b32_e64 v2, 0, 1, s1
	s_mov_b32 s25, -1
	s_mov_b32 s2, 0
	global_store_b8 v[0:1], v2, off
.LBB198_227:
	s_mov_b32 s24, 0
.LBB198_228:
	s_delay_alu instid0(SALU_CYCLE_1)
	s_and_b32 vcc_lo, exec_lo, s24
	s_cbranch_vccz .LBB198_267
; %bb.229:
	s_and_b32 s18, 0xffff, s18
	s_mov_b32 s24, -1
	s_cmp_lt_i32 s18, 5
	s_cbranch_scc1 .LBB198_250
; %bb.230:
	s_cmp_lt_i32 s18, 8
	s_cbranch_scc1 .LBB198_240
; %bb.231:
	;; [unrolled: 3-line block ×3, first 2 shown]
	s_cmp_gt_i32 s18, 9
	s_cbranch_scc0 .LBB198_234
; %bb.233:
	s_wait_xcnt 0x0
	v_cndmask_b32_e64 v2, 0, 1, s1
	v_mov_b32_e32 v4, 0
	s_mov_b32 s24, 0
	s_delay_alu instid0(VALU_DEP_2) | instskip(NEXT) | instid1(VALU_DEP_2)
	v_cvt_f64_u32_e32 v[2:3], v2
	v_mov_b32_e32 v5, v4
	global_store_b128 v[0:1], v[2:5], off
.LBB198_234:
	s_and_not1_b32 vcc_lo, exec_lo, s24
	s_cbranch_vccnz .LBB198_236
; %bb.235:
	s_wait_xcnt 0x0
	v_cndmask_b32_e64 v2, 0, 1.0, s1
	v_mov_b32_e32 v3, 0
	global_store_b64 v[0:1], v[2:3], off
.LBB198_236:
	s_mov_b32 s24, 0
.LBB198_237:
	s_delay_alu instid0(SALU_CYCLE_1)
	s_and_not1_b32 vcc_lo, exec_lo, s24
	s_cbranch_vccnz .LBB198_239
; %bb.238:
	s_wait_xcnt 0x0
	v_cndmask_b32_e64 v2, 0, 1.0, s1
	s_delay_alu instid0(VALU_DEP_1) | instskip(NEXT) | instid1(VALU_DEP_1)
	v_cvt_f16_f32_e32 v2, v2
	v_and_b32_e32 v2, 0xffff, v2
	global_store_b32 v[0:1], v2, off
.LBB198_239:
	s_mov_b32 s24, 0
.LBB198_240:
	s_delay_alu instid0(SALU_CYCLE_1)
	s_and_not1_b32 vcc_lo, exec_lo, s24
	s_cbranch_vccnz .LBB198_249
; %bb.241:
	s_cmp_lt_i32 s18, 6
	s_mov_b32 s24, -1
	s_cbranch_scc1 .LBB198_247
; %bb.242:
	s_cmp_gt_i32 s18, 6
	s_cbranch_scc0 .LBB198_244
; %bb.243:
	s_wait_xcnt 0x0
	v_cndmask_b32_e64 v2, 0, 1, s1
	s_mov_b32 s24, 0
	s_delay_alu instid0(VALU_DEP_1)
	v_cvt_f64_u32_e32 v[2:3], v2
	global_store_b64 v[0:1], v[2:3], off
.LBB198_244:
	s_and_not1_b32 vcc_lo, exec_lo, s24
	s_cbranch_vccnz .LBB198_246
; %bb.245:
	s_wait_xcnt 0x0
	v_cndmask_b32_e64 v2, 0, 1.0, s1
	global_store_b32 v[0:1], v2, off
.LBB198_246:
	s_mov_b32 s24, 0
.LBB198_247:
	s_delay_alu instid0(SALU_CYCLE_1)
	s_and_not1_b32 vcc_lo, exec_lo, s24
	s_cbranch_vccnz .LBB198_249
; %bb.248:
	s_wait_xcnt 0x0
	v_cndmask_b32_e64 v2, 0, 1.0, s1
	s_delay_alu instid0(VALU_DEP_1)
	v_cvt_f16_f32_e32 v2, v2
	global_store_b16 v[0:1], v2, off
.LBB198_249:
	s_mov_b32 s24, 0
.LBB198_250:
	s_delay_alu instid0(SALU_CYCLE_1)
	s_and_not1_b32 vcc_lo, exec_lo, s24
	s_cbranch_vccnz .LBB198_266
; %bb.251:
	s_cmp_lt_i32 s18, 2
	s_mov_b32 s24, -1
	s_cbranch_scc1 .LBB198_261
; %bb.252:
	s_cmp_lt_i32 s18, 3
	s_cbranch_scc1 .LBB198_258
; %bb.253:
	s_cmp_gt_i32 s18, 3
	s_cbranch_scc0 .LBB198_255
; %bb.254:
	s_mov_b32 s24, 0
	s_wait_xcnt 0x0
	v_cndmask_b32_e64 v2, 0, 1, s1
	v_mov_b32_e32 v3, s24
	global_store_b64 v[0:1], v[2:3], off
.LBB198_255:
	s_and_not1_b32 vcc_lo, exec_lo, s24
	s_cbranch_vccnz .LBB198_257
; %bb.256:
	s_wait_xcnt 0x0
	v_cndmask_b32_e64 v2, 0, 1, s1
	global_store_b32 v[0:1], v2, off
.LBB198_257:
	s_mov_b32 s24, 0
.LBB198_258:
	s_delay_alu instid0(SALU_CYCLE_1)
	s_and_not1_b32 vcc_lo, exec_lo, s24
	s_cbranch_vccnz .LBB198_260
; %bb.259:
	s_wait_xcnt 0x0
	v_cndmask_b32_e64 v2, 0, 1, s1
	global_store_b16 v[0:1], v2, off
.LBB198_260:
	s_mov_b32 s24, 0
.LBB198_261:
	s_delay_alu instid0(SALU_CYCLE_1)
	s_and_not1_b32 vcc_lo, exec_lo, s24
	s_cbranch_vccnz .LBB198_266
; %bb.262:
	s_wait_xcnt 0x0
	v_cndmask_b32_e64 v2, 0, 1, s1
	s_cmp_gt_i32 s18, 0
	s_mov_b32 s1, -1
	s_cbranch_scc0 .LBB198_264
; %bb.263:
	s_mov_b32 s1, 0
	global_store_b8 v[0:1], v2, off
.LBB198_264:
	s_and_not1_b32 vcc_lo, exec_lo, s1
	s_cbranch_vccnz .LBB198_266
; %bb.265:
	global_store_b8 v[0:1], v2, off
.LBB198_266:
	s_mov_b32 s25, -1
.LBB198_267:
	s_delay_alu instid0(SALU_CYCLE_1)
	s_and_not1_b32 vcc_lo, exec_lo, s25
	s_cbranch_vccnz .LBB198_380
; %bb.268:
	v_add_nc_u32_e32 v6, 0x80, v6
	s_mov_b32 s1, -1
	s_branch .LBB198_381
.LBB198_269:
	s_mov_b32 s20, -1
                                        ; implicit-def: $vgpr3
.LBB198_270:
	s_mov_b32 s24, 0
.LBB198_271:
	s_delay_alu instid0(SALU_CYCLE_1)
	s_and_b32 vcc_lo, exec_lo, s24
	s_cbranch_vccz .LBB198_275
; %bb.272:
	s_cmp_eq_u32 s2, 29
	s_cbranch_scc0 .LBB198_274
; %bb.273:
	global_load_b64 v[4:5], v[0:1], off
	s_mov_b32 s18, -1
	s_mov_b32 s20, 0
	s_mov_b32 s24, 0
	s_wait_loadcnt 0x0
	v_clz_i32_u32_e32 v3, v5
	s_delay_alu instid0(VALU_DEP_1) | instskip(NEXT) | instid1(VALU_DEP_1)
	v_min_u32_e32 v3, 32, v3
	v_lshlrev_b64_e32 v[4:5], v3, v[4:5]
	v_sub_nc_u32_e32 v3, 32, v3
	s_delay_alu instid0(VALU_DEP_2) | instskip(NEXT) | instid1(VALU_DEP_1)
	v_min_u32_e32 v4, 1, v4
	v_or_b32_e32 v4, v5, v4
	s_delay_alu instid0(VALU_DEP_1) | instskip(NEXT) | instid1(VALU_DEP_1)
	v_cvt_f32_u32_e32 v4, v4
	v_ldexp_f32 v3, v4, v3
	s_delay_alu instid0(VALU_DEP_1) | instskip(NEXT) | instid1(VALU_DEP_1)
	v_bfe_u32 v4, v3, 16, 1
	v_add3_u32 v3, v3, v4, 0x7fff
	s_delay_alu instid0(VALU_DEP_1)
	v_lshrrev_b32_e32 v3, 16, v3
	s_branch .LBB198_276
.LBB198_274:
	s_mov_b32 s20, -1
                                        ; implicit-def: $vgpr3
.LBB198_275:
	s_mov_b32 s24, 0
.LBB198_276:
	s_delay_alu instid0(SALU_CYCLE_1)
	s_and_b32 vcc_lo, exec_lo, s24
	s_cbranch_vccz .LBB198_294
; %bb.277:
	s_cmp_lt_i32 s2, 27
	s_cbranch_scc1 .LBB198_280
; %bb.278:
	s_cmp_gt_i32 s2, 27
	s_cbranch_scc0 .LBB198_281
; %bb.279:
	s_wait_loadcnt 0x0
	global_load_b32 v3, v[0:1], off
	s_mov_b32 s18, 0
	s_wait_loadcnt 0x0
	v_cvt_f32_u32_e32 v3, v3
	s_delay_alu instid0(VALU_DEP_1) | instskip(NEXT) | instid1(VALU_DEP_1)
	v_bfe_u32 v4, v3, 16, 1
	v_add3_u32 v3, v3, v4, 0x7fff
	s_delay_alu instid0(VALU_DEP_1)
	v_lshrrev_b32_e32 v3, 16, v3
	s_branch .LBB198_282
.LBB198_280:
	s_mov_b32 s18, -1
                                        ; implicit-def: $vgpr3
	s_branch .LBB198_285
.LBB198_281:
	s_mov_b32 s18, -1
                                        ; implicit-def: $vgpr3
.LBB198_282:
	s_delay_alu instid0(SALU_CYCLE_1)
	s_and_not1_b32 vcc_lo, exec_lo, s18
	s_cbranch_vccnz .LBB198_284
; %bb.283:
	s_wait_loadcnt 0x0
	global_load_u16 v3, v[0:1], off
	s_wait_loadcnt 0x0
	v_cvt_f32_u32_e32 v3, v3
	s_delay_alu instid0(VALU_DEP_1) | instskip(NEXT) | instid1(VALU_DEP_1)
	v_bfe_u32 v4, v3, 16, 1
	v_add3_u32 v3, v3, v4, 0x7fff
	s_delay_alu instid0(VALU_DEP_1)
	v_lshrrev_b32_e32 v3, 16, v3
.LBB198_284:
	s_mov_b32 s18, 0
.LBB198_285:
	s_delay_alu instid0(SALU_CYCLE_1)
	s_and_not1_b32 vcc_lo, exec_lo, s18
	s_cbranch_vccnz .LBB198_293
; %bb.286:
	s_wait_loadcnt 0x0
	global_load_u8 v3, v[0:1], off
	s_mov_b32 s18, 0
	s_mov_b32 s24, exec_lo
	s_wait_loadcnt 0x0
	v_cmpx_lt_i16_e32 0x7f, v3
	s_xor_b32 s24, exec_lo, s24
	s_cbranch_execz .LBB198_307
; %bb.287:
	s_mov_b32 s18, -1
	s_mov_b32 s25, exec_lo
	v_cmpx_eq_u16_e32 0x80, v3
; %bb.288:
	s_xor_b32 s18, exec_lo, -1
; %bb.289:
	s_or_b32 exec_lo, exec_lo, s25
	s_delay_alu instid0(SALU_CYCLE_1)
	s_and_b32 s18, s18, exec_lo
	s_or_saveexec_b32 s24, s24
	v_mov_b32_e32 v4, 0x7f800001
	s_xor_b32 exec_lo, exec_lo, s24
	s_cbranch_execnz .LBB198_308
.LBB198_290:
	s_or_b32 exec_lo, exec_lo, s24
	s_and_saveexec_b32 s24, s18
	s_cbranch_execz .LBB198_292
.LBB198_291:
	v_and_b32_e32 v4, 0xffff, v3
	s_delay_alu instid0(VALU_DEP_1) | instskip(SKIP_1) | instid1(VALU_DEP_2)
	v_and_b32_e32 v5, 7, v4
	v_bfe_u32 v9, v4, 3, 4
	v_clz_i32_u32_e32 v7, v5
	s_delay_alu instid0(VALU_DEP_2) | instskip(NEXT) | instid1(VALU_DEP_2)
	v_cmp_eq_u32_e32 vcc_lo, 0, v9
	v_min_u32_e32 v7, 32, v7
	s_delay_alu instid0(VALU_DEP_1) | instskip(NEXT) | instid1(VALU_DEP_1)
	v_subrev_nc_u32_e32 v8, 28, v7
	v_dual_lshlrev_b32 v4, v8, v4 :: v_dual_sub_nc_u32 v7, 29, v7
	s_delay_alu instid0(VALU_DEP_1) | instskip(NEXT) | instid1(VALU_DEP_1)
	v_dual_lshlrev_b32 v3, 24, v3 :: v_dual_bitop2_b32 v4, 7, v4 bitop3:0x40
	v_cndmask_b32_e32 v4, v5, v4, vcc_lo
	s_delay_alu instid0(VALU_DEP_3) | instskip(NEXT) | instid1(VALU_DEP_3)
	v_cndmask_b32_e32 v7, v9, v7, vcc_lo
	v_and_b32_e32 v3, 0x80000000, v3
	s_delay_alu instid0(VALU_DEP_3) | instskip(NEXT) | instid1(VALU_DEP_3)
	v_lshlrev_b32_e32 v4, 20, v4
	v_lshl_add_u32 v5, v7, 23, 0x3b800000
	s_delay_alu instid0(VALU_DEP_1)
	v_or3_b32 v4, v3, v5, v4
.LBB198_292:
	s_or_b32 exec_lo, exec_lo, s24
	s_delay_alu instid0(VALU_DEP_1) | instskip(SKIP_1) | instid1(VALU_DEP_2)
	v_bfe_u32 v3, v4, 16, 1
	v_cmp_o_f32_e32 vcc_lo, v4, v4
	v_add3_u32 v3, v4, v3, 0x7fff
	s_delay_alu instid0(VALU_DEP_1) | instskip(NEXT) | instid1(VALU_DEP_1)
	v_lshrrev_b32_e32 v3, 16, v3
	v_cndmask_b32_e32 v3, 0x7fc0, v3, vcc_lo
.LBB198_293:
	s_mov_b32 s18, -1
.LBB198_294:
	s_mov_b32 s24, 0
.LBB198_295:
	s_delay_alu instid0(SALU_CYCLE_1)
	s_and_b32 vcc_lo, exec_lo, s24
	s_cbranch_vccz .LBB198_330
; %bb.296:
	s_cmp_gt_i32 s2, 22
	s_cbranch_scc0 .LBB198_306
; %bb.297:
	s_cmp_lt_i32 s2, 24
	s_cbranch_scc1 .LBB198_309
; %bb.298:
	s_cmp_gt_i32 s2, 24
	s_cbranch_scc0 .LBB198_310
; %bb.299:
	s_wait_loadcnt 0x0
	global_load_u8 v3, v[0:1], off
	s_mov_b32 s18, 0
	s_mov_b32 s24, exec_lo
	s_wait_loadcnt 0x0
	v_cmpx_lt_i16_e32 0x7f, v3
	s_xor_b32 s24, exec_lo, s24
	s_cbranch_execz .LBB198_322
; %bb.300:
	s_mov_b32 s18, -1
	s_mov_b32 s25, exec_lo
	v_cmpx_eq_u16_e32 0x80, v3
; %bb.301:
	s_xor_b32 s18, exec_lo, -1
; %bb.302:
	s_or_b32 exec_lo, exec_lo, s25
	s_delay_alu instid0(SALU_CYCLE_1)
	s_and_b32 s18, s18, exec_lo
	s_or_saveexec_b32 s24, s24
	v_mov_b32_e32 v4, 0x7f800001
	s_xor_b32 exec_lo, exec_lo, s24
	s_cbranch_execnz .LBB198_323
.LBB198_303:
	s_or_b32 exec_lo, exec_lo, s24
	s_and_saveexec_b32 s24, s18
	s_cbranch_execz .LBB198_305
.LBB198_304:
	v_and_b32_e32 v4, 0xffff, v3
	s_delay_alu instid0(VALU_DEP_1) | instskip(SKIP_1) | instid1(VALU_DEP_2)
	v_and_b32_e32 v5, 3, v4
	v_bfe_u32 v9, v4, 2, 5
	v_clz_i32_u32_e32 v7, v5
	s_delay_alu instid0(VALU_DEP_2) | instskip(NEXT) | instid1(VALU_DEP_2)
	v_cmp_eq_u32_e32 vcc_lo, 0, v9
	v_min_u32_e32 v7, 32, v7
	s_delay_alu instid0(VALU_DEP_1) | instskip(NEXT) | instid1(VALU_DEP_1)
	v_subrev_nc_u32_e32 v8, 29, v7
	v_dual_lshlrev_b32 v4, v8, v4 :: v_dual_sub_nc_u32 v7, 30, v7
	s_delay_alu instid0(VALU_DEP_1) | instskip(NEXT) | instid1(VALU_DEP_1)
	v_dual_lshlrev_b32 v3, 24, v3 :: v_dual_bitop2_b32 v4, 3, v4 bitop3:0x40
	v_cndmask_b32_e32 v4, v5, v4, vcc_lo
	s_delay_alu instid0(VALU_DEP_3) | instskip(NEXT) | instid1(VALU_DEP_3)
	v_cndmask_b32_e32 v7, v9, v7, vcc_lo
	v_and_b32_e32 v3, 0x80000000, v3
	s_delay_alu instid0(VALU_DEP_3) | instskip(NEXT) | instid1(VALU_DEP_3)
	v_lshlrev_b32_e32 v4, 21, v4
	v_lshl_add_u32 v5, v7, 23, 0x37800000
	s_delay_alu instid0(VALU_DEP_1)
	v_or3_b32 v4, v3, v5, v4
.LBB198_305:
	s_or_b32 exec_lo, exec_lo, s24
	s_delay_alu instid0(VALU_DEP_1) | instskip(SKIP_2) | instid1(VALU_DEP_2)
	v_bfe_u32 v3, v4, 16, 1
	v_cmp_o_f32_e32 vcc_lo, v4, v4
	s_mov_b32 s18, 0
	v_add3_u32 v3, v4, v3, 0x7fff
	s_delay_alu instid0(VALU_DEP_1) | instskip(NEXT) | instid1(VALU_DEP_1)
	v_lshrrev_b32_e32 v3, 16, v3
	v_cndmask_b32_e32 v3, 0x7fc0, v3, vcc_lo
	s_branch .LBB198_311
.LBB198_306:
	s_mov_b32 s24, -1
                                        ; implicit-def: $vgpr3
	s_branch .LBB198_317
.LBB198_307:
	s_or_saveexec_b32 s24, s24
	v_mov_b32_e32 v4, 0x7f800001
	s_xor_b32 exec_lo, exec_lo, s24
	s_cbranch_execz .LBB198_290
.LBB198_308:
	v_cmp_ne_u16_e32 vcc_lo, 0, v3
	v_mov_b32_e32 v4, 0
	s_and_not1_b32 s18, s18, exec_lo
	s_and_b32 s25, vcc_lo, exec_lo
	s_delay_alu instid0(SALU_CYCLE_1)
	s_or_b32 s18, s18, s25
	s_or_b32 exec_lo, exec_lo, s24
	s_and_saveexec_b32 s24, s18
	s_cbranch_execnz .LBB198_291
	s_branch .LBB198_292
.LBB198_309:
	s_mov_b32 s18, -1
                                        ; implicit-def: $vgpr3
	s_branch .LBB198_314
.LBB198_310:
	s_mov_b32 s18, -1
                                        ; implicit-def: $vgpr3
.LBB198_311:
	s_delay_alu instid0(SALU_CYCLE_1)
	s_and_b32 vcc_lo, exec_lo, s18
	s_cbranch_vccz .LBB198_313
; %bb.312:
	s_wait_loadcnt 0x0
	global_load_u8 v3, v[0:1], off
	s_wait_loadcnt 0x0
	v_lshlrev_b32_e32 v3, 24, v3
	s_delay_alu instid0(VALU_DEP_1) | instskip(NEXT) | instid1(VALU_DEP_1)
	v_and_b32_e32 v4, 0x7f000000, v3
	v_clz_i32_u32_e32 v5, v4
	v_add_nc_u32_e32 v8, 0x1000000, v4
	v_cmp_ne_u32_e32 vcc_lo, 0, v4
	s_delay_alu instid0(VALU_DEP_3) | instskip(NEXT) | instid1(VALU_DEP_1)
	v_min_u32_e32 v5, 32, v5
	v_sub_nc_u32_e64 v5, v5, 4 clamp
	s_delay_alu instid0(VALU_DEP_1) | instskip(NEXT) | instid1(VALU_DEP_1)
	v_dual_lshlrev_b32 v7, v5, v4 :: v_dual_lshlrev_b32 v5, 23, v5
	v_lshrrev_b32_e32 v7, 4, v7
	s_delay_alu instid0(VALU_DEP_1) | instskip(NEXT) | instid1(VALU_DEP_1)
	v_dual_sub_nc_u32 v5, v7, v5 :: v_dual_ashrrev_i32 v7, 8, v8
	v_add_nc_u32_e32 v5, 0x3c000000, v5
	s_delay_alu instid0(VALU_DEP_1) | instskip(NEXT) | instid1(VALU_DEP_1)
	v_and_or_b32 v5, 0x7f800000, v7, v5
	v_cndmask_b32_e32 v4, 0, v5, vcc_lo
	s_delay_alu instid0(VALU_DEP_1) | instskip(SKIP_1) | instid1(VALU_DEP_2)
	v_and_or_b32 v3, 0x80000000, v3, v4
	v_bfe_u32 v4, v4, 16, 1
	v_cmp_o_f32_e32 vcc_lo, v3, v3
	s_delay_alu instid0(VALU_DEP_2) | instskip(NEXT) | instid1(VALU_DEP_1)
	v_add3_u32 v4, v3, v4, 0x7fff
	v_lshrrev_b32_e32 v4, 16, v4
	s_delay_alu instid0(VALU_DEP_1)
	v_cndmask_b32_e32 v3, 0x7fc0, v4, vcc_lo
.LBB198_313:
	s_mov_b32 s18, 0
.LBB198_314:
	s_delay_alu instid0(SALU_CYCLE_1)
	s_and_not1_b32 vcc_lo, exec_lo, s18
	s_cbranch_vccnz .LBB198_316
; %bb.315:
	s_wait_loadcnt 0x0
	global_load_u8 v3, v[0:1], off
	s_wait_loadcnt 0x0
	v_lshlrev_b32_e32 v4, 25, v3
	v_lshlrev_b16 v3, 8, v3
	s_delay_alu instid0(VALU_DEP_1) | instskip(NEXT) | instid1(VALU_DEP_3)
	v_and_or_b32 v7, 0x7f00, v3, 0.5
	v_lshrrev_b32_e32 v5, 4, v4
	v_bfe_i32 v3, v3, 0, 16
	s_delay_alu instid0(VALU_DEP_3) | instskip(NEXT) | instid1(VALU_DEP_3)
	v_add_f32_e32 v7, -0.5, v7
	v_or_b32_e32 v5, 0x70000000, v5
	s_delay_alu instid0(VALU_DEP_1) | instskip(SKIP_1) | instid1(VALU_DEP_2)
	v_mul_f32_e32 v5, 0x7800000, v5
	v_cmp_gt_u32_e32 vcc_lo, 0x8000000, v4
	v_cndmask_b32_e32 v4, v5, v7, vcc_lo
	s_delay_alu instid0(VALU_DEP_1) | instskip(SKIP_1) | instid1(VALU_DEP_2)
	v_and_or_b32 v3, 0x80000000, v3, v4
	v_bfe_u32 v4, v4, 16, 1
	v_cmp_o_f32_e32 vcc_lo, v3, v3
	s_delay_alu instid0(VALU_DEP_2) | instskip(NEXT) | instid1(VALU_DEP_1)
	v_add3_u32 v4, v3, v4, 0x7fff
	v_lshrrev_b32_e32 v4, 16, v4
	s_delay_alu instid0(VALU_DEP_1)
	v_cndmask_b32_e32 v3, 0x7fc0, v4, vcc_lo
.LBB198_316:
	s_mov_b32 s24, 0
	s_mov_b32 s18, -1
.LBB198_317:
	s_and_not1_b32 vcc_lo, exec_lo, s24
	s_cbranch_vccnz .LBB198_330
; %bb.318:
	s_cmp_gt_i32 s2, 14
	s_cbranch_scc0 .LBB198_321
; %bb.319:
	s_cmp_eq_u32 s2, 15
	s_cbranch_scc0 .LBB198_324
; %bb.320:
	s_wait_loadcnt 0x0
	global_load_u16 v3, v[0:1], off
	s_mov_b32 s18, -1
	s_mov_b32 s20, 0
	s_branch .LBB198_325
.LBB198_321:
	s_mov_b32 s24, -1
                                        ; implicit-def: $vgpr3
	s_branch .LBB198_326
.LBB198_322:
	s_or_saveexec_b32 s24, s24
	v_mov_b32_e32 v4, 0x7f800001
	s_xor_b32 exec_lo, exec_lo, s24
	s_cbranch_execz .LBB198_303
.LBB198_323:
	v_cmp_ne_u16_e32 vcc_lo, 0, v3
	v_mov_b32_e32 v4, 0
	s_and_not1_b32 s18, s18, exec_lo
	s_and_b32 s25, vcc_lo, exec_lo
	s_delay_alu instid0(SALU_CYCLE_1)
	s_or_b32 s18, s18, s25
	s_or_b32 exec_lo, exec_lo, s24
	s_and_saveexec_b32 s24, s18
	s_cbranch_execnz .LBB198_304
	s_branch .LBB198_305
.LBB198_324:
	s_mov_b32 s20, -1
                                        ; implicit-def: $vgpr3
.LBB198_325:
	s_mov_b32 s24, 0
.LBB198_326:
	s_delay_alu instid0(SALU_CYCLE_1)
	s_and_b32 vcc_lo, exec_lo, s24
	s_cbranch_vccz .LBB198_330
; %bb.327:
	s_cmp_eq_u32 s2, 11
	s_cbranch_scc0 .LBB198_329
; %bb.328:
	s_wait_loadcnt 0x0
	global_load_u8 v3, v[0:1], off
	s_mov_b32 s20, 0
	s_mov_b32 s18, -1
	s_wait_loadcnt 0x0
	v_cmp_ne_u16_e32 vcc_lo, 0, v3
	v_cndmask_b32_e64 v3, 0, 1.0, vcc_lo
	s_delay_alu instid0(VALU_DEP_1)
	v_lshrrev_b32_e32 v3, 16, v3
	s_branch .LBB198_330
.LBB198_329:
	s_mov_b32 s20, -1
                                        ; implicit-def: $vgpr3
.LBB198_330:
	s_branch .LBB198_20
.LBB198_331:
	s_and_b32 s1, 0xffff, s1
	s_delay_alu instid0(SALU_CYCLE_1)
	s_cmp_lt_i32 s1, 5
	s_cbranch_scc1 .LBB198_336
; %bb.332:
	s_cmp_lt_i32 s1, 8
	s_cbranch_scc1 .LBB198_337
; %bb.333:
	;; [unrolled: 3-line block ×3, first 2 shown]
	s_cmp_gt_i32 s1, 9
	s_cbranch_scc0 .LBB198_339
; %bb.335:
	global_load_b64 v[4:5], v[0:1], off
	s_mov_b32 s2, 0
	s_wait_loadcnt 0x0
	v_cvt_f32_f64_e32 v3, v[4:5]
	s_delay_alu instid0(VALU_DEP_1) | instskip(SKIP_1) | instid1(VALU_DEP_2)
	v_bfe_u32 v4, v3, 16, 1
	v_cmp_o_f32_e32 vcc_lo, v3, v3
	v_add3_u32 v4, v3, v4, 0x7fff
	s_delay_alu instid0(VALU_DEP_1) | instskip(NEXT) | instid1(VALU_DEP_1)
	v_lshrrev_b32_e32 v4, 16, v4
	v_cndmask_b32_e32 v3, 0x7fc0, v4, vcc_lo
	s_branch .LBB198_340
.LBB198_336:
	s_mov_b32 s2, -1
                                        ; implicit-def: $vgpr3
	s_branch .LBB198_358
.LBB198_337:
	s_mov_b32 s2, -1
                                        ; implicit-def: $vgpr3
	s_branch .LBB198_346
.LBB198_338:
	s_mov_b32 s2, -1
                                        ; implicit-def: $vgpr3
	s_branch .LBB198_343
.LBB198_339:
	s_mov_b32 s2, -1
                                        ; implicit-def: $vgpr3
.LBB198_340:
	s_delay_alu instid0(SALU_CYCLE_1)
	s_and_not1_b32 vcc_lo, exec_lo, s2
	s_cbranch_vccnz .LBB198_342
; %bb.341:
	s_wait_loadcnt 0x0
	global_load_b32 v3, v[0:1], off
	s_wait_loadcnt 0x0
	v_bfe_u32 v4, v3, 16, 1
	v_cmp_o_f32_e32 vcc_lo, v3, v3
	s_delay_alu instid0(VALU_DEP_2) | instskip(NEXT) | instid1(VALU_DEP_1)
	v_add3_u32 v4, v3, v4, 0x7fff
	v_lshrrev_b32_e32 v4, 16, v4
	s_delay_alu instid0(VALU_DEP_1)
	v_cndmask_b32_e32 v3, 0x7fc0, v4, vcc_lo
.LBB198_342:
	s_mov_b32 s2, 0
.LBB198_343:
	s_delay_alu instid0(SALU_CYCLE_1)
	s_and_not1_b32 vcc_lo, exec_lo, s2
	s_cbranch_vccnz .LBB198_345
; %bb.344:
	s_wait_loadcnt 0x0
	global_load_b32 v3, v[0:1], off
	s_wait_loadcnt 0x0
	v_cvt_f32_f16_e32 v4, v3
	v_cmp_o_f16_e32 vcc_lo, v3, v3
	s_delay_alu instid0(VALU_DEP_2) | instskip(NEXT) | instid1(VALU_DEP_1)
	v_bfe_u32 v5, v4, 16, 1
	v_add3_u32 v4, v4, v5, 0x7fff
	s_delay_alu instid0(VALU_DEP_1) | instskip(NEXT) | instid1(VALU_DEP_1)
	v_lshrrev_b32_e32 v4, 16, v4
	v_cndmask_b32_e32 v3, 0x7fc0, v4, vcc_lo
.LBB198_345:
	s_mov_b32 s2, 0
.LBB198_346:
	s_delay_alu instid0(SALU_CYCLE_1)
	s_and_not1_b32 vcc_lo, exec_lo, s2
	s_cbranch_vccnz .LBB198_357
; %bb.347:
	s_cmp_lt_i32 s1, 6
	s_cbranch_scc1 .LBB198_350
; %bb.348:
	s_cmp_gt_i32 s1, 6
	s_cbranch_scc0 .LBB198_351
; %bb.349:
	global_load_b64 v[4:5], v[0:1], off
	s_mov_b32 s2, 0
	s_wait_loadcnt 0x0
	v_cvt_f32_f64_e32 v3, v[4:5]
	s_delay_alu instid0(VALU_DEP_1) | instskip(SKIP_1) | instid1(VALU_DEP_2)
	v_bfe_u32 v4, v3, 16, 1
	v_cmp_o_f32_e32 vcc_lo, v3, v3
	v_add3_u32 v4, v3, v4, 0x7fff
	s_delay_alu instid0(VALU_DEP_1) | instskip(NEXT) | instid1(VALU_DEP_1)
	v_lshrrev_b32_e32 v4, 16, v4
	v_cndmask_b32_e32 v3, 0x7fc0, v4, vcc_lo
	s_branch .LBB198_352
.LBB198_350:
	s_mov_b32 s2, -1
                                        ; implicit-def: $vgpr3
	s_branch .LBB198_355
.LBB198_351:
	s_mov_b32 s2, -1
                                        ; implicit-def: $vgpr3
.LBB198_352:
	s_delay_alu instid0(SALU_CYCLE_1)
	s_and_not1_b32 vcc_lo, exec_lo, s2
	s_cbranch_vccnz .LBB198_354
; %bb.353:
	s_wait_loadcnt 0x0
	global_load_b32 v3, v[0:1], off
	s_wait_loadcnt 0x0
	v_bfe_u32 v4, v3, 16, 1
	v_cmp_o_f32_e32 vcc_lo, v3, v3
	s_delay_alu instid0(VALU_DEP_2) | instskip(NEXT) | instid1(VALU_DEP_1)
	v_add3_u32 v4, v3, v4, 0x7fff
	v_lshrrev_b32_e32 v4, 16, v4
	s_delay_alu instid0(VALU_DEP_1)
	v_cndmask_b32_e32 v3, 0x7fc0, v4, vcc_lo
.LBB198_354:
	s_mov_b32 s2, 0
.LBB198_355:
	s_delay_alu instid0(SALU_CYCLE_1)
	s_and_not1_b32 vcc_lo, exec_lo, s2
	s_cbranch_vccnz .LBB198_357
; %bb.356:
	s_wait_loadcnt 0x0
	global_load_u16 v3, v[0:1], off
	s_wait_loadcnt 0x0
	v_cvt_f32_f16_e32 v4, v3
	v_cmp_o_f16_e32 vcc_lo, v3, v3
	s_delay_alu instid0(VALU_DEP_2) | instskip(NEXT) | instid1(VALU_DEP_1)
	v_bfe_u32 v5, v4, 16, 1
	v_add3_u32 v4, v4, v5, 0x7fff
	s_delay_alu instid0(VALU_DEP_1) | instskip(NEXT) | instid1(VALU_DEP_1)
	v_lshrrev_b32_e32 v4, 16, v4
	v_cndmask_b32_e32 v3, 0x7fc0, v4, vcc_lo
.LBB198_357:
	s_mov_b32 s2, 0
.LBB198_358:
	s_delay_alu instid0(SALU_CYCLE_1)
	s_and_not1_b32 vcc_lo, exec_lo, s2
	s_cbranch_vccnz .LBB198_378
; %bb.359:
	s_cmp_lt_i32 s1, 2
	s_cbranch_scc1 .LBB198_363
; %bb.360:
	s_cmp_lt_i32 s1, 3
	s_cbranch_scc1 .LBB198_364
; %bb.361:
	s_cmp_gt_i32 s1, 3
	s_cbranch_scc0 .LBB198_365
; %bb.362:
	global_load_b64 v[4:5], v[0:1], off
	s_mov_b32 s2, 0
	s_wait_loadcnt 0x0
	v_xor_b32_e32 v3, v4, v5
	v_cls_i32_e32 v7, v5
	s_delay_alu instid0(VALU_DEP_2) | instskip(NEXT) | instid1(VALU_DEP_1)
	v_ashrrev_i32_e32 v3, 31, v3
	v_add_nc_u32_e32 v3, 32, v3
	s_delay_alu instid0(VALU_DEP_1) | instskip(NEXT) | instid1(VALU_DEP_1)
	v_add_min_u32_e64 v3, v7, -1, v3
	v_lshlrev_b64_e32 v[4:5], v3, v[4:5]
	v_sub_nc_u32_e32 v3, 32, v3
	s_delay_alu instid0(VALU_DEP_2) | instskip(NEXT) | instid1(VALU_DEP_1)
	v_min_u32_e32 v4, 1, v4
	v_or_b32_e32 v4, v5, v4
	s_delay_alu instid0(VALU_DEP_1) | instskip(NEXT) | instid1(VALU_DEP_1)
	v_cvt_f32_i32_e32 v4, v4
	v_ldexp_f32 v3, v4, v3
	s_delay_alu instid0(VALU_DEP_1) | instskip(NEXT) | instid1(VALU_DEP_1)
	v_bfe_u32 v4, v3, 16, 1
	v_add3_u32 v3, v3, v4, 0x7fff
	s_delay_alu instid0(VALU_DEP_1)
	v_lshrrev_b32_e32 v3, 16, v3
	s_branch .LBB198_366
.LBB198_363:
	s_mov_b32 s2, -1
                                        ; implicit-def: $vgpr3
	s_branch .LBB198_372
.LBB198_364:
	s_mov_b32 s2, -1
                                        ; implicit-def: $vgpr3
	s_branch .LBB198_369
.LBB198_365:
	s_mov_b32 s2, -1
                                        ; implicit-def: $vgpr3
.LBB198_366:
	s_delay_alu instid0(SALU_CYCLE_1)
	s_and_not1_b32 vcc_lo, exec_lo, s2
	s_cbranch_vccnz .LBB198_368
; %bb.367:
	s_wait_loadcnt 0x0
	global_load_b32 v3, v[0:1], off
	s_wait_loadcnt 0x0
	v_cvt_f32_i32_e32 v3, v3
	s_delay_alu instid0(VALU_DEP_1) | instskip(NEXT) | instid1(VALU_DEP_1)
	v_bfe_u32 v4, v3, 16, 1
	v_add3_u32 v3, v3, v4, 0x7fff
	s_delay_alu instid0(VALU_DEP_1)
	v_lshrrev_b32_e32 v3, 16, v3
.LBB198_368:
	s_mov_b32 s2, 0
.LBB198_369:
	s_delay_alu instid0(SALU_CYCLE_1)
	s_and_not1_b32 vcc_lo, exec_lo, s2
	s_cbranch_vccnz .LBB198_371
; %bb.370:
	s_wait_loadcnt 0x0
	global_load_i16 v3, v[0:1], off
	s_wait_loadcnt 0x0
	v_cvt_f32_i32_e32 v3, v3
	s_delay_alu instid0(VALU_DEP_1) | instskip(NEXT) | instid1(VALU_DEP_1)
	v_bfe_u32 v4, v3, 16, 1
	v_add3_u32 v3, v3, v4, 0x7fff
	s_delay_alu instid0(VALU_DEP_1)
	v_lshrrev_b32_e32 v3, 16, v3
.LBB198_371:
	s_mov_b32 s2, 0
.LBB198_372:
	s_delay_alu instid0(SALU_CYCLE_1)
	s_and_not1_b32 vcc_lo, exec_lo, s2
	s_cbranch_vccnz .LBB198_378
; %bb.373:
	s_cmp_gt_i32 s1, 0
	s_mov_b32 s1, 0
	s_cbranch_scc0 .LBB198_375
; %bb.374:
	s_wait_loadcnt 0x0
	global_load_i8 v3, v[0:1], off
	s_wait_loadcnt 0x0
	v_cvt_f32_i32_e32 v3, v3
	s_delay_alu instid0(VALU_DEP_1) | instskip(NEXT) | instid1(VALU_DEP_1)
	v_bfe_u32 v4, v3, 16, 1
	v_add3_u32 v3, v3, v4, 0x7fff
	s_delay_alu instid0(VALU_DEP_1)
	v_lshrrev_b32_e32 v3, 16, v3
	s_branch .LBB198_376
.LBB198_375:
	s_mov_b32 s1, -1
                                        ; implicit-def: $vgpr3
.LBB198_376:
	s_delay_alu instid0(SALU_CYCLE_1)
	s_and_not1_b32 vcc_lo, exec_lo, s1
	s_cbranch_vccnz .LBB198_378
; %bb.377:
	global_load_u8 v0, v[0:1], off
	s_wait_loadcnt 0x0
	v_cvt_f32_ubyte0_e32 v0, v0
	s_delay_alu instid0(VALU_DEP_1) | instskip(NEXT) | instid1(VALU_DEP_1)
	v_bfe_u32 v1, v0, 16, 1
	v_add3_u32 v0, v0, v1, 0x7fff
	s_delay_alu instid0(VALU_DEP_1)
	v_lshrrev_b32_e32 v3, 16, v0
.LBB198_378:
	s_branch .LBB198_21
.LBB198_379:
	s_mov_b32 s2, 0
.LBB198_380:
	s_mov_b32 s1, 0
                                        ; implicit-def: $vgpr6
.LBB198_381:
	s_and_b32 s18, s2, exec_lo
	s_and_b32 s20, s20, exec_lo
	s_and_b32 s21, s21, exec_lo
	s_or_not1_b32 s1, s1, exec_lo
.LBB198_382:
	s_wait_xcnt 0x0
	s_or_b32 exec_lo, exec_lo, s22
	s_mov_b32 s25, 0
	s_mov_b32 s24, 0
                                        ; implicit-def: $sgpr2
                                        ; implicit-def: $vgpr0_vgpr1
                                        ; implicit-def: $vgpr2
	s_and_saveexec_b32 s22, s1
	s_cbranch_execz .LBB198_391
; %bb.383:
	s_mov_b32 s29, -1
	s_mov_b32 s23, s21
	s_mov_b32 s25, s20
	s_mov_b32 s24, s18
	s_mov_b32 s26, exec_lo
	v_cmpx_gt_i32_e64 s19, v6
	s_cbranch_execz .LBB198_775
; %bb.384:
	v_mul_lo_u32 v0, v6, s9
	s_and_b32 s1, s16, 0xff
	s_delay_alu instid0(SALU_CYCLE_1) | instskip(NEXT) | instid1(VALU_DEP_1)
	s_cmp_lt_i32 s1, 11
	v_ashrrev_i32_e32 v1, 31, v0
	s_delay_alu instid0(VALU_DEP_1)
	v_add_nc_u64_e32 v[0:1], s[6:7], v[0:1]
	s_cbranch_scc1 .LBB198_394
; %bb.385:
	s_and_b32 s2, 0xffff, s1
	s_delay_alu instid0(SALU_CYCLE_1)
	s_cmp_gt_i32 s2, 25
	s_cbranch_scc0 .LBB198_403
; %bb.386:
	s_cmp_gt_i32 s2, 28
	s_cbranch_scc0 .LBB198_405
; %bb.387:
	;; [unrolled: 3-line block ×4, first 2 shown]
	s_cmp_eq_u32 s2, 46
	s_mov_b32 s25, 0
	s_cbranch_scc0 .LBB198_413
; %bb.390:
	s_wait_loadcnt 0x0
	global_load_b32 v2, v[0:1], off
	s_mov_b32 s24, -1
	s_mov_b32 s23, 0
	s_branch .LBB198_415
.LBB198_391:
	s_or_b32 exec_lo, exec_lo, s22
	s_mov_b32 s1, 0
	s_and_saveexec_b32 s19, s21
	s_cbranch_execnz .LBB198_1251
.LBB198_392:
	s_or_b32 exec_lo, exec_lo, s19
	s_and_saveexec_b32 s19, s23
	s_delay_alu instid0(SALU_CYCLE_1)
	s_xor_b32 s19, exec_lo, s19
	s_cbranch_execz .LBB198_1252
.LBB198_393:
	s_wait_loadcnt 0x0
	global_load_u8 v2, v[0:1], off
	s_or_b32 s24, s24, exec_lo
	s_wait_loadcnt 0x0
	v_cmp_ne_u16_e32 vcc_lo, 0, v2
	v_cndmask_b32_e64 v2, 0, 1.0, vcc_lo
	s_delay_alu instid0(VALU_DEP_1)
	v_lshrrev_b32_e32 v2, 16, v2
	s_wait_xcnt 0x0
	s_or_b32 exec_lo, exec_lo, s19
	s_and_saveexec_b32 s19, s25
	s_cbranch_execz .LBB198_1298
	s_branch .LBB198_1253
.LBB198_394:
	s_mov_b32 s24, 0
	s_mov_b32 s23, s21
                                        ; implicit-def: $vgpr2
	s_cbranch_execnz .LBB198_481
.LBB198_395:
	s_and_not1_b32 vcc_lo, exec_lo, s24
	s_cbranch_vccnz .LBB198_529
.LBB198_396:
	s_wait_xcnt 0x0
	v_mul_lo_u32 v0, v6, s10
	s_and_b32 s1, s14, 0xff
	s_delay_alu instid0(SALU_CYCLE_1) | instskip(NEXT) | instid1(VALU_DEP_1)
	s_cmp_lt_i32 s1, 11
	v_ashrrev_i32_e32 v1, 31, v0
	s_delay_alu instid0(VALU_DEP_1)
	v_add_nc_u64_e32 v[0:1], s[12:13], v[0:1]
	s_cbranch_scc1 .LBB198_404
; %bb.397:
	s_and_b32 s2, 0xffff, s1
	s_delay_alu instid0(SALU_CYCLE_1)
	s_cmp_gt_i32 s2, 25
	s_cbranch_scc0 .LBB198_406
; %bb.398:
	s_cmp_gt_i32 s2, 28
	s_cbranch_scc0 .LBB198_408
; %bb.399:
	;; [unrolled: 3-line block ×4, first 2 shown]
	s_cmp_eq_u32 s2, 46
	s_mov_b32 s27, 0
	s_cbranch_scc0 .LBB198_532
; %bb.402:
	s_wait_loadcnt 0x0
	global_load_b32 v3, v[0:1], off
	s_mov_b32 s24, -1
	s_mov_b32 s25, 0
	s_branch .LBB198_534
.LBB198_403:
	s_mov_b32 s25, -1
	s_mov_b32 s24, 0
	s_mov_b32 s23, s21
                                        ; implicit-def: $vgpr2
	s_branch .LBB198_445
.LBB198_404:
	s_mov_b32 s2, -1
	s_mov_b32 s24, 0
	s_mov_b32 s25, s20
                                        ; implicit-def: $vgpr3
	s_branch .LBB198_599
.LBB198_405:
	s_mov_b32 s25, -1
	s_mov_b32 s24, 0
	s_mov_b32 s23, s21
                                        ; implicit-def: $vgpr2
	s_branch .LBB198_426
.LBB198_406:
	s_mov_b32 s27, -1
	s_mov_b32 s24, 0
	s_mov_b32 s25, s20
                                        ; implicit-def: $vgpr3
	s_branch .LBB198_563
.LBB198_407:
	s_mov_b32 s25, -1
	s_mov_b32 s24, 0
	s_mov_b32 s23, s21
                                        ; implicit-def: $vgpr2
	s_branch .LBB198_421
.LBB198_408:
	s_mov_b32 s27, -1
	s_mov_b32 s24, 0
	s_mov_b32 s25, s20
                                        ; implicit-def: $vgpr3
	s_branch .LBB198_544
.LBB198_409:
	s_mov_b32 s25, -1
	s_mov_b32 s24, 0
	s_mov_b32 s23, s21
	s_branch .LBB198_414
.LBB198_410:
	s_mov_b32 s27, -1
	s_mov_b32 s24, 0
	s_mov_b32 s25, s20
                                        ; implicit-def: $vgpr3
	s_branch .LBB198_539
.LBB198_411:
	s_and_not1_saveexec_b32 s27, s27
	s_cbranch_execz .LBB198_180
.LBB198_412:
	v_add_f32_e32 v2, 0x46000000, v3
	s_and_not1_b32 s26, s26, exec_lo
	s_delay_alu instid0(VALU_DEP_1) | instskip(NEXT) | instid1(VALU_DEP_1)
	v_and_b32_e32 v2, 0xff, v2
	v_cmp_ne_u32_e32 vcc_lo, 0, v2
	s_and_b32 s28, vcc_lo, exec_lo
	s_delay_alu instid0(SALU_CYCLE_1)
	s_or_b32 s26, s26, s28
	s_or_b32 exec_lo, exec_lo, s27
	v_mov_b32_e32 v4, 0
	s_and_saveexec_b32 s27, s26
	s_cbranch_execnz .LBB198_181
	s_branch .LBB198_182
.LBB198_413:
	s_mov_b32 s23, -1
	s_mov_b32 s24, 0
.LBB198_414:
                                        ; implicit-def: $vgpr2
.LBB198_415:
	s_and_b32 vcc_lo, exec_lo, s25
	s_cbranch_vccz .LBB198_420
; %bb.416:
	s_cmp_eq_u32 s2, 44
	s_cbranch_scc0 .LBB198_419
; %bb.417:
	s_wait_loadcnt 0x0
	global_load_u8 v2, v[0:1], off
	s_mov_b32 s23, 0
	s_mov_b32 s24, -1
	s_wait_loadcnt 0x0
	v_lshlrev_b32_e32 v3, 23, v2
	v_cmp_ne_u32_e32 vcc_lo, 0xff, v2
	s_delay_alu instid0(VALU_DEP_2) | instskip(SKIP_1) | instid1(VALU_DEP_2)
	v_cndmask_b32_e32 v3, 0x7f800001, v3, vcc_lo
	v_cmp_ne_u32_e32 vcc_lo, 0, v2
	v_cndmask_b32_e32 v2, 0x400000, v3, vcc_lo
	s_delay_alu instid0(VALU_DEP_1) | instskip(NEXT) | instid1(VALU_DEP_1)
	v_add_nc_u32_e32 v3, 0x7fff, v2
	v_lshrrev_b32_e32 v3, 16, v3
	v_cmp_o_f32_e32 vcc_lo, v2, v2
	s_delay_alu instid0(VALU_DEP_2)
	v_cndmask_b32_e32 v2, 0x7fc0, v3, vcc_lo
	s_branch .LBB198_420
.LBB198_418:
	s_mov_b32 s27, -1
	s_mov_b32 s24, 0
	s_mov_b32 s25, s20
	s_branch .LBB198_533
.LBB198_419:
	s_mov_b32 s23, -1
                                        ; implicit-def: $vgpr2
.LBB198_420:
	s_mov_b32 s25, 0
.LBB198_421:
	s_delay_alu instid0(SALU_CYCLE_1)
	s_and_b32 vcc_lo, exec_lo, s25
	s_cbranch_vccz .LBB198_425
; %bb.422:
	s_cmp_eq_u32 s2, 29
	s_cbranch_scc0 .LBB198_424
; %bb.423:
	s_wait_loadcnt 0x0
	global_load_b64 v[2:3], v[0:1], off
	s_mov_b32 s24, -1
	s_mov_b32 s23, 0
	s_mov_b32 s25, 0
	s_wait_loadcnt 0x0
	v_clz_i32_u32_e32 v4, v3
	s_delay_alu instid0(VALU_DEP_1) | instskip(NEXT) | instid1(VALU_DEP_1)
	v_min_u32_e32 v4, 32, v4
	v_lshlrev_b64_e32 v[2:3], v4, v[2:3]
	s_delay_alu instid0(VALU_DEP_1) | instskip(NEXT) | instid1(VALU_DEP_1)
	v_min_u32_e32 v2, 1, v2
	v_dual_sub_nc_u32 v3, 32, v4 :: v_dual_bitop2_b32 v2, v3, v2 bitop3:0x54
	s_delay_alu instid0(VALU_DEP_1) | instskip(NEXT) | instid1(VALU_DEP_1)
	v_cvt_f32_u32_e32 v2, v2
	v_ldexp_f32 v2, v2, v3
	s_delay_alu instid0(VALU_DEP_1) | instskip(NEXT) | instid1(VALU_DEP_1)
	v_bfe_u32 v3, v2, 16, 1
	v_add3_u32 v2, v2, v3, 0x7fff
	s_delay_alu instid0(VALU_DEP_1)
	v_lshrrev_b32_e32 v2, 16, v2
	s_branch .LBB198_426
.LBB198_424:
	s_mov_b32 s23, -1
                                        ; implicit-def: $vgpr2
.LBB198_425:
	s_mov_b32 s25, 0
.LBB198_426:
	s_delay_alu instid0(SALU_CYCLE_1)
	s_and_b32 vcc_lo, exec_lo, s25
	s_cbranch_vccz .LBB198_444
; %bb.427:
	s_cmp_lt_i32 s2, 27
	s_cbranch_scc1 .LBB198_430
; %bb.428:
	s_cmp_gt_i32 s2, 27
	s_cbranch_scc0 .LBB198_431
; %bb.429:
	s_wait_loadcnt 0x0
	global_load_b32 v2, v[0:1], off
	s_mov_b32 s24, 0
	s_wait_loadcnt 0x0
	v_cvt_f32_u32_e32 v2, v2
	s_delay_alu instid0(VALU_DEP_1) | instskip(NEXT) | instid1(VALU_DEP_1)
	v_bfe_u32 v3, v2, 16, 1
	v_add3_u32 v2, v2, v3, 0x7fff
	s_delay_alu instid0(VALU_DEP_1)
	v_lshrrev_b32_e32 v2, 16, v2
	s_branch .LBB198_432
.LBB198_430:
	s_mov_b32 s24, -1
                                        ; implicit-def: $vgpr2
	s_branch .LBB198_435
.LBB198_431:
	s_mov_b32 s24, -1
                                        ; implicit-def: $vgpr2
.LBB198_432:
	s_delay_alu instid0(SALU_CYCLE_1)
	s_and_not1_b32 vcc_lo, exec_lo, s24
	s_cbranch_vccnz .LBB198_434
; %bb.433:
	s_wait_loadcnt 0x0
	global_load_u16 v2, v[0:1], off
	s_wait_loadcnt 0x0
	v_cvt_f32_u32_e32 v2, v2
	s_delay_alu instid0(VALU_DEP_1) | instskip(NEXT) | instid1(VALU_DEP_1)
	v_bfe_u32 v3, v2, 16, 1
	v_add3_u32 v2, v2, v3, 0x7fff
	s_delay_alu instid0(VALU_DEP_1)
	v_lshrrev_b32_e32 v2, 16, v2
.LBB198_434:
	s_mov_b32 s24, 0
.LBB198_435:
	s_delay_alu instid0(SALU_CYCLE_1)
	s_and_not1_b32 vcc_lo, exec_lo, s24
	s_cbranch_vccnz .LBB198_443
; %bb.436:
	s_wait_loadcnt 0x0
	global_load_u8 v2, v[0:1], off
	s_mov_b32 s24, 0
	s_mov_b32 s25, exec_lo
	s_wait_loadcnt 0x0
	v_cmpx_lt_i16_e32 0x7f, v2
	s_xor_b32 s25, exec_lo, s25
	s_cbranch_execz .LBB198_457
; %bb.437:
	s_mov_b32 s24, -1
	s_mov_b32 s27, exec_lo
	v_cmpx_eq_u16_e32 0x80, v2
; %bb.438:
	s_xor_b32 s24, exec_lo, -1
; %bb.439:
	s_or_b32 exec_lo, exec_lo, s27
	s_delay_alu instid0(SALU_CYCLE_1)
	s_and_b32 s24, s24, exec_lo
	s_or_saveexec_b32 s25, s25
	v_mov_b32_e32 v3, 0x7f800001
	s_xor_b32 exec_lo, exec_lo, s25
	s_cbranch_execnz .LBB198_458
.LBB198_440:
	s_or_b32 exec_lo, exec_lo, s25
	s_and_saveexec_b32 s25, s24
	s_cbranch_execz .LBB198_442
.LBB198_441:
	v_and_b32_e32 v3, 0xffff, v2
	s_delay_alu instid0(VALU_DEP_1) | instskip(SKIP_1) | instid1(VALU_DEP_2)
	v_and_b32_e32 v4, 7, v3
	v_bfe_u32 v8, v3, 3, 4
	v_clz_i32_u32_e32 v5, v4
	s_delay_alu instid0(VALU_DEP_2) | instskip(NEXT) | instid1(VALU_DEP_2)
	v_cmp_eq_u32_e32 vcc_lo, 0, v8
	v_min_u32_e32 v5, 32, v5
	s_delay_alu instid0(VALU_DEP_1) | instskip(NEXT) | instid1(VALU_DEP_1)
	v_subrev_nc_u32_e32 v7, 28, v5
	v_dual_lshlrev_b32 v3, v7, v3 :: v_dual_sub_nc_u32 v5, 29, v5
	s_delay_alu instid0(VALU_DEP_1) | instskip(NEXT) | instid1(VALU_DEP_2)
	v_dual_lshlrev_b32 v2, 24, v2 :: v_dual_bitop2_b32 v3, 7, v3 bitop3:0x40
	v_cndmask_b32_e32 v5, v8, v5, vcc_lo
	s_delay_alu instid0(VALU_DEP_2) | instskip(NEXT) | instid1(VALU_DEP_3)
	v_cndmask_b32_e32 v3, v4, v3, vcc_lo
	v_and_b32_e32 v2, 0x80000000, v2
	s_delay_alu instid0(VALU_DEP_3) | instskip(NEXT) | instid1(VALU_DEP_3)
	v_lshl_add_u32 v4, v5, 23, 0x3b800000
	v_lshlrev_b32_e32 v3, 20, v3
	s_delay_alu instid0(VALU_DEP_1)
	v_or3_b32 v3, v2, v4, v3
.LBB198_442:
	s_or_b32 exec_lo, exec_lo, s25
	s_delay_alu instid0(VALU_DEP_1) | instskip(SKIP_1) | instid1(VALU_DEP_2)
	v_bfe_u32 v2, v3, 16, 1
	v_cmp_o_f32_e32 vcc_lo, v3, v3
	v_add3_u32 v2, v3, v2, 0x7fff
	s_delay_alu instid0(VALU_DEP_1) | instskip(NEXT) | instid1(VALU_DEP_1)
	v_lshrrev_b32_e32 v2, 16, v2
	v_cndmask_b32_e32 v2, 0x7fc0, v2, vcc_lo
.LBB198_443:
	s_mov_b32 s24, -1
.LBB198_444:
	s_mov_b32 s25, 0
.LBB198_445:
	s_delay_alu instid0(SALU_CYCLE_1)
	s_and_b32 vcc_lo, exec_lo, s25
	s_cbranch_vccz .LBB198_480
; %bb.446:
	s_cmp_gt_i32 s2, 22
	s_cbranch_scc0 .LBB198_456
; %bb.447:
	s_cmp_lt_i32 s2, 24
	s_cbranch_scc1 .LBB198_459
; %bb.448:
	s_cmp_gt_i32 s2, 24
	s_cbranch_scc0 .LBB198_460
; %bb.449:
	s_wait_loadcnt 0x0
	global_load_u8 v2, v[0:1], off
	s_mov_b32 s24, 0
	s_mov_b32 s25, exec_lo
	s_wait_loadcnt 0x0
	v_cmpx_lt_i16_e32 0x7f, v2
	s_xor_b32 s25, exec_lo, s25
	s_cbranch_execz .LBB198_472
; %bb.450:
	s_mov_b32 s24, -1
	s_mov_b32 s27, exec_lo
	v_cmpx_eq_u16_e32 0x80, v2
; %bb.451:
	s_xor_b32 s24, exec_lo, -1
; %bb.452:
	s_or_b32 exec_lo, exec_lo, s27
	s_delay_alu instid0(SALU_CYCLE_1)
	s_and_b32 s24, s24, exec_lo
	s_or_saveexec_b32 s25, s25
	v_mov_b32_e32 v3, 0x7f800001
	s_xor_b32 exec_lo, exec_lo, s25
	s_cbranch_execnz .LBB198_473
.LBB198_453:
	s_or_b32 exec_lo, exec_lo, s25
	s_and_saveexec_b32 s25, s24
	s_cbranch_execz .LBB198_455
.LBB198_454:
	v_and_b32_e32 v3, 0xffff, v2
	s_delay_alu instid0(VALU_DEP_1) | instskip(SKIP_1) | instid1(VALU_DEP_2)
	v_and_b32_e32 v4, 3, v3
	v_bfe_u32 v8, v3, 2, 5
	v_clz_i32_u32_e32 v5, v4
	s_delay_alu instid0(VALU_DEP_2) | instskip(NEXT) | instid1(VALU_DEP_2)
	v_cmp_eq_u32_e32 vcc_lo, 0, v8
	v_min_u32_e32 v5, 32, v5
	s_delay_alu instid0(VALU_DEP_1) | instskip(NEXT) | instid1(VALU_DEP_1)
	v_subrev_nc_u32_e32 v7, 29, v5
	v_dual_lshlrev_b32 v3, v7, v3 :: v_dual_sub_nc_u32 v5, 30, v5
	s_delay_alu instid0(VALU_DEP_1) | instskip(NEXT) | instid1(VALU_DEP_2)
	v_dual_lshlrev_b32 v2, 24, v2 :: v_dual_bitop2_b32 v3, 3, v3 bitop3:0x40
	v_cndmask_b32_e32 v5, v8, v5, vcc_lo
	s_delay_alu instid0(VALU_DEP_2) | instskip(NEXT) | instid1(VALU_DEP_3)
	v_cndmask_b32_e32 v3, v4, v3, vcc_lo
	v_and_b32_e32 v2, 0x80000000, v2
	s_delay_alu instid0(VALU_DEP_3) | instskip(NEXT) | instid1(VALU_DEP_3)
	v_lshl_add_u32 v4, v5, 23, 0x37800000
	v_lshlrev_b32_e32 v3, 21, v3
	s_delay_alu instid0(VALU_DEP_1)
	v_or3_b32 v3, v2, v4, v3
.LBB198_455:
	s_or_b32 exec_lo, exec_lo, s25
	s_delay_alu instid0(VALU_DEP_1) | instskip(SKIP_2) | instid1(VALU_DEP_2)
	v_bfe_u32 v2, v3, 16, 1
	v_cmp_o_f32_e32 vcc_lo, v3, v3
	s_mov_b32 s24, 0
	v_add3_u32 v2, v3, v2, 0x7fff
	s_delay_alu instid0(VALU_DEP_1) | instskip(NEXT) | instid1(VALU_DEP_1)
	v_lshrrev_b32_e32 v2, 16, v2
	v_cndmask_b32_e32 v2, 0x7fc0, v2, vcc_lo
	s_branch .LBB198_461
.LBB198_456:
	s_mov_b32 s25, -1
                                        ; implicit-def: $vgpr2
	s_branch .LBB198_467
.LBB198_457:
	s_or_saveexec_b32 s25, s25
	v_mov_b32_e32 v3, 0x7f800001
	s_xor_b32 exec_lo, exec_lo, s25
	s_cbranch_execz .LBB198_440
.LBB198_458:
	v_cmp_ne_u16_e32 vcc_lo, 0, v2
	v_mov_b32_e32 v3, 0
	s_and_not1_b32 s24, s24, exec_lo
	s_and_b32 s27, vcc_lo, exec_lo
	s_delay_alu instid0(SALU_CYCLE_1)
	s_or_b32 s24, s24, s27
	s_or_b32 exec_lo, exec_lo, s25
	s_and_saveexec_b32 s25, s24
	s_cbranch_execnz .LBB198_441
	s_branch .LBB198_442
.LBB198_459:
	s_mov_b32 s24, -1
                                        ; implicit-def: $vgpr2
	s_branch .LBB198_464
.LBB198_460:
	s_mov_b32 s24, -1
                                        ; implicit-def: $vgpr2
.LBB198_461:
	s_delay_alu instid0(SALU_CYCLE_1)
	s_and_b32 vcc_lo, exec_lo, s24
	s_cbranch_vccz .LBB198_463
; %bb.462:
	s_wait_loadcnt 0x0
	global_load_u8 v2, v[0:1], off
	s_wait_loadcnt 0x0
	v_lshlrev_b32_e32 v2, 24, v2
	s_delay_alu instid0(VALU_DEP_1) | instskip(NEXT) | instid1(VALU_DEP_1)
	v_and_b32_e32 v3, 0x7f000000, v2
	v_clz_i32_u32_e32 v4, v3
	v_add_nc_u32_e32 v7, 0x1000000, v3
	v_cmp_ne_u32_e32 vcc_lo, 0, v3
	s_delay_alu instid0(VALU_DEP_3) | instskip(NEXT) | instid1(VALU_DEP_1)
	v_min_u32_e32 v4, 32, v4
	v_sub_nc_u32_e64 v4, v4, 4 clamp
	s_delay_alu instid0(VALU_DEP_1) | instskip(NEXT) | instid1(VALU_DEP_1)
	v_dual_lshlrev_b32 v5, v4, v3 :: v_dual_lshlrev_b32 v4, 23, v4
	v_lshrrev_b32_e32 v5, 4, v5
	s_delay_alu instid0(VALU_DEP_1) | instskip(NEXT) | instid1(VALU_DEP_1)
	v_dual_sub_nc_u32 v4, v5, v4 :: v_dual_ashrrev_i32 v5, 8, v7
	v_add_nc_u32_e32 v4, 0x3c000000, v4
	s_delay_alu instid0(VALU_DEP_1) | instskip(NEXT) | instid1(VALU_DEP_1)
	v_and_or_b32 v4, 0x7f800000, v5, v4
	v_cndmask_b32_e32 v3, 0, v4, vcc_lo
	s_delay_alu instid0(VALU_DEP_1) | instskip(SKIP_1) | instid1(VALU_DEP_2)
	v_and_or_b32 v2, 0x80000000, v2, v3
	v_bfe_u32 v3, v3, 16, 1
	v_cmp_o_f32_e32 vcc_lo, v2, v2
	s_delay_alu instid0(VALU_DEP_2) | instskip(NEXT) | instid1(VALU_DEP_1)
	v_add3_u32 v3, v2, v3, 0x7fff
	v_lshrrev_b32_e32 v3, 16, v3
	s_delay_alu instid0(VALU_DEP_1)
	v_cndmask_b32_e32 v2, 0x7fc0, v3, vcc_lo
.LBB198_463:
	s_mov_b32 s24, 0
.LBB198_464:
	s_delay_alu instid0(SALU_CYCLE_1)
	s_and_not1_b32 vcc_lo, exec_lo, s24
	s_cbranch_vccnz .LBB198_466
; %bb.465:
	s_wait_loadcnt 0x0
	global_load_u8 v2, v[0:1], off
	s_wait_loadcnt 0x0
	v_lshlrev_b32_e32 v3, 25, v2
	v_lshlrev_b16 v2, 8, v2
	s_delay_alu instid0(VALU_DEP_1) | instskip(SKIP_1) | instid1(VALU_DEP_2)
	v_and_or_b32 v5, 0x7f00, v2, 0.5
	v_bfe_i32 v2, v2, 0, 16
	v_dual_add_f32 v5, -0.5, v5 :: v_dual_lshrrev_b32 v4, 4, v3
	v_cmp_gt_u32_e32 vcc_lo, 0x8000000, v3
	s_delay_alu instid0(VALU_DEP_2) | instskip(NEXT) | instid1(VALU_DEP_1)
	v_or_b32_e32 v4, 0x70000000, v4
	v_mul_f32_e32 v4, 0x7800000, v4
	s_delay_alu instid0(VALU_DEP_1) | instskip(NEXT) | instid1(VALU_DEP_1)
	v_cndmask_b32_e32 v3, v4, v5, vcc_lo
	v_and_or_b32 v2, 0x80000000, v2, v3
	v_bfe_u32 v3, v3, 16, 1
	s_delay_alu instid0(VALU_DEP_2) | instskip(NEXT) | instid1(VALU_DEP_2)
	v_cmp_o_f32_e32 vcc_lo, v2, v2
	v_add3_u32 v3, v2, v3, 0x7fff
	s_delay_alu instid0(VALU_DEP_1) | instskip(NEXT) | instid1(VALU_DEP_1)
	v_lshrrev_b32_e32 v3, 16, v3
	v_cndmask_b32_e32 v2, 0x7fc0, v3, vcc_lo
.LBB198_466:
	s_mov_b32 s25, 0
	s_mov_b32 s24, -1
.LBB198_467:
	s_and_not1_b32 vcc_lo, exec_lo, s25
	s_cbranch_vccnz .LBB198_480
; %bb.468:
	s_cmp_gt_i32 s2, 14
	s_cbranch_scc0 .LBB198_471
; %bb.469:
	s_cmp_eq_u32 s2, 15
	s_cbranch_scc0 .LBB198_474
; %bb.470:
	s_wait_loadcnt 0x0
	global_load_u16 v2, v[0:1], off
	s_mov_b32 s24, -1
	s_mov_b32 s23, 0
	s_branch .LBB198_475
.LBB198_471:
	s_mov_b32 s25, -1
                                        ; implicit-def: $vgpr2
	s_branch .LBB198_476
.LBB198_472:
	s_or_saveexec_b32 s25, s25
	v_mov_b32_e32 v3, 0x7f800001
	s_xor_b32 exec_lo, exec_lo, s25
	s_cbranch_execz .LBB198_453
.LBB198_473:
	v_cmp_ne_u16_e32 vcc_lo, 0, v2
	v_mov_b32_e32 v3, 0
	s_and_not1_b32 s24, s24, exec_lo
	s_and_b32 s27, vcc_lo, exec_lo
	s_delay_alu instid0(SALU_CYCLE_1)
	s_or_b32 s24, s24, s27
	s_or_b32 exec_lo, exec_lo, s25
	s_and_saveexec_b32 s25, s24
	s_cbranch_execnz .LBB198_454
	s_branch .LBB198_455
.LBB198_474:
	s_mov_b32 s23, -1
                                        ; implicit-def: $vgpr2
.LBB198_475:
	s_mov_b32 s25, 0
.LBB198_476:
	s_delay_alu instid0(SALU_CYCLE_1)
	s_and_b32 vcc_lo, exec_lo, s25
	s_cbranch_vccz .LBB198_480
; %bb.477:
	s_cmp_eq_u32 s2, 11
	s_cbranch_scc0 .LBB198_479
; %bb.478:
	s_wait_loadcnt 0x0
	global_load_u8 v2, v[0:1], off
	s_mov_b32 s23, 0
	s_mov_b32 s24, -1
	s_wait_loadcnt 0x0
	v_cmp_ne_u16_e32 vcc_lo, 0, v2
	v_cndmask_b32_e64 v2, 0, 1.0, vcc_lo
	s_delay_alu instid0(VALU_DEP_1)
	v_lshrrev_b32_e32 v2, 16, v2
	s_branch .LBB198_480
.LBB198_479:
	s_mov_b32 s23, -1
                                        ; implicit-def: $vgpr2
.LBB198_480:
	s_branch .LBB198_395
.LBB198_481:
	s_and_b32 s1, 0xffff, s1
	s_delay_alu instid0(SALU_CYCLE_1)
	s_cmp_lt_i32 s1, 5
	s_cbranch_scc1 .LBB198_486
; %bb.482:
	s_cmp_lt_i32 s1, 8
	s_cbranch_scc1 .LBB198_487
; %bb.483:
	;; [unrolled: 3-line block ×3, first 2 shown]
	s_cmp_gt_i32 s1, 9
	s_cbranch_scc0 .LBB198_489
; %bb.485:
	s_wait_loadcnt 0x0
	global_load_b64 v[2:3], v[0:1], off
	s_mov_b32 s2, 0
	s_wait_loadcnt 0x0
	v_cvt_f32_f64_e32 v2, v[2:3]
	s_delay_alu instid0(VALU_DEP_1) | instskip(SKIP_1) | instid1(VALU_DEP_2)
	v_bfe_u32 v3, v2, 16, 1
	v_cmp_o_f32_e32 vcc_lo, v2, v2
	v_add3_u32 v3, v2, v3, 0x7fff
	s_delay_alu instid0(VALU_DEP_1) | instskip(NEXT) | instid1(VALU_DEP_1)
	v_lshrrev_b32_e32 v3, 16, v3
	v_cndmask_b32_e32 v2, 0x7fc0, v3, vcc_lo
	s_branch .LBB198_490
.LBB198_486:
	s_mov_b32 s2, -1
                                        ; implicit-def: $vgpr2
	s_branch .LBB198_508
.LBB198_487:
	s_mov_b32 s2, -1
                                        ; implicit-def: $vgpr2
	s_branch .LBB198_496
.LBB198_488:
	s_mov_b32 s2, -1
                                        ; implicit-def: $vgpr2
	s_branch .LBB198_493
.LBB198_489:
	s_mov_b32 s2, -1
                                        ; implicit-def: $vgpr2
.LBB198_490:
	s_delay_alu instid0(SALU_CYCLE_1)
	s_and_not1_b32 vcc_lo, exec_lo, s2
	s_cbranch_vccnz .LBB198_492
; %bb.491:
	s_wait_loadcnt 0x0
	global_load_b32 v2, v[0:1], off
	s_wait_loadcnt 0x0
	v_bfe_u32 v3, v2, 16, 1
	v_cmp_o_f32_e32 vcc_lo, v2, v2
	s_delay_alu instid0(VALU_DEP_2) | instskip(NEXT) | instid1(VALU_DEP_1)
	v_add3_u32 v3, v2, v3, 0x7fff
	v_lshrrev_b32_e32 v3, 16, v3
	s_delay_alu instid0(VALU_DEP_1)
	v_cndmask_b32_e32 v2, 0x7fc0, v3, vcc_lo
.LBB198_492:
	s_mov_b32 s2, 0
.LBB198_493:
	s_delay_alu instid0(SALU_CYCLE_1)
	s_and_not1_b32 vcc_lo, exec_lo, s2
	s_cbranch_vccnz .LBB198_495
; %bb.494:
	s_wait_loadcnt 0x0
	global_load_b32 v2, v[0:1], off
	s_wait_loadcnt 0x0
	v_cvt_f32_f16_e32 v3, v2
	v_cmp_o_f16_e32 vcc_lo, v2, v2
	s_delay_alu instid0(VALU_DEP_2) | instskip(NEXT) | instid1(VALU_DEP_1)
	v_bfe_u32 v4, v3, 16, 1
	v_add3_u32 v3, v3, v4, 0x7fff
	s_delay_alu instid0(VALU_DEP_1) | instskip(NEXT) | instid1(VALU_DEP_1)
	v_lshrrev_b32_e32 v3, 16, v3
	v_cndmask_b32_e32 v2, 0x7fc0, v3, vcc_lo
.LBB198_495:
	s_mov_b32 s2, 0
.LBB198_496:
	s_delay_alu instid0(SALU_CYCLE_1)
	s_and_not1_b32 vcc_lo, exec_lo, s2
	s_cbranch_vccnz .LBB198_507
; %bb.497:
	s_cmp_lt_i32 s1, 6
	s_cbranch_scc1 .LBB198_500
; %bb.498:
	s_cmp_gt_i32 s1, 6
	s_cbranch_scc0 .LBB198_501
; %bb.499:
	s_wait_loadcnt 0x0
	global_load_b64 v[2:3], v[0:1], off
	s_mov_b32 s2, 0
	s_wait_loadcnt 0x0
	v_cvt_f32_f64_e32 v2, v[2:3]
	s_delay_alu instid0(VALU_DEP_1) | instskip(SKIP_1) | instid1(VALU_DEP_2)
	v_bfe_u32 v3, v2, 16, 1
	v_cmp_o_f32_e32 vcc_lo, v2, v2
	v_add3_u32 v3, v2, v3, 0x7fff
	s_delay_alu instid0(VALU_DEP_1) | instskip(NEXT) | instid1(VALU_DEP_1)
	v_lshrrev_b32_e32 v3, 16, v3
	v_cndmask_b32_e32 v2, 0x7fc0, v3, vcc_lo
	s_branch .LBB198_502
.LBB198_500:
	s_mov_b32 s2, -1
                                        ; implicit-def: $vgpr2
	s_branch .LBB198_505
.LBB198_501:
	s_mov_b32 s2, -1
                                        ; implicit-def: $vgpr2
.LBB198_502:
	s_delay_alu instid0(SALU_CYCLE_1)
	s_and_not1_b32 vcc_lo, exec_lo, s2
	s_cbranch_vccnz .LBB198_504
; %bb.503:
	s_wait_loadcnt 0x0
	global_load_b32 v2, v[0:1], off
	s_wait_loadcnt 0x0
	v_bfe_u32 v3, v2, 16, 1
	v_cmp_o_f32_e32 vcc_lo, v2, v2
	s_delay_alu instid0(VALU_DEP_2) | instskip(NEXT) | instid1(VALU_DEP_1)
	v_add3_u32 v3, v2, v3, 0x7fff
	v_lshrrev_b32_e32 v3, 16, v3
	s_delay_alu instid0(VALU_DEP_1)
	v_cndmask_b32_e32 v2, 0x7fc0, v3, vcc_lo
.LBB198_504:
	s_mov_b32 s2, 0
.LBB198_505:
	s_delay_alu instid0(SALU_CYCLE_1)
	s_and_not1_b32 vcc_lo, exec_lo, s2
	s_cbranch_vccnz .LBB198_507
; %bb.506:
	s_wait_loadcnt 0x0
	global_load_u16 v2, v[0:1], off
	s_wait_loadcnt 0x0
	v_cvt_f32_f16_e32 v3, v2
	v_cmp_o_f16_e32 vcc_lo, v2, v2
	s_delay_alu instid0(VALU_DEP_2) | instskip(NEXT) | instid1(VALU_DEP_1)
	v_bfe_u32 v4, v3, 16, 1
	v_add3_u32 v3, v3, v4, 0x7fff
	s_delay_alu instid0(VALU_DEP_1) | instskip(NEXT) | instid1(VALU_DEP_1)
	v_lshrrev_b32_e32 v3, 16, v3
	v_cndmask_b32_e32 v2, 0x7fc0, v3, vcc_lo
.LBB198_507:
	s_mov_b32 s2, 0
.LBB198_508:
	s_delay_alu instid0(SALU_CYCLE_1)
	s_and_not1_b32 vcc_lo, exec_lo, s2
	s_cbranch_vccnz .LBB198_528
; %bb.509:
	s_cmp_lt_i32 s1, 2
	s_cbranch_scc1 .LBB198_513
; %bb.510:
	s_cmp_lt_i32 s1, 3
	s_cbranch_scc1 .LBB198_514
; %bb.511:
	s_cmp_gt_i32 s1, 3
	s_cbranch_scc0 .LBB198_515
; %bb.512:
	s_wait_loadcnt 0x0
	global_load_b64 v[2:3], v[0:1], off
	s_mov_b32 s2, 0
	s_wait_loadcnt 0x0
	v_xor_b32_e32 v4, v2, v3
	v_cls_i32_e32 v5, v3
	s_delay_alu instid0(VALU_DEP_2) | instskip(NEXT) | instid1(VALU_DEP_1)
	v_ashrrev_i32_e32 v4, 31, v4
	v_add_nc_u32_e32 v4, 32, v4
	s_delay_alu instid0(VALU_DEP_1) | instskip(NEXT) | instid1(VALU_DEP_1)
	v_add_min_u32_e64 v4, v5, -1, v4
	v_lshlrev_b64_e32 v[2:3], v4, v[2:3]
	s_delay_alu instid0(VALU_DEP_1) | instskip(NEXT) | instid1(VALU_DEP_1)
	v_min_u32_e32 v2, 1, v2
	v_dual_sub_nc_u32 v3, 32, v4 :: v_dual_bitop2_b32 v2, v3, v2 bitop3:0x54
	s_delay_alu instid0(VALU_DEP_1) | instskip(NEXT) | instid1(VALU_DEP_1)
	v_cvt_f32_i32_e32 v2, v2
	v_ldexp_f32 v2, v2, v3
	s_delay_alu instid0(VALU_DEP_1) | instskip(NEXT) | instid1(VALU_DEP_1)
	v_bfe_u32 v3, v2, 16, 1
	v_add3_u32 v2, v2, v3, 0x7fff
	s_delay_alu instid0(VALU_DEP_1)
	v_lshrrev_b32_e32 v2, 16, v2
	s_branch .LBB198_516
.LBB198_513:
	s_mov_b32 s2, -1
                                        ; implicit-def: $vgpr2
	s_branch .LBB198_522
.LBB198_514:
	s_mov_b32 s2, -1
                                        ; implicit-def: $vgpr2
	s_branch .LBB198_519
.LBB198_515:
	s_mov_b32 s2, -1
                                        ; implicit-def: $vgpr2
.LBB198_516:
	s_delay_alu instid0(SALU_CYCLE_1)
	s_and_not1_b32 vcc_lo, exec_lo, s2
	s_cbranch_vccnz .LBB198_518
; %bb.517:
	s_wait_loadcnt 0x0
	global_load_b32 v2, v[0:1], off
	s_wait_loadcnt 0x0
	v_cvt_f32_i32_e32 v2, v2
	s_delay_alu instid0(VALU_DEP_1) | instskip(NEXT) | instid1(VALU_DEP_1)
	v_bfe_u32 v3, v2, 16, 1
	v_add3_u32 v2, v2, v3, 0x7fff
	s_delay_alu instid0(VALU_DEP_1)
	v_lshrrev_b32_e32 v2, 16, v2
.LBB198_518:
	s_mov_b32 s2, 0
.LBB198_519:
	s_delay_alu instid0(SALU_CYCLE_1)
	s_and_not1_b32 vcc_lo, exec_lo, s2
	s_cbranch_vccnz .LBB198_521
; %bb.520:
	s_wait_loadcnt 0x0
	global_load_i16 v2, v[0:1], off
	s_wait_loadcnt 0x0
	v_cvt_f32_i32_e32 v2, v2
	s_delay_alu instid0(VALU_DEP_1) | instskip(NEXT) | instid1(VALU_DEP_1)
	v_bfe_u32 v3, v2, 16, 1
	v_add3_u32 v2, v2, v3, 0x7fff
	s_delay_alu instid0(VALU_DEP_1)
	v_lshrrev_b32_e32 v2, 16, v2
.LBB198_521:
	s_mov_b32 s2, 0
.LBB198_522:
	s_delay_alu instid0(SALU_CYCLE_1)
	s_and_not1_b32 vcc_lo, exec_lo, s2
	s_cbranch_vccnz .LBB198_528
; %bb.523:
	s_cmp_gt_i32 s1, 0
	s_mov_b32 s1, 0
	s_cbranch_scc0 .LBB198_525
; %bb.524:
	s_wait_loadcnt 0x0
	global_load_i8 v2, v[0:1], off
	s_wait_loadcnt 0x0
	v_cvt_f32_i32_e32 v2, v2
	s_delay_alu instid0(VALU_DEP_1) | instskip(NEXT) | instid1(VALU_DEP_1)
	v_bfe_u32 v3, v2, 16, 1
	v_add3_u32 v2, v2, v3, 0x7fff
	s_delay_alu instid0(VALU_DEP_1)
	v_lshrrev_b32_e32 v2, 16, v2
	s_branch .LBB198_526
.LBB198_525:
	s_mov_b32 s1, -1
                                        ; implicit-def: $vgpr2
.LBB198_526:
	s_delay_alu instid0(SALU_CYCLE_1)
	s_and_not1_b32 vcc_lo, exec_lo, s1
	s_cbranch_vccnz .LBB198_528
; %bb.527:
	global_load_u8 v0, v[0:1], off
	s_wait_loadcnt 0x0
	v_cvt_f32_ubyte0_e32 v0, v0
	s_delay_alu instid0(VALU_DEP_1) | instskip(NEXT) | instid1(VALU_DEP_1)
	v_bfe_u32 v1, v0, 16, 1
	v_add3_u32 v0, v0, v1, 0x7fff
	s_delay_alu instid0(VALU_DEP_1)
	v_lshrrev_b32_e32 v2, 16, v0
.LBB198_528:
	s_branch .LBB198_396
.LBB198_529:
	s_mov_b32 s1, 0
	s_mov_b32 s2, s18
	;; [unrolled: 1-line block ×3, first 2 shown]
	s_branch .LBB198_773
.LBB198_530:
	s_and_not1_saveexec_b32 s27, s27
	s_cbranch_execz .LBB198_193
.LBB198_531:
	v_add_f32_e32 v2, 0x42800000, v3
	s_and_not1_b32 s26, s26, exec_lo
	s_delay_alu instid0(VALU_DEP_1) | instskip(NEXT) | instid1(VALU_DEP_1)
	v_and_b32_e32 v2, 0xff, v2
	v_cmp_ne_u32_e32 vcc_lo, 0, v2
	s_and_b32 s28, vcc_lo, exec_lo
	s_delay_alu instid0(SALU_CYCLE_1)
	s_or_b32 s26, s26, s28
	s_or_b32 exec_lo, exec_lo, s27
	v_mov_b32_e32 v4, 0
	s_and_saveexec_b32 s27, s26
	s_cbranch_execnz .LBB198_194
	s_branch .LBB198_195
.LBB198_532:
	s_mov_b32 s25, -1
	s_mov_b32 s24, 0
.LBB198_533:
                                        ; implicit-def: $vgpr3
.LBB198_534:
	s_and_b32 vcc_lo, exec_lo, s27
	s_cbranch_vccz .LBB198_538
; %bb.535:
	s_cmp_eq_u32 s2, 44
	s_cbranch_scc0 .LBB198_537
; %bb.536:
	s_wait_loadcnt 0x0
	global_load_u8 v3, v[0:1], off
	s_mov_b32 s25, 0
	s_mov_b32 s24, -1
	s_wait_loadcnt 0x0
	v_lshlrev_b32_e32 v4, 23, v3
	v_cmp_ne_u32_e32 vcc_lo, 0xff, v3
	s_delay_alu instid0(VALU_DEP_2) | instskip(SKIP_1) | instid1(VALU_DEP_2)
	v_cndmask_b32_e32 v4, 0x7f800001, v4, vcc_lo
	v_cmp_ne_u32_e32 vcc_lo, 0, v3
	v_cndmask_b32_e32 v3, 0x400000, v4, vcc_lo
	s_delay_alu instid0(VALU_DEP_1) | instskip(NEXT) | instid1(VALU_DEP_1)
	v_add_nc_u32_e32 v4, 0x7fff, v3
	v_lshrrev_b32_e32 v4, 16, v4
	v_cmp_o_f32_e32 vcc_lo, v3, v3
	s_delay_alu instid0(VALU_DEP_2)
	v_cndmask_b32_e32 v3, 0x7fc0, v4, vcc_lo
	s_branch .LBB198_538
.LBB198_537:
	s_mov_b32 s25, -1
                                        ; implicit-def: $vgpr3
.LBB198_538:
	s_mov_b32 s27, 0
.LBB198_539:
	s_delay_alu instid0(SALU_CYCLE_1)
	s_and_b32 vcc_lo, exec_lo, s27
	s_cbranch_vccz .LBB198_543
; %bb.540:
	s_cmp_eq_u32 s2, 29
	s_cbranch_scc0 .LBB198_542
; %bb.541:
	global_load_b64 v[4:5], v[0:1], off
	s_mov_b32 s24, -1
	s_mov_b32 s25, 0
	s_mov_b32 s27, 0
	s_wait_loadcnt 0x0
	v_clz_i32_u32_e32 v3, v5
	s_delay_alu instid0(VALU_DEP_1) | instskip(NEXT) | instid1(VALU_DEP_1)
	v_min_u32_e32 v3, 32, v3
	v_lshlrev_b64_e32 v[4:5], v3, v[4:5]
	v_sub_nc_u32_e32 v3, 32, v3
	s_delay_alu instid0(VALU_DEP_2) | instskip(NEXT) | instid1(VALU_DEP_1)
	v_min_u32_e32 v4, 1, v4
	v_or_b32_e32 v4, v5, v4
	s_delay_alu instid0(VALU_DEP_1) | instskip(NEXT) | instid1(VALU_DEP_1)
	v_cvt_f32_u32_e32 v4, v4
	v_ldexp_f32 v3, v4, v3
	s_delay_alu instid0(VALU_DEP_1) | instskip(NEXT) | instid1(VALU_DEP_1)
	v_bfe_u32 v4, v3, 16, 1
	v_add3_u32 v3, v3, v4, 0x7fff
	s_delay_alu instid0(VALU_DEP_1)
	v_lshrrev_b32_e32 v3, 16, v3
	s_branch .LBB198_544
.LBB198_542:
	s_mov_b32 s25, -1
                                        ; implicit-def: $vgpr3
.LBB198_543:
	s_mov_b32 s27, 0
.LBB198_544:
	s_delay_alu instid0(SALU_CYCLE_1)
	s_and_b32 vcc_lo, exec_lo, s27
	s_cbranch_vccz .LBB198_562
; %bb.545:
	s_cmp_lt_i32 s2, 27
	s_cbranch_scc1 .LBB198_548
; %bb.546:
	s_cmp_gt_i32 s2, 27
	s_cbranch_scc0 .LBB198_549
; %bb.547:
	s_wait_loadcnt 0x0
	global_load_b32 v3, v[0:1], off
	s_mov_b32 s24, 0
	s_wait_loadcnt 0x0
	v_cvt_f32_u32_e32 v3, v3
	s_delay_alu instid0(VALU_DEP_1) | instskip(NEXT) | instid1(VALU_DEP_1)
	v_bfe_u32 v4, v3, 16, 1
	v_add3_u32 v3, v3, v4, 0x7fff
	s_delay_alu instid0(VALU_DEP_1)
	v_lshrrev_b32_e32 v3, 16, v3
	s_branch .LBB198_550
.LBB198_548:
	s_mov_b32 s24, -1
                                        ; implicit-def: $vgpr3
	s_branch .LBB198_553
.LBB198_549:
	s_mov_b32 s24, -1
                                        ; implicit-def: $vgpr3
.LBB198_550:
	s_delay_alu instid0(SALU_CYCLE_1)
	s_and_not1_b32 vcc_lo, exec_lo, s24
	s_cbranch_vccnz .LBB198_552
; %bb.551:
	s_wait_loadcnt 0x0
	global_load_u16 v3, v[0:1], off
	s_wait_loadcnt 0x0
	v_cvt_f32_u32_e32 v3, v3
	s_delay_alu instid0(VALU_DEP_1) | instskip(NEXT) | instid1(VALU_DEP_1)
	v_bfe_u32 v4, v3, 16, 1
	v_add3_u32 v3, v3, v4, 0x7fff
	s_delay_alu instid0(VALU_DEP_1)
	v_lshrrev_b32_e32 v3, 16, v3
.LBB198_552:
	s_mov_b32 s24, 0
.LBB198_553:
	s_delay_alu instid0(SALU_CYCLE_1)
	s_and_not1_b32 vcc_lo, exec_lo, s24
	s_cbranch_vccnz .LBB198_561
; %bb.554:
	s_wait_loadcnt 0x0
	global_load_u8 v3, v[0:1], off
	s_mov_b32 s24, 0
	s_mov_b32 s27, exec_lo
	s_wait_loadcnt 0x0
	v_cmpx_lt_i16_e32 0x7f, v3
	s_xor_b32 s27, exec_lo, s27
	s_cbranch_execz .LBB198_575
; %bb.555:
	s_mov_b32 s24, -1
	s_mov_b32 s28, exec_lo
	v_cmpx_eq_u16_e32 0x80, v3
; %bb.556:
	s_xor_b32 s24, exec_lo, -1
; %bb.557:
	s_or_b32 exec_lo, exec_lo, s28
	s_delay_alu instid0(SALU_CYCLE_1)
	s_and_b32 s24, s24, exec_lo
	s_or_saveexec_b32 s27, s27
	v_mov_b32_e32 v4, 0x7f800001
	s_xor_b32 exec_lo, exec_lo, s27
	s_cbranch_execnz .LBB198_576
.LBB198_558:
	s_or_b32 exec_lo, exec_lo, s27
	s_and_saveexec_b32 s27, s24
	s_cbranch_execz .LBB198_560
.LBB198_559:
	v_and_b32_e32 v4, 0xffff, v3
	s_delay_alu instid0(VALU_DEP_1) | instskip(SKIP_1) | instid1(VALU_DEP_2)
	v_and_b32_e32 v5, 7, v4
	v_bfe_u32 v9, v4, 3, 4
	v_clz_i32_u32_e32 v7, v5
	s_delay_alu instid0(VALU_DEP_2) | instskip(NEXT) | instid1(VALU_DEP_2)
	v_cmp_eq_u32_e32 vcc_lo, 0, v9
	v_min_u32_e32 v7, 32, v7
	s_delay_alu instid0(VALU_DEP_1) | instskip(NEXT) | instid1(VALU_DEP_1)
	v_subrev_nc_u32_e32 v8, 28, v7
	v_dual_lshlrev_b32 v4, v8, v4 :: v_dual_sub_nc_u32 v7, 29, v7
	s_delay_alu instid0(VALU_DEP_1) | instskip(NEXT) | instid1(VALU_DEP_1)
	v_dual_lshlrev_b32 v3, 24, v3 :: v_dual_bitop2_b32 v4, 7, v4 bitop3:0x40
	v_cndmask_b32_e32 v4, v5, v4, vcc_lo
	s_delay_alu instid0(VALU_DEP_3) | instskip(NEXT) | instid1(VALU_DEP_3)
	v_cndmask_b32_e32 v7, v9, v7, vcc_lo
	v_and_b32_e32 v3, 0x80000000, v3
	s_delay_alu instid0(VALU_DEP_3) | instskip(NEXT) | instid1(VALU_DEP_3)
	v_lshlrev_b32_e32 v4, 20, v4
	v_lshl_add_u32 v5, v7, 23, 0x3b800000
	s_delay_alu instid0(VALU_DEP_1)
	v_or3_b32 v4, v3, v5, v4
.LBB198_560:
	s_or_b32 exec_lo, exec_lo, s27
	s_delay_alu instid0(VALU_DEP_1) | instskip(SKIP_1) | instid1(VALU_DEP_2)
	v_bfe_u32 v3, v4, 16, 1
	v_cmp_o_f32_e32 vcc_lo, v4, v4
	v_add3_u32 v3, v4, v3, 0x7fff
	s_delay_alu instid0(VALU_DEP_1) | instskip(NEXT) | instid1(VALU_DEP_1)
	v_lshrrev_b32_e32 v3, 16, v3
	v_cndmask_b32_e32 v3, 0x7fc0, v3, vcc_lo
.LBB198_561:
	s_mov_b32 s24, -1
.LBB198_562:
	s_mov_b32 s27, 0
.LBB198_563:
	s_delay_alu instid0(SALU_CYCLE_1)
	s_and_b32 vcc_lo, exec_lo, s27
	s_cbranch_vccz .LBB198_598
; %bb.564:
	s_cmp_gt_i32 s2, 22
	s_cbranch_scc0 .LBB198_574
; %bb.565:
	s_cmp_lt_i32 s2, 24
	s_cbranch_scc1 .LBB198_577
; %bb.566:
	s_cmp_gt_i32 s2, 24
	s_cbranch_scc0 .LBB198_578
; %bb.567:
	s_wait_loadcnt 0x0
	global_load_u8 v3, v[0:1], off
	s_mov_b32 s24, 0
	s_mov_b32 s27, exec_lo
	s_wait_loadcnt 0x0
	v_cmpx_lt_i16_e32 0x7f, v3
	s_xor_b32 s27, exec_lo, s27
	s_cbranch_execz .LBB198_590
; %bb.568:
	s_mov_b32 s24, -1
	s_mov_b32 s28, exec_lo
	v_cmpx_eq_u16_e32 0x80, v3
; %bb.569:
	s_xor_b32 s24, exec_lo, -1
; %bb.570:
	s_or_b32 exec_lo, exec_lo, s28
	s_delay_alu instid0(SALU_CYCLE_1)
	s_and_b32 s24, s24, exec_lo
	s_or_saveexec_b32 s27, s27
	v_mov_b32_e32 v4, 0x7f800001
	s_xor_b32 exec_lo, exec_lo, s27
	s_cbranch_execnz .LBB198_591
.LBB198_571:
	s_or_b32 exec_lo, exec_lo, s27
	s_and_saveexec_b32 s27, s24
	s_cbranch_execz .LBB198_573
.LBB198_572:
	v_and_b32_e32 v4, 0xffff, v3
	s_delay_alu instid0(VALU_DEP_1) | instskip(SKIP_1) | instid1(VALU_DEP_2)
	v_and_b32_e32 v5, 3, v4
	v_bfe_u32 v9, v4, 2, 5
	v_clz_i32_u32_e32 v7, v5
	s_delay_alu instid0(VALU_DEP_2) | instskip(NEXT) | instid1(VALU_DEP_2)
	v_cmp_eq_u32_e32 vcc_lo, 0, v9
	v_min_u32_e32 v7, 32, v7
	s_delay_alu instid0(VALU_DEP_1) | instskip(NEXT) | instid1(VALU_DEP_1)
	v_subrev_nc_u32_e32 v8, 29, v7
	v_dual_lshlrev_b32 v4, v8, v4 :: v_dual_sub_nc_u32 v7, 30, v7
	s_delay_alu instid0(VALU_DEP_1) | instskip(NEXT) | instid1(VALU_DEP_1)
	v_dual_lshlrev_b32 v3, 24, v3 :: v_dual_bitop2_b32 v4, 3, v4 bitop3:0x40
	v_cndmask_b32_e32 v4, v5, v4, vcc_lo
	s_delay_alu instid0(VALU_DEP_3) | instskip(NEXT) | instid1(VALU_DEP_3)
	v_cndmask_b32_e32 v7, v9, v7, vcc_lo
	v_and_b32_e32 v3, 0x80000000, v3
	s_delay_alu instid0(VALU_DEP_3) | instskip(NEXT) | instid1(VALU_DEP_3)
	v_lshlrev_b32_e32 v4, 21, v4
	v_lshl_add_u32 v5, v7, 23, 0x37800000
	s_delay_alu instid0(VALU_DEP_1)
	v_or3_b32 v4, v3, v5, v4
.LBB198_573:
	s_or_b32 exec_lo, exec_lo, s27
	s_delay_alu instid0(VALU_DEP_1) | instskip(SKIP_2) | instid1(VALU_DEP_2)
	v_bfe_u32 v3, v4, 16, 1
	v_cmp_o_f32_e32 vcc_lo, v4, v4
	s_mov_b32 s24, 0
	v_add3_u32 v3, v4, v3, 0x7fff
	s_delay_alu instid0(VALU_DEP_1) | instskip(NEXT) | instid1(VALU_DEP_1)
	v_lshrrev_b32_e32 v3, 16, v3
	v_cndmask_b32_e32 v3, 0x7fc0, v3, vcc_lo
	s_branch .LBB198_579
.LBB198_574:
	s_mov_b32 s27, -1
                                        ; implicit-def: $vgpr3
	s_branch .LBB198_585
.LBB198_575:
	s_or_saveexec_b32 s27, s27
	v_mov_b32_e32 v4, 0x7f800001
	s_xor_b32 exec_lo, exec_lo, s27
	s_cbranch_execz .LBB198_558
.LBB198_576:
	v_cmp_ne_u16_e32 vcc_lo, 0, v3
	v_mov_b32_e32 v4, 0
	s_and_not1_b32 s24, s24, exec_lo
	s_and_b32 s28, vcc_lo, exec_lo
	s_delay_alu instid0(SALU_CYCLE_1)
	s_or_b32 s24, s24, s28
	s_or_b32 exec_lo, exec_lo, s27
	s_and_saveexec_b32 s27, s24
	s_cbranch_execnz .LBB198_559
	s_branch .LBB198_560
.LBB198_577:
	s_mov_b32 s24, -1
                                        ; implicit-def: $vgpr3
	s_branch .LBB198_582
.LBB198_578:
	s_mov_b32 s24, -1
                                        ; implicit-def: $vgpr3
.LBB198_579:
	s_delay_alu instid0(SALU_CYCLE_1)
	s_and_b32 vcc_lo, exec_lo, s24
	s_cbranch_vccz .LBB198_581
; %bb.580:
	s_wait_loadcnt 0x0
	global_load_u8 v3, v[0:1], off
	s_wait_loadcnt 0x0
	v_lshlrev_b32_e32 v3, 24, v3
	s_delay_alu instid0(VALU_DEP_1) | instskip(NEXT) | instid1(VALU_DEP_1)
	v_and_b32_e32 v4, 0x7f000000, v3
	v_clz_i32_u32_e32 v5, v4
	v_add_nc_u32_e32 v8, 0x1000000, v4
	v_cmp_ne_u32_e32 vcc_lo, 0, v4
	s_delay_alu instid0(VALU_DEP_3) | instskip(NEXT) | instid1(VALU_DEP_1)
	v_min_u32_e32 v5, 32, v5
	v_sub_nc_u32_e64 v5, v5, 4 clamp
	s_delay_alu instid0(VALU_DEP_1) | instskip(NEXT) | instid1(VALU_DEP_1)
	v_dual_lshlrev_b32 v7, v5, v4 :: v_dual_lshlrev_b32 v5, 23, v5
	v_lshrrev_b32_e32 v7, 4, v7
	s_delay_alu instid0(VALU_DEP_1) | instskip(NEXT) | instid1(VALU_DEP_1)
	v_dual_sub_nc_u32 v5, v7, v5 :: v_dual_ashrrev_i32 v7, 8, v8
	v_add_nc_u32_e32 v5, 0x3c000000, v5
	s_delay_alu instid0(VALU_DEP_1) | instskip(NEXT) | instid1(VALU_DEP_1)
	v_and_or_b32 v5, 0x7f800000, v7, v5
	v_cndmask_b32_e32 v4, 0, v5, vcc_lo
	s_delay_alu instid0(VALU_DEP_1) | instskip(SKIP_1) | instid1(VALU_DEP_2)
	v_and_or_b32 v3, 0x80000000, v3, v4
	v_bfe_u32 v4, v4, 16, 1
	v_cmp_o_f32_e32 vcc_lo, v3, v3
	s_delay_alu instid0(VALU_DEP_2) | instskip(NEXT) | instid1(VALU_DEP_1)
	v_add3_u32 v4, v3, v4, 0x7fff
	v_lshrrev_b32_e32 v4, 16, v4
	s_delay_alu instid0(VALU_DEP_1)
	v_cndmask_b32_e32 v3, 0x7fc0, v4, vcc_lo
.LBB198_581:
	s_mov_b32 s24, 0
.LBB198_582:
	s_delay_alu instid0(SALU_CYCLE_1)
	s_and_not1_b32 vcc_lo, exec_lo, s24
	s_cbranch_vccnz .LBB198_584
; %bb.583:
	s_wait_loadcnt 0x0
	global_load_u8 v3, v[0:1], off
	s_wait_loadcnt 0x0
	v_lshlrev_b32_e32 v4, 25, v3
	v_lshlrev_b16 v3, 8, v3
	s_delay_alu instid0(VALU_DEP_1) | instskip(NEXT) | instid1(VALU_DEP_3)
	v_and_or_b32 v7, 0x7f00, v3, 0.5
	v_lshrrev_b32_e32 v5, 4, v4
	v_bfe_i32 v3, v3, 0, 16
	s_delay_alu instid0(VALU_DEP_3) | instskip(NEXT) | instid1(VALU_DEP_3)
	v_add_f32_e32 v7, -0.5, v7
	v_or_b32_e32 v5, 0x70000000, v5
	s_delay_alu instid0(VALU_DEP_1) | instskip(SKIP_1) | instid1(VALU_DEP_2)
	v_mul_f32_e32 v5, 0x7800000, v5
	v_cmp_gt_u32_e32 vcc_lo, 0x8000000, v4
	v_cndmask_b32_e32 v4, v5, v7, vcc_lo
	s_delay_alu instid0(VALU_DEP_1) | instskip(SKIP_1) | instid1(VALU_DEP_2)
	v_and_or_b32 v3, 0x80000000, v3, v4
	v_bfe_u32 v4, v4, 16, 1
	v_cmp_o_f32_e32 vcc_lo, v3, v3
	s_delay_alu instid0(VALU_DEP_2) | instskip(NEXT) | instid1(VALU_DEP_1)
	v_add3_u32 v4, v3, v4, 0x7fff
	v_lshrrev_b32_e32 v4, 16, v4
	s_delay_alu instid0(VALU_DEP_1)
	v_cndmask_b32_e32 v3, 0x7fc0, v4, vcc_lo
.LBB198_584:
	s_mov_b32 s27, 0
	s_mov_b32 s24, -1
.LBB198_585:
	s_and_not1_b32 vcc_lo, exec_lo, s27
	s_cbranch_vccnz .LBB198_598
; %bb.586:
	s_cmp_gt_i32 s2, 14
	s_cbranch_scc0 .LBB198_589
; %bb.587:
	s_cmp_eq_u32 s2, 15
	s_cbranch_scc0 .LBB198_592
; %bb.588:
	s_wait_loadcnt 0x0
	global_load_u16 v3, v[0:1], off
	s_mov_b32 s24, -1
	s_mov_b32 s25, 0
	s_branch .LBB198_593
.LBB198_589:
	s_mov_b32 s27, -1
                                        ; implicit-def: $vgpr3
	s_branch .LBB198_594
.LBB198_590:
	s_or_saveexec_b32 s27, s27
	v_mov_b32_e32 v4, 0x7f800001
	s_xor_b32 exec_lo, exec_lo, s27
	s_cbranch_execz .LBB198_571
.LBB198_591:
	v_cmp_ne_u16_e32 vcc_lo, 0, v3
	v_mov_b32_e32 v4, 0
	s_and_not1_b32 s24, s24, exec_lo
	s_and_b32 s28, vcc_lo, exec_lo
	s_delay_alu instid0(SALU_CYCLE_1)
	s_or_b32 s24, s24, s28
	s_or_b32 exec_lo, exec_lo, s27
	s_and_saveexec_b32 s27, s24
	s_cbranch_execnz .LBB198_572
	s_branch .LBB198_573
.LBB198_592:
	s_mov_b32 s25, -1
                                        ; implicit-def: $vgpr3
.LBB198_593:
	s_mov_b32 s27, 0
.LBB198_594:
	s_delay_alu instid0(SALU_CYCLE_1)
	s_and_b32 vcc_lo, exec_lo, s27
	s_cbranch_vccz .LBB198_598
; %bb.595:
	s_cmp_eq_u32 s2, 11
	s_cbranch_scc0 .LBB198_597
; %bb.596:
	s_wait_loadcnt 0x0
	global_load_u8 v3, v[0:1], off
	s_mov_b32 s25, 0
	s_mov_b32 s24, -1
	s_wait_loadcnt 0x0
	v_cmp_ne_u16_e32 vcc_lo, 0, v3
	v_cndmask_b32_e64 v3, 0, 1.0, vcc_lo
	s_delay_alu instid0(VALU_DEP_1)
	v_lshrrev_b32_e32 v3, 16, v3
	s_branch .LBB198_598
.LBB198_597:
	s_mov_b32 s25, -1
                                        ; implicit-def: $vgpr3
.LBB198_598:
	s_mov_b32 s2, 0
.LBB198_599:
	s_delay_alu instid0(SALU_CYCLE_1)
	s_and_b32 vcc_lo, exec_lo, s2
	s_cbranch_vccz .LBB198_648
; %bb.600:
	s_and_b32 s1, 0xffff, s1
	s_delay_alu instid0(SALU_CYCLE_1)
	s_cmp_lt_i32 s1, 5
	s_cbranch_scc1 .LBB198_605
; %bb.601:
	s_cmp_lt_i32 s1, 8
	s_cbranch_scc1 .LBB198_606
; %bb.602:
	;; [unrolled: 3-line block ×3, first 2 shown]
	s_cmp_gt_i32 s1, 9
	s_cbranch_scc0 .LBB198_608
; %bb.604:
	global_load_b64 v[4:5], v[0:1], off
	s_mov_b32 s2, 0
	s_wait_loadcnt 0x0
	v_cvt_f32_f64_e32 v3, v[4:5]
	s_delay_alu instid0(VALU_DEP_1) | instskip(SKIP_1) | instid1(VALU_DEP_2)
	v_bfe_u32 v4, v3, 16, 1
	v_cmp_o_f32_e32 vcc_lo, v3, v3
	v_add3_u32 v4, v3, v4, 0x7fff
	s_delay_alu instid0(VALU_DEP_1) | instskip(NEXT) | instid1(VALU_DEP_1)
	v_lshrrev_b32_e32 v4, 16, v4
	v_cndmask_b32_e32 v3, 0x7fc0, v4, vcc_lo
	s_branch .LBB198_609
.LBB198_605:
	s_mov_b32 s2, -1
                                        ; implicit-def: $vgpr3
	s_branch .LBB198_627
.LBB198_606:
	s_mov_b32 s2, -1
                                        ; implicit-def: $vgpr3
	s_branch .LBB198_615
.LBB198_607:
	s_mov_b32 s2, -1
                                        ; implicit-def: $vgpr3
	s_branch .LBB198_612
.LBB198_608:
	s_mov_b32 s2, -1
                                        ; implicit-def: $vgpr3
.LBB198_609:
	s_delay_alu instid0(SALU_CYCLE_1)
	s_and_not1_b32 vcc_lo, exec_lo, s2
	s_cbranch_vccnz .LBB198_611
; %bb.610:
	s_wait_loadcnt 0x0
	global_load_b32 v3, v[0:1], off
	s_wait_loadcnt 0x0
	v_bfe_u32 v4, v3, 16, 1
	v_cmp_o_f32_e32 vcc_lo, v3, v3
	s_delay_alu instid0(VALU_DEP_2) | instskip(NEXT) | instid1(VALU_DEP_1)
	v_add3_u32 v4, v3, v4, 0x7fff
	v_lshrrev_b32_e32 v4, 16, v4
	s_delay_alu instid0(VALU_DEP_1)
	v_cndmask_b32_e32 v3, 0x7fc0, v4, vcc_lo
.LBB198_611:
	s_mov_b32 s2, 0
.LBB198_612:
	s_delay_alu instid0(SALU_CYCLE_1)
	s_and_not1_b32 vcc_lo, exec_lo, s2
	s_cbranch_vccnz .LBB198_614
; %bb.613:
	s_wait_loadcnt 0x0
	global_load_b32 v3, v[0:1], off
	s_wait_loadcnt 0x0
	v_cvt_f32_f16_e32 v4, v3
	v_cmp_o_f16_e32 vcc_lo, v3, v3
	s_delay_alu instid0(VALU_DEP_2) | instskip(NEXT) | instid1(VALU_DEP_1)
	v_bfe_u32 v5, v4, 16, 1
	v_add3_u32 v4, v4, v5, 0x7fff
	s_delay_alu instid0(VALU_DEP_1) | instskip(NEXT) | instid1(VALU_DEP_1)
	v_lshrrev_b32_e32 v4, 16, v4
	v_cndmask_b32_e32 v3, 0x7fc0, v4, vcc_lo
.LBB198_614:
	s_mov_b32 s2, 0
.LBB198_615:
	s_delay_alu instid0(SALU_CYCLE_1)
	s_and_not1_b32 vcc_lo, exec_lo, s2
	s_cbranch_vccnz .LBB198_626
; %bb.616:
	s_cmp_lt_i32 s1, 6
	s_cbranch_scc1 .LBB198_619
; %bb.617:
	s_cmp_gt_i32 s1, 6
	s_cbranch_scc0 .LBB198_620
; %bb.618:
	global_load_b64 v[4:5], v[0:1], off
	s_mov_b32 s2, 0
	s_wait_loadcnt 0x0
	v_cvt_f32_f64_e32 v3, v[4:5]
	s_delay_alu instid0(VALU_DEP_1) | instskip(SKIP_1) | instid1(VALU_DEP_2)
	v_bfe_u32 v4, v3, 16, 1
	v_cmp_o_f32_e32 vcc_lo, v3, v3
	v_add3_u32 v4, v3, v4, 0x7fff
	s_delay_alu instid0(VALU_DEP_1) | instskip(NEXT) | instid1(VALU_DEP_1)
	v_lshrrev_b32_e32 v4, 16, v4
	v_cndmask_b32_e32 v3, 0x7fc0, v4, vcc_lo
	s_branch .LBB198_621
.LBB198_619:
	s_mov_b32 s2, -1
                                        ; implicit-def: $vgpr3
	s_branch .LBB198_624
.LBB198_620:
	s_mov_b32 s2, -1
                                        ; implicit-def: $vgpr3
.LBB198_621:
	s_delay_alu instid0(SALU_CYCLE_1)
	s_and_not1_b32 vcc_lo, exec_lo, s2
	s_cbranch_vccnz .LBB198_623
; %bb.622:
	s_wait_loadcnt 0x0
	global_load_b32 v3, v[0:1], off
	s_wait_loadcnt 0x0
	v_bfe_u32 v4, v3, 16, 1
	v_cmp_o_f32_e32 vcc_lo, v3, v3
	s_delay_alu instid0(VALU_DEP_2) | instskip(NEXT) | instid1(VALU_DEP_1)
	v_add3_u32 v4, v3, v4, 0x7fff
	v_lshrrev_b32_e32 v4, 16, v4
	s_delay_alu instid0(VALU_DEP_1)
	v_cndmask_b32_e32 v3, 0x7fc0, v4, vcc_lo
.LBB198_623:
	s_mov_b32 s2, 0
.LBB198_624:
	s_delay_alu instid0(SALU_CYCLE_1)
	s_and_not1_b32 vcc_lo, exec_lo, s2
	s_cbranch_vccnz .LBB198_626
; %bb.625:
	s_wait_loadcnt 0x0
	global_load_u16 v3, v[0:1], off
	s_wait_loadcnt 0x0
	v_cvt_f32_f16_e32 v4, v3
	v_cmp_o_f16_e32 vcc_lo, v3, v3
	s_delay_alu instid0(VALU_DEP_2) | instskip(NEXT) | instid1(VALU_DEP_1)
	v_bfe_u32 v5, v4, 16, 1
	v_add3_u32 v4, v4, v5, 0x7fff
	s_delay_alu instid0(VALU_DEP_1) | instskip(NEXT) | instid1(VALU_DEP_1)
	v_lshrrev_b32_e32 v4, 16, v4
	v_cndmask_b32_e32 v3, 0x7fc0, v4, vcc_lo
.LBB198_626:
	s_mov_b32 s2, 0
.LBB198_627:
	s_delay_alu instid0(SALU_CYCLE_1)
	s_and_not1_b32 vcc_lo, exec_lo, s2
	s_cbranch_vccnz .LBB198_647
; %bb.628:
	s_cmp_lt_i32 s1, 2
	s_cbranch_scc1 .LBB198_632
; %bb.629:
	s_cmp_lt_i32 s1, 3
	s_cbranch_scc1 .LBB198_633
; %bb.630:
	s_cmp_gt_i32 s1, 3
	s_cbranch_scc0 .LBB198_634
; %bb.631:
	global_load_b64 v[4:5], v[0:1], off
	s_mov_b32 s2, 0
	s_wait_loadcnt 0x0
	v_xor_b32_e32 v3, v4, v5
	v_cls_i32_e32 v7, v5
	s_delay_alu instid0(VALU_DEP_2) | instskip(NEXT) | instid1(VALU_DEP_1)
	v_ashrrev_i32_e32 v3, 31, v3
	v_add_nc_u32_e32 v3, 32, v3
	s_delay_alu instid0(VALU_DEP_1) | instskip(NEXT) | instid1(VALU_DEP_1)
	v_add_min_u32_e64 v3, v7, -1, v3
	v_lshlrev_b64_e32 v[4:5], v3, v[4:5]
	v_sub_nc_u32_e32 v3, 32, v3
	s_delay_alu instid0(VALU_DEP_2) | instskip(NEXT) | instid1(VALU_DEP_1)
	v_min_u32_e32 v4, 1, v4
	v_or_b32_e32 v4, v5, v4
	s_delay_alu instid0(VALU_DEP_1) | instskip(NEXT) | instid1(VALU_DEP_1)
	v_cvt_f32_i32_e32 v4, v4
	v_ldexp_f32 v3, v4, v3
	s_delay_alu instid0(VALU_DEP_1) | instskip(NEXT) | instid1(VALU_DEP_1)
	v_bfe_u32 v4, v3, 16, 1
	v_add3_u32 v3, v3, v4, 0x7fff
	s_delay_alu instid0(VALU_DEP_1)
	v_lshrrev_b32_e32 v3, 16, v3
	s_branch .LBB198_635
.LBB198_632:
	s_mov_b32 s2, -1
                                        ; implicit-def: $vgpr3
	s_branch .LBB198_641
.LBB198_633:
	s_mov_b32 s2, -1
                                        ; implicit-def: $vgpr3
	s_branch .LBB198_638
.LBB198_634:
	s_mov_b32 s2, -1
                                        ; implicit-def: $vgpr3
.LBB198_635:
	s_delay_alu instid0(SALU_CYCLE_1)
	s_and_not1_b32 vcc_lo, exec_lo, s2
	s_cbranch_vccnz .LBB198_637
; %bb.636:
	s_wait_loadcnt 0x0
	global_load_b32 v3, v[0:1], off
	s_wait_loadcnt 0x0
	v_cvt_f32_i32_e32 v3, v3
	s_delay_alu instid0(VALU_DEP_1) | instskip(NEXT) | instid1(VALU_DEP_1)
	v_bfe_u32 v4, v3, 16, 1
	v_add3_u32 v3, v3, v4, 0x7fff
	s_delay_alu instid0(VALU_DEP_1)
	v_lshrrev_b32_e32 v3, 16, v3
.LBB198_637:
	s_mov_b32 s2, 0
.LBB198_638:
	s_delay_alu instid0(SALU_CYCLE_1)
	s_and_not1_b32 vcc_lo, exec_lo, s2
	s_cbranch_vccnz .LBB198_640
; %bb.639:
	s_wait_loadcnt 0x0
	global_load_i16 v3, v[0:1], off
	s_wait_loadcnt 0x0
	v_cvt_f32_i32_e32 v3, v3
	s_delay_alu instid0(VALU_DEP_1) | instskip(NEXT) | instid1(VALU_DEP_1)
	v_bfe_u32 v4, v3, 16, 1
	v_add3_u32 v3, v3, v4, 0x7fff
	s_delay_alu instid0(VALU_DEP_1)
	v_lshrrev_b32_e32 v3, 16, v3
.LBB198_640:
	s_mov_b32 s2, 0
.LBB198_641:
	s_delay_alu instid0(SALU_CYCLE_1)
	s_and_not1_b32 vcc_lo, exec_lo, s2
	s_cbranch_vccnz .LBB198_647
; %bb.642:
	s_cmp_gt_i32 s1, 0
	s_mov_b32 s1, 0
	s_cbranch_scc0 .LBB198_644
; %bb.643:
	s_wait_loadcnt 0x0
	global_load_i8 v3, v[0:1], off
	s_wait_loadcnt 0x0
	v_cvt_f32_i32_e32 v3, v3
	s_delay_alu instid0(VALU_DEP_1) | instskip(NEXT) | instid1(VALU_DEP_1)
	v_bfe_u32 v4, v3, 16, 1
	v_add3_u32 v3, v3, v4, 0x7fff
	s_delay_alu instid0(VALU_DEP_1)
	v_lshrrev_b32_e32 v3, 16, v3
	s_branch .LBB198_645
.LBB198_644:
	s_mov_b32 s1, -1
                                        ; implicit-def: $vgpr3
.LBB198_645:
	s_delay_alu instid0(SALU_CYCLE_1)
	s_and_not1_b32 vcc_lo, exec_lo, s1
	s_cbranch_vccnz .LBB198_647
; %bb.646:
	global_load_u8 v0, v[0:1], off
	s_wait_loadcnt 0x0
	v_cvt_f32_ubyte0_e32 v0, v0
	s_delay_alu instid0(VALU_DEP_1) | instskip(NEXT) | instid1(VALU_DEP_1)
	v_bfe_u32 v1, v0, 16, 1
	v_add3_u32 v0, v0, v1, 0x7fff
	s_delay_alu instid0(VALU_DEP_1)
	v_lshrrev_b32_e32 v3, 16, v0
.LBB198_647:
	s_mov_b32 s24, -1
.LBB198_648:
	s_delay_alu instid0(SALU_CYCLE_1)
	s_and_not1_b32 vcc_lo, exec_lo, s24
	s_cbranch_vccnz .LBB198_656
; %bb.649:
	s_wait_loadcnt 0x0
	v_dual_lshlrev_b32 v1, 16, v3 :: v_dual_lshlrev_b32 v2, 16, v2
	v_mul_lo_u32 v0, v6, s8
	s_and_b32 s24, s3, 0xff
	s_delay_alu instid0(SALU_CYCLE_1) | instskip(NEXT) | instid1(VALU_DEP_2)
	s_cmp_lt_i32 s24, 11
	v_cmp_eq_f32_e32 vcc_lo, v2, v1
	v_cndmask_b32_e64 v3, 0, 1, vcc_lo
	v_cmp_neq_f32_e32 vcc_lo, v2, v1
	v_cndmask_b32_e64 v1, 0, 1, vcc_lo
	s_delay_alu instid0(VALU_DEP_1) | instskip(NEXT) | instid1(VALU_DEP_1)
	v_dual_cndmask_b32 v2, v1, v3, s0 :: v_dual_ashrrev_i32 v1, 31, v0
	v_and_b32_e32 v2, 1, v2
	s_delay_alu instid0(VALU_DEP_2) | instskip(NEXT) | instid1(VALU_DEP_2)
	v_add_nc_u64_e32 v[0:1], s[4:5], v[0:1]
	v_cmp_eq_u32_e64 s1, 1, v2
	s_cbranch_scc1 .LBB198_657
; %bb.650:
	s_and_b32 s27, 0xffff, s24
	s_delay_alu instid0(SALU_CYCLE_1)
	s_cmp_gt_i32 s27, 25
	s_cbranch_scc0 .LBB198_658
; %bb.651:
	s_cmp_gt_i32 s27, 28
	s_cbranch_scc0 .LBB198_659
; %bb.652:
	;; [unrolled: 3-line block ×4, first 2 shown]
	s_mov_b32 s29, 0
	s_mov_b32 s2, -1
	s_cmp_eq_u32 s27, 46
	s_mov_b32 s28, 0
	s_cbranch_scc0 .LBB198_662
; %bb.655:
	v_cndmask_b32_e64 v2, 0, 1.0, s1
	s_mov_b32 s28, -1
	s_mov_b32 s2, 0
	s_delay_alu instid0(VALU_DEP_1) | instskip(NEXT) | instid1(VALU_DEP_1)
	v_bfe_u32 v3, v2, 16, 1
	v_add3_u32 v2, v2, v3, 0x7fff
	s_delay_alu instid0(VALU_DEP_1)
	v_lshrrev_b32_e32 v2, 16, v2
	global_store_b32 v[0:1], v2, off
	s_branch .LBB198_662
.LBB198_656:
	s_mov_b32 s1, 0
	s_mov_b32 s2, s18
	s_branch .LBB198_773
.LBB198_657:
	s_mov_b32 s27, -1
	s_mov_b32 s28, 0
	s_mov_b32 s2, s18
	s_branch .LBB198_731
.LBB198_658:
	s_mov_b32 s28, 0
	s_mov_b32 s2, s18
	s_branch .LBB198_689
.LBB198_659:
	s_mov_b32 s28, 0
	s_mov_b32 s2, s18
	s_branch .LBB198_672
.LBB198_660:
	s_mov_b32 s28, 0
	s_mov_b32 s2, s18
	s_branch .LBB198_668
.LBB198_661:
	s_mov_b32 s28, 0
	s_mov_b32 s2, s18
.LBB198_662:
	s_and_b32 vcc_lo, exec_lo, s29
	s_cbranch_vccz .LBB198_667
; %bb.663:
	s_cmp_eq_u32 s27, 44
	s_mov_b32 s2, -1
	s_cbranch_scc0 .LBB198_667
; %bb.664:
	v_cndmask_b32_e64 v4, 0, 1.0, s1
	s_mov_b32 s28, exec_lo
	s_wait_xcnt 0x0
	s_delay_alu instid0(VALU_DEP_1) | instskip(NEXT) | instid1(VALU_DEP_1)
	v_dual_mov_b32 v3, 0xff :: v_dual_lshrrev_b32 v2, 23, v4
	v_cmpx_ne_u32_e32 0xff, v2
; %bb.665:
	v_and_b32_e32 v3, 0x400000, v4
	v_and_or_b32 v4, 0x3fffff, v4, v2
	s_delay_alu instid0(VALU_DEP_2) | instskip(NEXT) | instid1(VALU_DEP_2)
	v_cmp_ne_u32_e32 vcc_lo, 0, v3
	v_cmp_ne_u32_e64 s2, 0, v4
	s_and_b32 s2, vcc_lo, s2
	s_delay_alu instid0(SALU_CYCLE_1) | instskip(NEXT) | instid1(VALU_DEP_1)
	v_cndmask_b32_e64 v3, 0, 1, s2
	v_add_nc_u32_e32 v3, v2, v3
; %bb.666:
	s_or_b32 exec_lo, exec_lo, s28
	s_mov_b32 s28, -1
	s_mov_b32 s2, 0
	global_store_b8 v[0:1], v3, off
.LBB198_667:
	s_mov_b32 s29, 0
.LBB198_668:
	s_delay_alu instid0(SALU_CYCLE_1)
	s_and_b32 vcc_lo, exec_lo, s29
	s_cbranch_vccz .LBB198_671
; %bb.669:
	s_cmp_eq_u32 s27, 29
	s_mov_b32 s2, -1
	s_cbranch_scc0 .LBB198_671
; %bb.670:
	s_mov_b32 s2, 0
	s_wait_xcnt 0x0
	v_cndmask_b32_e64 v2, 0, 1, s1
	v_mov_b32_e32 v3, s2
	s_mov_b32 s28, -1
	s_mov_b32 s29, 0
	global_store_b64 v[0:1], v[2:3], off
	s_branch .LBB198_672
.LBB198_671:
	s_mov_b32 s29, 0
.LBB198_672:
	s_delay_alu instid0(SALU_CYCLE_1)
	s_and_b32 vcc_lo, exec_lo, s29
	s_cbranch_vccz .LBB198_688
; %bb.673:
	s_cmp_lt_i32 s27, 27
	s_mov_b32 s28, -1
	s_cbranch_scc1 .LBB198_679
; %bb.674:
	s_cmp_gt_i32 s27, 27
	s_cbranch_scc0 .LBB198_676
; %bb.675:
	s_wait_xcnt 0x0
	v_cndmask_b32_e64 v2, 0, 1, s1
	s_mov_b32 s28, 0
	global_store_b32 v[0:1], v2, off
.LBB198_676:
	s_and_not1_b32 vcc_lo, exec_lo, s28
	s_cbranch_vccnz .LBB198_678
; %bb.677:
	s_wait_xcnt 0x0
	v_cndmask_b32_e64 v2, 0, 1, s1
	global_store_b16 v[0:1], v2, off
.LBB198_678:
	s_mov_b32 s28, 0
.LBB198_679:
	s_delay_alu instid0(SALU_CYCLE_1)
	s_and_not1_b32 vcc_lo, exec_lo, s28
	s_cbranch_vccnz .LBB198_687
; %bb.680:
	s_wait_xcnt 0x0
	v_cndmask_b32_e64 v3, 0, 1.0, s1
	v_mov_b32_e32 v4, 0x80
	s_mov_b32 s28, exec_lo
	s_delay_alu instid0(VALU_DEP_2)
	v_cmpx_gt_u32_e32 0x43800000, v3
	s_cbranch_execz .LBB198_686
; %bb.681:
	s_mov_b32 s29, 0
	s_mov_b32 s30, exec_lo
                                        ; implicit-def: $vgpr2
	v_cmpx_lt_u32_e32 0x3bffffff, v3
	s_xor_b32 s30, exec_lo, s30
	s_cbranch_execz .LBB198_789
; %bb.682:
	v_bfe_u32 v2, v3, 20, 1
	s_mov_b32 s29, exec_lo
	s_delay_alu instid0(VALU_DEP_1) | instskip(NEXT) | instid1(VALU_DEP_1)
	v_add3_u32 v2, v3, v2, 0x487ffff
                                        ; implicit-def: $vgpr3
	v_lshrrev_b32_e32 v2, 20, v2
	s_and_not1_saveexec_b32 s30, s30
	s_cbranch_execnz .LBB198_790
.LBB198_683:
	s_or_b32 exec_lo, exec_lo, s30
	v_mov_b32_e32 v4, 0
	s_and_saveexec_b32 s30, s29
.LBB198_684:
	v_mov_b32_e32 v4, v2
.LBB198_685:
	s_or_b32 exec_lo, exec_lo, s30
.LBB198_686:
	s_delay_alu instid0(SALU_CYCLE_1)
	s_or_b32 exec_lo, exec_lo, s28
	global_store_b8 v[0:1], v4, off
.LBB198_687:
	s_mov_b32 s28, -1
.LBB198_688:
	s_mov_b32 s29, 0
.LBB198_689:
	s_delay_alu instid0(SALU_CYCLE_1)
	s_and_b32 vcc_lo, exec_lo, s29
	s_cbranch_vccz .LBB198_730
; %bb.690:
	s_cmp_gt_i32 s27, 22
	s_mov_b32 s29, -1
	s_cbranch_scc0 .LBB198_722
; %bb.691:
	s_cmp_lt_i32 s27, 24
	s_mov_b32 s28, -1
	s_cbranch_scc1 .LBB198_711
; %bb.692:
	s_cmp_gt_i32 s27, 24
	s_cbranch_scc0 .LBB198_700
; %bb.693:
	s_wait_xcnt 0x0
	v_cndmask_b32_e64 v3, 0, 1.0, s1
	v_mov_b32_e32 v4, 0x80
	s_mov_b32 s28, exec_lo
	s_delay_alu instid0(VALU_DEP_2)
	v_cmpx_gt_u32_e32 0x47800000, v3
	s_cbranch_execz .LBB198_699
; %bb.694:
	s_mov_b32 s29, 0
	s_mov_b32 s30, exec_lo
                                        ; implicit-def: $vgpr2
	v_cmpx_lt_u32_e32 0x37ffffff, v3
	s_xor_b32 s30, exec_lo, s30
	s_cbranch_execz .LBB198_921
; %bb.695:
	v_bfe_u32 v2, v3, 21, 1
	s_mov_b32 s29, exec_lo
	s_delay_alu instid0(VALU_DEP_1) | instskip(NEXT) | instid1(VALU_DEP_1)
	v_add3_u32 v2, v3, v2, 0x88fffff
                                        ; implicit-def: $vgpr3
	v_lshrrev_b32_e32 v2, 21, v2
	s_and_not1_saveexec_b32 s30, s30
	s_cbranch_execnz .LBB198_922
.LBB198_696:
	s_or_b32 exec_lo, exec_lo, s30
	v_mov_b32_e32 v4, 0
	s_and_saveexec_b32 s30, s29
.LBB198_697:
	v_mov_b32_e32 v4, v2
.LBB198_698:
	s_or_b32 exec_lo, exec_lo, s30
.LBB198_699:
	s_delay_alu instid0(SALU_CYCLE_1)
	s_or_b32 exec_lo, exec_lo, s28
	s_mov_b32 s28, 0
	global_store_b8 v[0:1], v4, off
.LBB198_700:
	s_and_b32 vcc_lo, exec_lo, s28
	s_cbranch_vccz .LBB198_710
; %bb.701:
	s_wait_xcnt 0x0
	v_cndmask_b32_e64 v3, 0, 1.0, s1
	s_mov_b32 s28, exec_lo
                                        ; implicit-def: $vgpr2
	s_delay_alu instid0(VALU_DEP_1)
	v_cmpx_gt_u32_e32 0x43f00000, v3
	s_xor_b32 s28, exec_lo, s28
	s_cbranch_execz .LBB198_707
; %bb.702:
	s_mov_b32 s29, exec_lo
                                        ; implicit-def: $vgpr2
	v_cmpx_lt_u32_e32 0x3c7fffff, v3
	s_xor_b32 s29, exec_lo, s29
; %bb.703:
	v_bfe_u32 v2, v3, 20, 1
	s_delay_alu instid0(VALU_DEP_1) | instskip(NEXT) | instid1(VALU_DEP_1)
	v_add3_u32 v2, v3, v2, 0x407ffff
	v_and_b32_e32 v3, 0xff00000, v2
	v_lshrrev_b32_e32 v2, 20, v2
	s_delay_alu instid0(VALU_DEP_2) | instskip(NEXT) | instid1(VALU_DEP_2)
	v_cmp_ne_u32_e32 vcc_lo, 0x7f00000, v3
                                        ; implicit-def: $vgpr3
	v_cndmask_b32_e32 v2, 0x7e, v2, vcc_lo
; %bb.704:
	s_and_not1_saveexec_b32 s29, s29
; %bb.705:
	v_add_f32_e32 v2, 0x46800000, v3
; %bb.706:
	s_or_b32 exec_lo, exec_lo, s29
                                        ; implicit-def: $vgpr3
.LBB198_707:
	s_and_not1_saveexec_b32 s28, s28
; %bb.708:
	v_mov_b32_e32 v2, 0x7f
	v_cmp_lt_u32_e32 vcc_lo, 0x7f800000, v3
	s_delay_alu instid0(VALU_DEP_2)
	v_cndmask_b32_e32 v2, 0x7e, v2, vcc_lo
; %bb.709:
	s_or_b32 exec_lo, exec_lo, s28
	global_store_b8 v[0:1], v2, off
.LBB198_710:
	s_mov_b32 s28, 0
.LBB198_711:
	s_delay_alu instid0(SALU_CYCLE_1)
	s_and_not1_b32 vcc_lo, exec_lo, s28
	s_cbranch_vccnz .LBB198_721
; %bb.712:
	s_wait_xcnt 0x0
	v_cndmask_b32_e64 v3, 0, 1.0, s1
	s_mov_b32 s28, exec_lo
                                        ; implicit-def: $vgpr2
	s_delay_alu instid0(VALU_DEP_1)
	v_cmpx_gt_u32_e32 0x47800000, v3
	s_xor_b32 s28, exec_lo, s28
	s_cbranch_execz .LBB198_718
; %bb.713:
	s_mov_b32 s29, exec_lo
                                        ; implicit-def: $vgpr2
	v_cmpx_lt_u32_e32 0x387fffff, v3
	s_xor_b32 s29, exec_lo, s29
; %bb.714:
	v_bfe_u32 v2, v3, 21, 1
	s_delay_alu instid0(VALU_DEP_1) | instskip(NEXT) | instid1(VALU_DEP_1)
	v_add3_u32 v2, v3, v2, 0x80fffff
                                        ; implicit-def: $vgpr3
	v_lshrrev_b32_e32 v2, 21, v2
; %bb.715:
	s_and_not1_saveexec_b32 s29, s29
; %bb.716:
	v_add_f32_e32 v2, 0x43000000, v3
; %bb.717:
	s_or_b32 exec_lo, exec_lo, s29
                                        ; implicit-def: $vgpr3
.LBB198_718:
	s_and_not1_saveexec_b32 s28, s28
; %bb.719:
	v_mov_b32_e32 v2, 0x7f
	v_cmp_lt_u32_e32 vcc_lo, 0x7f800000, v3
	s_delay_alu instid0(VALU_DEP_2)
	v_cndmask_b32_e32 v2, 0x7c, v2, vcc_lo
; %bb.720:
	s_or_b32 exec_lo, exec_lo, s28
	global_store_b8 v[0:1], v2, off
.LBB198_721:
	s_mov_b32 s29, 0
	s_mov_b32 s28, -1
.LBB198_722:
	s_and_not1_b32 vcc_lo, exec_lo, s29
	s_cbranch_vccnz .LBB198_730
; %bb.723:
	s_cmp_gt_i32 s27, 14
	s_mov_b32 s29, -1
	s_cbranch_scc0 .LBB198_727
; %bb.724:
	s_cmp_eq_u32 s27, 15
	s_mov_b32 s2, -1
	s_cbranch_scc0 .LBB198_726
; %bb.725:
	s_wait_xcnt 0x0
	v_cndmask_b32_e64 v2, 0, 1.0, s1
	s_mov_b32 s28, -1
	s_mov_b32 s2, 0
	s_delay_alu instid0(VALU_DEP_1) | instskip(NEXT) | instid1(VALU_DEP_1)
	v_bfe_u32 v3, v2, 16, 1
	v_add3_u32 v2, v2, v3, 0x7fff
	global_store_d16_hi_b16 v[0:1], v2, off
.LBB198_726:
	s_mov_b32 s29, 0
.LBB198_727:
	s_delay_alu instid0(SALU_CYCLE_1)
	s_and_b32 vcc_lo, exec_lo, s29
	s_cbranch_vccz .LBB198_730
; %bb.728:
	s_cmp_eq_u32 s27, 11
	s_mov_b32 s2, -1
	s_cbranch_scc0 .LBB198_730
; %bb.729:
	s_wait_xcnt 0x0
	v_cndmask_b32_e64 v2, 0, 1, s1
	s_mov_b32 s28, -1
	s_mov_b32 s2, 0
	global_store_b8 v[0:1], v2, off
.LBB198_730:
	s_mov_b32 s27, 0
.LBB198_731:
	s_delay_alu instid0(SALU_CYCLE_1)
	s_and_b32 vcc_lo, exec_lo, s27
	s_cbranch_vccz .LBB198_770
; %bb.732:
	s_and_b32 s24, 0xffff, s24
	s_mov_b32 s27, -1
	s_cmp_lt_i32 s24, 5
	s_cbranch_scc1 .LBB198_753
; %bb.733:
	s_cmp_lt_i32 s24, 8
	s_cbranch_scc1 .LBB198_743
; %bb.734:
	;; [unrolled: 3-line block ×3, first 2 shown]
	s_cmp_gt_i32 s24, 9
	s_cbranch_scc0 .LBB198_737
; %bb.736:
	s_wait_xcnt 0x0
	v_cndmask_b32_e64 v2, 0, 1, s1
	v_mov_b32_e32 v4, 0
	s_mov_b32 s27, 0
	s_delay_alu instid0(VALU_DEP_2) | instskip(NEXT) | instid1(VALU_DEP_2)
	v_cvt_f64_u32_e32 v[2:3], v2
	v_mov_b32_e32 v5, v4
	global_store_b128 v[0:1], v[2:5], off
.LBB198_737:
	s_and_not1_b32 vcc_lo, exec_lo, s27
	s_cbranch_vccnz .LBB198_739
; %bb.738:
	s_wait_xcnt 0x0
	v_cndmask_b32_e64 v2, 0, 1.0, s1
	v_mov_b32_e32 v3, 0
	global_store_b64 v[0:1], v[2:3], off
.LBB198_739:
	s_mov_b32 s27, 0
.LBB198_740:
	s_delay_alu instid0(SALU_CYCLE_1)
	s_and_not1_b32 vcc_lo, exec_lo, s27
	s_cbranch_vccnz .LBB198_742
; %bb.741:
	s_wait_xcnt 0x0
	v_cndmask_b32_e64 v2, 0, 1.0, s1
	s_delay_alu instid0(VALU_DEP_1) | instskip(NEXT) | instid1(VALU_DEP_1)
	v_cvt_f16_f32_e32 v2, v2
	v_and_b32_e32 v2, 0xffff, v2
	global_store_b32 v[0:1], v2, off
.LBB198_742:
	s_mov_b32 s27, 0
.LBB198_743:
	s_delay_alu instid0(SALU_CYCLE_1)
	s_and_not1_b32 vcc_lo, exec_lo, s27
	s_cbranch_vccnz .LBB198_752
; %bb.744:
	s_cmp_lt_i32 s24, 6
	s_mov_b32 s27, -1
	s_cbranch_scc1 .LBB198_750
; %bb.745:
	s_cmp_gt_i32 s24, 6
	s_cbranch_scc0 .LBB198_747
; %bb.746:
	s_wait_xcnt 0x0
	v_cndmask_b32_e64 v2, 0, 1, s1
	s_mov_b32 s27, 0
	s_delay_alu instid0(VALU_DEP_1)
	v_cvt_f64_u32_e32 v[2:3], v2
	global_store_b64 v[0:1], v[2:3], off
.LBB198_747:
	s_and_not1_b32 vcc_lo, exec_lo, s27
	s_cbranch_vccnz .LBB198_749
; %bb.748:
	s_wait_xcnt 0x0
	v_cndmask_b32_e64 v2, 0, 1.0, s1
	global_store_b32 v[0:1], v2, off
.LBB198_749:
	s_mov_b32 s27, 0
.LBB198_750:
	s_delay_alu instid0(SALU_CYCLE_1)
	s_and_not1_b32 vcc_lo, exec_lo, s27
	s_cbranch_vccnz .LBB198_752
; %bb.751:
	s_wait_xcnt 0x0
	v_cndmask_b32_e64 v2, 0, 1.0, s1
	s_delay_alu instid0(VALU_DEP_1)
	v_cvt_f16_f32_e32 v2, v2
	global_store_b16 v[0:1], v2, off
.LBB198_752:
	s_mov_b32 s27, 0
.LBB198_753:
	s_delay_alu instid0(SALU_CYCLE_1)
	s_and_not1_b32 vcc_lo, exec_lo, s27
	s_cbranch_vccnz .LBB198_769
; %bb.754:
	s_cmp_lt_i32 s24, 2
	s_mov_b32 s27, -1
	s_cbranch_scc1 .LBB198_764
; %bb.755:
	s_cmp_lt_i32 s24, 3
	s_cbranch_scc1 .LBB198_761
; %bb.756:
	s_cmp_gt_i32 s24, 3
	s_cbranch_scc0 .LBB198_758
; %bb.757:
	s_mov_b32 s27, 0
	s_wait_xcnt 0x0
	v_cndmask_b32_e64 v2, 0, 1, s1
	v_mov_b32_e32 v3, s27
	global_store_b64 v[0:1], v[2:3], off
.LBB198_758:
	s_and_not1_b32 vcc_lo, exec_lo, s27
	s_cbranch_vccnz .LBB198_760
; %bb.759:
	s_wait_xcnt 0x0
	v_cndmask_b32_e64 v2, 0, 1, s1
	global_store_b32 v[0:1], v2, off
.LBB198_760:
	s_mov_b32 s27, 0
.LBB198_761:
	s_delay_alu instid0(SALU_CYCLE_1)
	s_and_not1_b32 vcc_lo, exec_lo, s27
	s_cbranch_vccnz .LBB198_763
; %bb.762:
	s_wait_xcnt 0x0
	v_cndmask_b32_e64 v2, 0, 1, s1
	global_store_b16 v[0:1], v2, off
.LBB198_763:
	s_mov_b32 s27, 0
.LBB198_764:
	s_delay_alu instid0(SALU_CYCLE_1)
	s_and_not1_b32 vcc_lo, exec_lo, s27
	s_cbranch_vccnz .LBB198_769
; %bb.765:
	s_wait_xcnt 0x0
	v_cndmask_b32_e64 v2, 0, 1, s1
	s_cmp_gt_i32 s24, 0
	s_mov_b32 s1, -1
	s_cbranch_scc0 .LBB198_767
; %bb.766:
	s_mov_b32 s1, 0
	global_store_b8 v[0:1], v2, off
.LBB198_767:
	s_and_not1_b32 vcc_lo, exec_lo, s1
	s_cbranch_vccnz .LBB198_769
; %bb.768:
	global_store_b8 v[0:1], v2, off
.LBB198_769:
	s_mov_b32 s28, -1
.LBB198_770:
	s_delay_alu instid0(SALU_CYCLE_1)
	s_and_not1_b32 vcc_lo, exec_lo, s28
	s_cbranch_vccnz .LBB198_772
; %bb.771:
	v_add_nc_u32_e32 v6, 0x80, v6
	s_mov_b32 s1, -1
	s_branch .LBB198_774
.LBB198_772:
	s_mov_b32 s1, 0
.LBB198_773:
                                        ; implicit-def: $vgpr6
.LBB198_774:
	s_and_not1_b32 s24, s18, exec_lo
	s_and_b32 s2, s2, exec_lo
	s_and_b32 s25, s25, exec_lo
	s_or_b32 s24, s24, s2
	s_and_not1_b32 s2, s20, exec_lo
	s_and_not1_b32 s27, s21, exec_lo
	s_and_b32 s23, s23, exec_lo
	s_or_b32 s25, s2, s25
	s_or_b32 s23, s27, s23
	s_or_not1_b32 s29, s1, exec_lo
.LBB198_775:
	s_wait_xcnt 0x0
	s_or_b32 exec_lo, exec_lo, s26
	s_mov_b32 s1, 0
	s_mov_b32 s27, 0
	;; [unrolled: 1-line block ×3, first 2 shown]
                                        ; implicit-def: $sgpr2
                                        ; implicit-def: $vgpr0_vgpr1
                                        ; implicit-def: $vgpr2
	s_and_saveexec_b32 s26, s29
	s_cbranch_execz .LBB198_1250
; %bb.776:
	s_mov_b32 s34, -1
	s_mov_b32 s1, s23
	s_mov_b32 s28, s25
	;; [unrolled: 1-line block ×3, first 2 shown]
	s_mov_b32 s27, exec_lo
	v_cmpx_gt_i32_e64 s19, v6
	s_cbranch_execz .LBB198_1166
; %bb.777:
	v_mul_lo_u32 v0, v6, s9
	s_and_b32 s1, s16, 0xff
	s_delay_alu instid0(SALU_CYCLE_1) | instskip(NEXT) | instid1(VALU_DEP_1)
	s_cmp_lt_i32 s1, 11
	v_ashrrev_i32_e32 v1, 31, v0
	s_delay_alu instid0(VALU_DEP_1)
	v_add_nc_u64_e32 v[0:1], s[6:7], v[0:1]
	s_cbranch_scc1 .LBB198_784
; %bb.778:
	s_and_b32 s2, 0xffff, s1
	s_delay_alu instid0(SALU_CYCLE_1)
	s_cmp_gt_i32 s2, 25
	s_cbranch_scc0 .LBB198_785
; %bb.779:
	s_cmp_gt_i32 s2, 28
	s_cbranch_scc0 .LBB198_786
; %bb.780:
	;; [unrolled: 3-line block ×4, first 2 shown]
	s_cmp_eq_u32 s2, 46
	s_mov_b32 s30, 0
	s_cbranch_scc0 .LBB198_791
; %bb.783:
	s_wait_loadcnt 0x0
	global_load_b32 v2, v[0:1], off
	s_mov_b32 s29, -1
	s_mov_b32 s28, 0
	s_branch .LBB198_793
.LBB198_784:
	s_mov_b32 s2, -1
	s_mov_b32 s29, 0
	s_mov_b32 s28, s23
                                        ; implicit-def: $vgpr2
	s_branch .LBB198_858
.LBB198_785:
	s_mov_b32 s30, -1
	s_mov_b32 s29, 0
	s_mov_b32 s28, s23
                                        ; implicit-def: $vgpr2
	s_branch .LBB198_822
.LBB198_786:
	s_mov_b32 s30, -1
	s_mov_b32 s29, 0
	s_mov_b32 s28, s23
                                        ; implicit-def: $vgpr2
	s_branch .LBB198_803
.LBB198_787:
	s_mov_b32 s30, -1
	s_mov_b32 s29, 0
	s_mov_b32 s28, s23
                                        ; implicit-def: $vgpr2
	s_branch .LBB198_798
.LBB198_788:
	s_mov_b32 s30, -1
	s_mov_b32 s29, 0
	s_mov_b32 s28, s23
	s_branch .LBB198_792
.LBB198_789:
	s_and_not1_saveexec_b32 s30, s30
	s_cbranch_execz .LBB198_683
.LBB198_790:
	v_add_f32_e32 v2, 0x46000000, v3
	s_and_not1_b32 s29, s29, exec_lo
	s_delay_alu instid0(VALU_DEP_1) | instskip(NEXT) | instid1(VALU_DEP_1)
	v_and_b32_e32 v2, 0xff, v2
	v_cmp_ne_u32_e32 vcc_lo, 0, v2
	s_and_b32 s31, vcc_lo, exec_lo
	s_delay_alu instid0(SALU_CYCLE_1)
	s_or_b32 s29, s29, s31
	s_or_b32 exec_lo, exec_lo, s30
	v_mov_b32_e32 v4, 0
	s_and_saveexec_b32 s30, s29
	s_cbranch_execnz .LBB198_684
	s_branch .LBB198_685
.LBB198_791:
	s_mov_b32 s28, -1
	s_mov_b32 s29, 0
.LBB198_792:
                                        ; implicit-def: $vgpr2
.LBB198_793:
	s_and_b32 vcc_lo, exec_lo, s30
	s_cbranch_vccz .LBB198_797
; %bb.794:
	s_cmp_eq_u32 s2, 44
	s_cbranch_scc0 .LBB198_796
; %bb.795:
	s_wait_loadcnt 0x0
	global_load_u8 v2, v[0:1], off
	s_mov_b32 s28, 0
	s_mov_b32 s29, -1
	s_wait_loadcnt 0x0
	v_lshlrev_b32_e32 v3, 23, v2
	v_cmp_ne_u32_e32 vcc_lo, 0xff, v2
	s_delay_alu instid0(VALU_DEP_2) | instskip(SKIP_1) | instid1(VALU_DEP_2)
	v_cndmask_b32_e32 v3, 0x7f800001, v3, vcc_lo
	v_cmp_ne_u32_e32 vcc_lo, 0, v2
	v_cndmask_b32_e32 v2, 0x400000, v3, vcc_lo
	s_delay_alu instid0(VALU_DEP_1) | instskip(NEXT) | instid1(VALU_DEP_1)
	v_add_nc_u32_e32 v3, 0x7fff, v2
	v_lshrrev_b32_e32 v3, 16, v3
	v_cmp_o_f32_e32 vcc_lo, v2, v2
	s_delay_alu instid0(VALU_DEP_2)
	v_cndmask_b32_e32 v2, 0x7fc0, v3, vcc_lo
	s_branch .LBB198_797
.LBB198_796:
	s_mov_b32 s28, -1
                                        ; implicit-def: $vgpr2
.LBB198_797:
	s_mov_b32 s30, 0
.LBB198_798:
	s_delay_alu instid0(SALU_CYCLE_1)
	s_and_b32 vcc_lo, exec_lo, s30
	s_cbranch_vccz .LBB198_802
; %bb.799:
	s_cmp_eq_u32 s2, 29
	s_cbranch_scc0 .LBB198_801
; %bb.800:
	s_wait_loadcnt 0x0
	global_load_b64 v[2:3], v[0:1], off
	s_mov_b32 s29, -1
	s_mov_b32 s28, 0
	s_mov_b32 s30, 0
	s_wait_loadcnt 0x0
	v_clz_i32_u32_e32 v4, v3
	s_delay_alu instid0(VALU_DEP_1) | instskip(NEXT) | instid1(VALU_DEP_1)
	v_min_u32_e32 v4, 32, v4
	v_lshlrev_b64_e32 v[2:3], v4, v[2:3]
	s_delay_alu instid0(VALU_DEP_1) | instskip(NEXT) | instid1(VALU_DEP_1)
	v_min_u32_e32 v2, 1, v2
	v_dual_sub_nc_u32 v3, 32, v4 :: v_dual_bitop2_b32 v2, v3, v2 bitop3:0x54
	s_delay_alu instid0(VALU_DEP_1) | instskip(NEXT) | instid1(VALU_DEP_1)
	v_cvt_f32_u32_e32 v2, v2
	v_ldexp_f32 v2, v2, v3
	s_delay_alu instid0(VALU_DEP_1) | instskip(NEXT) | instid1(VALU_DEP_1)
	v_bfe_u32 v3, v2, 16, 1
	v_add3_u32 v2, v2, v3, 0x7fff
	s_delay_alu instid0(VALU_DEP_1)
	v_lshrrev_b32_e32 v2, 16, v2
	s_branch .LBB198_803
.LBB198_801:
	s_mov_b32 s28, -1
                                        ; implicit-def: $vgpr2
.LBB198_802:
	s_mov_b32 s30, 0
.LBB198_803:
	s_delay_alu instid0(SALU_CYCLE_1)
	s_and_b32 vcc_lo, exec_lo, s30
	s_cbranch_vccz .LBB198_821
; %bb.804:
	s_cmp_lt_i32 s2, 27
	s_cbranch_scc1 .LBB198_807
; %bb.805:
	s_cmp_gt_i32 s2, 27
	s_cbranch_scc0 .LBB198_808
; %bb.806:
	s_wait_loadcnt 0x0
	global_load_b32 v2, v[0:1], off
	s_mov_b32 s29, 0
	s_wait_loadcnt 0x0
	v_cvt_f32_u32_e32 v2, v2
	s_delay_alu instid0(VALU_DEP_1) | instskip(NEXT) | instid1(VALU_DEP_1)
	v_bfe_u32 v3, v2, 16, 1
	v_add3_u32 v2, v2, v3, 0x7fff
	s_delay_alu instid0(VALU_DEP_1)
	v_lshrrev_b32_e32 v2, 16, v2
	s_branch .LBB198_809
.LBB198_807:
	s_mov_b32 s29, -1
                                        ; implicit-def: $vgpr2
	s_branch .LBB198_812
.LBB198_808:
	s_mov_b32 s29, -1
                                        ; implicit-def: $vgpr2
.LBB198_809:
	s_delay_alu instid0(SALU_CYCLE_1)
	s_and_not1_b32 vcc_lo, exec_lo, s29
	s_cbranch_vccnz .LBB198_811
; %bb.810:
	s_wait_loadcnt 0x0
	global_load_u16 v2, v[0:1], off
	s_wait_loadcnt 0x0
	v_cvt_f32_u32_e32 v2, v2
	s_delay_alu instid0(VALU_DEP_1) | instskip(NEXT) | instid1(VALU_DEP_1)
	v_bfe_u32 v3, v2, 16, 1
	v_add3_u32 v2, v2, v3, 0x7fff
	s_delay_alu instid0(VALU_DEP_1)
	v_lshrrev_b32_e32 v2, 16, v2
.LBB198_811:
	s_mov_b32 s29, 0
.LBB198_812:
	s_delay_alu instid0(SALU_CYCLE_1)
	s_and_not1_b32 vcc_lo, exec_lo, s29
	s_cbranch_vccnz .LBB198_820
; %bb.813:
	s_wait_loadcnt 0x0
	global_load_u8 v2, v[0:1], off
	s_mov_b32 s29, 0
	s_mov_b32 s30, exec_lo
	s_wait_loadcnt 0x0
	v_cmpx_lt_i16_e32 0x7f, v2
	s_xor_b32 s30, exec_lo, s30
	s_cbranch_execz .LBB198_834
; %bb.814:
	s_mov_b32 s29, -1
	s_mov_b32 s31, exec_lo
	v_cmpx_eq_u16_e32 0x80, v2
; %bb.815:
	s_xor_b32 s29, exec_lo, -1
; %bb.816:
	s_or_b32 exec_lo, exec_lo, s31
	s_delay_alu instid0(SALU_CYCLE_1)
	s_and_b32 s29, s29, exec_lo
	s_or_saveexec_b32 s30, s30
	v_mov_b32_e32 v3, 0x7f800001
	s_xor_b32 exec_lo, exec_lo, s30
	s_cbranch_execnz .LBB198_835
.LBB198_817:
	s_or_b32 exec_lo, exec_lo, s30
	s_and_saveexec_b32 s30, s29
	s_cbranch_execz .LBB198_819
.LBB198_818:
	v_and_b32_e32 v3, 0xffff, v2
	s_delay_alu instid0(VALU_DEP_1) | instskip(SKIP_1) | instid1(VALU_DEP_2)
	v_and_b32_e32 v4, 7, v3
	v_bfe_u32 v8, v3, 3, 4
	v_clz_i32_u32_e32 v5, v4
	s_delay_alu instid0(VALU_DEP_2) | instskip(NEXT) | instid1(VALU_DEP_2)
	v_cmp_eq_u32_e32 vcc_lo, 0, v8
	v_min_u32_e32 v5, 32, v5
	s_delay_alu instid0(VALU_DEP_1) | instskip(NEXT) | instid1(VALU_DEP_1)
	v_subrev_nc_u32_e32 v7, 28, v5
	v_dual_lshlrev_b32 v3, v7, v3 :: v_dual_sub_nc_u32 v5, 29, v5
	s_delay_alu instid0(VALU_DEP_1) | instskip(NEXT) | instid1(VALU_DEP_2)
	v_dual_lshlrev_b32 v2, 24, v2 :: v_dual_bitop2_b32 v3, 7, v3 bitop3:0x40
	v_cndmask_b32_e32 v5, v8, v5, vcc_lo
	s_delay_alu instid0(VALU_DEP_2) | instskip(NEXT) | instid1(VALU_DEP_3)
	v_cndmask_b32_e32 v3, v4, v3, vcc_lo
	v_and_b32_e32 v2, 0x80000000, v2
	s_delay_alu instid0(VALU_DEP_3) | instskip(NEXT) | instid1(VALU_DEP_3)
	v_lshl_add_u32 v4, v5, 23, 0x3b800000
	v_lshlrev_b32_e32 v3, 20, v3
	s_delay_alu instid0(VALU_DEP_1)
	v_or3_b32 v3, v2, v4, v3
.LBB198_819:
	s_or_b32 exec_lo, exec_lo, s30
	s_delay_alu instid0(VALU_DEP_1) | instskip(SKIP_1) | instid1(VALU_DEP_2)
	v_bfe_u32 v2, v3, 16, 1
	v_cmp_o_f32_e32 vcc_lo, v3, v3
	v_add3_u32 v2, v3, v2, 0x7fff
	s_delay_alu instid0(VALU_DEP_1) | instskip(NEXT) | instid1(VALU_DEP_1)
	v_lshrrev_b32_e32 v2, 16, v2
	v_cndmask_b32_e32 v2, 0x7fc0, v2, vcc_lo
.LBB198_820:
	s_mov_b32 s29, -1
.LBB198_821:
	s_mov_b32 s30, 0
.LBB198_822:
	s_delay_alu instid0(SALU_CYCLE_1)
	s_and_b32 vcc_lo, exec_lo, s30
	s_cbranch_vccz .LBB198_857
; %bb.823:
	s_cmp_gt_i32 s2, 22
	s_cbranch_scc0 .LBB198_833
; %bb.824:
	s_cmp_lt_i32 s2, 24
	s_cbranch_scc1 .LBB198_836
; %bb.825:
	s_cmp_gt_i32 s2, 24
	s_cbranch_scc0 .LBB198_837
; %bb.826:
	s_wait_loadcnt 0x0
	global_load_u8 v2, v[0:1], off
	s_mov_b32 s29, 0
	s_mov_b32 s30, exec_lo
	s_wait_loadcnt 0x0
	v_cmpx_lt_i16_e32 0x7f, v2
	s_xor_b32 s30, exec_lo, s30
	s_cbranch_execz .LBB198_849
; %bb.827:
	s_mov_b32 s29, -1
	s_mov_b32 s31, exec_lo
	v_cmpx_eq_u16_e32 0x80, v2
; %bb.828:
	s_xor_b32 s29, exec_lo, -1
; %bb.829:
	s_or_b32 exec_lo, exec_lo, s31
	s_delay_alu instid0(SALU_CYCLE_1)
	s_and_b32 s29, s29, exec_lo
	s_or_saveexec_b32 s30, s30
	v_mov_b32_e32 v3, 0x7f800001
	s_xor_b32 exec_lo, exec_lo, s30
	s_cbranch_execnz .LBB198_850
.LBB198_830:
	s_or_b32 exec_lo, exec_lo, s30
	s_and_saveexec_b32 s30, s29
	s_cbranch_execz .LBB198_832
.LBB198_831:
	v_and_b32_e32 v3, 0xffff, v2
	s_delay_alu instid0(VALU_DEP_1) | instskip(SKIP_1) | instid1(VALU_DEP_2)
	v_and_b32_e32 v4, 3, v3
	v_bfe_u32 v8, v3, 2, 5
	v_clz_i32_u32_e32 v5, v4
	s_delay_alu instid0(VALU_DEP_2) | instskip(NEXT) | instid1(VALU_DEP_2)
	v_cmp_eq_u32_e32 vcc_lo, 0, v8
	v_min_u32_e32 v5, 32, v5
	s_delay_alu instid0(VALU_DEP_1) | instskip(NEXT) | instid1(VALU_DEP_1)
	v_subrev_nc_u32_e32 v7, 29, v5
	v_dual_lshlrev_b32 v3, v7, v3 :: v_dual_sub_nc_u32 v5, 30, v5
	s_delay_alu instid0(VALU_DEP_1) | instskip(NEXT) | instid1(VALU_DEP_2)
	v_dual_lshlrev_b32 v2, 24, v2 :: v_dual_bitop2_b32 v3, 3, v3 bitop3:0x40
	v_cndmask_b32_e32 v5, v8, v5, vcc_lo
	s_delay_alu instid0(VALU_DEP_2) | instskip(NEXT) | instid1(VALU_DEP_3)
	v_cndmask_b32_e32 v3, v4, v3, vcc_lo
	v_and_b32_e32 v2, 0x80000000, v2
	s_delay_alu instid0(VALU_DEP_3) | instskip(NEXT) | instid1(VALU_DEP_3)
	v_lshl_add_u32 v4, v5, 23, 0x37800000
	v_lshlrev_b32_e32 v3, 21, v3
	s_delay_alu instid0(VALU_DEP_1)
	v_or3_b32 v3, v2, v4, v3
.LBB198_832:
	s_or_b32 exec_lo, exec_lo, s30
	s_delay_alu instid0(VALU_DEP_1) | instskip(SKIP_2) | instid1(VALU_DEP_2)
	v_bfe_u32 v2, v3, 16, 1
	v_cmp_o_f32_e32 vcc_lo, v3, v3
	s_mov_b32 s29, 0
	v_add3_u32 v2, v3, v2, 0x7fff
	s_delay_alu instid0(VALU_DEP_1) | instskip(NEXT) | instid1(VALU_DEP_1)
	v_lshrrev_b32_e32 v2, 16, v2
	v_cndmask_b32_e32 v2, 0x7fc0, v2, vcc_lo
	s_branch .LBB198_838
.LBB198_833:
	s_mov_b32 s30, -1
                                        ; implicit-def: $vgpr2
	s_branch .LBB198_844
.LBB198_834:
	s_or_saveexec_b32 s30, s30
	v_mov_b32_e32 v3, 0x7f800001
	s_xor_b32 exec_lo, exec_lo, s30
	s_cbranch_execz .LBB198_817
.LBB198_835:
	v_cmp_ne_u16_e32 vcc_lo, 0, v2
	v_mov_b32_e32 v3, 0
	s_and_not1_b32 s29, s29, exec_lo
	s_and_b32 s31, vcc_lo, exec_lo
	s_delay_alu instid0(SALU_CYCLE_1)
	s_or_b32 s29, s29, s31
	s_or_b32 exec_lo, exec_lo, s30
	s_and_saveexec_b32 s30, s29
	s_cbranch_execnz .LBB198_818
	s_branch .LBB198_819
.LBB198_836:
	s_mov_b32 s29, -1
                                        ; implicit-def: $vgpr2
	s_branch .LBB198_841
.LBB198_837:
	s_mov_b32 s29, -1
                                        ; implicit-def: $vgpr2
.LBB198_838:
	s_delay_alu instid0(SALU_CYCLE_1)
	s_and_b32 vcc_lo, exec_lo, s29
	s_cbranch_vccz .LBB198_840
; %bb.839:
	s_wait_loadcnt 0x0
	global_load_u8 v2, v[0:1], off
	s_wait_loadcnt 0x0
	v_lshlrev_b32_e32 v2, 24, v2
	s_delay_alu instid0(VALU_DEP_1) | instskip(NEXT) | instid1(VALU_DEP_1)
	v_and_b32_e32 v3, 0x7f000000, v2
	v_clz_i32_u32_e32 v4, v3
	v_add_nc_u32_e32 v7, 0x1000000, v3
	v_cmp_ne_u32_e32 vcc_lo, 0, v3
	s_delay_alu instid0(VALU_DEP_3) | instskip(NEXT) | instid1(VALU_DEP_1)
	v_min_u32_e32 v4, 32, v4
	v_sub_nc_u32_e64 v4, v4, 4 clamp
	s_delay_alu instid0(VALU_DEP_1) | instskip(NEXT) | instid1(VALU_DEP_1)
	v_dual_lshlrev_b32 v5, v4, v3 :: v_dual_lshlrev_b32 v4, 23, v4
	v_lshrrev_b32_e32 v5, 4, v5
	s_delay_alu instid0(VALU_DEP_1) | instskip(NEXT) | instid1(VALU_DEP_1)
	v_dual_sub_nc_u32 v4, v5, v4 :: v_dual_ashrrev_i32 v5, 8, v7
	v_add_nc_u32_e32 v4, 0x3c000000, v4
	s_delay_alu instid0(VALU_DEP_1) | instskip(NEXT) | instid1(VALU_DEP_1)
	v_and_or_b32 v4, 0x7f800000, v5, v4
	v_cndmask_b32_e32 v3, 0, v4, vcc_lo
	s_delay_alu instid0(VALU_DEP_1) | instskip(SKIP_1) | instid1(VALU_DEP_2)
	v_and_or_b32 v2, 0x80000000, v2, v3
	v_bfe_u32 v3, v3, 16, 1
	v_cmp_o_f32_e32 vcc_lo, v2, v2
	s_delay_alu instid0(VALU_DEP_2) | instskip(NEXT) | instid1(VALU_DEP_1)
	v_add3_u32 v3, v2, v3, 0x7fff
	v_lshrrev_b32_e32 v3, 16, v3
	s_delay_alu instid0(VALU_DEP_1)
	v_cndmask_b32_e32 v2, 0x7fc0, v3, vcc_lo
.LBB198_840:
	s_mov_b32 s29, 0
.LBB198_841:
	s_delay_alu instid0(SALU_CYCLE_1)
	s_and_not1_b32 vcc_lo, exec_lo, s29
	s_cbranch_vccnz .LBB198_843
; %bb.842:
	s_wait_loadcnt 0x0
	global_load_u8 v2, v[0:1], off
	s_wait_loadcnt 0x0
	v_lshlrev_b32_e32 v3, 25, v2
	v_lshlrev_b16 v2, 8, v2
	s_delay_alu instid0(VALU_DEP_1) | instskip(SKIP_1) | instid1(VALU_DEP_2)
	v_and_or_b32 v5, 0x7f00, v2, 0.5
	v_bfe_i32 v2, v2, 0, 16
	v_dual_add_f32 v5, -0.5, v5 :: v_dual_lshrrev_b32 v4, 4, v3
	v_cmp_gt_u32_e32 vcc_lo, 0x8000000, v3
	s_delay_alu instid0(VALU_DEP_2) | instskip(NEXT) | instid1(VALU_DEP_1)
	v_or_b32_e32 v4, 0x70000000, v4
	v_mul_f32_e32 v4, 0x7800000, v4
	s_delay_alu instid0(VALU_DEP_1) | instskip(NEXT) | instid1(VALU_DEP_1)
	v_cndmask_b32_e32 v3, v4, v5, vcc_lo
	v_and_or_b32 v2, 0x80000000, v2, v3
	v_bfe_u32 v3, v3, 16, 1
	s_delay_alu instid0(VALU_DEP_2) | instskip(NEXT) | instid1(VALU_DEP_2)
	v_cmp_o_f32_e32 vcc_lo, v2, v2
	v_add3_u32 v3, v2, v3, 0x7fff
	s_delay_alu instid0(VALU_DEP_1) | instskip(NEXT) | instid1(VALU_DEP_1)
	v_lshrrev_b32_e32 v3, 16, v3
	v_cndmask_b32_e32 v2, 0x7fc0, v3, vcc_lo
.LBB198_843:
	s_mov_b32 s30, 0
	s_mov_b32 s29, -1
.LBB198_844:
	s_and_not1_b32 vcc_lo, exec_lo, s30
	s_cbranch_vccnz .LBB198_857
; %bb.845:
	s_cmp_gt_i32 s2, 14
	s_cbranch_scc0 .LBB198_848
; %bb.846:
	s_cmp_eq_u32 s2, 15
	s_cbranch_scc0 .LBB198_851
; %bb.847:
	s_wait_loadcnt 0x0
	global_load_u16 v2, v[0:1], off
	s_mov_b32 s29, -1
	s_mov_b32 s28, 0
	s_branch .LBB198_852
.LBB198_848:
	s_mov_b32 s30, -1
                                        ; implicit-def: $vgpr2
	s_branch .LBB198_853
.LBB198_849:
	s_or_saveexec_b32 s30, s30
	v_mov_b32_e32 v3, 0x7f800001
	s_xor_b32 exec_lo, exec_lo, s30
	s_cbranch_execz .LBB198_830
.LBB198_850:
	v_cmp_ne_u16_e32 vcc_lo, 0, v2
	v_mov_b32_e32 v3, 0
	s_and_not1_b32 s29, s29, exec_lo
	s_and_b32 s31, vcc_lo, exec_lo
	s_delay_alu instid0(SALU_CYCLE_1)
	s_or_b32 s29, s29, s31
	s_or_b32 exec_lo, exec_lo, s30
	s_and_saveexec_b32 s30, s29
	s_cbranch_execnz .LBB198_831
	s_branch .LBB198_832
.LBB198_851:
	s_mov_b32 s28, -1
                                        ; implicit-def: $vgpr2
.LBB198_852:
	s_mov_b32 s30, 0
.LBB198_853:
	s_delay_alu instid0(SALU_CYCLE_1)
	s_and_b32 vcc_lo, exec_lo, s30
	s_cbranch_vccz .LBB198_857
; %bb.854:
	s_cmp_eq_u32 s2, 11
	s_cbranch_scc0 .LBB198_856
; %bb.855:
	s_wait_loadcnt 0x0
	global_load_u8 v2, v[0:1], off
	s_mov_b32 s28, 0
	s_mov_b32 s29, -1
	s_wait_loadcnt 0x0
	v_cmp_ne_u16_e32 vcc_lo, 0, v2
	v_cndmask_b32_e64 v2, 0, 1.0, vcc_lo
	s_delay_alu instid0(VALU_DEP_1)
	v_lshrrev_b32_e32 v2, 16, v2
	s_branch .LBB198_857
.LBB198_856:
	s_mov_b32 s28, -1
                                        ; implicit-def: $vgpr2
.LBB198_857:
	s_mov_b32 s2, 0
.LBB198_858:
	s_delay_alu instid0(SALU_CYCLE_1)
	s_and_b32 vcc_lo, exec_lo, s2
	s_cbranch_vccz .LBB198_907
; %bb.859:
	s_and_b32 s1, 0xffff, s1
	s_delay_alu instid0(SALU_CYCLE_1)
	s_cmp_lt_i32 s1, 5
	s_cbranch_scc1 .LBB198_864
; %bb.860:
	s_cmp_lt_i32 s1, 8
	s_cbranch_scc1 .LBB198_865
; %bb.861:
	;; [unrolled: 3-line block ×3, first 2 shown]
	s_cmp_gt_i32 s1, 9
	s_cbranch_scc0 .LBB198_867
; %bb.863:
	s_wait_loadcnt 0x0
	global_load_b64 v[2:3], v[0:1], off
	s_mov_b32 s2, 0
	s_wait_loadcnt 0x0
	v_cvt_f32_f64_e32 v2, v[2:3]
	s_delay_alu instid0(VALU_DEP_1) | instskip(SKIP_1) | instid1(VALU_DEP_2)
	v_bfe_u32 v3, v2, 16, 1
	v_cmp_o_f32_e32 vcc_lo, v2, v2
	v_add3_u32 v3, v2, v3, 0x7fff
	s_delay_alu instid0(VALU_DEP_1) | instskip(NEXT) | instid1(VALU_DEP_1)
	v_lshrrev_b32_e32 v3, 16, v3
	v_cndmask_b32_e32 v2, 0x7fc0, v3, vcc_lo
	s_branch .LBB198_868
.LBB198_864:
	s_mov_b32 s2, -1
                                        ; implicit-def: $vgpr2
	s_branch .LBB198_886
.LBB198_865:
	s_mov_b32 s2, -1
                                        ; implicit-def: $vgpr2
	s_branch .LBB198_874
.LBB198_866:
	s_mov_b32 s2, -1
                                        ; implicit-def: $vgpr2
	s_branch .LBB198_871
.LBB198_867:
	s_mov_b32 s2, -1
                                        ; implicit-def: $vgpr2
.LBB198_868:
	s_delay_alu instid0(SALU_CYCLE_1)
	s_and_not1_b32 vcc_lo, exec_lo, s2
	s_cbranch_vccnz .LBB198_870
; %bb.869:
	s_wait_loadcnt 0x0
	global_load_b32 v2, v[0:1], off
	s_wait_loadcnt 0x0
	v_bfe_u32 v3, v2, 16, 1
	v_cmp_o_f32_e32 vcc_lo, v2, v2
	s_delay_alu instid0(VALU_DEP_2) | instskip(NEXT) | instid1(VALU_DEP_1)
	v_add3_u32 v3, v2, v3, 0x7fff
	v_lshrrev_b32_e32 v3, 16, v3
	s_delay_alu instid0(VALU_DEP_1)
	v_cndmask_b32_e32 v2, 0x7fc0, v3, vcc_lo
.LBB198_870:
	s_mov_b32 s2, 0
.LBB198_871:
	s_delay_alu instid0(SALU_CYCLE_1)
	s_and_not1_b32 vcc_lo, exec_lo, s2
	s_cbranch_vccnz .LBB198_873
; %bb.872:
	s_wait_loadcnt 0x0
	global_load_b32 v2, v[0:1], off
	s_wait_loadcnt 0x0
	v_cvt_f32_f16_e32 v3, v2
	v_cmp_o_f16_e32 vcc_lo, v2, v2
	s_delay_alu instid0(VALU_DEP_2) | instskip(NEXT) | instid1(VALU_DEP_1)
	v_bfe_u32 v4, v3, 16, 1
	v_add3_u32 v3, v3, v4, 0x7fff
	s_delay_alu instid0(VALU_DEP_1) | instskip(NEXT) | instid1(VALU_DEP_1)
	v_lshrrev_b32_e32 v3, 16, v3
	v_cndmask_b32_e32 v2, 0x7fc0, v3, vcc_lo
.LBB198_873:
	s_mov_b32 s2, 0
.LBB198_874:
	s_delay_alu instid0(SALU_CYCLE_1)
	s_and_not1_b32 vcc_lo, exec_lo, s2
	s_cbranch_vccnz .LBB198_885
; %bb.875:
	s_cmp_lt_i32 s1, 6
	s_cbranch_scc1 .LBB198_878
; %bb.876:
	s_cmp_gt_i32 s1, 6
	s_cbranch_scc0 .LBB198_879
; %bb.877:
	s_wait_loadcnt 0x0
	global_load_b64 v[2:3], v[0:1], off
	s_mov_b32 s2, 0
	s_wait_loadcnt 0x0
	v_cvt_f32_f64_e32 v2, v[2:3]
	s_delay_alu instid0(VALU_DEP_1) | instskip(SKIP_1) | instid1(VALU_DEP_2)
	v_bfe_u32 v3, v2, 16, 1
	v_cmp_o_f32_e32 vcc_lo, v2, v2
	v_add3_u32 v3, v2, v3, 0x7fff
	s_delay_alu instid0(VALU_DEP_1) | instskip(NEXT) | instid1(VALU_DEP_1)
	v_lshrrev_b32_e32 v3, 16, v3
	v_cndmask_b32_e32 v2, 0x7fc0, v3, vcc_lo
	s_branch .LBB198_880
.LBB198_878:
	s_mov_b32 s2, -1
                                        ; implicit-def: $vgpr2
	s_branch .LBB198_883
.LBB198_879:
	s_mov_b32 s2, -1
                                        ; implicit-def: $vgpr2
.LBB198_880:
	s_delay_alu instid0(SALU_CYCLE_1)
	s_and_not1_b32 vcc_lo, exec_lo, s2
	s_cbranch_vccnz .LBB198_882
; %bb.881:
	s_wait_loadcnt 0x0
	global_load_b32 v2, v[0:1], off
	s_wait_loadcnt 0x0
	v_bfe_u32 v3, v2, 16, 1
	v_cmp_o_f32_e32 vcc_lo, v2, v2
	s_delay_alu instid0(VALU_DEP_2) | instskip(NEXT) | instid1(VALU_DEP_1)
	v_add3_u32 v3, v2, v3, 0x7fff
	v_lshrrev_b32_e32 v3, 16, v3
	s_delay_alu instid0(VALU_DEP_1)
	v_cndmask_b32_e32 v2, 0x7fc0, v3, vcc_lo
.LBB198_882:
	s_mov_b32 s2, 0
.LBB198_883:
	s_delay_alu instid0(SALU_CYCLE_1)
	s_and_not1_b32 vcc_lo, exec_lo, s2
	s_cbranch_vccnz .LBB198_885
; %bb.884:
	s_wait_loadcnt 0x0
	global_load_u16 v2, v[0:1], off
	s_wait_loadcnt 0x0
	v_cvt_f32_f16_e32 v3, v2
	v_cmp_o_f16_e32 vcc_lo, v2, v2
	s_delay_alu instid0(VALU_DEP_2) | instskip(NEXT) | instid1(VALU_DEP_1)
	v_bfe_u32 v4, v3, 16, 1
	v_add3_u32 v3, v3, v4, 0x7fff
	s_delay_alu instid0(VALU_DEP_1) | instskip(NEXT) | instid1(VALU_DEP_1)
	v_lshrrev_b32_e32 v3, 16, v3
	v_cndmask_b32_e32 v2, 0x7fc0, v3, vcc_lo
.LBB198_885:
	s_mov_b32 s2, 0
.LBB198_886:
	s_delay_alu instid0(SALU_CYCLE_1)
	s_and_not1_b32 vcc_lo, exec_lo, s2
	s_cbranch_vccnz .LBB198_906
; %bb.887:
	s_cmp_lt_i32 s1, 2
	s_cbranch_scc1 .LBB198_891
; %bb.888:
	s_cmp_lt_i32 s1, 3
	s_cbranch_scc1 .LBB198_892
; %bb.889:
	s_cmp_gt_i32 s1, 3
	s_cbranch_scc0 .LBB198_893
; %bb.890:
	s_wait_loadcnt 0x0
	global_load_b64 v[2:3], v[0:1], off
	s_mov_b32 s2, 0
	s_wait_loadcnt 0x0
	v_xor_b32_e32 v4, v2, v3
	v_cls_i32_e32 v5, v3
	s_delay_alu instid0(VALU_DEP_2) | instskip(NEXT) | instid1(VALU_DEP_1)
	v_ashrrev_i32_e32 v4, 31, v4
	v_add_nc_u32_e32 v4, 32, v4
	s_delay_alu instid0(VALU_DEP_1) | instskip(NEXT) | instid1(VALU_DEP_1)
	v_add_min_u32_e64 v4, v5, -1, v4
	v_lshlrev_b64_e32 v[2:3], v4, v[2:3]
	s_delay_alu instid0(VALU_DEP_1) | instskip(NEXT) | instid1(VALU_DEP_1)
	v_min_u32_e32 v2, 1, v2
	v_dual_sub_nc_u32 v3, 32, v4 :: v_dual_bitop2_b32 v2, v3, v2 bitop3:0x54
	s_delay_alu instid0(VALU_DEP_1) | instskip(NEXT) | instid1(VALU_DEP_1)
	v_cvt_f32_i32_e32 v2, v2
	v_ldexp_f32 v2, v2, v3
	s_delay_alu instid0(VALU_DEP_1) | instskip(NEXT) | instid1(VALU_DEP_1)
	v_bfe_u32 v3, v2, 16, 1
	v_add3_u32 v2, v2, v3, 0x7fff
	s_delay_alu instid0(VALU_DEP_1)
	v_lshrrev_b32_e32 v2, 16, v2
	s_branch .LBB198_894
.LBB198_891:
	s_mov_b32 s2, -1
                                        ; implicit-def: $vgpr2
	s_branch .LBB198_900
.LBB198_892:
	s_mov_b32 s2, -1
                                        ; implicit-def: $vgpr2
	s_branch .LBB198_897
.LBB198_893:
	s_mov_b32 s2, -1
                                        ; implicit-def: $vgpr2
.LBB198_894:
	s_delay_alu instid0(SALU_CYCLE_1)
	s_and_not1_b32 vcc_lo, exec_lo, s2
	s_cbranch_vccnz .LBB198_896
; %bb.895:
	s_wait_loadcnt 0x0
	global_load_b32 v2, v[0:1], off
	s_wait_loadcnt 0x0
	v_cvt_f32_i32_e32 v2, v2
	s_delay_alu instid0(VALU_DEP_1) | instskip(NEXT) | instid1(VALU_DEP_1)
	v_bfe_u32 v3, v2, 16, 1
	v_add3_u32 v2, v2, v3, 0x7fff
	s_delay_alu instid0(VALU_DEP_1)
	v_lshrrev_b32_e32 v2, 16, v2
.LBB198_896:
	s_mov_b32 s2, 0
.LBB198_897:
	s_delay_alu instid0(SALU_CYCLE_1)
	s_and_not1_b32 vcc_lo, exec_lo, s2
	s_cbranch_vccnz .LBB198_899
; %bb.898:
	s_wait_loadcnt 0x0
	global_load_i16 v2, v[0:1], off
	s_wait_loadcnt 0x0
	v_cvt_f32_i32_e32 v2, v2
	s_delay_alu instid0(VALU_DEP_1) | instskip(NEXT) | instid1(VALU_DEP_1)
	v_bfe_u32 v3, v2, 16, 1
	v_add3_u32 v2, v2, v3, 0x7fff
	s_delay_alu instid0(VALU_DEP_1)
	v_lshrrev_b32_e32 v2, 16, v2
.LBB198_899:
	s_mov_b32 s2, 0
.LBB198_900:
	s_delay_alu instid0(SALU_CYCLE_1)
	s_and_not1_b32 vcc_lo, exec_lo, s2
	s_cbranch_vccnz .LBB198_906
; %bb.901:
	s_cmp_gt_i32 s1, 0
	s_mov_b32 s1, 0
	s_cbranch_scc0 .LBB198_903
; %bb.902:
	s_wait_loadcnt 0x0
	global_load_i8 v2, v[0:1], off
	s_wait_loadcnt 0x0
	v_cvt_f32_i32_e32 v2, v2
	s_delay_alu instid0(VALU_DEP_1) | instskip(NEXT) | instid1(VALU_DEP_1)
	v_bfe_u32 v3, v2, 16, 1
	v_add3_u32 v2, v2, v3, 0x7fff
	s_delay_alu instid0(VALU_DEP_1)
	v_lshrrev_b32_e32 v2, 16, v2
	s_branch .LBB198_904
.LBB198_903:
	s_mov_b32 s1, -1
                                        ; implicit-def: $vgpr2
.LBB198_904:
	s_delay_alu instid0(SALU_CYCLE_1)
	s_and_not1_b32 vcc_lo, exec_lo, s1
	s_cbranch_vccnz .LBB198_906
; %bb.905:
	global_load_u8 v0, v[0:1], off
	s_wait_loadcnt 0x0
	v_cvt_f32_ubyte0_e32 v0, v0
	s_delay_alu instid0(VALU_DEP_1) | instskip(NEXT) | instid1(VALU_DEP_1)
	v_bfe_u32 v1, v0, 16, 1
	v_add3_u32 v0, v0, v1, 0x7fff
	s_delay_alu instid0(VALU_DEP_1)
	v_lshrrev_b32_e32 v2, 16, v0
.LBB198_906:
	s_mov_b32 s29, -1
.LBB198_907:
	s_delay_alu instid0(SALU_CYCLE_1)
	s_and_not1_b32 vcc_lo, exec_lo, s29
	s_cbranch_vccnz .LBB198_915
; %bb.908:
	s_wait_xcnt 0x0
	v_mul_lo_u32 v0, v6, s10
	s_and_b32 s1, s14, 0xff
	s_delay_alu instid0(SALU_CYCLE_1) | instskip(NEXT) | instid1(VALU_DEP_1)
	s_cmp_lt_i32 s1, 11
	v_ashrrev_i32_e32 v1, 31, v0
	s_delay_alu instid0(VALU_DEP_1)
	v_add_nc_u64_e32 v[0:1], s[12:13], v[0:1]
	s_cbranch_scc1 .LBB198_916
; %bb.909:
	s_and_b32 s2, 0xffff, s1
	s_delay_alu instid0(SALU_CYCLE_1)
	s_cmp_gt_i32 s2, 25
	s_cbranch_scc0 .LBB198_917
; %bb.910:
	s_cmp_gt_i32 s2, 28
	s_cbranch_scc0 .LBB198_918
; %bb.911:
	;; [unrolled: 3-line block ×4, first 2 shown]
	s_cmp_eq_u32 s2, 46
	s_mov_b32 s31, 0
	s_cbranch_scc0 .LBB198_923
; %bb.914:
	s_wait_loadcnt 0x0
	global_load_b32 v3, v[0:1], off
	s_mov_b32 s30, -1
	s_mov_b32 s29, 0
	s_branch .LBB198_925
.LBB198_915:
	s_mov_b32 s31, 0
	s_mov_b32 s2, s24
	;; [unrolled: 1-line block ×3, first 2 shown]
	s_branch .LBB198_1164
.LBB198_916:
	s_mov_b32 s2, -1
	s_mov_b32 s30, 0
	s_mov_b32 s29, s25
                                        ; implicit-def: $vgpr3
	s_branch .LBB198_990
.LBB198_917:
	s_mov_b32 s31, -1
	s_mov_b32 s30, 0
	s_mov_b32 s29, s25
                                        ; implicit-def: $vgpr3
	s_branch .LBB198_954
.LBB198_918:
	s_mov_b32 s31, -1
	s_mov_b32 s30, 0
	s_mov_b32 s29, s25
                                        ; implicit-def: $vgpr3
	s_branch .LBB198_935
.LBB198_919:
	s_mov_b32 s31, -1
	s_mov_b32 s30, 0
	s_mov_b32 s29, s25
                                        ; implicit-def: $vgpr3
	s_branch .LBB198_930
.LBB198_920:
	s_mov_b32 s31, -1
	s_mov_b32 s30, 0
	s_mov_b32 s29, s25
	s_branch .LBB198_924
.LBB198_921:
	s_and_not1_saveexec_b32 s30, s30
	s_cbranch_execz .LBB198_696
.LBB198_922:
	v_add_f32_e32 v2, 0x42800000, v3
	s_and_not1_b32 s29, s29, exec_lo
	s_delay_alu instid0(VALU_DEP_1) | instskip(NEXT) | instid1(VALU_DEP_1)
	v_and_b32_e32 v2, 0xff, v2
	v_cmp_ne_u32_e32 vcc_lo, 0, v2
	s_and_b32 s31, vcc_lo, exec_lo
	s_delay_alu instid0(SALU_CYCLE_1)
	s_or_b32 s29, s29, s31
	s_or_b32 exec_lo, exec_lo, s30
	v_mov_b32_e32 v4, 0
	s_and_saveexec_b32 s30, s29
	s_cbranch_execnz .LBB198_697
	s_branch .LBB198_698
.LBB198_923:
	s_mov_b32 s29, -1
	s_mov_b32 s30, 0
.LBB198_924:
                                        ; implicit-def: $vgpr3
.LBB198_925:
	s_and_b32 vcc_lo, exec_lo, s31
	s_cbranch_vccz .LBB198_929
; %bb.926:
	s_cmp_eq_u32 s2, 44
	s_cbranch_scc0 .LBB198_928
; %bb.927:
	s_wait_loadcnt 0x0
	global_load_u8 v3, v[0:1], off
	s_mov_b32 s29, 0
	s_mov_b32 s30, -1
	s_wait_loadcnt 0x0
	v_lshlrev_b32_e32 v4, 23, v3
	v_cmp_ne_u32_e32 vcc_lo, 0xff, v3
	s_delay_alu instid0(VALU_DEP_2) | instskip(SKIP_1) | instid1(VALU_DEP_2)
	v_cndmask_b32_e32 v4, 0x7f800001, v4, vcc_lo
	v_cmp_ne_u32_e32 vcc_lo, 0, v3
	v_cndmask_b32_e32 v3, 0x400000, v4, vcc_lo
	s_delay_alu instid0(VALU_DEP_1) | instskip(NEXT) | instid1(VALU_DEP_1)
	v_add_nc_u32_e32 v4, 0x7fff, v3
	v_lshrrev_b32_e32 v4, 16, v4
	v_cmp_o_f32_e32 vcc_lo, v3, v3
	s_delay_alu instid0(VALU_DEP_2)
	v_cndmask_b32_e32 v3, 0x7fc0, v4, vcc_lo
	s_branch .LBB198_929
.LBB198_928:
	s_mov_b32 s29, -1
                                        ; implicit-def: $vgpr3
.LBB198_929:
	s_mov_b32 s31, 0
.LBB198_930:
	s_delay_alu instid0(SALU_CYCLE_1)
	s_and_b32 vcc_lo, exec_lo, s31
	s_cbranch_vccz .LBB198_934
; %bb.931:
	s_cmp_eq_u32 s2, 29
	s_cbranch_scc0 .LBB198_933
; %bb.932:
	global_load_b64 v[4:5], v[0:1], off
	s_mov_b32 s30, -1
	s_mov_b32 s29, 0
	s_mov_b32 s31, 0
	s_wait_loadcnt 0x0
	v_clz_i32_u32_e32 v3, v5
	s_delay_alu instid0(VALU_DEP_1) | instskip(NEXT) | instid1(VALU_DEP_1)
	v_min_u32_e32 v3, 32, v3
	v_lshlrev_b64_e32 v[4:5], v3, v[4:5]
	v_sub_nc_u32_e32 v3, 32, v3
	s_delay_alu instid0(VALU_DEP_2) | instskip(NEXT) | instid1(VALU_DEP_1)
	v_min_u32_e32 v4, 1, v4
	v_or_b32_e32 v4, v5, v4
	s_delay_alu instid0(VALU_DEP_1) | instskip(NEXT) | instid1(VALU_DEP_1)
	v_cvt_f32_u32_e32 v4, v4
	v_ldexp_f32 v3, v4, v3
	s_delay_alu instid0(VALU_DEP_1) | instskip(NEXT) | instid1(VALU_DEP_1)
	v_bfe_u32 v4, v3, 16, 1
	v_add3_u32 v3, v3, v4, 0x7fff
	s_delay_alu instid0(VALU_DEP_1)
	v_lshrrev_b32_e32 v3, 16, v3
	s_branch .LBB198_935
.LBB198_933:
	s_mov_b32 s29, -1
                                        ; implicit-def: $vgpr3
.LBB198_934:
	s_mov_b32 s31, 0
.LBB198_935:
	s_delay_alu instid0(SALU_CYCLE_1)
	s_and_b32 vcc_lo, exec_lo, s31
	s_cbranch_vccz .LBB198_953
; %bb.936:
	s_cmp_lt_i32 s2, 27
	s_cbranch_scc1 .LBB198_939
; %bb.937:
	s_cmp_gt_i32 s2, 27
	s_cbranch_scc0 .LBB198_940
; %bb.938:
	s_wait_loadcnt 0x0
	global_load_b32 v3, v[0:1], off
	s_mov_b32 s30, 0
	s_wait_loadcnt 0x0
	v_cvt_f32_u32_e32 v3, v3
	s_delay_alu instid0(VALU_DEP_1) | instskip(NEXT) | instid1(VALU_DEP_1)
	v_bfe_u32 v4, v3, 16, 1
	v_add3_u32 v3, v3, v4, 0x7fff
	s_delay_alu instid0(VALU_DEP_1)
	v_lshrrev_b32_e32 v3, 16, v3
	s_branch .LBB198_941
.LBB198_939:
	s_mov_b32 s30, -1
                                        ; implicit-def: $vgpr3
	s_branch .LBB198_944
.LBB198_940:
	s_mov_b32 s30, -1
                                        ; implicit-def: $vgpr3
.LBB198_941:
	s_delay_alu instid0(SALU_CYCLE_1)
	s_and_not1_b32 vcc_lo, exec_lo, s30
	s_cbranch_vccnz .LBB198_943
; %bb.942:
	s_wait_loadcnt 0x0
	global_load_u16 v3, v[0:1], off
	s_wait_loadcnt 0x0
	v_cvt_f32_u32_e32 v3, v3
	s_delay_alu instid0(VALU_DEP_1) | instskip(NEXT) | instid1(VALU_DEP_1)
	v_bfe_u32 v4, v3, 16, 1
	v_add3_u32 v3, v3, v4, 0x7fff
	s_delay_alu instid0(VALU_DEP_1)
	v_lshrrev_b32_e32 v3, 16, v3
.LBB198_943:
	s_mov_b32 s30, 0
.LBB198_944:
	s_delay_alu instid0(SALU_CYCLE_1)
	s_and_not1_b32 vcc_lo, exec_lo, s30
	s_cbranch_vccnz .LBB198_952
; %bb.945:
	s_wait_loadcnt 0x0
	global_load_u8 v3, v[0:1], off
	s_mov_b32 s30, 0
	s_mov_b32 s31, exec_lo
	s_wait_loadcnt 0x0
	v_cmpx_lt_i16_e32 0x7f, v3
	s_xor_b32 s31, exec_lo, s31
	s_cbranch_execz .LBB198_966
; %bb.946:
	s_mov_b32 s30, -1
	s_mov_b32 s33, exec_lo
	v_cmpx_eq_u16_e32 0x80, v3
; %bb.947:
	s_xor_b32 s30, exec_lo, -1
; %bb.948:
	s_or_b32 exec_lo, exec_lo, s33
	s_delay_alu instid0(SALU_CYCLE_1)
	s_and_b32 s30, s30, exec_lo
	s_or_saveexec_b32 s31, s31
	v_mov_b32_e32 v4, 0x7f800001
	s_xor_b32 exec_lo, exec_lo, s31
	s_cbranch_execnz .LBB198_967
.LBB198_949:
	s_or_b32 exec_lo, exec_lo, s31
	s_and_saveexec_b32 s31, s30
	s_cbranch_execz .LBB198_951
.LBB198_950:
	v_and_b32_e32 v4, 0xffff, v3
	s_delay_alu instid0(VALU_DEP_1) | instskip(SKIP_1) | instid1(VALU_DEP_2)
	v_and_b32_e32 v5, 7, v4
	v_bfe_u32 v9, v4, 3, 4
	v_clz_i32_u32_e32 v7, v5
	s_delay_alu instid0(VALU_DEP_2) | instskip(NEXT) | instid1(VALU_DEP_2)
	v_cmp_eq_u32_e32 vcc_lo, 0, v9
	v_min_u32_e32 v7, 32, v7
	s_delay_alu instid0(VALU_DEP_1) | instskip(NEXT) | instid1(VALU_DEP_1)
	v_subrev_nc_u32_e32 v8, 28, v7
	v_dual_lshlrev_b32 v4, v8, v4 :: v_dual_sub_nc_u32 v7, 29, v7
	s_delay_alu instid0(VALU_DEP_1) | instskip(NEXT) | instid1(VALU_DEP_1)
	v_dual_lshlrev_b32 v3, 24, v3 :: v_dual_bitop2_b32 v4, 7, v4 bitop3:0x40
	v_cndmask_b32_e32 v4, v5, v4, vcc_lo
	s_delay_alu instid0(VALU_DEP_3) | instskip(NEXT) | instid1(VALU_DEP_3)
	v_cndmask_b32_e32 v7, v9, v7, vcc_lo
	v_and_b32_e32 v3, 0x80000000, v3
	s_delay_alu instid0(VALU_DEP_3) | instskip(NEXT) | instid1(VALU_DEP_3)
	v_lshlrev_b32_e32 v4, 20, v4
	v_lshl_add_u32 v5, v7, 23, 0x3b800000
	s_delay_alu instid0(VALU_DEP_1)
	v_or3_b32 v4, v3, v5, v4
.LBB198_951:
	s_or_b32 exec_lo, exec_lo, s31
	s_delay_alu instid0(VALU_DEP_1) | instskip(SKIP_1) | instid1(VALU_DEP_2)
	v_bfe_u32 v3, v4, 16, 1
	v_cmp_o_f32_e32 vcc_lo, v4, v4
	v_add3_u32 v3, v4, v3, 0x7fff
	s_delay_alu instid0(VALU_DEP_1) | instskip(NEXT) | instid1(VALU_DEP_1)
	v_lshrrev_b32_e32 v3, 16, v3
	v_cndmask_b32_e32 v3, 0x7fc0, v3, vcc_lo
.LBB198_952:
	s_mov_b32 s30, -1
.LBB198_953:
	s_mov_b32 s31, 0
.LBB198_954:
	s_delay_alu instid0(SALU_CYCLE_1)
	s_and_b32 vcc_lo, exec_lo, s31
	s_cbranch_vccz .LBB198_989
; %bb.955:
	s_cmp_gt_i32 s2, 22
	s_cbranch_scc0 .LBB198_965
; %bb.956:
	s_cmp_lt_i32 s2, 24
	s_cbranch_scc1 .LBB198_968
; %bb.957:
	s_cmp_gt_i32 s2, 24
	s_cbranch_scc0 .LBB198_969
; %bb.958:
	s_wait_loadcnt 0x0
	global_load_u8 v3, v[0:1], off
	s_mov_b32 s30, 0
	s_mov_b32 s31, exec_lo
	s_wait_loadcnt 0x0
	v_cmpx_lt_i16_e32 0x7f, v3
	s_xor_b32 s31, exec_lo, s31
	s_cbranch_execz .LBB198_981
; %bb.959:
	s_mov_b32 s30, -1
	s_mov_b32 s33, exec_lo
	v_cmpx_eq_u16_e32 0x80, v3
; %bb.960:
	s_xor_b32 s30, exec_lo, -1
; %bb.961:
	s_or_b32 exec_lo, exec_lo, s33
	s_delay_alu instid0(SALU_CYCLE_1)
	s_and_b32 s30, s30, exec_lo
	s_or_saveexec_b32 s31, s31
	v_mov_b32_e32 v4, 0x7f800001
	s_xor_b32 exec_lo, exec_lo, s31
	s_cbranch_execnz .LBB198_982
.LBB198_962:
	s_or_b32 exec_lo, exec_lo, s31
	s_and_saveexec_b32 s31, s30
	s_cbranch_execz .LBB198_964
.LBB198_963:
	v_and_b32_e32 v4, 0xffff, v3
	s_delay_alu instid0(VALU_DEP_1) | instskip(SKIP_1) | instid1(VALU_DEP_2)
	v_and_b32_e32 v5, 3, v4
	v_bfe_u32 v9, v4, 2, 5
	v_clz_i32_u32_e32 v7, v5
	s_delay_alu instid0(VALU_DEP_2) | instskip(NEXT) | instid1(VALU_DEP_2)
	v_cmp_eq_u32_e32 vcc_lo, 0, v9
	v_min_u32_e32 v7, 32, v7
	s_delay_alu instid0(VALU_DEP_1) | instskip(NEXT) | instid1(VALU_DEP_1)
	v_subrev_nc_u32_e32 v8, 29, v7
	v_dual_lshlrev_b32 v4, v8, v4 :: v_dual_sub_nc_u32 v7, 30, v7
	s_delay_alu instid0(VALU_DEP_1) | instskip(NEXT) | instid1(VALU_DEP_1)
	v_dual_lshlrev_b32 v3, 24, v3 :: v_dual_bitop2_b32 v4, 3, v4 bitop3:0x40
	v_cndmask_b32_e32 v4, v5, v4, vcc_lo
	s_delay_alu instid0(VALU_DEP_3) | instskip(NEXT) | instid1(VALU_DEP_3)
	v_cndmask_b32_e32 v7, v9, v7, vcc_lo
	v_and_b32_e32 v3, 0x80000000, v3
	s_delay_alu instid0(VALU_DEP_3) | instskip(NEXT) | instid1(VALU_DEP_3)
	v_lshlrev_b32_e32 v4, 21, v4
	v_lshl_add_u32 v5, v7, 23, 0x37800000
	s_delay_alu instid0(VALU_DEP_1)
	v_or3_b32 v4, v3, v5, v4
.LBB198_964:
	s_or_b32 exec_lo, exec_lo, s31
	s_delay_alu instid0(VALU_DEP_1) | instskip(SKIP_2) | instid1(VALU_DEP_2)
	v_bfe_u32 v3, v4, 16, 1
	v_cmp_o_f32_e32 vcc_lo, v4, v4
	s_mov_b32 s30, 0
	v_add3_u32 v3, v4, v3, 0x7fff
	s_delay_alu instid0(VALU_DEP_1) | instskip(NEXT) | instid1(VALU_DEP_1)
	v_lshrrev_b32_e32 v3, 16, v3
	v_cndmask_b32_e32 v3, 0x7fc0, v3, vcc_lo
	s_branch .LBB198_970
.LBB198_965:
	s_mov_b32 s31, -1
                                        ; implicit-def: $vgpr3
	s_branch .LBB198_976
.LBB198_966:
	s_or_saveexec_b32 s31, s31
	v_mov_b32_e32 v4, 0x7f800001
	s_xor_b32 exec_lo, exec_lo, s31
	s_cbranch_execz .LBB198_949
.LBB198_967:
	v_cmp_ne_u16_e32 vcc_lo, 0, v3
	v_mov_b32_e32 v4, 0
	s_and_not1_b32 s30, s30, exec_lo
	s_and_b32 s33, vcc_lo, exec_lo
	s_delay_alu instid0(SALU_CYCLE_1)
	s_or_b32 s30, s30, s33
	s_or_b32 exec_lo, exec_lo, s31
	s_and_saveexec_b32 s31, s30
	s_cbranch_execnz .LBB198_950
	s_branch .LBB198_951
.LBB198_968:
	s_mov_b32 s30, -1
                                        ; implicit-def: $vgpr3
	s_branch .LBB198_973
.LBB198_969:
	s_mov_b32 s30, -1
                                        ; implicit-def: $vgpr3
.LBB198_970:
	s_delay_alu instid0(SALU_CYCLE_1)
	s_and_b32 vcc_lo, exec_lo, s30
	s_cbranch_vccz .LBB198_972
; %bb.971:
	s_wait_loadcnt 0x0
	global_load_u8 v3, v[0:1], off
	s_wait_loadcnt 0x0
	v_lshlrev_b32_e32 v3, 24, v3
	s_delay_alu instid0(VALU_DEP_1) | instskip(NEXT) | instid1(VALU_DEP_1)
	v_and_b32_e32 v4, 0x7f000000, v3
	v_clz_i32_u32_e32 v5, v4
	v_add_nc_u32_e32 v8, 0x1000000, v4
	v_cmp_ne_u32_e32 vcc_lo, 0, v4
	s_delay_alu instid0(VALU_DEP_3) | instskip(NEXT) | instid1(VALU_DEP_1)
	v_min_u32_e32 v5, 32, v5
	v_sub_nc_u32_e64 v5, v5, 4 clamp
	s_delay_alu instid0(VALU_DEP_1) | instskip(NEXT) | instid1(VALU_DEP_1)
	v_dual_lshlrev_b32 v7, v5, v4 :: v_dual_lshlrev_b32 v5, 23, v5
	v_lshrrev_b32_e32 v7, 4, v7
	s_delay_alu instid0(VALU_DEP_1) | instskip(NEXT) | instid1(VALU_DEP_1)
	v_dual_sub_nc_u32 v5, v7, v5 :: v_dual_ashrrev_i32 v7, 8, v8
	v_add_nc_u32_e32 v5, 0x3c000000, v5
	s_delay_alu instid0(VALU_DEP_1) | instskip(NEXT) | instid1(VALU_DEP_1)
	v_and_or_b32 v5, 0x7f800000, v7, v5
	v_cndmask_b32_e32 v4, 0, v5, vcc_lo
	s_delay_alu instid0(VALU_DEP_1) | instskip(SKIP_1) | instid1(VALU_DEP_2)
	v_and_or_b32 v3, 0x80000000, v3, v4
	v_bfe_u32 v4, v4, 16, 1
	v_cmp_o_f32_e32 vcc_lo, v3, v3
	s_delay_alu instid0(VALU_DEP_2) | instskip(NEXT) | instid1(VALU_DEP_1)
	v_add3_u32 v4, v3, v4, 0x7fff
	v_lshrrev_b32_e32 v4, 16, v4
	s_delay_alu instid0(VALU_DEP_1)
	v_cndmask_b32_e32 v3, 0x7fc0, v4, vcc_lo
.LBB198_972:
	s_mov_b32 s30, 0
.LBB198_973:
	s_delay_alu instid0(SALU_CYCLE_1)
	s_and_not1_b32 vcc_lo, exec_lo, s30
	s_cbranch_vccnz .LBB198_975
; %bb.974:
	s_wait_loadcnt 0x0
	global_load_u8 v3, v[0:1], off
	s_wait_loadcnt 0x0
	v_lshlrev_b32_e32 v4, 25, v3
	v_lshlrev_b16 v3, 8, v3
	s_delay_alu instid0(VALU_DEP_1) | instskip(NEXT) | instid1(VALU_DEP_3)
	v_and_or_b32 v7, 0x7f00, v3, 0.5
	v_lshrrev_b32_e32 v5, 4, v4
	v_bfe_i32 v3, v3, 0, 16
	s_delay_alu instid0(VALU_DEP_3) | instskip(NEXT) | instid1(VALU_DEP_3)
	v_add_f32_e32 v7, -0.5, v7
	v_or_b32_e32 v5, 0x70000000, v5
	s_delay_alu instid0(VALU_DEP_1) | instskip(SKIP_1) | instid1(VALU_DEP_2)
	v_mul_f32_e32 v5, 0x7800000, v5
	v_cmp_gt_u32_e32 vcc_lo, 0x8000000, v4
	v_cndmask_b32_e32 v4, v5, v7, vcc_lo
	s_delay_alu instid0(VALU_DEP_1) | instskip(SKIP_1) | instid1(VALU_DEP_2)
	v_and_or_b32 v3, 0x80000000, v3, v4
	v_bfe_u32 v4, v4, 16, 1
	v_cmp_o_f32_e32 vcc_lo, v3, v3
	s_delay_alu instid0(VALU_DEP_2) | instskip(NEXT) | instid1(VALU_DEP_1)
	v_add3_u32 v4, v3, v4, 0x7fff
	v_lshrrev_b32_e32 v4, 16, v4
	s_delay_alu instid0(VALU_DEP_1)
	v_cndmask_b32_e32 v3, 0x7fc0, v4, vcc_lo
.LBB198_975:
	s_mov_b32 s31, 0
	s_mov_b32 s30, -1
.LBB198_976:
	s_and_not1_b32 vcc_lo, exec_lo, s31
	s_cbranch_vccnz .LBB198_989
; %bb.977:
	s_cmp_gt_i32 s2, 14
	s_cbranch_scc0 .LBB198_980
; %bb.978:
	s_cmp_eq_u32 s2, 15
	s_cbranch_scc0 .LBB198_983
; %bb.979:
	s_wait_loadcnt 0x0
	global_load_u16 v3, v[0:1], off
	s_mov_b32 s30, -1
	s_mov_b32 s29, 0
	s_branch .LBB198_984
.LBB198_980:
	s_mov_b32 s31, -1
                                        ; implicit-def: $vgpr3
	s_branch .LBB198_985
.LBB198_981:
	s_or_saveexec_b32 s31, s31
	v_mov_b32_e32 v4, 0x7f800001
	s_xor_b32 exec_lo, exec_lo, s31
	s_cbranch_execz .LBB198_962
.LBB198_982:
	v_cmp_ne_u16_e32 vcc_lo, 0, v3
	v_mov_b32_e32 v4, 0
	s_and_not1_b32 s30, s30, exec_lo
	s_and_b32 s33, vcc_lo, exec_lo
	s_delay_alu instid0(SALU_CYCLE_1)
	s_or_b32 s30, s30, s33
	s_or_b32 exec_lo, exec_lo, s31
	s_and_saveexec_b32 s31, s30
	s_cbranch_execnz .LBB198_963
	s_branch .LBB198_964
.LBB198_983:
	s_mov_b32 s29, -1
                                        ; implicit-def: $vgpr3
.LBB198_984:
	s_mov_b32 s31, 0
.LBB198_985:
	s_delay_alu instid0(SALU_CYCLE_1)
	s_and_b32 vcc_lo, exec_lo, s31
	s_cbranch_vccz .LBB198_989
; %bb.986:
	s_cmp_eq_u32 s2, 11
	s_cbranch_scc0 .LBB198_988
; %bb.987:
	s_wait_loadcnt 0x0
	global_load_u8 v3, v[0:1], off
	s_mov_b32 s29, 0
	s_mov_b32 s30, -1
	s_wait_loadcnt 0x0
	v_cmp_ne_u16_e32 vcc_lo, 0, v3
	v_cndmask_b32_e64 v3, 0, 1.0, vcc_lo
	s_delay_alu instid0(VALU_DEP_1)
	v_lshrrev_b32_e32 v3, 16, v3
	s_branch .LBB198_989
.LBB198_988:
	s_mov_b32 s29, -1
                                        ; implicit-def: $vgpr3
.LBB198_989:
	s_mov_b32 s2, 0
.LBB198_990:
	s_delay_alu instid0(SALU_CYCLE_1)
	s_and_b32 vcc_lo, exec_lo, s2
	s_cbranch_vccz .LBB198_1039
; %bb.991:
	s_and_b32 s1, 0xffff, s1
	s_delay_alu instid0(SALU_CYCLE_1)
	s_cmp_lt_i32 s1, 5
	s_cbranch_scc1 .LBB198_996
; %bb.992:
	s_cmp_lt_i32 s1, 8
	s_cbranch_scc1 .LBB198_997
; %bb.993:
	;; [unrolled: 3-line block ×3, first 2 shown]
	s_cmp_gt_i32 s1, 9
	s_cbranch_scc0 .LBB198_999
; %bb.995:
	global_load_b64 v[4:5], v[0:1], off
	s_mov_b32 s2, 0
	s_wait_loadcnt 0x0
	v_cvt_f32_f64_e32 v3, v[4:5]
	s_delay_alu instid0(VALU_DEP_1) | instskip(SKIP_1) | instid1(VALU_DEP_2)
	v_bfe_u32 v4, v3, 16, 1
	v_cmp_o_f32_e32 vcc_lo, v3, v3
	v_add3_u32 v4, v3, v4, 0x7fff
	s_delay_alu instid0(VALU_DEP_1) | instskip(NEXT) | instid1(VALU_DEP_1)
	v_lshrrev_b32_e32 v4, 16, v4
	v_cndmask_b32_e32 v3, 0x7fc0, v4, vcc_lo
	s_branch .LBB198_1000
.LBB198_996:
	s_mov_b32 s2, -1
                                        ; implicit-def: $vgpr3
	s_branch .LBB198_1018
.LBB198_997:
	s_mov_b32 s2, -1
                                        ; implicit-def: $vgpr3
	s_branch .LBB198_1006
.LBB198_998:
	s_mov_b32 s2, -1
                                        ; implicit-def: $vgpr3
	s_branch .LBB198_1003
.LBB198_999:
	s_mov_b32 s2, -1
                                        ; implicit-def: $vgpr3
.LBB198_1000:
	s_delay_alu instid0(SALU_CYCLE_1)
	s_and_not1_b32 vcc_lo, exec_lo, s2
	s_cbranch_vccnz .LBB198_1002
; %bb.1001:
	s_wait_loadcnt 0x0
	global_load_b32 v3, v[0:1], off
	s_wait_loadcnt 0x0
	v_bfe_u32 v4, v3, 16, 1
	v_cmp_o_f32_e32 vcc_lo, v3, v3
	s_delay_alu instid0(VALU_DEP_2) | instskip(NEXT) | instid1(VALU_DEP_1)
	v_add3_u32 v4, v3, v4, 0x7fff
	v_lshrrev_b32_e32 v4, 16, v4
	s_delay_alu instid0(VALU_DEP_1)
	v_cndmask_b32_e32 v3, 0x7fc0, v4, vcc_lo
.LBB198_1002:
	s_mov_b32 s2, 0
.LBB198_1003:
	s_delay_alu instid0(SALU_CYCLE_1)
	s_and_not1_b32 vcc_lo, exec_lo, s2
	s_cbranch_vccnz .LBB198_1005
; %bb.1004:
	s_wait_loadcnt 0x0
	global_load_b32 v3, v[0:1], off
	s_wait_loadcnt 0x0
	v_cvt_f32_f16_e32 v4, v3
	v_cmp_o_f16_e32 vcc_lo, v3, v3
	s_delay_alu instid0(VALU_DEP_2) | instskip(NEXT) | instid1(VALU_DEP_1)
	v_bfe_u32 v5, v4, 16, 1
	v_add3_u32 v4, v4, v5, 0x7fff
	s_delay_alu instid0(VALU_DEP_1) | instskip(NEXT) | instid1(VALU_DEP_1)
	v_lshrrev_b32_e32 v4, 16, v4
	v_cndmask_b32_e32 v3, 0x7fc0, v4, vcc_lo
.LBB198_1005:
	s_mov_b32 s2, 0
.LBB198_1006:
	s_delay_alu instid0(SALU_CYCLE_1)
	s_and_not1_b32 vcc_lo, exec_lo, s2
	s_cbranch_vccnz .LBB198_1017
; %bb.1007:
	s_cmp_lt_i32 s1, 6
	s_cbranch_scc1 .LBB198_1010
; %bb.1008:
	s_cmp_gt_i32 s1, 6
	s_cbranch_scc0 .LBB198_1011
; %bb.1009:
	global_load_b64 v[4:5], v[0:1], off
	s_mov_b32 s2, 0
	s_wait_loadcnt 0x0
	v_cvt_f32_f64_e32 v3, v[4:5]
	s_delay_alu instid0(VALU_DEP_1) | instskip(SKIP_1) | instid1(VALU_DEP_2)
	v_bfe_u32 v4, v3, 16, 1
	v_cmp_o_f32_e32 vcc_lo, v3, v3
	v_add3_u32 v4, v3, v4, 0x7fff
	s_delay_alu instid0(VALU_DEP_1) | instskip(NEXT) | instid1(VALU_DEP_1)
	v_lshrrev_b32_e32 v4, 16, v4
	v_cndmask_b32_e32 v3, 0x7fc0, v4, vcc_lo
	s_branch .LBB198_1012
.LBB198_1010:
	s_mov_b32 s2, -1
                                        ; implicit-def: $vgpr3
	s_branch .LBB198_1015
.LBB198_1011:
	s_mov_b32 s2, -1
                                        ; implicit-def: $vgpr3
.LBB198_1012:
	s_delay_alu instid0(SALU_CYCLE_1)
	s_and_not1_b32 vcc_lo, exec_lo, s2
	s_cbranch_vccnz .LBB198_1014
; %bb.1013:
	s_wait_loadcnt 0x0
	global_load_b32 v3, v[0:1], off
	s_wait_loadcnt 0x0
	v_bfe_u32 v4, v3, 16, 1
	v_cmp_o_f32_e32 vcc_lo, v3, v3
	s_delay_alu instid0(VALU_DEP_2) | instskip(NEXT) | instid1(VALU_DEP_1)
	v_add3_u32 v4, v3, v4, 0x7fff
	v_lshrrev_b32_e32 v4, 16, v4
	s_delay_alu instid0(VALU_DEP_1)
	v_cndmask_b32_e32 v3, 0x7fc0, v4, vcc_lo
.LBB198_1014:
	s_mov_b32 s2, 0
.LBB198_1015:
	s_delay_alu instid0(SALU_CYCLE_1)
	s_and_not1_b32 vcc_lo, exec_lo, s2
	s_cbranch_vccnz .LBB198_1017
; %bb.1016:
	s_wait_loadcnt 0x0
	global_load_u16 v3, v[0:1], off
	s_wait_loadcnt 0x0
	v_cvt_f32_f16_e32 v4, v3
	v_cmp_o_f16_e32 vcc_lo, v3, v3
	s_delay_alu instid0(VALU_DEP_2) | instskip(NEXT) | instid1(VALU_DEP_1)
	v_bfe_u32 v5, v4, 16, 1
	v_add3_u32 v4, v4, v5, 0x7fff
	s_delay_alu instid0(VALU_DEP_1) | instskip(NEXT) | instid1(VALU_DEP_1)
	v_lshrrev_b32_e32 v4, 16, v4
	v_cndmask_b32_e32 v3, 0x7fc0, v4, vcc_lo
.LBB198_1017:
	s_mov_b32 s2, 0
.LBB198_1018:
	s_delay_alu instid0(SALU_CYCLE_1)
	s_and_not1_b32 vcc_lo, exec_lo, s2
	s_cbranch_vccnz .LBB198_1038
; %bb.1019:
	s_cmp_lt_i32 s1, 2
	s_cbranch_scc1 .LBB198_1023
; %bb.1020:
	s_cmp_lt_i32 s1, 3
	s_cbranch_scc1 .LBB198_1024
; %bb.1021:
	s_cmp_gt_i32 s1, 3
	s_cbranch_scc0 .LBB198_1025
; %bb.1022:
	global_load_b64 v[4:5], v[0:1], off
	s_mov_b32 s2, 0
	s_wait_loadcnt 0x0
	v_xor_b32_e32 v3, v4, v5
	v_cls_i32_e32 v7, v5
	s_delay_alu instid0(VALU_DEP_2) | instskip(NEXT) | instid1(VALU_DEP_1)
	v_ashrrev_i32_e32 v3, 31, v3
	v_add_nc_u32_e32 v3, 32, v3
	s_delay_alu instid0(VALU_DEP_1) | instskip(NEXT) | instid1(VALU_DEP_1)
	v_add_min_u32_e64 v3, v7, -1, v3
	v_lshlrev_b64_e32 v[4:5], v3, v[4:5]
	v_sub_nc_u32_e32 v3, 32, v3
	s_delay_alu instid0(VALU_DEP_2) | instskip(NEXT) | instid1(VALU_DEP_1)
	v_min_u32_e32 v4, 1, v4
	v_or_b32_e32 v4, v5, v4
	s_delay_alu instid0(VALU_DEP_1) | instskip(NEXT) | instid1(VALU_DEP_1)
	v_cvt_f32_i32_e32 v4, v4
	v_ldexp_f32 v3, v4, v3
	s_delay_alu instid0(VALU_DEP_1) | instskip(NEXT) | instid1(VALU_DEP_1)
	v_bfe_u32 v4, v3, 16, 1
	v_add3_u32 v3, v3, v4, 0x7fff
	s_delay_alu instid0(VALU_DEP_1)
	v_lshrrev_b32_e32 v3, 16, v3
	s_branch .LBB198_1026
.LBB198_1023:
	s_mov_b32 s2, -1
                                        ; implicit-def: $vgpr3
	s_branch .LBB198_1032
.LBB198_1024:
	s_mov_b32 s2, -1
                                        ; implicit-def: $vgpr3
	s_branch .LBB198_1029
.LBB198_1025:
	s_mov_b32 s2, -1
                                        ; implicit-def: $vgpr3
.LBB198_1026:
	s_delay_alu instid0(SALU_CYCLE_1)
	s_and_not1_b32 vcc_lo, exec_lo, s2
	s_cbranch_vccnz .LBB198_1028
; %bb.1027:
	s_wait_loadcnt 0x0
	global_load_b32 v3, v[0:1], off
	s_wait_loadcnt 0x0
	v_cvt_f32_i32_e32 v3, v3
	s_delay_alu instid0(VALU_DEP_1) | instskip(NEXT) | instid1(VALU_DEP_1)
	v_bfe_u32 v4, v3, 16, 1
	v_add3_u32 v3, v3, v4, 0x7fff
	s_delay_alu instid0(VALU_DEP_1)
	v_lshrrev_b32_e32 v3, 16, v3
.LBB198_1028:
	s_mov_b32 s2, 0
.LBB198_1029:
	s_delay_alu instid0(SALU_CYCLE_1)
	s_and_not1_b32 vcc_lo, exec_lo, s2
	s_cbranch_vccnz .LBB198_1031
; %bb.1030:
	s_wait_loadcnt 0x0
	global_load_i16 v3, v[0:1], off
	s_wait_loadcnt 0x0
	v_cvt_f32_i32_e32 v3, v3
	s_delay_alu instid0(VALU_DEP_1) | instskip(NEXT) | instid1(VALU_DEP_1)
	v_bfe_u32 v4, v3, 16, 1
	v_add3_u32 v3, v3, v4, 0x7fff
	s_delay_alu instid0(VALU_DEP_1)
	v_lshrrev_b32_e32 v3, 16, v3
.LBB198_1031:
	s_mov_b32 s2, 0
.LBB198_1032:
	s_delay_alu instid0(SALU_CYCLE_1)
	s_and_not1_b32 vcc_lo, exec_lo, s2
	s_cbranch_vccnz .LBB198_1038
; %bb.1033:
	s_cmp_gt_i32 s1, 0
	s_mov_b32 s1, 0
	s_cbranch_scc0 .LBB198_1035
; %bb.1034:
	s_wait_loadcnt 0x0
	global_load_i8 v3, v[0:1], off
	s_wait_loadcnt 0x0
	v_cvt_f32_i32_e32 v3, v3
	s_delay_alu instid0(VALU_DEP_1) | instskip(NEXT) | instid1(VALU_DEP_1)
	v_bfe_u32 v4, v3, 16, 1
	v_add3_u32 v3, v3, v4, 0x7fff
	s_delay_alu instid0(VALU_DEP_1)
	v_lshrrev_b32_e32 v3, 16, v3
	s_branch .LBB198_1036
.LBB198_1035:
	s_mov_b32 s1, -1
                                        ; implicit-def: $vgpr3
.LBB198_1036:
	s_delay_alu instid0(SALU_CYCLE_1)
	s_and_not1_b32 vcc_lo, exec_lo, s1
	s_cbranch_vccnz .LBB198_1038
; %bb.1037:
	global_load_u8 v0, v[0:1], off
	s_wait_loadcnt 0x0
	v_cvt_f32_ubyte0_e32 v0, v0
	s_delay_alu instid0(VALU_DEP_1) | instskip(NEXT) | instid1(VALU_DEP_1)
	v_bfe_u32 v1, v0, 16, 1
	v_add3_u32 v0, v0, v1, 0x7fff
	s_delay_alu instid0(VALU_DEP_1)
	v_lshrrev_b32_e32 v3, 16, v0
.LBB198_1038:
	s_mov_b32 s30, -1
.LBB198_1039:
	s_delay_alu instid0(SALU_CYCLE_1)
	s_and_not1_b32 vcc_lo, exec_lo, s30
	s_cbranch_vccnz .LBB198_1047
; %bb.1040:
	s_wait_loadcnt 0x0
	v_dual_lshlrev_b32 v1, 16, v3 :: v_dual_lshlrev_b32 v2, 16, v2
	v_mul_lo_u32 v0, v6, s8
	s_and_b32 s30, s3, 0xff
	s_delay_alu instid0(SALU_CYCLE_1) | instskip(NEXT) | instid1(VALU_DEP_2)
	s_cmp_lt_i32 s30, 11
	v_cmp_eq_f32_e32 vcc_lo, v2, v1
	v_cndmask_b32_e64 v3, 0, 1, vcc_lo
	v_cmp_neq_f32_e32 vcc_lo, v2, v1
	v_cndmask_b32_e64 v1, 0, 1, vcc_lo
	s_delay_alu instid0(VALU_DEP_1) | instskip(NEXT) | instid1(VALU_DEP_1)
	v_dual_cndmask_b32 v2, v1, v3, s0 :: v_dual_ashrrev_i32 v1, 31, v0
	v_and_b32_e32 v2, 1, v2
	s_delay_alu instid0(VALU_DEP_2) | instskip(NEXT) | instid1(VALU_DEP_2)
	v_add_nc_u64_e32 v[0:1], s[4:5], v[0:1]
	v_cmp_eq_u32_e64 s1, 1, v2
	s_cbranch_scc1 .LBB198_1048
; %bb.1041:
	s_and_b32 s31, 0xffff, s30
	s_delay_alu instid0(SALU_CYCLE_1)
	s_cmp_gt_i32 s31, 25
	s_cbranch_scc0 .LBB198_1049
; %bb.1042:
	s_cmp_gt_i32 s31, 28
	s_cbranch_scc0 .LBB198_1050
; %bb.1043:
	;; [unrolled: 3-line block ×4, first 2 shown]
	s_mov_b32 s34, 0
	s_mov_b32 s2, -1
	s_cmp_eq_u32 s31, 46
	s_mov_b32 s33, 0
	s_cbranch_scc0 .LBB198_1053
; %bb.1046:
	v_cndmask_b32_e64 v2, 0, 1.0, s1
	s_mov_b32 s33, -1
	s_mov_b32 s2, 0
	s_delay_alu instid0(VALU_DEP_1) | instskip(NEXT) | instid1(VALU_DEP_1)
	v_bfe_u32 v3, v2, 16, 1
	v_add3_u32 v2, v2, v3, 0x7fff
	s_delay_alu instid0(VALU_DEP_1)
	v_lshrrev_b32_e32 v2, 16, v2
	global_store_b32 v[0:1], v2, off
	s_branch .LBB198_1053
.LBB198_1047:
	s_mov_b32 s31, 0
	s_mov_b32 s2, s24
	s_branch .LBB198_1164
.LBB198_1048:
	s_mov_b32 s31, -1
	s_mov_b32 s33, 0
	s_mov_b32 s2, s24
	s_branch .LBB198_1122
.LBB198_1049:
	s_mov_b32 s33, 0
	s_mov_b32 s2, s24
	s_branch .LBB198_1080
.LBB198_1050:
	s_mov_b32 s33, 0
	s_mov_b32 s2, s24
	s_branch .LBB198_1063
.LBB198_1051:
	s_mov_b32 s33, 0
	s_mov_b32 s2, s24
	s_branch .LBB198_1059
.LBB198_1052:
	s_mov_b32 s33, 0
	s_mov_b32 s2, s24
.LBB198_1053:
	s_and_b32 vcc_lo, exec_lo, s34
	s_cbranch_vccz .LBB198_1058
; %bb.1054:
	s_cmp_eq_u32 s31, 44
	s_mov_b32 s2, -1
	s_cbranch_scc0 .LBB198_1058
; %bb.1055:
	v_cndmask_b32_e64 v4, 0, 1.0, s1
	s_mov_b32 s33, exec_lo
	s_wait_xcnt 0x0
	s_delay_alu instid0(VALU_DEP_1) | instskip(NEXT) | instid1(VALU_DEP_1)
	v_dual_mov_b32 v3, 0xff :: v_dual_lshrrev_b32 v2, 23, v4
	v_cmpx_ne_u32_e32 0xff, v2
; %bb.1056:
	v_and_b32_e32 v3, 0x400000, v4
	v_and_or_b32 v4, 0x3fffff, v4, v2
	s_delay_alu instid0(VALU_DEP_2) | instskip(NEXT) | instid1(VALU_DEP_2)
	v_cmp_ne_u32_e32 vcc_lo, 0, v3
	v_cmp_ne_u32_e64 s2, 0, v4
	s_and_b32 s2, vcc_lo, s2
	s_delay_alu instid0(SALU_CYCLE_1) | instskip(NEXT) | instid1(VALU_DEP_1)
	v_cndmask_b32_e64 v3, 0, 1, s2
	v_add_nc_u32_e32 v3, v2, v3
; %bb.1057:
	s_or_b32 exec_lo, exec_lo, s33
	s_mov_b32 s33, -1
	s_mov_b32 s2, 0
	global_store_b8 v[0:1], v3, off
.LBB198_1058:
	s_mov_b32 s34, 0
.LBB198_1059:
	s_delay_alu instid0(SALU_CYCLE_1)
	s_and_b32 vcc_lo, exec_lo, s34
	s_cbranch_vccz .LBB198_1062
; %bb.1060:
	s_cmp_eq_u32 s31, 29
	s_mov_b32 s2, -1
	s_cbranch_scc0 .LBB198_1062
; %bb.1061:
	s_mov_b32 s2, 0
	s_wait_xcnt 0x0
	v_cndmask_b32_e64 v2, 0, 1, s1
	v_mov_b32_e32 v3, s2
	s_mov_b32 s33, -1
	s_mov_b32 s34, 0
	global_store_b64 v[0:1], v[2:3], off
	s_branch .LBB198_1063
.LBB198_1062:
	s_mov_b32 s34, 0
.LBB198_1063:
	s_delay_alu instid0(SALU_CYCLE_1)
	s_and_b32 vcc_lo, exec_lo, s34
	s_cbranch_vccz .LBB198_1079
; %bb.1064:
	s_cmp_lt_i32 s31, 27
	s_mov_b32 s33, -1
	s_cbranch_scc1 .LBB198_1070
; %bb.1065:
	s_cmp_gt_i32 s31, 27
	s_cbranch_scc0 .LBB198_1067
; %bb.1066:
	s_wait_xcnt 0x0
	v_cndmask_b32_e64 v2, 0, 1, s1
	s_mov_b32 s33, 0
	global_store_b32 v[0:1], v2, off
.LBB198_1067:
	s_and_not1_b32 vcc_lo, exec_lo, s33
	s_cbranch_vccnz .LBB198_1069
; %bb.1068:
	s_wait_xcnt 0x0
	v_cndmask_b32_e64 v2, 0, 1, s1
	global_store_b16 v[0:1], v2, off
.LBB198_1069:
	s_mov_b32 s33, 0
.LBB198_1070:
	s_delay_alu instid0(SALU_CYCLE_1)
	s_and_not1_b32 vcc_lo, exec_lo, s33
	s_cbranch_vccnz .LBB198_1078
; %bb.1071:
	s_wait_xcnt 0x0
	v_cndmask_b32_e64 v3, 0, 1.0, s1
	v_mov_b32_e32 v4, 0x80
	s_mov_b32 s33, exec_lo
	s_delay_alu instid0(VALU_DEP_2)
	v_cmpx_gt_u32_e32 0x43800000, v3
	s_cbranch_execz .LBB198_1077
; %bb.1072:
	s_mov_b32 s34, 0
	s_mov_b32 s35, exec_lo
                                        ; implicit-def: $vgpr2
	v_cmpx_lt_u32_e32 0x3bffffff, v3
	s_xor_b32 s35, exec_lo, s35
	s_cbranch_execz .LBB198_1180
; %bb.1073:
	v_bfe_u32 v2, v3, 20, 1
	s_mov_b32 s34, exec_lo
	s_delay_alu instid0(VALU_DEP_1) | instskip(NEXT) | instid1(VALU_DEP_1)
	v_add3_u32 v2, v3, v2, 0x487ffff
                                        ; implicit-def: $vgpr3
	v_lshrrev_b32_e32 v2, 20, v2
	s_and_not1_saveexec_b32 s35, s35
	s_cbranch_execnz .LBB198_1181
.LBB198_1074:
	s_or_b32 exec_lo, exec_lo, s35
	v_mov_b32_e32 v4, 0
	s_and_saveexec_b32 s35, s34
.LBB198_1075:
	v_mov_b32_e32 v4, v2
.LBB198_1076:
	s_or_b32 exec_lo, exec_lo, s35
.LBB198_1077:
	s_delay_alu instid0(SALU_CYCLE_1)
	s_or_b32 exec_lo, exec_lo, s33
	global_store_b8 v[0:1], v4, off
.LBB198_1078:
	s_mov_b32 s33, -1
.LBB198_1079:
	s_mov_b32 s34, 0
.LBB198_1080:
	s_delay_alu instid0(SALU_CYCLE_1)
	s_and_b32 vcc_lo, exec_lo, s34
	s_cbranch_vccz .LBB198_1121
; %bb.1081:
	s_cmp_gt_i32 s31, 22
	s_mov_b32 s34, -1
	s_cbranch_scc0 .LBB198_1113
; %bb.1082:
	s_cmp_lt_i32 s31, 24
	s_mov_b32 s33, -1
	s_cbranch_scc1 .LBB198_1102
; %bb.1083:
	s_cmp_gt_i32 s31, 24
	s_cbranch_scc0 .LBB198_1091
; %bb.1084:
	s_wait_xcnt 0x0
	v_cndmask_b32_e64 v3, 0, 1.0, s1
	v_mov_b32_e32 v4, 0x80
	s_mov_b32 s33, exec_lo
	s_delay_alu instid0(VALU_DEP_2)
	v_cmpx_gt_u32_e32 0x47800000, v3
	s_cbranch_execz .LBB198_1090
; %bb.1085:
	s_mov_b32 s34, 0
	s_mov_b32 s35, exec_lo
                                        ; implicit-def: $vgpr2
	v_cmpx_lt_u32_e32 0x37ffffff, v3
	s_xor_b32 s35, exec_lo, s35
	s_cbranch_execz .LBB198_2208
; %bb.1086:
	v_bfe_u32 v2, v3, 21, 1
	s_mov_b32 s34, exec_lo
	s_delay_alu instid0(VALU_DEP_1) | instskip(NEXT) | instid1(VALU_DEP_1)
	v_add3_u32 v2, v3, v2, 0x88fffff
                                        ; implicit-def: $vgpr3
	v_lshrrev_b32_e32 v2, 21, v2
	s_and_not1_saveexec_b32 s35, s35
	s_cbranch_execnz .LBB198_2209
.LBB198_1087:
	s_or_b32 exec_lo, exec_lo, s35
	v_mov_b32_e32 v4, 0
	s_and_saveexec_b32 s35, s34
.LBB198_1088:
	v_mov_b32_e32 v4, v2
.LBB198_1089:
	s_or_b32 exec_lo, exec_lo, s35
.LBB198_1090:
	s_delay_alu instid0(SALU_CYCLE_1)
	s_or_b32 exec_lo, exec_lo, s33
	s_mov_b32 s33, 0
	global_store_b8 v[0:1], v4, off
.LBB198_1091:
	s_and_b32 vcc_lo, exec_lo, s33
	s_cbranch_vccz .LBB198_1101
; %bb.1092:
	s_wait_xcnt 0x0
	v_cndmask_b32_e64 v3, 0, 1.0, s1
	s_mov_b32 s33, exec_lo
                                        ; implicit-def: $vgpr2
	s_delay_alu instid0(VALU_DEP_1)
	v_cmpx_gt_u32_e32 0x43f00000, v3
	s_xor_b32 s33, exec_lo, s33
	s_cbranch_execz .LBB198_1098
; %bb.1093:
	s_mov_b32 s34, exec_lo
                                        ; implicit-def: $vgpr2
	v_cmpx_lt_u32_e32 0x3c7fffff, v3
	s_xor_b32 s34, exec_lo, s34
; %bb.1094:
	v_bfe_u32 v2, v3, 20, 1
	s_delay_alu instid0(VALU_DEP_1) | instskip(NEXT) | instid1(VALU_DEP_1)
	v_add3_u32 v2, v3, v2, 0x407ffff
	v_and_b32_e32 v3, 0xff00000, v2
	v_lshrrev_b32_e32 v2, 20, v2
	s_delay_alu instid0(VALU_DEP_2) | instskip(NEXT) | instid1(VALU_DEP_2)
	v_cmp_ne_u32_e32 vcc_lo, 0x7f00000, v3
                                        ; implicit-def: $vgpr3
	v_cndmask_b32_e32 v2, 0x7e, v2, vcc_lo
; %bb.1095:
	s_and_not1_saveexec_b32 s34, s34
; %bb.1096:
	v_add_f32_e32 v2, 0x46800000, v3
; %bb.1097:
	s_or_b32 exec_lo, exec_lo, s34
                                        ; implicit-def: $vgpr3
.LBB198_1098:
	s_and_not1_saveexec_b32 s33, s33
; %bb.1099:
	v_mov_b32_e32 v2, 0x7f
	v_cmp_lt_u32_e32 vcc_lo, 0x7f800000, v3
	s_delay_alu instid0(VALU_DEP_2)
	v_cndmask_b32_e32 v2, 0x7e, v2, vcc_lo
; %bb.1100:
	s_or_b32 exec_lo, exec_lo, s33
	global_store_b8 v[0:1], v2, off
.LBB198_1101:
	s_mov_b32 s33, 0
.LBB198_1102:
	s_delay_alu instid0(SALU_CYCLE_1)
	s_and_not1_b32 vcc_lo, exec_lo, s33
	s_cbranch_vccnz .LBB198_1112
; %bb.1103:
	s_wait_xcnt 0x0
	v_cndmask_b32_e64 v3, 0, 1.0, s1
	s_mov_b32 s33, exec_lo
                                        ; implicit-def: $vgpr2
	s_delay_alu instid0(VALU_DEP_1)
	v_cmpx_gt_u32_e32 0x47800000, v3
	s_xor_b32 s33, exec_lo, s33
	s_cbranch_execz .LBB198_1109
; %bb.1104:
	s_mov_b32 s34, exec_lo
                                        ; implicit-def: $vgpr2
	v_cmpx_lt_u32_e32 0x387fffff, v3
	s_xor_b32 s34, exec_lo, s34
; %bb.1105:
	v_bfe_u32 v2, v3, 21, 1
	s_delay_alu instid0(VALU_DEP_1) | instskip(NEXT) | instid1(VALU_DEP_1)
	v_add3_u32 v2, v3, v2, 0x80fffff
                                        ; implicit-def: $vgpr3
	v_lshrrev_b32_e32 v2, 21, v2
; %bb.1106:
	s_and_not1_saveexec_b32 s34, s34
; %bb.1107:
	v_add_f32_e32 v2, 0x43000000, v3
; %bb.1108:
	s_or_b32 exec_lo, exec_lo, s34
                                        ; implicit-def: $vgpr3
.LBB198_1109:
	s_and_not1_saveexec_b32 s33, s33
; %bb.1110:
	v_mov_b32_e32 v2, 0x7f
	v_cmp_lt_u32_e32 vcc_lo, 0x7f800000, v3
	s_delay_alu instid0(VALU_DEP_2)
	v_cndmask_b32_e32 v2, 0x7c, v2, vcc_lo
; %bb.1111:
	s_or_b32 exec_lo, exec_lo, s33
	global_store_b8 v[0:1], v2, off
.LBB198_1112:
	s_mov_b32 s34, 0
	s_mov_b32 s33, -1
.LBB198_1113:
	s_and_not1_b32 vcc_lo, exec_lo, s34
	s_cbranch_vccnz .LBB198_1121
; %bb.1114:
	s_cmp_gt_i32 s31, 14
	s_mov_b32 s34, -1
	s_cbranch_scc0 .LBB198_1118
; %bb.1115:
	s_cmp_eq_u32 s31, 15
	s_mov_b32 s2, -1
	s_cbranch_scc0 .LBB198_1117
; %bb.1116:
	s_wait_xcnt 0x0
	v_cndmask_b32_e64 v2, 0, 1.0, s1
	s_mov_b32 s33, -1
	s_mov_b32 s2, 0
	s_delay_alu instid0(VALU_DEP_1) | instskip(NEXT) | instid1(VALU_DEP_1)
	v_bfe_u32 v3, v2, 16, 1
	v_add3_u32 v2, v2, v3, 0x7fff
	global_store_d16_hi_b16 v[0:1], v2, off
.LBB198_1117:
	s_mov_b32 s34, 0
.LBB198_1118:
	s_delay_alu instid0(SALU_CYCLE_1)
	s_and_b32 vcc_lo, exec_lo, s34
	s_cbranch_vccz .LBB198_1121
; %bb.1119:
	s_cmp_eq_u32 s31, 11
	s_mov_b32 s2, -1
	s_cbranch_scc0 .LBB198_1121
; %bb.1120:
	s_wait_xcnt 0x0
	v_cndmask_b32_e64 v2, 0, 1, s1
	s_mov_b32 s33, -1
	s_mov_b32 s2, 0
	global_store_b8 v[0:1], v2, off
.LBB198_1121:
	s_mov_b32 s31, 0
.LBB198_1122:
	s_delay_alu instid0(SALU_CYCLE_1)
	s_and_b32 vcc_lo, exec_lo, s31
	s_cbranch_vccz .LBB198_1161
; %bb.1123:
	s_and_b32 s30, 0xffff, s30
	s_mov_b32 s31, -1
	s_cmp_lt_i32 s30, 5
	s_cbranch_scc1 .LBB198_1144
; %bb.1124:
	s_cmp_lt_i32 s30, 8
	s_cbranch_scc1 .LBB198_1134
; %bb.1125:
	;; [unrolled: 3-line block ×3, first 2 shown]
	s_cmp_gt_i32 s30, 9
	s_cbranch_scc0 .LBB198_1128
; %bb.1127:
	s_wait_xcnt 0x0
	v_cndmask_b32_e64 v2, 0, 1, s1
	v_mov_b32_e32 v4, 0
	s_mov_b32 s31, 0
	s_delay_alu instid0(VALU_DEP_2) | instskip(NEXT) | instid1(VALU_DEP_2)
	v_cvt_f64_u32_e32 v[2:3], v2
	v_mov_b32_e32 v5, v4
	global_store_b128 v[0:1], v[2:5], off
.LBB198_1128:
	s_and_not1_b32 vcc_lo, exec_lo, s31
	s_cbranch_vccnz .LBB198_1130
; %bb.1129:
	s_wait_xcnt 0x0
	v_cndmask_b32_e64 v2, 0, 1.0, s1
	v_mov_b32_e32 v3, 0
	global_store_b64 v[0:1], v[2:3], off
.LBB198_1130:
	s_mov_b32 s31, 0
.LBB198_1131:
	s_delay_alu instid0(SALU_CYCLE_1)
	s_and_not1_b32 vcc_lo, exec_lo, s31
	s_cbranch_vccnz .LBB198_1133
; %bb.1132:
	s_wait_xcnt 0x0
	v_cndmask_b32_e64 v2, 0, 1.0, s1
	s_delay_alu instid0(VALU_DEP_1) | instskip(NEXT) | instid1(VALU_DEP_1)
	v_cvt_f16_f32_e32 v2, v2
	v_and_b32_e32 v2, 0xffff, v2
	global_store_b32 v[0:1], v2, off
.LBB198_1133:
	s_mov_b32 s31, 0
.LBB198_1134:
	s_delay_alu instid0(SALU_CYCLE_1)
	s_and_not1_b32 vcc_lo, exec_lo, s31
	s_cbranch_vccnz .LBB198_1143
; %bb.1135:
	s_cmp_lt_i32 s30, 6
	s_mov_b32 s31, -1
	s_cbranch_scc1 .LBB198_1141
; %bb.1136:
	s_cmp_gt_i32 s30, 6
	s_cbranch_scc0 .LBB198_1138
; %bb.1137:
	s_wait_xcnt 0x0
	v_cndmask_b32_e64 v2, 0, 1, s1
	s_mov_b32 s31, 0
	s_delay_alu instid0(VALU_DEP_1)
	v_cvt_f64_u32_e32 v[2:3], v2
	global_store_b64 v[0:1], v[2:3], off
.LBB198_1138:
	s_and_not1_b32 vcc_lo, exec_lo, s31
	s_cbranch_vccnz .LBB198_1140
; %bb.1139:
	s_wait_xcnt 0x0
	v_cndmask_b32_e64 v2, 0, 1.0, s1
	global_store_b32 v[0:1], v2, off
.LBB198_1140:
	s_mov_b32 s31, 0
.LBB198_1141:
	s_delay_alu instid0(SALU_CYCLE_1)
	s_and_not1_b32 vcc_lo, exec_lo, s31
	s_cbranch_vccnz .LBB198_1143
; %bb.1142:
	s_wait_xcnt 0x0
	v_cndmask_b32_e64 v2, 0, 1.0, s1
	s_delay_alu instid0(VALU_DEP_1)
	v_cvt_f16_f32_e32 v2, v2
	global_store_b16 v[0:1], v2, off
.LBB198_1143:
	s_mov_b32 s31, 0
.LBB198_1144:
	s_delay_alu instid0(SALU_CYCLE_1)
	s_and_not1_b32 vcc_lo, exec_lo, s31
	s_cbranch_vccnz .LBB198_1160
; %bb.1145:
	s_cmp_lt_i32 s30, 2
	s_mov_b32 s31, -1
	s_cbranch_scc1 .LBB198_1155
; %bb.1146:
	s_cmp_lt_i32 s30, 3
	s_cbranch_scc1 .LBB198_1152
; %bb.1147:
	s_cmp_gt_i32 s30, 3
	s_cbranch_scc0 .LBB198_1149
; %bb.1148:
	s_mov_b32 s31, 0
	s_wait_xcnt 0x0
	v_cndmask_b32_e64 v2, 0, 1, s1
	v_mov_b32_e32 v3, s31
	global_store_b64 v[0:1], v[2:3], off
.LBB198_1149:
	s_and_not1_b32 vcc_lo, exec_lo, s31
	s_cbranch_vccnz .LBB198_1151
; %bb.1150:
	s_wait_xcnt 0x0
	v_cndmask_b32_e64 v2, 0, 1, s1
	global_store_b32 v[0:1], v2, off
.LBB198_1151:
	s_mov_b32 s31, 0
.LBB198_1152:
	s_delay_alu instid0(SALU_CYCLE_1)
	s_and_not1_b32 vcc_lo, exec_lo, s31
	s_cbranch_vccnz .LBB198_1154
; %bb.1153:
	s_wait_xcnt 0x0
	v_cndmask_b32_e64 v2, 0, 1, s1
	global_store_b16 v[0:1], v2, off
.LBB198_1154:
	s_mov_b32 s31, 0
.LBB198_1155:
	s_delay_alu instid0(SALU_CYCLE_1)
	s_and_not1_b32 vcc_lo, exec_lo, s31
	s_cbranch_vccnz .LBB198_1160
; %bb.1156:
	s_wait_xcnt 0x0
	v_cndmask_b32_e64 v2, 0, 1, s1
	s_cmp_gt_i32 s30, 0
	s_mov_b32 s1, -1
	s_cbranch_scc0 .LBB198_1158
; %bb.1157:
	s_mov_b32 s1, 0
	global_store_b8 v[0:1], v2, off
.LBB198_1158:
	s_and_not1_b32 vcc_lo, exec_lo, s1
	s_cbranch_vccnz .LBB198_1160
; %bb.1159:
	global_store_b8 v[0:1], v2, off
.LBB198_1160:
	s_mov_b32 s33, -1
.LBB198_1161:
	s_delay_alu instid0(SALU_CYCLE_1)
	s_and_not1_b32 vcc_lo, exec_lo, s33
	s_cbranch_vccnz .LBB198_1163
; %bb.1162:
	v_add_nc_u32_e32 v6, 0x80, v6
	s_mov_b32 s31, -1
	s_branch .LBB198_1165
.LBB198_1163:
	s_mov_b32 s31, 0
.LBB198_1164:
                                        ; implicit-def: $vgpr6
.LBB198_1165:
	s_and_not1_b32 s1, s24, exec_lo
	s_and_b32 s2, s2, exec_lo
	s_and_b32 s33, s28, exec_lo
	s_or_b32 s30, s1, s2
	s_and_not1_b32 s1, s25, exec_lo
	s_and_b32 s2, s29, exec_lo
	s_and_not1_b32 s29, s23, exec_lo
	s_or_b32 s28, s1, s2
	s_or_b32 s1, s29, s33
	s_or_not1_b32 s34, s31, exec_lo
.LBB198_1166:
	s_wait_xcnt 0x0
	s_or_b32 exec_lo, exec_lo, s27
	s_mov_b32 s29, 0
	s_mov_b32 s31, 0
	;; [unrolled: 1-line block ×3, first 2 shown]
                                        ; implicit-def: $sgpr2
                                        ; implicit-def: $vgpr0_vgpr1
                                        ; implicit-def: $vgpr2
	s_and_saveexec_b32 s27, s34
	s_cbranch_execz .LBB198_1249
; %bb.1167:
	v_cmp_gt_i32_e32 vcc_lo, s19, v6
	s_mov_b32 s35, s1
	s_mov_b32 s34, 0
	;; [unrolled: 1-line block ×3, first 2 shown]
                                        ; implicit-def: $sgpr2
                                        ; implicit-def: $vgpr0_vgpr1
                                        ; implicit-def: $vgpr2
	s_and_saveexec_b32 s19, vcc_lo
	s_cbranch_execz .LBB198_1248
; %bb.1168:
	v_mul_lo_u32 v0, v6, s9
	s_and_b32 s2, s16, 0xff
	s_delay_alu instid0(SALU_CYCLE_1) | instskip(NEXT) | instid1(VALU_DEP_1)
	s_cmp_lt_i32 s2, 11
	v_ashrrev_i32_e32 v1, 31, v0
	s_delay_alu instid0(VALU_DEP_1)
	v_add_nc_u64_e32 v[0:1], s[6:7], v[0:1]
	s_cbranch_scc1 .LBB198_1175
; %bb.1169:
	s_and_b32 s29, 0xffff, s2
	s_delay_alu instid0(SALU_CYCLE_1)
	s_cmp_gt_i32 s29, 25
	s_cbranch_scc0 .LBB198_1176
; %bb.1170:
	s_cmp_gt_i32 s29, 28
	s_cbranch_scc0 .LBB198_1177
; %bb.1171:
	;; [unrolled: 3-line block ×4, first 2 shown]
	s_cmp_eq_u32 s29, 46
	s_mov_b32 s35, 0
	s_cbranch_scc0 .LBB198_1182
; %bb.1174:
	s_wait_loadcnt 0x0
	global_load_b32 v2, v[0:1], off
	s_mov_b32 s34, -1
	s_branch .LBB198_1184
.LBB198_1175:
	s_mov_b32 s29, -1
	s_mov_b32 s31, s1
                                        ; implicit-def: $vgpr2
	s_branch .LBB198_1247
.LBB198_1176:
	s_mov_b32 s35, -1
	s_mov_b32 s31, s1
                                        ; implicit-def: $vgpr2
	s_branch .LBB198_1213
.LBB198_1177:
	s_mov_b32 s35, -1
	s_mov_b32 s31, s1
                                        ; implicit-def: $vgpr2
	s_branch .LBB198_1194
.LBB198_1178:
	s_mov_b32 s35, -1
	s_mov_b32 s31, s1
                                        ; implicit-def: $vgpr2
	s_branch .LBB198_1189
.LBB198_1179:
	s_mov_b32 s35, -1
	s_mov_b32 s31, s1
	s_branch .LBB198_1183
.LBB198_1180:
	s_and_not1_saveexec_b32 s35, s35
	s_cbranch_execz .LBB198_1074
.LBB198_1181:
	v_add_f32_e32 v2, 0x46000000, v3
	s_and_not1_b32 s34, s34, exec_lo
	s_delay_alu instid0(VALU_DEP_1) | instskip(NEXT) | instid1(VALU_DEP_1)
	v_and_b32_e32 v2, 0xff, v2
	v_cmp_ne_u32_e32 vcc_lo, 0, v2
	s_and_b32 s36, vcc_lo, exec_lo
	s_delay_alu instid0(SALU_CYCLE_1)
	s_or_b32 s34, s34, s36
	s_or_b32 exec_lo, exec_lo, s35
	v_mov_b32_e32 v4, 0
	s_and_saveexec_b32 s35, s34
	s_cbranch_execnz .LBB198_1075
	s_branch .LBB198_1076
.LBB198_1182:
	s_mov_b32 s31, -1
.LBB198_1183:
                                        ; implicit-def: $vgpr2
.LBB198_1184:
	s_and_b32 vcc_lo, exec_lo, s35
	s_cbranch_vccz .LBB198_1188
; %bb.1185:
	s_cmp_eq_u32 s29, 44
	s_cbranch_scc0 .LBB198_1187
; %bb.1186:
	s_wait_loadcnt 0x0
	global_load_u8 v2, v[0:1], off
	s_mov_b32 s31, 0
	s_mov_b32 s34, -1
	s_wait_loadcnt 0x0
	v_lshlrev_b32_e32 v3, 23, v2
	v_cmp_ne_u32_e32 vcc_lo, 0xff, v2
	s_delay_alu instid0(VALU_DEP_2) | instskip(SKIP_1) | instid1(VALU_DEP_2)
	v_cndmask_b32_e32 v3, 0x7f800001, v3, vcc_lo
	v_cmp_ne_u32_e32 vcc_lo, 0, v2
	v_cndmask_b32_e32 v2, 0x400000, v3, vcc_lo
	s_delay_alu instid0(VALU_DEP_1) | instskip(NEXT) | instid1(VALU_DEP_1)
	v_add_nc_u32_e32 v3, 0x7fff, v2
	v_lshrrev_b32_e32 v3, 16, v3
	v_cmp_o_f32_e32 vcc_lo, v2, v2
	s_delay_alu instid0(VALU_DEP_2)
	v_cndmask_b32_e32 v2, 0x7fc0, v3, vcc_lo
	s_branch .LBB198_1188
.LBB198_1187:
	s_mov_b32 s31, -1
                                        ; implicit-def: $vgpr2
.LBB198_1188:
	s_mov_b32 s35, 0
.LBB198_1189:
	s_delay_alu instid0(SALU_CYCLE_1)
	s_and_b32 vcc_lo, exec_lo, s35
	s_cbranch_vccz .LBB198_1193
; %bb.1190:
	s_cmp_eq_u32 s29, 29
	s_cbranch_scc0 .LBB198_1192
; %bb.1191:
	s_wait_loadcnt 0x0
	global_load_b64 v[2:3], v[0:1], off
	s_mov_b32 s31, 0
	s_mov_b32 s34, -1
	s_mov_b32 s35, 0
	s_wait_loadcnt 0x0
	v_clz_i32_u32_e32 v4, v3
	s_delay_alu instid0(VALU_DEP_1) | instskip(NEXT) | instid1(VALU_DEP_1)
	v_min_u32_e32 v4, 32, v4
	v_lshlrev_b64_e32 v[2:3], v4, v[2:3]
	s_delay_alu instid0(VALU_DEP_1) | instskip(NEXT) | instid1(VALU_DEP_1)
	v_min_u32_e32 v2, 1, v2
	v_dual_sub_nc_u32 v3, 32, v4 :: v_dual_bitop2_b32 v2, v3, v2 bitop3:0x54
	s_delay_alu instid0(VALU_DEP_1) | instskip(NEXT) | instid1(VALU_DEP_1)
	v_cvt_f32_u32_e32 v2, v2
	v_ldexp_f32 v2, v2, v3
	s_delay_alu instid0(VALU_DEP_1) | instskip(NEXT) | instid1(VALU_DEP_1)
	v_bfe_u32 v3, v2, 16, 1
	v_add3_u32 v2, v2, v3, 0x7fff
	s_delay_alu instid0(VALU_DEP_1)
	v_lshrrev_b32_e32 v2, 16, v2
	s_branch .LBB198_1194
.LBB198_1192:
	s_mov_b32 s31, -1
                                        ; implicit-def: $vgpr2
.LBB198_1193:
	s_mov_b32 s35, 0
.LBB198_1194:
	s_delay_alu instid0(SALU_CYCLE_1)
	s_and_b32 vcc_lo, exec_lo, s35
	s_cbranch_vccz .LBB198_1212
; %bb.1195:
	s_cmp_lt_i32 s29, 27
	s_cbranch_scc1 .LBB198_1198
; %bb.1196:
	s_cmp_gt_i32 s29, 27
	s_cbranch_scc0 .LBB198_1199
; %bb.1197:
	s_wait_loadcnt 0x0
	global_load_b32 v2, v[0:1], off
	s_mov_b32 s34, 0
	s_wait_loadcnt 0x0
	v_cvt_f32_u32_e32 v2, v2
	s_delay_alu instid0(VALU_DEP_1) | instskip(NEXT) | instid1(VALU_DEP_1)
	v_bfe_u32 v3, v2, 16, 1
	v_add3_u32 v2, v2, v3, 0x7fff
	s_delay_alu instid0(VALU_DEP_1)
	v_lshrrev_b32_e32 v2, 16, v2
	s_branch .LBB198_1200
.LBB198_1198:
	s_mov_b32 s34, -1
                                        ; implicit-def: $vgpr2
	s_branch .LBB198_1203
.LBB198_1199:
	s_mov_b32 s34, -1
                                        ; implicit-def: $vgpr2
.LBB198_1200:
	s_delay_alu instid0(SALU_CYCLE_1)
	s_and_not1_b32 vcc_lo, exec_lo, s34
	s_cbranch_vccnz .LBB198_1202
; %bb.1201:
	s_wait_loadcnt 0x0
	global_load_u16 v2, v[0:1], off
	s_wait_loadcnt 0x0
	v_cvt_f32_u32_e32 v2, v2
	s_delay_alu instid0(VALU_DEP_1) | instskip(NEXT) | instid1(VALU_DEP_1)
	v_bfe_u32 v3, v2, 16, 1
	v_add3_u32 v2, v2, v3, 0x7fff
	s_delay_alu instid0(VALU_DEP_1)
	v_lshrrev_b32_e32 v2, 16, v2
.LBB198_1202:
	s_mov_b32 s34, 0
.LBB198_1203:
	s_delay_alu instid0(SALU_CYCLE_1)
	s_and_not1_b32 vcc_lo, exec_lo, s34
	s_cbranch_vccnz .LBB198_1211
; %bb.1204:
	s_wait_loadcnt 0x0
	global_load_u8 v2, v[0:1], off
	s_mov_b32 s34, 0
	s_mov_b32 s35, exec_lo
	s_wait_loadcnt 0x0
	v_cmpx_lt_i16_e32 0x7f, v2
	s_xor_b32 s35, exec_lo, s35
	s_cbranch_execz .LBB198_1225
; %bb.1205:
	s_mov_b32 s34, -1
	s_mov_b32 s36, exec_lo
	v_cmpx_eq_u16_e32 0x80, v2
; %bb.1206:
	s_xor_b32 s34, exec_lo, -1
; %bb.1207:
	s_or_b32 exec_lo, exec_lo, s36
	s_delay_alu instid0(SALU_CYCLE_1)
	s_and_b32 s34, s34, exec_lo
	s_or_saveexec_b32 s35, s35
	v_mov_b32_e32 v3, 0x7f800001
	s_xor_b32 exec_lo, exec_lo, s35
	s_cbranch_execnz .LBB198_1226
.LBB198_1208:
	s_or_b32 exec_lo, exec_lo, s35
	s_and_saveexec_b32 s35, s34
	s_cbranch_execz .LBB198_1210
.LBB198_1209:
	v_and_b32_e32 v3, 0xffff, v2
	s_delay_alu instid0(VALU_DEP_1) | instskip(SKIP_1) | instid1(VALU_DEP_2)
	v_and_b32_e32 v4, 7, v3
	v_bfe_u32 v8, v3, 3, 4
	v_clz_i32_u32_e32 v5, v4
	s_delay_alu instid0(VALU_DEP_2) | instskip(NEXT) | instid1(VALU_DEP_2)
	v_cmp_eq_u32_e32 vcc_lo, 0, v8
	v_min_u32_e32 v5, 32, v5
	s_delay_alu instid0(VALU_DEP_1) | instskip(NEXT) | instid1(VALU_DEP_1)
	v_subrev_nc_u32_e32 v7, 28, v5
	v_dual_lshlrev_b32 v3, v7, v3 :: v_dual_sub_nc_u32 v5, 29, v5
	s_delay_alu instid0(VALU_DEP_1) | instskip(NEXT) | instid1(VALU_DEP_2)
	v_dual_lshlrev_b32 v2, 24, v2 :: v_dual_bitop2_b32 v3, 7, v3 bitop3:0x40
	v_cndmask_b32_e32 v5, v8, v5, vcc_lo
	s_delay_alu instid0(VALU_DEP_2) | instskip(NEXT) | instid1(VALU_DEP_3)
	v_cndmask_b32_e32 v3, v4, v3, vcc_lo
	v_and_b32_e32 v2, 0x80000000, v2
	s_delay_alu instid0(VALU_DEP_3) | instskip(NEXT) | instid1(VALU_DEP_3)
	v_lshl_add_u32 v4, v5, 23, 0x3b800000
	v_lshlrev_b32_e32 v3, 20, v3
	s_delay_alu instid0(VALU_DEP_1)
	v_or3_b32 v3, v2, v4, v3
.LBB198_1210:
	s_or_b32 exec_lo, exec_lo, s35
	s_delay_alu instid0(VALU_DEP_1) | instskip(SKIP_1) | instid1(VALU_DEP_2)
	v_bfe_u32 v2, v3, 16, 1
	v_cmp_o_f32_e32 vcc_lo, v3, v3
	v_add3_u32 v2, v3, v2, 0x7fff
	s_delay_alu instid0(VALU_DEP_1) | instskip(NEXT) | instid1(VALU_DEP_1)
	v_lshrrev_b32_e32 v2, 16, v2
	v_cndmask_b32_e32 v2, 0x7fc0, v2, vcc_lo
.LBB198_1211:
	s_mov_b32 s34, -1
.LBB198_1212:
	s_mov_b32 s35, 0
.LBB198_1213:
	s_delay_alu instid0(SALU_CYCLE_1)
	s_and_b32 vcc_lo, exec_lo, s35
	s_cbranch_vccz .LBB198_1246
; %bb.1214:
	s_cmp_gt_i32 s29, 22
	s_cbranch_scc0 .LBB198_1224
; %bb.1215:
	s_cmp_lt_i32 s29, 24
	s_cbranch_scc1 .LBB198_1227
; %bb.1216:
	s_cmp_gt_i32 s29, 24
	s_cbranch_scc0 .LBB198_1228
; %bb.1217:
	s_wait_loadcnt 0x0
	global_load_u8 v2, v[0:1], off
	s_mov_b32 s34, exec_lo
	s_wait_loadcnt 0x0
	v_cmpx_lt_i16_e32 0x7f, v2
	s_xor_b32 s34, exec_lo, s34
	s_cbranch_execz .LBB198_1240
; %bb.1218:
	s_mov_b32 s33, -1
	s_mov_b32 s35, exec_lo
	v_cmpx_eq_u16_e32 0x80, v2
; %bb.1219:
	s_xor_b32 s33, exec_lo, -1
; %bb.1220:
	s_or_b32 exec_lo, exec_lo, s35
	s_delay_alu instid0(SALU_CYCLE_1)
	s_and_b32 s33, s33, exec_lo
	s_or_saveexec_b32 s34, s34
	v_mov_b32_e32 v3, 0x7f800001
	s_xor_b32 exec_lo, exec_lo, s34
	s_cbranch_execnz .LBB198_1241
.LBB198_1221:
	s_or_b32 exec_lo, exec_lo, s34
	s_and_saveexec_b32 s34, s33
	s_cbranch_execz .LBB198_1223
.LBB198_1222:
	v_and_b32_e32 v3, 0xffff, v2
	s_delay_alu instid0(VALU_DEP_1) | instskip(SKIP_1) | instid1(VALU_DEP_2)
	v_and_b32_e32 v4, 3, v3
	v_bfe_u32 v8, v3, 2, 5
	v_clz_i32_u32_e32 v5, v4
	s_delay_alu instid0(VALU_DEP_2) | instskip(NEXT) | instid1(VALU_DEP_2)
	v_cmp_eq_u32_e32 vcc_lo, 0, v8
	v_min_u32_e32 v5, 32, v5
	s_delay_alu instid0(VALU_DEP_1) | instskip(NEXT) | instid1(VALU_DEP_1)
	v_subrev_nc_u32_e32 v7, 29, v5
	v_dual_lshlrev_b32 v3, v7, v3 :: v_dual_sub_nc_u32 v5, 30, v5
	s_delay_alu instid0(VALU_DEP_1) | instskip(NEXT) | instid1(VALU_DEP_2)
	v_dual_lshlrev_b32 v2, 24, v2 :: v_dual_bitop2_b32 v3, 3, v3 bitop3:0x40
	v_cndmask_b32_e32 v5, v8, v5, vcc_lo
	s_delay_alu instid0(VALU_DEP_2) | instskip(NEXT) | instid1(VALU_DEP_3)
	v_cndmask_b32_e32 v3, v4, v3, vcc_lo
	v_and_b32_e32 v2, 0x80000000, v2
	s_delay_alu instid0(VALU_DEP_3) | instskip(NEXT) | instid1(VALU_DEP_3)
	v_lshl_add_u32 v4, v5, 23, 0x37800000
	v_lshlrev_b32_e32 v3, 21, v3
	s_delay_alu instid0(VALU_DEP_1)
	v_or3_b32 v3, v2, v4, v3
.LBB198_1223:
	s_or_b32 exec_lo, exec_lo, s34
	s_delay_alu instid0(VALU_DEP_1) | instskip(SKIP_2) | instid1(VALU_DEP_2)
	v_bfe_u32 v2, v3, 16, 1
	v_cmp_o_f32_e32 vcc_lo, v3, v3
	s_mov_b32 s33, 0
	v_add3_u32 v2, v3, v2, 0x7fff
	s_delay_alu instid0(VALU_DEP_1) | instskip(NEXT) | instid1(VALU_DEP_1)
	v_lshrrev_b32_e32 v2, 16, v2
	v_cndmask_b32_e32 v2, 0x7fc0, v2, vcc_lo
	s_branch .LBB198_1229
.LBB198_1224:
	s_mov_b32 s33, -1
                                        ; implicit-def: $vgpr2
	s_branch .LBB198_1235
.LBB198_1225:
	s_or_saveexec_b32 s35, s35
	v_mov_b32_e32 v3, 0x7f800001
	s_xor_b32 exec_lo, exec_lo, s35
	s_cbranch_execz .LBB198_1208
.LBB198_1226:
	v_cmp_ne_u16_e32 vcc_lo, 0, v2
	v_mov_b32_e32 v3, 0
	s_and_not1_b32 s34, s34, exec_lo
	s_and_b32 s36, vcc_lo, exec_lo
	s_delay_alu instid0(SALU_CYCLE_1)
	s_or_b32 s34, s34, s36
	s_or_b32 exec_lo, exec_lo, s35
	s_and_saveexec_b32 s35, s34
	s_cbranch_execnz .LBB198_1209
	s_branch .LBB198_1210
.LBB198_1227:
	s_mov_b32 s33, -1
                                        ; implicit-def: $vgpr2
	s_branch .LBB198_1232
.LBB198_1228:
	s_mov_b32 s33, -1
                                        ; implicit-def: $vgpr2
.LBB198_1229:
	s_delay_alu instid0(SALU_CYCLE_1)
	s_and_b32 vcc_lo, exec_lo, s33
	s_cbranch_vccz .LBB198_1231
; %bb.1230:
	s_wait_loadcnt 0x0
	global_load_u8 v2, v[0:1], off
	s_wait_loadcnt 0x0
	v_lshlrev_b32_e32 v2, 24, v2
	s_delay_alu instid0(VALU_DEP_1) | instskip(NEXT) | instid1(VALU_DEP_1)
	v_and_b32_e32 v3, 0x7f000000, v2
	v_clz_i32_u32_e32 v4, v3
	v_add_nc_u32_e32 v7, 0x1000000, v3
	v_cmp_ne_u32_e32 vcc_lo, 0, v3
	s_delay_alu instid0(VALU_DEP_3) | instskip(NEXT) | instid1(VALU_DEP_1)
	v_min_u32_e32 v4, 32, v4
	v_sub_nc_u32_e64 v4, v4, 4 clamp
	s_delay_alu instid0(VALU_DEP_1) | instskip(NEXT) | instid1(VALU_DEP_1)
	v_dual_lshlrev_b32 v5, v4, v3 :: v_dual_lshlrev_b32 v4, 23, v4
	v_lshrrev_b32_e32 v5, 4, v5
	s_delay_alu instid0(VALU_DEP_1) | instskip(NEXT) | instid1(VALU_DEP_1)
	v_dual_sub_nc_u32 v4, v5, v4 :: v_dual_ashrrev_i32 v5, 8, v7
	v_add_nc_u32_e32 v4, 0x3c000000, v4
	s_delay_alu instid0(VALU_DEP_1) | instskip(NEXT) | instid1(VALU_DEP_1)
	v_and_or_b32 v4, 0x7f800000, v5, v4
	v_cndmask_b32_e32 v3, 0, v4, vcc_lo
	s_delay_alu instid0(VALU_DEP_1) | instskip(SKIP_1) | instid1(VALU_DEP_2)
	v_and_or_b32 v2, 0x80000000, v2, v3
	v_bfe_u32 v3, v3, 16, 1
	v_cmp_o_f32_e32 vcc_lo, v2, v2
	s_delay_alu instid0(VALU_DEP_2) | instskip(NEXT) | instid1(VALU_DEP_1)
	v_add3_u32 v3, v2, v3, 0x7fff
	v_lshrrev_b32_e32 v3, 16, v3
	s_delay_alu instid0(VALU_DEP_1)
	v_cndmask_b32_e32 v2, 0x7fc0, v3, vcc_lo
.LBB198_1231:
	s_mov_b32 s33, 0
.LBB198_1232:
	s_delay_alu instid0(SALU_CYCLE_1)
	s_and_not1_b32 vcc_lo, exec_lo, s33
	s_cbranch_vccnz .LBB198_1234
; %bb.1233:
	s_wait_loadcnt 0x0
	global_load_u8 v2, v[0:1], off
	s_wait_loadcnt 0x0
	v_lshlrev_b32_e32 v3, 25, v2
	v_lshlrev_b16 v2, 8, v2
	s_delay_alu instid0(VALU_DEP_1) | instskip(SKIP_1) | instid1(VALU_DEP_2)
	v_and_or_b32 v5, 0x7f00, v2, 0.5
	v_bfe_i32 v2, v2, 0, 16
	v_dual_add_f32 v5, -0.5, v5 :: v_dual_lshrrev_b32 v4, 4, v3
	v_cmp_gt_u32_e32 vcc_lo, 0x8000000, v3
	s_delay_alu instid0(VALU_DEP_2) | instskip(NEXT) | instid1(VALU_DEP_1)
	v_or_b32_e32 v4, 0x70000000, v4
	v_mul_f32_e32 v4, 0x7800000, v4
	s_delay_alu instid0(VALU_DEP_1) | instskip(NEXT) | instid1(VALU_DEP_1)
	v_cndmask_b32_e32 v3, v4, v5, vcc_lo
	v_and_or_b32 v2, 0x80000000, v2, v3
	v_bfe_u32 v3, v3, 16, 1
	s_delay_alu instid0(VALU_DEP_2) | instskip(NEXT) | instid1(VALU_DEP_2)
	v_cmp_o_f32_e32 vcc_lo, v2, v2
	v_add3_u32 v3, v2, v3, 0x7fff
	s_delay_alu instid0(VALU_DEP_1) | instskip(NEXT) | instid1(VALU_DEP_1)
	v_lshrrev_b32_e32 v3, 16, v3
	v_cndmask_b32_e32 v2, 0x7fc0, v3, vcc_lo
.LBB198_1234:
	s_mov_b32 s33, 0
	s_mov_b32 s34, -1
.LBB198_1235:
	s_and_not1_b32 vcc_lo, exec_lo, s33
	s_mov_b32 s33, 0
	s_cbranch_vccnz .LBB198_1246
; %bb.1236:
	s_cmp_gt_i32 s29, 14
	s_cbranch_scc0 .LBB198_1239
; %bb.1237:
	s_cmp_eq_u32 s29, 15
	s_cbranch_scc0 .LBB198_1242
; %bb.1238:
	s_wait_loadcnt 0x0
	global_load_u16 v2, v[0:1], off
	s_mov_b32 s31, 0
	s_mov_b32 s34, -1
	s_branch .LBB198_1244
.LBB198_1239:
	s_mov_b32 s33, -1
	s_branch .LBB198_1243
.LBB198_1240:
	s_or_saveexec_b32 s34, s34
	v_mov_b32_e32 v3, 0x7f800001
	s_xor_b32 exec_lo, exec_lo, s34
	s_cbranch_execz .LBB198_1221
.LBB198_1241:
	v_cmp_ne_u16_e32 vcc_lo, 0, v2
	v_mov_b32_e32 v3, 0
	s_and_not1_b32 s33, s33, exec_lo
	s_and_b32 s35, vcc_lo, exec_lo
	s_delay_alu instid0(SALU_CYCLE_1)
	s_or_b32 s33, s33, s35
	s_or_b32 exec_lo, exec_lo, s34
	s_and_saveexec_b32 s34, s33
	s_cbranch_execnz .LBB198_1222
	s_branch .LBB198_1223
.LBB198_1242:
	s_mov_b32 s31, -1
.LBB198_1243:
                                        ; implicit-def: $vgpr2
.LBB198_1244:
	s_and_b32 vcc_lo, exec_lo, s33
	s_mov_b32 s33, 0
	s_cbranch_vccz .LBB198_1246
; %bb.1245:
	s_cmp_lg_u32 s29, 11
	s_mov_b32 s33, -1
	s_cselect_b32 s29, -1, 0
	s_and_not1_b32 s31, s31, exec_lo
	s_and_b32 s29, s29, exec_lo
	s_delay_alu instid0(SALU_CYCLE_1)
	s_or_b32 s31, s31, s29
.LBB198_1246:
	s_mov_b32 s29, 0
.LBB198_1247:
	s_and_not1_b32 s35, s1, exec_lo
	s_and_b32 s31, s31, exec_lo
	s_and_b32 s36, s34, exec_lo
	;; [unrolled: 1-line block ×4, first 2 shown]
	s_or_b32 s35, s35, s31
.LBB198_1248:
	s_wait_xcnt 0x0
	s_or_b32 exec_lo, exec_lo, s19
	s_delay_alu instid0(SALU_CYCLE_1)
	s_and_not1_b32 s1, s1, exec_lo
	s_and_b32 s19, s35, exec_lo
	s_and_b32 s33, s36, exec_lo
	;; [unrolled: 1-line block ×4, first 2 shown]
	s_or_b32 s1, s1, s19
.LBB198_1249:
	s_or_b32 exec_lo, exec_lo, s27
	s_delay_alu instid0(SALU_CYCLE_1)
	s_and_not1_b32 s19, s24, exec_lo
	s_and_b32 s24, s30, exec_lo
	s_and_not1_b32 s25, s25, exec_lo
	s_and_b32 s27, s28, exec_lo
	s_or_b32 s24, s19, s24
	s_and_not1_b32 s19, s23, exec_lo
	s_and_b32 s23, s1, exec_lo
	s_or_b32 s25, s25, s27
	s_and_b32 s28, s33, exec_lo
	s_and_b32 s27, s31, exec_lo
	s_and_b32 s1, s29, exec_lo
	s_or_b32 s23, s19, s23
.LBB198_1250:
	s_or_b32 exec_lo, exec_lo, s26
	s_delay_alu instid0(SALU_CYCLE_1)
	s_and_not1_b32 s18, s18, exec_lo
	s_and_b32 s19, s24, exec_lo
	s_and_not1_b32 s20, s20, exec_lo
	s_and_b32 s24, s25, exec_lo
	s_or_b32 s18, s18, s19
	s_and_not1_b32 s19, s21, exec_lo
	s_and_b32 s21, s23, exec_lo
	s_or_b32 s20, s20, s24
	s_and_b32 s24, s28, exec_lo
	s_and_b32 s25, s27, exec_lo
	s_and_b32 s23, s1, exec_lo
	s_or_b32 s21, s19, s21
	s_or_b32 exec_lo, exec_lo, s22
	s_mov_b32 s1, 0
	s_and_saveexec_b32 s19, s21
	s_cbranch_execz .LBB198_392
.LBB198_1251:
	s_mov_b32 s1, exec_lo
	s_and_not1_b32 s23, s23, exec_lo
	s_trap 2
	s_or_b32 exec_lo, exec_lo, s19
	s_and_saveexec_b32 s19, s23
	s_delay_alu instid0(SALU_CYCLE_1)
	s_xor_b32 s19, exec_lo, s19
	s_cbranch_execnz .LBB198_393
.LBB198_1252:
	s_or_b32 exec_lo, exec_lo, s19
	s_and_saveexec_b32 s19, s25
	s_cbranch_execz .LBB198_1298
.LBB198_1253:
	s_sext_i32_i16 s21, s2
	s_delay_alu instid0(SALU_CYCLE_1)
	s_cmp_lt_i32 s21, 5
	s_cbranch_scc1 .LBB198_1258
; %bb.1254:
	s_cmp_lt_i32 s21, 8
	s_cbranch_scc1 .LBB198_1259
; %bb.1255:
	s_cmp_lt_i32 s21, 9
	s_cbranch_scc1 .LBB198_1260
; %bb.1256:
	s_cmp_gt_i32 s21, 9
	s_cbranch_scc0 .LBB198_1261
; %bb.1257:
	s_wait_loadcnt 0x0
	global_load_b64 v[2:3], v[0:1], off
	s_mov_b32 s21, 0
	s_wait_loadcnt 0x0
	v_cvt_f32_f64_e32 v2, v[2:3]
	s_delay_alu instid0(VALU_DEP_1) | instskip(SKIP_1) | instid1(VALU_DEP_2)
	v_bfe_u32 v3, v2, 16, 1
	v_cmp_o_f32_e32 vcc_lo, v2, v2
	v_add3_u32 v3, v2, v3, 0x7fff
	s_delay_alu instid0(VALU_DEP_1) | instskip(NEXT) | instid1(VALU_DEP_1)
	v_lshrrev_b32_e32 v3, 16, v3
	v_cndmask_b32_e32 v2, 0x7fc0, v3, vcc_lo
	s_branch .LBB198_1262
.LBB198_1258:
                                        ; implicit-def: $vgpr2
	s_branch .LBB198_1279
.LBB198_1259:
                                        ; implicit-def: $vgpr2
	s_branch .LBB198_1268
.LBB198_1260:
	s_mov_b32 s21, -1
                                        ; implicit-def: $vgpr2
	s_branch .LBB198_1265
.LBB198_1261:
	s_mov_b32 s21, -1
                                        ; implicit-def: $vgpr2
.LBB198_1262:
	s_delay_alu instid0(SALU_CYCLE_1)
	s_and_not1_b32 vcc_lo, exec_lo, s21
	s_cbranch_vccnz .LBB198_1264
; %bb.1263:
	s_wait_loadcnt 0x0
	global_load_b32 v2, v[0:1], off
	s_wait_loadcnt 0x0
	v_bfe_u32 v3, v2, 16, 1
	v_cmp_o_f32_e32 vcc_lo, v2, v2
	s_delay_alu instid0(VALU_DEP_2) | instskip(NEXT) | instid1(VALU_DEP_1)
	v_add3_u32 v3, v2, v3, 0x7fff
	v_lshrrev_b32_e32 v3, 16, v3
	s_delay_alu instid0(VALU_DEP_1)
	v_cndmask_b32_e32 v2, 0x7fc0, v3, vcc_lo
.LBB198_1264:
	s_mov_b32 s21, 0
.LBB198_1265:
	s_delay_alu instid0(SALU_CYCLE_1)
	s_and_not1_b32 vcc_lo, exec_lo, s21
	s_cbranch_vccnz .LBB198_1267
; %bb.1266:
	s_wait_loadcnt 0x0
	global_load_b32 v2, v[0:1], off
	s_wait_loadcnt 0x0
	v_cvt_f32_f16_e32 v3, v2
	v_cmp_o_f16_e32 vcc_lo, v2, v2
	s_delay_alu instid0(VALU_DEP_2) | instskip(NEXT) | instid1(VALU_DEP_1)
	v_bfe_u32 v4, v3, 16, 1
	v_add3_u32 v3, v3, v4, 0x7fff
	s_delay_alu instid0(VALU_DEP_1) | instskip(NEXT) | instid1(VALU_DEP_1)
	v_lshrrev_b32_e32 v3, 16, v3
	v_cndmask_b32_e32 v2, 0x7fc0, v3, vcc_lo
.LBB198_1267:
	s_cbranch_execnz .LBB198_1278
.LBB198_1268:
	s_sext_i32_i16 s21, s2
	s_delay_alu instid0(SALU_CYCLE_1)
	s_cmp_lt_i32 s21, 6
	s_cbranch_scc1 .LBB198_1271
; %bb.1269:
	s_cmp_gt_i32 s21, 6
	s_cbranch_scc0 .LBB198_1272
; %bb.1270:
	s_wait_loadcnt 0x0
	global_load_b64 v[2:3], v[0:1], off
	s_mov_b32 s21, 0
	s_wait_loadcnt 0x0
	v_cvt_f32_f64_e32 v2, v[2:3]
	s_delay_alu instid0(VALU_DEP_1) | instskip(SKIP_1) | instid1(VALU_DEP_2)
	v_bfe_u32 v3, v2, 16, 1
	v_cmp_o_f32_e32 vcc_lo, v2, v2
	v_add3_u32 v3, v2, v3, 0x7fff
	s_delay_alu instid0(VALU_DEP_1) | instskip(NEXT) | instid1(VALU_DEP_1)
	v_lshrrev_b32_e32 v3, 16, v3
	v_cndmask_b32_e32 v2, 0x7fc0, v3, vcc_lo
	s_branch .LBB198_1273
.LBB198_1271:
	s_mov_b32 s21, -1
                                        ; implicit-def: $vgpr2
	s_branch .LBB198_1276
.LBB198_1272:
	s_mov_b32 s21, -1
                                        ; implicit-def: $vgpr2
.LBB198_1273:
	s_delay_alu instid0(SALU_CYCLE_1)
	s_and_not1_b32 vcc_lo, exec_lo, s21
	s_cbranch_vccnz .LBB198_1275
; %bb.1274:
	s_wait_loadcnt 0x0
	global_load_b32 v2, v[0:1], off
	s_wait_loadcnt 0x0
	v_bfe_u32 v3, v2, 16, 1
	v_cmp_o_f32_e32 vcc_lo, v2, v2
	s_delay_alu instid0(VALU_DEP_2) | instskip(NEXT) | instid1(VALU_DEP_1)
	v_add3_u32 v3, v2, v3, 0x7fff
	v_lshrrev_b32_e32 v3, 16, v3
	s_delay_alu instid0(VALU_DEP_1)
	v_cndmask_b32_e32 v2, 0x7fc0, v3, vcc_lo
.LBB198_1275:
	s_mov_b32 s21, 0
.LBB198_1276:
	s_delay_alu instid0(SALU_CYCLE_1)
	s_and_not1_b32 vcc_lo, exec_lo, s21
	s_cbranch_vccnz .LBB198_1278
; %bb.1277:
	s_wait_loadcnt 0x0
	global_load_u16 v2, v[0:1], off
	s_wait_loadcnt 0x0
	v_cvt_f32_f16_e32 v3, v2
	v_cmp_o_f16_e32 vcc_lo, v2, v2
	s_delay_alu instid0(VALU_DEP_2) | instskip(NEXT) | instid1(VALU_DEP_1)
	v_bfe_u32 v4, v3, 16, 1
	v_add3_u32 v3, v3, v4, 0x7fff
	s_delay_alu instid0(VALU_DEP_1) | instskip(NEXT) | instid1(VALU_DEP_1)
	v_lshrrev_b32_e32 v3, 16, v3
	v_cndmask_b32_e32 v2, 0x7fc0, v3, vcc_lo
.LBB198_1278:
	s_cbranch_execnz .LBB198_1297
.LBB198_1279:
	s_sext_i32_i16 s21, s2
	s_delay_alu instid0(SALU_CYCLE_1)
	s_cmp_lt_i32 s21, 2
	s_cbranch_scc1 .LBB198_1283
; %bb.1280:
	s_cmp_lt_i32 s21, 3
	s_cbranch_scc1 .LBB198_1284
; %bb.1281:
	s_cmp_gt_i32 s21, 3
	s_cbranch_scc0 .LBB198_1285
; %bb.1282:
	s_wait_loadcnt 0x0
	global_load_b64 v[2:3], v[0:1], off
	s_mov_b32 s21, 0
	s_wait_loadcnt 0x0
	v_xor_b32_e32 v4, v2, v3
	v_cls_i32_e32 v5, v3
	s_delay_alu instid0(VALU_DEP_2) | instskip(NEXT) | instid1(VALU_DEP_1)
	v_ashrrev_i32_e32 v4, 31, v4
	v_add_nc_u32_e32 v4, 32, v4
	s_delay_alu instid0(VALU_DEP_1) | instskip(NEXT) | instid1(VALU_DEP_1)
	v_add_min_u32_e64 v4, v5, -1, v4
	v_lshlrev_b64_e32 v[2:3], v4, v[2:3]
	s_delay_alu instid0(VALU_DEP_1) | instskip(NEXT) | instid1(VALU_DEP_1)
	v_min_u32_e32 v2, 1, v2
	v_dual_sub_nc_u32 v3, 32, v4 :: v_dual_bitop2_b32 v2, v3, v2 bitop3:0x54
	s_delay_alu instid0(VALU_DEP_1) | instskip(NEXT) | instid1(VALU_DEP_1)
	v_cvt_f32_i32_e32 v2, v2
	v_ldexp_f32 v2, v2, v3
	s_delay_alu instid0(VALU_DEP_1) | instskip(NEXT) | instid1(VALU_DEP_1)
	v_bfe_u32 v3, v2, 16, 1
	v_add3_u32 v2, v2, v3, 0x7fff
	s_delay_alu instid0(VALU_DEP_1)
	v_lshrrev_b32_e32 v2, 16, v2
	s_branch .LBB198_1286
.LBB198_1283:
                                        ; implicit-def: $vgpr2
	s_branch .LBB198_1292
.LBB198_1284:
	s_mov_b32 s21, -1
                                        ; implicit-def: $vgpr2
	s_branch .LBB198_1289
.LBB198_1285:
	s_mov_b32 s21, -1
                                        ; implicit-def: $vgpr2
.LBB198_1286:
	s_delay_alu instid0(SALU_CYCLE_1)
	s_and_not1_b32 vcc_lo, exec_lo, s21
	s_cbranch_vccnz .LBB198_1288
; %bb.1287:
	s_wait_loadcnt 0x0
	global_load_b32 v2, v[0:1], off
	s_wait_loadcnt 0x0
	v_cvt_f32_i32_e32 v2, v2
	s_delay_alu instid0(VALU_DEP_1) | instskip(NEXT) | instid1(VALU_DEP_1)
	v_bfe_u32 v3, v2, 16, 1
	v_add3_u32 v2, v2, v3, 0x7fff
	s_delay_alu instid0(VALU_DEP_1)
	v_lshrrev_b32_e32 v2, 16, v2
.LBB198_1288:
	s_mov_b32 s21, 0
.LBB198_1289:
	s_delay_alu instid0(SALU_CYCLE_1)
	s_and_not1_b32 vcc_lo, exec_lo, s21
	s_cbranch_vccnz .LBB198_1291
; %bb.1290:
	s_wait_loadcnt 0x0
	global_load_i16 v2, v[0:1], off
	s_wait_loadcnt 0x0
	v_cvt_f32_i32_e32 v2, v2
	s_delay_alu instid0(VALU_DEP_1) | instskip(NEXT) | instid1(VALU_DEP_1)
	v_bfe_u32 v3, v2, 16, 1
	v_add3_u32 v2, v2, v3, 0x7fff
	s_delay_alu instid0(VALU_DEP_1)
	v_lshrrev_b32_e32 v2, 16, v2
.LBB198_1291:
	s_cbranch_execnz .LBB198_1297
.LBB198_1292:
	s_sext_i32_i16 s2, s2
	s_delay_alu instid0(SALU_CYCLE_1)
	s_cmp_gt_i32 s2, 0
	s_mov_b32 s2, 0
	s_cbranch_scc0 .LBB198_1294
; %bb.1293:
	s_wait_loadcnt 0x0
	global_load_i8 v2, v[0:1], off
	s_wait_loadcnt 0x0
	v_cvt_f32_i32_e32 v2, v2
	s_delay_alu instid0(VALU_DEP_1) | instskip(NEXT) | instid1(VALU_DEP_1)
	v_bfe_u32 v3, v2, 16, 1
	v_add3_u32 v2, v2, v3, 0x7fff
	s_delay_alu instid0(VALU_DEP_1)
	v_lshrrev_b32_e32 v2, 16, v2
	s_branch .LBB198_1295
.LBB198_1294:
	s_mov_b32 s2, -1
                                        ; implicit-def: $vgpr2
.LBB198_1295:
	s_delay_alu instid0(SALU_CYCLE_1)
	s_and_not1_b32 vcc_lo, exec_lo, s2
	s_cbranch_vccnz .LBB198_1297
; %bb.1296:
	global_load_u8 v0, v[0:1], off
	s_wait_loadcnt 0x0
	v_cvt_f32_ubyte0_e32 v0, v0
	s_delay_alu instid0(VALU_DEP_1) | instskip(NEXT) | instid1(VALU_DEP_1)
	v_bfe_u32 v1, v0, 16, 1
	v_add3_u32 v0, v0, v1, 0x7fff
	s_delay_alu instid0(VALU_DEP_1)
	v_lshrrev_b32_e32 v2, 16, v0
.LBB198_1297:
	s_or_b32 s24, s24, exec_lo
.LBB198_1298:
	s_wait_xcnt 0x0
	s_or_b32 exec_lo, exec_lo, s19
	s_mov_b32 s22, 0
	s_mov_b32 s25, 0
	;; [unrolled: 1-line block ×3, first 2 shown]
                                        ; implicit-def: $sgpr2
                                        ; implicit-def: $vgpr0_vgpr1
                                        ; implicit-def: $vgpr3
	s_and_saveexec_b32 s19, s24
	s_cbranch_execz .LBB198_1306
; %bb.1299:
	v_mul_lo_u32 v0, v6, s10
	s_and_b32 s2, s14, 0xff
	s_delay_alu instid0(SALU_CYCLE_1) | instskip(NEXT) | instid1(VALU_DEP_1)
	s_cmp_lt_i32 s2, 11
	v_ashrrev_i32_e32 v1, 31, v0
	s_delay_alu instid0(VALU_DEP_1)
	v_add_nc_u64_e32 v[0:1], s[12:13], v[0:1]
	s_cbranch_scc1 .LBB198_1309
; %bb.1300:
	s_and_b32 s21, 0xffff, s2
	s_mov_b32 s23, 0
	s_cmp_gt_i32 s21, 25
	s_cbranch_scc0 .LBB198_1310
; %bb.1301:
	s_cmp_gt_i32 s21, 28
	s_cbranch_scc0 .LBB198_1311
; %bb.1302:
	;; [unrolled: 3-line block ×4, first 2 shown]
	s_cmp_eq_u32 s21, 46
	s_cbranch_scc0 .LBB198_1314
; %bb.1305:
	s_wait_loadcnt 0x0
	global_load_b32 v3, v[0:1], off
	s_mov_b32 s24, -1
	s_branch .LBB198_1316
.LBB198_1306:
	s_or_b32 exec_lo, exec_lo, s19
	s_and_saveexec_b32 s19, s20
	s_cbranch_execnz .LBB198_1379
.LBB198_1307:
	s_or_b32 exec_lo, exec_lo, s19
	s_and_saveexec_b32 s19, s22
	s_delay_alu instid0(SALU_CYCLE_1)
	s_xor_b32 s19, exec_lo, s19
	s_cbranch_execz .LBB198_1380
.LBB198_1308:
	s_wait_loadcnt 0x0
	global_load_u8 v3, v[0:1], off
	s_or_b32 s21, s21, exec_lo
	s_wait_loadcnt 0x0
	v_cmp_ne_u16_e32 vcc_lo, 0, v3
	v_cndmask_b32_e64 v3, 0, 1.0, vcc_lo
	s_delay_alu instid0(VALU_DEP_1)
	v_lshrrev_b32_e32 v3, 16, v3
	s_wait_xcnt 0x0
	s_or_b32 exec_lo, exec_lo, s19
	s_and_saveexec_b32 s19, s25
	s_cbranch_execz .LBB198_1426
	s_branch .LBB198_1381
.LBB198_1309:
	s_mov_b32 s25, -1
	s_mov_b32 s24, 0
	s_mov_b32 s23, 0
	;; [unrolled: 1-line block ×3, first 2 shown]
                                        ; implicit-def: $vgpr3
	s_branch .LBB198_1378
.LBB198_1310:
	s_mov_b32 s24, 0
	s_mov_b32 s22, s20
                                        ; implicit-def: $vgpr3
	s_cbranch_execnz .LBB198_1345
	s_branch .LBB198_1377
.LBB198_1311:
	s_mov_b32 s25, -1
	s_mov_b32 s24, 0
	s_mov_b32 s22, s20
                                        ; implicit-def: $vgpr3
	s_branch .LBB198_1326
.LBB198_1312:
	s_mov_b32 s25, -1
	s_mov_b32 s24, 0
	s_mov_b32 s22, s20
                                        ; implicit-def: $vgpr3
	s_branch .LBB198_1321
.LBB198_1313:
	s_mov_b32 s25, -1
	s_mov_b32 s24, 0
	s_mov_b32 s22, s20
	s_branch .LBB198_1315
.LBB198_1314:
	s_mov_b32 s22, -1
	s_mov_b32 s24, 0
.LBB198_1315:
                                        ; implicit-def: $vgpr3
.LBB198_1316:
	s_and_b32 vcc_lo, exec_lo, s25
	s_cbranch_vccz .LBB198_1320
; %bb.1317:
	s_cmp_eq_u32 s21, 44
	s_cbranch_scc0 .LBB198_1319
; %bb.1318:
	s_wait_loadcnt 0x0
	global_load_u8 v3, v[0:1], off
	s_mov_b32 s22, 0
	s_mov_b32 s24, -1
	s_wait_loadcnt 0x0
	v_lshlrev_b32_e32 v4, 23, v3
	v_cmp_ne_u32_e32 vcc_lo, 0xff, v3
	s_delay_alu instid0(VALU_DEP_2) | instskip(SKIP_1) | instid1(VALU_DEP_2)
	v_cndmask_b32_e32 v4, 0x7f800001, v4, vcc_lo
	v_cmp_ne_u32_e32 vcc_lo, 0, v3
	v_cndmask_b32_e32 v3, 0x400000, v4, vcc_lo
	s_delay_alu instid0(VALU_DEP_1) | instskip(NEXT) | instid1(VALU_DEP_1)
	v_add_nc_u32_e32 v4, 0x7fff, v3
	v_lshrrev_b32_e32 v4, 16, v4
	v_cmp_o_f32_e32 vcc_lo, v3, v3
	s_delay_alu instid0(VALU_DEP_2)
	v_cndmask_b32_e32 v3, 0x7fc0, v4, vcc_lo
	s_branch .LBB198_1320
.LBB198_1319:
	s_mov_b32 s22, -1
                                        ; implicit-def: $vgpr3
.LBB198_1320:
	s_mov_b32 s25, 0
.LBB198_1321:
	s_delay_alu instid0(SALU_CYCLE_1)
	s_and_b32 vcc_lo, exec_lo, s25
	s_cbranch_vccz .LBB198_1325
; %bb.1322:
	s_cmp_eq_u32 s21, 29
	s_cbranch_scc0 .LBB198_1324
; %bb.1323:
	global_load_b64 v[4:5], v[0:1], off
	s_mov_b32 s22, 0
	s_mov_b32 s24, -1
	s_mov_b32 s25, 0
	s_wait_loadcnt 0x0
	v_clz_i32_u32_e32 v3, v5
	s_delay_alu instid0(VALU_DEP_1) | instskip(NEXT) | instid1(VALU_DEP_1)
	v_min_u32_e32 v3, 32, v3
	v_lshlrev_b64_e32 v[4:5], v3, v[4:5]
	v_sub_nc_u32_e32 v3, 32, v3
	s_delay_alu instid0(VALU_DEP_2) | instskip(NEXT) | instid1(VALU_DEP_1)
	v_min_u32_e32 v4, 1, v4
	v_or_b32_e32 v4, v5, v4
	s_delay_alu instid0(VALU_DEP_1) | instskip(NEXT) | instid1(VALU_DEP_1)
	v_cvt_f32_u32_e32 v4, v4
	v_ldexp_f32 v3, v4, v3
	s_delay_alu instid0(VALU_DEP_1) | instskip(NEXT) | instid1(VALU_DEP_1)
	v_bfe_u32 v4, v3, 16, 1
	v_add3_u32 v3, v3, v4, 0x7fff
	s_delay_alu instid0(VALU_DEP_1)
	v_lshrrev_b32_e32 v3, 16, v3
	s_branch .LBB198_1326
.LBB198_1324:
	s_mov_b32 s22, -1
                                        ; implicit-def: $vgpr3
.LBB198_1325:
	s_mov_b32 s25, 0
.LBB198_1326:
	s_delay_alu instid0(SALU_CYCLE_1)
	s_and_b32 vcc_lo, exec_lo, s25
	s_cbranch_vccz .LBB198_1344
; %bb.1327:
	s_cmp_lt_i32 s21, 27
	s_cbranch_scc1 .LBB198_1330
; %bb.1328:
	s_cmp_gt_i32 s21, 27
	s_cbranch_scc0 .LBB198_1331
; %bb.1329:
	s_wait_loadcnt 0x0
	global_load_b32 v3, v[0:1], off
	s_mov_b32 s24, 0
	s_wait_loadcnt 0x0
	v_cvt_f32_u32_e32 v3, v3
	s_delay_alu instid0(VALU_DEP_1) | instskip(NEXT) | instid1(VALU_DEP_1)
	v_bfe_u32 v4, v3, 16, 1
	v_add3_u32 v3, v3, v4, 0x7fff
	s_delay_alu instid0(VALU_DEP_1)
	v_lshrrev_b32_e32 v3, 16, v3
	s_branch .LBB198_1332
.LBB198_1330:
	s_mov_b32 s24, -1
                                        ; implicit-def: $vgpr3
	s_branch .LBB198_1335
.LBB198_1331:
	s_mov_b32 s24, -1
                                        ; implicit-def: $vgpr3
.LBB198_1332:
	s_delay_alu instid0(SALU_CYCLE_1)
	s_and_not1_b32 vcc_lo, exec_lo, s24
	s_cbranch_vccnz .LBB198_1334
; %bb.1333:
	s_wait_loadcnt 0x0
	global_load_u16 v3, v[0:1], off
	s_wait_loadcnt 0x0
	v_cvt_f32_u32_e32 v3, v3
	s_delay_alu instid0(VALU_DEP_1) | instskip(NEXT) | instid1(VALU_DEP_1)
	v_bfe_u32 v4, v3, 16, 1
	v_add3_u32 v3, v3, v4, 0x7fff
	s_delay_alu instid0(VALU_DEP_1)
	v_lshrrev_b32_e32 v3, 16, v3
.LBB198_1334:
	s_mov_b32 s24, 0
.LBB198_1335:
	s_delay_alu instid0(SALU_CYCLE_1)
	s_and_not1_b32 vcc_lo, exec_lo, s24
	s_cbranch_vccnz .LBB198_1343
; %bb.1336:
	s_wait_loadcnt 0x0
	global_load_u8 v3, v[0:1], off
	s_mov_b32 s24, 0
	s_mov_b32 s25, exec_lo
	s_wait_loadcnt 0x0
	v_cmpx_lt_i16_e32 0x7f, v3
	s_xor_b32 s25, exec_lo, s25
	s_cbranch_execz .LBB198_1356
; %bb.1337:
	s_mov_b32 s24, -1
	s_mov_b32 s26, exec_lo
	v_cmpx_eq_u16_e32 0x80, v3
; %bb.1338:
	s_xor_b32 s24, exec_lo, -1
; %bb.1339:
	s_or_b32 exec_lo, exec_lo, s26
	s_delay_alu instid0(SALU_CYCLE_1)
	s_and_b32 s24, s24, exec_lo
	s_or_saveexec_b32 s25, s25
	v_mov_b32_e32 v4, 0x7f800001
	s_xor_b32 exec_lo, exec_lo, s25
	s_cbranch_execnz .LBB198_1357
.LBB198_1340:
	s_or_b32 exec_lo, exec_lo, s25
	s_and_saveexec_b32 s25, s24
	s_cbranch_execz .LBB198_1342
.LBB198_1341:
	v_and_b32_e32 v4, 0xffff, v3
	s_delay_alu instid0(VALU_DEP_1) | instskip(SKIP_1) | instid1(VALU_DEP_2)
	v_and_b32_e32 v5, 7, v4
	v_bfe_u32 v9, v4, 3, 4
	v_clz_i32_u32_e32 v7, v5
	s_delay_alu instid0(VALU_DEP_2) | instskip(NEXT) | instid1(VALU_DEP_2)
	v_cmp_eq_u32_e32 vcc_lo, 0, v9
	v_min_u32_e32 v7, 32, v7
	s_delay_alu instid0(VALU_DEP_1) | instskip(NEXT) | instid1(VALU_DEP_1)
	v_subrev_nc_u32_e32 v8, 28, v7
	v_dual_lshlrev_b32 v4, v8, v4 :: v_dual_sub_nc_u32 v7, 29, v7
	s_delay_alu instid0(VALU_DEP_1) | instskip(NEXT) | instid1(VALU_DEP_1)
	v_dual_lshlrev_b32 v3, 24, v3 :: v_dual_bitop2_b32 v4, 7, v4 bitop3:0x40
	v_cndmask_b32_e32 v4, v5, v4, vcc_lo
	s_delay_alu instid0(VALU_DEP_3) | instskip(NEXT) | instid1(VALU_DEP_3)
	v_cndmask_b32_e32 v7, v9, v7, vcc_lo
	v_and_b32_e32 v3, 0x80000000, v3
	s_delay_alu instid0(VALU_DEP_3) | instskip(NEXT) | instid1(VALU_DEP_3)
	v_lshlrev_b32_e32 v4, 20, v4
	v_lshl_add_u32 v5, v7, 23, 0x3b800000
	s_delay_alu instid0(VALU_DEP_1)
	v_or3_b32 v4, v3, v5, v4
.LBB198_1342:
	s_or_b32 exec_lo, exec_lo, s25
	s_delay_alu instid0(VALU_DEP_1) | instskip(SKIP_1) | instid1(VALU_DEP_2)
	v_bfe_u32 v3, v4, 16, 1
	v_cmp_o_f32_e32 vcc_lo, v4, v4
	v_add3_u32 v3, v4, v3, 0x7fff
	s_delay_alu instid0(VALU_DEP_1) | instskip(NEXT) | instid1(VALU_DEP_1)
	v_lshrrev_b32_e32 v3, 16, v3
	v_cndmask_b32_e32 v3, 0x7fc0, v3, vcc_lo
.LBB198_1343:
	s_mov_b32 s24, -1
.LBB198_1344:
	s_branch .LBB198_1377
.LBB198_1345:
	s_cmp_gt_i32 s21, 22
	s_cbranch_scc0 .LBB198_1355
; %bb.1346:
	s_cmp_lt_i32 s21, 24
	s_cbranch_scc1 .LBB198_1358
; %bb.1347:
	s_cmp_gt_i32 s21, 24
	s_cbranch_scc0 .LBB198_1359
; %bb.1348:
	s_wait_loadcnt 0x0
	global_load_u8 v3, v[0:1], off
	s_mov_b32 s24, exec_lo
	s_wait_loadcnt 0x0
	v_cmpx_lt_i16_e32 0x7f, v3
	s_xor_b32 s24, exec_lo, s24
	s_cbranch_execz .LBB198_1371
; %bb.1349:
	s_mov_b32 s23, -1
	s_mov_b32 s25, exec_lo
	v_cmpx_eq_u16_e32 0x80, v3
; %bb.1350:
	s_xor_b32 s23, exec_lo, -1
; %bb.1351:
	s_or_b32 exec_lo, exec_lo, s25
	s_delay_alu instid0(SALU_CYCLE_1)
	s_and_b32 s23, s23, exec_lo
	s_or_saveexec_b32 s24, s24
	v_mov_b32_e32 v4, 0x7f800001
	s_xor_b32 exec_lo, exec_lo, s24
	s_cbranch_execnz .LBB198_1372
.LBB198_1352:
	s_or_b32 exec_lo, exec_lo, s24
	s_and_saveexec_b32 s24, s23
	s_cbranch_execz .LBB198_1354
.LBB198_1353:
	v_and_b32_e32 v4, 0xffff, v3
	s_delay_alu instid0(VALU_DEP_1) | instskip(SKIP_1) | instid1(VALU_DEP_2)
	v_and_b32_e32 v5, 3, v4
	v_bfe_u32 v9, v4, 2, 5
	v_clz_i32_u32_e32 v7, v5
	s_delay_alu instid0(VALU_DEP_2) | instskip(NEXT) | instid1(VALU_DEP_2)
	v_cmp_eq_u32_e32 vcc_lo, 0, v9
	v_min_u32_e32 v7, 32, v7
	s_delay_alu instid0(VALU_DEP_1) | instskip(NEXT) | instid1(VALU_DEP_1)
	v_subrev_nc_u32_e32 v8, 29, v7
	v_dual_lshlrev_b32 v4, v8, v4 :: v_dual_sub_nc_u32 v7, 30, v7
	s_delay_alu instid0(VALU_DEP_1) | instskip(NEXT) | instid1(VALU_DEP_1)
	v_dual_lshlrev_b32 v3, 24, v3 :: v_dual_bitop2_b32 v4, 3, v4 bitop3:0x40
	v_cndmask_b32_e32 v4, v5, v4, vcc_lo
	s_delay_alu instid0(VALU_DEP_3) | instskip(NEXT) | instid1(VALU_DEP_3)
	v_cndmask_b32_e32 v7, v9, v7, vcc_lo
	v_and_b32_e32 v3, 0x80000000, v3
	s_delay_alu instid0(VALU_DEP_3) | instskip(NEXT) | instid1(VALU_DEP_3)
	v_lshlrev_b32_e32 v4, 21, v4
	v_lshl_add_u32 v5, v7, 23, 0x37800000
	s_delay_alu instid0(VALU_DEP_1)
	v_or3_b32 v4, v3, v5, v4
.LBB198_1354:
	s_or_b32 exec_lo, exec_lo, s24
	s_delay_alu instid0(VALU_DEP_1) | instskip(SKIP_2) | instid1(VALU_DEP_2)
	v_bfe_u32 v3, v4, 16, 1
	v_cmp_o_f32_e32 vcc_lo, v4, v4
	s_mov_b32 s23, 0
	v_add3_u32 v3, v4, v3, 0x7fff
	s_delay_alu instid0(VALU_DEP_1) | instskip(NEXT) | instid1(VALU_DEP_1)
	v_lshrrev_b32_e32 v3, 16, v3
	v_cndmask_b32_e32 v3, 0x7fc0, v3, vcc_lo
	s_branch .LBB198_1360
.LBB198_1355:
	s_mov_b32 s23, -1
                                        ; implicit-def: $vgpr3
	s_branch .LBB198_1366
.LBB198_1356:
	s_or_saveexec_b32 s25, s25
	v_mov_b32_e32 v4, 0x7f800001
	s_xor_b32 exec_lo, exec_lo, s25
	s_cbranch_execz .LBB198_1340
.LBB198_1357:
	v_cmp_ne_u16_e32 vcc_lo, 0, v3
	v_mov_b32_e32 v4, 0
	s_and_not1_b32 s24, s24, exec_lo
	s_and_b32 s26, vcc_lo, exec_lo
	s_delay_alu instid0(SALU_CYCLE_1)
	s_or_b32 s24, s24, s26
	s_or_b32 exec_lo, exec_lo, s25
	s_and_saveexec_b32 s25, s24
	s_cbranch_execnz .LBB198_1341
	s_branch .LBB198_1342
.LBB198_1358:
	s_mov_b32 s23, -1
                                        ; implicit-def: $vgpr3
	s_branch .LBB198_1363
.LBB198_1359:
	s_mov_b32 s23, -1
                                        ; implicit-def: $vgpr3
.LBB198_1360:
	s_delay_alu instid0(SALU_CYCLE_1)
	s_and_b32 vcc_lo, exec_lo, s23
	s_cbranch_vccz .LBB198_1362
; %bb.1361:
	s_wait_loadcnt 0x0
	global_load_u8 v3, v[0:1], off
	s_wait_loadcnt 0x0
	v_lshlrev_b32_e32 v3, 24, v3
	s_delay_alu instid0(VALU_DEP_1) | instskip(NEXT) | instid1(VALU_DEP_1)
	v_and_b32_e32 v4, 0x7f000000, v3
	v_clz_i32_u32_e32 v5, v4
	v_add_nc_u32_e32 v8, 0x1000000, v4
	v_cmp_ne_u32_e32 vcc_lo, 0, v4
	s_delay_alu instid0(VALU_DEP_3) | instskip(NEXT) | instid1(VALU_DEP_1)
	v_min_u32_e32 v5, 32, v5
	v_sub_nc_u32_e64 v5, v5, 4 clamp
	s_delay_alu instid0(VALU_DEP_1) | instskip(NEXT) | instid1(VALU_DEP_1)
	v_dual_lshlrev_b32 v7, v5, v4 :: v_dual_lshlrev_b32 v5, 23, v5
	v_lshrrev_b32_e32 v7, 4, v7
	s_delay_alu instid0(VALU_DEP_1) | instskip(NEXT) | instid1(VALU_DEP_1)
	v_dual_sub_nc_u32 v5, v7, v5 :: v_dual_ashrrev_i32 v7, 8, v8
	v_add_nc_u32_e32 v5, 0x3c000000, v5
	s_delay_alu instid0(VALU_DEP_1) | instskip(NEXT) | instid1(VALU_DEP_1)
	v_and_or_b32 v5, 0x7f800000, v7, v5
	v_cndmask_b32_e32 v4, 0, v5, vcc_lo
	s_delay_alu instid0(VALU_DEP_1) | instskip(SKIP_1) | instid1(VALU_DEP_2)
	v_and_or_b32 v3, 0x80000000, v3, v4
	v_bfe_u32 v4, v4, 16, 1
	v_cmp_o_f32_e32 vcc_lo, v3, v3
	s_delay_alu instid0(VALU_DEP_2) | instskip(NEXT) | instid1(VALU_DEP_1)
	v_add3_u32 v4, v3, v4, 0x7fff
	v_lshrrev_b32_e32 v4, 16, v4
	s_delay_alu instid0(VALU_DEP_1)
	v_cndmask_b32_e32 v3, 0x7fc0, v4, vcc_lo
.LBB198_1362:
	s_mov_b32 s23, 0
.LBB198_1363:
	s_delay_alu instid0(SALU_CYCLE_1)
	s_and_not1_b32 vcc_lo, exec_lo, s23
	s_cbranch_vccnz .LBB198_1365
; %bb.1364:
	s_wait_loadcnt 0x0
	global_load_u8 v3, v[0:1], off
	s_wait_loadcnt 0x0
	v_lshlrev_b32_e32 v4, 25, v3
	v_lshlrev_b16 v3, 8, v3
	s_delay_alu instid0(VALU_DEP_1) | instskip(NEXT) | instid1(VALU_DEP_3)
	v_and_or_b32 v7, 0x7f00, v3, 0.5
	v_lshrrev_b32_e32 v5, 4, v4
	v_bfe_i32 v3, v3, 0, 16
	s_delay_alu instid0(VALU_DEP_3) | instskip(NEXT) | instid1(VALU_DEP_3)
	v_add_f32_e32 v7, -0.5, v7
	v_or_b32_e32 v5, 0x70000000, v5
	s_delay_alu instid0(VALU_DEP_1) | instskip(SKIP_1) | instid1(VALU_DEP_2)
	v_mul_f32_e32 v5, 0x7800000, v5
	v_cmp_gt_u32_e32 vcc_lo, 0x8000000, v4
	v_cndmask_b32_e32 v4, v5, v7, vcc_lo
	s_delay_alu instid0(VALU_DEP_1) | instskip(SKIP_1) | instid1(VALU_DEP_2)
	v_and_or_b32 v3, 0x80000000, v3, v4
	v_bfe_u32 v4, v4, 16, 1
	v_cmp_o_f32_e32 vcc_lo, v3, v3
	s_delay_alu instid0(VALU_DEP_2) | instskip(NEXT) | instid1(VALU_DEP_1)
	v_add3_u32 v4, v3, v4, 0x7fff
	v_lshrrev_b32_e32 v4, 16, v4
	s_delay_alu instid0(VALU_DEP_1)
	v_cndmask_b32_e32 v3, 0x7fc0, v4, vcc_lo
.LBB198_1365:
	s_mov_b32 s23, 0
	s_mov_b32 s24, -1
.LBB198_1366:
	s_and_not1_b32 vcc_lo, exec_lo, s23
	s_mov_b32 s23, 0
	s_cbranch_vccnz .LBB198_1377
; %bb.1367:
	s_cmp_gt_i32 s21, 14
	s_cbranch_scc0 .LBB198_1370
; %bb.1368:
	s_cmp_eq_u32 s21, 15
	s_cbranch_scc0 .LBB198_1373
; %bb.1369:
	s_wait_loadcnt 0x0
	global_load_u16 v3, v[0:1], off
	s_mov_b32 s22, 0
	s_mov_b32 s24, -1
	s_branch .LBB198_1375
.LBB198_1370:
	s_mov_b32 s23, -1
	s_branch .LBB198_1374
.LBB198_1371:
	s_or_saveexec_b32 s24, s24
	v_mov_b32_e32 v4, 0x7f800001
	s_xor_b32 exec_lo, exec_lo, s24
	s_cbranch_execz .LBB198_1352
.LBB198_1372:
	v_cmp_ne_u16_e32 vcc_lo, 0, v3
	v_mov_b32_e32 v4, 0
	s_and_not1_b32 s23, s23, exec_lo
	s_and_b32 s25, vcc_lo, exec_lo
	s_delay_alu instid0(SALU_CYCLE_1)
	s_or_b32 s23, s23, s25
	s_or_b32 exec_lo, exec_lo, s24
	s_and_saveexec_b32 s24, s23
	s_cbranch_execnz .LBB198_1353
	s_branch .LBB198_1354
.LBB198_1373:
	s_mov_b32 s22, -1
.LBB198_1374:
                                        ; implicit-def: $vgpr3
.LBB198_1375:
	s_and_b32 vcc_lo, exec_lo, s23
	s_mov_b32 s23, 0
	s_cbranch_vccz .LBB198_1377
; %bb.1376:
	s_cmp_lg_u32 s21, 11
	s_mov_b32 s23, -1
	s_cselect_b32 s21, -1, 0
	s_and_not1_b32 s22, s22, exec_lo
	s_and_b32 s21, s21, exec_lo
	s_delay_alu instid0(SALU_CYCLE_1)
	s_or_b32 s22, s22, s21
.LBB198_1377:
	s_mov_b32 s25, 0
.LBB198_1378:
	s_and_b32 s21, s24, exec_lo
	s_and_not1_b32 s20, s20, exec_lo
	s_and_b32 s24, s22, exec_lo
	s_and_b32 s25, s25, exec_lo
	;; [unrolled: 1-line block ×3, first 2 shown]
	s_or_b32 s20, s20, s24
	s_wait_xcnt 0x0
	s_or_b32 exec_lo, exec_lo, s19
	s_and_saveexec_b32 s19, s20
	s_cbranch_execz .LBB198_1307
.LBB198_1379:
	s_or_b32 s1, s1, exec_lo
	s_and_not1_b32 s22, s22, exec_lo
	s_trap 2
	s_or_b32 exec_lo, exec_lo, s19
	s_and_saveexec_b32 s19, s22
	s_delay_alu instid0(SALU_CYCLE_1)
	s_xor_b32 s19, exec_lo, s19
	s_cbranch_execnz .LBB198_1308
.LBB198_1380:
	s_or_b32 exec_lo, exec_lo, s19
	s_and_saveexec_b32 s19, s25
	s_cbranch_execz .LBB198_1426
.LBB198_1381:
	s_sext_i32_i16 s20, s2
	s_delay_alu instid0(SALU_CYCLE_1)
	s_cmp_lt_i32 s20, 5
	s_cbranch_scc1 .LBB198_1386
; %bb.1382:
	s_cmp_lt_i32 s20, 8
	s_cbranch_scc1 .LBB198_1387
; %bb.1383:
	s_cmp_lt_i32 s20, 9
	s_cbranch_scc1 .LBB198_1388
; %bb.1384:
	s_cmp_gt_i32 s20, 9
	s_cbranch_scc0 .LBB198_1389
; %bb.1385:
	global_load_b64 v[4:5], v[0:1], off
	s_mov_b32 s20, 0
	s_wait_loadcnt 0x0
	v_cvt_f32_f64_e32 v3, v[4:5]
	s_delay_alu instid0(VALU_DEP_1) | instskip(SKIP_1) | instid1(VALU_DEP_2)
	v_bfe_u32 v4, v3, 16, 1
	v_cmp_o_f32_e32 vcc_lo, v3, v3
	v_add3_u32 v4, v3, v4, 0x7fff
	s_delay_alu instid0(VALU_DEP_1) | instskip(NEXT) | instid1(VALU_DEP_1)
	v_lshrrev_b32_e32 v4, 16, v4
	v_cndmask_b32_e32 v3, 0x7fc0, v4, vcc_lo
	s_branch .LBB198_1390
.LBB198_1386:
                                        ; implicit-def: $vgpr3
	s_branch .LBB198_1407
.LBB198_1387:
                                        ; implicit-def: $vgpr3
	s_branch .LBB198_1396
.LBB198_1388:
	s_mov_b32 s20, -1
                                        ; implicit-def: $vgpr3
	s_branch .LBB198_1393
.LBB198_1389:
	s_mov_b32 s20, -1
                                        ; implicit-def: $vgpr3
.LBB198_1390:
	s_delay_alu instid0(SALU_CYCLE_1)
	s_and_not1_b32 vcc_lo, exec_lo, s20
	s_cbranch_vccnz .LBB198_1392
; %bb.1391:
	s_wait_loadcnt 0x0
	global_load_b32 v3, v[0:1], off
	s_wait_loadcnt 0x0
	v_bfe_u32 v4, v3, 16, 1
	v_cmp_o_f32_e32 vcc_lo, v3, v3
	s_delay_alu instid0(VALU_DEP_2) | instskip(NEXT) | instid1(VALU_DEP_1)
	v_add3_u32 v4, v3, v4, 0x7fff
	v_lshrrev_b32_e32 v4, 16, v4
	s_delay_alu instid0(VALU_DEP_1)
	v_cndmask_b32_e32 v3, 0x7fc0, v4, vcc_lo
.LBB198_1392:
	s_mov_b32 s20, 0
.LBB198_1393:
	s_delay_alu instid0(SALU_CYCLE_1)
	s_and_not1_b32 vcc_lo, exec_lo, s20
	s_cbranch_vccnz .LBB198_1395
; %bb.1394:
	s_wait_loadcnt 0x0
	global_load_b32 v3, v[0:1], off
	s_wait_loadcnt 0x0
	v_cvt_f32_f16_e32 v4, v3
	v_cmp_o_f16_e32 vcc_lo, v3, v3
	s_delay_alu instid0(VALU_DEP_2) | instskip(NEXT) | instid1(VALU_DEP_1)
	v_bfe_u32 v5, v4, 16, 1
	v_add3_u32 v4, v4, v5, 0x7fff
	s_delay_alu instid0(VALU_DEP_1) | instskip(NEXT) | instid1(VALU_DEP_1)
	v_lshrrev_b32_e32 v4, 16, v4
	v_cndmask_b32_e32 v3, 0x7fc0, v4, vcc_lo
.LBB198_1395:
	s_cbranch_execnz .LBB198_1406
.LBB198_1396:
	s_sext_i32_i16 s20, s2
	s_delay_alu instid0(SALU_CYCLE_1)
	s_cmp_lt_i32 s20, 6
	s_cbranch_scc1 .LBB198_1399
; %bb.1397:
	s_cmp_gt_i32 s20, 6
	s_cbranch_scc0 .LBB198_1400
; %bb.1398:
	global_load_b64 v[4:5], v[0:1], off
	s_mov_b32 s20, 0
	s_wait_loadcnt 0x0
	v_cvt_f32_f64_e32 v3, v[4:5]
	s_delay_alu instid0(VALU_DEP_1) | instskip(SKIP_1) | instid1(VALU_DEP_2)
	v_bfe_u32 v4, v3, 16, 1
	v_cmp_o_f32_e32 vcc_lo, v3, v3
	v_add3_u32 v4, v3, v4, 0x7fff
	s_delay_alu instid0(VALU_DEP_1) | instskip(NEXT) | instid1(VALU_DEP_1)
	v_lshrrev_b32_e32 v4, 16, v4
	v_cndmask_b32_e32 v3, 0x7fc0, v4, vcc_lo
	s_branch .LBB198_1401
.LBB198_1399:
	s_mov_b32 s20, -1
                                        ; implicit-def: $vgpr3
	s_branch .LBB198_1404
.LBB198_1400:
	s_mov_b32 s20, -1
                                        ; implicit-def: $vgpr3
.LBB198_1401:
	s_delay_alu instid0(SALU_CYCLE_1)
	s_and_not1_b32 vcc_lo, exec_lo, s20
	s_cbranch_vccnz .LBB198_1403
; %bb.1402:
	s_wait_loadcnt 0x0
	global_load_b32 v3, v[0:1], off
	s_wait_loadcnt 0x0
	v_bfe_u32 v4, v3, 16, 1
	v_cmp_o_f32_e32 vcc_lo, v3, v3
	s_delay_alu instid0(VALU_DEP_2) | instskip(NEXT) | instid1(VALU_DEP_1)
	v_add3_u32 v4, v3, v4, 0x7fff
	v_lshrrev_b32_e32 v4, 16, v4
	s_delay_alu instid0(VALU_DEP_1)
	v_cndmask_b32_e32 v3, 0x7fc0, v4, vcc_lo
.LBB198_1403:
	s_mov_b32 s20, 0
.LBB198_1404:
	s_delay_alu instid0(SALU_CYCLE_1)
	s_and_not1_b32 vcc_lo, exec_lo, s20
	s_cbranch_vccnz .LBB198_1406
; %bb.1405:
	s_wait_loadcnt 0x0
	global_load_u16 v3, v[0:1], off
	s_wait_loadcnt 0x0
	v_cvt_f32_f16_e32 v4, v3
	v_cmp_o_f16_e32 vcc_lo, v3, v3
	s_delay_alu instid0(VALU_DEP_2) | instskip(NEXT) | instid1(VALU_DEP_1)
	v_bfe_u32 v5, v4, 16, 1
	v_add3_u32 v4, v4, v5, 0x7fff
	s_delay_alu instid0(VALU_DEP_1) | instskip(NEXT) | instid1(VALU_DEP_1)
	v_lshrrev_b32_e32 v4, 16, v4
	v_cndmask_b32_e32 v3, 0x7fc0, v4, vcc_lo
.LBB198_1406:
	s_cbranch_execnz .LBB198_1425
.LBB198_1407:
	s_sext_i32_i16 s20, s2
	s_delay_alu instid0(SALU_CYCLE_1)
	s_cmp_lt_i32 s20, 2
	s_cbranch_scc1 .LBB198_1411
; %bb.1408:
	s_cmp_lt_i32 s20, 3
	s_cbranch_scc1 .LBB198_1412
; %bb.1409:
	s_cmp_gt_i32 s20, 3
	s_cbranch_scc0 .LBB198_1413
; %bb.1410:
	global_load_b64 v[4:5], v[0:1], off
	s_mov_b32 s20, 0
	s_wait_loadcnt 0x0
	v_xor_b32_e32 v3, v4, v5
	v_cls_i32_e32 v7, v5
	s_delay_alu instid0(VALU_DEP_2) | instskip(NEXT) | instid1(VALU_DEP_1)
	v_ashrrev_i32_e32 v3, 31, v3
	v_add_nc_u32_e32 v3, 32, v3
	s_delay_alu instid0(VALU_DEP_1) | instskip(NEXT) | instid1(VALU_DEP_1)
	v_add_min_u32_e64 v3, v7, -1, v3
	v_lshlrev_b64_e32 v[4:5], v3, v[4:5]
	v_sub_nc_u32_e32 v3, 32, v3
	s_delay_alu instid0(VALU_DEP_2) | instskip(NEXT) | instid1(VALU_DEP_1)
	v_min_u32_e32 v4, 1, v4
	v_or_b32_e32 v4, v5, v4
	s_delay_alu instid0(VALU_DEP_1) | instskip(NEXT) | instid1(VALU_DEP_1)
	v_cvt_f32_i32_e32 v4, v4
	v_ldexp_f32 v3, v4, v3
	s_delay_alu instid0(VALU_DEP_1) | instskip(NEXT) | instid1(VALU_DEP_1)
	v_bfe_u32 v4, v3, 16, 1
	v_add3_u32 v3, v3, v4, 0x7fff
	s_delay_alu instid0(VALU_DEP_1)
	v_lshrrev_b32_e32 v3, 16, v3
	s_branch .LBB198_1414
.LBB198_1411:
                                        ; implicit-def: $vgpr3
	s_branch .LBB198_1420
.LBB198_1412:
	s_mov_b32 s20, -1
                                        ; implicit-def: $vgpr3
	s_branch .LBB198_1417
.LBB198_1413:
	s_mov_b32 s20, -1
                                        ; implicit-def: $vgpr3
.LBB198_1414:
	s_delay_alu instid0(SALU_CYCLE_1)
	s_and_not1_b32 vcc_lo, exec_lo, s20
	s_cbranch_vccnz .LBB198_1416
; %bb.1415:
	s_wait_loadcnt 0x0
	global_load_b32 v3, v[0:1], off
	s_wait_loadcnt 0x0
	v_cvt_f32_i32_e32 v3, v3
	s_delay_alu instid0(VALU_DEP_1) | instskip(NEXT) | instid1(VALU_DEP_1)
	v_bfe_u32 v4, v3, 16, 1
	v_add3_u32 v3, v3, v4, 0x7fff
	s_delay_alu instid0(VALU_DEP_1)
	v_lshrrev_b32_e32 v3, 16, v3
.LBB198_1416:
	s_mov_b32 s20, 0
.LBB198_1417:
	s_delay_alu instid0(SALU_CYCLE_1)
	s_and_not1_b32 vcc_lo, exec_lo, s20
	s_cbranch_vccnz .LBB198_1419
; %bb.1418:
	s_wait_loadcnt 0x0
	global_load_i16 v3, v[0:1], off
	s_wait_loadcnt 0x0
	v_cvt_f32_i32_e32 v3, v3
	s_delay_alu instid0(VALU_DEP_1) | instskip(NEXT) | instid1(VALU_DEP_1)
	v_bfe_u32 v4, v3, 16, 1
	v_add3_u32 v3, v3, v4, 0x7fff
	s_delay_alu instid0(VALU_DEP_1)
	v_lshrrev_b32_e32 v3, 16, v3
.LBB198_1419:
	s_cbranch_execnz .LBB198_1425
.LBB198_1420:
	s_sext_i32_i16 s2, s2
	s_delay_alu instid0(SALU_CYCLE_1)
	s_cmp_gt_i32 s2, 0
	s_mov_b32 s2, 0
	s_cbranch_scc0 .LBB198_1422
; %bb.1421:
	s_wait_loadcnt 0x0
	global_load_i8 v3, v[0:1], off
	s_wait_loadcnt 0x0
	v_cvt_f32_i32_e32 v3, v3
	s_delay_alu instid0(VALU_DEP_1) | instskip(NEXT) | instid1(VALU_DEP_1)
	v_bfe_u32 v4, v3, 16, 1
	v_add3_u32 v3, v3, v4, 0x7fff
	s_delay_alu instid0(VALU_DEP_1)
	v_lshrrev_b32_e32 v3, 16, v3
	s_branch .LBB198_1423
.LBB198_1422:
	s_mov_b32 s2, -1
                                        ; implicit-def: $vgpr3
.LBB198_1423:
	s_delay_alu instid0(SALU_CYCLE_1)
	s_and_not1_b32 vcc_lo, exec_lo, s2
	s_cbranch_vccnz .LBB198_1425
; %bb.1424:
	global_load_u8 v0, v[0:1], off
	s_wait_loadcnt 0x0
	v_cvt_f32_ubyte0_e32 v0, v0
	s_delay_alu instid0(VALU_DEP_1) | instskip(NEXT) | instid1(VALU_DEP_1)
	v_bfe_u32 v1, v0, 16, 1
	v_add3_u32 v0, v0, v1, 0x7fff
	s_delay_alu instid0(VALU_DEP_1)
	v_lshrrev_b32_e32 v3, 16, v0
.LBB198_1425:
	s_or_b32 s21, s21, exec_lo
.LBB198_1426:
	s_wait_xcnt 0x0
	s_or_b32 exec_lo, exec_lo, s19
	s_mov_b32 s23, 0
	s_mov_b32 s22, 0
                                        ; implicit-def: $sgpr2
                                        ; implicit-def: $sgpr19
                                        ; implicit-def: $vgpr0_vgpr1
	s_and_saveexec_b32 s20, s21
	s_cbranch_execz .LBB198_1434
; %bb.1427:
	s_wait_loadcnt 0x0
	v_dual_lshlrev_b32 v1, 16, v3 :: v_dual_lshlrev_b32 v2, 16, v2
	v_mul_lo_u32 v0, v6, s8
	s_and_b32 s19, s3, 0xff
	s_delay_alu instid0(SALU_CYCLE_1) | instskip(NEXT) | instid1(VALU_DEP_2)
	s_cmp_lt_i32 s19, 11
	v_cmp_eq_f32_e32 vcc_lo, v2, v1
	v_cndmask_b32_e64 v3, 0, 1, vcc_lo
	v_cmp_neq_f32_e32 vcc_lo, v2, v1
	v_cndmask_b32_e64 v1, 0, 1, vcc_lo
	s_delay_alu instid0(VALU_DEP_1) | instskip(NEXT) | instid1(VALU_DEP_1)
	v_dual_cndmask_b32 v2, v1, v3, s0 :: v_dual_ashrrev_i32 v1, 31, v0
	v_and_b32_e32 v2, 1, v2
	s_delay_alu instid0(VALU_DEP_2) | instskip(NEXT) | instid1(VALU_DEP_2)
	v_add_nc_u64_e32 v[0:1], s[4:5], v[0:1]
	v_cmp_eq_u32_e64 s2, 1, v2
	s_cbranch_scc1 .LBB198_1437
; %bb.1428:
	s_and_b32 s21, 0xffff, s19
	s_mov_b32 s22, -1
	s_cmp_gt_i32 s21, 25
	s_mov_b32 s0, s18
	s_cbranch_scc0 .LBB198_1465
; %bb.1429:
	s_cmp_gt_i32 s21, 28
	s_mov_b32 s0, s18
	s_cbranch_scc0 .LBB198_1449
; %bb.1430:
	;; [unrolled: 4-line block ×4, first 2 shown]
	s_cmp_eq_u32 s21, 46
	s_mov_b32 s0, -1
	s_cbranch_scc0 .LBB198_1438
; %bb.1433:
	v_cndmask_b32_e64 v2, 0, 1.0, s2
	s_mov_b32 s0, 0
	s_mov_b32 s22, 0
	s_delay_alu instid0(VALU_DEP_1) | instskip(NEXT) | instid1(VALU_DEP_1)
	v_bfe_u32 v3, v2, 16, 1
	v_add3_u32 v2, v2, v3, 0x7fff
	s_delay_alu instid0(VALU_DEP_1)
	v_lshrrev_b32_e32 v2, 16, v2
	global_store_b32 v[0:1], v2, off
	s_branch .LBB198_1439
.LBB198_1434:
	s_or_b32 exec_lo, exec_lo, s20
	s_and_saveexec_b32 s0, s18
	s_cbranch_execnz .LBB198_1507
.LBB198_1435:
	s_or_b32 exec_lo, exec_lo, s0
	s_and_saveexec_b32 s0, s23
	s_delay_alu instid0(SALU_CYCLE_1)
	s_xor_b32 s0, exec_lo, s0
	s_cbranch_execz .LBB198_1508
.LBB198_1436:
	s_wait_loadcnt 0x0
	v_cndmask_b32_e64 v2, 0, 1, s2
	global_store_b8 v[0:1], v2, off
	s_wait_xcnt 0x0
	s_or_b32 exec_lo, exec_lo, s0
	s_and_saveexec_b32 s0, s22
	s_delay_alu instid0(SALU_CYCLE_1)
	s_xor_b32 s0, exec_lo, s0
	s_cbranch_execz .LBB198_1546
	s_branch .LBB198_1509
.LBB198_1437:
	s_mov_b32 s22, -1
	s_mov_b32 s0, s18
	s_branch .LBB198_1506
.LBB198_1438:
	s_mov_b32 s22, 0
.LBB198_1439:
	s_delay_alu instid0(SALU_CYCLE_1)
	s_and_b32 vcc_lo, exec_lo, s22
	s_cbranch_vccz .LBB198_1444
; %bb.1440:
	s_cmp_eq_u32 s21, 44
	s_mov_b32 s0, -1
	s_cbranch_scc0 .LBB198_1444
; %bb.1441:
	v_cndmask_b32_e64 v4, 0, 1.0, s2
	s_mov_b32 s22, exec_lo
	s_wait_xcnt 0x0
	s_delay_alu instid0(VALU_DEP_1) | instskip(NEXT) | instid1(VALU_DEP_1)
	v_dual_mov_b32 v3, 0xff :: v_dual_lshrrev_b32 v2, 23, v4
	v_cmpx_ne_u32_e32 0xff, v2
; %bb.1442:
	v_and_b32_e32 v3, 0x400000, v4
	v_and_or_b32 v4, 0x3fffff, v4, v2
	s_delay_alu instid0(VALU_DEP_2) | instskip(NEXT) | instid1(VALU_DEP_2)
	v_cmp_ne_u32_e32 vcc_lo, 0, v3
	v_cmp_ne_u32_e64 s0, 0, v4
	s_and_b32 s0, vcc_lo, s0
	s_delay_alu instid0(SALU_CYCLE_1) | instskip(NEXT) | instid1(VALU_DEP_1)
	v_cndmask_b32_e64 v3, 0, 1, s0
	v_add_nc_u32_e32 v3, v2, v3
; %bb.1443:
	s_or_b32 exec_lo, exec_lo, s22
	s_mov_b32 s0, 0
	global_store_b8 v[0:1], v3, off
.LBB198_1444:
	s_mov_b32 s22, 0
.LBB198_1445:
	s_delay_alu instid0(SALU_CYCLE_1)
	s_and_b32 vcc_lo, exec_lo, s22
	s_cbranch_vccz .LBB198_1448
; %bb.1446:
	s_cmp_eq_u32 s21, 29
	s_mov_b32 s0, -1
	s_cbranch_scc0 .LBB198_1448
; %bb.1447:
	s_mov_b32 s0, 0
	s_wait_xcnt 0x0
	v_cndmask_b32_e64 v2, 0, 1, s2
	v_mov_b32_e32 v3, s0
	s_mov_b32 s22, 0
	global_store_b64 v[0:1], v[2:3], off
	s_branch .LBB198_1449
.LBB198_1448:
	s_mov_b32 s22, 0
.LBB198_1449:
	s_delay_alu instid0(SALU_CYCLE_1)
	s_and_b32 vcc_lo, exec_lo, s22
	s_cbranch_vccz .LBB198_1464
; %bb.1450:
	s_cmp_lt_i32 s21, 27
	s_mov_b32 s22, -1
	s_cbranch_scc1 .LBB198_1456
; %bb.1451:
	s_wait_xcnt 0x0
	v_cndmask_b32_e64 v2, 0, 1, s2
	s_cmp_gt_i32 s21, 27
	s_cbranch_scc0 .LBB198_1453
; %bb.1452:
	s_mov_b32 s22, 0
	global_store_b32 v[0:1], v2, off
.LBB198_1453:
	s_and_not1_b32 vcc_lo, exec_lo, s22
	s_cbranch_vccnz .LBB198_1455
; %bb.1454:
	global_store_b16 v[0:1], v2, off
.LBB198_1455:
	s_mov_b32 s22, 0
.LBB198_1456:
	s_delay_alu instid0(SALU_CYCLE_1)
	s_and_not1_b32 vcc_lo, exec_lo, s22
	s_cbranch_vccnz .LBB198_1464
; %bb.1457:
	s_wait_xcnt 0x0
	v_cndmask_b32_e64 v3, 0, 1.0, s2
	v_mov_b32_e32 v4, 0x80
	s_mov_b32 s22, exec_lo
	s_delay_alu instid0(VALU_DEP_2)
	v_cmpx_gt_u32_e32 0x43800000, v3
	s_cbranch_execz .LBB198_1463
; %bb.1458:
	s_mov_b32 s24, exec_lo
                                        ; implicit-def: $vgpr2
	v_cmpx_lt_u32_e32 0x3bffffff, v3
	s_xor_b32 s24, exec_lo, s24
	s_cbranch_execz .LBB198_1561
; %bb.1459:
	v_bfe_u32 v2, v3, 20, 1
	s_mov_b32 s23, exec_lo
	s_delay_alu instid0(VALU_DEP_1) | instskip(NEXT) | instid1(VALU_DEP_1)
	v_add3_u32 v2, v3, v2, 0x487ffff
                                        ; implicit-def: $vgpr3
	v_lshrrev_b32_e32 v2, 20, v2
	s_and_not1_saveexec_b32 s24, s24
	s_cbranch_execnz .LBB198_1562
.LBB198_1460:
	s_or_b32 exec_lo, exec_lo, s24
	v_mov_b32_e32 v4, 0
	s_and_saveexec_b32 s24, s23
.LBB198_1461:
	v_mov_b32_e32 v4, v2
.LBB198_1462:
	s_or_b32 exec_lo, exec_lo, s24
.LBB198_1463:
	s_delay_alu instid0(SALU_CYCLE_1)
	s_or_b32 exec_lo, exec_lo, s22
	global_store_b8 v[0:1], v4, off
.LBB198_1464:
	s_mov_b32 s22, 0
.LBB198_1465:
	s_delay_alu instid0(SALU_CYCLE_1)
	s_and_b32 vcc_lo, exec_lo, s22
	s_mov_b32 s22, 0
	s_cbranch_vccz .LBB198_1505
; %bb.1466:
	s_cmp_gt_i32 s21, 22
	s_mov_b32 s23, -1
	s_cbranch_scc0 .LBB198_1498
; %bb.1467:
	s_cmp_lt_i32 s21, 24
	s_cbranch_scc1 .LBB198_1487
; %bb.1468:
	s_cmp_gt_i32 s21, 24
	s_cbranch_scc0 .LBB198_1476
; %bb.1469:
	s_wait_xcnt 0x0
	v_cndmask_b32_e64 v3, 0, 1.0, s2
	v_mov_b32_e32 v4, 0x80
	s_mov_b32 s23, exec_lo
	s_delay_alu instid0(VALU_DEP_2)
	v_cmpx_gt_u32_e32 0x47800000, v3
	s_cbranch_execz .LBB198_1475
; %bb.1470:
	s_mov_b32 s24, 0
	s_mov_b32 s25, exec_lo
                                        ; implicit-def: $vgpr2
	v_cmpx_lt_u32_e32 0x37ffffff, v3
	s_xor_b32 s25, exec_lo, s25
	s_cbranch_execz .LBB198_1687
; %bb.1471:
	v_bfe_u32 v2, v3, 21, 1
	s_mov_b32 s24, exec_lo
	s_delay_alu instid0(VALU_DEP_1) | instskip(NEXT) | instid1(VALU_DEP_1)
	v_add3_u32 v2, v3, v2, 0x88fffff
                                        ; implicit-def: $vgpr3
	v_lshrrev_b32_e32 v2, 21, v2
	s_and_not1_saveexec_b32 s25, s25
	s_cbranch_execnz .LBB198_1688
.LBB198_1472:
	s_or_b32 exec_lo, exec_lo, s25
	v_mov_b32_e32 v4, 0
	s_and_saveexec_b32 s25, s24
.LBB198_1473:
	v_mov_b32_e32 v4, v2
.LBB198_1474:
	s_or_b32 exec_lo, exec_lo, s25
.LBB198_1475:
	s_delay_alu instid0(SALU_CYCLE_1)
	s_or_b32 exec_lo, exec_lo, s23
	s_mov_b32 s23, 0
	global_store_b8 v[0:1], v4, off
.LBB198_1476:
	s_and_b32 vcc_lo, exec_lo, s23
	s_cbranch_vccz .LBB198_1486
; %bb.1477:
	s_wait_xcnt 0x0
	v_cndmask_b32_e64 v3, 0, 1.0, s2
	s_mov_b32 s23, exec_lo
                                        ; implicit-def: $vgpr2
	s_delay_alu instid0(VALU_DEP_1)
	v_cmpx_gt_u32_e32 0x43f00000, v3
	s_xor_b32 s23, exec_lo, s23
	s_cbranch_execz .LBB198_1483
; %bb.1478:
	s_mov_b32 s24, exec_lo
                                        ; implicit-def: $vgpr2
	v_cmpx_lt_u32_e32 0x3c7fffff, v3
	s_xor_b32 s24, exec_lo, s24
; %bb.1479:
	v_bfe_u32 v2, v3, 20, 1
	s_delay_alu instid0(VALU_DEP_1) | instskip(NEXT) | instid1(VALU_DEP_1)
	v_add3_u32 v2, v3, v2, 0x407ffff
	v_and_b32_e32 v3, 0xff00000, v2
	v_lshrrev_b32_e32 v2, 20, v2
	s_delay_alu instid0(VALU_DEP_2) | instskip(NEXT) | instid1(VALU_DEP_2)
	v_cmp_ne_u32_e32 vcc_lo, 0x7f00000, v3
                                        ; implicit-def: $vgpr3
	v_cndmask_b32_e32 v2, 0x7e, v2, vcc_lo
; %bb.1480:
	s_and_not1_saveexec_b32 s24, s24
; %bb.1481:
	v_add_f32_e32 v2, 0x46800000, v3
; %bb.1482:
	s_or_b32 exec_lo, exec_lo, s24
                                        ; implicit-def: $vgpr3
.LBB198_1483:
	s_and_not1_saveexec_b32 s23, s23
; %bb.1484:
	v_mov_b32_e32 v2, 0x7f
	v_cmp_lt_u32_e32 vcc_lo, 0x7f800000, v3
	s_delay_alu instid0(VALU_DEP_2)
	v_cndmask_b32_e32 v2, 0x7e, v2, vcc_lo
; %bb.1485:
	s_or_b32 exec_lo, exec_lo, s23
	global_store_b8 v[0:1], v2, off
.LBB198_1486:
	s_mov_b32 s23, 0
.LBB198_1487:
	s_delay_alu instid0(SALU_CYCLE_1)
	s_and_not1_b32 vcc_lo, exec_lo, s23
	s_cbranch_vccnz .LBB198_1497
; %bb.1488:
	s_wait_xcnt 0x0
	v_cndmask_b32_e64 v3, 0, 1.0, s2
	s_mov_b32 s23, exec_lo
                                        ; implicit-def: $vgpr2
	s_delay_alu instid0(VALU_DEP_1)
	v_cmpx_gt_u32_e32 0x47800000, v3
	s_xor_b32 s23, exec_lo, s23
	s_cbranch_execz .LBB198_1494
; %bb.1489:
	s_mov_b32 s24, exec_lo
                                        ; implicit-def: $vgpr2
	v_cmpx_lt_u32_e32 0x387fffff, v3
	s_xor_b32 s24, exec_lo, s24
; %bb.1490:
	v_bfe_u32 v2, v3, 21, 1
	s_delay_alu instid0(VALU_DEP_1) | instskip(NEXT) | instid1(VALU_DEP_1)
	v_add3_u32 v2, v3, v2, 0x80fffff
                                        ; implicit-def: $vgpr3
	v_lshrrev_b32_e32 v2, 21, v2
; %bb.1491:
	s_and_not1_saveexec_b32 s24, s24
; %bb.1492:
	v_add_f32_e32 v2, 0x43000000, v3
; %bb.1493:
	s_or_b32 exec_lo, exec_lo, s24
                                        ; implicit-def: $vgpr3
.LBB198_1494:
	s_and_not1_saveexec_b32 s23, s23
; %bb.1495:
	v_mov_b32_e32 v2, 0x7f
	v_cmp_lt_u32_e32 vcc_lo, 0x7f800000, v3
	s_delay_alu instid0(VALU_DEP_2)
	v_cndmask_b32_e32 v2, 0x7c, v2, vcc_lo
; %bb.1496:
	s_or_b32 exec_lo, exec_lo, s23
	global_store_b8 v[0:1], v2, off
.LBB198_1497:
	s_mov_b32 s23, 0
.LBB198_1498:
	s_delay_alu instid0(SALU_CYCLE_1)
	s_and_not1_b32 vcc_lo, exec_lo, s23
	s_mov_b32 s23, 0
	s_cbranch_vccnz .LBB198_1506
; %bb.1499:
	s_cmp_gt_i32 s21, 14
	s_mov_b32 s23, -1
	s_cbranch_scc0 .LBB198_1503
; %bb.1500:
	s_cmp_eq_u32 s21, 15
	s_mov_b32 s0, -1
	s_cbranch_scc0 .LBB198_1502
; %bb.1501:
	s_wait_xcnt 0x0
	v_cndmask_b32_e64 v2, 0, 1.0, s2
	s_mov_b32 s0, 0
	s_delay_alu instid0(VALU_DEP_1) | instskip(NEXT) | instid1(VALU_DEP_1)
	v_bfe_u32 v3, v2, 16, 1
	v_add3_u32 v2, v2, v3, 0x7fff
	global_store_d16_hi_b16 v[0:1], v2, off
.LBB198_1502:
	s_mov_b32 s23, 0
.LBB198_1503:
	s_delay_alu instid0(SALU_CYCLE_1)
	s_and_b32 vcc_lo, exec_lo, s23
	s_mov_b32 s23, 0
	s_cbranch_vccz .LBB198_1506
; %bb.1504:
	s_cmp_lg_u32 s21, 11
	s_mov_b32 s23, -1
	s_cselect_b32 s21, -1, 0
	s_and_not1_b32 s0, s0, exec_lo
	s_and_b32 s21, s21, exec_lo
	s_delay_alu instid0(SALU_CYCLE_1)
	s_or_b32 s0, s0, s21
	s_branch .LBB198_1506
.LBB198_1505:
	s_mov_b32 s23, 0
.LBB198_1506:
	s_and_not1_b32 s18, s18, exec_lo
	s_and_b32 s0, s0, exec_lo
	s_and_b32 s22, s22, exec_lo
	;; [unrolled: 1-line block ×3, first 2 shown]
	s_or_b32 s18, s18, s0
	s_wait_xcnt 0x0
	s_or_b32 exec_lo, exec_lo, s20
	s_and_saveexec_b32 s0, s18
	s_cbranch_execz .LBB198_1435
.LBB198_1507:
	s_or_b32 s1, s1, exec_lo
	s_and_not1_b32 s23, s23, exec_lo
	s_trap 2
	s_or_b32 exec_lo, exec_lo, s0
	s_and_saveexec_b32 s0, s23
	s_delay_alu instid0(SALU_CYCLE_1)
	s_xor_b32 s0, exec_lo, s0
	s_cbranch_execnz .LBB198_1436
.LBB198_1508:
	s_or_b32 exec_lo, exec_lo, s0
	s_and_saveexec_b32 s0, s22
	s_delay_alu instid0(SALU_CYCLE_1)
	s_xor_b32 s0, exec_lo, s0
	s_cbranch_execz .LBB198_1546
.LBB198_1509:
	s_sext_i32_i16 s20, s19
	s_mov_b32 s18, -1
	s_cmp_lt_i32 s20, 5
	s_cbranch_scc1 .LBB198_1530
; %bb.1510:
	s_cmp_lt_i32 s20, 8
	s_cbranch_scc1 .LBB198_1520
; %bb.1511:
	;; [unrolled: 3-line block ×3, first 2 shown]
	s_cmp_gt_i32 s20, 9
	s_cbranch_scc0 .LBB198_1514
; %bb.1513:
	s_wait_loadcnt 0x0
	v_cndmask_b32_e64 v2, 0, 1, s2
	v_mov_b32_e32 v4, 0
	s_mov_b32 s18, 0
	s_delay_alu instid0(VALU_DEP_2) | instskip(NEXT) | instid1(VALU_DEP_2)
	v_cvt_f64_u32_e32 v[2:3], v2
	v_mov_b32_e32 v5, v4
	global_store_b128 v[0:1], v[2:5], off
.LBB198_1514:
	s_and_not1_b32 vcc_lo, exec_lo, s18
	s_cbranch_vccnz .LBB198_1516
; %bb.1515:
	s_wait_loadcnt 0x0
	v_cndmask_b32_e64 v2, 0, 1.0, s2
	v_mov_b32_e32 v3, 0
	global_store_b64 v[0:1], v[2:3], off
.LBB198_1516:
	s_mov_b32 s18, 0
.LBB198_1517:
	s_delay_alu instid0(SALU_CYCLE_1)
	s_and_not1_b32 vcc_lo, exec_lo, s18
	s_cbranch_vccnz .LBB198_1519
; %bb.1518:
	s_wait_loadcnt 0x0
	v_cndmask_b32_e64 v2, 0, 1.0, s2
	s_delay_alu instid0(VALU_DEP_1) | instskip(NEXT) | instid1(VALU_DEP_1)
	v_cvt_f16_f32_e32 v2, v2
	v_and_b32_e32 v2, 0xffff, v2
	global_store_b32 v[0:1], v2, off
.LBB198_1519:
	s_mov_b32 s18, 0
.LBB198_1520:
	s_delay_alu instid0(SALU_CYCLE_1)
	s_and_not1_b32 vcc_lo, exec_lo, s18
	s_cbranch_vccnz .LBB198_1529
; %bb.1521:
	s_sext_i32_i16 s20, s19
	s_mov_b32 s18, -1
	s_cmp_lt_i32 s20, 6
	s_cbranch_scc1 .LBB198_1527
; %bb.1522:
	s_cmp_gt_i32 s20, 6
	s_cbranch_scc0 .LBB198_1524
; %bb.1523:
	s_wait_loadcnt 0x0
	v_cndmask_b32_e64 v2, 0, 1, s2
	s_mov_b32 s18, 0
	s_delay_alu instid0(VALU_DEP_1)
	v_cvt_f64_u32_e32 v[2:3], v2
	global_store_b64 v[0:1], v[2:3], off
.LBB198_1524:
	s_and_not1_b32 vcc_lo, exec_lo, s18
	s_cbranch_vccnz .LBB198_1526
; %bb.1525:
	s_wait_loadcnt 0x0
	v_cndmask_b32_e64 v2, 0, 1.0, s2
	global_store_b32 v[0:1], v2, off
.LBB198_1526:
	s_mov_b32 s18, 0
.LBB198_1527:
	s_delay_alu instid0(SALU_CYCLE_1)
	s_and_not1_b32 vcc_lo, exec_lo, s18
	s_cbranch_vccnz .LBB198_1529
; %bb.1528:
	s_wait_loadcnt 0x0
	v_cndmask_b32_e64 v2, 0, 1.0, s2
	s_delay_alu instid0(VALU_DEP_1)
	v_cvt_f16_f32_e32 v2, v2
	global_store_b16 v[0:1], v2, off
.LBB198_1529:
	s_mov_b32 s18, 0
.LBB198_1530:
	s_delay_alu instid0(SALU_CYCLE_1)
	s_and_not1_b32 vcc_lo, exec_lo, s18
	s_cbranch_vccnz .LBB198_1546
; %bb.1531:
	s_sext_i32_i16 s20, s19
	s_mov_b32 s18, -1
	s_cmp_lt_i32 s20, 2
	s_cbranch_scc1 .LBB198_1541
; %bb.1532:
	s_cmp_lt_i32 s20, 3
	s_cbranch_scc1 .LBB198_1538
; %bb.1533:
	s_cmp_gt_i32 s20, 3
	s_cbranch_scc0 .LBB198_1535
; %bb.1534:
	s_mov_b32 s18, 0
	s_wait_loadcnt 0x0
	v_cndmask_b32_e64 v2, 0, 1, s2
	v_mov_b32_e32 v3, s18
	global_store_b64 v[0:1], v[2:3], off
.LBB198_1535:
	s_and_not1_b32 vcc_lo, exec_lo, s18
	s_cbranch_vccnz .LBB198_1537
; %bb.1536:
	s_wait_loadcnt 0x0
	v_cndmask_b32_e64 v2, 0, 1, s2
	global_store_b32 v[0:1], v2, off
.LBB198_1537:
	s_mov_b32 s18, 0
.LBB198_1538:
	s_delay_alu instid0(SALU_CYCLE_1)
	s_and_not1_b32 vcc_lo, exec_lo, s18
	s_cbranch_vccnz .LBB198_1540
; %bb.1539:
	s_wait_loadcnt 0x0
	v_cndmask_b32_e64 v2, 0, 1, s2
	global_store_b16 v[0:1], v2, off
.LBB198_1540:
	s_mov_b32 s18, 0
.LBB198_1541:
	s_delay_alu instid0(SALU_CYCLE_1)
	s_and_not1_b32 vcc_lo, exec_lo, s18
	s_cbranch_vccnz .LBB198_1546
; %bb.1542:
	s_wait_loadcnt 0x0
	v_cndmask_b32_e64 v2, 0, 1, s2
	s_sext_i32_i16 s18, s19
	s_mov_b32 s2, -1
	s_cmp_gt_i32 s18, 0
	s_cbranch_scc0 .LBB198_1544
; %bb.1543:
	s_mov_b32 s2, 0
	global_store_b8 v[0:1], v2, off
.LBB198_1544:
	s_and_not1_b32 vcc_lo, exec_lo, s2
	s_cbranch_vccnz .LBB198_1546
; %bb.1545:
	global_store_b8 v[0:1], v2, off
.LBB198_1546:
	s_wait_xcnt 0x0
	s_or_b32 exec_lo, exec_lo, s0
	s_delay_alu instid0(SALU_CYCLE_1)
	s_and_b32 s18, s1, exec_lo
                                        ; implicit-def: $vgpr6
.LBB198_1547:
	s_or_saveexec_b32 s17, s17
	s_mov_b32 s0, 0
                                        ; implicit-def: $sgpr1
                                        ; implicit-def: $sgpr19
                                        ; implicit-def: $vgpr0_vgpr1
	s_xor_b32 exec_lo, exec_lo, s17
	s_cbranch_execz .LBB198_3024
; %bb.1548:
	v_mul_lo_u32 v0, s9, v6
	s_and_b32 s0, s16, 0xff
	s_delay_alu instid0(SALU_CYCLE_1) | instskip(NEXT) | instid1(VALU_DEP_1)
	s_cmp_lt_i32 s0, 11
	v_ashrrev_i32_e32 v1, 31, v0
	s_wait_loadcnt 0x0
	s_delay_alu instid0(VALU_DEP_1)
	v_add_nc_u64_e32 v[2:3], s[6:7], v[0:1]
	s_cbranch_scc1 .LBB198_1555
; %bb.1549:
	s_and_b32 s1, 0xffff, s0
	s_mov_b32 s16, 0
	s_cmp_gt_i32 s1, 25
	s_cbranch_scc0 .LBB198_1557
; %bb.1550:
	s_cmp_gt_i32 s1, 28
	s_cbranch_scc0 .LBB198_1558
; %bb.1551:
	;; [unrolled: 3-line block ×4, first 2 shown]
	s_cmp_eq_u32 s1, 46
	s_cbranch_scc0 .LBB198_1563
; %bb.1554:
	global_load_b32 v7, v[2:3], off
	s_mov_b32 s2, 0
	s_mov_b32 s19, -1
	s_branch .LBB198_1565
.LBB198_1555:
	s_mov_b32 s19, 0
	s_mov_b32 s15, s18
                                        ; implicit-def: $vgpr7
	s_cbranch_execnz .LBB198_1628
.LBB198_1556:
	s_and_not1_b32 vcc_lo, exec_lo, s19
	s_cbranch_vccz .LBB198_1673
	s_branch .LBB198_3022
.LBB198_1557:
	s_mov_b32 s19, 0
	s_mov_b32 s2, 0
                                        ; implicit-def: $vgpr7
	s_cbranch_execnz .LBB198_1593
	s_branch .LBB198_1624
.LBB198_1558:
	s_mov_b32 s15, -1
	s_mov_b32 s19, 0
	s_mov_b32 s2, 0
                                        ; implicit-def: $vgpr7
	s_branch .LBB198_1574
.LBB198_1559:
	s_mov_b32 s19, 0
	s_mov_b32 s2, 0
                                        ; implicit-def: $vgpr7
	s_cbranch_execnz .LBB198_1570
	s_branch .LBB198_1573
.LBB198_1560:
	s_mov_b32 s15, -1
	s_mov_b32 s19, 0
	s_mov_b32 s2, 0
	s_branch .LBB198_1564
.LBB198_1561:
	s_and_not1_saveexec_b32 s24, s24
	s_cbranch_execz .LBB198_1460
.LBB198_1562:
	v_add_f32_e32 v2, 0x46000000, v3
	s_and_not1_b32 s23, s23, exec_lo
	s_delay_alu instid0(VALU_DEP_1) | instskip(NEXT) | instid1(VALU_DEP_1)
	v_and_b32_e32 v2, 0xff, v2
	v_cmp_ne_u32_e32 vcc_lo, 0, v2
	s_and_b32 s25, vcc_lo, exec_lo
	s_delay_alu instid0(SALU_CYCLE_1)
	s_or_b32 s23, s23, s25
	s_or_b32 exec_lo, exec_lo, s24
	v_mov_b32_e32 v4, 0
	s_and_saveexec_b32 s24, s23
	s_cbranch_execnz .LBB198_1461
	s_branch .LBB198_1462
.LBB198_1563:
	s_mov_b32 s2, -1
	s_mov_b32 s19, 0
.LBB198_1564:
                                        ; implicit-def: $vgpr7
.LBB198_1565:
	s_and_b32 vcc_lo, exec_lo, s15
	s_cbranch_vccz .LBB198_1568
; %bb.1566:
	s_cmp_eq_u32 s1, 44
	s_cbranch_scc0 .LBB198_1569
; %bb.1567:
	global_load_u8 v1, v[2:3], off
	s_mov_b32 s2, 0
	s_mov_b32 s19, -1
	s_wait_loadcnt 0x0
	v_lshlrev_b32_e32 v4, 23, v1
	v_cmp_ne_u32_e32 vcc_lo, 0xff, v1
	s_delay_alu instid0(VALU_DEP_2) | instskip(SKIP_1) | instid1(VALU_DEP_2)
	v_cndmask_b32_e32 v4, 0x7f800001, v4, vcc_lo
	v_cmp_ne_u32_e32 vcc_lo, 0, v1
	v_cndmask_b32_e32 v1, 0x400000, v4, vcc_lo
	s_delay_alu instid0(VALU_DEP_1) | instskip(NEXT) | instid1(VALU_DEP_1)
	v_add_nc_u32_e32 v4, 0x7fff, v1
	v_lshrrev_b32_e32 v4, 16, v4
	v_cmp_o_f32_e32 vcc_lo, v1, v1
	s_delay_alu instid0(VALU_DEP_2)
	v_cndmask_b32_e32 v7, 0x7fc0, v4, vcc_lo
.LBB198_1568:
	s_branch .LBB198_1573
.LBB198_1569:
	s_mov_b32 s2, -1
                                        ; implicit-def: $vgpr7
	s_branch .LBB198_1573
.LBB198_1570:
	s_cmp_eq_u32 s1, 29
	s_cbranch_scc0 .LBB198_1572
; %bb.1571:
	global_load_b64 v[4:5], v[2:3], off
	s_mov_b32 s2, 0
	s_mov_b32 s19, -1
	s_mov_b32 s15, 0
	s_wait_loadcnt 0x0
	v_clz_i32_u32_e32 v1, v5
	s_delay_alu instid0(VALU_DEP_1) | instskip(NEXT) | instid1(VALU_DEP_1)
	v_min_u32_e32 v1, 32, v1
	v_lshlrev_b64_e32 v[4:5], v1, v[4:5]
	v_sub_nc_u32_e32 v1, 32, v1
	s_delay_alu instid0(VALU_DEP_2) | instskip(NEXT) | instid1(VALU_DEP_1)
	v_min_u32_e32 v4, 1, v4
	v_or_b32_e32 v4, v5, v4
	s_delay_alu instid0(VALU_DEP_1) | instskip(NEXT) | instid1(VALU_DEP_1)
	v_cvt_f32_u32_e32 v4, v4
	v_ldexp_f32 v1, v4, v1
	s_delay_alu instid0(VALU_DEP_1) | instskip(NEXT) | instid1(VALU_DEP_1)
	v_bfe_u32 v4, v1, 16, 1
	v_add3_u32 v1, v1, v4, 0x7fff
	s_delay_alu instid0(VALU_DEP_1)
	v_lshrrev_b32_e32 v7, 16, v1
	s_branch .LBB198_1574
.LBB198_1572:
	s_mov_b32 s2, -1
                                        ; implicit-def: $vgpr7
.LBB198_1573:
	s_mov_b32 s15, 0
.LBB198_1574:
	s_delay_alu instid0(SALU_CYCLE_1)
	s_and_b32 vcc_lo, exec_lo, s15
	s_cbranch_vccz .LBB198_1592
; %bb.1575:
	s_cmp_lt_i32 s1, 27
	s_cbranch_scc1 .LBB198_1578
; %bb.1576:
	s_cmp_gt_i32 s1, 27
	s_cbranch_scc0 .LBB198_1579
; %bb.1577:
	global_load_b32 v1, v[2:3], off
	s_mov_b32 s15, 0
	s_wait_loadcnt 0x0
	v_cvt_f32_u32_e32 v1, v1
	s_delay_alu instid0(VALU_DEP_1) | instskip(NEXT) | instid1(VALU_DEP_1)
	v_bfe_u32 v4, v1, 16, 1
	v_add3_u32 v1, v1, v4, 0x7fff
	s_delay_alu instid0(VALU_DEP_1)
	v_lshrrev_b32_e32 v7, 16, v1
	s_branch .LBB198_1580
.LBB198_1578:
	s_mov_b32 s15, -1
                                        ; implicit-def: $vgpr7
	s_branch .LBB198_1583
.LBB198_1579:
	s_mov_b32 s15, -1
                                        ; implicit-def: $vgpr7
.LBB198_1580:
	s_delay_alu instid0(SALU_CYCLE_1)
	s_and_not1_b32 vcc_lo, exec_lo, s15
	s_cbranch_vccnz .LBB198_1582
; %bb.1581:
	global_load_u16 v1, v[2:3], off
	s_wait_loadcnt 0x0
	v_cvt_f32_u32_e32 v1, v1
	s_delay_alu instid0(VALU_DEP_1) | instskip(NEXT) | instid1(VALU_DEP_1)
	v_bfe_u32 v4, v1, 16, 1
	v_add3_u32 v1, v1, v4, 0x7fff
	s_delay_alu instid0(VALU_DEP_1)
	v_lshrrev_b32_e32 v7, 16, v1
.LBB198_1582:
	s_mov_b32 s15, 0
.LBB198_1583:
	s_delay_alu instid0(SALU_CYCLE_1)
	s_and_not1_b32 vcc_lo, exec_lo, s15
	s_cbranch_vccnz .LBB198_1591
; %bb.1584:
	global_load_u8 v1, v[2:3], off
	s_mov_b32 s15, 0
	s_mov_b32 s19, exec_lo
	s_wait_loadcnt 0x0
	v_cmpx_lt_i16_e32 0x7f, v1
	s_xor_b32 s19, exec_lo, s19
	s_cbranch_execz .LBB198_1604
; %bb.1585:
	s_mov_b32 s15, -1
	s_mov_b32 s20, exec_lo
	v_cmpx_eq_u16_e32 0x80, v1
; %bb.1586:
	s_xor_b32 s15, exec_lo, -1
; %bb.1587:
	s_or_b32 exec_lo, exec_lo, s20
	s_delay_alu instid0(SALU_CYCLE_1)
	s_and_b32 s15, s15, exec_lo
	s_or_saveexec_b32 s19, s19
	v_mov_b32_e32 v4, 0x7f800001
	s_xor_b32 exec_lo, exec_lo, s19
	s_cbranch_execnz .LBB198_1605
.LBB198_1588:
	s_or_b32 exec_lo, exec_lo, s19
	s_and_saveexec_b32 s19, s15
	s_cbranch_execz .LBB198_1590
.LBB198_1589:
	v_and_b32_e32 v4, 0xffff, v1
	s_delay_alu instid0(VALU_DEP_1) | instskip(SKIP_1) | instid1(VALU_DEP_2)
	v_and_b32_e32 v5, 7, v4
	v_bfe_u32 v9, v4, 3, 4
	v_clz_i32_u32_e32 v7, v5
	s_delay_alu instid0(VALU_DEP_2) | instskip(NEXT) | instid1(VALU_DEP_2)
	v_cmp_eq_u32_e32 vcc_lo, 0, v9
	v_min_u32_e32 v7, 32, v7
	s_delay_alu instid0(VALU_DEP_1) | instskip(NEXT) | instid1(VALU_DEP_1)
	v_subrev_nc_u32_e32 v8, 28, v7
	v_dual_lshlrev_b32 v4, v8, v4 :: v_dual_sub_nc_u32 v7, 29, v7
	s_delay_alu instid0(VALU_DEP_1) | instskip(NEXT) | instid1(VALU_DEP_2)
	v_dual_lshlrev_b32 v1, 24, v1 :: v_dual_bitop2_b32 v4, 7, v4 bitop3:0x40
	v_cndmask_b32_e32 v7, v9, v7, vcc_lo
	s_delay_alu instid0(VALU_DEP_2) | instskip(NEXT) | instid1(VALU_DEP_3)
	v_cndmask_b32_e32 v4, v5, v4, vcc_lo
	v_and_b32_e32 v1, 0x80000000, v1
	s_delay_alu instid0(VALU_DEP_3) | instskip(NEXT) | instid1(VALU_DEP_3)
	v_lshl_add_u32 v5, v7, 23, 0x3b800000
	v_lshlrev_b32_e32 v4, 20, v4
	s_delay_alu instid0(VALU_DEP_1)
	v_or3_b32 v4, v1, v5, v4
.LBB198_1590:
	s_or_b32 exec_lo, exec_lo, s19
	s_delay_alu instid0(VALU_DEP_1) | instskip(SKIP_1) | instid1(VALU_DEP_2)
	v_bfe_u32 v1, v4, 16, 1
	v_cmp_o_f32_e32 vcc_lo, v4, v4
	v_add3_u32 v1, v4, v1, 0x7fff
	s_delay_alu instid0(VALU_DEP_1) | instskip(NEXT) | instid1(VALU_DEP_1)
	v_lshrrev_b32_e32 v1, 16, v1
	v_cndmask_b32_e32 v7, 0x7fc0, v1, vcc_lo
.LBB198_1591:
	s_mov_b32 s19, -1
.LBB198_1592:
	s_branch .LBB198_1624
.LBB198_1593:
	s_cmp_gt_i32 s1, 22
	s_cbranch_scc0 .LBB198_1603
; %bb.1594:
	s_cmp_lt_i32 s1, 24
	s_cbranch_scc1 .LBB198_1606
; %bb.1595:
	s_cmp_gt_i32 s1, 24
	s_cbranch_scc0 .LBB198_1607
; %bb.1596:
	global_load_u8 v1, v[2:3], off
	s_mov_b32 s15, 0
	s_mov_b32 s16, exec_lo
	s_wait_loadcnt 0x0
	v_cmpx_lt_i16_e32 0x7f, v1
	s_xor_b32 s16, exec_lo, s16
	s_cbranch_execz .LBB198_1618
; %bb.1597:
	s_mov_b32 s15, -1
	s_mov_b32 s19, exec_lo
	v_cmpx_eq_u16_e32 0x80, v1
; %bb.1598:
	s_xor_b32 s15, exec_lo, -1
; %bb.1599:
	s_or_b32 exec_lo, exec_lo, s19
	s_delay_alu instid0(SALU_CYCLE_1)
	s_and_b32 s15, s15, exec_lo
	s_or_saveexec_b32 s16, s16
	v_mov_b32_e32 v4, 0x7f800001
	s_xor_b32 exec_lo, exec_lo, s16
	s_cbranch_execnz .LBB198_1619
.LBB198_1600:
	s_or_b32 exec_lo, exec_lo, s16
	s_and_saveexec_b32 s16, s15
	s_cbranch_execz .LBB198_1602
.LBB198_1601:
	v_and_b32_e32 v4, 0xffff, v1
	s_delay_alu instid0(VALU_DEP_1) | instskip(SKIP_1) | instid1(VALU_DEP_2)
	v_and_b32_e32 v5, 3, v4
	v_bfe_u32 v9, v4, 2, 5
	v_clz_i32_u32_e32 v7, v5
	s_delay_alu instid0(VALU_DEP_2) | instskip(NEXT) | instid1(VALU_DEP_2)
	v_cmp_eq_u32_e32 vcc_lo, 0, v9
	v_min_u32_e32 v7, 32, v7
	s_delay_alu instid0(VALU_DEP_1) | instskip(NEXT) | instid1(VALU_DEP_1)
	v_subrev_nc_u32_e32 v8, 29, v7
	v_dual_lshlrev_b32 v4, v8, v4 :: v_dual_sub_nc_u32 v7, 30, v7
	s_delay_alu instid0(VALU_DEP_1) | instskip(NEXT) | instid1(VALU_DEP_2)
	v_dual_lshlrev_b32 v1, 24, v1 :: v_dual_bitop2_b32 v4, 3, v4 bitop3:0x40
	v_cndmask_b32_e32 v7, v9, v7, vcc_lo
	s_delay_alu instid0(VALU_DEP_2) | instskip(NEXT) | instid1(VALU_DEP_3)
	v_cndmask_b32_e32 v4, v5, v4, vcc_lo
	v_and_b32_e32 v1, 0x80000000, v1
	s_delay_alu instid0(VALU_DEP_3) | instskip(NEXT) | instid1(VALU_DEP_3)
	v_lshl_add_u32 v5, v7, 23, 0x37800000
	v_lshlrev_b32_e32 v4, 21, v4
	s_delay_alu instid0(VALU_DEP_1)
	v_or3_b32 v4, v1, v5, v4
.LBB198_1602:
	s_or_b32 exec_lo, exec_lo, s16
	s_delay_alu instid0(VALU_DEP_1) | instskip(SKIP_2) | instid1(VALU_DEP_2)
	v_bfe_u32 v1, v4, 16, 1
	v_cmp_o_f32_e32 vcc_lo, v4, v4
	s_mov_b32 s15, 0
	v_add3_u32 v1, v4, v1, 0x7fff
	s_delay_alu instid0(VALU_DEP_1) | instskip(NEXT) | instid1(VALU_DEP_1)
	v_lshrrev_b32_e32 v1, 16, v1
	v_cndmask_b32_e32 v7, 0x7fc0, v1, vcc_lo
	s_branch .LBB198_1608
.LBB198_1603:
                                        ; implicit-def: $vgpr7
	s_mov_b32 s16, 0
	s_branch .LBB198_1614
.LBB198_1604:
	s_or_saveexec_b32 s19, s19
	v_mov_b32_e32 v4, 0x7f800001
	s_xor_b32 exec_lo, exec_lo, s19
	s_cbranch_execz .LBB198_1588
.LBB198_1605:
	v_cmp_ne_u16_e32 vcc_lo, 0, v1
	v_mov_b32_e32 v4, 0
	s_and_not1_b32 s15, s15, exec_lo
	s_and_b32 s20, vcc_lo, exec_lo
	s_delay_alu instid0(SALU_CYCLE_1)
	s_or_b32 s15, s15, s20
	s_or_b32 exec_lo, exec_lo, s19
	s_and_saveexec_b32 s19, s15
	s_cbranch_execnz .LBB198_1589
	s_branch .LBB198_1590
.LBB198_1606:
	s_mov_b32 s15, -1
                                        ; implicit-def: $vgpr7
	s_branch .LBB198_1611
.LBB198_1607:
	s_mov_b32 s15, -1
                                        ; implicit-def: $vgpr7
.LBB198_1608:
	s_delay_alu instid0(SALU_CYCLE_1)
	s_and_b32 vcc_lo, exec_lo, s15
	s_cbranch_vccz .LBB198_1610
; %bb.1609:
	global_load_u8 v1, v[2:3], off
	s_wait_loadcnt 0x0
	v_lshlrev_b32_e32 v1, 24, v1
	s_delay_alu instid0(VALU_DEP_1) | instskip(NEXT) | instid1(VALU_DEP_1)
	v_and_b32_e32 v4, 0x7f000000, v1
	v_clz_i32_u32_e32 v5, v4
	v_add_nc_u32_e32 v8, 0x1000000, v4
	v_cmp_ne_u32_e32 vcc_lo, 0, v4
	s_delay_alu instid0(VALU_DEP_3) | instskip(NEXT) | instid1(VALU_DEP_1)
	v_min_u32_e32 v5, 32, v5
	v_sub_nc_u32_e64 v5, v5, 4 clamp
	s_delay_alu instid0(VALU_DEP_1) | instskip(NEXT) | instid1(VALU_DEP_1)
	v_dual_lshlrev_b32 v7, v5, v4 :: v_dual_lshlrev_b32 v5, 23, v5
	v_lshrrev_b32_e32 v7, 4, v7
	s_delay_alu instid0(VALU_DEP_1) | instskip(NEXT) | instid1(VALU_DEP_1)
	v_dual_sub_nc_u32 v5, v7, v5 :: v_dual_ashrrev_i32 v7, 8, v8
	v_add_nc_u32_e32 v5, 0x3c000000, v5
	s_delay_alu instid0(VALU_DEP_1) | instskip(NEXT) | instid1(VALU_DEP_1)
	v_and_or_b32 v5, 0x7f800000, v7, v5
	v_cndmask_b32_e32 v4, 0, v5, vcc_lo
	s_delay_alu instid0(VALU_DEP_1) | instskip(SKIP_1) | instid1(VALU_DEP_2)
	v_and_or_b32 v1, 0x80000000, v1, v4
	v_bfe_u32 v4, v4, 16, 1
	v_cmp_o_f32_e32 vcc_lo, v1, v1
	s_delay_alu instid0(VALU_DEP_2) | instskip(NEXT) | instid1(VALU_DEP_1)
	v_add3_u32 v4, v1, v4, 0x7fff
	v_lshrrev_b32_e32 v4, 16, v4
	s_delay_alu instid0(VALU_DEP_1)
	v_cndmask_b32_e32 v7, 0x7fc0, v4, vcc_lo
.LBB198_1610:
	s_mov_b32 s15, 0
.LBB198_1611:
	s_delay_alu instid0(SALU_CYCLE_1)
	s_and_not1_b32 vcc_lo, exec_lo, s15
	s_cbranch_vccnz .LBB198_1613
; %bb.1612:
	global_load_u8 v1, v[2:3], off
	s_wait_loadcnt 0x0
	v_lshlrev_b32_e32 v4, 25, v1
	v_lshlrev_b16 v1, 8, v1
	s_delay_alu instid0(VALU_DEP_1) | instskip(SKIP_1) | instid1(VALU_DEP_2)
	v_and_or_b32 v7, 0x7f00, v1, 0.5
	v_bfe_i32 v1, v1, 0, 16
	v_dual_add_f32 v7, -0.5, v7 :: v_dual_lshrrev_b32 v5, 4, v4
	v_cmp_gt_u32_e32 vcc_lo, 0x8000000, v4
	s_delay_alu instid0(VALU_DEP_2) | instskip(NEXT) | instid1(VALU_DEP_1)
	v_or_b32_e32 v5, 0x70000000, v5
	v_mul_f32_e32 v5, 0x7800000, v5
	s_delay_alu instid0(VALU_DEP_1) | instskip(NEXT) | instid1(VALU_DEP_1)
	v_cndmask_b32_e32 v4, v5, v7, vcc_lo
	v_and_or_b32 v1, 0x80000000, v1, v4
	v_bfe_u32 v4, v4, 16, 1
	s_delay_alu instid0(VALU_DEP_2) | instskip(NEXT) | instid1(VALU_DEP_2)
	v_cmp_o_f32_e32 vcc_lo, v1, v1
	v_add3_u32 v4, v1, v4, 0x7fff
	s_delay_alu instid0(VALU_DEP_1) | instskip(NEXT) | instid1(VALU_DEP_1)
	v_lshrrev_b32_e32 v4, 16, v4
	v_cndmask_b32_e32 v7, 0x7fc0, v4, vcc_lo
.LBB198_1613:
	s_mov_b32 s19, -1
	s_mov_b32 s16, 0
	s_cbranch_execnz .LBB198_1624
.LBB198_1614:
	s_cmp_gt_i32 s1, 14
	s_cbranch_scc0 .LBB198_1617
; %bb.1615:
	s_cmp_eq_u32 s1, 15
	s_cbranch_scc0 .LBB198_1620
; %bb.1616:
	s_wait_loadcnt 0x0
	global_load_u16 v7, v[2:3], off
	s_mov_b32 s2, 0
	s_mov_b32 s19, -1
	s_branch .LBB198_1621
.LBB198_1617:
	s_mov_b32 s15, -1
                                        ; implicit-def: $vgpr7
	s_branch .LBB198_1622
.LBB198_1618:
	s_or_saveexec_b32 s16, s16
	v_mov_b32_e32 v4, 0x7f800001
	s_xor_b32 exec_lo, exec_lo, s16
	s_cbranch_execz .LBB198_1600
.LBB198_1619:
	v_cmp_ne_u16_e32 vcc_lo, 0, v1
	v_mov_b32_e32 v4, 0
	s_and_not1_b32 s15, s15, exec_lo
	s_and_b32 s19, vcc_lo, exec_lo
	s_delay_alu instid0(SALU_CYCLE_1)
	s_or_b32 s15, s15, s19
	s_or_b32 exec_lo, exec_lo, s16
	s_and_saveexec_b32 s16, s15
	s_cbranch_execnz .LBB198_1601
	s_branch .LBB198_1602
.LBB198_1620:
	s_mov_b32 s2, -1
                                        ; implicit-def: $vgpr7
.LBB198_1621:
	s_mov_b32 s15, 0
.LBB198_1622:
	s_delay_alu instid0(SALU_CYCLE_1)
	s_and_b32 vcc_lo, exec_lo, s15
	s_cbranch_vccz .LBB198_1624
; %bb.1623:
	s_cmp_lg_u32 s1, 11
	s_mov_b32 s16, -1
	s_cselect_b32 s2, -1, 0
.LBB198_1624:
	s_delay_alu instid0(SALU_CYCLE_1)
	s_and_b32 vcc_lo, exec_lo, s2
	s_mov_b32 s15, s18
	s_cbranch_vccnz .LBB198_1685
; %bb.1625:
	s_and_not1_b32 vcc_lo, exec_lo, s16
	s_cbranch_vccnz .LBB198_1627
.LBB198_1626:
	global_load_u8 v1, v[2:3], off
	s_mov_b32 s19, -1
	s_wait_loadcnt 0x0
	v_cmp_ne_u16_e32 vcc_lo, 0, v1
	v_cndmask_b32_e64 v1, 0, 1.0, vcc_lo
	s_delay_alu instid0(VALU_DEP_1)
	v_lshrrev_b32_e32 v7, 16, v1
.LBB198_1627:
	s_branch .LBB198_1556
.LBB198_1628:
	s_and_b32 s1, 0xffff, s0
	s_delay_alu instid0(SALU_CYCLE_1)
	s_cmp_lt_i32 s1, 5
	s_cbranch_scc1 .LBB198_1633
; %bb.1629:
	s_cmp_lt_i32 s1, 8
	s_cbranch_scc1 .LBB198_1634
; %bb.1630:
	;; [unrolled: 3-line block ×3, first 2 shown]
	s_cmp_gt_i32 s1, 9
	s_cbranch_scc0 .LBB198_1636
; %bb.1632:
	global_load_b64 v[4:5], v[2:3], off
	s_mov_b32 s2, 0
	s_wait_loadcnt 0x0
	v_cvt_f32_f64_e32 v1, v[4:5]
	s_delay_alu instid0(VALU_DEP_1) | instskip(SKIP_1) | instid1(VALU_DEP_2)
	v_bfe_u32 v4, v1, 16, 1
	v_cmp_o_f32_e32 vcc_lo, v1, v1
	v_add3_u32 v4, v1, v4, 0x7fff
	s_delay_alu instid0(VALU_DEP_1) | instskip(NEXT) | instid1(VALU_DEP_1)
	v_lshrrev_b32_e32 v4, 16, v4
	v_cndmask_b32_e32 v7, 0x7fc0, v4, vcc_lo
	s_branch .LBB198_1637
.LBB198_1633:
                                        ; implicit-def: $vgpr7
	s_branch .LBB198_1654
.LBB198_1634:
                                        ; implicit-def: $vgpr7
	s_branch .LBB198_1643
.LBB198_1635:
	s_mov_b32 s2, -1
                                        ; implicit-def: $vgpr7
	s_branch .LBB198_1640
.LBB198_1636:
	s_mov_b32 s2, -1
                                        ; implicit-def: $vgpr7
.LBB198_1637:
	s_delay_alu instid0(SALU_CYCLE_1)
	s_and_not1_b32 vcc_lo, exec_lo, s2
	s_cbranch_vccnz .LBB198_1639
; %bb.1638:
	global_load_b32 v1, v[2:3], off
	s_wait_loadcnt 0x0
	v_bfe_u32 v4, v1, 16, 1
	v_cmp_o_f32_e32 vcc_lo, v1, v1
	s_delay_alu instid0(VALU_DEP_2) | instskip(NEXT) | instid1(VALU_DEP_1)
	v_add3_u32 v4, v1, v4, 0x7fff
	v_lshrrev_b32_e32 v4, 16, v4
	s_delay_alu instid0(VALU_DEP_1)
	v_cndmask_b32_e32 v7, 0x7fc0, v4, vcc_lo
.LBB198_1639:
	s_mov_b32 s2, 0
.LBB198_1640:
	s_delay_alu instid0(SALU_CYCLE_1)
	s_and_not1_b32 vcc_lo, exec_lo, s2
	s_cbranch_vccnz .LBB198_1642
; %bb.1641:
	global_load_b32 v1, v[2:3], off
	s_wait_loadcnt 0x0
	v_cvt_f32_f16_e32 v4, v1
	v_cmp_o_f16_e32 vcc_lo, v1, v1
	s_delay_alu instid0(VALU_DEP_2) | instskip(NEXT) | instid1(VALU_DEP_1)
	v_bfe_u32 v5, v4, 16, 1
	v_add3_u32 v4, v4, v5, 0x7fff
	s_delay_alu instid0(VALU_DEP_1) | instskip(NEXT) | instid1(VALU_DEP_1)
	v_lshrrev_b32_e32 v4, 16, v4
	v_cndmask_b32_e32 v7, 0x7fc0, v4, vcc_lo
.LBB198_1642:
	s_cbranch_execnz .LBB198_1653
.LBB198_1643:
	s_cmp_lt_i32 s1, 6
	s_cbranch_scc1 .LBB198_1646
; %bb.1644:
	s_cmp_gt_i32 s1, 6
	s_cbranch_scc0 .LBB198_1647
; %bb.1645:
	global_load_b64 v[4:5], v[2:3], off
	s_mov_b32 s2, 0
	s_wait_loadcnt 0x0
	v_cvt_f32_f64_e32 v1, v[4:5]
	s_delay_alu instid0(VALU_DEP_1) | instskip(SKIP_1) | instid1(VALU_DEP_2)
	v_bfe_u32 v4, v1, 16, 1
	v_cmp_o_f32_e32 vcc_lo, v1, v1
	v_add3_u32 v4, v1, v4, 0x7fff
	s_delay_alu instid0(VALU_DEP_1) | instskip(NEXT) | instid1(VALU_DEP_1)
	v_lshrrev_b32_e32 v4, 16, v4
	v_cndmask_b32_e32 v7, 0x7fc0, v4, vcc_lo
	s_branch .LBB198_1648
.LBB198_1646:
	s_mov_b32 s2, -1
                                        ; implicit-def: $vgpr7
	s_branch .LBB198_1651
.LBB198_1647:
	s_mov_b32 s2, -1
                                        ; implicit-def: $vgpr7
.LBB198_1648:
	s_delay_alu instid0(SALU_CYCLE_1)
	s_and_not1_b32 vcc_lo, exec_lo, s2
	s_cbranch_vccnz .LBB198_1650
; %bb.1649:
	global_load_b32 v1, v[2:3], off
	s_wait_loadcnt 0x0
	v_bfe_u32 v4, v1, 16, 1
	v_cmp_o_f32_e32 vcc_lo, v1, v1
	s_delay_alu instid0(VALU_DEP_2) | instskip(NEXT) | instid1(VALU_DEP_1)
	v_add3_u32 v4, v1, v4, 0x7fff
	v_lshrrev_b32_e32 v4, 16, v4
	s_delay_alu instid0(VALU_DEP_1)
	v_cndmask_b32_e32 v7, 0x7fc0, v4, vcc_lo
.LBB198_1650:
	s_mov_b32 s2, 0
.LBB198_1651:
	s_delay_alu instid0(SALU_CYCLE_1)
	s_and_not1_b32 vcc_lo, exec_lo, s2
	s_cbranch_vccnz .LBB198_1653
; %bb.1652:
	global_load_u16 v1, v[2:3], off
	s_wait_loadcnt 0x0
	v_cvt_f32_f16_e32 v4, v1
	v_cmp_o_f16_e32 vcc_lo, v1, v1
	s_delay_alu instid0(VALU_DEP_2) | instskip(NEXT) | instid1(VALU_DEP_1)
	v_bfe_u32 v5, v4, 16, 1
	v_add3_u32 v4, v4, v5, 0x7fff
	s_delay_alu instid0(VALU_DEP_1) | instskip(NEXT) | instid1(VALU_DEP_1)
	v_lshrrev_b32_e32 v4, 16, v4
	v_cndmask_b32_e32 v7, 0x7fc0, v4, vcc_lo
.LBB198_1653:
	s_cbranch_execnz .LBB198_1672
.LBB198_1654:
	s_cmp_lt_i32 s1, 2
	s_cbranch_scc1 .LBB198_1658
; %bb.1655:
	s_cmp_lt_i32 s1, 3
	s_cbranch_scc1 .LBB198_1659
; %bb.1656:
	s_cmp_gt_i32 s1, 3
	s_cbranch_scc0 .LBB198_1660
; %bb.1657:
	global_load_b64 v[4:5], v[2:3], off
	s_mov_b32 s2, 0
	s_wait_loadcnt 0x0
	v_xor_b32_e32 v1, v4, v5
	v_cls_i32_e32 v7, v5
	s_delay_alu instid0(VALU_DEP_2) | instskip(NEXT) | instid1(VALU_DEP_1)
	v_ashrrev_i32_e32 v1, 31, v1
	v_add_nc_u32_e32 v1, 32, v1
	s_delay_alu instid0(VALU_DEP_1) | instskip(NEXT) | instid1(VALU_DEP_1)
	v_add_min_u32_e64 v1, v7, -1, v1
	v_lshlrev_b64_e32 v[4:5], v1, v[4:5]
	v_sub_nc_u32_e32 v1, 32, v1
	s_delay_alu instid0(VALU_DEP_2) | instskip(NEXT) | instid1(VALU_DEP_1)
	v_min_u32_e32 v4, 1, v4
	v_or_b32_e32 v4, v5, v4
	s_delay_alu instid0(VALU_DEP_1) | instskip(NEXT) | instid1(VALU_DEP_1)
	v_cvt_f32_i32_e32 v4, v4
	v_ldexp_f32 v1, v4, v1
	s_delay_alu instid0(VALU_DEP_1) | instskip(NEXT) | instid1(VALU_DEP_1)
	v_bfe_u32 v4, v1, 16, 1
	v_add3_u32 v1, v1, v4, 0x7fff
	s_delay_alu instid0(VALU_DEP_1)
	v_lshrrev_b32_e32 v7, 16, v1
	s_branch .LBB198_1661
.LBB198_1658:
                                        ; implicit-def: $vgpr7
	s_branch .LBB198_1667
.LBB198_1659:
	s_mov_b32 s2, -1
                                        ; implicit-def: $vgpr7
	s_branch .LBB198_1664
.LBB198_1660:
	s_mov_b32 s2, -1
                                        ; implicit-def: $vgpr7
.LBB198_1661:
	s_delay_alu instid0(SALU_CYCLE_1)
	s_and_not1_b32 vcc_lo, exec_lo, s2
	s_cbranch_vccnz .LBB198_1663
; %bb.1662:
	global_load_b32 v1, v[2:3], off
	s_wait_loadcnt 0x0
	v_cvt_f32_i32_e32 v1, v1
	s_delay_alu instid0(VALU_DEP_1) | instskip(NEXT) | instid1(VALU_DEP_1)
	v_bfe_u32 v4, v1, 16, 1
	v_add3_u32 v1, v1, v4, 0x7fff
	s_delay_alu instid0(VALU_DEP_1)
	v_lshrrev_b32_e32 v7, 16, v1
.LBB198_1663:
	s_mov_b32 s2, 0
.LBB198_1664:
	s_delay_alu instid0(SALU_CYCLE_1)
	s_and_not1_b32 vcc_lo, exec_lo, s2
	s_cbranch_vccnz .LBB198_1666
; %bb.1665:
	global_load_i16 v1, v[2:3], off
	s_wait_loadcnt 0x0
	v_cvt_f32_i32_e32 v1, v1
	s_delay_alu instid0(VALU_DEP_1) | instskip(NEXT) | instid1(VALU_DEP_1)
	v_bfe_u32 v4, v1, 16, 1
	v_add3_u32 v1, v1, v4, 0x7fff
	s_delay_alu instid0(VALU_DEP_1)
	v_lshrrev_b32_e32 v7, 16, v1
.LBB198_1666:
	s_cbranch_execnz .LBB198_1672
.LBB198_1667:
	s_cmp_gt_i32 s1, 0
	s_mov_b32 s1, 0
	s_cbranch_scc0 .LBB198_1669
; %bb.1668:
	global_load_i8 v1, v[2:3], off
	s_wait_loadcnt 0x0
	v_cvt_f32_i32_e32 v1, v1
	s_delay_alu instid0(VALU_DEP_1) | instskip(NEXT) | instid1(VALU_DEP_1)
	v_bfe_u32 v4, v1, 16, 1
	v_add3_u32 v1, v1, v4, 0x7fff
	s_delay_alu instid0(VALU_DEP_1)
	v_lshrrev_b32_e32 v7, 16, v1
	s_branch .LBB198_1670
.LBB198_1669:
	s_mov_b32 s1, -1
                                        ; implicit-def: $vgpr7
.LBB198_1670:
	s_delay_alu instid0(SALU_CYCLE_1)
	s_and_not1_b32 vcc_lo, exec_lo, s1
	s_cbranch_vccnz .LBB198_1672
; %bb.1671:
	global_load_u8 v1, v[2:3], off
	s_wait_loadcnt 0x0
	v_cvt_f32_ubyte0_e32 v1, v1
	s_wait_xcnt 0x0
	s_delay_alu instid0(VALU_DEP_1) | instskip(NEXT) | instid1(VALU_DEP_1)
	v_bfe_u32 v2, v1, 16, 1
	v_add3_u32 v1, v1, v2, 0x7fff
	s_delay_alu instid0(VALU_DEP_1)
	v_lshrrev_b32_e32 v7, 16, v1
.LBB198_1672:
.LBB198_1673:
	s_wait_xcnt 0x0
	v_mul_lo_u32 v2, s10, v6
	s_and_b32 s1, s14, 0xff
	s_delay_alu instid0(SALU_CYCLE_1) | instskip(NEXT) | instid1(VALU_DEP_1)
	s_cmp_lt_i32 s1, 11
	v_ashrrev_i32_e32 v3, 31, v2
	s_delay_alu instid0(VALU_DEP_1)
	v_add_nc_u64_e32 v[4:5], s[12:13], v[2:3]
	s_cbranch_scc1 .LBB198_1680
; %bb.1674:
	s_and_b32 s2, 0xffff, s1
	s_mov_b32 s16, 0
	s_cmp_gt_i32 s2, 25
	s_cbranch_scc0 .LBB198_1682
; %bb.1675:
	s_cmp_gt_i32 s2, 28
	s_cbranch_scc0 .LBB198_1683
; %bb.1676:
	;; [unrolled: 3-line block ×4, first 2 shown]
	s_cmp_eq_u32 s2, 46
	s_mov_b32 s20, 0
	s_cbranch_scc0 .LBB198_1689
; %bb.1679:
	global_load_b32 v8, v[4:5], off
	s_mov_b32 s14, 0
	s_mov_b32 s19, -1
	s_branch .LBB198_1691
.LBB198_1680:
	s_mov_b32 s19, 0
                                        ; implicit-def: $vgpr8
	s_cbranch_execnz .LBB198_1756
.LBB198_1681:
	s_and_not1_b32 vcc_lo, exec_lo, s19
	s_cbranch_vccnz .LBB198_3022
	s_branch .LBB198_1803
.LBB198_1682:
	s_mov_b32 s19, 0
	s_mov_b32 s14, 0
                                        ; implicit-def: $vgpr8
	s_cbranch_execnz .LBB198_1720
	s_branch .LBB198_1752
.LBB198_1683:
	s_mov_b32 s20, -1
	s_mov_b32 s19, 0
	s_mov_b32 s14, 0
                                        ; implicit-def: $vgpr8
	s_branch .LBB198_1701
.LBB198_1684:
	s_mov_b32 s20, -1
	s_mov_b32 s19, 0
	s_mov_b32 s14, 0
                                        ; implicit-def: $vgpr8
	s_branch .LBB198_1696
.LBB198_1685:
	s_or_b32 s15, s18, exec_lo
	s_trap 2
	s_cbranch_execz .LBB198_1626
	s_branch .LBB198_1627
.LBB198_1686:
	s_mov_b32 s20, -1
	s_mov_b32 s19, 0
	s_mov_b32 s14, 0
	s_branch .LBB198_1690
.LBB198_1687:
	s_and_not1_saveexec_b32 s25, s25
	s_cbranch_execz .LBB198_1472
.LBB198_1688:
	v_add_f32_e32 v2, 0x42800000, v3
	s_and_not1_b32 s24, s24, exec_lo
	s_delay_alu instid0(VALU_DEP_1) | instskip(NEXT) | instid1(VALU_DEP_1)
	v_and_b32_e32 v2, 0xff, v2
	v_cmp_ne_u32_e32 vcc_lo, 0, v2
	s_and_b32 s26, vcc_lo, exec_lo
	s_delay_alu instid0(SALU_CYCLE_1)
	s_or_b32 s24, s24, s26
	s_or_b32 exec_lo, exec_lo, s25
	v_mov_b32_e32 v4, 0
	s_and_saveexec_b32 s25, s24
	s_cbranch_execnz .LBB198_1473
	s_branch .LBB198_1474
.LBB198_1689:
	s_mov_b32 s14, -1
	s_mov_b32 s19, 0
.LBB198_1690:
                                        ; implicit-def: $vgpr8
.LBB198_1691:
	s_and_b32 vcc_lo, exec_lo, s20
	s_cbranch_vccz .LBB198_1695
; %bb.1692:
	s_cmp_eq_u32 s2, 44
	s_cbranch_scc0 .LBB198_1694
; %bb.1693:
	global_load_u8 v1, v[4:5], off
	s_mov_b32 s14, 0
	s_mov_b32 s19, -1
	s_wait_loadcnt 0x0
	v_lshlrev_b32_e32 v3, 23, v1
	v_cmp_ne_u32_e32 vcc_lo, 0xff, v1
	s_delay_alu instid0(VALU_DEP_2) | instskip(SKIP_1) | instid1(VALU_DEP_2)
	v_cndmask_b32_e32 v3, 0x7f800001, v3, vcc_lo
	v_cmp_ne_u32_e32 vcc_lo, 0, v1
	v_cndmask_b32_e32 v1, 0x400000, v3, vcc_lo
	s_delay_alu instid0(VALU_DEP_1) | instskip(SKIP_1) | instid1(VALU_DEP_2)
	v_add_nc_u32_e32 v3, 0x7fff, v1
	v_cmp_o_f32_e32 vcc_lo, v1, v1
	v_lshrrev_b32_e32 v3, 16, v3
	s_delay_alu instid0(VALU_DEP_1)
	v_cndmask_b32_e32 v8, 0x7fc0, v3, vcc_lo
	s_branch .LBB198_1695
.LBB198_1694:
	s_mov_b32 s14, -1
                                        ; implicit-def: $vgpr8
.LBB198_1695:
	s_mov_b32 s20, 0
.LBB198_1696:
	s_delay_alu instid0(SALU_CYCLE_1)
	s_and_b32 vcc_lo, exec_lo, s20
	s_cbranch_vccz .LBB198_1700
; %bb.1697:
	s_cmp_eq_u32 s2, 29
	s_cbranch_scc0 .LBB198_1699
; %bb.1698:
	s_wait_loadcnt 0x0
	global_load_b64 v[8:9], v[4:5], off
	s_mov_b32 s14, 0
	s_mov_b32 s19, -1
	s_mov_b32 s20, 0
	s_wait_loadcnt 0x0
	v_clz_i32_u32_e32 v1, v9
	s_delay_alu instid0(VALU_DEP_1) | instskip(NEXT) | instid1(VALU_DEP_1)
	v_min_u32_e32 v1, 32, v1
	v_lshlrev_b64_e32 v[8:9], v1, v[8:9]
	v_sub_nc_u32_e32 v1, 32, v1
	s_delay_alu instid0(VALU_DEP_2) | instskip(NEXT) | instid1(VALU_DEP_1)
	v_min_u32_e32 v3, 1, v8
	v_or_b32_e32 v3, v9, v3
	s_delay_alu instid0(VALU_DEP_1) | instskip(NEXT) | instid1(VALU_DEP_1)
	v_cvt_f32_u32_e32 v3, v3
	v_ldexp_f32 v1, v3, v1
	s_delay_alu instid0(VALU_DEP_1) | instskip(NEXT) | instid1(VALU_DEP_1)
	v_bfe_u32 v3, v1, 16, 1
	v_add3_u32 v1, v1, v3, 0x7fff
	s_delay_alu instid0(VALU_DEP_1)
	v_lshrrev_b32_e32 v8, 16, v1
	s_branch .LBB198_1701
.LBB198_1699:
	s_mov_b32 s14, -1
                                        ; implicit-def: $vgpr8
.LBB198_1700:
	s_mov_b32 s20, 0
.LBB198_1701:
	s_delay_alu instid0(SALU_CYCLE_1)
	s_and_b32 vcc_lo, exec_lo, s20
	s_cbranch_vccz .LBB198_1719
; %bb.1702:
	s_cmp_lt_i32 s2, 27
	s_cbranch_scc1 .LBB198_1705
; %bb.1703:
	s_cmp_gt_i32 s2, 27
	s_cbranch_scc0 .LBB198_1706
; %bb.1704:
	global_load_b32 v1, v[4:5], off
	s_mov_b32 s19, 0
	s_wait_loadcnt 0x0
	v_cvt_f32_u32_e32 v1, v1
	s_delay_alu instid0(VALU_DEP_1) | instskip(NEXT) | instid1(VALU_DEP_1)
	v_bfe_u32 v3, v1, 16, 1
	v_add3_u32 v1, v1, v3, 0x7fff
	s_delay_alu instid0(VALU_DEP_1)
	v_lshrrev_b32_e32 v8, 16, v1
	s_branch .LBB198_1707
.LBB198_1705:
	s_mov_b32 s19, -1
                                        ; implicit-def: $vgpr8
	s_branch .LBB198_1710
.LBB198_1706:
	s_mov_b32 s19, -1
                                        ; implicit-def: $vgpr8
.LBB198_1707:
	s_delay_alu instid0(SALU_CYCLE_1)
	s_and_not1_b32 vcc_lo, exec_lo, s19
	s_cbranch_vccnz .LBB198_1709
; %bb.1708:
	global_load_u16 v1, v[4:5], off
	s_wait_loadcnt 0x0
	v_cvt_f32_u32_e32 v1, v1
	s_delay_alu instid0(VALU_DEP_1) | instskip(NEXT) | instid1(VALU_DEP_1)
	v_bfe_u32 v3, v1, 16, 1
	v_add3_u32 v1, v1, v3, 0x7fff
	s_delay_alu instid0(VALU_DEP_1)
	v_lshrrev_b32_e32 v8, 16, v1
.LBB198_1709:
	s_mov_b32 s19, 0
.LBB198_1710:
	s_delay_alu instid0(SALU_CYCLE_1)
	s_and_not1_b32 vcc_lo, exec_lo, s19
	s_cbranch_vccnz .LBB198_1718
; %bb.1711:
	global_load_u8 v1, v[4:5], off
	s_mov_b32 s19, 0
	s_mov_b32 s20, exec_lo
	s_wait_loadcnt 0x0
	v_cmpx_lt_i16_e32 0x7f, v1
	s_xor_b32 s20, exec_lo, s20
	s_cbranch_execz .LBB198_1731
; %bb.1712:
	s_mov_b32 s19, -1
	s_mov_b32 s21, exec_lo
	v_cmpx_eq_u16_e32 0x80, v1
; %bb.1713:
	s_xor_b32 s19, exec_lo, -1
; %bb.1714:
	s_or_b32 exec_lo, exec_lo, s21
	s_delay_alu instid0(SALU_CYCLE_1)
	s_and_b32 s19, s19, exec_lo
	s_or_saveexec_b32 s20, s20
	v_mov_b32_e32 v3, 0x7f800001
	s_xor_b32 exec_lo, exec_lo, s20
	s_cbranch_execnz .LBB198_1732
.LBB198_1715:
	s_or_b32 exec_lo, exec_lo, s20
	s_and_saveexec_b32 s20, s19
	s_cbranch_execz .LBB198_1717
.LBB198_1716:
	v_and_b32_e32 v3, 0xffff, v1
	s_delay_alu instid0(VALU_DEP_1) | instskip(SKIP_1) | instid1(VALU_DEP_2)
	v_and_b32_e32 v8, 7, v3
	v_bfe_u32 v11, v3, 3, 4
	v_clz_i32_u32_e32 v9, v8
	s_delay_alu instid0(VALU_DEP_2) | instskip(NEXT) | instid1(VALU_DEP_2)
	v_cmp_eq_u32_e32 vcc_lo, 0, v11
	v_min_u32_e32 v9, 32, v9
	s_delay_alu instid0(VALU_DEP_1) | instskip(NEXT) | instid1(VALU_DEP_1)
	v_subrev_nc_u32_e32 v10, 28, v9
	v_dual_lshlrev_b32 v3, v10, v3 :: v_dual_sub_nc_u32 v9, 29, v9
	s_delay_alu instid0(VALU_DEP_1) | instskip(NEXT) | instid1(VALU_DEP_1)
	v_dual_lshlrev_b32 v1, 24, v1 :: v_dual_bitop2_b32 v3, 7, v3 bitop3:0x40
	v_dual_cndmask_b32 v3, v8, v3, vcc_lo :: v_dual_cndmask_b32 v9, v11, v9, vcc_lo
	s_delay_alu instid0(VALU_DEP_2) | instskip(NEXT) | instid1(VALU_DEP_2)
	v_and_b32_e32 v1, 0x80000000, v1
	v_lshlrev_b32_e32 v3, 20, v3
	s_delay_alu instid0(VALU_DEP_3) | instskip(NEXT) | instid1(VALU_DEP_1)
	v_lshl_add_u32 v8, v9, 23, 0x3b800000
	v_or3_b32 v3, v1, v8, v3
.LBB198_1717:
	s_or_b32 exec_lo, exec_lo, s20
	s_delay_alu instid0(VALU_DEP_1) | instskip(SKIP_1) | instid1(VALU_DEP_2)
	v_bfe_u32 v1, v3, 16, 1
	v_cmp_o_f32_e32 vcc_lo, v3, v3
	v_add3_u32 v1, v3, v1, 0x7fff
	s_delay_alu instid0(VALU_DEP_1) | instskip(NEXT) | instid1(VALU_DEP_1)
	v_lshrrev_b32_e32 v1, 16, v1
	v_cndmask_b32_e32 v8, 0x7fc0, v1, vcc_lo
.LBB198_1718:
	s_mov_b32 s19, -1
.LBB198_1719:
	s_branch .LBB198_1752
.LBB198_1720:
	s_cmp_gt_i32 s2, 22
	s_cbranch_scc0 .LBB198_1730
; %bb.1721:
	s_cmp_lt_i32 s2, 24
	s_cbranch_scc1 .LBB198_1733
; %bb.1722:
	s_cmp_gt_i32 s2, 24
	s_cbranch_scc0 .LBB198_1734
; %bb.1723:
	global_load_u8 v1, v[4:5], off
	s_mov_b32 s19, exec_lo
	s_wait_loadcnt 0x0
	v_cmpx_lt_i16_e32 0x7f, v1
	s_xor_b32 s19, exec_lo, s19
	s_cbranch_execz .LBB198_1746
; %bb.1724:
	s_mov_b32 s16, -1
	s_mov_b32 s20, exec_lo
	v_cmpx_eq_u16_e32 0x80, v1
; %bb.1725:
	s_xor_b32 s16, exec_lo, -1
; %bb.1726:
	s_or_b32 exec_lo, exec_lo, s20
	s_delay_alu instid0(SALU_CYCLE_1)
	s_and_b32 s16, s16, exec_lo
	s_or_saveexec_b32 s19, s19
	v_mov_b32_e32 v3, 0x7f800001
	s_xor_b32 exec_lo, exec_lo, s19
	s_cbranch_execnz .LBB198_1747
.LBB198_1727:
	s_or_b32 exec_lo, exec_lo, s19
	s_and_saveexec_b32 s19, s16
	s_cbranch_execz .LBB198_1729
.LBB198_1728:
	v_and_b32_e32 v3, 0xffff, v1
	s_delay_alu instid0(VALU_DEP_1) | instskip(SKIP_1) | instid1(VALU_DEP_2)
	v_and_b32_e32 v8, 3, v3
	v_bfe_u32 v11, v3, 2, 5
	v_clz_i32_u32_e32 v9, v8
	s_delay_alu instid0(VALU_DEP_2) | instskip(NEXT) | instid1(VALU_DEP_2)
	v_cmp_eq_u32_e32 vcc_lo, 0, v11
	v_min_u32_e32 v9, 32, v9
	s_delay_alu instid0(VALU_DEP_1) | instskip(NEXT) | instid1(VALU_DEP_1)
	v_subrev_nc_u32_e32 v10, 29, v9
	v_dual_lshlrev_b32 v3, v10, v3 :: v_dual_sub_nc_u32 v9, 30, v9
	s_delay_alu instid0(VALU_DEP_1) | instskip(NEXT) | instid1(VALU_DEP_1)
	v_dual_lshlrev_b32 v1, 24, v1 :: v_dual_bitop2_b32 v3, 3, v3 bitop3:0x40
	v_dual_cndmask_b32 v3, v8, v3, vcc_lo :: v_dual_cndmask_b32 v9, v11, v9, vcc_lo
	s_delay_alu instid0(VALU_DEP_2) | instskip(NEXT) | instid1(VALU_DEP_2)
	v_and_b32_e32 v1, 0x80000000, v1
	v_lshlrev_b32_e32 v3, 21, v3
	s_delay_alu instid0(VALU_DEP_3) | instskip(NEXT) | instid1(VALU_DEP_1)
	v_lshl_add_u32 v8, v9, 23, 0x37800000
	v_or3_b32 v3, v1, v8, v3
.LBB198_1729:
	s_or_b32 exec_lo, exec_lo, s19
	s_delay_alu instid0(VALU_DEP_1) | instskip(SKIP_2) | instid1(VALU_DEP_2)
	v_bfe_u32 v1, v3, 16, 1
	v_cmp_o_f32_e32 vcc_lo, v3, v3
	s_mov_b32 s16, 0
	v_add3_u32 v1, v3, v1, 0x7fff
	s_delay_alu instid0(VALU_DEP_1) | instskip(NEXT) | instid1(VALU_DEP_1)
	v_lshrrev_b32_e32 v1, 16, v1
	v_cndmask_b32_e32 v8, 0x7fc0, v1, vcc_lo
	s_branch .LBB198_1735
.LBB198_1730:
	s_mov_b32 s16, -1
                                        ; implicit-def: $vgpr8
	s_branch .LBB198_1741
.LBB198_1731:
	s_or_saveexec_b32 s20, s20
	v_mov_b32_e32 v3, 0x7f800001
	s_xor_b32 exec_lo, exec_lo, s20
	s_cbranch_execz .LBB198_1715
.LBB198_1732:
	v_cmp_ne_u16_e32 vcc_lo, 0, v1
	v_mov_b32_e32 v3, 0
	s_and_not1_b32 s19, s19, exec_lo
	s_and_b32 s21, vcc_lo, exec_lo
	s_delay_alu instid0(SALU_CYCLE_1)
	s_or_b32 s19, s19, s21
	s_or_b32 exec_lo, exec_lo, s20
	s_and_saveexec_b32 s20, s19
	s_cbranch_execnz .LBB198_1716
	s_branch .LBB198_1717
.LBB198_1733:
	s_mov_b32 s16, -1
                                        ; implicit-def: $vgpr8
	s_branch .LBB198_1738
.LBB198_1734:
	s_mov_b32 s16, -1
                                        ; implicit-def: $vgpr8
.LBB198_1735:
	s_delay_alu instid0(SALU_CYCLE_1)
	s_and_b32 vcc_lo, exec_lo, s16
	s_cbranch_vccz .LBB198_1737
; %bb.1736:
	global_load_u8 v1, v[4:5], off
	s_wait_loadcnt 0x0
	v_lshlrev_b32_e32 v1, 24, v1
	s_delay_alu instid0(VALU_DEP_1) | instskip(NEXT) | instid1(VALU_DEP_1)
	v_and_b32_e32 v3, 0x7f000000, v1
	v_clz_i32_u32_e32 v8, v3
	v_cmp_ne_u32_e32 vcc_lo, 0, v3
	v_add_nc_u32_e32 v10, 0x1000000, v3
	s_delay_alu instid0(VALU_DEP_3) | instskip(NEXT) | instid1(VALU_DEP_1)
	v_min_u32_e32 v8, 32, v8
	v_sub_nc_u32_e64 v8, v8, 4 clamp
	s_delay_alu instid0(VALU_DEP_1) | instskip(NEXT) | instid1(VALU_DEP_1)
	v_dual_lshlrev_b32 v9, v8, v3 :: v_dual_lshlrev_b32 v8, 23, v8
	v_lshrrev_b32_e32 v9, 4, v9
	s_delay_alu instid0(VALU_DEP_1) | instskip(NEXT) | instid1(VALU_DEP_1)
	v_dual_sub_nc_u32 v8, v9, v8 :: v_dual_ashrrev_i32 v9, 8, v10
	v_add_nc_u32_e32 v8, 0x3c000000, v8
	s_delay_alu instid0(VALU_DEP_1) | instskip(NEXT) | instid1(VALU_DEP_1)
	v_and_or_b32 v8, 0x7f800000, v9, v8
	v_cndmask_b32_e32 v3, 0, v8, vcc_lo
	s_delay_alu instid0(VALU_DEP_1) | instskip(SKIP_1) | instid1(VALU_DEP_2)
	v_and_or_b32 v1, 0x80000000, v1, v3
	v_bfe_u32 v3, v3, 16, 1
	v_cmp_o_f32_e32 vcc_lo, v1, v1
	s_delay_alu instid0(VALU_DEP_2) | instskip(NEXT) | instid1(VALU_DEP_1)
	v_add3_u32 v3, v1, v3, 0x7fff
	v_lshrrev_b32_e32 v3, 16, v3
	s_delay_alu instid0(VALU_DEP_1)
	v_cndmask_b32_e32 v8, 0x7fc0, v3, vcc_lo
.LBB198_1737:
	s_mov_b32 s16, 0
.LBB198_1738:
	s_delay_alu instid0(SALU_CYCLE_1)
	s_and_not1_b32 vcc_lo, exec_lo, s16
	s_cbranch_vccnz .LBB198_1740
; %bb.1739:
	global_load_u8 v1, v[4:5], off
	s_wait_loadcnt 0x0
	v_lshlrev_b32_e32 v3, 25, v1
	v_lshlrev_b16 v1, 8, v1
	s_delay_alu instid0(VALU_DEP_1) | instskip(NEXT) | instid1(VALU_DEP_3)
	v_and_or_b32 v9, 0x7f00, v1, 0.5
	v_lshrrev_b32_e32 v8, 4, v3
	v_bfe_i32 v1, v1, 0, 16
	s_delay_alu instid0(VALU_DEP_3) | instskip(NEXT) | instid1(VALU_DEP_3)
	v_add_f32_e32 v9, -0.5, v9
	v_or_b32_e32 v8, 0x70000000, v8
	s_delay_alu instid0(VALU_DEP_1) | instskip(SKIP_1) | instid1(VALU_DEP_2)
	v_mul_f32_e32 v8, 0x7800000, v8
	v_cmp_gt_u32_e32 vcc_lo, 0x8000000, v3
	v_cndmask_b32_e32 v3, v8, v9, vcc_lo
	s_delay_alu instid0(VALU_DEP_1) | instskip(SKIP_1) | instid1(VALU_DEP_2)
	v_and_or_b32 v1, 0x80000000, v1, v3
	v_bfe_u32 v3, v3, 16, 1
	v_cmp_o_f32_e32 vcc_lo, v1, v1
	s_delay_alu instid0(VALU_DEP_2) | instskip(NEXT) | instid1(VALU_DEP_1)
	v_add3_u32 v3, v1, v3, 0x7fff
	v_lshrrev_b32_e32 v3, 16, v3
	s_delay_alu instid0(VALU_DEP_1)
	v_cndmask_b32_e32 v8, 0x7fc0, v3, vcc_lo
.LBB198_1740:
	s_mov_b32 s16, 0
	s_mov_b32 s19, -1
.LBB198_1741:
	s_and_not1_b32 vcc_lo, exec_lo, s16
	s_mov_b32 s16, 0
	s_cbranch_vccnz .LBB198_1752
; %bb.1742:
	s_cmp_gt_i32 s2, 14
	s_cbranch_scc0 .LBB198_1745
; %bb.1743:
	s_cmp_eq_u32 s2, 15
	s_cbranch_scc0 .LBB198_1748
; %bb.1744:
	s_wait_loadcnt 0x0
	global_load_u16 v8, v[4:5], off
	s_mov_b32 s14, 0
	s_mov_b32 s19, -1
	s_branch .LBB198_1750
.LBB198_1745:
	s_mov_b32 s16, -1
	s_branch .LBB198_1749
.LBB198_1746:
	s_or_saveexec_b32 s19, s19
	v_mov_b32_e32 v3, 0x7f800001
	s_xor_b32 exec_lo, exec_lo, s19
	s_cbranch_execz .LBB198_1727
.LBB198_1747:
	v_cmp_ne_u16_e32 vcc_lo, 0, v1
	v_mov_b32_e32 v3, 0
	s_and_not1_b32 s16, s16, exec_lo
	s_and_b32 s20, vcc_lo, exec_lo
	s_delay_alu instid0(SALU_CYCLE_1)
	s_or_b32 s16, s16, s20
	s_or_b32 exec_lo, exec_lo, s19
	s_and_saveexec_b32 s19, s16
	s_cbranch_execnz .LBB198_1728
	s_branch .LBB198_1729
.LBB198_1748:
	s_mov_b32 s14, -1
.LBB198_1749:
                                        ; implicit-def: $vgpr8
.LBB198_1750:
	s_and_b32 vcc_lo, exec_lo, s16
	s_mov_b32 s16, 0
	s_cbranch_vccz .LBB198_1752
; %bb.1751:
	s_cmp_lg_u32 s2, 11
	s_mov_b32 s16, -1
	s_cselect_b32 s14, -1, 0
.LBB198_1752:
	s_delay_alu instid0(SALU_CYCLE_1)
	s_and_b32 vcc_lo, exec_lo, s14
	s_cbranch_vccnz .LBB198_1815
; %bb.1753:
	s_and_not1_b32 vcc_lo, exec_lo, s16
	s_cbranch_vccnz .LBB198_1755
.LBB198_1754:
	global_load_u8 v1, v[4:5], off
	s_mov_b32 s19, -1
	s_wait_loadcnt 0x0
	v_cmp_ne_u16_e32 vcc_lo, 0, v1
	v_cndmask_b32_e64 v1, 0, 1.0, vcc_lo
	s_delay_alu instid0(VALU_DEP_1)
	v_lshrrev_b32_e32 v8, 16, v1
.LBB198_1755:
	s_branch .LBB198_1681
.LBB198_1756:
	s_and_b32 s2, 0xffff, s1
	s_delay_alu instid0(SALU_CYCLE_1)
	s_cmp_lt_i32 s2, 5
	s_cbranch_scc1 .LBB198_1761
; %bb.1757:
	s_cmp_lt_i32 s2, 8
	s_cbranch_scc1 .LBB198_1762
; %bb.1758:
	;; [unrolled: 3-line block ×3, first 2 shown]
	s_cmp_gt_i32 s2, 9
	s_cbranch_scc0 .LBB198_1764
; %bb.1760:
	s_wait_loadcnt 0x0
	global_load_b64 v[8:9], v[4:5], off
	s_mov_b32 s14, 0
	s_wait_loadcnt 0x0
	v_cvt_f32_f64_e32 v1, v[8:9]
	s_delay_alu instid0(VALU_DEP_1) | instskip(SKIP_1) | instid1(VALU_DEP_2)
	v_bfe_u32 v3, v1, 16, 1
	v_cmp_o_f32_e32 vcc_lo, v1, v1
	v_add3_u32 v3, v1, v3, 0x7fff
	s_delay_alu instid0(VALU_DEP_1) | instskip(NEXT) | instid1(VALU_DEP_1)
	v_lshrrev_b32_e32 v3, 16, v3
	v_cndmask_b32_e32 v8, 0x7fc0, v3, vcc_lo
	s_branch .LBB198_1765
.LBB198_1761:
                                        ; implicit-def: $vgpr8
	s_branch .LBB198_1783
.LBB198_1762:
	s_mov_b32 s14, -1
                                        ; implicit-def: $vgpr8
	s_branch .LBB198_1771
.LBB198_1763:
	s_mov_b32 s14, -1
                                        ; implicit-def: $vgpr8
	s_branch .LBB198_1768
.LBB198_1764:
	s_mov_b32 s14, -1
                                        ; implicit-def: $vgpr8
.LBB198_1765:
	s_delay_alu instid0(SALU_CYCLE_1)
	s_and_not1_b32 vcc_lo, exec_lo, s14
	s_cbranch_vccnz .LBB198_1767
; %bb.1766:
	global_load_b32 v1, v[4:5], off
	s_wait_loadcnt 0x0
	v_bfe_u32 v3, v1, 16, 1
	v_cmp_o_f32_e32 vcc_lo, v1, v1
	s_delay_alu instid0(VALU_DEP_2) | instskip(NEXT) | instid1(VALU_DEP_1)
	v_add3_u32 v3, v1, v3, 0x7fff
	v_lshrrev_b32_e32 v3, 16, v3
	s_delay_alu instid0(VALU_DEP_1)
	v_cndmask_b32_e32 v8, 0x7fc0, v3, vcc_lo
.LBB198_1767:
	s_mov_b32 s14, 0
.LBB198_1768:
	s_delay_alu instid0(SALU_CYCLE_1)
	s_and_not1_b32 vcc_lo, exec_lo, s14
	s_cbranch_vccnz .LBB198_1770
; %bb.1769:
	global_load_b32 v1, v[4:5], off
	s_wait_loadcnt 0x0
	v_cvt_f32_f16_e32 v3, v1
	v_cmp_o_f16_e32 vcc_lo, v1, v1
	s_delay_alu instid0(VALU_DEP_2) | instskip(NEXT) | instid1(VALU_DEP_1)
	v_bfe_u32 v8, v3, 16, 1
	v_add3_u32 v3, v3, v8, 0x7fff
	s_delay_alu instid0(VALU_DEP_1) | instskip(NEXT) | instid1(VALU_DEP_1)
	v_lshrrev_b32_e32 v3, 16, v3
	v_cndmask_b32_e32 v8, 0x7fc0, v3, vcc_lo
.LBB198_1770:
	s_mov_b32 s14, 0
.LBB198_1771:
	s_delay_alu instid0(SALU_CYCLE_1)
	s_and_not1_b32 vcc_lo, exec_lo, s14
	s_cbranch_vccnz .LBB198_1782
; %bb.1772:
	s_cmp_lt_i32 s2, 6
	s_cbranch_scc1 .LBB198_1775
; %bb.1773:
	s_cmp_gt_i32 s2, 6
	s_cbranch_scc0 .LBB198_1776
; %bb.1774:
	s_wait_loadcnt 0x0
	global_load_b64 v[8:9], v[4:5], off
	s_mov_b32 s14, 0
	s_wait_loadcnt 0x0
	v_cvt_f32_f64_e32 v1, v[8:9]
	s_delay_alu instid0(VALU_DEP_1) | instskip(SKIP_1) | instid1(VALU_DEP_2)
	v_bfe_u32 v3, v1, 16, 1
	v_cmp_o_f32_e32 vcc_lo, v1, v1
	v_add3_u32 v3, v1, v3, 0x7fff
	s_delay_alu instid0(VALU_DEP_1) | instskip(NEXT) | instid1(VALU_DEP_1)
	v_lshrrev_b32_e32 v3, 16, v3
	v_cndmask_b32_e32 v8, 0x7fc0, v3, vcc_lo
	s_branch .LBB198_1777
.LBB198_1775:
	s_mov_b32 s14, -1
                                        ; implicit-def: $vgpr8
	s_branch .LBB198_1780
.LBB198_1776:
	s_mov_b32 s14, -1
                                        ; implicit-def: $vgpr8
.LBB198_1777:
	s_delay_alu instid0(SALU_CYCLE_1)
	s_and_not1_b32 vcc_lo, exec_lo, s14
	s_cbranch_vccnz .LBB198_1779
; %bb.1778:
	global_load_b32 v1, v[4:5], off
	s_wait_loadcnt 0x0
	v_bfe_u32 v3, v1, 16, 1
	v_cmp_o_f32_e32 vcc_lo, v1, v1
	s_delay_alu instid0(VALU_DEP_2) | instskip(NEXT) | instid1(VALU_DEP_1)
	v_add3_u32 v3, v1, v3, 0x7fff
	v_lshrrev_b32_e32 v3, 16, v3
	s_delay_alu instid0(VALU_DEP_1)
	v_cndmask_b32_e32 v8, 0x7fc0, v3, vcc_lo
.LBB198_1779:
	s_mov_b32 s14, 0
.LBB198_1780:
	s_delay_alu instid0(SALU_CYCLE_1)
	s_and_not1_b32 vcc_lo, exec_lo, s14
	s_cbranch_vccnz .LBB198_1782
; %bb.1781:
	global_load_u16 v1, v[4:5], off
	s_wait_loadcnt 0x0
	v_cvt_f32_f16_e32 v3, v1
	v_cmp_o_f16_e32 vcc_lo, v1, v1
	s_delay_alu instid0(VALU_DEP_2) | instskip(NEXT) | instid1(VALU_DEP_1)
	v_bfe_u32 v8, v3, 16, 1
	v_add3_u32 v3, v3, v8, 0x7fff
	s_delay_alu instid0(VALU_DEP_1) | instskip(NEXT) | instid1(VALU_DEP_1)
	v_lshrrev_b32_e32 v3, 16, v3
	v_cndmask_b32_e32 v8, 0x7fc0, v3, vcc_lo
.LBB198_1782:
	s_cbranch_execnz .LBB198_1802
.LBB198_1783:
	s_cmp_lt_i32 s2, 2
	s_cbranch_scc1 .LBB198_1787
; %bb.1784:
	s_cmp_lt_i32 s2, 3
	s_cbranch_scc1 .LBB198_1788
; %bb.1785:
	s_cmp_gt_i32 s2, 3
	s_cbranch_scc0 .LBB198_1789
; %bb.1786:
	s_wait_loadcnt 0x0
	global_load_b64 v[8:9], v[4:5], off
	s_mov_b32 s14, 0
	s_wait_loadcnt 0x0
	v_xor_b32_e32 v1, v8, v9
	v_cls_i32_e32 v3, v9
	s_delay_alu instid0(VALU_DEP_2) | instskip(NEXT) | instid1(VALU_DEP_1)
	v_ashrrev_i32_e32 v1, 31, v1
	v_add_nc_u32_e32 v1, 32, v1
	s_delay_alu instid0(VALU_DEP_1) | instskip(NEXT) | instid1(VALU_DEP_1)
	v_add_min_u32_e64 v1, v3, -1, v1
	v_lshlrev_b64_e32 v[8:9], v1, v[8:9]
	v_sub_nc_u32_e32 v1, 32, v1
	s_delay_alu instid0(VALU_DEP_2) | instskip(NEXT) | instid1(VALU_DEP_1)
	v_min_u32_e32 v3, 1, v8
	v_or_b32_e32 v3, v9, v3
	s_delay_alu instid0(VALU_DEP_1) | instskip(NEXT) | instid1(VALU_DEP_1)
	v_cvt_f32_i32_e32 v3, v3
	v_ldexp_f32 v1, v3, v1
	s_delay_alu instid0(VALU_DEP_1) | instskip(NEXT) | instid1(VALU_DEP_1)
	v_bfe_u32 v3, v1, 16, 1
	v_add3_u32 v1, v1, v3, 0x7fff
	s_delay_alu instid0(VALU_DEP_1)
	v_lshrrev_b32_e32 v8, 16, v1
	s_branch .LBB198_1790
.LBB198_1787:
	s_mov_b32 s14, -1
                                        ; implicit-def: $vgpr8
	s_branch .LBB198_1796
.LBB198_1788:
	s_mov_b32 s14, -1
                                        ; implicit-def: $vgpr8
	s_branch .LBB198_1793
.LBB198_1789:
	s_mov_b32 s14, -1
                                        ; implicit-def: $vgpr8
.LBB198_1790:
	s_delay_alu instid0(SALU_CYCLE_1)
	s_and_not1_b32 vcc_lo, exec_lo, s14
	s_cbranch_vccnz .LBB198_1792
; %bb.1791:
	global_load_b32 v1, v[4:5], off
	s_wait_loadcnt 0x0
	v_cvt_f32_i32_e32 v1, v1
	s_delay_alu instid0(VALU_DEP_1) | instskip(NEXT) | instid1(VALU_DEP_1)
	v_bfe_u32 v3, v1, 16, 1
	v_add3_u32 v1, v1, v3, 0x7fff
	s_delay_alu instid0(VALU_DEP_1)
	v_lshrrev_b32_e32 v8, 16, v1
.LBB198_1792:
	s_mov_b32 s14, 0
.LBB198_1793:
	s_delay_alu instid0(SALU_CYCLE_1)
	s_and_not1_b32 vcc_lo, exec_lo, s14
	s_cbranch_vccnz .LBB198_1795
; %bb.1794:
	global_load_i16 v1, v[4:5], off
	s_wait_loadcnt 0x0
	v_cvt_f32_i32_e32 v1, v1
	s_delay_alu instid0(VALU_DEP_1) | instskip(NEXT) | instid1(VALU_DEP_1)
	v_bfe_u32 v3, v1, 16, 1
	v_add3_u32 v1, v1, v3, 0x7fff
	s_delay_alu instid0(VALU_DEP_1)
	v_lshrrev_b32_e32 v8, 16, v1
.LBB198_1795:
	s_mov_b32 s14, 0
.LBB198_1796:
	s_delay_alu instid0(SALU_CYCLE_1)
	s_and_not1_b32 vcc_lo, exec_lo, s14
	s_cbranch_vccnz .LBB198_1802
; %bb.1797:
	s_cmp_gt_i32 s2, 0
	s_mov_b32 s2, 0
	s_cbranch_scc0 .LBB198_1799
; %bb.1798:
	global_load_i8 v1, v[4:5], off
	s_wait_loadcnt 0x0
	v_cvt_f32_i32_e32 v1, v1
	s_delay_alu instid0(VALU_DEP_1) | instskip(NEXT) | instid1(VALU_DEP_1)
	v_bfe_u32 v3, v1, 16, 1
	v_add3_u32 v1, v1, v3, 0x7fff
	s_delay_alu instid0(VALU_DEP_1)
	v_lshrrev_b32_e32 v8, 16, v1
	s_branch .LBB198_1800
.LBB198_1799:
	s_mov_b32 s2, -1
                                        ; implicit-def: $vgpr8
.LBB198_1800:
	s_delay_alu instid0(SALU_CYCLE_1)
	s_and_not1_b32 vcc_lo, exec_lo, s2
	s_cbranch_vccnz .LBB198_1802
; %bb.1801:
	global_load_u8 v1, v[4:5], off
	s_wait_loadcnt 0x0
	v_cvt_f32_ubyte0_e32 v1, v1
	s_delay_alu instid0(VALU_DEP_1) | instskip(NEXT) | instid1(VALU_DEP_1)
	v_bfe_u32 v3, v1, 16, 1
	v_add3_u32 v1, v1, v3, 0x7fff
	s_delay_alu instid0(VALU_DEP_1)
	v_lshrrev_b32_e32 v8, 16, v1
.LBB198_1802:
.LBB198_1803:
	s_lshl_b32 s2, s9, 7
	s_cmp_lt_i32 s0, 11
	v_add_nc_u32_e32 v0, s2, v0
	s_delay_alu instid0(VALU_DEP_1) | instskip(SKIP_1) | instid1(VALU_DEP_1)
	v_ashrrev_i32_e32 v1, 31, v0
	s_wait_xcnt 0x0
	v_add_nc_u64_e32 v[4:5], s[6:7], v[0:1]
	s_cbranch_scc1 .LBB198_1810
; %bb.1804:
	s_and_b32 s9, 0xffff, s0
	s_mov_b32 s16, 0
	s_cmp_gt_i32 s9, 25
	s_cbranch_scc0 .LBB198_1812
; %bb.1805:
	s_cmp_gt_i32 s9, 28
	s_cbranch_scc0 .LBB198_1813
; %bb.1806:
	;; [unrolled: 3-line block ×4, first 2 shown]
	s_cmp_eq_u32 s9, 46
	s_mov_b32 s20, 0
	s_cbranch_scc0 .LBB198_1817
; %bb.1809:
	global_load_b32 v9, v[4:5], off
	s_mov_b32 s14, 0
	s_mov_b32 s19, -1
	s_branch .LBB198_1819
.LBB198_1810:
	s_mov_b32 s19, 0
                                        ; implicit-def: $vgpr9
	s_cbranch_execnz .LBB198_1885
.LBB198_1811:
	s_and_not1_b32 vcc_lo, exec_lo, s19
	s_cbranch_vccnz .LBB198_3022
	s_branch .LBB198_1933
.LBB198_1812:
	s_mov_b32 s20, -1
	s_mov_b32 s19, 0
	s_mov_b32 s14, 0
                                        ; implicit-def: $vgpr9
	s_branch .LBB198_1848
.LBB198_1813:
	s_mov_b32 s20, -1
	s_mov_b32 s19, 0
	s_mov_b32 s14, 0
                                        ; implicit-def: $vgpr9
	s_branch .LBB198_1829
.LBB198_1814:
	s_mov_b32 s20, -1
	s_mov_b32 s19, 0
	s_mov_b32 s14, 0
                                        ; implicit-def: $vgpr9
	s_branch .LBB198_1824
.LBB198_1815:
	s_or_b32 s15, s15, exec_lo
	s_trap 2
	s_cbranch_execz .LBB198_1754
	s_branch .LBB198_1755
.LBB198_1816:
	s_mov_b32 s20, -1
	s_mov_b32 s19, 0
	s_mov_b32 s14, 0
	s_branch .LBB198_1818
.LBB198_1817:
	s_mov_b32 s14, -1
	s_mov_b32 s19, 0
.LBB198_1818:
                                        ; implicit-def: $vgpr9
.LBB198_1819:
	s_and_b32 vcc_lo, exec_lo, s20
	s_cbranch_vccz .LBB198_1823
; %bb.1820:
	s_cmp_eq_u32 s9, 44
	s_cbranch_scc0 .LBB198_1822
; %bb.1821:
	global_load_u8 v1, v[4:5], off
	s_mov_b32 s14, 0
	s_mov_b32 s19, -1
	s_wait_loadcnt 0x0
	v_lshlrev_b32_e32 v3, 23, v1
	v_cmp_ne_u32_e32 vcc_lo, 0xff, v1
	s_delay_alu instid0(VALU_DEP_2) | instskip(SKIP_1) | instid1(VALU_DEP_2)
	v_cndmask_b32_e32 v3, 0x7f800001, v3, vcc_lo
	v_cmp_ne_u32_e32 vcc_lo, 0, v1
	v_cndmask_b32_e32 v1, 0x400000, v3, vcc_lo
	s_delay_alu instid0(VALU_DEP_1) | instskip(SKIP_1) | instid1(VALU_DEP_2)
	v_add_nc_u32_e32 v3, 0x7fff, v1
	v_cmp_o_f32_e32 vcc_lo, v1, v1
	v_lshrrev_b32_e32 v3, 16, v3
	s_delay_alu instid0(VALU_DEP_1)
	v_cndmask_b32_e32 v9, 0x7fc0, v3, vcc_lo
	s_branch .LBB198_1823
.LBB198_1822:
	s_mov_b32 s14, -1
                                        ; implicit-def: $vgpr9
.LBB198_1823:
	s_mov_b32 s20, 0
.LBB198_1824:
	s_delay_alu instid0(SALU_CYCLE_1)
	s_and_b32 vcc_lo, exec_lo, s20
	s_cbranch_vccz .LBB198_1828
; %bb.1825:
	s_cmp_eq_u32 s9, 29
	s_cbranch_scc0 .LBB198_1827
; %bb.1826:
	global_load_b64 v[10:11], v[4:5], off
	s_mov_b32 s14, 0
	s_mov_b32 s19, -1
	s_mov_b32 s20, 0
	s_wait_loadcnt 0x0
	v_clz_i32_u32_e32 v1, v11
	s_delay_alu instid0(VALU_DEP_1) | instskip(NEXT) | instid1(VALU_DEP_1)
	v_min_u32_e32 v1, 32, v1
	v_lshlrev_b64_e32 v[10:11], v1, v[10:11]
	v_sub_nc_u32_e32 v1, 32, v1
	s_delay_alu instid0(VALU_DEP_2) | instskip(NEXT) | instid1(VALU_DEP_1)
	v_min_u32_e32 v3, 1, v10
	v_or_b32_e32 v3, v11, v3
	s_delay_alu instid0(VALU_DEP_1) | instskip(NEXT) | instid1(VALU_DEP_1)
	v_cvt_f32_u32_e32 v3, v3
	v_ldexp_f32 v1, v3, v1
	s_delay_alu instid0(VALU_DEP_1) | instskip(NEXT) | instid1(VALU_DEP_1)
	v_bfe_u32 v3, v1, 16, 1
	v_add3_u32 v1, v1, v3, 0x7fff
	s_delay_alu instid0(VALU_DEP_1)
	v_lshrrev_b32_e32 v9, 16, v1
	s_branch .LBB198_1829
.LBB198_1827:
	s_mov_b32 s14, -1
                                        ; implicit-def: $vgpr9
.LBB198_1828:
	s_mov_b32 s20, 0
.LBB198_1829:
	s_delay_alu instid0(SALU_CYCLE_1)
	s_and_b32 vcc_lo, exec_lo, s20
	s_cbranch_vccz .LBB198_1847
; %bb.1830:
	s_cmp_lt_i32 s9, 27
	s_cbranch_scc1 .LBB198_1833
; %bb.1831:
	s_cmp_gt_i32 s9, 27
	s_cbranch_scc0 .LBB198_1834
; %bb.1832:
	global_load_b32 v1, v[4:5], off
	s_mov_b32 s19, 0
	s_wait_loadcnt 0x0
	v_cvt_f32_u32_e32 v1, v1
	s_delay_alu instid0(VALU_DEP_1) | instskip(NEXT) | instid1(VALU_DEP_1)
	v_bfe_u32 v3, v1, 16, 1
	v_add3_u32 v1, v1, v3, 0x7fff
	s_delay_alu instid0(VALU_DEP_1)
	v_lshrrev_b32_e32 v9, 16, v1
	s_branch .LBB198_1835
.LBB198_1833:
	s_mov_b32 s19, -1
                                        ; implicit-def: $vgpr9
	s_branch .LBB198_1838
.LBB198_1834:
	s_mov_b32 s19, -1
                                        ; implicit-def: $vgpr9
.LBB198_1835:
	s_delay_alu instid0(SALU_CYCLE_1)
	s_and_not1_b32 vcc_lo, exec_lo, s19
	s_cbranch_vccnz .LBB198_1837
; %bb.1836:
	global_load_u16 v1, v[4:5], off
	s_wait_loadcnt 0x0
	v_cvt_f32_u32_e32 v1, v1
	s_delay_alu instid0(VALU_DEP_1) | instskip(NEXT) | instid1(VALU_DEP_1)
	v_bfe_u32 v3, v1, 16, 1
	v_add3_u32 v1, v1, v3, 0x7fff
	s_delay_alu instid0(VALU_DEP_1)
	v_lshrrev_b32_e32 v9, 16, v1
.LBB198_1837:
	s_mov_b32 s19, 0
.LBB198_1838:
	s_delay_alu instid0(SALU_CYCLE_1)
	s_and_not1_b32 vcc_lo, exec_lo, s19
	s_cbranch_vccnz .LBB198_1846
; %bb.1839:
	global_load_u8 v1, v[4:5], off
	s_mov_b32 s19, 0
	s_mov_b32 s20, exec_lo
	s_wait_loadcnt 0x0
	v_cmpx_lt_i16_e32 0x7f, v1
	s_xor_b32 s20, exec_lo, s20
	s_cbranch_execz .LBB198_1860
; %bb.1840:
	s_mov_b32 s19, -1
	s_mov_b32 s21, exec_lo
	v_cmpx_eq_u16_e32 0x80, v1
; %bb.1841:
	s_xor_b32 s19, exec_lo, -1
; %bb.1842:
	s_or_b32 exec_lo, exec_lo, s21
	s_delay_alu instid0(SALU_CYCLE_1)
	s_and_b32 s19, s19, exec_lo
	s_or_saveexec_b32 s20, s20
	v_mov_b32_e32 v3, 0x7f800001
	s_xor_b32 exec_lo, exec_lo, s20
	s_cbranch_execnz .LBB198_1861
.LBB198_1843:
	s_or_b32 exec_lo, exec_lo, s20
	s_and_saveexec_b32 s20, s19
	s_cbranch_execz .LBB198_1845
.LBB198_1844:
	v_and_b32_e32 v3, 0xffff, v1
	s_delay_alu instid0(VALU_DEP_1) | instskip(SKIP_1) | instid1(VALU_DEP_2)
	v_and_b32_e32 v9, 7, v3
	v_bfe_u32 v12, v3, 3, 4
	v_clz_i32_u32_e32 v10, v9
	s_delay_alu instid0(VALU_DEP_2) | instskip(NEXT) | instid1(VALU_DEP_2)
	v_cmp_eq_u32_e32 vcc_lo, 0, v12
	v_min_u32_e32 v10, 32, v10
	s_delay_alu instid0(VALU_DEP_1) | instskip(NEXT) | instid1(VALU_DEP_1)
	v_subrev_nc_u32_e32 v11, 28, v10
	v_dual_lshlrev_b32 v3, v11, v3 :: v_dual_sub_nc_u32 v10, 29, v10
	s_delay_alu instid0(VALU_DEP_1) | instskip(NEXT) | instid1(VALU_DEP_1)
	v_dual_lshlrev_b32 v1, 24, v1 :: v_dual_bitop2_b32 v3, 7, v3 bitop3:0x40
	v_dual_cndmask_b32 v10, v12, v10 :: v_dual_cndmask_b32 v3, v9, v3
	s_delay_alu instid0(VALU_DEP_2) | instskip(NEXT) | instid1(VALU_DEP_2)
	v_and_b32_e32 v1, 0x80000000, v1
	v_lshl_add_u32 v9, v10, 23, 0x3b800000
	s_delay_alu instid0(VALU_DEP_3) | instskip(NEXT) | instid1(VALU_DEP_1)
	v_lshlrev_b32_e32 v3, 20, v3
	v_or3_b32 v3, v1, v9, v3
.LBB198_1845:
	s_or_b32 exec_lo, exec_lo, s20
	s_delay_alu instid0(VALU_DEP_1) | instskip(SKIP_1) | instid1(VALU_DEP_2)
	v_bfe_u32 v1, v3, 16, 1
	v_cmp_o_f32_e32 vcc_lo, v3, v3
	v_add3_u32 v1, v3, v1, 0x7fff
	s_delay_alu instid0(VALU_DEP_1) | instskip(NEXT) | instid1(VALU_DEP_1)
	v_lshrrev_b32_e32 v1, 16, v1
	v_cndmask_b32_e32 v9, 0x7fc0, v1, vcc_lo
.LBB198_1846:
	s_mov_b32 s19, -1
.LBB198_1847:
	s_mov_b32 s20, 0
.LBB198_1848:
	s_delay_alu instid0(SALU_CYCLE_1)
	s_and_b32 vcc_lo, exec_lo, s20
	s_cbranch_vccz .LBB198_1881
; %bb.1849:
	s_cmp_gt_i32 s9, 22
	s_cbranch_scc0 .LBB198_1859
; %bb.1850:
	s_cmp_lt_i32 s9, 24
	s_cbranch_scc1 .LBB198_1862
; %bb.1851:
	s_cmp_gt_i32 s9, 24
	s_cbranch_scc0 .LBB198_1863
; %bb.1852:
	global_load_u8 v1, v[4:5], off
	s_mov_b32 s19, exec_lo
	s_wait_loadcnt 0x0
	v_cmpx_lt_i16_e32 0x7f, v1
	s_xor_b32 s19, exec_lo, s19
	s_cbranch_execz .LBB198_1875
; %bb.1853:
	s_mov_b32 s16, -1
	s_mov_b32 s20, exec_lo
	v_cmpx_eq_u16_e32 0x80, v1
; %bb.1854:
	s_xor_b32 s16, exec_lo, -1
; %bb.1855:
	s_or_b32 exec_lo, exec_lo, s20
	s_delay_alu instid0(SALU_CYCLE_1)
	s_and_b32 s16, s16, exec_lo
	s_or_saveexec_b32 s19, s19
	v_mov_b32_e32 v3, 0x7f800001
	s_xor_b32 exec_lo, exec_lo, s19
	s_cbranch_execnz .LBB198_1876
.LBB198_1856:
	s_or_b32 exec_lo, exec_lo, s19
	s_and_saveexec_b32 s19, s16
	s_cbranch_execz .LBB198_1858
.LBB198_1857:
	v_and_b32_e32 v3, 0xffff, v1
	s_delay_alu instid0(VALU_DEP_1) | instskip(SKIP_1) | instid1(VALU_DEP_2)
	v_and_b32_e32 v9, 3, v3
	v_bfe_u32 v12, v3, 2, 5
	v_clz_i32_u32_e32 v10, v9
	s_delay_alu instid0(VALU_DEP_2) | instskip(NEXT) | instid1(VALU_DEP_2)
	v_cmp_eq_u32_e32 vcc_lo, 0, v12
	v_min_u32_e32 v10, 32, v10
	s_delay_alu instid0(VALU_DEP_1) | instskip(NEXT) | instid1(VALU_DEP_1)
	v_subrev_nc_u32_e32 v11, 29, v10
	v_dual_lshlrev_b32 v3, v11, v3 :: v_dual_sub_nc_u32 v10, 30, v10
	s_delay_alu instid0(VALU_DEP_1) | instskip(NEXT) | instid1(VALU_DEP_1)
	v_dual_lshlrev_b32 v1, 24, v1 :: v_dual_bitop2_b32 v3, 3, v3 bitop3:0x40
	v_dual_cndmask_b32 v10, v12, v10 :: v_dual_cndmask_b32 v3, v9, v3
	s_delay_alu instid0(VALU_DEP_2) | instskip(NEXT) | instid1(VALU_DEP_2)
	v_and_b32_e32 v1, 0x80000000, v1
	v_lshl_add_u32 v9, v10, 23, 0x37800000
	s_delay_alu instid0(VALU_DEP_3) | instskip(NEXT) | instid1(VALU_DEP_1)
	v_lshlrev_b32_e32 v3, 21, v3
	v_or3_b32 v3, v1, v9, v3
.LBB198_1858:
	s_or_b32 exec_lo, exec_lo, s19
	s_delay_alu instid0(VALU_DEP_1) | instskip(SKIP_2) | instid1(VALU_DEP_2)
	v_bfe_u32 v1, v3, 16, 1
	v_cmp_o_f32_e32 vcc_lo, v3, v3
	s_mov_b32 s16, 0
	v_add3_u32 v1, v3, v1, 0x7fff
	s_delay_alu instid0(VALU_DEP_1) | instskip(NEXT) | instid1(VALU_DEP_1)
	v_lshrrev_b32_e32 v1, 16, v1
	v_cndmask_b32_e32 v9, 0x7fc0, v1, vcc_lo
	s_branch .LBB198_1864
.LBB198_1859:
	s_mov_b32 s16, -1
                                        ; implicit-def: $vgpr9
	s_branch .LBB198_1870
.LBB198_1860:
	s_or_saveexec_b32 s20, s20
	v_mov_b32_e32 v3, 0x7f800001
	s_xor_b32 exec_lo, exec_lo, s20
	s_cbranch_execz .LBB198_1843
.LBB198_1861:
	v_cmp_ne_u16_e32 vcc_lo, 0, v1
	v_mov_b32_e32 v3, 0
	s_and_not1_b32 s19, s19, exec_lo
	s_and_b32 s21, vcc_lo, exec_lo
	s_delay_alu instid0(SALU_CYCLE_1)
	s_or_b32 s19, s19, s21
	s_or_b32 exec_lo, exec_lo, s20
	s_and_saveexec_b32 s20, s19
	s_cbranch_execnz .LBB198_1844
	s_branch .LBB198_1845
.LBB198_1862:
	s_mov_b32 s16, -1
                                        ; implicit-def: $vgpr9
	s_branch .LBB198_1867
.LBB198_1863:
	s_mov_b32 s16, -1
                                        ; implicit-def: $vgpr9
.LBB198_1864:
	s_delay_alu instid0(SALU_CYCLE_1)
	s_and_b32 vcc_lo, exec_lo, s16
	s_cbranch_vccz .LBB198_1866
; %bb.1865:
	global_load_u8 v1, v[4:5], off
	s_wait_loadcnt 0x0
	v_lshlrev_b32_e32 v1, 24, v1
	s_delay_alu instid0(VALU_DEP_1) | instskip(NEXT) | instid1(VALU_DEP_1)
	v_and_b32_e32 v3, 0x7f000000, v1
	v_clz_i32_u32_e32 v9, v3
	v_add_nc_u32_e32 v11, 0x1000000, v3
	v_cmp_ne_u32_e32 vcc_lo, 0, v3
	s_delay_alu instid0(VALU_DEP_3) | instskip(NEXT) | instid1(VALU_DEP_1)
	v_min_u32_e32 v9, 32, v9
	v_sub_nc_u32_e64 v9, v9, 4 clamp
	s_delay_alu instid0(VALU_DEP_1) | instskip(NEXT) | instid1(VALU_DEP_1)
	v_dual_lshlrev_b32 v10, v9, v3 :: v_dual_lshlrev_b32 v9, 23, v9
	v_lshrrev_b32_e32 v10, 4, v10
	s_delay_alu instid0(VALU_DEP_1) | instskip(NEXT) | instid1(VALU_DEP_1)
	v_dual_sub_nc_u32 v9, v10, v9 :: v_dual_ashrrev_i32 v10, 8, v11
	v_add_nc_u32_e32 v9, 0x3c000000, v9
	s_delay_alu instid0(VALU_DEP_1) | instskip(NEXT) | instid1(VALU_DEP_1)
	v_and_or_b32 v9, 0x7f800000, v10, v9
	v_cndmask_b32_e32 v3, 0, v9, vcc_lo
	s_delay_alu instid0(VALU_DEP_1) | instskip(SKIP_1) | instid1(VALU_DEP_2)
	v_and_or_b32 v1, 0x80000000, v1, v3
	v_bfe_u32 v3, v3, 16, 1
	v_cmp_o_f32_e32 vcc_lo, v1, v1
	s_delay_alu instid0(VALU_DEP_2) | instskip(NEXT) | instid1(VALU_DEP_1)
	v_add3_u32 v3, v1, v3, 0x7fff
	v_lshrrev_b32_e32 v3, 16, v3
	s_delay_alu instid0(VALU_DEP_1)
	v_cndmask_b32_e32 v9, 0x7fc0, v3, vcc_lo
.LBB198_1866:
	s_mov_b32 s16, 0
.LBB198_1867:
	s_delay_alu instid0(SALU_CYCLE_1)
	s_and_not1_b32 vcc_lo, exec_lo, s16
	s_cbranch_vccnz .LBB198_1869
; %bb.1868:
	global_load_u8 v1, v[4:5], off
	s_wait_loadcnt 0x0
	v_lshlrev_b32_e32 v3, 25, v1
	v_lshlrev_b16 v1, 8, v1
	s_delay_alu instid0(VALU_DEP_1) | instskip(SKIP_1) | instid1(VALU_DEP_2)
	v_and_or_b32 v10, 0x7f00, v1, 0.5
	v_bfe_i32 v1, v1, 0, 16
	v_dual_add_f32 v10, -0.5, v10 :: v_dual_lshrrev_b32 v9, 4, v3
	v_cmp_gt_u32_e32 vcc_lo, 0x8000000, v3
	s_delay_alu instid0(VALU_DEP_2) | instskip(NEXT) | instid1(VALU_DEP_1)
	v_or_b32_e32 v9, 0x70000000, v9
	v_mul_f32_e32 v9, 0x7800000, v9
	s_delay_alu instid0(VALU_DEP_1) | instskip(NEXT) | instid1(VALU_DEP_1)
	v_cndmask_b32_e32 v3, v9, v10, vcc_lo
	v_and_or_b32 v1, 0x80000000, v1, v3
	v_bfe_u32 v3, v3, 16, 1
	s_delay_alu instid0(VALU_DEP_2) | instskip(NEXT) | instid1(VALU_DEP_2)
	v_cmp_o_f32_e32 vcc_lo, v1, v1
	v_add3_u32 v3, v1, v3, 0x7fff
	s_delay_alu instid0(VALU_DEP_1) | instskip(NEXT) | instid1(VALU_DEP_1)
	v_lshrrev_b32_e32 v3, 16, v3
	v_cndmask_b32_e32 v9, 0x7fc0, v3, vcc_lo
.LBB198_1869:
	s_mov_b32 s16, 0
	s_mov_b32 s19, -1
.LBB198_1870:
	s_and_not1_b32 vcc_lo, exec_lo, s16
	s_mov_b32 s16, 0
	s_cbranch_vccnz .LBB198_1881
; %bb.1871:
	s_cmp_gt_i32 s9, 14
	s_cbranch_scc0 .LBB198_1874
; %bb.1872:
	s_cmp_eq_u32 s9, 15
	s_cbranch_scc0 .LBB198_1877
; %bb.1873:
	s_wait_loadcnt 0x0
	global_load_u16 v9, v[4:5], off
	s_mov_b32 s14, 0
	s_mov_b32 s19, -1
	s_branch .LBB198_1879
.LBB198_1874:
	s_mov_b32 s16, -1
	s_branch .LBB198_1878
.LBB198_1875:
	s_or_saveexec_b32 s19, s19
	v_mov_b32_e32 v3, 0x7f800001
	s_xor_b32 exec_lo, exec_lo, s19
	s_cbranch_execz .LBB198_1856
.LBB198_1876:
	v_cmp_ne_u16_e32 vcc_lo, 0, v1
	v_mov_b32_e32 v3, 0
	s_and_not1_b32 s16, s16, exec_lo
	s_and_b32 s20, vcc_lo, exec_lo
	s_delay_alu instid0(SALU_CYCLE_1)
	s_or_b32 s16, s16, s20
	s_or_b32 exec_lo, exec_lo, s19
	s_and_saveexec_b32 s19, s16
	s_cbranch_execnz .LBB198_1857
	s_branch .LBB198_1858
.LBB198_1877:
	s_mov_b32 s14, -1
.LBB198_1878:
                                        ; implicit-def: $vgpr9
.LBB198_1879:
	s_and_b32 vcc_lo, exec_lo, s16
	s_mov_b32 s16, 0
	s_cbranch_vccz .LBB198_1881
; %bb.1880:
	s_cmp_lg_u32 s9, 11
	s_mov_b32 s16, -1
	s_cselect_b32 s14, -1, 0
.LBB198_1881:
	s_delay_alu instid0(SALU_CYCLE_1)
	s_and_b32 vcc_lo, exec_lo, s14
	s_cbranch_vccnz .LBB198_1944
; %bb.1882:
	s_and_not1_b32 vcc_lo, exec_lo, s16
	s_cbranch_vccnz .LBB198_1884
.LBB198_1883:
	global_load_u8 v1, v[4:5], off
	s_mov_b32 s19, -1
	s_wait_loadcnt 0x0
	v_cmp_ne_u16_e32 vcc_lo, 0, v1
	v_cndmask_b32_e64 v1, 0, 1.0, vcc_lo
	s_delay_alu instid0(VALU_DEP_1)
	v_lshrrev_b32_e32 v9, 16, v1
.LBB198_1884:
	s_branch .LBB198_1811
.LBB198_1885:
	s_and_b32 s9, 0xffff, s0
	s_delay_alu instid0(SALU_CYCLE_1)
	s_cmp_lt_i32 s9, 5
	s_cbranch_scc1 .LBB198_1890
; %bb.1886:
	s_cmp_lt_i32 s9, 8
	s_cbranch_scc1 .LBB198_1891
; %bb.1887:
	;; [unrolled: 3-line block ×3, first 2 shown]
	s_cmp_gt_i32 s9, 9
	s_cbranch_scc0 .LBB198_1893
; %bb.1889:
	global_load_b64 v[10:11], v[4:5], off
	s_mov_b32 s14, 0
	s_wait_loadcnt 0x0
	v_cvt_f32_f64_e32 v1, v[10:11]
	s_delay_alu instid0(VALU_DEP_1) | instskip(SKIP_1) | instid1(VALU_DEP_2)
	v_bfe_u32 v3, v1, 16, 1
	v_cmp_o_f32_e32 vcc_lo, v1, v1
	v_add3_u32 v3, v1, v3, 0x7fff
	s_delay_alu instid0(VALU_DEP_1) | instskip(NEXT) | instid1(VALU_DEP_1)
	v_lshrrev_b32_e32 v3, 16, v3
	v_cndmask_b32_e32 v9, 0x7fc0, v3, vcc_lo
	s_branch .LBB198_1894
.LBB198_1890:
	s_mov_b32 s14, -1
                                        ; implicit-def: $vgpr9
	s_branch .LBB198_1912
.LBB198_1891:
	s_mov_b32 s14, -1
                                        ; implicit-def: $vgpr9
	s_branch .LBB198_1900
.LBB198_1892:
	s_mov_b32 s14, -1
                                        ; implicit-def: $vgpr9
	s_branch .LBB198_1897
.LBB198_1893:
	s_mov_b32 s14, -1
                                        ; implicit-def: $vgpr9
.LBB198_1894:
	s_delay_alu instid0(SALU_CYCLE_1)
	s_and_not1_b32 vcc_lo, exec_lo, s14
	s_cbranch_vccnz .LBB198_1896
; %bb.1895:
	global_load_b32 v1, v[4:5], off
	s_wait_loadcnt 0x0
	v_bfe_u32 v3, v1, 16, 1
	v_cmp_o_f32_e32 vcc_lo, v1, v1
	s_delay_alu instid0(VALU_DEP_2) | instskip(NEXT) | instid1(VALU_DEP_1)
	v_add3_u32 v3, v1, v3, 0x7fff
	v_lshrrev_b32_e32 v3, 16, v3
	s_delay_alu instid0(VALU_DEP_1)
	v_cndmask_b32_e32 v9, 0x7fc0, v3, vcc_lo
.LBB198_1896:
	s_mov_b32 s14, 0
.LBB198_1897:
	s_delay_alu instid0(SALU_CYCLE_1)
	s_and_not1_b32 vcc_lo, exec_lo, s14
	s_cbranch_vccnz .LBB198_1899
; %bb.1898:
	global_load_b32 v1, v[4:5], off
	s_wait_loadcnt 0x0
	v_cvt_f32_f16_e32 v3, v1
	v_cmp_o_f16_e32 vcc_lo, v1, v1
	s_delay_alu instid0(VALU_DEP_2) | instskip(NEXT) | instid1(VALU_DEP_1)
	v_bfe_u32 v9, v3, 16, 1
	v_add3_u32 v3, v3, v9, 0x7fff
	s_delay_alu instid0(VALU_DEP_1) | instskip(NEXT) | instid1(VALU_DEP_1)
	v_lshrrev_b32_e32 v3, 16, v3
	v_cndmask_b32_e32 v9, 0x7fc0, v3, vcc_lo
.LBB198_1899:
	s_mov_b32 s14, 0
.LBB198_1900:
	s_delay_alu instid0(SALU_CYCLE_1)
	s_and_not1_b32 vcc_lo, exec_lo, s14
	s_cbranch_vccnz .LBB198_1911
; %bb.1901:
	s_cmp_lt_i32 s9, 6
	s_cbranch_scc1 .LBB198_1904
; %bb.1902:
	s_cmp_gt_i32 s9, 6
	s_cbranch_scc0 .LBB198_1905
; %bb.1903:
	global_load_b64 v[10:11], v[4:5], off
	s_mov_b32 s14, 0
	s_wait_loadcnt 0x0
	v_cvt_f32_f64_e32 v1, v[10:11]
	s_delay_alu instid0(VALU_DEP_1) | instskip(SKIP_1) | instid1(VALU_DEP_2)
	v_bfe_u32 v3, v1, 16, 1
	v_cmp_o_f32_e32 vcc_lo, v1, v1
	v_add3_u32 v3, v1, v3, 0x7fff
	s_delay_alu instid0(VALU_DEP_1) | instskip(NEXT) | instid1(VALU_DEP_1)
	v_lshrrev_b32_e32 v3, 16, v3
	v_cndmask_b32_e32 v9, 0x7fc0, v3, vcc_lo
	s_branch .LBB198_1906
.LBB198_1904:
	s_mov_b32 s14, -1
                                        ; implicit-def: $vgpr9
	s_branch .LBB198_1909
.LBB198_1905:
	s_mov_b32 s14, -1
                                        ; implicit-def: $vgpr9
.LBB198_1906:
	s_delay_alu instid0(SALU_CYCLE_1)
	s_and_not1_b32 vcc_lo, exec_lo, s14
	s_cbranch_vccnz .LBB198_1908
; %bb.1907:
	global_load_b32 v1, v[4:5], off
	s_wait_loadcnt 0x0
	v_bfe_u32 v3, v1, 16, 1
	v_cmp_o_f32_e32 vcc_lo, v1, v1
	s_delay_alu instid0(VALU_DEP_2) | instskip(NEXT) | instid1(VALU_DEP_1)
	v_add3_u32 v3, v1, v3, 0x7fff
	v_lshrrev_b32_e32 v3, 16, v3
	s_delay_alu instid0(VALU_DEP_1)
	v_cndmask_b32_e32 v9, 0x7fc0, v3, vcc_lo
.LBB198_1908:
	s_mov_b32 s14, 0
.LBB198_1909:
	s_delay_alu instid0(SALU_CYCLE_1)
	s_and_not1_b32 vcc_lo, exec_lo, s14
	s_cbranch_vccnz .LBB198_1911
; %bb.1910:
	global_load_u16 v1, v[4:5], off
	s_wait_loadcnt 0x0
	v_cvt_f32_f16_e32 v3, v1
	v_cmp_o_f16_e32 vcc_lo, v1, v1
	s_delay_alu instid0(VALU_DEP_2) | instskip(NEXT) | instid1(VALU_DEP_1)
	v_bfe_u32 v9, v3, 16, 1
	v_add3_u32 v3, v3, v9, 0x7fff
	s_delay_alu instid0(VALU_DEP_1) | instskip(NEXT) | instid1(VALU_DEP_1)
	v_lshrrev_b32_e32 v3, 16, v3
	v_cndmask_b32_e32 v9, 0x7fc0, v3, vcc_lo
.LBB198_1911:
	s_mov_b32 s14, 0
.LBB198_1912:
	s_delay_alu instid0(SALU_CYCLE_1)
	s_and_not1_b32 vcc_lo, exec_lo, s14
	s_cbranch_vccnz .LBB198_1932
; %bb.1913:
	s_cmp_lt_i32 s9, 2
	s_cbranch_scc1 .LBB198_1917
; %bb.1914:
	s_cmp_lt_i32 s9, 3
	s_cbranch_scc1 .LBB198_1918
; %bb.1915:
	s_cmp_gt_i32 s9, 3
	s_cbranch_scc0 .LBB198_1919
; %bb.1916:
	global_load_b64 v[10:11], v[4:5], off
	s_mov_b32 s14, 0
	s_wait_loadcnt 0x0
	v_xor_b32_e32 v1, v10, v11
	v_cls_i32_e32 v3, v11
	s_delay_alu instid0(VALU_DEP_2) | instskip(NEXT) | instid1(VALU_DEP_1)
	v_ashrrev_i32_e32 v1, 31, v1
	v_add_nc_u32_e32 v1, 32, v1
	s_delay_alu instid0(VALU_DEP_1) | instskip(NEXT) | instid1(VALU_DEP_1)
	v_add_min_u32_e64 v1, v3, -1, v1
	v_lshlrev_b64_e32 v[10:11], v1, v[10:11]
	v_sub_nc_u32_e32 v1, 32, v1
	s_delay_alu instid0(VALU_DEP_2) | instskip(NEXT) | instid1(VALU_DEP_1)
	v_min_u32_e32 v3, 1, v10
	v_or_b32_e32 v3, v11, v3
	s_delay_alu instid0(VALU_DEP_1) | instskip(NEXT) | instid1(VALU_DEP_1)
	v_cvt_f32_i32_e32 v3, v3
	v_ldexp_f32 v1, v3, v1
	s_delay_alu instid0(VALU_DEP_1) | instskip(NEXT) | instid1(VALU_DEP_1)
	v_bfe_u32 v3, v1, 16, 1
	v_add3_u32 v1, v1, v3, 0x7fff
	s_delay_alu instid0(VALU_DEP_1)
	v_lshrrev_b32_e32 v9, 16, v1
	s_branch .LBB198_1920
.LBB198_1917:
	s_mov_b32 s14, -1
                                        ; implicit-def: $vgpr9
	s_branch .LBB198_1926
.LBB198_1918:
	s_mov_b32 s14, -1
                                        ; implicit-def: $vgpr9
	s_branch .LBB198_1923
.LBB198_1919:
	s_mov_b32 s14, -1
                                        ; implicit-def: $vgpr9
.LBB198_1920:
	s_delay_alu instid0(SALU_CYCLE_1)
	s_and_not1_b32 vcc_lo, exec_lo, s14
	s_cbranch_vccnz .LBB198_1922
; %bb.1921:
	global_load_b32 v1, v[4:5], off
	s_wait_loadcnt 0x0
	v_cvt_f32_i32_e32 v1, v1
	s_delay_alu instid0(VALU_DEP_1) | instskip(NEXT) | instid1(VALU_DEP_1)
	v_bfe_u32 v3, v1, 16, 1
	v_add3_u32 v1, v1, v3, 0x7fff
	s_delay_alu instid0(VALU_DEP_1)
	v_lshrrev_b32_e32 v9, 16, v1
.LBB198_1922:
	s_mov_b32 s14, 0
.LBB198_1923:
	s_delay_alu instid0(SALU_CYCLE_1)
	s_and_not1_b32 vcc_lo, exec_lo, s14
	s_cbranch_vccnz .LBB198_1925
; %bb.1924:
	global_load_i16 v1, v[4:5], off
	s_wait_loadcnt 0x0
	v_cvt_f32_i32_e32 v1, v1
	s_delay_alu instid0(VALU_DEP_1) | instskip(NEXT) | instid1(VALU_DEP_1)
	v_bfe_u32 v3, v1, 16, 1
	v_add3_u32 v1, v1, v3, 0x7fff
	s_delay_alu instid0(VALU_DEP_1)
	v_lshrrev_b32_e32 v9, 16, v1
.LBB198_1925:
	s_mov_b32 s14, 0
.LBB198_1926:
	s_delay_alu instid0(SALU_CYCLE_1)
	s_and_not1_b32 vcc_lo, exec_lo, s14
	s_cbranch_vccnz .LBB198_1932
; %bb.1927:
	s_cmp_gt_i32 s9, 0
	s_mov_b32 s9, 0
	s_cbranch_scc0 .LBB198_1929
; %bb.1928:
	global_load_i8 v1, v[4:5], off
	s_wait_loadcnt 0x0
	v_cvt_f32_i32_e32 v1, v1
	s_delay_alu instid0(VALU_DEP_1) | instskip(NEXT) | instid1(VALU_DEP_1)
	v_bfe_u32 v3, v1, 16, 1
	v_add3_u32 v1, v1, v3, 0x7fff
	s_delay_alu instid0(VALU_DEP_1)
	v_lshrrev_b32_e32 v9, 16, v1
	s_branch .LBB198_1930
.LBB198_1929:
	s_mov_b32 s9, -1
                                        ; implicit-def: $vgpr9
.LBB198_1930:
	s_delay_alu instid0(SALU_CYCLE_1)
	s_and_not1_b32 vcc_lo, exec_lo, s9
	s_cbranch_vccnz .LBB198_1932
; %bb.1931:
	global_load_u8 v1, v[4:5], off
	s_wait_loadcnt 0x0
	v_cvt_f32_ubyte0_e32 v1, v1
	s_delay_alu instid0(VALU_DEP_1) | instskip(NEXT) | instid1(VALU_DEP_1)
	v_bfe_u32 v3, v1, 16, 1
	v_add3_u32 v1, v1, v3, 0x7fff
	s_delay_alu instid0(VALU_DEP_1)
	v_lshrrev_b32_e32 v9, 16, v1
.LBB198_1932:
.LBB198_1933:
	s_lshl_b32 s9, s10, 7
	s_cmp_lt_i32 s1, 11
	v_add_nc_u32_e32 v2, s9, v2
	s_delay_alu instid0(VALU_DEP_1) | instskip(SKIP_1) | instid1(VALU_DEP_1)
	v_ashrrev_i32_e32 v3, 31, v2
	s_wait_xcnt 0x0
	v_add_nc_u64_e32 v[4:5], s[12:13], v[2:3]
	s_cbranch_scc1 .LBB198_1940
; %bb.1934:
	s_and_b32 s10, 0xffff, s1
	s_mov_b32 s16, 0
	s_cmp_gt_i32 s10, 25
	s_cbranch_scc0 .LBB198_1941
; %bb.1935:
	s_cmp_gt_i32 s10, 28
	s_cbranch_scc0 .LBB198_1942
; %bb.1936:
	;; [unrolled: 3-line block ×4, first 2 shown]
	s_cmp_eq_u32 s10, 46
	s_mov_b32 s20, 0
	s_cbranch_scc0 .LBB198_1946
; %bb.1939:
	global_load_b32 v10, v[4:5], off
	s_mov_b32 s14, 0
	s_mov_b32 s19, -1
	s_branch .LBB198_1948
.LBB198_1940:
	s_mov_b32 s10, -1
	s_mov_b32 s19, 0
                                        ; implicit-def: $vgpr10
	s_branch .LBB198_2014
.LBB198_1941:
	s_mov_b32 s20, -1
	s_mov_b32 s19, 0
	s_mov_b32 s14, 0
                                        ; implicit-def: $vgpr10
	s_branch .LBB198_1977
.LBB198_1942:
	s_mov_b32 s20, -1
	s_mov_b32 s19, 0
	s_mov_b32 s14, 0
                                        ; implicit-def: $vgpr10
	s_branch .LBB198_1958
.LBB198_1943:
	s_mov_b32 s20, -1
	s_mov_b32 s19, 0
	s_mov_b32 s14, 0
                                        ; implicit-def: $vgpr10
	s_branch .LBB198_1953
.LBB198_1944:
	s_or_b32 s15, s15, exec_lo
	s_trap 2
	s_cbranch_execz .LBB198_1883
	s_branch .LBB198_1884
.LBB198_1945:
	s_mov_b32 s20, -1
	s_mov_b32 s19, 0
	s_mov_b32 s14, 0
	s_branch .LBB198_1947
.LBB198_1946:
	s_mov_b32 s14, -1
	s_mov_b32 s19, 0
.LBB198_1947:
                                        ; implicit-def: $vgpr10
.LBB198_1948:
	s_and_b32 vcc_lo, exec_lo, s20
	s_cbranch_vccz .LBB198_1952
; %bb.1949:
	s_cmp_eq_u32 s10, 44
	s_cbranch_scc0 .LBB198_1951
; %bb.1950:
	global_load_u8 v1, v[4:5], off
	s_mov_b32 s14, 0
	s_mov_b32 s19, -1
	s_wait_loadcnt 0x0
	v_lshlrev_b32_e32 v3, 23, v1
	v_cmp_ne_u32_e32 vcc_lo, 0xff, v1
	s_delay_alu instid0(VALU_DEP_2) | instskip(SKIP_1) | instid1(VALU_DEP_2)
	v_cndmask_b32_e32 v3, 0x7f800001, v3, vcc_lo
	v_cmp_ne_u32_e32 vcc_lo, 0, v1
	v_cndmask_b32_e32 v1, 0x400000, v3, vcc_lo
	s_delay_alu instid0(VALU_DEP_1) | instskip(SKIP_1) | instid1(VALU_DEP_2)
	v_add_nc_u32_e32 v3, 0x7fff, v1
	v_cmp_o_f32_e32 vcc_lo, v1, v1
	v_lshrrev_b32_e32 v3, 16, v3
	s_delay_alu instid0(VALU_DEP_1)
	v_cndmask_b32_e32 v10, 0x7fc0, v3, vcc_lo
	s_branch .LBB198_1952
.LBB198_1951:
	s_mov_b32 s14, -1
                                        ; implicit-def: $vgpr10
.LBB198_1952:
	s_mov_b32 s20, 0
.LBB198_1953:
	s_delay_alu instid0(SALU_CYCLE_1)
	s_and_b32 vcc_lo, exec_lo, s20
	s_cbranch_vccz .LBB198_1957
; %bb.1954:
	s_cmp_eq_u32 s10, 29
	s_cbranch_scc0 .LBB198_1956
; %bb.1955:
	s_wait_loadcnt 0x0
	global_load_b64 v[10:11], v[4:5], off
	s_mov_b32 s14, 0
	s_mov_b32 s19, -1
	s_mov_b32 s20, 0
	s_wait_loadcnt 0x0
	v_clz_i32_u32_e32 v1, v11
	s_delay_alu instid0(VALU_DEP_1) | instskip(NEXT) | instid1(VALU_DEP_1)
	v_min_u32_e32 v1, 32, v1
	v_lshlrev_b64_e32 v[10:11], v1, v[10:11]
	v_sub_nc_u32_e32 v1, 32, v1
	s_delay_alu instid0(VALU_DEP_2) | instskip(NEXT) | instid1(VALU_DEP_1)
	v_min_u32_e32 v3, 1, v10
	v_or_b32_e32 v3, v11, v3
	s_delay_alu instid0(VALU_DEP_1) | instskip(NEXT) | instid1(VALU_DEP_1)
	v_cvt_f32_u32_e32 v3, v3
	v_ldexp_f32 v1, v3, v1
	s_delay_alu instid0(VALU_DEP_1) | instskip(NEXT) | instid1(VALU_DEP_1)
	v_bfe_u32 v3, v1, 16, 1
	v_add3_u32 v1, v1, v3, 0x7fff
	s_delay_alu instid0(VALU_DEP_1)
	v_lshrrev_b32_e32 v10, 16, v1
	s_branch .LBB198_1958
.LBB198_1956:
	s_mov_b32 s14, -1
                                        ; implicit-def: $vgpr10
.LBB198_1957:
	s_mov_b32 s20, 0
.LBB198_1958:
	s_delay_alu instid0(SALU_CYCLE_1)
	s_and_b32 vcc_lo, exec_lo, s20
	s_cbranch_vccz .LBB198_1976
; %bb.1959:
	s_cmp_lt_i32 s10, 27
	s_cbranch_scc1 .LBB198_1962
; %bb.1960:
	s_cmp_gt_i32 s10, 27
	s_cbranch_scc0 .LBB198_1963
; %bb.1961:
	global_load_b32 v1, v[4:5], off
	s_mov_b32 s19, 0
	s_wait_loadcnt 0x0
	v_cvt_f32_u32_e32 v1, v1
	s_delay_alu instid0(VALU_DEP_1) | instskip(NEXT) | instid1(VALU_DEP_1)
	v_bfe_u32 v3, v1, 16, 1
	v_add3_u32 v1, v1, v3, 0x7fff
	s_delay_alu instid0(VALU_DEP_1)
	v_lshrrev_b32_e32 v10, 16, v1
	s_branch .LBB198_1964
.LBB198_1962:
	s_mov_b32 s19, -1
                                        ; implicit-def: $vgpr10
	s_branch .LBB198_1967
.LBB198_1963:
	s_mov_b32 s19, -1
                                        ; implicit-def: $vgpr10
.LBB198_1964:
	s_delay_alu instid0(SALU_CYCLE_1)
	s_and_not1_b32 vcc_lo, exec_lo, s19
	s_cbranch_vccnz .LBB198_1966
; %bb.1965:
	global_load_u16 v1, v[4:5], off
	s_wait_loadcnt 0x0
	v_cvt_f32_u32_e32 v1, v1
	s_delay_alu instid0(VALU_DEP_1) | instskip(NEXT) | instid1(VALU_DEP_1)
	v_bfe_u32 v3, v1, 16, 1
	v_add3_u32 v1, v1, v3, 0x7fff
	s_delay_alu instid0(VALU_DEP_1)
	v_lshrrev_b32_e32 v10, 16, v1
.LBB198_1966:
	s_mov_b32 s19, 0
.LBB198_1967:
	s_delay_alu instid0(SALU_CYCLE_1)
	s_and_not1_b32 vcc_lo, exec_lo, s19
	s_cbranch_vccnz .LBB198_1975
; %bb.1968:
	global_load_u8 v1, v[4:5], off
	s_mov_b32 s19, 0
	s_mov_b32 s20, exec_lo
	s_wait_loadcnt 0x0
	v_cmpx_lt_i16_e32 0x7f, v1
	s_xor_b32 s20, exec_lo, s20
	s_cbranch_execz .LBB198_1989
; %bb.1969:
	s_mov_b32 s19, -1
	s_mov_b32 s21, exec_lo
	v_cmpx_eq_u16_e32 0x80, v1
; %bb.1970:
	s_xor_b32 s19, exec_lo, -1
; %bb.1971:
	s_or_b32 exec_lo, exec_lo, s21
	s_delay_alu instid0(SALU_CYCLE_1)
	s_and_b32 s19, s19, exec_lo
	s_or_saveexec_b32 s20, s20
	v_mov_b32_e32 v3, 0x7f800001
	s_xor_b32 exec_lo, exec_lo, s20
	s_cbranch_execnz .LBB198_1990
.LBB198_1972:
	s_or_b32 exec_lo, exec_lo, s20
	s_and_saveexec_b32 s20, s19
	s_cbranch_execz .LBB198_1974
.LBB198_1973:
	v_and_b32_e32 v3, 0xffff, v1
	s_delay_alu instid0(VALU_DEP_1) | instskip(SKIP_1) | instid1(VALU_DEP_2)
	v_dual_lshlrev_b32 v1, 24, v1 :: v_dual_bitop2_b32 v10, 7, v3 bitop3:0x40
	v_bfe_u32 v13, v3, 3, 4
	v_and_b32_e32 v1, 0x80000000, v1
	s_delay_alu instid0(VALU_DEP_3) | instskip(NEXT) | instid1(VALU_DEP_3)
	v_clz_i32_u32_e32 v11, v10
	v_cmp_eq_u32_e32 vcc_lo, 0, v13
	s_delay_alu instid0(VALU_DEP_2) | instskip(NEXT) | instid1(VALU_DEP_1)
	v_min_u32_e32 v11, 32, v11
	v_subrev_nc_u32_e32 v12, 28, v11
	v_sub_nc_u32_e32 v11, 29, v11
	s_delay_alu instid0(VALU_DEP_2) | instskip(NEXT) | instid1(VALU_DEP_2)
	v_lshlrev_b32_e32 v3, v12, v3
	v_cndmask_b32_e32 v11, v13, v11, vcc_lo
	s_delay_alu instid0(VALU_DEP_2) | instskip(NEXT) | instid1(VALU_DEP_1)
	v_and_b32_e32 v3, 7, v3
	v_cndmask_b32_e32 v3, v10, v3, vcc_lo
	s_delay_alu instid0(VALU_DEP_3) | instskip(NEXT) | instid1(VALU_DEP_2)
	v_lshl_add_u32 v10, v11, 23, 0x3b800000
	v_lshlrev_b32_e32 v3, 20, v3
	s_delay_alu instid0(VALU_DEP_1)
	v_or3_b32 v3, v1, v10, v3
.LBB198_1974:
	s_or_b32 exec_lo, exec_lo, s20
	s_delay_alu instid0(VALU_DEP_1) | instskip(SKIP_1) | instid1(VALU_DEP_2)
	v_bfe_u32 v1, v3, 16, 1
	v_cmp_o_f32_e32 vcc_lo, v3, v3
	v_add3_u32 v1, v3, v1, 0x7fff
	s_delay_alu instid0(VALU_DEP_1) | instskip(NEXT) | instid1(VALU_DEP_1)
	v_lshrrev_b32_e32 v1, 16, v1
	v_cndmask_b32_e32 v10, 0x7fc0, v1, vcc_lo
.LBB198_1975:
	s_mov_b32 s19, -1
.LBB198_1976:
	s_mov_b32 s20, 0
.LBB198_1977:
	s_delay_alu instid0(SALU_CYCLE_1)
	s_and_b32 vcc_lo, exec_lo, s20
	s_cbranch_vccz .LBB198_2010
; %bb.1978:
	s_cmp_gt_i32 s10, 22
	s_cbranch_scc0 .LBB198_1988
; %bb.1979:
	s_cmp_lt_i32 s10, 24
	s_cbranch_scc1 .LBB198_1991
; %bb.1980:
	s_cmp_gt_i32 s10, 24
	s_cbranch_scc0 .LBB198_1992
; %bb.1981:
	global_load_u8 v1, v[4:5], off
	s_mov_b32 s19, exec_lo
	s_wait_loadcnt 0x0
	v_cmpx_lt_i16_e32 0x7f, v1
	s_xor_b32 s19, exec_lo, s19
	s_cbranch_execz .LBB198_2004
; %bb.1982:
	s_mov_b32 s16, -1
	s_mov_b32 s20, exec_lo
	v_cmpx_eq_u16_e32 0x80, v1
; %bb.1983:
	s_xor_b32 s16, exec_lo, -1
; %bb.1984:
	s_or_b32 exec_lo, exec_lo, s20
	s_delay_alu instid0(SALU_CYCLE_1)
	s_and_b32 s16, s16, exec_lo
	s_or_saveexec_b32 s19, s19
	v_mov_b32_e32 v3, 0x7f800001
	s_xor_b32 exec_lo, exec_lo, s19
	s_cbranch_execnz .LBB198_2005
.LBB198_1985:
	s_or_b32 exec_lo, exec_lo, s19
	s_and_saveexec_b32 s19, s16
	s_cbranch_execz .LBB198_1987
.LBB198_1986:
	v_and_b32_e32 v3, 0xffff, v1
	s_delay_alu instid0(VALU_DEP_1) | instskip(SKIP_1) | instid1(VALU_DEP_2)
	v_dual_lshlrev_b32 v1, 24, v1 :: v_dual_bitop2_b32 v10, 3, v3 bitop3:0x40
	v_bfe_u32 v13, v3, 2, 5
	v_and_b32_e32 v1, 0x80000000, v1
	s_delay_alu instid0(VALU_DEP_3) | instskip(NEXT) | instid1(VALU_DEP_3)
	v_clz_i32_u32_e32 v11, v10
	v_cmp_eq_u32_e32 vcc_lo, 0, v13
	s_delay_alu instid0(VALU_DEP_2) | instskip(NEXT) | instid1(VALU_DEP_1)
	v_min_u32_e32 v11, 32, v11
	v_subrev_nc_u32_e32 v12, 29, v11
	v_sub_nc_u32_e32 v11, 30, v11
	s_delay_alu instid0(VALU_DEP_2) | instskip(NEXT) | instid1(VALU_DEP_2)
	v_lshlrev_b32_e32 v3, v12, v3
	v_cndmask_b32_e32 v11, v13, v11, vcc_lo
	s_delay_alu instid0(VALU_DEP_2) | instskip(NEXT) | instid1(VALU_DEP_1)
	v_and_b32_e32 v3, 3, v3
	v_cndmask_b32_e32 v3, v10, v3, vcc_lo
	s_delay_alu instid0(VALU_DEP_3) | instskip(NEXT) | instid1(VALU_DEP_2)
	v_lshl_add_u32 v10, v11, 23, 0x37800000
	v_lshlrev_b32_e32 v3, 21, v3
	s_delay_alu instid0(VALU_DEP_1)
	v_or3_b32 v3, v1, v10, v3
.LBB198_1987:
	s_or_b32 exec_lo, exec_lo, s19
	s_delay_alu instid0(VALU_DEP_1) | instskip(SKIP_2) | instid1(VALU_DEP_2)
	v_bfe_u32 v1, v3, 16, 1
	v_cmp_o_f32_e32 vcc_lo, v3, v3
	s_mov_b32 s16, 0
	v_add3_u32 v1, v3, v1, 0x7fff
	s_delay_alu instid0(VALU_DEP_1) | instskip(NEXT) | instid1(VALU_DEP_1)
	v_lshrrev_b32_e32 v1, 16, v1
	v_cndmask_b32_e32 v10, 0x7fc0, v1, vcc_lo
	s_branch .LBB198_1993
.LBB198_1988:
	s_mov_b32 s16, -1
                                        ; implicit-def: $vgpr10
	s_branch .LBB198_1999
.LBB198_1989:
	s_or_saveexec_b32 s20, s20
	v_mov_b32_e32 v3, 0x7f800001
	s_xor_b32 exec_lo, exec_lo, s20
	s_cbranch_execz .LBB198_1972
.LBB198_1990:
	v_cmp_ne_u16_e32 vcc_lo, 0, v1
	v_mov_b32_e32 v3, 0
	s_and_not1_b32 s19, s19, exec_lo
	s_and_b32 s21, vcc_lo, exec_lo
	s_delay_alu instid0(SALU_CYCLE_1)
	s_or_b32 s19, s19, s21
	s_or_b32 exec_lo, exec_lo, s20
	s_and_saveexec_b32 s20, s19
	s_cbranch_execnz .LBB198_1973
	s_branch .LBB198_1974
.LBB198_1991:
	s_mov_b32 s16, -1
                                        ; implicit-def: $vgpr10
	s_branch .LBB198_1996
.LBB198_1992:
	s_mov_b32 s16, -1
                                        ; implicit-def: $vgpr10
.LBB198_1993:
	s_delay_alu instid0(SALU_CYCLE_1)
	s_and_b32 vcc_lo, exec_lo, s16
	s_cbranch_vccz .LBB198_1995
; %bb.1994:
	global_load_u8 v1, v[4:5], off
	s_wait_loadcnt 0x0
	v_lshlrev_b32_e32 v1, 24, v1
	s_delay_alu instid0(VALU_DEP_1) | instskip(NEXT) | instid1(VALU_DEP_1)
	v_and_b32_e32 v3, 0x7f000000, v1
	v_clz_i32_u32_e32 v10, v3
	v_cmp_ne_u32_e32 vcc_lo, 0, v3
	v_add_nc_u32_e32 v12, 0x1000000, v3
	s_delay_alu instid0(VALU_DEP_3) | instskip(NEXT) | instid1(VALU_DEP_1)
	v_min_u32_e32 v10, 32, v10
	v_sub_nc_u32_e64 v10, v10, 4 clamp
	s_delay_alu instid0(VALU_DEP_1) | instskip(NEXT) | instid1(VALU_DEP_1)
	v_dual_lshlrev_b32 v11, v10, v3 :: v_dual_lshlrev_b32 v10, 23, v10
	v_lshrrev_b32_e32 v11, 4, v11
	s_delay_alu instid0(VALU_DEP_1) | instskip(NEXT) | instid1(VALU_DEP_1)
	v_dual_sub_nc_u32 v10, v11, v10 :: v_dual_ashrrev_i32 v11, 8, v12
	v_add_nc_u32_e32 v10, 0x3c000000, v10
	s_delay_alu instid0(VALU_DEP_1) | instskip(NEXT) | instid1(VALU_DEP_1)
	v_and_or_b32 v10, 0x7f800000, v11, v10
	v_cndmask_b32_e32 v3, 0, v10, vcc_lo
	s_delay_alu instid0(VALU_DEP_1) | instskip(SKIP_1) | instid1(VALU_DEP_2)
	v_and_or_b32 v1, 0x80000000, v1, v3
	v_bfe_u32 v3, v3, 16, 1
	v_cmp_o_f32_e32 vcc_lo, v1, v1
	s_delay_alu instid0(VALU_DEP_2) | instskip(NEXT) | instid1(VALU_DEP_1)
	v_add3_u32 v3, v1, v3, 0x7fff
	v_lshrrev_b32_e32 v3, 16, v3
	s_delay_alu instid0(VALU_DEP_1)
	v_cndmask_b32_e32 v10, 0x7fc0, v3, vcc_lo
.LBB198_1995:
	s_mov_b32 s16, 0
.LBB198_1996:
	s_delay_alu instid0(SALU_CYCLE_1)
	s_and_not1_b32 vcc_lo, exec_lo, s16
	s_cbranch_vccnz .LBB198_1998
; %bb.1997:
	global_load_u8 v1, v[4:5], off
	s_wait_loadcnt 0x0
	v_lshlrev_b32_e32 v3, 25, v1
	v_lshlrev_b16 v1, 8, v1
	s_delay_alu instid0(VALU_DEP_1) | instskip(SKIP_1) | instid1(VALU_DEP_2)
	v_and_or_b32 v11, 0x7f00, v1, 0.5
	v_bfe_i32 v1, v1, 0, 16
	v_add_f32_e32 v11, -0.5, v11
	v_lshrrev_b32_e32 v10, 4, v3
	v_cmp_gt_u32_e32 vcc_lo, 0x8000000, v3
	s_delay_alu instid0(VALU_DEP_2) | instskip(NEXT) | instid1(VALU_DEP_1)
	v_or_b32_e32 v10, 0x70000000, v10
	v_mul_f32_e32 v10, 0x7800000, v10
	s_delay_alu instid0(VALU_DEP_1) | instskip(NEXT) | instid1(VALU_DEP_1)
	v_cndmask_b32_e32 v3, v10, v11, vcc_lo
	v_and_or_b32 v1, 0x80000000, v1, v3
	v_bfe_u32 v3, v3, 16, 1
	s_delay_alu instid0(VALU_DEP_2) | instskip(NEXT) | instid1(VALU_DEP_2)
	v_cmp_o_f32_e32 vcc_lo, v1, v1
	v_add3_u32 v3, v1, v3, 0x7fff
	s_delay_alu instid0(VALU_DEP_1) | instskip(NEXT) | instid1(VALU_DEP_1)
	v_lshrrev_b32_e32 v3, 16, v3
	v_cndmask_b32_e32 v10, 0x7fc0, v3, vcc_lo
.LBB198_1998:
	s_mov_b32 s16, 0
	s_mov_b32 s19, -1
.LBB198_1999:
	s_and_not1_b32 vcc_lo, exec_lo, s16
	s_mov_b32 s16, 0
	s_cbranch_vccnz .LBB198_2010
; %bb.2000:
	s_cmp_gt_i32 s10, 14
	s_cbranch_scc0 .LBB198_2003
; %bb.2001:
	s_cmp_eq_u32 s10, 15
	s_cbranch_scc0 .LBB198_2006
; %bb.2002:
	s_wait_loadcnt 0x0
	global_load_u16 v10, v[4:5], off
	s_mov_b32 s14, 0
	s_mov_b32 s19, -1
	s_branch .LBB198_2008
.LBB198_2003:
	s_mov_b32 s16, -1
	s_branch .LBB198_2007
.LBB198_2004:
	s_or_saveexec_b32 s19, s19
	v_mov_b32_e32 v3, 0x7f800001
	s_xor_b32 exec_lo, exec_lo, s19
	s_cbranch_execz .LBB198_1985
.LBB198_2005:
	v_cmp_ne_u16_e32 vcc_lo, 0, v1
	v_mov_b32_e32 v3, 0
	s_and_not1_b32 s16, s16, exec_lo
	s_and_b32 s20, vcc_lo, exec_lo
	s_delay_alu instid0(SALU_CYCLE_1)
	s_or_b32 s16, s16, s20
	s_or_b32 exec_lo, exec_lo, s19
	s_and_saveexec_b32 s19, s16
	s_cbranch_execnz .LBB198_1986
	s_branch .LBB198_1987
.LBB198_2006:
	s_mov_b32 s14, -1
.LBB198_2007:
                                        ; implicit-def: $vgpr10
.LBB198_2008:
	s_and_b32 vcc_lo, exec_lo, s16
	s_mov_b32 s16, 0
	s_cbranch_vccz .LBB198_2010
; %bb.2009:
	s_cmp_lg_u32 s10, 11
	s_mov_b32 s16, -1
	s_cselect_b32 s14, -1, 0
.LBB198_2010:
	s_delay_alu instid0(SALU_CYCLE_1)
	s_and_b32 vcc_lo, exec_lo, s14
	s_cbranch_vccnz .LBB198_2075
; %bb.2011:
	s_and_not1_b32 vcc_lo, exec_lo, s16
	s_cbranch_vccnz .LBB198_2013
.LBB198_2012:
	global_load_u8 v1, v[4:5], off
	s_mov_b32 s19, -1
	s_wait_loadcnt 0x0
	v_cmp_ne_u16_e32 vcc_lo, 0, v1
	v_cndmask_b32_e64 v1, 0, 1.0, vcc_lo
	s_delay_alu instid0(VALU_DEP_1)
	v_lshrrev_b32_e32 v10, 16, v1
.LBB198_2013:
	s_mov_b32 s10, 0
.LBB198_2014:
	s_delay_alu instid0(SALU_CYCLE_1)
	s_and_b32 vcc_lo, exec_lo, s10
	s_cbranch_vccz .LBB198_2063
; %bb.2015:
	s_and_b32 s10, 0xffff, s1
	s_delay_alu instid0(SALU_CYCLE_1)
	s_cmp_lt_i32 s10, 5
	s_cbranch_scc1 .LBB198_2020
; %bb.2016:
	s_cmp_lt_i32 s10, 8
	s_cbranch_scc1 .LBB198_2021
; %bb.2017:
	;; [unrolled: 3-line block ×3, first 2 shown]
	s_cmp_gt_i32 s10, 9
	s_cbranch_scc0 .LBB198_2023
; %bb.2019:
	s_wait_loadcnt 0x0
	global_load_b64 v[10:11], v[4:5], off
	s_mov_b32 s14, 0
	s_wait_loadcnt 0x0
	v_cvt_f32_f64_e32 v1, v[10:11]
	s_delay_alu instid0(VALU_DEP_1) | instskip(SKIP_1) | instid1(VALU_DEP_2)
	v_bfe_u32 v3, v1, 16, 1
	v_cmp_o_f32_e32 vcc_lo, v1, v1
	v_add3_u32 v3, v1, v3, 0x7fff
	s_delay_alu instid0(VALU_DEP_1) | instskip(NEXT) | instid1(VALU_DEP_1)
	v_lshrrev_b32_e32 v3, 16, v3
	v_cndmask_b32_e32 v10, 0x7fc0, v3, vcc_lo
	s_branch .LBB198_2024
.LBB198_2020:
	s_mov_b32 s14, -1
                                        ; implicit-def: $vgpr10
	s_branch .LBB198_2042
.LBB198_2021:
	s_mov_b32 s14, -1
                                        ; implicit-def: $vgpr10
	s_branch .LBB198_2030
.LBB198_2022:
	s_mov_b32 s14, -1
                                        ; implicit-def: $vgpr10
	s_branch .LBB198_2027
.LBB198_2023:
	s_mov_b32 s14, -1
                                        ; implicit-def: $vgpr10
.LBB198_2024:
	s_delay_alu instid0(SALU_CYCLE_1)
	s_and_not1_b32 vcc_lo, exec_lo, s14
	s_cbranch_vccnz .LBB198_2026
; %bb.2025:
	global_load_b32 v1, v[4:5], off
	s_wait_loadcnt 0x0
	v_bfe_u32 v3, v1, 16, 1
	v_cmp_o_f32_e32 vcc_lo, v1, v1
	s_delay_alu instid0(VALU_DEP_2) | instskip(NEXT) | instid1(VALU_DEP_1)
	v_add3_u32 v3, v1, v3, 0x7fff
	v_lshrrev_b32_e32 v3, 16, v3
	s_delay_alu instid0(VALU_DEP_1)
	v_cndmask_b32_e32 v10, 0x7fc0, v3, vcc_lo
.LBB198_2026:
	s_mov_b32 s14, 0
.LBB198_2027:
	s_delay_alu instid0(SALU_CYCLE_1)
	s_and_not1_b32 vcc_lo, exec_lo, s14
	s_cbranch_vccnz .LBB198_2029
; %bb.2028:
	global_load_b32 v1, v[4:5], off
	s_wait_loadcnt 0x0
	v_cvt_f32_f16_e32 v3, v1
	v_cmp_o_f16_e32 vcc_lo, v1, v1
	s_delay_alu instid0(VALU_DEP_2) | instskip(NEXT) | instid1(VALU_DEP_1)
	v_bfe_u32 v10, v3, 16, 1
	v_add3_u32 v3, v3, v10, 0x7fff
	s_delay_alu instid0(VALU_DEP_1) | instskip(NEXT) | instid1(VALU_DEP_1)
	v_lshrrev_b32_e32 v3, 16, v3
	v_cndmask_b32_e32 v10, 0x7fc0, v3, vcc_lo
.LBB198_2029:
	s_mov_b32 s14, 0
.LBB198_2030:
	s_delay_alu instid0(SALU_CYCLE_1)
	s_and_not1_b32 vcc_lo, exec_lo, s14
	s_cbranch_vccnz .LBB198_2041
; %bb.2031:
	s_cmp_lt_i32 s10, 6
	s_cbranch_scc1 .LBB198_2034
; %bb.2032:
	s_cmp_gt_i32 s10, 6
	s_cbranch_scc0 .LBB198_2035
; %bb.2033:
	s_wait_loadcnt 0x0
	global_load_b64 v[10:11], v[4:5], off
	s_mov_b32 s14, 0
	s_wait_loadcnt 0x0
	v_cvt_f32_f64_e32 v1, v[10:11]
	s_delay_alu instid0(VALU_DEP_1) | instskip(SKIP_1) | instid1(VALU_DEP_2)
	v_bfe_u32 v3, v1, 16, 1
	v_cmp_o_f32_e32 vcc_lo, v1, v1
	v_add3_u32 v3, v1, v3, 0x7fff
	s_delay_alu instid0(VALU_DEP_1) | instskip(NEXT) | instid1(VALU_DEP_1)
	v_lshrrev_b32_e32 v3, 16, v3
	v_cndmask_b32_e32 v10, 0x7fc0, v3, vcc_lo
	s_branch .LBB198_2036
.LBB198_2034:
	s_mov_b32 s14, -1
                                        ; implicit-def: $vgpr10
	s_branch .LBB198_2039
.LBB198_2035:
	s_mov_b32 s14, -1
                                        ; implicit-def: $vgpr10
.LBB198_2036:
	s_delay_alu instid0(SALU_CYCLE_1)
	s_and_not1_b32 vcc_lo, exec_lo, s14
	s_cbranch_vccnz .LBB198_2038
; %bb.2037:
	global_load_b32 v1, v[4:5], off
	s_wait_loadcnt 0x0
	v_bfe_u32 v3, v1, 16, 1
	v_cmp_o_f32_e32 vcc_lo, v1, v1
	s_delay_alu instid0(VALU_DEP_2) | instskip(NEXT) | instid1(VALU_DEP_1)
	v_add3_u32 v3, v1, v3, 0x7fff
	v_lshrrev_b32_e32 v3, 16, v3
	s_delay_alu instid0(VALU_DEP_1)
	v_cndmask_b32_e32 v10, 0x7fc0, v3, vcc_lo
.LBB198_2038:
	s_mov_b32 s14, 0
.LBB198_2039:
	s_delay_alu instid0(SALU_CYCLE_1)
	s_and_not1_b32 vcc_lo, exec_lo, s14
	s_cbranch_vccnz .LBB198_2041
; %bb.2040:
	global_load_u16 v1, v[4:5], off
	s_wait_loadcnt 0x0
	v_cvt_f32_f16_e32 v3, v1
	v_cmp_o_f16_e32 vcc_lo, v1, v1
	s_delay_alu instid0(VALU_DEP_2) | instskip(NEXT) | instid1(VALU_DEP_1)
	v_bfe_u32 v10, v3, 16, 1
	v_add3_u32 v3, v3, v10, 0x7fff
	s_delay_alu instid0(VALU_DEP_1) | instskip(NEXT) | instid1(VALU_DEP_1)
	v_lshrrev_b32_e32 v3, 16, v3
	v_cndmask_b32_e32 v10, 0x7fc0, v3, vcc_lo
.LBB198_2041:
	s_mov_b32 s14, 0
.LBB198_2042:
	s_delay_alu instid0(SALU_CYCLE_1)
	s_and_not1_b32 vcc_lo, exec_lo, s14
	s_cbranch_vccnz .LBB198_2062
; %bb.2043:
	s_cmp_lt_i32 s10, 2
	s_cbranch_scc1 .LBB198_2047
; %bb.2044:
	s_cmp_lt_i32 s10, 3
	s_cbranch_scc1 .LBB198_2048
; %bb.2045:
	s_cmp_gt_i32 s10, 3
	s_cbranch_scc0 .LBB198_2049
; %bb.2046:
	s_wait_loadcnt 0x0
	global_load_b64 v[10:11], v[4:5], off
	s_mov_b32 s14, 0
	s_wait_loadcnt 0x0
	v_xor_b32_e32 v1, v10, v11
	v_cls_i32_e32 v3, v11
	s_delay_alu instid0(VALU_DEP_2) | instskip(NEXT) | instid1(VALU_DEP_1)
	v_ashrrev_i32_e32 v1, 31, v1
	v_add_nc_u32_e32 v1, 32, v1
	s_delay_alu instid0(VALU_DEP_1) | instskip(NEXT) | instid1(VALU_DEP_1)
	v_add_min_u32_e64 v1, v3, -1, v1
	v_lshlrev_b64_e32 v[10:11], v1, v[10:11]
	v_sub_nc_u32_e32 v1, 32, v1
	s_delay_alu instid0(VALU_DEP_2) | instskip(NEXT) | instid1(VALU_DEP_1)
	v_min_u32_e32 v3, 1, v10
	v_or_b32_e32 v3, v11, v3
	s_delay_alu instid0(VALU_DEP_1) | instskip(NEXT) | instid1(VALU_DEP_1)
	v_cvt_f32_i32_e32 v3, v3
	v_ldexp_f32 v1, v3, v1
	s_delay_alu instid0(VALU_DEP_1) | instskip(NEXT) | instid1(VALU_DEP_1)
	v_bfe_u32 v3, v1, 16, 1
	v_add3_u32 v1, v1, v3, 0x7fff
	s_delay_alu instid0(VALU_DEP_1)
	v_lshrrev_b32_e32 v10, 16, v1
	s_branch .LBB198_2050
.LBB198_2047:
	s_mov_b32 s14, -1
                                        ; implicit-def: $vgpr10
	s_branch .LBB198_2056
.LBB198_2048:
	s_mov_b32 s14, -1
                                        ; implicit-def: $vgpr10
	s_branch .LBB198_2053
.LBB198_2049:
	s_mov_b32 s14, -1
                                        ; implicit-def: $vgpr10
.LBB198_2050:
	s_delay_alu instid0(SALU_CYCLE_1)
	s_and_not1_b32 vcc_lo, exec_lo, s14
	s_cbranch_vccnz .LBB198_2052
; %bb.2051:
	global_load_b32 v1, v[4:5], off
	s_wait_loadcnt 0x0
	v_cvt_f32_i32_e32 v1, v1
	s_delay_alu instid0(VALU_DEP_1) | instskip(NEXT) | instid1(VALU_DEP_1)
	v_bfe_u32 v3, v1, 16, 1
	v_add3_u32 v1, v1, v3, 0x7fff
	s_delay_alu instid0(VALU_DEP_1)
	v_lshrrev_b32_e32 v10, 16, v1
.LBB198_2052:
	s_mov_b32 s14, 0
.LBB198_2053:
	s_delay_alu instid0(SALU_CYCLE_1)
	s_and_not1_b32 vcc_lo, exec_lo, s14
	s_cbranch_vccnz .LBB198_2055
; %bb.2054:
	global_load_i16 v1, v[4:5], off
	s_wait_loadcnt 0x0
	v_cvt_f32_i32_e32 v1, v1
	s_delay_alu instid0(VALU_DEP_1) | instskip(NEXT) | instid1(VALU_DEP_1)
	v_bfe_u32 v3, v1, 16, 1
	v_add3_u32 v1, v1, v3, 0x7fff
	s_delay_alu instid0(VALU_DEP_1)
	v_lshrrev_b32_e32 v10, 16, v1
.LBB198_2055:
	s_mov_b32 s14, 0
.LBB198_2056:
	s_delay_alu instid0(SALU_CYCLE_1)
	s_and_not1_b32 vcc_lo, exec_lo, s14
	s_cbranch_vccnz .LBB198_2062
; %bb.2057:
	s_cmp_gt_i32 s10, 0
	s_mov_b32 s10, 0
	s_cbranch_scc0 .LBB198_2059
; %bb.2058:
	global_load_i8 v1, v[4:5], off
	s_wait_loadcnt 0x0
	v_cvt_f32_i32_e32 v1, v1
	s_delay_alu instid0(VALU_DEP_1) | instskip(NEXT) | instid1(VALU_DEP_1)
	v_bfe_u32 v3, v1, 16, 1
	v_add3_u32 v1, v1, v3, 0x7fff
	s_delay_alu instid0(VALU_DEP_1)
	v_lshrrev_b32_e32 v10, 16, v1
	s_branch .LBB198_2060
.LBB198_2059:
	s_mov_b32 s10, -1
                                        ; implicit-def: $vgpr10
.LBB198_2060:
	s_delay_alu instid0(SALU_CYCLE_1)
	s_and_not1_b32 vcc_lo, exec_lo, s10
	s_cbranch_vccnz .LBB198_2062
; %bb.2061:
	global_load_u8 v1, v[4:5], off
	s_wait_loadcnt 0x0
	v_cvt_f32_ubyte0_e32 v1, v1
	s_delay_alu instid0(VALU_DEP_1) | instskip(NEXT) | instid1(VALU_DEP_1)
	v_bfe_u32 v3, v1, 16, 1
	v_add3_u32 v1, v1, v3, 0x7fff
	s_delay_alu instid0(VALU_DEP_1)
	v_lshrrev_b32_e32 v10, 16, v1
.LBB198_2062:
	s_mov_b32 s19, -1
.LBB198_2063:
	s_delay_alu instid0(SALU_CYCLE_1)
	s_and_not1_b32 vcc_lo, exec_lo, s19
	s_cbranch_vccnz .LBB198_3022
; %bb.2064:
	v_add_nc_u32_e32 v0, s2, v0
	s_cmp_lt_i32 s0, 11
	s_delay_alu instid0(VALU_DEP_1) | instskip(SKIP_1) | instid1(VALU_DEP_1)
	v_ashrrev_i32_e32 v1, 31, v0
	s_wait_xcnt 0x0
	v_add_nc_u64_e32 v[4:5], s[6:7], v[0:1]
	s_cbranch_scc1 .LBB198_2071
; %bb.2065:
	s_and_b32 s10, 0xffff, s0
	s_mov_b32 s16, 0
	s_cmp_gt_i32 s10, 25
	s_cbranch_scc0 .LBB198_2072
; %bb.2066:
	s_cmp_gt_i32 s10, 28
	s_cbranch_scc0 .LBB198_2073
; %bb.2067:
	;; [unrolled: 3-line block ×4, first 2 shown]
	s_cmp_eq_u32 s10, 46
	s_mov_b32 s20, 0
	s_cbranch_scc0 .LBB198_2077
; %bb.2070:
	global_load_b32 v11, v[4:5], off
	s_mov_b32 s14, 0
	s_mov_b32 s19, -1
	s_branch .LBB198_2079
.LBB198_2071:
	s_mov_b32 s10, -1
	s_mov_b32 s19, 0
                                        ; implicit-def: $vgpr11
	s_branch .LBB198_2145
.LBB198_2072:
	s_mov_b32 s20, -1
	s_mov_b32 s19, 0
	s_mov_b32 s14, 0
                                        ; implicit-def: $vgpr11
	s_branch .LBB198_2108
.LBB198_2073:
	s_mov_b32 s20, -1
	s_mov_b32 s19, 0
	s_mov_b32 s14, 0
                                        ; implicit-def: $vgpr11
	s_branch .LBB198_2089
.LBB198_2074:
	s_mov_b32 s20, -1
	s_mov_b32 s19, 0
	s_mov_b32 s14, 0
                                        ; implicit-def: $vgpr11
	s_branch .LBB198_2084
.LBB198_2075:
	s_or_b32 s15, s15, exec_lo
	s_trap 2
	s_cbranch_execz .LBB198_2012
	s_branch .LBB198_2013
.LBB198_2076:
	s_mov_b32 s20, -1
	s_mov_b32 s19, 0
	s_mov_b32 s14, 0
	s_branch .LBB198_2078
.LBB198_2077:
	s_mov_b32 s14, -1
	s_mov_b32 s19, 0
.LBB198_2078:
                                        ; implicit-def: $vgpr11
.LBB198_2079:
	s_and_b32 vcc_lo, exec_lo, s20
	s_cbranch_vccz .LBB198_2083
; %bb.2080:
	s_cmp_eq_u32 s10, 44
	s_cbranch_scc0 .LBB198_2082
; %bb.2081:
	global_load_u8 v1, v[4:5], off
	s_mov_b32 s14, 0
	s_mov_b32 s19, -1
	s_wait_loadcnt 0x0
	v_lshlrev_b32_e32 v3, 23, v1
	v_cmp_ne_u32_e32 vcc_lo, 0xff, v1
	s_delay_alu instid0(VALU_DEP_2) | instskip(SKIP_1) | instid1(VALU_DEP_2)
	v_cndmask_b32_e32 v3, 0x7f800001, v3, vcc_lo
	v_cmp_ne_u32_e32 vcc_lo, 0, v1
	v_cndmask_b32_e32 v1, 0x400000, v3, vcc_lo
	s_delay_alu instid0(VALU_DEP_1) | instskip(SKIP_1) | instid1(VALU_DEP_2)
	v_add_nc_u32_e32 v3, 0x7fff, v1
	v_cmp_o_f32_e32 vcc_lo, v1, v1
	v_lshrrev_b32_e32 v3, 16, v3
	s_delay_alu instid0(VALU_DEP_1)
	v_cndmask_b32_e32 v11, 0x7fc0, v3, vcc_lo
	s_branch .LBB198_2083
.LBB198_2082:
	s_mov_b32 s14, -1
                                        ; implicit-def: $vgpr11
.LBB198_2083:
	s_mov_b32 s20, 0
.LBB198_2084:
	s_delay_alu instid0(SALU_CYCLE_1)
	s_and_b32 vcc_lo, exec_lo, s20
	s_cbranch_vccz .LBB198_2088
; %bb.2085:
	s_cmp_eq_u32 s10, 29
	s_cbranch_scc0 .LBB198_2087
; %bb.2086:
	global_load_b64 v[12:13], v[4:5], off
	s_mov_b32 s14, 0
	s_mov_b32 s19, -1
	s_mov_b32 s20, 0
	s_wait_loadcnt 0x0
	v_clz_i32_u32_e32 v1, v13
	s_delay_alu instid0(VALU_DEP_1) | instskip(NEXT) | instid1(VALU_DEP_1)
	v_min_u32_e32 v1, 32, v1
	v_lshlrev_b64_e32 v[12:13], v1, v[12:13]
	v_sub_nc_u32_e32 v1, 32, v1
	s_delay_alu instid0(VALU_DEP_2) | instskip(NEXT) | instid1(VALU_DEP_1)
	v_min_u32_e32 v3, 1, v12
	v_or_b32_e32 v3, v13, v3
	s_delay_alu instid0(VALU_DEP_1) | instskip(NEXT) | instid1(VALU_DEP_1)
	v_cvt_f32_u32_e32 v3, v3
	v_ldexp_f32 v1, v3, v1
	s_delay_alu instid0(VALU_DEP_1) | instskip(NEXT) | instid1(VALU_DEP_1)
	v_bfe_u32 v3, v1, 16, 1
	v_add3_u32 v1, v1, v3, 0x7fff
	s_delay_alu instid0(VALU_DEP_1)
	v_lshrrev_b32_e32 v11, 16, v1
	s_branch .LBB198_2089
.LBB198_2087:
	s_mov_b32 s14, -1
                                        ; implicit-def: $vgpr11
.LBB198_2088:
	s_mov_b32 s20, 0
.LBB198_2089:
	s_delay_alu instid0(SALU_CYCLE_1)
	s_and_b32 vcc_lo, exec_lo, s20
	s_cbranch_vccz .LBB198_2107
; %bb.2090:
	s_cmp_lt_i32 s10, 27
	s_cbranch_scc1 .LBB198_2093
; %bb.2091:
	s_cmp_gt_i32 s10, 27
	s_cbranch_scc0 .LBB198_2094
; %bb.2092:
	global_load_b32 v1, v[4:5], off
	s_mov_b32 s19, 0
	s_wait_loadcnt 0x0
	v_cvt_f32_u32_e32 v1, v1
	s_delay_alu instid0(VALU_DEP_1) | instskip(NEXT) | instid1(VALU_DEP_1)
	v_bfe_u32 v3, v1, 16, 1
	v_add3_u32 v1, v1, v3, 0x7fff
	s_delay_alu instid0(VALU_DEP_1)
	v_lshrrev_b32_e32 v11, 16, v1
	s_branch .LBB198_2095
.LBB198_2093:
	s_mov_b32 s19, -1
                                        ; implicit-def: $vgpr11
	s_branch .LBB198_2098
.LBB198_2094:
	s_mov_b32 s19, -1
                                        ; implicit-def: $vgpr11
.LBB198_2095:
	s_delay_alu instid0(SALU_CYCLE_1)
	s_and_not1_b32 vcc_lo, exec_lo, s19
	s_cbranch_vccnz .LBB198_2097
; %bb.2096:
	global_load_u16 v1, v[4:5], off
	s_wait_loadcnt 0x0
	v_cvt_f32_u32_e32 v1, v1
	s_delay_alu instid0(VALU_DEP_1) | instskip(NEXT) | instid1(VALU_DEP_1)
	v_bfe_u32 v3, v1, 16, 1
	v_add3_u32 v1, v1, v3, 0x7fff
	s_delay_alu instid0(VALU_DEP_1)
	v_lshrrev_b32_e32 v11, 16, v1
.LBB198_2097:
	s_mov_b32 s19, 0
.LBB198_2098:
	s_delay_alu instid0(SALU_CYCLE_1)
	s_and_not1_b32 vcc_lo, exec_lo, s19
	s_cbranch_vccnz .LBB198_2106
; %bb.2099:
	global_load_u8 v1, v[4:5], off
	s_mov_b32 s19, 0
	s_mov_b32 s20, exec_lo
	s_wait_loadcnt 0x0
	v_cmpx_lt_i16_e32 0x7f, v1
	s_xor_b32 s20, exec_lo, s20
	s_cbranch_execz .LBB198_2120
; %bb.2100:
	s_mov_b32 s19, -1
	s_mov_b32 s21, exec_lo
	v_cmpx_eq_u16_e32 0x80, v1
; %bb.2101:
	s_xor_b32 s19, exec_lo, -1
; %bb.2102:
	s_or_b32 exec_lo, exec_lo, s21
	s_delay_alu instid0(SALU_CYCLE_1)
	s_and_b32 s19, s19, exec_lo
	s_or_saveexec_b32 s20, s20
	v_mov_b32_e32 v3, 0x7f800001
	s_xor_b32 exec_lo, exec_lo, s20
	s_cbranch_execnz .LBB198_2121
.LBB198_2103:
	s_or_b32 exec_lo, exec_lo, s20
	s_and_saveexec_b32 s20, s19
	s_cbranch_execz .LBB198_2105
.LBB198_2104:
	v_and_b32_e32 v3, 0xffff, v1
	s_delay_alu instid0(VALU_DEP_1) | instskip(SKIP_1) | instid1(VALU_DEP_2)
	v_and_b32_e32 v11, 7, v3
	v_bfe_u32 v14, v3, 3, 4
	v_clz_i32_u32_e32 v12, v11
	s_delay_alu instid0(VALU_DEP_2) | instskip(NEXT) | instid1(VALU_DEP_2)
	v_cmp_eq_u32_e32 vcc_lo, 0, v14
	v_min_u32_e32 v12, 32, v12
	s_delay_alu instid0(VALU_DEP_1) | instskip(NEXT) | instid1(VALU_DEP_1)
	v_subrev_nc_u32_e32 v13, 28, v12
	v_dual_lshlrev_b32 v3, v13, v3 :: v_dual_sub_nc_u32 v12, 29, v12
	s_delay_alu instid0(VALU_DEP_1) | instskip(NEXT) | instid1(VALU_DEP_1)
	v_dual_lshlrev_b32 v1, 24, v1 :: v_dual_bitop2_b32 v3, 7, v3 bitop3:0x40
	v_dual_cndmask_b32 v12, v14, v12 :: v_dual_cndmask_b32 v3, v11, v3
	s_delay_alu instid0(VALU_DEP_2) | instskip(NEXT) | instid1(VALU_DEP_2)
	v_and_b32_e32 v1, 0x80000000, v1
	v_lshl_add_u32 v11, v12, 23, 0x3b800000
	s_delay_alu instid0(VALU_DEP_3) | instskip(NEXT) | instid1(VALU_DEP_1)
	v_lshlrev_b32_e32 v3, 20, v3
	v_or3_b32 v3, v1, v11, v3
.LBB198_2105:
	s_or_b32 exec_lo, exec_lo, s20
	s_delay_alu instid0(VALU_DEP_1) | instskip(SKIP_1) | instid1(VALU_DEP_2)
	v_bfe_u32 v1, v3, 16, 1
	v_cmp_o_f32_e32 vcc_lo, v3, v3
	v_add3_u32 v1, v3, v1, 0x7fff
	s_delay_alu instid0(VALU_DEP_1) | instskip(NEXT) | instid1(VALU_DEP_1)
	v_lshrrev_b32_e32 v1, 16, v1
	v_cndmask_b32_e32 v11, 0x7fc0, v1, vcc_lo
.LBB198_2106:
	s_mov_b32 s19, -1
.LBB198_2107:
	s_mov_b32 s20, 0
.LBB198_2108:
	s_delay_alu instid0(SALU_CYCLE_1)
	s_and_b32 vcc_lo, exec_lo, s20
	s_cbranch_vccz .LBB198_2141
; %bb.2109:
	s_cmp_gt_i32 s10, 22
	s_cbranch_scc0 .LBB198_2119
; %bb.2110:
	s_cmp_lt_i32 s10, 24
	s_cbranch_scc1 .LBB198_2122
; %bb.2111:
	s_cmp_gt_i32 s10, 24
	s_cbranch_scc0 .LBB198_2123
; %bb.2112:
	global_load_u8 v1, v[4:5], off
	s_mov_b32 s19, exec_lo
	s_wait_loadcnt 0x0
	v_cmpx_lt_i16_e32 0x7f, v1
	s_xor_b32 s19, exec_lo, s19
	s_cbranch_execz .LBB198_2135
; %bb.2113:
	s_mov_b32 s16, -1
	s_mov_b32 s20, exec_lo
	v_cmpx_eq_u16_e32 0x80, v1
; %bb.2114:
	s_xor_b32 s16, exec_lo, -1
; %bb.2115:
	s_or_b32 exec_lo, exec_lo, s20
	s_delay_alu instid0(SALU_CYCLE_1)
	s_and_b32 s16, s16, exec_lo
	s_or_saveexec_b32 s19, s19
	v_mov_b32_e32 v3, 0x7f800001
	s_xor_b32 exec_lo, exec_lo, s19
	s_cbranch_execnz .LBB198_2136
.LBB198_2116:
	s_or_b32 exec_lo, exec_lo, s19
	s_and_saveexec_b32 s19, s16
	s_cbranch_execz .LBB198_2118
.LBB198_2117:
	v_and_b32_e32 v3, 0xffff, v1
	s_delay_alu instid0(VALU_DEP_1) | instskip(SKIP_1) | instid1(VALU_DEP_2)
	v_and_b32_e32 v11, 3, v3
	v_bfe_u32 v14, v3, 2, 5
	v_clz_i32_u32_e32 v12, v11
	s_delay_alu instid0(VALU_DEP_2) | instskip(NEXT) | instid1(VALU_DEP_2)
	v_cmp_eq_u32_e32 vcc_lo, 0, v14
	v_min_u32_e32 v12, 32, v12
	s_delay_alu instid0(VALU_DEP_1) | instskip(NEXT) | instid1(VALU_DEP_1)
	v_subrev_nc_u32_e32 v13, 29, v12
	v_dual_lshlrev_b32 v3, v13, v3 :: v_dual_sub_nc_u32 v12, 30, v12
	s_delay_alu instid0(VALU_DEP_1) | instskip(NEXT) | instid1(VALU_DEP_1)
	v_dual_lshlrev_b32 v1, 24, v1 :: v_dual_bitop2_b32 v3, 3, v3 bitop3:0x40
	v_dual_cndmask_b32 v12, v14, v12 :: v_dual_cndmask_b32 v3, v11, v3
	s_delay_alu instid0(VALU_DEP_2) | instskip(NEXT) | instid1(VALU_DEP_2)
	v_and_b32_e32 v1, 0x80000000, v1
	v_lshl_add_u32 v11, v12, 23, 0x37800000
	s_delay_alu instid0(VALU_DEP_3) | instskip(NEXT) | instid1(VALU_DEP_1)
	v_lshlrev_b32_e32 v3, 21, v3
	v_or3_b32 v3, v1, v11, v3
.LBB198_2118:
	s_or_b32 exec_lo, exec_lo, s19
	s_delay_alu instid0(VALU_DEP_1) | instskip(SKIP_2) | instid1(VALU_DEP_2)
	v_bfe_u32 v1, v3, 16, 1
	v_cmp_o_f32_e32 vcc_lo, v3, v3
	s_mov_b32 s16, 0
	v_add3_u32 v1, v3, v1, 0x7fff
	s_delay_alu instid0(VALU_DEP_1) | instskip(NEXT) | instid1(VALU_DEP_1)
	v_lshrrev_b32_e32 v1, 16, v1
	v_cndmask_b32_e32 v11, 0x7fc0, v1, vcc_lo
	s_branch .LBB198_2124
.LBB198_2119:
	s_mov_b32 s16, -1
                                        ; implicit-def: $vgpr11
	s_branch .LBB198_2130
.LBB198_2120:
	s_or_saveexec_b32 s20, s20
	v_mov_b32_e32 v3, 0x7f800001
	s_xor_b32 exec_lo, exec_lo, s20
	s_cbranch_execz .LBB198_2103
.LBB198_2121:
	v_cmp_ne_u16_e32 vcc_lo, 0, v1
	v_mov_b32_e32 v3, 0
	s_and_not1_b32 s19, s19, exec_lo
	s_and_b32 s21, vcc_lo, exec_lo
	s_delay_alu instid0(SALU_CYCLE_1)
	s_or_b32 s19, s19, s21
	s_or_b32 exec_lo, exec_lo, s20
	s_and_saveexec_b32 s20, s19
	s_cbranch_execnz .LBB198_2104
	s_branch .LBB198_2105
.LBB198_2122:
	s_mov_b32 s16, -1
                                        ; implicit-def: $vgpr11
	s_branch .LBB198_2127
.LBB198_2123:
	s_mov_b32 s16, -1
                                        ; implicit-def: $vgpr11
.LBB198_2124:
	s_delay_alu instid0(SALU_CYCLE_1)
	s_and_b32 vcc_lo, exec_lo, s16
	s_cbranch_vccz .LBB198_2126
; %bb.2125:
	global_load_u8 v1, v[4:5], off
	s_wait_loadcnt 0x0
	v_lshlrev_b32_e32 v1, 24, v1
	s_delay_alu instid0(VALU_DEP_1) | instskip(NEXT) | instid1(VALU_DEP_1)
	v_and_b32_e32 v3, 0x7f000000, v1
	v_clz_i32_u32_e32 v11, v3
	v_add_nc_u32_e32 v13, 0x1000000, v3
	v_cmp_ne_u32_e32 vcc_lo, 0, v3
	s_delay_alu instid0(VALU_DEP_3) | instskip(NEXT) | instid1(VALU_DEP_1)
	v_min_u32_e32 v11, 32, v11
	v_sub_nc_u32_e64 v11, v11, 4 clamp
	s_delay_alu instid0(VALU_DEP_1) | instskip(NEXT) | instid1(VALU_DEP_1)
	v_lshlrev_b32_e32 v12, v11, v3
	v_dual_lshlrev_b32 v11, 23, v11 :: v_dual_lshrrev_b32 v12, 4, v12
	s_delay_alu instid0(VALU_DEP_1) | instskip(NEXT) | instid1(VALU_DEP_1)
	v_dual_sub_nc_u32 v11, v12, v11 :: v_dual_ashrrev_i32 v12, 8, v13
	v_add_nc_u32_e32 v11, 0x3c000000, v11
	s_delay_alu instid0(VALU_DEP_1) | instskip(NEXT) | instid1(VALU_DEP_1)
	v_and_or_b32 v11, 0x7f800000, v12, v11
	v_cndmask_b32_e32 v3, 0, v11, vcc_lo
	s_delay_alu instid0(VALU_DEP_1) | instskip(SKIP_1) | instid1(VALU_DEP_2)
	v_and_or_b32 v1, 0x80000000, v1, v3
	v_bfe_u32 v3, v3, 16, 1
	v_cmp_o_f32_e32 vcc_lo, v1, v1
	s_delay_alu instid0(VALU_DEP_2) | instskip(NEXT) | instid1(VALU_DEP_1)
	v_add3_u32 v3, v1, v3, 0x7fff
	v_lshrrev_b32_e32 v3, 16, v3
	s_delay_alu instid0(VALU_DEP_1)
	v_cndmask_b32_e32 v11, 0x7fc0, v3, vcc_lo
.LBB198_2126:
	s_mov_b32 s16, 0
.LBB198_2127:
	s_delay_alu instid0(SALU_CYCLE_1)
	s_and_not1_b32 vcc_lo, exec_lo, s16
	s_cbranch_vccnz .LBB198_2129
; %bb.2128:
	global_load_u8 v1, v[4:5], off
	s_wait_loadcnt 0x0
	v_lshlrev_b32_e32 v3, 25, v1
	v_lshlrev_b16 v1, 8, v1
	s_delay_alu instid0(VALU_DEP_1) | instskip(SKIP_1) | instid1(VALU_DEP_2)
	v_and_or_b32 v12, 0x7f00, v1, 0.5
	v_bfe_i32 v1, v1, 0, 16
	v_dual_add_f32 v12, -0.5, v12 :: v_dual_lshrrev_b32 v11, 4, v3
	v_cmp_gt_u32_e32 vcc_lo, 0x8000000, v3
	s_delay_alu instid0(VALU_DEP_2) | instskip(NEXT) | instid1(VALU_DEP_1)
	v_or_b32_e32 v11, 0x70000000, v11
	v_mul_f32_e32 v11, 0x7800000, v11
	s_delay_alu instid0(VALU_DEP_1) | instskip(NEXT) | instid1(VALU_DEP_1)
	v_cndmask_b32_e32 v3, v11, v12, vcc_lo
	v_and_or_b32 v1, 0x80000000, v1, v3
	v_bfe_u32 v3, v3, 16, 1
	s_delay_alu instid0(VALU_DEP_2) | instskip(NEXT) | instid1(VALU_DEP_2)
	v_cmp_o_f32_e32 vcc_lo, v1, v1
	v_add3_u32 v3, v1, v3, 0x7fff
	s_delay_alu instid0(VALU_DEP_1) | instskip(NEXT) | instid1(VALU_DEP_1)
	v_lshrrev_b32_e32 v3, 16, v3
	v_cndmask_b32_e32 v11, 0x7fc0, v3, vcc_lo
.LBB198_2129:
	s_mov_b32 s16, 0
	s_mov_b32 s19, -1
.LBB198_2130:
	s_and_not1_b32 vcc_lo, exec_lo, s16
	s_mov_b32 s16, 0
	s_cbranch_vccnz .LBB198_2141
; %bb.2131:
	s_cmp_gt_i32 s10, 14
	s_cbranch_scc0 .LBB198_2134
; %bb.2132:
	s_cmp_eq_u32 s10, 15
	s_cbranch_scc0 .LBB198_2137
; %bb.2133:
	s_wait_loadcnt 0x0
	global_load_u16 v11, v[4:5], off
	s_mov_b32 s14, 0
	s_mov_b32 s19, -1
	s_branch .LBB198_2139
.LBB198_2134:
	s_mov_b32 s16, -1
	s_branch .LBB198_2138
.LBB198_2135:
	s_or_saveexec_b32 s19, s19
	v_mov_b32_e32 v3, 0x7f800001
	s_xor_b32 exec_lo, exec_lo, s19
	s_cbranch_execz .LBB198_2116
.LBB198_2136:
	v_cmp_ne_u16_e32 vcc_lo, 0, v1
	v_mov_b32_e32 v3, 0
	s_and_not1_b32 s16, s16, exec_lo
	s_and_b32 s20, vcc_lo, exec_lo
	s_delay_alu instid0(SALU_CYCLE_1)
	s_or_b32 s16, s16, s20
	s_or_b32 exec_lo, exec_lo, s19
	s_and_saveexec_b32 s19, s16
	s_cbranch_execnz .LBB198_2117
	s_branch .LBB198_2118
.LBB198_2137:
	s_mov_b32 s14, -1
.LBB198_2138:
                                        ; implicit-def: $vgpr11
.LBB198_2139:
	s_and_b32 vcc_lo, exec_lo, s16
	s_mov_b32 s16, 0
	s_cbranch_vccz .LBB198_2141
; %bb.2140:
	s_cmp_lg_u32 s10, 11
	s_mov_b32 s16, -1
	s_cselect_b32 s14, -1, 0
.LBB198_2141:
	s_delay_alu instid0(SALU_CYCLE_1)
	s_and_b32 vcc_lo, exec_lo, s14
	s_cbranch_vccnz .LBB198_2206
; %bb.2142:
	s_and_not1_b32 vcc_lo, exec_lo, s16
	s_cbranch_vccnz .LBB198_2144
.LBB198_2143:
	global_load_u8 v1, v[4:5], off
	s_mov_b32 s19, -1
	s_wait_loadcnt 0x0
	v_cmp_ne_u16_e32 vcc_lo, 0, v1
	v_cndmask_b32_e64 v1, 0, 1.0, vcc_lo
	s_delay_alu instid0(VALU_DEP_1)
	v_lshrrev_b32_e32 v11, 16, v1
.LBB198_2144:
	s_mov_b32 s10, 0
.LBB198_2145:
	s_delay_alu instid0(SALU_CYCLE_1)
	s_and_b32 vcc_lo, exec_lo, s10
	s_cbranch_vccz .LBB198_2194
; %bb.2146:
	s_and_b32 s10, 0xffff, s0
	s_delay_alu instid0(SALU_CYCLE_1)
	s_cmp_lt_i32 s10, 5
	s_cbranch_scc1 .LBB198_2151
; %bb.2147:
	s_cmp_lt_i32 s10, 8
	s_cbranch_scc1 .LBB198_2152
; %bb.2148:
	;; [unrolled: 3-line block ×3, first 2 shown]
	s_cmp_gt_i32 s10, 9
	s_cbranch_scc0 .LBB198_2154
; %bb.2150:
	global_load_b64 v[12:13], v[4:5], off
	s_mov_b32 s14, 0
	s_wait_loadcnt 0x0
	v_cvt_f32_f64_e32 v1, v[12:13]
	s_delay_alu instid0(VALU_DEP_1) | instskip(SKIP_1) | instid1(VALU_DEP_2)
	v_bfe_u32 v3, v1, 16, 1
	v_cmp_o_f32_e32 vcc_lo, v1, v1
	v_add3_u32 v3, v1, v3, 0x7fff
	s_delay_alu instid0(VALU_DEP_1) | instskip(NEXT) | instid1(VALU_DEP_1)
	v_lshrrev_b32_e32 v3, 16, v3
	v_cndmask_b32_e32 v11, 0x7fc0, v3, vcc_lo
	s_branch .LBB198_2155
.LBB198_2151:
	s_mov_b32 s14, -1
                                        ; implicit-def: $vgpr11
	s_branch .LBB198_2173
.LBB198_2152:
	s_mov_b32 s14, -1
                                        ; implicit-def: $vgpr11
	s_branch .LBB198_2161
.LBB198_2153:
	s_mov_b32 s14, -1
                                        ; implicit-def: $vgpr11
	s_branch .LBB198_2158
.LBB198_2154:
	s_mov_b32 s14, -1
                                        ; implicit-def: $vgpr11
.LBB198_2155:
	s_delay_alu instid0(SALU_CYCLE_1)
	s_and_not1_b32 vcc_lo, exec_lo, s14
	s_cbranch_vccnz .LBB198_2157
; %bb.2156:
	global_load_b32 v1, v[4:5], off
	s_wait_loadcnt 0x0
	v_bfe_u32 v3, v1, 16, 1
	v_cmp_o_f32_e32 vcc_lo, v1, v1
	s_delay_alu instid0(VALU_DEP_2) | instskip(NEXT) | instid1(VALU_DEP_1)
	v_add3_u32 v3, v1, v3, 0x7fff
	v_lshrrev_b32_e32 v3, 16, v3
	s_delay_alu instid0(VALU_DEP_1)
	v_cndmask_b32_e32 v11, 0x7fc0, v3, vcc_lo
.LBB198_2157:
	s_mov_b32 s14, 0
.LBB198_2158:
	s_delay_alu instid0(SALU_CYCLE_1)
	s_and_not1_b32 vcc_lo, exec_lo, s14
	s_cbranch_vccnz .LBB198_2160
; %bb.2159:
	global_load_b32 v1, v[4:5], off
	s_wait_loadcnt 0x0
	v_cvt_f32_f16_e32 v3, v1
	v_cmp_o_f16_e32 vcc_lo, v1, v1
	s_delay_alu instid0(VALU_DEP_2) | instskip(NEXT) | instid1(VALU_DEP_1)
	v_bfe_u32 v11, v3, 16, 1
	v_add3_u32 v3, v3, v11, 0x7fff
	s_delay_alu instid0(VALU_DEP_1) | instskip(NEXT) | instid1(VALU_DEP_1)
	v_lshrrev_b32_e32 v3, 16, v3
	v_cndmask_b32_e32 v11, 0x7fc0, v3, vcc_lo
.LBB198_2160:
	s_mov_b32 s14, 0
.LBB198_2161:
	s_delay_alu instid0(SALU_CYCLE_1)
	s_and_not1_b32 vcc_lo, exec_lo, s14
	s_cbranch_vccnz .LBB198_2172
; %bb.2162:
	s_cmp_lt_i32 s10, 6
	s_cbranch_scc1 .LBB198_2165
; %bb.2163:
	s_cmp_gt_i32 s10, 6
	s_cbranch_scc0 .LBB198_2166
; %bb.2164:
	global_load_b64 v[12:13], v[4:5], off
	s_mov_b32 s14, 0
	s_wait_loadcnt 0x0
	v_cvt_f32_f64_e32 v1, v[12:13]
	s_delay_alu instid0(VALU_DEP_1) | instskip(SKIP_1) | instid1(VALU_DEP_2)
	v_bfe_u32 v3, v1, 16, 1
	v_cmp_o_f32_e32 vcc_lo, v1, v1
	v_add3_u32 v3, v1, v3, 0x7fff
	s_delay_alu instid0(VALU_DEP_1) | instskip(NEXT) | instid1(VALU_DEP_1)
	v_lshrrev_b32_e32 v3, 16, v3
	v_cndmask_b32_e32 v11, 0x7fc0, v3, vcc_lo
	s_branch .LBB198_2167
.LBB198_2165:
	s_mov_b32 s14, -1
                                        ; implicit-def: $vgpr11
	s_branch .LBB198_2170
.LBB198_2166:
	s_mov_b32 s14, -1
                                        ; implicit-def: $vgpr11
.LBB198_2167:
	s_delay_alu instid0(SALU_CYCLE_1)
	s_and_not1_b32 vcc_lo, exec_lo, s14
	s_cbranch_vccnz .LBB198_2169
; %bb.2168:
	global_load_b32 v1, v[4:5], off
	s_wait_loadcnt 0x0
	v_bfe_u32 v3, v1, 16, 1
	v_cmp_o_f32_e32 vcc_lo, v1, v1
	s_delay_alu instid0(VALU_DEP_2) | instskip(NEXT) | instid1(VALU_DEP_1)
	v_add3_u32 v3, v1, v3, 0x7fff
	v_lshrrev_b32_e32 v3, 16, v3
	s_delay_alu instid0(VALU_DEP_1)
	v_cndmask_b32_e32 v11, 0x7fc0, v3, vcc_lo
.LBB198_2169:
	s_mov_b32 s14, 0
.LBB198_2170:
	s_delay_alu instid0(SALU_CYCLE_1)
	s_and_not1_b32 vcc_lo, exec_lo, s14
	s_cbranch_vccnz .LBB198_2172
; %bb.2171:
	global_load_u16 v1, v[4:5], off
	s_wait_loadcnt 0x0
	v_cvt_f32_f16_e32 v3, v1
	v_cmp_o_f16_e32 vcc_lo, v1, v1
	s_delay_alu instid0(VALU_DEP_2) | instskip(NEXT) | instid1(VALU_DEP_1)
	v_bfe_u32 v11, v3, 16, 1
	v_add3_u32 v3, v3, v11, 0x7fff
	s_delay_alu instid0(VALU_DEP_1) | instskip(NEXT) | instid1(VALU_DEP_1)
	v_lshrrev_b32_e32 v3, 16, v3
	v_cndmask_b32_e32 v11, 0x7fc0, v3, vcc_lo
.LBB198_2172:
	s_mov_b32 s14, 0
.LBB198_2173:
	s_delay_alu instid0(SALU_CYCLE_1)
	s_and_not1_b32 vcc_lo, exec_lo, s14
	s_cbranch_vccnz .LBB198_2193
; %bb.2174:
	s_cmp_lt_i32 s10, 2
	s_cbranch_scc1 .LBB198_2178
; %bb.2175:
	s_cmp_lt_i32 s10, 3
	s_cbranch_scc1 .LBB198_2179
; %bb.2176:
	s_cmp_gt_i32 s10, 3
	s_cbranch_scc0 .LBB198_2180
; %bb.2177:
	global_load_b64 v[12:13], v[4:5], off
	s_mov_b32 s14, 0
	s_wait_loadcnt 0x0
	v_xor_b32_e32 v1, v12, v13
	v_cls_i32_e32 v3, v13
	s_delay_alu instid0(VALU_DEP_2) | instskip(NEXT) | instid1(VALU_DEP_1)
	v_ashrrev_i32_e32 v1, 31, v1
	v_add_nc_u32_e32 v1, 32, v1
	s_delay_alu instid0(VALU_DEP_1) | instskip(NEXT) | instid1(VALU_DEP_1)
	v_add_min_u32_e64 v1, v3, -1, v1
	v_lshlrev_b64_e32 v[12:13], v1, v[12:13]
	v_sub_nc_u32_e32 v1, 32, v1
	s_delay_alu instid0(VALU_DEP_2) | instskip(NEXT) | instid1(VALU_DEP_1)
	v_min_u32_e32 v3, 1, v12
	v_or_b32_e32 v3, v13, v3
	s_delay_alu instid0(VALU_DEP_1) | instskip(NEXT) | instid1(VALU_DEP_1)
	v_cvt_f32_i32_e32 v3, v3
	v_ldexp_f32 v1, v3, v1
	s_delay_alu instid0(VALU_DEP_1) | instskip(NEXT) | instid1(VALU_DEP_1)
	v_bfe_u32 v3, v1, 16, 1
	v_add3_u32 v1, v1, v3, 0x7fff
	s_delay_alu instid0(VALU_DEP_1)
	v_lshrrev_b32_e32 v11, 16, v1
	s_branch .LBB198_2181
.LBB198_2178:
	s_mov_b32 s14, -1
                                        ; implicit-def: $vgpr11
	s_branch .LBB198_2187
.LBB198_2179:
	s_mov_b32 s14, -1
                                        ; implicit-def: $vgpr11
	s_branch .LBB198_2184
.LBB198_2180:
	s_mov_b32 s14, -1
                                        ; implicit-def: $vgpr11
.LBB198_2181:
	s_delay_alu instid0(SALU_CYCLE_1)
	s_and_not1_b32 vcc_lo, exec_lo, s14
	s_cbranch_vccnz .LBB198_2183
; %bb.2182:
	global_load_b32 v1, v[4:5], off
	s_wait_loadcnt 0x0
	v_cvt_f32_i32_e32 v1, v1
	s_delay_alu instid0(VALU_DEP_1) | instskip(NEXT) | instid1(VALU_DEP_1)
	v_bfe_u32 v3, v1, 16, 1
	v_add3_u32 v1, v1, v3, 0x7fff
	s_delay_alu instid0(VALU_DEP_1)
	v_lshrrev_b32_e32 v11, 16, v1
.LBB198_2183:
	s_mov_b32 s14, 0
.LBB198_2184:
	s_delay_alu instid0(SALU_CYCLE_1)
	s_and_not1_b32 vcc_lo, exec_lo, s14
	s_cbranch_vccnz .LBB198_2186
; %bb.2185:
	global_load_i16 v1, v[4:5], off
	s_wait_loadcnt 0x0
	v_cvt_f32_i32_e32 v1, v1
	s_delay_alu instid0(VALU_DEP_1) | instskip(NEXT) | instid1(VALU_DEP_1)
	v_bfe_u32 v3, v1, 16, 1
	v_add3_u32 v1, v1, v3, 0x7fff
	s_delay_alu instid0(VALU_DEP_1)
	v_lshrrev_b32_e32 v11, 16, v1
.LBB198_2186:
	s_mov_b32 s14, 0
.LBB198_2187:
	s_delay_alu instid0(SALU_CYCLE_1)
	s_and_not1_b32 vcc_lo, exec_lo, s14
	s_cbranch_vccnz .LBB198_2193
; %bb.2188:
	s_cmp_gt_i32 s10, 0
	s_mov_b32 s10, 0
	s_cbranch_scc0 .LBB198_2190
; %bb.2189:
	global_load_i8 v1, v[4:5], off
	s_wait_loadcnt 0x0
	v_cvt_f32_i32_e32 v1, v1
	s_delay_alu instid0(VALU_DEP_1) | instskip(NEXT) | instid1(VALU_DEP_1)
	v_bfe_u32 v3, v1, 16, 1
	v_add3_u32 v1, v1, v3, 0x7fff
	s_delay_alu instid0(VALU_DEP_1)
	v_lshrrev_b32_e32 v11, 16, v1
	s_branch .LBB198_2191
.LBB198_2190:
	s_mov_b32 s10, -1
                                        ; implicit-def: $vgpr11
.LBB198_2191:
	s_delay_alu instid0(SALU_CYCLE_1)
	s_and_not1_b32 vcc_lo, exec_lo, s10
	s_cbranch_vccnz .LBB198_2193
; %bb.2192:
	global_load_u8 v1, v[4:5], off
	s_wait_loadcnt 0x0
	v_cvt_f32_ubyte0_e32 v1, v1
	s_delay_alu instid0(VALU_DEP_1) | instskip(NEXT) | instid1(VALU_DEP_1)
	v_bfe_u32 v3, v1, 16, 1
	v_add3_u32 v1, v1, v3, 0x7fff
	s_delay_alu instid0(VALU_DEP_1)
	v_lshrrev_b32_e32 v11, 16, v1
.LBB198_2193:
	s_mov_b32 s19, -1
.LBB198_2194:
	s_delay_alu instid0(SALU_CYCLE_1)
	s_and_not1_b32 vcc_lo, exec_lo, s19
	s_cbranch_vccnz .LBB198_3022
; %bb.2195:
	v_add_nc_u32_e32 v2, s9, v2
	s_cmp_lt_i32 s1, 11
	s_delay_alu instid0(VALU_DEP_1) | instskip(SKIP_1) | instid1(VALU_DEP_1)
	v_ashrrev_i32_e32 v3, 31, v2
	s_wait_xcnt 0x0
	v_add_nc_u64_e32 v[4:5], s[12:13], v[2:3]
	s_cbranch_scc1 .LBB198_2202
; %bb.2196:
	s_and_b32 s10, 0xffff, s1
	s_mov_b32 s16, 0
	s_cmp_gt_i32 s10, 25
	s_cbranch_scc0 .LBB198_2203
; %bb.2197:
	s_cmp_gt_i32 s10, 28
	s_cbranch_scc0 .LBB198_2204
; %bb.2198:
	;; [unrolled: 3-line block ×4, first 2 shown]
	s_cmp_eq_u32 s10, 46
	s_mov_b32 s20, 0
	s_cbranch_scc0 .LBB198_2210
; %bb.2201:
	global_load_b32 v12, v[4:5], off
	s_mov_b32 s14, 0
	s_mov_b32 s19, -1
	s_branch .LBB198_2212
.LBB198_2202:
	s_mov_b32 s10, -1
	s_mov_b32 s19, 0
                                        ; implicit-def: $vgpr12
	s_branch .LBB198_2278
.LBB198_2203:
	s_mov_b32 s20, -1
	s_mov_b32 s19, 0
	s_mov_b32 s14, 0
                                        ; implicit-def: $vgpr12
	s_branch .LBB198_2241
.LBB198_2204:
	s_mov_b32 s20, -1
	s_mov_b32 s19, 0
	s_mov_b32 s14, 0
                                        ; implicit-def: $vgpr12
	s_branch .LBB198_2222
.LBB198_2205:
	s_mov_b32 s20, -1
	s_mov_b32 s19, 0
	s_mov_b32 s14, 0
                                        ; implicit-def: $vgpr12
	s_branch .LBB198_2217
.LBB198_2206:
	s_or_b32 s15, s15, exec_lo
	s_trap 2
	s_cbranch_execz .LBB198_2143
	s_branch .LBB198_2144
.LBB198_2207:
	s_mov_b32 s20, -1
	s_mov_b32 s19, 0
	s_mov_b32 s14, 0
	s_branch .LBB198_2211
.LBB198_2208:
	s_and_not1_saveexec_b32 s35, s35
	s_cbranch_execz .LBB198_1087
.LBB198_2209:
	v_add_f32_e32 v2, 0x42800000, v3
	s_and_not1_b32 s34, s34, exec_lo
	s_delay_alu instid0(VALU_DEP_1) | instskip(NEXT) | instid1(VALU_DEP_1)
	v_and_b32_e32 v2, 0xff, v2
	v_cmp_ne_u32_e32 vcc_lo, 0, v2
	s_and_b32 s36, vcc_lo, exec_lo
	s_delay_alu instid0(SALU_CYCLE_1)
	s_or_b32 s34, s34, s36
	s_or_b32 exec_lo, exec_lo, s35
	v_mov_b32_e32 v4, 0
	s_and_saveexec_b32 s35, s34
	s_cbranch_execnz .LBB198_1088
	s_branch .LBB198_1089
.LBB198_2210:
	s_mov_b32 s14, -1
	s_mov_b32 s19, 0
.LBB198_2211:
                                        ; implicit-def: $vgpr12
.LBB198_2212:
	s_and_b32 vcc_lo, exec_lo, s20
	s_cbranch_vccz .LBB198_2216
; %bb.2213:
	s_cmp_eq_u32 s10, 44
	s_cbranch_scc0 .LBB198_2215
; %bb.2214:
	global_load_u8 v1, v[4:5], off
	s_mov_b32 s14, 0
	s_mov_b32 s19, -1
	s_wait_loadcnt 0x0
	v_lshlrev_b32_e32 v3, 23, v1
	v_cmp_ne_u32_e32 vcc_lo, 0xff, v1
	s_delay_alu instid0(VALU_DEP_2) | instskip(SKIP_1) | instid1(VALU_DEP_2)
	v_cndmask_b32_e32 v3, 0x7f800001, v3, vcc_lo
	v_cmp_ne_u32_e32 vcc_lo, 0, v1
	v_cndmask_b32_e32 v1, 0x400000, v3, vcc_lo
	s_delay_alu instid0(VALU_DEP_1) | instskip(SKIP_1) | instid1(VALU_DEP_2)
	v_add_nc_u32_e32 v3, 0x7fff, v1
	v_cmp_o_f32_e32 vcc_lo, v1, v1
	v_lshrrev_b32_e32 v3, 16, v3
	s_delay_alu instid0(VALU_DEP_1)
	v_cndmask_b32_e32 v12, 0x7fc0, v3, vcc_lo
	s_branch .LBB198_2216
.LBB198_2215:
	s_mov_b32 s14, -1
                                        ; implicit-def: $vgpr12
.LBB198_2216:
	s_mov_b32 s20, 0
.LBB198_2217:
	s_delay_alu instid0(SALU_CYCLE_1)
	s_and_b32 vcc_lo, exec_lo, s20
	s_cbranch_vccz .LBB198_2221
; %bb.2218:
	s_cmp_eq_u32 s10, 29
	s_cbranch_scc0 .LBB198_2220
; %bb.2219:
	s_wait_loadcnt 0x0
	global_load_b64 v[12:13], v[4:5], off
	s_mov_b32 s14, 0
	s_mov_b32 s19, -1
	s_mov_b32 s20, 0
	s_wait_loadcnt 0x0
	v_clz_i32_u32_e32 v1, v13
	s_delay_alu instid0(VALU_DEP_1) | instskip(NEXT) | instid1(VALU_DEP_1)
	v_min_u32_e32 v1, 32, v1
	v_lshlrev_b64_e32 v[12:13], v1, v[12:13]
	v_sub_nc_u32_e32 v1, 32, v1
	s_delay_alu instid0(VALU_DEP_2) | instskip(NEXT) | instid1(VALU_DEP_1)
	v_min_u32_e32 v3, 1, v12
	v_or_b32_e32 v3, v13, v3
	s_delay_alu instid0(VALU_DEP_1) | instskip(NEXT) | instid1(VALU_DEP_1)
	v_cvt_f32_u32_e32 v3, v3
	v_ldexp_f32 v1, v3, v1
	s_delay_alu instid0(VALU_DEP_1) | instskip(NEXT) | instid1(VALU_DEP_1)
	v_bfe_u32 v3, v1, 16, 1
	v_add3_u32 v1, v1, v3, 0x7fff
	s_delay_alu instid0(VALU_DEP_1)
	v_lshrrev_b32_e32 v12, 16, v1
	s_branch .LBB198_2222
.LBB198_2220:
	s_mov_b32 s14, -1
                                        ; implicit-def: $vgpr12
.LBB198_2221:
	s_mov_b32 s20, 0
.LBB198_2222:
	s_delay_alu instid0(SALU_CYCLE_1)
	s_and_b32 vcc_lo, exec_lo, s20
	s_cbranch_vccz .LBB198_2240
; %bb.2223:
	s_cmp_lt_i32 s10, 27
	s_cbranch_scc1 .LBB198_2226
; %bb.2224:
	s_cmp_gt_i32 s10, 27
	s_cbranch_scc0 .LBB198_2227
; %bb.2225:
	global_load_b32 v1, v[4:5], off
	s_mov_b32 s19, 0
	s_wait_loadcnt 0x0
	v_cvt_f32_u32_e32 v1, v1
	s_delay_alu instid0(VALU_DEP_1) | instskip(NEXT) | instid1(VALU_DEP_1)
	v_bfe_u32 v3, v1, 16, 1
	v_add3_u32 v1, v1, v3, 0x7fff
	s_delay_alu instid0(VALU_DEP_1)
	v_lshrrev_b32_e32 v12, 16, v1
	s_branch .LBB198_2228
.LBB198_2226:
	s_mov_b32 s19, -1
                                        ; implicit-def: $vgpr12
	s_branch .LBB198_2231
.LBB198_2227:
	s_mov_b32 s19, -1
                                        ; implicit-def: $vgpr12
.LBB198_2228:
	s_delay_alu instid0(SALU_CYCLE_1)
	s_and_not1_b32 vcc_lo, exec_lo, s19
	s_cbranch_vccnz .LBB198_2230
; %bb.2229:
	global_load_u16 v1, v[4:5], off
	s_wait_loadcnt 0x0
	v_cvt_f32_u32_e32 v1, v1
	s_delay_alu instid0(VALU_DEP_1) | instskip(NEXT) | instid1(VALU_DEP_1)
	v_bfe_u32 v3, v1, 16, 1
	v_add3_u32 v1, v1, v3, 0x7fff
	s_delay_alu instid0(VALU_DEP_1)
	v_lshrrev_b32_e32 v12, 16, v1
.LBB198_2230:
	s_mov_b32 s19, 0
.LBB198_2231:
	s_delay_alu instid0(SALU_CYCLE_1)
	s_and_not1_b32 vcc_lo, exec_lo, s19
	s_cbranch_vccnz .LBB198_2239
; %bb.2232:
	global_load_u8 v1, v[4:5], off
	s_mov_b32 s19, 0
	s_mov_b32 s20, exec_lo
	s_wait_loadcnt 0x0
	v_cmpx_lt_i16_e32 0x7f, v1
	s_xor_b32 s20, exec_lo, s20
	s_cbranch_execz .LBB198_2253
; %bb.2233:
	s_mov_b32 s19, -1
	s_mov_b32 s21, exec_lo
	v_cmpx_eq_u16_e32 0x80, v1
; %bb.2234:
	s_xor_b32 s19, exec_lo, -1
; %bb.2235:
	s_or_b32 exec_lo, exec_lo, s21
	s_delay_alu instid0(SALU_CYCLE_1)
	s_and_b32 s19, s19, exec_lo
	s_or_saveexec_b32 s20, s20
	v_mov_b32_e32 v3, 0x7f800001
	s_xor_b32 exec_lo, exec_lo, s20
	s_cbranch_execnz .LBB198_2254
.LBB198_2236:
	s_or_b32 exec_lo, exec_lo, s20
	s_and_saveexec_b32 s20, s19
	s_cbranch_execz .LBB198_2238
.LBB198_2237:
	v_and_b32_e32 v3, 0xffff, v1
	s_delay_alu instid0(VALU_DEP_1) | instskip(SKIP_1) | instid1(VALU_DEP_2)
	v_and_b32_e32 v12, 7, v3
	v_bfe_u32 v15, v3, 3, 4
	v_clz_i32_u32_e32 v13, v12
	s_delay_alu instid0(VALU_DEP_2) | instskip(NEXT) | instid1(VALU_DEP_2)
	v_cmp_eq_u32_e32 vcc_lo, 0, v15
	v_min_u32_e32 v13, 32, v13
	s_delay_alu instid0(VALU_DEP_1) | instskip(NEXT) | instid1(VALU_DEP_1)
	v_subrev_nc_u32_e32 v14, 28, v13
	v_dual_lshlrev_b32 v3, v14, v3 :: v_dual_sub_nc_u32 v13, 29, v13
	s_delay_alu instid0(VALU_DEP_1) | instskip(NEXT) | instid1(VALU_DEP_1)
	v_dual_lshlrev_b32 v1, 24, v1 :: v_dual_bitop2_b32 v3, 7, v3 bitop3:0x40
	v_dual_cndmask_b32 v3, v12, v3, vcc_lo :: v_dual_cndmask_b32 v13, v15, v13, vcc_lo
	s_delay_alu instid0(VALU_DEP_2) | instskip(NEXT) | instid1(VALU_DEP_2)
	v_and_b32_e32 v1, 0x80000000, v1
	v_lshlrev_b32_e32 v3, 20, v3
	s_delay_alu instid0(VALU_DEP_3) | instskip(NEXT) | instid1(VALU_DEP_1)
	v_lshl_add_u32 v12, v13, 23, 0x3b800000
	v_or3_b32 v3, v1, v12, v3
.LBB198_2238:
	s_or_b32 exec_lo, exec_lo, s20
	s_delay_alu instid0(VALU_DEP_1) | instskip(SKIP_1) | instid1(VALU_DEP_2)
	v_bfe_u32 v1, v3, 16, 1
	v_cmp_o_f32_e32 vcc_lo, v3, v3
	v_add3_u32 v1, v3, v1, 0x7fff
	s_delay_alu instid0(VALU_DEP_1) | instskip(NEXT) | instid1(VALU_DEP_1)
	v_lshrrev_b32_e32 v1, 16, v1
	v_cndmask_b32_e32 v12, 0x7fc0, v1, vcc_lo
.LBB198_2239:
	s_mov_b32 s19, -1
.LBB198_2240:
	s_mov_b32 s20, 0
.LBB198_2241:
	s_delay_alu instid0(SALU_CYCLE_1)
	s_and_b32 vcc_lo, exec_lo, s20
	s_cbranch_vccz .LBB198_2274
; %bb.2242:
	s_cmp_gt_i32 s10, 22
	s_cbranch_scc0 .LBB198_2252
; %bb.2243:
	s_cmp_lt_i32 s10, 24
	s_cbranch_scc1 .LBB198_2255
; %bb.2244:
	s_cmp_gt_i32 s10, 24
	s_cbranch_scc0 .LBB198_2256
; %bb.2245:
	global_load_u8 v1, v[4:5], off
	s_mov_b32 s19, exec_lo
	s_wait_loadcnt 0x0
	v_cmpx_lt_i16_e32 0x7f, v1
	s_xor_b32 s19, exec_lo, s19
	s_cbranch_execz .LBB198_2268
; %bb.2246:
	s_mov_b32 s16, -1
	s_mov_b32 s20, exec_lo
	v_cmpx_eq_u16_e32 0x80, v1
; %bb.2247:
	s_xor_b32 s16, exec_lo, -1
; %bb.2248:
	s_or_b32 exec_lo, exec_lo, s20
	s_delay_alu instid0(SALU_CYCLE_1)
	s_and_b32 s16, s16, exec_lo
	s_or_saveexec_b32 s19, s19
	v_mov_b32_e32 v3, 0x7f800001
	s_xor_b32 exec_lo, exec_lo, s19
	s_cbranch_execnz .LBB198_2269
.LBB198_2249:
	s_or_b32 exec_lo, exec_lo, s19
	s_and_saveexec_b32 s19, s16
	s_cbranch_execz .LBB198_2251
.LBB198_2250:
	v_and_b32_e32 v3, 0xffff, v1
	s_delay_alu instid0(VALU_DEP_1) | instskip(SKIP_1) | instid1(VALU_DEP_2)
	v_and_b32_e32 v12, 3, v3
	v_bfe_u32 v15, v3, 2, 5
	v_clz_i32_u32_e32 v13, v12
	s_delay_alu instid0(VALU_DEP_2) | instskip(NEXT) | instid1(VALU_DEP_2)
	v_cmp_eq_u32_e32 vcc_lo, 0, v15
	v_min_u32_e32 v13, 32, v13
	s_delay_alu instid0(VALU_DEP_1) | instskip(NEXT) | instid1(VALU_DEP_1)
	v_subrev_nc_u32_e32 v14, 29, v13
	v_dual_lshlrev_b32 v3, v14, v3 :: v_dual_sub_nc_u32 v13, 30, v13
	s_delay_alu instid0(VALU_DEP_1) | instskip(NEXT) | instid1(VALU_DEP_1)
	v_dual_lshlrev_b32 v1, 24, v1 :: v_dual_bitop2_b32 v3, 3, v3 bitop3:0x40
	v_dual_cndmask_b32 v3, v12, v3, vcc_lo :: v_dual_cndmask_b32 v13, v15, v13, vcc_lo
	s_delay_alu instid0(VALU_DEP_2) | instskip(NEXT) | instid1(VALU_DEP_2)
	v_and_b32_e32 v1, 0x80000000, v1
	v_lshlrev_b32_e32 v3, 21, v3
	s_delay_alu instid0(VALU_DEP_3) | instskip(NEXT) | instid1(VALU_DEP_1)
	v_lshl_add_u32 v12, v13, 23, 0x37800000
	v_or3_b32 v3, v1, v12, v3
.LBB198_2251:
	s_or_b32 exec_lo, exec_lo, s19
	s_delay_alu instid0(VALU_DEP_1) | instskip(SKIP_2) | instid1(VALU_DEP_2)
	v_bfe_u32 v1, v3, 16, 1
	v_cmp_o_f32_e32 vcc_lo, v3, v3
	s_mov_b32 s16, 0
	v_add3_u32 v1, v3, v1, 0x7fff
	s_delay_alu instid0(VALU_DEP_1) | instskip(NEXT) | instid1(VALU_DEP_1)
	v_lshrrev_b32_e32 v1, 16, v1
	v_cndmask_b32_e32 v12, 0x7fc0, v1, vcc_lo
	s_branch .LBB198_2257
.LBB198_2252:
	s_mov_b32 s16, -1
                                        ; implicit-def: $vgpr12
	s_branch .LBB198_2263
.LBB198_2253:
	s_or_saveexec_b32 s20, s20
	v_mov_b32_e32 v3, 0x7f800001
	s_xor_b32 exec_lo, exec_lo, s20
	s_cbranch_execz .LBB198_2236
.LBB198_2254:
	v_cmp_ne_u16_e32 vcc_lo, 0, v1
	v_mov_b32_e32 v3, 0
	s_and_not1_b32 s19, s19, exec_lo
	s_and_b32 s21, vcc_lo, exec_lo
	s_delay_alu instid0(SALU_CYCLE_1)
	s_or_b32 s19, s19, s21
	s_or_b32 exec_lo, exec_lo, s20
	s_and_saveexec_b32 s20, s19
	s_cbranch_execnz .LBB198_2237
	s_branch .LBB198_2238
.LBB198_2255:
	s_mov_b32 s16, -1
                                        ; implicit-def: $vgpr12
	s_branch .LBB198_2260
.LBB198_2256:
	s_mov_b32 s16, -1
                                        ; implicit-def: $vgpr12
.LBB198_2257:
	s_delay_alu instid0(SALU_CYCLE_1)
	s_and_b32 vcc_lo, exec_lo, s16
	s_cbranch_vccz .LBB198_2259
; %bb.2258:
	global_load_u8 v1, v[4:5], off
	s_wait_loadcnt 0x0
	v_lshlrev_b32_e32 v1, 24, v1
	s_delay_alu instid0(VALU_DEP_1) | instskip(NEXT) | instid1(VALU_DEP_1)
	v_and_b32_e32 v3, 0x7f000000, v1
	v_clz_i32_u32_e32 v12, v3
	v_cmp_ne_u32_e32 vcc_lo, 0, v3
	v_add_nc_u32_e32 v14, 0x1000000, v3
	s_delay_alu instid0(VALU_DEP_3) | instskip(NEXT) | instid1(VALU_DEP_1)
	v_min_u32_e32 v12, 32, v12
	v_sub_nc_u32_e64 v12, v12, 4 clamp
	s_delay_alu instid0(VALU_DEP_1) | instskip(NEXT) | instid1(VALU_DEP_1)
	v_dual_lshlrev_b32 v13, v12, v3 :: v_dual_lshlrev_b32 v12, 23, v12
	v_lshrrev_b32_e32 v13, 4, v13
	s_delay_alu instid0(VALU_DEP_1) | instskip(NEXT) | instid1(VALU_DEP_1)
	v_dual_sub_nc_u32 v12, v13, v12 :: v_dual_ashrrev_i32 v13, 8, v14
	v_add_nc_u32_e32 v12, 0x3c000000, v12
	s_delay_alu instid0(VALU_DEP_1) | instskip(NEXT) | instid1(VALU_DEP_1)
	v_and_or_b32 v12, 0x7f800000, v13, v12
	v_cndmask_b32_e32 v3, 0, v12, vcc_lo
	s_delay_alu instid0(VALU_DEP_1) | instskip(SKIP_1) | instid1(VALU_DEP_2)
	v_and_or_b32 v1, 0x80000000, v1, v3
	v_bfe_u32 v3, v3, 16, 1
	v_cmp_o_f32_e32 vcc_lo, v1, v1
	s_delay_alu instid0(VALU_DEP_2) | instskip(NEXT) | instid1(VALU_DEP_1)
	v_add3_u32 v3, v1, v3, 0x7fff
	v_lshrrev_b32_e32 v3, 16, v3
	s_delay_alu instid0(VALU_DEP_1)
	v_cndmask_b32_e32 v12, 0x7fc0, v3, vcc_lo
.LBB198_2259:
	s_mov_b32 s16, 0
.LBB198_2260:
	s_delay_alu instid0(SALU_CYCLE_1)
	s_and_not1_b32 vcc_lo, exec_lo, s16
	s_cbranch_vccnz .LBB198_2262
; %bb.2261:
	global_load_u8 v1, v[4:5], off
	s_wait_loadcnt 0x0
	v_lshlrev_b32_e32 v3, 25, v1
	v_lshlrev_b16 v1, 8, v1
	s_delay_alu instid0(VALU_DEP_1) | instskip(NEXT) | instid1(VALU_DEP_3)
	v_and_or_b32 v13, 0x7f00, v1, 0.5
	v_lshrrev_b32_e32 v12, 4, v3
	v_bfe_i32 v1, v1, 0, 16
	s_delay_alu instid0(VALU_DEP_3) | instskip(NEXT) | instid1(VALU_DEP_3)
	v_add_f32_e32 v13, -0.5, v13
	v_or_b32_e32 v12, 0x70000000, v12
	s_delay_alu instid0(VALU_DEP_1) | instskip(SKIP_1) | instid1(VALU_DEP_2)
	v_mul_f32_e32 v12, 0x7800000, v12
	v_cmp_gt_u32_e32 vcc_lo, 0x8000000, v3
	v_cndmask_b32_e32 v3, v12, v13, vcc_lo
	s_delay_alu instid0(VALU_DEP_1) | instskip(SKIP_1) | instid1(VALU_DEP_2)
	v_and_or_b32 v1, 0x80000000, v1, v3
	v_bfe_u32 v3, v3, 16, 1
	v_cmp_o_f32_e32 vcc_lo, v1, v1
	s_delay_alu instid0(VALU_DEP_2) | instskip(NEXT) | instid1(VALU_DEP_1)
	v_add3_u32 v3, v1, v3, 0x7fff
	v_lshrrev_b32_e32 v3, 16, v3
	s_delay_alu instid0(VALU_DEP_1)
	v_cndmask_b32_e32 v12, 0x7fc0, v3, vcc_lo
.LBB198_2262:
	s_mov_b32 s16, 0
	s_mov_b32 s19, -1
.LBB198_2263:
	s_and_not1_b32 vcc_lo, exec_lo, s16
	s_mov_b32 s16, 0
	s_cbranch_vccnz .LBB198_2274
; %bb.2264:
	s_cmp_gt_i32 s10, 14
	s_cbranch_scc0 .LBB198_2267
; %bb.2265:
	s_cmp_eq_u32 s10, 15
	s_cbranch_scc0 .LBB198_2270
; %bb.2266:
	s_wait_loadcnt 0x0
	global_load_u16 v12, v[4:5], off
	s_mov_b32 s14, 0
	s_mov_b32 s19, -1
	s_branch .LBB198_2272
.LBB198_2267:
	s_mov_b32 s16, -1
	s_branch .LBB198_2271
.LBB198_2268:
	s_or_saveexec_b32 s19, s19
	v_mov_b32_e32 v3, 0x7f800001
	s_xor_b32 exec_lo, exec_lo, s19
	s_cbranch_execz .LBB198_2249
.LBB198_2269:
	v_cmp_ne_u16_e32 vcc_lo, 0, v1
	v_mov_b32_e32 v3, 0
	s_and_not1_b32 s16, s16, exec_lo
	s_and_b32 s20, vcc_lo, exec_lo
	s_delay_alu instid0(SALU_CYCLE_1)
	s_or_b32 s16, s16, s20
	s_or_b32 exec_lo, exec_lo, s19
	s_and_saveexec_b32 s19, s16
	s_cbranch_execnz .LBB198_2250
	s_branch .LBB198_2251
.LBB198_2270:
	s_mov_b32 s14, -1
.LBB198_2271:
                                        ; implicit-def: $vgpr12
.LBB198_2272:
	s_and_b32 vcc_lo, exec_lo, s16
	s_mov_b32 s16, 0
	s_cbranch_vccz .LBB198_2274
; %bb.2273:
	s_cmp_lg_u32 s10, 11
	s_mov_b32 s16, -1
	s_cselect_b32 s14, -1, 0
.LBB198_2274:
	s_delay_alu instid0(SALU_CYCLE_1)
	s_and_b32 vcc_lo, exec_lo, s14
	s_cbranch_vccnz .LBB198_2339
; %bb.2275:
	s_and_not1_b32 vcc_lo, exec_lo, s16
	s_cbranch_vccnz .LBB198_2277
.LBB198_2276:
	global_load_u8 v1, v[4:5], off
	s_mov_b32 s19, -1
	s_wait_loadcnt 0x0
	v_cmp_ne_u16_e32 vcc_lo, 0, v1
	v_cndmask_b32_e64 v1, 0, 1.0, vcc_lo
	s_delay_alu instid0(VALU_DEP_1)
	v_lshrrev_b32_e32 v12, 16, v1
.LBB198_2277:
	s_mov_b32 s10, 0
.LBB198_2278:
	s_delay_alu instid0(SALU_CYCLE_1)
	s_and_b32 vcc_lo, exec_lo, s10
	s_cbranch_vccz .LBB198_2327
; %bb.2279:
	s_and_b32 s10, 0xffff, s1
	s_delay_alu instid0(SALU_CYCLE_1)
	s_cmp_lt_i32 s10, 5
	s_cbranch_scc1 .LBB198_2284
; %bb.2280:
	s_cmp_lt_i32 s10, 8
	s_cbranch_scc1 .LBB198_2285
; %bb.2281:
	;; [unrolled: 3-line block ×3, first 2 shown]
	s_cmp_gt_i32 s10, 9
	s_cbranch_scc0 .LBB198_2287
; %bb.2283:
	s_wait_loadcnt 0x0
	global_load_b64 v[12:13], v[4:5], off
	s_mov_b32 s14, 0
	s_wait_loadcnt 0x0
	v_cvt_f32_f64_e32 v1, v[12:13]
	s_delay_alu instid0(VALU_DEP_1) | instskip(SKIP_1) | instid1(VALU_DEP_2)
	v_bfe_u32 v3, v1, 16, 1
	v_cmp_o_f32_e32 vcc_lo, v1, v1
	v_add3_u32 v3, v1, v3, 0x7fff
	s_delay_alu instid0(VALU_DEP_1) | instskip(NEXT) | instid1(VALU_DEP_1)
	v_lshrrev_b32_e32 v3, 16, v3
	v_cndmask_b32_e32 v12, 0x7fc0, v3, vcc_lo
	s_branch .LBB198_2288
.LBB198_2284:
	s_mov_b32 s14, -1
                                        ; implicit-def: $vgpr12
	s_branch .LBB198_2306
.LBB198_2285:
	s_mov_b32 s14, -1
                                        ; implicit-def: $vgpr12
	s_branch .LBB198_2294
.LBB198_2286:
	s_mov_b32 s14, -1
                                        ; implicit-def: $vgpr12
	s_branch .LBB198_2291
.LBB198_2287:
	s_mov_b32 s14, -1
                                        ; implicit-def: $vgpr12
.LBB198_2288:
	s_delay_alu instid0(SALU_CYCLE_1)
	s_and_not1_b32 vcc_lo, exec_lo, s14
	s_cbranch_vccnz .LBB198_2290
; %bb.2289:
	global_load_b32 v1, v[4:5], off
	s_wait_loadcnt 0x0
	v_bfe_u32 v3, v1, 16, 1
	v_cmp_o_f32_e32 vcc_lo, v1, v1
	s_delay_alu instid0(VALU_DEP_2) | instskip(NEXT) | instid1(VALU_DEP_1)
	v_add3_u32 v3, v1, v3, 0x7fff
	v_lshrrev_b32_e32 v3, 16, v3
	s_delay_alu instid0(VALU_DEP_1)
	v_cndmask_b32_e32 v12, 0x7fc0, v3, vcc_lo
.LBB198_2290:
	s_mov_b32 s14, 0
.LBB198_2291:
	s_delay_alu instid0(SALU_CYCLE_1)
	s_and_not1_b32 vcc_lo, exec_lo, s14
	s_cbranch_vccnz .LBB198_2293
; %bb.2292:
	global_load_b32 v1, v[4:5], off
	s_wait_loadcnt 0x0
	v_cvt_f32_f16_e32 v3, v1
	v_cmp_o_f16_e32 vcc_lo, v1, v1
	s_delay_alu instid0(VALU_DEP_2) | instskip(NEXT) | instid1(VALU_DEP_1)
	v_bfe_u32 v12, v3, 16, 1
	v_add3_u32 v3, v3, v12, 0x7fff
	s_delay_alu instid0(VALU_DEP_1) | instskip(NEXT) | instid1(VALU_DEP_1)
	v_lshrrev_b32_e32 v3, 16, v3
	v_cndmask_b32_e32 v12, 0x7fc0, v3, vcc_lo
.LBB198_2293:
	s_mov_b32 s14, 0
.LBB198_2294:
	s_delay_alu instid0(SALU_CYCLE_1)
	s_and_not1_b32 vcc_lo, exec_lo, s14
	s_cbranch_vccnz .LBB198_2305
; %bb.2295:
	s_cmp_lt_i32 s10, 6
	s_cbranch_scc1 .LBB198_2298
; %bb.2296:
	s_cmp_gt_i32 s10, 6
	s_cbranch_scc0 .LBB198_2299
; %bb.2297:
	s_wait_loadcnt 0x0
	global_load_b64 v[12:13], v[4:5], off
	s_mov_b32 s14, 0
	s_wait_loadcnt 0x0
	v_cvt_f32_f64_e32 v1, v[12:13]
	s_delay_alu instid0(VALU_DEP_1) | instskip(SKIP_1) | instid1(VALU_DEP_2)
	v_bfe_u32 v3, v1, 16, 1
	v_cmp_o_f32_e32 vcc_lo, v1, v1
	v_add3_u32 v3, v1, v3, 0x7fff
	s_delay_alu instid0(VALU_DEP_1) | instskip(NEXT) | instid1(VALU_DEP_1)
	v_lshrrev_b32_e32 v3, 16, v3
	v_cndmask_b32_e32 v12, 0x7fc0, v3, vcc_lo
	s_branch .LBB198_2300
.LBB198_2298:
	s_mov_b32 s14, -1
                                        ; implicit-def: $vgpr12
	s_branch .LBB198_2303
.LBB198_2299:
	s_mov_b32 s14, -1
                                        ; implicit-def: $vgpr12
.LBB198_2300:
	s_delay_alu instid0(SALU_CYCLE_1)
	s_and_not1_b32 vcc_lo, exec_lo, s14
	s_cbranch_vccnz .LBB198_2302
; %bb.2301:
	global_load_b32 v1, v[4:5], off
	s_wait_loadcnt 0x0
	v_bfe_u32 v3, v1, 16, 1
	v_cmp_o_f32_e32 vcc_lo, v1, v1
	s_delay_alu instid0(VALU_DEP_2) | instskip(NEXT) | instid1(VALU_DEP_1)
	v_add3_u32 v3, v1, v3, 0x7fff
	v_lshrrev_b32_e32 v3, 16, v3
	s_delay_alu instid0(VALU_DEP_1)
	v_cndmask_b32_e32 v12, 0x7fc0, v3, vcc_lo
.LBB198_2302:
	s_mov_b32 s14, 0
.LBB198_2303:
	s_delay_alu instid0(SALU_CYCLE_1)
	s_and_not1_b32 vcc_lo, exec_lo, s14
	s_cbranch_vccnz .LBB198_2305
; %bb.2304:
	global_load_u16 v1, v[4:5], off
	s_wait_loadcnt 0x0
	v_cvt_f32_f16_e32 v3, v1
	v_cmp_o_f16_e32 vcc_lo, v1, v1
	s_delay_alu instid0(VALU_DEP_2) | instskip(NEXT) | instid1(VALU_DEP_1)
	v_bfe_u32 v12, v3, 16, 1
	v_add3_u32 v3, v3, v12, 0x7fff
	s_delay_alu instid0(VALU_DEP_1) | instskip(NEXT) | instid1(VALU_DEP_1)
	v_lshrrev_b32_e32 v3, 16, v3
	v_cndmask_b32_e32 v12, 0x7fc0, v3, vcc_lo
.LBB198_2305:
	s_mov_b32 s14, 0
.LBB198_2306:
	s_delay_alu instid0(SALU_CYCLE_1)
	s_and_not1_b32 vcc_lo, exec_lo, s14
	s_cbranch_vccnz .LBB198_2326
; %bb.2307:
	s_cmp_lt_i32 s10, 2
	s_cbranch_scc1 .LBB198_2311
; %bb.2308:
	s_cmp_lt_i32 s10, 3
	s_cbranch_scc1 .LBB198_2312
; %bb.2309:
	s_cmp_gt_i32 s10, 3
	s_cbranch_scc0 .LBB198_2313
; %bb.2310:
	s_wait_loadcnt 0x0
	global_load_b64 v[12:13], v[4:5], off
	s_mov_b32 s14, 0
	s_wait_loadcnt 0x0
	v_xor_b32_e32 v1, v12, v13
	v_cls_i32_e32 v3, v13
	s_delay_alu instid0(VALU_DEP_2) | instskip(NEXT) | instid1(VALU_DEP_1)
	v_ashrrev_i32_e32 v1, 31, v1
	v_add_nc_u32_e32 v1, 32, v1
	s_delay_alu instid0(VALU_DEP_1) | instskip(NEXT) | instid1(VALU_DEP_1)
	v_add_min_u32_e64 v1, v3, -1, v1
	v_lshlrev_b64_e32 v[12:13], v1, v[12:13]
	v_sub_nc_u32_e32 v1, 32, v1
	s_delay_alu instid0(VALU_DEP_2) | instskip(NEXT) | instid1(VALU_DEP_1)
	v_min_u32_e32 v3, 1, v12
	v_or_b32_e32 v3, v13, v3
	s_delay_alu instid0(VALU_DEP_1) | instskip(NEXT) | instid1(VALU_DEP_1)
	v_cvt_f32_i32_e32 v3, v3
	v_ldexp_f32 v1, v3, v1
	s_delay_alu instid0(VALU_DEP_1) | instskip(NEXT) | instid1(VALU_DEP_1)
	v_bfe_u32 v3, v1, 16, 1
	v_add3_u32 v1, v1, v3, 0x7fff
	s_delay_alu instid0(VALU_DEP_1)
	v_lshrrev_b32_e32 v12, 16, v1
	s_branch .LBB198_2314
.LBB198_2311:
	s_mov_b32 s14, -1
                                        ; implicit-def: $vgpr12
	s_branch .LBB198_2320
.LBB198_2312:
	s_mov_b32 s14, -1
                                        ; implicit-def: $vgpr12
	s_branch .LBB198_2317
.LBB198_2313:
	s_mov_b32 s14, -1
                                        ; implicit-def: $vgpr12
.LBB198_2314:
	s_delay_alu instid0(SALU_CYCLE_1)
	s_and_not1_b32 vcc_lo, exec_lo, s14
	s_cbranch_vccnz .LBB198_2316
; %bb.2315:
	global_load_b32 v1, v[4:5], off
	s_wait_loadcnt 0x0
	v_cvt_f32_i32_e32 v1, v1
	s_delay_alu instid0(VALU_DEP_1) | instskip(NEXT) | instid1(VALU_DEP_1)
	v_bfe_u32 v3, v1, 16, 1
	v_add3_u32 v1, v1, v3, 0x7fff
	s_delay_alu instid0(VALU_DEP_1)
	v_lshrrev_b32_e32 v12, 16, v1
.LBB198_2316:
	s_mov_b32 s14, 0
.LBB198_2317:
	s_delay_alu instid0(SALU_CYCLE_1)
	s_and_not1_b32 vcc_lo, exec_lo, s14
	s_cbranch_vccnz .LBB198_2319
; %bb.2318:
	global_load_i16 v1, v[4:5], off
	s_wait_loadcnt 0x0
	v_cvt_f32_i32_e32 v1, v1
	s_delay_alu instid0(VALU_DEP_1) | instskip(NEXT) | instid1(VALU_DEP_1)
	v_bfe_u32 v3, v1, 16, 1
	v_add3_u32 v1, v1, v3, 0x7fff
	s_delay_alu instid0(VALU_DEP_1)
	v_lshrrev_b32_e32 v12, 16, v1
.LBB198_2319:
	s_mov_b32 s14, 0
.LBB198_2320:
	s_delay_alu instid0(SALU_CYCLE_1)
	s_and_not1_b32 vcc_lo, exec_lo, s14
	s_cbranch_vccnz .LBB198_2326
; %bb.2321:
	s_cmp_gt_i32 s10, 0
	s_mov_b32 s10, 0
	s_cbranch_scc0 .LBB198_2323
; %bb.2322:
	global_load_i8 v1, v[4:5], off
	s_wait_loadcnt 0x0
	v_cvt_f32_i32_e32 v1, v1
	s_delay_alu instid0(VALU_DEP_1) | instskip(NEXT) | instid1(VALU_DEP_1)
	v_bfe_u32 v3, v1, 16, 1
	v_add3_u32 v1, v1, v3, 0x7fff
	s_delay_alu instid0(VALU_DEP_1)
	v_lshrrev_b32_e32 v12, 16, v1
	s_branch .LBB198_2324
.LBB198_2323:
	s_mov_b32 s10, -1
                                        ; implicit-def: $vgpr12
.LBB198_2324:
	s_delay_alu instid0(SALU_CYCLE_1)
	s_and_not1_b32 vcc_lo, exec_lo, s10
	s_cbranch_vccnz .LBB198_2326
; %bb.2325:
	global_load_u8 v1, v[4:5], off
	s_wait_loadcnt 0x0
	v_cvt_f32_ubyte0_e32 v1, v1
	s_delay_alu instid0(VALU_DEP_1) | instskip(NEXT) | instid1(VALU_DEP_1)
	v_bfe_u32 v3, v1, 16, 1
	v_add3_u32 v1, v1, v3, 0x7fff
	s_delay_alu instid0(VALU_DEP_1)
	v_lshrrev_b32_e32 v12, 16, v1
.LBB198_2326:
	s_mov_b32 s19, -1
.LBB198_2327:
	s_delay_alu instid0(SALU_CYCLE_1)
	s_and_not1_b32 vcc_lo, exec_lo, s19
	s_cbranch_vccnz .LBB198_3022
; %bb.2328:
	v_add_nc_u32_e32 v0, s2, v0
	s_cmp_lt_i32 s0, 11
	s_delay_alu instid0(VALU_DEP_1) | instskip(NEXT) | instid1(VALU_DEP_1)
	v_ashrrev_i32_e32 v1, 31, v0
	v_add_nc_u64_e32 v[0:1], s[6:7], v[0:1]
	s_cbranch_scc1 .LBB198_2335
; %bb.2329:
	s_and_b32 s2, 0xffff, s0
	s_mov_b32 s7, 0
	s_cmp_gt_i32 s2, 25
	s_cbranch_scc0 .LBB198_2336
; %bb.2330:
	s_cmp_gt_i32 s2, 28
	s_cbranch_scc0 .LBB198_2337
; %bb.2331:
	;; [unrolled: 3-line block ×4, first 2 shown]
	s_cmp_eq_u32 s2, 46
	s_mov_b32 s14, 0
	s_cbranch_scc0 .LBB198_2341
; %bb.2334:
	global_load_b32 v4, v[0:1], off
	s_mov_b32 s6, 0
	s_mov_b32 s10, -1
	s_branch .LBB198_2343
.LBB198_2335:
	s_mov_b32 s2, -1
	s_mov_b32 s10, 0
                                        ; implicit-def: $vgpr4
	s_branch .LBB198_2409
.LBB198_2336:
	s_mov_b32 s14, -1
	s_mov_b32 s10, 0
	s_mov_b32 s6, 0
                                        ; implicit-def: $vgpr4
	s_branch .LBB198_2372
.LBB198_2337:
	s_mov_b32 s14, -1
	s_mov_b32 s10, 0
	s_mov_b32 s6, 0
                                        ; implicit-def: $vgpr4
	s_branch .LBB198_2353
.LBB198_2338:
	s_mov_b32 s14, -1
	s_mov_b32 s10, 0
	s_mov_b32 s6, 0
                                        ; implicit-def: $vgpr4
	s_branch .LBB198_2348
.LBB198_2339:
	s_or_b32 s15, s15, exec_lo
	s_trap 2
	s_cbranch_execz .LBB198_2276
	s_branch .LBB198_2277
.LBB198_2340:
	s_mov_b32 s14, -1
	s_mov_b32 s10, 0
	s_mov_b32 s6, 0
	s_branch .LBB198_2342
.LBB198_2341:
	s_mov_b32 s6, -1
	s_mov_b32 s10, 0
.LBB198_2342:
                                        ; implicit-def: $vgpr4
.LBB198_2343:
	s_and_b32 vcc_lo, exec_lo, s14
	s_cbranch_vccz .LBB198_2347
; %bb.2344:
	s_cmp_eq_u32 s2, 44
	s_cbranch_scc0 .LBB198_2346
; %bb.2345:
	global_load_u8 v3, v[0:1], off
	s_mov_b32 s6, 0
	s_mov_b32 s10, -1
	s_wait_loadcnt 0x0
	s_wait_xcnt 0x1
	v_lshlrev_b32_e32 v4, 23, v3
	v_cmp_ne_u32_e32 vcc_lo, 0xff, v3
	s_delay_alu instid0(VALU_DEP_2) | instskip(SKIP_1) | instid1(VALU_DEP_2)
	v_cndmask_b32_e32 v4, 0x7f800001, v4, vcc_lo
	v_cmp_ne_u32_e32 vcc_lo, 0, v3
	v_cndmask_b32_e32 v3, 0x400000, v4, vcc_lo
	s_delay_alu instid0(VALU_DEP_1) | instskip(NEXT) | instid1(VALU_DEP_1)
	v_add_nc_u32_e32 v4, 0x7fff, v3
	v_lshrrev_b32_e32 v4, 16, v4
	v_cmp_o_f32_e32 vcc_lo, v3, v3
	s_delay_alu instid0(VALU_DEP_2)
	v_cndmask_b32_e32 v4, 0x7fc0, v4, vcc_lo
	s_branch .LBB198_2347
.LBB198_2346:
	s_mov_b32 s6, -1
                                        ; implicit-def: $vgpr4
.LBB198_2347:
	s_mov_b32 s14, 0
.LBB198_2348:
	s_delay_alu instid0(SALU_CYCLE_1)
	s_and_b32 vcc_lo, exec_lo, s14
	s_cbranch_vccz .LBB198_2352
; %bb.2349:
	s_cmp_eq_u32 s2, 29
	s_cbranch_scc0 .LBB198_2351
; %bb.2350:
	s_wait_loadcnt 0x0
	global_load_b64 v[4:5], v[0:1], off
	s_mov_b32 s6, 0
	s_mov_b32 s10, -1
	s_mov_b32 s14, 0
	s_wait_loadcnt 0x0
	v_clz_i32_u32_e32 v3, v5
	s_delay_alu instid0(VALU_DEP_1) | instskip(NEXT) | instid1(VALU_DEP_1)
	v_min_u32_e32 v3, 32, v3
	v_lshlrev_b64_e32 v[4:5], v3, v[4:5]
	v_sub_nc_u32_e32 v3, 32, v3
	s_delay_alu instid0(VALU_DEP_2) | instskip(NEXT) | instid1(VALU_DEP_1)
	v_min_u32_e32 v4, 1, v4
	v_or_b32_e32 v4, v5, v4
	s_delay_alu instid0(VALU_DEP_1) | instskip(NEXT) | instid1(VALU_DEP_1)
	v_cvt_f32_u32_e32 v4, v4
	v_ldexp_f32 v3, v4, v3
	s_delay_alu instid0(VALU_DEP_1) | instskip(NEXT) | instid1(VALU_DEP_1)
	v_bfe_u32 v4, v3, 16, 1
	v_add3_u32 v3, v3, v4, 0x7fff
	s_delay_alu instid0(VALU_DEP_1)
	v_lshrrev_b32_e32 v4, 16, v3
	s_branch .LBB198_2353
.LBB198_2351:
	s_mov_b32 s6, -1
                                        ; implicit-def: $vgpr4
.LBB198_2352:
	s_mov_b32 s14, 0
.LBB198_2353:
	s_delay_alu instid0(SALU_CYCLE_1)
	s_and_b32 vcc_lo, exec_lo, s14
	s_cbranch_vccz .LBB198_2371
; %bb.2354:
	s_cmp_lt_i32 s2, 27
	s_cbranch_scc1 .LBB198_2357
; %bb.2355:
	s_cmp_gt_i32 s2, 27
	s_cbranch_scc0 .LBB198_2358
; %bb.2356:
	global_load_b32 v3, v[0:1], off
	s_mov_b32 s10, 0
	s_wait_loadcnt 0x0
	v_cvt_f32_u32_e32 v3, v3
	s_wait_xcnt 0x1
	s_delay_alu instid0(VALU_DEP_1) | instskip(NEXT) | instid1(VALU_DEP_1)
	v_bfe_u32 v4, v3, 16, 1
	v_add3_u32 v3, v3, v4, 0x7fff
	s_delay_alu instid0(VALU_DEP_1)
	v_lshrrev_b32_e32 v4, 16, v3
	s_branch .LBB198_2359
.LBB198_2357:
	s_mov_b32 s10, -1
                                        ; implicit-def: $vgpr4
	s_branch .LBB198_2362
.LBB198_2358:
	s_mov_b32 s10, -1
                                        ; implicit-def: $vgpr4
.LBB198_2359:
	s_delay_alu instid0(SALU_CYCLE_1)
	s_and_not1_b32 vcc_lo, exec_lo, s10
	s_cbranch_vccnz .LBB198_2361
; %bb.2360:
	global_load_u16 v3, v[0:1], off
	s_wait_loadcnt 0x0
	v_cvt_f32_u32_e32 v3, v3
	s_wait_xcnt 0x1
	s_delay_alu instid0(VALU_DEP_1) | instskip(NEXT) | instid1(VALU_DEP_1)
	v_bfe_u32 v4, v3, 16, 1
	v_add3_u32 v3, v3, v4, 0x7fff
	s_delay_alu instid0(VALU_DEP_1)
	v_lshrrev_b32_e32 v4, 16, v3
.LBB198_2361:
	s_mov_b32 s10, 0
.LBB198_2362:
	s_delay_alu instid0(SALU_CYCLE_1)
	s_and_not1_b32 vcc_lo, exec_lo, s10
	s_cbranch_vccnz .LBB198_2370
; %bb.2363:
	global_load_u8 v3, v[0:1], off
	s_mov_b32 s10, 0
	s_mov_b32 s14, exec_lo
	s_wait_loadcnt 0x0
	v_cmpx_lt_i16_e32 0x7f, v3
	s_xor_b32 s14, exec_lo, s14
	s_cbranch_execz .LBB198_2384
; %bb.2364:
	s_mov_b32 s10, -1
	s_mov_b32 s16, exec_lo
	v_cmpx_eq_u16_e32 0x80, v3
; %bb.2365:
	s_xor_b32 s10, exec_lo, -1
; %bb.2366:
	s_or_b32 exec_lo, exec_lo, s16
	s_delay_alu instid0(SALU_CYCLE_1)
	s_and_b32 s10, s10, exec_lo
	s_or_saveexec_b32 s14, s14
	v_mov_b32_e32 v4, 0x7f800001
	s_xor_b32 exec_lo, exec_lo, s14
	s_cbranch_execnz .LBB198_2385
.LBB198_2367:
	s_or_b32 exec_lo, exec_lo, s14
	s_and_saveexec_b32 s14, s10
	s_cbranch_execz .LBB198_2369
.LBB198_2368:
	v_and_b32_e32 v4, 0xffff, v3
	s_delay_alu instid0(VALU_DEP_1) | instskip(SKIP_1) | instid1(VALU_DEP_2)
	v_and_b32_e32 v5, 7, v4
	v_bfe_u32 v15, v4, 3, 4
	v_clz_i32_u32_e32 v13, v5
	s_delay_alu instid0(VALU_DEP_2) | instskip(NEXT) | instid1(VALU_DEP_2)
	v_cmp_eq_u32_e32 vcc_lo, 0, v15
	v_min_u32_e32 v13, 32, v13
	s_delay_alu instid0(VALU_DEP_1) | instskip(NEXT) | instid1(VALU_DEP_1)
	v_subrev_nc_u32_e32 v14, 28, v13
	v_dual_lshlrev_b32 v4, v14, v4 :: v_dual_sub_nc_u32 v13, 29, v13
	s_delay_alu instid0(VALU_DEP_1) | instskip(NEXT) | instid1(VALU_DEP_1)
	v_dual_lshlrev_b32 v3, 24, v3 :: v_dual_bitop2_b32 v4, 7, v4 bitop3:0x40
	v_dual_cndmask_b32 v13, v15, v13 :: v_dual_cndmask_b32 v4, v5, v4
	s_delay_alu instid0(VALU_DEP_2) | instskip(NEXT) | instid1(VALU_DEP_2)
	v_and_b32_e32 v3, 0x80000000, v3
	v_lshl_add_u32 v5, v13, 23, 0x3b800000
	s_delay_alu instid0(VALU_DEP_3) | instskip(NEXT) | instid1(VALU_DEP_1)
	v_lshlrev_b32_e32 v4, 20, v4
	v_or3_b32 v4, v3, v5, v4
.LBB198_2369:
	s_or_b32 exec_lo, exec_lo, s14
	s_delay_alu instid0(VALU_DEP_1) | instskip(SKIP_1) | instid1(VALU_DEP_2)
	v_bfe_u32 v3, v4, 16, 1
	v_cmp_o_f32_e32 vcc_lo, v4, v4
	v_add3_u32 v3, v4, v3, 0x7fff
	s_delay_alu instid0(VALU_DEP_1) | instskip(NEXT) | instid1(VALU_DEP_1)
	v_lshrrev_b32_e32 v3, 16, v3
	v_cndmask_b32_e32 v4, 0x7fc0, v3, vcc_lo
.LBB198_2370:
	s_mov_b32 s10, -1
.LBB198_2371:
	s_mov_b32 s14, 0
.LBB198_2372:
	s_delay_alu instid0(SALU_CYCLE_1)
	s_and_b32 vcc_lo, exec_lo, s14
	s_cbranch_vccz .LBB198_2405
; %bb.2373:
	s_cmp_gt_i32 s2, 22
	s_cbranch_scc0 .LBB198_2383
; %bb.2374:
	s_cmp_lt_i32 s2, 24
	s_cbranch_scc1 .LBB198_2386
; %bb.2375:
	s_cmp_gt_i32 s2, 24
	s_cbranch_scc0 .LBB198_2387
; %bb.2376:
	global_load_u8 v3, v[0:1], off
	s_mov_b32 s10, exec_lo
	s_wait_loadcnt 0x0
	v_cmpx_lt_i16_e32 0x7f, v3
	s_xor_b32 s10, exec_lo, s10
	s_cbranch_execz .LBB198_2399
; %bb.2377:
	s_mov_b32 s7, -1
	s_mov_b32 s14, exec_lo
	v_cmpx_eq_u16_e32 0x80, v3
; %bb.2378:
	s_xor_b32 s7, exec_lo, -1
; %bb.2379:
	s_or_b32 exec_lo, exec_lo, s14
	s_delay_alu instid0(SALU_CYCLE_1)
	s_and_b32 s7, s7, exec_lo
	s_or_saveexec_b32 s10, s10
	v_mov_b32_e32 v4, 0x7f800001
	s_xor_b32 exec_lo, exec_lo, s10
	s_cbranch_execnz .LBB198_2400
.LBB198_2380:
	s_or_b32 exec_lo, exec_lo, s10
	s_and_saveexec_b32 s10, s7
	s_cbranch_execz .LBB198_2382
.LBB198_2381:
	v_and_b32_e32 v4, 0xffff, v3
	s_delay_alu instid0(VALU_DEP_1) | instskip(SKIP_1) | instid1(VALU_DEP_2)
	v_and_b32_e32 v5, 3, v4
	v_bfe_u32 v15, v4, 2, 5
	v_clz_i32_u32_e32 v13, v5
	s_delay_alu instid0(VALU_DEP_2) | instskip(NEXT) | instid1(VALU_DEP_2)
	v_cmp_eq_u32_e32 vcc_lo, 0, v15
	v_min_u32_e32 v13, 32, v13
	s_delay_alu instid0(VALU_DEP_1) | instskip(NEXT) | instid1(VALU_DEP_1)
	v_subrev_nc_u32_e32 v14, 29, v13
	v_dual_lshlrev_b32 v4, v14, v4 :: v_dual_sub_nc_u32 v13, 30, v13
	s_delay_alu instid0(VALU_DEP_1) | instskip(NEXT) | instid1(VALU_DEP_1)
	v_dual_lshlrev_b32 v3, 24, v3 :: v_dual_bitop2_b32 v4, 3, v4 bitop3:0x40
	v_dual_cndmask_b32 v13, v15, v13 :: v_dual_cndmask_b32 v4, v5, v4
	s_delay_alu instid0(VALU_DEP_2) | instskip(NEXT) | instid1(VALU_DEP_2)
	v_and_b32_e32 v3, 0x80000000, v3
	v_lshl_add_u32 v5, v13, 23, 0x37800000
	s_delay_alu instid0(VALU_DEP_3) | instskip(NEXT) | instid1(VALU_DEP_1)
	v_lshlrev_b32_e32 v4, 21, v4
	v_or3_b32 v4, v3, v5, v4
.LBB198_2382:
	s_or_b32 exec_lo, exec_lo, s10
	s_delay_alu instid0(VALU_DEP_1) | instskip(SKIP_2) | instid1(VALU_DEP_2)
	v_bfe_u32 v3, v4, 16, 1
	v_cmp_o_f32_e32 vcc_lo, v4, v4
	s_mov_b32 s7, 0
	v_add3_u32 v3, v4, v3, 0x7fff
	s_delay_alu instid0(VALU_DEP_1) | instskip(NEXT) | instid1(VALU_DEP_1)
	v_lshrrev_b32_e32 v3, 16, v3
	v_cndmask_b32_e32 v4, 0x7fc0, v3, vcc_lo
	s_branch .LBB198_2388
.LBB198_2383:
	s_mov_b32 s7, -1
                                        ; implicit-def: $vgpr4
	s_branch .LBB198_2394
.LBB198_2384:
	s_or_saveexec_b32 s14, s14
	v_mov_b32_e32 v4, 0x7f800001
	s_xor_b32 exec_lo, exec_lo, s14
	s_cbranch_execz .LBB198_2367
.LBB198_2385:
	v_cmp_ne_u16_e32 vcc_lo, 0, v3
	v_mov_b32_e32 v4, 0
	s_and_not1_b32 s10, s10, exec_lo
	s_and_b32 s16, vcc_lo, exec_lo
	s_delay_alu instid0(SALU_CYCLE_1)
	s_or_b32 s10, s10, s16
	s_or_b32 exec_lo, exec_lo, s14
	s_and_saveexec_b32 s14, s10
	s_cbranch_execnz .LBB198_2368
	s_branch .LBB198_2369
.LBB198_2386:
	s_mov_b32 s7, -1
                                        ; implicit-def: $vgpr4
	s_branch .LBB198_2391
.LBB198_2387:
	s_mov_b32 s7, -1
                                        ; implicit-def: $vgpr4
.LBB198_2388:
	s_delay_alu instid0(SALU_CYCLE_1)
	s_and_b32 vcc_lo, exec_lo, s7
	s_cbranch_vccz .LBB198_2390
; %bb.2389:
	global_load_u8 v3, v[0:1], off
	s_wait_loadcnt 0x0
	v_lshlrev_b32_e32 v3, 24, v3
	s_wait_xcnt 0x1
	s_delay_alu instid0(VALU_DEP_1) | instskip(NEXT) | instid1(VALU_DEP_1)
	v_and_b32_e32 v4, 0x7f000000, v3
	v_clz_i32_u32_e32 v5, v4
	v_add_nc_u32_e32 v14, 0x1000000, v4
	v_cmp_ne_u32_e32 vcc_lo, 0, v4
	s_delay_alu instid0(VALU_DEP_3) | instskip(NEXT) | instid1(VALU_DEP_1)
	v_min_u32_e32 v5, 32, v5
	v_sub_nc_u32_e64 v5, v5, 4 clamp
	s_delay_alu instid0(VALU_DEP_1) | instskip(NEXT) | instid1(VALU_DEP_1)
	v_dual_lshlrev_b32 v13, v5, v4 :: v_dual_lshlrev_b32 v5, 23, v5
	v_lshrrev_b32_e32 v13, 4, v13
	s_delay_alu instid0(VALU_DEP_1) | instskip(NEXT) | instid1(VALU_DEP_1)
	v_dual_sub_nc_u32 v5, v13, v5 :: v_dual_ashrrev_i32 v13, 8, v14
	v_add_nc_u32_e32 v5, 0x3c000000, v5
	s_delay_alu instid0(VALU_DEP_1) | instskip(NEXT) | instid1(VALU_DEP_1)
	v_and_or_b32 v5, 0x7f800000, v13, v5
	v_cndmask_b32_e32 v4, 0, v5, vcc_lo
	s_delay_alu instid0(VALU_DEP_1) | instskip(SKIP_1) | instid1(VALU_DEP_2)
	v_and_or_b32 v3, 0x80000000, v3, v4
	v_bfe_u32 v4, v4, 16, 1
	v_cmp_o_f32_e32 vcc_lo, v3, v3
	s_delay_alu instid0(VALU_DEP_2) | instskip(NEXT) | instid1(VALU_DEP_1)
	v_add3_u32 v4, v3, v4, 0x7fff
	v_lshrrev_b32_e32 v4, 16, v4
	s_delay_alu instid0(VALU_DEP_1)
	v_cndmask_b32_e32 v4, 0x7fc0, v4, vcc_lo
.LBB198_2390:
	s_mov_b32 s7, 0
.LBB198_2391:
	s_delay_alu instid0(SALU_CYCLE_1)
	s_and_not1_b32 vcc_lo, exec_lo, s7
	s_cbranch_vccnz .LBB198_2393
; %bb.2392:
	global_load_u8 v3, v[0:1], off
	s_wait_loadcnt 0x0
	s_wait_xcnt 0x1
	v_lshlrev_b32_e32 v4, 25, v3
	v_lshlrev_b16 v3, 8, v3
	s_delay_alu instid0(VALU_DEP_1) | instskip(SKIP_1) | instid1(VALU_DEP_2)
	v_and_or_b32 v13, 0x7f00, v3, 0.5
	v_bfe_i32 v3, v3, 0, 16
	v_dual_add_f32 v13, -0.5, v13 :: v_dual_lshrrev_b32 v5, 4, v4
	v_cmp_gt_u32_e32 vcc_lo, 0x8000000, v4
	s_delay_alu instid0(VALU_DEP_2) | instskip(NEXT) | instid1(VALU_DEP_1)
	v_or_b32_e32 v5, 0x70000000, v5
	v_mul_f32_e32 v5, 0x7800000, v5
	s_delay_alu instid0(VALU_DEP_1) | instskip(NEXT) | instid1(VALU_DEP_1)
	v_cndmask_b32_e32 v4, v5, v13, vcc_lo
	v_and_or_b32 v3, 0x80000000, v3, v4
	v_bfe_u32 v4, v4, 16, 1
	s_delay_alu instid0(VALU_DEP_2) | instskip(NEXT) | instid1(VALU_DEP_2)
	v_cmp_o_f32_e32 vcc_lo, v3, v3
	v_add3_u32 v4, v3, v4, 0x7fff
	s_delay_alu instid0(VALU_DEP_1) | instskip(NEXT) | instid1(VALU_DEP_1)
	v_lshrrev_b32_e32 v4, 16, v4
	v_cndmask_b32_e32 v4, 0x7fc0, v4, vcc_lo
.LBB198_2393:
	s_mov_b32 s7, 0
	s_mov_b32 s10, -1
.LBB198_2394:
	s_and_not1_b32 vcc_lo, exec_lo, s7
	s_mov_b32 s7, 0
	s_cbranch_vccnz .LBB198_2405
; %bb.2395:
	s_cmp_gt_i32 s2, 14
	s_cbranch_scc0 .LBB198_2398
; %bb.2396:
	s_cmp_eq_u32 s2, 15
	s_cbranch_scc0 .LBB198_2401
; %bb.2397:
	s_wait_loadcnt 0x0
	global_load_u16 v4, v[0:1], off
	s_mov_b32 s6, 0
	s_mov_b32 s10, -1
	s_branch .LBB198_2403
.LBB198_2398:
	s_mov_b32 s7, -1
	s_branch .LBB198_2402
.LBB198_2399:
	s_or_saveexec_b32 s10, s10
	v_mov_b32_e32 v4, 0x7f800001
	s_xor_b32 exec_lo, exec_lo, s10
	s_cbranch_execz .LBB198_2380
.LBB198_2400:
	v_cmp_ne_u16_e32 vcc_lo, 0, v3
	v_mov_b32_e32 v4, 0
	s_and_not1_b32 s7, s7, exec_lo
	s_and_b32 s14, vcc_lo, exec_lo
	s_delay_alu instid0(SALU_CYCLE_1)
	s_or_b32 s7, s7, s14
	s_or_b32 exec_lo, exec_lo, s10
	s_and_saveexec_b32 s10, s7
	s_cbranch_execnz .LBB198_2381
	s_branch .LBB198_2382
.LBB198_2401:
	s_mov_b32 s6, -1
.LBB198_2402:
                                        ; implicit-def: $vgpr4
.LBB198_2403:
	s_and_b32 vcc_lo, exec_lo, s7
	s_mov_b32 s7, 0
	s_cbranch_vccz .LBB198_2405
; %bb.2404:
	s_cmp_lg_u32 s2, 11
	s_mov_b32 s7, -1
	s_cselect_b32 s6, -1, 0
.LBB198_2405:
	s_delay_alu instid0(SALU_CYCLE_1)
	s_and_b32 vcc_lo, exec_lo, s6
	s_cbranch_vccnz .LBB198_2470
; %bb.2406:
	s_and_not1_b32 vcc_lo, exec_lo, s7
	s_cbranch_vccnz .LBB198_2408
.LBB198_2407:
	global_load_u8 v3, v[0:1], off
	s_mov_b32 s10, -1
	s_wait_loadcnt 0x0
	v_cmp_ne_u16_e32 vcc_lo, 0, v3
	v_cndmask_b32_e64 v3, 0, 1.0, vcc_lo
	s_wait_xcnt 0x1
	s_delay_alu instid0(VALU_DEP_1)
	v_lshrrev_b32_e32 v4, 16, v3
.LBB198_2408:
	s_mov_b32 s2, 0
.LBB198_2409:
	s_delay_alu instid0(SALU_CYCLE_1)
	s_and_b32 vcc_lo, exec_lo, s2
	s_cbranch_vccz .LBB198_2458
; %bb.2410:
	s_and_b32 s0, 0xffff, s0
	s_delay_alu instid0(SALU_CYCLE_1)
	s_cmp_lt_i32 s0, 5
	s_cbranch_scc1 .LBB198_2415
; %bb.2411:
	s_cmp_lt_i32 s0, 8
	s_cbranch_scc1 .LBB198_2416
; %bb.2412:
	s_cmp_lt_i32 s0, 9
	s_cbranch_scc1 .LBB198_2417
; %bb.2413:
	s_cmp_gt_i32 s0, 9
	s_cbranch_scc0 .LBB198_2418
; %bb.2414:
	s_wait_loadcnt 0x0
	global_load_b64 v[4:5], v[0:1], off
	s_mov_b32 s2, 0
	s_wait_loadcnt 0x0
	v_cvt_f32_f64_e32 v3, v[4:5]
	s_delay_alu instid0(VALU_DEP_1) | instskip(SKIP_1) | instid1(VALU_DEP_2)
	v_bfe_u32 v4, v3, 16, 1
	v_cmp_o_f32_e32 vcc_lo, v3, v3
	v_add3_u32 v4, v3, v4, 0x7fff
	s_delay_alu instid0(VALU_DEP_1) | instskip(NEXT) | instid1(VALU_DEP_1)
	v_lshrrev_b32_e32 v4, 16, v4
	v_cndmask_b32_e32 v4, 0x7fc0, v4, vcc_lo
	s_branch .LBB198_2419
.LBB198_2415:
	s_mov_b32 s2, -1
                                        ; implicit-def: $vgpr4
	s_branch .LBB198_2437
.LBB198_2416:
	s_mov_b32 s2, -1
                                        ; implicit-def: $vgpr4
	s_branch .LBB198_2425
.LBB198_2417:
	s_mov_b32 s2, -1
                                        ; implicit-def: $vgpr4
	s_branch .LBB198_2422
.LBB198_2418:
	s_mov_b32 s2, -1
                                        ; implicit-def: $vgpr4
.LBB198_2419:
	s_delay_alu instid0(SALU_CYCLE_1)
	s_and_not1_b32 vcc_lo, exec_lo, s2
	s_cbranch_vccnz .LBB198_2421
; %bb.2420:
	global_load_b32 v3, v[0:1], off
	s_wait_loadcnt 0x0
	s_wait_xcnt 0x1
	v_bfe_u32 v4, v3, 16, 1
	v_cmp_o_f32_e32 vcc_lo, v3, v3
	s_delay_alu instid0(VALU_DEP_2) | instskip(NEXT) | instid1(VALU_DEP_1)
	v_add3_u32 v4, v3, v4, 0x7fff
	v_lshrrev_b32_e32 v4, 16, v4
	s_delay_alu instid0(VALU_DEP_1)
	v_cndmask_b32_e32 v4, 0x7fc0, v4, vcc_lo
.LBB198_2421:
	s_mov_b32 s2, 0
.LBB198_2422:
	s_delay_alu instid0(SALU_CYCLE_1)
	s_and_not1_b32 vcc_lo, exec_lo, s2
	s_cbranch_vccnz .LBB198_2424
; %bb.2423:
	global_load_b32 v3, v[0:1], off
	s_wait_loadcnt 0x0
	s_wait_xcnt 0x1
	v_cvt_f32_f16_e32 v4, v3
	v_cmp_o_f16_e32 vcc_lo, v3, v3
	s_delay_alu instid0(VALU_DEP_2) | instskip(NEXT) | instid1(VALU_DEP_1)
	v_bfe_u32 v5, v4, 16, 1
	v_add3_u32 v4, v4, v5, 0x7fff
	s_delay_alu instid0(VALU_DEP_1) | instskip(NEXT) | instid1(VALU_DEP_1)
	v_lshrrev_b32_e32 v4, 16, v4
	v_cndmask_b32_e32 v4, 0x7fc0, v4, vcc_lo
.LBB198_2424:
	s_mov_b32 s2, 0
.LBB198_2425:
	s_delay_alu instid0(SALU_CYCLE_1)
	s_and_not1_b32 vcc_lo, exec_lo, s2
	s_cbranch_vccnz .LBB198_2436
; %bb.2426:
	s_cmp_lt_i32 s0, 6
	s_cbranch_scc1 .LBB198_2429
; %bb.2427:
	s_cmp_gt_i32 s0, 6
	s_cbranch_scc0 .LBB198_2430
; %bb.2428:
	s_wait_loadcnt 0x0
	global_load_b64 v[4:5], v[0:1], off
	s_mov_b32 s2, 0
	s_wait_loadcnt 0x0
	v_cvt_f32_f64_e32 v3, v[4:5]
	s_delay_alu instid0(VALU_DEP_1) | instskip(SKIP_1) | instid1(VALU_DEP_2)
	v_bfe_u32 v4, v3, 16, 1
	v_cmp_o_f32_e32 vcc_lo, v3, v3
	v_add3_u32 v4, v3, v4, 0x7fff
	s_delay_alu instid0(VALU_DEP_1) | instskip(NEXT) | instid1(VALU_DEP_1)
	v_lshrrev_b32_e32 v4, 16, v4
	v_cndmask_b32_e32 v4, 0x7fc0, v4, vcc_lo
	s_branch .LBB198_2431
.LBB198_2429:
	s_mov_b32 s2, -1
                                        ; implicit-def: $vgpr4
	s_branch .LBB198_2434
.LBB198_2430:
	s_mov_b32 s2, -1
                                        ; implicit-def: $vgpr4
.LBB198_2431:
	s_delay_alu instid0(SALU_CYCLE_1)
	s_and_not1_b32 vcc_lo, exec_lo, s2
	s_cbranch_vccnz .LBB198_2433
; %bb.2432:
	global_load_b32 v3, v[0:1], off
	s_wait_loadcnt 0x0
	s_wait_xcnt 0x1
	v_bfe_u32 v4, v3, 16, 1
	v_cmp_o_f32_e32 vcc_lo, v3, v3
	s_delay_alu instid0(VALU_DEP_2) | instskip(NEXT) | instid1(VALU_DEP_1)
	v_add3_u32 v4, v3, v4, 0x7fff
	v_lshrrev_b32_e32 v4, 16, v4
	s_delay_alu instid0(VALU_DEP_1)
	v_cndmask_b32_e32 v4, 0x7fc0, v4, vcc_lo
.LBB198_2433:
	s_mov_b32 s2, 0
.LBB198_2434:
	s_delay_alu instid0(SALU_CYCLE_1)
	s_and_not1_b32 vcc_lo, exec_lo, s2
	s_cbranch_vccnz .LBB198_2436
; %bb.2435:
	global_load_u16 v3, v[0:1], off
	s_wait_loadcnt 0x0
	s_wait_xcnt 0x1
	v_cvt_f32_f16_e32 v4, v3
	v_cmp_o_f16_e32 vcc_lo, v3, v3
	s_delay_alu instid0(VALU_DEP_2) | instskip(NEXT) | instid1(VALU_DEP_1)
	v_bfe_u32 v5, v4, 16, 1
	v_add3_u32 v4, v4, v5, 0x7fff
	s_delay_alu instid0(VALU_DEP_1) | instskip(NEXT) | instid1(VALU_DEP_1)
	v_lshrrev_b32_e32 v4, 16, v4
	v_cndmask_b32_e32 v4, 0x7fc0, v4, vcc_lo
.LBB198_2436:
	s_mov_b32 s2, 0
.LBB198_2437:
	s_delay_alu instid0(SALU_CYCLE_1)
	s_and_not1_b32 vcc_lo, exec_lo, s2
	s_cbranch_vccnz .LBB198_2457
; %bb.2438:
	s_cmp_lt_i32 s0, 2
	s_cbranch_scc1 .LBB198_2442
; %bb.2439:
	s_cmp_lt_i32 s0, 3
	s_cbranch_scc1 .LBB198_2443
; %bb.2440:
	s_cmp_gt_i32 s0, 3
	s_cbranch_scc0 .LBB198_2444
; %bb.2441:
	s_wait_loadcnt 0x0
	global_load_b64 v[4:5], v[0:1], off
	s_mov_b32 s2, 0
	s_wait_loadcnt 0x0
	v_xor_b32_e32 v3, v4, v5
	v_cls_i32_e32 v13, v5
	s_delay_alu instid0(VALU_DEP_2) | instskip(NEXT) | instid1(VALU_DEP_1)
	v_ashrrev_i32_e32 v3, 31, v3
	v_add_nc_u32_e32 v3, 32, v3
	s_delay_alu instid0(VALU_DEP_1) | instskip(NEXT) | instid1(VALU_DEP_1)
	v_add_min_u32_e64 v3, v13, -1, v3
	v_lshlrev_b64_e32 v[4:5], v3, v[4:5]
	v_sub_nc_u32_e32 v3, 32, v3
	s_delay_alu instid0(VALU_DEP_2) | instskip(NEXT) | instid1(VALU_DEP_1)
	v_min_u32_e32 v4, 1, v4
	v_or_b32_e32 v4, v5, v4
	s_delay_alu instid0(VALU_DEP_1) | instskip(NEXT) | instid1(VALU_DEP_1)
	v_cvt_f32_i32_e32 v4, v4
	v_ldexp_f32 v3, v4, v3
	s_delay_alu instid0(VALU_DEP_1) | instskip(NEXT) | instid1(VALU_DEP_1)
	v_bfe_u32 v4, v3, 16, 1
	v_add3_u32 v3, v3, v4, 0x7fff
	s_delay_alu instid0(VALU_DEP_1)
	v_lshrrev_b32_e32 v4, 16, v3
	s_branch .LBB198_2445
.LBB198_2442:
	s_mov_b32 s2, -1
                                        ; implicit-def: $vgpr4
	s_branch .LBB198_2451
.LBB198_2443:
	s_mov_b32 s2, -1
                                        ; implicit-def: $vgpr4
	s_branch .LBB198_2448
.LBB198_2444:
	s_mov_b32 s2, -1
                                        ; implicit-def: $vgpr4
.LBB198_2445:
	s_delay_alu instid0(SALU_CYCLE_1)
	s_and_not1_b32 vcc_lo, exec_lo, s2
	s_cbranch_vccnz .LBB198_2447
; %bb.2446:
	global_load_b32 v3, v[0:1], off
	s_wait_loadcnt 0x0
	v_cvt_f32_i32_e32 v3, v3
	s_wait_xcnt 0x1
	s_delay_alu instid0(VALU_DEP_1) | instskip(NEXT) | instid1(VALU_DEP_1)
	v_bfe_u32 v4, v3, 16, 1
	v_add3_u32 v3, v3, v4, 0x7fff
	s_delay_alu instid0(VALU_DEP_1)
	v_lshrrev_b32_e32 v4, 16, v3
.LBB198_2447:
	s_mov_b32 s2, 0
.LBB198_2448:
	s_delay_alu instid0(SALU_CYCLE_1)
	s_and_not1_b32 vcc_lo, exec_lo, s2
	s_cbranch_vccnz .LBB198_2450
; %bb.2449:
	global_load_i16 v3, v[0:1], off
	s_wait_loadcnt 0x0
	v_cvt_f32_i32_e32 v3, v3
	s_wait_xcnt 0x1
	s_delay_alu instid0(VALU_DEP_1) | instskip(NEXT) | instid1(VALU_DEP_1)
	v_bfe_u32 v4, v3, 16, 1
	v_add3_u32 v3, v3, v4, 0x7fff
	s_delay_alu instid0(VALU_DEP_1)
	v_lshrrev_b32_e32 v4, 16, v3
.LBB198_2450:
	s_mov_b32 s2, 0
.LBB198_2451:
	s_delay_alu instid0(SALU_CYCLE_1)
	s_and_not1_b32 vcc_lo, exec_lo, s2
	s_cbranch_vccnz .LBB198_2457
; %bb.2452:
	s_cmp_gt_i32 s0, 0
	s_mov_b32 s0, 0
	s_cbranch_scc0 .LBB198_2454
; %bb.2453:
	global_load_i8 v3, v[0:1], off
	s_wait_loadcnt 0x0
	v_cvt_f32_i32_e32 v3, v3
	s_wait_xcnt 0x1
	s_delay_alu instid0(VALU_DEP_1) | instskip(NEXT) | instid1(VALU_DEP_1)
	v_bfe_u32 v4, v3, 16, 1
	v_add3_u32 v3, v3, v4, 0x7fff
	s_delay_alu instid0(VALU_DEP_1)
	v_lshrrev_b32_e32 v4, 16, v3
	s_branch .LBB198_2455
.LBB198_2454:
	s_mov_b32 s0, -1
                                        ; implicit-def: $vgpr4
.LBB198_2455:
	s_delay_alu instid0(SALU_CYCLE_1)
	s_and_not1_b32 vcc_lo, exec_lo, s0
	s_cbranch_vccnz .LBB198_2457
; %bb.2456:
	global_load_u8 v0, v[0:1], off
	s_wait_loadcnt 0x0
	v_cvt_f32_ubyte0_e32 v0, v0
	s_delay_alu instid0(VALU_DEP_1) | instskip(NEXT) | instid1(VALU_DEP_1)
	v_bfe_u32 v1, v0, 16, 1
	v_add3_u32 v0, v0, v1, 0x7fff
	s_delay_alu instid0(VALU_DEP_1)
	v_lshrrev_b32_e32 v4, 16, v0
.LBB198_2457:
	s_mov_b32 s10, -1
.LBB198_2458:
	s_delay_alu instid0(SALU_CYCLE_1)
	s_and_not1_b32 vcc_lo, exec_lo, s10
	s_cbranch_vccnz .LBB198_3022
; %bb.2459:
	s_wait_xcnt 0x0
	v_add_nc_u32_e32 v0, s9, v2
	s_cmp_lt_i32 s1, 11
	s_delay_alu instid0(VALU_DEP_1) | instskip(NEXT) | instid1(VALU_DEP_1)
	v_ashrrev_i32_e32 v1, 31, v0
	v_add_nc_u64_e32 v[0:1], s[12:13], v[0:1]
	s_cbranch_scc1 .LBB198_2466
; %bb.2460:
	s_and_b32 s0, 0xffff, s1
	s_mov_b32 s6, 0
	s_cmp_gt_i32 s0, 25
	s_cbranch_scc0 .LBB198_2467
; %bb.2461:
	s_cmp_gt_i32 s0, 28
	s_cbranch_scc0 .LBB198_2468
; %bb.2462:
	;; [unrolled: 3-line block ×4, first 2 shown]
	s_cmp_eq_u32 s0, 46
	s_mov_b32 s9, 0
	s_cbranch_scc0 .LBB198_2472
; %bb.2465:
	global_load_b32 v5, v[0:1], off
	s_mov_b32 s2, 0
	s_mov_b32 s7, -1
	s_branch .LBB198_2474
.LBB198_2466:
	s_mov_b32 s0, -1
	s_mov_b32 s7, 0
                                        ; implicit-def: $vgpr5
	s_branch .LBB198_2540
.LBB198_2467:
	s_mov_b32 s9, -1
	s_mov_b32 s7, 0
	s_mov_b32 s2, 0
                                        ; implicit-def: $vgpr5
	s_branch .LBB198_2503
.LBB198_2468:
	s_mov_b32 s9, -1
	s_mov_b32 s7, 0
	s_mov_b32 s2, 0
                                        ; implicit-def: $vgpr5
	s_branch .LBB198_2484
.LBB198_2469:
	s_mov_b32 s9, -1
	s_mov_b32 s7, 0
	s_mov_b32 s2, 0
                                        ; implicit-def: $vgpr5
	s_branch .LBB198_2479
.LBB198_2470:
	s_or_b32 s15, s15, exec_lo
	s_trap 2
	s_cbranch_execz .LBB198_2407
	s_branch .LBB198_2408
.LBB198_2471:
	s_mov_b32 s9, -1
	s_mov_b32 s7, 0
	s_mov_b32 s2, 0
	s_branch .LBB198_2473
.LBB198_2472:
	s_mov_b32 s2, -1
	s_mov_b32 s7, 0
.LBB198_2473:
                                        ; implicit-def: $vgpr5
.LBB198_2474:
	s_and_b32 vcc_lo, exec_lo, s9
	s_cbranch_vccz .LBB198_2478
; %bb.2475:
	s_cmp_eq_u32 s0, 44
	s_cbranch_scc0 .LBB198_2477
; %bb.2476:
	global_load_u8 v2, v[0:1], off
	s_mov_b32 s2, 0
	s_mov_b32 s7, -1
	s_wait_loadcnt 0x0
	v_lshlrev_b32_e32 v3, 23, v2
	v_cmp_ne_u32_e32 vcc_lo, 0xff, v2
	s_delay_alu instid0(VALU_DEP_2) | instskip(SKIP_1) | instid1(VALU_DEP_2)
	v_cndmask_b32_e32 v3, 0x7f800001, v3, vcc_lo
	v_cmp_ne_u32_e32 vcc_lo, 0, v2
	v_cndmask_b32_e32 v2, 0x400000, v3, vcc_lo
	s_delay_alu instid0(VALU_DEP_1) | instskip(NEXT) | instid1(VALU_DEP_1)
	v_add_nc_u32_e32 v3, 0x7fff, v2
	v_lshrrev_b32_e32 v3, 16, v3
	v_cmp_o_f32_e32 vcc_lo, v2, v2
	s_delay_alu instid0(VALU_DEP_2)
	v_cndmask_b32_e32 v5, 0x7fc0, v3, vcc_lo
	s_branch .LBB198_2478
.LBB198_2477:
	s_mov_b32 s2, -1
                                        ; implicit-def: $vgpr5
.LBB198_2478:
	s_mov_b32 s9, 0
.LBB198_2479:
	s_delay_alu instid0(SALU_CYCLE_1)
	s_and_b32 vcc_lo, exec_lo, s9
	s_cbranch_vccz .LBB198_2483
; %bb.2480:
	s_cmp_eq_u32 s0, 29
	s_cbranch_scc0 .LBB198_2482
; %bb.2481:
	global_load_b64 v[2:3], v[0:1], off
	s_mov_b32 s2, 0
	s_mov_b32 s7, -1
	s_mov_b32 s9, 0
	s_wait_loadcnt 0x0
	v_clz_i32_u32_e32 v5, v3
	s_delay_alu instid0(VALU_DEP_1) | instskip(NEXT) | instid1(VALU_DEP_1)
	v_min_u32_e32 v5, 32, v5
	v_lshlrev_b64_e32 v[2:3], v5, v[2:3]
	s_delay_alu instid0(VALU_DEP_1) | instskip(NEXT) | instid1(VALU_DEP_1)
	v_min_u32_e32 v2, 1, v2
	v_dual_sub_nc_u32 v3, 32, v5 :: v_dual_bitop2_b32 v2, v3, v2 bitop3:0x54
	s_delay_alu instid0(VALU_DEP_1) | instskip(NEXT) | instid1(VALU_DEP_1)
	v_cvt_f32_u32_e32 v2, v2
	v_ldexp_f32 v2, v2, v3
	s_delay_alu instid0(VALU_DEP_1) | instskip(NEXT) | instid1(VALU_DEP_1)
	v_bfe_u32 v3, v2, 16, 1
	v_add3_u32 v2, v2, v3, 0x7fff
	s_delay_alu instid0(VALU_DEP_1)
	v_lshrrev_b32_e32 v5, 16, v2
	s_branch .LBB198_2484
.LBB198_2482:
	s_mov_b32 s2, -1
                                        ; implicit-def: $vgpr5
.LBB198_2483:
	s_mov_b32 s9, 0
.LBB198_2484:
	s_delay_alu instid0(SALU_CYCLE_1)
	s_and_b32 vcc_lo, exec_lo, s9
	s_cbranch_vccz .LBB198_2502
; %bb.2485:
	s_cmp_lt_i32 s0, 27
	s_cbranch_scc1 .LBB198_2488
; %bb.2486:
	s_cmp_gt_i32 s0, 27
	s_cbranch_scc0 .LBB198_2489
; %bb.2487:
	global_load_b32 v2, v[0:1], off
	s_mov_b32 s7, 0
	s_wait_loadcnt 0x0
	v_cvt_f32_u32_e32 v2, v2
	s_delay_alu instid0(VALU_DEP_1) | instskip(NEXT) | instid1(VALU_DEP_1)
	v_bfe_u32 v3, v2, 16, 1
	v_add3_u32 v2, v2, v3, 0x7fff
	s_delay_alu instid0(VALU_DEP_1)
	v_lshrrev_b32_e32 v5, 16, v2
	s_branch .LBB198_2490
.LBB198_2488:
	s_mov_b32 s7, -1
                                        ; implicit-def: $vgpr5
	s_branch .LBB198_2493
.LBB198_2489:
	s_mov_b32 s7, -1
                                        ; implicit-def: $vgpr5
.LBB198_2490:
	s_delay_alu instid0(SALU_CYCLE_1)
	s_and_not1_b32 vcc_lo, exec_lo, s7
	s_cbranch_vccnz .LBB198_2492
; %bb.2491:
	global_load_u16 v2, v[0:1], off
	s_wait_loadcnt 0x0
	v_cvt_f32_u32_e32 v2, v2
	s_delay_alu instid0(VALU_DEP_1) | instskip(NEXT) | instid1(VALU_DEP_1)
	v_bfe_u32 v3, v2, 16, 1
	v_add3_u32 v2, v2, v3, 0x7fff
	s_delay_alu instid0(VALU_DEP_1)
	v_lshrrev_b32_e32 v5, 16, v2
.LBB198_2492:
	s_mov_b32 s7, 0
.LBB198_2493:
	s_delay_alu instid0(SALU_CYCLE_1)
	s_and_not1_b32 vcc_lo, exec_lo, s7
	s_cbranch_vccnz .LBB198_2501
; %bb.2494:
	global_load_u8 v2, v[0:1], off
	s_mov_b32 s7, 0
	s_mov_b32 s9, exec_lo
	s_wait_loadcnt 0x0
	v_cmpx_lt_i16_e32 0x7f, v2
	s_xor_b32 s9, exec_lo, s9
	s_cbranch_execz .LBB198_2515
; %bb.2495:
	s_mov_b32 s7, -1
	s_mov_b32 s10, exec_lo
	v_cmpx_eq_u16_e32 0x80, v2
; %bb.2496:
	s_xor_b32 s7, exec_lo, -1
; %bb.2497:
	s_or_b32 exec_lo, exec_lo, s10
	s_delay_alu instid0(SALU_CYCLE_1)
	s_and_b32 s7, s7, exec_lo
	s_or_saveexec_b32 s9, s9
	v_mov_b32_e32 v3, 0x7f800001
	s_xor_b32 exec_lo, exec_lo, s9
	s_cbranch_execnz .LBB198_2516
.LBB198_2498:
	s_or_b32 exec_lo, exec_lo, s9
	s_and_saveexec_b32 s9, s7
	s_cbranch_execz .LBB198_2500
.LBB198_2499:
	v_and_b32_e32 v3, 0xffff, v2
	s_delay_alu instid0(VALU_DEP_1) | instskip(SKIP_1) | instid1(VALU_DEP_2)
	v_and_b32_e32 v5, 7, v3
	v_bfe_u32 v15, v3, 3, 4
	v_clz_i32_u32_e32 v13, v5
	s_delay_alu instid0(VALU_DEP_2) | instskip(NEXT) | instid1(VALU_DEP_2)
	v_cmp_eq_u32_e32 vcc_lo, 0, v15
	v_min_u32_e32 v13, 32, v13
	s_delay_alu instid0(VALU_DEP_1) | instskip(NEXT) | instid1(VALU_DEP_1)
	v_subrev_nc_u32_e32 v14, 28, v13
	v_dual_lshlrev_b32 v3, v14, v3 :: v_dual_sub_nc_u32 v13, 29, v13
	s_delay_alu instid0(VALU_DEP_1) | instskip(NEXT) | instid1(VALU_DEP_1)
	v_dual_lshlrev_b32 v2, 24, v2 :: v_dual_bitop2_b32 v3, 7, v3 bitop3:0x40
	v_dual_cndmask_b32 v13, v15, v13, vcc_lo :: v_dual_cndmask_b32 v3, v5, v3, vcc_lo
	s_delay_alu instid0(VALU_DEP_2) | instskip(NEXT) | instid1(VALU_DEP_2)
	v_and_b32_e32 v2, 0x80000000, v2
	v_lshl_add_u32 v5, v13, 23, 0x3b800000
	s_delay_alu instid0(VALU_DEP_3) | instskip(NEXT) | instid1(VALU_DEP_1)
	v_lshlrev_b32_e32 v3, 20, v3
	v_or3_b32 v3, v2, v5, v3
.LBB198_2500:
	s_or_b32 exec_lo, exec_lo, s9
	s_delay_alu instid0(VALU_DEP_1) | instskip(SKIP_1) | instid1(VALU_DEP_2)
	v_bfe_u32 v2, v3, 16, 1
	v_cmp_o_f32_e32 vcc_lo, v3, v3
	v_add3_u32 v2, v3, v2, 0x7fff
	s_delay_alu instid0(VALU_DEP_1) | instskip(NEXT) | instid1(VALU_DEP_1)
	v_lshrrev_b32_e32 v2, 16, v2
	v_cndmask_b32_e32 v5, 0x7fc0, v2, vcc_lo
.LBB198_2501:
	s_mov_b32 s7, -1
.LBB198_2502:
	s_mov_b32 s9, 0
.LBB198_2503:
	s_delay_alu instid0(SALU_CYCLE_1)
	s_and_b32 vcc_lo, exec_lo, s9
	s_cbranch_vccz .LBB198_2536
; %bb.2504:
	s_cmp_gt_i32 s0, 22
	s_cbranch_scc0 .LBB198_2514
; %bb.2505:
	s_cmp_lt_i32 s0, 24
	s_cbranch_scc1 .LBB198_2517
; %bb.2506:
	s_cmp_gt_i32 s0, 24
	s_cbranch_scc0 .LBB198_2518
; %bb.2507:
	global_load_u8 v2, v[0:1], off
	s_mov_b32 s7, exec_lo
	s_wait_loadcnt 0x0
	v_cmpx_lt_i16_e32 0x7f, v2
	s_xor_b32 s7, exec_lo, s7
	s_cbranch_execz .LBB198_2530
; %bb.2508:
	s_mov_b32 s6, -1
	s_mov_b32 s9, exec_lo
	v_cmpx_eq_u16_e32 0x80, v2
; %bb.2509:
	s_xor_b32 s6, exec_lo, -1
; %bb.2510:
	s_or_b32 exec_lo, exec_lo, s9
	s_delay_alu instid0(SALU_CYCLE_1)
	s_and_b32 s6, s6, exec_lo
	s_or_saveexec_b32 s7, s7
	v_mov_b32_e32 v3, 0x7f800001
	s_xor_b32 exec_lo, exec_lo, s7
	s_cbranch_execnz .LBB198_2531
.LBB198_2511:
	s_or_b32 exec_lo, exec_lo, s7
	s_and_saveexec_b32 s7, s6
	s_cbranch_execz .LBB198_2513
.LBB198_2512:
	v_and_b32_e32 v3, 0xffff, v2
	s_delay_alu instid0(VALU_DEP_1) | instskip(SKIP_1) | instid1(VALU_DEP_2)
	v_and_b32_e32 v5, 3, v3
	v_bfe_u32 v15, v3, 2, 5
	v_clz_i32_u32_e32 v13, v5
	s_delay_alu instid0(VALU_DEP_2) | instskip(NEXT) | instid1(VALU_DEP_2)
	v_cmp_eq_u32_e32 vcc_lo, 0, v15
	v_min_u32_e32 v13, 32, v13
	s_delay_alu instid0(VALU_DEP_1) | instskip(NEXT) | instid1(VALU_DEP_1)
	v_subrev_nc_u32_e32 v14, 29, v13
	v_dual_lshlrev_b32 v3, v14, v3 :: v_dual_sub_nc_u32 v13, 30, v13
	s_delay_alu instid0(VALU_DEP_1) | instskip(NEXT) | instid1(VALU_DEP_1)
	v_dual_lshlrev_b32 v2, 24, v2 :: v_dual_bitop2_b32 v3, 3, v3 bitop3:0x40
	v_dual_cndmask_b32 v13, v15, v13, vcc_lo :: v_dual_cndmask_b32 v3, v5, v3, vcc_lo
	s_delay_alu instid0(VALU_DEP_2) | instskip(NEXT) | instid1(VALU_DEP_2)
	v_and_b32_e32 v2, 0x80000000, v2
	v_lshl_add_u32 v5, v13, 23, 0x37800000
	s_delay_alu instid0(VALU_DEP_3) | instskip(NEXT) | instid1(VALU_DEP_1)
	v_lshlrev_b32_e32 v3, 21, v3
	v_or3_b32 v3, v2, v5, v3
.LBB198_2513:
	s_or_b32 exec_lo, exec_lo, s7
	s_delay_alu instid0(VALU_DEP_1) | instskip(SKIP_2) | instid1(VALU_DEP_2)
	v_bfe_u32 v2, v3, 16, 1
	v_cmp_o_f32_e32 vcc_lo, v3, v3
	s_mov_b32 s6, 0
	v_add3_u32 v2, v3, v2, 0x7fff
	s_delay_alu instid0(VALU_DEP_1) | instskip(NEXT) | instid1(VALU_DEP_1)
	v_lshrrev_b32_e32 v2, 16, v2
	v_cndmask_b32_e32 v5, 0x7fc0, v2, vcc_lo
	s_branch .LBB198_2519
.LBB198_2514:
	s_mov_b32 s6, -1
                                        ; implicit-def: $vgpr5
	s_branch .LBB198_2525
.LBB198_2515:
	s_or_saveexec_b32 s9, s9
	v_mov_b32_e32 v3, 0x7f800001
	s_xor_b32 exec_lo, exec_lo, s9
	s_cbranch_execz .LBB198_2498
.LBB198_2516:
	v_cmp_ne_u16_e32 vcc_lo, 0, v2
	v_mov_b32_e32 v3, 0
	s_and_not1_b32 s7, s7, exec_lo
	s_and_b32 s10, vcc_lo, exec_lo
	s_delay_alu instid0(SALU_CYCLE_1)
	s_or_b32 s7, s7, s10
	s_or_b32 exec_lo, exec_lo, s9
	s_and_saveexec_b32 s9, s7
	s_cbranch_execnz .LBB198_2499
	s_branch .LBB198_2500
.LBB198_2517:
	s_mov_b32 s6, -1
                                        ; implicit-def: $vgpr5
	s_branch .LBB198_2522
.LBB198_2518:
	s_mov_b32 s6, -1
                                        ; implicit-def: $vgpr5
.LBB198_2519:
	s_delay_alu instid0(SALU_CYCLE_1)
	s_and_b32 vcc_lo, exec_lo, s6
	s_cbranch_vccz .LBB198_2521
; %bb.2520:
	global_load_u8 v2, v[0:1], off
	s_wait_loadcnt 0x0
	v_lshlrev_b32_e32 v2, 24, v2
	s_delay_alu instid0(VALU_DEP_1) | instskip(NEXT) | instid1(VALU_DEP_1)
	v_and_b32_e32 v3, 0x7f000000, v2
	v_clz_i32_u32_e32 v5, v3
	v_cmp_ne_u32_e32 vcc_lo, 0, v3
	v_add_nc_u32_e32 v14, 0x1000000, v3
	s_delay_alu instid0(VALU_DEP_3) | instskip(NEXT) | instid1(VALU_DEP_1)
	v_min_u32_e32 v5, 32, v5
	v_sub_nc_u32_e64 v5, v5, 4 clamp
	s_delay_alu instid0(VALU_DEP_1) | instskip(NEXT) | instid1(VALU_DEP_1)
	v_dual_lshlrev_b32 v13, v5, v3 :: v_dual_lshlrev_b32 v5, 23, v5
	v_lshrrev_b32_e32 v13, 4, v13
	s_delay_alu instid0(VALU_DEP_1) | instskip(NEXT) | instid1(VALU_DEP_1)
	v_dual_sub_nc_u32 v5, v13, v5 :: v_dual_ashrrev_i32 v13, 8, v14
	v_add_nc_u32_e32 v5, 0x3c000000, v5
	s_delay_alu instid0(VALU_DEP_1) | instskip(NEXT) | instid1(VALU_DEP_1)
	v_and_or_b32 v5, 0x7f800000, v13, v5
	v_cndmask_b32_e32 v3, 0, v5, vcc_lo
	s_delay_alu instid0(VALU_DEP_1) | instskip(SKIP_1) | instid1(VALU_DEP_2)
	v_and_or_b32 v2, 0x80000000, v2, v3
	v_bfe_u32 v3, v3, 16, 1
	v_cmp_o_f32_e32 vcc_lo, v2, v2
	s_delay_alu instid0(VALU_DEP_2) | instskip(NEXT) | instid1(VALU_DEP_1)
	v_add3_u32 v3, v2, v3, 0x7fff
	v_lshrrev_b32_e32 v3, 16, v3
	s_delay_alu instid0(VALU_DEP_1)
	v_cndmask_b32_e32 v5, 0x7fc0, v3, vcc_lo
.LBB198_2521:
	s_mov_b32 s6, 0
.LBB198_2522:
	s_delay_alu instid0(SALU_CYCLE_1)
	s_and_not1_b32 vcc_lo, exec_lo, s6
	s_cbranch_vccnz .LBB198_2524
; %bb.2523:
	global_load_u8 v2, v[0:1], off
	s_wait_loadcnt 0x0
	v_lshlrev_b32_e32 v3, 25, v2
	v_lshlrev_b16 v2, 8, v2
	s_delay_alu instid0(VALU_DEP_1) | instskip(SKIP_1) | instid1(VALU_DEP_2)
	v_and_or_b32 v13, 0x7f00, v2, 0.5
	v_bfe_i32 v2, v2, 0, 16
	v_dual_add_f32 v13, -0.5, v13 :: v_dual_lshrrev_b32 v5, 4, v3
	v_cmp_gt_u32_e32 vcc_lo, 0x8000000, v3
	s_delay_alu instid0(VALU_DEP_2) | instskip(NEXT) | instid1(VALU_DEP_1)
	v_or_b32_e32 v5, 0x70000000, v5
	v_mul_f32_e32 v5, 0x7800000, v5
	s_delay_alu instid0(VALU_DEP_1) | instskip(NEXT) | instid1(VALU_DEP_1)
	v_cndmask_b32_e32 v3, v5, v13, vcc_lo
	v_and_or_b32 v2, 0x80000000, v2, v3
	v_bfe_u32 v3, v3, 16, 1
	s_delay_alu instid0(VALU_DEP_2) | instskip(NEXT) | instid1(VALU_DEP_2)
	v_cmp_o_f32_e32 vcc_lo, v2, v2
	v_add3_u32 v3, v2, v3, 0x7fff
	s_delay_alu instid0(VALU_DEP_1) | instskip(NEXT) | instid1(VALU_DEP_1)
	v_lshrrev_b32_e32 v3, 16, v3
	v_cndmask_b32_e32 v5, 0x7fc0, v3, vcc_lo
.LBB198_2524:
	s_mov_b32 s6, 0
	s_mov_b32 s7, -1
.LBB198_2525:
	s_and_not1_b32 vcc_lo, exec_lo, s6
	s_mov_b32 s6, 0
	s_cbranch_vccnz .LBB198_2536
; %bb.2526:
	s_cmp_gt_i32 s0, 14
	s_cbranch_scc0 .LBB198_2529
; %bb.2527:
	s_cmp_eq_u32 s0, 15
	s_cbranch_scc0 .LBB198_2532
; %bb.2528:
	s_wait_loadcnt 0x0
	global_load_u16 v5, v[0:1], off
	s_mov_b32 s2, 0
	s_mov_b32 s7, -1
	s_branch .LBB198_2534
.LBB198_2529:
	s_mov_b32 s6, -1
	s_branch .LBB198_2533
.LBB198_2530:
	s_or_saveexec_b32 s7, s7
	v_mov_b32_e32 v3, 0x7f800001
	s_xor_b32 exec_lo, exec_lo, s7
	s_cbranch_execz .LBB198_2511
.LBB198_2531:
	v_cmp_ne_u16_e32 vcc_lo, 0, v2
	v_mov_b32_e32 v3, 0
	s_and_not1_b32 s6, s6, exec_lo
	s_and_b32 s9, vcc_lo, exec_lo
	s_delay_alu instid0(SALU_CYCLE_1)
	s_or_b32 s6, s6, s9
	s_or_b32 exec_lo, exec_lo, s7
	s_and_saveexec_b32 s7, s6
	s_cbranch_execnz .LBB198_2512
	s_branch .LBB198_2513
.LBB198_2532:
	s_mov_b32 s2, -1
.LBB198_2533:
                                        ; implicit-def: $vgpr5
.LBB198_2534:
	s_and_b32 vcc_lo, exec_lo, s6
	s_mov_b32 s6, 0
	s_cbranch_vccz .LBB198_2536
; %bb.2535:
	s_cmp_lg_u32 s0, 11
	s_mov_b32 s6, -1
	s_cselect_b32 s2, -1, 0
.LBB198_2536:
	s_delay_alu instid0(SALU_CYCLE_1)
	s_and_b32 vcc_lo, exec_lo, s2
	s_cbranch_vccnz .LBB198_3068
; %bb.2537:
	s_and_not1_b32 vcc_lo, exec_lo, s6
	s_cbranch_vccnz .LBB198_2539
.LBB198_2538:
	global_load_u8 v2, v[0:1], off
	s_mov_b32 s7, -1
	s_wait_loadcnt 0x0
	v_cmp_ne_u16_e32 vcc_lo, 0, v2
	v_cndmask_b32_e64 v2, 0, 1.0, vcc_lo
	s_delay_alu instid0(VALU_DEP_1)
	v_lshrrev_b32_e32 v5, 16, v2
.LBB198_2539:
	s_mov_b32 s0, 0
.LBB198_2540:
	s_delay_alu instid0(SALU_CYCLE_1)
	s_and_b32 vcc_lo, exec_lo, s0
	s_cbranch_vccz .LBB198_2589
; %bb.2541:
	s_and_b32 s0, 0xffff, s1
	s_delay_alu instid0(SALU_CYCLE_1)
	s_cmp_lt_i32 s0, 5
	s_cbranch_scc1 .LBB198_2546
; %bb.2542:
	s_cmp_lt_i32 s0, 8
	s_cbranch_scc1 .LBB198_2547
; %bb.2543:
	;; [unrolled: 3-line block ×3, first 2 shown]
	s_cmp_gt_i32 s0, 9
	s_cbranch_scc0 .LBB198_2549
; %bb.2545:
	global_load_b64 v[2:3], v[0:1], off
	s_mov_b32 s1, 0
	s_wait_loadcnt 0x0
	v_cvt_f32_f64_e32 v2, v[2:3]
	s_delay_alu instid0(VALU_DEP_1) | instskip(SKIP_1) | instid1(VALU_DEP_2)
	v_bfe_u32 v3, v2, 16, 1
	v_cmp_o_f32_e32 vcc_lo, v2, v2
	v_add3_u32 v3, v2, v3, 0x7fff
	s_delay_alu instid0(VALU_DEP_1) | instskip(NEXT) | instid1(VALU_DEP_1)
	v_lshrrev_b32_e32 v3, 16, v3
	v_cndmask_b32_e32 v5, 0x7fc0, v3, vcc_lo
	s_branch .LBB198_2550
.LBB198_2546:
	s_mov_b32 s1, -1
                                        ; implicit-def: $vgpr5
	s_branch .LBB198_2568
.LBB198_2547:
	s_mov_b32 s1, -1
                                        ; implicit-def: $vgpr5
	s_branch .LBB198_2556
.LBB198_2548:
	s_mov_b32 s1, -1
                                        ; implicit-def: $vgpr5
	s_branch .LBB198_2553
.LBB198_2549:
	s_mov_b32 s1, -1
                                        ; implicit-def: $vgpr5
.LBB198_2550:
	s_delay_alu instid0(SALU_CYCLE_1)
	s_and_not1_b32 vcc_lo, exec_lo, s1
	s_cbranch_vccnz .LBB198_2552
; %bb.2551:
	global_load_b32 v2, v[0:1], off
	s_wait_loadcnt 0x0
	v_bfe_u32 v3, v2, 16, 1
	v_cmp_o_f32_e32 vcc_lo, v2, v2
	s_delay_alu instid0(VALU_DEP_2) | instskip(NEXT) | instid1(VALU_DEP_1)
	v_add3_u32 v3, v2, v3, 0x7fff
	v_lshrrev_b32_e32 v3, 16, v3
	s_delay_alu instid0(VALU_DEP_1)
	v_cndmask_b32_e32 v5, 0x7fc0, v3, vcc_lo
.LBB198_2552:
	s_mov_b32 s1, 0
.LBB198_2553:
	s_delay_alu instid0(SALU_CYCLE_1)
	s_and_not1_b32 vcc_lo, exec_lo, s1
	s_cbranch_vccnz .LBB198_2555
; %bb.2554:
	global_load_b32 v2, v[0:1], off
	s_wait_loadcnt 0x0
	v_cvt_f32_f16_e32 v3, v2
	v_cmp_o_f16_e32 vcc_lo, v2, v2
	s_delay_alu instid0(VALU_DEP_2) | instskip(NEXT) | instid1(VALU_DEP_1)
	v_bfe_u32 v5, v3, 16, 1
	v_add3_u32 v3, v3, v5, 0x7fff
	s_delay_alu instid0(VALU_DEP_1) | instskip(NEXT) | instid1(VALU_DEP_1)
	v_lshrrev_b32_e32 v3, 16, v3
	v_cndmask_b32_e32 v5, 0x7fc0, v3, vcc_lo
.LBB198_2555:
	s_mov_b32 s1, 0
.LBB198_2556:
	s_delay_alu instid0(SALU_CYCLE_1)
	s_and_not1_b32 vcc_lo, exec_lo, s1
	s_cbranch_vccnz .LBB198_2567
; %bb.2557:
	s_cmp_lt_i32 s0, 6
	s_cbranch_scc1 .LBB198_2560
; %bb.2558:
	s_cmp_gt_i32 s0, 6
	s_cbranch_scc0 .LBB198_2561
; %bb.2559:
	global_load_b64 v[2:3], v[0:1], off
	s_mov_b32 s1, 0
	s_wait_loadcnt 0x0
	v_cvt_f32_f64_e32 v2, v[2:3]
	s_delay_alu instid0(VALU_DEP_1) | instskip(SKIP_1) | instid1(VALU_DEP_2)
	v_bfe_u32 v3, v2, 16, 1
	v_cmp_o_f32_e32 vcc_lo, v2, v2
	v_add3_u32 v3, v2, v3, 0x7fff
	s_delay_alu instid0(VALU_DEP_1) | instskip(NEXT) | instid1(VALU_DEP_1)
	v_lshrrev_b32_e32 v3, 16, v3
	v_cndmask_b32_e32 v5, 0x7fc0, v3, vcc_lo
	s_branch .LBB198_2562
.LBB198_2560:
	s_mov_b32 s1, -1
                                        ; implicit-def: $vgpr5
	s_branch .LBB198_2565
.LBB198_2561:
	s_mov_b32 s1, -1
                                        ; implicit-def: $vgpr5
.LBB198_2562:
	s_delay_alu instid0(SALU_CYCLE_1)
	s_and_not1_b32 vcc_lo, exec_lo, s1
	s_cbranch_vccnz .LBB198_2564
; %bb.2563:
	global_load_b32 v2, v[0:1], off
	s_wait_loadcnt 0x0
	v_bfe_u32 v3, v2, 16, 1
	v_cmp_o_f32_e32 vcc_lo, v2, v2
	s_delay_alu instid0(VALU_DEP_2) | instskip(NEXT) | instid1(VALU_DEP_1)
	v_add3_u32 v3, v2, v3, 0x7fff
	v_lshrrev_b32_e32 v3, 16, v3
	s_delay_alu instid0(VALU_DEP_1)
	v_cndmask_b32_e32 v5, 0x7fc0, v3, vcc_lo
.LBB198_2564:
	s_mov_b32 s1, 0
.LBB198_2565:
	s_delay_alu instid0(SALU_CYCLE_1)
	s_and_not1_b32 vcc_lo, exec_lo, s1
	s_cbranch_vccnz .LBB198_2567
; %bb.2566:
	global_load_u16 v2, v[0:1], off
	s_wait_loadcnt 0x0
	v_cvt_f32_f16_e32 v3, v2
	v_cmp_o_f16_e32 vcc_lo, v2, v2
	s_delay_alu instid0(VALU_DEP_2) | instskip(NEXT) | instid1(VALU_DEP_1)
	v_bfe_u32 v5, v3, 16, 1
	v_add3_u32 v3, v3, v5, 0x7fff
	s_delay_alu instid0(VALU_DEP_1) | instskip(NEXT) | instid1(VALU_DEP_1)
	v_lshrrev_b32_e32 v3, 16, v3
	v_cndmask_b32_e32 v5, 0x7fc0, v3, vcc_lo
.LBB198_2567:
	s_mov_b32 s1, 0
.LBB198_2568:
	s_delay_alu instid0(SALU_CYCLE_1)
	s_and_not1_b32 vcc_lo, exec_lo, s1
	s_cbranch_vccnz .LBB198_2588
; %bb.2569:
	s_cmp_lt_i32 s0, 2
	s_cbranch_scc1 .LBB198_2573
; %bb.2570:
	s_cmp_lt_i32 s0, 3
	s_cbranch_scc1 .LBB198_2574
; %bb.2571:
	s_cmp_gt_i32 s0, 3
	s_cbranch_scc0 .LBB198_2575
; %bb.2572:
	global_load_b64 v[2:3], v[0:1], off
	s_mov_b32 s1, 0
	s_wait_loadcnt 0x0
	v_xor_b32_e32 v5, v2, v3
	v_cls_i32_e32 v13, v3
	s_delay_alu instid0(VALU_DEP_2) | instskip(NEXT) | instid1(VALU_DEP_1)
	v_ashrrev_i32_e32 v5, 31, v5
	v_add_nc_u32_e32 v5, 32, v5
	s_delay_alu instid0(VALU_DEP_1) | instskip(NEXT) | instid1(VALU_DEP_1)
	v_add_min_u32_e64 v5, v13, -1, v5
	v_lshlrev_b64_e32 v[2:3], v5, v[2:3]
	s_delay_alu instid0(VALU_DEP_1) | instskip(NEXT) | instid1(VALU_DEP_1)
	v_min_u32_e32 v2, 1, v2
	v_dual_sub_nc_u32 v3, 32, v5 :: v_dual_bitop2_b32 v2, v3, v2 bitop3:0x54
	s_delay_alu instid0(VALU_DEP_1) | instskip(NEXT) | instid1(VALU_DEP_1)
	v_cvt_f32_i32_e32 v2, v2
	v_ldexp_f32 v2, v2, v3
	s_delay_alu instid0(VALU_DEP_1) | instskip(NEXT) | instid1(VALU_DEP_1)
	v_bfe_u32 v3, v2, 16, 1
	v_add3_u32 v2, v2, v3, 0x7fff
	s_delay_alu instid0(VALU_DEP_1)
	v_lshrrev_b32_e32 v5, 16, v2
	s_branch .LBB198_2576
.LBB198_2573:
	s_mov_b32 s1, -1
                                        ; implicit-def: $vgpr5
	s_branch .LBB198_2582
.LBB198_2574:
	s_mov_b32 s1, -1
                                        ; implicit-def: $vgpr5
	s_branch .LBB198_2579
.LBB198_2575:
	s_mov_b32 s1, -1
                                        ; implicit-def: $vgpr5
.LBB198_2576:
	s_delay_alu instid0(SALU_CYCLE_1)
	s_and_not1_b32 vcc_lo, exec_lo, s1
	s_cbranch_vccnz .LBB198_2578
; %bb.2577:
	global_load_b32 v2, v[0:1], off
	s_wait_loadcnt 0x0
	v_cvt_f32_i32_e32 v2, v2
	s_delay_alu instid0(VALU_DEP_1) | instskip(NEXT) | instid1(VALU_DEP_1)
	v_bfe_u32 v3, v2, 16, 1
	v_add3_u32 v2, v2, v3, 0x7fff
	s_delay_alu instid0(VALU_DEP_1)
	v_lshrrev_b32_e32 v5, 16, v2
.LBB198_2578:
	s_mov_b32 s1, 0
.LBB198_2579:
	s_delay_alu instid0(SALU_CYCLE_1)
	s_and_not1_b32 vcc_lo, exec_lo, s1
	s_cbranch_vccnz .LBB198_2581
; %bb.2580:
	global_load_i16 v2, v[0:1], off
	s_wait_loadcnt 0x0
	v_cvt_f32_i32_e32 v2, v2
	s_delay_alu instid0(VALU_DEP_1) | instskip(NEXT) | instid1(VALU_DEP_1)
	v_bfe_u32 v3, v2, 16, 1
	v_add3_u32 v2, v2, v3, 0x7fff
	s_delay_alu instid0(VALU_DEP_1)
	v_lshrrev_b32_e32 v5, 16, v2
.LBB198_2581:
	s_mov_b32 s1, 0
.LBB198_2582:
	s_delay_alu instid0(SALU_CYCLE_1)
	s_and_not1_b32 vcc_lo, exec_lo, s1
	s_cbranch_vccnz .LBB198_2588
; %bb.2583:
	s_cmp_gt_i32 s0, 0
	s_mov_b32 s0, 0
	s_cbranch_scc0 .LBB198_2585
; %bb.2584:
	global_load_i8 v2, v[0:1], off
	s_wait_loadcnt 0x0
	v_cvt_f32_i32_e32 v2, v2
	s_delay_alu instid0(VALU_DEP_1) | instskip(NEXT) | instid1(VALU_DEP_1)
	v_bfe_u32 v3, v2, 16, 1
	v_add3_u32 v2, v2, v3, 0x7fff
	s_delay_alu instid0(VALU_DEP_1)
	v_lshrrev_b32_e32 v5, 16, v2
	s_branch .LBB198_2586
.LBB198_2585:
	s_mov_b32 s0, -1
                                        ; implicit-def: $vgpr5
.LBB198_2586:
	s_delay_alu instid0(SALU_CYCLE_1)
	s_and_not1_b32 vcc_lo, exec_lo, s0
	s_cbranch_vccnz .LBB198_2588
; %bb.2587:
	global_load_u8 v0, v[0:1], off
	s_wait_loadcnt 0x0
	v_cvt_f32_ubyte0_e32 v0, v0
	s_delay_alu instid0(VALU_DEP_1) | instskip(NEXT) | instid1(VALU_DEP_1)
	v_bfe_u32 v1, v0, 16, 1
	v_add3_u32 v0, v0, v1, 0x7fff
	s_delay_alu instid0(VALU_DEP_1)
	v_lshrrev_b32_e32 v5, 16, v0
.LBB198_2588:
	s_mov_b32 s7, -1
.LBB198_2589:
	s_delay_alu instid0(SALU_CYCLE_1)
	s_and_not1_b32 vcc_lo, exec_lo, s7
	s_cbranch_vccnz .LBB198_3022
; %bb.2590:
	s_wait_loadcnt 0x0
	v_dual_lshlrev_b32 v1, 16, v8 :: v_dual_lshlrev_b32 v2, 16, v7
	v_mul_lo_u32 v0, s8, v6
	s_cmp_eq_u32 s11, 0
	s_mov_b32 s7, 0
	s_cselect_b32 s0, -1, 0
	v_cmp_eq_f32_e32 vcc_lo, v2, v1
	s_and_b32 s19, s3, 0xff
	s_mov_b32 s2, -1
	s_cmp_lt_i32 s19, 11
	v_cndmask_b32_e64 v3, 0, 1, vcc_lo
	v_cmp_neq_f32_e32 vcc_lo, v2, v1
	v_cndmask_b32_e64 v1, 0, 1, vcc_lo
	s_delay_alu instid0(VALU_DEP_1) | instskip(NEXT) | instid1(VALU_DEP_1)
	v_dual_cndmask_b32 v2, v1, v3, s0 :: v_dual_ashrrev_i32 v1, 31, v0
	v_and_b32_e32 v6, 1, v2
	s_delay_alu instid0(VALU_DEP_2) | instskip(NEXT) | instid1(VALU_DEP_2)
	v_add_nc_u64_e32 v[2:3], s[4:5], v[0:1]
	v_cmp_eq_u32_e64 s1, 1, v6
	s_cbranch_scc1 .LBB198_2669
; %bb.2591:
	s_and_b32 s3, 0xffff, s19
	s_mov_b32 s9, -1
	s_mov_b32 s6, 0
	s_cmp_gt_i32 s3, 25
	s_mov_b32 s2, 0
	s_cbranch_scc0 .LBB198_2624
; %bb.2592:
	s_cmp_gt_i32 s3, 28
	s_cbranch_scc0 .LBB198_2607
; %bb.2593:
	s_cmp_gt_i32 s3, 43
	;; [unrolled: 3-line block ×3, first 2 shown]
	s_cbranch_scc0 .LBB198_2597
; %bb.2595:
	s_mov_b32 s2, -1
	s_mov_b32 s9, 0
	s_cmp_eq_u32 s3, 46
	s_cbranch_scc0 .LBB198_2597
; %bb.2596:
	v_cndmask_b32_e64 v1, 0, 1.0, s1
	s_mov_b32 s2, 0
	s_mov_b32 s7, -1
	s_delay_alu instid0(VALU_DEP_1) | instskip(NEXT) | instid1(VALU_DEP_1)
	v_bfe_u32 v6, v1, 16, 1
	v_add3_u32 v1, v1, v6, 0x7fff
	s_delay_alu instid0(VALU_DEP_1)
	v_lshrrev_b32_e32 v1, 16, v1
	global_store_b32 v[2:3], v1, off
.LBB198_2597:
	s_and_b32 vcc_lo, exec_lo, s9
	s_cbranch_vccz .LBB198_2602
; %bb.2598:
	s_cmp_eq_u32 s3, 44
	s_mov_b32 s2, -1
	s_cbranch_scc0 .LBB198_2602
; %bb.2599:
	v_cndmask_b32_e64 v7, 0, 1.0, s1
	s_mov_b32 s7, exec_lo
	s_wait_xcnt 0x0
	s_delay_alu instid0(VALU_DEP_1) | instskip(NEXT) | instid1(VALU_DEP_1)
	v_dual_mov_b32 v6, 0xff :: v_dual_lshrrev_b32 v1, 23, v7
	v_cmpx_ne_u32_e32 0xff, v1
; %bb.2600:
	v_and_b32_e32 v6, 0x400000, v7
	v_and_or_b32 v7, 0x3fffff, v7, v1
	s_delay_alu instid0(VALU_DEP_2) | instskip(NEXT) | instid1(VALU_DEP_2)
	v_cmp_ne_u32_e32 vcc_lo, 0, v6
	v_cmp_ne_u32_e64 s2, 0, v7
	s_and_b32 s2, vcc_lo, s2
	s_delay_alu instid0(SALU_CYCLE_1) | instskip(NEXT) | instid1(VALU_DEP_1)
	v_cndmask_b32_e64 v6, 0, 1, s2
	v_add_nc_u32_e32 v6, v1, v6
; %bb.2601:
	s_or_b32 exec_lo, exec_lo, s7
	s_mov_b32 s2, 0
	s_mov_b32 s7, -1
	global_store_b8 v[2:3], v6, off
.LBB198_2602:
	s_mov_b32 s9, 0
.LBB198_2603:
	s_delay_alu instid0(SALU_CYCLE_1)
	s_and_b32 vcc_lo, exec_lo, s9
	s_cbranch_vccz .LBB198_2606
; %bb.2604:
	s_cmp_eq_u32 s3, 29
	s_mov_b32 s2, -1
	s_cbranch_scc0 .LBB198_2606
; %bb.2605:
	s_mov_b32 s2, 0
	s_wait_xcnt 0x0
	v_cndmask_b32_e64 v6, 0, 1, s1
	v_mov_b32_e32 v7, s2
	s_mov_b32 s7, -1
	global_store_b64 v[2:3], v[6:7], off
.LBB198_2606:
	s_mov_b32 s9, 0
.LBB198_2607:
	s_delay_alu instid0(SALU_CYCLE_1)
	s_and_b32 vcc_lo, exec_lo, s9
	s_cbranch_vccz .LBB198_2623
; %bb.2608:
	s_cmp_lt_i32 s3, 27
	s_mov_b32 s7, -1
	s_cbranch_scc1 .LBB198_2614
; %bb.2609:
	s_cmp_gt_i32 s3, 27
	s_cbranch_scc0 .LBB198_2611
; %bb.2610:
	s_wait_xcnt 0x0
	v_cndmask_b32_e64 v1, 0, 1, s1
	s_mov_b32 s7, 0
	global_store_b32 v[2:3], v1, off
.LBB198_2611:
	s_and_not1_b32 vcc_lo, exec_lo, s7
	s_cbranch_vccnz .LBB198_2613
; %bb.2612:
	s_wait_xcnt 0x0
	v_cndmask_b32_e64 v1, 0, 1, s1
	global_store_b16 v[2:3], v1, off
.LBB198_2613:
	s_mov_b32 s7, 0
.LBB198_2614:
	s_delay_alu instid0(SALU_CYCLE_1)
	s_and_not1_b32 vcc_lo, exec_lo, s7
	s_cbranch_vccnz .LBB198_2622
; %bb.2615:
	s_wait_xcnt 0x0
	v_cndmask_b32_e64 v6, 0, 1.0, s1
	v_mov_b32_e32 v7, 0x80
	s_mov_b32 s7, exec_lo
	s_delay_alu instid0(VALU_DEP_2)
	v_cmpx_gt_u32_e32 0x43800000, v6
	s_cbranch_execz .LBB198_2621
; %bb.2616:
	s_mov_b32 s9, 0
	s_mov_b32 s10, exec_lo
                                        ; implicit-def: $vgpr1
	v_cmpx_lt_u32_e32 0x3bffffff, v6
	s_xor_b32 s10, exec_lo, s10
	s_cbranch_execz .LBB198_3069
; %bb.2617:
	v_bfe_u32 v1, v6, 20, 1
	s_mov_b32 s9, exec_lo
	s_delay_alu instid0(VALU_DEP_1) | instskip(NEXT) | instid1(VALU_DEP_1)
	v_add3_u32 v1, v6, v1, 0x487ffff
                                        ; implicit-def: $vgpr6
	v_lshrrev_b32_e32 v1, 20, v1
	s_and_not1_saveexec_b32 s10, s10
	s_cbranch_execnz .LBB198_3070
.LBB198_2618:
	s_or_b32 exec_lo, exec_lo, s10
	v_mov_b32_e32 v7, 0
	s_and_saveexec_b32 s10, s9
.LBB198_2619:
	v_mov_b32_e32 v7, v1
.LBB198_2620:
	s_or_b32 exec_lo, exec_lo, s10
.LBB198_2621:
	s_delay_alu instid0(SALU_CYCLE_1)
	s_or_b32 exec_lo, exec_lo, s7
	global_store_b8 v[2:3], v7, off
.LBB198_2622:
	s_mov_b32 s7, -1
.LBB198_2623:
	s_mov_b32 s9, 0
.LBB198_2624:
	s_delay_alu instid0(SALU_CYCLE_1)
	s_and_b32 vcc_lo, exec_lo, s9
	s_cbranch_vccz .LBB198_2664
; %bb.2625:
	s_cmp_gt_i32 s3, 22
	s_mov_b32 s6, -1
	s_cbranch_scc0 .LBB198_2657
; %bb.2626:
	s_cmp_lt_i32 s3, 24
	s_cbranch_scc1 .LBB198_2646
; %bb.2627:
	s_cmp_gt_i32 s3, 24
	s_cbranch_scc0 .LBB198_2635
; %bb.2628:
	s_wait_xcnt 0x0
	v_cndmask_b32_e64 v6, 0, 1.0, s1
	v_mov_b32_e32 v7, 0x80
	s_mov_b32 s6, exec_lo
	s_delay_alu instid0(VALU_DEP_2)
	v_cmpx_gt_u32_e32 0x47800000, v6
	s_cbranch_execz .LBB198_2634
; %bb.2629:
	s_mov_b32 s7, 0
	s_mov_b32 s9, exec_lo
                                        ; implicit-def: $vgpr1
	v_cmpx_lt_u32_e32 0x37ffffff, v6
	s_xor_b32 s9, exec_lo, s9
	s_cbranch_execz .LBB198_3072
; %bb.2630:
	v_bfe_u32 v1, v6, 21, 1
	s_mov_b32 s7, exec_lo
	s_delay_alu instid0(VALU_DEP_1) | instskip(NEXT) | instid1(VALU_DEP_1)
	v_add3_u32 v1, v6, v1, 0x88fffff
                                        ; implicit-def: $vgpr6
	v_lshrrev_b32_e32 v1, 21, v1
	s_and_not1_saveexec_b32 s9, s9
	s_cbranch_execnz .LBB198_3073
.LBB198_2631:
	s_or_b32 exec_lo, exec_lo, s9
	v_mov_b32_e32 v7, 0
	s_and_saveexec_b32 s9, s7
.LBB198_2632:
	v_mov_b32_e32 v7, v1
.LBB198_2633:
	s_or_b32 exec_lo, exec_lo, s9
.LBB198_2634:
	s_delay_alu instid0(SALU_CYCLE_1)
	s_or_b32 exec_lo, exec_lo, s6
	s_mov_b32 s6, 0
	global_store_b8 v[2:3], v7, off
.LBB198_2635:
	s_and_b32 vcc_lo, exec_lo, s6
	s_cbranch_vccz .LBB198_2645
; %bb.2636:
	s_wait_xcnt 0x0
	v_cndmask_b32_e64 v6, 0, 1.0, s1
	s_mov_b32 s6, exec_lo
                                        ; implicit-def: $vgpr1
	s_delay_alu instid0(VALU_DEP_1)
	v_cmpx_gt_u32_e32 0x43f00000, v6
	s_xor_b32 s6, exec_lo, s6
	s_cbranch_execz .LBB198_2642
; %bb.2637:
	s_mov_b32 s7, exec_lo
                                        ; implicit-def: $vgpr1
	v_cmpx_lt_u32_e32 0x3c7fffff, v6
	s_xor_b32 s7, exec_lo, s7
; %bb.2638:
	v_bfe_u32 v1, v6, 20, 1
	s_delay_alu instid0(VALU_DEP_1) | instskip(NEXT) | instid1(VALU_DEP_1)
	v_add3_u32 v1, v6, v1, 0x407ffff
	v_and_b32_e32 v6, 0xff00000, v1
	v_lshrrev_b32_e32 v1, 20, v1
	s_delay_alu instid0(VALU_DEP_2) | instskip(NEXT) | instid1(VALU_DEP_2)
	v_cmp_ne_u32_e32 vcc_lo, 0x7f00000, v6
                                        ; implicit-def: $vgpr6
	v_cndmask_b32_e32 v1, 0x7e, v1, vcc_lo
; %bb.2639:
	s_and_not1_saveexec_b32 s7, s7
; %bb.2640:
	v_add_f32_e32 v1, 0x46800000, v6
; %bb.2641:
	s_or_b32 exec_lo, exec_lo, s7
                                        ; implicit-def: $vgpr6
.LBB198_2642:
	s_and_not1_saveexec_b32 s6, s6
; %bb.2643:
	v_mov_b32_e32 v1, 0x7f
	v_cmp_lt_u32_e32 vcc_lo, 0x7f800000, v6
	s_delay_alu instid0(VALU_DEP_2)
	v_cndmask_b32_e32 v1, 0x7e, v1, vcc_lo
; %bb.2644:
	s_or_b32 exec_lo, exec_lo, s6
	global_store_b8 v[2:3], v1, off
.LBB198_2645:
	s_mov_b32 s6, 0
.LBB198_2646:
	s_delay_alu instid0(SALU_CYCLE_1)
	s_and_not1_b32 vcc_lo, exec_lo, s6
	s_cbranch_vccnz .LBB198_2656
; %bb.2647:
	s_wait_xcnt 0x0
	v_cndmask_b32_e64 v6, 0, 1.0, s1
	s_mov_b32 s6, exec_lo
                                        ; implicit-def: $vgpr1
	s_delay_alu instid0(VALU_DEP_1)
	v_cmpx_gt_u32_e32 0x47800000, v6
	s_xor_b32 s6, exec_lo, s6
	s_cbranch_execz .LBB198_2653
; %bb.2648:
	s_mov_b32 s7, exec_lo
                                        ; implicit-def: $vgpr1
	v_cmpx_lt_u32_e32 0x387fffff, v6
	s_xor_b32 s7, exec_lo, s7
; %bb.2649:
	v_bfe_u32 v1, v6, 21, 1
	s_delay_alu instid0(VALU_DEP_1) | instskip(NEXT) | instid1(VALU_DEP_1)
	v_add3_u32 v1, v6, v1, 0x80fffff
                                        ; implicit-def: $vgpr6
	v_lshrrev_b32_e32 v1, 21, v1
; %bb.2650:
	s_and_not1_saveexec_b32 s7, s7
; %bb.2651:
	v_add_f32_e32 v1, 0x43000000, v6
; %bb.2652:
	s_or_b32 exec_lo, exec_lo, s7
                                        ; implicit-def: $vgpr6
.LBB198_2653:
	s_and_not1_saveexec_b32 s6, s6
; %bb.2654:
	v_mov_b32_e32 v1, 0x7f
	v_cmp_lt_u32_e32 vcc_lo, 0x7f800000, v6
	s_delay_alu instid0(VALU_DEP_2)
	v_cndmask_b32_e32 v1, 0x7c, v1, vcc_lo
; %bb.2655:
	s_or_b32 exec_lo, exec_lo, s6
	global_store_b8 v[2:3], v1, off
.LBB198_2656:
	s_mov_b32 s6, 0
	s_mov_b32 s7, -1
.LBB198_2657:
	s_and_not1_b32 vcc_lo, exec_lo, s6
	s_mov_b32 s6, 0
	s_cbranch_vccnz .LBB198_2664
; %bb.2658:
	s_cmp_gt_i32 s3, 14
	s_mov_b32 s6, -1
	s_cbranch_scc0 .LBB198_2662
; %bb.2659:
	s_cmp_eq_u32 s3, 15
	s_mov_b32 s2, -1
	s_cbranch_scc0 .LBB198_2661
; %bb.2660:
	s_wait_xcnt 0x0
	v_cndmask_b32_e64 v1, 0, 1.0, s1
	s_mov_b32 s2, 0
	s_mov_b32 s7, -1
	s_delay_alu instid0(VALU_DEP_1) | instskip(NEXT) | instid1(VALU_DEP_1)
	v_bfe_u32 v6, v1, 16, 1
	v_add3_u32 v1, v1, v6, 0x7fff
	global_store_d16_hi_b16 v[2:3], v1, off
.LBB198_2661:
	s_mov_b32 s6, 0
.LBB198_2662:
	s_delay_alu instid0(SALU_CYCLE_1)
	s_and_b32 vcc_lo, exec_lo, s6
	s_mov_b32 s6, 0
	s_cbranch_vccz .LBB198_2664
; %bb.2663:
	s_cmp_lg_u32 s3, 11
	s_mov_b32 s6, -1
	s_cselect_b32 s2, -1, 0
.LBB198_2664:
	s_delay_alu instid0(SALU_CYCLE_1)
	s_and_b32 vcc_lo, exec_lo, s2
	s_cbranch_vccnz .LBB198_3071
; %bb.2665:
	s_and_not1_b32 vcc_lo, exec_lo, s6
	s_cbranch_vccnz .LBB198_2667
.LBB198_2666:
	s_wait_xcnt 0x0
	v_cndmask_b32_e64 v1, 0, 1, s1
	s_mov_b32 s7, -1
	global_store_b8 v[2:3], v1, off
.LBB198_2667:
.LBB198_2668:
	s_and_not1_b32 vcc_lo, exec_lo, s7
	s_cbranch_vccnz .LBB198_3022
	s_branch .LBB198_2708
.LBB198_2669:
	s_and_b32 vcc_lo, exec_lo, s2
	s_cbranch_vccz .LBB198_2668
; %bb.2670:
	s_and_b32 s2, 0xffff, s19
	s_mov_b32 s3, -1
	s_cmp_lt_i32 s2, 5
	s_cbranch_scc1 .LBB198_2691
; %bb.2671:
	s_cmp_lt_i32 s2, 8
	s_cbranch_scc1 .LBB198_2681
; %bb.2672:
	;; [unrolled: 3-line block ×3, first 2 shown]
	s_cmp_gt_i32 s2, 9
	s_cbranch_scc0 .LBB198_2675
; %bb.2674:
	s_wait_xcnt 0x0
	v_cndmask_b32_e64 v1, 0, 1, s1
	v_mov_b32_e32 v16, 0
	s_mov_b32 s3, 0
	s_delay_alu instid0(VALU_DEP_2) | instskip(NEXT) | instid1(VALU_DEP_2)
	v_cvt_f64_u32_e32 v[14:15], v1
	v_mov_b32_e32 v17, v16
	global_store_b128 v[2:3], v[14:17], off
.LBB198_2675:
	s_and_not1_b32 vcc_lo, exec_lo, s3
	s_cbranch_vccnz .LBB198_2677
; %bb.2676:
	s_wait_xcnt 0x0
	v_cndmask_b32_e64 v6, 0, 1.0, s1
	v_mov_b32_e32 v7, 0
	global_store_b64 v[2:3], v[6:7], off
.LBB198_2677:
	s_mov_b32 s3, 0
.LBB198_2678:
	s_delay_alu instid0(SALU_CYCLE_1)
	s_and_not1_b32 vcc_lo, exec_lo, s3
	s_cbranch_vccnz .LBB198_2680
; %bb.2679:
	s_wait_xcnt 0x0
	v_cndmask_b32_e64 v1, 0, 1.0, s1
	s_delay_alu instid0(VALU_DEP_1) | instskip(NEXT) | instid1(VALU_DEP_1)
	v_cvt_f16_f32_e32 v1, v1
	v_and_b32_e32 v1, 0xffff, v1
	global_store_b32 v[2:3], v1, off
.LBB198_2680:
	s_mov_b32 s3, 0
.LBB198_2681:
	s_delay_alu instid0(SALU_CYCLE_1)
	s_and_not1_b32 vcc_lo, exec_lo, s3
	s_cbranch_vccnz .LBB198_2690
; %bb.2682:
	s_cmp_lt_i32 s2, 6
	s_mov_b32 s3, -1
	s_cbranch_scc1 .LBB198_2688
; %bb.2683:
	s_cmp_gt_i32 s2, 6
	s_cbranch_scc0 .LBB198_2685
; %bb.2684:
	s_wait_xcnt 0x0
	v_cndmask_b32_e64 v1, 0, 1, s1
	s_mov_b32 s3, 0
	s_delay_alu instid0(VALU_DEP_1)
	v_cvt_f64_u32_e32 v[6:7], v1
	global_store_b64 v[2:3], v[6:7], off
.LBB198_2685:
	s_and_not1_b32 vcc_lo, exec_lo, s3
	s_cbranch_vccnz .LBB198_2687
; %bb.2686:
	s_wait_xcnt 0x0
	v_cndmask_b32_e64 v1, 0, 1.0, s1
	global_store_b32 v[2:3], v1, off
.LBB198_2687:
	s_mov_b32 s3, 0
.LBB198_2688:
	s_delay_alu instid0(SALU_CYCLE_1)
	s_and_not1_b32 vcc_lo, exec_lo, s3
	s_cbranch_vccnz .LBB198_2690
; %bb.2689:
	s_wait_xcnt 0x0
	v_cndmask_b32_e64 v1, 0, 1.0, s1
	s_delay_alu instid0(VALU_DEP_1)
	v_cvt_f16_f32_e32 v1, v1
	global_store_b16 v[2:3], v1, off
.LBB198_2690:
	s_mov_b32 s3, 0
.LBB198_2691:
	s_delay_alu instid0(SALU_CYCLE_1)
	s_and_not1_b32 vcc_lo, exec_lo, s3
	s_cbranch_vccnz .LBB198_2707
; %bb.2692:
	s_cmp_lt_i32 s2, 2
	s_mov_b32 s3, -1
	s_cbranch_scc1 .LBB198_2702
; %bb.2693:
	s_cmp_lt_i32 s2, 3
	s_cbranch_scc1 .LBB198_2699
; %bb.2694:
	s_cmp_gt_i32 s2, 3
	s_cbranch_scc0 .LBB198_2696
; %bb.2695:
	s_mov_b32 s3, 0
	s_wait_xcnt 0x0
	v_cndmask_b32_e64 v6, 0, 1, s1
	v_mov_b32_e32 v7, s3
	global_store_b64 v[2:3], v[6:7], off
.LBB198_2696:
	s_and_not1_b32 vcc_lo, exec_lo, s3
	s_cbranch_vccnz .LBB198_2698
; %bb.2697:
	s_wait_xcnt 0x0
	v_cndmask_b32_e64 v1, 0, 1, s1
	global_store_b32 v[2:3], v1, off
.LBB198_2698:
	s_mov_b32 s3, 0
.LBB198_2699:
	s_delay_alu instid0(SALU_CYCLE_1)
	s_and_not1_b32 vcc_lo, exec_lo, s3
	s_cbranch_vccnz .LBB198_2701
; %bb.2700:
	s_wait_xcnt 0x0
	v_cndmask_b32_e64 v1, 0, 1, s1
	global_store_b16 v[2:3], v1, off
.LBB198_2701:
	s_mov_b32 s3, 0
.LBB198_2702:
	s_delay_alu instid0(SALU_CYCLE_1)
	s_and_not1_b32 vcc_lo, exec_lo, s3
	s_cbranch_vccnz .LBB198_2707
; %bb.2703:
	s_wait_xcnt 0x0
	v_cndmask_b32_e64 v1, 0, 1, s1
	s_cmp_gt_i32 s2, 0
	s_mov_b32 s1, -1
	s_cbranch_scc0 .LBB198_2705
; %bb.2704:
	s_mov_b32 s1, 0
	global_store_b8 v[2:3], v1, off
.LBB198_2705:
	s_and_not1_b32 vcc_lo, exec_lo, s1
	s_cbranch_vccnz .LBB198_2707
; %bb.2706:
	global_store_b8 v[2:3], v1, off
.LBB198_2707:
.LBB198_2708:
	s_wait_xcnt 0x0
	v_dual_lshlrev_b32 v1, 16, v10 :: v_dual_lshlrev_b32 v2, 16, v9
	s_lshl_b32 s3, s8, 7
	s_cmp_lt_i32 s19, 11
	s_delay_alu instid0(VALU_DEP_1) | instskip(SKIP_3) | instid1(VALU_DEP_1)
	v_cmp_eq_f32_e32 vcc_lo, v2, v1
	v_cndmask_b32_e64 v3, 0, 1, vcc_lo
	v_cmp_neq_f32_e32 vcc_lo, v2, v1
	v_cndmask_b32_e64 v1, 0, 1, vcc_lo
	v_dual_add_nc_u32 v0, s3, v0 :: v_dual_cndmask_b32 v2, v1, v3, s0
	s_delay_alu instid0(VALU_DEP_1) | instskip(NEXT) | instid1(VALU_DEP_1)
	v_dual_ashrrev_i32 v1, 31, v0 :: v_dual_bitop2_b32 v6, 1, v2 bitop3:0x40
	v_add_nc_u64_e32 v[2:3], s[4:5], v[0:1]
	s_delay_alu instid0(VALU_DEP_2)
	v_cmp_eq_u32_e64 s1, 1, v6
	s_cbranch_scc1 .LBB198_2786
; %bb.2709:
	s_and_b32 s6, 0xffff, s19
	s_mov_b32 s9, -1
	s_mov_b32 s7, 0
	s_cmp_gt_i32 s6, 25
	s_mov_b32 s8, 0
	s_mov_b32 s2, 0
	s_cbranch_scc0 .LBB198_2742
; %bb.2710:
	s_cmp_gt_i32 s6, 28
	s_cbranch_scc0 .LBB198_2725
; %bb.2711:
	s_cmp_gt_i32 s6, 43
	;; [unrolled: 3-line block ×3, first 2 shown]
	s_cbranch_scc0 .LBB198_2715
; %bb.2713:
	s_mov_b32 s2, -1
	s_mov_b32 s9, 0
	s_cmp_eq_u32 s6, 46
	s_cbranch_scc0 .LBB198_2715
; %bb.2714:
	v_cndmask_b32_e64 v1, 0, 1.0, s1
	s_mov_b32 s2, 0
	s_mov_b32 s8, -1
	s_delay_alu instid0(VALU_DEP_1) | instskip(NEXT) | instid1(VALU_DEP_1)
	v_bfe_u32 v6, v1, 16, 1
	v_add3_u32 v1, v1, v6, 0x7fff
	s_delay_alu instid0(VALU_DEP_1)
	v_lshrrev_b32_e32 v1, 16, v1
	global_store_b32 v[2:3], v1, off
.LBB198_2715:
	s_and_b32 vcc_lo, exec_lo, s9
	s_cbranch_vccz .LBB198_2720
; %bb.2716:
	s_cmp_eq_u32 s6, 44
	s_mov_b32 s2, -1
	s_cbranch_scc0 .LBB198_2720
; %bb.2717:
	v_cndmask_b32_e64 v7, 0, 1.0, s1
	s_mov_b32 s8, exec_lo
	s_wait_xcnt 0x0
	s_delay_alu instid0(VALU_DEP_1) | instskip(NEXT) | instid1(VALU_DEP_1)
	v_dual_mov_b32 v6, 0xff :: v_dual_lshrrev_b32 v1, 23, v7
	v_cmpx_ne_u32_e32 0xff, v1
; %bb.2718:
	v_and_b32_e32 v6, 0x400000, v7
	v_and_or_b32 v7, 0x3fffff, v7, v1
	s_delay_alu instid0(VALU_DEP_2) | instskip(NEXT) | instid1(VALU_DEP_2)
	v_cmp_ne_u32_e32 vcc_lo, 0, v6
	v_cmp_ne_u32_e64 s2, 0, v7
	s_and_b32 s2, vcc_lo, s2
	s_delay_alu instid0(SALU_CYCLE_1) | instskip(NEXT) | instid1(VALU_DEP_1)
	v_cndmask_b32_e64 v6, 0, 1, s2
	v_add_nc_u32_e32 v6, v1, v6
; %bb.2719:
	s_or_b32 exec_lo, exec_lo, s8
	s_mov_b32 s2, 0
	s_mov_b32 s8, -1
	global_store_b8 v[2:3], v6, off
.LBB198_2720:
	s_mov_b32 s9, 0
.LBB198_2721:
	s_delay_alu instid0(SALU_CYCLE_1)
	s_and_b32 vcc_lo, exec_lo, s9
	s_cbranch_vccz .LBB198_2724
; %bb.2722:
	s_cmp_eq_u32 s6, 29
	s_mov_b32 s2, -1
	s_cbranch_scc0 .LBB198_2724
; %bb.2723:
	s_mov_b32 s2, 0
	s_wait_xcnt 0x0
	v_cndmask_b32_e64 v6, 0, 1, s1
	v_mov_b32_e32 v7, s2
	s_mov_b32 s8, -1
	global_store_b64 v[2:3], v[6:7], off
.LBB198_2724:
	s_mov_b32 s9, 0
.LBB198_2725:
	s_delay_alu instid0(SALU_CYCLE_1)
	s_and_b32 vcc_lo, exec_lo, s9
	s_cbranch_vccz .LBB198_2741
; %bb.2726:
	s_cmp_lt_i32 s6, 27
	s_mov_b32 s8, -1
	s_cbranch_scc1 .LBB198_2732
; %bb.2727:
	s_cmp_gt_i32 s6, 27
	s_cbranch_scc0 .LBB198_2729
; %bb.2728:
	s_wait_xcnt 0x0
	v_cndmask_b32_e64 v1, 0, 1, s1
	s_mov_b32 s8, 0
	global_store_b32 v[2:3], v1, off
.LBB198_2729:
	s_and_not1_b32 vcc_lo, exec_lo, s8
	s_cbranch_vccnz .LBB198_2731
; %bb.2730:
	s_wait_xcnt 0x0
	v_cndmask_b32_e64 v1, 0, 1, s1
	global_store_b16 v[2:3], v1, off
.LBB198_2731:
	s_mov_b32 s8, 0
.LBB198_2732:
	s_delay_alu instid0(SALU_CYCLE_1)
	s_and_not1_b32 vcc_lo, exec_lo, s8
	s_cbranch_vccnz .LBB198_2740
; %bb.2733:
	s_wait_xcnt 0x0
	v_cndmask_b32_e64 v6, 0, 1.0, s1
	v_mov_b32_e32 v7, 0x80
	s_mov_b32 s8, exec_lo
	s_delay_alu instid0(VALU_DEP_2)
	v_cmpx_gt_u32_e32 0x43800000, v6
	s_cbranch_execz .LBB198_2739
; %bb.2734:
	s_mov_b32 s9, 0
	s_mov_b32 s10, exec_lo
                                        ; implicit-def: $vgpr1
	v_cmpx_lt_u32_e32 0x3bffffff, v6
	s_xor_b32 s10, exec_lo, s10
	s_cbranch_execz .LBB198_3074
; %bb.2735:
	v_bfe_u32 v1, v6, 20, 1
	s_mov_b32 s9, exec_lo
	s_delay_alu instid0(VALU_DEP_1) | instskip(NEXT) | instid1(VALU_DEP_1)
	v_add3_u32 v1, v6, v1, 0x487ffff
                                        ; implicit-def: $vgpr6
	v_lshrrev_b32_e32 v1, 20, v1
	s_and_not1_saveexec_b32 s10, s10
	s_cbranch_execnz .LBB198_3075
.LBB198_2736:
	s_or_b32 exec_lo, exec_lo, s10
	v_mov_b32_e32 v7, 0
	s_and_saveexec_b32 s10, s9
.LBB198_2737:
	v_mov_b32_e32 v7, v1
.LBB198_2738:
	s_or_b32 exec_lo, exec_lo, s10
.LBB198_2739:
	s_delay_alu instid0(SALU_CYCLE_1)
	s_or_b32 exec_lo, exec_lo, s8
	global_store_b8 v[2:3], v7, off
.LBB198_2740:
	s_mov_b32 s8, -1
.LBB198_2741:
	s_mov_b32 s9, 0
.LBB198_2742:
	s_delay_alu instid0(SALU_CYCLE_1)
	s_and_b32 vcc_lo, exec_lo, s9
	s_cbranch_vccz .LBB198_2782
; %bb.2743:
	s_cmp_gt_i32 s6, 22
	s_mov_b32 s7, -1
	s_cbranch_scc0 .LBB198_2775
; %bb.2744:
	s_cmp_lt_i32 s6, 24
	s_cbranch_scc1 .LBB198_2764
; %bb.2745:
	s_cmp_gt_i32 s6, 24
	s_cbranch_scc0 .LBB198_2753
; %bb.2746:
	s_wait_xcnt 0x0
	v_cndmask_b32_e64 v6, 0, 1.0, s1
	v_mov_b32_e32 v7, 0x80
	s_mov_b32 s7, exec_lo
	s_delay_alu instid0(VALU_DEP_2)
	v_cmpx_gt_u32_e32 0x47800000, v6
	s_cbranch_execz .LBB198_2752
; %bb.2747:
	s_mov_b32 s8, 0
	s_mov_b32 s9, exec_lo
                                        ; implicit-def: $vgpr1
	v_cmpx_lt_u32_e32 0x37ffffff, v6
	s_xor_b32 s9, exec_lo, s9
	s_cbranch_execz .LBB198_3077
; %bb.2748:
	v_bfe_u32 v1, v6, 21, 1
	s_mov_b32 s8, exec_lo
	s_delay_alu instid0(VALU_DEP_1) | instskip(NEXT) | instid1(VALU_DEP_1)
	v_add3_u32 v1, v6, v1, 0x88fffff
                                        ; implicit-def: $vgpr6
	v_lshrrev_b32_e32 v1, 21, v1
	s_and_not1_saveexec_b32 s9, s9
	s_cbranch_execnz .LBB198_3078
.LBB198_2749:
	s_or_b32 exec_lo, exec_lo, s9
	v_mov_b32_e32 v7, 0
	s_and_saveexec_b32 s9, s8
.LBB198_2750:
	v_mov_b32_e32 v7, v1
.LBB198_2751:
	s_or_b32 exec_lo, exec_lo, s9
.LBB198_2752:
	s_delay_alu instid0(SALU_CYCLE_1)
	s_or_b32 exec_lo, exec_lo, s7
	s_mov_b32 s7, 0
	global_store_b8 v[2:3], v7, off
.LBB198_2753:
	s_and_b32 vcc_lo, exec_lo, s7
	s_cbranch_vccz .LBB198_2763
; %bb.2754:
	s_wait_xcnt 0x0
	v_cndmask_b32_e64 v6, 0, 1.0, s1
	s_mov_b32 s7, exec_lo
                                        ; implicit-def: $vgpr1
	s_delay_alu instid0(VALU_DEP_1)
	v_cmpx_gt_u32_e32 0x43f00000, v6
	s_xor_b32 s7, exec_lo, s7
	s_cbranch_execz .LBB198_2760
; %bb.2755:
	s_mov_b32 s8, exec_lo
                                        ; implicit-def: $vgpr1
	v_cmpx_lt_u32_e32 0x3c7fffff, v6
	s_xor_b32 s8, exec_lo, s8
; %bb.2756:
	v_bfe_u32 v1, v6, 20, 1
	s_delay_alu instid0(VALU_DEP_1) | instskip(NEXT) | instid1(VALU_DEP_1)
	v_add3_u32 v1, v6, v1, 0x407ffff
	v_and_b32_e32 v6, 0xff00000, v1
	v_lshrrev_b32_e32 v1, 20, v1
	s_delay_alu instid0(VALU_DEP_2) | instskip(NEXT) | instid1(VALU_DEP_2)
	v_cmp_ne_u32_e32 vcc_lo, 0x7f00000, v6
                                        ; implicit-def: $vgpr6
	v_cndmask_b32_e32 v1, 0x7e, v1, vcc_lo
; %bb.2757:
	s_and_not1_saveexec_b32 s8, s8
; %bb.2758:
	v_add_f32_e32 v1, 0x46800000, v6
; %bb.2759:
	s_or_b32 exec_lo, exec_lo, s8
                                        ; implicit-def: $vgpr6
.LBB198_2760:
	s_and_not1_saveexec_b32 s7, s7
; %bb.2761:
	v_mov_b32_e32 v1, 0x7f
	v_cmp_lt_u32_e32 vcc_lo, 0x7f800000, v6
	s_delay_alu instid0(VALU_DEP_2)
	v_cndmask_b32_e32 v1, 0x7e, v1, vcc_lo
; %bb.2762:
	s_or_b32 exec_lo, exec_lo, s7
	global_store_b8 v[2:3], v1, off
.LBB198_2763:
	s_mov_b32 s7, 0
.LBB198_2764:
	s_delay_alu instid0(SALU_CYCLE_1)
	s_and_not1_b32 vcc_lo, exec_lo, s7
	s_cbranch_vccnz .LBB198_2774
; %bb.2765:
	s_wait_xcnt 0x0
	v_cndmask_b32_e64 v6, 0, 1.0, s1
	s_mov_b32 s7, exec_lo
                                        ; implicit-def: $vgpr1
	s_delay_alu instid0(VALU_DEP_1)
	v_cmpx_gt_u32_e32 0x47800000, v6
	s_xor_b32 s7, exec_lo, s7
	s_cbranch_execz .LBB198_2771
; %bb.2766:
	s_mov_b32 s8, exec_lo
                                        ; implicit-def: $vgpr1
	v_cmpx_lt_u32_e32 0x387fffff, v6
	s_xor_b32 s8, exec_lo, s8
; %bb.2767:
	v_bfe_u32 v1, v6, 21, 1
	s_delay_alu instid0(VALU_DEP_1) | instskip(NEXT) | instid1(VALU_DEP_1)
	v_add3_u32 v1, v6, v1, 0x80fffff
                                        ; implicit-def: $vgpr6
	v_lshrrev_b32_e32 v1, 21, v1
; %bb.2768:
	s_and_not1_saveexec_b32 s8, s8
; %bb.2769:
	v_add_f32_e32 v1, 0x43000000, v6
; %bb.2770:
	s_or_b32 exec_lo, exec_lo, s8
                                        ; implicit-def: $vgpr6
.LBB198_2771:
	s_and_not1_saveexec_b32 s7, s7
; %bb.2772:
	v_mov_b32_e32 v1, 0x7f
	v_cmp_lt_u32_e32 vcc_lo, 0x7f800000, v6
	s_delay_alu instid0(VALU_DEP_2)
	v_cndmask_b32_e32 v1, 0x7c, v1, vcc_lo
; %bb.2773:
	s_or_b32 exec_lo, exec_lo, s7
	global_store_b8 v[2:3], v1, off
.LBB198_2774:
	s_mov_b32 s7, 0
	s_mov_b32 s8, -1
.LBB198_2775:
	s_and_not1_b32 vcc_lo, exec_lo, s7
	s_mov_b32 s7, 0
	s_cbranch_vccnz .LBB198_2782
; %bb.2776:
	s_cmp_gt_i32 s6, 14
	s_mov_b32 s7, -1
	s_cbranch_scc0 .LBB198_2780
; %bb.2777:
	s_cmp_eq_u32 s6, 15
	s_mov_b32 s2, -1
	s_cbranch_scc0 .LBB198_2779
; %bb.2778:
	s_wait_xcnt 0x0
	v_cndmask_b32_e64 v1, 0, 1.0, s1
	s_mov_b32 s2, 0
	s_mov_b32 s8, -1
	s_delay_alu instid0(VALU_DEP_1) | instskip(NEXT) | instid1(VALU_DEP_1)
	v_bfe_u32 v6, v1, 16, 1
	v_add3_u32 v1, v1, v6, 0x7fff
	global_store_d16_hi_b16 v[2:3], v1, off
.LBB198_2779:
	s_mov_b32 s7, 0
.LBB198_2780:
	s_delay_alu instid0(SALU_CYCLE_1)
	s_and_b32 vcc_lo, exec_lo, s7
	s_mov_b32 s7, 0
	s_cbranch_vccz .LBB198_2782
; %bb.2781:
	s_cmp_lg_u32 s6, 11
	s_mov_b32 s7, -1
	s_cselect_b32 s2, -1, 0
.LBB198_2782:
	s_delay_alu instid0(SALU_CYCLE_1)
	s_and_b32 vcc_lo, exec_lo, s2
	s_cbranch_vccnz .LBB198_3076
; %bb.2783:
	s_and_not1_b32 vcc_lo, exec_lo, s7
	s_cbranch_vccnz .LBB198_2785
.LBB198_2784:
	s_wait_xcnt 0x0
	v_cndmask_b32_e64 v1, 0, 1, s1
	s_mov_b32 s8, -1
	global_store_b8 v[2:3], v1, off
.LBB198_2785:
	s_mov_b32 s2, 0
	s_branch .LBB198_2787
.LBB198_2786:
	s_mov_b32 s2, -1
	s_mov_b32 s8, 0
.LBB198_2787:
	s_and_b32 vcc_lo, exec_lo, s2
	s_cbranch_vccz .LBB198_2826
; %bb.2788:
	s_and_b32 s2, 0xffff, s19
	s_mov_b32 s6, -1
	s_cmp_lt_i32 s2, 5
	s_cbranch_scc1 .LBB198_2809
; %bb.2789:
	s_cmp_lt_i32 s2, 8
	s_cbranch_scc1 .LBB198_2799
; %bb.2790:
	;; [unrolled: 3-line block ×3, first 2 shown]
	s_cmp_gt_i32 s2, 9
	s_cbranch_scc0 .LBB198_2793
; %bb.2792:
	s_wait_xcnt 0x0
	v_cndmask_b32_e64 v1, 0, 1, s1
	v_mov_b32_e32 v8, 0
	s_mov_b32 s6, 0
	s_delay_alu instid0(VALU_DEP_2) | instskip(NEXT) | instid1(VALU_DEP_2)
	v_cvt_f64_u32_e32 v[6:7], v1
	v_mov_b32_e32 v9, v8
	global_store_b128 v[2:3], v[6:9], off
.LBB198_2793:
	s_and_not1_b32 vcc_lo, exec_lo, s6
	s_cbranch_vccnz .LBB198_2795
; %bb.2794:
	s_wait_xcnt 0x0
	v_cndmask_b32_e64 v6, 0, 1.0, s1
	v_mov_b32_e32 v7, 0
	global_store_b64 v[2:3], v[6:7], off
.LBB198_2795:
	s_mov_b32 s6, 0
.LBB198_2796:
	s_delay_alu instid0(SALU_CYCLE_1)
	s_and_not1_b32 vcc_lo, exec_lo, s6
	s_cbranch_vccnz .LBB198_2798
; %bb.2797:
	s_wait_xcnt 0x0
	v_cndmask_b32_e64 v1, 0, 1.0, s1
	s_delay_alu instid0(VALU_DEP_1) | instskip(NEXT) | instid1(VALU_DEP_1)
	v_cvt_f16_f32_e32 v1, v1
	v_and_b32_e32 v1, 0xffff, v1
	global_store_b32 v[2:3], v1, off
.LBB198_2798:
	s_mov_b32 s6, 0
.LBB198_2799:
	s_delay_alu instid0(SALU_CYCLE_1)
	s_and_not1_b32 vcc_lo, exec_lo, s6
	s_cbranch_vccnz .LBB198_2808
; %bb.2800:
	s_cmp_lt_i32 s2, 6
	s_mov_b32 s6, -1
	s_cbranch_scc1 .LBB198_2806
; %bb.2801:
	s_cmp_gt_i32 s2, 6
	s_cbranch_scc0 .LBB198_2803
; %bb.2802:
	s_wait_xcnt 0x0
	v_cndmask_b32_e64 v1, 0, 1, s1
	s_mov_b32 s6, 0
	s_delay_alu instid0(VALU_DEP_1)
	v_cvt_f64_u32_e32 v[6:7], v1
	global_store_b64 v[2:3], v[6:7], off
.LBB198_2803:
	s_and_not1_b32 vcc_lo, exec_lo, s6
	s_cbranch_vccnz .LBB198_2805
; %bb.2804:
	s_wait_xcnt 0x0
	v_cndmask_b32_e64 v1, 0, 1.0, s1
	global_store_b32 v[2:3], v1, off
.LBB198_2805:
	s_mov_b32 s6, 0
.LBB198_2806:
	s_delay_alu instid0(SALU_CYCLE_1)
	s_and_not1_b32 vcc_lo, exec_lo, s6
	s_cbranch_vccnz .LBB198_2808
; %bb.2807:
	s_wait_xcnt 0x0
	v_cndmask_b32_e64 v1, 0, 1.0, s1
	s_delay_alu instid0(VALU_DEP_1)
	v_cvt_f16_f32_e32 v1, v1
	global_store_b16 v[2:3], v1, off
.LBB198_2808:
	s_mov_b32 s6, 0
.LBB198_2809:
	s_delay_alu instid0(SALU_CYCLE_1)
	s_and_not1_b32 vcc_lo, exec_lo, s6
	s_cbranch_vccnz .LBB198_2825
; %bb.2810:
	s_cmp_lt_i32 s2, 2
	s_mov_b32 s6, -1
	s_cbranch_scc1 .LBB198_2820
; %bb.2811:
	s_cmp_lt_i32 s2, 3
	s_cbranch_scc1 .LBB198_2817
; %bb.2812:
	s_cmp_gt_i32 s2, 3
	s_cbranch_scc0 .LBB198_2814
; %bb.2813:
	s_mov_b32 s6, 0
	s_wait_xcnt 0x0
	v_cndmask_b32_e64 v6, 0, 1, s1
	v_mov_b32_e32 v7, s6
	global_store_b64 v[2:3], v[6:7], off
.LBB198_2814:
	s_and_not1_b32 vcc_lo, exec_lo, s6
	s_cbranch_vccnz .LBB198_2816
; %bb.2815:
	s_wait_xcnt 0x0
	v_cndmask_b32_e64 v1, 0, 1, s1
	global_store_b32 v[2:3], v1, off
.LBB198_2816:
	s_mov_b32 s6, 0
.LBB198_2817:
	s_delay_alu instid0(SALU_CYCLE_1)
	s_and_not1_b32 vcc_lo, exec_lo, s6
	s_cbranch_vccnz .LBB198_2819
; %bb.2818:
	s_wait_xcnt 0x0
	v_cndmask_b32_e64 v1, 0, 1, s1
	global_store_b16 v[2:3], v1, off
.LBB198_2819:
	s_mov_b32 s6, 0
.LBB198_2820:
	s_delay_alu instid0(SALU_CYCLE_1)
	s_and_not1_b32 vcc_lo, exec_lo, s6
	s_cbranch_vccnz .LBB198_2825
; %bb.2821:
	s_wait_xcnt 0x0
	v_cndmask_b32_e64 v1, 0, 1, s1
	s_cmp_gt_i32 s2, 0
	s_mov_b32 s1, -1
	s_cbranch_scc0 .LBB198_2823
; %bb.2822:
	s_mov_b32 s1, 0
	global_store_b8 v[2:3], v1, off
.LBB198_2823:
	s_and_not1_b32 vcc_lo, exec_lo, s1
	s_cbranch_vccnz .LBB198_2825
; %bb.2824:
	global_store_b8 v[2:3], v1, off
.LBB198_2825:
	s_mov_b32 s8, -1
.LBB198_2826:
	s_delay_alu instid0(SALU_CYCLE_1)
	s_and_not1_b32 vcc_lo, exec_lo, s8
	s_cbranch_vccnz .LBB198_3022
; %bb.2827:
	s_wait_xcnt 0x0
	v_dual_lshlrev_b32 v1, 16, v12 :: v_dual_lshlrev_b32 v2, 16, v11
	s_cmp_lt_i32 s19, 11
	s_delay_alu instid0(VALU_DEP_1) | instskip(SKIP_3) | instid1(VALU_DEP_1)
	v_cmp_eq_f32_e32 vcc_lo, v2, v1
	v_cndmask_b32_e64 v3, 0, 1, vcc_lo
	v_cmp_neq_f32_e32 vcc_lo, v2, v1
	v_cndmask_b32_e64 v1, 0, 1, vcc_lo
	v_dual_add_nc_u32 v0, s3, v0 :: v_dual_cndmask_b32 v2, v1, v3, s0
	s_delay_alu instid0(VALU_DEP_1) | instskip(NEXT) | instid1(VALU_DEP_1)
	v_dual_ashrrev_i32 v1, 31, v0 :: v_dual_bitop2_b32 v6, 1, v2 bitop3:0x40
	v_add_nc_u64_e32 v[2:3], s[4:5], v[0:1]
	s_delay_alu instid0(VALU_DEP_2)
	v_cmp_eq_u32_e64 s1, 1, v6
	s_cbranch_scc1 .LBB198_2905
; %bb.2828:
	s_and_b32 s6, 0xffff, s19
	s_mov_b32 s9, -1
	s_mov_b32 s7, 0
	s_cmp_gt_i32 s6, 25
	s_mov_b32 s8, 0
	s_mov_b32 s2, 0
	s_cbranch_scc0 .LBB198_2861
; %bb.2829:
	s_cmp_gt_i32 s6, 28
	s_cbranch_scc0 .LBB198_2844
; %bb.2830:
	s_cmp_gt_i32 s6, 43
	;; [unrolled: 3-line block ×3, first 2 shown]
	s_cbranch_scc0 .LBB198_2834
; %bb.2832:
	s_mov_b32 s2, -1
	s_mov_b32 s9, 0
	s_cmp_eq_u32 s6, 46
	s_cbranch_scc0 .LBB198_2834
; %bb.2833:
	v_cndmask_b32_e64 v1, 0, 1.0, s1
	s_mov_b32 s2, 0
	s_mov_b32 s8, -1
	s_delay_alu instid0(VALU_DEP_1) | instskip(NEXT) | instid1(VALU_DEP_1)
	v_bfe_u32 v6, v1, 16, 1
	v_add3_u32 v1, v1, v6, 0x7fff
	s_delay_alu instid0(VALU_DEP_1)
	v_lshrrev_b32_e32 v1, 16, v1
	global_store_b32 v[2:3], v1, off
.LBB198_2834:
	s_and_b32 vcc_lo, exec_lo, s9
	s_cbranch_vccz .LBB198_2839
; %bb.2835:
	s_cmp_eq_u32 s6, 44
	s_mov_b32 s2, -1
	s_cbranch_scc0 .LBB198_2839
; %bb.2836:
	v_cndmask_b32_e64 v7, 0, 1.0, s1
	s_mov_b32 s8, exec_lo
	s_wait_xcnt 0x0
	s_delay_alu instid0(VALU_DEP_1) | instskip(NEXT) | instid1(VALU_DEP_1)
	v_dual_mov_b32 v6, 0xff :: v_dual_lshrrev_b32 v1, 23, v7
	v_cmpx_ne_u32_e32 0xff, v1
; %bb.2837:
	v_and_b32_e32 v6, 0x400000, v7
	v_and_or_b32 v7, 0x3fffff, v7, v1
	s_delay_alu instid0(VALU_DEP_2) | instskip(NEXT) | instid1(VALU_DEP_2)
	v_cmp_ne_u32_e32 vcc_lo, 0, v6
	v_cmp_ne_u32_e64 s2, 0, v7
	s_and_b32 s2, vcc_lo, s2
	s_delay_alu instid0(SALU_CYCLE_1) | instskip(NEXT) | instid1(VALU_DEP_1)
	v_cndmask_b32_e64 v6, 0, 1, s2
	v_add_nc_u32_e32 v6, v1, v6
; %bb.2838:
	s_or_b32 exec_lo, exec_lo, s8
	s_mov_b32 s2, 0
	s_mov_b32 s8, -1
	global_store_b8 v[2:3], v6, off
.LBB198_2839:
	s_mov_b32 s9, 0
.LBB198_2840:
	s_delay_alu instid0(SALU_CYCLE_1)
	s_and_b32 vcc_lo, exec_lo, s9
	s_cbranch_vccz .LBB198_2843
; %bb.2841:
	s_cmp_eq_u32 s6, 29
	s_mov_b32 s2, -1
	s_cbranch_scc0 .LBB198_2843
; %bb.2842:
	s_mov_b32 s2, 0
	s_wait_xcnt 0x0
	v_cndmask_b32_e64 v6, 0, 1, s1
	v_mov_b32_e32 v7, s2
	s_mov_b32 s8, -1
	global_store_b64 v[2:3], v[6:7], off
.LBB198_2843:
	s_mov_b32 s9, 0
.LBB198_2844:
	s_delay_alu instid0(SALU_CYCLE_1)
	s_and_b32 vcc_lo, exec_lo, s9
	s_cbranch_vccz .LBB198_2860
; %bb.2845:
	s_cmp_lt_i32 s6, 27
	s_mov_b32 s8, -1
	s_cbranch_scc1 .LBB198_2851
; %bb.2846:
	s_cmp_gt_i32 s6, 27
	s_cbranch_scc0 .LBB198_2848
; %bb.2847:
	s_wait_xcnt 0x0
	v_cndmask_b32_e64 v1, 0, 1, s1
	s_mov_b32 s8, 0
	global_store_b32 v[2:3], v1, off
.LBB198_2848:
	s_and_not1_b32 vcc_lo, exec_lo, s8
	s_cbranch_vccnz .LBB198_2850
; %bb.2849:
	s_wait_xcnt 0x0
	v_cndmask_b32_e64 v1, 0, 1, s1
	global_store_b16 v[2:3], v1, off
.LBB198_2850:
	s_mov_b32 s8, 0
.LBB198_2851:
	s_delay_alu instid0(SALU_CYCLE_1)
	s_and_not1_b32 vcc_lo, exec_lo, s8
	s_cbranch_vccnz .LBB198_2859
; %bb.2852:
	s_wait_xcnt 0x0
	v_cndmask_b32_e64 v6, 0, 1.0, s1
	v_mov_b32_e32 v7, 0x80
	s_mov_b32 s8, exec_lo
	s_delay_alu instid0(VALU_DEP_2)
	v_cmpx_gt_u32_e32 0x43800000, v6
	s_cbranch_execz .LBB198_2858
; %bb.2853:
	s_mov_b32 s9, 0
	s_mov_b32 s10, exec_lo
                                        ; implicit-def: $vgpr1
	v_cmpx_lt_u32_e32 0x3bffffff, v6
	s_xor_b32 s10, exec_lo, s10
	s_cbranch_execz .LBB198_3079
; %bb.2854:
	v_bfe_u32 v1, v6, 20, 1
	s_mov_b32 s9, exec_lo
	s_delay_alu instid0(VALU_DEP_1) | instskip(NEXT) | instid1(VALU_DEP_1)
	v_add3_u32 v1, v6, v1, 0x487ffff
                                        ; implicit-def: $vgpr6
	v_lshrrev_b32_e32 v1, 20, v1
	s_and_not1_saveexec_b32 s10, s10
	s_cbranch_execnz .LBB198_3080
.LBB198_2855:
	s_or_b32 exec_lo, exec_lo, s10
	v_mov_b32_e32 v7, 0
	s_and_saveexec_b32 s10, s9
.LBB198_2856:
	v_mov_b32_e32 v7, v1
.LBB198_2857:
	s_or_b32 exec_lo, exec_lo, s10
.LBB198_2858:
	s_delay_alu instid0(SALU_CYCLE_1)
	s_or_b32 exec_lo, exec_lo, s8
	global_store_b8 v[2:3], v7, off
.LBB198_2859:
	s_mov_b32 s8, -1
.LBB198_2860:
	s_mov_b32 s9, 0
.LBB198_2861:
	s_delay_alu instid0(SALU_CYCLE_1)
	s_and_b32 vcc_lo, exec_lo, s9
	s_cbranch_vccz .LBB198_2901
; %bb.2862:
	s_cmp_gt_i32 s6, 22
	s_mov_b32 s7, -1
	s_cbranch_scc0 .LBB198_2894
; %bb.2863:
	s_cmp_lt_i32 s6, 24
	s_cbranch_scc1 .LBB198_2883
; %bb.2864:
	s_cmp_gt_i32 s6, 24
	s_cbranch_scc0 .LBB198_2872
; %bb.2865:
	s_wait_xcnt 0x0
	v_cndmask_b32_e64 v6, 0, 1.0, s1
	v_mov_b32_e32 v7, 0x80
	s_mov_b32 s7, exec_lo
	s_delay_alu instid0(VALU_DEP_2)
	v_cmpx_gt_u32_e32 0x47800000, v6
	s_cbranch_execz .LBB198_2871
; %bb.2866:
	s_mov_b32 s8, 0
	s_mov_b32 s9, exec_lo
                                        ; implicit-def: $vgpr1
	v_cmpx_lt_u32_e32 0x37ffffff, v6
	s_xor_b32 s9, exec_lo, s9
	s_cbranch_execz .LBB198_3082
; %bb.2867:
	v_bfe_u32 v1, v6, 21, 1
	s_mov_b32 s8, exec_lo
	s_delay_alu instid0(VALU_DEP_1) | instskip(NEXT) | instid1(VALU_DEP_1)
	v_add3_u32 v1, v6, v1, 0x88fffff
                                        ; implicit-def: $vgpr6
	v_lshrrev_b32_e32 v1, 21, v1
	s_and_not1_saveexec_b32 s9, s9
	s_cbranch_execnz .LBB198_3083
.LBB198_2868:
	s_or_b32 exec_lo, exec_lo, s9
	v_mov_b32_e32 v7, 0
	s_and_saveexec_b32 s9, s8
.LBB198_2869:
	v_mov_b32_e32 v7, v1
.LBB198_2870:
	s_or_b32 exec_lo, exec_lo, s9
.LBB198_2871:
	s_delay_alu instid0(SALU_CYCLE_1)
	s_or_b32 exec_lo, exec_lo, s7
	s_mov_b32 s7, 0
	global_store_b8 v[2:3], v7, off
.LBB198_2872:
	s_and_b32 vcc_lo, exec_lo, s7
	s_cbranch_vccz .LBB198_2882
; %bb.2873:
	s_wait_xcnt 0x0
	v_cndmask_b32_e64 v6, 0, 1.0, s1
	s_mov_b32 s7, exec_lo
                                        ; implicit-def: $vgpr1
	s_delay_alu instid0(VALU_DEP_1)
	v_cmpx_gt_u32_e32 0x43f00000, v6
	s_xor_b32 s7, exec_lo, s7
	s_cbranch_execz .LBB198_2879
; %bb.2874:
	s_mov_b32 s8, exec_lo
                                        ; implicit-def: $vgpr1
	v_cmpx_lt_u32_e32 0x3c7fffff, v6
	s_xor_b32 s8, exec_lo, s8
; %bb.2875:
	v_bfe_u32 v1, v6, 20, 1
	s_delay_alu instid0(VALU_DEP_1) | instskip(NEXT) | instid1(VALU_DEP_1)
	v_add3_u32 v1, v6, v1, 0x407ffff
	v_and_b32_e32 v6, 0xff00000, v1
	v_lshrrev_b32_e32 v1, 20, v1
	s_delay_alu instid0(VALU_DEP_2) | instskip(NEXT) | instid1(VALU_DEP_2)
	v_cmp_ne_u32_e32 vcc_lo, 0x7f00000, v6
                                        ; implicit-def: $vgpr6
	v_cndmask_b32_e32 v1, 0x7e, v1, vcc_lo
; %bb.2876:
	s_and_not1_saveexec_b32 s8, s8
; %bb.2877:
	v_add_f32_e32 v1, 0x46800000, v6
; %bb.2878:
	s_or_b32 exec_lo, exec_lo, s8
                                        ; implicit-def: $vgpr6
.LBB198_2879:
	s_and_not1_saveexec_b32 s7, s7
; %bb.2880:
	v_mov_b32_e32 v1, 0x7f
	v_cmp_lt_u32_e32 vcc_lo, 0x7f800000, v6
	s_delay_alu instid0(VALU_DEP_2)
	v_cndmask_b32_e32 v1, 0x7e, v1, vcc_lo
; %bb.2881:
	s_or_b32 exec_lo, exec_lo, s7
	global_store_b8 v[2:3], v1, off
.LBB198_2882:
	s_mov_b32 s7, 0
.LBB198_2883:
	s_delay_alu instid0(SALU_CYCLE_1)
	s_and_not1_b32 vcc_lo, exec_lo, s7
	s_cbranch_vccnz .LBB198_2893
; %bb.2884:
	s_wait_xcnt 0x0
	v_cndmask_b32_e64 v6, 0, 1.0, s1
	s_mov_b32 s7, exec_lo
                                        ; implicit-def: $vgpr1
	s_delay_alu instid0(VALU_DEP_1)
	v_cmpx_gt_u32_e32 0x47800000, v6
	s_xor_b32 s7, exec_lo, s7
	s_cbranch_execz .LBB198_2890
; %bb.2885:
	s_mov_b32 s8, exec_lo
                                        ; implicit-def: $vgpr1
	v_cmpx_lt_u32_e32 0x387fffff, v6
	s_xor_b32 s8, exec_lo, s8
; %bb.2886:
	v_bfe_u32 v1, v6, 21, 1
	s_delay_alu instid0(VALU_DEP_1) | instskip(NEXT) | instid1(VALU_DEP_1)
	v_add3_u32 v1, v6, v1, 0x80fffff
                                        ; implicit-def: $vgpr6
	v_lshrrev_b32_e32 v1, 21, v1
; %bb.2887:
	s_and_not1_saveexec_b32 s8, s8
; %bb.2888:
	v_add_f32_e32 v1, 0x43000000, v6
; %bb.2889:
	s_or_b32 exec_lo, exec_lo, s8
                                        ; implicit-def: $vgpr6
.LBB198_2890:
	s_and_not1_saveexec_b32 s7, s7
; %bb.2891:
	v_mov_b32_e32 v1, 0x7f
	v_cmp_lt_u32_e32 vcc_lo, 0x7f800000, v6
	s_delay_alu instid0(VALU_DEP_2)
	v_cndmask_b32_e32 v1, 0x7c, v1, vcc_lo
; %bb.2892:
	s_or_b32 exec_lo, exec_lo, s7
	global_store_b8 v[2:3], v1, off
.LBB198_2893:
	s_mov_b32 s7, 0
	s_mov_b32 s8, -1
.LBB198_2894:
	s_and_not1_b32 vcc_lo, exec_lo, s7
	s_mov_b32 s7, 0
	s_cbranch_vccnz .LBB198_2901
; %bb.2895:
	s_cmp_gt_i32 s6, 14
	s_mov_b32 s7, -1
	s_cbranch_scc0 .LBB198_2899
; %bb.2896:
	s_cmp_eq_u32 s6, 15
	s_mov_b32 s2, -1
	s_cbranch_scc0 .LBB198_2898
; %bb.2897:
	s_wait_xcnt 0x0
	v_cndmask_b32_e64 v1, 0, 1.0, s1
	s_mov_b32 s2, 0
	s_mov_b32 s8, -1
	s_delay_alu instid0(VALU_DEP_1) | instskip(NEXT) | instid1(VALU_DEP_1)
	v_bfe_u32 v6, v1, 16, 1
	v_add3_u32 v1, v1, v6, 0x7fff
	global_store_d16_hi_b16 v[2:3], v1, off
.LBB198_2898:
	s_mov_b32 s7, 0
.LBB198_2899:
	s_delay_alu instid0(SALU_CYCLE_1)
	s_and_b32 vcc_lo, exec_lo, s7
	s_mov_b32 s7, 0
	s_cbranch_vccz .LBB198_2901
; %bb.2900:
	s_cmp_lg_u32 s6, 11
	s_mov_b32 s7, -1
	s_cselect_b32 s2, -1, 0
.LBB198_2901:
	s_delay_alu instid0(SALU_CYCLE_1)
	s_and_b32 vcc_lo, exec_lo, s2
	s_cbranch_vccnz .LBB198_3081
; %bb.2902:
	s_and_not1_b32 vcc_lo, exec_lo, s7
	s_cbranch_vccnz .LBB198_2904
.LBB198_2903:
	s_wait_xcnt 0x0
	v_cndmask_b32_e64 v1, 0, 1, s1
	s_mov_b32 s8, -1
	global_store_b8 v[2:3], v1, off
.LBB198_2904:
	s_mov_b32 s2, 0
	s_branch .LBB198_2906
.LBB198_2905:
	s_mov_b32 s2, -1
	s_mov_b32 s8, 0
.LBB198_2906:
	s_and_b32 vcc_lo, exec_lo, s2
	s_cbranch_vccz .LBB198_2945
; %bb.2907:
	s_and_b32 s2, 0xffff, s19
	s_mov_b32 s6, -1
	s_cmp_lt_i32 s2, 5
	s_cbranch_scc1 .LBB198_2928
; %bb.2908:
	s_cmp_lt_i32 s2, 8
	s_cbranch_scc1 .LBB198_2918
; %bb.2909:
	;; [unrolled: 3-line block ×3, first 2 shown]
	s_cmp_gt_i32 s2, 9
	s_cbranch_scc0 .LBB198_2912
; %bb.2911:
	s_wait_xcnt 0x0
	v_cndmask_b32_e64 v1, 0, 1, s1
	v_mov_b32_e32 v8, 0
	s_mov_b32 s6, 0
	s_delay_alu instid0(VALU_DEP_2) | instskip(NEXT) | instid1(VALU_DEP_2)
	v_cvt_f64_u32_e32 v[6:7], v1
	v_mov_b32_e32 v9, v8
	global_store_b128 v[2:3], v[6:9], off
.LBB198_2912:
	s_and_not1_b32 vcc_lo, exec_lo, s6
	s_cbranch_vccnz .LBB198_2914
; %bb.2913:
	s_wait_xcnt 0x0
	v_cndmask_b32_e64 v6, 0, 1.0, s1
	v_mov_b32_e32 v7, 0
	global_store_b64 v[2:3], v[6:7], off
.LBB198_2914:
	s_mov_b32 s6, 0
.LBB198_2915:
	s_delay_alu instid0(SALU_CYCLE_1)
	s_and_not1_b32 vcc_lo, exec_lo, s6
	s_cbranch_vccnz .LBB198_2917
; %bb.2916:
	s_wait_xcnt 0x0
	v_cndmask_b32_e64 v1, 0, 1.0, s1
	s_delay_alu instid0(VALU_DEP_1) | instskip(NEXT) | instid1(VALU_DEP_1)
	v_cvt_f16_f32_e32 v1, v1
	v_and_b32_e32 v1, 0xffff, v1
	global_store_b32 v[2:3], v1, off
.LBB198_2917:
	s_mov_b32 s6, 0
.LBB198_2918:
	s_delay_alu instid0(SALU_CYCLE_1)
	s_and_not1_b32 vcc_lo, exec_lo, s6
	s_cbranch_vccnz .LBB198_2927
; %bb.2919:
	s_cmp_lt_i32 s2, 6
	s_mov_b32 s6, -1
	s_cbranch_scc1 .LBB198_2925
; %bb.2920:
	s_cmp_gt_i32 s2, 6
	s_cbranch_scc0 .LBB198_2922
; %bb.2921:
	s_wait_xcnt 0x0
	v_cndmask_b32_e64 v1, 0, 1, s1
	s_mov_b32 s6, 0
	s_delay_alu instid0(VALU_DEP_1)
	v_cvt_f64_u32_e32 v[6:7], v1
	global_store_b64 v[2:3], v[6:7], off
.LBB198_2922:
	s_and_not1_b32 vcc_lo, exec_lo, s6
	s_cbranch_vccnz .LBB198_2924
; %bb.2923:
	s_wait_xcnt 0x0
	v_cndmask_b32_e64 v1, 0, 1.0, s1
	global_store_b32 v[2:3], v1, off
.LBB198_2924:
	s_mov_b32 s6, 0
.LBB198_2925:
	s_delay_alu instid0(SALU_CYCLE_1)
	s_and_not1_b32 vcc_lo, exec_lo, s6
	s_cbranch_vccnz .LBB198_2927
; %bb.2926:
	s_wait_xcnt 0x0
	v_cndmask_b32_e64 v1, 0, 1.0, s1
	s_delay_alu instid0(VALU_DEP_1)
	v_cvt_f16_f32_e32 v1, v1
	global_store_b16 v[2:3], v1, off
.LBB198_2927:
	s_mov_b32 s6, 0
.LBB198_2928:
	s_delay_alu instid0(SALU_CYCLE_1)
	s_and_not1_b32 vcc_lo, exec_lo, s6
	s_cbranch_vccnz .LBB198_2944
; %bb.2929:
	s_cmp_lt_i32 s2, 2
	s_mov_b32 s6, -1
	s_cbranch_scc1 .LBB198_2939
; %bb.2930:
	s_cmp_lt_i32 s2, 3
	s_cbranch_scc1 .LBB198_2936
; %bb.2931:
	s_cmp_gt_i32 s2, 3
	s_cbranch_scc0 .LBB198_2933
; %bb.2932:
	s_mov_b32 s6, 0
	s_wait_xcnt 0x0
	v_cndmask_b32_e64 v6, 0, 1, s1
	v_mov_b32_e32 v7, s6
	global_store_b64 v[2:3], v[6:7], off
.LBB198_2933:
	s_and_not1_b32 vcc_lo, exec_lo, s6
	s_cbranch_vccnz .LBB198_2935
; %bb.2934:
	s_wait_xcnt 0x0
	v_cndmask_b32_e64 v1, 0, 1, s1
	global_store_b32 v[2:3], v1, off
.LBB198_2935:
	s_mov_b32 s6, 0
.LBB198_2936:
	s_delay_alu instid0(SALU_CYCLE_1)
	s_and_not1_b32 vcc_lo, exec_lo, s6
	s_cbranch_vccnz .LBB198_2938
; %bb.2937:
	s_wait_xcnt 0x0
	v_cndmask_b32_e64 v1, 0, 1, s1
	global_store_b16 v[2:3], v1, off
.LBB198_2938:
	s_mov_b32 s6, 0
.LBB198_2939:
	s_delay_alu instid0(SALU_CYCLE_1)
	s_and_not1_b32 vcc_lo, exec_lo, s6
	s_cbranch_vccnz .LBB198_2944
; %bb.2940:
	s_wait_xcnt 0x0
	v_cndmask_b32_e64 v1, 0, 1, s1
	s_cmp_gt_i32 s2, 0
	s_mov_b32 s1, -1
	s_cbranch_scc0 .LBB198_2942
; %bb.2941:
	s_mov_b32 s1, 0
	global_store_b8 v[2:3], v1, off
.LBB198_2942:
	s_and_not1_b32 vcc_lo, exec_lo, s1
	s_cbranch_vccnz .LBB198_2944
; %bb.2943:
	global_store_b8 v[2:3], v1, off
.LBB198_2944:
	s_mov_b32 s8, -1
.LBB198_2945:
	s_delay_alu instid0(SALU_CYCLE_1)
	s_and_not1_b32 vcc_lo, exec_lo, s8
	s_cbranch_vccnz .LBB198_3022
; %bb.2946:
	s_wait_xcnt 0x0
	v_dual_lshlrev_b32 v1, 16, v5 :: v_dual_lshlrev_b32 v2, 16, v4
	s_cmp_lt_i32 s19, 11
	s_delay_alu instid0(VALU_DEP_1) | instskip(SKIP_3) | instid1(VALU_DEP_1)
	v_cmp_eq_f32_e32 vcc_lo, v2, v1
	v_cndmask_b32_e64 v3, 0, 1, vcc_lo
	v_cmp_neq_f32_e32 vcc_lo, v2, v1
	v_cndmask_b32_e64 v1, 0, 1, vcc_lo
	v_dual_add_nc_u32 v0, s3, v0 :: v_dual_cndmask_b32 v2, v1, v3, s0
	s_delay_alu instid0(VALU_DEP_1) | instskip(NEXT) | instid1(VALU_DEP_1)
	v_dual_ashrrev_i32 v1, 31, v0 :: v_dual_bitop2_b32 v2, 1, v2 bitop3:0x40
	v_add_nc_u64_e32 v[0:1], s[4:5], v[0:1]
	s_delay_alu instid0(VALU_DEP_2)
	v_cmp_eq_u32_e64 s1, 1, v2
	s_cbranch_scc1 .LBB198_3067
; %bb.2947:
	s_and_b32 s2, 0xffff, s19
	s_mov_b32 s4, -1
	s_mov_b32 s3, 0
	s_cmp_gt_i32 s2, 25
	s_mov_b32 s0, 0
	s_cbranch_scc0 .LBB198_2980
; %bb.2948:
	s_cmp_gt_i32 s2, 28
	s_cbranch_scc0 .LBB198_2964
; %bb.2949:
	s_cmp_gt_i32 s2, 43
	s_cbranch_scc0 .LBB198_2960
; %bb.2950:
	s_cmp_gt_i32 s2, 45
	s_cbranch_scc0 .LBB198_2954
; %bb.2951:
	s_cmp_eq_u32 s2, 46
	s_mov_b32 s0, -1
	s_cbranch_scc0 .LBB198_2953
; %bb.2952:
	v_cndmask_b32_e64 v2, 0, 1.0, s1
	s_mov_b32 s0, 0
	s_delay_alu instid0(VALU_DEP_1) | instskip(NEXT) | instid1(VALU_DEP_1)
	v_bfe_u32 v3, v2, 16, 1
	v_add3_u32 v2, v2, v3, 0x7fff
	s_delay_alu instid0(VALU_DEP_1)
	v_lshrrev_b32_e32 v2, 16, v2
	global_store_b32 v[0:1], v2, off
.LBB198_2953:
	s_mov_b32 s4, 0
.LBB198_2954:
	s_delay_alu instid0(SALU_CYCLE_1)
	s_and_b32 vcc_lo, exec_lo, s4
	s_cbranch_vccz .LBB198_2959
; %bb.2955:
	s_cmp_eq_u32 s2, 44
	s_mov_b32 s0, -1
	s_cbranch_scc0 .LBB198_2959
; %bb.2956:
	v_cndmask_b32_e64 v4, 0, 1.0, s1
	s_mov_b32 s4, exec_lo
	s_wait_xcnt 0x0
	s_delay_alu instid0(VALU_DEP_1) | instskip(NEXT) | instid1(VALU_DEP_1)
	v_dual_mov_b32 v3, 0xff :: v_dual_lshrrev_b32 v2, 23, v4
	v_cmpx_ne_u32_e32 0xff, v2
; %bb.2957:
	v_and_b32_e32 v3, 0x400000, v4
	v_and_or_b32 v4, 0x3fffff, v4, v2
	s_delay_alu instid0(VALU_DEP_2) | instskip(NEXT) | instid1(VALU_DEP_2)
	v_cmp_ne_u32_e32 vcc_lo, 0, v3
	v_cmp_ne_u32_e64 s0, 0, v4
	s_and_b32 s0, vcc_lo, s0
	s_delay_alu instid0(SALU_CYCLE_1) | instskip(NEXT) | instid1(VALU_DEP_1)
	v_cndmask_b32_e64 v3, 0, 1, s0
	v_add_nc_u32_e32 v3, v2, v3
; %bb.2958:
	s_or_b32 exec_lo, exec_lo, s4
	s_mov_b32 s0, 0
	global_store_b8 v[0:1], v3, off
.LBB198_2959:
	s_mov_b32 s4, 0
.LBB198_2960:
	s_delay_alu instid0(SALU_CYCLE_1)
	s_and_b32 vcc_lo, exec_lo, s4
	s_cbranch_vccz .LBB198_2963
; %bb.2961:
	s_cmp_eq_u32 s2, 29
	s_mov_b32 s0, -1
	s_cbranch_scc0 .LBB198_2963
; %bb.2962:
	s_mov_b32 s0, 0
	s_wait_xcnt 0x0
	v_cndmask_b32_e64 v2, 0, 1, s1
	v_mov_b32_e32 v3, s0
	global_store_b64 v[0:1], v[2:3], off
.LBB198_2963:
	s_mov_b32 s4, 0
.LBB198_2964:
	s_delay_alu instid0(SALU_CYCLE_1)
	s_and_b32 vcc_lo, exec_lo, s4
	s_cbranch_vccz .LBB198_2979
; %bb.2965:
	s_cmp_lt_i32 s2, 27
	s_mov_b32 s4, -1
	s_cbranch_scc1 .LBB198_2971
; %bb.2966:
	s_wait_xcnt 0x0
	v_cndmask_b32_e64 v2, 0, 1, s1
	s_cmp_gt_i32 s2, 27
	s_cbranch_scc0 .LBB198_2968
; %bb.2967:
	s_mov_b32 s4, 0
	global_store_b32 v[0:1], v2, off
.LBB198_2968:
	s_and_not1_b32 vcc_lo, exec_lo, s4
	s_cbranch_vccnz .LBB198_2970
; %bb.2969:
	global_store_b16 v[0:1], v2, off
.LBB198_2970:
	s_mov_b32 s4, 0
.LBB198_2971:
	s_delay_alu instid0(SALU_CYCLE_1)
	s_and_not1_b32 vcc_lo, exec_lo, s4
	s_cbranch_vccnz .LBB198_2979
; %bb.2972:
	s_wait_xcnt 0x0
	v_cndmask_b32_e64 v3, 0, 1.0, s1
	v_mov_b32_e32 v4, 0x80
	s_mov_b32 s4, exec_lo
	s_delay_alu instid0(VALU_DEP_2)
	v_cmpx_gt_u32_e32 0x43800000, v3
	s_cbranch_execz .LBB198_2978
; %bb.2973:
	s_mov_b32 s5, 0
	s_mov_b32 s6, exec_lo
                                        ; implicit-def: $vgpr2
	v_cmpx_lt_u32_e32 0x3bffffff, v3
	s_xor_b32 s6, exec_lo, s6
	s_cbranch_execz .LBB198_3084
; %bb.2974:
	v_bfe_u32 v2, v3, 20, 1
	s_mov_b32 s5, exec_lo
	s_delay_alu instid0(VALU_DEP_1) | instskip(NEXT) | instid1(VALU_DEP_1)
	v_add3_u32 v2, v3, v2, 0x487ffff
                                        ; implicit-def: $vgpr3
	v_lshrrev_b32_e32 v2, 20, v2
	s_and_not1_saveexec_b32 s6, s6
	s_cbranch_execnz .LBB198_3085
.LBB198_2975:
	s_or_b32 exec_lo, exec_lo, s6
	v_mov_b32_e32 v4, 0
	s_and_saveexec_b32 s6, s5
.LBB198_2976:
	v_mov_b32_e32 v4, v2
.LBB198_2977:
	s_or_b32 exec_lo, exec_lo, s6
.LBB198_2978:
	s_delay_alu instid0(SALU_CYCLE_1)
	s_or_b32 exec_lo, exec_lo, s4
	global_store_b8 v[0:1], v4, off
.LBB198_2979:
	s_mov_b32 s4, 0
.LBB198_2980:
	s_delay_alu instid0(SALU_CYCLE_1)
	s_and_b32 vcc_lo, exec_lo, s4
	s_cbranch_vccz .LBB198_3020
; %bb.2981:
	s_cmp_gt_i32 s2, 22
	s_mov_b32 s3, -1
	s_cbranch_scc0 .LBB198_3013
; %bb.2982:
	s_cmp_lt_i32 s2, 24
	s_cbranch_scc1 .LBB198_3002
; %bb.2983:
	s_cmp_gt_i32 s2, 24
	s_cbranch_scc0 .LBB198_2991
; %bb.2984:
	s_wait_xcnt 0x0
	v_cndmask_b32_e64 v3, 0, 1.0, s1
	v_mov_b32_e32 v4, 0x80
	s_mov_b32 s3, exec_lo
	s_delay_alu instid0(VALU_DEP_2)
	v_cmpx_gt_u32_e32 0x47800000, v3
	s_cbranch_execz .LBB198_2990
; %bb.2985:
	s_mov_b32 s4, 0
	s_mov_b32 s5, exec_lo
                                        ; implicit-def: $vgpr2
	v_cmpx_lt_u32_e32 0x37ffffff, v3
	s_xor_b32 s5, exec_lo, s5
	s_cbranch_execz .LBB198_3087
; %bb.2986:
	v_bfe_u32 v2, v3, 21, 1
	s_mov_b32 s4, exec_lo
	s_delay_alu instid0(VALU_DEP_1) | instskip(NEXT) | instid1(VALU_DEP_1)
	v_add3_u32 v2, v3, v2, 0x88fffff
                                        ; implicit-def: $vgpr3
	v_lshrrev_b32_e32 v2, 21, v2
	s_and_not1_saveexec_b32 s5, s5
	s_cbranch_execnz .LBB198_3088
.LBB198_2987:
	s_or_b32 exec_lo, exec_lo, s5
	v_mov_b32_e32 v4, 0
	s_and_saveexec_b32 s5, s4
.LBB198_2988:
	v_mov_b32_e32 v4, v2
.LBB198_2989:
	s_or_b32 exec_lo, exec_lo, s5
.LBB198_2990:
	s_delay_alu instid0(SALU_CYCLE_1)
	s_or_b32 exec_lo, exec_lo, s3
	s_mov_b32 s3, 0
	global_store_b8 v[0:1], v4, off
.LBB198_2991:
	s_and_b32 vcc_lo, exec_lo, s3
	s_cbranch_vccz .LBB198_3001
; %bb.2992:
	s_wait_xcnt 0x0
	v_cndmask_b32_e64 v3, 0, 1.0, s1
	s_mov_b32 s3, exec_lo
                                        ; implicit-def: $vgpr2
	s_delay_alu instid0(VALU_DEP_1)
	v_cmpx_gt_u32_e32 0x43f00000, v3
	s_xor_b32 s3, exec_lo, s3
	s_cbranch_execz .LBB198_2998
; %bb.2993:
	s_mov_b32 s4, exec_lo
                                        ; implicit-def: $vgpr2
	v_cmpx_lt_u32_e32 0x3c7fffff, v3
	s_xor_b32 s4, exec_lo, s4
; %bb.2994:
	v_bfe_u32 v2, v3, 20, 1
	s_delay_alu instid0(VALU_DEP_1) | instskip(NEXT) | instid1(VALU_DEP_1)
	v_add3_u32 v2, v3, v2, 0x407ffff
	v_and_b32_e32 v3, 0xff00000, v2
	v_lshrrev_b32_e32 v2, 20, v2
	s_delay_alu instid0(VALU_DEP_2) | instskip(NEXT) | instid1(VALU_DEP_2)
	v_cmp_ne_u32_e32 vcc_lo, 0x7f00000, v3
                                        ; implicit-def: $vgpr3
	v_cndmask_b32_e32 v2, 0x7e, v2, vcc_lo
; %bb.2995:
	s_and_not1_saveexec_b32 s4, s4
; %bb.2996:
	v_add_f32_e32 v2, 0x46800000, v3
; %bb.2997:
	s_or_b32 exec_lo, exec_lo, s4
                                        ; implicit-def: $vgpr3
.LBB198_2998:
	s_and_not1_saveexec_b32 s3, s3
; %bb.2999:
	v_mov_b32_e32 v2, 0x7f
	v_cmp_lt_u32_e32 vcc_lo, 0x7f800000, v3
	s_delay_alu instid0(VALU_DEP_2)
	v_cndmask_b32_e32 v2, 0x7e, v2, vcc_lo
; %bb.3000:
	s_or_b32 exec_lo, exec_lo, s3
	global_store_b8 v[0:1], v2, off
.LBB198_3001:
	s_mov_b32 s3, 0
.LBB198_3002:
	s_delay_alu instid0(SALU_CYCLE_1)
	s_and_not1_b32 vcc_lo, exec_lo, s3
	s_cbranch_vccnz .LBB198_3012
; %bb.3003:
	s_wait_xcnt 0x0
	v_cndmask_b32_e64 v3, 0, 1.0, s1
	s_mov_b32 s3, exec_lo
                                        ; implicit-def: $vgpr2
	s_delay_alu instid0(VALU_DEP_1)
	v_cmpx_gt_u32_e32 0x47800000, v3
	s_xor_b32 s3, exec_lo, s3
	s_cbranch_execz .LBB198_3009
; %bb.3004:
	s_mov_b32 s4, exec_lo
                                        ; implicit-def: $vgpr2
	v_cmpx_lt_u32_e32 0x387fffff, v3
	s_xor_b32 s4, exec_lo, s4
; %bb.3005:
	v_bfe_u32 v2, v3, 21, 1
	s_delay_alu instid0(VALU_DEP_1) | instskip(NEXT) | instid1(VALU_DEP_1)
	v_add3_u32 v2, v3, v2, 0x80fffff
                                        ; implicit-def: $vgpr3
	v_lshrrev_b32_e32 v2, 21, v2
; %bb.3006:
	s_and_not1_saveexec_b32 s4, s4
; %bb.3007:
	v_add_f32_e32 v2, 0x43000000, v3
; %bb.3008:
	s_or_b32 exec_lo, exec_lo, s4
                                        ; implicit-def: $vgpr3
.LBB198_3009:
	s_and_not1_saveexec_b32 s3, s3
; %bb.3010:
	v_mov_b32_e32 v2, 0x7f
	v_cmp_lt_u32_e32 vcc_lo, 0x7f800000, v3
	s_delay_alu instid0(VALU_DEP_2)
	v_cndmask_b32_e32 v2, 0x7c, v2, vcc_lo
; %bb.3011:
	s_or_b32 exec_lo, exec_lo, s3
	global_store_b8 v[0:1], v2, off
.LBB198_3012:
	s_mov_b32 s3, 0
.LBB198_3013:
	s_delay_alu instid0(SALU_CYCLE_1)
	s_and_not1_b32 vcc_lo, exec_lo, s3
	s_mov_b32 s3, 0
	s_cbranch_vccnz .LBB198_3020
; %bb.3014:
	s_cmp_gt_i32 s2, 14
	s_mov_b32 s3, -1
	s_cbranch_scc0 .LBB198_3018
; %bb.3015:
	s_cmp_eq_u32 s2, 15
	s_mov_b32 s0, -1
	s_cbranch_scc0 .LBB198_3017
; %bb.3016:
	s_wait_xcnt 0x0
	v_cndmask_b32_e64 v2, 0, 1.0, s1
	s_mov_b32 s0, 0
	s_delay_alu instid0(VALU_DEP_1) | instskip(NEXT) | instid1(VALU_DEP_1)
	v_bfe_u32 v3, v2, 16, 1
	v_add3_u32 v2, v2, v3, 0x7fff
	global_store_d16_hi_b16 v[0:1], v2, off
.LBB198_3017:
	s_mov_b32 s3, 0
.LBB198_3018:
	s_delay_alu instid0(SALU_CYCLE_1)
	s_and_b32 vcc_lo, exec_lo, s3
	s_mov_b32 s3, 0
	s_cbranch_vccz .LBB198_3020
; %bb.3019:
	s_cmp_lg_u32 s2, 11
	s_mov_b32 s3, -1
	s_cselect_b32 s0, -1, 0
.LBB198_3020:
	s_delay_alu instid0(SALU_CYCLE_1)
	s_and_b32 vcc_lo, exec_lo, s0
	s_cbranch_vccnz .LBB198_3086
.LBB198_3021:
	s_mov_b32 s0, 0
	s_branch .LBB198_3023
.LBB198_3022:
	s_mov_b32 s0, 0
	s_mov_b32 s3, 0
                                        ; implicit-def: $sgpr1
                                        ; implicit-def: $sgpr19
                                        ; implicit-def: $vgpr0_vgpr1
.LBB198_3023:
	s_and_not1_b32 s2, s18, exec_lo
	s_and_b32 s4, s15, exec_lo
	s_and_b32 s0, s0, exec_lo
	;; [unrolled: 1-line block ×3, first 2 shown]
	s_or_b32 s18, s2, s4
.LBB198_3024:
	s_wait_xcnt 0x0
	s_or_b32 exec_lo, exec_lo, s17
	s_and_saveexec_b32 s2, s18
	s_cbranch_execz .LBB198_3027
; %bb.3025:
	; divergent unreachable
	s_or_b32 exec_lo, exec_lo, s2
	s_and_saveexec_b32 s2, s15
	s_delay_alu instid0(SALU_CYCLE_1)
	s_xor_b32 s2, exec_lo, s2
	s_cbranch_execnz .LBB198_3028
.LBB198_3026:
	s_or_b32 exec_lo, exec_lo, s2
	s_and_saveexec_b32 s2, s0
	s_cbranch_execnz .LBB198_3029
	s_branch .LBB198_3066
.LBB198_3027:
	s_or_b32 exec_lo, exec_lo, s2
	s_and_saveexec_b32 s2, s15
	s_delay_alu instid0(SALU_CYCLE_1)
	s_xor_b32 s2, exec_lo, s2
	s_cbranch_execz .LBB198_3026
.LBB198_3028:
	s_wait_loadcnt 0x0
	v_cndmask_b32_e64 v2, 0, 1, s1
	global_store_b8 v[0:1], v2, off
	s_wait_xcnt 0x0
	s_or_b32 exec_lo, exec_lo, s2
	s_and_saveexec_b32 s2, s0
	s_cbranch_execz .LBB198_3066
.LBB198_3029:
	s_sext_i32_i16 s2, s19
	s_mov_b32 s0, -1
	s_cmp_lt_i32 s2, 5
	s_cbranch_scc1 .LBB198_3050
; %bb.3030:
	s_cmp_lt_i32 s2, 8
	s_cbranch_scc1 .LBB198_3040
; %bb.3031:
	;; [unrolled: 3-line block ×3, first 2 shown]
	s_cmp_gt_i32 s2, 9
	s_cbranch_scc0 .LBB198_3034
; %bb.3033:
	s_wait_loadcnt 0x0
	v_cndmask_b32_e64 v2, 0, 1, s1
	v_mov_b32_e32 v4, 0
	s_mov_b32 s0, 0
	s_delay_alu instid0(VALU_DEP_2) | instskip(NEXT) | instid1(VALU_DEP_2)
	v_cvt_f64_u32_e32 v[2:3], v2
	v_mov_b32_e32 v5, v4
	global_store_b128 v[0:1], v[2:5], off
.LBB198_3034:
	s_and_not1_b32 vcc_lo, exec_lo, s0
	s_cbranch_vccnz .LBB198_3036
; %bb.3035:
	s_wait_loadcnt 0x0
	v_cndmask_b32_e64 v2, 0, 1.0, s1
	v_mov_b32_e32 v3, 0
	global_store_b64 v[0:1], v[2:3], off
.LBB198_3036:
	s_mov_b32 s0, 0
.LBB198_3037:
	s_delay_alu instid0(SALU_CYCLE_1)
	s_and_not1_b32 vcc_lo, exec_lo, s0
	s_cbranch_vccnz .LBB198_3039
; %bb.3038:
	s_wait_loadcnt 0x0
	v_cndmask_b32_e64 v2, 0, 1.0, s1
	s_delay_alu instid0(VALU_DEP_1) | instskip(NEXT) | instid1(VALU_DEP_1)
	v_cvt_f16_f32_e32 v2, v2
	v_and_b32_e32 v2, 0xffff, v2
	global_store_b32 v[0:1], v2, off
.LBB198_3039:
	s_mov_b32 s0, 0
.LBB198_3040:
	s_delay_alu instid0(SALU_CYCLE_1)
	s_and_not1_b32 vcc_lo, exec_lo, s0
	s_cbranch_vccnz .LBB198_3049
; %bb.3041:
	s_sext_i32_i16 s2, s19
	s_mov_b32 s0, -1
	s_cmp_lt_i32 s2, 6
	s_cbranch_scc1 .LBB198_3047
; %bb.3042:
	s_cmp_gt_i32 s2, 6
	s_cbranch_scc0 .LBB198_3044
; %bb.3043:
	s_wait_loadcnt 0x0
	v_cndmask_b32_e64 v2, 0, 1, s1
	s_mov_b32 s0, 0
	s_delay_alu instid0(VALU_DEP_1)
	v_cvt_f64_u32_e32 v[2:3], v2
	global_store_b64 v[0:1], v[2:3], off
.LBB198_3044:
	s_and_not1_b32 vcc_lo, exec_lo, s0
	s_cbranch_vccnz .LBB198_3046
; %bb.3045:
	s_wait_loadcnt 0x0
	v_cndmask_b32_e64 v2, 0, 1.0, s1
	global_store_b32 v[0:1], v2, off
.LBB198_3046:
	s_mov_b32 s0, 0
.LBB198_3047:
	s_delay_alu instid0(SALU_CYCLE_1)
	s_and_not1_b32 vcc_lo, exec_lo, s0
	s_cbranch_vccnz .LBB198_3049
; %bb.3048:
	s_wait_loadcnt 0x0
	v_cndmask_b32_e64 v2, 0, 1.0, s1
	s_delay_alu instid0(VALU_DEP_1)
	v_cvt_f16_f32_e32 v2, v2
	global_store_b16 v[0:1], v2, off
.LBB198_3049:
	s_mov_b32 s0, 0
.LBB198_3050:
	s_delay_alu instid0(SALU_CYCLE_1)
	s_and_not1_b32 vcc_lo, exec_lo, s0
	s_cbranch_vccnz .LBB198_3066
; %bb.3051:
	s_sext_i32_i16 s2, s19
	s_mov_b32 s0, -1
	s_cmp_lt_i32 s2, 2
	s_cbranch_scc1 .LBB198_3061
; %bb.3052:
	s_cmp_lt_i32 s2, 3
	s_cbranch_scc1 .LBB198_3058
; %bb.3053:
	s_cmp_gt_i32 s2, 3
	s_cbranch_scc0 .LBB198_3055
; %bb.3054:
	s_mov_b32 s0, 0
	s_wait_loadcnt 0x0
	v_cndmask_b32_e64 v2, 0, 1, s1
	v_mov_b32_e32 v3, s0
	global_store_b64 v[0:1], v[2:3], off
.LBB198_3055:
	s_and_not1_b32 vcc_lo, exec_lo, s0
	s_cbranch_vccnz .LBB198_3057
; %bb.3056:
	s_wait_loadcnt 0x0
	v_cndmask_b32_e64 v2, 0, 1, s1
	global_store_b32 v[0:1], v2, off
.LBB198_3057:
	s_mov_b32 s0, 0
.LBB198_3058:
	s_delay_alu instid0(SALU_CYCLE_1)
	s_and_not1_b32 vcc_lo, exec_lo, s0
	s_cbranch_vccnz .LBB198_3060
; %bb.3059:
	s_wait_loadcnt 0x0
	v_cndmask_b32_e64 v2, 0, 1, s1
	global_store_b16 v[0:1], v2, off
.LBB198_3060:
	s_mov_b32 s0, 0
.LBB198_3061:
	s_delay_alu instid0(SALU_CYCLE_1)
	s_and_not1_b32 vcc_lo, exec_lo, s0
	s_cbranch_vccnz .LBB198_3066
; %bb.3062:
	s_wait_loadcnt 0x0
	v_cndmask_b32_e64 v2, 0, 1, s1
	s_sext_i32_i16 s0, s19
	s_delay_alu instid0(SALU_CYCLE_1)
	s_cmp_gt_i32 s0, 0
	s_mov_b32 s0, -1
	s_cbranch_scc0 .LBB198_3064
; %bb.3063:
	s_mov_b32 s0, 0
	global_store_b8 v[0:1], v2, off
.LBB198_3064:
	s_and_not1_b32 vcc_lo, exec_lo, s0
	s_cbranch_vccnz .LBB198_3066
; %bb.3065:
	global_store_b8 v[0:1], v2, off
	s_endpgm
.LBB198_3066:
	s_endpgm
.LBB198_3067:
	s_mov_b32 s3, 0
	s_mov_b32 s0, -1
	s_branch .LBB198_3023
.LBB198_3068:
	s_or_b32 s15, s15, exec_lo
	s_trap 2
	s_cbranch_execz .LBB198_2538
	s_branch .LBB198_2539
.LBB198_3069:
	s_and_not1_saveexec_b32 s10, s10
	s_cbranch_execz .LBB198_2618
.LBB198_3070:
	v_add_f32_e32 v1, 0x46000000, v6
	s_and_not1_b32 s9, s9, exec_lo
	s_delay_alu instid0(VALU_DEP_1) | instskip(NEXT) | instid1(VALU_DEP_1)
	v_and_b32_e32 v1, 0xff, v1
	v_cmp_ne_u32_e32 vcc_lo, 0, v1
	s_and_b32 s11, vcc_lo, exec_lo
	s_delay_alu instid0(SALU_CYCLE_1)
	s_or_b32 s9, s9, s11
	s_or_b32 exec_lo, exec_lo, s10
	v_mov_b32_e32 v7, 0
	s_and_saveexec_b32 s10, s9
	s_cbranch_execnz .LBB198_2619
	s_branch .LBB198_2620
.LBB198_3071:
	s_or_b32 s15, s15, exec_lo
	s_trap 2
	s_cbranch_execz .LBB198_2666
	s_branch .LBB198_2667
.LBB198_3072:
	s_and_not1_saveexec_b32 s9, s9
	s_cbranch_execz .LBB198_2631
.LBB198_3073:
	v_add_f32_e32 v1, 0x42800000, v6
	s_and_not1_b32 s7, s7, exec_lo
	s_delay_alu instid0(VALU_DEP_1) | instskip(NEXT) | instid1(VALU_DEP_1)
	v_and_b32_e32 v1, 0xff, v1
	v_cmp_ne_u32_e32 vcc_lo, 0, v1
	s_and_b32 s10, vcc_lo, exec_lo
	s_delay_alu instid0(SALU_CYCLE_1)
	s_or_b32 s7, s7, s10
	s_or_b32 exec_lo, exec_lo, s9
	v_mov_b32_e32 v7, 0
	s_and_saveexec_b32 s9, s7
	s_cbranch_execnz .LBB198_2632
	s_branch .LBB198_2633
.LBB198_3074:
	s_and_not1_saveexec_b32 s10, s10
	s_cbranch_execz .LBB198_2736
.LBB198_3075:
	v_add_f32_e32 v1, 0x46000000, v6
	s_and_not1_b32 s9, s9, exec_lo
	s_delay_alu instid0(VALU_DEP_1) | instskip(NEXT) | instid1(VALU_DEP_1)
	v_and_b32_e32 v1, 0xff, v1
	v_cmp_ne_u32_e32 vcc_lo, 0, v1
	s_and_b32 s11, vcc_lo, exec_lo
	s_delay_alu instid0(SALU_CYCLE_1)
	s_or_b32 s9, s9, s11
	s_or_b32 exec_lo, exec_lo, s10
	v_mov_b32_e32 v7, 0
	s_and_saveexec_b32 s10, s9
	s_cbranch_execnz .LBB198_2737
	s_branch .LBB198_2738
.LBB198_3076:
	s_or_b32 s15, s15, exec_lo
	s_trap 2
	s_cbranch_execz .LBB198_2784
	s_branch .LBB198_2785
.LBB198_3077:
	s_and_not1_saveexec_b32 s9, s9
	s_cbranch_execz .LBB198_2749
.LBB198_3078:
	v_add_f32_e32 v1, 0x42800000, v6
	s_and_not1_b32 s8, s8, exec_lo
	s_delay_alu instid0(VALU_DEP_1) | instskip(NEXT) | instid1(VALU_DEP_1)
	v_and_b32_e32 v1, 0xff, v1
	v_cmp_ne_u32_e32 vcc_lo, 0, v1
	s_and_b32 s10, vcc_lo, exec_lo
	s_delay_alu instid0(SALU_CYCLE_1)
	s_or_b32 s8, s8, s10
	s_or_b32 exec_lo, exec_lo, s9
	v_mov_b32_e32 v7, 0
	s_and_saveexec_b32 s9, s8
	s_cbranch_execnz .LBB198_2750
	s_branch .LBB198_2751
.LBB198_3079:
	s_and_not1_saveexec_b32 s10, s10
	s_cbranch_execz .LBB198_2855
.LBB198_3080:
	v_add_f32_e32 v1, 0x46000000, v6
	s_and_not1_b32 s9, s9, exec_lo
	s_delay_alu instid0(VALU_DEP_1) | instskip(NEXT) | instid1(VALU_DEP_1)
	v_and_b32_e32 v1, 0xff, v1
	v_cmp_ne_u32_e32 vcc_lo, 0, v1
	s_and_b32 s11, vcc_lo, exec_lo
	s_delay_alu instid0(SALU_CYCLE_1)
	s_or_b32 s9, s9, s11
	s_or_b32 exec_lo, exec_lo, s10
	v_mov_b32_e32 v7, 0
	s_and_saveexec_b32 s10, s9
	s_cbranch_execnz .LBB198_2856
	s_branch .LBB198_2857
.LBB198_3081:
	s_or_b32 s15, s15, exec_lo
	s_trap 2
	s_cbranch_execz .LBB198_2903
	s_branch .LBB198_2904
.LBB198_3082:
	s_and_not1_saveexec_b32 s9, s9
	s_cbranch_execz .LBB198_2868
.LBB198_3083:
	v_add_f32_e32 v1, 0x42800000, v6
	s_and_not1_b32 s8, s8, exec_lo
	s_delay_alu instid0(VALU_DEP_1) | instskip(NEXT) | instid1(VALU_DEP_1)
	v_and_b32_e32 v1, 0xff, v1
	v_cmp_ne_u32_e32 vcc_lo, 0, v1
	s_and_b32 s10, vcc_lo, exec_lo
	s_delay_alu instid0(SALU_CYCLE_1)
	s_or_b32 s8, s8, s10
	s_or_b32 exec_lo, exec_lo, s9
	v_mov_b32_e32 v7, 0
	s_and_saveexec_b32 s9, s8
	s_cbranch_execnz .LBB198_2869
	s_branch .LBB198_2870
.LBB198_3084:
	s_and_not1_saveexec_b32 s6, s6
	s_cbranch_execz .LBB198_2975
.LBB198_3085:
	v_add_f32_e32 v2, 0x46000000, v3
	s_and_not1_b32 s5, s5, exec_lo
	s_delay_alu instid0(VALU_DEP_1) | instskip(NEXT) | instid1(VALU_DEP_1)
	v_and_b32_e32 v2, 0xff, v2
	v_cmp_ne_u32_e32 vcc_lo, 0, v2
	s_and_b32 s7, vcc_lo, exec_lo
	s_delay_alu instid0(SALU_CYCLE_1)
	s_or_b32 s5, s5, s7
	s_or_b32 exec_lo, exec_lo, s6
	v_mov_b32_e32 v4, 0
	s_and_saveexec_b32 s6, s5
	s_cbranch_execnz .LBB198_2976
	s_branch .LBB198_2977
.LBB198_3086:
	s_mov_b32 s3, 0
	s_or_b32 s15, s15, exec_lo
	s_trap 2
	s_branch .LBB198_3021
.LBB198_3087:
	s_and_not1_saveexec_b32 s5, s5
	s_cbranch_execz .LBB198_2987
.LBB198_3088:
	v_add_f32_e32 v2, 0x42800000, v3
	s_and_not1_b32 s4, s4, exec_lo
	s_delay_alu instid0(VALU_DEP_1) | instskip(NEXT) | instid1(VALU_DEP_1)
	v_and_b32_e32 v2, 0xff, v2
	v_cmp_ne_u32_e32 vcc_lo, 0, v2
	s_and_b32 s6, vcc_lo, exec_lo
	s_delay_alu instid0(SALU_CYCLE_1)
	s_or_b32 s4, s4, s6
	s_or_b32 exec_lo, exec_lo, s5
	v_mov_b32_e32 v4, 0
	s_and_saveexec_b32 s5, s4
	s_cbranch_execnz .LBB198_2988
	s_branch .LBB198_2989
	.section	.rodata,"a",@progbits
	.p2align	6, 0x0
	.amdhsa_kernel _ZN2at6native32elementwise_kernel_manual_unrollILi128ELi4EZNS0_15gpu_kernel_implINS0_13BinaryFunctorIN3c108BFloat16ES5_bNS0_12_GLOBAL__N_116CompareEqFunctorIS5_EEEEEEvRNS_18TensorIteratorBaseERKT_EUlibE_EEviT1_
		.amdhsa_group_segment_fixed_size 0
		.amdhsa_private_segment_fixed_size 0
		.amdhsa_kernarg_size 56
		.amdhsa_user_sgpr_count 2
		.amdhsa_user_sgpr_dispatch_ptr 0
		.amdhsa_user_sgpr_queue_ptr 0
		.amdhsa_user_sgpr_kernarg_segment_ptr 1
		.amdhsa_user_sgpr_dispatch_id 0
		.amdhsa_user_sgpr_kernarg_preload_length 0
		.amdhsa_user_sgpr_kernarg_preload_offset 0
		.amdhsa_user_sgpr_private_segment_size 0
		.amdhsa_wavefront_size32 1
		.amdhsa_uses_dynamic_stack 0
		.amdhsa_enable_private_segment 0
		.amdhsa_system_sgpr_workgroup_id_x 1
		.amdhsa_system_sgpr_workgroup_id_y 0
		.amdhsa_system_sgpr_workgroup_id_z 0
		.amdhsa_system_sgpr_workgroup_info 0
		.amdhsa_system_vgpr_workitem_id 0
		.amdhsa_next_free_vgpr 18
		.amdhsa_next_free_sgpr 37
		.amdhsa_named_barrier_count 0
		.amdhsa_reserve_vcc 1
		.amdhsa_float_round_mode_32 0
		.amdhsa_float_round_mode_16_64 0
		.amdhsa_float_denorm_mode_32 3
		.amdhsa_float_denorm_mode_16_64 3
		.amdhsa_fp16_overflow 0
		.amdhsa_memory_ordered 1
		.amdhsa_forward_progress 1
		.amdhsa_inst_pref_size 255
		.amdhsa_round_robin_scheduling 0
		.amdhsa_exception_fp_ieee_invalid_op 0
		.amdhsa_exception_fp_denorm_src 0
		.amdhsa_exception_fp_ieee_div_zero 0
		.amdhsa_exception_fp_ieee_overflow 0
		.amdhsa_exception_fp_ieee_underflow 0
		.amdhsa_exception_fp_ieee_inexact 0
		.amdhsa_exception_int_div_zero 0
	.end_amdhsa_kernel
	.section	.text._ZN2at6native32elementwise_kernel_manual_unrollILi128ELi4EZNS0_15gpu_kernel_implINS0_13BinaryFunctorIN3c108BFloat16ES5_bNS0_12_GLOBAL__N_116CompareEqFunctorIS5_EEEEEEvRNS_18TensorIteratorBaseERKT_EUlibE_EEviT1_,"axG",@progbits,_ZN2at6native32elementwise_kernel_manual_unrollILi128ELi4EZNS0_15gpu_kernel_implINS0_13BinaryFunctorIN3c108BFloat16ES5_bNS0_12_GLOBAL__N_116CompareEqFunctorIS5_EEEEEEvRNS_18TensorIteratorBaseERKT_EUlibE_EEviT1_,comdat
.Lfunc_end198:
	.size	_ZN2at6native32elementwise_kernel_manual_unrollILi128ELi4EZNS0_15gpu_kernel_implINS0_13BinaryFunctorIN3c108BFloat16ES5_bNS0_12_GLOBAL__N_116CompareEqFunctorIS5_EEEEEEvRNS_18TensorIteratorBaseERKT_EUlibE_EEviT1_, .Lfunc_end198-_ZN2at6native32elementwise_kernel_manual_unrollILi128ELi4EZNS0_15gpu_kernel_implINS0_13BinaryFunctorIN3c108BFloat16ES5_bNS0_12_GLOBAL__N_116CompareEqFunctorIS5_EEEEEEvRNS_18TensorIteratorBaseERKT_EUlibE_EEviT1_
                                        ; -- End function
	.set _ZN2at6native32elementwise_kernel_manual_unrollILi128ELi4EZNS0_15gpu_kernel_implINS0_13BinaryFunctorIN3c108BFloat16ES5_bNS0_12_GLOBAL__N_116CompareEqFunctorIS5_EEEEEEvRNS_18TensorIteratorBaseERKT_EUlibE_EEviT1_.num_vgpr, 18
	.set _ZN2at6native32elementwise_kernel_manual_unrollILi128ELi4EZNS0_15gpu_kernel_implINS0_13BinaryFunctorIN3c108BFloat16ES5_bNS0_12_GLOBAL__N_116CompareEqFunctorIS5_EEEEEEvRNS_18TensorIteratorBaseERKT_EUlibE_EEviT1_.num_agpr, 0
	.set _ZN2at6native32elementwise_kernel_manual_unrollILi128ELi4EZNS0_15gpu_kernel_implINS0_13BinaryFunctorIN3c108BFloat16ES5_bNS0_12_GLOBAL__N_116CompareEqFunctorIS5_EEEEEEvRNS_18TensorIteratorBaseERKT_EUlibE_EEviT1_.numbered_sgpr, 37
	.set _ZN2at6native32elementwise_kernel_manual_unrollILi128ELi4EZNS0_15gpu_kernel_implINS0_13BinaryFunctorIN3c108BFloat16ES5_bNS0_12_GLOBAL__N_116CompareEqFunctorIS5_EEEEEEvRNS_18TensorIteratorBaseERKT_EUlibE_EEviT1_.num_named_barrier, 0
	.set _ZN2at6native32elementwise_kernel_manual_unrollILi128ELi4EZNS0_15gpu_kernel_implINS0_13BinaryFunctorIN3c108BFloat16ES5_bNS0_12_GLOBAL__N_116CompareEqFunctorIS5_EEEEEEvRNS_18TensorIteratorBaseERKT_EUlibE_EEviT1_.private_seg_size, 0
	.set _ZN2at6native32elementwise_kernel_manual_unrollILi128ELi4EZNS0_15gpu_kernel_implINS0_13BinaryFunctorIN3c108BFloat16ES5_bNS0_12_GLOBAL__N_116CompareEqFunctorIS5_EEEEEEvRNS_18TensorIteratorBaseERKT_EUlibE_EEviT1_.uses_vcc, 1
	.set _ZN2at6native32elementwise_kernel_manual_unrollILi128ELi4EZNS0_15gpu_kernel_implINS0_13BinaryFunctorIN3c108BFloat16ES5_bNS0_12_GLOBAL__N_116CompareEqFunctorIS5_EEEEEEvRNS_18TensorIteratorBaseERKT_EUlibE_EEviT1_.uses_flat_scratch, 0
	.set _ZN2at6native32elementwise_kernel_manual_unrollILi128ELi4EZNS0_15gpu_kernel_implINS0_13BinaryFunctorIN3c108BFloat16ES5_bNS0_12_GLOBAL__N_116CompareEqFunctorIS5_EEEEEEvRNS_18TensorIteratorBaseERKT_EUlibE_EEviT1_.has_dyn_sized_stack, 0
	.set _ZN2at6native32elementwise_kernel_manual_unrollILi128ELi4EZNS0_15gpu_kernel_implINS0_13BinaryFunctorIN3c108BFloat16ES5_bNS0_12_GLOBAL__N_116CompareEqFunctorIS5_EEEEEEvRNS_18TensorIteratorBaseERKT_EUlibE_EEviT1_.has_recursion, 0
	.set _ZN2at6native32elementwise_kernel_manual_unrollILi128ELi4EZNS0_15gpu_kernel_implINS0_13BinaryFunctorIN3c108BFloat16ES5_bNS0_12_GLOBAL__N_116CompareEqFunctorIS5_EEEEEEvRNS_18TensorIteratorBaseERKT_EUlibE_EEviT1_.has_indirect_call, 0
	.section	.AMDGPU.csdata,"",@progbits
; Kernel info:
; codeLenInByte = 66684
; TotalNumSgprs: 39
; NumVgprs: 18
; ScratchSize: 0
; MemoryBound: 0
; FloatMode: 240
; IeeeMode: 1
; LDSByteSize: 0 bytes/workgroup (compile time only)
; SGPRBlocks: 0
; VGPRBlocks: 1
; NumSGPRsForWavesPerEU: 39
; NumVGPRsForWavesPerEU: 18
; NamedBarCnt: 0
; Occupancy: 16
; WaveLimiterHint : 0
; COMPUTE_PGM_RSRC2:SCRATCH_EN: 0
; COMPUTE_PGM_RSRC2:USER_SGPR: 2
; COMPUTE_PGM_RSRC2:TRAP_HANDLER: 0
; COMPUTE_PGM_RSRC2:TGID_X_EN: 1
; COMPUTE_PGM_RSRC2:TGID_Y_EN: 0
; COMPUTE_PGM_RSRC2:TGID_Z_EN: 0
; COMPUTE_PGM_RSRC2:TIDIG_COMP_CNT: 0
	.section	.text._ZN2at6native32elementwise_kernel_manual_unrollILi128ELi4EZNS0_15gpu_kernel_implINS0_13BinaryFunctorIN3c108BFloat16ES5_bNS0_12_GLOBAL__N_116CompareEqFunctorIS5_EEEEEEvRNS_18TensorIteratorBaseERKT_EUlibE0_EEviT1_,"axG",@progbits,_ZN2at6native32elementwise_kernel_manual_unrollILi128ELi4EZNS0_15gpu_kernel_implINS0_13BinaryFunctorIN3c108BFloat16ES5_bNS0_12_GLOBAL__N_116CompareEqFunctorIS5_EEEEEEvRNS_18TensorIteratorBaseERKT_EUlibE0_EEviT1_,comdat
	.globl	_ZN2at6native32elementwise_kernel_manual_unrollILi128ELi4EZNS0_15gpu_kernel_implINS0_13BinaryFunctorIN3c108BFloat16ES5_bNS0_12_GLOBAL__N_116CompareEqFunctorIS5_EEEEEEvRNS_18TensorIteratorBaseERKT_EUlibE0_EEviT1_ ; -- Begin function _ZN2at6native32elementwise_kernel_manual_unrollILi128ELi4EZNS0_15gpu_kernel_implINS0_13BinaryFunctorIN3c108BFloat16ES5_bNS0_12_GLOBAL__N_116CompareEqFunctorIS5_EEEEEEvRNS_18TensorIteratorBaseERKT_EUlibE0_EEviT1_
	.p2align	8
	.type	_ZN2at6native32elementwise_kernel_manual_unrollILi128ELi4EZNS0_15gpu_kernel_implINS0_13BinaryFunctorIN3c108BFloat16ES5_bNS0_12_GLOBAL__N_116CompareEqFunctorIS5_EEEEEEvRNS_18TensorIteratorBaseERKT_EUlibE0_EEviT1_,@function
_ZN2at6native32elementwise_kernel_manual_unrollILi128ELi4EZNS0_15gpu_kernel_implINS0_13BinaryFunctorIN3c108BFloat16ES5_bNS0_12_GLOBAL__N_116CompareEqFunctorIS5_EEEEEEvRNS_18TensorIteratorBaseERKT_EUlibE0_EEviT1_: ; @_ZN2at6native32elementwise_kernel_manual_unrollILi128ELi4EZNS0_15gpu_kernel_implINS0_13BinaryFunctorIN3c108BFloat16ES5_bNS0_12_GLOBAL__N_116CompareEqFunctorIS5_EEEEEEvRNS_18TensorIteratorBaseERKT_EUlibE0_EEviT1_
; %bb.0:
	s_clause 0x1
	s_load_b32 s30, s[0:1], 0x8
	s_load_b32 s39, s[0:1], 0x0
	s_bfe_u32 s2, ttmp6, 0x4000c
	s_and_b32 s3, ttmp6, 15
	s_add_co_i32 s2, s2, 1
	s_getreg_b32 s4, hwreg(HW_REG_IB_STS2, 6, 4)
	s_mul_i32 s2, ttmp9, s2
	s_mov_b32 s33, 0
	s_add_co_i32 s3, s3, s2
	s_cmp_eq_u32 s4, 0
	s_mov_b32 s29, -1
	s_cselect_b32 s2, ttmp9, s3
	s_add_nc_u64 s[20:21], s[0:1], 8
	v_lshl_or_b32 v0, s2, 9, v0
	s_mov_b32 s3, 0
	s_wait_xcnt 0x0
	s_mov_b32 s0, exec_lo
	s_delay_alu instid0(VALU_DEP_1) | instskip(SKIP_2) | instid1(SALU_CYCLE_1)
	v_or_b32_e32 v1, 0x180, v0
	s_wait_kmcnt 0x0
	s_add_co_i32 s31, s30, -1
	s_cmp_gt_u32 s31, 1
	s_cselect_b32 s34, -1, 0
	v_cmpx_le_i32_e64 s39, v1
	s_xor_b32 s35, exec_lo, s0
	s_cbranch_execz .LBB199_1593
; %bb.1:
	s_clause 0x4
	s_load_b128 s[12:15], s[20:21], 0x4
	s_load_b256 s[4:11], s[20:21], 0x188
	s_load_b64 s[2:3], s[20:21], 0x14
	s_load_b128 s[16:19], s[20:21], 0xc4
	s_load_b64 s[24:25], s[20:21], 0xd4
	s_cmp_lg_u32 s30, 0
	s_mov_b32 s23, 0
	s_cselect_b32 s40, -1, 0
	s_min_u32 s38, s31, 15
	s_cmp_gt_u32 s30, 1
	s_mov_b32 s27, s23
	s_cselect_b32 s37, -1, 0
	s_mov_b32 s42, s23
	s_mov_b32 s41, s23
	s_mov_b32 s43, exec_lo
	s_wait_kmcnt 0x0
	s_mov_b32 s22, s13
	s_lshr_b32 s36, s11, 8
	s_lshr_b32 s13, s11, 16
	s_cmp_eq_u32 s10, 0
	s_mov_b32 s26, s2
	s_cselect_b32 s0, -1, 0
	s_mov_b32 s10, s23
	v_cmpx_gt_i32_e64 s39, v0
	s_cbranch_execz .LBB199_393
; %bb.2:
	s_and_not1_b32 vcc_lo, exec_lo, s34
	s_cbranch_vccnz .LBB199_8
; %bb.3:
	s_and_not1_b32 vcc_lo, exec_lo, s40
	s_cbranch_vccnz .LBB199_9
; %bb.4:
	v_dual_mov_b32 v2, 0 :: v_dual_mov_b32 v1, v0
	v_dual_mov_b32 v6, 0 :: v_dual_mov_b32 v4, 0
	s_add_co_i32 s1, s38, 1
	s_mov_b64 s[28:29], 0xffffffffffffffe8
	s_and_b32 s1, s1, 30
	s_add_nc_u64 s[28:29], s[20:21], s[28:29]
.LBB199_5:                              ; =>This Inner Loop Header: Depth=1
	s_clause 0x1
	s_load_b128 s[44:47], s[28:29], 0x1c
	s_load_b64 s[52:53], s[28:29], 0x2c
	s_add_co_i32 s1, s1, -2
	s_delay_alu instid0(SALU_CYCLE_1) | instskip(SKIP_2) | instid1(VALU_DEP_1)
	s_cmp_lg_u32 s1, 0
	s_wait_kmcnt 0x0
	v_mul_hi_u32 v3, s45, v1
	v_add_nc_u32_e32 v3, v1, v3
	s_delay_alu instid0(VALU_DEP_1) | instskip(NEXT) | instid1(VALU_DEP_1)
	v_lshrrev_b32_e32 v3, s46, v3
	v_mul_hi_u32 v5, s52, v3
	v_mul_lo_u32 v7, v3, s44
	s_clause 0x1
	s_load_b128 s[48:51], s[28:29], 0xdc
	s_load_b64 s[44:45], s[28:29], 0xec
	s_wait_xcnt 0x0
	s_add_nc_u64 s[28:29], s[28:29], 24
	s_delay_alu instid0(VALU_DEP_1) | instskip(NEXT) | instid1(VALU_DEP_1)
	v_dual_add_nc_u32 v5, v3, v5 :: v_dual_sub_nc_u32 v7, v1, v7
	v_lshrrev_b32_e32 v1, s53, v5
	s_wait_kmcnt 0x0
	s_delay_alu instid0(VALU_DEP_2) | instskip(NEXT) | instid1(VALU_DEP_2)
	v_mad_u32 v2, v7, s48, v2
	v_mul_lo_u32 v5, v1, s47
	v_mad_u32 v4, v7, s50, v4
	v_mad_u32 v6, v7, s49, v6
	s_delay_alu instid0(VALU_DEP_3) | instskip(NEXT) | instid1(VALU_DEP_1)
	v_sub_nc_u32_e32 v3, v3, v5
	v_mad_u32 v2, v3, s51, v2
	s_delay_alu instid0(VALU_DEP_4) | instskip(NEXT) | instid1(VALU_DEP_4)
	v_mad_u32 v4, v3, s45, v4
	v_mad_u32 v6, v3, s44, v6
	s_cbranch_scc1 .LBB199_5
; %bb.6:
	s_bitcmp1_b32 s38, 0
	s_cselect_b32 s1, -1, 0
	s_delay_alu instid0(SALU_CYCLE_1)
	s_and_b32 vcc_lo, exec_lo, s1
	s_cbranch_vccnz .LBB199_10
; %bb.7:
	s_clause 0x1
	s_load_b96 s[44:46], s[28:29], 0x1c
	s_load_b96 s[48:50], s[28:29], 0xdc
	s_wait_kmcnt 0x0
	v_mul_hi_u32 v3, s45, v1
	s_delay_alu instid0(VALU_DEP_1) | instskip(NEXT) | instid1(VALU_DEP_1)
	v_add_nc_u32_e32 v3, v1, v3
	v_lshrrev_b32_e32 v3, s46, v3
	s_delay_alu instid0(VALU_DEP_1) | instskip(NEXT) | instid1(VALU_DEP_1)
	v_mul_lo_u32 v3, v3, s44
	v_sub_nc_u32_e32 v1, v1, v3
	s_delay_alu instid0(VALU_DEP_1)
	v_mad_u32 v2, v1, s48, v2
	v_mad_u32 v6, v1, s49, v6
	;; [unrolled: 1-line block ×3, first 2 shown]
	s_cbranch_execz .LBB199_11
	s_branch .LBB199_13
.LBB199_8:
                                        ; implicit-def: $vgpr4
                                        ; implicit-def: $vgpr6
                                        ; implicit-def: $vgpr2
	s_branch .LBB199_11
.LBB199_9:
	v_dual_mov_b32 v4, 0 :: v_dual_mov_b32 v6, 0
	v_mov_b32_e32 v2, 0
.LBB199_10:
	s_cbranch_execnz .LBB199_13
.LBB199_11:
	v_mov_b32_e32 v1, 0
	s_and_not1_b32 vcc_lo, exec_lo, s37
	s_delay_alu instid0(VALU_DEP_1) | instskip(NEXT) | instid1(VALU_DEP_1)
	v_mul_u64_e32 v[2:3], s[22:23], v[0:1]
	v_add_nc_u32_e32 v2, v0, v3
	s_delay_alu instid0(VALU_DEP_1) | instskip(NEXT) | instid1(VALU_DEP_1)
	v_lshrrev_b32_e32 v8, s14, v2
	v_mul_lo_u32 v2, v8, s12
	s_delay_alu instid0(VALU_DEP_1) | instskip(NEXT) | instid1(VALU_DEP_1)
	v_sub_nc_u32_e32 v3, v0, v2
	v_mul_lo_u32 v2, v3, s16
	v_mul_lo_u32 v4, v3, s18
	;; [unrolled: 1-line block ×3, first 2 shown]
	s_cbranch_vccnz .LBB199_13
; %bb.12:
	v_mov_b32_e32 v9, v1
	s_delay_alu instid0(VALU_DEP_1) | instskip(NEXT) | instid1(VALU_DEP_1)
	v_mul_u64_e32 v[10:11], s[26:27], v[8:9]
	v_add_nc_u32_e32 v1, v8, v11
	s_delay_alu instid0(VALU_DEP_1) | instskip(NEXT) | instid1(VALU_DEP_1)
	v_lshrrev_b32_e32 v1, s3, v1
	v_mul_lo_u32 v1, v1, s15
	s_delay_alu instid0(VALU_DEP_1) | instskip(NEXT) | instid1(VALU_DEP_1)
	v_sub_nc_u32_e32 v1, v8, v1
	v_mad_u32 v2, v1, s19, v2
	v_mad_u32 v6, v1, s24, v6
	;; [unrolled: 1-line block ×3, first 2 shown]
.LBB199_13:
	v_mov_b32_e32 v7, 0
	s_and_b32 s1, s36, 0xff
	s_delay_alu instid0(SALU_CYCLE_1) | instskip(NEXT) | instid1(VALU_DEP_1)
	s_cmp_lt_i32 s1, 11
	v_add_nc_u64_e32 v[6:7], s[6:7], v[6:7]
	s_cbranch_scc1 .LBB199_20
; %bb.14:
	s_and_b32 s2, 0xffff, s1
	s_delay_alu instid0(SALU_CYCLE_1)
	s_cmp_gt_i32 s2, 25
	s_cbranch_scc0 .LBB199_29
; %bb.15:
	s_cmp_gt_i32 s2, 28
	s_cbranch_scc0 .LBB199_39
; %bb.16:
	;; [unrolled: 3-line block ×4, first 2 shown]
	s_cmp_eq_u32 s2, 46
	s_mov_b32 s29, 0
	s_cbranch_scc0 .LBB199_48
; %bb.19:
	global_load_b32 v1, v[6:7], off
	s_mov_b32 s10, -1
	s_mov_b32 s28, 0
	s_branch .LBB199_50
.LBB199_20:
	s_mov_b32 s28, 0
	s_mov_b32 s10, 0
                                        ; implicit-def: $vgpr1
	s_cbranch_execnz .LBB199_116
.LBB199_21:
	s_and_not1_b32 vcc_lo, exec_lo, s10
	s_cbranch_vccnz .LBB199_163
.LBB199_22:
	v_mov_b32_e32 v5, 0
	s_and_b32 s1, s13, 0xff
	s_delay_alu instid0(SALU_CYCLE_1) | instskip(NEXT) | instid1(VALU_DEP_1)
	s_cmp_lt_i32 s1, 11
	v_add_nc_u64_e32 v[4:5], s[8:9], v[4:5]
	s_cbranch_scc1 .LBB199_30
; %bb.23:
	s_and_b32 s2, 0xffff, s1
	s_delay_alu instid0(SALU_CYCLE_1)
	s_cmp_gt_i32 s2, 25
	s_cbranch_scc0 .LBB199_40
; %bb.24:
	s_cmp_gt_i32 s2, 28
	s_cbranch_scc0 .LBB199_43
; %bb.25:
	s_cmp_gt_i32 s2, 43
	s_cbranch_scc0 .LBB199_46
; %bb.26:
	s_cmp_gt_i32 s2, 45
	s_cbranch_scc0 .LBB199_53
; %bb.27:
	s_cmp_eq_u32 s2, 46
	s_mov_b32 s41, 0
	s_cbranch_scc0 .LBB199_164
; %bb.28:
	global_load_b32 v3, v[4:5], off
	s_mov_b32 s10, -1
	s_mov_b32 s29, 0
	s_branch .LBB199_166
.LBB199_29:
	s_mov_b32 s28, 0
	s_mov_b32 s10, 0
                                        ; implicit-def: $vgpr1
	s_cbranch_execnz .LBB199_81
	s_branch .LBB199_115
.LBB199_30:
	s_mov_b32 s29, 0
	s_mov_b32 s10, 0
                                        ; implicit-def: $vgpr3
	s_cbranch_execnz .LBB199_342
.LBB199_31:
	s_and_not1_b32 vcc_lo, exec_lo, s10
	s_cbranch_vccnz .LBB199_390
.LBB199_32:
	s_wait_loadcnt 0x0
	s_delay_alu instid0(VALU_DEP_1) | instskip(SKIP_1) | instid1(SALU_CYCLE_1)
	v_dual_lshlrev_b32 v3, 16, v3 :: v_dual_lshlrev_b32 v1, 16, v1
	s_and_b32 s10, s11, 0xff
	s_cmp_lt_i32 s10, 11
	s_delay_alu instid0(VALU_DEP_1) | instskip(SKIP_4) | instid1(VALU_DEP_2)
	v_cmp_eq_f32_e32 vcc_lo, v1, v3
	v_cndmask_b32_e64 v4, 0, 1, vcc_lo
	v_cmp_neq_f32_e32 vcc_lo, v1, v3
	v_mov_b32_e32 v3, 0
	v_cndmask_b32_e64 v1, 0, 1, vcc_lo
	v_add_nc_u64_e32 v[2:3], s[4:5], v[2:3]
	s_delay_alu instid0(VALU_DEP_2) | instskip(NEXT) | instid1(VALU_DEP_1)
	v_cndmask_b32_e64 v1, v1, v4, s0
	v_and_b32_e32 v1, 1, v1
	s_delay_alu instid0(VALU_DEP_1)
	v_cmp_eq_u32_e64 s1, 1, v1
	s_cbranch_scc1 .LBB199_41
; %bb.33:
	s_and_b32 s41, 0xffff, s10
	s_delay_alu instid0(SALU_CYCLE_1)
	s_cmp_gt_i32 s41, 25
	s_cbranch_scc0 .LBB199_44
; %bb.34:
	s_cmp_gt_i32 s41, 28
	s_cbranch_scc0 .LBB199_47
; %bb.35:
	;; [unrolled: 3-line block ×4, first 2 shown]
	s_mov_b32 s44, 0
	s_mov_b32 s2, -1
	s_cmp_eq_u32 s41, 46
	s_mov_b32 s42, 0
	s_cbranch_scc0 .LBB199_170
; %bb.38:
	v_cndmask_b32_e64 v1, 0, 1.0, s1
	s_mov_b32 s42, -1
	s_mov_b32 s2, 0
	s_delay_alu instid0(VALU_DEP_1) | instskip(NEXT) | instid1(VALU_DEP_1)
	v_bfe_u32 v4, v1, 16, 1
	v_add3_u32 v1, v1, v4, 0x7fff
	s_delay_alu instid0(VALU_DEP_1)
	v_lshrrev_b32_e32 v1, 16, v1
	global_store_b32 v[2:3], v1, off
	s_branch .LBB199_170
.LBB199_39:
	s_mov_b32 s29, -1
	s_mov_b32 s28, 0
	s_mov_b32 s10, 0
                                        ; implicit-def: $vgpr1
	s_branch .LBB199_62
.LBB199_40:
	s_mov_b32 s41, -1
	s_mov_b32 s29, 0
	s_mov_b32 s10, 0
                                        ; implicit-def: $vgpr3
	s_branch .LBB199_306
.LBB199_41:
	s_mov_b32 s41, -1
	s_mov_b32 s2, 0
	s_mov_b32 s42, 0
	s_branch .LBB199_239
.LBB199_42:
	s_mov_b32 s29, -1
	s_mov_b32 s28, 0
	s_mov_b32 s10, 0
                                        ; implicit-def: $vgpr1
	s_branch .LBB199_57
.LBB199_43:
	s_mov_b32 s41, -1
	s_mov_b32 s29, 0
	s_mov_b32 s10, 0
                                        ; implicit-def: $vgpr3
	s_branch .LBB199_287
.LBB199_44:
	s_mov_b32 s44, -1
	s_mov_b32 s2, 0
	s_mov_b32 s42, 0
	s_branch .LBB199_197
.LBB199_45:
	s_mov_b32 s29, -1
	s_mov_b32 s28, 0
	s_branch .LBB199_49
.LBB199_46:
	s_mov_b32 s41, -1
	s_mov_b32 s29, 0
	s_mov_b32 s10, 0
                                        ; implicit-def: $vgpr3
	s_branch .LBB199_282
.LBB199_47:
	s_mov_b32 s44, -1
	s_mov_b32 s2, 0
	s_mov_b32 s42, 0
	s_branch .LBB199_180
.LBB199_48:
	s_mov_b32 s28, -1
.LBB199_49:
	s_mov_b32 s10, 0
                                        ; implicit-def: $vgpr1
.LBB199_50:
	s_and_b32 vcc_lo, exec_lo, s29
	s_cbranch_vccz .LBB199_56
; %bb.51:
	s_cmp_eq_u32 s2, 44
	s_cbranch_scc0 .LBB199_55
; %bb.52:
	s_wait_loadcnt 0x0
	global_load_u8 v1, v[6:7], off
	s_mov_b32 s28, 0
	s_mov_b32 s10, -1
	s_wait_loadcnt 0x0
	v_lshlrev_b32_e32 v3, 23, v1
	v_cmp_ne_u32_e32 vcc_lo, 0xff, v1
	s_delay_alu instid0(VALU_DEP_2) | instskip(SKIP_1) | instid1(VALU_DEP_2)
	v_cndmask_b32_e32 v3, 0x7f800001, v3, vcc_lo
	v_cmp_ne_u32_e32 vcc_lo, 0, v1
	v_cndmask_b32_e32 v1, 0x400000, v3, vcc_lo
	s_delay_alu instid0(VALU_DEP_1) | instskip(SKIP_1) | instid1(VALU_DEP_2)
	v_add_nc_u32_e32 v3, 0x7fff, v1
	v_cmp_o_f32_e32 vcc_lo, v1, v1
	v_lshrrev_b32_e32 v3, 16, v3
	s_delay_alu instid0(VALU_DEP_1)
	v_cndmask_b32_e32 v1, 0x7fc0, v3, vcc_lo
	s_branch .LBB199_56
.LBB199_53:
	s_mov_b32 s41, -1
	s_mov_b32 s29, 0
	s_branch .LBB199_165
.LBB199_54:
	s_mov_b32 s44, -1
	s_mov_b32 s2, 0
	s_mov_b32 s42, 0
	s_branch .LBB199_176
.LBB199_55:
	s_mov_b32 s28, -1
                                        ; implicit-def: $vgpr1
.LBB199_56:
	s_mov_b32 s29, 0
.LBB199_57:
	s_delay_alu instid0(SALU_CYCLE_1)
	s_and_b32 vcc_lo, exec_lo, s29
	s_cbranch_vccz .LBB199_61
; %bb.58:
	s_cmp_eq_u32 s2, 29
	s_cbranch_scc0 .LBB199_60
; %bb.59:
	global_load_b64 v[8:9], v[6:7], off
	s_mov_b32 s10, -1
	s_mov_b32 s28, 0
	s_mov_b32 s29, 0
	s_wait_loadcnt 0x0
	v_clz_i32_u32_e32 v1, v9
	s_delay_alu instid0(VALU_DEP_1) | instskip(NEXT) | instid1(VALU_DEP_1)
	v_min_u32_e32 v1, 32, v1
	v_lshlrev_b64_e32 v[8:9], v1, v[8:9]
	v_sub_nc_u32_e32 v1, 32, v1
	s_delay_alu instid0(VALU_DEP_2) | instskip(NEXT) | instid1(VALU_DEP_1)
	v_min_u32_e32 v3, 1, v8
	v_or_b32_e32 v3, v9, v3
	s_delay_alu instid0(VALU_DEP_1) | instskip(NEXT) | instid1(VALU_DEP_1)
	v_cvt_f32_u32_e32 v3, v3
	v_ldexp_f32 v1, v3, v1
	s_delay_alu instid0(VALU_DEP_1) | instskip(NEXT) | instid1(VALU_DEP_1)
	v_bfe_u32 v3, v1, 16, 1
	v_add3_u32 v1, v1, v3, 0x7fff
	s_delay_alu instid0(VALU_DEP_1)
	v_lshrrev_b32_e32 v1, 16, v1
	s_branch .LBB199_62
.LBB199_60:
	s_mov_b32 s28, -1
                                        ; implicit-def: $vgpr1
.LBB199_61:
	s_mov_b32 s29, 0
.LBB199_62:
	s_delay_alu instid0(SALU_CYCLE_1)
	s_and_b32 vcc_lo, exec_lo, s29
	s_cbranch_vccz .LBB199_80
; %bb.63:
	s_cmp_lt_i32 s2, 27
	s_cbranch_scc1 .LBB199_66
; %bb.64:
	s_cmp_gt_i32 s2, 27
	s_cbranch_scc0 .LBB199_67
; %bb.65:
	s_wait_loadcnt 0x0
	global_load_b32 v1, v[6:7], off
	s_mov_b32 s10, 0
	s_wait_loadcnt 0x0
	v_cvt_f32_u32_e32 v1, v1
	s_delay_alu instid0(VALU_DEP_1) | instskip(NEXT) | instid1(VALU_DEP_1)
	v_bfe_u32 v3, v1, 16, 1
	v_add3_u32 v1, v1, v3, 0x7fff
	s_delay_alu instid0(VALU_DEP_1)
	v_lshrrev_b32_e32 v1, 16, v1
	s_branch .LBB199_68
.LBB199_66:
	s_mov_b32 s10, -1
                                        ; implicit-def: $vgpr1
	s_branch .LBB199_71
.LBB199_67:
	s_mov_b32 s10, -1
                                        ; implicit-def: $vgpr1
.LBB199_68:
	s_delay_alu instid0(SALU_CYCLE_1)
	s_and_not1_b32 vcc_lo, exec_lo, s10
	s_cbranch_vccnz .LBB199_70
; %bb.69:
	s_wait_loadcnt 0x0
	global_load_u16 v1, v[6:7], off
	s_wait_loadcnt 0x0
	v_cvt_f32_u32_e32 v1, v1
	s_delay_alu instid0(VALU_DEP_1) | instskip(NEXT) | instid1(VALU_DEP_1)
	v_bfe_u32 v3, v1, 16, 1
	v_add3_u32 v1, v1, v3, 0x7fff
	s_delay_alu instid0(VALU_DEP_1)
	v_lshrrev_b32_e32 v1, 16, v1
.LBB199_70:
	s_mov_b32 s10, 0
.LBB199_71:
	s_delay_alu instid0(SALU_CYCLE_1)
	s_and_not1_b32 vcc_lo, exec_lo, s10
	s_cbranch_vccnz .LBB199_79
; %bb.72:
	s_wait_loadcnt 0x0
	global_load_u8 v1, v[6:7], off
	s_mov_b32 s10, 0
	s_mov_b32 s29, exec_lo
	s_wait_loadcnt 0x0
	v_cmpx_lt_i16_e32 0x7f, v1
	s_xor_b32 s29, exec_lo, s29
	s_cbranch_execz .LBB199_92
; %bb.73:
	s_mov_b32 s10, -1
	s_mov_b32 s41, exec_lo
	v_cmpx_eq_u16_e32 0x80, v1
; %bb.74:
	s_xor_b32 s10, exec_lo, -1
; %bb.75:
	s_or_b32 exec_lo, exec_lo, s41
	s_delay_alu instid0(SALU_CYCLE_1)
	s_and_b32 s10, s10, exec_lo
	s_or_saveexec_b32 s29, s29
	v_mov_b32_e32 v3, 0x7f800001
	s_xor_b32 exec_lo, exec_lo, s29
	s_cbranch_execnz .LBB199_93
.LBB199_76:
	s_or_b32 exec_lo, exec_lo, s29
	s_and_saveexec_b32 s29, s10
	s_cbranch_execz .LBB199_78
.LBB199_77:
	v_and_b32_e32 v3, 0xffff, v1
	s_delay_alu instid0(VALU_DEP_1) | instskip(SKIP_1) | instid1(VALU_DEP_2)
	v_and_b32_e32 v5, 7, v3
	v_bfe_u32 v10, v3, 3, 4
	v_clz_i32_u32_e32 v8, v5
	s_delay_alu instid0(VALU_DEP_2) | instskip(NEXT) | instid1(VALU_DEP_2)
	v_cmp_eq_u32_e32 vcc_lo, 0, v10
	v_min_u32_e32 v8, 32, v8
	s_delay_alu instid0(VALU_DEP_1) | instskip(NEXT) | instid1(VALU_DEP_1)
	v_subrev_nc_u32_e32 v9, 28, v8
	v_dual_lshlrev_b32 v3, v9, v3 :: v_dual_sub_nc_u32 v8, 29, v8
	s_delay_alu instid0(VALU_DEP_1) | instskip(NEXT) | instid1(VALU_DEP_1)
	v_dual_lshlrev_b32 v1, 24, v1 :: v_dual_bitop2_b32 v3, 7, v3 bitop3:0x40
	v_dual_cndmask_b32 v8, v10, v8 :: v_dual_cndmask_b32 v3, v5, v3
	s_delay_alu instid0(VALU_DEP_2) | instskip(NEXT) | instid1(VALU_DEP_2)
	v_and_b32_e32 v1, 0x80000000, v1
	v_lshl_add_u32 v5, v8, 23, 0x3b800000
	s_delay_alu instid0(VALU_DEP_3) | instskip(NEXT) | instid1(VALU_DEP_1)
	v_lshlrev_b32_e32 v3, 20, v3
	v_or3_b32 v3, v1, v5, v3
.LBB199_78:
	s_or_b32 exec_lo, exec_lo, s29
	s_delay_alu instid0(VALU_DEP_1) | instskip(SKIP_1) | instid1(VALU_DEP_2)
	v_bfe_u32 v1, v3, 16, 1
	v_cmp_o_f32_e32 vcc_lo, v3, v3
	v_add3_u32 v1, v3, v1, 0x7fff
	s_delay_alu instid0(VALU_DEP_1) | instskip(NEXT) | instid1(VALU_DEP_1)
	v_lshrrev_b32_e32 v1, 16, v1
	v_cndmask_b32_e32 v1, 0x7fc0, v1, vcc_lo
.LBB199_79:
	s_mov_b32 s10, -1
.LBB199_80:
	s_branch .LBB199_115
.LBB199_81:
	s_cmp_gt_i32 s2, 22
	s_cbranch_scc0 .LBB199_91
; %bb.82:
	s_cmp_lt_i32 s2, 24
	s_cbranch_scc1 .LBB199_94
; %bb.83:
	s_cmp_gt_i32 s2, 24
	s_cbranch_scc0 .LBB199_95
; %bb.84:
	s_wait_loadcnt 0x0
	global_load_u8 v1, v[6:7], off
	s_mov_b32 s10, 0
	s_mov_b32 s29, exec_lo
	s_wait_loadcnt 0x0
	v_cmpx_lt_i16_e32 0x7f, v1
	s_xor_b32 s29, exec_lo, s29
	s_cbranch_execz .LBB199_107
; %bb.85:
	s_mov_b32 s10, -1
	s_mov_b32 s41, exec_lo
	v_cmpx_eq_u16_e32 0x80, v1
; %bb.86:
	s_xor_b32 s10, exec_lo, -1
; %bb.87:
	s_or_b32 exec_lo, exec_lo, s41
	s_delay_alu instid0(SALU_CYCLE_1)
	s_and_b32 s10, s10, exec_lo
	s_or_saveexec_b32 s29, s29
	v_mov_b32_e32 v3, 0x7f800001
	s_xor_b32 exec_lo, exec_lo, s29
	s_cbranch_execnz .LBB199_108
.LBB199_88:
	s_or_b32 exec_lo, exec_lo, s29
	s_and_saveexec_b32 s29, s10
	s_cbranch_execz .LBB199_90
.LBB199_89:
	v_and_b32_e32 v3, 0xffff, v1
	s_delay_alu instid0(VALU_DEP_1) | instskip(SKIP_1) | instid1(VALU_DEP_2)
	v_and_b32_e32 v5, 3, v3
	v_bfe_u32 v10, v3, 2, 5
	v_clz_i32_u32_e32 v8, v5
	s_delay_alu instid0(VALU_DEP_2) | instskip(NEXT) | instid1(VALU_DEP_2)
	v_cmp_eq_u32_e32 vcc_lo, 0, v10
	v_min_u32_e32 v8, 32, v8
	s_delay_alu instid0(VALU_DEP_1) | instskip(NEXT) | instid1(VALU_DEP_1)
	v_subrev_nc_u32_e32 v9, 29, v8
	v_dual_lshlrev_b32 v3, v9, v3 :: v_dual_sub_nc_u32 v8, 30, v8
	s_delay_alu instid0(VALU_DEP_1) | instskip(NEXT) | instid1(VALU_DEP_1)
	v_dual_lshlrev_b32 v1, 24, v1 :: v_dual_bitop2_b32 v3, 3, v3 bitop3:0x40
	v_dual_cndmask_b32 v8, v10, v8 :: v_dual_cndmask_b32 v3, v5, v3
	s_delay_alu instid0(VALU_DEP_2) | instskip(NEXT) | instid1(VALU_DEP_2)
	v_and_b32_e32 v1, 0x80000000, v1
	v_lshl_add_u32 v5, v8, 23, 0x37800000
	s_delay_alu instid0(VALU_DEP_3) | instskip(NEXT) | instid1(VALU_DEP_1)
	v_lshlrev_b32_e32 v3, 21, v3
	v_or3_b32 v3, v1, v5, v3
.LBB199_90:
	s_or_b32 exec_lo, exec_lo, s29
	s_delay_alu instid0(VALU_DEP_1) | instskip(SKIP_2) | instid1(VALU_DEP_2)
	v_bfe_u32 v1, v3, 16, 1
	v_cmp_o_f32_e32 vcc_lo, v3, v3
	s_mov_b32 s10, 0
	v_add3_u32 v1, v3, v1, 0x7fff
	s_delay_alu instid0(VALU_DEP_1) | instskip(NEXT) | instid1(VALU_DEP_1)
	v_lshrrev_b32_e32 v1, 16, v1
	v_cndmask_b32_e32 v1, 0x7fc0, v1, vcc_lo
	s_branch .LBB199_96
.LBB199_91:
	s_mov_b32 s29, -1
                                        ; implicit-def: $vgpr1
	s_branch .LBB199_102
.LBB199_92:
	s_or_saveexec_b32 s29, s29
	v_mov_b32_e32 v3, 0x7f800001
	s_xor_b32 exec_lo, exec_lo, s29
	s_cbranch_execz .LBB199_76
.LBB199_93:
	v_cmp_ne_u16_e32 vcc_lo, 0, v1
	v_mov_b32_e32 v3, 0
	s_and_not1_b32 s10, s10, exec_lo
	s_and_b32 s41, vcc_lo, exec_lo
	s_delay_alu instid0(SALU_CYCLE_1)
	s_or_b32 s10, s10, s41
	s_or_b32 exec_lo, exec_lo, s29
	s_and_saveexec_b32 s29, s10
	s_cbranch_execnz .LBB199_77
	s_branch .LBB199_78
.LBB199_94:
	s_mov_b32 s10, -1
                                        ; implicit-def: $vgpr1
	s_branch .LBB199_99
.LBB199_95:
	s_mov_b32 s10, -1
                                        ; implicit-def: $vgpr1
.LBB199_96:
	s_delay_alu instid0(SALU_CYCLE_1)
	s_and_b32 vcc_lo, exec_lo, s10
	s_cbranch_vccz .LBB199_98
; %bb.97:
	s_wait_loadcnt 0x0
	global_load_u8 v1, v[6:7], off
	s_wait_loadcnt 0x0
	v_lshlrev_b32_e32 v1, 24, v1
	s_delay_alu instid0(VALU_DEP_1) | instskip(NEXT) | instid1(VALU_DEP_1)
	v_and_b32_e32 v3, 0x7f000000, v1
	v_clz_i32_u32_e32 v5, v3
	v_add_nc_u32_e32 v9, 0x1000000, v3
	v_cmp_ne_u32_e32 vcc_lo, 0, v3
	s_delay_alu instid0(VALU_DEP_3) | instskip(NEXT) | instid1(VALU_DEP_1)
	v_min_u32_e32 v5, 32, v5
	v_sub_nc_u32_e64 v5, v5, 4 clamp
	s_delay_alu instid0(VALU_DEP_1) | instskip(NEXT) | instid1(VALU_DEP_1)
	v_dual_lshlrev_b32 v8, v5, v3 :: v_dual_lshlrev_b32 v5, 23, v5
	v_lshrrev_b32_e32 v8, 4, v8
	s_delay_alu instid0(VALU_DEP_1) | instskip(SKIP_1) | instid1(VALU_DEP_2)
	v_sub_nc_u32_e32 v5, v8, v5
	v_ashrrev_i32_e32 v8, 8, v9
	v_add_nc_u32_e32 v5, 0x3c000000, v5
	s_delay_alu instid0(VALU_DEP_1) | instskip(NEXT) | instid1(VALU_DEP_1)
	v_and_or_b32 v5, 0x7f800000, v8, v5
	v_cndmask_b32_e32 v3, 0, v5, vcc_lo
	s_delay_alu instid0(VALU_DEP_1) | instskip(SKIP_1) | instid1(VALU_DEP_2)
	v_and_or_b32 v1, 0x80000000, v1, v3
	v_bfe_u32 v3, v3, 16, 1
	v_cmp_o_f32_e32 vcc_lo, v1, v1
	s_delay_alu instid0(VALU_DEP_2) | instskip(NEXT) | instid1(VALU_DEP_1)
	v_add3_u32 v3, v1, v3, 0x7fff
	v_lshrrev_b32_e32 v3, 16, v3
	s_delay_alu instid0(VALU_DEP_1)
	v_cndmask_b32_e32 v1, 0x7fc0, v3, vcc_lo
.LBB199_98:
	s_mov_b32 s10, 0
.LBB199_99:
	s_delay_alu instid0(SALU_CYCLE_1)
	s_and_not1_b32 vcc_lo, exec_lo, s10
	s_cbranch_vccnz .LBB199_101
; %bb.100:
	s_wait_loadcnt 0x0
	global_load_u8 v1, v[6:7], off
	s_wait_loadcnt 0x0
	v_lshlrev_b32_e32 v3, 25, v1
	v_lshlrev_b16 v1, 8, v1
	s_delay_alu instid0(VALU_DEP_1) | instskip(SKIP_1) | instid1(VALU_DEP_2)
	v_and_or_b32 v8, 0x7f00, v1, 0.5
	v_bfe_i32 v1, v1, 0, 16
	v_dual_add_f32 v8, -0.5, v8 :: v_dual_lshrrev_b32 v5, 4, v3
	v_cmp_gt_u32_e32 vcc_lo, 0x8000000, v3
	s_delay_alu instid0(VALU_DEP_2) | instskip(NEXT) | instid1(VALU_DEP_1)
	v_or_b32_e32 v5, 0x70000000, v5
	v_mul_f32_e32 v5, 0x7800000, v5
	s_delay_alu instid0(VALU_DEP_1) | instskip(NEXT) | instid1(VALU_DEP_1)
	v_cndmask_b32_e32 v3, v5, v8, vcc_lo
	v_and_or_b32 v1, 0x80000000, v1, v3
	v_bfe_u32 v3, v3, 16, 1
	s_delay_alu instid0(VALU_DEP_2) | instskip(NEXT) | instid1(VALU_DEP_2)
	v_cmp_o_f32_e32 vcc_lo, v1, v1
	v_add3_u32 v3, v1, v3, 0x7fff
	s_delay_alu instid0(VALU_DEP_1) | instskip(NEXT) | instid1(VALU_DEP_1)
	v_lshrrev_b32_e32 v3, 16, v3
	v_cndmask_b32_e32 v1, 0x7fc0, v3, vcc_lo
.LBB199_101:
	s_mov_b32 s29, 0
	s_mov_b32 s10, -1
.LBB199_102:
	s_and_not1_b32 vcc_lo, exec_lo, s29
	s_cbranch_vccnz .LBB199_115
; %bb.103:
	s_cmp_gt_i32 s2, 14
	s_cbranch_scc0 .LBB199_106
; %bb.104:
	s_cmp_eq_u32 s2, 15
	s_cbranch_scc0 .LBB199_109
; %bb.105:
	s_wait_loadcnt 0x0
	global_load_u16 v1, v[6:7], off
	s_mov_b32 s10, -1
	s_mov_b32 s28, 0
	s_branch .LBB199_110
.LBB199_106:
	s_mov_b32 s29, -1
                                        ; implicit-def: $vgpr1
	s_branch .LBB199_111
.LBB199_107:
	s_or_saveexec_b32 s29, s29
	v_mov_b32_e32 v3, 0x7f800001
	s_xor_b32 exec_lo, exec_lo, s29
	s_cbranch_execz .LBB199_88
.LBB199_108:
	v_cmp_ne_u16_e32 vcc_lo, 0, v1
	v_mov_b32_e32 v3, 0
	s_and_not1_b32 s10, s10, exec_lo
	s_and_b32 s41, vcc_lo, exec_lo
	s_delay_alu instid0(SALU_CYCLE_1)
	s_or_b32 s10, s10, s41
	s_or_b32 exec_lo, exec_lo, s29
	s_and_saveexec_b32 s29, s10
	s_cbranch_execnz .LBB199_89
	s_branch .LBB199_90
.LBB199_109:
	s_mov_b32 s28, -1
                                        ; implicit-def: $vgpr1
.LBB199_110:
	s_mov_b32 s29, 0
.LBB199_111:
	s_delay_alu instid0(SALU_CYCLE_1)
	s_and_b32 vcc_lo, exec_lo, s29
	s_cbranch_vccz .LBB199_115
; %bb.112:
	s_cmp_eq_u32 s2, 11
	s_cbranch_scc0 .LBB199_114
; %bb.113:
	s_wait_loadcnt 0x0
	global_load_u8 v1, v[6:7], off
	s_mov_b32 s28, 0
	s_mov_b32 s10, -1
	s_wait_loadcnt 0x0
	v_cmp_ne_u16_e32 vcc_lo, 0, v1
	v_cndmask_b32_e64 v1, 0, 1.0, vcc_lo
	s_delay_alu instid0(VALU_DEP_1)
	v_lshrrev_b32_e32 v1, 16, v1
	s_branch .LBB199_115
.LBB199_114:
	s_mov_b32 s28, -1
                                        ; implicit-def: $vgpr1
.LBB199_115:
	s_branch .LBB199_21
.LBB199_116:
	s_and_b32 s1, 0xffff, s1
	s_delay_alu instid0(SALU_CYCLE_1)
	s_cmp_lt_i32 s1, 5
	s_cbranch_scc1 .LBB199_121
; %bb.117:
	s_cmp_lt_i32 s1, 8
	s_cbranch_scc1 .LBB199_122
; %bb.118:
	;; [unrolled: 3-line block ×3, first 2 shown]
	s_cmp_gt_i32 s1, 9
	s_cbranch_scc0 .LBB199_124
; %bb.120:
	global_load_b64 v[8:9], v[6:7], off
	s_mov_b32 s2, 0
	s_wait_loadcnt 0x0
	v_cvt_f32_f64_e32 v1, v[8:9]
	s_delay_alu instid0(VALU_DEP_1) | instskip(SKIP_1) | instid1(VALU_DEP_2)
	v_bfe_u32 v3, v1, 16, 1
	v_cmp_o_f32_e32 vcc_lo, v1, v1
	v_add3_u32 v3, v1, v3, 0x7fff
	s_delay_alu instid0(VALU_DEP_1) | instskip(NEXT) | instid1(VALU_DEP_1)
	v_lshrrev_b32_e32 v3, 16, v3
	v_cndmask_b32_e32 v1, 0x7fc0, v3, vcc_lo
	s_branch .LBB199_125
.LBB199_121:
                                        ; implicit-def: $vgpr1
	s_branch .LBB199_143
.LBB199_122:
	s_mov_b32 s2, -1
                                        ; implicit-def: $vgpr1
	s_branch .LBB199_131
.LBB199_123:
	s_mov_b32 s2, -1
                                        ; implicit-def: $vgpr1
	s_branch .LBB199_128
.LBB199_124:
	s_mov_b32 s2, -1
                                        ; implicit-def: $vgpr1
.LBB199_125:
	s_delay_alu instid0(SALU_CYCLE_1)
	s_and_not1_b32 vcc_lo, exec_lo, s2
	s_cbranch_vccnz .LBB199_127
; %bb.126:
	s_wait_loadcnt 0x0
	global_load_b32 v1, v[6:7], off
	s_wait_loadcnt 0x0
	v_bfe_u32 v3, v1, 16, 1
	v_cmp_o_f32_e32 vcc_lo, v1, v1
	s_delay_alu instid0(VALU_DEP_2) | instskip(NEXT) | instid1(VALU_DEP_1)
	v_add3_u32 v3, v1, v3, 0x7fff
	v_lshrrev_b32_e32 v3, 16, v3
	s_delay_alu instid0(VALU_DEP_1)
	v_cndmask_b32_e32 v1, 0x7fc0, v3, vcc_lo
.LBB199_127:
	s_mov_b32 s2, 0
.LBB199_128:
	s_delay_alu instid0(SALU_CYCLE_1)
	s_and_not1_b32 vcc_lo, exec_lo, s2
	s_cbranch_vccnz .LBB199_130
; %bb.129:
	s_wait_loadcnt 0x0
	global_load_b32 v1, v[6:7], off
	s_wait_loadcnt 0x0
	v_cvt_f32_f16_e32 v3, v1
	v_cmp_o_f16_e32 vcc_lo, v1, v1
	s_delay_alu instid0(VALU_DEP_2) | instskip(NEXT) | instid1(VALU_DEP_1)
	v_bfe_u32 v5, v3, 16, 1
	v_add3_u32 v3, v3, v5, 0x7fff
	s_delay_alu instid0(VALU_DEP_1) | instskip(NEXT) | instid1(VALU_DEP_1)
	v_lshrrev_b32_e32 v3, 16, v3
	v_cndmask_b32_e32 v1, 0x7fc0, v3, vcc_lo
.LBB199_130:
	s_mov_b32 s2, 0
.LBB199_131:
	s_delay_alu instid0(SALU_CYCLE_1)
	s_and_not1_b32 vcc_lo, exec_lo, s2
	s_cbranch_vccnz .LBB199_142
; %bb.132:
	s_cmp_lt_i32 s1, 6
	s_cbranch_scc1 .LBB199_135
; %bb.133:
	s_cmp_gt_i32 s1, 6
	s_cbranch_scc0 .LBB199_136
; %bb.134:
	global_load_b64 v[8:9], v[6:7], off
	s_mov_b32 s2, 0
	s_wait_loadcnt 0x0
	v_cvt_f32_f64_e32 v1, v[8:9]
	s_delay_alu instid0(VALU_DEP_1) | instskip(SKIP_1) | instid1(VALU_DEP_2)
	v_bfe_u32 v3, v1, 16, 1
	v_cmp_o_f32_e32 vcc_lo, v1, v1
	v_add3_u32 v3, v1, v3, 0x7fff
	s_delay_alu instid0(VALU_DEP_1) | instskip(NEXT) | instid1(VALU_DEP_1)
	v_lshrrev_b32_e32 v3, 16, v3
	v_cndmask_b32_e32 v1, 0x7fc0, v3, vcc_lo
	s_branch .LBB199_137
.LBB199_135:
	s_mov_b32 s2, -1
                                        ; implicit-def: $vgpr1
	s_branch .LBB199_140
.LBB199_136:
	s_mov_b32 s2, -1
                                        ; implicit-def: $vgpr1
.LBB199_137:
	s_delay_alu instid0(SALU_CYCLE_1)
	s_and_not1_b32 vcc_lo, exec_lo, s2
	s_cbranch_vccnz .LBB199_139
; %bb.138:
	s_wait_loadcnt 0x0
	global_load_b32 v1, v[6:7], off
	s_wait_loadcnt 0x0
	v_bfe_u32 v3, v1, 16, 1
	v_cmp_o_f32_e32 vcc_lo, v1, v1
	s_delay_alu instid0(VALU_DEP_2) | instskip(NEXT) | instid1(VALU_DEP_1)
	v_add3_u32 v3, v1, v3, 0x7fff
	v_lshrrev_b32_e32 v3, 16, v3
	s_delay_alu instid0(VALU_DEP_1)
	v_cndmask_b32_e32 v1, 0x7fc0, v3, vcc_lo
.LBB199_139:
	s_mov_b32 s2, 0
.LBB199_140:
	s_delay_alu instid0(SALU_CYCLE_1)
	s_and_not1_b32 vcc_lo, exec_lo, s2
	s_cbranch_vccnz .LBB199_142
; %bb.141:
	s_wait_loadcnt 0x0
	global_load_u16 v1, v[6:7], off
	s_wait_loadcnt 0x0
	v_cvt_f32_f16_e32 v3, v1
	v_cmp_o_f16_e32 vcc_lo, v1, v1
	s_delay_alu instid0(VALU_DEP_2) | instskip(NEXT) | instid1(VALU_DEP_1)
	v_bfe_u32 v5, v3, 16, 1
	v_add3_u32 v3, v3, v5, 0x7fff
	s_delay_alu instid0(VALU_DEP_1) | instskip(NEXT) | instid1(VALU_DEP_1)
	v_lshrrev_b32_e32 v3, 16, v3
	v_cndmask_b32_e32 v1, 0x7fc0, v3, vcc_lo
.LBB199_142:
	s_cbranch_execnz .LBB199_162
.LBB199_143:
	s_cmp_lt_i32 s1, 2
	s_cbranch_scc1 .LBB199_147
; %bb.144:
	s_cmp_lt_i32 s1, 3
	s_cbranch_scc1 .LBB199_148
; %bb.145:
	s_cmp_gt_i32 s1, 3
	s_cbranch_scc0 .LBB199_149
; %bb.146:
	global_load_b64 v[8:9], v[6:7], off
	s_mov_b32 s2, 0
	s_wait_loadcnt 0x0
	v_xor_b32_e32 v1, v8, v9
	v_cls_i32_e32 v3, v9
	s_delay_alu instid0(VALU_DEP_2) | instskip(NEXT) | instid1(VALU_DEP_1)
	v_ashrrev_i32_e32 v1, 31, v1
	v_add_nc_u32_e32 v1, 32, v1
	s_delay_alu instid0(VALU_DEP_1) | instskip(NEXT) | instid1(VALU_DEP_1)
	v_add_min_u32_e64 v1, v3, -1, v1
	v_lshlrev_b64_e32 v[8:9], v1, v[8:9]
	v_sub_nc_u32_e32 v1, 32, v1
	s_delay_alu instid0(VALU_DEP_2) | instskip(NEXT) | instid1(VALU_DEP_1)
	v_min_u32_e32 v3, 1, v8
	v_or_b32_e32 v3, v9, v3
	s_delay_alu instid0(VALU_DEP_1) | instskip(NEXT) | instid1(VALU_DEP_1)
	v_cvt_f32_i32_e32 v3, v3
	v_ldexp_f32 v1, v3, v1
	s_delay_alu instid0(VALU_DEP_1) | instskip(NEXT) | instid1(VALU_DEP_1)
	v_bfe_u32 v3, v1, 16, 1
	v_add3_u32 v1, v1, v3, 0x7fff
	s_delay_alu instid0(VALU_DEP_1)
	v_lshrrev_b32_e32 v1, 16, v1
	s_branch .LBB199_150
.LBB199_147:
	s_mov_b32 s2, -1
                                        ; implicit-def: $vgpr1
	s_branch .LBB199_156
.LBB199_148:
	s_mov_b32 s2, -1
                                        ; implicit-def: $vgpr1
	s_branch .LBB199_153
.LBB199_149:
	s_mov_b32 s2, -1
                                        ; implicit-def: $vgpr1
.LBB199_150:
	s_delay_alu instid0(SALU_CYCLE_1)
	s_and_not1_b32 vcc_lo, exec_lo, s2
	s_cbranch_vccnz .LBB199_152
; %bb.151:
	s_wait_loadcnt 0x0
	global_load_b32 v1, v[6:7], off
	s_wait_loadcnt 0x0
	v_cvt_f32_i32_e32 v1, v1
	s_delay_alu instid0(VALU_DEP_1) | instskip(NEXT) | instid1(VALU_DEP_1)
	v_bfe_u32 v3, v1, 16, 1
	v_add3_u32 v1, v1, v3, 0x7fff
	s_delay_alu instid0(VALU_DEP_1)
	v_lshrrev_b32_e32 v1, 16, v1
.LBB199_152:
	s_mov_b32 s2, 0
.LBB199_153:
	s_delay_alu instid0(SALU_CYCLE_1)
	s_and_not1_b32 vcc_lo, exec_lo, s2
	s_cbranch_vccnz .LBB199_155
; %bb.154:
	s_wait_loadcnt 0x0
	global_load_i16 v1, v[6:7], off
	s_wait_loadcnt 0x0
	v_cvt_f32_i32_e32 v1, v1
	s_delay_alu instid0(VALU_DEP_1) | instskip(NEXT) | instid1(VALU_DEP_1)
	v_bfe_u32 v3, v1, 16, 1
	v_add3_u32 v1, v1, v3, 0x7fff
	s_delay_alu instid0(VALU_DEP_1)
	v_lshrrev_b32_e32 v1, 16, v1
.LBB199_155:
	s_mov_b32 s2, 0
.LBB199_156:
	s_delay_alu instid0(SALU_CYCLE_1)
	s_and_not1_b32 vcc_lo, exec_lo, s2
	s_cbranch_vccnz .LBB199_162
; %bb.157:
	s_cmp_gt_i32 s1, 0
	s_mov_b32 s1, 0
	s_cbranch_scc0 .LBB199_159
; %bb.158:
	s_wait_loadcnt 0x0
	global_load_i8 v1, v[6:7], off
	s_wait_loadcnt 0x0
	v_cvt_f32_i32_e32 v1, v1
	s_delay_alu instid0(VALU_DEP_1) | instskip(NEXT) | instid1(VALU_DEP_1)
	v_bfe_u32 v3, v1, 16, 1
	v_add3_u32 v1, v1, v3, 0x7fff
	s_delay_alu instid0(VALU_DEP_1)
	v_lshrrev_b32_e32 v1, 16, v1
	s_branch .LBB199_160
.LBB199_159:
	s_mov_b32 s1, -1
                                        ; implicit-def: $vgpr1
.LBB199_160:
	s_delay_alu instid0(SALU_CYCLE_1)
	s_and_not1_b32 vcc_lo, exec_lo, s1
	s_cbranch_vccnz .LBB199_162
; %bb.161:
	s_wait_loadcnt 0x0
	global_load_u8 v1, v[6:7], off
	s_wait_loadcnt 0x0
	v_cvt_f32_ubyte0_e32 v1, v1
	s_delay_alu instid0(VALU_DEP_1) | instskip(NEXT) | instid1(VALU_DEP_1)
	v_bfe_u32 v3, v1, 16, 1
	v_add3_u32 v1, v1, v3, 0x7fff
	s_delay_alu instid0(VALU_DEP_1)
	v_lshrrev_b32_e32 v1, 16, v1
.LBB199_162:
	s_branch .LBB199_22
.LBB199_163:
	s_mov_b32 s2, 0
	s_mov_b32 s29, 0
	s_branch .LBB199_391
.LBB199_164:
	s_mov_b32 s29, -1
.LBB199_165:
	s_mov_b32 s10, 0
                                        ; implicit-def: $vgpr3
.LBB199_166:
	s_and_b32 vcc_lo, exec_lo, s41
	s_cbranch_vccz .LBB199_281
; %bb.167:
	s_cmp_eq_u32 s2, 44
	s_cbranch_scc0 .LBB199_280
; %bb.168:
	s_wait_loadcnt 0x0
	global_load_u8 v3, v[4:5], off
	s_mov_b32 s29, 0
	s_mov_b32 s10, -1
	s_wait_loadcnt 0x0
	v_lshlrev_b32_e32 v6, 23, v3
	v_cmp_ne_u32_e32 vcc_lo, 0xff, v3
	s_delay_alu instid0(VALU_DEP_2) | instskip(SKIP_1) | instid1(VALU_DEP_2)
	v_cndmask_b32_e32 v6, 0x7f800001, v6, vcc_lo
	v_cmp_ne_u32_e32 vcc_lo, 0, v3
	v_cndmask_b32_e32 v3, 0x400000, v6, vcc_lo
	s_delay_alu instid0(VALU_DEP_1) | instskip(NEXT) | instid1(VALU_DEP_1)
	v_add_nc_u32_e32 v6, 0x7fff, v3
	v_lshrrev_b32_e32 v6, 16, v6
	v_cmp_o_f32_e32 vcc_lo, v3, v3
	s_delay_alu instid0(VALU_DEP_2)
	v_cndmask_b32_e32 v3, 0x7fc0, v6, vcc_lo
	s_branch .LBB199_281
.LBB199_169:
	s_mov_b32 s44, -1
	s_mov_b32 s2, 0
	s_mov_b32 s42, 0
.LBB199_170:
	s_and_b32 vcc_lo, exec_lo, s44
	s_cbranch_vccz .LBB199_175
; %bb.171:
	s_cmp_eq_u32 s41, 44
	s_mov_b32 s2, -1
	s_cbranch_scc0 .LBB199_175
; %bb.172:
	v_cndmask_b32_e64 v5, 0, 1.0, s1
	s_mov_b32 s42, exec_lo
	s_wait_xcnt 0x0
	s_delay_alu instid0(VALU_DEP_1) | instskip(NEXT) | instid1(VALU_DEP_1)
	v_dual_mov_b32 v4, 0xff :: v_dual_lshrrev_b32 v1, 23, v5
	v_cmpx_ne_u32_e32 0xff, v1
; %bb.173:
	v_and_b32_e32 v4, 0x400000, v5
	v_and_or_b32 v5, 0x3fffff, v5, v1
	s_delay_alu instid0(VALU_DEP_2) | instskip(NEXT) | instid1(VALU_DEP_2)
	v_cmp_ne_u32_e32 vcc_lo, 0, v4
	v_cmp_ne_u32_e64 s2, 0, v5
	s_and_b32 s2, vcc_lo, s2
	s_delay_alu instid0(SALU_CYCLE_1) | instskip(NEXT) | instid1(VALU_DEP_1)
	v_cndmask_b32_e64 v4, 0, 1, s2
	v_add_nc_u32_e32 v4, v1, v4
; %bb.174:
	s_or_b32 exec_lo, exec_lo, s42
	s_mov_b32 s42, -1
	s_mov_b32 s2, 0
	global_store_b8 v[2:3], v4, off
.LBB199_175:
	s_mov_b32 s44, 0
.LBB199_176:
	s_delay_alu instid0(SALU_CYCLE_1)
	s_and_b32 vcc_lo, exec_lo, s44
	s_cbranch_vccz .LBB199_179
; %bb.177:
	s_cmp_eq_u32 s41, 29
	s_mov_b32 s2, -1
	s_cbranch_scc0 .LBB199_179
; %bb.178:
	s_mov_b32 s2, 0
	s_wait_xcnt 0x0
	v_cndmask_b32_e64 v4, 0, 1, s1
	v_mov_b32_e32 v5, s2
	s_mov_b32 s42, -1
	s_mov_b32 s44, 0
	global_store_b64 v[2:3], v[4:5], off
	s_branch .LBB199_180
.LBB199_179:
	s_mov_b32 s44, 0
.LBB199_180:
	s_delay_alu instid0(SALU_CYCLE_1)
	s_and_b32 vcc_lo, exec_lo, s44
	s_cbranch_vccz .LBB199_196
; %bb.181:
	s_cmp_lt_i32 s41, 27
	s_mov_b32 s42, -1
	s_cbranch_scc1 .LBB199_187
; %bb.182:
	s_cmp_gt_i32 s41, 27
	s_cbranch_scc0 .LBB199_184
; %bb.183:
	s_wait_xcnt 0x0
	v_cndmask_b32_e64 v1, 0, 1, s1
	s_mov_b32 s42, 0
	global_store_b32 v[2:3], v1, off
.LBB199_184:
	s_and_not1_b32 vcc_lo, exec_lo, s42
	s_cbranch_vccnz .LBB199_186
; %bb.185:
	s_wait_xcnt 0x0
	v_cndmask_b32_e64 v1, 0, 1, s1
	global_store_b16 v[2:3], v1, off
.LBB199_186:
	s_mov_b32 s42, 0
.LBB199_187:
	s_delay_alu instid0(SALU_CYCLE_1)
	s_and_not1_b32 vcc_lo, exec_lo, s42
	s_cbranch_vccnz .LBB199_195
; %bb.188:
	s_wait_xcnt 0x0
	v_cndmask_b32_e64 v4, 0, 1.0, s1
	v_mov_b32_e32 v5, 0x80
	s_mov_b32 s42, exec_lo
	s_delay_alu instid0(VALU_DEP_2)
	v_cmpx_gt_u32_e32 0x43800000, v4
	s_cbranch_execz .LBB199_194
; %bb.189:
	s_mov_b32 s44, 0
	s_mov_b32 s45, exec_lo
                                        ; implicit-def: $vgpr1
	v_cmpx_lt_u32_e32 0x3bffffff, v4
	s_xor_b32 s45, exec_lo, s45
	s_cbranch_execz .LBB199_433
; %bb.190:
	v_bfe_u32 v1, v4, 20, 1
	s_mov_b32 s44, exec_lo
	s_delay_alu instid0(VALU_DEP_1) | instskip(NEXT) | instid1(VALU_DEP_1)
	v_add3_u32 v1, v4, v1, 0x487ffff
                                        ; implicit-def: $vgpr4
	v_lshrrev_b32_e32 v1, 20, v1
	s_and_not1_saveexec_b32 s45, s45
	s_cbranch_execnz .LBB199_434
.LBB199_191:
	s_or_b32 exec_lo, exec_lo, s45
	v_mov_b32_e32 v5, 0
	s_and_saveexec_b32 s45, s44
.LBB199_192:
	v_mov_b32_e32 v5, v1
.LBB199_193:
	s_or_b32 exec_lo, exec_lo, s45
.LBB199_194:
	s_delay_alu instid0(SALU_CYCLE_1)
	s_or_b32 exec_lo, exec_lo, s42
	global_store_b8 v[2:3], v5, off
.LBB199_195:
	s_mov_b32 s42, -1
.LBB199_196:
	s_mov_b32 s44, 0
.LBB199_197:
	s_delay_alu instid0(SALU_CYCLE_1)
	s_and_b32 vcc_lo, exec_lo, s44
	s_cbranch_vccz .LBB199_238
; %bb.198:
	s_cmp_gt_i32 s41, 22
	s_mov_b32 s44, -1
	s_cbranch_scc0 .LBB199_230
; %bb.199:
	s_cmp_lt_i32 s41, 24
	s_mov_b32 s42, -1
	s_cbranch_scc1 .LBB199_219
; %bb.200:
	s_cmp_gt_i32 s41, 24
	s_cbranch_scc0 .LBB199_208
; %bb.201:
	s_wait_xcnt 0x0
	v_cndmask_b32_e64 v4, 0, 1.0, s1
	v_mov_b32_e32 v5, 0x80
	s_mov_b32 s42, exec_lo
	s_delay_alu instid0(VALU_DEP_2)
	v_cmpx_gt_u32_e32 0x47800000, v4
	s_cbranch_execz .LBB199_207
; %bb.202:
	s_mov_b32 s44, 0
	s_mov_b32 s45, exec_lo
                                        ; implicit-def: $vgpr1
	v_cmpx_lt_u32_e32 0x37ffffff, v4
	s_xor_b32 s45, exec_lo, s45
	s_cbranch_execz .LBB199_552
; %bb.203:
	v_bfe_u32 v1, v4, 21, 1
	s_mov_b32 s44, exec_lo
	s_delay_alu instid0(VALU_DEP_1) | instskip(NEXT) | instid1(VALU_DEP_1)
	v_add3_u32 v1, v4, v1, 0x88fffff
                                        ; implicit-def: $vgpr4
	v_lshrrev_b32_e32 v1, 21, v1
	s_and_not1_saveexec_b32 s45, s45
	s_cbranch_execnz .LBB199_553
.LBB199_204:
	s_or_b32 exec_lo, exec_lo, s45
	v_mov_b32_e32 v5, 0
	s_and_saveexec_b32 s45, s44
.LBB199_205:
	v_mov_b32_e32 v5, v1
.LBB199_206:
	s_or_b32 exec_lo, exec_lo, s45
.LBB199_207:
	s_delay_alu instid0(SALU_CYCLE_1)
	s_or_b32 exec_lo, exec_lo, s42
	s_mov_b32 s42, 0
	global_store_b8 v[2:3], v5, off
.LBB199_208:
	s_and_b32 vcc_lo, exec_lo, s42
	s_cbranch_vccz .LBB199_218
; %bb.209:
	s_wait_xcnt 0x0
	v_cndmask_b32_e64 v4, 0, 1.0, s1
	s_mov_b32 s42, exec_lo
                                        ; implicit-def: $vgpr1
	s_delay_alu instid0(VALU_DEP_1)
	v_cmpx_gt_u32_e32 0x43f00000, v4
	s_xor_b32 s42, exec_lo, s42
	s_cbranch_execz .LBB199_215
; %bb.210:
	s_mov_b32 s44, exec_lo
                                        ; implicit-def: $vgpr1
	v_cmpx_lt_u32_e32 0x3c7fffff, v4
	s_xor_b32 s44, exec_lo, s44
; %bb.211:
	v_bfe_u32 v1, v4, 20, 1
	s_delay_alu instid0(VALU_DEP_1) | instskip(NEXT) | instid1(VALU_DEP_1)
	v_add3_u32 v1, v4, v1, 0x407ffff
	v_and_b32_e32 v4, 0xff00000, v1
	v_lshrrev_b32_e32 v1, 20, v1
	s_delay_alu instid0(VALU_DEP_2) | instskip(NEXT) | instid1(VALU_DEP_2)
	v_cmp_ne_u32_e32 vcc_lo, 0x7f00000, v4
                                        ; implicit-def: $vgpr4
	v_cndmask_b32_e32 v1, 0x7e, v1, vcc_lo
; %bb.212:
	s_and_not1_saveexec_b32 s44, s44
; %bb.213:
	v_add_f32_e32 v1, 0x46800000, v4
; %bb.214:
	s_or_b32 exec_lo, exec_lo, s44
                                        ; implicit-def: $vgpr4
.LBB199_215:
	s_and_not1_saveexec_b32 s42, s42
; %bb.216:
	v_mov_b32_e32 v1, 0x7f
	v_cmp_lt_u32_e32 vcc_lo, 0x7f800000, v4
	s_delay_alu instid0(VALU_DEP_2)
	v_cndmask_b32_e32 v1, 0x7e, v1, vcc_lo
; %bb.217:
	s_or_b32 exec_lo, exec_lo, s42
	global_store_b8 v[2:3], v1, off
.LBB199_218:
	s_mov_b32 s42, 0
.LBB199_219:
	s_delay_alu instid0(SALU_CYCLE_1)
	s_and_not1_b32 vcc_lo, exec_lo, s42
	s_cbranch_vccnz .LBB199_229
; %bb.220:
	s_wait_xcnt 0x0
	v_cndmask_b32_e64 v4, 0, 1.0, s1
	s_mov_b32 s42, exec_lo
                                        ; implicit-def: $vgpr1
	s_delay_alu instid0(VALU_DEP_1)
	v_cmpx_gt_u32_e32 0x47800000, v4
	s_xor_b32 s42, exec_lo, s42
	s_cbranch_execz .LBB199_226
; %bb.221:
	s_mov_b32 s44, exec_lo
                                        ; implicit-def: $vgpr1
	v_cmpx_lt_u32_e32 0x387fffff, v4
	s_xor_b32 s44, exec_lo, s44
; %bb.222:
	v_bfe_u32 v1, v4, 21, 1
	s_delay_alu instid0(VALU_DEP_1) | instskip(NEXT) | instid1(VALU_DEP_1)
	v_add3_u32 v1, v4, v1, 0x80fffff
                                        ; implicit-def: $vgpr4
	v_lshrrev_b32_e32 v1, 21, v1
; %bb.223:
	s_and_not1_saveexec_b32 s44, s44
; %bb.224:
	v_add_f32_e32 v1, 0x43000000, v4
; %bb.225:
	s_or_b32 exec_lo, exec_lo, s44
                                        ; implicit-def: $vgpr4
.LBB199_226:
	s_and_not1_saveexec_b32 s42, s42
; %bb.227:
	v_mov_b32_e32 v1, 0x7f
	v_cmp_lt_u32_e32 vcc_lo, 0x7f800000, v4
	s_delay_alu instid0(VALU_DEP_2)
	v_cndmask_b32_e32 v1, 0x7c, v1, vcc_lo
; %bb.228:
	s_or_b32 exec_lo, exec_lo, s42
	global_store_b8 v[2:3], v1, off
.LBB199_229:
	s_mov_b32 s44, 0
	s_mov_b32 s42, -1
.LBB199_230:
	s_and_not1_b32 vcc_lo, exec_lo, s44
	s_cbranch_vccnz .LBB199_238
; %bb.231:
	s_cmp_gt_i32 s41, 14
	s_mov_b32 s44, -1
	s_cbranch_scc0 .LBB199_235
; %bb.232:
	s_cmp_eq_u32 s41, 15
	s_mov_b32 s2, -1
	s_cbranch_scc0 .LBB199_234
; %bb.233:
	s_wait_xcnt 0x0
	v_cndmask_b32_e64 v1, 0, 1.0, s1
	s_mov_b32 s42, -1
	s_mov_b32 s2, 0
	s_delay_alu instid0(VALU_DEP_1) | instskip(NEXT) | instid1(VALU_DEP_1)
	v_bfe_u32 v4, v1, 16, 1
	v_add3_u32 v1, v1, v4, 0x7fff
	global_store_d16_hi_b16 v[2:3], v1, off
.LBB199_234:
	s_mov_b32 s44, 0
.LBB199_235:
	s_delay_alu instid0(SALU_CYCLE_1)
	s_and_b32 vcc_lo, exec_lo, s44
	s_cbranch_vccz .LBB199_238
; %bb.236:
	s_cmp_eq_u32 s41, 11
	s_mov_b32 s2, -1
	s_cbranch_scc0 .LBB199_238
; %bb.237:
	s_wait_xcnt 0x0
	v_cndmask_b32_e64 v1, 0, 1, s1
	s_mov_b32 s42, -1
	s_mov_b32 s2, 0
	global_store_b8 v[2:3], v1, off
.LBB199_238:
	s_mov_b32 s41, 0
.LBB199_239:
	s_delay_alu instid0(SALU_CYCLE_1)
	s_and_b32 vcc_lo, exec_lo, s41
	s_cbranch_vccz .LBB199_278
; %bb.240:
	s_and_b32 s10, 0xffff, s10
	s_mov_b32 s41, -1
	s_cmp_lt_i32 s10, 5
	s_cbranch_scc1 .LBB199_261
; %bb.241:
	s_cmp_lt_i32 s10, 8
	s_cbranch_scc1 .LBB199_251
; %bb.242:
	;; [unrolled: 3-line block ×3, first 2 shown]
	s_cmp_gt_i32 s10, 9
	s_cbranch_scc0 .LBB199_245
; %bb.244:
	s_wait_xcnt 0x0
	v_cndmask_b32_e64 v1, 0, 1, s1
	v_mov_b32_e32 v6, 0
	s_mov_b32 s41, 0
	s_delay_alu instid0(VALU_DEP_2) | instskip(NEXT) | instid1(VALU_DEP_2)
	v_cvt_f64_u32_e32 v[4:5], v1
	v_mov_b32_e32 v7, v6
	global_store_b128 v[2:3], v[4:7], off
.LBB199_245:
	s_and_not1_b32 vcc_lo, exec_lo, s41
	s_cbranch_vccnz .LBB199_247
; %bb.246:
	s_wait_xcnt 0x0
	v_cndmask_b32_e64 v4, 0, 1.0, s1
	v_mov_b32_e32 v5, 0
	global_store_b64 v[2:3], v[4:5], off
.LBB199_247:
	s_mov_b32 s41, 0
.LBB199_248:
	s_delay_alu instid0(SALU_CYCLE_1)
	s_and_not1_b32 vcc_lo, exec_lo, s41
	s_cbranch_vccnz .LBB199_250
; %bb.249:
	s_wait_xcnt 0x0
	v_cndmask_b32_e64 v1, 0, 1.0, s1
	s_delay_alu instid0(VALU_DEP_1) | instskip(NEXT) | instid1(VALU_DEP_1)
	v_cvt_f16_f32_e32 v1, v1
	v_and_b32_e32 v1, 0xffff, v1
	global_store_b32 v[2:3], v1, off
.LBB199_250:
	s_mov_b32 s41, 0
.LBB199_251:
	s_delay_alu instid0(SALU_CYCLE_1)
	s_and_not1_b32 vcc_lo, exec_lo, s41
	s_cbranch_vccnz .LBB199_260
; %bb.252:
	s_cmp_lt_i32 s10, 6
	s_mov_b32 s41, -1
	s_cbranch_scc1 .LBB199_258
; %bb.253:
	s_cmp_gt_i32 s10, 6
	s_cbranch_scc0 .LBB199_255
; %bb.254:
	s_wait_xcnt 0x0
	v_cndmask_b32_e64 v1, 0, 1, s1
	s_mov_b32 s41, 0
	s_delay_alu instid0(VALU_DEP_1)
	v_cvt_f64_u32_e32 v[4:5], v1
	global_store_b64 v[2:3], v[4:5], off
.LBB199_255:
	s_and_not1_b32 vcc_lo, exec_lo, s41
	s_cbranch_vccnz .LBB199_257
; %bb.256:
	s_wait_xcnt 0x0
	v_cndmask_b32_e64 v1, 0, 1.0, s1
	global_store_b32 v[2:3], v1, off
.LBB199_257:
	s_mov_b32 s41, 0
.LBB199_258:
	s_delay_alu instid0(SALU_CYCLE_1)
	s_and_not1_b32 vcc_lo, exec_lo, s41
	s_cbranch_vccnz .LBB199_260
; %bb.259:
	s_wait_xcnt 0x0
	v_cndmask_b32_e64 v1, 0, 1.0, s1
	s_delay_alu instid0(VALU_DEP_1)
	v_cvt_f16_f32_e32 v1, v1
	global_store_b16 v[2:3], v1, off
.LBB199_260:
	s_mov_b32 s41, 0
.LBB199_261:
	s_delay_alu instid0(SALU_CYCLE_1)
	s_and_not1_b32 vcc_lo, exec_lo, s41
	s_cbranch_vccnz .LBB199_277
; %bb.262:
	s_cmp_lt_i32 s10, 2
	s_mov_b32 s41, -1
	s_cbranch_scc1 .LBB199_272
; %bb.263:
	s_cmp_lt_i32 s10, 3
	s_cbranch_scc1 .LBB199_269
; %bb.264:
	s_cmp_gt_i32 s10, 3
	s_cbranch_scc0 .LBB199_266
; %bb.265:
	s_mov_b32 s41, 0
	s_wait_xcnt 0x0
	v_cndmask_b32_e64 v4, 0, 1, s1
	v_mov_b32_e32 v5, s41
	global_store_b64 v[2:3], v[4:5], off
.LBB199_266:
	s_and_not1_b32 vcc_lo, exec_lo, s41
	s_cbranch_vccnz .LBB199_268
; %bb.267:
	s_wait_xcnt 0x0
	v_cndmask_b32_e64 v1, 0, 1, s1
	global_store_b32 v[2:3], v1, off
.LBB199_268:
	s_mov_b32 s41, 0
.LBB199_269:
	s_delay_alu instid0(SALU_CYCLE_1)
	s_and_not1_b32 vcc_lo, exec_lo, s41
	s_cbranch_vccnz .LBB199_271
; %bb.270:
	s_wait_xcnt 0x0
	v_cndmask_b32_e64 v1, 0, 1, s1
	global_store_b16 v[2:3], v1, off
.LBB199_271:
	s_mov_b32 s41, 0
.LBB199_272:
	s_delay_alu instid0(SALU_CYCLE_1)
	s_and_not1_b32 vcc_lo, exec_lo, s41
	s_cbranch_vccnz .LBB199_277
; %bb.273:
	s_cmp_gt_i32 s10, 0
	s_mov_b32 s10, -1
	s_cbranch_scc0 .LBB199_275
; %bb.274:
	s_wait_xcnt 0x0
	v_cndmask_b32_e64 v1, 0, 1, s1
	s_mov_b32 s10, 0
	global_store_b8 v[2:3], v1, off
.LBB199_275:
	s_and_not1_b32 vcc_lo, exec_lo, s10
	s_cbranch_vccnz .LBB199_277
; %bb.276:
	s_wait_xcnt 0x0
	v_cndmask_b32_e64 v1, 0, 1, s1
	global_store_b8 v[2:3], v1, off
.LBB199_277:
	s_mov_b32 s42, -1
.LBB199_278:
	s_delay_alu instid0(SALU_CYCLE_1)
	s_and_not1_b32 vcc_lo, exec_lo, s42
	s_cbranch_vccnz .LBB199_391
; %bb.279:
	v_add_nc_u32_e32 v0, 0x80, v0
	s_mov_b32 s1, -1
	s_branch .LBB199_392
.LBB199_280:
	s_mov_b32 s29, -1
                                        ; implicit-def: $vgpr3
.LBB199_281:
	s_mov_b32 s41, 0
.LBB199_282:
	s_delay_alu instid0(SALU_CYCLE_1)
	s_and_b32 vcc_lo, exec_lo, s41
	s_cbranch_vccz .LBB199_286
; %bb.283:
	s_cmp_eq_u32 s2, 29
	s_cbranch_scc0 .LBB199_285
; %bb.284:
	global_load_b64 v[6:7], v[4:5], off
	s_mov_b32 s10, -1
	s_mov_b32 s29, 0
	s_mov_b32 s41, 0
	s_wait_loadcnt 0x0
	v_clz_i32_u32_e32 v3, v7
	s_delay_alu instid0(VALU_DEP_1) | instskip(NEXT) | instid1(VALU_DEP_1)
	v_min_u32_e32 v3, 32, v3
	v_lshlrev_b64_e32 v[6:7], v3, v[6:7]
	v_sub_nc_u32_e32 v3, 32, v3
	s_delay_alu instid0(VALU_DEP_2) | instskip(NEXT) | instid1(VALU_DEP_1)
	v_min_u32_e32 v6, 1, v6
	v_or_b32_e32 v6, v7, v6
	s_delay_alu instid0(VALU_DEP_1) | instskip(NEXT) | instid1(VALU_DEP_1)
	v_cvt_f32_u32_e32 v6, v6
	v_ldexp_f32 v3, v6, v3
	s_delay_alu instid0(VALU_DEP_1) | instskip(NEXT) | instid1(VALU_DEP_1)
	v_bfe_u32 v6, v3, 16, 1
	v_add3_u32 v3, v3, v6, 0x7fff
	s_delay_alu instid0(VALU_DEP_1)
	v_lshrrev_b32_e32 v3, 16, v3
	s_branch .LBB199_287
.LBB199_285:
	s_mov_b32 s29, -1
                                        ; implicit-def: $vgpr3
.LBB199_286:
	s_mov_b32 s41, 0
.LBB199_287:
	s_delay_alu instid0(SALU_CYCLE_1)
	s_and_b32 vcc_lo, exec_lo, s41
	s_cbranch_vccz .LBB199_305
; %bb.288:
	s_cmp_lt_i32 s2, 27
	s_cbranch_scc1 .LBB199_291
; %bb.289:
	s_cmp_gt_i32 s2, 27
	s_cbranch_scc0 .LBB199_292
; %bb.290:
	s_wait_loadcnt 0x0
	global_load_b32 v3, v[4:5], off
	s_mov_b32 s10, 0
	s_wait_loadcnt 0x0
	v_cvt_f32_u32_e32 v3, v3
	s_delay_alu instid0(VALU_DEP_1) | instskip(NEXT) | instid1(VALU_DEP_1)
	v_bfe_u32 v6, v3, 16, 1
	v_add3_u32 v3, v3, v6, 0x7fff
	s_delay_alu instid0(VALU_DEP_1)
	v_lshrrev_b32_e32 v3, 16, v3
	s_branch .LBB199_293
.LBB199_291:
	s_mov_b32 s10, -1
                                        ; implicit-def: $vgpr3
	s_branch .LBB199_296
.LBB199_292:
	s_mov_b32 s10, -1
                                        ; implicit-def: $vgpr3
.LBB199_293:
	s_delay_alu instid0(SALU_CYCLE_1)
	s_and_not1_b32 vcc_lo, exec_lo, s10
	s_cbranch_vccnz .LBB199_295
; %bb.294:
	s_wait_loadcnt 0x0
	global_load_u16 v3, v[4:5], off
	s_wait_loadcnt 0x0
	v_cvt_f32_u32_e32 v3, v3
	s_delay_alu instid0(VALU_DEP_1) | instskip(NEXT) | instid1(VALU_DEP_1)
	v_bfe_u32 v6, v3, 16, 1
	v_add3_u32 v3, v3, v6, 0x7fff
	s_delay_alu instid0(VALU_DEP_1)
	v_lshrrev_b32_e32 v3, 16, v3
.LBB199_295:
	s_mov_b32 s10, 0
.LBB199_296:
	s_delay_alu instid0(SALU_CYCLE_1)
	s_and_not1_b32 vcc_lo, exec_lo, s10
	s_cbranch_vccnz .LBB199_304
; %bb.297:
	s_wait_loadcnt 0x0
	global_load_u8 v3, v[4:5], off
	s_mov_b32 s10, 0
	s_mov_b32 s41, exec_lo
	s_wait_loadcnt 0x0
	v_cmpx_lt_i16_e32 0x7f, v3
	s_xor_b32 s41, exec_lo, s41
	s_cbranch_execz .LBB199_318
; %bb.298:
	s_mov_b32 s10, -1
	s_mov_b32 s42, exec_lo
	v_cmpx_eq_u16_e32 0x80, v3
; %bb.299:
	s_xor_b32 s10, exec_lo, -1
; %bb.300:
	s_or_b32 exec_lo, exec_lo, s42
	s_delay_alu instid0(SALU_CYCLE_1)
	s_and_b32 s10, s10, exec_lo
	s_or_saveexec_b32 s41, s41
	v_mov_b32_e32 v6, 0x7f800001
	s_xor_b32 exec_lo, exec_lo, s41
	s_cbranch_execnz .LBB199_319
.LBB199_301:
	s_or_b32 exec_lo, exec_lo, s41
	s_and_saveexec_b32 s41, s10
	s_cbranch_execz .LBB199_303
.LBB199_302:
	v_and_b32_e32 v6, 0xffff, v3
	s_delay_alu instid0(VALU_DEP_1) | instskip(SKIP_1) | instid1(VALU_DEP_2)
	v_and_b32_e32 v7, 7, v6
	v_bfe_u32 v10, v6, 3, 4
	v_clz_i32_u32_e32 v8, v7
	s_delay_alu instid0(VALU_DEP_2) | instskip(NEXT) | instid1(VALU_DEP_2)
	v_cmp_eq_u32_e32 vcc_lo, 0, v10
	v_min_u32_e32 v8, 32, v8
	s_delay_alu instid0(VALU_DEP_1) | instskip(NEXT) | instid1(VALU_DEP_1)
	v_subrev_nc_u32_e32 v9, 28, v8
	v_dual_lshlrev_b32 v6, v9, v6 :: v_dual_sub_nc_u32 v8, 29, v8
	s_delay_alu instid0(VALU_DEP_1) | instskip(NEXT) | instid1(VALU_DEP_1)
	v_dual_lshlrev_b32 v3, 24, v3 :: v_dual_bitop2_b32 v6, 7, v6 bitop3:0x40
	v_dual_cndmask_b32 v8, v10, v8, vcc_lo :: v_dual_cndmask_b32 v6, v7, v6, vcc_lo
	s_delay_alu instid0(VALU_DEP_2) | instskip(NEXT) | instid1(VALU_DEP_2)
	v_and_b32_e32 v3, 0x80000000, v3
	v_lshl_add_u32 v7, v8, 23, 0x3b800000
	s_delay_alu instid0(VALU_DEP_3) | instskip(NEXT) | instid1(VALU_DEP_1)
	v_lshlrev_b32_e32 v6, 20, v6
	v_or3_b32 v6, v3, v7, v6
.LBB199_303:
	s_or_b32 exec_lo, exec_lo, s41
	s_delay_alu instid0(VALU_DEP_1) | instskip(SKIP_1) | instid1(VALU_DEP_2)
	v_bfe_u32 v3, v6, 16, 1
	v_cmp_o_f32_e32 vcc_lo, v6, v6
	v_add3_u32 v3, v6, v3, 0x7fff
	s_delay_alu instid0(VALU_DEP_1) | instskip(NEXT) | instid1(VALU_DEP_1)
	v_lshrrev_b32_e32 v3, 16, v3
	v_cndmask_b32_e32 v3, 0x7fc0, v3, vcc_lo
.LBB199_304:
	s_mov_b32 s10, -1
.LBB199_305:
	s_mov_b32 s41, 0
.LBB199_306:
	s_delay_alu instid0(SALU_CYCLE_1)
	s_and_b32 vcc_lo, exec_lo, s41
	s_cbranch_vccz .LBB199_341
; %bb.307:
	s_cmp_gt_i32 s2, 22
	s_cbranch_scc0 .LBB199_317
; %bb.308:
	s_cmp_lt_i32 s2, 24
	s_cbranch_scc1 .LBB199_320
; %bb.309:
	s_cmp_gt_i32 s2, 24
	s_cbranch_scc0 .LBB199_321
; %bb.310:
	s_wait_loadcnt 0x0
	global_load_u8 v3, v[4:5], off
	s_mov_b32 s10, 0
	s_mov_b32 s41, exec_lo
	s_wait_loadcnt 0x0
	v_cmpx_lt_i16_e32 0x7f, v3
	s_xor_b32 s41, exec_lo, s41
	s_cbranch_execz .LBB199_333
; %bb.311:
	s_mov_b32 s10, -1
	s_mov_b32 s42, exec_lo
	v_cmpx_eq_u16_e32 0x80, v3
; %bb.312:
	s_xor_b32 s10, exec_lo, -1
; %bb.313:
	s_or_b32 exec_lo, exec_lo, s42
	s_delay_alu instid0(SALU_CYCLE_1)
	s_and_b32 s10, s10, exec_lo
	s_or_saveexec_b32 s41, s41
	v_mov_b32_e32 v6, 0x7f800001
	s_xor_b32 exec_lo, exec_lo, s41
	s_cbranch_execnz .LBB199_334
.LBB199_314:
	s_or_b32 exec_lo, exec_lo, s41
	s_and_saveexec_b32 s41, s10
	s_cbranch_execz .LBB199_316
.LBB199_315:
	v_and_b32_e32 v6, 0xffff, v3
	s_delay_alu instid0(VALU_DEP_1) | instskip(SKIP_1) | instid1(VALU_DEP_2)
	v_and_b32_e32 v7, 3, v6
	v_bfe_u32 v10, v6, 2, 5
	v_clz_i32_u32_e32 v8, v7
	s_delay_alu instid0(VALU_DEP_2) | instskip(NEXT) | instid1(VALU_DEP_2)
	v_cmp_eq_u32_e32 vcc_lo, 0, v10
	v_min_u32_e32 v8, 32, v8
	s_delay_alu instid0(VALU_DEP_1) | instskip(NEXT) | instid1(VALU_DEP_1)
	v_subrev_nc_u32_e32 v9, 29, v8
	v_dual_lshlrev_b32 v6, v9, v6 :: v_dual_sub_nc_u32 v8, 30, v8
	s_delay_alu instid0(VALU_DEP_1) | instskip(NEXT) | instid1(VALU_DEP_1)
	v_dual_lshlrev_b32 v3, 24, v3 :: v_dual_bitop2_b32 v6, 3, v6 bitop3:0x40
	v_dual_cndmask_b32 v8, v10, v8, vcc_lo :: v_dual_cndmask_b32 v6, v7, v6, vcc_lo
	s_delay_alu instid0(VALU_DEP_2) | instskip(NEXT) | instid1(VALU_DEP_2)
	v_and_b32_e32 v3, 0x80000000, v3
	v_lshl_add_u32 v7, v8, 23, 0x37800000
	s_delay_alu instid0(VALU_DEP_3) | instskip(NEXT) | instid1(VALU_DEP_1)
	v_lshlrev_b32_e32 v6, 21, v6
	v_or3_b32 v6, v3, v7, v6
.LBB199_316:
	s_or_b32 exec_lo, exec_lo, s41
	s_delay_alu instid0(VALU_DEP_1) | instskip(SKIP_2) | instid1(VALU_DEP_2)
	v_bfe_u32 v3, v6, 16, 1
	v_cmp_o_f32_e32 vcc_lo, v6, v6
	s_mov_b32 s10, 0
	v_add3_u32 v3, v6, v3, 0x7fff
	s_delay_alu instid0(VALU_DEP_1) | instskip(NEXT) | instid1(VALU_DEP_1)
	v_lshrrev_b32_e32 v3, 16, v3
	v_cndmask_b32_e32 v3, 0x7fc0, v3, vcc_lo
	s_branch .LBB199_322
.LBB199_317:
	s_mov_b32 s41, -1
                                        ; implicit-def: $vgpr3
	s_branch .LBB199_328
.LBB199_318:
	s_or_saveexec_b32 s41, s41
	v_mov_b32_e32 v6, 0x7f800001
	s_xor_b32 exec_lo, exec_lo, s41
	s_cbranch_execz .LBB199_301
.LBB199_319:
	v_cmp_ne_u16_e32 vcc_lo, 0, v3
	v_mov_b32_e32 v6, 0
	s_and_not1_b32 s10, s10, exec_lo
	s_and_b32 s42, vcc_lo, exec_lo
	s_delay_alu instid0(SALU_CYCLE_1)
	s_or_b32 s10, s10, s42
	s_or_b32 exec_lo, exec_lo, s41
	s_and_saveexec_b32 s41, s10
	s_cbranch_execnz .LBB199_302
	s_branch .LBB199_303
.LBB199_320:
	s_mov_b32 s10, -1
                                        ; implicit-def: $vgpr3
	s_branch .LBB199_325
.LBB199_321:
	s_mov_b32 s10, -1
                                        ; implicit-def: $vgpr3
.LBB199_322:
	s_delay_alu instid0(SALU_CYCLE_1)
	s_and_b32 vcc_lo, exec_lo, s10
	s_cbranch_vccz .LBB199_324
; %bb.323:
	s_wait_loadcnt 0x0
	global_load_u8 v3, v[4:5], off
	s_wait_loadcnt 0x0
	v_lshlrev_b32_e32 v3, 24, v3
	s_delay_alu instid0(VALU_DEP_1) | instskip(NEXT) | instid1(VALU_DEP_1)
	v_and_b32_e32 v6, 0x7f000000, v3
	v_clz_i32_u32_e32 v7, v6
	v_cmp_ne_u32_e32 vcc_lo, 0, v6
	v_add_nc_u32_e32 v9, 0x1000000, v6
	s_delay_alu instid0(VALU_DEP_3) | instskip(NEXT) | instid1(VALU_DEP_1)
	v_min_u32_e32 v7, 32, v7
	v_sub_nc_u32_e64 v7, v7, 4 clamp
	s_delay_alu instid0(VALU_DEP_1) | instskip(NEXT) | instid1(VALU_DEP_1)
	v_dual_lshlrev_b32 v8, v7, v6 :: v_dual_lshlrev_b32 v7, 23, v7
	v_lshrrev_b32_e32 v8, 4, v8
	s_delay_alu instid0(VALU_DEP_1) | instskip(NEXT) | instid1(VALU_DEP_1)
	v_dual_sub_nc_u32 v7, v8, v7 :: v_dual_ashrrev_i32 v8, 8, v9
	v_add_nc_u32_e32 v7, 0x3c000000, v7
	s_delay_alu instid0(VALU_DEP_1) | instskip(NEXT) | instid1(VALU_DEP_1)
	v_and_or_b32 v7, 0x7f800000, v8, v7
	v_cndmask_b32_e32 v6, 0, v7, vcc_lo
	s_delay_alu instid0(VALU_DEP_1) | instskip(SKIP_1) | instid1(VALU_DEP_2)
	v_and_or_b32 v3, 0x80000000, v3, v6
	v_bfe_u32 v6, v6, 16, 1
	v_cmp_o_f32_e32 vcc_lo, v3, v3
	s_delay_alu instid0(VALU_DEP_2) | instskip(NEXT) | instid1(VALU_DEP_1)
	v_add3_u32 v6, v3, v6, 0x7fff
	v_lshrrev_b32_e32 v6, 16, v6
	s_delay_alu instid0(VALU_DEP_1)
	v_cndmask_b32_e32 v3, 0x7fc0, v6, vcc_lo
.LBB199_324:
	s_mov_b32 s10, 0
.LBB199_325:
	s_delay_alu instid0(SALU_CYCLE_1)
	s_and_not1_b32 vcc_lo, exec_lo, s10
	s_cbranch_vccnz .LBB199_327
; %bb.326:
	s_wait_loadcnt 0x0
	global_load_u8 v3, v[4:5], off
	s_wait_loadcnt 0x0
	v_lshlrev_b32_e32 v6, 25, v3
	v_lshlrev_b16 v3, 8, v3
	s_delay_alu instid0(VALU_DEP_1) | instskip(SKIP_1) | instid1(VALU_DEP_2)
	v_and_or_b32 v8, 0x7f00, v3, 0.5
	v_bfe_i32 v3, v3, 0, 16
	v_dual_add_f32 v8, -0.5, v8 :: v_dual_lshrrev_b32 v7, 4, v6
	v_cmp_gt_u32_e32 vcc_lo, 0x8000000, v6
	s_delay_alu instid0(VALU_DEP_2) | instskip(NEXT) | instid1(VALU_DEP_1)
	v_or_b32_e32 v7, 0x70000000, v7
	v_mul_f32_e32 v7, 0x7800000, v7
	s_delay_alu instid0(VALU_DEP_1) | instskip(NEXT) | instid1(VALU_DEP_1)
	v_cndmask_b32_e32 v6, v7, v8, vcc_lo
	v_and_or_b32 v3, 0x80000000, v3, v6
	v_bfe_u32 v6, v6, 16, 1
	s_delay_alu instid0(VALU_DEP_2) | instskip(NEXT) | instid1(VALU_DEP_2)
	v_cmp_o_f32_e32 vcc_lo, v3, v3
	v_add3_u32 v6, v3, v6, 0x7fff
	s_delay_alu instid0(VALU_DEP_1) | instskip(NEXT) | instid1(VALU_DEP_1)
	v_lshrrev_b32_e32 v6, 16, v6
	v_cndmask_b32_e32 v3, 0x7fc0, v6, vcc_lo
.LBB199_327:
	s_mov_b32 s41, 0
	s_mov_b32 s10, -1
.LBB199_328:
	s_and_not1_b32 vcc_lo, exec_lo, s41
	s_cbranch_vccnz .LBB199_341
; %bb.329:
	s_cmp_gt_i32 s2, 14
	s_cbranch_scc0 .LBB199_332
; %bb.330:
	s_cmp_eq_u32 s2, 15
	s_cbranch_scc0 .LBB199_335
; %bb.331:
	s_wait_loadcnt 0x0
	global_load_u16 v3, v[4:5], off
	s_mov_b32 s10, -1
	s_mov_b32 s29, 0
	s_branch .LBB199_336
.LBB199_332:
	s_mov_b32 s41, -1
                                        ; implicit-def: $vgpr3
	s_branch .LBB199_337
.LBB199_333:
	s_or_saveexec_b32 s41, s41
	v_mov_b32_e32 v6, 0x7f800001
	s_xor_b32 exec_lo, exec_lo, s41
	s_cbranch_execz .LBB199_314
.LBB199_334:
	v_cmp_ne_u16_e32 vcc_lo, 0, v3
	v_mov_b32_e32 v6, 0
	s_and_not1_b32 s10, s10, exec_lo
	s_and_b32 s42, vcc_lo, exec_lo
	s_delay_alu instid0(SALU_CYCLE_1)
	s_or_b32 s10, s10, s42
	s_or_b32 exec_lo, exec_lo, s41
	s_and_saveexec_b32 s41, s10
	s_cbranch_execnz .LBB199_315
	s_branch .LBB199_316
.LBB199_335:
	s_mov_b32 s29, -1
                                        ; implicit-def: $vgpr3
.LBB199_336:
	s_mov_b32 s41, 0
.LBB199_337:
	s_delay_alu instid0(SALU_CYCLE_1)
	s_and_b32 vcc_lo, exec_lo, s41
	s_cbranch_vccz .LBB199_341
; %bb.338:
	s_cmp_eq_u32 s2, 11
	s_cbranch_scc0 .LBB199_340
; %bb.339:
	s_wait_loadcnt 0x0
	global_load_u8 v3, v[4:5], off
	s_mov_b32 s29, 0
	s_mov_b32 s10, -1
	s_wait_loadcnt 0x0
	v_cmp_ne_u16_e32 vcc_lo, 0, v3
	v_cndmask_b32_e64 v3, 0, 1.0, vcc_lo
	s_delay_alu instid0(VALU_DEP_1)
	v_lshrrev_b32_e32 v3, 16, v3
	s_branch .LBB199_341
.LBB199_340:
	s_mov_b32 s29, -1
                                        ; implicit-def: $vgpr3
.LBB199_341:
	s_branch .LBB199_31
.LBB199_342:
	s_and_b32 s1, 0xffff, s1
	s_delay_alu instid0(SALU_CYCLE_1)
	s_cmp_lt_i32 s1, 5
	s_cbranch_scc1 .LBB199_347
; %bb.343:
	s_cmp_lt_i32 s1, 8
	s_cbranch_scc1 .LBB199_348
; %bb.344:
	;; [unrolled: 3-line block ×3, first 2 shown]
	s_cmp_gt_i32 s1, 9
	s_cbranch_scc0 .LBB199_350
; %bb.346:
	global_load_b64 v[6:7], v[4:5], off
	s_mov_b32 s2, 0
	s_wait_loadcnt 0x0
	v_cvt_f32_f64_e32 v3, v[6:7]
	s_delay_alu instid0(VALU_DEP_1) | instskip(SKIP_1) | instid1(VALU_DEP_2)
	v_bfe_u32 v6, v3, 16, 1
	v_cmp_o_f32_e32 vcc_lo, v3, v3
	v_add3_u32 v6, v3, v6, 0x7fff
	s_delay_alu instid0(VALU_DEP_1) | instskip(NEXT) | instid1(VALU_DEP_1)
	v_lshrrev_b32_e32 v6, 16, v6
	v_cndmask_b32_e32 v3, 0x7fc0, v6, vcc_lo
	s_branch .LBB199_351
.LBB199_347:
	s_mov_b32 s2, -1
                                        ; implicit-def: $vgpr3
	s_branch .LBB199_369
.LBB199_348:
	s_mov_b32 s2, -1
                                        ; implicit-def: $vgpr3
	s_branch .LBB199_357
.LBB199_349:
	s_mov_b32 s2, -1
                                        ; implicit-def: $vgpr3
	s_branch .LBB199_354
.LBB199_350:
	s_mov_b32 s2, -1
                                        ; implicit-def: $vgpr3
.LBB199_351:
	s_delay_alu instid0(SALU_CYCLE_1)
	s_and_not1_b32 vcc_lo, exec_lo, s2
	s_cbranch_vccnz .LBB199_353
; %bb.352:
	s_wait_loadcnt 0x0
	global_load_b32 v3, v[4:5], off
	s_wait_loadcnt 0x0
	v_bfe_u32 v6, v3, 16, 1
	v_cmp_o_f32_e32 vcc_lo, v3, v3
	s_delay_alu instid0(VALU_DEP_2) | instskip(NEXT) | instid1(VALU_DEP_1)
	v_add3_u32 v6, v3, v6, 0x7fff
	v_lshrrev_b32_e32 v6, 16, v6
	s_delay_alu instid0(VALU_DEP_1)
	v_cndmask_b32_e32 v3, 0x7fc0, v6, vcc_lo
.LBB199_353:
	s_mov_b32 s2, 0
.LBB199_354:
	s_delay_alu instid0(SALU_CYCLE_1)
	s_and_not1_b32 vcc_lo, exec_lo, s2
	s_cbranch_vccnz .LBB199_356
; %bb.355:
	s_wait_loadcnt 0x0
	global_load_b32 v3, v[4:5], off
	s_wait_loadcnt 0x0
	v_cvt_f32_f16_e32 v6, v3
	v_cmp_o_f16_e32 vcc_lo, v3, v3
	s_delay_alu instid0(VALU_DEP_2) | instskip(NEXT) | instid1(VALU_DEP_1)
	v_bfe_u32 v7, v6, 16, 1
	v_add3_u32 v6, v6, v7, 0x7fff
	s_delay_alu instid0(VALU_DEP_1) | instskip(NEXT) | instid1(VALU_DEP_1)
	v_lshrrev_b32_e32 v6, 16, v6
	v_cndmask_b32_e32 v3, 0x7fc0, v6, vcc_lo
.LBB199_356:
	s_mov_b32 s2, 0
.LBB199_357:
	s_delay_alu instid0(SALU_CYCLE_1)
	s_and_not1_b32 vcc_lo, exec_lo, s2
	s_cbranch_vccnz .LBB199_368
; %bb.358:
	s_cmp_lt_i32 s1, 6
	s_cbranch_scc1 .LBB199_361
; %bb.359:
	s_cmp_gt_i32 s1, 6
	s_cbranch_scc0 .LBB199_362
; %bb.360:
	global_load_b64 v[6:7], v[4:5], off
	s_mov_b32 s2, 0
	s_wait_loadcnt 0x0
	v_cvt_f32_f64_e32 v3, v[6:7]
	s_delay_alu instid0(VALU_DEP_1) | instskip(SKIP_1) | instid1(VALU_DEP_2)
	v_bfe_u32 v6, v3, 16, 1
	v_cmp_o_f32_e32 vcc_lo, v3, v3
	v_add3_u32 v6, v3, v6, 0x7fff
	s_delay_alu instid0(VALU_DEP_1) | instskip(NEXT) | instid1(VALU_DEP_1)
	v_lshrrev_b32_e32 v6, 16, v6
	v_cndmask_b32_e32 v3, 0x7fc0, v6, vcc_lo
	s_branch .LBB199_363
.LBB199_361:
	s_mov_b32 s2, -1
                                        ; implicit-def: $vgpr3
	s_branch .LBB199_366
.LBB199_362:
	s_mov_b32 s2, -1
                                        ; implicit-def: $vgpr3
.LBB199_363:
	s_delay_alu instid0(SALU_CYCLE_1)
	s_and_not1_b32 vcc_lo, exec_lo, s2
	s_cbranch_vccnz .LBB199_365
; %bb.364:
	s_wait_loadcnt 0x0
	global_load_b32 v3, v[4:5], off
	s_wait_loadcnt 0x0
	v_bfe_u32 v6, v3, 16, 1
	v_cmp_o_f32_e32 vcc_lo, v3, v3
	s_delay_alu instid0(VALU_DEP_2) | instskip(NEXT) | instid1(VALU_DEP_1)
	v_add3_u32 v6, v3, v6, 0x7fff
	v_lshrrev_b32_e32 v6, 16, v6
	s_delay_alu instid0(VALU_DEP_1)
	v_cndmask_b32_e32 v3, 0x7fc0, v6, vcc_lo
.LBB199_365:
	s_mov_b32 s2, 0
.LBB199_366:
	s_delay_alu instid0(SALU_CYCLE_1)
	s_and_not1_b32 vcc_lo, exec_lo, s2
	s_cbranch_vccnz .LBB199_368
; %bb.367:
	s_wait_loadcnt 0x0
	global_load_u16 v3, v[4:5], off
	s_wait_loadcnt 0x0
	v_cvt_f32_f16_e32 v6, v3
	v_cmp_o_f16_e32 vcc_lo, v3, v3
	s_delay_alu instid0(VALU_DEP_2) | instskip(NEXT) | instid1(VALU_DEP_1)
	v_bfe_u32 v7, v6, 16, 1
	v_add3_u32 v6, v6, v7, 0x7fff
	s_delay_alu instid0(VALU_DEP_1) | instskip(NEXT) | instid1(VALU_DEP_1)
	v_lshrrev_b32_e32 v6, 16, v6
	v_cndmask_b32_e32 v3, 0x7fc0, v6, vcc_lo
.LBB199_368:
	s_mov_b32 s2, 0
.LBB199_369:
	s_delay_alu instid0(SALU_CYCLE_1)
	s_and_not1_b32 vcc_lo, exec_lo, s2
	s_cbranch_vccnz .LBB199_389
; %bb.370:
	s_cmp_lt_i32 s1, 2
	s_cbranch_scc1 .LBB199_374
; %bb.371:
	s_cmp_lt_i32 s1, 3
	s_cbranch_scc1 .LBB199_375
; %bb.372:
	s_cmp_gt_i32 s1, 3
	s_cbranch_scc0 .LBB199_376
; %bb.373:
	global_load_b64 v[6:7], v[4:5], off
	s_mov_b32 s2, 0
	s_wait_loadcnt 0x0
	v_xor_b32_e32 v3, v6, v7
	v_cls_i32_e32 v8, v7
	s_delay_alu instid0(VALU_DEP_2) | instskip(NEXT) | instid1(VALU_DEP_1)
	v_ashrrev_i32_e32 v3, 31, v3
	v_add_nc_u32_e32 v3, 32, v3
	s_delay_alu instid0(VALU_DEP_1) | instskip(NEXT) | instid1(VALU_DEP_1)
	v_add_min_u32_e64 v3, v8, -1, v3
	v_lshlrev_b64_e32 v[6:7], v3, v[6:7]
	v_sub_nc_u32_e32 v3, 32, v3
	s_delay_alu instid0(VALU_DEP_2) | instskip(NEXT) | instid1(VALU_DEP_1)
	v_min_u32_e32 v6, 1, v6
	v_or_b32_e32 v6, v7, v6
	s_delay_alu instid0(VALU_DEP_1) | instskip(NEXT) | instid1(VALU_DEP_1)
	v_cvt_f32_i32_e32 v6, v6
	v_ldexp_f32 v3, v6, v3
	s_delay_alu instid0(VALU_DEP_1) | instskip(NEXT) | instid1(VALU_DEP_1)
	v_bfe_u32 v6, v3, 16, 1
	v_add3_u32 v3, v3, v6, 0x7fff
	s_delay_alu instid0(VALU_DEP_1)
	v_lshrrev_b32_e32 v3, 16, v3
	s_branch .LBB199_377
.LBB199_374:
	s_mov_b32 s2, -1
                                        ; implicit-def: $vgpr3
	s_branch .LBB199_383
.LBB199_375:
	s_mov_b32 s2, -1
                                        ; implicit-def: $vgpr3
	s_branch .LBB199_380
.LBB199_376:
	s_mov_b32 s2, -1
                                        ; implicit-def: $vgpr3
.LBB199_377:
	s_delay_alu instid0(SALU_CYCLE_1)
	s_and_not1_b32 vcc_lo, exec_lo, s2
	s_cbranch_vccnz .LBB199_379
; %bb.378:
	s_wait_loadcnt 0x0
	global_load_b32 v3, v[4:5], off
	s_wait_loadcnt 0x0
	v_cvt_f32_i32_e32 v3, v3
	s_delay_alu instid0(VALU_DEP_1) | instskip(NEXT) | instid1(VALU_DEP_1)
	v_bfe_u32 v6, v3, 16, 1
	v_add3_u32 v3, v3, v6, 0x7fff
	s_delay_alu instid0(VALU_DEP_1)
	v_lshrrev_b32_e32 v3, 16, v3
.LBB199_379:
	s_mov_b32 s2, 0
.LBB199_380:
	s_delay_alu instid0(SALU_CYCLE_1)
	s_and_not1_b32 vcc_lo, exec_lo, s2
	s_cbranch_vccnz .LBB199_382
; %bb.381:
	s_wait_loadcnt 0x0
	global_load_i16 v3, v[4:5], off
	s_wait_loadcnt 0x0
	v_cvt_f32_i32_e32 v3, v3
	s_delay_alu instid0(VALU_DEP_1) | instskip(NEXT) | instid1(VALU_DEP_1)
	v_bfe_u32 v6, v3, 16, 1
	v_add3_u32 v3, v3, v6, 0x7fff
	s_delay_alu instid0(VALU_DEP_1)
	v_lshrrev_b32_e32 v3, 16, v3
.LBB199_382:
	s_mov_b32 s2, 0
.LBB199_383:
	s_delay_alu instid0(SALU_CYCLE_1)
	s_and_not1_b32 vcc_lo, exec_lo, s2
	s_cbranch_vccnz .LBB199_389
; %bb.384:
	s_cmp_gt_i32 s1, 0
	s_mov_b32 s1, 0
	s_cbranch_scc0 .LBB199_386
; %bb.385:
	s_wait_loadcnt 0x0
	global_load_i8 v3, v[4:5], off
	s_wait_loadcnt 0x0
	v_cvt_f32_i32_e32 v3, v3
	s_delay_alu instid0(VALU_DEP_1) | instskip(NEXT) | instid1(VALU_DEP_1)
	v_bfe_u32 v6, v3, 16, 1
	v_add3_u32 v3, v3, v6, 0x7fff
	s_delay_alu instid0(VALU_DEP_1)
	v_lshrrev_b32_e32 v3, 16, v3
	s_branch .LBB199_387
.LBB199_386:
	s_mov_b32 s1, -1
                                        ; implicit-def: $vgpr3
.LBB199_387:
	s_delay_alu instid0(SALU_CYCLE_1)
	s_and_not1_b32 vcc_lo, exec_lo, s1
	s_cbranch_vccnz .LBB199_389
; %bb.388:
	s_wait_loadcnt 0x0
	global_load_u8 v3, v[4:5], off
	s_wait_loadcnt 0x0
	v_cvt_f32_ubyte0_e32 v3, v3
	s_delay_alu instid0(VALU_DEP_1) | instskip(NEXT) | instid1(VALU_DEP_1)
	v_bfe_u32 v4, v3, 16, 1
	v_add3_u32 v3, v3, v4, 0x7fff
	s_delay_alu instid0(VALU_DEP_1)
	v_lshrrev_b32_e32 v3, 16, v3
.LBB199_389:
	s_branch .LBB199_32
.LBB199_390:
	s_mov_b32 s2, 0
.LBB199_391:
	s_mov_b32 s1, 0
                                        ; implicit-def: $vgpr0
.LBB199_392:
	s_and_b32 s10, s2, exec_lo
	s_and_b32 s41, s29, exec_lo
	;; [unrolled: 1-line block ×3, first 2 shown]
	s_or_not1_b32 s29, s1, exec_lo
.LBB199_393:
	s_wait_xcnt 0x0
	s_or_b32 exec_lo, exec_lo, s43
	s_mov_b32 s45, 0
	s_mov_b32 s28, 0
                                        ; implicit-def: $sgpr2
                                        ; implicit-def: $vgpr6_vgpr7
                                        ; implicit-def: $vgpr4
                                        ; implicit-def: $vgpr2
                                        ; implicit-def: $vgpr3
	s_and_saveexec_b32 s43, s29
	s_cbranch_execz .LBB199_401
; %bb.394:
	s_mov_b32 s48, -1
	s_mov_b32 s44, s42
	s_mov_b32 s46, s41
	;; [unrolled: 1-line block ×3, first 2 shown]
	s_mov_b32 s47, exec_lo
	v_cmpx_gt_i32_e64 s39, v0
	s_cbranch_execz .LBB199_797
; %bb.395:
	s_and_not1_b32 vcc_lo, exec_lo, s34
	s_cbranch_vccnz .LBB199_404
; %bb.396:
	s_and_not1_b32 vcc_lo, exec_lo, s40
	s_cbranch_vccnz .LBB199_405
; %bb.397:
	s_wait_loadcnt 0x0
	v_dual_mov_b32 v2, 0 :: v_dual_mov_b32 v1, v0
	v_dual_mov_b32 v6, 0 :: v_dual_mov_b32 v4, 0
	s_add_co_i32 s1, s38, 1
	s_mov_b64 s[28:29], 0xffffffffffffffe8
	s_and_b32 s1, s1, 30
	s_add_nc_u64 s[28:29], s[20:21], s[28:29]
.LBB199_398:                            ; =>This Inner Loop Header: Depth=1
	s_clause 0x1
	s_load_b128 s[48:51], s[28:29], 0x1c
	s_load_b64 s[44:45], s[28:29], 0x2c
	s_add_co_i32 s1, s1, -2
	s_delay_alu instid0(SALU_CYCLE_1) | instskip(SKIP_2) | instid1(VALU_DEP_1)
	s_cmp_eq_u32 s1, 0
	s_wait_kmcnt 0x0
	v_mul_hi_u32 v3, s49, v1
	v_add_nc_u32_e32 v3, v1, v3
	s_delay_alu instid0(VALU_DEP_1) | instskip(NEXT) | instid1(VALU_DEP_1)
	v_lshrrev_b32_e32 v3, s50, v3
	v_mul_hi_u32 v5, s44, v3
	v_mul_lo_u32 v7, v3, s48
	s_clause 0x1
	s_load_b128 s[52:55], s[28:29], 0xdc
	s_load_b64 s[48:49], s[28:29], 0xec
	s_wait_xcnt 0x0
	s_add_nc_u64 s[28:29], s[28:29], 24
	s_delay_alu instid0(VALU_DEP_1) | instskip(NEXT) | instid1(VALU_DEP_1)
	v_dual_add_nc_u32 v5, v3, v5 :: v_dual_sub_nc_u32 v7, v1, v7
	v_lshrrev_b32_e32 v1, s45, v5
	s_wait_kmcnt 0x0
	s_delay_alu instid0(VALU_DEP_2) | instskip(NEXT) | instid1(VALU_DEP_2)
	v_mad_u32 v2, v7, s52, v2
	v_mul_lo_u32 v5, v1, s51
	v_mad_u32 v4, v7, s54, v4
	v_mad_u32 v6, v7, s53, v6
	s_delay_alu instid0(VALU_DEP_3) | instskip(NEXT) | instid1(VALU_DEP_1)
	v_sub_nc_u32_e32 v3, v3, v5
	v_mad_u32 v2, v3, s55, v2
	s_delay_alu instid0(VALU_DEP_4) | instskip(NEXT) | instid1(VALU_DEP_4)
	v_mad_u32 v4, v3, s49, v4
	v_mad_u32 v6, v3, s48, v6
	s_cbranch_scc0 .LBB199_398
; %bb.399:
	s_bitcmp1_b32 s38, 0
	s_cselect_b32 s1, -1, 0
	s_delay_alu instid0(SALU_CYCLE_1)
	s_and_b32 vcc_lo, exec_lo, s1
	s_cbranch_vccnz .LBB199_406
; %bb.400:
	s_clause 0x1
	s_load_b96 s[44:46], s[28:29], 0x1c
	s_load_b96 s[48:50], s[28:29], 0xdc
	s_wait_kmcnt 0x0
	v_mul_hi_u32 v3, s45, v1
	s_delay_alu instid0(VALU_DEP_1) | instskip(NEXT) | instid1(VALU_DEP_1)
	v_add_nc_u32_e32 v3, v1, v3
	v_lshrrev_b32_e32 v3, s46, v3
	s_delay_alu instid0(VALU_DEP_1) | instskip(NEXT) | instid1(VALU_DEP_1)
	v_mul_lo_u32 v3, v3, s44
	v_sub_nc_u32_e32 v1, v1, v3
	s_delay_alu instid0(VALU_DEP_1)
	v_mad_u32 v2, v1, s48, v2
	v_mad_u32 v6, v1, s49, v6
	;; [unrolled: 1-line block ×3, first 2 shown]
	s_branch .LBB199_406
.LBB199_401:
	s_or_b32 exec_lo, exec_lo, s43
	s_mov_b32 s1, 0
	s_and_saveexec_b32 s3, s42
	s_cbranch_execnz .LBB199_1297
.LBB199_402:
	s_or_b32 exec_lo, exec_lo, s3
	s_and_saveexec_b32 s3, s23
	s_delay_alu instid0(SALU_CYCLE_1)
	s_xor_b32 s3, exec_lo, s3
	s_cbranch_execz .LBB199_1298
.LBB199_403:
	global_load_u8 v0, v[6:7], off
	s_or_b32 s28, s28, exec_lo
	s_wait_loadcnt 0x0
	v_cmp_ne_u16_e32 vcc_lo, 0, v0
	v_cndmask_b32_e64 v0, 0, 1.0, vcc_lo
	s_delay_alu instid0(VALU_DEP_1)
	v_lshrrev_b32_e32 v3, 16, v0
	s_wait_xcnt 0x0
	s_or_b32 exec_lo, exec_lo, s3
	s_and_saveexec_b32 s3, s45
	s_cbranch_execz .LBB199_1344
	s_branch .LBB199_1299
.LBB199_404:
                                        ; implicit-def: $vgpr4
                                        ; implicit-def: $vgpr6
                                        ; implicit-def: $vgpr2
	s_branch .LBB199_407
.LBB199_405:
	v_dual_mov_b32 v4, 0 :: v_dual_mov_b32 v6, 0
	v_mov_b32_e32 v2, 0
.LBB199_406:
	s_cbranch_execnz .LBB199_409
.LBB199_407:
	s_wait_loadcnt 0x0
	v_mov_b32_e32 v1, 0
	s_and_not1_b32 vcc_lo, exec_lo, s37
	s_delay_alu instid0(VALU_DEP_1) | instskip(NEXT) | instid1(VALU_DEP_1)
	v_mul_u64_e32 v[2:3], s[22:23], v[0:1]
	v_add_nc_u32_e32 v2, v0, v3
	s_delay_alu instid0(VALU_DEP_1) | instskip(NEXT) | instid1(VALU_DEP_1)
	v_lshrrev_b32_e32 v8, s14, v2
	v_mul_lo_u32 v2, v8, s12
	s_delay_alu instid0(VALU_DEP_1) | instskip(NEXT) | instid1(VALU_DEP_1)
	v_sub_nc_u32_e32 v3, v0, v2
	v_mul_lo_u32 v2, v3, s16
	v_mul_lo_u32 v4, v3, s18
	;; [unrolled: 1-line block ×3, first 2 shown]
	s_cbranch_vccnz .LBB199_409
; %bb.408:
	v_mov_b32_e32 v9, v1
	s_delay_alu instid0(VALU_DEP_1) | instskip(NEXT) | instid1(VALU_DEP_1)
	v_mul_u64_e32 v[10:11], s[26:27], v[8:9]
	v_add_nc_u32_e32 v1, v8, v11
	s_delay_alu instid0(VALU_DEP_1) | instskip(NEXT) | instid1(VALU_DEP_1)
	v_lshrrev_b32_e32 v1, s3, v1
	v_mul_lo_u32 v1, v1, s15
	s_delay_alu instid0(VALU_DEP_1) | instskip(NEXT) | instid1(VALU_DEP_1)
	v_sub_nc_u32_e32 v1, v8, v1
	v_mad_u32 v2, v1, s19, v2
	v_mad_u32 v6, v1, s24, v6
	;; [unrolled: 1-line block ×3, first 2 shown]
.LBB199_409:
	v_mov_b32_e32 v7, 0
	s_and_b32 s1, s36, 0xff
	s_delay_alu instid0(SALU_CYCLE_1) | instskip(NEXT) | instid1(VALU_DEP_1)
	s_cmp_lt_i32 s1, 11
	v_add_nc_u64_e32 v[6:7], s[6:7], v[6:7]
	s_cbranch_scc1 .LBB199_416
; %bb.410:
	s_and_b32 s2, 0xffff, s1
	s_delay_alu instid0(SALU_CYCLE_1)
	s_cmp_gt_i32 s2, 25
	s_cbranch_scc0 .LBB199_425
; %bb.411:
	s_cmp_gt_i32 s2, 28
	s_cbranch_scc0 .LBB199_427
; %bb.412:
	s_cmp_gt_i32 s2, 43
	s_cbranch_scc0 .LBB199_429
; %bb.413:
	s_cmp_gt_i32 s2, 45
	s_cbranch_scc0 .LBB199_431
; %bb.414:
	s_cmp_eq_u32 s2, 46
	s_mov_b32 s44, 0
	s_cbranch_scc0 .LBB199_435
; %bb.415:
	s_wait_loadcnt 0x0
	global_load_b32 v1, v[6:7], off
	s_mov_b32 s29, -1
	s_mov_b32 s28, 0
	s_branch .LBB199_437
.LBB199_416:
	s_mov_b32 s29, 0
	s_mov_b32 s28, s42
                                        ; implicit-def: $vgpr1
	s_cbranch_execnz .LBB199_503
.LBB199_417:
	s_and_not1_b32 vcc_lo, exec_lo, s29
	s_cbranch_vccnz .LBB199_551
.LBB199_418:
	v_mov_b32_e32 v5, 0
	s_and_b32 s1, s13, 0xff
	s_delay_alu instid0(SALU_CYCLE_1) | instskip(NEXT) | instid1(VALU_DEP_1)
	s_cmp_lt_i32 s1, 11
	v_add_nc_u64_e32 v[4:5], s[8:9], v[4:5]
	s_cbranch_scc1 .LBB199_426
; %bb.419:
	s_and_b32 s2, 0xffff, s1
	s_delay_alu instid0(SALU_CYCLE_1)
	s_cmp_gt_i32 s2, 25
	s_cbranch_scc0 .LBB199_428
; %bb.420:
	s_cmp_gt_i32 s2, 28
	s_cbranch_scc0 .LBB199_430
; %bb.421:
	;; [unrolled: 3-line block ×4, first 2 shown]
	s_cmp_eq_u32 s2, 46
	s_mov_b32 s45, 0
	s_cbranch_scc0 .LBB199_554
; %bb.424:
	s_wait_loadcnt 0x0
	global_load_b32 v3, v[4:5], off
	s_mov_b32 s44, -1
	s_mov_b32 s29, 0
	s_branch .LBB199_556
.LBB199_425:
	s_mov_b32 s44, -1
	s_mov_b32 s29, 0
	s_mov_b32 s28, s42
                                        ; implicit-def: $vgpr1
	s_branch .LBB199_467
.LBB199_426:
	s_mov_b32 s2, -1
	s_mov_b32 s44, 0
	s_mov_b32 s29, s41
                                        ; implicit-def: $vgpr3
	s_branch .LBB199_621
.LBB199_427:
	s_mov_b32 s44, -1
	s_mov_b32 s29, 0
	s_mov_b32 s28, s42
                                        ; implicit-def: $vgpr1
	s_branch .LBB199_448
.LBB199_428:
	s_mov_b32 s45, -1
	s_mov_b32 s44, 0
	s_mov_b32 s29, s41
                                        ; implicit-def: $vgpr3
	s_branch .LBB199_585
.LBB199_429:
	s_mov_b32 s44, -1
	s_mov_b32 s29, 0
	s_mov_b32 s28, s42
                                        ; implicit-def: $vgpr1
	s_branch .LBB199_443
.LBB199_430:
	s_mov_b32 s45, -1
	s_mov_b32 s44, 0
	s_mov_b32 s29, s41
                                        ; implicit-def: $vgpr3
	s_branch .LBB199_566
.LBB199_431:
	s_mov_b32 s44, -1
	s_mov_b32 s29, 0
	s_mov_b32 s28, s42
	s_branch .LBB199_436
.LBB199_432:
	s_mov_b32 s45, -1
	s_mov_b32 s44, 0
	s_mov_b32 s29, s41
                                        ; implicit-def: $vgpr3
	s_branch .LBB199_561
.LBB199_433:
	s_and_not1_saveexec_b32 s45, s45
	s_cbranch_execz .LBB199_191
.LBB199_434:
	v_add_f32_e32 v1, 0x46000000, v4
	s_and_not1_b32 s44, s44, exec_lo
	s_delay_alu instid0(VALU_DEP_1) | instskip(NEXT) | instid1(VALU_DEP_1)
	v_and_b32_e32 v1, 0xff, v1
	v_cmp_ne_u32_e32 vcc_lo, 0, v1
	s_and_b32 s46, vcc_lo, exec_lo
	s_delay_alu instid0(SALU_CYCLE_1)
	s_or_b32 s44, s44, s46
	s_or_b32 exec_lo, exec_lo, s45
	v_mov_b32_e32 v5, 0
	s_and_saveexec_b32 s45, s44
	s_cbranch_execnz .LBB199_192
	s_branch .LBB199_193
.LBB199_435:
	s_mov_b32 s28, -1
	s_mov_b32 s29, 0
.LBB199_436:
                                        ; implicit-def: $vgpr1
.LBB199_437:
	s_and_b32 vcc_lo, exec_lo, s44
	s_cbranch_vccz .LBB199_442
; %bb.438:
	s_cmp_eq_u32 s2, 44
	s_cbranch_scc0 .LBB199_441
; %bb.439:
	s_wait_loadcnt 0x0
	global_load_u8 v1, v[6:7], off
	s_mov_b32 s28, 0
	s_mov_b32 s29, -1
	s_wait_loadcnt 0x0
	v_lshlrev_b32_e32 v3, 23, v1
	v_cmp_ne_u32_e32 vcc_lo, 0xff, v1
	s_delay_alu instid0(VALU_DEP_2) | instskip(SKIP_1) | instid1(VALU_DEP_2)
	v_cndmask_b32_e32 v3, 0x7f800001, v3, vcc_lo
	v_cmp_ne_u32_e32 vcc_lo, 0, v1
	v_cndmask_b32_e32 v1, 0x400000, v3, vcc_lo
	s_delay_alu instid0(VALU_DEP_1) | instskip(SKIP_1) | instid1(VALU_DEP_2)
	v_add_nc_u32_e32 v3, 0x7fff, v1
	v_cmp_o_f32_e32 vcc_lo, v1, v1
	v_lshrrev_b32_e32 v3, 16, v3
	s_delay_alu instid0(VALU_DEP_1)
	v_cndmask_b32_e32 v1, 0x7fc0, v3, vcc_lo
	s_branch .LBB199_442
.LBB199_440:
	s_mov_b32 s45, -1
	s_mov_b32 s44, 0
	s_mov_b32 s29, s41
	s_branch .LBB199_555
.LBB199_441:
	s_mov_b32 s28, -1
                                        ; implicit-def: $vgpr1
.LBB199_442:
	s_mov_b32 s44, 0
.LBB199_443:
	s_delay_alu instid0(SALU_CYCLE_1)
	s_and_b32 vcc_lo, exec_lo, s44
	s_cbranch_vccz .LBB199_447
; %bb.444:
	s_cmp_eq_u32 s2, 29
	s_cbranch_scc0 .LBB199_446
; %bb.445:
	global_load_b64 v[8:9], v[6:7], off
	s_mov_b32 s29, -1
	s_mov_b32 s28, 0
	s_mov_b32 s44, 0
	s_wait_loadcnt 0x0
	v_clz_i32_u32_e32 v1, v9
	s_delay_alu instid0(VALU_DEP_1) | instskip(NEXT) | instid1(VALU_DEP_1)
	v_min_u32_e32 v1, 32, v1
	v_lshlrev_b64_e32 v[8:9], v1, v[8:9]
	v_sub_nc_u32_e32 v1, 32, v1
	s_delay_alu instid0(VALU_DEP_2) | instskip(NEXT) | instid1(VALU_DEP_1)
	v_min_u32_e32 v3, 1, v8
	v_or_b32_e32 v3, v9, v3
	s_delay_alu instid0(VALU_DEP_1) | instskip(NEXT) | instid1(VALU_DEP_1)
	v_cvt_f32_u32_e32 v3, v3
	v_ldexp_f32 v1, v3, v1
	s_delay_alu instid0(VALU_DEP_1) | instskip(NEXT) | instid1(VALU_DEP_1)
	v_bfe_u32 v3, v1, 16, 1
	v_add3_u32 v1, v1, v3, 0x7fff
	s_delay_alu instid0(VALU_DEP_1)
	v_lshrrev_b32_e32 v1, 16, v1
	s_branch .LBB199_448
.LBB199_446:
	s_mov_b32 s28, -1
                                        ; implicit-def: $vgpr1
.LBB199_447:
	s_mov_b32 s44, 0
.LBB199_448:
	s_delay_alu instid0(SALU_CYCLE_1)
	s_and_b32 vcc_lo, exec_lo, s44
	s_cbranch_vccz .LBB199_466
; %bb.449:
	s_cmp_lt_i32 s2, 27
	s_cbranch_scc1 .LBB199_452
; %bb.450:
	s_cmp_gt_i32 s2, 27
	s_cbranch_scc0 .LBB199_453
; %bb.451:
	s_wait_loadcnt 0x0
	global_load_b32 v1, v[6:7], off
	s_mov_b32 s29, 0
	s_wait_loadcnt 0x0
	v_cvt_f32_u32_e32 v1, v1
	s_delay_alu instid0(VALU_DEP_1) | instskip(NEXT) | instid1(VALU_DEP_1)
	v_bfe_u32 v3, v1, 16, 1
	v_add3_u32 v1, v1, v3, 0x7fff
	s_delay_alu instid0(VALU_DEP_1)
	v_lshrrev_b32_e32 v1, 16, v1
	s_branch .LBB199_454
.LBB199_452:
	s_mov_b32 s29, -1
                                        ; implicit-def: $vgpr1
	s_branch .LBB199_457
.LBB199_453:
	s_mov_b32 s29, -1
                                        ; implicit-def: $vgpr1
.LBB199_454:
	s_delay_alu instid0(SALU_CYCLE_1)
	s_and_not1_b32 vcc_lo, exec_lo, s29
	s_cbranch_vccnz .LBB199_456
; %bb.455:
	s_wait_loadcnt 0x0
	global_load_u16 v1, v[6:7], off
	s_wait_loadcnt 0x0
	v_cvt_f32_u32_e32 v1, v1
	s_delay_alu instid0(VALU_DEP_1) | instskip(NEXT) | instid1(VALU_DEP_1)
	v_bfe_u32 v3, v1, 16, 1
	v_add3_u32 v1, v1, v3, 0x7fff
	s_delay_alu instid0(VALU_DEP_1)
	v_lshrrev_b32_e32 v1, 16, v1
.LBB199_456:
	s_mov_b32 s29, 0
.LBB199_457:
	s_delay_alu instid0(SALU_CYCLE_1)
	s_and_not1_b32 vcc_lo, exec_lo, s29
	s_cbranch_vccnz .LBB199_465
; %bb.458:
	s_wait_loadcnt 0x0
	global_load_u8 v1, v[6:7], off
	s_mov_b32 s29, 0
	s_mov_b32 s44, exec_lo
	s_wait_loadcnt 0x0
	v_cmpx_lt_i16_e32 0x7f, v1
	s_xor_b32 s44, exec_lo, s44
	s_cbranch_execz .LBB199_479
; %bb.459:
	s_mov_b32 s29, -1
	s_mov_b32 s45, exec_lo
	v_cmpx_eq_u16_e32 0x80, v1
; %bb.460:
	s_xor_b32 s29, exec_lo, -1
; %bb.461:
	s_or_b32 exec_lo, exec_lo, s45
	s_delay_alu instid0(SALU_CYCLE_1)
	s_and_b32 s29, s29, exec_lo
	s_or_saveexec_b32 s44, s44
	v_mov_b32_e32 v3, 0x7f800001
	s_xor_b32 exec_lo, exec_lo, s44
	s_cbranch_execnz .LBB199_480
.LBB199_462:
	s_or_b32 exec_lo, exec_lo, s44
	s_and_saveexec_b32 s44, s29
	s_cbranch_execz .LBB199_464
.LBB199_463:
	v_and_b32_e32 v3, 0xffff, v1
	s_delay_alu instid0(VALU_DEP_1) | instskip(SKIP_1) | instid1(VALU_DEP_2)
	v_and_b32_e32 v5, 7, v3
	v_bfe_u32 v10, v3, 3, 4
	v_clz_i32_u32_e32 v8, v5
	s_delay_alu instid0(VALU_DEP_2) | instskip(NEXT) | instid1(VALU_DEP_2)
	v_cmp_eq_u32_e32 vcc_lo, 0, v10
	v_min_u32_e32 v8, 32, v8
	s_delay_alu instid0(VALU_DEP_1) | instskip(NEXT) | instid1(VALU_DEP_1)
	v_subrev_nc_u32_e32 v9, 28, v8
	v_dual_lshlrev_b32 v3, v9, v3 :: v_dual_sub_nc_u32 v8, 29, v8
	s_delay_alu instid0(VALU_DEP_1) | instskip(NEXT) | instid1(VALU_DEP_1)
	v_dual_lshlrev_b32 v1, 24, v1 :: v_dual_bitop2_b32 v3, 7, v3 bitop3:0x40
	v_dual_cndmask_b32 v8, v10, v8 :: v_dual_cndmask_b32 v3, v5, v3
	s_delay_alu instid0(VALU_DEP_2) | instskip(NEXT) | instid1(VALU_DEP_2)
	v_and_b32_e32 v1, 0x80000000, v1
	v_lshl_add_u32 v5, v8, 23, 0x3b800000
	s_delay_alu instid0(VALU_DEP_3) | instskip(NEXT) | instid1(VALU_DEP_1)
	v_lshlrev_b32_e32 v3, 20, v3
	v_or3_b32 v3, v1, v5, v3
.LBB199_464:
	s_or_b32 exec_lo, exec_lo, s44
	s_delay_alu instid0(VALU_DEP_1) | instskip(SKIP_1) | instid1(VALU_DEP_2)
	v_bfe_u32 v1, v3, 16, 1
	v_cmp_o_f32_e32 vcc_lo, v3, v3
	v_add3_u32 v1, v3, v1, 0x7fff
	s_delay_alu instid0(VALU_DEP_1) | instskip(NEXT) | instid1(VALU_DEP_1)
	v_lshrrev_b32_e32 v1, 16, v1
	v_cndmask_b32_e32 v1, 0x7fc0, v1, vcc_lo
.LBB199_465:
	s_mov_b32 s29, -1
.LBB199_466:
	s_mov_b32 s44, 0
.LBB199_467:
	s_delay_alu instid0(SALU_CYCLE_1)
	s_and_b32 vcc_lo, exec_lo, s44
	s_cbranch_vccz .LBB199_502
; %bb.468:
	s_cmp_gt_i32 s2, 22
	s_cbranch_scc0 .LBB199_478
; %bb.469:
	s_cmp_lt_i32 s2, 24
	s_cbranch_scc1 .LBB199_481
; %bb.470:
	s_cmp_gt_i32 s2, 24
	s_cbranch_scc0 .LBB199_482
; %bb.471:
	s_wait_loadcnt 0x0
	global_load_u8 v1, v[6:7], off
	s_mov_b32 s29, 0
	s_mov_b32 s44, exec_lo
	s_wait_loadcnt 0x0
	v_cmpx_lt_i16_e32 0x7f, v1
	s_xor_b32 s44, exec_lo, s44
	s_cbranch_execz .LBB199_494
; %bb.472:
	s_mov_b32 s29, -1
	s_mov_b32 s45, exec_lo
	v_cmpx_eq_u16_e32 0x80, v1
; %bb.473:
	s_xor_b32 s29, exec_lo, -1
; %bb.474:
	s_or_b32 exec_lo, exec_lo, s45
	s_delay_alu instid0(SALU_CYCLE_1)
	s_and_b32 s29, s29, exec_lo
	s_or_saveexec_b32 s44, s44
	v_mov_b32_e32 v3, 0x7f800001
	s_xor_b32 exec_lo, exec_lo, s44
	s_cbranch_execnz .LBB199_495
.LBB199_475:
	s_or_b32 exec_lo, exec_lo, s44
	s_and_saveexec_b32 s44, s29
	s_cbranch_execz .LBB199_477
.LBB199_476:
	v_and_b32_e32 v3, 0xffff, v1
	s_delay_alu instid0(VALU_DEP_1) | instskip(SKIP_1) | instid1(VALU_DEP_2)
	v_and_b32_e32 v5, 3, v3
	v_bfe_u32 v10, v3, 2, 5
	v_clz_i32_u32_e32 v8, v5
	s_delay_alu instid0(VALU_DEP_2) | instskip(NEXT) | instid1(VALU_DEP_2)
	v_cmp_eq_u32_e32 vcc_lo, 0, v10
	v_min_u32_e32 v8, 32, v8
	s_delay_alu instid0(VALU_DEP_1) | instskip(NEXT) | instid1(VALU_DEP_1)
	v_subrev_nc_u32_e32 v9, 29, v8
	v_dual_lshlrev_b32 v3, v9, v3 :: v_dual_sub_nc_u32 v8, 30, v8
	s_delay_alu instid0(VALU_DEP_1) | instskip(NEXT) | instid1(VALU_DEP_1)
	v_dual_lshlrev_b32 v1, 24, v1 :: v_dual_bitop2_b32 v3, 3, v3 bitop3:0x40
	v_dual_cndmask_b32 v8, v10, v8 :: v_dual_cndmask_b32 v3, v5, v3
	s_delay_alu instid0(VALU_DEP_2) | instskip(NEXT) | instid1(VALU_DEP_2)
	v_and_b32_e32 v1, 0x80000000, v1
	v_lshl_add_u32 v5, v8, 23, 0x37800000
	s_delay_alu instid0(VALU_DEP_3) | instskip(NEXT) | instid1(VALU_DEP_1)
	v_lshlrev_b32_e32 v3, 21, v3
	v_or3_b32 v3, v1, v5, v3
.LBB199_477:
	s_or_b32 exec_lo, exec_lo, s44
	s_delay_alu instid0(VALU_DEP_1) | instskip(SKIP_2) | instid1(VALU_DEP_2)
	v_bfe_u32 v1, v3, 16, 1
	v_cmp_o_f32_e32 vcc_lo, v3, v3
	s_mov_b32 s29, 0
	v_add3_u32 v1, v3, v1, 0x7fff
	s_delay_alu instid0(VALU_DEP_1) | instskip(NEXT) | instid1(VALU_DEP_1)
	v_lshrrev_b32_e32 v1, 16, v1
	v_cndmask_b32_e32 v1, 0x7fc0, v1, vcc_lo
	s_branch .LBB199_483
.LBB199_478:
	s_mov_b32 s44, -1
                                        ; implicit-def: $vgpr1
	s_branch .LBB199_489
.LBB199_479:
	s_or_saveexec_b32 s44, s44
	v_mov_b32_e32 v3, 0x7f800001
	s_xor_b32 exec_lo, exec_lo, s44
	s_cbranch_execz .LBB199_462
.LBB199_480:
	v_cmp_ne_u16_e32 vcc_lo, 0, v1
	v_mov_b32_e32 v3, 0
	s_and_not1_b32 s29, s29, exec_lo
	s_and_b32 s45, vcc_lo, exec_lo
	s_delay_alu instid0(SALU_CYCLE_1)
	s_or_b32 s29, s29, s45
	s_or_b32 exec_lo, exec_lo, s44
	s_and_saveexec_b32 s44, s29
	s_cbranch_execnz .LBB199_463
	s_branch .LBB199_464
.LBB199_481:
	s_mov_b32 s29, -1
                                        ; implicit-def: $vgpr1
	s_branch .LBB199_486
.LBB199_482:
	s_mov_b32 s29, -1
                                        ; implicit-def: $vgpr1
.LBB199_483:
	s_delay_alu instid0(SALU_CYCLE_1)
	s_and_b32 vcc_lo, exec_lo, s29
	s_cbranch_vccz .LBB199_485
; %bb.484:
	s_wait_loadcnt 0x0
	global_load_u8 v1, v[6:7], off
	s_wait_loadcnt 0x0
	v_lshlrev_b32_e32 v1, 24, v1
	s_delay_alu instid0(VALU_DEP_1) | instskip(NEXT) | instid1(VALU_DEP_1)
	v_and_b32_e32 v3, 0x7f000000, v1
	v_clz_i32_u32_e32 v5, v3
	v_add_nc_u32_e32 v9, 0x1000000, v3
	v_cmp_ne_u32_e32 vcc_lo, 0, v3
	s_delay_alu instid0(VALU_DEP_3) | instskip(NEXT) | instid1(VALU_DEP_1)
	v_min_u32_e32 v5, 32, v5
	v_sub_nc_u32_e64 v5, v5, 4 clamp
	s_delay_alu instid0(VALU_DEP_1) | instskip(NEXT) | instid1(VALU_DEP_1)
	v_dual_lshlrev_b32 v8, v5, v3 :: v_dual_lshlrev_b32 v5, 23, v5
	v_lshrrev_b32_e32 v8, 4, v8
	s_delay_alu instid0(VALU_DEP_1) | instskip(SKIP_1) | instid1(VALU_DEP_2)
	v_sub_nc_u32_e32 v5, v8, v5
	v_ashrrev_i32_e32 v8, 8, v9
	v_add_nc_u32_e32 v5, 0x3c000000, v5
	s_delay_alu instid0(VALU_DEP_1) | instskip(NEXT) | instid1(VALU_DEP_1)
	v_and_or_b32 v5, 0x7f800000, v8, v5
	v_cndmask_b32_e32 v3, 0, v5, vcc_lo
	s_delay_alu instid0(VALU_DEP_1) | instskip(SKIP_1) | instid1(VALU_DEP_2)
	v_and_or_b32 v1, 0x80000000, v1, v3
	v_bfe_u32 v3, v3, 16, 1
	v_cmp_o_f32_e32 vcc_lo, v1, v1
	s_delay_alu instid0(VALU_DEP_2) | instskip(NEXT) | instid1(VALU_DEP_1)
	v_add3_u32 v3, v1, v3, 0x7fff
	v_lshrrev_b32_e32 v3, 16, v3
	s_delay_alu instid0(VALU_DEP_1)
	v_cndmask_b32_e32 v1, 0x7fc0, v3, vcc_lo
.LBB199_485:
	s_mov_b32 s29, 0
.LBB199_486:
	s_delay_alu instid0(SALU_CYCLE_1)
	s_and_not1_b32 vcc_lo, exec_lo, s29
	s_cbranch_vccnz .LBB199_488
; %bb.487:
	s_wait_loadcnt 0x0
	global_load_u8 v1, v[6:7], off
	s_wait_loadcnt 0x0
	v_lshlrev_b32_e32 v3, 25, v1
	v_lshlrev_b16 v1, 8, v1
	s_delay_alu instid0(VALU_DEP_1) | instskip(SKIP_1) | instid1(VALU_DEP_2)
	v_and_or_b32 v8, 0x7f00, v1, 0.5
	v_bfe_i32 v1, v1, 0, 16
	v_dual_add_f32 v8, -0.5, v8 :: v_dual_lshrrev_b32 v5, 4, v3
	v_cmp_gt_u32_e32 vcc_lo, 0x8000000, v3
	s_delay_alu instid0(VALU_DEP_2) | instskip(NEXT) | instid1(VALU_DEP_1)
	v_or_b32_e32 v5, 0x70000000, v5
	v_mul_f32_e32 v5, 0x7800000, v5
	s_delay_alu instid0(VALU_DEP_1) | instskip(NEXT) | instid1(VALU_DEP_1)
	v_cndmask_b32_e32 v3, v5, v8, vcc_lo
	v_and_or_b32 v1, 0x80000000, v1, v3
	v_bfe_u32 v3, v3, 16, 1
	s_delay_alu instid0(VALU_DEP_2) | instskip(NEXT) | instid1(VALU_DEP_2)
	v_cmp_o_f32_e32 vcc_lo, v1, v1
	v_add3_u32 v3, v1, v3, 0x7fff
	s_delay_alu instid0(VALU_DEP_1) | instskip(NEXT) | instid1(VALU_DEP_1)
	v_lshrrev_b32_e32 v3, 16, v3
	v_cndmask_b32_e32 v1, 0x7fc0, v3, vcc_lo
.LBB199_488:
	s_mov_b32 s44, 0
	s_mov_b32 s29, -1
.LBB199_489:
	s_and_not1_b32 vcc_lo, exec_lo, s44
	s_cbranch_vccnz .LBB199_502
; %bb.490:
	s_cmp_gt_i32 s2, 14
	s_cbranch_scc0 .LBB199_493
; %bb.491:
	s_cmp_eq_u32 s2, 15
	s_cbranch_scc0 .LBB199_496
; %bb.492:
	s_wait_loadcnt 0x0
	global_load_u16 v1, v[6:7], off
	s_mov_b32 s29, -1
	s_mov_b32 s28, 0
	s_branch .LBB199_497
.LBB199_493:
	s_mov_b32 s44, -1
                                        ; implicit-def: $vgpr1
	s_branch .LBB199_498
.LBB199_494:
	s_or_saveexec_b32 s44, s44
	v_mov_b32_e32 v3, 0x7f800001
	s_xor_b32 exec_lo, exec_lo, s44
	s_cbranch_execz .LBB199_475
.LBB199_495:
	v_cmp_ne_u16_e32 vcc_lo, 0, v1
	v_mov_b32_e32 v3, 0
	s_and_not1_b32 s29, s29, exec_lo
	s_and_b32 s45, vcc_lo, exec_lo
	s_delay_alu instid0(SALU_CYCLE_1)
	s_or_b32 s29, s29, s45
	s_or_b32 exec_lo, exec_lo, s44
	s_and_saveexec_b32 s44, s29
	s_cbranch_execnz .LBB199_476
	s_branch .LBB199_477
.LBB199_496:
	s_mov_b32 s28, -1
                                        ; implicit-def: $vgpr1
.LBB199_497:
	s_mov_b32 s44, 0
.LBB199_498:
	s_delay_alu instid0(SALU_CYCLE_1)
	s_and_b32 vcc_lo, exec_lo, s44
	s_cbranch_vccz .LBB199_502
; %bb.499:
	s_cmp_eq_u32 s2, 11
	s_cbranch_scc0 .LBB199_501
; %bb.500:
	s_wait_loadcnt 0x0
	global_load_u8 v1, v[6:7], off
	s_mov_b32 s28, 0
	s_mov_b32 s29, -1
	s_wait_loadcnt 0x0
	v_cmp_ne_u16_e32 vcc_lo, 0, v1
	v_cndmask_b32_e64 v1, 0, 1.0, vcc_lo
	s_delay_alu instid0(VALU_DEP_1)
	v_lshrrev_b32_e32 v1, 16, v1
	s_branch .LBB199_502
.LBB199_501:
	s_mov_b32 s28, -1
                                        ; implicit-def: $vgpr1
.LBB199_502:
	s_branch .LBB199_417
.LBB199_503:
	s_and_b32 s1, 0xffff, s1
	s_delay_alu instid0(SALU_CYCLE_1)
	s_cmp_lt_i32 s1, 5
	s_cbranch_scc1 .LBB199_508
; %bb.504:
	s_cmp_lt_i32 s1, 8
	s_cbranch_scc1 .LBB199_509
; %bb.505:
	;; [unrolled: 3-line block ×3, first 2 shown]
	s_cmp_gt_i32 s1, 9
	s_cbranch_scc0 .LBB199_511
; %bb.507:
	global_load_b64 v[8:9], v[6:7], off
	s_mov_b32 s2, 0
	s_wait_loadcnt 0x0
	v_cvt_f32_f64_e32 v1, v[8:9]
	s_delay_alu instid0(VALU_DEP_1) | instskip(SKIP_1) | instid1(VALU_DEP_2)
	v_bfe_u32 v3, v1, 16, 1
	v_cmp_o_f32_e32 vcc_lo, v1, v1
	v_add3_u32 v3, v1, v3, 0x7fff
	s_delay_alu instid0(VALU_DEP_1) | instskip(NEXT) | instid1(VALU_DEP_1)
	v_lshrrev_b32_e32 v3, 16, v3
	v_cndmask_b32_e32 v1, 0x7fc0, v3, vcc_lo
	s_branch .LBB199_512
.LBB199_508:
	s_mov_b32 s2, -1
                                        ; implicit-def: $vgpr1
	s_branch .LBB199_530
.LBB199_509:
	s_mov_b32 s2, -1
                                        ; implicit-def: $vgpr1
	s_branch .LBB199_518
.LBB199_510:
	s_mov_b32 s2, -1
                                        ; implicit-def: $vgpr1
	s_branch .LBB199_515
.LBB199_511:
	s_mov_b32 s2, -1
                                        ; implicit-def: $vgpr1
.LBB199_512:
	s_delay_alu instid0(SALU_CYCLE_1)
	s_and_not1_b32 vcc_lo, exec_lo, s2
	s_cbranch_vccnz .LBB199_514
; %bb.513:
	s_wait_loadcnt 0x0
	global_load_b32 v1, v[6:7], off
	s_wait_loadcnt 0x0
	v_bfe_u32 v3, v1, 16, 1
	v_cmp_o_f32_e32 vcc_lo, v1, v1
	s_delay_alu instid0(VALU_DEP_2) | instskip(NEXT) | instid1(VALU_DEP_1)
	v_add3_u32 v3, v1, v3, 0x7fff
	v_lshrrev_b32_e32 v3, 16, v3
	s_delay_alu instid0(VALU_DEP_1)
	v_cndmask_b32_e32 v1, 0x7fc0, v3, vcc_lo
.LBB199_514:
	s_mov_b32 s2, 0
.LBB199_515:
	s_delay_alu instid0(SALU_CYCLE_1)
	s_and_not1_b32 vcc_lo, exec_lo, s2
	s_cbranch_vccnz .LBB199_517
; %bb.516:
	s_wait_loadcnt 0x0
	global_load_b32 v1, v[6:7], off
	s_wait_loadcnt 0x0
	v_cvt_f32_f16_e32 v3, v1
	v_cmp_o_f16_e32 vcc_lo, v1, v1
	s_delay_alu instid0(VALU_DEP_2) | instskip(NEXT) | instid1(VALU_DEP_1)
	v_bfe_u32 v5, v3, 16, 1
	v_add3_u32 v3, v3, v5, 0x7fff
	s_delay_alu instid0(VALU_DEP_1) | instskip(NEXT) | instid1(VALU_DEP_1)
	v_lshrrev_b32_e32 v3, 16, v3
	v_cndmask_b32_e32 v1, 0x7fc0, v3, vcc_lo
.LBB199_517:
	s_mov_b32 s2, 0
.LBB199_518:
	s_delay_alu instid0(SALU_CYCLE_1)
	s_and_not1_b32 vcc_lo, exec_lo, s2
	s_cbranch_vccnz .LBB199_529
; %bb.519:
	s_cmp_lt_i32 s1, 6
	s_cbranch_scc1 .LBB199_522
; %bb.520:
	s_cmp_gt_i32 s1, 6
	s_cbranch_scc0 .LBB199_523
; %bb.521:
	global_load_b64 v[8:9], v[6:7], off
	s_mov_b32 s2, 0
	s_wait_loadcnt 0x0
	v_cvt_f32_f64_e32 v1, v[8:9]
	s_delay_alu instid0(VALU_DEP_1) | instskip(SKIP_1) | instid1(VALU_DEP_2)
	v_bfe_u32 v3, v1, 16, 1
	v_cmp_o_f32_e32 vcc_lo, v1, v1
	v_add3_u32 v3, v1, v3, 0x7fff
	s_delay_alu instid0(VALU_DEP_1) | instskip(NEXT) | instid1(VALU_DEP_1)
	v_lshrrev_b32_e32 v3, 16, v3
	v_cndmask_b32_e32 v1, 0x7fc0, v3, vcc_lo
	s_branch .LBB199_524
.LBB199_522:
	s_mov_b32 s2, -1
                                        ; implicit-def: $vgpr1
	s_branch .LBB199_527
.LBB199_523:
	s_mov_b32 s2, -1
                                        ; implicit-def: $vgpr1
.LBB199_524:
	s_delay_alu instid0(SALU_CYCLE_1)
	s_and_not1_b32 vcc_lo, exec_lo, s2
	s_cbranch_vccnz .LBB199_526
; %bb.525:
	s_wait_loadcnt 0x0
	global_load_b32 v1, v[6:7], off
	s_wait_loadcnt 0x0
	v_bfe_u32 v3, v1, 16, 1
	v_cmp_o_f32_e32 vcc_lo, v1, v1
	s_delay_alu instid0(VALU_DEP_2) | instskip(NEXT) | instid1(VALU_DEP_1)
	v_add3_u32 v3, v1, v3, 0x7fff
	v_lshrrev_b32_e32 v3, 16, v3
	s_delay_alu instid0(VALU_DEP_1)
	v_cndmask_b32_e32 v1, 0x7fc0, v3, vcc_lo
.LBB199_526:
	s_mov_b32 s2, 0
.LBB199_527:
	s_delay_alu instid0(SALU_CYCLE_1)
	s_and_not1_b32 vcc_lo, exec_lo, s2
	s_cbranch_vccnz .LBB199_529
; %bb.528:
	s_wait_loadcnt 0x0
	global_load_u16 v1, v[6:7], off
	s_wait_loadcnt 0x0
	v_cvt_f32_f16_e32 v3, v1
	v_cmp_o_f16_e32 vcc_lo, v1, v1
	s_delay_alu instid0(VALU_DEP_2) | instskip(NEXT) | instid1(VALU_DEP_1)
	v_bfe_u32 v5, v3, 16, 1
	v_add3_u32 v3, v3, v5, 0x7fff
	s_delay_alu instid0(VALU_DEP_1) | instskip(NEXT) | instid1(VALU_DEP_1)
	v_lshrrev_b32_e32 v3, 16, v3
	v_cndmask_b32_e32 v1, 0x7fc0, v3, vcc_lo
.LBB199_529:
	s_mov_b32 s2, 0
.LBB199_530:
	s_delay_alu instid0(SALU_CYCLE_1)
	s_and_not1_b32 vcc_lo, exec_lo, s2
	s_cbranch_vccnz .LBB199_550
; %bb.531:
	s_cmp_lt_i32 s1, 2
	s_cbranch_scc1 .LBB199_535
; %bb.532:
	s_cmp_lt_i32 s1, 3
	s_cbranch_scc1 .LBB199_536
; %bb.533:
	s_cmp_gt_i32 s1, 3
	s_cbranch_scc0 .LBB199_537
; %bb.534:
	global_load_b64 v[8:9], v[6:7], off
	s_mov_b32 s2, 0
	s_wait_loadcnt 0x0
	v_xor_b32_e32 v1, v8, v9
	v_cls_i32_e32 v3, v9
	s_delay_alu instid0(VALU_DEP_2) | instskip(NEXT) | instid1(VALU_DEP_1)
	v_ashrrev_i32_e32 v1, 31, v1
	v_add_nc_u32_e32 v1, 32, v1
	s_delay_alu instid0(VALU_DEP_1) | instskip(NEXT) | instid1(VALU_DEP_1)
	v_add_min_u32_e64 v1, v3, -1, v1
	v_lshlrev_b64_e32 v[8:9], v1, v[8:9]
	v_sub_nc_u32_e32 v1, 32, v1
	s_delay_alu instid0(VALU_DEP_2) | instskip(NEXT) | instid1(VALU_DEP_1)
	v_min_u32_e32 v3, 1, v8
	v_or_b32_e32 v3, v9, v3
	s_delay_alu instid0(VALU_DEP_1) | instskip(NEXT) | instid1(VALU_DEP_1)
	v_cvt_f32_i32_e32 v3, v3
	v_ldexp_f32 v1, v3, v1
	s_delay_alu instid0(VALU_DEP_1) | instskip(NEXT) | instid1(VALU_DEP_1)
	v_bfe_u32 v3, v1, 16, 1
	v_add3_u32 v1, v1, v3, 0x7fff
	s_delay_alu instid0(VALU_DEP_1)
	v_lshrrev_b32_e32 v1, 16, v1
	s_branch .LBB199_538
.LBB199_535:
	s_mov_b32 s2, -1
                                        ; implicit-def: $vgpr1
	s_branch .LBB199_544
.LBB199_536:
	s_mov_b32 s2, -1
                                        ; implicit-def: $vgpr1
	s_branch .LBB199_541
.LBB199_537:
	s_mov_b32 s2, -1
                                        ; implicit-def: $vgpr1
.LBB199_538:
	s_delay_alu instid0(SALU_CYCLE_1)
	s_and_not1_b32 vcc_lo, exec_lo, s2
	s_cbranch_vccnz .LBB199_540
; %bb.539:
	s_wait_loadcnt 0x0
	global_load_b32 v1, v[6:7], off
	s_wait_loadcnt 0x0
	v_cvt_f32_i32_e32 v1, v1
	s_delay_alu instid0(VALU_DEP_1) | instskip(NEXT) | instid1(VALU_DEP_1)
	v_bfe_u32 v3, v1, 16, 1
	v_add3_u32 v1, v1, v3, 0x7fff
	s_delay_alu instid0(VALU_DEP_1)
	v_lshrrev_b32_e32 v1, 16, v1
.LBB199_540:
	s_mov_b32 s2, 0
.LBB199_541:
	s_delay_alu instid0(SALU_CYCLE_1)
	s_and_not1_b32 vcc_lo, exec_lo, s2
	s_cbranch_vccnz .LBB199_543
; %bb.542:
	s_wait_loadcnt 0x0
	global_load_i16 v1, v[6:7], off
	s_wait_loadcnt 0x0
	v_cvt_f32_i32_e32 v1, v1
	s_delay_alu instid0(VALU_DEP_1) | instskip(NEXT) | instid1(VALU_DEP_1)
	v_bfe_u32 v3, v1, 16, 1
	v_add3_u32 v1, v1, v3, 0x7fff
	s_delay_alu instid0(VALU_DEP_1)
	v_lshrrev_b32_e32 v1, 16, v1
.LBB199_543:
	s_mov_b32 s2, 0
.LBB199_544:
	s_delay_alu instid0(SALU_CYCLE_1)
	s_and_not1_b32 vcc_lo, exec_lo, s2
	s_cbranch_vccnz .LBB199_550
; %bb.545:
	s_cmp_gt_i32 s1, 0
	s_mov_b32 s1, 0
	s_cbranch_scc0 .LBB199_547
; %bb.546:
	s_wait_loadcnt 0x0
	global_load_i8 v1, v[6:7], off
	s_wait_loadcnt 0x0
	v_cvt_f32_i32_e32 v1, v1
	s_delay_alu instid0(VALU_DEP_1) | instskip(NEXT) | instid1(VALU_DEP_1)
	v_bfe_u32 v3, v1, 16, 1
	v_add3_u32 v1, v1, v3, 0x7fff
	s_delay_alu instid0(VALU_DEP_1)
	v_lshrrev_b32_e32 v1, 16, v1
	s_branch .LBB199_548
.LBB199_547:
	s_mov_b32 s1, -1
                                        ; implicit-def: $vgpr1
.LBB199_548:
	s_delay_alu instid0(SALU_CYCLE_1)
	s_and_not1_b32 vcc_lo, exec_lo, s1
	s_cbranch_vccnz .LBB199_550
; %bb.549:
	s_wait_loadcnt 0x0
	global_load_u8 v1, v[6:7], off
	s_wait_loadcnt 0x0
	v_cvt_f32_ubyte0_e32 v1, v1
	s_delay_alu instid0(VALU_DEP_1) | instskip(NEXT) | instid1(VALU_DEP_1)
	v_bfe_u32 v3, v1, 16, 1
	v_add3_u32 v1, v1, v3, 0x7fff
	s_delay_alu instid0(VALU_DEP_1)
	v_lshrrev_b32_e32 v1, 16, v1
.LBB199_550:
	s_branch .LBB199_418
.LBB199_551:
	s_mov_b32 s1, 0
	s_mov_b32 s2, s10
	;; [unrolled: 1-line block ×3, first 2 shown]
	s_branch .LBB199_795
.LBB199_552:
	s_and_not1_saveexec_b32 s45, s45
	s_cbranch_execz .LBB199_204
.LBB199_553:
	v_add_f32_e32 v1, 0x42800000, v4
	s_and_not1_b32 s44, s44, exec_lo
	s_delay_alu instid0(VALU_DEP_1) | instskip(NEXT) | instid1(VALU_DEP_1)
	v_and_b32_e32 v1, 0xff, v1
	v_cmp_ne_u32_e32 vcc_lo, 0, v1
	s_and_b32 s46, vcc_lo, exec_lo
	s_delay_alu instid0(SALU_CYCLE_1)
	s_or_b32 s44, s44, s46
	s_or_b32 exec_lo, exec_lo, s45
	v_mov_b32_e32 v5, 0
	s_and_saveexec_b32 s45, s44
	s_cbranch_execnz .LBB199_205
	s_branch .LBB199_206
.LBB199_554:
	s_mov_b32 s29, -1
	s_mov_b32 s44, 0
.LBB199_555:
                                        ; implicit-def: $vgpr3
.LBB199_556:
	s_and_b32 vcc_lo, exec_lo, s45
	s_cbranch_vccz .LBB199_560
; %bb.557:
	s_cmp_eq_u32 s2, 44
	s_cbranch_scc0 .LBB199_559
; %bb.558:
	s_wait_loadcnt 0x0
	global_load_u8 v3, v[4:5], off
	s_mov_b32 s29, 0
	s_mov_b32 s44, -1
	s_wait_loadcnt 0x0
	s_wait_xcnt 0x1
	v_lshlrev_b32_e32 v6, 23, v3
	v_cmp_ne_u32_e32 vcc_lo, 0xff, v3
	s_delay_alu instid0(VALU_DEP_2) | instskip(SKIP_1) | instid1(VALU_DEP_2)
	v_cndmask_b32_e32 v6, 0x7f800001, v6, vcc_lo
	v_cmp_ne_u32_e32 vcc_lo, 0, v3
	v_cndmask_b32_e32 v3, 0x400000, v6, vcc_lo
	s_delay_alu instid0(VALU_DEP_1) | instskip(NEXT) | instid1(VALU_DEP_1)
	v_add_nc_u32_e32 v6, 0x7fff, v3
	v_lshrrev_b32_e32 v6, 16, v6
	v_cmp_o_f32_e32 vcc_lo, v3, v3
	s_delay_alu instid0(VALU_DEP_2)
	v_cndmask_b32_e32 v3, 0x7fc0, v6, vcc_lo
	s_branch .LBB199_560
.LBB199_559:
	s_mov_b32 s29, -1
                                        ; implicit-def: $vgpr3
.LBB199_560:
	s_mov_b32 s45, 0
.LBB199_561:
	s_delay_alu instid0(SALU_CYCLE_1)
	s_and_b32 vcc_lo, exec_lo, s45
	s_cbranch_vccz .LBB199_565
; %bb.562:
	s_cmp_eq_u32 s2, 29
	s_cbranch_scc0 .LBB199_564
; %bb.563:
	global_load_b64 v[6:7], v[4:5], off
	s_mov_b32 s44, -1
	s_mov_b32 s29, 0
	s_mov_b32 s45, 0
	s_wait_loadcnt 0x0
	v_clz_i32_u32_e32 v3, v7
	s_delay_alu instid0(VALU_DEP_1) | instskip(NEXT) | instid1(VALU_DEP_1)
	v_min_u32_e32 v3, 32, v3
	v_lshlrev_b64_e32 v[6:7], v3, v[6:7]
	v_sub_nc_u32_e32 v3, 32, v3
	s_delay_alu instid0(VALU_DEP_2) | instskip(NEXT) | instid1(VALU_DEP_1)
	v_min_u32_e32 v6, 1, v6
	v_or_b32_e32 v6, v7, v6
	s_delay_alu instid0(VALU_DEP_1) | instskip(NEXT) | instid1(VALU_DEP_1)
	v_cvt_f32_u32_e32 v6, v6
	v_ldexp_f32 v3, v6, v3
	s_delay_alu instid0(VALU_DEP_1) | instskip(NEXT) | instid1(VALU_DEP_1)
	v_bfe_u32 v6, v3, 16, 1
	v_add3_u32 v3, v3, v6, 0x7fff
	s_delay_alu instid0(VALU_DEP_1)
	v_lshrrev_b32_e32 v3, 16, v3
	s_branch .LBB199_566
.LBB199_564:
	s_mov_b32 s29, -1
                                        ; implicit-def: $vgpr3
.LBB199_565:
	s_mov_b32 s45, 0
.LBB199_566:
	s_delay_alu instid0(SALU_CYCLE_1)
	s_and_b32 vcc_lo, exec_lo, s45
	s_cbranch_vccz .LBB199_584
; %bb.567:
	s_cmp_lt_i32 s2, 27
	s_cbranch_scc1 .LBB199_570
; %bb.568:
	s_cmp_gt_i32 s2, 27
	s_cbranch_scc0 .LBB199_571
; %bb.569:
	s_wait_loadcnt 0x0
	global_load_b32 v3, v[4:5], off
	s_mov_b32 s44, 0
	s_wait_loadcnt 0x0
	v_cvt_f32_u32_e32 v3, v3
	s_wait_xcnt 0x1
	s_delay_alu instid0(VALU_DEP_1) | instskip(NEXT) | instid1(VALU_DEP_1)
	v_bfe_u32 v6, v3, 16, 1
	v_add3_u32 v3, v3, v6, 0x7fff
	s_delay_alu instid0(VALU_DEP_1)
	v_lshrrev_b32_e32 v3, 16, v3
	s_branch .LBB199_572
.LBB199_570:
	s_mov_b32 s44, -1
                                        ; implicit-def: $vgpr3
	s_branch .LBB199_575
.LBB199_571:
	s_mov_b32 s44, -1
                                        ; implicit-def: $vgpr3
.LBB199_572:
	s_delay_alu instid0(SALU_CYCLE_1)
	s_and_not1_b32 vcc_lo, exec_lo, s44
	s_cbranch_vccnz .LBB199_574
; %bb.573:
	s_wait_loadcnt 0x0
	global_load_u16 v3, v[4:5], off
	s_wait_loadcnt 0x0
	v_cvt_f32_u32_e32 v3, v3
	s_wait_xcnt 0x1
	s_delay_alu instid0(VALU_DEP_1) | instskip(NEXT) | instid1(VALU_DEP_1)
	v_bfe_u32 v6, v3, 16, 1
	v_add3_u32 v3, v3, v6, 0x7fff
	s_delay_alu instid0(VALU_DEP_1)
	v_lshrrev_b32_e32 v3, 16, v3
.LBB199_574:
	s_mov_b32 s44, 0
.LBB199_575:
	s_delay_alu instid0(SALU_CYCLE_1)
	s_and_not1_b32 vcc_lo, exec_lo, s44
	s_cbranch_vccnz .LBB199_583
; %bb.576:
	s_wait_loadcnt 0x0
	global_load_u8 v3, v[4:5], off
	s_mov_b32 s44, 0
	s_mov_b32 s45, exec_lo
	s_wait_loadcnt 0x0
	v_cmpx_lt_i16_e32 0x7f, v3
	s_xor_b32 s45, exec_lo, s45
	s_cbranch_execz .LBB199_597
; %bb.577:
	s_mov_b32 s44, -1
	s_mov_b32 s46, exec_lo
	v_cmpx_eq_u16_e32 0x80, v3
; %bb.578:
	s_xor_b32 s44, exec_lo, -1
; %bb.579:
	s_or_b32 exec_lo, exec_lo, s46
	s_delay_alu instid0(SALU_CYCLE_1)
	s_and_b32 s44, s44, exec_lo
	s_or_saveexec_b32 s45, s45
	v_mov_b32_e32 v6, 0x7f800001
	s_xor_b32 exec_lo, exec_lo, s45
	s_cbranch_execnz .LBB199_598
.LBB199_580:
	s_or_b32 exec_lo, exec_lo, s45
	s_and_saveexec_b32 s45, s44
	s_cbranch_execz .LBB199_582
.LBB199_581:
	v_and_b32_e32 v6, 0xffff, v3
	s_delay_alu instid0(VALU_DEP_1) | instskip(SKIP_1) | instid1(VALU_DEP_2)
	v_and_b32_e32 v7, 7, v6
	v_bfe_u32 v10, v6, 3, 4
	v_clz_i32_u32_e32 v8, v7
	s_delay_alu instid0(VALU_DEP_2) | instskip(NEXT) | instid1(VALU_DEP_2)
	v_cmp_eq_u32_e32 vcc_lo, 0, v10
	v_min_u32_e32 v8, 32, v8
	s_delay_alu instid0(VALU_DEP_1) | instskip(NEXT) | instid1(VALU_DEP_1)
	v_subrev_nc_u32_e32 v9, 28, v8
	v_dual_lshlrev_b32 v6, v9, v6 :: v_dual_sub_nc_u32 v8, 29, v8
	s_delay_alu instid0(VALU_DEP_1) | instskip(NEXT) | instid1(VALU_DEP_1)
	v_dual_lshlrev_b32 v3, 24, v3 :: v_dual_bitop2_b32 v6, 7, v6 bitop3:0x40
	v_dual_cndmask_b32 v8, v10, v8, vcc_lo :: v_dual_cndmask_b32 v6, v7, v6, vcc_lo
	s_delay_alu instid0(VALU_DEP_2) | instskip(NEXT) | instid1(VALU_DEP_2)
	v_and_b32_e32 v3, 0x80000000, v3
	v_lshl_add_u32 v7, v8, 23, 0x3b800000
	s_delay_alu instid0(VALU_DEP_3) | instskip(NEXT) | instid1(VALU_DEP_1)
	v_lshlrev_b32_e32 v6, 20, v6
	v_or3_b32 v6, v3, v7, v6
.LBB199_582:
	s_or_b32 exec_lo, exec_lo, s45
	s_delay_alu instid0(VALU_DEP_1) | instskip(SKIP_1) | instid1(VALU_DEP_2)
	v_bfe_u32 v3, v6, 16, 1
	v_cmp_o_f32_e32 vcc_lo, v6, v6
	v_add3_u32 v3, v6, v3, 0x7fff
	s_delay_alu instid0(VALU_DEP_1) | instskip(NEXT) | instid1(VALU_DEP_1)
	v_lshrrev_b32_e32 v3, 16, v3
	v_cndmask_b32_e32 v3, 0x7fc0, v3, vcc_lo
.LBB199_583:
	s_mov_b32 s44, -1
.LBB199_584:
	s_mov_b32 s45, 0
.LBB199_585:
	s_delay_alu instid0(SALU_CYCLE_1)
	s_and_b32 vcc_lo, exec_lo, s45
	s_cbranch_vccz .LBB199_620
; %bb.586:
	s_cmp_gt_i32 s2, 22
	s_cbranch_scc0 .LBB199_596
; %bb.587:
	s_cmp_lt_i32 s2, 24
	s_cbranch_scc1 .LBB199_599
; %bb.588:
	s_cmp_gt_i32 s2, 24
	s_cbranch_scc0 .LBB199_600
; %bb.589:
	s_wait_loadcnt 0x0
	global_load_u8 v3, v[4:5], off
	s_mov_b32 s44, 0
	s_mov_b32 s45, exec_lo
	s_wait_loadcnt 0x0
	v_cmpx_lt_i16_e32 0x7f, v3
	s_xor_b32 s45, exec_lo, s45
	s_cbranch_execz .LBB199_612
; %bb.590:
	s_mov_b32 s44, -1
	s_mov_b32 s46, exec_lo
	v_cmpx_eq_u16_e32 0x80, v3
; %bb.591:
	s_xor_b32 s44, exec_lo, -1
; %bb.592:
	s_or_b32 exec_lo, exec_lo, s46
	s_delay_alu instid0(SALU_CYCLE_1)
	s_and_b32 s44, s44, exec_lo
	s_or_saveexec_b32 s45, s45
	v_mov_b32_e32 v6, 0x7f800001
	s_xor_b32 exec_lo, exec_lo, s45
	s_cbranch_execnz .LBB199_613
.LBB199_593:
	s_or_b32 exec_lo, exec_lo, s45
	s_and_saveexec_b32 s45, s44
	s_cbranch_execz .LBB199_595
.LBB199_594:
	v_and_b32_e32 v6, 0xffff, v3
	s_delay_alu instid0(VALU_DEP_1) | instskip(SKIP_1) | instid1(VALU_DEP_2)
	v_and_b32_e32 v7, 3, v6
	v_bfe_u32 v10, v6, 2, 5
	v_clz_i32_u32_e32 v8, v7
	s_delay_alu instid0(VALU_DEP_2) | instskip(NEXT) | instid1(VALU_DEP_2)
	v_cmp_eq_u32_e32 vcc_lo, 0, v10
	v_min_u32_e32 v8, 32, v8
	s_delay_alu instid0(VALU_DEP_1) | instskip(NEXT) | instid1(VALU_DEP_1)
	v_subrev_nc_u32_e32 v9, 29, v8
	v_dual_lshlrev_b32 v6, v9, v6 :: v_dual_sub_nc_u32 v8, 30, v8
	s_delay_alu instid0(VALU_DEP_1) | instskip(NEXT) | instid1(VALU_DEP_1)
	v_dual_lshlrev_b32 v3, 24, v3 :: v_dual_bitop2_b32 v6, 3, v6 bitop3:0x40
	v_dual_cndmask_b32 v8, v10, v8, vcc_lo :: v_dual_cndmask_b32 v6, v7, v6, vcc_lo
	s_delay_alu instid0(VALU_DEP_2) | instskip(NEXT) | instid1(VALU_DEP_2)
	v_and_b32_e32 v3, 0x80000000, v3
	v_lshl_add_u32 v7, v8, 23, 0x37800000
	s_delay_alu instid0(VALU_DEP_3) | instskip(NEXT) | instid1(VALU_DEP_1)
	v_lshlrev_b32_e32 v6, 21, v6
	v_or3_b32 v6, v3, v7, v6
.LBB199_595:
	s_or_b32 exec_lo, exec_lo, s45
	s_delay_alu instid0(VALU_DEP_1) | instskip(SKIP_2) | instid1(VALU_DEP_2)
	v_bfe_u32 v3, v6, 16, 1
	v_cmp_o_f32_e32 vcc_lo, v6, v6
	s_mov_b32 s44, 0
	v_add3_u32 v3, v6, v3, 0x7fff
	s_delay_alu instid0(VALU_DEP_1) | instskip(NEXT) | instid1(VALU_DEP_1)
	v_lshrrev_b32_e32 v3, 16, v3
	v_cndmask_b32_e32 v3, 0x7fc0, v3, vcc_lo
	s_branch .LBB199_601
.LBB199_596:
	s_mov_b32 s45, -1
                                        ; implicit-def: $vgpr3
	s_branch .LBB199_607
.LBB199_597:
	s_or_saveexec_b32 s45, s45
	v_mov_b32_e32 v6, 0x7f800001
	s_xor_b32 exec_lo, exec_lo, s45
	s_cbranch_execz .LBB199_580
.LBB199_598:
	v_cmp_ne_u16_e32 vcc_lo, 0, v3
	v_mov_b32_e32 v6, 0
	s_and_not1_b32 s44, s44, exec_lo
	s_and_b32 s46, vcc_lo, exec_lo
	s_delay_alu instid0(SALU_CYCLE_1)
	s_or_b32 s44, s44, s46
	s_or_b32 exec_lo, exec_lo, s45
	s_and_saveexec_b32 s45, s44
	s_cbranch_execnz .LBB199_581
	s_branch .LBB199_582
.LBB199_599:
	s_mov_b32 s44, -1
                                        ; implicit-def: $vgpr3
	s_branch .LBB199_604
.LBB199_600:
	s_mov_b32 s44, -1
                                        ; implicit-def: $vgpr3
.LBB199_601:
	s_delay_alu instid0(SALU_CYCLE_1)
	s_and_b32 vcc_lo, exec_lo, s44
	s_cbranch_vccz .LBB199_603
; %bb.602:
	s_wait_loadcnt 0x0
	global_load_u8 v3, v[4:5], off
	s_wait_loadcnt 0x0
	v_lshlrev_b32_e32 v3, 24, v3
	s_wait_xcnt 0x1
	s_delay_alu instid0(VALU_DEP_1) | instskip(NEXT) | instid1(VALU_DEP_1)
	v_and_b32_e32 v6, 0x7f000000, v3
	v_clz_i32_u32_e32 v7, v6
	v_cmp_ne_u32_e32 vcc_lo, 0, v6
	v_add_nc_u32_e32 v9, 0x1000000, v6
	s_delay_alu instid0(VALU_DEP_3) | instskip(NEXT) | instid1(VALU_DEP_1)
	v_min_u32_e32 v7, 32, v7
	v_sub_nc_u32_e64 v7, v7, 4 clamp
	s_delay_alu instid0(VALU_DEP_1) | instskip(NEXT) | instid1(VALU_DEP_1)
	v_dual_lshlrev_b32 v8, v7, v6 :: v_dual_lshlrev_b32 v7, 23, v7
	v_lshrrev_b32_e32 v8, 4, v8
	s_delay_alu instid0(VALU_DEP_1) | instskip(NEXT) | instid1(VALU_DEP_1)
	v_dual_sub_nc_u32 v7, v8, v7 :: v_dual_ashrrev_i32 v8, 8, v9
	v_add_nc_u32_e32 v7, 0x3c000000, v7
	s_delay_alu instid0(VALU_DEP_1) | instskip(NEXT) | instid1(VALU_DEP_1)
	v_and_or_b32 v7, 0x7f800000, v8, v7
	v_cndmask_b32_e32 v6, 0, v7, vcc_lo
	s_delay_alu instid0(VALU_DEP_1) | instskip(SKIP_1) | instid1(VALU_DEP_2)
	v_and_or_b32 v3, 0x80000000, v3, v6
	v_bfe_u32 v6, v6, 16, 1
	v_cmp_o_f32_e32 vcc_lo, v3, v3
	s_delay_alu instid0(VALU_DEP_2) | instskip(NEXT) | instid1(VALU_DEP_1)
	v_add3_u32 v6, v3, v6, 0x7fff
	v_lshrrev_b32_e32 v6, 16, v6
	s_delay_alu instid0(VALU_DEP_1)
	v_cndmask_b32_e32 v3, 0x7fc0, v6, vcc_lo
.LBB199_603:
	s_mov_b32 s44, 0
.LBB199_604:
	s_delay_alu instid0(SALU_CYCLE_1)
	s_and_not1_b32 vcc_lo, exec_lo, s44
	s_cbranch_vccnz .LBB199_606
; %bb.605:
	s_wait_loadcnt 0x0
	global_load_u8 v3, v[4:5], off
	s_wait_loadcnt 0x0
	s_wait_xcnt 0x1
	v_lshlrev_b32_e32 v6, 25, v3
	v_lshlrev_b16 v3, 8, v3
	s_delay_alu instid0(VALU_DEP_1) | instskip(SKIP_1) | instid1(VALU_DEP_2)
	v_and_or_b32 v8, 0x7f00, v3, 0.5
	v_bfe_i32 v3, v3, 0, 16
	v_dual_add_f32 v8, -0.5, v8 :: v_dual_lshrrev_b32 v7, 4, v6
	v_cmp_gt_u32_e32 vcc_lo, 0x8000000, v6
	s_delay_alu instid0(VALU_DEP_2) | instskip(NEXT) | instid1(VALU_DEP_1)
	v_or_b32_e32 v7, 0x70000000, v7
	v_mul_f32_e32 v7, 0x7800000, v7
	s_delay_alu instid0(VALU_DEP_1) | instskip(NEXT) | instid1(VALU_DEP_1)
	v_cndmask_b32_e32 v6, v7, v8, vcc_lo
	v_and_or_b32 v3, 0x80000000, v3, v6
	v_bfe_u32 v6, v6, 16, 1
	s_delay_alu instid0(VALU_DEP_2) | instskip(NEXT) | instid1(VALU_DEP_2)
	v_cmp_o_f32_e32 vcc_lo, v3, v3
	v_add3_u32 v6, v3, v6, 0x7fff
	s_delay_alu instid0(VALU_DEP_1) | instskip(NEXT) | instid1(VALU_DEP_1)
	v_lshrrev_b32_e32 v6, 16, v6
	v_cndmask_b32_e32 v3, 0x7fc0, v6, vcc_lo
.LBB199_606:
	s_mov_b32 s45, 0
	s_mov_b32 s44, -1
.LBB199_607:
	s_and_not1_b32 vcc_lo, exec_lo, s45
	s_cbranch_vccnz .LBB199_620
; %bb.608:
	s_cmp_gt_i32 s2, 14
	s_cbranch_scc0 .LBB199_611
; %bb.609:
	s_cmp_eq_u32 s2, 15
	s_cbranch_scc0 .LBB199_614
; %bb.610:
	s_wait_loadcnt 0x0
	global_load_u16 v3, v[4:5], off
	s_mov_b32 s44, -1
	s_mov_b32 s29, 0
	s_branch .LBB199_615
.LBB199_611:
	s_mov_b32 s45, -1
                                        ; implicit-def: $vgpr3
	s_branch .LBB199_616
.LBB199_612:
	s_or_saveexec_b32 s45, s45
	v_mov_b32_e32 v6, 0x7f800001
	s_xor_b32 exec_lo, exec_lo, s45
	s_cbranch_execz .LBB199_593
.LBB199_613:
	v_cmp_ne_u16_e32 vcc_lo, 0, v3
	v_mov_b32_e32 v6, 0
	s_and_not1_b32 s44, s44, exec_lo
	s_and_b32 s46, vcc_lo, exec_lo
	s_delay_alu instid0(SALU_CYCLE_1)
	s_or_b32 s44, s44, s46
	s_or_b32 exec_lo, exec_lo, s45
	s_and_saveexec_b32 s45, s44
	s_cbranch_execnz .LBB199_594
	s_branch .LBB199_595
.LBB199_614:
	s_mov_b32 s29, -1
                                        ; implicit-def: $vgpr3
.LBB199_615:
	s_mov_b32 s45, 0
.LBB199_616:
	s_delay_alu instid0(SALU_CYCLE_1)
	s_and_b32 vcc_lo, exec_lo, s45
	s_cbranch_vccz .LBB199_620
; %bb.617:
	s_cmp_eq_u32 s2, 11
	s_cbranch_scc0 .LBB199_619
; %bb.618:
	s_wait_loadcnt 0x0
	global_load_u8 v3, v[4:5], off
	s_mov_b32 s29, 0
	s_mov_b32 s44, -1
	s_wait_loadcnt 0x0
	v_cmp_ne_u16_e32 vcc_lo, 0, v3
	v_cndmask_b32_e64 v3, 0, 1.0, vcc_lo
	s_delay_alu instid0(VALU_DEP_1)
	v_lshrrev_b32_e32 v3, 16, v3
	s_branch .LBB199_620
.LBB199_619:
	s_mov_b32 s29, -1
                                        ; implicit-def: $vgpr3
.LBB199_620:
	s_mov_b32 s2, 0
.LBB199_621:
	s_delay_alu instid0(SALU_CYCLE_1)
	s_and_b32 vcc_lo, exec_lo, s2
	s_cbranch_vccz .LBB199_670
; %bb.622:
	s_and_b32 s1, 0xffff, s1
	s_delay_alu instid0(SALU_CYCLE_1)
	s_cmp_lt_i32 s1, 5
	s_cbranch_scc1 .LBB199_627
; %bb.623:
	s_cmp_lt_i32 s1, 8
	s_cbranch_scc1 .LBB199_628
; %bb.624:
	;; [unrolled: 3-line block ×3, first 2 shown]
	s_cmp_gt_i32 s1, 9
	s_cbranch_scc0 .LBB199_630
; %bb.626:
	global_load_b64 v[6:7], v[4:5], off
	s_mov_b32 s2, 0
	s_wait_loadcnt 0x0
	v_cvt_f32_f64_e32 v3, v[6:7]
	s_delay_alu instid0(VALU_DEP_1) | instskip(SKIP_1) | instid1(VALU_DEP_2)
	v_bfe_u32 v6, v3, 16, 1
	v_cmp_o_f32_e32 vcc_lo, v3, v3
	v_add3_u32 v6, v3, v6, 0x7fff
	s_delay_alu instid0(VALU_DEP_1) | instskip(NEXT) | instid1(VALU_DEP_1)
	v_lshrrev_b32_e32 v6, 16, v6
	v_cndmask_b32_e32 v3, 0x7fc0, v6, vcc_lo
	s_branch .LBB199_631
.LBB199_627:
	s_mov_b32 s2, -1
                                        ; implicit-def: $vgpr3
	s_branch .LBB199_649
.LBB199_628:
	s_mov_b32 s2, -1
                                        ; implicit-def: $vgpr3
	s_branch .LBB199_637
.LBB199_629:
	s_mov_b32 s2, -1
                                        ; implicit-def: $vgpr3
	s_branch .LBB199_634
.LBB199_630:
	s_mov_b32 s2, -1
                                        ; implicit-def: $vgpr3
.LBB199_631:
	s_delay_alu instid0(SALU_CYCLE_1)
	s_and_not1_b32 vcc_lo, exec_lo, s2
	s_cbranch_vccnz .LBB199_633
; %bb.632:
	s_wait_loadcnt 0x0
	global_load_b32 v3, v[4:5], off
	s_wait_loadcnt 0x0
	s_wait_xcnt 0x1
	v_bfe_u32 v6, v3, 16, 1
	v_cmp_o_f32_e32 vcc_lo, v3, v3
	s_delay_alu instid0(VALU_DEP_2) | instskip(NEXT) | instid1(VALU_DEP_1)
	v_add3_u32 v6, v3, v6, 0x7fff
	v_lshrrev_b32_e32 v6, 16, v6
	s_delay_alu instid0(VALU_DEP_1)
	v_cndmask_b32_e32 v3, 0x7fc0, v6, vcc_lo
.LBB199_633:
	s_mov_b32 s2, 0
.LBB199_634:
	s_delay_alu instid0(SALU_CYCLE_1)
	s_and_not1_b32 vcc_lo, exec_lo, s2
	s_cbranch_vccnz .LBB199_636
; %bb.635:
	s_wait_loadcnt 0x0
	global_load_b32 v3, v[4:5], off
	s_wait_loadcnt 0x0
	s_wait_xcnt 0x1
	v_cvt_f32_f16_e32 v6, v3
	v_cmp_o_f16_e32 vcc_lo, v3, v3
	s_delay_alu instid0(VALU_DEP_2) | instskip(NEXT) | instid1(VALU_DEP_1)
	v_bfe_u32 v7, v6, 16, 1
	v_add3_u32 v6, v6, v7, 0x7fff
	s_delay_alu instid0(VALU_DEP_1) | instskip(NEXT) | instid1(VALU_DEP_1)
	v_lshrrev_b32_e32 v6, 16, v6
	v_cndmask_b32_e32 v3, 0x7fc0, v6, vcc_lo
.LBB199_636:
	s_mov_b32 s2, 0
.LBB199_637:
	s_delay_alu instid0(SALU_CYCLE_1)
	s_and_not1_b32 vcc_lo, exec_lo, s2
	s_cbranch_vccnz .LBB199_648
; %bb.638:
	s_cmp_lt_i32 s1, 6
	s_cbranch_scc1 .LBB199_641
; %bb.639:
	s_cmp_gt_i32 s1, 6
	s_cbranch_scc0 .LBB199_642
; %bb.640:
	global_load_b64 v[6:7], v[4:5], off
	s_mov_b32 s2, 0
	s_wait_loadcnt 0x0
	v_cvt_f32_f64_e32 v3, v[6:7]
	s_delay_alu instid0(VALU_DEP_1) | instskip(SKIP_1) | instid1(VALU_DEP_2)
	v_bfe_u32 v6, v3, 16, 1
	v_cmp_o_f32_e32 vcc_lo, v3, v3
	v_add3_u32 v6, v3, v6, 0x7fff
	s_delay_alu instid0(VALU_DEP_1) | instskip(NEXT) | instid1(VALU_DEP_1)
	v_lshrrev_b32_e32 v6, 16, v6
	v_cndmask_b32_e32 v3, 0x7fc0, v6, vcc_lo
	s_branch .LBB199_643
.LBB199_641:
	s_mov_b32 s2, -1
                                        ; implicit-def: $vgpr3
	s_branch .LBB199_646
.LBB199_642:
	s_mov_b32 s2, -1
                                        ; implicit-def: $vgpr3
.LBB199_643:
	s_delay_alu instid0(SALU_CYCLE_1)
	s_and_not1_b32 vcc_lo, exec_lo, s2
	s_cbranch_vccnz .LBB199_645
; %bb.644:
	s_wait_loadcnt 0x0
	global_load_b32 v3, v[4:5], off
	s_wait_loadcnt 0x0
	s_wait_xcnt 0x1
	v_bfe_u32 v6, v3, 16, 1
	v_cmp_o_f32_e32 vcc_lo, v3, v3
	s_delay_alu instid0(VALU_DEP_2) | instskip(NEXT) | instid1(VALU_DEP_1)
	v_add3_u32 v6, v3, v6, 0x7fff
	v_lshrrev_b32_e32 v6, 16, v6
	s_delay_alu instid0(VALU_DEP_1)
	v_cndmask_b32_e32 v3, 0x7fc0, v6, vcc_lo
.LBB199_645:
	s_mov_b32 s2, 0
.LBB199_646:
	s_delay_alu instid0(SALU_CYCLE_1)
	s_and_not1_b32 vcc_lo, exec_lo, s2
	s_cbranch_vccnz .LBB199_648
; %bb.647:
	s_wait_loadcnt 0x0
	global_load_u16 v3, v[4:5], off
	s_wait_loadcnt 0x0
	s_wait_xcnt 0x1
	v_cvt_f32_f16_e32 v6, v3
	v_cmp_o_f16_e32 vcc_lo, v3, v3
	s_delay_alu instid0(VALU_DEP_2) | instskip(NEXT) | instid1(VALU_DEP_1)
	v_bfe_u32 v7, v6, 16, 1
	v_add3_u32 v6, v6, v7, 0x7fff
	s_delay_alu instid0(VALU_DEP_1) | instskip(NEXT) | instid1(VALU_DEP_1)
	v_lshrrev_b32_e32 v6, 16, v6
	v_cndmask_b32_e32 v3, 0x7fc0, v6, vcc_lo
.LBB199_648:
	s_mov_b32 s2, 0
.LBB199_649:
	s_delay_alu instid0(SALU_CYCLE_1)
	s_and_not1_b32 vcc_lo, exec_lo, s2
	s_cbranch_vccnz .LBB199_669
; %bb.650:
	s_cmp_lt_i32 s1, 2
	s_cbranch_scc1 .LBB199_654
; %bb.651:
	s_cmp_lt_i32 s1, 3
	s_cbranch_scc1 .LBB199_655
; %bb.652:
	s_cmp_gt_i32 s1, 3
	s_cbranch_scc0 .LBB199_656
; %bb.653:
	global_load_b64 v[6:7], v[4:5], off
	s_mov_b32 s2, 0
	s_wait_loadcnt 0x0
	v_xor_b32_e32 v3, v6, v7
	v_cls_i32_e32 v8, v7
	s_delay_alu instid0(VALU_DEP_2) | instskip(NEXT) | instid1(VALU_DEP_1)
	v_ashrrev_i32_e32 v3, 31, v3
	v_add_nc_u32_e32 v3, 32, v3
	s_delay_alu instid0(VALU_DEP_1) | instskip(NEXT) | instid1(VALU_DEP_1)
	v_add_min_u32_e64 v3, v8, -1, v3
	v_lshlrev_b64_e32 v[6:7], v3, v[6:7]
	v_sub_nc_u32_e32 v3, 32, v3
	s_delay_alu instid0(VALU_DEP_2) | instskip(NEXT) | instid1(VALU_DEP_1)
	v_min_u32_e32 v6, 1, v6
	v_or_b32_e32 v6, v7, v6
	s_delay_alu instid0(VALU_DEP_1) | instskip(NEXT) | instid1(VALU_DEP_1)
	v_cvt_f32_i32_e32 v6, v6
	v_ldexp_f32 v3, v6, v3
	s_delay_alu instid0(VALU_DEP_1) | instskip(NEXT) | instid1(VALU_DEP_1)
	v_bfe_u32 v6, v3, 16, 1
	v_add3_u32 v3, v3, v6, 0x7fff
	s_delay_alu instid0(VALU_DEP_1)
	v_lshrrev_b32_e32 v3, 16, v3
	s_branch .LBB199_657
.LBB199_654:
	s_mov_b32 s2, -1
                                        ; implicit-def: $vgpr3
	s_branch .LBB199_663
.LBB199_655:
	s_mov_b32 s2, -1
                                        ; implicit-def: $vgpr3
	s_branch .LBB199_660
.LBB199_656:
	s_mov_b32 s2, -1
                                        ; implicit-def: $vgpr3
.LBB199_657:
	s_delay_alu instid0(SALU_CYCLE_1)
	s_and_not1_b32 vcc_lo, exec_lo, s2
	s_cbranch_vccnz .LBB199_659
; %bb.658:
	s_wait_loadcnt 0x0
	global_load_b32 v3, v[4:5], off
	s_wait_loadcnt 0x0
	v_cvt_f32_i32_e32 v3, v3
	s_wait_xcnt 0x1
	s_delay_alu instid0(VALU_DEP_1) | instskip(NEXT) | instid1(VALU_DEP_1)
	v_bfe_u32 v6, v3, 16, 1
	v_add3_u32 v3, v3, v6, 0x7fff
	s_delay_alu instid0(VALU_DEP_1)
	v_lshrrev_b32_e32 v3, 16, v3
.LBB199_659:
	s_mov_b32 s2, 0
.LBB199_660:
	s_delay_alu instid0(SALU_CYCLE_1)
	s_and_not1_b32 vcc_lo, exec_lo, s2
	s_cbranch_vccnz .LBB199_662
; %bb.661:
	s_wait_loadcnt 0x0
	global_load_i16 v3, v[4:5], off
	s_wait_loadcnt 0x0
	v_cvt_f32_i32_e32 v3, v3
	s_wait_xcnt 0x1
	s_delay_alu instid0(VALU_DEP_1) | instskip(NEXT) | instid1(VALU_DEP_1)
	v_bfe_u32 v6, v3, 16, 1
	v_add3_u32 v3, v3, v6, 0x7fff
	s_delay_alu instid0(VALU_DEP_1)
	v_lshrrev_b32_e32 v3, 16, v3
.LBB199_662:
	s_mov_b32 s2, 0
.LBB199_663:
	s_delay_alu instid0(SALU_CYCLE_1)
	s_and_not1_b32 vcc_lo, exec_lo, s2
	s_cbranch_vccnz .LBB199_669
; %bb.664:
	s_cmp_gt_i32 s1, 0
	s_mov_b32 s1, 0
	s_cbranch_scc0 .LBB199_666
; %bb.665:
	s_wait_loadcnt 0x0
	global_load_i8 v3, v[4:5], off
	s_wait_loadcnt 0x0
	v_cvt_f32_i32_e32 v3, v3
	s_wait_xcnt 0x1
	s_delay_alu instid0(VALU_DEP_1) | instskip(NEXT) | instid1(VALU_DEP_1)
	v_bfe_u32 v6, v3, 16, 1
	v_add3_u32 v3, v3, v6, 0x7fff
	s_delay_alu instid0(VALU_DEP_1)
	v_lshrrev_b32_e32 v3, 16, v3
	s_branch .LBB199_667
.LBB199_666:
	s_mov_b32 s1, -1
                                        ; implicit-def: $vgpr3
.LBB199_667:
	s_delay_alu instid0(SALU_CYCLE_1)
	s_and_not1_b32 vcc_lo, exec_lo, s1
	s_cbranch_vccnz .LBB199_669
; %bb.668:
	s_wait_loadcnt 0x0
	global_load_u8 v3, v[4:5], off
	s_wait_loadcnt 0x0
	v_cvt_f32_ubyte0_e32 v3, v3
	s_wait_xcnt 0x0
	s_delay_alu instid0(VALU_DEP_1) | instskip(NEXT) | instid1(VALU_DEP_1)
	v_bfe_u32 v4, v3, 16, 1
	v_add3_u32 v3, v3, v4, 0x7fff
	s_delay_alu instid0(VALU_DEP_1)
	v_lshrrev_b32_e32 v3, 16, v3
.LBB199_669:
	s_mov_b32 s44, -1
.LBB199_670:
	s_delay_alu instid0(SALU_CYCLE_1)
	s_and_not1_b32 vcc_lo, exec_lo, s44
	s_cbranch_vccnz .LBB199_678
; %bb.671:
	s_wait_loadcnt 0x0
	v_dual_lshlrev_b32 v3, 16, v3 :: v_dual_lshlrev_b32 v1, 16, v1
	s_and_b32 s44, s11, 0xff
	s_delay_alu instid0(SALU_CYCLE_1) | instskip(NEXT) | instid1(VALU_DEP_1)
	s_cmp_lt_i32 s44, 11
	v_cmp_eq_f32_e32 vcc_lo, v1, v3
	s_wait_xcnt 0x0
	v_cndmask_b32_e64 v4, 0, 1, vcc_lo
	v_cmp_neq_f32_e32 vcc_lo, v1, v3
	v_mov_b32_e32 v3, 0
	v_cndmask_b32_e64 v1, 0, 1, vcc_lo
	s_delay_alu instid0(VALU_DEP_2) | instskip(NEXT) | instid1(VALU_DEP_2)
	v_add_nc_u64_e32 v[2:3], s[4:5], v[2:3]
	v_cndmask_b32_e64 v1, v1, v4, s0
	s_delay_alu instid0(VALU_DEP_1) | instskip(NEXT) | instid1(VALU_DEP_1)
	v_and_b32_e32 v1, 1, v1
	v_cmp_eq_u32_e64 s1, 1, v1
	s_cbranch_scc1 .LBB199_679
; %bb.672:
	s_and_b32 s45, 0xffff, s44
	s_delay_alu instid0(SALU_CYCLE_1)
	s_cmp_gt_i32 s45, 25
	s_cbranch_scc0 .LBB199_680
; %bb.673:
	s_cmp_gt_i32 s45, 28
	s_cbranch_scc0 .LBB199_681
; %bb.674:
	;; [unrolled: 3-line block ×4, first 2 shown]
	s_mov_b32 s48, 0
	s_mov_b32 s2, -1
	s_cmp_eq_u32 s45, 46
	s_mov_b32 s46, 0
	s_cbranch_scc0 .LBB199_684
; %bb.677:
	v_cndmask_b32_e64 v1, 0, 1.0, s1
	s_mov_b32 s46, -1
	s_mov_b32 s2, 0
	s_delay_alu instid0(VALU_DEP_1) | instskip(NEXT) | instid1(VALU_DEP_1)
	v_bfe_u32 v4, v1, 16, 1
	v_add3_u32 v1, v1, v4, 0x7fff
	s_delay_alu instid0(VALU_DEP_1)
	v_lshrrev_b32_e32 v1, 16, v1
	global_store_b32 v[2:3], v1, off
	s_branch .LBB199_684
.LBB199_678:
	s_mov_b32 s1, 0
	s_mov_b32 s2, s10
	s_branch .LBB199_795
.LBB199_679:
	s_mov_b32 s45, -1
	s_mov_b32 s46, 0
	s_mov_b32 s2, s10
	s_branch .LBB199_753
.LBB199_680:
	s_mov_b32 s48, -1
	s_mov_b32 s46, 0
	s_mov_b32 s2, s10
	s_branch .LBB199_711
.LBB199_681:
	s_mov_b32 s48, -1
	s_mov_b32 s46, 0
	s_mov_b32 s2, s10
	s_branch .LBB199_694
.LBB199_682:
	s_mov_b32 s48, -1
	s_mov_b32 s46, 0
	s_mov_b32 s2, s10
	s_branch .LBB199_690
.LBB199_683:
	s_mov_b32 s48, -1
	s_mov_b32 s46, 0
	s_mov_b32 s2, s10
.LBB199_684:
	s_and_b32 vcc_lo, exec_lo, s48
	s_cbranch_vccz .LBB199_689
; %bb.685:
	s_cmp_eq_u32 s45, 44
	s_mov_b32 s2, -1
	s_cbranch_scc0 .LBB199_689
; %bb.686:
	v_cndmask_b32_e64 v5, 0, 1.0, s1
	s_mov_b32 s46, exec_lo
	s_wait_xcnt 0x0
	s_delay_alu instid0(VALU_DEP_1) | instskip(NEXT) | instid1(VALU_DEP_1)
	v_dual_mov_b32 v4, 0xff :: v_dual_lshrrev_b32 v1, 23, v5
	v_cmpx_ne_u32_e32 0xff, v1
; %bb.687:
	v_and_b32_e32 v4, 0x400000, v5
	v_and_or_b32 v5, 0x3fffff, v5, v1
	s_delay_alu instid0(VALU_DEP_2) | instskip(NEXT) | instid1(VALU_DEP_2)
	v_cmp_ne_u32_e32 vcc_lo, 0, v4
	v_cmp_ne_u32_e64 s2, 0, v5
	s_and_b32 s2, vcc_lo, s2
	s_delay_alu instid0(SALU_CYCLE_1) | instskip(NEXT) | instid1(VALU_DEP_1)
	v_cndmask_b32_e64 v4, 0, 1, s2
	v_add_nc_u32_e32 v4, v1, v4
; %bb.688:
	s_or_b32 exec_lo, exec_lo, s46
	s_mov_b32 s46, -1
	s_mov_b32 s2, 0
	global_store_b8 v[2:3], v4, off
.LBB199_689:
	s_mov_b32 s48, 0
.LBB199_690:
	s_delay_alu instid0(SALU_CYCLE_1)
	s_and_b32 vcc_lo, exec_lo, s48
	s_cbranch_vccz .LBB199_693
; %bb.691:
	s_cmp_eq_u32 s45, 29
	s_mov_b32 s2, -1
	s_cbranch_scc0 .LBB199_693
; %bb.692:
	s_mov_b32 s2, 0
	s_wait_xcnt 0x0
	v_cndmask_b32_e64 v4, 0, 1, s1
	v_mov_b32_e32 v5, s2
	s_mov_b32 s46, -1
	s_mov_b32 s48, 0
	global_store_b64 v[2:3], v[4:5], off
	s_branch .LBB199_694
.LBB199_693:
	s_mov_b32 s48, 0
.LBB199_694:
	s_delay_alu instid0(SALU_CYCLE_1)
	s_and_b32 vcc_lo, exec_lo, s48
	s_cbranch_vccz .LBB199_710
; %bb.695:
	s_cmp_lt_i32 s45, 27
	s_mov_b32 s46, -1
	s_cbranch_scc1 .LBB199_701
; %bb.696:
	s_cmp_gt_i32 s45, 27
	s_cbranch_scc0 .LBB199_698
; %bb.697:
	s_wait_xcnt 0x0
	v_cndmask_b32_e64 v1, 0, 1, s1
	s_mov_b32 s46, 0
	global_store_b32 v[2:3], v1, off
.LBB199_698:
	s_and_not1_b32 vcc_lo, exec_lo, s46
	s_cbranch_vccnz .LBB199_700
; %bb.699:
	s_wait_xcnt 0x0
	v_cndmask_b32_e64 v1, 0, 1, s1
	global_store_b16 v[2:3], v1, off
.LBB199_700:
	s_mov_b32 s46, 0
.LBB199_701:
	s_delay_alu instid0(SALU_CYCLE_1)
	s_and_not1_b32 vcc_lo, exec_lo, s46
	s_cbranch_vccnz .LBB199_709
; %bb.702:
	s_wait_xcnt 0x0
	v_cndmask_b32_e64 v4, 0, 1.0, s1
	v_mov_b32_e32 v5, 0x80
	s_mov_b32 s46, exec_lo
	s_delay_alu instid0(VALU_DEP_2)
	v_cmpx_gt_u32_e32 0x43800000, v4
	s_cbranch_execz .LBB199_708
; %bb.703:
	s_mov_b32 s48, 0
	s_mov_b32 s49, exec_lo
                                        ; implicit-def: $vgpr1
	v_cmpx_lt_u32_e32 0x3bffffff, v4
	s_xor_b32 s49, exec_lo, s49
	s_cbranch_execz .LBB199_823
; %bb.704:
	v_bfe_u32 v1, v4, 20, 1
	s_mov_b32 s48, exec_lo
	s_delay_alu instid0(VALU_DEP_1) | instskip(NEXT) | instid1(VALU_DEP_1)
	v_add3_u32 v1, v4, v1, 0x487ffff
                                        ; implicit-def: $vgpr4
	v_lshrrev_b32_e32 v1, 20, v1
	s_and_not1_saveexec_b32 s49, s49
	s_cbranch_execnz .LBB199_824
.LBB199_705:
	s_or_b32 exec_lo, exec_lo, s49
	v_mov_b32_e32 v5, 0
	s_and_saveexec_b32 s49, s48
.LBB199_706:
	v_mov_b32_e32 v5, v1
.LBB199_707:
	s_or_b32 exec_lo, exec_lo, s49
.LBB199_708:
	s_delay_alu instid0(SALU_CYCLE_1)
	s_or_b32 exec_lo, exec_lo, s46
	global_store_b8 v[2:3], v5, off
.LBB199_709:
	s_mov_b32 s46, -1
.LBB199_710:
	s_mov_b32 s48, 0
.LBB199_711:
	s_delay_alu instid0(SALU_CYCLE_1)
	s_and_b32 vcc_lo, exec_lo, s48
	s_cbranch_vccz .LBB199_752
; %bb.712:
	s_cmp_gt_i32 s45, 22
	s_mov_b32 s48, -1
	s_cbranch_scc0 .LBB199_744
; %bb.713:
	s_cmp_lt_i32 s45, 24
	s_mov_b32 s46, -1
	s_cbranch_scc1 .LBB199_733
; %bb.714:
	s_cmp_gt_i32 s45, 24
	s_cbranch_scc0 .LBB199_722
; %bb.715:
	s_wait_xcnt 0x0
	v_cndmask_b32_e64 v4, 0, 1.0, s1
	v_mov_b32_e32 v5, 0x80
	s_mov_b32 s46, exec_lo
	s_delay_alu instid0(VALU_DEP_2)
	v_cmpx_gt_u32_e32 0x47800000, v4
	s_cbranch_execz .LBB199_721
; %bb.716:
	s_mov_b32 s48, 0
	s_mov_b32 s49, exec_lo
                                        ; implicit-def: $vgpr1
	v_cmpx_lt_u32_e32 0x37ffffff, v4
	s_xor_b32 s49, exec_lo, s49
	s_cbranch_execz .LBB199_955
; %bb.717:
	v_bfe_u32 v1, v4, 21, 1
	s_mov_b32 s48, exec_lo
	s_delay_alu instid0(VALU_DEP_1) | instskip(NEXT) | instid1(VALU_DEP_1)
	v_add3_u32 v1, v4, v1, 0x88fffff
                                        ; implicit-def: $vgpr4
	v_lshrrev_b32_e32 v1, 21, v1
	s_and_not1_saveexec_b32 s49, s49
	s_cbranch_execnz .LBB199_956
.LBB199_718:
	s_or_b32 exec_lo, exec_lo, s49
	v_mov_b32_e32 v5, 0
	s_and_saveexec_b32 s49, s48
.LBB199_719:
	v_mov_b32_e32 v5, v1
.LBB199_720:
	s_or_b32 exec_lo, exec_lo, s49
.LBB199_721:
	s_delay_alu instid0(SALU_CYCLE_1)
	s_or_b32 exec_lo, exec_lo, s46
	s_mov_b32 s46, 0
	global_store_b8 v[2:3], v5, off
.LBB199_722:
	s_and_b32 vcc_lo, exec_lo, s46
	s_cbranch_vccz .LBB199_732
; %bb.723:
	s_wait_xcnt 0x0
	v_cndmask_b32_e64 v4, 0, 1.0, s1
	s_mov_b32 s46, exec_lo
                                        ; implicit-def: $vgpr1
	s_delay_alu instid0(VALU_DEP_1)
	v_cmpx_gt_u32_e32 0x43f00000, v4
	s_xor_b32 s46, exec_lo, s46
	s_cbranch_execz .LBB199_729
; %bb.724:
	s_mov_b32 s48, exec_lo
                                        ; implicit-def: $vgpr1
	v_cmpx_lt_u32_e32 0x3c7fffff, v4
	s_xor_b32 s48, exec_lo, s48
; %bb.725:
	v_bfe_u32 v1, v4, 20, 1
	s_delay_alu instid0(VALU_DEP_1) | instskip(NEXT) | instid1(VALU_DEP_1)
	v_add3_u32 v1, v4, v1, 0x407ffff
	v_and_b32_e32 v4, 0xff00000, v1
	v_lshrrev_b32_e32 v1, 20, v1
	s_delay_alu instid0(VALU_DEP_2) | instskip(NEXT) | instid1(VALU_DEP_2)
	v_cmp_ne_u32_e32 vcc_lo, 0x7f00000, v4
                                        ; implicit-def: $vgpr4
	v_cndmask_b32_e32 v1, 0x7e, v1, vcc_lo
; %bb.726:
	s_and_not1_saveexec_b32 s48, s48
; %bb.727:
	v_add_f32_e32 v1, 0x46800000, v4
; %bb.728:
	s_or_b32 exec_lo, exec_lo, s48
                                        ; implicit-def: $vgpr4
.LBB199_729:
	s_and_not1_saveexec_b32 s46, s46
; %bb.730:
	v_mov_b32_e32 v1, 0x7f
	v_cmp_lt_u32_e32 vcc_lo, 0x7f800000, v4
	s_delay_alu instid0(VALU_DEP_2)
	v_cndmask_b32_e32 v1, 0x7e, v1, vcc_lo
; %bb.731:
	s_or_b32 exec_lo, exec_lo, s46
	global_store_b8 v[2:3], v1, off
.LBB199_732:
	s_mov_b32 s46, 0
.LBB199_733:
	s_delay_alu instid0(SALU_CYCLE_1)
	s_and_not1_b32 vcc_lo, exec_lo, s46
	s_cbranch_vccnz .LBB199_743
; %bb.734:
	s_wait_xcnt 0x0
	v_cndmask_b32_e64 v4, 0, 1.0, s1
	s_mov_b32 s46, exec_lo
                                        ; implicit-def: $vgpr1
	s_delay_alu instid0(VALU_DEP_1)
	v_cmpx_gt_u32_e32 0x47800000, v4
	s_xor_b32 s46, exec_lo, s46
	s_cbranch_execz .LBB199_740
; %bb.735:
	s_mov_b32 s48, exec_lo
                                        ; implicit-def: $vgpr1
	v_cmpx_lt_u32_e32 0x387fffff, v4
	s_xor_b32 s48, exec_lo, s48
; %bb.736:
	v_bfe_u32 v1, v4, 21, 1
	s_delay_alu instid0(VALU_DEP_1) | instskip(NEXT) | instid1(VALU_DEP_1)
	v_add3_u32 v1, v4, v1, 0x80fffff
                                        ; implicit-def: $vgpr4
	v_lshrrev_b32_e32 v1, 21, v1
; %bb.737:
	s_and_not1_saveexec_b32 s48, s48
; %bb.738:
	v_add_f32_e32 v1, 0x43000000, v4
; %bb.739:
	s_or_b32 exec_lo, exec_lo, s48
                                        ; implicit-def: $vgpr4
.LBB199_740:
	s_and_not1_saveexec_b32 s46, s46
; %bb.741:
	v_mov_b32_e32 v1, 0x7f
	v_cmp_lt_u32_e32 vcc_lo, 0x7f800000, v4
	s_delay_alu instid0(VALU_DEP_2)
	v_cndmask_b32_e32 v1, 0x7c, v1, vcc_lo
; %bb.742:
	s_or_b32 exec_lo, exec_lo, s46
	global_store_b8 v[2:3], v1, off
.LBB199_743:
	s_mov_b32 s48, 0
	s_mov_b32 s46, -1
.LBB199_744:
	s_and_not1_b32 vcc_lo, exec_lo, s48
	s_cbranch_vccnz .LBB199_752
; %bb.745:
	s_cmp_gt_i32 s45, 14
	s_mov_b32 s48, -1
	s_cbranch_scc0 .LBB199_749
; %bb.746:
	s_cmp_eq_u32 s45, 15
	s_mov_b32 s2, -1
	s_cbranch_scc0 .LBB199_748
; %bb.747:
	s_wait_xcnt 0x0
	v_cndmask_b32_e64 v1, 0, 1.0, s1
	s_mov_b32 s46, -1
	s_mov_b32 s2, 0
	s_delay_alu instid0(VALU_DEP_1) | instskip(NEXT) | instid1(VALU_DEP_1)
	v_bfe_u32 v4, v1, 16, 1
	v_add3_u32 v1, v1, v4, 0x7fff
	global_store_d16_hi_b16 v[2:3], v1, off
.LBB199_748:
	s_mov_b32 s48, 0
.LBB199_749:
	s_delay_alu instid0(SALU_CYCLE_1)
	s_and_b32 vcc_lo, exec_lo, s48
	s_cbranch_vccz .LBB199_752
; %bb.750:
	s_cmp_eq_u32 s45, 11
	s_mov_b32 s2, -1
	s_cbranch_scc0 .LBB199_752
; %bb.751:
	s_wait_xcnt 0x0
	v_cndmask_b32_e64 v1, 0, 1, s1
	s_mov_b32 s46, -1
	s_mov_b32 s2, 0
	global_store_b8 v[2:3], v1, off
.LBB199_752:
	s_mov_b32 s45, 0
.LBB199_753:
	s_delay_alu instid0(SALU_CYCLE_1)
	s_and_b32 vcc_lo, exec_lo, s45
	s_cbranch_vccz .LBB199_792
; %bb.754:
	s_and_b32 s44, 0xffff, s44
	s_mov_b32 s45, -1
	s_cmp_lt_i32 s44, 5
	s_cbranch_scc1 .LBB199_775
; %bb.755:
	s_cmp_lt_i32 s44, 8
	s_cbranch_scc1 .LBB199_765
; %bb.756:
	;; [unrolled: 3-line block ×3, first 2 shown]
	s_cmp_gt_i32 s44, 9
	s_cbranch_scc0 .LBB199_759
; %bb.758:
	s_wait_xcnt 0x0
	v_cndmask_b32_e64 v1, 0, 1, s1
	v_mov_b32_e32 v6, 0
	s_mov_b32 s45, 0
	s_delay_alu instid0(VALU_DEP_2) | instskip(NEXT) | instid1(VALU_DEP_2)
	v_cvt_f64_u32_e32 v[4:5], v1
	v_mov_b32_e32 v7, v6
	global_store_b128 v[2:3], v[4:7], off
.LBB199_759:
	s_and_not1_b32 vcc_lo, exec_lo, s45
	s_cbranch_vccnz .LBB199_761
; %bb.760:
	s_wait_xcnt 0x0
	v_cndmask_b32_e64 v4, 0, 1.0, s1
	v_mov_b32_e32 v5, 0
	global_store_b64 v[2:3], v[4:5], off
.LBB199_761:
	s_mov_b32 s45, 0
.LBB199_762:
	s_delay_alu instid0(SALU_CYCLE_1)
	s_and_not1_b32 vcc_lo, exec_lo, s45
	s_cbranch_vccnz .LBB199_764
; %bb.763:
	s_wait_xcnt 0x0
	v_cndmask_b32_e64 v1, 0, 1.0, s1
	s_delay_alu instid0(VALU_DEP_1) | instskip(NEXT) | instid1(VALU_DEP_1)
	v_cvt_f16_f32_e32 v1, v1
	v_and_b32_e32 v1, 0xffff, v1
	global_store_b32 v[2:3], v1, off
.LBB199_764:
	s_mov_b32 s45, 0
.LBB199_765:
	s_delay_alu instid0(SALU_CYCLE_1)
	s_and_not1_b32 vcc_lo, exec_lo, s45
	s_cbranch_vccnz .LBB199_774
; %bb.766:
	s_cmp_lt_i32 s44, 6
	s_mov_b32 s45, -1
	s_cbranch_scc1 .LBB199_772
; %bb.767:
	s_cmp_gt_i32 s44, 6
	s_cbranch_scc0 .LBB199_769
; %bb.768:
	s_wait_xcnt 0x0
	v_cndmask_b32_e64 v1, 0, 1, s1
	s_mov_b32 s45, 0
	s_delay_alu instid0(VALU_DEP_1)
	v_cvt_f64_u32_e32 v[4:5], v1
	global_store_b64 v[2:3], v[4:5], off
.LBB199_769:
	s_and_not1_b32 vcc_lo, exec_lo, s45
	s_cbranch_vccnz .LBB199_771
; %bb.770:
	s_wait_xcnt 0x0
	v_cndmask_b32_e64 v1, 0, 1.0, s1
	global_store_b32 v[2:3], v1, off
.LBB199_771:
	s_mov_b32 s45, 0
.LBB199_772:
	s_delay_alu instid0(SALU_CYCLE_1)
	s_and_not1_b32 vcc_lo, exec_lo, s45
	s_cbranch_vccnz .LBB199_774
; %bb.773:
	s_wait_xcnt 0x0
	v_cndmask_b32_e64 v1, 0, 1.0, s1
	s_delay_alu instid0(VALU_DEP_1)
	v_cvt_f16_f32_e32 v1, v1
	global_store_b16 v[2:3], v1, off
.LBB199_774:
	s_mov_b32 s45, 0
.LBB199_775:
	s_delay_alu instid0(SALU_CYCLE_1)
	s_and_not1_b32 vcc_lo, exec_lo, s45
	s_cbranch_vccnz .LBB199_791
; %bb.776:
	s_cmp_lt_i32 s44, 2
	s_mov_b32 s45, -1
	s_cbranch_scc1 .LBB199_786
; %bb.777:
	s_cmp_lt_i32 s44, 3
	s_cbranch_scc1 .LBB199_783
; %bb.778:
	s_cmp_gt_i32 s44, 3
	s_cbranch_scc0 .LBB199_780
; %bb.779:
	s_mov_b32 s45, 0
	s_wait_xcnt 0x0
	v_cndmask_b32_e64 v4, 0, 1, s1
	v_mov_b32_e32 v5, s45
	global_store_b64 v[2:3], v[4:5], off
.LBB199_780:
	s_and_not1_b32 vcc_lo, exec_lo, s45
	s_cbranch_vccnz .LBB199_782
; %bb.781:
	s_wait_xcnt 0x0
	v_cndmask_b32_e64 v1, 0, 1, s1
	global_store_b32 v[2:3], v1, off
.LBB199_782:
	s_mov_b32 s45, 0
.LBB199_783:
	s_delay_alu instid0(SALU_CYCLE_1)
	s_and_not1_b32 vcc_lo, exec_lo, s45
	s_cbranch_vccnz .LBB199_785
; %bb.784:
	s_wait_xcnt 0x0
	v_cndmask_b32_e64 v1, 0, 1, s1
	global_store_b16 v[2:3], v1, off
.LBB199_785:
	s_mov_b32 s45, 0
.LBB199_786:
	s_delay_alu instid0(SALU_CYCLE_1)
	s_and_not1_b32 vcc_lo, exec_lo, s45
	s_cbranch_vccnz .LBB199_791
; %bb.787:
	s_wait_xcnt 0x0
	v_cndmask_b32_e64 v1, 0, 1, s1
	s_cmp_gt_i32 s44, 0
	s_mov_b32 s1, -1
	s_cbranch_scc0 .LBB199_789
; %bb.788:
	s_mov_b32 s1, 0
	global_store_b8 v[2:3], v1, off
.LBB199_789:
	s_and_not1_b32 vcc_lo, exec_lo, s1
	s_cbranch_vccnz .LBB199_791
; %bb.790:
	global_store_b8 v[2:3], v1, off
.LBB199_791:
	s_mov_b32 s46, -1
.LBB199_792:
	s_delay_alu instid0(SALU_CYCLE_1)
	s_and_not1_b32 vcc_lo, exec_lo, s46
	s_cbranch_vccnz .LBB199_794
; %bb.793:
	v_add_nc_u32_e32 v0, 0x80, v0
	s_mov_b32 s1, -1
	s_branch .LBB199_796
.LBB199_794:
	s_mov_b32 s1, 0
.LBB199_795:
                                        ; implicit-def: $vgpr0
.LBB199_796:
	s_and_not1_b32 s44, s10, exec_lo
	s_and_b32 s2, s2, exec_lo
	s_and_b32 s29, s29, exec_lo
	s_or_b32 s45, s44, s2
	s_and_not1_b32 s2, s41, exec_lo
	s_and_not1_b32 s44, s42, exec_lo
	s_and_b32 s28, s28, exec_lo
	s_or_b32 s46, s2, s29
	s_or_b32 s44, s44, s28
	s_or_not1_b32 s48, s1, exec_lo
.LBB199_797:
	s_wait_xcnt 0x0
	s_or_b32 exec_lo, exec_lo, s47
	s_mov_b32 s1, 0
	s_mov_b32 s29, 0
	;; [unrolled: 1-line block ×3, first 2 shown]
                                        ; implicit-def: $sgpr2
                                        ; implicit-def: $vgpr6_vgpr7
                                        ; implicit-def: $vgpr4
                                        ; implicit-def: $vgpr2
                                        ; implicit-def: $vgpr3
	s_and_saveexec_b32 s47, s48
	s_cbranch_execz .LBB199_1296
; %bb.798:
	s_mov_b32 s52, -1
	s_mov_b32 s1, s44
	s_mov_b32 s50, s46
	;; [unrolled: 1-line block ×3, first 2 shown]
	s_mov_b32 s48, exec_lo
	v_cmpx_gt_i32_e64 s39, v0
	s_cbranch_execz .LBB199_1200
; %bb.799:
	s_and_not1_b32 vcc_lo, exec_lo, s34
	s_cbranch_vccnz .LBB199_805
; %bb.800:
	s_and_not1_b32 vcc_lo, exec_lo, s40
	s_cbranch_vccnz .LBB199_806
; %bb.801:
	s_wait_loadcnt 0x0
	v_dual_mov_b32 v2, 0 :: v_dual_mov_b32 v1, v0
	v_dual_mov_b32 v6, 0 :: v_dual_mov_b32 v4, 0
	s_add_co_i32 s1, s38, 1
	s_mov_b64 s[28:29], 0xffffffffffffffe8
	s_and_b32 s1, s1, 30
	s_add_nc_u64 s[28:29], s[20:21], s[28:29]
.LBB199_802:                            ; =>This Inner Loop Header: Depth=1
	s_clause 0x1
	s_load_b128 s[52:55], s[28:29], 0x1c
	s_load_b64 s[50:51], s[28:29], 0x2c
	s_add_co_i32 s1, s1, -2
	s_delay_alu instid0(SALU_CYCLE_1) | instskip(SKIP_2) | instid1(VALU_DEP_1)
	s_cmp_eq_u32 s1, 0
	s_wait_kmcnt 0x0
	v_mul_hi_u32 v3, s53, v1
	v_add_nc_u32_e32 v3, v1, v3
	s_delay_alu instid0(VALU_DEP_1) | instskip(NEXT) | instid1(VALU_DEP_1)
	v_lshrrev_b32_e32 v3, s54, v3
	v_mul_hi_u32 v5, s50, v3
	v_mul_lo_u32 v7, v3, s52
	s_clause 0x1
	s_load_b128 s[56:59], s[28:29], 0xdc
	s_load_b64 s[52:53], s[28:29], 0xec
	s_wait_xcnt 0x0
	s_add_nc_u64 s[28:29], s[28:29], 24
	s_delay_alu instid0(VALU_DEP_1) | instskip(NEXT) | instid1(VALU_DEP_1)
	v_dual_add_nc_u32 v5, v3, v5 :: v_dual_sub_nc_u32 v7, v1, v7
	v_lshrrev_b32_e32 v1, s51, v5
	s_wait_kmcnt 0x0
	s_delay_alu instid0(VALU_DEP_2) | instskip(NEXT) | instid1(VALU_DEP_2)
	v_mad_u32 v2, v7, s56, v2
	v_mul_lo_u32 v5, v1, s55
	v_mad_u32 v4, v7, s58, v4
	v_mad_u32 v6, v7, s57, v6
	s_delay_alu instid0(VALU_DEP_3) | instskip(NEXT) | instid1(VALU_DEP_1)
	v_sub_nc_u32_e32 v3, v3, v5
	v_mad_u32 v2, v3, s59, v2
	s_delay_alu instid0(VALU_DEP_4) | instskip(NEXT) | instid1(VALU_DEP_4)
	v_mad_u32 v4, v3, s53, v4
	v_mad_u32 v6, v3, s52, v6
	s_cbranch_scc0 .LBB199_802
; %bb.803:
	s_bitcmp1_b32 s38, 0
	s_cselect_b32 s1, -1, 0
	s_delay_alu instid0(SALU_CYCLE_1)
	s_and_b32 vcc_lo, exec_lo, s1
	s_cbranch_vccnz .LBB199_807
; %bb.804:
	s_clause 0x1
	s_load_b96 s[52:54], s[28:29], 0x1c
	s_load_b96 s[56:58], s[28:29], 0xdc
	s_wait_kmcnt 0x0
	v_mul_hi_u32 v3, s53, v1
	s_delay_alu instid0(VALU_DEP_1) | instskip(NEXT) | instid1(VALU_DEP_1)
	v_add_nc_u32_e32 v3, v1, v3
	v_lshrrev_b32_e32 v3, s54, v3
	s_delay_alu instid0(VALU_DEP_1) | instskip(NEXT) | instid1(VALU_DEP_1)
	v_mul_lo_u32 v3, v3, s52
	v_sub_nc_u32_e32 v1, v1, v3
	s_delay_alu instid0(VALU_DEP_1)
	v_mad_u32 v2, v1, s56, v2
	v_mad_u32 v6, v1, s57, v6
	;; [unrolled: 1-line block ×3, first 2 shown]
	s_branch .LBB199_807
.LBB199_805:
	s_mov_b32 s1, -1
                                        ; implicit-def: $vgpr4
                                        ; implicit-def: $vgpr6
                                        ; implicit-def: $vgpr2
	s_branch .LBB199_808
.LBB199_806:
	v_dual_mov_b32 v4, 0 :: v_dual_mov_b32 v6, 0
	v_mov_b32_e32 v2, 0
.LBB199_807:
	s_mov_b32 s1, 0
.LBB199_808:
	s_delay_alu instid0(SALU_CYCLE_1)
	s_and_not1_b32 vcc_lo, exec_lo, s1
	s_cbranch_vccnz .LBB199_811
; %bb.809:
	s_wait_loadcnt 0x0
	v_mov_b32_e32 v1, 0
	s_and_not1_b32 vcc_lo, exec_lo, s37
	s_delay_alu instid0(VALU_DEP_1) | instskip(NEXT) | instid1(VALU_DEP_1)
	v_mul_u64_e32 v[2:3], s[22:23], v[0:1]
	v_add_nc_u32_e32 v2, v0, v3
	s_delay_alu instid0(VALU_DEP_1) | instskip(NEXT) | instid1(VALU_DEP_1)
	v_lshrrev_b32_e32 v8, s14, v2
	v_mul_lo_u32 v2, v8, s12
	s_delay_alu instid0(VALU_DEP_1) | instskip(NEXT) | instid1(VALU_DEP_1)
	v_sub_nc_u32_e32 v3, v0, v2
	v_mul_lo_u32 v2, v3, s16
	v_mul_lo_u32 v4, v3, s18
	;; [unrolled: 1-line block ×3, first 2 shown]
	s_cbranch_vccnz .LBB199_811
; %bb.810:
	v_mov_b32_e32 v9, v1
	s_delay_alu instid0(VALU_DEP_1) | instskip(NEXT) | instid1(VALU_DEP_1)
	v_mul_u64_e32 v[10:11], s[26:27], v[8:9]
	v_add_nc_u32_e32 v1, v8, v11
	s_delay_alu instid0(VALU_DEP_1) | instskip(NEXT) | instid1(VALU_DEP_1)
	v_lshrrev_b32_e32 v1, s3, v1
	v_mul_lo_u32 v1, v1, s15
	s_delay_alu instid0(VALU_DEP_1) | instskip(NEXT) | instid1(VALU_DEP_1)
	v_sub_nc_u32_e32 v1, v8, v1
	v_mad_u32 v2, v1, s19, v2
	v_mad_u32 v6, v1, s24, v6
	;; [unrolled: 1-line block ×3, first 2 shown]
.LBB199_811:
	v_mov_b32_e32 v7, 0
	s_and_b32 s1, s36, 0xff
	s_delay_alu instid0(SALU_CYCLE_1) | instskip(NEXT) | instid1(VALU_DEP_1)
	s_cmp_lt_i32 s1, 11
	v_add_nc_u64_e32 v[6:7], s[6:7], v[6:7]
	s_cbranch_scc1 .LBB199_818
; %bb.812:
	s_and_b32 s2, 0xffff, s1
	s_delay_alu instid0(SALU_CYCLE_1)
	s_cmp_gt_i32 s2, 25
	s_cbranch_scc0 .LBB199_819
; %bb.813:
	s_cmp_gt_i32 s2, 28
	s_cbranch_scc0 .LBB199_820
; %bb.814:
	;; [unrolled: 3-line block ×4, first 2 shown]
	s_cmp_eq_u32 s2, 46
	s_mov_b32 s49, 0
	s_cbranch_scc0 .LBB199_825
; %bb.817:
	s_wait_loadcnt 0x0
	global_load_b32 v1, v[6:7], off
	s_mov_b32 s29, -1
	s_mov_b32 s28, 0
	s_branch .LBB199_827
.LBB199_818:
	s_mov_b32 s2, -1
	s_mov_b32 s29, 0
	s_mov_b32 s28, s44
                                        ; implicit-def: $vgpr1
	s_branch .LBB199_892
.LBB199_819:
	s_mov_b32 s49, -1
	s_mov_b32 s29, 0
	s_mov_b32 s28, s44
                                        ; implicit-def: $vgpr1
	s_branch .LBB199_856
.LBB199_820:
	s_mov_b32 s49, -1
	s_mov_b32 s29, 0
	s_mov_b32 s28, s44
                                        ; implicit-def: $vgpr1
	s_branch .LBB199_837
.LBB199_821:
	s_mov_b32 s49, -1
	s_mov_b32 s29, 0
	s_mov_b32 s28, s44
                                        ; implicit-def: $vgpr1
	s_branch .LBB199_832
.LBB199_822:
	s_mov_b32 s49, -1
	s_mov_b32 s29, 0
	s_mov_b32 s28, s44
	s_branch .LBB199_826
.LBB199_823:
	s_and_not1_saveexec_b32 s49, s49
	s_cbranch_execz .LBB199_705
.LBB199_824:
	v_add_f32_e32 v1, 0x46000000, v4
	s_and_not1_b32 s48, s48, exec_lo
	s_delay_alu instid0(VALU_DEP_1) | instskip(NEXT) | instid1(VALU_DEP_1)
	v_and_b32_e32 v1, 0xff, v1
	v_cmp_ne_u32_e32 vcc_lo, 0, v1
	s_and_b32 s50, vcc_lo, exec_lo
	s_delay_alu instid0(SALU_CYCLE_1)
	s_or_b32 s48, s48, s50
	s_or_b32 exec_lo, exec_lo, s49
	v_mov_b32_e32 v5, 0
	s_and_saveexec_b32 s49, s48
	s_cbranch_execnz .LBB199_706
	s_branch .LBB199_707
.LBB199_825:
	s_mov_b32 s28, -1
	s_mov_b32 s29, 0
.LBB199_826:
                                        ; implicit-def: $vgpr1
.LBB199_827:
	s_and_b32 vcc_lo, exec_lo, s49
	s_cbranch_vccz .LBB199_831
; %bb.828:
	s_cmp_eq_u32 s2, 44
	s_cbranch_scc0 .LBB199_830
; %bb.829:
	s_wait_loadcnt 0x0
	global_load_u8 v1, v[6:7], off
	s_mov_b32 s28, 0
	s_mov_b32 s29, -1
	s_wait_loadcnt 0x0
	v_lshlrev_b32_e32 v3, 23, v1
	v_cmp_ne_u32_e32 vcc_lo, 0xff, v1
	s_delay_alu instid0(VALU_DEP_2) | instskip(SKIP_1) | instid1(VALU_DEP_2)
	v_cndmask_b32_e32 v3, 0x7f800001, v3, vcc_lo
	v_cmp_ne_u32_e32 vcc_lo, 0, v1
	v_cndmask_b32_e32 v1, 0x400000, v3, vcc_lo
	s_delay_alu instid0(VALU_DEP_1) | instskip(SKIP_1) | instid1(VALU_DEP_2)
	v_add_nc_u32_e32 v3, 0x7fff, v1
	v_cmp_o_f32_e32 vcc_lo, v1, v1
	v_lshrrev_b32_e32 v3, 16, v3
	s_delay_alu instid0(VALU_DEP_1)
	v_cndmask_b32_e32 v1, 0x7fc0, v3, vcc_lo
	s_branch .LBB199_831
.LBB199_830:
	s_mov_b32 s28, -1
                                        ; implicit-def: $vgpr1
.LBB199_831:
	s_mov_b32 s49, 0
.LBB199_832:
	s_delay_alu instid0(SALU_CYCLE_1)
	s_and_b32 vcc_lo, exec_lo, s49
	s_cbranch_vccz .LBB199_836
; %bb.833:
	s_cmp_eq_u32 s2, 29
	s_cbranch_scc0 .LBB199_835
; %bb.834:
	global_load_b64 v[8:9], v[6:7], off
	s_mov_b32 s29, -1
	s_mov_b32 s28, 0
	s_mov_b32 s49, 0
	s_wait_loadcnt 0x0
	v_clz_i32_u32_e32 v1, v9
	s_delay_alu instid0(VALU_DEP_1) | instskip(NEXT) | instid1(VALU_DEP_1)
	v_min_u32_e32 v1, 32, v1
	v_lshlrev_b64_e32 v[8:9], v1, v[8:9]
	v_sub_nc_u32_e32 v1, 32, v1
	s_delay_alu instid0(VALU_DEP_2) | instskip(NEXT) | instid1(VALU_DEP_1)
	v_min_u32_e32 v3, 1, v8
	v_or_b32_e32 v3, v9, v3
	s_delay_alu instid0(VALU_DEP_1) | instskip(NEXT) | instid1(VALU_DEP_1)
	v_cvt_f32_u32_e32 v3, v3
	v_ldexp_f32 v1, v3, v1
	s_delay_alu instid0(VALU_DEP_1) | instskip(NEXT) | instid1(VALU_DEP_1)
	v_bfe_u32 v3, v1, 16, 1
	v_add3_u32 v1, v1, v3, 0x7fff
	s_delay_alu instid0(VALU_DEP_1)
	v_lshrrev_b32_e32 v1, 16, v1
	s_branch .LBB199_837
.LBB199_835:
	s_mov_b32 s28, -1
                                        ; implicit-def: $vgpr1
.LBB199_836:
	s_mov_b32 s49, 0
.LBB199_837:
	s_delay_alu instid0(SALU_CYCLE_1)
	s_and_b32 vcc_lo, exec_lo, s49
	s_cbranch_vccz .LBB199_855
; %bb.838:
	s_cmp_lt_i32 s2, 27
	s_cbranch_scc1 .LBB199_841
; %bb.839:
	s_cmp_gt_i32 s2, 27
	s_cbranch_scc0 .LBB199_842
; %bb.840:
	s_wait_loadcnt 0x0
	global_load_b32 v1, v[6:7], off
	s_mov_b32 s29, 0
	s_wait_loadcnt 0x0
	v_cvt_f32_u32_e32 v1, v1
	s_delay_alu instid0(VALU_DEP_1) | instskip(NEXT) | instid1(VALU_DEP_1)
	v_bfe_u32 v3, v1, 16, 1
	v_add3_u32 v1, v1, v3, 0x7fff
	s_delay_alu instid0(VALU_DEP_1)
	v_lshrrev_b32_e32 v1, 16, v1
	s_branch .LBB199_843
.LBB199_841:
	s_mov_b32 s29, -1
                                        ; implicit-def: $vgpr1
	s_branch .LBB199_846
.LBB199_842:
	s_mov_b32 s29, -1
                                        ; implicit-def: $vgpr1
.LBB199_843:
	s_delay_alu instid0(SALU_CYCLE_1)
	s_and_not1_b32 vcc_lo, exec_lo, s29
	s_cbranch_vccnz .LBB199_845
; %bb.844:
	s_wait_loadcnt 0x0
	global_load_u16 v1, v[6:7], off
	s_wait_loadcnt 0x0
	v_cvt_f32_u32_e32 v1, v1
	s_delay_alu instid0(VALU_DEP_1) | instskip(NEXT) | instid1(VALU_DEP_1)
	v_bfe_u32 v3, v1, 16, 1
	v_add3_u32 v1, v1, v3, 0x7fff
	s_delay_alu instid0(VALU_DEP_1)
	v_lshrrev_b32_e32 v1, 16, v1
.LBB199_845:
	s_mov_b32 s29, 0
.LBB199_846:
	s_delay_alu instid0(SALU_CYCLE_1)
	s_and_not1_b32 vcc_lo, exec_lo, s29
	s_cbranch_vccnz .LBB199_854
; %bb.847:
	s_wait_loadcnt 0x0
	global_load_u8 v1, v[6:7], off
	s_mov_b32 s29, 0
	s_mov_b32 s49, exec_lo
	s_wait_loadcnt 0x0
	v_cmpx_lt_i16_e32 0x7f, v1
	s_xor_b32 s49, exec_lo, s49
	s_cbranch_execz .LBB199_868
; %bb.848:
	s_mov_b32 s29, -1
	s_mov_b32 s50, exec_lo
	v_cmpx_eq_u16_e32 0x80, v1
; %bb.849:
	s_xor_b32 s29, exec_lo, -1
; %bb.850:
	s_or_b32 exec_lo, exec_lo, s50
	s_delay_alu instid0(SALU_CYCLE_1)
	s_and_b32 s29, s29, exec_lo
	s_or_saveexec_b32 s49, s49
	v_mov_b32_e32 v3, 0x7f800001
	s_xor_b32 exec_lo, exec_lo, s49
	s_cbranch_execnz .LBB199_869
.LBB199_851:
	s_or_b32 exec_lo, exec_lo, s49
	s_and_saveexec_b32 s49, s29
	s_cbranch_execz .LBB199_853
.LBB199_852:
	v_and_b32_e32 v3, 0xffff, v1
	s_delay_alu instid0(VALU_DEP_1) | instskip(SKIP_1) | instid1(VALU_DEP_2)
	v_and_b32_e32 v5, 7, v3
	v_bfe_u32 v10, v3, 3, 4
	v_clz_i32_u32_e32 v8, v5
	s_delay_alu instid0(VALU_DEP_2) | instskip(NEXT) | instid1(VALU_DEP_2)
	v_cmp_eq_u32_e32 vcc_lo, 0, v10
	v_min_u32_e32 v8, 32, v8
	s_delay_alu instid0(VALU_DEP_1) | instskip(NEXT) | instid1(VALU_DEP_1)
	v_subrev_nc_u32_e32 v9, 28, v8
	v_dual_lshlrev_b32 v3, v9, v3 :: v_dual_sub_nc_u32 v8, 29, v8
	s_delay_alu instid0(VALU_DEP_1) | instskip(NEXT) | instid1(VALU_DEP_1)
	v_dual_lshlrev_b32 v1, 24, v1 :: v_dual_bitop2_b32 v3, 7, v3 bitop3:0x40
	v_dual_cndmask_b32 v8, v10, v8 :: v_dual_cndmask_b32 v3, v5, v3
	s_delay_alu instid0(VALU_DEP_2) | instskip(NEXT) | instid1(VALU_DEP_2)
	v_and_b32_e32 v1, 0x80000000, v1
	v_lshl_add_u32 v5, v8, 23, 0x3b800000
	s_delay_alu instid0(VALU_DEP_3) | instskip(NEXT) | instid1(VALU_DEP_1)
	v_lshlrev_b32_e32 v3, 20, v3
	v_or3_b32 v3, v1, v5, v3
.LBB199_853:
	s_or_b32 exec_lo, exec_lo, s49
	s_delay_alu instid0(VALU_DEP_1) | instskip(SKIP_1) | instid1(VALU_DEP_2)
	v_bfe_u32 v1, v3, 16, 1
	v_cmp_o_f32_e32 vcc_lo, v3, v3
	v_add3_u32 v1, v3, v1, 0x7fff
	s_delay_alu instid0(VALU_DEP_1) | instskip(NEXT) | instid1(VALU_DEP_1)
	v_lshrrev_b32_e32 v1, 16, v1
	v_cndmask_b32_e32 v1, 0x7fc0, v1, vcc_lo
.LBB199_854:
	s_mov_b32 s29, -1
.LBB199_855:
	s_mov_b32 s49, 0
.LBB199_856:
	s_delay_alu instid0(SALU_CYCLE_1)
	s_and_b32 vcc_lo, exec_lo, s49
	s_cbranch_vccz .LBB199_891
; %bb.857:
	s_cmp_gt_i32 s2, 22
	s_cbranch_scc0 .LBB199_867
; %bb.858:
	s_cmp_lt_i32 s2, 24
	s_cbranch_scc1 .LBB199_870
; %bb.859:
	s_cmp_gt_i32 s2, 24
	s_cbranch_scc0 .LBB199_871
; %bb.860:
	s_wait_loadcnt 0x0
	global_load_u8 v1, v[6:7], off
	s_mov_b32 s29, 0
	s_mov_b32 s49, exec_lo
	s_wait_loadcnt 0x0
	v_cmpx_lt_i16_e32 0x7f, v1
	s_xor_b32 s49, exec_lo, s49
	s_cbranch_execz .LBB199_883
; %bb.861:
	s_mov_b32 s29, -1
	s_mov_b32 s50, exec_lo
	v_cmpx_eq_u16_e32 0x80, v1
; %bb.862:
	s_xor_b32 s29, exec_lo, -1
; %bb.863:
	s_or_b32 exec_lo, exec_lo, s50
	s_delay_alu instid0(SALU_CYCLE_1)
	s_and_b32 s29, s29, exec_lo
	s_or_saveexec_b32 s49, s49
	v_mov_b32_e32 v3, 0x7f800001
	s_xor_b32 exec_lo, exec_lo, s49
	s_cbranch_execnz .LBB199_884
.LBB199_864:
	s_or_b32 exec_lo, exec_lo, s49
	s_and_saveexec_b32 s49, s29
	s_cbranch_execz .LBB199_866
.LBB199_865:
	v_and_b32_e32 v3, 0xffff, v1
	s_delay_alu instid0(VALU_DEP_1) | instskip(SKIP_1) | instid1(VALU_DEP_2)
	v_and_b32_e32 v5, 3, v3
	v_bfe_u32 v10, v3, 2, 5
	v_clz_i32_u32_e32 v8, v5
	s_delay_alu instid0(VALU_DEP_2) | instskip(NEXT) | instid1(VALU_DEP_2)
	v_cmp_eq_u32_e32 vcc_lo, 0, v10
	v_min_u32_e32 v8, 32, v8
	s_delay_alu instid0(VALU_DEP_1) | instskip(NEXT) | instid1(VALU_DEP_1)
	v_subrev_nc_u32_e32 v9, 29, v8
	v_dual_lshlrev_b32 v3, v9, v3 :: v_dual_sub_nc_u32 v8, 30, v8
	s_delay_alu instid0(VALU_DEP_1) | instskip(NEXT) | instid1(VALU_DEP_1)
	v_dual_lshlrev_b32 v1, 24, v1 :: v_dual_bitop2_b32 v3, 3, v3 bitop3:0x40
	v_dual_cndmask_b32 v8, v10, v8 :: v_dual_cndmask_b32 v3, v5, v3
	s_delay_alu instid0(VALU_DEP_2) | instskip(NEXT) | instid1(VALU_DEP_2)
	v_and_b32_e32 v1, 0x80000000, v1
	v_lshl_add_u32 v5, v8, 23, 0x37800000
	s_delay_alu instid0(VALU_DEP_3) | instskip(NEXT) | instid1(VALU_DEP_1)
	v_lshlrev_b32_e32 v3, 21, v3
	v_or3_b32 v3, v1, v5, v3
.LBB199_866:
	s_or_b32 exec_lo, exec_lo, s49
	s_delay_alu instid0(VALU_DEP_1) | instskip(SKIP_2) | instid1(VALU_DEP_2)
	v_bfe_u32 v1, v3, 16, 1
	v_cmp_o_f32_e32 vcc_lo, v3, v3
	s_mov_b32 s29, 0
	v_add3_u32 v1, v3, v1, 0x7fff
	s_delay_alu instid0(VALU_DEP_1) | instskip(NEXT) | instid1(VALU_DEP_1)
	v_lshrrev_b32_e32 v1, 16, v1
	v_cndmask_b32_e32 v1, 0x7fc0, v1, vcc_lo
	s_branch .LBB199_872
.LBB199_867:
	s_mov_b32 s49, -1
                                        ; implicit-def: $vgpr1
	s_branch .LBB199_878
.LBB199_868:
	s_or_saveexec_b32 s49, s49
	v_mov_b32_e32 v3, 0x7f800001
	s_xor_b32 exec_lo, exec_lo, s49
	s_cbranch_execz .LBB199_851
.LBB199_869:
	v_cmp_ne_u16_e32 vcc_lo, 0, v1
	v_mov_b32_e32 v3, 0
	s_and_not1_b32 s29, s29, exec_lo
	s_and_b32 s50, vcc_lo, exec_lo
	s_delay_alu instid0(SALU_CYCLE_1)
	s_or_b32 s29, s29, s50
	s_or_b32 exec_lo, exec_lo, s49
	s_and_saveexec_b32 s49, s29
	s_cbranch_execnz .LBB199_852
	s_branch .LBB199_853
.LBB199_870:
	s_mov_b32 s29, -1
                                        ; implicit-def: $vgpr1
	s_branch .LBB199_875
.LBB199_871:
	s_mov_b32 s29, -1
                                        ; implicit-def: $vgpr1
.LBB199_872:
	s_delay_alu instid0(SALU_CYCLE_1)
	s_and_b32 vcc_lo, exec_lo, s29
	s_cbranch_vccz .LBB199_874
; %bb.873:
	s_wait_loadcnt 0x0
	global_load_u8 v1, v[6:7], off
	s_wait_loadcnt 0x0
	v_lshlrev_b32_e32 v1, 24, v1
	s_delay_alu instid0(VALU_DEP_1) | instskip(NEXT) | instid1(VALU_DEP_1)
	v_and_b32_e32 v3, 0x7f000000, v1
	v_clz_i32_u32_e32 v5, v3
	v_add_nc_u32_e32 v9, 0x1000000, v3
	v_cmp_ne_u32_e32 vcc_lo, 0, v3
	s_delay_alu instid0(VALU_DEP_3) | instskip(NEXT) | instid1(VALU_DEP_1)
	v_min_u32_e32 v5, 32, v5
	v_sub_nc_u32_e64 v5, v5, 4 clamp
	s_delay_alu instid0(VALU_DEP_1) | instskip(NEXT) | instid1(VALU_DEP_1)
	v_dual_lshlrev_b32 v8, v5, v3 :: v_dual_lshlrev_b32 v5, 23, v5
	v_lshrrev_b32_e32 v8, 4, v8
	s_delay_alu instid0(VALU_DEP_1) | instskip(SKIP_1) | instid1(VALU_DEP_2)
	v_sub_nc_u32_e32 v5, v8, v5
	v_ashrrev_i32_e32 v8, 8, v9
	v_add_nc_u32_e32 v5, 0x3c000000, v5
	s_delay_alu instid0(VALU_DEP_1) | instskip(NEXT) | instid1(VALU_DEP_1)
	v_and_or_b32 v5, 0x7f800000, v8, v5
	v_cndmask_b32_e32 v3, 0, v5, vcc_lo
	s_delay_alu instid0(VALU_DEP_1) | instskip(SKIP_1) | instid1(VALU_DEP_2)
	v_and_or_b32 v1, 0x80000000, v1, v3
	v_bfe_u32 v3, v3, 16, 1
	v_cmp_o_f32_e32 vcc_lo, v1, v1
	s_delay_alu instid0(VALU_DEP_2) | instskip(NEXT) | instid1(VALU_DEP_1)
	v_add3_u32 v3, v1, v3, 0x7fff
	v_lshrrev_b32_e32 v3, 16, v3
	s_delay_alu instid0(VALU_DEP_1)
	v_cndmask_b32_e32 v1, 0x7fc0, v3, vcc_lo
.LBB199_874:
	s_mov_b32 s29, 0
.LBB199_875:
	s_delay_alu instid0(SALU_CYCLE_1)
	s_and_not1_b32 vcc_lo, exec_lo, s29
	s_cbranch_vccnz .LBB199_877
; %bb.876:
	s_wait_loadcnt 0x0
	global_load_u8 v1, v[6:7], off
	s_wait_loadcnt 0x0
	v_lshlrev_b32_e32 v3, 25, v1
	v_lshlrev_b16 v1, 8, v1
	s_delay_alu instid0(VALU_DEP_1) | instskip(SKIP_1) | instid1(VALU_DEP_2)
	v_and_or_b32 v8, 0x7f00, v1, 0.5
	v_bfe_i32 v1, v1, 0, 16
	v_dual_add_f32 v8, -0.5, v8 :: v_dual_lshrrev_b32 v5, 4, v3
	v_cmp_gt_u32_e32 vcc_lo, 0x8000000, v3
	s_delay_alu instid0(VALU_DEP_2) | instskip(NEXT) | instid1(VALU_DEP_1)
	v_or_b32_e32 v5, 0x70000000, v5
	v_mul_f32_e32 v5, 0x7800000, v5
	s_delay_alu instid0(VALU_DEP_1) | instskip(NEXT) | instid1(VALU_DEP_1)
	v_cndmask_b32_e32 v3, v5, v8, vcc_lo
	v_and_or_b32 v1, 0x80000000, v1, v3
	v_bfe_u32 v3, v3, 16, 1
	s_delay_alu instid0(VALU_DEP_2) | instskip(NEXT) | instid1(VALU_DEP_2)
	v_cmp_o_f32_e32 vcc_lo, v1, v1
	v_add3_u32 v3, v1, v3, 0x7fff
	s_delay_alu instid0(VALU_DEP_1) | instskip(NEXT) | instid1(VALU_DEP_1)
	v_lshrrev_b32_e32 v3, 16, v3
	v_cndmask_b32_e32 v1, 0x7fc0, v3, vcc_lo
.LBB199_877:
	s_mov_b32 s49, 0
	s_mov_b32 s29, -1
.LBB199_878:
	s_and_not1_b32 vcc_lo, exec_lo, s49
	s_cbranch_vccnz .LBB199_891
; %bb.879:
	s_cmp_gt_i32 s2, 14
	s_cbranch_scc0 .LBB199_882
; %bb.880:
	s_cmp_eq_u32 s2, 15
	s_cbranch_scc0 .LBB199_885
; %bb.881:
	s_wait_loadcnt 0x0
	global_load_u16 v1, v[6:7], off
	s_mov_b32 s29, -1
	s_mov_b32 s28, 0
	s_branch .LBB199_886
.LBB199_882:
	s_mov_b32 s49, -1
                                        ; implicit-def: $vgpr1
	s_branch .LBB199_887
.LBB199_883:
	s_or_saveexec_b32 s49, s49
	v_mov_b32_e32 v3, 0x7f800001
	s_xor_b32 exec_lo, exec_lo, s49
	s_cbranch_execz .LBB199_864
.LBB199_884:
	v_cmp_ne_u16_e32 vcc_lo, 0, v1
	v_mov_b32_e32 v3, 0
	s_and_not1_b32 s29, s29, exec_lo
	s_and_b32 s50, vcc_lo, exec_lo
	s_delay_alu instid0(SALU_CYCLE_1)
	s_or_b32 s29, s29, s50
	s_or_b32 exec_lo, exec_lo, s49
	s_and_saveexec_b32 s49, s29
	s_cbranch_execnz .LBB199_865
	s_branch .LBB199_866
.LBB199_885:
	s_mov_b32 s28, -1
                                        ; implicit-def: $vgpr1
.LBB199_886:
	s_mov_b32 s49, 0
.LBB199_887:
	s_delay_alu instid0(SALU_CYCLE_1)
	s_and_b32 vcc_lo, exec_lo, s49
	s_cbranch_vccz .LBB199_891
; %bb.888:
	s_cmp_eq_u32 s2, 11
	s_cbranch_scc0 .LBB199_890
; %bb.889:
	s_wait_loadcnt 0x0
	global_load_u8 v1, v[6:7], off
	s_mov_b32 s28, 0
	s_mov_b32 s29, -1
	s_wait_loadcnt 0x0
	v_cmp_ne_u16_e32 vcc_lo, 0, v1
	v_cndmask_b32_e64 v1, 0, 1.0, vcc_lo
	s_delay_alu instid0(VALU_DEP_1)
	v_lshrrev_b32_e32 v1, 16, v1
	s_branch .LBB199_891
.LBB199_890:
	s_mov_b32 s28, -1
                                        ; implicit-def: $vgpr1
.LBB199_891:
	s_mov_b32 s2, 0
.LBB199_892:
	s_delay_alu instid0(SALU_CYCLE_1)
	s_and_b32 vcc_lo, exec_lo, s2
	s_cbranch_vccz .LBB199_941
; %bb.893:
	s_and_b32 s1, 0xffff, s1
	s_delay_alu instid0(SALU_CYCLE_1)
	s_cmp_lt_i32 s1, 5
	s_cbranch_scc1 .LBB199_898
; %bb.894:
	s_cmp_lt_i32 s1, 8
	s_cbranch_scc1 .LBB199_899
; %bb.895:
	;; [unrolled: 3-line block ×3, first 2 shown]
	s_cmp_gt_i32 s1, 9
	s_cbranch_scc0 .LBB199_901
; %bb.897:
	global_load_b64 v[8:9], v[6:7], off
	s_mov_b32 s2, 0
	s_wait_loadcnt 0x0
	v_cvt_f32_f64_e32 v1, v[8:9]
	s_delay_alu instid0(VALU_DEP_1) | instskip(SKIP_1) | instid1(VALU_DEP_2)
	v_bfe_u32 v3, v1, 16, 1
	v_cmp_o_f32_e32 vcc_lo, v1, v1
	v_add3_u32 v3, v1, v3, 0x7fff
	s_delay_alu instid0(VALU_DEP_1) | instskip(NEXT) | instid1(VALU_DEP_1)
	v_lshrrev_b32_e32 v3, 16, v3
	v_cndmask_b32_e32 v1, 0x7fc0, v3, vcc_lo
	s_branch .LBB199_902
.LBB199_898:
	s_mov_b32 s2, -1
                                        ; implicit-def: $vgpr1
	s_branch .LBB199_920
.LBB199_899:
	s_mov_b32 s2, -1
                                        ; implicit-def: $vgpr1
	s_branch .LBB199_908
.LBB199_900:
	s_mov_b32 s2, -1
                                        ; implicit-def: $vgpr1
	s_branch .LBB199_905
.LBB199_901:
	s_mov_b32 s2, -1
                                        ; implicit-def: $vgpr1
.LBB199_902:
	s_delay_alu instid0(SALU_CYCLE_1)
	s_and_not1_b32 vcc_lo, exec_lo, s2
	s_cbranch_vccnz .LBB199_904
; %bb.903:
	s_wait_loadcnt 0x0
	global_load_b32 v1, v[6:7], off
	s_wait_loadcnt 0x0
	v_bfe_u32 v3, v1, 16, 1
	v_cmp_o_f32_e32 vcc_lo, v1, v1
	s_delay_alu instid0(VALU_DEP_2) | instskip(NEXT) | instid1(VALU_DEP_1)
	v_add3_u32 v3, v1, v3, 0x7fff
	v_lshrrev_b32_e32 v3, 16, v3
	s_delay_alu instid0(VALU_DEP_1)
	v_cndmask_b32_e32 v1, 0x7fc0, v3, vcc_lo
.LBB199_904:
	s_mov_b32 s2, 0
.LBB199_905:
	s_delay_alu instid0(SALU_CYCLE_1)
	s_and_not1_b32 vcc_lo, exec_lo, s2
	s_cbranch_vccnz .LBB199_907
; %bb.906:
	s_wait_loadcnt 0x0
	global_load_b32 v1, v[6:7], off
	s_wait_loadcnt 0x0
	v_cvt_f32_f16_e32 v3, v1
	v_cmp_o_f16_e32 vcc_lo, v1, v1
	s_delay_alu instid0(VALU_DEP_2) | instskip(NEXT) | instid1(VALU_DEP_1)
	v_bfe_u32 v5, v3, 16, 1
	v_add3_u32 v3, v3, v5, 0x7fff
	s_delay_alu instid0(VALU_DEP_1) | instskip(NEXT) | instid1(VALU_DEP_1)
	v_lshrrev_b32_e32 v3, 16, v3
	v_cndmask_b32_e32 v1, 0x7fc0, v3, vcc_lo
.LBB199_907:
	s_mov_b32 s2, 0
.LBB199_908:
	s_delay_alu instid0(SALU_CYCLE_1)
	s_and_not1_b32 vcc_lo, exec_lo, s2
	s_cbranch_vccnz .LBB199_919
; %bb.909:
	s_cmp_lt_i32 s1, 6
	s_cbranch_scc1 .LBB199_912
; %bb.910:
	s_cmp_gt_i32 s1, 6
	s_cbranch_scc0 .LBB199_913
; %bb.911:
	global_load_b64 v[8:9], v[6:7], off
	s_mov_b32 s2, 0
	s_wait_loadcnt 0x0
	v_cvt_f32_f64_e32 v1, v[8:9]
	s_delay_alu instid0(VALU_DEP_1) | instskip(SKIP_1) | instid1(VALU_DEP_2)
	v_bfe_u32 v3, v1, 16, 1
	v_cmp_o_f32_e32 vcc_lo, v1, v1
	v_add3_u32 v3, v1, v3, 0x7fff
	s_delay_alu instid0(VALU_DEP_1) | instskip(NEXT) | instid1(VALU_DEP_1)
	v_lshrrev_b32_e32 v3, 16, v3
	v_cndmask_b32_e32 v1, 0x7fc0, v3, vcc_lo
	s_branch .LBB199_914
.LBB199_912:
	s_mov_b32 s2, -1
                                        ; implicit-def: $vgpr1
	s_branch .LBB199_917
.LBB199_913:
	s_mov_b32 s2, -1
                                        ; implicit-def: $vgpr1
.LBB199_914:
	s_delay_alu instid0(SALU_CYCLE_1)
	s_and_not1_b32 vcc_lo, exec_lo, s2
	s_cbranch_vccnz .LBB199_916
; %bb.915:
	s_wait_loadcnt 0x0
	global_load_b32 v1, v[6:7], off
	s_wait_loadcnt 0x0
	v_bfe_u32 v3, v1, 16, 1
	v_cmp_o_f32_e32 vcc_lo, v1, v1
	s_delay_alu instid0(VALU_DEP_2) | instskip(NEXT) | instid1(VALU_DEP_1)
	v_add3_u32 v3, v1, v3, 0x7fff
	v_lshrrev_b32_e32 v3, 16, v3
	s_delay_alu instid0(VALU_DEP_1)
	v_cndmask_b32_e32 v1, 0x7fc0, v3, vcc_lo
.LBB199_916:
	s_mov_b32 s2, 0
.LBB199_917:
	s_delay_alu instid0(SALU_CYCLE_1)
	s_and_not1_b32 vcc_lo, exec_lo, s2
	s_cbranch_vccnz .LBB199_919
; %bb.918:
	s_wait_loadcnt 0x0
	global_load_u16 v1, v[6:7], off
	s_wait_loadcnt 0x0
	v_cvt_f32_f16_e32 v3, v1
	v_cmp_o_f16_e32 vcc_lo, v1, v1
	s_delay_alu instid0(VALU_DEP_2) | instskip(NEXT) | instid1(VALU_DEP_1)
	v_bfe_u32 v5, v3, 16, 1
	v_add3_u32 v3, v3, v5, 0x7fff
	s_delay_alu instid0(VALU_DEP_1) | instskip(NEXT) | instid1(VALU_DEP_1)
	v_lshrrev_b32_e32 v3, 16, v3
	v_cndmask_b32_e32 v1, 0x7fc0, v3, vcc_lo
.LBB199_919:
	s_mov_b32 s2, 0
.LBB199_920:
	s_delay_alu instid0(SALU_CYCLE_1)
	s_and_not1_b32 vcc_lo, exec_lo, s2
	s_cbranch_vccnz .LBB199_940
; %bb.921:
	s_cmp_lt_i32 s1, 2
	s_cbranch_scc1 .LBB199_925
; %bb.922:
	s_cmp_lt_i32 s1, 3
	s_cbranch_scc1 .LBB199_926
; %bb.923:
	s_cmp_gt_i32 s1, 3
	s_cbranch_scc0 .LBB199_927
; %bb.924:
	global_load_b64 v[8:9], v[6:7], off
	s_mov_b32 s2, 0
	s_wait_loadcnt 0x0
	v_xor_b32_e32 v1, v8, v9
	v_cls_i32_e32 v3, v9
	s_delay_alu instid0(VALU_DEP_2) | instskip(NEXT) | instid1(VALU_DEP_1)
	v_ashrrev_i32_e32 v1, 31, v1
	v_add_nc_u32_e32 v1, 32, v1
	s_delay_alu instid0(VALU_DEP_1) | instskip(NEXT) | instid1(VALU_DEP_1)
	v_add_min_u32_e64 v1, v3, -1, v1
	v_lshlrev_b64_e32 v[8:9], v1, v[8:9]
	v_sub_nc_u32_e32 v1, 32, v1
	s_delay_alu instid0(VALU_DEP_2) | instskip(NEXT) | instid1(VALU_DEP_1)
	v_min_u32_e32 v3, 1, v8
	v_or_b32_e32 v3, v9, v3
	s_delay_alu instid0(VALU_DEP_1) | instskip(NEXT) | instid1(VALU_DEP_1)
	v_cvt_f32_i32_e32 v3, v3
	v_ldexp_f32 v1, v3, v1
	s_delay_alu instid0(VALU_DEP_1) | instskip(NEXT) | instid1(VALU_DEP_1)
	v_bfe_u32 v3, v1, 16, 1
	v_add3_u32 v1, v1, v3, 0x7fff
	s_delay_alu instid0(VALU_DEP_1)
	v_lshrrev_b32_e32 v1, 16, v1
	s_branch .LBB199_928
.LBB199_925:
	s_mov_b32 s2, -1
                                        ; implicit-def: $vgpr1
	s_branch .LBB199_934
.LBB199_926:
	s_mov_b32 s2, -1
                                        ; implicit-def: $vgpr1
	s_branch .LBB199_931
.LBB199_927:
	s_mov_b32 s2, -1
                                        ; implicit-def: $vgpr1
.LBB199_928:
	s_delay_alu instid0(SALU_CYCLE_1)
	s_and_not1_b32 vcc_lo, exec_lo, s2
	s_cbranch_vccnz .LBB199_930
; %bb.929:
	s_wait_loadcnt 0x0
	global_load_b32 v1, v[6:7], off
	s_wait_loadcnt 0x0
	v_cvt_f32_i32_e32 v1, v1
	s_delay_alu instid0(VALU_DEP_1) | instskip(NEXT) | instid1(VALU_DEP_1)
	v_bfe_u32 v3, v1, 16, 1
	v_add3_u32 v1, v1, v3, 0x7fff
	s_delay_alu instid0(VALU_DEP_1)
	v_lshrrev_b32_e32 v1, 16, v1
.LBB199_930:
	s_mov_b32 s2, 0
.LBB199_931:
	s_delay_alu instid0(SALU_CYCLE_1)
	s_and_not1_b32 vcc_lo, exec_lo, s2
	s_cbranch_vccnz .LBB199_933
; %bb.932:
	s_wait_loadcnt 0x0
	global_load_i16 v1, v[6:7], off
	s_wait_loadcnt 0x0
	v_cvt_f32_i32_e32 v1, v1
	s_delay_alu instid0(VALU_DEP_1) | instskip(NEXT) | instid1(VALU_DEP_1)
	v_bfe_u32 v3, v1, 16, 1
	v_add3_u32 v1, v1, v3, 0x7fff
	s_delay_alu instid0(VALU_DEP_1)
	v_lshrrev_b32_e32 v1, 16, v1
.LBB199_933:
	s_mov_b32 s2, 0
.LBB199_934:
	s_delay_alu instid0(SALU_CYCLE_1)
	s_and_not1_b32 vcc_lo, exec_lo, s2
	s_cbranch_vccnz .LBB199_940
; %bb.935:
	s_cmp_gt_i32 s1, 0
	s_mov_b32 s1, 0
	s_cbranch_scc0 .LBB199_937
; %bb.936:
	s_wait_loadcnt 0x0
	global_load_i8 v1, v[6:7], off
	s_wait_loadcnt 0x0
	v_cvt_f32_i32_e32 v1, v1
	s_delay_alu instid0(VALU_DEP_1) | instskip(NEXT) | instid1(VALU_DEP_1)
	v_bfe_u32 v3, v1, 16, 1
	v_add3_u32 v1, v1, v3, 0x7fff
	s_delay_alu instid0(VALU_DEP_1)
	v_lshrrev_b32_e32 v1, 16, v1
	s_branch .LBB199_938
.LBB199_937:
	s_mov_b32 s1, -1
                                        ; implicit-def: $vgpr1
.LBB199_938:
	s_delay_alu instid0(SALU_CYCLE_1)
	s_and_not1_b32 vcc_lo, exec_lo, s1
	s_cbranch_vccnz .LBB199_940
; %bb.939:
	s_wait_loadcnt 0x0
	global_load_u8 v1, v[6:7], off
	s_wait_loadcnt 0x0
	v_cvt_f32_ubyte0_e32 v1, v1
	s_delay_alu instid0(VALU_DEP_1) | instskip(NEXT) | instid1(VALU_DEP_1)
	v_bfe_u32 v3, v1, 16, 1
	v_add3_u32 v1, v1, v3, 0x7fff
	s_delay_alu instid0(VALU_DEP_1)
	v_lshrrev_b32_e32 v1, 16, v1
.LBB199_940:
	s_mov_b32 s29, -1
.LBB199_941:
	s_delay_alu instid0(SALU_CYCLE_1)
	s_and_not1_b32 vcc_lo, exec_lo, s29
	s_cbranch_vccnz .LBB199_949
; %bb.942:
	v_mov_b32_e32 v5, 0
	s_and_b32 s1, s13, 0xff
	s_delay_alu instid0(SALU_CYCLE_1) | instskip(NEXT) | instid1(VALU_DEP_1)
	s_cmp_lt_i32 s1, 11
	v_add_nc_u64_e32 v[4:5], s[8:9], v[4:5]
	s_cbranch_scc1 .LBB199_950
; %bb.943:
	s_and_b32 s2, 0xffff, s1
	s_delay_alu instid0(SALU_CYCLE_1)
	s_cmp_gt_i32 s2, 25
	s_cbranch_scc0 .LBB199_951
; %bb.944:
	s_cmp_gt_i32 s2, 28
	s_cbranch_scc0 .LBB199_952
; %bb.945:
	;; [unrolled: 3-line block ×4, first 2 shown]
	s_cmp_eq_u32 s2, 46
	s_mov_b32 s50, 0
	s_cbranch_scc0 .LBB199_957
; %bb.948:
	s_wait_loadcnt 0x0
	global_load_b32 v3, v[4:5], off
	s_mov_b32 s49, -1
	s_mov_b32 s29, 0
	s_branch .LBB199_959
.LBB199_949:
	s_mov_b32 s51, 0
	s_mov_b32 s2, s45
	;; [unrolled: 1-line block ×3, first 2 shown]
	s_branch .LBB199_1198
.LBB199_950:
	s_mov_b32 s2, -1
	s_mov_b32 s49, 0
	s_mov_b32 s29, s46
                                        ; implicit-def: $vgpr3
	s_branch .LBB199_1024
.LBB199_951:
	s_mov_b32 s50, -1
	s_mov_b32 s49, 0
	s_mov_b32 s29, s46
                                        ; implicit-def: $vgpr3
	s_branch .LBB199_988
.LBB199_952:
	s_mov_b32 s50, -1
	s_mov_b32 s49, 0
	s_mov_b32 s29, s46
                                        ; implicit-def: $vgpr3
	s_branch .LBB199_969
.LBB199_953:
	s_mov_b32 s50, -1
	s_mov_b32 s49, 0
	s_mov_b32 s29, s46
                                        ; implicit-def: $vgpr3
	s_branch .LBB199_964
.LBB199_954:
	s_mov_b32 s50, -1
	s_mov_b32 s49, 0
	s_mov_b32 s29, s46
	s_branch .LBB199_958
.LBB199_955:
	s_and_not1_saveexec_b32 s49, s49
	s_cbranch_execz .LBB199_718
.LBB199_956:
	v_add_f32_e32 v1, 0x42800000, v4
	s_and_not1_b32 s48, s48, exec_lo
	s_delay_alu instid0(VALU_DEP_1) | instskip(NEXT) | instid1(VALU_DEP_1)
	v_and_b32_e32 v1, 0xff, v1
	v_cmp_ne_u32_e32 vcc_lo, 0, v1
	s_and_b32 s50, vcc_lo, exec_lo
	s_delay_alu instid0(SALU_CYCLE_1)
	s_or_b32 s48, s48, s50
	s_or_b32 exec_lo, exec_lo, s49
	v_mov_b32_e32 v5, 0
	s_and_saveexec_b32 s49, s48
	s_cbranch_execnz .LBB199_719
	s_branch .LBB199_720
.LBB199_957:
	s_mov_b32 s29, -1
	s_mov_b32 s49, 0
.LBB199_958:
                                        ; implicit-def: $vgpr3
.LBB199_959:
	s_and_b32 vcc_lo, exec_lo, s50
	s_cbranch_vccz .LBB199_963
; %bb.960:
	s_cmp_eq_u32 s2, 44
	s_cbranch_scc0 .LBB199_962
; %bb.961:
	s_wait_loadcnt 0x0
	global_load_u8 v3, v[4:5], off
	s_mov_b32 s29, 0
	s_mov_b32 s49, -1
	s_wait_loadcnt 0x0
	s_wait_xcnt 0x1
	v_lshlrev_b32_e32 v6, 23, v3
	v_cmp_ne_u32_e32 vcc_lo, 0xff, v3
	s_delay_alu instid0(VALU_DEP_2) | instskip(SKIP_1) | instid1(VALU_DEP_2)
	v_cndmask_b32_e32 v6, 0x7f800001, v6, vcc_lo
	v_cmp_ne_u32_e32 vcc_lo, 0, v3
	v_cndmask_b32_e32 v3, 0x400000, v6, vcc_lo
	s_delay_alu instid0(VALU_DEP_1) | instskip(NEXT) | instid1(VALU_DEP_1)
	v_add_nc_u32_e32 v6, 0x7fff, v3
	v_lshrrev_b32_e32 v6, 16, v6
	v_cmp_o_f32_e32 vcc_lo, v3, v3
	s_delay_alu instid0(VALU_DEP_2)
	v_cndmask_b32_e32 v3, 0x7fc0, v6, vcc_lo
	s_branch .LBB199_963
.LBB199_962:
	s_mov_b32 s29, -1
                                        ; implicit-def: $vgpr3
.LBB199_963:
	s_mov_b32 s50, 0
.LBB199_964:
	s_delay_alu instid0(SALU_CYCLE_1)
	s_and_b32 vcc_lo, exec_lo, s50
	s_cbranch_vccz .LBB199_968
; %bb.965:
	s_cmp_eq_u32 s2, 29
	s_cbranch_scc0 .LBB199_967
; %bb.966:
	global_load_b64 v[6:7], v[4:5], off
	s_mov_b32 s49, -1
	s_mov_b32 s29, 0
	s_mov_b32 s50, 0
	s_wait_loadcnt 0x0
	v_clz_i32_u32_e32 v3, v7
	s_delay_alu instid0(VALU_DEP_1) | instskip(NEXT) | instid1(VALU_DEP_1)
	v_min_u32_e32 v3, 32, v3
	v_lshlrev_b64_e32 v[6:7], v3, v[6:7]
	v_sub_nc_u32_e32 v3, 32, v3
	s_delay_alu instid0(VALU_DEP_2) | instskip(NEXT) | instid1(VALU_DEP_1)
	v_min_u32_e32 v6, 1, v6
	v_or_b32_e32 v6, v7, v6
	s_delay_alu instid0(VALU_DEP_1) | instskip(NEXT) | instid1(VALU_DEP_1)
	v_cvt_f32_u32_e32 v6, v6
	v_ldexp_f32 v3, v6, v3
	s_delay_alu instid0(VALU_DEP_1) | instskip(NEXT) | instid1(VALU_DEP_1)
	v_bfe_u32 v6, v3, 16, 1
	v_add3_u32 v3, v3, v6, 0x7fff
	s_delay_alu instid0(VALU_DEP_1)
	v_lshrrev_b32_e32 v3, 16, v3
	s_branch .LBB199_969
.LBB199_967:
	s_mov_b32 s29, -1
                                        ; implicit-def: $vgpr3
.LBB199_968:
	s_mov_b32 s50, 0
.LBB199_969:
	s_delay_alu instid0(SALU_CYCLE_1)
	s_and_b32 vcc_lo, exec_lo, s50
	s_cbranch_vccz .LBB199_987
; %bb.970:
	s_cmp_lt_i32 s2, 27
	s_cbranch_scc1 .LBB199_973
; %bb.971:
	s_cmp_gt_i32 s2, 27
	s_cbranch_scc0 .LBB199_974
; %bb.972:
	s_wait_loadcnt 0x0
	global_load_b32 v3, v[4:5], off
	s_mov_b32 s49, 0
	s_wait_loadcnt 0x0
	v_cvt_f32_u32_e32 v3, v3
	s_wait_xcnt 0x1
	s_delay_alu instid0(VALU_DEP_1) | instskip(NEXT) | instid1(VALU_DEP_1)
	v_bfe_u32 v6, v3, 16, 1
	v_add3_u32 v3, v3, v6, 0x7fff
	s_delay_alu instid0(VALU_DEP_1)
	v_lshrrev_b32_e32 v3, 16, v3
	s_branch .LBB199_975
.LBB199_973:
	s_mov_b32 s49, -1
                                        ; implicit-def: $vgpr3
	s_branch .LBB199_978
.LBB199_974:
	s_mov_b32 s49, -1
                                        ; implicit-def: $vgpr3
.LBB199_975:
	s_delay_alu instid0(SALU_CYCLE_1)
	s_and_not1_b32 vcc_lo, exec_lo, s49
	s_cbranch_vccnz .LBB199_977
; %bb.976:
	s_wait_loadcnt 0x0
	global_load_u16 v3, v[4:5], off
	s_wait_loadcnt 0x0
	v_cvt_f32_u32_e32 v3, v3
	s_wait_xcnt 0x1
	s_delay_alu instid0(VALU_DEP_1) | instskip(NEXT) | instid1(VALU_DEP_1)
	v_bfe_u32 v6, v3, 16, 1
	v_add3_u32 v3, v3, v6, 0x7fff
	s_delay_alu instid0(VALU_DEP_1)
	v_lshrrev_b32_e32 v3, 16, v3
.LBB199_977:
	s_mov_b32 s49, 0
.LBB199_978:
	s_delay_alu instid0(SALU_CYCLE_1)
	s_and_not1_b32 vcc_lo, exec_lo, s49
	s_cbranch_vccnz .LBB199_986
; %bb.979:
	s_wait_loadcnt 0x0
	global_load_u8 v3, v[4:5], off
	s_mov_b32 s49, 0
	s_mov_b32 s50, exec_lo
	s_wait_loadcnt 0x0
	v_cmpx_lt_i16_e32 0x7f, v3
	s_xor_b32 s50, exec_lo, s50
	s_cbranch_execz .LBB199_1000
; %bb.980:
	s_mov_b32 s49, -1
	s_mov_b32 s51, exec_lo
	v_cmpx_eq_u16_e32 0x80, v3
; %bb.981:
	s_xor_b32 s49, exec_lo, -1
; %bb.982:
	s_or_b32 exec_lo, exec_lo, s51
	s_delay_alu instid0(SALU_CYCLE_1)
	s_and_b32 s49, s49, exec_lo
	s_or_saveexec_b32 s50, s50
	v_mov_b32_e32 v6, 0x7f800001
	s_xor_b32 exec_lo, exec_lo, s50
	s_cbranch_execnz .LBB199_1001
.LBB199_983:
	s_or_b32 exec_lo, exec_lo, s50
	s_and_saveexec_b32 s50, s49
	s_cbranch_execz .LBB199_985
.LBB199_984:
	v_and_b32_e32 v6, 0xffff, v3
	s_delay_alu instid0(VALU_DEP_1) | instskip(SKIP_1) | instid1(VALU_DEP_2)
	v_and_b32_e32 v7, 7, v6
	v_bfe_u32 v10, v6, 3, 4
	v_clz_i32_u32_e32 v8, v7
	s_delay_alu instid0(VALU_DEP_2) | instskip(NEXT) | instid1(VALU_DEP_2)
	v_cmp_eq_u32_e32 vcc_lo, 0, v10
	v_min_u32_e32 v8, 32, v8
	s_delay_alu instid0(VALU_DEP_1) | instskip(NEXT) | instid1(VALU_DEP_1)
	v_subrev_nc_u32_e32 v9, 28, v8
	v_dual_lshlrev_b32 v6, v9, v6 :: v_dual_sub_nc_u32 v8, 29, v8
	s_delay_alu instid0(VALU_DEP_1) | instskip(NEXT) | instid1(VALU_DEP_1)
	v_dual_lshlrev_b32 v3, 24, v3 :: v_dual_bitop2_b32 v6, 7, v6 bitop3:0x40
	v_dual_cndmask_b32 v8, v10, v8, vcc_lo :: v_dual_cndmask_b32 v6, v7, v6, vcc_lo
	s_delay_alu instid0(VALU_DEP_2) | instskip(NEXT) | instid1(VALU_DEP_2)
	v_and_b32_e32 v3, 0x80000000, v3
	v_lshl_add_u32 v7, v8, 23, 0x3b800000
	s_delay_alu instid0(VALU_DEP_3) | instskip(NEXT) | instid1(VALU_DEP_1)
	v_lshlrev_b32_e32 v6, 20, v6
	v_or3_b32 v6, v3, v7, v6
.LBB199_985:
	s_or_b32 exec_lo, exec_lo, s50
	s_delay_alu instid0(VALU_DEP_1) | instskip(SKIP_1) | instid1(VALU_DEP_2)
	v_bfe_u32 v3, v6, 16, 1
	v_cmp_o_f32_e32 vcc_lo, v6, v6
	v_add3_u32 v3, v6, v3, 0x7fff
	s_delay_alu instid0(VALU_DEP_1) | instskip(NEXT) | instid1(VALU_DEP_1)
	v_lshrrev_b32_e32 v3, 16, v3
	v_cndmask_b32_e32 v3, 0x7fc0, v3, vcc_lo
.LBB199_986:
	s_mov_b32 s49, -1
.LBB199_987:
	s_mov_b32 s50, 0
.LBB199_988:
	s_delay_alu instid0(SALU_CYCLE_1)
	s_and_b32 vcc_lo, exec_lo, s50
	s_cbranch_vccz .LBB199_1023
; %bb.989:
	s_cmp_gt_i32 s2, 22
	s_cbranch_scc0 .LBB199_999
; %bb.990:
	s_cmp_lt_i32 s2, 24
	s_cbranch_scc1 .LBB199_1002
; %bb.991:
	s_cmp_gt_i32 s2, 24
	s_cbranch_scc0 .LBB199_1003
; %bb.992:
	s_wait_loadcnt 0x0
	global_load_u8 v3, v[4:5], off
	s_mov_b32 s49, 0
	s_mov_b32 s50, exec_lo
	s_wait_loadcnt 0x0
	v_cmpx_lt_i16_e32 0x7f, v3
	s_xor_b32 s50, exec_lo, s50
	s_cbranch_execz .LBB199_1015
; %bb.993:
	s_mov_b32 s49, -1
	s_mov_b32 s51, exec_lo
	v_cmpx_eq_u16_e32 0x80, v3
; %bb.994:
	s_xor_b32 s49, exec_lo, -1
; %bb.995:
	s_or_b32 exec_lo, exec_lo, s51
	s_delay_alu instid0(SALU_CYCLE_1)
	s_and_b32 s49, s49, exec_lo
	s_or_saveexec_b32 s50, s50
	v_mov_b32_e32 v6, 0x7f800001
	s_xor_b32 exec_lo, exec_lo, s50
	s_cbranch_execnz .LBB199_1016
.LBB199_996:
	s_or_b32 exec_lo, exec_lo, s50
	s_and_saveexec_b32 s50, s49
	s_cbranch_execz .LBB199_998
.LBB199_997:
	v_and_b32_e32 v6, 0xffff, v3
	s_delay_alu instid0(VALU_DEP_1) | instskip(SKIP_1) | instid1(VALU_DEP_2)
	v_and_b32_e32 v7, 3, v6
	v_bfe_u32 v10, v6, 2, 5
	v_clz_i32_u32_e32 v8, v7
	s_delay_alu instid0(VALU_DEP_2) | instskip(NEXT) | instid1(VALU_DEP_2)
	v_cmp_eq_u32_e32 vcc_lo, 0, v10
	v_min_u32_e32 v8, 32, v8
	s_delay_alu instid0(VALU_DEP_1) | instskip(NEXT) | instid1(VALU_DEP_1)
	v_subrev_nc_u32_e32 v9, 29, v8
	v_dual_lshlrev_b32 v6, v9, v6 :: v_dual_sub_nc_u32 v8, 30, v8
	s_delay_alu instid0(VALU_DEP_1) | instskip(NEXT) | instid1(VALU_DEP_1)
	v_dual_lshlrev_b32 v3, 24, v3 :: v_dual_bitop2_b32 v6, 3, v6 bitop3:0x40
	v_dual_cndmask_b32 v8, v10, v8, vcc_lo :: v_dual_cndmask_b32 v6, v7, v6, vcc_lo
	s_delay_alu instid0(VALU_DEP_2) | instskip(NEXT) | instid1(VALU_DEP_2)
	v_and_b32_e32 v3, 0x80000000, v3
	v_lshl_add_u32 v7, v8, 23, 0x37800000
	s_delay_alu instid0(VALU_DEP_3) | instskip(NEXT) | instid1(VALU_DEP_1)
	v_lshlrev_b32_e32 v6, 21, v6
	v_or3_b32 v6, v3, v7, v6
.LBB199_998:
	s_or_b32 exec_lo, exec_lo, s50
	s_delay_alu instid0(VALU_DEP_1) | instskip(SKIP_2) | instid1(VALU_DEP_2)
	v_bfe_u32 v3, v6, 16, 1
	v_cmp_o_f32_e32 vcc_lo, v6, v6
	s_mov_b32 s49, 0
	v_add3_u32 v3, v6, v3, 0x7fff
	s_delay_alu instid0(VALU_DEP_1) | instskip(NEXT) | instid1(VALU_DEP_1)
	v_lshrrev_b32_e32 v3, 16, v3
	v_cndmask_b32_e32 v3, 0x7fc0, v3, vcc_lo
	s_branch .LBB199_1004
.LBB199_999:
	s_mov_b32 s50, -1
                                        ; implicit-def: $vgpr3
	s_branch .LBB199_1010
.LBB199_1000:
	s_or_saveexec_b32 s50, s50
	v_mov_b32_e32 v6, 0x7f800001
	s_xor_b32 exec_lo, exec_lo, s50
	s_cbranch_execz .LBB199_983
.LBB199_1001:
	v_cmp_ne_u16_e32 vcc_lo, 0, v3
	v_mov_b32_e32 v6, 0
	s_and_not1_b32 s49, s49, exec_lo
	s_and_b32 s51, vcc_lo, exec_lo
	s_delay_alu instid0(SALU_CYCLE_1)
	s_or_b32 s49, s49, s51
	s_or_b32 exec_lo, exec_lo, s50
	s_and_saveexec_b32 s50, s49
	s_cbranch_execnz .LBB199_984
	s_branch .LBB199_985
.LBB199_1002:
	s_mov_b32 s49, -1
                                        ; implicit-def: $vgpr3
	s_branch .LBB199_1007
.LBB199_1003:
	s_mov_b32 s49, -1
                                        ; implicit-def: $vgpr3
.LBB199_1004:
	s_delay_alu instid0(SALU_CYCLE_1)
	s_and_b32 vcc_lo, exec_lo, s49
	s_cbranch_vccz .LBB199_1006
; %bb.1005:
	s_wait_loadcnt 0x0
	global_load_u8 v3, v[4:5], off
	s_wait_loadcnt 0x0
	v_lshlrev_b32_e32 v3, 24, v3
	s_wait_xcnt 0x1
	s_delay_alu instid0(VALU_DEP_1) | instskip(NEXT) | instid1(VALU_DEP_1)
	v_and_b32_e32 v6, 0x7f000000, v3
	v_clz_i32_u32_e32 v7, v6
	v_cmp_ne_u32_e32 vcc_lo, 0, v6
	v_add_nc_u32_e32 v9, 0x1000000, v6
	s_delay_alu instid0(VALU_DEP_3) | instskip(NEXT) | instid1(VALU_DEP_1)
	v_min_u32_e32 v7, 32, v7
	v_sub_nc_u32_e64 v7, v7, 4 clamp
	s_delay_alu instid0(VALU_DEP_1) | instskip(NEXT) | instid1(VALU_DEP_1)
	v_dual_lshlrev_b32 v8, v7, v6 :: v_dual_lshlrev_b32 v7, 23, v7
	v_lshrrev_b32_e32 v8, 4, v8
	s_delay_alu instid0(VALU_DEP_1) | instskip(NEXT) | instid1(VALU_DEP_1)
	v_dual_sub_nc_u32 v7, v8, v7 :: v_dual_ashrrev_i32 v8, 8, v9
	v_add_nc_u32_e32 v7, 0x3c000000, v7
	s_delay_alu instid0(VALU_DEP_1) | instskip(NEXT) | instid1(VALU_DEP_1)
	v_and_or_b32 v7, 0x7f800000, v8, v7
	v_cndmask_b32_e32 v6, 0, v7, vcc_lo
	s_delay_alu instid0(VALU_DEP_1) | instskip(SKIP_1) | instid1(VALU_DEP_2)
	v_and_or_b32 v3, 0x80000000, v3, v6
	v_bfe_u32 v6, v6, 16, 1
	v_cmp_o_f32_e32 vcc_lo, v3, v3
	s_delay_alu instid0(VALU_DEP_2) | instskip(NEXT) | instid1(VALU_DEP_1)
	v_add3_u32 v6, v3, v6, 0x7fff
	v_lshrrev_b32_e32 v6, 16, v6
	s_delay_alu instid0(VALU_DEP_1)
	v_cndmask_b32_e32 v3, 0x7fc0, v6, vcc_lo
.LBB199_1006:
	s_mov_b32 s49, 0
.LBB199_1007:
	s_delay_alu instid0(SALU_CYCLE_1)
	s_and_not1_b32 vcc_lo, exec_lo, s49
	s_cbranch_vccnz .LBB199_1009
; %bb.1008:
	s_wait_loadcnt 0x0
	global_load_u8 v3, v[4:5], off
	s_wait_loadcnt 0x0
	s_wait_xcnt 0x1
	v_lshlrev_b32_e32 v6, 25, v3
	v_lshlrev_b16 v3, 8, v3
	s_delay_alu instid0(VALU_DEP_1) | instskip(SKIP_1) | instid1(VALU_DEP_2)
	v_and_or_b32 v8, 0x7f00, v3, 0.5
	v_bfe_i32 v3, v3, 0, 16
	v_dual_add_f32 v8, -0.5, v8 :: v_dual_lshrrev_b32 v7, 4, v6
	v_cmp_gt_u32_e32 vcc_lo, 0x8000000, v6
	s_delay_alu instid0(VALU_DEP_2) | instskip(NEXT) | instid1(VALU_DEP_1)
	v_or_b32_e32 v7, 0x70000000, v7
	v_mul_f32_e32 v7, 0x7800000, v7
	s_delay_alu instid0(VALU_DEP_1) | instskip(NEXT) | instid1(VALU_DEP_1)
	v_cndmask_b32_e32 v6, v7, v8, vcc_lo
	v_and_or_b32 v3, 0x80000000, v3, v6
	v_bfe_u32 v6, v6, 16, 1
	s_delay_alu instid0(VALU_DEP_2) | instskip(NEXT) | instid1(VALU_DEP_2)
	v_cmp_o_f32_e32 vcc_lo, v3, v3
	v_add3_u32 v6, v3, v6, 0x7fff
	s_delay_alu instid0(VALU_DEP_1) | instskip(NEXT) | instid1(VALU_DEP_1)
	v_lshrrev_b32_e32 v6, 16, v6
	v_cndmask_b32_e32 v3, 0x7fc0, v6, vcc_lo
.LBB199_1009:
	s_mov_b32 s50, 0
	s_mov_b32 s49, -1
.LBB199_1010:
	s_and_not1_b32 vcc_lo, exec_lo, s50
	s_cbranch_vccnz .LBB199_1023
; %bb.1011:
	s_cmp_gt_i32 s2, 14
	s_cbranch_scc0 .LBB199_1014
; %bb.1012:
	s_cmp_eq_u32 s2, 15
	s_cbranch_scc0 .LBB199_1017
; %bb.1013:
	s_wait_loadcnt 0x0
	global_load_u16 v3, v[4:5], off
	s_mov_b32 s49, -1
	s_mov_b32 s29, 0
	s_branch .LBB199_1018
.LBB199_1014:
	s_mov_b32 s50, -1
                                        ; implicit-def: $vgpr3
	s_branch .LBB199_1019
.LBB199_1015:
	s_or_saveexec_b32 s50, s50
	v_mov_b32_e32 v6, 0x7f800001
	s_xor_b32 exec_lo, exec_lo, s50
	s_cbranch_execz .LBB199_996
.LBB199_1016:
	v_cmp_ne_u16_e32 vcc_lo, 0, v3
	v_mov_b32_e32 v6, 0
	s_and_not1_b32 s49, s49, exec_lo
	s_and_b32 s51, vcc_lo, exec_lo
	s_delay_alu instid0(SALU_CYCLE_1)
	s_or_b32 s49, s49, s51
	s_or_b32 exec_lo, exec_lo, s50
	s_and_saveexec_b32 s50, s49
	s_cbranch_execnz .LBB199_997
	s_branch .LBB199_998
.LBB199_1017:
	s_mov_b32 s29, -1
                                        ; implicit-def: $vgpr3
.LBB199_1018:
	s_mov_b32 s50, 0
.LBB199_1019:
	s_delay_alu instid0(SALU_CYCLE_1)
	s_and_b32 vcc_lo, exec_lo, s50
	s_cbranch_vccz .LBB199_1023
; %bb.1020:
	s_cmp_eq_u32 s2, 11
	s_cbranch_scc0 .LBB199_1022
; %bb.1021:
	s_wait_loadcnt 0x0
	global_load_u8 v3, v[4:5], off
	s_mov_b32 s29, 0
	s_mov_b32 s49, -1
	s_wait_loadcnt 0x0
	v_cmp_ne_u16_e32 vcc_lo, 0, v3
	v_cndmask_b32_e64 v3, 0, 1.0, vcc_lo
	s_delay_alu instid0(VALU_DEP_1)
	v_lshrrev_b32_e32 v3, 16, v3
	s_branch .LBB199_1023
.LBB199_1022:
	s_mov_b32 s29, -1
                                        ; implicit-def: $vgpr3
.LBB199_1023:
	s_mov_b32 s2, 0
.LBB199_1024:
	s_delay_alu instid0(SALU_CYCLE_1)
	s_and_b32 vcc_lo, exec_lo, s2
	s_cbranch_vccz .LBB199_1073
; %bb.1025:
	s_and_b32 s1, 0xffff, s1
	s_delay_alu instid0(SALU_CYCLE_1)
	s_cmp_lt_i32 s1, 5
	s_cbranch_scc1 .LBB199_1030
; %bb.1026:
	s_cmp_lt_i32 s1, 8
	s_cbranch_scc1 .LBB199_1031
; %bb.1027:
	;; [unrolled: 3-line block ×3, first 2 shown]
	s_cmp_gt_i32 s1, 9
	s_cbranch_scc0 .LBB199_1033
; %bb.1029:
	global_load_b64 v[6:7], v[4:5], off
	s_mov_b32 s2, 0
	s_wait_loadcnt 0x0
	v_cvt_f32_f64_e32 v3, v[6:7]
	s_delay_alu instid0(VALU_DEP_1) | instskip(SKIP_1) | instid1(VALU_DEP_2)
	v_bfe_u32 v6, v3, 16, 1
	v_cmp_o_f32_e32 vcc_lo, v3, v3
	v_add3_u32 v6, v3, v6, 0x7fff
	s_delay_alu instid0(VALU_DEP_1) | instskip(NEXT) | instid1(VALU_DEP_1)
	v_lshrrev_b32_e32 v6, 16, v6
	v_cndmask_b32_e32 v3, 0x7fc0, v6, vcc_lo
	s_branch .LBB199_1034
.LBB199_1030:
	s_mov_b32 s2, -1
                                        ; implicit-def: $vgpr3
	s_branch .LBB199_1052
.LBB199_1031:
	s_mov_b32 s2, -1
                                        ; implicit-def: $vgpr3
	s_branch .LBB199_1040
.LBB199_1032:
	s_mov_b32 s2, -1
                                        ; implicit-def: $vgpr3
	s_branch .LBB199_1037
.LBB199_1033:
	s_mov_b32 s2, -1
                                        ; implicit-def: $vgpr3
.LBB199_1034:
	s_delay_alu instid0(SALU_CYCLE_1)
	s_and_not1_b32 vcc_lo, exec_lo, s2
	s_cbranch_vccnz .LBB199_1036
; %bb.1035:
	s_wait_loadcnt 0x0
	global_load_b32 v3, v[4:5], off
	s_wait_loadcnt 0x0
	s_wait_xcnt 0x1
	v_bfe_u32 v6, v3, 16, 1
	v_cmp_o_f32_e32 vcc_lo, v3, v3
	s_delay_alu instid0(VALU_DEP_2) | instskip(NEXT) | instid1(VALU_DEP_1)
	v_add3_u32 v6, v3, v6, 0x7fff
	v_lshrrev_b32_e32 v6, 16, v6
	s_delay_alu instid0(VALU_DEP_1)
	v_cndmask_b32_e32 v3, 0x7fc0, v6, vcc_lo
.LBB199_1036:
	s_mov_b32 s2, 0
.LBB199_1037:
	s_delay_alu instid0(SALU_CYCLE_1)
	s_and_not1_b32 vcc_lo, exec_lo, s2
	s_cbranch_vccnz .LBB199_1039
; %bb.1038:
	s_wait_loadcnt 0x0
	global_load_b32 v3, v[4:5], off
	s_wait_loadcnt 0x0
	s_wait_xcnt 0x1
	v_cvt_f32_f16_e32 v6, v3
	v_cmp_o_f16_e32 vcc_lo, v3, v3
	s_delay_alu instid0(VALU_DEP_2) | instskip(NEXT) | instid1(VALU_DEP_1)
	v_bfe_u32 v7, v6, 16, 1
	v_add3_u32 v6, v6, v7, 0x7fff
	s_delay_alu instid0(VALU_DEP_1) | instskip(NEXT) | instid1(VALU_DEP_1)
	v_lshrrev_b32_e32 v6, 16, v6
	v_cndmask_b32_e32 v3, 0x7fc0, v6, vcc_lo
.LBB199_1039:
	s_mov_b32 s2, 0
.LBB199_1040:
	s_delay_alu instid0(SALU_CYCLE_1)
	s_and_not1_b32 vcc_lo, exec_lo, s2
	s_cbranch_vccnz .LBB199_1051
; %bb.1041:
	s_cmp_lt_i32 s1, 6
	s_cbranch_scc1 .LBB199_1044
; %bb.1042:
	s_cmp_gt_i32 s1, 6
	s_cbranch_scc0 .LBB199_1045
; %bb.1043:
	global_load_b64 v[6:7], v[4:5], off
	s_mov_b32 s2, 0
	s_wait_loadcnt 0x0
	v_cvt_f32_f64_e32 v3, v[6:7]
	s_delay_alu instid0(VALU_DEP_1) | instskip(SKIP_1) | instid1(VALU_DEP_2)
	v_bfe_u32 v6, v3, 16, 1
	v_cmp_o_f32_e32 vcc_lo, v3, v3
	v_add3_u32 v6, v3, v6, 0x7fff
	s_delay_alu instid0(VALU_DEP_1) | instskip(NEXT) | instid1(VALU_DEP_1)
	v_lshrrev_b32_e32 v6, 16, v6
	v_cndmask_b32_e32 v3, 0x7fc0, v6, vcc_lo
	s_branch .LBB199_1046
.LBB199_1044:
	s_mov_b32 s2, -1
                                        ; implicit-def: $vgpr3
	s_branch .LBB199_1049
.LBB199_1045:
	s_mov_b32 s2, -1
                                        ; implicit-def: $vgpr3
.LBB199_1046:
	s_delay_alu instid0(SALU_CYCLE_1)
	s_and_not1_b32 vcc_lo, exec_lo, s2
	s_cbranch_vccnz .LBB199_1048
; %bb.1047:
	s_wait_loadcnt 0x0
	global_load_b32 v3, v[4:5], off
	s_wait_loadcnt 0x0
	s_wait_xcnt 0x1
	v_bfe_u32 v6, v3, 16, 1
	v_cmp_o_f32_e32 vcc_lo, v3, v3
	s_delay_alu instid0(VALU_DEP_2) | instskip(NEXT) | instid1(VALU_DEP_1)
	v_add3_u32 v6, v3, v6, 0x7fff
	v_lshrrev_b32_e32 v6, 16, v6
	s_delay_alu instid0(VALU_DEP_1)
	v_cndmask_b32_e32 v3, 0x7fc0, v6, vcc_lo
.LBB199_1048:
	s_mov_b32 s2, 0
.LBB199_1049:
	s_delay_alu instid0(SALU_CYCLE_1)
	s_and_not1_b32 vcc_lo, exec_lo, s2
	s_cbranch_vccnz .LBB199_1051
; %bb.1050:
	s_wait_loadcnt 0x0
	global_load_u16 v3, v[4:5], off
	s_wait_loadcnt 0x0
	s_wait_xcnt 0x1
	v_cvt_f32_f16_e32 v6, v3
	v_cmp_o_f16_e32 vcc_lo, v3, v3
	s_delay_alu instid0(VALU_DEP_2) | instskip(NEXT) | instid1(VALU_DEP_1)
	v_bfe_u32 v7, v6, 16, 1
	v_add3_u32 v6, v6, v7, 0x7fff
	s_delay_alu instid0(VALU_DEP_1) | instskip(NEXT) | instid1(VALU_DEP_1)
	v_lshrrev_b32_e32 v6, 16, v6
	v_cndmask_b32_e32 v3, 0x7fc0, v6, vcc_lo
.LBB199_1051:
	s_mov_b32 s2, 0
.LBB199_1052:
	s_delay_alu instid0(SALU_CYCLE_1)
	s_and_not1_b32 vcc_lo, exec_lo, s2
	s_cbranch_vccnz .LBB199_1072
; %bb.1053:
	s_cmp_lt_i32 s1, 2
	s_cbranch_scc1 .LBB199_1057
; %bb.1054:
	s_cmp_lt_i32 s1, 3
	s_cbranch_scc1 .LBB199_1058
; %bb.1055:
	s_cmp_gt_i32 s1, 3
	s_cbranch_scc0 .LBB199_1059
; %bb.1056:
	global_load_b64 v[6:7], v[4:5], off
	s_mov_b32 s2, 0
	s_wait_loadcnt 0x0
	v_xor_b32_e32 v3, v6, v7
	v_cls_i32_e32 v8, v7
	s_delay_alu instid0(VALU_DEP_2) | instskip(NEXT) | instid1(VALU_DEP_1)
	v_ashrrev_i32_e32 v3, 31, v3
	v_add_nc_u32_e32 v3, 32, v3
	s_delay_alu instid0(VALU_DEP_1) | instskip(NEXT) | instid1(VALU_DEP_1)
	v_add_min_u32_e64 v3, v8, -1, v3
	v_lshlrev_b64_e32 v[6:7], v3, v[6:7]
	v_sub_nc_u32_e32 v3, 32, v3
	s_delay_alu instid0(VALU_DEP_2) | instskip(NEXT) | instid1(VALU_DEP_1)
	v_min_u32_e32 v6, 1, v6
	v_or_b32_e32 v6, v7, v6
	s_delay_alu instid0(VALU_DEP_1) | instskip(NEXT) | instid1(VALU_DEP_1)
	v_cvt_f32_i32_e32 v6, v6
	v_ldexp_f32 v3, v6, v3
	s_delay_alu instid0(VALU_DEP_1) | instskip(NEXT) | instid1(VALU_DEP_1)
	v_bfe_u32 v6, v3, 16, 1
	v_add3_u32 v3, v3, v6, 0x7fff
	s_delay_alu instid0(VALU_DEP_1)
	v_lshrrev_b32_e32 v3, 16, v3
	s_branch .LBB199_1060
.LBB199_1057:
	s_mov_b32 s2, -1
                                        ; implicit-def: $vgpr3
	s_branch .LBB199_1066
.LBB199_1058:
	s_mov_b32 s2, -1
                                        ; implicit-def: $vgpr3
	s_branch .LBB199_1063
.LBB199_1059:
	s_mov_b32 s2, -1
                                        ; implicit-def: $vgpr3
.LBB199_1060:
	s_delay_alu instid0(SALU_CYCLE_1)
	s_and_not1_b32 vcc_lo, exec_lo, s2
	s_cbranch_vccnz .LBB199_1062
; %bb.1061:
	s_wait_loadcnt 0x0
	global_load_b32 v3, v[4:5], off
	s_wait_loadcnt 0x0
	v_cvt_f32_i32_e32 v3, v3
	s_wait_xcnt 0x1
	s_delay_alu instid0(VALU_DEP_1) | instskip(NEXT) | instid1(VALU_DEP_1)
	v_bfe_u32 v6, v3, 16, 1
	v_add3_u32 v3, v3, v6, 0x7fff
	s_delay_alu instid0(VALU_DEP_1)
	v_lshrrev_b32_e32 v3, 16, v3
.LBB199_1062:
	s_mov_b32 s2, 0
.LBB199_1063:
	s_delay_alu instid0(SALU_CYCLE_1)
	s_and_not1_b32 vcc_lo, exec_lo, s2
	s_cbranch_vccnz .LBB199_1065
; %bb.1064:
	s_wait_loadcnt 0x0
	global_load_i16 v3, v[4:5], off
	s_wait_loadcnt 0x0
	v_cvt_f32_i32_e32 v3, v3
	s_wait_xcnt 0x1
	s_delay_alu instid0(VALU_DEP_1) | instskip(NEXT) | instid1(VALU_DEP_1)
	v_bfe_u32 v6, v3, 16, 1
	v_add3_u32 v3, v3, v6, 0x7fff
	s_delay_alu instid0(VALU_DEP_1)
	v_lshrrev_b32_e32 v3, 16, v3
.LBB199_1065:
	s_mov_b32 s2, 0
.LBB199_1066:
	s_delay_alu instid0(SALU_CYCLE_1)
	s_and_not1_b32 vcc_lo, exec_lo, s2
	s_cbranch_vccnz .LBB199_1072
; %bb.1067:
	s_cmp_gt_i32 s1, 0
	s_mov_b32 s1, 0
	s_cbranch_scc0 .LBB199_1069
; %bb.1068:
	s_wait_loadcnt 0x0
	global_load_i8 v3, v[4:5], off
	s_wait_loadcnt 0x0
	v_cvt_f32_i32_e32 v3, v3
	s_wait_xcnt 0x1
	s_delay_alu instid0(VALU_DEP_1) | instskip(NEXT) | instid1(VALU_DEP_1)
	v_bfe_u32 v6, v3, 16, 1
	v_add3_u32 v3, v3, v6, 0x7fff
	s_delay_alu instid0(VALU_DEP_1)
	v_lshrrev_b32_e32 v3, 16, v3
	s_branch .LBB199_1070
.LBB199_1069:
	s_mov_b32 s1, -1
                                        ; implicit-def: $vgpr3
.LBB199_1070:
	s_delay_alu instid0(SALU_CYCLE_1)
	s_and_not1_b32 vcc_lo, exec_lo, s1
	s_cbranch_vccnz .LBB199_1072
; %bb.1071:
	s_wait_loadcnt 0x0
	global_load_u8 v3, v[4:5], off
	s_wait_loadcnt 0x0
	v_cvt_f32_ubyte0_e32 v3, v3
	s_wait_xcnt 0x0
	s_delay_alu instid0(VALU_DEP_1) | instskip(NEXT) | instid1(VALU_DEP_1)
	v_bfe_u32 v4, v3, 16, 1
	v_add3_u32 v3, v3, v4, 0x7fff
	s_delay_alu instid0(VALU_DEP_1)
	v_lshrrev_b32_e32 v3, 16, v3
.LBB199_1072:
	s_mov_b32 s49, -1
.LBB199_1073:
	s_delay_alu instid0(SALU_CYCLE_1)
	s_and_not1_b32 vcc_lo, exec_lo, s49
	s_cbranch_vccnz .LBB199_1081
; %bb.1074:
	s_wait_loadcnt 0x0
	v_dual_lshlrev_b32 v3, 16, v3 :: v_dual_lshlrev_b32 v1, 16, v1
	s_and_b32 s49, s11, 0xff
	s_delay_alu instid0(SALU_CYCLE_1) | instskip(NEXT) | instid1(VALU_DEP_1)
	s_cmp_lt_i32 s49, 11
	v_cmp_eq_f32_e32 vcc_lo, v1, v3
	s_wait_xcnt 0x0
	v_cndmask_b32_e64 v4, 0, 1, vcc_lo
	v_cmp_neq_f32_e32 vcc_lo, v1, v3
	v_mov_b32_e32 v3, 0
	v_cndmask_b32_e64 v1, 0, 1, vcc_lo
	s_delay_alu instid0(VALU_DEP_2) | instskip(NEXT) | instid1(VALU_DEP_2)
	v_add_nc_u64_e32 v[2:3], s[4:5], v[2:3]
	v_cndmask_b32_e64 v1, v1, v4, s0
	s_delay_alu instid0(VALU_DEP_1) | instskip(NEXT) | instid1(VALU_DEP_1)
	v_and_b32_e32 v1, 1, v1
	v_cmp_eq_u32_e64 s1, 1, v1
	s_cbranch_scc1 .LBB199_1082
; %bb.1075:
	s_and_b32 s50, 0xffff, s49
	s_delay_alu instid0(SALU_CYCLE_1)
	s_cmp_gt_i32 s50, 25
	s_cbranch_scc0 .LBB199_1083
; %bb.1076:
	s_cmp_gt_i32 s50, 28
	s_cbranch_scc0 .LBB199_1084
; %bb.1077:
	;; [unrolled: 3-line block ×4, first 2 shown]
	s_mov_b32 s52, 0
	s_mov_b32 s2, -1
	s_cmp_eq_u32 s50, 46
	s_mov_b32 s51, 0
	s_cbranch_scc0 .LBB199_1087
; %bb.1080:
	v_cndmask_b32_e64 v1, 0, 1.0, s1
	s_mov_b32 s51, -1
	s_mov_b32 s2, 0
	s_delay_alu instid0(VALU_DEP_1) | instskip(NEXT) | instid1(VALU_DEP_1)
	v_bfe_u32 v4, v1, 16, 1
	v_add3_u32 v1, v1, v4, 0x7fff
	s_delay_alu instid0(VALU_DEP_1)
	v_lshrrev_b32_e32 v1, 16, v1
	global_store_b32 v[2:3], v1, off
	s_branch .LBB199_1087
.LBB199_1081:
	s_mov_b32 s51, 0
	s_mov_b32 s2, s45
	s_branch .LBB199_1198
.LBB199_1082:
	s_mov_b32 s50, -1
	s_mov_b32 s51, 0
	s_mov_b32 s2, s45
	s_branch .LBB199_1156
.LBB199_1083:
	s_mov_b32 s52, -1
	s_mov_b32 s51, 0
	s_mov_b32 s2, s45
	s_branch .LBB199_1114
.LBB199_1084:
	s_mov_b32 s52, -1
	s_mov_b32 s51, 0
	s_mov_b32 s2, s45
	s_branch .LBB199_1097
.LBB199_1085:
	s_mov_b32 s52, -1
	s_mov_b32 s51, 0
	s_mov_b32 s2, s45
	s_branch .LBB199_1093
.LBB199_1086:
	s_mov_b32 s52, -1
	s_mov_b32 s51, 0
	s_mov_b32 s2, s45
.LBB199_1087:
	s_and_b32 vcc_lo, exec_lo, s52
	s_cbranch_vccz .LBB199_1092
; %bb.1088:
	s_cmp_eq_u32 s50, 44
	s_mov_b32 s2, -1
	s_cbranch_scc0 .LBB199_1092
; %bb.1089:
	v_cndmask_b32_e64 v5, 0, 1.0, s1
	s_mov_b32 s51, exec_lo
	s_wait_xcnt 0x0
	s_delay_alu instid0(VALU_DEP_1) | instskip(NEXT) | instid1(VALU_DEP_1)
	v_dual_mov_b32 v4, 0xff :: v_dual_lshrrev_b32 v1, 23, v5
	v_cmpx_ne_u32_e32 0xff, v1
; %bb.1090:
	v_and_b32_e32 v4, 0x400000, v5
	v_and_or_b32 v5, 0x3fffff, v5, v1
	s_delay_alu instid0(VALU_DEP_2) | instskip(NEXT) | instid1(VALU_DEP_2)
	v_cmp_ne_u32_e32 vcc_lo, 0, v4
	v_cmp_ne_u32_e64 s2, 0, v5
	s_and_b32 s2, vcc_lo, s2
	s_delay_alu instid0(SALU_CYCLE_1) | instskip(NEXT) | instid1(VALU_DEP_1)
	v_cndmask_b32_e64 v4, 0, 1, s2
	v_add_nc_u32_e32 v4, v1, v4
; %bb.1091:
	s_or_b32 exec_lo, exec_lo, s51
	s_mov_b32 s51, -1
	s_mov_b32 s2, 0
	global_store_b8 v[2:3], v4, off
.LBB199_1092:
	s_mov_b32 s52, 0
.LBB199_1093:
	s_delay_alu instid0(SALU_CYCLE_1)
	s_and_b32 vcc_lo, exec_lo, s52
	s_cbranch_vccz .LBB199_1096
; %bb.1094:
	s_cmp_eq_u32 s50, 29
	s_mov_b32 s2, -1
	s_cbranch_scc0 .LBB199_1096
; %bb.1095:
	s_mov_b32 s2, 0
	s_wait_xcnt 0x0
	v_cndmask_b32_e64 v4, 0, 1, s1
	v_mov_b32_e32 v5, s2
	s_mov_b32 s51, -1
	s_mov_b32 s52, 0
	global_store_b64 v[2:3], v[4:5], off
	s_branch .LBB199_1097
.LBB199_1096:
	s_mov_b32 s52, 0
.LBB199_1097:
	s_delay_alu instid0(SALU_CYCLE_1)
	s_and_b32 vcc_lo, exec_lo, s52
	s_cbranch_vccz .LBB199_1113
; %bb.1098:
	s_cmp_lt_i32 s50, 27
	s_mov_b32 s51, -1
	s_cbranch_scc1 .LBB199_1104
; %bb.1099:
	s_cmp_gt_i32 s50, 27
	s_cbranch_scc0 .LBB199_1101
; %bb.1100:
	s_wait_xcnt 0x0
	v_cndmask_b32_e64 v1, 0, 1, s1
	s_mov_b32 s51, 0
	global_store_b32 v[2:3], v1, off
.LBB199_1101:
	s_and_not1_b32 vcc_lo, exec_lo, s51
	s_cbranch_vccnz .LBB199_1103
; %bb.1102:
	s_wait_xcnt 0x0
	v_cndmask_b32_e64 v1, 0, 1, s1
	global_store_b16 v[2:3], v1, off
.LBB199_1103:
	s_mov_b32 s51, 0
.LBB199_1104:
	s_delay_alu instid0(SALU_CYCLE_1)
	s_and_not1_b32 vcc_lo, exec_lo, s51
	s_cbranch_vccnz .LBB199_1112
; %bb.1105:
	s_wait_xcnt 0x0
	v_cndmask_b32_e64 v4, 0, 1.0, s1
	v_mov_b32_e32 v5, 0x80
	s_mov_b32 s51, exec_lo
	s_delay_alu instid0(VALU_DEP_2)
	v_cmpx_gt_u32_e32 0x43800000, v4
	s_cbranch_execz .LBB199_1111
; %bb.1106:
	s_mov_b32 s52, 0
	s_mov_b32 s53, exec_lo
                                        ; implicit-def: $vgpr1
	v_cmpx_lt_u32_e32 0x3bffffff, v4
	s_xor_b32 s53, exec_lo, s53
	s_cbranch_execz .LBB199_1226
; %bb.1107:
	v_bfe_u32 v1, v4, 20, 1
	s_mov_b32 s52, exec_lo
	s_delay_alu instid0(VALU_DEP_1) | instskip(NEXT) | instid1(VALU_DEP_1)
	v_add3_u32 v1, v4, v1, 0x487ffff
                                        ; implicit-def: $vgpr4
	v_lshrrev_b32_e32 v1, 20, v1
	s_and_not1_saveexec_b32 s53, s53
	s_cbranch_execnz .LBB199_1227
.LBB199_1108:
	s_or_b32 exec_lo, exec_lo, s53
	v_mov_b32_e32 v5, 0
	s_and_saveexec_b32 s53, s52
.LBB199_1109:
	v_mov_b32_e32 v5, v1
.LBB199_1110:
	s_or_b32 exec_lo, exec_lo, s53
.LBB199_1111:
	s_delay_alu instid0(SALU_CYCLE_1)
	s_or_b32 exec_lo, exec_lo, s51
	global_store_b8 v[2:3], v5, off
.LBB199_1112:
	s_mov_b32 s51, -1
.LBB199_1113:
	s_mov_b32 s52, 0
.LBB199_1114:
	s_delay_alu instid0(SALU_CYCLE_1)
	s_and_b32 vcc_lo, exec_lo, s52
	s_cbranch_vccz .LBB199_1155
; %bb.1115:
	s_cmp_gt_i32 s50, 22
	s_mov_b32 s52, -1
	s_cbranch_scc0 .LBB199_1147
; %bb.1116:
	s_cmp_lt_i32 s50, 24
	s_mov_b32 s51, -1
	s_cbranch_scc1 .LBB199_1136
; %bb.1117:
	s_cmp_gt_i32 s50, 24
	s_cbranch_scc0 .LBB199_1125
; %bb.1118:
	s_wait_xcnt 0x0
	v_cndmask_b32_e64 v4, 0, 1.0, s1
	v_mov_b32_e32 v5, 0x80
	s_mov_b32 s51, exec_lo
	s_delay_alu instid0(VALU_DEP_2)
	v_cmpx_gt_u32_e32 0x47800000, v4
	s_cbranch_execz .LBB199_1124
; %bb.1119:
	s_mov_b32 s52, 0
	s_mov_b32 s53, exec_lo
                                        ; implicit-def: $vgpr1
	v_cmpx_lt_u32_e32 0x37ffffff, v4
	s_xor_b32 s53, exec_lo, s53
	s_cbranch_execz .LBB199_2298
; %bb.1120:
	v_bfe_u32 v1, v4, 21, 1
	s_mov_b32 s52, exec_lo
	s_delay_alu instid0(VALU_DEP_1) | instskip(NEXT) | instid1(VALU_DEP_1)
	v_add3_u32 v1, v4, v1, 0x88fffff
                                        ; implicit-def: $vgpr4
	v_lshrrev_b32_e32 v1, 21, v1
	s_and_not1_saveexec_b32 s53, s53
	s_cbranch_execnz .LBB199_2299
.LBB199_1121:
	s_or_b32 exec_lo, exec_lo, s53
	v_mov_b32_e32 v5, 0
	s_and_saveexec_b32 s53, s52
.LBB199_1122:
	v_mov_b32_e32 v5, v1
.LBB199_1123:
	s_or_b32 exec_lo, exec_lo, s53
.LBB199_1124:
	s_delay_alu instid0(SALU_CYCLE_1)
	s_or_b32 exec_lo, exec_lo, s51
	s_mov_b32 s51, 0
	global_store_b8 v[2:3], v5, off
.LBB199_1125:
	s_and_b32 vcc_lo, exec_lo, s51
	s_cbranch_vccz .LBB199_1135
; %bb.1126:
	s_wait_xcnt 0x0
	v_cndmask_b32_e64 v4, 0, 1.0, s1
	s_mov_b32 s51, exec_lo
                                        ; implicit-def: $vgpr1
	s_delay_alu instid0(VALU_DEP_1)
	v_cmpx_gt_u32_e32 0x43f00000, v4
	s_xor_b32 s51, exec_lo, s51
	s_cbranch_execz .LBB199_1132
; %bb.1127:
	s_mov_b32 s52, exec_lo
                                        ; implicit-def: $vgpr1
	v_cmpx_lt_u32_e32 0x3c7fffff, v4
	s_xor_b32 s52, exec_lo, s52
; %bb.1128:
	v_bfe_u32 v1, v4, 20, 1
	s_delay_alu instid0(VALU_DEP_1) | instskip(NEXT) | instid1(VALU_DEP_1)
	v_add3_u32 v1, v4, v1, 0x407ffff
	v_and_b32_e32 v4, 0xff00000, v1
	v_lshrrev_b32_e32 v1, 20, v1
	s_delay_alu instid0(VALU_DEP_2) | instskip(NEXT) | instid1(VALU_DEP_2)
	v_cmp_ne_u32_e32 vcc_lo, 0x7f00000, v4
                                        ; implicit-def: $vgpr4
	v_cndmask_b32_e32 v1, 0x7e, v1, vcc_lo
; %bb.1129:
	s_and_not1_saveexec_b32 s52, s52
; %bb.1130:
	v_add_f32_e32 v1, 0x46800000, v4
; %bb.1131:
	s_or_b32 exec_lo, exec_lo, s52
                                        ; implicit-def: $vgpr4
.LBB199_1132:
	s_and_not1_saveexec_b32 s51, s51
; %bb.1133:
	v_mov_b32_e32 v1, 0x7f
	v_cmp_lt_u32_e32 vcc_lo, 0x7f800000, v4
	s_delay_alu instid0(VALU_DEP_2)
	v_cndmask_b32_e32 v1, 0x7e, v1, vcc_lo
; %bb.1134:
	s_or_b32 exec_lo, exec_lo, s51
	global_store_b8 v[2:3], v1, off
.LBB199_1135:
	s_mov_b32 s51, 0
.LBB199_1136:
	s_delay_alu instid0(SALU_CYCLE_1)
	s_and_not1_b32 vcc_lo, exec_lo, s51
	s_cbranch_vccnz .LBB199_1146
; %bb.1137:
	s_wait_xcnt 0x0
	v_cndmask_b32_e64 v4, 0, 1.0, s1
	s_mov_b32 s51, exec_lo
                                        ; implicit-def: $vgpr1
	s_delay_alu instid0(VALU_DEP_1)
	v_cmpx_gt_u32_e32 0x47800000, v4
	s_xor_b32 s51, exec_lo, s51
	s_cbranch_execz .LBB199_1143
; %bb.1138:
	s_mov_b32 s52, exec_lo
                                        ; implicit-def: $vgpr1
	v_cmpx_lt_u32_e32 0x387fffff, v4
	s_xor_b32 s52, exec_lo, s52
; %bb.1139:
	v_bfe_u32 v1, v4, 21, 1
	s_delay_alu instid0(VALU_DEP_1) | instskip(NEXT) | instid1(VALU_DEP_1)
	v_add3_u32 v1, v4, v1, 0x80fffff
                                        ; implicit-def: $vgpr4
	v_lshrrev_b32_e32 v1, 21, v1
; %bb.1140:
	s_and_not1_saveexec_b32 s52, s52
; %bb.1141:
	v_add_f32_e32 v1, 0x43000000, v4
; %bb.1142:
	s_or_b32 exec_lo, exec_lo, s52
                                        ; implicit-def: $vgpr4
.LBB199_1143:
	s_and_not1_saveexec_b32 s51, s51
; %bb.1144:
	v_mov_b32_e32 v1, 0x7f
	v_cmp_lt_u32_e32 vcc_lo, 0x7f800000, v4
	s_delay_alu instid0(VALU_DEP_2)
	v_cndmask_b32_e32 v1, 0x7c, v1, vcc_lo
; %bb.1145:
	s_or_b32 exec_lo, exec_lo, s51
	global_store_b8 v[2:3], v1, off
.LBB199_1146:
	s_mov_b32 s52, 0
	s_mov_b32 s51, -1
.LBB199_1147:
	s_and_not1_b32 vcc_lo, exec_lo, s52
	s_cbranch_vccnz .LBB199_1155
; %bb.1148:
	s_cmp_gt_i32 s50, 14
	s_mov_b32 s52, -1
	s_cbranch_scc0 .LBB199_1152
; %bb.1149:
	s_cmp_eq_u32 s50, 15
	s_mov_b32 s2, -1
	s_cbranch_scc0 .LBB199_1151
; %bb.1150:
	s_wait_xcnt 0x0
	v_cndmask_b32_e64 v1, 0, 1.0, s1
	s_mov_b32 s51, -1
	s_mov_b32 s2, 0
	s_delay_alu instid0(VALU_DEP_1) | instskip(NEXT) | instid1(VALU_DEP_1)
	v_bfe_u32 v4, v1, 16, 1
	v_add3_u32 v1, v1, v4, 0x7fff
	global_store_d16_hi_b16 v[2:3], v1, off
.LBB199_1151:
	s_mov_b32 s52, 0
.LBB199_1152:
	s_delay_alu instid0(SALU_CYCLE_1)
	s_and_b32 vcc_lo, exec_lo, s52
	s_cbranch_vccz .LBB199_1155
; %bb.1153:
	s_cmp_eq_u32 s50, 11
	s_mov_b32 s2, -1
	s_cbranch_scc0 .LBB199_1155
; %bb.1154:
	s_wait_xcnt 0x0
	v_cndmask_b32_e64 v1, 0, 1, s1
	s_mov_b32 s51, -1
	s_mov_b32 s2, 0
	global_store_b8 v[2:3], v1, off
.LBB199_1155:
	s_mov_b32 s50, 0
.LBB199_1156:
	s_delay_alu instid0(SALU_CYCLE_1)
	s_and_b32 vcc_lo, exec_lo, s50
	s_cbranch_vccz .LBB199_1195
; %bb.1157:
	s_and_b32 s49, 0xffff, s49
	s_mov_b32 s50, -1
	s_cmp_lt_i32 s49, 5
	s_cbranch_scc1 .LBB199_1178
; %bb.1158:
	s_cmp_lt_i32 s49, 8
	s_cbranch_scc1 .LBB199_1168
; %bb.1159:
	;; [unrolled: 3-line block ×3, first 2 shown]
	s_cmp_gt_i32 s49, 9
	s_cbranch_scc0 .LBB199_1162
; %bb.1161:
	s_wait_xcnt 0x0
	v_cndmask_b32_e64 v1, 0, 1, s1
	v_mov_b32_e32 v6, 0
	s_mov_b32 s50, 0
	s_delay_alu instid0(VALU_DEP_2) | instskip(NEXT) | instid1(VALU_DEP_2)
	v_cvt_f64_u32_e32 v[4:5], v1
	v_mov_b32_e32 v7, v6
	global_store_b128 v[2:3], v[4:7], off
.LBB199_1162:
	s_and_not1_b32 vcc_lo, exec_lo, s50
	s_cbranch_vccnz .LBB199_1164
; %bb.1163:
	s_wait_xcnt 0x0
	v_cndmask_b32_e64 v4, 0, 1.0, s1
	v_mov_b32_e32 v5, 0
	global_store_b64 v[2:3], v[4:5], off
.LBB199_1164:
	s_mov_b32 s50, 0
.LBB199_1165:
	s_delay_alu instid0(SALU_CYCLE_1)
	s_and_not1_b32 vcc_lo, exec_lo, s50
	s_cbranch_vccnz .LBB199_1167
; %bb.1166:
	s_wait_xcnt 0x0
	v_cndmask_b32_e64 v1, 0, 1.0, s1
	s_delay_alu instid0(VALU_DEP_1) | instskip(NEXT) | instid1(VALU_DEP_1)
	v_cvt_f16_f32_e32 v1, v1
	v_and_b32_e32 v1, 0xffff, v1
	global_store_b32 v[2:3], v1, off
.LBB199_1167:
	s_mov_b32 s50, 0
.LBB199_1168:
	s_delay_alu instid0(SALU_CYCLE_1)
	s_and_not1_b32 vcc_lo, exec_lo, s50
	s_cbranch_vccnz .LBB199_1177
; %bb.1169:
	s_cmp_lt_i32 s49, 6
	s_mov_b32 s50, -1
	s_cbranch_scc1 .LBB199_1175
; %bb.1170:
	s_cmp_gt_i32 s49, 6
	s_cbranch_scc0 .LBB199_1172
; %bb.1171:
	s_wait_xcnt 0x0
	v_cndmask_b32_e64 v1, 0, 1, s1
	s_mov_b32 s50, 0
	s_delay_alu instid0(VALU_DEP_1)
	v_cvt_f64_u32_e32 v[4:5], v1
	global_store_b64 v[2:3], v[4:5], off
.LBB199_1172:
	s_and_not1_b32 vcc_lo, exec_lo, s50
	s_cbranch_vccnz .LBB199_1174
; %bb.1173:
	s_wait_xcnt 0x0
	v_cndmask_b32_e64 v1, 0, 1.0, s1
	global_store_b32 v[2:3], v1, off
.LBB199_1174:
	s_mov_b32 s50, 0
.LBB199_1175:
	s_delay_alu instid0(SALU_CYCLE_1)
	s_and_not1_b32 vcc_lo, exec_lo, s50
	s_cbranch_vccnz .LBB199_1177
; %bb.1176:
	s_wait_xcnt 0x0
	v_cndmask_b32_e64 v1, 0, 1.0, s1
	s_delay_alu instid0(VALU_DEP_1)
	v_cvt_f16_f32_e32 v1, v1
	global_store_b16 v[2:3], v1, off
.LBB199_1177:
	s_mov_b32 s50, 0
.LBB199_1178:
	s_delay_alu instid0(SALU_CYCLE_1)
	s_and_not1_b32 vcc_lo, exec_lo, s50
	s_cbranch_vccnz .LBB199_1194
; %bb.1179:
	s_cmp_lt_i32 s49, 2
	s_mov_b32 s50, -1
	s_cbranch_scc1 .LBB199_1189
; %bb.1180:
	s_cmp_lt_i32 s49, 3
	s_cbranch_scc1 .LBB199_1186
; %bb.1181:
	s_cmp_gt_i32 s49, 3
	s_cbranch_scc0 .LBB199_1183
; %bb.1182:
	s_mov_b32 s50, 0
	s_wait_xcnt 0x0
	v_cndmask_b32_e64 v4, 0, 1, s1
	v_mov_b32_e32 v5, s50
	global_store_b64 v[2:3], v[4:5], off
.LBB199_1183:
	s_and_not1_b32 vcc_lo, exec_lo, s50
	s_cbranch_vccnz .LBB199_1185
; %bb.1184:
	s_wait_xcnt 0x0
	v_cndmask_b32_e64 v1, 0, 1, s1
	global_store_b32 v[2:3], v1, off
.LBB199_1185:
	s_mov_b32 s50, 0
.LBB199_1186:
	s_delay_alu instid0(SALU_CYCLE_1)
	s_and_not1_b32 vcc_lo, exec_lo, s50
	s_cbranch_vccnz .LBB199_1188
; %bb.1187:
	s_wait_xcnt 0x0
	v_cndmask_b32_e64 v1, 0, 1, s1
	global_store_b16 v[2:3], v1, off
.LBB199_1188:
	s_mov_b32 s50, 0
.LBB199_1189:
	s_delay_alu instid0(SALU_CYCLE_1)
	s_and_not1_b32 vcc_lo, exec_lo, s50
	s_cbranch_vccnz .LBB199_1194
; %bb.1190:
	s_wait_xcnt 0x0
	v_cndmask_b32_e64 v1, 0, 1, s1
	s_cmp_gt_i32 s49, 0
	s_mov_b32 s1, -1
	s_cbranch_scc0 .LBB199_1192
; %bb.1191:
	s_mov_b32 s1, 0
	global_store_b8 v[2:3], v1, off
.LBB199_1192:
	s_and_not1_b32 vcc_lo, exec_lo, s1
	s_cbranch_vccnz .LBB199_1194
; %bb.1193:
	global_store_b8 v[2:3], v1, off
.LBB199_1194:
	s_mov_b32 s51, -1
.LBB199_1195:
	s_delay_alu instid0(SALU_CYCLE_1)
	s_and_not1_b32 vcc_lo, exec_lo, s51
	s_cbranch_vccnz .LBB199_1197
; %bb.1196:
	v_add_nc_u32_e32 v0, 0x80, v0
	s_mov_b32 s51, -1
	s_branch .LBB199_1199
.LBB199_1197:
	s_mov_b32 s51, 0
.LBB199_1198:
                                        ; implicit-def: $vgpr0
.LBB199_1199:
	s_and_not1_b32 s1, s45, exec_lo
	s_and_b32 s2, s2, exec_lo
	s_and_b32 s28, s28, exec_lo
	s_or_b32 s49, s1, s2
	s_and_not1_b32 s1, s46, exec_lo
	s_and_b32 s2, s29, exec_lo
	s_and_not1_b32 s29, s44, exec_lo
	s_or_b32 s50, s1, s2
	s_or_b32 s1, s29, s28
	s_or_not1_b32 s52, s51, exec_lo
.LBB199_1200:
	s_wait_xcnt 0x0
	s_or_b32 exec_lo, exec_lo, s48
	s_mov_b32 s51, 0
	s_mov_b32 s29, 0
	s_mov_b32 s28, 0
                                        ; implicit-def: $sgpr2
                                        ; implicit-def: $vgpr6_vgpr7
                                        ; implicit-def: $vgpr4
                                        ; implicit-def: $vgpr2
                                        ; implicit-def: $vgpr3
	s_and_saveexec_b32 s48, s52
	s_cbranch_execz .LBB199_1295
; %bb.1201:
	v_cmp_gt_i32_e32 vcc_lo, s39, v0
	s_mov_b32 s52, s1
                                        ; implicit-def: $sgpr2
                                        ; implicit-def: $vgpr6_vgpr7
                                        ; implicit-def: $vgpr4
                                        ; implicit-def: $vgpr2
                                        ; implicit-def: $vgpr3
	s_and_saveexec_b32 s39, vcc_lo
	s_cbranch_execz .LBB199_1294
; %bb.1202:
	s_and_not1_b32 vcc_lo, exec_lo, s34
	s_cbranch_vccnz .LBB199_1208
; %bb.1203:
	s_and_not1_b32 vcc_lo, exec_lo, s40
	s_cbranch_vccnz .LBB199_1209
; %bb.1204:
	s_wait_loadcnt 0x0
	v_dual_mov_b32 v2, 0 :: v_dual_mov_b32 v1, v0
	v_dual_mov_b32 v6, 0 :: v_dual_mov_b32 v4, 0
	s_add_co_i32 s2, s38, 1
	s_mov_b64 s[28:29], 0xffffffffffffffe8
	s_and_b32 s2, s2, 30
	s_add_nc_u64 s[28:29], s[20:21], s[28:29]
.LBB199_1205:                           ; =>This Inner Loop Header: Depth=1
	s_clause 0x1
	s_load_b128 s[52:55], s[28:29], 0x1c
	s_load_b64 s[60:61], s[28:29], 0x2c
	s_add_co_i32 s2, s2, -2
	s_delay_alu instid0(SALU_CYCLE_1) | instskip(SKIP_2) | instid1(VALU_DEP_1)
	s_cmp_eq_u32 s2, 0
	s_wait_kmcnt 0x0
	v_mul_hi_u32 v3, s53, v1
	v_add_nc_u32_e32 v3, v1, v3
	s_delay_alu instid0(VALU_DEP_1) | instskip(NEXT) | instid1(VALU_DEP_1)
	v_lshrrev_b32_e32 v3, s54, v3
	v_mul_hi_u32 v5, s60, v3
	v_mul_lo_u32 v7, v3, s52
	s_clause 0x1
	s_load_b128 s[56:59], s[28:29], 0xdc
	s_load_b64 s[52:53], s[28:29], 0xec
	s_wait_xcnt 0x0
	s_add_nc_u64 s[28:29], s[28:29], 24
	s_delay_alu instid0(VALU_DEP_1) | instskip(NEXT) | instid1(VALU_DEP_1)
	v_dual_add_nc_u32 v5, v3, v5 :: v_dual_sub_nc_u32 v7, v1, v7
	v_lshrrev_b32_e32 v1, s61, v5
	s_wait_kmcnt 0x0
	s_delay_alu instid0(VALU_DEP_2) | instskip(NEXT) | instid1(VALU_DEP_2)
	v_mad_u32 v2, v7, s56, v2
	v_mul_lo_u32 v5, v1, s55
	v_mad_u32 v4, v7, s58, v4
	v_mad_u32 v6, v7, s57, v6
	s_delay_alu instid0(VALU_DEP_3) | instskip(NEXT) | instid1(VALU_DEP_1)
	v_sub_nc_u32_e32 v3, v3, v5
	v_mad_u32 v2, v3, s59, v2
	s_delay_alu instid0(VALU_DEP_4) | instskip(NEXT) | instid1(VALU_DEP_4)
	v_mad_u32 v4, v3, s53, v4
	v_mad_u32 v6, v3, s52, v6
	s_cbranch_scc0 .LBB199_1205
; %bb.1206:
	s_bitcmp1_b32 s38, 0
	s_cselect_b32 s2, -1, 0
	s_delay_alu instid0(SALU_CYCLE_1)
	s_and_b32 vcc_lo, exec_lo, s2
	s_cbranch_vccnz .LBB199_1210
; %bb.1207:
	s_clause 0x1
	s_load_b96 s[52:54], s[28:29], 0x1c
	s_load_b96 s[56:58], s[28:29], 0xdc
	s_wait_kmcnt 0x0
	v_mul_hi_u32 v3, s53, v1
	s_delay_alu instid0(VALU_DEP_1) | instskip(NEXT) | instid1(VALU_DEP_1)
	v_add_nc_u32_e32 v3, v1, v3
	v_lshrrev_b32_e32 v3, s54, v3
	s_delay_alu instid0(VALU_DEP_1) | instskip(NEXT) | instid1(VALU_DEP_1)
	v_mul_lo_u32 v3, v3, s52
	v_sub_nc_u32_e32 v1, v1, v3
	s_delay_alu instid0(VALU_DEP_1)
	v_mad_u32 v2, v1, s56, v2
	v_mad_u32 v6, v1, s57, v6
	;; [unrolled: 1-line block ×3, first 2 shown]
	s_branch .LBB199_1210
.LBB199_1208:
	s_mov_b32 s2, -1
                                        ; implicit-def: $vgpr4
                                        ; implicit-def: $vgpr6
                                        ; implicit-def: $vgpr2
	s_branch .LBB199_1211
.LBB199_1209:
	v_dual_mov_b32 v4, 0 :: v_dual_mov_b32 v6, 0
	v_mov_b32_e32 v2, 0
.LBB199_1210:
	s_mov_b32 s2, 0
.LBB199_1211:
	s_delay_alu instid0(SALU_CYCLE_1)
	s_and_not1_b32 vcc_lo, exec_lo, s2
	s_cbranch_vccnz .LBB199_1214
; %bb.1212:
	s_wait_loadcnt 0x0
	v_mov_b32_e32 v1, 0
	s_and_not1_b32 vcc_lo, exec_lo, s37
	s_delay_alu instid0(VALU_DEP_1) | instskip(NEXT) | instid1(VALU_DEP_1)
	v_mul_u64_e32 v[2:3], s[22:23], v[0:1]
	v_add_nc_u32_e32 v2, v0, v3
	s_delay_alu instid0(VALU_DEP_1) | instskip(NEXT) | instid1(VALU_DEP_1)
	v_lshrrev_b32_e32 v8, s14, v2
	v_mul_lo_u32 v2, v8, s12
	s_delay_alu instid0(VALU_DEP_1) | instskip(NEXT) | instid1(VALU_DEP_1)
	v_sub_nc_u32_e32 v0, v0, v2
	v_mul_lo_u32 v2, v0, s16
	v_mul_lo_u32 v4, v0, s18
	;; [unrolled: 1-line block ×3, first 2 shown]
	s_cbranch_vccnz .LBB199_1214
; %bb.1213:
	v_mov_b32_e32 v9, v1
	s_delay_alu instid0(VALU_DEP_1) | instskip(NEXT) | instid1(VALU_DEP_1)
	v_mul_u64_e32 v[0:1], s[26:27], v[8:9]
	v_add_nc_u32_e32 v0, v8, v1
	s_delay_alu instid0(VALU_DEP_1) | instskip(NEXT) | instid1(VALU_DEP_1)
	v_lshrrev_b32_e32 v0, s3, v0
	v_mul_lo_u32 v0, v0, s15
	s_delay_alu instid0(VALU_DEP_1) | instskip(NEXT) | instid1(VALU_DEP_1)
	v_sub_nc_u32_e32 v0, v8, v0
	v_mad_u32 v2, v0, s19, v2
	v_mad_u32 v6, v0, s24, v6
	;; [unrolled: 1-line block ×3, first 2 shown]
.LBB199_1214:
	v_mov_b32_e32 v7, 0
	s_and_b32 s2, s36, 0xff
	s_delay_alu instid0(SALU_CYCLE_1) | instskip(NEXT) | instid1(VALU_DEP_1)
	s_cmp_lt_i32 s2, 11
	v_add_nc_u64_e32 v[6:7], s[6:7], v[6:7]
	s_cbranch_scc1 .LBB199_1221
; %bb.1215:
	s_and_b32 s3, 0xffff, s2
	s_mov_b32 s7, 0
	s_cmp_gt_i32 s3, 25
	s_cbranch_scc0 .LBB199_1222
; %bb.1216:
	s_cmp_gt_i32 s3, 28
	s_cbranch_scc0 .LBB199_1223
; %bb.1217:
	;; [unrolled: 3-line block ×4, first 2 shown]
	s_cmp_eq_u32 s3, 46
	s_mov_b32 s14, 0
	s_cbranch_scc0 .LBB199_1228
; %bb.1220:
	s_wait_loadcnt 0x0
	global_load_b32 v3, v[6:7], off
	s_mov_b32 s6, 0
	s_mov_b32 s12, -1
	s_branch .LBB199_1230
.LBB199_1221:
	s_mov_b32 s3, -1
	s_mov_b32 s12, 0
	s_mov_b32 s7, 0
	;; [unrolled: 1-line block ×3, first 2 shown]
                                        ; implicit-def: $vgpr3
	s_branch .LBB199_1293
.LBB199_1222:
	s_mov_b32 s14, -1
	s_mov_b32 s12, 0
	s_mov_b32 s6, s1
                                        ; implicit-def: $vgpr3
	s_branch .LBB199_1259
.LBB199_1223:
	s_mov_b32 s14, -1
	s_mov_b32 s12, 0
	s_mov_b32 s6, s1
                                        ; implicit-def: $vgpr3
	s_branch .LBB199_1240
.LBB199_1224:
	s_mov_b32 s14, -1
	s_mov_b32 s12, 0
	s_mov_b32 s6, s1
                                        ; implicit-def: $vgpr3
	s_branch .LBB199_1235
.LBB199_1225:
	s_mov_b32 s14, -1
	s_mov_b32 s12, 0
	s_mov_b32 s6, s1
	s_branch .LBB199_1229
.LBB199_1226:
	s_and_not1_saveexec_b32 s53, s53
	s_cbranch_execz .LBB199_1108
.LBB199_1227:
	v_add_f32_e32 v1, 0x46000000, v4
	s_and_not1_b32 s52, s52, exec_lo
	s_delay_alu instid0(VALU_DEP_1) | instskip(NEXT) | instid1(VALU_DEP_1)
	v_and_b32_e32 v1, 0xff, v1
	v_cmp_ne_u32_e32 vcc_lo, 0, v1
	s_and_b32 s54, vcc_lo, exec_lo
	s_delay_alu instid0(SALU_CYCLE_1)
	s_or_b32 s52, s52, s54
	s_or_b32 exec_lo, exec_lo, s53
	v_mov_b32_e32 v5, 0
	s_and_saveexec_b32 s53, s52
	s_cbranch_execnz .LBB199_1109
	s_branch .LBB199_1110
.LBB199_1228:
	s_mov_b32 s6, -1
	s_mov_b32 s12, 0
.LBB199_1229:
                                        ; implicit-def: $vgpr3
.LBB199_1230:
	s_and_b32 vcc_lo, exec_lo, s14
	s_cbranch_vccz .LBB199_1234
; %bb.1231:
	s_cmp_eq_u32 s3, 44
	s_cbranch_scc0 .LBB199_1233
; %bb.1232:
	global_load_u8 v0, v[6:7], off
	s_mov_b32 s6, 0
	s_mov_b32 s12, -1
	s_wait_loadcnt 0x0
	v_lshlrev_b32_e32 v1, 23, v0
	v_cmp_ne_u32_e32 vcc_lo, 0xff, v0
	s_delay_alu instid0(VALU_DEP_2) | instskip(SKIP_1) | instid1(VALU_DEP_2)
	v_cndmask_b32_e32 v1, 0x7f800001, v1, vcc_lo
	v_cmp_ne_u32_e32 vcc_lo, 0, v0
	v_cndmask_b32_e32 v0, 0x400000, v1, vcc_lo
	s_delay_alu instid0(VALU_DEP_1) | instskip(NEXT) | instid1(VALU_DEP_1)
	v_add_nc_u32_e32 v1, 0x7fff, v0
	v_lshrrev_b32_e32 v1, 16, v1
	v_cmp_o_f32_e32 vcc_lo, v0, v0
	s_delay_alu instid0(VALU_DEP_2)
	v_cndmask_b32_e32 v3, 0x7fc0, v1, vcc_lo
	s_branch .LBB199_1234
.LBB199_1233:
	s_mov_b32 s6, -1
                                        ; implicit-def: $vgpr3
.LBB199_1234:
	s_mov_b32 s14, 0
.LBB199_1235:
	s_delay_alu instid0(SALU_CYCLE_1)
	s_and_b32 vcc_lo, exec_lo, s14
	s_cbranch_vccz .LBB199_1239
; %bb.1236:
	s_cmp_eq_u32 s3, 29
	s_cbranch_scc0 .LBB199_1238
; %bb.1237:
	s_wait_loadcnt 0x0
	global_load_b64 v[0:1], v[6:7], off
	s_mov_b32 s6, 0
	s_mov_b32 s12, -1
	s_mov_b32 s14, 0
	s_wait_loadcnt 0x0
	v_clz_i32_u32_e32 v3, v1
	s_delay_alu instid0(VALU_DEP_1) | instskip(NEXT) | instid1(VALU_DEP_1)
	v_min_u32_e32 v3, 32, v3
	v_lshlrev_b64_e32 v[0:1], v3, v[0:1]
	s_delay_alu instid0(VALU_DEP_1) | instskip(NEXT) | instid1(VALU_DEP_1)
	v_min_u32_e32 v0, 1, v0
	v_dual_sub_nc_u32 v1, 32, v3 :: v_dual_bitop2_b32 v0, v1, v0 bitop3:0x54
	s_delay_alu instid0(VALU_DEP_1) | instskip(NEXT) | instid1(VALU_DEP_1)
	v_cvt_f32_u32_e32 v0, v0
	v_ldexp_f32 v0, v0, v1
	s_delay_alu instid0(VALU_DEP_1) | instskip(NEXT) | instid1(VALU_DEP_1)
	v_bfe_u32 v1, v0, 16, 1
	v_add3_u32 v0, v0, v1, 0x7fff
	s_delay_alu instid0(VALU_DEP_1)
	v_lshrrev_b32_e32 v3, 16, v0
	s_branch .LBB199_1240
.LBB199_1238:
	s_mov_b32 s6, -1
                                        ; implicit-def: $vgpr3
.LBB199_1239:
	s_mov_b32 s14, 0
.LBB199_1240:
	s_delay_alu instid0(SALU_CYCLE_1)
	s_and_b32 vcc_lo, exec_lo, s14
	s_cbranch_vccz .LBB199_1258
; %bb.1241:
	s_cmp_lt_i32 s3, 27
	s_cbranch_scc1 .LBB199_1244
; %bb.1242:
	s_cmp_gt_i32 s3, 27
	s_cbranch_scc0 .LBB199_1245
; %bb.1243:
	global_load_b32 v0, v[6:7], off
	s_mov_b32 s12, 0
	s_wait_loadcnt 0x0
	v_cvt_f32_u32_e32 v0, v0
	s_delay_alu instid0(VALU_DEP_1) | instskip(NEXT) | instid1(VALU_DEP_1)
	v_bfe_u32 v1, v0, 16, 1
	v_add3_u32 v0, v0, v1, 0x7fff
	s_delay_alu instid0(VALU_DEP_1)
	v_lshrrev_b32_e32 v3, 16, v0
	s_branch .LBB199_1246
.LBB199_1244:
	s_mov_b32 s12, -1
                                        ; implicit-def: $vgpr3
	s_branch .LBB199_1249
.LBB199_1245:
	s_mov_b32 s12, -1
                                        ; implicit-def: $vgpr3
.LBB199_1246:
	s_delay_alu instid0(SALU_CYCLE_1)
	s_and_not1_b32 vcc_lo, exec_lo, s12
	s_cbranch_vccnz .LBB199_1248
; %bb.1247:
	global_load_u16 v0, v[6:7], off
	s_wait_loadcnt 0x0
	v_cvt_f32_u32_e32 v0, v0
	s_delay_alu instid0(VALU_DEP_1) | instskip(NEXT) | instid1(VALU_DEP_1)
	v_bfe_u32 v1, v0, 16, 1
	v_add3_u32 v0, v0, v1, 0x7fff
	s_delay_alu instid0(VALU_DEP_1)
	v_lshrrev_b32_e32 v3, 16, v0
.LBB199_1248:
	s_mov_b32 s12, 0
.LBB199_1249:
	s_delay_alu instid0(SALU_CYCLE_1)
	s_and_not1_b32 vcc_lo, exec_lo, s12
	s_cbranch_vccnz .LBB199_1257
; %bb.1250:
	global_load_u8 v0, v[6:7], off
	s_mov_b32 s12, 0
	s_mov_b32 s14, exec_lo
	s_wait_loadcnt 0x0
	v_cmpx_lt_i16_e32 0x7f, v0
	s_xor_b32 s14, exec_lo, s14
	s_cbranch_execz .LBB199_1271
; %bb.1251:
	s_mov_b32 s12, -1
	s_mov_b32 s15, exec_lo
	v_cmpx_eq_u16_e32 0x80, v0
; %bb.1252:
	s_xor_b32 s12, exec_lo, -1
; %bb.1253:
	s_or_b32 exec_lo, exec_lo, s15
	s_delay_alu instid0(SALU_CYCLE_1)
	s_and_b32 s12, s12, exec_lo
	s_or_saveexec_b32 s14, s14
	v_mov_b32_e32 v1, 0x7f800001
	s_xor_b32 exec_lo, exec_lo, s14
	s_cbranch_execnz .LBB199_1272
.LBB199_1254:
	s_or_b32 exec_lo, exec_lo, s14
	s_and_saveexec_b32 s14, s12
	s_cbranch_execz .LBB199_1256
.LBB199_1255:
	v_and_b32_e32 v1, 0xffff, v0
	s_delay_alu instid0(VALU_DEP_1) | instskip(SKIP_1) | instid1(VALU_DEP_2)
	v_dual_lshlrev_b32 v0, 24, v0 :: v_dual_bitop2_b32 v3, 7, v1 bitop3:0x40
	v_bfe_u32 v9, v1, 3, 4
	v_and_b32_e32 v0, 0x80000000, v0
	s_delay_alu instid0(VALU_DEP_3) | instskip(NEXT) | instid1(VALU_DEP_3)
	v_clz_i32_u32_e32 v5, v3
	v_cmp_eq_u32_e32 vcc_lo, 0, v9
	s_delay_alu instid0(VALU_DEP_2) | instskip(NEXT) | instid1(VALU_DEP_1)
	v_min_u32_e32 v5, 32, v5
	v_subrev_nc_u32_e32 v8, 28, v5
	v_sub_nc_u32_e32 v5, 29, v5
	s_delay_alu instid0(VALU_DEP_2) | instskip(NEXT) | instid1(VALU_DEP_2)
	v_lshlrev_b32_e32 v1, v8, v1
	v_cndmask_b32_e32 v5, v9, v5, vcc_lo
	s_delay_alu instid0(VALU_DEP_2) | instskip(NEXT) | instid1(VALU_DEP_1)
	v_and_b32_e32 v1, 7, v1
	v_cndmask_b32_e32 v1, v3, v1, vcc_lo
	s_delay_alu instid0(VALU_DEP_3) | instskip(NEXT) | instid1(VALU_DEP_2)
	v_lshl_add_u32 v3, v5, 23, 0x3b800000
	v_lshlrev_b32_e32 v1, 20, v1
	s_delay_alu instid0(VALU_DEP_1)
	v_or3_b32 v1, v0, v3, v1
.LBB199_1256:
	s_or_b32 exec_lo, exec_lo, s14
	s_delay_alu instid0(VALU_DEP_1) | instskip(SKIP_1) | instid1(VALU_DEP_2)
	v_bfe_u32 v0, v1, 16, 1
	v_cmp_o_f32_e32 vcc_lo, v1, v1
	v_add3_u32 v0, v1, v0, 0x7fff
	s_delay_alu instid0(VALU_DEP_1) | instskip(NEXT) | instid1(VALU_DEP_1)
	v_lshrrev_b32_e32 v0, 16, v0
	v_cndmask_b32_e32 v3, 0x7fc0, v0, vcc_lo
.LBB199_1257:
	s_mov_b32 s12, -1
.LBB199_1258:
	s_mov_b32 s14, 0
.LBB199_1259:
	s_delay_alu instid0(SALU_CYCLE_1)
	s_and_b32 vcc_lo, exec_lo, s14
	s_cbranch_vccz .LBB199_1292
; %bb.1260:
	s_cmp_gt_i32 s3, 22
	s_cbranch_scc0 .LBB199_1270
; %bb.1261:
	s_cmp_lt_i32 s3, 24
	s_cbranch_scc1 .LBB199_1273
; %bb.1262:
	s_cmp_gt_i32 s3, 24
	s_cbranch_scc0 .LBB199_1274
; %bb.1263:
	global_load_u8 v0, v[6:7], off
	s_mov_b32 s12, exec_lo
	s_wait_loadcnt 0x0
	v_cmpx_lt_i16_e32 0x7f, v0
	s_xor_b32 s12, exec_lo, s12
	s_cbranch_execz .LBB199_1286
; %bb.1264:
	s_mov_b32 s7, -1
	s_mov_b32 s14, exec_lo
	v_cmpx_eq_u16_e32 0x80, v0
; %bb.1265:
	s_xor_b32 s7, exec_lo, -1
; %bb.1266:
	s_or_b32 exec_lo, exec_lo, s14
	s_delay_alu instid0(SALU_CYCLE_1)
	s_and_b32 s7, s7, exec_lo
	s_or_saveexec_b32 s12, s12
	v_mov_b32_e32 v1, 0x7f800001
	s_xor_b32 exec_lo, exec_lo, s12
	s_cbranch_execnz .LBB199_1287
.LBB199_1267:
	s_or_b32 exec_lo, exec_lo, s12
	s_and_saveexec_b32 s12, s7
	s_cbranch_execz .LBB199_1269
.LBB199_1268:
	v_and_b32_e32 v1, 0xffff, v0
	s_delay_alu instid0(VALU_DEP_1) | instskip(SKIP_1) | instid1(VALU_DEP_2)
	v_dual_lshlrev_b32 v0, 24, v0 :: v_dual_bitop2_b32 v3, 3, v1 bitop3:0x40
	v_bfe_u32 v9, v1, 2, 5
	v_and_b32_e32 v0, 0x80000000, v0
	s_delay_alu instid0(VALU_DEP_3) | instskip(NEXT) | instid1(VALU_DEP_3)
	v_clz_i32_u32_e32 v5, v3
	v_cmp_eq_u32_e32 vcc_lo, 0, v9
	s_delay_alu instid0(VALU_DEP_2) | instskip(NEXT) | instid1(VALU_DEP_1)
	v_min_u32_e32 v5, 32, v5
	v_subrev_nc_u32_e32 v8, 29, v5
	v_sub_nc_u32_e32 v5, 30, v5
	s_delay_alu instid0(VALU_DEP_2) | instskip(NEXT) | instid1(VALU_DEP_2)
	v_lshlrev_b32_e32 v1, v8, v1
	v_cndmask_b32_e32 v5, v9, v5, vcc_lo
	s_delay_alu instid0(VALU_DEP_2) | instskip(NEXT) | instid1(VALU_DEP_1)
	v_and_b32_e32 v1, 3, v1
	v_cndmask_b32_e32 v1, v3, v1, vcc_lo
	s_delay_alu instid0(VALU_DEP_3) | instskip(NEXT) | instid1(VALU_DEP_2)
	v_lshl_add_u32 v3, v5, 23, 0x37800000
	v_lshlrev_b32_e32 v1, 21, v1
	s_delay_alu instid0(VALU_DEP_1)
	v_or3_b32 v1, v0, v3, v1
.LBB199_1269:
	s_or_b32 exec_lo, exec_lo, s12
	s_delay_alu instid0(VALU_DEP_1) | instskip(SKIP_2) | instid1(VALU_DEP_2)
	v_bfe_u32 v0, v1, 16, 1
	v_cmp_o_f32_e32 vcc_lo, v1, v1
	s_mov_b32 s7, 0
	v_add3_u32 v0, v1, v0, 0x7fff
	s_delay_alu instid0(VALU_DEP_1) | instskip(NEXT) | instid1(VALU_DEP_1)
	v_lshrrev_b32_e32 v0, 16, v0
	v_cndmask_b32_e32 v3, 0x7fc0, v0, vcc_lo
	s_branch .LBB199_1275
.LBB199_1270:
	s_mov_b32 s7, -1
                                        ; implicit-def: $vgpr3
	s_branch .LBB199_1281
.LBB199_1271:
	s_or_saveexec_b32 s14, s14
	v_mov_b32_e32 v1, 0x7f800001
	s_xor_b32 exec_lo, exec_lo, s14
	s_cbranch_execz .LBB199_1254
.LBB199_1272:
	v_cmp_ne_u16_e32 vcc_lo, 0, v0
	v_mov_b32_e32 v1, 0
	s_and_not1_b32 s12, s12, exec_lo
	s_and_b32 s15, vcc_lo, exec_lo
	s_delay_alu instid0(SALU_CYCLE_1)
	s_or_b32 s12, s12, s15
	s_or_b32 exec_lo, exec_lo, s14
	s_and_saveexec_b32 s14, s12
	s_cbranch_execnz .LBB199_1255
	s_branch .LBB199_1256
.LBB199_1273:
	s_mov_b32 s7, -1
                                        ; implicit-def: $vgpr3
	s_branch .LBB199_1278
.LBB199_1274:
	s_mov_b32 s7, -1
                                        ; implicit-def: $vgpr3
.LBB199_1275:
	s_delay_alu instid0(SALU_CYCLE_1)
	s_and_b32 vcc_lo, exec_lo, s7
	s_cbranch_vccz .LBB199_1277
; %bb.1276:
	global_load_u8 v0, v[6:7], off
	s_wait_loadcnt 0x0
	v_lshlrev_b32_e32 v0, 24, v0
	s_delay_alu instid0(VALU_DEP_1) | instskip(NEXT) | instid1(VALU_DEP_1)
	v_and_b32_e32 v1, 0x7f000000, v0
	v_clz_i32_u32_e32 v3, v1
	v_cmp_ne_u32_e32 vcc_lo, 0, v1
	v_add_nc_u32_e32 v8, 0x1000000, v1
	s_delay_alu instid0(VALU_DEP_3) | instskip(NEXT) | instid1(VALU_DEP_1)
	v_min_u32_e32 v3, 32, v3
	v_sub_nc_u32_e64 v3, v3, 4 clamp
	s_delay_alu instid0(VALU_DEP_1) | instskip(NEXT) | instid1(VALU_DEP_1)
	v_dual_lshlrev_b32 v5, v3, v1 :: v_dual_lshlrev_b32 v3, 23, v3
	v_lshrrev_b32_e32 v5, 4, v5
	s_delay_alu instid0(VALU_DEP_1) | instskip(NEXT) | instid1(VALU_DEP_1)
	v_dual_sub_nc_u32 v3, v5, v3 :: v_dual_ashrrev_i32 v5, 8, v8
	v_add_nc_u32_e32 v3, 0x3c000000, v3
	s_delay_alu instid0(VALU_DEP_1) | instskip(NEXT) | instid1(VALU_DEP_1)
	v_and_or_b32 v3, 0x7f800000, v5, v3
	v_cndmask_b32_e32 v1, 0, v3, vcc_lo
	s_delay_alu instid0(VALU_DEP_1) | instskip(SKIP_1) | instid1(VALU_DEP_2)
	v_and_or_b32 v0, 0x80000000, v0, v1
	v_bfe_u32 v1, v1, 16, 1
	v_cmp_o_f32_e32 vcc_lo, v0, v0
	s_delay_alu instid0(VALU_DEP_2) | instskip(NEXT) | instid1(VALU_DEP_1)
	v_add3_u32 v1, v0, v1, 0x7fff
	v_lshrrev_b32_e32 v1, 16, v1
	s_delay_alu instid0(VALU_DEP_1)
	v_cndmask_b32_e32 v3, 0x7fc0, v1, vcc_lo
.LBB199_1277:
	s_mov_b32 s7, 0
.LBB199_1278:
	s_delay_alu instid0(SALU_CYCLE_1)
	s_and_not1_b32 vcc_lo, exec_lo, s7
	s_cbranch_vccnz .LBB199_1280
; %bb.1279:
	global_load_u8 v0, v[6:7], off
	s_wait_loadcnt 0x0
	v_lshlrev_b32_e32 v1, 25, v0
	v_lshlrev_b16 v0, 8, v0
	s_delay_alu instid0(VALU_DEP_1) | instskip(SKIP_1) | instid1(VALU_DEP_2)
	v_and_or_b32 v5, 0x7f00, v0, 0.5
	v_bfe_i32 v0, v0, 0, 16
	v_add_f32_e32 v5, -0.5, v5
	v_lshrrev_b32_e32 v3, 4, v1
	v_cmp_gt_u32_e32 vcc_lo, 0x8000000, v1
	s_delay_alu instid0(VALU_DEP_2) | instskip(NEXT) | instid1(VALU_DEP_1)
	v_or_b32_e32 v3, 0x70000000, v3
	v_mul_f32_e32 v3, 0x7800000, v3
	s_delay_alu instid0(VALU_DEP_1) | instskip(NEXT) | instid1(VALU_DEP_1)
	v_cndmask_b32_e32 v1, v3, v5, vcc_lo
	v_and_or_b32 v0, 0x80000000, v0, v1
	v_bfe_u32 v1, v1, 16, 1
	s_delay_alu instid0(VALU_DEP_2) | instskip(NEXT) | instid1(VALU_DEP_2)
	v_cmp_o_f32_e32 vcc_lo, v0, v0
	v_add3_u32 v1, v0, v1, 0x7fff
	s_delay_alu instid0(VALU_DEP_1) | instskip(NEXT) | instid1(VALU_DEP_1)
	v_lshrrev_b32_e32 v1, 16, v1
	v_cndmask_b32_e32 v3, 0x7fc0, v1, vcc_lo
.LBB199_1280:
	s_mov_b32 s7, 0
	s_mov_b32 s12, -1
.LBB199_1281:
	s_and_not1_b32 vcc_lo, exec_lo, s7
	s_mov_b32 s7, 0
	s_cbranch_vccnz .LBB199_1292
; %bb.1282:
	s_cmp_gt_i32 s3, 14
	s_cbranch_scc0 .LBB199_1285
; %bb.1283:
	s_cmp_eq_u32 s3, 15
	s_cbranch_scc0 .LBB199_1288
; %bb.1284:
	s_wait_loadcnt 0x0
	global_load_u16 v3, v[6:7], off
	s_mov_b32 s6, 0
	s_mov_b32 s12, -1
	s_branch .LBB199_1290
.LBB199_1285:
	s_mov_b32 s7, -1
	s_branch .LBB199_1289
.LBB199_1286:
	s_or_saveexec_b32 s12, s12
	v_mov_b32_e32 v1, 0x7f800001
	s_xor_b32 exec_lo, exec_lo, s12
	s_cbranch_execz .LBB199_1267
.LBB199_1287:
	v_cmp_ne_u16_e32 vcc_lo, 0, v0
	v_mov_b32_e32 v1, 0
	s_and_not1_b32 s7, s7, exec_lo
	s_and_b32 s14, vcc_lo, exec_lo
	s_delay_alu instid0(SALU_CYCLE_1)
	s_or_b32 s7, s7, s14
	s_or_b32 exec_lo, exec_lo, s12
	s_and_saveexec_b32 s12, s7
	s_cbranch_execnz .LBB199_1268
	s_branch .LBB199_1269
.LBB199_1288:
	s_mov_b32 s6, -1
.LBB199_1289:
                                        ; implicit-def: $vgpr3
.LBB199_1290:
	s_and_b32 vcc_lo, exec_lo, s7
	s_mov_b32 s7, 0
	s_cbranch_vccz .LBB199_1292
; %bb.1291:
	s_cmp_lg_u32 s3, 11
	s_mov_b32 s7, -1
	s_cselect_b32 s3, -1, 0
	s_and_not1_b32 s6, s6, exec_lo
	s_and_b32 s3, s3, exec_lo
	s_delay_alu instid0(SALU_CYCLE_1)
	s_or_b32 s6, s6, s3
.LBB199_1292:
	s_mov_b32 s3, 0
.LBB199_1293:
	s_delay_alu instid0(SALU_CYCLE_1)
	s_and_b32 s29, s3, exec_lo
	s_and_not1_b32 s3, s1, exec_lo
	s_and_b32 s6, s6, exec_lo
	s_and_b32 s28, s12, exec_lo
	;; [unrolled: 1-line block ×3, first 2 shown]
	s_or_b32 s52, s3, s6
.LBB199_1294:
	s_wait_xcnt 0x0
	s_or_b32 exec_lo, exec_lo, s39
	s_delay_alu instid0(SALU_CYCLE_1)
	s_and_not1_b32 s1, s1, exec_lo
	s_and_b32 s3, s52, exec_lo
	s_and_b32 s28, s28, exec_lo
	;; [unrolled: 1-line block ×4, first 2 shown]
	s_or_b32 s1, s1, s3
.LBB199_1295:
	s_or_b32 exec_lo, exec_lo, s48
	s_delay_alu instid0(SALU_CYCLE_1)
	s_and_not1_b32 s3, s45, exec_lo
	s_and_b32 s6, s49, exec_lo
	s_and_not1_b32 s7, s46, exec_lo
	s_and_b32 s12, s50, exec_lo
	s_or_b32 s45, s3, s6
	s_and_not1_b32 s3, s44, exec_lo
	s_and_b32 s6, s1, exec_lo
	s_or_b32 s46, s7, s12
	s_and_b32 s28, s28, exec_lo
	s_and_b32 s29, s29, exec_lo
	;; [unrolled: 1-line block ×3, first 2 shown]
	s_or_b32 s44, s3, s6
.LBB199_1296:
	s_or_b32 exec_lo, exec_lo, s47
	s_delay_alu instid0(SALU_CYCLE_1)
	s_and_not1_b32 s3, s10, exec_lo
	s_and_b32 s6, s45, exec_lo
	s_and_not1_b32 s7, s41, exec_lo
	s_and_b32 s12, s46, exec_lo
	s_or_b32 s10, s3, s6
	s_and_not1_b32 s3, s42, exec_lo
	s_and_b32 s6, s44, exec_lo
	s_or_b32 s41, s7, s12
	s_and_b32 s28, s28, exec_lo
	s_and_b32 s45, s29, exec_lo
	;; [unrolled: 1-line block ×3, first 2 shown]
	s_or_b32 s42, s3, s6
	s_or_b32 exec_lo, exec_lo, s43
	s_mov_b32 s1, 0
	s_and_saveexec_b32 s3, s42
	s_cbranch_execz .LBB199_402
.LBB199_1297:
	s_mov_b32 s1, exec_lo
	s_and_not1_b32 s23, s23, exec_lo
	s_trap 2
	s_or_b32 exec_lo, exec_lo, s3
	s_and_saveexec_b32 s3, s23
	s_delay_alu instid0(SALU_CYCLE_1)
	s_xor_b32 s3, exec_lo, s3
	s_cbranch_execnz .LBB199_403
.LBB199_1298:
	s_or_b32 exec_lo, exec_lo, s3
	s_and_saveexec_b32 s3, s45
	s_cbranch_execz .LBB199_1344
.LBB199_1299:
	s_sext_i32_i16 s6, s2
	s_delay_alu instid0(SALU_CYCLE_1)
	s_cmp_lt_i32 s6, 5
	s_cbranch_scc1 .LBB199_1304
; %bb.1300:
	s_cmp_lt_i32 s6, 8
	s_cbranch_scc1 .LBB199_1305
; %bb.1301:
	;; [unrolled: 3-line block ×3, first 2 shown]
	s_cmp_gt_i32 s6, 9
	s_cbranch_scc0 .LBB199_1307
; %bb.1303:
	s_wait_loadcnt 0x0
	global_load_b64 v[0:1], v[6:7], off
	s_mov_b32 s6, 0
	s_wait_loadcnt 0x0
	v_cvt_f32_f64_e32 v0, v[0:1]
	s_delay_alu instid0(VALU_DEP_1) | instskip(SKIP_1) | instid1(VALU_DEP_2)
	v_bfe_u32 v1, v0, 16, 1
	v_cmp_o_f32_e32 vcc_lo, v0, v0
	v_add3_u32 v1, v0, v1, 0x7fff
	s_delay_alu instid0(VALU_DEP_1) | instskip(NEXT) | instid1(VALU_DEP_1)
	v_lshrrev_b32_e32 v1, 16, v1
	v_cndmask_b32_e32 v3, 0x7fc0, v1, vcc_lo
	s_branch .LBB199_1308
.LBB199_1304:
                                        ; implicit-def: $vgpr3
	s_branch .LBB199_1325
.LBB199_1305:
                                        ; implicit-def: $vgpr3
	s_branch .LBB199_1314
.LBB199_1306:
	s_mov_b32 s6, -1
                                        ; implicit-def: $vgpr3
	s_branch .LBB199_1311
.LBB199_1307:
	s_mov_b32 s6, -1
                                        ; implicit-def: $vgpr3
.LBB199_1308:
	s_delay_alu instid0(SALU_CYCLE_1)
	s_and_not1_b32 vcc_lo, exec_lo, s6
	s_cbranch_vccnz .LBB199_1310
; %bb.1309:
	global_load_b32 v0, v[6:7], off
	s_wait_loadcnt 0x0
	v_bfe_u32 v1, v0, 16, 1
	v_cmp_o_f32_e32 vcc_lo, v0, v0
	s_delay_alu instid0(VALU_DEP_2) | instskip(NEXT) | instid1(VALU_DEP_1)
	v_add3_u32 v1, v0, v1, 0x7fff
	v_lshrrev_b32_e32 v1, 16, v1
	s_delay_alu instid0(VALU_DEP_1)
	v_cndmask_b32_e32 v3, 0x7fc0, v1, vcc_lo
.LBB199_1310:
	s_mov_b32 s6, 0
.LBB199_1311:
	s_delay_alu instid0(SALU_CYCLE_1)
	s_and_not1_b32 vcc_lo, exec_lo, s6
	s_cbranch_vccnz .LBB199_1313
; %bb.1312:
	global_load_b32 v0, v[6:7], off
	s_wait_loadcnt 0x0
	v_cvt_f32_f16_e32 v1, v0
	v_cmp_o_f16_e32 vcc_lo, v0, v0
	s_delay_alu instid0(VALU_DEP_2) | instskip(NEXT) | instid1(VALU_DEP_1)
	v_bfe_u32 v3, v1, 16, 1
	v_add3_u32 v1, v1, v3, 0x7fff
	s_delay_alu instid0(VALU_DEP_1) | instskip(NEXT) | instid1(VALU_DEP_1)
	v_lshrrev_b32_e32 v1, 16, v1
	v_cndmask_b32_e32 v3, 0x7fc0, v1, vcc_lo
.LBB199_1313:
	s_cbranch_execnz .LBB199_1324
.LBB199_1314:
	s_sext_i32_i16 s6, s2
	s_delay_alu instid0(SALU_CYCLE_1)
	s_cmp_lt_i32 s6, 6
	s_cbranch_scc1 .LBB199_1317
; %bb.1315:
	s_cmp_gt_i32 s6, 6
	s_cbranch_scc0 .LBB199_1318
; %bb.1316:
	s_wait_loadcnt 0x0
	global_load_b64 v[0:1], v[6:7], off
	s_mov_b32 s6, 0
	s_wait_loadcnt 0x0
	v_cvt_f32_f64_e32 v0, v[0:1]
	s_delay_alu instid0(VALU_DEP_1) | instskip(SKIP_1) | instid1(VALU_DEP_2)
	v_bfe_u32 v1, v0, 16, 1
	v_cmp_o_f32_e32 vcc_lo, v0, v0
	v_add3_u32 v1, v0, v1, 0x7fff
	s_delay_alu instid0(VALU_DEP_1) | instskip(NEXT) | instid1(VALU_DEP_1)
	v_lshrrev_b32_e32 v1, 16, v1
	v_cndmask_b32_e32 v3, 0x7fc0, v1, vcc_lo
	s_branch .LBB199_1319
.LBB199_1317:
	s_mov_b32 s6, -1
                                        ; implicit-def: $vgpr3
	s_branch .LBB199_1322
.LBB199_1318:
	s_mov_b32 s6, -1
                                        ; implicit-def: $vgpr3
.LBB199_1319:
	s_delay_alu instid0(SALU_CYCLE_1)
	s_and_not1_b32 vcc_lo, exec_lo, s6
	s_cbranch_vccnz .LBB199_1321
; %bb.1320:
	global_load_b32 v0, v[6:7], off
	s_wait_loadcnt 0x0
	v_bfe_u32 v1, v0, 16, 1
	v_cmp_o_f32_e32 vcc_lo, v0, v0
	s_delay_alu instid0(VALU_DEP_2) | instskip(NEXT) | instid1(VALU_DEP_1)
	v_add3_u32 v1, v0, v1, 0x7fff
	v_lshrrev_b32_e32 v1, 16, v1
	s_delay_alu instid0(VALU_DEP_1)
	v_cndmask_b32_e32 v3, 0x7fc0, v1, vcc_lo
.LBB199_1321:
	s_mov_b32 s6, 0
.LBB199_1322:
	s_delay_alu instid0(SALU_CYCLE_1)
	s_and_not1_b32 vcc_lo, exec_lo, s6
	s_cbranch_vccnz .LBB199_1324
; %bb.1323:
	global_load_u16 v0, v[6:7], off
	s_wait_loadcnt 0x0
	v_cvt_f32_f16_e32 v1, v0
	v_cmp_o_f16_e32 vcc_lo, v0, v0
	s_delay_alu instid0(VALU_DEP_2) | instskip(NEXT) | instid1(VALU_DEP_1)
	v_bfe_u32 v3, v1, 16, 1
	v_add3_u32 v1, v1, v3, 0x7fff
	s_delay_alu instid0(VALU_DEP_1) | instskip(NEXT) | instid1(VALU_DEP_1)
	v_lshrrev_b32_e32 v1, 16, v1
	v_cndmask_b32_e32 v3, 0x7fc0, v1, vcc_lo
.LBB199_1324:
	s_cbranch_execnz .LBB199_1343
.LBB199_1325:
	s_sext_i32_i16 s6, s2
	s_delay_alu instid0(SALU_CYCLE_1)
	s_cmp_lt_i32 s6, 2
	s_cbranch_scc1 .LBB199_1329
; %bb.1326:
	s_cmp_lt_i32 s6, 3
	s_cbranch_scc1 .LBB199_1330
; %bb.1327:
	s_cmp_gt_i32 s6, 3
	s_cbranch_scc0 .LBB199_1331
; %bb.1328:
	s_wait_loadcnt 0x0
	global_load_b64 v[0:1], v[6:7], off
	s_mov_b32 s6, 0
	s_wait_loadcnt 0x0
	v_xor_b32_e32 v3, v0, v1
	v_cls_i32_e32 v5, v1
	s_delay_alu instid0(VALU_DEP_2) | instskip(NEXT) | instid1(VALU_DEP_1)
	v_ashrrev_i32_e32 v3, 31, v3
	v_add_nc_u32_e32 v3, 32, v3
	s_delay_alu instid0(VALU_DEP_1) | instskip(NEXT) | instid1(VALU_DEP_1)
	v_add_min_u32_e64 v3, v5, -1, v3
	v_lshlrev_b64_e32 v[0:1], v3, v[0:1]
	s_delay_alu instid0(VALU_DEP_1) | instskip(NEXT) | instid1(VALU_DEP_1)
	v_min_u32_e32 v0, 1, v0
	v_dual_sub_nc_u32 v1, 32, v3 :: v_dual_bitop2_b32 v0, v1, v0 bitop3:0x54
	s_delay_alu instid0(VALU_DEP_1) | instskip(NEXT) | instid1(VALU_DEP_1)
	v_cvt_f32_i32_e32 v0, v0
	v_ldexp_f32 v0, v0, v1
	s_delay_alu instid0(VALU_DEP_1) | instskip(NEXT) | instid1(VALU_DEP_1)
	v_bfe_u32 v1, v0, 16, 1
	v_add3_u32 v0, v0, v1, 0x7fff
	s_delay_alu instid0(VALU_DEP_1)
	v_lshrrev_b32_e32 v3, 16, v0
	s_branch .LBB199_1332
.LBB199_1329:
                                        ; implicit-def: $vgpr3
	s_branch .LBB199_1338
.LBB199_1330:
	s_mov_b32 s6, -1
                                        ; implicit-def: $vgpr3
	s_branch .LBB199_1335
.LBB199_1331:
	s_mov_b32 s6, -1
                                        ; implicit-def: $vgpr3
.LBB199_1332:
	s_delay_alu instid0(SALU_CYCLE_1)
	s_and_not1_b32 vcc_lo, exec_lo, s6
	s_cbranch_vccnz .LBB199_1334
; %bb.1333:
	global_load_b32 v0, v[6:7], off
	s_wait_loadcnt 0x0
	v_cvt_f32_i32_e32 v0, v0
	s_delay_alu instid0(VALU_DEP_1) | instskip(NEXT) | instid1(VALU_DEP_1)
	v_bfe_u32 v1, v0, 16, 1
	v_add3_u32 v0, v0, v1, 0x7fff
	s_delay_alu instid0(VALU_DEP_1)
	v_lshrrev_b32_e32 v3, 16, v0
.LBB199_1334:
	s_mov_b32 s6, 0
.LBB199_1335:
	s_delay_alu instid0(SALU_CYCLE_1)
	s_and_not1_b32 vcc_lo, exec_lo, s6
	s_cbranch_vccnz .LBB199_1337
; %bb.1336:
	global_load_i16 v0, v[6:7], off
	s_wait_loadcnt 0x0
	v_cvt_f32_i32_e32 v0, v0
	s_delay_alu instid0(VALU_DEP_1) | instskip(NEXT) | instid1(VALU_DEP_1)
	v_bfe_u32 v1, v0, 16, 1
	v_add3_u32 v0, v0, v1, 0x7fff
	s_delay_alu instid0(VALU_DEP_1)
	v_lshrrev_b32_e32 v3, 16, v0
.LBB199_1337:
	s_cbranch_execnz .LBB199_1343
.LBB199_1338:
	s_sext_i32_i16 s2, s2
	s_delay_alu instid0(SALU_CYCLE_1)
	s_cmp_gt_i32 s2, 0
	s_mov_b32 s2, 0
	s_cbranch_scc0 .LBB199_1340
; %bb.1339:
	global_load_i8 v0, v[6:7], off
	s_wait_loadcnt 0x0
	v_cvt_f32_i32_e32 v0, v0
	s_delay_alu instid0(VALU_DEP_1) | instskip(NEXT) | instid1(VALU_DEP_1)
	v_bfe_u32 v1, v0, 16, 1
	v_add3_u32 v0, v0, v1, 0x7fff
	s_delay_alu instid0(VALU_DEP_1)
	v_lshrrev_b32_e32 v3, 16, v0
	s_branch .LBB199_1341
.LBB199_1340:
	s_mov_b32 s2, -1
                                        ; implicit-def: $vgpr3
.LBB199_1341:
	s_delay_alu instid0(SALU_CYCLE_1)
	s_and_not1_b32 vcc_lo, exec_lo, s2
	s_cbranch_vccnz .LBB199_1343
; %bb.1342:
	global_load_u8 v0, v[6:7], off
	s_wait_loadcnt 0x0
	v_cvt_f32_ubyte0_e32 v0, v0
	s_delay_alu instid0(VALU_DEP_1) | instskip(NEXT) | instid1(VALU_DEP_1)
	v_bfe_u32 v1, v0, 16, 1
	v_add3_u32 v0, v0, v1, 0x7fff
	s_delay_alu instid0(VALU_DEP_1)
	v_lshrrev_b32_e32 v3, 16, v0
.LBB199_1343:
	s_or_b32 s28, s28, exec_lo
.LBB199_1344:
	s_wait_xcnt 0x0
	s_or_b32 exec_lo, exec_lo, s3
	s_mov_b32 s7, 0
	s_mov_b32 s6, 0
	s_mov_b32 s12, 0
                                        ; implicit-def: $sgpr2
                                        ; implicit-def: $vgpr0_vgpr1
                                        ; implicit-def: $vgpr5
	s_and_saveexec_b32 s3, s28
	s_cbranch_execz .LBB199_1352
; %bb.1345:
	v_mov_b32_e32 v5, 0
	s_and_b32 s2, s13, 0xff
	s_delay_alu instid0(SALU_CYCLE_1) | instskip(SKIP_1) | instid1(VALU_DEP_1)
	s_cmp_lt_i32 s2, 11
	s_wait_loadcnt 0x0
	v_add_nc_u64_e32 v[0:1], s[8:9], v[4:5]
	s_cbranch_scc1 .LBB199_1355
; %bb.1346:
	s_and_b32 s6, 0xffff, s2
	s_mov_b32 s8, 0
	s_cmp_gt_i32 s6, 25
	s_cbranch_scc0 .LBB199_1356
; %bb.1347:
	s_cmp_gt_i32 s6, 28
	s_cbranch_scc0 .LBB199_1357
; %bb.1348:
	;; [unrolled: 3-line block ×4, first 2 shown]
	s_cmp_eq_u32 s6, 46
	s_cbranch_scc0 .LBB199_1360
; %bb.1351:
	global_load_b32 v5, v[0:1], off
	s_mov_b32 s9, -1
	s_branch .LBB199_1362
.LBB199_1352:
	s_or_b32 exec_lo, exec_lo, s3
	s_and_saveexec_b32 s3, s41
	s_cbranch_execnz .LBB199_1425
.LBB199_1353:
	s_or_b32 exec_lo, exec_lo, s3
	s_and_saveexec_b32 s3, s7
	s_delay_alu instid0(SALU_CYCLE_1)
	s_xor_b32 s3, exec_lo, s3
	s_cbranch_execz .LBB199_1426
.LBB199_1354:
	s_wait_loadcnt 0x0
	global_load_u8 v4, v[0:1], off
	s_or_b32 s12, s12, exec_lo
	s_wait_loadcnt 0x0
	v_cmp_ne_u16_e32 vcc_lo, 0, v4
	v_cndmask_b32_e64 v4, 0, 1.0, vcc_lo
	s_delay_alu instid0(VALU_DEP_1)
	v_lshrrev_b32_e32 v5, 16, v4
	s_wait_xcnt 0x0
	s_or_b32 exec_lo, exec_lo, s3
	s_and_saveexec_b32 s3, s6
	s_cbranch_execz .LBB199_1472
	s_branch .LBB199_1427
.LBB199_1355:
	s_mov_b32 s6, -1
	s_mov_b32 s9, 0
	s_mov_b32 s8, 0
	;; [unrolled: 1-line block ×3, first 2 shown]
                                        ; implicit-def: $vgpr5
	s_branch .LBB199_1424
.LBB199_1356:
	s_mov_b32 s9, 0
	s_mov_b32 s7, s41
                                        ; implicit-def: $vgpr5
	s_cbranch_execnz .LBB199_1391
	s_branch .LBB199_1423
.LBB199_1357:
	s_mov_b32 s12, -1
	s_mov_b32 s9, 0
	s_mov_b32 s7, s41
                                        ; implicit-def: $vgpr5
	s_branch .LBB199_1372
.LBB199_1358:
	s_mov_b32 s12, -1
	s_mov_b32 s9, 0
	s_mov_b32 s7, s41
                                        ; implicit-def: $vgpr5
	s_branch .LBB199_1367
.LBB199_1359:
	s_mov_b32 s12, -1
	s_mov_b32 s9, 0
	s_mov_b32 s7, s41
	s_branch .LBB199_1361
.LBB199_1360:
	s_mov_b32 s7, -1
	s_mov_b32 s9, 0
.LBB199_1361:
                                        ; implicit-def: $vgpr5
.LBB199_1362:
	s_and_b32 vcc_lo, exec_lo, s12
	s_cbranch_vccz .LBB199_1366
; %bb.1363:
	s_cmp_eq_u32 s6, 44
	s_cbranch_scc0 .LBB199_1365
; %bb.1364:
	global_load_u8 v4, v[0:1], off
	s_mov_b32 s7, 0
	s_mov_b32 s9, -1
	s_wait_loadcnt 0x0
	v_lshlrev_b32_e32 v5, 23, v4
	v_cmp_ne_u32_e32 vcc_lo, 0xff, v4
	s_delay_alu instid0(VALU_DEP_2) | instskip(SKIP_1) | instid1(VALU_DEP_2)
	v_cndmask_b32_e32 v5, 0x7f800001, v5, vcc_lo
	v_cmp_ne_u32_e32 vcc_lo, 0, v4
	v_cndmask_b32_e32 v4, 0x400000, v5, vcc_lo
	s_delay_alu instid0(VALU_DEP_1) | instskip(NEXT) | instid1(VALU_DEP_1)
	v_add_nc_u32_e32 v5, 0x7fff, v4
	v_lshrrev_b32_e32 v5, 16, v5
	v_cmp_o_f32_e32 vcc_lo, v4, v4
	s_delay_alu instid0(VALU_DEP_2)
	v_cndmask_b32_e32 v5, 0x7fc0, v5, vcc_lo
	s_branch .LBB199_1366
.LBB199_1365:
	s_mov_b32 s7, -1
                                        ; implicit-def: $vgpr5
.LBB199_1366:
	s_mov_b32 s12, 0
.LBB199_1367:
	s_delay_alu instid0(SALU_CYCLE_1)
	s_and_b32 vcc_lo, exec_lo, s12
	s_cbranch_vccz .LBB199_1371
; %bb.1368:
	s_cmp_eq_u32 s6, 29
	s_cbranch_scc0 .LBB199_1370
; %bb.1369:
	s_wait_loadcnt 0x0
	global_load_b64 v[4:5], v[0:1], off
	s_mov_b32 s7, 0
	s_mov_b32 s9, -1
	s_mov_b32 s12, 0
	s_wait_loadcnt 0x0
	v_clz_i32_u32_e32 v6, v5
	s_delay_alu instid0(VALU_DEP_1) | instskip(NEXT) | instid1(VALU_DEP_1)
	v_min_u32_e32 v6, 32, v6
	v_lshlrev_b64_e32 v[4:5], v6, v[4:5]
	s_delay_alu instid0(VALU_DEP_1) | instskip(NEXT) | instid1(VALU_DEP_1)
	v_min_u32_e32 v4, 1, v4
	v_dual_sub_nc_u32 v5, 32, v6 :: v_dual_bitop2_b32 v4, v5, v4 bitop3:0x54
	s_delay_alu instid0(VALU_DEP_1) | instskip(NEXT) | instid1(VALU_DEP_1)
	v_cvt_f32_u32_e32 v4, v4
	v_ldexp_f32 v4, v4, v5
	s_delay_alu instid0(VALU_DEP_1) | instskip(NEXT) | instid1(VALU_DEP_1)
	v_bfe_u32 v5, v4, 16, 1
	v_add3_u32 v4, v4, v5, 0x7fff
	s_delay_alu instid0(VALU_DEP_1)
	v_lshrrev_b32_e32 v5, 16, v4
	s_branch .LBB199_1372
.LBB199_1370:
	s_mov_b32 s7, -1
                                        ; implicit-def: $vgpr5
.LBB199_1371:
	s_mov_b32 s12, 0
.LBB199_1372:
	s_delay_alu instid0(SALU_CYCLE_1)
	s_and_b32 vcc_lo, exec_lo, s12
	s_cbranch_vccz .LBB199_1390
; %bb.1373:
	s_cmp_lt_i32 s6, 27
	s_cbranch_scc1 .LBB199_1376
; %bb.1374:
	s_cmp_gt_i32 s6, 27
	s_cbranch_scc0 .LBB199_1377
; %bb.1375:
	global_load_b32 v4, v[0:1], off
	s_mov_b32 s9, 0
	s_wait_loadcnt 0x0
	v_cvt_f32_u32_e32 v4, v4
	s_delay_alu instid0(VALU_DEP_1) | instskip(NEXT) | instid1(VALU_DEP_1)
	v_bfe_u32 v5, v4, 16, 1
	v_add3_u32 v4, v4, v5, 0x7fff
	s_delay_alu instid0(VALU_DEP_1)
	v_lshrrev_b32_e32 v5, 16, v4
	s_branch .LBB199_1378
.LBB199_1376:
	s_mov_b32 s9, -1
                                        ; implicit-def: $vgpr5
	s_branch .LBB199_1381
.LBB199_1377:
	s_mov_b32 s9, -1
                                        ; implicit-def: $vgpr5
.LBB199_1378:
	s_delay_alu instid0(SALU_CYCLE_1)
	s_and_not1_b32 vcc_lo, exec_lo, s9
	s_cbranch_vccnz .LBB199_1380
; %bb.1379:
	global_load_u16 v4, v[0:1], off
	s_wait_loadcnt 0x0
	v_cvt_f32_u32_e32 v4, v4
	s_delay_alu instid0(VALU_DEP_1) | instskip(NEXT) | instid1(VALU_DEP_1)
	v_bfe_u32 v5, v4, 16, 1
	v_add3_u32 v4, v4, v5, 0x7fff
	s_delay_alu instid0(VALU_DEP_1)
	v_lshrrev_b32_e32 v5, 16, v4
.LBB199_1380:
	s_mov_b32 s9, 0
.LBB199_1381:
	s_delay_alu instid0(SALU_CYCLE_1)
	s_and_not1_b32 vcc_lo, exec_lo, s9
	s_cbranch_vccnz .LBB199_1389
; %bb.1382:
	global_load_u8 v4, v[0:1], off
	s_mov_b32 s9, 0
	s_mov_b32 s12, exec_lo
	s_wait_loadcnt 0x0
	v_cmpx_lt_i16_e32 0x7f, v4
	s_xor_b32 s12, exec_lo, s12
	s_cbranch_execz .LBB199_1402
; %bb.1383:
	s_mov_b32 s9, -1
	s_mov_b32 s13, exec_lo
	v_cmpx_eq_u16_e32 0x80, v4
; %bb.1384:
	s_xor_b32 s9, exec_lo, -1
; %bb.1385:
	s_or_b32 exec_lo, exec_lo, s13
	s_delay_alu instid0(SALU_CYCLE_1)
	s_and_b32 s9, s9, exec_lo
	s_or_saveexec_b32 s12, s12
	v_mov_b32_e32 v5, 0x7f800001
	s_xor_b32 exec_lo, exec_lo, s12
	s_cbranch_execnz .LBB199_1403
.LBB199_1386:
	s_or_b32 exec_lo, exec_lo, s12
	s_and_saveexec_b32 s12, s9
	s_cbranch_execz .LBB199_1388
.LBB199_1387:
	v_and_b32_e32 v5, 0xffff, v4
	s_delay_alu instid0(VALU_DEP_1) | instskip(SKIP_1) | instid1(VALU_DEP_2)
	v_and_b32_e32 v6, 7, v5
	v_bfe_u32 v9, v5, 3, 4
	v_clz_i32_u32_e32 v7, v6
	s_delay_alu instid0(VALU_DEP_2) | instskip(NEXT) | instid1(VALU_DEP_2)
	v_cmp_eq_u32_e32 vcc_lo, 0, v9
	v_min_u32_e32 v7, 32, v7
	s_delay_alu instid0(VALU_DEP_1) | instskip(NEXT) | instid1(VALU_DEP_1)
	v_subrev_nc_u32_e32 v8, 28, v7
	v_dual_lshlrev_b32 v5, v8, v5 :: v_dual_sub_nc_u32 v7, 29, v7
	s_delay_alu instid0(VALU_DEP_1) | instskip(NEXT) | instid1(VALU_DEP_1)
	v_dual_lshlrev_b32 v4, 24, v4 :: v_dual_bitop2_b32 v5, 7, v5 bitop3:0x40
	v_dual_cndmask_b32 v7, v9, v7, vcc_lo :: v_dual_cndmask_b32 v5, v6, v5, vcc_lo
	s_delay_alu instid0(VALU_DEP_2) | instskip(NEXT) | instid1(VALU_DEP_2)
	v_and_b32_e32 v4, 0x80000000, v4
	v_lshl_add_u32 v6, v7, 23, 0x3b800000
	s_delay_alu instid0(VALU_DEP_3) | instskip(NEXT) | instid1(VALU_DEP_1)
	v_lshlrev_b32_e32 v5, 20, v5
	v_or3_b32 v5, v4, v6, v5
.LBB199_1388:
	s_or_b32 exec_lo, exec_lo, s12
	s_delay_alu instid0(VALU_DEP_1) | instskip(SKIP_1) | instid1(VALU_DEP_2)
	v_bfe_u32 v4, v5, 16, 1
	v_cmp_o_f32_e32 vcc_lo, v5, v5
	v_add3_u32 v4, v5, v4, 0x7fff
	s_delay_alu instid0(VALU_DEP_1) | instskip(NEXT) | instid1(VALU_DEP_1)
	v_lshrrev_b32_e32 v4, 16, v4
	v_cndmask_b32_e32 v5, 0x7fc0, v4, vcc_lo
.LBB199_1389:
	s_mov_b32 s9, -1
.LBB199_1390:
	s_branch .LBB199_1423
.LBB199_1391:
	s_cmp_gt_i32 s6, 22
	s_cbranch_scc0 .LBB199_1401
; %bb.1392:
	s_cmp_lt_i32 s6, 24
	s_cbranch_scc1 .LBB199_1404
; %bb.1393:
	s_cmp_gt_i32 s6, 24
	s_cbranch_scc0 .LBB199_1405
; %bb.1394:
	global_load_u8 v4, v[0:1], off
	s_mov_b32 s9, exec_lo
	s_wait_loadcnt 0x0
	v_cmpx_lt_i16_e32 0x7f, v4
	s_xor_b32 s9, exec_lo, s9
	s_cbranch_execz .LBB199_1417
; %bb.1395:
	s_mov_b32 s8, -1
	s_mov_b32 s12, exec_lo
	v_cmpx_eq_u16_e32 0x80, v4
; %bb.1396:
	s_xor_b32 s8, exec_lo, -1
; %bb.1397:
	s_or_b32 exec_lo, exec_lo, s12
	s_delay_alu instid0(SALU_CYCLE_1)
	s_and_b32 s8, s8, exec_lo
	s_or_saveexec_b32 s9, s9
	v_mov_b32_e32 v5, 0x7f800001
	s_xor_b32 exec_lo, exec_lo, s9
	s_cbranch_execnz .LBB199_1418
.LBB199_1398:
	s_or_b32 exec_lo, exec_lo, s9
	s_and_saveexec_b32 s9, s8
	s_cbranch_execz .LBB199_1400
.LBB199_1399:
	v_and_b32_e32 v5, 0xffff, v4
	s_delay_alu instid0(VALU_DEP_1) | instskip(SKIP_1) | instid1(VALU_DEP_2)
	v_and_b32_e32 v6, 3, v5
	v_bfe_u32 v9, v5, 2, 5
	v_clz_i32_u32_e32 v7, v6
	s_delay_alu instid0(VALU_DEP_2) | instskip(NEXT) | instid1(VALU_DEP_2)
	v_cmp_eq_u32_e32 vcc_lo, 0, v9
	v_min_u32_e32 v7, 32, v7
	s_delay_alu instid0(VALU_DEP_1) | instskip(NEXT) | instid1(VALU_DEP_1)
	v_subrev_nc_u32_e32 v8, 29, v7
	v_dual_lshlrev_b32 v5, v8, v5 :: v_dual_sub_nc_u32 v7, 30, v7
	s_delay_alu instid0(VALU_DEP_1) | instskip(NEXT) | instid1(VALU_DEP_1)
	v_dual_lshlrev_b32 v4, 24, v4 :: v_dual_bitop2_b32 v5, 3, v5 bitop3:0x40
	v_dual_cndmask_b32 v7, v9, v7, vcc_lo :: v_dual_cndmask_b32 v5, v6, v5, vcc_lo
	s_delay_alu instid0(VALU_DEP_2) | instskip(NEXT) | instid1(VALU_DEP_2)
	v_and_b32_e32 v4, 0x80000000, v4
	v_lshl_add_u32 v6, v7, 23, 0x37800000
	s_delay_alu instid0(VALU_DEP_3) | instskip(NEXT) | instid1(VALU_DEP_1)
	v_lshlrev_b32_e32 v5, 21, v5
	v_or3_b32 v5, v4, v6, v5
.LBB199_1400:
	s_or_b32 exec_lo, exec_lo, s9
	s_delay_alu instid0(VALU_DEP_1) | instskip(SKIP_2) | instid1(VALU_DEP_2)
	v_bfe_u32 v4, v5, 16, 1
	v_cmp_o_f32_e32 vcc_lo, v5, v5
	s_mov_b32 s8, 0
	v_add3_u32 v4, v5, v4, 0x7fff
	s_delay_alu instid0(VALU_DEP_1) | instskip(NEXT) | instid1(VALU_DEP_1)
	v_lshrrev_b32_e32 v4, 16, v4
	v_cndmask_b32_e32 v5, 0x7fc0, v4, vcc_lo
	s_branch .LBB199_1406
.LBB199_1401:
	s_mov_b32 s8, -1
                                        ; implicit-def: $vgpr5
	s_branch .LBB199_1412
.LBB199_1402:
	s_or_saveexec_b32 s12, s12
	v_mov_b32_e32 v5, 0x7f800001
	s_xor_b32 exec_lo, exec_lo, s12
	s_cbranch_execz .LBB199_1386
.LBB199_1403:
	v_cmp_ne_u16_e32 vcc_lo, 0, v4
	v_mov_b32_e32 v5, 0
	s_and_not1_b32 s9, s9, exec_lo
	s_and_b32 s13, vcc_lo, exec_lo
	s_delay_alu instid0(SALU_CYCLE_1)
	s_or_b32 s9, s9, s13
	s_or_b32 exec_lo, exec_lo, s12
	s_and_saveexec_b32 s12, s9
	s_cbranch_execnz .LBB199_1387
	s_branch .LBB199_1388
.LBB199_1404:
	s_mov_b32 s8, -1
                                        ; implicit-def: $vgpr5
	s_branch .LBB199_1409
.LBB199_1405:
	s_mov_b32 s8, -1
                                        ; implicit-def: $vgpr5
.LBB199_1406:
	s_delay_alu instid0(SALU_CYCLE_1)
	s_and_b32 vcc_lo, exec_lo, s8
	s_cbranch_vccz .LBB199_1408
; %bb.1407:
	global_load_u8 v4, v[0:1], off
	s_wait_loadcnt 0x0
	v_lshlrev_b32_e32 v4, 24, v4
	s_delay_alu instid0(VALU_DEP_1) | instskip(NEXT) | instid1(VALU_DEP_1)
	v_and_b32_e32 v5, 0x7f000000, v4
	v_clz_i32_u32_e32 v6, v5
	v_cmp_ne_u32_e32 vcc_lo, 0, v5
	v_add_nc_u32_e32 v8, 0x1000000, v5
	s_delay_alu instid0(VALU_DEP_3) | instskip(NEXT) | instid1(VALU_DEP_1)
	v_min_u32_e32 v6, 32, v6
	v_sub_nc_u32_e64 v6, v6, 4 clamp
	s_delay_alu instid0(VALU_DEP_1) | instskip(NEXT) | instid1(VALU_DEP_1)
	v_dual_lshlrev_b32 v7, v6, v5 :: v_dual_lshlrev_b32 v6, 23, v6
	v_lshrrev_b32_e32 v7, 4, v7
	s_delay_alu instid0(VALU_DEP_1) | instskip(NEXT) | instid1(VALU_DEP_1)
	v_dual_sub_nc_u32 v6, v7, v6 :: v_dual_ashrrev_i32 v7, 8, v8
	v_add_nc_u32_e32 v6, 0x3c000000, v6
	s_delay_alu instid0(VALU_DEP_1) | instskip(NEXT) | instid1(VALU_DEP_1)
	v_and_or_b32 v6, 0x7f800000, v7, v6
	v_cndmask_b32_e32 v5, 0, v6, vcc_lo
	s_delay_alu instid0(VALU_DEP_1) | instskip(SKIP_1) | instid1(VALU_DEP_2)
	v_and_or_b32 v4, 0x80000000, v4, v5
	v_bfe_u32 v5, v5, 16, 1
	v_cmp_o_f32_e32 vcc_lo, v4, v4
	s_delay_alu instid0(VALU_DEP_2) | instskip(NEXT) | instid1(VALU_DEP_1)
	v_add3_u32 v5, v4, v5, 0x7fff
	v_lshrrev_b32_e32 v5, 16, v5
	s_delay_alu instid0(VALU_DEP_1)
	v_cndmask_b32_e32 v5, 0x7fc0, v5, vcc_lo
.LBB199_1408:
	s_mov_b32 s8, 0
.LBB199_1409:
	s_delay_alu instid0(SALU_CYCLE_1)
	s_and_not1_b32 vcc_lo, exec_lo, s8
	s_cbranch_vccnz .LBB199_1411
; %bb.1410:
	global_load_u8 v4, v[0:1], off
	s_wait_loadcnt 0x0
	v_lshlrev_b32_e32 v5, 25, v4
	v_lshlrev_b16 v4, 8, v4
	s_delay_alu instid0(VALU_DEP_1) | instskip(SKIP_1) | instid1(VALU_DEP_2)
	v_and_or_b32 v7, 0x7f00, v4, 0.5
	v_bfe_i32 v4, v4, 0, 16
	v_dual_add_f32 v7, -0.5, v7 :: v_dual_lshrrev_b32 v6, 4, v5
	v_cmp_gt_u32_e32 vcc_lo, 0x8000000, v5
	s_delay_alu instid0(VALU_DEP_2) | instskip(NEXT) | instid1(VALU_DEP_1)
	v_or_b32_e32 v6, 0x70000000, v6
	v_mul_f32_e32 v6, 0x7800000, v6
	s_delay_alu instid0(VALU_DEP_1) | instskip(NEXT) | instid1(VALU_DEP_1)
	v_cndmask_b32_e32 v5, v6, v7, vcc_lo
	v_and_or_b32 v4, 0x80000000, v4, v5
	v_bfe_u32 v5, v5, 16, 1
	s_delay_alu instid0(VALU_DEP_2) | instskip(NEXT) | instid1(VALU_DEP_2)
	v_cmp_o_f32_e32 vcc_lo, v4, v4
	v_add3_u32 v5, v4, v5, 0x7fff
	s_delay_alu instid0(VALU_DEP_1) | instskip(NEXT) | instid1(VALU_DEP_1)
	v_lshrrev_b32_e32 v5, 16, v5
	v_cndmask_b32_e32 v5, 0x7fc0, v5, vcc_lo
.LBB199_1411:
	s_mov_b32 s8, 0
	s_mov_b32 s9, -1
.LBB199_1412:
	s_and_not1_b32 vcc_lo, exec_lo, s8
	s_mov_b32 s8, 0
	s_cbranch_vccnz .LBB199_1423
; %bb.1413:
	s_cmp_gt_i32 s6, 14
	s_cbranch_scc0 .LBB199_1416
; %bb.1414:
	s_cmp_eq_u32 s6, 15
	s_cbranch_scc0 .LBB199_1419
; %bb.1415:
	s_wait_loadcnt 0x0
	global_load_u16 v5, v[0:1], off
	s_mov_b32 s7, 0
	s_mov_b32 s9, -1
	s_branch .LBB199_1421
.LBB199_1416:
	s_mov_b32 s8, -1
	s_branch .LBB199_1420
.LBB199_1417:
	s_or_saveexec_b32 s9, s9
	v_mov_b32_e32 v5, 0x7f800001
	s_xor_b32 exec_lo, exec_lo, s9
	s_cbranch_execz .LBB199_1398
.LBB199_1418:
	v_cmp_ne_u16_e32 vcc_lo, 0, v4
	v_mov_b32_e32 v5, 0
	s_and_not1_b32 s8, s8, exec_lo
	s_and_b32 s12, vcc_lo, exec_lo
	s_delay_alu instid0(SALU_CYCLE_1)
	s_or_b32 s8, s8, s12
	s_or_b32 exec_lo, exec_lo, s9
	s_and_saveexec_b32 s9, s8
	s_cbranch_execnz .LBB199_1399
	s_branch .LBB199_1400
.LBB199_1419:
	s_mov_b32 s7, -1
.LBB199_1420:
                                        ; implicit-def: $vgpr5
.LBB199_1421:
	s_and_b32 vcc_lo, exec_lo, s8
	s_mov_b32 s8, 0
	s_cbranch_vccz .LBB199_1423
; %bb.1422:
	s_cmp_lg_u32 s6, 11
	s_mov_b32 s8, -1
	s_cselect_b32 s6, -1, 0
	s_and_not1_b32 s7, s7, exec_lo
	s_and_b32 s6, s6, exec_lo
	s_delay_alu instid0(SALU_CYCLE_1)
	s_or_b32 s7, s7, s6
.LBB199_1423:
	s_mov_b32 s6, 0
.LBB199_1424:
	s_and_b32 s12, s9, exec_lo
	s_and_not1_b32 s9, s41, exec_lo
	s_and_b32 s13, s7, exec_lo
	s_and_b32 s6, s6, exec_lo
	;; [unrolled: 1-line block ×3, first 2 shown]
	s_or_b32 s41, s9, s13
	s_wait_xcnt 0x0
	s_or_b32 exec_lo, exec_lo, s3
	s_and_saveexec_b32 s3, s41
	s_cbranch_execz .LBB199_1353
.LBB199_1425:
	s_or_b32 s1, s1, exec_lo
	s_and_not1_b32 s7, s7, exec_lo
	s_trap 2
	s_or_b32 exec_lo, exec_lo, s3
	s_and_saveexec_b32 s3, s7
	s_delay_alu instid0(SALU_CYCLE_1)
	s_xor_b32 s3, exec_lo, s3
	s_cbranch_execnz .LBB199_1354
.LBB199_1426:
	s_or_b32 exec_lo, exec_lo, s3
	s_and_saveexec_b32 s3, s6
	s_cbranch_execz .LBB199_1472
.LBB199_1427:
	s_sext_i32_i16 s6, s2
	s_delay_alu instid0(SALU_CYCLE_1)
	s_cmp_lt_i32 s6, 5
	s_cbranch_scc1 .LBB199_1432
; %bb.1428:
	s_cmp_lt_i32 s6, 8
	s_cbranch_scc1 .LBB199_1433
; %bb.1429:
	;; [unrolled: 3-line block ×3, first 2 shown]
	s_cmp_gt_i32 s6, 9
	s_cbranch_scc0 .LBB199_1435
; %bb.1431:
	s_wait_loadcnt 0x0
	global_load_b64 v[4:5], v[0:1], off
	s_mov_b32 s6, 0
	s_wait_loadcnt 0x0
	v_cvt_f32_f64_e32 v4, v[4:5]
	s_delay_alu instid0(VALU_DEP_1) | instskip(SKIP_1) | instid1(VALU_DEP_2)
	v_bfe_u32 v5, v4, 16, 1
	v_cmp_o_f32_e32 vcc_lo, v4, v4
	v_add3_u32 v5, v4, v5, 0x7fff
	s_delay_alu instid0(VALU_DEP_1) | instskip(NEXT) | instid1(VALU_DEP_1)
	v_lshrrev_b32_e32 v5, 16, v5
	v_cndmask_b32_e32 v5, 0x7fc0, v5, vcc_lo
	s_branch .LBB199_1436
.LBB199_1432:
                                        ; implicit-def: $vgpr5
	s_branch .LBB199_1453
.LBB199_1433:
                                        ; implicit-def: $vgpr5
	s_branch .LBB199_1442
.LBB199_1434:
	s_mov_b32 s6, -1
                                        ; implicit-def: $vgpr5
	s_branch .LBB199_1439
.LBB199_1435:
	s_mov_b32 s6, -1
                                        ; implicit-def: $vgpr5
.LBB199_1436:
	s_delay_alu instid0(SALU_CYCLE_1)
	s_and_not1_b32 vcc_lo, exec_lo, s6
	s_cbranch_vccnz .LBB199_1438
; %bb.1437:
	s_wait_loadcnt 0x0
	global_load_b32 v4, v[0:1], off
	s_wait_loadcnt 0x0
	v_bfe_u32 v5, v4, 16, 1
	v_cmp_o_f32_e32 vcc_lo, v4, v4
	s_delay_alu instid0(VALU_DEP_2) | instskip(NEXT) | instid1(VALU_DEP_1)
	v_add3_u32 v5, v4, v5, 0x7fff
	v_lshrrev_b32_e32 v5, 16, v5
	s_delay_alu instid0(VALU_DEP_1)
	v_cndmask_b32_e32 v5, 0x7fc0, v5, vcc_lo
.LBB199_1438:
	s_mov_b32 s6, 0
.LBB199_1439:
	s_delay_alu instid0(SALU_CYCLE_1)
	s_and_not1_b32 vcc_lo, exec_lo, s6
	s_cbranch_vccnz .LBB199_1441
; %bb.1440:
	s_wait_loadcnt 0x0
	global_load_b32 v4, v[0:1], off
	s_wait_loadcnt 0x0
	v_cvt_f32_f16_e32 v5, v4
	v_cmp_o_f16_e32 vcc_lo, v4, v4
	s_delay_alu instid0(VALU_DEP_2) | instskip(NEXT) | instid1(VALU_DEP_1)
	v_bfe_u32 v6, v5, 16, 1
	v_add3_u32 v5, v5, v6, 0x7fff
	s_delay_alu instid0(VALU_DEP_1) | instskip(NEXT) | instid1(VALU_DEP_1)
	v_lshrrev_b32_e32 v5, 16, v5
	v_cndmask_b32_e32 v5, 0x7fc0, v5, vcc_lo
.LBB199_1441:
	s_cbranch_execnz .LBB199_1452
.LBB199_1442:
	s_sext_i32_i16 s6, s2
	s_delay_alu instid0(SALU_CYCLE_1)
	s_cmp_lt_i32 s6, 6
	s_cbranch_scc1 .LBB199_1445
; %bb.1443:
	s_cmp_gt_i32 s6, 6
	s_cbranch_scc0 .LBB199_1446
; %bb.1444:
	s_wait_loadcnt 0x0
	global_load_b64 v[4:5], v[0:1], off
	s_mov_b32 s6, 0
	s_wait_loadcnt 0x0
	v_cvt_f32_f64_e32 v4, v[4:5]
	s_delay_alu instid0(VALU_DEP_1) | instskip(SKIP_1) | instid1(VALU_DEP_2)
	v_bfe_u32 v5, v4, 16, 1
	v_cmp_o_f32_e32 vcc_lo, v4, v4
	v_add3_u32 v5, v4, v5, 0x7fff
	s_delay_alu instid0(VALU_DEP_1) | instskip(NEXT) | instid1(VALU_DEP_1)
	v_lshrrev_b32_e32 v5, 16, v5
	v_cndmask_b32_e32 v5, 0x7fc0, v5, vcc_lo
	s_branch .LBB199_1447
.LBB199_1445:
	s_mov_b32 s6, -1
                                        ; implicit-def: $vgpr5
	s_branch .LBB199_1450
.LBB199_1446:
	s_mov_b32 s6, -1
                                        ; implicit-def: $vgpr5
.LBB199_1447:
	s_delay_alu instid0(SALU_CYCLE_1)
	s_and_not1_b32 vcc_lo, exec_lo, s6
	s_cbranch_vccnz .LBB199_1449
; %bb.1448:
	s_wait_loadcnt 0x0
	global_load_b32 v4, v[0:1], off
	s_wait_loadcnt 0x0
	v_bfe_u32 v5, v4, 16, 1
	v_cmp_o_f32_e32 vcc_lo, v4, v4
	s_delay_alu instid0(VALU_DEP_2) | instskip(NEXT) | instid1(VALU_DEP_1)
	v_add3_u32 v5, v4, v5, 0x7fff
	v_lshrrev_b32_e32 v5, 16, v5
	s_delay_alu instid0(VALU_DEP_1)
	v_cndmask_b32_e32 v5, 0x7fc0, v5, vcc_lo
.LBB199_1449:
	s_mov_b32 s6, 0
.LBB199_1450:
	s_delay_alu instid0(SALU_CYCLE_1)
	s_and_not1_b32 vcc_lo, exec_lo, s6
	s_cbranch_vccnz .LBB199_1452
; %bb.1451:
	s_wait_loadcnt 0x0
	global_load_u16 v4, v[0:1], off
	s_wait_loadcnt 0x0
	v_cvt_f32_f16_e32 v5, v4
	v_cmp_o_f16_e32 vcc_lo, v4, v4
	s_delay_alu instid0(VALU_DEP_2) | instskip(NEXT) | instid1(VALU_DEP_1)
	v_bfe_u32 v6, v5, 16, 1
	v_add3_u32 v5, v5, v6, 0x7fff
	s_delay_alu instid0(VALU_DEP_1) | instskip(NEXT) | instid1(VALU_DEP_1)
	v_lshrrev_b32_e32 v5, 16, v5
	v_cndmask_b32_e32 v5, 0x7fc0, v5, vcc_lo
.LBB199_1452:
	s_cbranch_execnz .LBB199_1471
.LBB199_1453:
	s_sext_i32_i16 s6, s2
	s_delay_alu instid0(SALU_CYCLE_1)
	s_cmp_lt_i32 s6, 2
	s_cbranch_scc1 .LBB199_1457
; %bb.1454:
	s_cmp_lt_i32 s6, 3
	s_cbranch_scc1 .LBB199_1458
; %bb.1455:
	s_cmp_gt_i32 s6, 3
	s_cbranch_scc0 .LBB199_1459
; %bb.1456:
	s_wait_loadcnt 0x0
	global_load_b64 v[4:5], v[0:1], off
	s_mov_b32 s6, 0
	s_wait_loadcnt 0x0
	v_xor_b32_e32 v6, v4, v5
	v_cls_i32_e32 v7, v5
	s_delay_alu instid0(VALU_DEP_2) | instskip(NEXT) | instid1(VALU_DEP_1)
	v_ashrrev_i32_e32 v6, 31, v6
	v_add_nc_u32_e32 v6, 32, v6
	s_delay_alu instid0(VALU_DEP_1) | instskip(NEXT) | instid1(VALU_DEP_1)
	v_add_min_u32_e64 v6, v7, -1, v6
	v_lshlrev_b64_e32 v[4:5], v6, v[4:5]
	s_delay_alu instid0(VALU_DEP_1) | instskip(NEXT) | instid1(VALU_DEP_1)
	v_min_u32_e32 v4, 1, v4
	v_dual_sub_nc_u32 v5, 32, v6 :: v_dual_bitop2_b32 v4, v5, v4 bitop3:0x54
	s_delay_alu instid0(VALU_DEP_1) | instskip(NEXT) | instid1(VALU_DEP_1)
	v_cvt_f32_i32_e32 v4, v4
	v_ldexp_f32 v4, v4, v5
	s_delay_alu instid0(VALU_DEP_1) | instskip(NEXT) | instid1(VALU_DEP_1)
	v_bfe_u32 v5, v4, 16, 1
	v_add3_u32 v4, v4, v5, 0x7fff
	s_delay_alu instid0(VALU_DEP_1)
	v_lshrrev_b32_e32 v5, 16, v4
	s_branch .LBB199_1460
.LBB199_1457:
                                        ; implicit-def: $vgpr5
	s_branch .LBB199_1466
.LBB199_1458:
	s_mov_b32 s6, -1
                                        ; implicit-def: $vgpr5
	s_branch .LBB199_1463
.LBB199_1459:
	s_mov_b32 s6, -1
                                        ; implicit-def: $vgpr5
.LBB199_1460:
	s_delay_alu instid0(SALU_CYCLE_1)
	s_and_not1_b32 vcc_lo, exec_lo, s6
	s_cbranch_vccnz .LBB199_1462
; %bb.1461:
	s_wait_loadcnt 0x0
	global_load_b32 v4, v[0:1], off
	s_wait_loadcnt 0x0
	v_cvt_f32_i32_e32 v4, v4
	s_delay_alu instid0(VALU_DEP_1) | instskip(NEXT) | instid1(VALU_DEP_1)
	v_bfe_u32 v5, v4, 16, 1
	v_add3_u32 v4, v4, v5, 0x7fff
	s_delay_alu instid0(VALU_DEP_1)
	v_lshrrev_b32_e32 v5, 16, v4
.LBB199_1462:
	s_mov_b32 s6, 0
.LBB199_1463:
	s_delay_alu instid0(SALU_CYCLE_1)
	s_and_not1_b32 vcc_lo, exec_lo, s6
	s_cbranch_vccnz .LBB199_1465
; %bb.1464:
	s_wait_loadcnt 0x0
	global_load_i16 v4, v[0:1], off
	s_wait_loadcnt 0x0
	v_cvt_f32_i32_e32 v4, v4
	s_delay_alu instid0(VALU_DEP_1) | instskip(NEXT) | instid1(VALU_DEP_1)
	v_bfe_u32 v5, v4, 16, 1
	v_add3_u32 v4, v4, v5, 0x7fff
	s_delay_alu instid0(VALU_DEP_1)
	v_lshrrev_b32_e32 v5, 16, v4
.LBB199_1465:
	s_cbranch_execnz .LBB199_1471
.LBB199_1466:
	s_sext_i32_i16 s2, s2
	s_delay_alu instid0(SALU_CYCLE_1)
	s_cmp_gt_i32 s2, 0
	s_mov_b32 s2, 0
	s_cbranch_scc0 .LBB199_1468
; %bb.1467:
	s_wait_loadcnt 0x0
	global_load_i8 v4, v[0:1], off
	s_wait_loadcnt 0x0
	v_cvt_f32_i32_e32 v4, v4
	s_delay_alu instid0(VALU_DEP_1) | instskip(NEXT) | instid1(VALU_DEP_1)
	v_bfe_u32 v5, v4, 16, 1
	v_add3_u32 v4, v4, v5, 0x7fff
	s_delay_alu instid0(VALU_DEP_1)
	v_lshrrev_b32_e32 v5, 16, v4
	s_branch .LBB199_1469
.LBB199_1468:
	s_mov_b32 s2, -1
                                        ; implicit-def: $vgpr5
.LBB199_1469:
	s_delay_alu instid0(SALU_CYCLE_1)
	s_and_not1_b32 vcc_lo, exec_lo, s2
	s_cbranch_vccnz .LBB199_1471
; %bb.1470:
	s_wait_loadcnt 0x0
	global_load_u8 v0, v[0:1], off
	s_wait_loadcnt 0x0
	v_cvt_f32_ubyte0_e32 v0, v0
	s_delay_alu instid0(VALU_DEP_1) | instskip(NEXT) | instid1(VALU_DEP_1)
	v_bfe_u32 v1, v0, 16, 1
	v_add3_u32 v0, v0, v1, 0x7fff
	s_delay_alu instid0(VALU_DEP_1)
	v_lshrrev_b32_e32 v5, 16, v0
.LBB199_1471:
	s_or_b32 s12, s12, exec_lo
.LBB199_1472:
	s_wait_xcnt 0x0
	s_or_b32 exec_lo, exec_lo, s3
	s_mov_b32 s8, 0
	s_mov_b32 s7, 0
                                        ; implicit-def: $sgpr2
                                        ; implicit-def: $sgpr3
                                        ; implicit-def: $vgpr0_vgpr1
	s_and_saveexec_b32 s6, s12
	s_cbranch_execz .LBB199_1480
; %bb.1473:
	s_wait_loadcnt 0x0
	v_dual_lshlrev_b32 v0, 16, v5 :: v_dual_lshlrev_b32 v1, 16, v3
	s_and_b32 s3, s11, 0xff
	s_delay_alu instid0(SALU_CYCLE_1) | instskip(NEXT) | instid1(VALU_DEP_1)
	s_cmp_lt_i32 s3, 11
	v_cmp_eq_f32_e32 vcc_lo, v1, v0
	v_cndmask_b32_e64 v3, 0, 1, vcc_lo
	v_cmp_neq_f32_e32 vcc_lo, v1, v0
	v_cndmask_b32_e64 v0, 0, 1, vcc_lo
	s_delay_alu instid0(VALU_DEP_1) | instskip(NEXT) | instid1(VALU_DEP_1)
	v_dual_cndmask_b32 v0, v0, v3, s0 :: v_dual_mov_b32 v3, 0
	v_and_b32_e32 v4, 1, v0
	s_delay_alu instid0(VALU_DEP_2) | instskip(NEXT) | instid1(VALU_DEP_2)
	v_add_nc_u64_e32 v[0:1], s[4:5], v[2:3]
	v_cmp_eq_u32_e64 s2, 1, v4
	s_cbranch_scc1 .LBB199_1483
; %bb.1474:
	s_and_b32 s4, 0xffff, s3
	s_mov_b32 s5, -1
	s_cmp_gt_i32 s4, 25
	s_mov_b32 s0, s10
	s_cbranch_scc0 .LBB199_1511
; %bb.1475:
	s_cmp_gt_i32 s4, 28
	s_mov_b32 s0, s10
	s_cbranch_scc0 .LBB199_1495
; %bb.1476:
	;; [unrolled: 4-line block ×4, first 2 shown]
	s_cmp_eq_u32 s4, 46
	s_mov_b32 s0, -1
	s_cbranch_scc0 .LBB199_1484
; %bb.1479:
	v_cndmask_b32_e64 v2, 0, 1.0, s2
	s_mov_b32 s0, 0
	s_mov_b32 s5, 0
	s_delay_alu instid0(VALU_DEP_1) | instskip(NEXT) | instid1(VALU_DEP_1)
	v_bfe_u32 v3, v2, 16, 1
	v_add3_u32 v2, v2, v3, 0x7fff
	s_delay_alu instid0(VALU_DEP_1)
	v_lshrrev_b32_e32 v2, 16, v2
	global_store_b32 v[0:1], v2, off
	s_branch .LBB199_1485
.LBB199_1480:
	s_or_b32 exec_lo, exec_lo, s6
	s_and_saveexec_b32 s0, s10
	s_cbranch_execnz .LBB199_1553
.LBB199_1481:
	s_or_b32 exec_lo, exec_lo, s0
	s_and_saveexec_b32 s0, s8
	s_delay_alu instid0(SALU_CYCLE_1)
	s_xor_b32 s0, exec_lo, s0
	s_cbranch_execz .LBB199_1554
.LBB199_1482:
	v_cndmask_b32_e64 v2, 0, 1, s2
	s_wait_loadcnt 0x0
	global_store_b8 v[0:1], v2, off
	s_wait_xcnt 0x0
	s_or_b32 exec_lo, exec_lo, s0
	s_and_saveexec_b32 s0, s7
	s_delay_alu instid0(SALU_CYCLE_1)
	s_xor_b32 s0, exec_lo, s0
	s_cbranch_execz .LBB199_1592
	s_branch .LBB199_1555
.LBB199_1483:
	s_mov_b32 s5, -1
	s_mov_b32 s0, s10
	s_branch .LBB199_1552
.LBB199_1484:
	s_mov_b32 s5, 0
.LBB199_1485:
	s_delay_alu instid0(SALU_CYCLE_1)
	s_and_b32 vcc_lo, exec_lo, s5
	s_cbranch_vccz .LBB199_1490
; %bb.1486:
	s_cmp_eq_u32 s4, 44
	s_mov_b32 s0, -1
	s_cbranch_scc0 .LBB199_1490
; %bb.1487:
	v_cndmask_b32_e64 v4, 0, 1.0, s2
	s_mov_b32 s5, exec_lo
	s_wait_xcnt 0x0
	s_delay_alu instid0(VALU_DEP_1) | instskip(NEXT) | instid1(VALU_DEP_1)
	v_dual_mov_b32 v3, 0xff :: v_dual_lshrrev_b32 v2, 23, v4
	v_cmpx_ne_u32_e32 0xff, v2
; %bb.1488:
	v_and_b32_e32 v3, 0x400000, v4
	v_and_or_b32 v4, 0x3fffff, v4, v2
	s_delay_alu instid0(VALU_DEP_2) | instskip(NEXT) | instid1(VALU_DEP_2)
	v_cmp_ne_u32_e32 vcc_lo, 0, v3
	v_cmp_ne_u32_e64 s0, 0, v4
	s_and_b32 s0, vcc_lo, s0
	s_delay_alu instid0(SALU_CYCLE_1) | instskip(NEXT) | instid1(VALU_DEP_1)
	v_cndmask_b32_e64 v3, 0, 1, s0
	v_add_nc_u32_e32 v3, v2, v3
; %bb.1489:
	s_or_b32 exec_lo, exec_lo, s5
	s_mov_b32 s0, 0
	global_store_b8 v[0:1], v3, off
.LBB199_1490:
	s_mov_b32 s5, 0
.LBB199_1491:
	s_delay_alu instid0(SALU_CYCLE_1)
	s_and_b32 vcc_lo, exec_lo, s5
	s_cbranch_vccz .LBB199_1494
; %bb.1492:
	s_cmp_eq_u32 s4, 29
	s_mov_b32 s0, -1
	s_cbranch_scc0 .LBB199_1494
; %bb.1493:
	s_mov_b32 s0, 0
	s_wait_xcnt 0x0
	v_cndmask_b32_e64 v2, 0, 1, s2
	v_mov_b32_e32 v3, s0
	s_mov_b32 s5, 0
	global_store_b64 v[0:1], v[2:3], off
	s_branch .LBB199_1495
.LBB199_1494:
	s_mov_b32 s5, 0
.LBB199_1495:
	s_delay_alu instid0(SALU_CYCLE_1)
	s_and_b32 vcc_lo, exec_lo, s5
	s_cbranch_vccz .LBB199_1510
; %bb.1496:
	s_cmp_lt_i32 s4, 27
	s_mov_b32 s5, -1
	s_cbranch_scc1 .LBB199_1502
; %bb.1497:
	s_cmp_gt_i32 s4, 27
	s_cbranch_scc0 .LBB199_1499
; %bb.1498:
	s_wait_xcnt 0x0
	v_cndmask_b32_e64 v2, 0, 1, s2
	s_mov_b32 s5, 0
	global_store_b32 v[0:1], v2, off
.LBB199_1499:
	s_and_not1_b32 vcc_lo, exec_lo, s5
	s_cbranch_vccnz .LBB199_1501
; %bb.1500:
	s_wait_xcnt 0x0
	v_cndmask_b32_e64 v2, 0, 1, s2
	global_store_b16 v[0:1], v2, off
.LBB199_1501:
	s_mov_b32 s5, 0
.LBB199_1502:
	s_delay_alu instid0(SALU_CYCLE_1)
	s_and_not1_b32 vcc_lo, exec_lo, s5
	s_cbranch_vccnz .LBB199_1510
; %bb.1503:
	s_wait_xcnt 0x0
	v_cndmask_b32_e64 v3, 0, 1.0, s2
	v_mov_b32_e32 v4, 0x80
	s_mov_b32 s5, exec_lo
	s_delay_alu instid0(VALU_DEP_2)
	v_cmpx_gt_u32_e32 0x43800000, v3
	s_cbranch_execz .LBB199_1509
; %bb.1504:
	s_mov_b32 s8, exec_lo
                                        ; implicit-def: $vgpr2
	v_cmpx_lt_u32_e32 0x3bffffff, v3
	s_xor_b32 s8, exec_lo, s8
	s_cbranch_execz .LBB199_1651
; %bb.1505:
	v_bfe_u32 v2, v3, 20, 1
	s_mov_b32 s7, exec_lo
	s_delay_alu instid0(VALU_DEP_1) | instskip(NEXT) | instid1(VALU_DEP_1)
	v_add3_u32 v2, v3, v2, 0x487ffff
                                        ; implicit-def: $vgpr3
	v_lshrrev_b32_e32 v2, 20, v2
	s_and_not1_saveexec_b32 s8, s8
	s_cbranch_execnz .LBB199_1652
.LBB199_1506:
	s_or_b32 exec_lo, exec_lo, s8
	v_mov_b32_e32 v4, 0
	s_and_saveexec_b32 s8, s7
.LBB199_1507:
	v_mov_b32_e32 v4, v2
.LBB199_1508:
	s_or_b32 exec_lo, exec_lo, s8
.LBB199_1509:
	s_delay_alu instid0(SALU_CYCLE_1)
	s_or_b32 exec_lo, exec_lo, s5
	global_store_b8 v[0:1], v4, off
.LBB199_1510:
	s_mov_b32 s5, 0
.LBB199_1511:
	s_delay_alu instid0(SALU_CYCLE_1)
	s_and_b32 vcc_lo, exec_lo, s5
	s_mov_b32 s5, 0
	s_cbranch_vccz .LBB199_1551
; %bb.1512:
	s_cmp_gt_i32 s4, 22
	s_mov_b32 s7, -1
	s_cbranch_scc0 .LBB199_1544
; %bb.1513:
	s_cmp_lt_i32 s4, 24
	s_cbranch_scc1 .LBB199_1533
; %bb.1514:
	s_cmp_gt_i32 s4, 24
	s_cbranch_scc0 .LBB199_1522
; %bb.1515:
	s_wait_xcnt 0x0
	v_cndmask_b32_e64 v3, 0, 1.0, s2
	v_mov_b32_e32 v4, 0x80
	s_mov_b32 s7, exec_lo
	s_delay_alu instid0(VALU_DEP_2)
	v_cmpx_gt_u32_e32 0x47800000, v3
	s_cbranch_execz .LBB199_1521
; %bb.1516:
	s_mov_b32 s8, 0
	s_mov_b32 s9, exec_lo
                                        ; implicit-def: $vgpr2
	v_cmpx_lt_u32_e32 0x37ffffff, v3
	s_xor_b32 s9, exec_lo, s9
	s_cbranch_execz .LBB199_1777
; %bb.1517:
	v_bfe_u32 v2, v3, 21, 1
	s_mov_b32 s8, exec_lo
	s_delay_alu instid0(VALU_DEP_1) | instskip(NEXT) | instid1(VALU_DEP_1)
	v_add3_u32 v2, v3, v2, 0x88fffff
                                        ; implicit-def: $vgpr3
	v_lshrrev_b32_e32 v2, 21, v2
	s_and_not1_saveexec_b32 s9, s9
	s_cbranch_execnz .LBB199_1778
.LBB199_1518:
	s_or_b32 exec_lo, exec_lo, s9
	v_mov_b32_e32 v4, 0
	s_and_saveexec_b32 s9, s8
.LBB199_1519:
	v_mov_b32_e32 v4, v2
.LBB199_1520:
	s_or_b32 exec_lo, exec_lo, s9
.LBB199_1521:
	s_delay_alu instid0(SALU_CYCLE_1)
	s_or_b32 exec_lo, exec_lo, s7
	s_mov_b32 s7, 0
	global_store_b8 v[0:1], v4, off
.LBB199_1522:
	s_and_b32 vcc_lo, exec_lo, s7
	s_cbranch_vccz .LBB199_1532
; %bb.1523:
	s_wait_xcnt 0x0
	v_cndmask_b32_e64 v3, 0, 1.0, s2
	s_mov_b32 s7, exec_lo
                                        ; implicit-def: $vgpr2
	s_delay_alu instid0(VALU_DEP_1)
	v_cmpx_gt_u32_e32 0x43f00000, v3
	s_xor_b32 s7, exec_lo, s7
	s_cbranch_execz .LBB199_1529
; %bb.1524:
	s_mov_b32 s8, exec_lo
                                        ; implicit-def: $vgpr2
	v_cmpx_lt_u32_e32 0x3c7fffff, v3
	s_xor_b32 s8, exec_lo, s8
; %bb.1525:
	v_bfe_u32 v2, v3, 20, 1
	s_delay_alu instid0(VALU_DEP_1) | instskip(NEXT) | instid1(VALU_DEP_1)
	v_add3_u32 v2, v3, v2, 0x407ffff
	v_and_b32_e32 v3, 0xff00000, v2
	v_lshrrev_b32_e32 v2, 20, v2
	s_delay_alu instid0(VALU_DEP_2) | instskip(NEXT) | instid1(VALU_DEP_2)
	v_cmp_ne_u32_e32 vcc_lo, 0x7f00000, v3
                                        ; implicit-def: $vgpr3
	v_cndmask_b32_e32 v2, 0x7e, v2, vcc_lo
; %bb.1526:
	s_and_not1_saveexec_b32 s8, s8
; %bb.1527:
	v_add_f32_e32 v2, 0x46800000, v3
; %bb.1528:
	s_or_b32 exec_lo, exec_lo, s8
                                        ; implicit-def: $vgpr3
.LBB199_1529:
	s_and_not1_saveexec_b32 s7, s7
; %bb.1530:
	v_mov_b32_e32 v2, 0x7f
	v_cmp_lt_u32_e32 vcc_lo, 0x7f800000, v3
	s_delay_alu instid0(VALU_DEP_2)
	v_cndmask_b32_e32 v2, 0x7e, v2, vcc_lo
; %bb.1531:
	s_or_b32 exec_lo, exec_lo, s7
	global_store_b8 v[0:1], v2, off
.LBB199_1532:
	s_mov_b32 s7, 0
.LBB199_1533:
	s_delay_alu instid0(SALU_CYCLE_1)
	s_and_not1_b32 vcc_lo, exec_lo, s7
	s_cbranch_vccnz .LBB199_1543
; %bb.1534:
	s_wait_xcnt 0x0
	v_cndmask_b32_e64 v3, 0, 1.0, s2
	s_mov_b32 s7, exec_lo
                                        ; implicit-def: $vgpr2
	s_delay_alu instid0(VALU_DEP_1)
	v_cmpx_gt_u32_e32 0x47800000, v3
	s_xor_b32 s7, exec_lo, s7
	s_cbranch_execz .LBB199_1540
; %bb.1535:
	s_mov_b32 s8, exec_lo
                                        ; implicit-def: $vgpr2
	v_cmpx_lt_u32_e32 0x387fffff, v3
	s_xor_b32 s8, exec_lo, s8
; %bb.1536:
	v_bfe_u32 v2, v3, 21, 1
	s_delay_alu instid0(VALU_DEP_1) | instskip(NEXT) | instid1(VALU_DEP_1)
	v_add3_u32 v2, v3, v2, 0x80fffff
                                        ; implicit-def: $vgpr3
	v_lshrrev_b32_e32 v2, 21, v2
; %bb.1537:
	s_and_not1_saveexec_b32 s8, s8
; %bb.1538:
	v_add_f32_e32 v2, 0x43000000, v3
; %bb.1539:
	s_or_b32 exec_lo, exec_lo, s8
                                        ; implicit-def: $vgpr3
.LBB199_1540:
	s_and_not1_saveexec_b32 s7, s7
; %bb.1541:
	v_mov_b32_e32 v2, 0x7f
	v_cmp_lt_u32_e32 vcc_lo, 0x7f800000, v3
	s_delay_alu instid0(VALU_DEP_2)
	v_cndmask_b32_e32 v2, 0x7c, v2, vcc_lo
; %bb.1542:
	s_or_b32 exec_lo, exec_lo, s7
	global_store_b8 v[0:1], v2, off
.LBB199_1543:
	s_mov_b32 s7, 0
.LBB199_1544:
	s_delay_alu instid0(SALU_CYCLE_1)
	s_and_not1_b32 vcc_lo, exec_lo, s7
	s_mov_b32 s8, 0
	s_cbranch_vccnz .LBB199_1552
; %bb.1545:
	s_cmp_gt_i32 s4, 14
	s_mov_b32 s7, -1
	s_cbranch_scc0 .LBB199_1549
; %bb.1546:
	s_cmp_eq_u32 s4, 15
	s_mov_b32 s0, -1
	s_cbranch_scc0 .LBB199_1548
; %bb.1547:
	s_wait_xcnt 0x0
	v_cndmask_b32_e64 v2, 0, 1.0, s2
	s_mov_b32 s0, 0
	s_delay_alu instid0(VALU_DEP_1) | instskip(NEXT) | instid1(VALU_DEP_1)
	v_bfe_u32 v3, v2, 16, 1
	v_add3_u32 v2, v2, v3, 0x7fff
	global_store_d16_hi_b16 v[0:1], v2, off
.LBB199_1548:
	s_mov_b32 s7, 0
.LBB199_1549:
	s_delay_alu instid0(SALU_CYCLE_1)
	s_and_b32 vcc_lo, exec_lo, s7
	s_cbranch_vccz .LBB199_1552
; %bb.1550:
	s_cmp_lg_u32 s4, 11
	s_mov_b32 s8, -1
	s_cselect_b32 s4, -1, 0
	s_and_not1_b32 s0, s0, exec_lo
	s_and_b32 s4, s4, exec_lo
	s_delay_alu instid0(SALU_CYCLE_1)
	s_or_b32 s0, s0, s4
	s_branch .LBB199_1552
.LBB199_1551:
	s_mov_b32 s8, 0
.LBB199_1552:
	s_and_not1_b32 s4, s10, exec_lo
	s_and_b32 s0, s0, exec_lo
	s_and_b32 s7, s5, exec_lo
	;; [unrolled: 1-line block ×3, first 2 shown]
	s_or_b32 s10, s4, s0
	s_wait_xcnt 0x0
	s_or_b32 exec_lo, exec_lo, s6
	s_and_saveexec_b32 s0, s10
	s_cbranch_execz .LBB199_1481
.LBB199_1553:
	s_or_b32 s1, s1, exec_lo
	s_and_not1_b32 s8, s8, exec_lo
	s_trap 2
	s_or_b32 exec_lo, exec_lo, s0
	s_and_saveexec_b32 s0, s8
	s_delay_alu instid0(SALU_CYCLE_1)
	s_xor_b32 s0, exec_lo, s0
	s_cbranch_execnz .LBB199_1482
.LBB199_1554:
	s_or_b32 exec_lo, exec_lo, s0
	s_and_saveexec_b32 s0, s7
	s_delay_alu instid0(SALU_CYCLE_1)
	s_xor_b32 s0, exec_lo, s0
	s_cbranch_execz .LBB199_1592
.LBB199_1555:
	s_sext_i32_i16 s5, s3
	s_mov_b32 s4, -1
	s_cmp_lt_i32 s5, 5
	s_cbranch_scc1 .LBB199_1576
; %bb.1556:
	s_cmp_lt_i32 s5, 8
	s_cbranch_scc1 .LBB199_1566
; %bb.1557:
	;; [unrolled: 3-line block ×3, first 2 shown]
	s_cmp_gt_i32 s5, 9
	s_cbranch_scc0 .LBB199_1560
; %bb.1559:
	v_cndmask_b32_e64 v2, 0, 1, s2
	v_mov_b32_e32 v4, 0
	s_mov_b32 s4, 0
	s_wait_loadcnt 0x0
	s_delay_alu instid0(VALU_DEP_2) | instskip(NEXT) | instid1(VALU_DEP_2)
	v_cvt_f64_u32_e32 v[2:3], v2
	v_mov_b32_e32 v5, v4
	global_store_b128 v[0:1], v[2:5], off
.LBB199_1560:
	s_and_not1_b32 vcc_lo, exec_lo, s4
	s_cbranch_vccnz .LBB199_1562
; %bb.1561:
	s_wait_xcnt 0x0
	v_cndmask_b32_e64 v2, 0, 1.0, s2
	s_wait_loadcnt 0x0
	v_mov_b32_e32 v3, 0
	global_store_b64 v[0:1], v[2:3], off
.LBB199_1562:
	s_mov_b32 s4, 0
.LBB199_1563:
	s_delay_alu instid0(SALU_CYCLE_1)
	s_and_not1_b32 vcc_lo, exec_lo, s4
	s_cbranch_vccnz .LBB199_1565
; %bb.1564:
	s_wait_xcnt 0x0
	v_cndmask_b32_e64 v2, 0, 1.0, s2
	s_delay_alu instid0(VALU_DEP_1) | instskip(NEXT) | instid1(VALU_DEP_1)
	v_cvt_f16_f32_e32 v2, v2
	v_and_b32_e32 v2, 0xffff, v2
	s_wait_loadcnt 0x0
	global_store_b32 v[0:1], v2, off
.LBB199_1565:
	s_mov_b32 s4, 0
.LBB199_1566:
	s_delay_alu instid0(SALU_CYCLE_1)
	s_and_not1_b32 vcc_lo, exec_lo, s4
	s_cbranch_vccnz .LBB199_1575
; %bb.1567:
	s_sext_i32_i16 s5, s3
	s_mov_b32 s4, -1
	s_cmp_lt_i32 s5, 6
	s_cbranch_scc1 .LBB199_1573
; %bb.1568:
	s_cmp_gt_i32 s5, 6
	s_cbranch_scc0 .LBB199_1570
; %bb.1569:
	s_wait_xcnt 0x0
	v_cndmask_b32_e64 v2, 0, 1, s2
	s_mov_b32 s4, 0
	s_wait_loadcnt 0x0
	s_delay_alu instid0(VALU_DEP_1)
	v_cvt_f64_u32_e32 v[2:3], v2
	global_store_b64 v[0:1], v[2:3], off
.LBB199_1570:
	s_and_not1_b32 vcc_lo, exec_lo, s4
	s_cbranch_vccnz .LBB199_1572
; %bb.1571:
	s_wait_xcnt 0x0
	v_cndmask_b32_e64 v2, 0, 1.0, s2
	s_wait_loadcnt 0x0
	global_store_b32 v[0:1], v2, off
.LBB199_1572:
	s_mov_b32 s4, 0
.LBB199_1573:
	s_delay_alu instid0(SALU_CYCLE_1)
	s_and_not1_b32 vcc_lo, exec_lo, s4
	s_cbranch_vccnz .LBB199_1575
; %bb.1574:
	s_wait_xcnt 0x0
	v_cndmask_b32_e64 v2, 0, 1.0, s2
	s_delay_alu instid0(VALU_DEP_1)
	v_cvt_f16_f32_e32 v2, v2
	s_wait_loadcnt 0x0
	global_store_b16 v[0:1], v2, off
.LBB199_1575:
	s_mov_b32 s4, 0
.LBB199_1576:
	s_delay_alu instid0(SALU_CYCLE_1)
	s_and_not1_b32 vcc_lo, exec_lo, s4
	s_cbranch_vccnz .LBB199_1592
; %bb.1577:
	s_sext_i32_i16 s5, s3
	s_mov_b32 s4, -1
	s_cmp_lt_i32 s5, 2
	s_cbranch_scc1 .LBB199_1587
; %bb.1578:
	s_cmp_lt_i32 s5, 3
	s_cbranch_scc1 .LBB199_1584
; %bb.1579:
	s_cmp_gt_i32 s5, 3
	s_cbranch_scc0 .LBB199_1581
; %bb.1580:
	s_mov_b32 s4, 0
	s_wait_xcnt 0x0
	v_cndmask_b32_e64 v2, 0, 1, s2
	s_wait_loadcnt 0x0
	v_mov_b32_e32 v3, s4
	global_store_b64 v[0:1], v[2:3], off
.LBB199_1581:
	s_and_not1_b32 vcc_lo, exec_lo, s4
	s_cbranch_vccnz .LBB199_1583
; %bb.1582:
	s_wait_xcnt 0x0
	v_cndmask_b32_e64 v2, 0, 1, s2
	s_wait_loadcnt 0x0
	global_store_b32 v[0:1], v2, off
.LBB199_1583:
	s_mov_b32 s4, 0
.LBB199_1584:
	s_delay_alu instid0(SALU_CYCLE_1)
	s_and_not1_b32 vcc_lo, exec_lo, s4
	s_cbranch_vccnz .LBB199_1586
; %bb.1585:
	s_wait_xcnt 0x0
	v_cndmask_b32_e64 v2, 0, 1, s2
	s_wait_loadcnt 0x0
	global_store_b16 v[0:1], v2, off
.LBB199_1586:
	s_mov_b32 s4, 0
.LBB199_1587:
	s_delay_alu instid0(SALU_CYCLE_1)
	s_and_not1_b32 vcc_lo, exec_lo, s4
	s_cbranch_vccnz .LBB199_1592
; %bb.1588:
	s_wait_xcnt 0x0
	v_cndmask_b32_e64 v2, 0, 1, s2
	s_sext_i32_i16 s3, s3
	s_mov_b32 s2, -1
	s_cmp_gt_i32 s3, 0
	s_cbranch_scc0 .LBB199_1590
; %bb.1589:
	s_mov_b32 s2, 0
	s_wait_loadcnt 0x0
	global_store_b8 v[0:1], v2, off
.LBB199_1590:
	s_and_not1_b32 vcc_lo, exec_lo, s2
	s_cbranch_vccnz .LBB199_1592
; %bb.1591:
	s_wait_loadcnt 0x0
	global_store_b8 v[0:1], v2, off
.LBB199_1592:
	s_wait_xcnt 0x0
	s_or_b32 exec_lo, exec_lo, s0
	s_delay_alu instid0(SALU_CYCLE_1)
	s_and_b32 s3, s1, exec_lo
                                        ; implicit-def: $vgpr1
                                        ; implicit-def: $vgpr0
.LBB199_1593:
	s_or_saveexec_b32 s8, s35
	s_mov_b32 s0, 0
                                        ; implicit-def: $sgpr1
                                        ; implicit-def: $vgpr2_vgpr3
                                        ; implicit-def: $sgpr6
	s_xor_b32 exec_lo, exec_lo, s8
	s_cbranch_execz .LBB199_3114
; %bb.1594:
	s_wait_loadcnt 0x0
	v_cndmask_b32_e64 v3, 0, 1, s34
	s_and_not1_b32 vcc_lo, exec_lo, s34
	s_cbranch_vccnz .LBB199_1600
; %bb.1595:
	s_cmp_lg_u32 s30, 0
	s_mov_b32 s2, 0
	s_cbranch_scc0 .LBB199_1604
; %bb.1596:
	s_min_u32 s4, s31, 15
	v_dual_mov_b32 v6, 0 :: v_dual_mov_b32 v2, v0
	v_dual_mov_b32 v22, 0 :: v_dual_mov_b32 v20, 0
	s_add_co_i32 s5, s4, 1
	s_mov_b64 s[0:1], 0xffffffffffffffe8
	s_and_b32 s5, s5, 30
	s_add_nc_u64 s[0:1], s[20:21], s[0:1]
.LBB199_1597:                           ; =>This Inner Loop Header: Depth=1
	s_clause 0x3
	s_load_b128 s[12:15], s[0:1], 0x1c
	s_load_b64 s[6:7], s[0:1], 0x2c
	s_load_b128 s[16:19], s[0:1], 0xdc
	s_load_b64 s[10:11], s[0:1], 0xec
	s_add_co_i32 s5, s5, -2
	s_wait_xcnt 0x0
	s_add_nc_u64 s[0:1], s[0:1], 24
	s_cmp_lg_u32 s5, 0
	s_wait_kmcnt 0x0
	v_mul_hi_u32 v4, s13, v2
	s_delay_alu instid0(VALU_DEP_1) | instskip(NEXT) | instid1(VALU_DEP_1)
	v_add_nc_u32_e32 v4, v2, v4
	v_lshrrev_b32_e32 v4, s14, v4
	s_delay_alu instid0(VALU_DEP_1) | instskip(SKIP_1) | instid1(VALU_DEP_1)
	v_mul_hi_u32 v5, s6, v4
	v_mul_lo_u32 v7, v4, s12
	v_dual_add_nc_u32 v5, v4, v5 :: v_dual_sub_nc_u32 v7, v2, v7
	s_delay_alu instid0(VALU_DEP_1) | instskip(NEXT) | instid1(VALU_DEP_2)
	v_lshrrev_b32_e32 v2, s7, v5
	v_mad_u32 v6, v7, s16, v6
	v_mad_u32 v8, v7, s18, v20
	v_mad_u32 v7, v7, s17, v22
	s_delay_alu instid0(VALU_DEP_4) | instskip(NEXT) | instid1(VALU_DEP_1)
	v_mul_lo_u32 v5, v2, s15
	v_sub_nc_u32_e32 v4, v4, v5
	s_delay_alu instid0(VALU_DEP_1)
	v_mad_u32 v6, v4, s19, v6
	v_mad_u32 v20, v4, s11, v8
	;; [unrolled: 1-line block ×3, first 2 shown]
	s_cbranch_scc1 .LBB199_1597
; %bb.1598:
	s_bitcmp1_b32 s4, 0
	s_cselect_b32 s4, -1, 0
	s_delay_alu instid0(SALU_CYCLE_1)
	s_and_b32 vcc_lo, exec_lo, s4
	s_cbranch_vccnz .LBB199_1601
; %bb.1599:
	s_clause 0x1
	s_load_b96 s[4:6], s[0:1], 0x1c
	s_load_b96 s[12:14], s[0:1], 0xdc
	s_wait_kmcnt 0x0
	v_mul_hi_u32 v4, s5, v2
	s_delay_alu instid0(VALU_DEP_1) | instskip(NEXT) | instid1(VALU_DEP_1)
	v_add_nc_u32_e32 v4, v2, v4
	v_lshrrev_b32_e32 v4, s6, v4
	s_delay_alu instid0(VALU_DEP_1) | instskip(NEXT) | instid1(VALU_DEP_1)
	v_mul_lo_u32 v4, v4, s4
	v_sub_nc_u32_e32 v2, v2, v4
	s_delay_alu instid0(VALU_DEP_1)
	v_mad_u32 v6, v2, s12, v6
	v_mad_u32 v22, v2, s13, v22
	;; [unrolled: 1-line block ×3, first 2 shown]
	s_and_not1_b32 vcc_lo, exec_lo, s2
	s_cbranch_vccz .LBB199_1602
	s_branch .LBB199_1605
.LBB199_1600:
	s_mov_b32 s2, -1
                                        ; implicit-def: $vgpr20
                                        ; implicit-def: $vgpr22
                                        ; implicit-def: $vgpr6
.LBB199_1601:
	s_delay_alu instid0(SALU_CYCLE_1)
	s_and_not1_b32 vcc_lo, exec_lo, s2
	s_cbranch_vccnz .LBB199_1605
.LBB199_1602:
	s_clause 0x1
	s_load_b96 s[0:2], s[20:21], 0x4
	s_load_b96 s[4:6], s[20:21], 0xc4
	s_cmp_lt_u32 s30, 2
	s_wait_kmcnt 0x0
	v_mul_hi_u32 v2, s1, v0
	s_delay_alu instid0(VALU_DEP_1) | instskip(NEXT) | instid1(VALU_DEP_1)
	v_add_nc_u32_e32 v2, v0, v2
	v_lshrrev_b32_e32 v2, s2, v2
	s_delay_alu instid0(VALU_DEP_1) | instskip(NEXT) | instid1(VALU_DEP_1)
	v_mul_lo_u32 v4, v2, s0
	v_sub_nc_u32_e32 v4, v0, v4
	s_delay_alu instid0(VALU_DEP_1)
	v_mul_lo_u32 v6, v4, s4
	v_mul_lo_u32 v20, v4, s6
	;; [unrolled: 1-line block ×3, first 2 shown]
	s_cbranch_scc1 .LBB199_1605
; %bb.1603:
	s_clause 0x1
	s_load_b96 s[0:2], s[20:21], 0x10
	s_load_b96 s[4:6], s[20:21], 0xd0
	s_wait_kmcnt 0x0
	v_mul_hi_u32 v4, s1, v2
	s_delay_alu instid0(VALU_DEP_1) | instskip(NEXT) | instid1(VALU_DEP_1)
	v_add_nc_u32_e32 v4, v2, v4
	v_lshrrev_b32_e32 v4, s2, v4
	s_delay_alu instid0(VALU_DEP_1) | instskip(NEXT) | instid1(VALU_DEP_1)
	v_mul_lo_u32 v4, v4, s0
	v_sub_nc_u32_e32 v2, v2, v4
	s_delay_alu instid0(VALU_DEP_1)
	v_mad_u32 v6, v2, s4, v6
	v_mad_u32 v22, v2, s5, v22
	;; [unrolled: 1-line block ×3, first 2 shown]
	s_branch .LBB199_1605
.LBB199_1604:
	v_dual_mov_b32 v20, 0 :: v_dual_mov_b32 v22, 0
	v_mov_b32_e32 v6, 0
	s_and_not1_b32 vcc_lo, exec_lo, s2
	s_cbranch_vccz .LBB199_1602
.LBB199_1605:
	v_cmp_ne_u32_e32 vcc_lo, 1, v3
	v_add_nc_u32_e32 v2, 0x80, v0
	s_cbranch_vccnz .LBB199_1611
; %bb.1606:
	s_cmp_lg_u32 s30, 0
	s_mov_b32 s2, 0
	s_cbranch_scc0 .LBB199_1615
; %bb.1607:
	s_min_u32 s4, s31, 15
	v_dual_mov_b32 v4, 0 :: v_dual_mov_b32 v5, v2
	v_dual_mov_b32 v18, 0 :: v_dual_mov_b32 v16, 0
	s_add_co_i32 s5, s4, 1
	s_mov_b64 s[0:1], 0xffffffffffffffe8
	s_and_b32 s5, s5, 30
	s_add_nc_u64 s[0:1], s[20:21], s[0:1]
.LBB199_1608:                           ; =>This Inner Loop Header: Depth=1
	s_clause 0x3
	s_load_b128 s[12:15], s[0:1], 0x1c
	s_load_b64 s[6:7], s[0:1], 0x2c
	s_load_b128 s[16:19], s[0:1], 0xdc
	s_load_b64 s[10:11], s[0:1], 0xec
	s_add_co_i32 s5, s5, -2
	s_wait_xcnt 0x0
	s_add_nc_u64 s[0:1], s[0:1], 24
	s_cmp_lg_u32 s5, 0
	s_wait_kmcnt 0x0
	v_mul_hi_u32 v7, s13, v5
	s_delay_alu instid0(VALU_DEP_1) | instskip(NEXT) | instid1(VALU_DEP_1)
	v_add_nc_u32_e32 v7, v5, v7
	v_lshrrev_b32_e32 v7, s14, v7
	s_delay_alu instid0(VALU_DEP_1) | instskip(SKIP_1) | instid1(VALU_DEP_1)
	v_mul_hi_u32 v8, s6, v7
	v_mul_lo_u32 v9, v7, s12
	v_dual_add_nc_u32 v8, v7, v8 :: v_dual_sub_nc_u32 v9, v5, v9
	s_delay_alu instid0(VALU_DEP_1) | instskip(NEXT) | instid1(VALU_DEP_2)
	v_lshrrev_b32_e32 v5, s7, v8
	v_mad_u32 v4, v9, s16, v4
	v_mad_u32 v10, v9, s18, v16
	;; [unrolled: 1-line block ×3, first 2 shown]
	s_delay_alu instid0(VALU_DEP_4) | instskip(NEXT) | instid1(VALU_DEP_1)
	v_mul_lo_u32 v8, v5, s15
	v_sub_nc_u32_e32 v7, v7, v8
	s_delay_alu instid0(VALU_DEP_1)
	v_mad_u32 v4, v7, s19, v4
	v_mad_u32 v16, v7, s11, v10
	;; [unrolled: 1-line block ×3, first 2 shown]
	s_cbranch_scc1 .LBB199_1608
; %bb.1609:
	s_bitcmp1_b32 s4, 0
	s_cselect_b32 s4, -1, 0
	s_delay_alu instid0(SALU_CYCLE_1)
	s_and_b32 vcc_lo, exec_lo, s4
	s_cbranch_vccnz .LBB199_1612
; %bb.1610:
	s_clause 0x1
	s_load_b96 s[4:6], s[0:1], 0x1c
	s_load_b96 s[12:14], s[0:1], 0xdc
	s_wait_kmcnt 0x0
	v_mul_hi_u32 v7, s5, v5
	s_delay_alu instid0(VALU_DEP_1) | instskip(NEXT) | instid1(VALU_DEP_1)
	v_add_nc_u32_e32 v7, v5, v7
	v_lshrrev_b32_e32 v7, s6, v7
	s_delay_alu instid0(VALU_DEP_1) | instskip(NEXT) | instid1(VALU_DEP_1)
	v_mul_lo_u32 v7, v7, s4
	v_sub_nc_u32_e32 v5, v5, v7
	s_delay_alu instid0(VALU_DEP_1)
	v_mad_u32 v4, v5, s12, v4
	v_mad_u32 v18, v5, s13, v18
	;; [unrolled: 1-line block ×3, first 2 shown]
	s_and_not1_b32 vcc_lo, exec_lo, s2
	s_cbranch_vccz .LBB199_1613
	s_branch .LBB199_1616
.LBB199_1611:
	s_mov_b32 s2, -1
                                        ; implicit-def: $vgpr16
                                        ; implicit-def: $vgpr18
                                        ; implicit-def: $vgpr4
.LBB199_1612:
	s_delay_alu instid0(SALU_CYCLE_1)
	s_and_not1_b32 vcc_lo, exec_lo, s2
	s_cbranch_vccnz .LBB199_1616
.LBB199_1613:
	s_clause 0x1
	s_load_b96 s[0:2], s[20:21], 0x4
	s_load_b96 s[4:6], s[20:21], 0xc4
	s_cmp_lt_u32 s30, 2
	s_wait_kmcnt 0x0
	v_mul_hi_u32 v4, s1, v2
	s_delay_alu instid0(VALU_DEP_1) | instskip(NEXT) | instid1(VALU_DEP_1)
	v_add_nc_u32_e32 v4, v2, v4
	v_lshrrev_b32_e32 v5, s2, v4
	s_delay_alu instid0(VALU_DEP_1) | instskip(NEXT) | instid1(VALU_DEP_1)
	v_mul_lo_u32 v4, v5, s0
	v_sub_nc_u32_e32 v2, v2, v4
	s_delay_alu instid0(VALU_DEP_1)
	v_mul_lo_u32 v4, v2, s4
	v_mul_lo_u32 v16, v2, s6
	;; [unrolled: 1-line block ×3, first 2 shown]
	s_cbranch_scc1 .LBB199_1616
; %bb.1614:
	s_clause 0x1
	s_load_b96 s[0:2], s[20:21], 0x10
	s_load_b96 s[4:6], s[20:21], 0xd0
	s_wait_kmcnt 0x0
	v_mul_hi_u32 v2, s1, v5
	s_delay_alu instid0(VALU_DEP_1) | instskip(NEXT) | instid1(VALU_DEP_1)
	v_add_nc_u32_e32 v2, v5, v2
	v_lshrrev_b32_e32 v2, s2, v2
	s_delay_alu instid0(VALU_DEP_1) | instskip(NEXT) | instid1(VALU_DEP_1)
	v_mul_lo_u32 v2, v2, s0
	v_sub_nc_u32_e32 v2, v5, v2
	s_delay_alu instid0(VALU_DEP_1)
	v_mad_u32 v4, v2, s4, v4
	v_mad_u32 v18, v2, s5, v18
	;; [unrolled: 1-line block ×3, first 2 shown]
	s_branch .LBB199_1616
.LBB199_1615:
	v_dual_mov_b32 v16, 0 :: v_dual_mov_b32 v18, 0
	v_mov_b32_e32 v4, 0
	s_and_not1_b32 vcc_lo, exec_lo, s2
	s_cbranch_vccz .LBB199_1613
.LBB199_1616:
	v_cmp_ne_u32_e32 vcc_lo, 1, v3
	v_add_nc_u32_e32 v0, 0x100, v0
	s_cbranch_vccnz .LBB199_1622
; %bb.1617:
	s_cmp_lg_u32 s30, 0
	s_mov_b32 s2, 0
	s_cbranch_scc0 .LBB199_1626
; %bb.1618:
	s_min_u32 s4, s31, 15
	v_dual_mov_b32 v2, 0 :: v_dual_mov_b32 v5, v0
	v_dual_mov_b32 v14, 0 :: v_dual_mov_b32 v12, 0
	s_add_co_i32 s5, s4, 1
	s_mov_b64 s[0:1], 0xffffffffffffffe8
	s_and_b32 s5, s5, 30
	s_add_nc_u64 s[0:1], s[20:21], s[0:1]
.LBB199_1619:                           ; =>This Inner Loop Header: Depth=1
	s_clause 0x3
	s_load_b128 s[12:15], s[0:1], 0x1c
	s_load_b64 s[6:7], s[0:1], 0x2c
	s_load_b128 s[16:19], s[0:1], 0xdc
	s_load_b64 s[10:11], s[0:1], 0xec
	s_add_co_i32 s5, s5, -2
	s_wait_xcnt 0x0
	s_add_nc_u64 s[0:1], s[0:1], 24
	s_cmp_lg_u32 s5, 0
	s_wait_kmcnt 0x0
	v_mul_hi_u32 v7, s13, v5
	s_delay_alu instid0(VALU_DEP_1) | instskip(NEXT) | instid1(VALU_DEP_1)
	v_add_nc_u32_e32 v7, v5, v7
	v_lshrrev_b32_e32 v7, s14, v7
	s_delay_alu instid0(VALU_DEP_1) | instskip(SKIP_1) | instid1(VALU_DEP_1)
	v_mul_hi_u32 v8, s6, v7
	v_mul_lo_u32 v9, v7, s12
	v_dual_add_nc_u32 v8, v7, v8 :: v_dual_sub_nc_u32 v9, v5, v9
	s_delay_alu instid0(VALU_DEP_1) | instskip(NEXT) | instid1(VALU_DEP_2)
	v_lshrrev_b32_e32 v5, s7, v8
	v_mad_u32 v2, v9, s16, v2
	v_mad_u32 v10, v9, s18, v12
	;; [unrolled: 1-line block ×3, first 2 shown]
	s_delay_alu instid0(VALU_DEP_4) | instskip(NEXT) | instid1(VALU_DEP_1)
	v_mul_lo_u32 v8, v5, s15
	v_sub_nc_u32_e32 v7, v7, v8
	s_delay_alu instid0(VALU_DEP_1)
	v_mad_u32 v2, v7, s19, v2
	v_mad_u32 v12, v7, s11, v10
	;; [unrolled: 1-line block ×3, first 2 shown]
	s_cbranch_scc1 .LBB199_1619
; %bb.1620:
	s_bitcmp1_b32 s4, 0
	s_cselect_b32 s4, -1, 0
	s_delay_alu instid0(SALU_CYCLE_1)
	s_and_b32 vcc_lo, exec_lo, s4
	s_cbranch_vccnz .LBB199_1623
; %bb.1621:
	s_clause 0x1
	s_load_b96 s[4:6], s[0:1], 0x1c
	s_load_b96 s[12:14], s[0:1], 0xdc
	s_wait_kmcnt 0x0
	v_mul_hi_u32 v7, s5, v5
	s_delay_alu instid0(VALU_DEP_1) | instskip(NEXT) | instid1(VALU_DEP_1)
	v_add_nc_u32_e32 v7, v5, v7
	v_lshrrev_b32_e32 v7, s6, v7
	s_delay_alu instid0(VALU_DEP_1) | instskip(NEXT) | instid1(VALU_DEP_1)
	v_mul_lo_u32 v7, v7, s4
	v_sub_nc_u32_e32 v5, v5, v7
	s_delay_alu instid0(VALU_DEP_1)
	v_mad_u32 v2, v5, s12, v2
	v_mad_u32 v14, v5, s13, v14
	;; [unrolled: 1-line block ×3, first 2 shown]
	s_and_not1_b32 vcc_lo, exec_lo, s2
	s_cbranch_vccz .LBB199_1624
	s_branch .LBB199_1627
.LBB199_1622:
	s_mov_b32 s2, -1
                                        ; implicit-def: $vgpr12
                                        ; implicit-def: $vgpr14
                                        ; implicit-def: $vgpr2
.LBB199_1623:
	s_delay_alu instid0(SALU_CYCLE_1)
	s_and_not1_b32 vcc_lo, exec_lo, s2
	s_cbranch_vccnz .LBB199_1627
.LBB199_1624:
	s_clause 0x1
	s_load_b96 s[0:2], s[20:21], 0x4
	s_load_b96 s[4:6], s[20:21], 0xc4
	s_cmp_lt_u32 s30, 2
	s_wait_kmcnt 0x0
	v_mul_hi_u32 v2, s1, v0
	s_delay_alu instid0(VALU_DEP_1) | instskip(NEXT) | instid1(VALU_DEP_1)
	v_add_nc_u32_e32 v2, v0, v2
	v_lshrrev_b32_e32 v5, s2, v2
	s_delay_alu instid0(VALU_DEP_1) | instskip(NEXT) | instid1(VALU_DEP_1)
	v_mul_lo_u32 v2, v5, s0
	v_sub_nc_u32_e32 v0, v0, v2
	s_delay_alu instid0(VALU_DEP_1)
	v_mul_lo_u32 v2, v0, s4
	v_mul_lo_u32 v12, v0, s6
	;; [unrolled: 1-line block ×3, first 2 shown]
	s_cbranch_scc1 .LBB199_1627
; %bb.1625:
	s_clause 0x1
	s_load_b96 s[0:2], s[20:21], 0x10
	s_load_b96 s[4:6], s[20:21], 0xd0
	s_wait_kmcnt 0x0
	v_mul_hi_u32 v0, s1, v5
	s_delay_alu instid0(VALU_DEP_1) | instskip(NEXT) | instid1(VALU_DEP_1)
	v_add_nc_u32_e32 v0, v5, v0
	v_lshrrev_b32_e32 v0, s2, v0
	s_delay_alu instid0(VALU_DEP_1) | instskip(NEXT) | instid1(VALU_DEP_1)
	v_mul_lo_u32 v0, v0, s0
	v_sub_nc_u32_e32 v0, v5, v0
	s_delay_alu instid0(VALU_DEP_1)
	v_mad_u32 v2, v0, s4, v2
	v_mad_u32 v14, v0, s5, v14
	;; [unrolled: 1-line block ×3, first 2 shown]
	s_branch .LBB199_1627
.LBB199_1626:
	v_dual_mov_b32 v12, 0 :: v_dual_mov_b32 v14, 0
	v_mov_b32_e32 v2, 0
	s_and_not1_b32 vcc_lo, exec_lo, s2
	s_cbranch_vccz .LBB199_1624
.LBB199_1627:
	v_cmp_ne_u32_e32 vcc_lo, 1, v3
	s_cbranch_vccnz .LBB199_1633
; %bb.1628:
	s_cmp_lg_u32 s30, 0
	s_mov_b32 s2, 0
	s_cbranch_scc0 .LBB199_1637
; %bb.1629:
	s_min_u32 s4, s31, 15
	v_dual_mov_b32 v0, 0 :: v_dual_mov_b32 v3, v1
	v_dual_mov_b32 v10, 0 :: v_dual_mov_b32 v8, 0
	s_add_co_i32 s5, s4, 1
	s_mov_b64 s[0:1], 0xffffffffffffffe8
	s_and_b32 s5, s5, 30
	s_add_nc_u64 s[0:1], s[20:21], s[0:1]
.LBB199_1630:                           ; =>This Inner Loop Header: Depth=1
	s_clause 0x3
	s_load_b128 s[12:15], s[0:1], 0x1c
	s_load_b64 s[6:7], s[0:1], 0x2c
	s_load_b128 s[16:19], s[0:1], 0xdc
	s_load_b64 s[10:11], s[0:1], 0xec
	s_add_co_i32 s5, s5, -2
	s_wait_xcnt 0x0
	s_add_nc_u64 s[0:1], s[0:1], 24
	s_cmp_lg_u32 s5, 0
	s_wait_kmcnt 0x0
	v_mul_hi_u32 v5, s13, v3
	s_delay_alu instid0(VALU_DEP_1) | instskip(NEXT) | instid1(VALU_DEP_1)
	v_add_nc_u32_e32 v5, v3, v5
	v_lshrrev_b32_e32 v5, s14, v5
	s_delay_alu instid0(VALU_DEP_1) | instskip(SKIP_1) | instid1(VALU_DEP_1)
	v_mul_hi_u32 v7, s6, v5
	v_mul_lo_u32 v9, v5, s12
	v_dual_add_nc_u32 v7, v5, v7 :: v_dual_sub_nc_u32 v9, v3, v9
	s_delay_alu instid0(VALU_DEP_1) | instskip(NEXT) | instid1(VALU_DEP_2)
	v_lshrrev_b32_e32 v3, s7, v7
	v_mad_u32 v0, v9, s16, v0
	v_mad_u32 v8, v9, s18, v8
	;; [unrolled: 1-line block ×3, first 2 shown]
	s_delay_alu instid0(VALU_DEP_4) | instskip(NEXT) | instid1(VALU_DEP_1)
	v_mul_lo_u32 v7, v3, s15
	v_sub_nc_u32_e32 v5, v5, v7
	s_delay_alu instid0(VALU_DEP_1)
	v_mad_u32 v0, v5, s19, v0
	v_mad_u32 v8, v5, s11, v8
	;; [unrolled: 1-line block ×3, first 2 shown]
	s_cbranch_scc1 .LBB199_1630
; %bb.1631:
	s_bitcmp1_b32 s4, 0
	s_cselect_b32 s4, -1, 0
	s_delay_alu instid0(SALU_CYCLE_1)
	s_and_b32 vcc_lo, exec_lo, s4
	s_cbranch_vccnz .LBB199_1634
; %bb.1632:
	s_clause 0x1
	s_load_b96 s[4:6], s[0:1], 0x1c
	s_load_b96 s[12:14], s[0:1], 0xdc
	s_wait_kmcnt 0x0
	v_mul_hi_u32 v5, s5, v3
	s_delay_alu instid0(VALU_DEP_1) | instskip(NEXT) | instid1(VALU_DEP_1)
	v_add_nc_u32_e32 v5, v3, v5
	v_lshrrev_b32_e32 v5, s6, v5
	s_delay_alu instid0(VALU_DEP_1) | instskip(NEXT) | instid1(VALU_DEP_1)
	v_mul_lo_u32 v5, v5, s4
	v_sub_nc_u32_e32 v3, v3, v5
	s_delay_alu instid0(VALU_DEP_1)
	v_mad_u32 v0, v3, s12, v0
	v_mad_u32 v10, v3, s13, v10
	;; [unrolled: 1-line block ×3, first 2 shown]
	s_and_not1_b32 vcc_lo, exec_lo, s2
	s_cbranch_vccz .LBB199_1635
	s_branch .LBB199_1638
.LBB199_1633:
	s_mov_b32 s2, -1
                                        ; implicit-def: $vgpr8
                                        ; implicit-def: $vgpr10
                                        ; implicit-def: $vgpr0
.LBB199_1634:
	s_delay_alu instid0(SALU_CYCLE_1)
	s_and_not1_b32 vcc_lo, exec_lo, s2
	s_cbranch_vccnz .LBB199_1638
.LBB199_1635:
	s_clause 0x1
	s_load_b96 s[0:2], s[20:21], 0x4
	s_load_b96 s[4:6], s[20:21], 0xc4
	s_cmp_lt_u32 s30, 2
	s_wait_kmcnt 0x0
	v_mul_hi_u32 v0, s1, v1
	s_delay_alu instid0(VALU_DEP_1) | instskip(NEXT) | instid1(VALU_DEP_1)
	v_add_nc_u32_e32 v0, v1, v0
	v_lshrrev_b32_e32 v3, s2, v0
	s_delay_alu instid0(VALU_DEP_1) | instskip(NEXT) | instid1(VALU_DEP_1)
	v_mul_lo_u32 v0, v3, s0
	v_sub_nc_u32_e32 v1, v1, v0
	s_delay_alu instid0(VALU_DEP_1)
	v_mul_lo_u32 v0, v1, s4
	v_mul_lo_u32 v8, v1, s6
	;; [unrolled: 1-line block ×3, first 2 shown]
	s_cbranch_scc1 .LBB199_1638
; %bb.1636:
	s_clause 0x1
	s_load_b96 s[0:2], s[20:21], 0x10
	s_load_b96 s[4:6], s[20:21], 0xd0
	s_wait_kmcnt 0x0
	v_mul_hi_u32 v1, s1, v3
	s_delay_alu instid0(VALU_DEP_1) | instskip(NEXT) | instid1(VALU_DEP_1)
	v_add_nc_u32_e32 v1, v3, v1
	v_lshrrev_b32_e32 v1, s2, v1
	s_delay_alu instid0(VALU_DEP_1) | instskip(NEXT) | instid1(VALU_DEP_1)
	v_mul_lo_u32 v1, v1, s0
	v_sub_nc_u32_e32 v1, v3, v1
	s_delay_alu instid0(VALU_DEP_1)
	v_mad_u32 v0, v1, s4, v0
	v_mad_u32 v10, v1, s5, v10
	;; [unrolled: 1-line block ×3, first 2 shown]
	s_branch .LBB199_1638
.LBB199_1637:
	v_dual_mov_b32 v8, 0 :: v_dual_mov_b32 v10, 0
	v_mov_b32_e32 v0, 0
	s_and_not1_b32 vcc_lo, exec_lo, s2
	s_cbranch_vccz .LBB199_1635
.LBB199_1638:
	v_mov_b32_e32 v23, 0
	s_load_b128 s[4:7], s[20:21], 0x188
	global_load_u8 v1, v23, s[20:21] offset:421
	s_wait_kmcnt 0x0
	v_add_nc_u64_e32 v[22:23], s[6:7], v[22:23]
	s_wait_loadcnt 0x0
	v_and_b32_e32 v3, 0xffff, v1
	v_readfirstlane_b32 s2, v1
	s_delay_alu instid0(VALU_DEP_2)
	v_cmp_gt_i32_e32 vcc_lo, 11, v3
	s_cbranch_vccnz .LBB199_1645
; %bb.1639:
	s_and_b32 s0, 0xffff, s2
	s_mov_b32 s10, 0
	s_cmp_gt_i32 s0, 25
	s_cbranch_scc0 .LBB199_1647
; %bb.1640:
	s_cmp_gt_i32 s0, 28
	s_cbranch_scc0 .LBB199_1648
; %bb.1641:
	;; [unrolled: 3-line block ×4, first 2 shown]
	s_cmp_eq_u32 s0, 46
	s_mov_b32 s9, 0
	s_cbranch_scc0 .LBB199_1653
; %bb.1644:
	global_load_b32 v1, v[22:23], off
	s_mov_b32 s1, 0
	s_mov_b32 s11, -1
	s_branch .LBB199_1655
.LBB199_1645:
	s_mov_b32 s11, 0
	s_mov_b32 s9, s3
                                        ; implicit-def: $vgpr1
	s_cbranch_execnz .LBB199_1718
.LBB199_1646:
	s_and_not1_b32 vcc_lo, exec_lo, s11
	s_cbranch_vccz .LBB199_1763
	s_branch .LBB199_3112
.LBB199_1647:
	s_mov_b32 s11, 0
	s_mov_b32 s1, 0
                                        ; implicit-def: $vgpr1
	s_cbranch_execnz .LBB199_1683
	s_branch .LBB199_1714
.LBB199_1648:
	s_mov_b32 s9, -1
	s_mov_b32 s11, 0
	s_mov_b32 s1, 0
                                        ; implicit-def: $vgpr1
	s_branch .LBB199_1664
.LBB199_1649:
	s_mov_b32 s11, 0
	s_mov_b32 s1, 0
                                        ; implicit-def: $vgpr1
	s_cbranch_execnz .LBB199_1660
	s_branch .LBB199_1663
.LBB199_1650:
	s_mov_b32 s9, -1
	s_mov_b32 s11, 0
	s_mov_b32 s1, 0
	s_branch .LBB199_1654
.LBB199_1651:
	s_and_not1_saveexec_b32 s8, s8
	s_cbranch_execz .LBB199_1506
.LBB199_1652:
	v_add_f32_e32 v2, 0x46000000, v3
	s_and_not1_b32 s7, s7, exec_lo
	s_delay_alu instid0(VALU_DEP_1) | instskip(NEXT) | instid1(VALU_DEP_1)
	v_and_b32_e32 v2, 0xff, v2
	v_cmp_ne_u32_e32 vcc_lo, 0, v2
	s_and_b32 s9, vcc_lo, exec_lo
	s_delay_alu instid0(SALU_CYCLE_1)
	s_or_b32 s7, s7, s9
	s_or_b32 exec_lo, exec_lo, s8
	v_mov_b32_e32 v4, 0
	s_and_saveexec_b32 s8, s7
	s_cbranch_execnz .LBB199_1507
	s_branch .LBB199_1508
.LBB199_1653:
	s_mov_b32 s1, -1
	s_mov_b32 s11, 0
.LBB199_1654:
                                        ; implicit-def: $vgpr1
.LBB199_1655:
	s_and_b32 vcc_lo, exec_lo, s9
	s_cbranch_vccz .LBB199_1658
; %bb.1656:
	s_cmp_eq_u32 s0, 44
	s_cbranch_scc0 .LBB199_1659
; %bb.1657:
	s_wait_loadcnt 0x0
	global_load_u8 v1, v[22:23], off
	s_mov_b32 s1, 0
	s_mov_b32 s11, -1
	s_wait_loadcnt 0x0
	v_lshlrev_b32_e32 v3, 23, v1
	v_cmp_ne_u32_e32 vcc_lo, 0xff, v1
	s_delay_alu instid0(VALU_DEP_2) | instskip(SKIP_1) | instid1(VALU_DEP_2)
	v_cndmask_b32_e32 v3, 0x7f800001, v3, vcc_lo
	v_cmp_ne_u32_e32 vcc_lo, 0, v1
	v_cndmask_b32_e32 v1, 0x400000, v3, vcc_lo
	s_delay_alu instid0(VALU_DEP_1) | instskip(SKIP_1) | instid1(VALU_DEP_2)
	v_add_nc_u32_e32 v3, 0x7fff, v1
	v_cmp_o_f32_e32 vcc_lo, v1, v1
	v_lshrrev_b32_e32 v3, 16, v3
	s_delay_alu instid0(VALU_DEP_1)
	v_cndmask_b32_e32 v1, 0x7fc0, v3, vcc_lo
.LBB199_1658:
	s_branch .LBB199_1663
.LBB199_1659:
	s_mov_b32 s1, -1
                                        ; implicit-def: $vgpr1
	s_branch .LBB199_1663
.LBB199_1660:
	s_cmp_eq_u32 s0, 29
	s_cbranch_scc0 .LBB199_1662
; %bb.1661:
	global_load_b64 v[24:25], v[22:23], off
	s_mov_b32 s1, 0
	s_mov_b32 s11, -1
	s_mov_b32 s9, 0
	s_wait_loadcnt 0x0
	v_clz_i32_u32_e32 v1, v25
	s_delay_alu instid0(VALU_DEP_1) | instskip(NEXT) | instid1(VALU_DEP_1)
	v_min_u32_e32 v1, 32, v1
	v_lshlrev_b64_e32 v[24:25], v1, v[24:25]
	v_sub_nc_u32_e32 v1, 32, v1
	s_delay_alu instid0(VALU_DEP_2) | instskip(NEXT) | instid1(VALU_DEP_1)
	v_min_u32_e32 v3, 1, v24
	v_or_b32_e32 v3, v25, v3
	s_delay_alu instid0(VALU_DEP_1) | instskip(NEXT) | instid1(VALU_DEP_1)
	v_cvt_f32_u32_e32 v3, v3
	v_ldexp_f32 v1, v3, v1
	s_delay_alu instid0(VALU_DEP_1) | instskip(NEXT) | instid1(VALU_DEP_1)
	v_bfe_u32 v3, v1, 16, 1
	v_add3_u32 v1, v1, v3, 0x7fff
	s_delay_alu instid0(VALU_DEP_1)
	v_lshrrev_b32_e32 v1, 16, v1
	s_branch .LBB199_1664
.LBB199_1662:
	s_mov_b32 s1, -1
                                        ; implicit-def: $vgpr1
.LBB199_1663:
	s_mov_b32 s9, 0
.LBB199_1664:
	s_delay_alu instid0(SALU_CYCLE_1)
	s_and_b32 vcc_lo, exec_lo, s9
	s_cbranch_vccz .LBB199_1682
; %bb.1665:
	s_cmp_lt_i32 s0, 27
	s_cbranch_scc1 .LBB199_1668
; %bb.1666:
	s_cmp_gt_i32 s0, 27
	s_cbranch_scc0 .LBB199_1669
; %bb.1667:
	s_wait_loadcnt 0x0
	global_load_b32 v1, v[22:23], off
	s_mov_b32 s9, 0
	s_wait_loadcnt 0x0
	v_cvt_f32_u32_e32 v1, v1
	s_delay_alu instid0(VALU_DEP_1) | instskip(NEXT) | instid1(VALU_DEP_1)
	v_bfe_u32 v3, v1, 16, 1
	v_add3_u32 v1, v1, v3, 0x7fff
	s_delay_alu instid0(VALU_DEP_1)
	v_lshrrev_b32_e32 v1, 16, v1
	s_branch .LBB199_1670
.LBB199_1668:
	s_mov_b32 s9, -1
                                        ; implicit-def: $vgpr1
	s_branch .LBB199_1673
.LBB199_1669:
	s_mov_b32 s9, -1
                                        ; implicit-def: $vgpr1
.LBB199_1670:
	s_delay_alu instid0(SALU_CYCLE_1)
	s_and_not1_b32 vcc_lo, exec_lo, s9
	s_cbranch_vccnz .LBB199_1672
; %bb.1671:
	s_wait_loadcnt 0x0
	global_load_u16 v1, v[22:23], off
	s_wait_loadcnt 0x0
	v_cvt_f32_u32_e32 v1, v1
	s_delay_alu instid0(VALU_DEP_1) | instskip(NEXT) | instid1(VALU_DEP_1)
	v_bfe_u32 v3, v1, 16, 1
	v_add3_u32 v1, v1, v3, 0x7fff
	s_delay_alu instid0(VALU_DEP_1)
	v_lshrrev_b32_e32 v1, 16, v1
.LBB199_1672:
	s_mov_b32 s9, 0
.LBB199_1673:
	s_delay_alu instid0(SALU_CYCLE_1)
	s_and_not1_b32 vcc_lo, exec_lo, s9
	s_cbranch_vccnz .LBB199_1681
; %bb.1674:
	s_wait_loadcnt 0x0
	global_load_u8 v1, v[22:23], off
	s_mov_b32 s9, 0
	s_mov_b32 s11, exec_lo
	s_wait_loadcnt 0x0
	v_cmpx_lt_i16_e32 0x7f, v1
	s_xor_b32 s11, exec_lo, s11
	s_cbranch_execz .LBB199_1694
; %bb.1675:
	s_mov_b32 s9, -1
	s_mov_b32 s12, exec_lo
	v_cmpx_eq_u16_e32 0x80, v1
; %bb.1676:
	s_xor_b32 s9, exec_lo, -1
; %bb.1677:
	s_or_b32 exec_lo, exec_lo, s12
	s_delay_alu instid0(SALU_CYCLE_1)
	s_and_b32 s9, s9, exec_lo
	s_or_saveexec_b32 s11, s11
	v_mov_b32_e32 v3, 0x7f800001
	s_xor_b32 exec_lo, exec_lo, s11
	s_cbranch_execnz .LBB199_1695
.LBB199_1678:
	s_or_b32 exec_lo, exec_lo, s11
	s_and_saveexec_b32 s11, s9
	s_cbranch_execz .LBB199_1680
.LBB199_1679:
	v_and_b32_e32 v3, 0xffff, v1
	s_delay_alu instid0(VALU_DEP_1) | instskip(SKIP_1) | instid1(VALU_DEP_2)
	v_dual_lshlrev_b32 v1, 24, v1 :: v_dual_bitop2_b32 v5, 7, v3 bitop3:0x40
	v_bfe_u32 v11, v3, 3, 4
	v_and_b32_e32 v1, 0x80000000, v1
	s_delay_alu instid0(VALU_DEP_3) | instskip(NEXT) | instid1(VALU_DEP_3)
	v_clz_i32_u32_e32 v7, v5
	v_cmp_eq_u32_e32 vcc_lo, 0, v11
	s_delay_alu instid0(VALU_DEP_2) | instskip(NEXT) | instid1(VALU_DEP_1)
	v_min_u32_e32 v7, 32, v7
	v_subrev_nc_u32_e32 v9, 28, v7
	v_sub_nc_u32_e32 v7, 29, v7
	s_delay_alu instid0(VALU_DEP_2) | instskip(NEXT) | instid1(VALU_DEP_2)
	v_lshlrev_b32_e32 v3, v9, v3
	v_cndmask_b32_e32 v7, v11, v7, vcc_lo
	s_delay_alu instid0(VALU_DEP_2) | instskip(NEXT) | instid1(VALU_DEP_1)
	v_and_b32_e32 v3, 7, v3
	v_cndmask_b32_e32 v3, v5, v3, vcc_lo
	s_delay_alu instid0(VALU_DEP_3) | instskip(NEXT) | instid1(VALU_DEP_2)
	v_lshl_add_u32 v5, v7, 23, 0x3b800000
	v_lshlrev_b32_e32 v3, 20, v3
	s_delay_alu instid0(VALU_DEP_1)
	v_or3_b32 v3, v1, v5, v3
.LBB199_1680:
	s_or_b32 exec_lo, exec_lo, s11
	s_delay_alu instid0(VALU_DEP_1) | instskip(SKIP_1) | instid1(VALU_DEP_2)
	v_bfe_u32 v1, v3, 16, 1
	v_cmp_o_f32_e32 vcc_lo, v3, v3
	v_add3_u32 v1, v3, v1, 0x7fff
	s_delay_alu instid0(VALU_DEP_1) | instskip(NEXT) | instid1(VALU_DEP_1)
	v_lshrrev_b32_e32 v1, 16, v1
	v_cndmask_b32_e32 v1, 0x7fc0, v1, vcc_lo
.LBB199_1681:
	s_mov_b32 s11, -1
.LBB199_1682:
	s_branch .LBB199_1714
.LBB199_1683:
	s_cmp_gt_i32 s0, 22
	s_cbranch_scc0 .LBB199_1693
; %bb.1684:
	s_cmp_lt_i32 s0, 24
	s_cbranch_scc1 .LBB199_1696
; %bb.1685:
	s_cmp_gt_i32 s0, 24
	s_cbranch_scc0 .LBB199_1697
; %bb.1686:
	s_wait_loadcnt 0x0
	global_load_u8 v1, v[22:23], off
	s_mov_b32 s9, 0
	s_mov_b32 s10, exec_lo
	s_wait_loadcnt 0x0
	v_cmpx_lt_i16_e32 0x7f, v1
	s_xor_b32 s10, exec_lo, s10
	s_cbranch_execz .LBB199_1708
; %bb.1687:
	s_mov_b32 s9, -1
	s_mov_b32 s11, exec_lo
	v_cmpx_eq_u16_e32 0x80, v1
; %bb.1688:
	s_xor_b32 s9, exec_lo, -1
; %bb.1689:
	s_or_b32 exec_lo, exec_lo, s11
	s_delay_alu instid0(SALU_CYCLE_1)
	s_and_b32 s9, s9, exec_lo
	s_or_saveexec_b32 s10, s10
	v_mov_b32_e32 v3, 0x7f800001
	s_xor_b32 exec_lo, exec_lo, s10
	s_cbranch_execnz .LBB199_1709
.LBB199_1690:
	s_or_b32 exec_lo, exec_lo, s10
	s_and_saveexec_b32 s10, s9
	s_cbranch_execz .LBB199_1692
.LBB199_1691:
	v_and_b32_e32 v3, 0xffff, v1
	s_delay_alu instid0(VALU_DEP_1) | instskip(SKIP_1) | instid1(VALU_DEP_2)
	v_dual_lshlrev_b32 v1, 24, v1 :: v_dual_bitop2_b32 v5, 3, v3 bitop3:0x40
	v_bfe_u32 v11, v3, 2, 5
	v_and_b32_e32 v1, 0x80000000, v1
	s_delay_alu instid0(VALU_DEP_3) | instskip(NEXT) | instid1(VALU_DEP_3)
	v_clz_i32_u32_e32 v7, v5
	v_cmp_eq_u32_e32 vcc_lo, 0, v11
	s_delay_alu instid0(VALU_DEP_2) | instskip(NEXT) | instid1(VALU_DEP_1)
	v_min_u32_e32 v7, 32, v7
	v_subrev_nc_u32_e32 v9, 29, v7
	v_sub_nc_u32_e32 v7, 30, v7
	s_delay_alu instid0(VALU_DEP_2) | instskip(NEXT) | instid1(VALU_DEP_2)
	v_lshlrev_b32_e32 v3, v9, v3
	v_cndmask_b32_e32 v7, v11, v7, vcc_lo
	s_delay_alu instid0(VALU_DEP_2) | instskip(NEXT) | instid1(VALU_DEP_1)
	v_and_b32_e32 v3, 3, v3
	v_cndmask_b32_e32 v3, v5, v3, vcc_lo
	s_delay_alu instid0(VALU_DEP_3) | instskip(NEXT) | instid1(VALU_DEP_2)
	v_lshl_add_u32 v5, v7, 23, 0x37800000
	v_lshlrev_b32_e32 v3, 21, v3
	s_delay_alu instid0(VALU_DEP_1)
	v_or3_b32 v3, v1, v5, v3
.LBB199_1692:
	s_or_b32 exec_lo, exec_lo, s10
	s_delay_alu instid0(VALU_DEP_1) | instskip(SKIP_2) | instid1(VALU_DEP_2)
	v_bfe_u32 v1, v3, 16, 1
	v_cmp_o_f32_e32 vcc_lo, v3, v3
	s_mov_b32 s9, 0
	v_add3_u32 v1, v3, v1, 0x7fff
	s_delay_alu instid0(VALU_DEP_1) | instskip(NEXT) | instid1(VALU_DEP_1)
	v_lshrrev_b32_e32 v1, 16, v1
	v_cndmask_b32_e32 v1, 0x7fc0, v1, vcc_lo
	s_branch .LBB199_1698
.LBB199_1693:
                                        ; implicit-def: $vgpr1
	s_mov_b32 s10, 0
	s_branch .LBB199_1704
.LBB199_1694:
	s_or_saveexec_b32 s11, s11
	v_mov_b32_e32 v3, 0x7f800001
	s_xor_b32 exec_lo, exec_lo, s11
	s_cbranch_execz .LBB199_1678
.LBB199_1695:
	v_cmp_ne_u16_e32 vcc_lo, 0, v1
	v_mov_b32_e32 v3, 0
	s_and_not1_b32 s9, s9, exec_lo
	s_and_b32 s12, vcc_lo, exec_lo
	s_delay_alu instid0(SALU_CYCLE_1)
	s_or_b32 s9, s9, s12
	s_or_b32 exec_lo, exec_lo, s11
	s_and_saveexec_b32 s11, s9
	s_cbranch_execnz .LBB199_1679
	s_branch .LBB199_1680
.LBB199_1696:
	s_mov_b32 s9, -1
                                        ; implicit-def: $vgpr1
	s_branch .LBB199_1701
.LBB199_1697:
	s_mov_b32 s9, -1
                                        ; implicit-def: $vgpr1
.LBB199_1698:
	s_delay_alu instid0(SALU_CYCLE_1)
	s_and_b32 vcc_lo, exec_lo, s9
	s_cbranch_vccz .LBB199_1700
; %bb.1699:
	s_wait_loadcnt 0x0
	global_load_u8 v1, v[22:23], off
	s_wait_loadcnt 0x0
	v_lshlrev_b32_e32 v1, 24, v1
	s_delay_alu instid0(VALU_DEP_1) | instskip(NEXT) | instid1(VALU_DEP_1)
	v_and_b32_e32 v3, 0x7f000000, v1
	v_clz_i32_u32_e32 v5, v3
	v_add_nc_u32_e32 v9, 0x1000000, v3
	v_cmp_ne_u32_e32 vcc_lo, 0, v3
	s_delay_alu instid0(VALU_DEP_3) | instskip(NEXT) | instid1(VALU_DEP_1)
	v_min_u32_e32 v5, 32, v5
	v_sub_nc_u32_e64 v5, v5, 4 clamp
	s_delay_alu instid0(VALU_DEP_1) | instskip(NEXT) | instid1(VALU_DEP_1)
	v_dual_lshlrev_b32 v7, v5, v3 :: v_dual_lshlrev_b32 v5, 23, v5
	v_lshrrev_b32_e32 v7, 4, v7
	s_delay_alu instid0(VALU_DEP_1) | instskip(SKIP_1) | instid1(VALU_DEP_2)
	v_sub_nc_u32_e32 v5, v7, v5
	v_ashrrev_i32_e32 v7, 8, v9
	v_add_nc_u32_e32 v5, 0x3c000000, v5
	s_delay_alu instid0(VALU_DEP_1) | instskip(NEXT) | instid1(VALU_DEP_1)
	v_and_or_b32 v5, 0x7f800000, v7, v5
	v_cndmask_b32_e32 v3, 0, v5, vcc_lo
	s_delay_alu instid0(VALU_DEP_1) | instskip(SKIP_1) | instid1(VALU_DEP_2)
	v_and_or_b32 v1, 0x80000000, v1, v3
	v_bfe_u32 v3, v3, 16, 1
	v_cmp_o_f32_e32 vcc_lo, v1, v1
	s_delay_alu instid0(VALU_DEP_2) | instskip(NEXT) | instid1(VALU_DEP_1)
	v_add3_u32 v3, v1, v3, 0x7fff
	v_lshrrev_b32_e32 v3, 16, v3
	s_delay_alu instid0(VALU_DEP_1)
	v_cndmask_b32_e32 v1, 0x7fc0, v3, vcc_lo
.LBB199_1700:
	s_mov_b32 s9, 0
.LBB199_1701:
	s_delay_alu instid0(SALU_CYCLE_1)
	s_and_not1_b32 vcc_lo, exec_lo, s9
	s_cbranch_vccnz .LBB199_1703
; %bb.1702:
	s_wait_loadcnt 0x0
	global_load_u8 v1, v[22:23], off
	s_wait_loadcnt 0x0
	v_lshlrev_b32_e32 v3, 25, v1
	v_lshlrev_b16 v1, 8, v1
	s_delay_alu instid0(VALU_DEP_1) | instskip(SKIP_1) | instid1(VALU_DEP_2)
	v_and_or_b32 v7, 0x7f00, v1, 0.5
	v_bfe_i32 v1, v1, 0, 16
	v_add_f32_e32 v7, -0.5, v7
	v_lshrrev_b32_e32 v5, 4, v3
	v_cmp_gt_u32_e32 vcc_lo, 0x8000000, v3
	s_delay_alu instid0(VALU_DEP_2) | instskip(NEXT) | instid1(VALU_DEP_1)
	v_or_b32_e32 v5, 0x70000000, v5
	v_mul_f32_e32 v5, 0x7800000, v5
	s_delay_alu instid0(VALU_DEP_1) | instskip(NEXT) | instid1(VALU_DEP_1)
	v_cndmask_b32_e32 v3, v5, v7, vcc_lo
	v_and_or_b32 v1, 0x80000000, v1, v3
	v_bfe_u32 v3, v3, 16, 1
	s_delay_alu instid0(VALU_DEP_2) | instskip(NEXT) | instid1(VALU_DEP_2)
	v_cmp_o_f32_e32 vcc_lo, v1, v1
	v_add3_u32 v3, v1, v3, 0x7fff
	s_delay_alu instid0(VALU_DEP_1) | instskip(NEXT) | instid1(VALU_DEP_1)
	v_lshrrev_b32_e32 v3, 16, v3
	v_cndmask_b32_e32 v1, 0x7fc0, v3, vcc_lo
.LBB199_1703:
	s_mov_b32 s11, -1
	s_mov_b32 s10, 0
	s_cbranch_execnz .LBB199_1714
.LBB199_1704:
	s_cmp_gt_i32 s0, 14
	s_cbranch_scc0 .LBB199_1707
; %bb.1705:
	s_cmp_eq_u32 s0, 15
	s_cbranch_scc0 .LBB199_1710
; %bb.1706:
	s_wait_loadcnt 0x0
	global_load_u16 v1, v[22:23], off
	s_mov_b32 s1, 0
	s_mov_b32 s11, -1
	s_branch .LBB199_1711
.LBB199_1707:
	s_mov_b32 s9, -1
                                        ; implicit-def: $vgpr1
	s_branch .LBB199_1712
.LBB199_1708:
	s_or_saveexec_b32 s10, s10
	v_mov_b32_e32 v3, 0x7f800001
	s_xor_b32 exec_lo, exec_lo, s10
	s_cbranch_execz .LBB199_1690
.LBB199_1709:
	v_cmp_ne_u16_e32 vcc_lo, 0, v1
	v_mov_b32_e32 v3, 0
	s_and_not1_b32 s9, s9, exec_lo
	s_and_b32 s11, vcc_lo, exec_lo
	s_delay_alu instid0(SALU_CYCLE_1)
	s_or_b32 s9, s9, s11
	s_or_b32 exec_lo, exec_lo, s10
	s_and_saveexec_b32 s10, s9
	s_cbranch_execnz .LBB199_1691
	s_branch .LBB199_1692
.LBB199_1710:
	s_mov_b32 s1, -1
                                        ; implicit-def: $vgpr1
.LBB199_1711:
	s_mov_b32 s9, 0
.LBB199_1712:
	s_delay_alu instid0(SALU_CYCLE_1)
	s_and_b32 vcc_lo, exec_lo, s9
	s_cbranch_vccz .LBB199_1714
; %bb.1713:
	s_cmp_lg_u32 s0, 11
	s_mov_b32 s10, -1
	s_cselect_b32 s1, -1, 0
.LBB199_1714:
	s_delay_alu instid0(SALU_CYCLE_1)
	s_and_b32 vcc_lo, exec_lo, s1
	s_mov_b32 s9, s3
	s_cbranch_vccnz .LBB199_1775
; %bb.1715:
	s_and_not1_b32 vcc_lo, exec_lo, s10
	s_cbranch_vccnz .LBB199_1717
.LBB199_1716:
	s_wait_loadcnt 0x0
	global_load_u8 v1, v[22:23], off
	s_mov_b32 s11, -1
	s_wait_loadcnt 0x0
	v_cmp_ne_u16_e32 vcc_lo, 0, v1
	v_cndmask_b32_e64 v1, 0, 1.0, vcc_lo
	s_delay_alu instid0(VALU_DEP_1)
	v_lshrrev_b32_e32 v1, 16, v1
.LBB199_1717:
	s_branch .LBB199_1646
.LBB199_1718:
	s_and_b32 s0, 0xffff, s2
	s_delay_alu instid0(SALU_CYCLE_1)
	s_cmp_lt_i32 s0, 5
	s_cbranch_scc1 .LBB199_1723
; %bb.1719:
	s_cmp_lt_i32 s0, 8
	s_cbranch_scc1 .LBB199_1724
; %bb.1720:
	;; [unrolled: 3-line block ×3, first 2 shown]
	s_cmp_gt_i32 s0, 9
	s_cbranch_scc0 .LBB199_1726
; %bb.1722:
	global_load_b64 v[24:25], v[22:23], off
	s_mov_b32 s1, 0
	s_wait_loadcnt 0x0
	v_cvt_f32_f64_e32 v1, v[24:25]
	s_delay_alu instid0(VALU_DEP_1) | instskip(SKIP_1) | instid1(VALU_DEP_2)
	v_bfe_u32 v3, v1, 16, 1
	v_cmp_o_f32_e32 vcc_lo, v1, v1
	v_add3_u32 v3, v1, v3, 0x7fff
	s_delay_alu instid0(VALU_DEP_1) | instskip(NEXT) | instid1(VALU_DEP_1)
	v_lshrrev_b32_e32 v3, 16, v3
	v_cndmask_b32_e32 v1, 0x7fc0, v3, vcc_lo
	s_branch .LBB199_1727
.LBB199_1723:
                                        ; implicit-def: $vgpr1
	s_branch .LBB199_1744
.LBB199_1724:
                                        ; implicit-def: $vgpr1
	s_branch .LBB199_1733
.LBB199_1725:
	s_mov_b32 s1, -1
                                        ; implicit-def: $vgpr1
	s_branch .LBB199_1730
.LBB199_1726:
	s_mov_b32 s1, -1
                                        ; implicit-def: $vgpr1
.LBB199_1727:
	s_delay_alu instid0(SALU_CYCLE_1)
	s_and_not1_b32 vcc_lo, exec_lo, s1
	s_cbranch_vccnz .LBB199_1729
; %bb.1728:
	s_wait_loadcnt 0x0
	global_load_b32 v1, v[22:23], off
	s_wait_loadcnt 0x0
	v_bfe_u32 v3, v1, 16, 1
	v_cmp_o_f32_e32 vcc_lo, v1, v1
	s_delay_alu instid0(VALU_DEP_2) | instskip(NEXT) | instid1(VALU_DEP_1)
	v_add3_u32 v3, v1, v3, 0x7fff
	v_lshrrev_b32_e32 v3, 16, v3
	s_delay_alu instid0(VALU_DEP_1)
	v_cndmask_b32_e32 v1, 0x7fc0, v3, vcc_lo
.LBB199_1729:
	s_mov_b32 s1, 0
.LBB199_1730:
	s_delay_alu instid0(SALU_CYCLE_1)
	s_and_not1_b32 vcc_lo, exec_lo, s1
	s_cbranch_vccnz .LBB199_1732
; %bb.1731:
	s_wait_loadcnt 0x0
	global_load_b32 v1, v[22:23], off
	s_wait_loadcnt 0x0
	v_cvt_f32_f16_e32 v3, v1
	v_cmp_o_f16_e32 vcc_lo, v1, v1
	s_delay_alu instid0(VALU_DEP_2) | instskip(NEXT) | instid1(VALU_DEP_1)
	v_bfe_u32 v5, v3, 16, 1
	v_add3_u32 v3, v3, v5, 0x7fff
	s_delay_alu instid0(VALU_DEP_1) | instskip(NEXT) | instid1(VALU_DEP_1)
	v_lshrrev_b32_e32 v3, 16, v3
	v_cndmask_b32_e32 v1, 0x7fc0, v3, vcc_lo
.LBB199_1732:
	s_cbranch_execnz .LBB199_1743
.LBB199_1733:
	s_cmp_lt_i32 s0, 6
	s_cbranch_scc1 .LBB199_1736
; %bb.1734:
	s_cmp_gt_i32 s0, 6
	s_cbranch_scc0 .LBB199_1737
; %bb.1735:
	global_load_b64 v[24:25], v[22:23], off
	s_mov_b32 s1, 0
	s_wait_loadcnt 0x0
	v_cvt_f32_f64_e32 v1, v[24:25]
	s_delay_alu instid0(VALU_DEP_1) | instskip(SKIP_1) | instid1(VALU_DEP_2)
	v_bfe_u32 v3, v1, 16, 1
	v_cmp_o_f32_e32 vcc_lo, v1, v1
	v_add3_u32 v3, v1, v3, 0x7fff
	s_delay_alu instid0(VALU_DEP_1) | instskip(NEXT) | instid1(VALU_DEP_1)
	v_lshrrev_b32_e32 v3, 16, v3
	v_cndmask_b32_e32 v1, 0x7fc0, v3, vcc_lo
	s_branch .LBB199_1738
.LBB199_1736:
	s_mov_b32 s1, -1
                                        ; implicit-def: $vgpr1
	s_branch .LBB199_1741
.LBB199_1737:
	s_mov_b32 s1, -1
                                        ; implicit-def: $vgpr1
.LBB199_1738:
	s_delay_alu instid0(SALU_CYCLE_1)
	s_and_not1_b32 vcc_lo, exec_lo, s1
	s_cbranch_vccnz .LBB199_1740
; %bb.1739:
	s_wait_loadcnt 0x0
	global_load_b32 v1, v[22:23], off
	s_wait_loadcnt 0x0
	v_bfe_u32 v3, v1, 16, 1
	v_cmp_o_f32_e32 vcc_lo, v1, v1
	s_delay_alu instid0(VALU_DEP_2) | instskip(NEXT) | instid1(VALU_DEP_1)
	v_add3_u32 v3, v1, v3, 0x7fff
	v_lshrrev_b32_e32 v3, 16, v3
	s_delay_alu instid0(VALU_DEP_1)
	v_cndmask_b32_e32 v1, 0x7fc0, v3, vcc_lo
.LBB199_1740:
	s_mov_b32 s1, 0
.LBB199_1741:
	s_delay_alu instid0(SALU_CYCLE_1)
	s_and_not1_b32 vcc_lo, exec_lo, s1
	s_cbranch_vccnz .LBB199_1743
; %bb.1742:
	s_wait_loadcnt 0x0
	global_load_u16 v1, v[22:23], off
	s_wait_loadcnt 0x0
	v_cvt_f32_f16_e32 v3, v1
	v_cmp_o_f16_e32 vcc_lo, v1, v1
	s_delay_alu instid0(VALU_DEP_2) | instskip(NEXT) | instid1(VALU_DEP_1)
	v_bfe_u32 v5, v3, 16, 1
	v_add3_u32 v3, v3, v5, 0x7fff
	s_delay_alu instid0(VALU_DEP_1) | instskip(NEXT) | instid1(VALU_DEP_1)
	v_lshrrev_b32_e32 v3, 16, v3
	v_cndmask_b32_e32 v1, 0x7fc0, v3, vcc_lo
.LBB199_1743:
	s_cbranch_execnz .LBB199_1762
.LBB199_1744:
	s_cmp_lt_i32 s0, 2
	s_cbranch_scc1 .LBB199_1748
; %bb.1745:
	s_cmp_lt_i32 s0, 3
	s_cbranch_scc1 .LBB199_1749
; %bb.1746:
	s_cmp_gt_i32 s0, 3
	s_cbranch_scc0 .LBB199_1750
; %bb.1747:
	global_load_b64 v[24:25], v[22:23], off
	s_mov_b32 s1, 0
	s_wait_loadcnt 0x0
	v_xor_b32_e32 v1, v24, v25
	v_cls_i32_e32 v3, v25
	s_delay_alu instid0(VALU_DEP_2) | instskip(NEXT) | instid1(VALU_DEP_1)
	v_ashrrev_i32_e32 v1, 31, v1
	v_add_nc_u32_e32 v1, 32, v1
	s_delay_alu instid0(VALU_DEP_1) | instskip(NEXT) | instid1(VALU_DEP_1)
	v_add_min_u32_e64 v1, v3, -1, v1
	v_lshlrev_b64_e32 v[24:25], v1, v[24:25]
	v_sub_nc_u32_e32 v1, 32, v1
	s_delay_alu instid0(VALU_DEP_2) | instskip(NEXT) | instid1(VALU_DEP_1)
	v_min_u32_e32 v3, 1, v24
	v_or_b32_e32 v3, v25, v3
	s_delay_alu instid0(VALU_DEP_1) | instskip(NEXT) | instid1(VALU_DEP_1)
	v_cvt_f32_i32_e32 v3, v3
	v_ldexp_f32 v1, v3, v1
	s_delay_alu instid0(VALU_DEP_1) | instskip(NEXT) | instid1(VALU_DEP_1)
	v_bfe_u32 v3, v1, 16, 1
	v_add3_u32 v1, v1, v3, 0x7fff
	s_delay_alu instid0(VALU_DEP_1)
	v_lshrrev_b32_e32 v1, 16, v1
	s_branch .LBB199_1751
.LBB199_1748:
                                        ; implicit-def: $vgpr1
	s_branch .LBB199_1757
.LBB199_1749:
	s_mov_b32 s1, -1
                                        ; implicit-def: $vgpr1
	s_branch .LBB199_1754
.LBB199_1750:
	s_mov_b32 s1, -1
                                        ; implicit-def: $vgpr1
.LBB199_1751:
	s_delay_alu instid0(SALU_CYCLE_1)
	s_and_not1_b32 vcc_lo, exec_lo, s1
	s_cbranch_vccnz .LBB199_1753
; %bb.1752:
	s_wait_loadcnt 0x0
	global_load_b32 v1, v[22:23], off
	s_wait_loadcnt 0x0
	v_cvt_f32_i32_e32 v1, v1
	s_delay_alu instid0(VALU_DEP_1) | instskip(NEXT) | instid1(VALU_DEP_1)
	v_bfe_u32 v3, v1, 16, 1
	v_add3_u32 v1, v1, v3, 0x7fff
	s_delay_alu instid0(VALU_DEP_1)
	v_lshrrev_b32_e32 v1, 16, v1
.LBB199_1753:
	s_mov_b32 s1, 0
.LBB199_1754:
	s_delay_alu instid0(SALU_CYCLE_1)
	s_and_not1_b32 vcc_lo, exec_lo, s1
	s_cbranch_vccnz .LBB199_1756
; %bb.1755:
	s_wait_loadcnt 0x0
	global_load_i16 v1, v[22:23], off
	s_wait_loadcnt 0x0
	v_cvt_f32_i32_e32 v1, v1
	s_delay_alu instid0(VALU_DEP_1) | instskip(NEXT) | instid1(VALU_DEP_1)
	v_bfe_u32 v3, v1, 16, 1
	v_add3_u32 v1, v1, v3, 0x7fff
	s_delay_alu instid0(VALU_DEP_1)
	v_lshrrev_b32_e32 v1, 16, v1
.LBB199_1756:
	s_cbranch_execnz .LBB199_1762
.LBB199_1757:
	s_cmp_gt_i32 s0, 0
	s_mov_b32 s0, 0
	s_cbranch_scc0 .LBB199_1759
; %bb.1758:
	s_wait_loadcnt 0x0
	global_load_i8 v1, v[22:23], off
	s_wait_loadcnt 0x0
	v_cvt_f32_i32_e32 v1, v1
	s_delay_alu instid0(VALU_DEP_1) | instskip(NEXT) | instid1(VALU_DEP_1)
	v_bfe_u32 v3, v1, 16, 1
	v_add3_u32 v1, v1, v3, 0x7fff
	s_delay_alu instid0(VALU_DEP_1)
	v_lshrrev_b32_e32 v1, 16, v1
	s_branch .LBB199_1760
.LBB199_1759:
	s_mov_b32 s0, -1
                                        ; implicit-def: $vgpr1
.LBB199_1760:
	s_delay_alu instid0(SALU_CYCLE_1)
	s_and_not1_b32 vcc_lo, exec_lo, s0
	s_cbranch_vccnz .LBB199_1762
; %bb.1761:
	s_wait_loadcnt 0x0
	global_load_u8 v1, v[22:23], off
	s_wait_loadcnt 0x0
	v_cvt_f32_ubyte0_e32 v1, v1
	s_delay_alu instid0(VALU_DEP_1) | instskip(NEXT) | instid1(VALU_DEP_1)
	v_bfe_u32 v3, v1, 16, 1
	v_add3_u32 v1, v1, v3, 0x7fff
	s_delay_alu instid0(VALU_DEP_1)
	v_lshrrev_b32_e32 v1, 16, v1
.LBB199_1762:
.LBB199_1763:
	v_mov_b32_e32 v21, 0
	s_load_b64 s[0:1], s[20:21], 0x198
	global_load_u8 v3, v21, s[20:21] offset:422
	s_wait_kmcnt 0x0
	v_add_nc_u64_e32 v[20:21], s[0:1], v[20:21]
	s_wait_loadcnt 0x0
	v_and_b32_e32 v5, 0xffff, v3
	v_readfirstlane_b32 s10, v3
	s_delay_alu instid0(VALU_DEP_2)
	v_cmp_gt_i32_e32 vcc_lo, 11, v5
	s_cbranch_vccnz .LBB199_1770
; %bb.1764:
	s_and_b32 s11, 0xffff, s10
	s_mov_b32 s13, 0
	s_cmp_gt_i32 s11, 25
	s_cbranch_scc0 .LBB199_1772
; %bb.1765:
	s_cmp_gt_i32 s11, 28
	s_cbranch_scc0 .LBB199_1773
; %bb.1766:
	;; [unrolled: 3-line block ×4, first 2 shown]
	s_cmp_eq_u32 s11, 46
	s_mov_b32 s15, 0
	s_cbranch_scc0 .LBB199_1779
; %bb.1769:
	global_load_b32 v3, v[20:21], off
	s_mov_b32 s12, 0
	s_mov_b32 s14, -1
	s_branch .LBB199_1781
.LBB199_1770:
	s_mov_b32 s14, 0
                                        ; implicit-def: $vgpr3
	s_cbranch_execnz .LBB199_1846
.LBB199_1771:
	s_and_not1_b32 vcc_lo, exec_lo, s14
	s_cbranch_vccnz .LBB199_3112
	s_branch .LBB199_1893
.LBB199_1772:
	s_mov_b32 s14, 0
	s_mov_b32 s12, 0
                                        ; implicit-def: $vgpr3
	s_cbranch_execnz .LBB199_1810
	s_branch .LBB199_1842
.LBB199_1773:
	s_mov_b32 s15, -1
	s_mov_b32 s14, 0
	s_mov_b32 s12, 0
                                        ; implicit-def: $vgpr3
	s_branch .LBB199_1791
.LBB199_1774:
	s_mov_b32 s15, -1
	s_mov_b32 s14, 0
	s_mov_b32 s12, 0
                                        ; implicit-def: $vgpr3
	s_branch .LBB199_1786
.LBB199_1775:
	s_or_b32 s9, s3, exec_lo
	s_trap 2
	s_cbranch_execz .LBB199_1716
	s_branch .LBB199_1717
.LBB199_1776:
	s_mov_b32 s15, -1
	s_mov_b32 s14, 0
	s_mov_b32 s12, 0
	s_branch .LBB199_1780
.LBB199_1777:
	s_and_not1_saveexec_b32 s9, s9
	s_cbranch_execz .LBB199_1518
.LBB199_1778:
	v_add_f32_e32 v2, 0x42800000, v3
	s_and_not1_b32 s8, s8, exec_lo
	s_delay_alu instid0(VALU_DEP_1) | instskip(NEXT) | instid1(VALU_DEP_1)
	v_and_b32_e32 v2, 0xff, v2
	v_cmp_ne_u32_e32 vcc_lo, 0, v2
	s_and_b32 s11, vcc_lo, exec_lo
	s_delay_alu instid0(SALU_CYCLE_1)
	s_or_b32 s8, s8, s11
	s_or_b32 exec_lo, exec_lo, s9
	v_mov_b32_e32 v4, 0
	s_and_saveexec_b32 s9, s8
	s_cbranch_execnz .LBB199_1519
	s_branch .LBB199_1520
.LBB199_1779:
	s_mov_b32 s12, -1
	s_mov_b32 s14, 0
.LBB199_1780:
                                        ; implicit-def: $vgpr3
.LBB199_1781:
	s_and_b32 vcc_lo, exec_lo, s15
	s_cbranch_vccz .LBB199_1785
; %bb.1782:
	s_cmp_eq_u32 s11, 44
	s_cbranch_scc0 .LBB199_1784
; %bb.1783:
	s_wait_loadcnt 0x0
	global_load_u8 v3, v[20:21], off
	s_mov_b32 s12, 0
	s_mov_b32 s14, -1
	s_wait_loadcnt 0x0
	v_lshlrev_b32_e32 v5, 23, v3
	v_cmp_ne_u32_e32 vcc_lo, 0xff, v3
	s_delay_alu instid0(VALU_DEP_2) | instskip(SKIP_1) | instid1(VALU_DEP_2)
	v_cndmask_b32_e32 v5, 0x7f800001, v5, vcc_lo
	v_cmp_ne_u32_e32 vcc_lo, 0, v3
	v_cndmask_b32_e32 v3, 0x400000, v5, vcc_lo
	s_delay_alu instid0(VALU_DEP_1) | instskip(SKIP_1) | instid1(VALU_DEP_2)
	v_add_nc_u32_e32 v5, 0x7fff, v3
	v_cmp_o_f32_e32 vcc_lo, v3, v3
	v_lshrrev_b32_e32 v5, 16, v5
	s_delay_alu instid0(VALU_DEP_1)
	v_cndmask_b32_e32 v3, 0x7fc0, v5, vcc_lo
	s_branch .LBB199_1785
.LBB199_1784:
	s_mov_b32 s12, -1
                                        ; implicit-def: $vgpr3
.LBB199_1785:
	s_mov_b32 s15, 0
.LBB199_1786:
	s_delay_alu instid0(SALU_CYCLE_1)
	s_and_b32 vcc_lo, exec_lo, s15
	s_cbranch_vccz .LBB199_1790
; %bb.1787:
	s_cmp_eq_u32 s11, 29
	s_cbranch_scc0 .LBB199_1789
; %bb.1788:
	global_load_b64 v[22:23], v[20:21], off
	s_mov_b32 s12, 0
	s_mov_b32 s14, -1
	s_mov_b32 s15, 0
	s_wait_loadcnt 0x0
	v_clz_i32_u32_e32 v3, v23
	s_delay_alu instid0(VALU_DEP_1) | instskip(NEXT) | instid1(VALU_DEP_1)
	v_min_u32_e32 v3, 32, v3
	v_lshlrev_b64_e32 v[22:23], v3, v[22:23]
	v_sub_nc_u32_e32 v3, 32, v3
	s_delay_alu instid0(VALU_DEP_2) | instskip(NEXT) | instid1(VALU_DEP_1)
	v_min_u32_e32 v5, 1, v22
	v_or_b32_e32 v5, v23, v5
	s_delay_alu instid0(VALU_DEP_1) | instskip(NEXT) | instid1(VALU_DEP_1)
	v_cvt_f32_u32_e32 v5, v5
	v_ldexp_f32 v3, v5, v3
	s_delay_alu instid0(VALU_DEP_1) | instskip(NEXT) | instid1(VALU_DEP_1)
	v_bfe_u32 v5, v3, 16, 1
	v_add3_u32 v3, v3, v5, 0x7fff
	s_delay_alu instid0(VALU_DEP_1)
	v_lshrrev_b32_e32 v3, 16, v3
	s_branch .LBB199_1791
.LBB199_1789:
	s_mov_b32 s12, -1
                                        ; implicit-def: $vgpr3
.LBB199_1790:
	s_mov_b32 s15, 0
.LBB199_1791:
	s_delay_alu instid0(SALU_CYCLE_1)
	s_and_b32 vcc_lo, exec_lo, s15
	s_cbranch_vccz .LBB199_1809
; %bb.1792:
	s_cmp_lt_i32 s11, 27
	s_cbranch_scc1 .LBB199_1795
; %bb.1793:
	s_cmp_gt_i32 s11, 27
	s_cbranch_scc0 .LBB199_1796
; %bb.1794:
	s_wait_loadcnt 0x0
	global_load_b32 v3, v[20:21], off
	s_mov_b32 s14, 0
	s_wait_loadcnt 0x0
	v_cvt_f32_u32_e32 v3, v3
	s_delay_alu instid0(VALU_DEP_1) | instskip(NEXT) | instid1(VALU_DEP_1)
	v_bfe_u32 v5, v3, 16, 1
	v_add3_u32 v3, v3, v5, 0x7fff
	s_delay_alu instid0(VALU_DEP_1)
	v_lshrrev_b32_e32 v3, 16, v3
	s_branch .LBB199_1797
.LBB199_1795:
	s_mov_b32 s14, -1
                                        ; implicit-def: $vgpr3
	s_branch .LBB199_1800
.LBB199_1796:
	s_mov_b32 s14, -1
                                        ; implicit-def: $vgpr3
.LBB199_1797:
	s_delay_alu instid0(SALU_CYCLE_1)
	s_and_not1_b32 vcc_lo, exec_lo, s14
	s_cbranch_vccnz .LBB199_1799
; %bb.1798:
	s_wait_loadcnt 0x0
	global_load_u16 v3, v[20:21], off
	s_wait_loadcnt 0x0
	v_cvt_f32_u32_e32 v3, v3
	s_delay_alu instid0(VALU_DEP_1) | instskip(NEXT) | instid1(VALU_DEP_1)
	v_bfe_u32 v5, v3, 16, 1
	v_add3_u32 v3, v3, v5, 0x7fff
	s_delay_alu instid0(VALU_DEP_1)
	v_lshrrev_b32_e32 v3, 16, v3
.LBB199_1799:
	s_mov_b32 s14, 0
.LBB199_1800:
	s_delay_alu instid0(SALU_CYCLE_1)
	s_and_not1_b32 vcc_lo, exec_lo, s14
	s_cbranch_vccnz .LBB199_1808
; %bb.1801:
	s_wait_loadcnt 0x0
	global_load_u8 v3, v[20:21], off
	s_mov_b32 s14, 0
	s_mov_b32 s15, exec_lo
	s_wait_loadcnt 0x0
	v_cmpx_lt_i16_e32 0x7f, v3
	s_xor_b32 s15, exec_lo, s15
	s_cbranch_execz .LBB199_1821
; %bb.1802:
	s_mov_b32 s14, -1
	s_mov_b32 s16, exec_lo
	v_cmpx_eq_u16_e32 0x80, v3
; %bb.1803:
	s_xor_b32 s14, exec_lo, -1
; %bb.1804:
	s_or_b32 exec_lo, exec_lo, s16
	s_delay_alu instid0(SALU_CYCLE_1)
	s_and_b32 s14, s14, exec_lo
	s_or_saveexec_b32 s15, s15
	v_mov_b32_e32 v5, 0x7f800001
	s_xor_b32 exec_lo, exec_lo, s15
	s_cbranch_execnz .LBB199_1822
.LBB199_1805:
	s_or_b32 exec_lo, exec_lo, s15
	s_and_saveexec_b32 s15, s14
	s_cbranch_execz .LBB199_1807
.LBB199_1806:
	v_and_b32_e32 v5, 0xffff, v3
	s_delay_alu instid0(VALU_DEP_1) | instskip(SKIP_1) | instid1(VALU_DEP_2)
	v_dual_lshlrev_b32 v3, 24, v3 :: v_dual_bitop2_b32 v7, 7, v5 bitop3:0x40
	v_bfe_u32 v13, v5, 3, 4
	v_and_b32_e32 v3, 0x80000000, v3
	s_delay_alu instid0(VALU_DEP_3) | instskip(NEXT) | instid1(VALU_DEP_3)
	v_clz_i32_u32_e32 v9, v7
	v_cmp_eq_u32_e32 vcc_lo, 0, v13
	s_delay_alu instid0(VALU_DEP_2) | instskip(NEXT) | instid1(VALU_DEP_1)
	v_min_u32_e32 v9, 32, v9
	v_subrev_nc_u32_e32 v11, 28, v9
	v_sub_nc_u32_e32 v9, 29, v9
	s_delay_alu instid0(VALU_DEP_2) | instskip(NEXT) | instid1(VALU_DEP_2)
	v_lshlrev_b32_e32 v5, v11, v5
	v_cndmask_b32_e32 v9, v13, v9, vcc_lo
	s_delay_alu instid0(VALU_DEP_2) | instskip(NEXT) | instid1(VALU_DEP_1)
	v_and_b32_e32 v5, 7, v5
	v_cndmask_b32_e32 v5, v7, v5, vcc_lo
	s_delay_alu instid0(VALU_DEP_3) | instskip(NEXT) | instid1(VALU_DEP_2)
	v_lshl_add_u32 v7, v9, 23, 0x3b800000
	v_lshlrev_b32_e32 v5, 20, v5
	s_delay_alu instid0(VALU_DEP_1)
	v_or3_b32 v5, v3, v7, v5
.LBB199_1807:
	s_or_b32 exec_lo, exec_lo, s15
	s_delay_alu instid0(VALU_DEP_1) | instskip(SKIP_1) | instid1(VALU_DEP_2)
	v_bfe_u32 v3, v5, 16, 1
	v_cmp_o_f32_e32 vcc_lo, v5, v5
	v_add3_u32 v3, v5, v3, 0x7fff
	s_delay_alu instid0(VALU_DEP_1) | instskip(NEXT) | instid1(VALU_DEP_1)
	v_lshrrev_b32_e32 v3, 16, v3
	v_cndmask_b32_e32 v3, 0x7fc0, v3, vcc_lo
.LBB199_1808:
	s_mov_b32 s14, -1
.LBB199_1809:
	s_branch .LBB199_1842
.LBB199_1810:
	s_cmp_gt_i32 s11, 22
	s_cbranch_scc0 .LBB199_1820
; %bb.1811:
	s_cmp_lt_i32 s11, 24
	s_cbranch_scc1 .LBB199_1823
; %bb.1812:
	s_cmp_gt_i32 s11, 24
	s_cbranch_scc0 .LBB199_1824
; %bb.1813:
	s_wait_loadcnt 0x0
	global_load_u8 v3, v[20:21], off
	s_mov_b32 s14, exec_lo
	s_wait_loadcnt 0x0
	v_cmpx_lt_i16_e32 0x7f, v3
	s_xor_b32 s14, exec_lo, s14
	s_cbranch_execz .LBB199_1836
; %bb.1814:
	s_mov_b32 s13, -1
	s_mov_b32 s15, exec_lo
	v_cmpx_eq_u16_e32 0x80, v3
; %bb.1815:
	s_xor_b32 s13, exec_lo, -1
; %bb.1816:
	s_or_b32 exec_lo, exec_lo, s15
	s_delay_alu instid0(SALU_CYCLE_1)
	s_and_b32 s13, s13, exec_lo
	s_or_saveexec_b32 s14, s14
	v_mov_b32_e32 v5, 0x7f800001
	s_xor_b32 exec_lo, exec_lo, s14
	s_cbranch_execnz .LBB199_1837
.LBB199_1817:
	s_or_b32 exec_lo, exec_lo, s14
	s_and_saveexec_b32 s14, s13
	s_cbranch_execz .LBB199_1819
.LBB199_1818:
	v_and_b32_e32 v5, 0xffff, v3
	s_delay_alu instid0(VALU_DEP_1) | instskip(SKIP_1) | instid1(VALU_DEP_2)
	v_dual_lshlrev_b32 v3, 24, v3 :: v_dual_bitop2_b32 v7, 3, v5 bitop3:0x40
	v_bfe_u32 v13, v5, 2, 5
	v_and_b32_e32 v3, 0x80000000, v3
	s_delay_alu instid0(VALU_DEP_3) | instskip(NEXT) | instid1(VALU_DEP_3)
	v_clz_i32_u32_e32 v9, v7
	v_cmp_eq_u32_e32 vcc_lo, 0, v13
	s_delay_alu instid0(VALU_DEP_2) | instskip(NEXT) | instid1(VALU_DEP_1)
	v_min_u32_e32 v9, 32, v9
	v_subrev_nc_u32_e32 v11, 29, v9
	v_sub_nc_u32_e32 v9, 30, v9
	s_delay_alu instid0(VALU_DEP_2) | instskip(NEXT) | instid1(VALU_DEP_2)
	v_lshlrev_b32_e32 v5, v11, v5
	v_cndmask_b32_e32 v9, v13, v9, vcc_lo
	s_delay_alu instid0(VALU_DEP_2) | instskip(NEXT) | instid1(VALU_DEP_1)
	v_and_b32_e32 v5, 3, v5
	v_cndmask_b32_e32 v5, v7, v5, vcc_lo
	s_delay_alu instid0(VALU_DEP_3) | instskip(NEXT) | instid1(VALU_DEP_2)
	v_lshl_add_u32 v7, v9, 23, 0x37800000
	v_lshlrev_b32_e32 v5, 21, v5
	s_delay_alu instid0(VALU_DEP_1)
	v_or3_b32 v5, v3, v7, v5
.LBB199_1819:
	s_or_b32 exec_lo, exec_lo, s14
	s_delay_alu instid0(VALU_DEP_1) | instskip(SKIP_2) | instid1(VALU_DEP_2)
	v_bfe_u32 v3, v5, 16, 1
	v_cmp_o_f32_e32 vcc_lo, v5, v5
	s_mov_b32 s13, 0
	v_add3_u32 v3, v5, v3, 0x7fff
	s_delay_alu instid0(VALU_DEP_1) | instskip(NEXT) | instid1(VALU_DEP_1)
	v_lshrrev_b32_e32 v3, 16, v3
	v_cndmask_b32_e32 v3, 0x7fc0, v3, vcc_lo
	s_branch .LBB199_1825
.LBB199_1820:
	s_mov_b32 s13, -1
                                        ; implicit-def: $vgpr3
	s_branch .LBB199_1831
.LBB199_1821:
	s_or_saveexec_b32 s15, s15
	v_mov_b32_e32 v5, 0x7f800001
	s_xor_b32 exec_lo, exec_lo, s15
	s_cbranch_execz .LBB199_1805
.LBB199_1822:
	v_cmp_ne_u16_e32 vcc_lo, 0, v3
	v_mov_b32_e32 v5, 0
	s_and_not1_b32 s14, s14, exec_lo
	s_and_b32 s16, vcc_lo, exec_lo
	s_delay_alu instid0(SALU_CYCLE_1)
	s_or_b32 s14, s14, s16
	s_or_b32 exec_lo, exec_lo, s15
	s_and_saveexec_b32 s15, s14
	s_cbranch_execnz .LBB199_1806
	s_branch .LBB199_1807
.LBB199_1823:
	s_mov_b32 s13, -1
                                        ; implicit-def: $vgpr3
	s_branch .LBB199_1828
.LBB199_1824:
	s_mov_b32 s13, -1
                                        ; implicit-def: $vgpr3
.LBB199_1825:
	s_delay_alu instid0(SALU_CYCLE_1)
	s_and_b32 vcc_lo, exec_lo, s13
	s_cbranch_vccz .LBB199_1827
; %bb.1826:
	s_wait_loadcnt 0x0
	global_load_u8 v3, v[20:21], off
	s_wait_loadcnt 0x0
	v_lshlrev_b32_e32 v3, 24, v3
	s_delay_alu instid0(VALU_DEP_1) | instskip(NEXT) | instid1(VALU_DEP_1)
	v_and_b32_e32 v5, 0x7f000000, v3
	v_clz_i32_u32_e32 v7, v5
	v_add_nc_u32_e32 v11, 0x1000000, v5
	v_cmp_ne_u32_e32 vcc_lo, 0, v5
	s_delay_alu instid0(VALU_DEP_3) | instskip(NEXT) | instid1(VALU_DEP_1)
	v_min_u32_e32 v7, 32, v7
	v_sub_nc_u32_e64 v7, v7, 4 clamp
	s_delay_alu instid0(VALU_DEP_1) | instskip(NEXT) | instid1(VALU_DEP_1)
	v_dual_lshlrev_b32 v9, v7, v5 :: v_dual_lshlrev_b32 v7, 23, v7
	v_lshrrev_b32_e32 v9, 4, v9
	s_delay_alu instid0(VALU_DEP_1) | instskip(SKIP_1) | instid1(VALU_DEP_2)
	v_sub_nc_u32_e32 v7, v9, v7
	v_ashrrev_i32_e32 v9, 8, v11
	v_add_nc_u32_e32 v7, 0x3c000000, v7
	s_delay_alu instid0(VALU_DEP_1) | instskip(NEXT) | instid1(VALU_DEP_1)
	v_and_or_b32 v7, 0x7f800000, v9, v7
	v_cndmask_b32_e32 v5, 0, v7, vcc_lo
	s_delay_alu instid0(VALU_DEP_1) | instskip(SKIP_1) | instid1(VALU_DEP_2)
	v_and_or_b32 v3, 0x80000000, v3, v5
	v_bfe_u32 v5, v5, 16, 1
	v_cmp_o_f32_e32 vcc_lo, v3, v3
	s_delay_alu instid0(VALU_DEP_2) | instskip(NEXT) | instid1(VALU_DEP_1)
	v_add3_u32 v5, v3, v5, 0x7fff
	v_lshrrev_b32_e32 v5, 16, v5
	s_delay_alu instid0(VALU_DEP_1)
	v_cndmask_b32_e32 v3, 0x7fc0, v5, vcc_lo
.LBB199_1827:
	s_mov_b32 s13, 0
.LBB199_1828:
	s_delay_alu instid0(SALU_CYCLE_1)
	s_and_not1_b32 vcc_lo, exec_lo, s13
	s_cbranch_vccnz .LBB199_1830
; %bb.1829:
	s_wait_loadcnt 0x0
	global_load_u8 v3, v[20:21], off
	s_wait_loadcnt 0x0
	v_lshlrev_b32_e32 v5, 25, v3
	v_lshlrev_b16 v3, 8, v3
	s_delay_alu instid0(VALU_DEP_1) | instskip(SKIP_1) | instid1(VALU_DEP_2)
	v_and_or_b32 v9, 0x7f00, v3, 0.5
	v_bfe_i32 v3, v3, 0, 16
	v_add_f32_e32 v9, -0.5, v9
	v_lshrrev_b32_e32 v7, 4, v5
	v_cmp_gt_u32_e32 vcc_lo, 0x8000000, v5
	s_delay_alu instid0(VALU_DEP_2) | instskip(NEXT) | instid1(VALU_DEP_1)
	v_or_b32_e32 v7, 0x70000000, v7
	v_mul_f32_e32 v7, 0x7800000, v7
	s_delay_alu instid0(VALU_DEP_1) | instskip(NEXT) | instid1(VALU_DEP_1)
	v_cndmask_b32_e32 v5, v7, v9, vcc_lo
	v_and_or_b32 v3, 0x80000000, v3, v5
	v_bfe_u32 v5, v5, 16, 1
	s_delay_alu instid0(VALU_DEP_2) | instskip(NEXT) | instid1(VALU_DEP_2)
	v_cmp_o_f32_e32 vcc_lo, v3, v3
	v_add3_u32 v5, v3, v5, 0x7fff
	s_delay_alu instid0(VALU_DEP_1) | instskip(NEXT) | instid1(VALU_DEP_1)
	v_lshrrev_b32_e32 v5, 16, v5
	v_cndmask_b32_e32 v3, 0x7fc0, v5, vcc_lo
.LBB199_1830:
	s_mov_b32 s13, 0
	s_mov_b32 s14, -1
.LBB199_1831:
	s_and_not1_b32 vcc_lo, exec_lo, s13
	s_mov_b32 s13, 0
	s_cbranch_vccnz .LBB199_1842
; %bb.1832:
	s_cmp_gt_i32 s11, 14
	s_cbranch_scc0 .LBB199_1835
; %bb.1833:
	s_cmp_eq_u32 s11, 15
	s_cbranch_scc0 .LBB199_1838
; %bb.1834:
	s_wait_loadcnt 0x0
	global_load_u16 v3, v[20:21], off
	s_mov_b32 s12, 0
	s_mov_b32 s14, -1
	s_branch .LBB199_1840
.LBB199_1835:
	s_mov_b32 s13, -1
	s_branch .LBB199_1839
.LBB199_1836:
	s_or_saveexec_b32 s14, s14
	v_mov_b32_e32 v5, 0x7f800001
	s_xor_b32 exec_lo, exec_lo, s14
	s_cbranch_execz .LBB199_1817
.LBB199_1837:
	v_cmp_ne_u16_e32 vcc_lo, 0, v3
	v_mov_b32_e32 v5, 0
	s_and_not1_b32 s13, s13, exec_lo
	s_and_b32 s15, vcc_lo, exec_lo
	s_delay_alu instid0(SALU_CYCLE_1)
	s_or_b32 s13, s13, s15
	s_or_b32 exec_lo, exec_lo, s14
	s_and_saveexec_b32 s14, s13
	s_cbranch_execnz .LBB199_1818
	s_branch .LBB199_1819
.LBB199_1838:
	s_mov_b32 s12, -1
.LBB199_1839:
                                        ; implicit-def: $vgpr3
.LBB199_1840:
	s_and_b32 vcc_lo, exec_lo, s13
	s_mov_b32 s13, 0
	s_cbranch_vccz .LBB199_1842
; %bb.1841:
	s_cmp_lg_u32 s11, 11
	s_mov_b32 s13, -1
	s_cselect_b32 s12, -1, 0
.LBB199_1842:
	s_delay_alu instid0(SALU_CYCLE_1)
	s_and_b32 vcc_lo, exec_lo, s12
	s_cbranch_vccnz .LBB199_1905
; %bb.1843:
	s_and_not1_b32 vcc_lo, exec_lo, s13
	s_cbranch_vccnz .LBB199_1845
.LBB199_1844:
	s_wait_loadcnt 0x0
	global_load_u8 v3, v[20:21], off
	s_mov_b32 s14, -1
	s_wait_loadcnt 0x0
	v_cmp_ne_u16_e32 vcc_lo, 0, v3
	v_cndmask_b32_e64 v3, 0, 1.0, vcc_lo
	s_delay_alu instid0(VALU_DEP_1)
	v_lshrrev_b32_e32 v3, 16, v3
.LBB199_1845:
	s_branch .LBB199_1771
.LBB199_1846:
	s_and_b32 s11, 0xffff, s10
	s_delay_alu instid0(SALU_CYCLE_1)
	s_cmp_lt_i32 s11, 5
	s_cbranch_scc1 .LBB199_1851
; %bb.1847:
	s_cmp_lt_i32 s11, 8
	s_cbranch_scc1 .LBB199_1852
; %bb.1848:
	;; [unrolled: 3-line block ×3, first 2 shown]
	s_cmp_gt_i32 s11, 9
	s_cbranch_scc0 .LBB199_1854
; %bb.1850:
	global_load_b64 v[22:23], v[20:21], off
	s_mov_b32 s12, 0
	s_wait_loadcnt 0x0
	v_cvt_f32_f64_e32 v3, v[22:23]
	s_delay_alu instid0(VALU_DEP_1) | instskip(SKIP_1) | instid1(VALU_DEP_2)
	v_bfe_u32 v5, v3, 16, 1
	v_cmp_o_f32_e32 vcc_lo, v3, v3
	v_add3_u32 v5, v3, v5, 0x7fff
	s_delay_alu instid0(VALU_DEP_1) | instskip(NEXT) | instid1(VALU_DEP_1)
	v_lshrrev_b32_e32 v5, 16, v5
	v_cndmask_b32_e32 v3, 0x7fc0, v5, vcc_lo
	s_branch .LBB199_1855
.LBB199_1851:
                                        ; implicit-def: $vgpr3
	s_branch .LBB199_1873
.LBB199_1852:
	s_mov_b32 s12, -1
                                        ; implicit-def: $vgpr3
	s_branch .LBB199_1861
.LBB199_1853:
	s_mov_b32 s12, -1
                                        ; implicit-def: $vgpr3
	s_branch .LBB199_1858
.LBB199_1854:
	s_mov_b32 s12, -1
                                        ; implicit-def: $vgpr3
.LBB199_1855:
	s_delay_alu instid0(SALU_CYCLE_1)
	s_and_not1_b32 vcc_lo, exec_lo, s12
	s_cbranch_vccnz .LBB199_1857
; %bb.1856:
	s_wait_loadcnt 0x0
	global_load_b32 v3, v[20:21], off
	s_wait_loadcnt 0x0
	v_bfe_u32 v5, v3, 16, 1
	v_cmp_o_f32_e32 vcc_lo, v3, v3
	s_delay_alu instid0(VALU_DEP_2) | instskip(NEXT) | instid1(VALU_DEP_1)
	v_add3_u32 v5, v3, v5, 0x7fff
	v_lshrrev_b32_e32 v5, 16, v5
	s_delay_alu instid0(VALU_DEP_1)
	v_cndmask_b32_e32 v3, 0x7fc0, v5, vcc_lo
.LBB199_1857:
	s_mov_b32 s12, 0
.LBB199_1858:
	s_delay_alu instid0(SALU_CYCLE_1)
	s_and_not1_b32 vcc_lo, exec_lo, s12
	s_cbranch_vccnz .LBB199_1860
; %bb.1859:
	s_wait_loadcnt 0x0
	global_load_b32 v3, v[20:21], off
	s_wait_loadcnt 0x0
	v_cvt_f32_f16_e32 v5, v3
	v_cmp_o_f16_e32 vcc_lo, v3, v3
	s_delay_alu instid0(VALU_DEP_2) | instskip(NEXT) | instid1(VALU_DEP_1)
	v_bfe_u32 v7, v5, 16, 1
	v_add3_u32 v5, v5, v7, 0x7fff
	s_delay_alu instid0(VALU_DEP_1) | instskip(NEXT) | instid1(VALU_DEP_1)
	v_lshrrev_b32_e32 v5, 16, v5
	v_cndmask_b32_e32 v3, 0x7fc0, v5, vcc_lo
.LBB199_1860:
	s_mov_b32 s12, 0
.LBB199_1861:
	s_delay_alu instid0(SALU_CYCLE_1)
	s_and_not1_b32 vcc_lo, exec_lo, s12
	s_cbranch_vccnz .LBB199_1872
; %bb.1862:
	s_cmp_lt_i32 s11, 6
	s_cbranch_scc1 .LBB199_1865
; %bb.1863:
	s_cmp_gt_i32 s11, 6
	s_cbranch_scc0 .LBB199_1866
; %bb.1864:
	global_load_b64 v[22:23], v[20:21], off
	s_mov_b32 s12, 0
	s_wait_loadcnt 0x0
	v_cvt_f32_f64_e32 v3, v[22:23]
	s_delay_alu instid0(VALU_DEP_1) | instskip(SKIP_1) | instid1(VALU_DEP_2)
	v_bfe_u32 v5, v3, 16, 1
	v_cmp_o_f32_e32 vcc_lo, v3, v3
	v_add3_u32 v5, v3, v5, 0x7fff
	s_delay_alu instid0(VALU_DEP_1) | instskip(NEXT) | instid1(VALU_DEP_1)
	v_lshrrev_b32_e32 v5, 16, v5
	v_cndmask_b32_e32 v3, 0x7fc0, v5, vcc_lo
	s_branch .LBB199_1867
.LBB199_1865:
	s_mov_b32 s12, -1
                                        ; implicit-def: $vgpr3
	s_branch .LBB199_1870
.LBB199_1866:
	s_mov_b32 s12, -1
                                        ; implicit-def: $vgpr3
.LBB199_1867:
	s_delay_alu instid0(SALU_CYCLE_1)
	s_and_not1_b32 vcc_lo, exec_lo, s12
	s_cbranch_vccnz .LBB199_1869
; %bb.1868:
	s_wait_loadcnt 0x0
	global_load_b32 v3, v[20:21], off
	s_wait_loadcnt 0x0
	v_bfe_u32 v5, v3, 16, 1
	v_cmp_o_f32_e32 vcc_lo, v3, v3
	s_delay_alu instid0(VALU_DEP_2) | instskip(NEXT) | instid1(VALU_DEP_1)
	v_add3_u32 v5, v3, v5, 0x7fff
	v_lshrrev_b32_e32 v5, 16, v5
	s_delay_alu instid0(VALU_DEP_1)
	v_cndmask_b32_e32 v3, 0x7fc0, v5, vcc_lo
.LBB199_1869:
	s_mov_b32 s12, 0
.LBB199_1870:
	s_delay_alu instid0(SALU_CYCLE_1)
	s_and_not1_b32 vcc_lo, exec_lo, s12
	s_cbranch_vccnz .LBB199_1872
; %bb.1871:
	s_wait_loadcnt 0x0
	global_load_u16 v3, v[20:21], off
	s_wait_loadcnt 0x0
	v_cvt_f32_f16_e32 v5, v3
	v_cmp_o_f16_e32 vcc_lo, v3, v3
	s_delay_alu instid0(VALU_DEP_2) | instskip(NEXT) | instid1(VALU_DEP_1)
	v_bfe_u32 v7, v5, 16, 1
	v_add3_u32 v5, v5, v7, 0x7fff
	s_delay_alu instid0(VALU_DEP_1) | instskip(NEXT) | instid1(VALU_DEP_1)
	v_lshrrev_b32_e32 v5, 16, v5
	v_cndmask_b32_e32 v3, 0x7fc0, v5, vcc_lo
.LBB199_1872:
	s_cbranch_execnz .LBB199_1892
.LBB199_1873:
	s_cmp_lt_i32 s11, 2
	s_cbranch_scc1 .LBB199_1877
; %bb.1874:
	s_cmp_lt_i32 s11, 3
	s_cbranch_scc1 .LBB199_1878
; %bb.1875:
	s_cmp_gt_i32 s11, 3
	s_cbranch_scc0 .LBB199_1879
; %bb.1876:
	global_load_b64 v[22:23], v[20:21], off
	s_mov_b32 s12, 0
	s_wait_loadcnt 0x0
	v_xor_b32_e32 v3, v22, v23
	v_cls_i32_e32 v5, v23
	s_delay_alu instid0(VALU_DEP_2) | instskip(NEXT) | instid1(VALU_DEP_1)
	v_ashrrev_i32_e32 v3, 31, v3
	v_add_nc_u32_e32 v3, 32, v3
	s_delay_alu instid0(VALU_DEP_1) | instskip(NEXT) | instid1(VALU_DEP_1)
	v_add_min_u32_e64 v3, v5, -1, v3
	v_lshlrev_b64_e32 v[22:23], v3, v[22:23]
	v_sub_nc_u32_e32 v3, 32, v3
	s_delay_alu instid0(VALU_DEP_2) | instskip(NEXT) | instid1(VALU_DEP_1)
	v_min_u32_e32 v5, 1, v22
	v_or_b32_e32 v5, v23, v5
	s_delay_alu instid0(VALU_DEP_1) | instskip(NEXT) | instid1(VALU_DEP_1)
	v_cvt_f32_i32_e32 v5, v5
	v_ldexp_f32 v3, v5, v3
	s_delay_alu instid0(VALU_DEP_1) | instskip(NEXT) | instid1(VALU_DEP_1)
	v_bfe_u32 v5, v3, 16, 1
	v_add3_u32 v3, v3, v5, 0x7fff
	s_delay_alu instid0(VALU_DEP_1)
	v_lshrrev_b32_e32 v3, 16, v3
	s_branch .LBB199_1880
.LBB199_1877:
	s_mov_b32 s12, -1
                                        ; implicit-def: $vgpr3
	s_branch .LBB199_1886
.LBB199_1878:
	s_mov_b32 s12, -1
                                        ; implicit-def: $vgpr3
	s_branch .LBB199_1883
.LBB199_1879:
	s_mov_b32 s12, -1
                                        ; implicit-def: $vgpr3
.LBB199_1880:
	s_delay_alu instid0(SALU_CYCLE_1)
	s_and_not1_b32 vcc_lo, exec_lo, s12
	s_cbranch_vccnz .LBB199_1882
; %bb.1881:
	s_wait_loadcnt 0x0
	global_load_b32 v3, v[20:21], off
	s_wait_loadcnt 0x0
	v_cvt_f32_i32_e32 v3, v3
	s_delay_alu instid0(VALU_DEP_1) | instskip(NEXT) | instid1(VALU_DEP_1)
	v_bfe_u32 v5, v3, 16, 1
	v_add3_u32 v3, v3, v5, 0x7fff
	s_delay_alu instid0(VALU_DEP_1)
	v_lshrrev_b32_e32 v3, 16, v3
.LBB199_1882:
	s_mov_b32 s12, 0
.LBB199_1883:
	s_delay_alu instid0(SALU_CYCLE_1)
	s_and_not1_b32 vcc_lo, exec_lo, s12
	s_cbranch_vccnz .LBB199_1885
; %bb.1884:
	s_wait_loadcnt 0x0
	global_load_i16 v3, v[20:21], off
	s_wait_loadcnt 0x0
	v_cvt_f32_i32_e32 v3, v3
	s_delay_alu instid0(VALU_DEP_1) | instskip(NEXT) | instid1(VALU_DEP_1)
	v_bfe_u32 v5, v3, 16, 1
	v_add3_u32 v3, v3, v5, 0x7fff
	s_delay_alu instid0(VALU_DEP_1)
	v_lshrrev_b32_e32 v3, 16, v3
.LBB199_1885:
	s_mov_b32 s12, 0
.LBB199_1886:
	s_delay_alu instid0(SALU_CYCLE_1)
	s_and_not1_b32 vcc_lo, exec_lo, s12
	s_cbranch_vccnz .LBB199_1892
; %bb.1887:
	s_cmp_gt_i32 s11, 0
	s_mov_b32 s11, 0
	s_cbranch_scc0 .LBB199_1889
; %bb.1888:
	s_wait_loadcnt 0x0
	global_load_i8 v3, v[20:21], off
	s_wait_loadcnt 0x0
	v_cvt_f32_i32_e32 v3, v3
	s_delay_alu instid0(VALU_DEP_1) | instskip(NEXT) | instid1(VALU_DEP_1)
	v_bfe_u32 v5, v3, 16, 1
	v_add3_u32 v3, v3, v5, 0x7fff
	s_delay_alu instid0(VALU_DEP_1)
	v_lshrrev_b32_e32 v3, 16, v3
	s_branch .LBB199_1890
.LBB199_1889:
	s_mov_b32 s11, -1
                                        ; implicit-def: $vgpr3
.LBB199_1890:
	s_delay_alu instid0(SALU_CYCLE_1)
	s_and_not1_b32 vcc_lo, exec_lo, s11
	s_cbranch_vccnz .LBB199_1892
; %bb.1891:
	s_wait_loadcnt 0x0
	global_load_u8 v3, v[20:21], off
	s_wait_loadcnt 0x0
	v_cvt_f32_ubyte0_e32 v3, v3
	s_delay_alu instid0(VALU_DEP_1) | instskip(NEXT) | instid1(VALU_DEP_1)
	v_bfe_u32 v5, v3, 16, 1
	v_add3_u32 v3, v3, v5, 0x7fff
	s_delay_alu instid0(VALU_DEP_1)
	v_lshrrev_b32_e32 v3, 16, v3
.LBB199_1892:
.LBB199_1893:
	v_mov_b32_e32 v19, 0
	s_and_b32 s2, 0xffff, s2
	s_delay_alu instid0(SALU_CYCLE_1) | instskip(NEXT) | instid1(VALU_DEP_1)
	s_cmp_lt_i32 s2, 11
	v_add_nc_u64_e32 v[18:19], s[6:7], v[18:19]
	s_cbranch_scc1 .LBB199_1900
; %bb.1894:
	s_cmp_gt_i32 s2, 25
	s_mov_b32 s12, 0
	s_cbranch_scc0 .LBB199_1902
; %bb.1895:
	s_cmp_gt_i32 s2, 28
	s_cbranch_scc0 .LBB199_1903
; %bb.1896:
	s_cmp_gt_i32 s2, 43
	;; [unrolled: 3-line block ×3, first 2 shown]
	s_cbranch_scc0 .LBB199_1906
; %bb.1898:
	s_cmp_eq_u32 s2, 46
	s_mov_b32 s14, 0
	s_cbranch_scc0 .LBB199_1907
; %bb.1899:
	global_load_b32 v5, v[18:19], off
	s_mov_b32 s11, 0
	s_mov_b32 s13, -1
	s_branch .LBB199_1909
.LBB199_1900:
	s_mov_b32 s13, 0
                                        ; implicit-def: $vgpr5
	s_cbranch_execnz .LBB199_1975
.LBB199_1901:
	s_and_not1_b32 vcc_lo, exec_lo, s13
	s_cbranch_vccnz .LBB199_3112
	s_branch .LBB199_2023
.LBB199_1902:
	s_mov_b32 s14, -1
	s_mov_b32 s13, 0
	s_mov_b32 s11, 0
                                        ; implicit-def: $vgpr5
	s_branch .LBB199_1938
.LBB199_1903:
	s_mov_b32 s14, -1
	s_mov_b32 s13, 0
	s_mov_b32 s11, 0
                                        ; implicit-def: $vgpr5
	s_branch .LBB199_1919
.LBB199_1904:
	s_mov_b32 s14, -1
	s_mov_b32 s13, 0
	s_mov_b32 s11, 0
                                        ; implicit-def: $vgpr5
	s_branch .LBB199_1914
.LBB199_1905:
	s_or_b32 s9, s9, exec_lo
	s_trap 2
	s_cbranch_execz .LBB199_1844
	s_branch .LBB199_1845
.LBB199_1906:
	s_mov_b32 s14, -1
	s_mov_b32 s13, 0
	s_mov_b32 s11, 0
	s_branch .LBB199_1908
.LBB199_1907:
	s_mov_b32 s11, -1
	s_mov_b32 s13, 0
.LBB199_1908:
                                        ; implicit-def: $vgpr5
.LBB199_1909:
	s_and_b32 vcc_lo, exec_lo, s14
	s_cbranch_vccz .LBB199_1913
; %bb.1910:
	s_cmp_eq_u32 s2, 44
	s_cbranch_scc0 .LBB199_1912
; %bb.1911:
	s_wait_loadcnt 0x0
	global_load_u8 v5, v[18:19], off
	s_mov_b32 s11, 0
	s_mov_b32 s13, -1
	s_wait_loadcnt 0x0
	v_lshlrev_b32_e32 v7, 23, v5
	v_cmp_ne_u32_e32 vcc_lo, 0xff, v5
	s_delay_alu instid0(VALU_DEP_2) | instskip(SKIP_1) | instid1(VALU_DEP_2)
	v_cndmask_b32_e32 v7, 0x7f800001, v7, vcc_lo
	v_cmp_ne_u32_e32 vcc_lo, 0, v5
	v_cndmask_b32_e32 v5, 0x400000, v7, vcc_lo
	s_delay_alu instid0(VALU_DEP_1) | instskip(SKIP_1) | instid1(VALU_DEP_2)
	v_add_nc_u32_e32 v7, 0x7fff, v5
	v_cmp_o_f32_e32 vcc_lo, v5, v5
	v_lshrrev_b32_e32 v7, 16, v7
	s_delay_alu instid0(VALU_DEP_1)
	v_cndmask_b32_e32 v5, 0x7fc0, v7, vcc_lo
	s_branch .LBB199_1913
.LBB199_1912:
	s_mov_b32 s11, -1
                                        ; implicit-def: $vgpr5
.LBB199_1913:
	s_mov_b32 s14, 0
.LBB199_1914:
	s_delay_alu instid0(SALU_CYCLE_1)
	s_and_b32 vcc_lo, exec_lo, s14
	s_cbranch_vccz .LBB199_1918
; %bb.1915:
	s_cmp_eq_u32 s2, 29
	s_cbranch_scc0 .LBB199_1917
; %bb.1916:
	global_load_b64 v[20:21], v[18:19], off
	s_mov_b32 s11, 0
	s_mov_b32 s13, -1
	s_mov_b32 s14, 0
	s_wait_loadcnt 0x0
	v_clz_i32_u32_e32 v5, v21
	s_delay_alu instid0(VALU_DEP_1) | instskip(NEXT) | instid1(VALU_DEP_1)
	v_min_u32_e32 v5, 32, v5
	v_lshlrev_b64_e32 v[20:21], v5, v[20:21]
	v_sub_nc_u32_e32 v5, 32, v5
	s_delay_alu instid0(VALU_DEP_2) | instskip(NEXT) | instid1(VALU_DEP_1)
	v_min_u32_e32 v7, 1, v20
	v_or_b32_e32 v7, v21, v7
	s_delay_alu instid0(VALU_DEP_1) | instskip(NEXT) | instid1(VALU_DEP_1)
	v_cvt_f32_u32_e32 v7, v7
	v_ldexp_f32 v5, v7, v5
	s_delay_alu instid0(VALU_DEP_1) | instskip(NEXT) | instid1(VALU_DEP_1)
	v_bfe_u32 v7, v5, 16, 1
	v_add3_u32 v5, v5, v7, 0x7fff
	s_delay_alu instid0(VALU_DEP_1)
	v_lshrrev_b32_e32 v5, 16, v5
	s_branch .LBB199_1919
.LBB199_1917:
	s_mov_b32 s11, -1
                                        ; implicit-def: $vgpr5
.LBB199_1918:
	s_mov_b32 s14, 0
.LBB199_1919:
	s_delay_alu instid0(SALU_CYCLE_1)
	s_and_b32 vcc_lo, exec_lo, s14
	s_cbranch_vccz .LBB199_1937
; %bb.1920:
	s_cmp_lt_i32 s2, 27
	s_cbranch_scc1 .LBB199_1923
; %bb.1921:
	s_cmp_gt_i32 s2, 27
	s_cbranch_scc0 .LBB199_1924
; %bb.1922:
	s_wait_loadcnt 0x0
	global_load_b32 v5, v[18:19], off
	s_mov_b32 s13, 0
	s_wait_loadcnt 0x0
	v_cvt_f32_u32_e32 v5, v5
	s_delay_alu instid0(VALU_DEP_1) | instskip(NEXT) | instid1(VALU_DEP_1)
	v_bfe_u32 v7, v5, 16, 1
	v_add3_u32 v5, v5, v7, 0x7fff
	s_delay_alu instid0(VALU_DEP_1)
	v_lshrrev_b32_e32 v5, 16, v5
	s_branch .LBB199_1925
.LBB199_1923:
	s_mov_b32 s13, -1
                                        ; implicit-def: $vgpr5
	s_branch .LBB199_1928
.LBB199_1924:
	s_mov_b32 s13, -1
                                        ; implicit-def: $vgpr5
.LBB199_1925:
	s_delay_alu instid0(SALU_CYCLE_1)
	s_and_not1_b32 vcc_lo, exec_lo, s13
	s_cbranch_vccnz .LBB199_1927
; %bb.1926:
	s_wait_loadcnt 0x0
	global_load_u16 v5, v[18:19], off
	s_wait_loadcnt 0x0
	v_cvt_f32_u32_e32 v5, v5
	s_delay_alu instid0(VALU_DEP_1) | instskip(NEXT) | instid1(VALU_DEP_1)
	v_bfe_u32 v7, v5, 16, 1
	v_add3_u32 v5, v5, v7, 0x7fff
	s_delay_alu instid0(VALU_DEP_1)
	v_lshrrev_b32_e32 v5, 16, v5
.LBB199_1927:
	s_mov_b32 s13, 0
.LBB199_1928:
	s_delay_alu instid0(SALU_CYCLE_1)
	s_and_not1_b32 vcc_lo, exec_lo, s13
	s_cbranch_vccnz .LBB199_1936
; %bb.1929:
	s_wait_loadcnt 0x0
	global_load_u8 v5, v[18:19], off
	s_mov_b32 s13, 0
	s_mov_b32 s14, exec_lo
	s_wait_loadcnt 0x0
	v_cmpx_lt_i16_e32 0x7f, v5
	s_xor_b32 s14, exec_lo, s14
	s_cbranch_execz .LBB199_1950
; %bb.1930:
	s_mov_b32 s13, -1
	s_mov_b32 s15, exec_lo
	v_cmpx_eq_u16_e32 0x80, v5
; %bb.1931:
	s_xor_b32 s13, exec_lo, -1
; %bb.1932:
	s_or_b32 exec_lo, exec_lo, s15
	s_delay_alu instid0(SALU_CYCLE_1)
	s_and_b32 s13, s13, exec_lo
	s_or_saveexec_b32 s14, s14
	v_mov_b32_e32 v7, 0x7f800001
	s_xor_b32 exec_lo, exec_lo, s14
	s_cbranch_execnz .LBB199_1951
.LBB199_1933:
	s_or_b32 exec_lo, exec_lo, s14
	s_and_saveexec_b32 s14, s13
	s_cbranch_execz .LBB199_1935
.LBB199_1934:
	v_and_b32_e32 v7, 0xffff, v5
	s_delay_alu instid0(VALU_DEP_1) | instskip(SKIP_1) | instid1(VALU_DEP_2)
	v_dual_lshlrev_b32 v5, 24, v5 :: v_dual_bitop2_b32 v9, 7, v7 bitop3:0x40
	v_bfe_u32 v15, v7, 3, 4
	v_and_b32_e32 v5, 0x80000000, v5
	s_delay_alu instid0(VALU_DEP_3) | instskip(NEXT) | instid1(VALU_DEP_3)
	v_clz_i32_u32_e32 v11, v9
	v_cmp_eq_u32_e32 vcc_lo, 0, v15
	s_delay_alu instid0(VALU_DEP_2) | instskip(NEXT) | instid1(VALU_DEP_1)
	v_min_u32_e32 v11, 32, v11
	v_subrev_nc_u32_e32 v13, 28, v11
	v_sub_nc_u32_e32 v11, 29, v11
	s_delay_alu instid0(VALU_DEP_2) | instskip(NEXT) | instid1(VALU_DEP_2)
	v_lshlrev_b32_e32 v7, v13, v7
	v_cndmask_b32_e32 v11, v15, v11, vcc_lo
	s_delay_alu instid0(VALU_DEP_2) | instskip(NEXT) | instid1(VALU_DEP_1)
	v_and_b32_e32 v7, 7, v7
	v_cndmask_b32_e32 v7, v9, v7, vcc_lo
	s_delay_alu instid0(VALU_DEP_3) | instskip(NEXT) | instid1(VALU_DEP_2)
	v_lshl_add_u32 v9, v11, 23, 0x3b800000
	v_lshlrev_b32_e32 v7, 20, v7
	s_delay_alu instid0(VALU_DEP_1)
	v_or3_b32 v7, v5, v9, v7
.LBB199_1935:
	s_or_b32 exec_lo, exec_lo, s14
	s_delay_alu instid0(VALU_DEP_1) | instskip(SKIP_1) | instid1(VALU_DEP_2)
	v_bfe_u32 v5, v7, 16, 1
	v_cmp_o_f32_e32 vcc_lo, v7, v7
	v_add3_u32 v5, v7, v5, 0x7fff
	s_delay_alu instid0(VALU_DEP_1) | instskip(NEXT) | instid1(VALU_DEP_1)
	v_lshrrev_b32_e32 v5, 16, v5
	v_cndmask_b32_e32 v5, 0x7fc0, v5, vcc_lo
.LBB199_1936:
	s_mov_b32 s13, -1
.LBB199_1937:
	s_mov_b32 s14, 0
.LBB199_1938:
	s_delay_alu instid0(SALU_CYCLE_1)
	s_and_b32 vcc_lo, exec_lo, s14
	s_cbranch_vccz .LBB199_1971
; %bb.1939:
	s_cmp_gt_i32 s2, 22
	s_cbranch_scc0 .LBB199_1949
; %bb.1940:
	s_cmp_lt_i32 s2, 24
	s_cbranch_scc1 .LBB199_1952
; %bb.1941:
	s_cmp_gt_i32 s2, 24
	s_cbranch_scc0 .LBB199_1953
; %bb.1942:
	s_wait_loadcnt 0x0
	global_load_u8 v5, v[18:19], off
	s_mov_b32 s13, exec_lo
	s_wait_loadcnt 0x0
	v_cmpx_lt_i16_e32 0x7f, v5
	s_xor_b32 s13, exec_lo, s13
	s_cbranch_execz .LBB199_1965
; %bb.1943:
	s_mov_b32 s12, -1
	s_mov_b32 s14, exec_lo
	v_cmpx_eq_u16_e32 0x80, v5
; %bb.1944:
	s_xor_b32 s12, exec_lo, -1
; %bb.1945:
	s_or_b32 exec_lo, exec_lo, s14
	s_delay_alu instid0(SALU_CYCLE_1)
	s_and_b32 s12, s12, exec_lo
	s_or_saveexec_b32 s13, s13
	v_mov_b32_e32 v7, 0x7f800001
	s_xor_b32 exec_lo, exec_lo, s13
	s_cbranch_execnz .LBB199_1966
.LBB199_1946:
	s_or_b32 exec_lo, exec_lo, s13
	s_and_saveexec_b32 s13, s12
	s_cbranch_execz .LBB199_1948
.LBB199_1947:
	v_and_b32_e32 v7, 0xffff, v5
	s_delay_alu instid0(VALU_DEP_1) | instskip(SKIP_1) | instid1(VALU_DEP_2)
	v_dual_lshlrev_b32 v5, 24, v5 :: v_dual_bitop2_b32 v9, 3, v7 bitop3:0x40
	v_bfe_u32 v15, v7, 2, 5
	v_and_b32_e32 v5, 0x80000000, v5
	s_delay_alu instid0(VALU_DEP_3) | instskip(NEXT) | instid1(VALU_DEP_3)
	v_clz_i32_u32_e32 v11, v9
	v_cmp_eq_u32_e32 vcc_lo, 0, v15
	s_delay_alu instid0(VALU_DEP_2) | instskip(NEXT) | instid1(VALU_DEP_1)
	v_min_u32_e32 v11, 32, v11
	v_subrev_nc_u32_e32 v13, 29, v11
	v_sub_nc_u32_e32 v11, 30, v11
	s_delay_alu instid0(VALU_DEP_2) | instskip(NEXT) | instid1(VALU_DEP_2)
	v_lshlrev_b32_e32 v7, v13, v7
	v_cndmask_b32_e32 v11, v15, v11, vcc_lo
	s_delay_alu instid0(VALU_DEP_2) | instskip(NEXT) | instid1(VALU_DEP_1)
	v_and_b32_e32 v7, 3, v7
	v_cndmask_b32_e32 v7, v9, v7, vcc_lo
	s_delay_alu instid0(VALU_DEP_3) | instskip(NEXT) | instid1(VALU_DEP_2)
	v_lshl_add_u32 v9, v11, 23, 0x37800000
	v_lshlrev_b32_e32 v7, 21, v7
	s_delay_alu instid0(VALU_DEP_1)
	v_or3_b32 v7, v5, v9, v7
.LBB199_1948:
	s_or_b32 exec_lo, exec_lo, s13
	s_delay_alu instid0(VALU_DEP_1) | instskip(SKIP_2) | instid1(VALU_DEP_2)
	v_bfe_u32 v5, v7, 16, 1
	v_cmp_o_f32_e32 vcc_lo, v7, v7
	s_mov_b32 s12, 0
	v_add3_u32 v5, v7, v5, 0x7fff
	s_delay_alu instid0(VALU_DEP_1) | instskip(NEXT) | instid1(VALU_DEP_1)
	v_lshrrev_b32_e32 v5, 16, v5
	v_cndmask_b32_e32 v5, 0x7fc0, v5, vcc_lo
	s_branch .LBB199_1954
.LBB199_1949:
	s_mov_b32 s12, -1
                                        ; implicit-def: $vgpr5
	s_branch .LBB199_1960
.LBB199_1950:
	s_or_saveexec_b32 s14, s14
	v_mov_b32_e32 v7, 0x7f800001
	s_xor_b32 exec_lo, exec_lo, s14
	s_cbranch_execz .LBB199_1933
.LBB199_1951:
	v_cmp_ne_u16_e32 vcc_lo, 0, v5
	v_mov_b32_e32 v7, 0
	s_and_not1_b32 s13, s13, exec_lo
	s_and_b32 s15, vcc_lo, exec_lo
	s_delay_alu instid0(SALU_CYCLE_1)
	s_or_b32 s13, s13, s15
	s_or_b32 exec_lo, exec_lo, s14
	s_and_saveexec_b32 s14, s13
	s_cbranch_execnz .LBB199_1934
	s_branch .LBB199_1935
.LBB199_1952:
	s_mov_b32 s12, -1
                                        ; implicit-def: $vgpr5
	s_branch .LBB199_1957
.LBB199_1953:
	s_mov_b32 s12, -1
                                        ; implicit-def: $vgpr5
.LBB199_1954:
	s_delay_alu instid0(SALU_CYCLE_1)
	s_and_b32 vcc_lo, exec_lo, s12
	s_cbranch_vccz .LBB199_1956
; %bb.1955:
	s_wait_loadcnt 0x0
	global_load_u8 v5, v[18:19], off
	s_wait_loadcnt 0x0
	v_lshlrev_b32_e32 v5, 24, v5
	s_delay_alu instid0(VALU_DEP_1) | instskip(NEXT) | instid1(VALU_DEP_1)
	v_and_b32_e32 v7, 0x7f000000, v5
	v_clz_i32_u32_e32 v9, v7
	v_add_nc_u32_e32 v13, 0x1000000, v7
	v_cmp_ne_u32_e32 vcc_lo, 0, v7
	s_delay_alu instid0(VALU_DEP_3) | instskip(NEXT) | instid1(VALU_DEP_1)
	v_min_u32_e32 v9, 32, v9
	v_sub_nc_u32_e64 v9, v9, 4 clamp
	s_delay_alu instid0(VALU_DEP_1) | instskip(NEXT) | instid1(VALU_DEP_1)
	v_dual_lshlrev_b32 v11, v9, v7 :: v_dual_lshlrev_b32 v9, 23, v9
	v_lshrrev_b32_e32 v11, 4, v11
	s_delay_alu instid0(VALU_DEP_1) | instskip(SKIP_1) | instid1(VALU_DEP_2)
	v_sub_nc_u32_e32 v9, v11, v9
	v_ashrrev_i32_e32 v11, 8, v13
	v_add_nc_u32_e32 v9, 0x3c000000, v9
	s_delay_alu instid0(VALU_DEP_1) | instskip(NEXT) | instid1(VALU_DEP_1)
	v_and_or_b32 v9, 0x7f800000, v11, v9
	v_cndmask_b32_e32 v7, 0, v9, vcc_lo
	s_delay_alu instid0(VALU_DEP_1) | instskip(SKIP_1) | instid1(VALU_DEP_2)
	v_and_or_b32 v5, 0x80000000, v5, v7
	v_bfe_u32 v7, v7, 16, 1
	v_cmp_o_f32_e32 vcc_lo, v5, v5
	s_delay_alu instid0(VALU_DEP_2) | instskip(NEXT) | instid1(VALU_DEP_1)
	v_add3_u32 v7, v5, v7, 0x7fff
	v_lshrrev_b32_e32 v7, 16, v7
	s_delay_alu instid0(VALU_DEP_1)
	v_cndmask_b32_e32 v5, 0x7fc0, v7, vcc_lo
.LBB199_1956:
	s_mov_b32 s12, 0
.LBB199_1957:
	s_delay_alu instid0(SALU_CYCLE_1)
	s_and_not1_b32 vcc_lo, exec_lo, s12
	s_cbranch_vccnz .LBB199_1959
; %bb.1958:
	s_wait_loadcnt 0x0
	global_load_u8 v5, v[18:19], off
	s_wait_loadcnt 0x0
	v_lshlrev_b32_e32 v7, 25, v5
	v_lshlrev_b16 v5, 8, v5
	s_delay_alu instid0(VALU_DEP_1) | instskip(SKIP_1) | instid1(VALU_DEP_2)
	v_and_or_b32 v11, 0x7f00, v5, 0.5
	v_bfe_i32 v5, v5, 0, 16
	v_add_f32_e32 v11, -0.5, v11
	v_lshrrev_b32_e32 v9, 4, v7
	v_cmp_gt_u32_e32 vcc_lo, 0x8000000, v7
	s_delay_alu instid0(VALU_DEP_2) | instskip(NEXT) | instid1(VALU_DEP_1)
	v_or_b32_e32 v9, 0x70000000, v9
	v_mul_f32_e32 v9, 0x7800000, v9
	s_delay_alu instid0(VALU_DEP_1) | instskip(NEXT) | instid1(VALU_DEP_1)
	v_cndmask_b32_e32 v7, v9, v11, vcc_lo
	v_and_or_b32 v5, 0x80000000, v5, v7
	v_bfe_u32 v7, v7, 16, 1
	s_delay_alu instid0(VALU_DEP_2) | instskip(NEXT) | instid1(VALU_DEP_2)
	v_cmp_o_f32_e32 vcc_lo, v5, v5
	v_add3_u32 v7, v5, v7, 0x7fff
	s_delay_alu instid0(VALU_DEP_1) | instskip(NEXT) | instid1(VALU_DEP_1)
	v_lshrrev_b32_e32 v7, 16, v7
	v_cndmask_b32_e32 v5, 0x7fc0, v7, vcc_lo
.LBB199_1959:
	s_mov_b32 s12, 0
	s_mov_b32 s13, -1
.LBB199_1960:
	s_and_not1_b32 vcc_lo, exec_lo, s12
	s_mov_b32 s12, 0
	s_cbranch_vccnz .LBB199_1971
; %bb.1961:
	s_cmp_gt_i32 s2, 14
	s_cbranch_scc0 .LBB199_1964
; %bb.1962:
	s_cmp_eq_u32 s2, 15
	s_cbranch_scc0 .LBB199_1967
; %bb.1963:
	s_wait_loadcnt 0x0
	global_load_u16 v5, v[18:19], off
	s_mov_b32 s11, 0
	s_mov_b32 s13, -1
	s_branch .LBB199_1969
.LBB199_1964:
	s_mov_b32 s12, -1
	s_branch .LBB199_1968
.LBB199_1965:
	s_or_saveexec_b32 s13, s13
	v_mov_b32_e32 v7, 0x7f800001
	s_xor_b32 exec_lo, exec_lo, s13
	s_cbranch_execz .LBB199_1946
.LBB199_1966:
	v_cmp_ne_u16_e32 vcc_lo, 0, v5
	v_mov_b32_e32 v7, 0
	s_and_not1_b32 s12, s12, exec_lo
	s_and_b32 s14, vcc_lo, exec_lo
	s_delay_alu instid0(SALU_CYCLE_1)
	s_or_b32 s12, s12, s14
	s_or_b32 exec_lo, exec_lo, s13
	s_and_saveexec_b32 s13, s12
	s_cbranch_execnz .LBB199_1947
	s_branch .LBB199_1948
.LBB199_1967:
	s_mov_b32 s11, -1
.LBB199_1968:
                                        ; implicit-def: $vgpr5
.LBB199_1969:
	s_and_b32 vcc_lo, exec_lo, s12
	s_mov_b32 s12, 0
	s_cbranch_vccz .LBB199_1971
; %bb.1970:
	s_cmp_lg_u32 s2, 11
	s_mov_b32 s12, -1
	s_cselect_b32 s11, -1, 0
.LBB199_1971:
	s_delay_alu instid0(SALU_CYCLE_1)
	s_and_b32 vcc_lo, exec_lo, s11
	s_cbranch_vccnz .LBB199_2034
; %bb.1972:
	s_and_not1_b32 vcc_lo, exec_lo, s12
	s_cbranch_vccnz .LBB199_1974
.LBB199_1973:
	s_wait_loadcnt 0x0
	global_load_u8 v5, v[18:19], off
	s_mov_b32 s13, -1
	s_wait_loadcnt 0x0
	v_cmp_ne_u16_e32 vcc_lo, 0, v5
	v_cndmask_b32_e64 v5, 0, 1.0, vcc_lo
	s_delay_alu instid0(VALU_DEP_1)
	v_lshrrev_b32_e32 v5, 16, v5
.LBB199_1974:
	s_branch .LBB199_1901
.LBB199_1975:
	s_cmp_lt_i32 s2, 5
	s_cbranch_scc1 .LBB199_1980
; %bb.1976:
	s_cmp_lt_i32 s2, 8
	s_cbranch_scc1 .LBB199_1981
; %bb.1977:
	;; [unrolled: 3-line block ×3, first 2 shown]
	s_cmp_gt_i32 s2, 9
	s_cbranch_scc0 .LBB199_1983
; %bb.1979:
	global_load_b64 v[20:21], v[18:19], off
	s_mov_b32 s11, 0
	s_wait_loadcnt 0x0
	v_cvt_f32_f64_e32 v5, v[20:21]
	s_delay_alu instid0(VALU_DEP_1) | instskip(SKIP_1) | instid1(VALU_DEP_2)
	v_bfe_u32 v7, v5, 16, 1
	v_cmp_o_f32_e32 vcc_lo, v5, v5
	v_add3_u32 v7, v5, v7, 0x7fff
	s_delay_alu instid0(VALU_DEP_1) | instskip(NEXT) | instid1(VALU_DEP_1)
	v_lshrrev_b32_e32 v7, 16, v7
	v_cndmask_b32_e32 v5, 0x7fc0, v7, vcc_lo
	s_branch .LBB199_1984
.LBB199_1980:
	s_mov_b32 s11, -1
                                        ; implicit-def: $vgpr5
	s_branch .LBB199_2002
.LBB199_1981:
	s_mov_b32 s11, -1
                                        ; implicit-def: $vgpr5
	s_branch .LBB199_1990
.LBB199_1982:
	s_mov_b32 s11, -1
                                        ; implicit-def: $vgpr5
	s_branch .LBB199_1987
.LBB199_1983:
	s_mov_b32 s11, -1
                                        ; implicit-def: $vgpr5
.LBB199_1984:
	s_delay_alu instid0(SALU_CYCLE_1)
	s_and_not1_b32 vcc_lo, exec_lo, s11
	s_cbranch_vccnz .LBB199_1986
; %bb.1985:
	s_wait_loadcnt 0x0
	global_load_b32 v5, v[18:19], off
	s_wait_loadcnt 0x0
	v_bfe_u32 v7, v5, 16, 1
	v_cmp_o_f32_e32 vcc_lo, v5, v5
	s_delay_alu instid0(VALU_DEP_2) | instskip(NEXT) | instid1(VALU_DEP_1)
	v_add3_u32 v7, v5, v7, 0x7fff
	v_lshrrev_b32_e32 v7, 16, v7
	s_delay_alu instid0(VALU_DEP_1)
	v_cndmask_b32_e32 v5, 0x7fc0, v7, vcc_lo
.LBB199_1986:
	s_mov_b32 s11, 0
.LBB199_1987:
	s_delay_alu instid0(SALU_CYCLE_1)
	s_and_not1_b32 vcc_lo, exec_lo, s11
	s_cbranch_vccnz .LBB199_1989
; %bb.1988:
	s_wait_loadcnt 0x0
	global_load_b32 v5, v[18:19], off
	s_wait_loadcnt 0x0
	v_cvt_f32_f16_e32 v7, v5
	v_cmp_o_f16_e32 vcc_lo, v5, v5
	s_delay_alu instid0(VALU_DEP_2) | instskip(NEXT) | instid1(VALU_DEP_1)
	v_bfe_u32 v9, v7, 16, 1
	v_add3_u32 v7, v7, v9, 0x7fff
	s_delay_alu instid0(VALU_DEP_1) | instskip(NEXT) | instid1(VALU_DEP_1)
	v_lshrrev_b32_e32 v7, 16, v7
	v_cndmask_b32_e32 v5, 0x7fc0, v7, vcc_lo
.LBB199_1989:
	s_mov_b32 s11, 0
.LBB199_1990:
	s_delay_alu instid0(SALU_CYCLE_1)
	s_and_not1_b32 vcc_lo, exec_lo, s11
	s_cbranch_vccnz .LBB199_2001
; %bb.1991:
	s_cmp_lt_i32 s2, 6
	s_cbranch_scc1 .LBB199_1994
; %bb.1992:
	s_cmp_gt_i32 s2, 6
	s_cbranch_scc0 .LBB199_1995
; %bb.1993:
	global_load_b64 v[20:21], v[18:19], off
	s_mov_b32 s11, 0
	s_wait_loadcnt 0x0
	v_cvt_f32_f64_e32 v5, v[20:21]
	s_delay_alu instid0(VALU_DEP_1) | instskip(SKIP_1) | instid1(VALU_DEP_2)
	v_bfe_u32 v7, v5, 16, 1
	v_cmp_o_f32_e32 vcc_lo, v5, v5
	v_add3_u32 v7, v5, v7, 0x7fff
	s_delay_alu instid0(VALU_DEP_1) | instskip(NEXT) | instid1(VALU_DEP_1)
	v_lshrrev_b32_e32 v7, 16, v7
	v_cndmask_b32_e32 v5, 0x7fc0, v7, vcc_lo
	s_branch .LBB199_1996
.LBB199_1994:
	s_mov_b32 s11, -1
                                        ; implicit-def: $vgpr5
	s_branch .LBB199_1999
.LBB199_1995:
	s_mov_b32 s11, -1
                                        ; implicit-def: $vgpr5
.LBB199_1996:
	s_delay_alu instid0(SALU_CYCLE_1)
	s_and_not1_b32 vcc_lo, exec_lo, s11
	s_cbranch_vccnz .LBB199_1998
; %bb.1997:
	s_wait_loadcnt 0x0
	global_load_b32 v5, v[18:19], off
	s_wait_loadcnt 0x0
	v_bfe_u32 v7, v5, 16, 1
	v_cmp_o_f32_e32 vcc_lo, v5, v5
	s_delay_alu instid0(VALU_DEP_2) | instskip(NEXT) | instid1(VALU_DEP_1)
	v_add3_u32 v7, v5, v7, 0x7fff
	v_lshrrev_b32_e32 v7, 16, v7
	s_delay_alu instid0(VALU_DEP_1)
	v_cndmask_b32_e32 v5, 0x7fc0, v7, vcc_lo
.LBB199_1998:
	s_mov_b32 s11, 0
.LBB199_1999:
	s_delay_alu instid0(SALU_CYCLE_1)
	s_and_not1_b32 vcc_lo, exec_lo, s11
	s_cbranch_vccnz .LBB199_2001
; %bb.2000:
	s_wait_loadcnt 0x0
	global_load_u16 v5, v[18:19], off
	s_wait_loadcnt 0x0
	v_cvt_f32_f16_e32 v7, v5
	v_cmp_o_f16_e32 vcc_lo, v5, v5
	s_delay_alu instid0(VALU_DEP_2) | instskip(NEXT) | instid1(VALU_DEP_1)
	v_bfe_u32 v9, v7, 16, 1
	v_add3_u32 v7, v7, v9, 0x7fff
	s_delay_alu instid0(VALU_DEP_1) | instskip(NEXT) | instid1(VALU_DEP_1)
	v_lshrrev_b32_e32 v7, 16, v7
	v_cndmask_b32_e32 v5, 0x7fc0, v7, vcc_lo
.LBB199_2001:
	s_mov_b32 s11, 0
.LBB199_2002:
	s_delay_alu instid0(SALU_CYCLE_1)
	s_and_not1_b32 vcc_lo, exec_lo, s11
	s_cbranch_vccnz .LBB199_2022
; %bb.2003:
	s_cmp_lt_i32 s2, 2
	s_cbranch_scc1 .LBB199_2007
; %bb.2004:
	s_cmp_lt_i32 s2, 3
	s_cbranch_scc1 .LBB199_2008
; %bb.2005:
	s_cmp_gt_i32 s2, 3
	s_cbranch_scc0 .LBB199_2009
; %bb.2006:
	global_load_b64 v[20:21], v[18:19], off
	s_mov_b32 s11, 0
	s_wait_loadcnt 0x0
	v_xor_b32_e32 v5, v20, v21
	v_cls_i32_e32 v7, v21
	s_delay_alu instid0(VALU_DEP_2) | instskip(NEXT) | instid1(VALU_DEP_1)
	v_ashrrev_i32_e32 v5, 31, v5
	v_add_nc_u32_e32 v5, 32, v5
	s_delay_alu instid0(VALU_DEP_1) | instskip(NEXT) | instid1(VALU_DEP_1)
	v_add_min_u32_e64 v5, v7, -1, v5
	v_lshlrev_b64_e32 v[20:21], v5, v[20:21]
	v_sub_nc_u32_e32 v5, 32, v5
	s_delay_alu instid0(VALU_DEP_2) | instskip(NEXT) | instid1(VALU_DEP_1)
	v_min_u32_e32 v7, 1, v20
	v_or_b32_e32 v7, v21, v7
	s_delay_alu instid0(VALU_DEP_1) | instskip(NEXT) | instid1(VALU_DEP_1)
	v_cvt_f32_i32_e32 v7, v7
	v_ldexp_f32 v5, v7, v5
	s_delay_alu instid0(VALU_DEP_1) | instskip(NEXT) | instid1(VALU_DEP_1)
	v_bfe_u32 v7, v5, 16, 1
	v_add3_u32 v5, v5, v7, 0x7fff
	s_delay_alu instid0(VALU_DEP_1)
	v_lshrrev_b32_e32 v5, 16, v5
	s_branch .LBB199_2010
.LBB199_2007:
	s_mov_b32 s11, -1
                                        ; implicit-def: $vgpr5
	s_branch .LBB199_2016
.LBB199_2008:
	s_mov_b32 s11, -1
                                        ; implicit-def: $vgpr5
	s_branch .LBB199_2013
.LBB199_2009:
	s_mov_b32 s11, -1
                                        ; implicit-def: $vgpr5
.LBB199_2010:
	s_delay_alu instid0(SALU_CYCLE_1)
	s_and_not1_b32 vcc_lo, exec_lo, s11
	s_cbranch_vccnz .LBB199_2012
; %bb.2011:
	s_wait_loadcnt 0x0
	global_load_b32 v5, v[18:19], off
	s_wait_loadcnt 0x0
	v_cvt_f32_i32_e32 v5, v5
	s_delay_alu instid0(VALU_DEP_1) | instskip(NEXT) | instid1(VALU_DEP_1)
	v_bfe_u32 v7, v5, 16, 1
	v_add3_u32 v5, v5, v7, 0x7fff
	s_delay_alu instid0(VALU_DEP_1)
	v_lshrrev_b32_e32 v5, 16, v5
.LBB199_2012:
	s_mov_b32 s11, 0
.LBB199_2013:
	s_delay_alu instid0(SALU_CYCLE_1)
	s_and_not1_b32 vcc_lo, exec_lo, s11
	s_cbranch_vccnz .LBB199_2015
; %bb.2014:
	s_wait_loadcnt 0x0
	global_load_i16 v5, v[18:19], off
	s_wait_loadcnt 0x0
	v_cvt_f32_i32_e32 v5, v5
	s_delay_alu instid0(VALU_DEP_1) | instskip(NEXT) | instid1(VALU_DEP_1)
	v_bfe_u32 v7, v5, 16, 1
	v_add3_u32 v5, v5, v7, 0x7fff
	s_delay_alu instid0(VALU_DEP_1)
	v_lshrrev_b32_e32 v5, 16, v5
.LBB199_2015:
	s_mov_b32 s11, 0
.LBB199_2016:
	s_delay_alu instid0(SALU_CYCLE_1)
	s_and_not1_b32 vcc_lo, exec_lo, s11
	s_cbranch_vccnz .LBB199_2022
; %bb.2017:
	s_cmp_gt_i32 s2, 0
	s_mov_b32 s11, 0
	s_cbranch_scc0 .LBB199_2019
; %bb.2018:
	s_wait_loadcnt 0x0
	global_load_i8 v5, v[18:19], off
	s_wait_loadcnt 0x0
	v_cvt_f32_i32_e32 v5, v5
	s_delay_alu instid0(VALU_DEP_1) | instskip(NEXT) | instid1(VALU_DEP_1)
	v_bfe_u32 v7, v5, 16, 1
	v_add3_u32 v5, v5, v7, 0x7fff
	s_delay_alu instid0(VALU_DEP_1)
	v_lshrrev_b32_e32 v5, 16, v5
	s_branch .LBB199_2020
.LBB199_2019:
	s_mov_b32 s11, -1
                                        ; implicit-def: $vgpr5
.LBB199_2020:
	s_delay_alu instid0(SALU_CYCLE_1)
	s_and_not1_b32 vcc_lo, exec_lo, s11
	s_cbranch_vccnz .LBB199_2022
; %bb.2021:
	s_wait_loadcnt 0x0
	global_load_u8 v5, v[18:19], off
	s_wait_loadcnt 0x0
	v_cvt_f32_ubyte0_e32 v5, v5
	s_delay_alu instid0(VALU_DEP_1) | instskip(NEXT) | instid1(VALU_DEP_1)
	v_bfe_u32 v7, v5, 16, 1
	v_add3_u32 v5, v5, v7, 0x7fff
	s_delay_alu instid0(VALU_DEP_1)
	v_lshrrev_b32_e32 v5, 16, v5
.LBB199_2022:
.LBB199_2023:
	v_mov_b32_e32 v17, 0
	s_and_b32 s10, 0xffff, s10
	s_delay_alu instid0(SALU_CYCLE_1) | instskip(NEXT) | instid1(VALU_DEP_1)
	s_cmp_lt_i32 s10, 11
	v_add_nc_u64_e32 v[16:17], s[0:1], v[16:17]
	s_cbranch_scc1 .LBB199_2030
; %bb.2024:
	s_cmp_gt_i32 s10, 25
	s_mov_b32 s12, 0
	s_cbranch_scc0 .LBB199_2031
; %bb.2025:
	s_cmp_gt_i32 s10, 28
	s_cbranch_scc0 .LBB199_2032
; %bb.2026:
	s_cmp_gt_i32 s10, 43
	;; [unrolled: 3-line block ×3, first 2 shown]
	s_cbranch_scc0 .LBB199_2035
; %bb.2028:
	s_cmp_eq_u32 s10, 46
	s_mov_b32 s14, 0
	s_cbranch_scc0 .LBB199_2036
; %bb.2029:
	global_load_b32 v18, v[16:17], off
	s_mov_b32 s11, 0
	s_mov_b32 s13, -1
	s_branch .LBB199_2038
.LBB199_2030:
	s_mov_b32 s11, -1
	s_mov_b32 s13, 0
                                        ; implicit-def: $vgpr18
	s_branch .LBB199_2104
.LBB199_2031:
	s_mov_b32 s14, -1
	s_mov_b32 s13, 0
	s_mov_b32 s11, 0
                                        ; implicit-def: $vgpr18
	s_branch .LBB199_2067
.LBB199_2032:
	s_mov_b32 s14, -1
	s_mov_b32 s13, 0
	s_mov_b32 s11, 0
                                        ; implicit-def: $vgpr18
	s_branch .LBB199_2048
.LBB199_2033:
	s_mov_b32 s14, -1
	s_mov_b32 s13, 0
	s_mov_b32 s11, 0
                                        ; implicit-def: $vgpr18
	s_branch .LBB199_2043
.LBB199_2034:
	s_or_b32 s9, s9, exec_lo
	s_trap 2
	s_cbranch_execz .LBB199_1973
	s_branch .LBB199_1974
.LBB199_2035:
	s_mov_b32 s14, -1
	s_mov_b32 s13, 0
	s_mov_b32 s11, 0
	s_branch .LBB199_2037
.LBB199_2036:
	s_mov_b32 s11, -1
	s_mov_b32 s13, 0
.LBB199_2037:
                                        ; implicit-def: $vgpr18
.LBB199_2038:
	s_and_b32 vcc_lo, exec_lo, s14
	s_cbranch_vccz .LBB199_2042
; %bb.2039:
	s_cmp_eq_u32 s10, 44
	s_cbranch_scc0 .LBB199_2041
; %bb.2040:
	global_load_u8 v7, v[16:17], off
	s_mov_b32 s11, 0
	s_mov_b32 s13, -1
	s_wait_loadcnt 0x0
	v_lshlrev_b32_e32 v9, 23, v7
	v_cmp_ne_u32_e32 vcc_lo, 0xff, v7
	s_delay_alu instid0(VALU_DEP_2) | instskip(SKIP_1) | instid1(VALU_DEP_2)
	v_cndmask_b32_e32 v9, 0x7f800001, v9, vcc_lo
	v_cmp_ne_u32_e32 vcc_lo, 0, v7
	v_cndmask_b32_e32 v7, 0x400000, v9, vcc_lo
	s_delay_alu instid0(VALU_DEP_1) | instskip(SKIP_1) | instid1(VALU_DEP_2)
	v_add_nc_u32_e32 v9, 0x7fff, v7
	v_cmp_o_f32_e32 vcc_lo, v7, v7
	v_lshrrev_b32_e32 v9, 16, v9
	s_wait_xcnt 0x1
	s_delay_alu instid0(VALU_DEP_1)
	v_cndmask_b32_e32 v18, 0x7fc0, v9, vcc_lo
	s_branch .LBB199_2042
.LBB199_2041:
	s_mov_b32 s11, -1
                                        ; implicit-def: $vgpr18
.LBB199_2042:
	s_mov_b32 s14, 0
.LBB199_2043:
	s_delay_alu instid0(SALU_CYCLE_1)
	s_and_b32 vcc_lo, exec_lo, s14
	s_cbranch_vccz .LBB199_2047
; %bb.2044:
	s_cmp_eq_u32 s10, 29
	s_cbranch_scc0 .LBB199_2046
; %bb.2045:
	s_wait_loadcnt 0x0
	global_load_b64 v[18:19], v[16:17], off
	s_mov_b32 s11, 0
	s_mov_b32 s13, -1
	s_mov_b32 s14, 0
	s_wait_loadcnt 0x0
	v_clz_i32_u32_e32 v7, v19
	s_delay_alu instid0(VALU_DEP_1) | instskip(NEXT) | instid1(VALU_DEP_1)
	v_min_u32_e32 v7, 32, v7
	v_lshlrev_b64_e32 v[18:19], v7, v[18:19]
	v_sub_nc_u32_e32 v7, 32, v7
	s_delay_alu instid0(VALU_DEP_2) | instskip(NEXT) | instid1(VALU_DEP_1)
	v_min_u32_e32 v9, 1, v18
	v_or_b32_e32 v9, v19, v9
	s_delay_alu instid0(VALU_DEP_1) | instskip(NEXT) | instid1(VALU_DEP_1)
	v_cvt_f32_u32_e32 v9, v9
	v_ldexp_f32 v7, v9, v7
	s_delay_alu instid0(VALU_DEP_1) | instskip(NEXT) | instid1(VALU_DEP_1)
	v_bfe_u32 v9, v7, 16, 1
	v_add3_u32 v7, v7, v9, 0x7fff
	s_delay_alu instid0(VALU_DEP_1)
	v_lshrrev_b32_e32 v18, 16, v7
	s_branch .LBB199_2048
.LBB199_2046:
	s_mov_b32 s11, -1
                                        ; implicit-def: $vgpr18
.LBB199_2047:
	s_mov_b32 s14, 0
.LBB199_2048:
	s_delay_alu instid0(SALU_CYCLE_1)
	s_and_b32 vcc_lo, exec_lo, s14
	s_cbranch_vccz .LBB199_2066
; %bb.2049:
	s_cmp_lt_i32 s10, 27
	s_cbranch_scc1 .LBB199_2052
; %bb.2050:
	s_cmp_gt_i32 s10, 27
	s_cbranch_scc0 .LBB199_2053
; %bb.2051:
	global_load_b32 v7, v[16:17], off
	s_mov_b32 s13, 0
	s_wait_loadcnt 0x0
	v_cvt_f32_u32_e32 v7, v7
	s_delay_alu instid0(VALU_DEP_1) | instskip(NEXT) | instid1(VALU_DEP_1)
	v_bfe_u32 v9, v7, 16, 1
	v_add3_u32 v7, v7, v9, 0x7fff
	s_wait_xcnt 0x1
	s_delay_alu instid0(VALU_DEP_1)
	v_lshrrev_b32_e32 v18, 16, v7
	s_branch .LBB199_2054
.LBB199_2052:
	s_mov_b32 s13, -1
                                        ; implicit-def: $vgpr18
	s_branch .LBB199_2057
.LBB199_2053:
	s_mov_b32 s13, -1
                                        ; implicit-def: $vgpr18
.LBB199_2054:
	s_delay_alu instid0(SALU_CYCLE_1)
	s_and_not1_b32 vcc_lo, exec_lo, s13
	s_cbranch_vccnz .LBB199_2056
; %bb.2055:
	global_load_u16 v7, v[16:17], off
	s_wait_loadcnt 0x0
	v_cvt_f32_u32_e32 v7, v7
	s_delay_alu instid0(VALU_DEP_1) | instskip(NEXT) | instid1(VALU_DEP_1)
	v_bfe_u32 v9, v7, 16, 1
	v_add3_u32 v7, v7, v9, 0x7fff
	s_wait_xcnt 0x1
	s_delay_alu instid0(VALU_DEP_1)
	v_lshrrev_b32_e32 v18, 16, v7
.LBB199_2056:
	s_mov_b32 s13, 0
.LBB199_2057:
	s_delay_alu instid0(SALU_CYCLE_1)
	s_and_not1_b32 vcc_lo, exec_lo, s13
	s_cbranch_vccnz .LBB199_2065
; %bb.2058:
	global_load_u8 v7, v[16:17], off
	s_mov_b32 s13, 0
	s_mov_b32 s14, exec_lo
	s_wait_loadcnt 0x0
	v_cmpx_lt_i16_e32 0x7f, v7
	s_xor_b32 s14, exec_lo, s14
	s_cbranch_execz .LBB199_2079
; %bb.2059:
	s_mov_b32 s13, -1
	s_mov_b32 s15, exec_lo
	v_cmpx_eq_u16_e32 0x80, v7
; %bb.2060:
	s_xor_b32 s13, exec_lo, -1
; %bb.2061:
	s_or_b32 exec_lo, exec_lo, s15
	s_delay_alu instid0(SALU_CYCLE_1)
	s_and_b32 s13, s13, exec_lo
	s_or_saveexec_b32 s14, s14
	v_mov_b32_e32 v9, 0x7f800001
	s_xor_b32 exec_lo, exec_lo, s14
	s_cbranch_execnz .LBB199_2080
.LBB199_2062:
	s_or_b32 exec_lo, exec_lo, s14
	s_and_saveexec_b32 s14, s13
	s_cbranch_execz .LBB199_2064
.LBB199_2063:
	v_and_b32_e32 v9, 0xffff, v7
	s_delay_alu instid0(VALU_DEP_1) | instskip(SKIP_1) | instid1(VALU_DEP_2)
	v_dual_lshlrev_b32 v7, 24, v7 :: v_dual_bitop2_b32 v11, 7, v9 bitop3:0x40
	v_bfe_u32 v18, v9, 3, 4
	v_and_b32_e32 v7, 0x80000000, v7
	s_delay_alu instid0(VALU_DEP_3) | instskip(NEXT) | instid1(VALU_DEP_3)
	v_clz_i32_u32_e32 v13, v11
	v_cmp_eq_u32_e32 vcc_lo, 0, v18
	s_delay_alu instid0(VALU_DEP_2) | instskip(NEXT) | instid1(VALU_DEP_1)
	v_min_u32_e32 v13, 32, v13
	v_subrev_nc_u32_e32 v15, 28, v13
	v_sub_nc_u32_e32 v13, 29, v13
	s_delay_alu instid0(VALU_DEP_2) | instskip(NEXT) | instid1(VALU_DEP_2)
	v_lshlrev_b32_e32 v9, v15, v9
	v_cndmask_b32_e32 v13, v18, v13, vcc_lo
	s_delay_alu instid0(VALU_DEP_2) | instskip(NEXT) | instid1(VALU_DEP_1)
	v_and_b32_e32 v9, 7, v9
	v_cndmask_b32_e32 v9, v11, v9, vcc_lo
	s_delay_alu instid0(VALU_DEP_3) | instskip(NEXT) | instid1(VALU_DEP_2)
	v_lshl_add_u32 v11, v13, 23, 0x3b800000
	v_lshlrev_b32_e32 v9, 20, v9
	s_delay_alu instid0(VALU_DEP_1)
	v_or3_b32 v9, v7, v11, v9
.LBB199_2064:
	s_or_b32 exec_lo, exec_lo, s14
	s_delay_alu instid0(VALU_DEP_1) | instskip(SKIP_1) | instid1(VALU_DEP_2)
	v_bfe_u32 v7, v9, 16, 1
	v_cmp_o_f32_e32 vcc_lo, v9, v9
	v_add3_u32 v7, v9, v7, 0x7fff
	s_delay_alu instid0(VALU_DEP_1) | instskip(NEXT) | instid1(VALU_DEP_1)
	v_lshrrev_b32_e32 v7, 16, v7
	v_cndmask_b32_e32 v18, 0x7fc0, v7, vcc_lo
.LBB199_2065:
	s_mov_b32 s13, -1
.LBB199_2066:
	s_mov_b32 s14, 0
.LBB199_2067:
	s_delay_alu instid0(SALU_CYCLE_1)
	s_and_b32 vcc_lo, exec_lo, s14
	s_cbranch_vccz .LBB199_2100
; %bb.2068:
	s_cmp_gt_i32 s10, 22
	s_cbranch_scc0 .LBB199_2078
; %bb.2069:
	s_cmp_lt_i32 s10, 24
	s_cbranch_scc1 .LBB199_2081
; %bb.2070:
	s_cmp_gt_i32 s10, 24
	s_cbranch_scc0 .LBB199_2082
; %bb.2071:
	global_load_u8 v7, v[16:17], off
	s_mov_b32 s13, exec_lo
	s_wait_loadcnt 0x0
	v_cmpx_lt_i16_e32 0x7f, v7
	s_xor_b32 s13, exec_lo, s13
	s_cbranch_execz .LBB199_2094
; %bb.2072:
	s_mov_b32 s12, -1
	s_mov_b32 s14, exec_lo
	v_cmpx_eq_u16_e32 0x80, v7
; %bb.2073:
	s_xor_b32 s12, exec_lo, -1
; %bb.2074:
	s_or_b32 exec_lo, exec_lo, s14
	s_delay_alu instid0(SALU_CYCLE_1)
	s_and_b32 s12, s12, exec_lo
	s_or_saveexec_b32 s13, s13
	v_mov_b32_e32 v9, 0x7f800001
	s_xor_b32 exec_lo, exec_lo, s13
	s_cbranch_execnz .LBB199_2095
.LBB199_2075:
	s_or_b32 exec_lo, exec_lo, s13
	s_and_saveexec_b32 s13, s12
	s_cbranch_execz .LBB199_2077
.LBB199_2076:
	v_and_b32_e32 v9, 0xffff, v7
	s_delay_alu instid0(VALU_DEP_1) | instskip(SKIP_1) | instid1(VALU_DEP_2)
	v_dual_lshlrev_b32 v7, 24, v7 :: v_dual_bitop2_b32 v11, 3, v9 bitop3:0x40
	v_bfe_u32 v18, v9, 2, 5
	v_and_b32_e32 v7, 0x80000000, v7
	s_delay_alu instid0(VALU_DEP_3) | instskip(NEXT) | instid1(VALU_DEP_3)
	v_clz_i32_u32_e32 v13, v11
	v_cmp_eq_u32_e32 vcc_lo, 0, v18
	s_delay_alu instid0(VALU_DEP_2) | instskip(NEXT) | instid1(VALU_DEP_1)
	v_min_u32_e32 v13, 32, v13
	v_subrev_nc_u32_e32 v15, 29, v13
	v_sub_nc_u32_e32 v13, 30, v13
	s_delay_alu instid0(VALU_DEP_2) | instskip(NEXT) | instid1(VALU_DEP_2)
	v_lshlrev_b32_e32 v9, v15, v9
	v_cndmask_b32_e32 v13, v18, v13, vcc_lo
	s_delay_alu instid0(VALU_DEP_2) | instskip(NEXT) | instid1(VALU_DEP_1)
	v_and_b32_e32 v9, 3, v9
	v_cndmask_b32_e32 v9, v11, v9, vcc_lo
	s_delay_alu instid0(VALU_DEP_3) | instskip(NEXT) | instid1(VALU_DEP_2)
	v_lshl_add_u32 v11, v13, 23, 0x37800000
	v_lshlrev_b32_e32 v9, 21, v9
	s_delay_alu instid0(VALU_DEP_1)
	v_or3_b32 v9, v7, v11, v9
.LBB199_2077:
	s_or_b32 exec_lo, exec_lo, s13
	s_delay_alu instid0(VALU_DEP_1) | instskip(SKIP_2) | instid1(VALU_DEP_2)
	v_bfe_u32 v7, v9, 16, 1
	v_cmp_o_f32_e32 vcc_lo, v9, v9
	s_mov_b32 s12, 0
	v_add3_u32 v7, v9, v7, 0x7fff
	s_delay_alu instid0(VALU_DEP_1) | instskip(NEXT) | instid1(VALU_DEP_1)
	v_lshrrev_b32_e32 v7, 16, v7
	v_cndmask_b32_e32 v18, 0x7fc0, v7, vcc_lo
	s_branch .LBB199_2083
.LBB199_2078:
	s_mov_b32 s12, -1
                                        ; implicit-def: $vgpr18
	s_branch .LBB199_2089
.LBB199_2079:
	s_or_saveexec_b32 s14, s14
	v_mov_b32_e32 v9, 0x7f800001
	s_xor_b32 exec_lo, exec_lo, s14
	s_cbranch_execz .LBB199_2062
.LBB199_2080:
	v_cmp_ne_u16_e32 vcc_lo, 0, v7
	v_mov_b32_e32 v9, 0
	s_and_not1_b32 s13, s13, exec_lo
	s_and_b32 s15, vcc_lo, exec_lo
	s_delay_alu instid0(SALU_CYCLE_1)
	s_or_b32 s13, s13, s15
	s_or_b32 exec_lo, exec_lo, s14
	s_and_saveexec_b32 s14, s13
	s_cbranch_execnz .LBB199_2063
	s_branch .LBB199_2064
.LBB199_2081:
	s_mov_b32 s12, -1
                                        ; implicit-def: $vgpr18
	s_branch .LBB199_2086
.LBB199_2082:
	s_mov_b32 s12, -1
                                        ; implicit-def: $vgpr18
.LBB199_2083:
	s_delay_alu instid0(SALU_CYCLE_1)
	s_and_b32 vcc_lo, exec_lo, s12
	s_cbranch_vccz .LBB199_2085
; %bb.2084:
	global_load_u8 v7, v[16:17], off
	s_wait_loadcnt 0x0
	v_lshlrev_b32_e32 v7, 24, v7
	s_delay_alu instid0(VALU_DEP_1) | instskip(NEXT) | instid1(VALU_DEP_1)
	v_and_b32_e32 v9, 0x7f000000, v7
	v_clz_i32_u32_e32 v11, v9
	v_add_nc_u32_e32 v15, 0x1000000, v9
	v_cmp_ne_u32_e32 vcc_lo, 0, v9
	s_delay_alu instid0(VALU_DEP_3) | instskip(NEXT) | instid1(VALU_DEP_1)
	v_min_u32_e32 v11, 32, v11
	v_sub_nc_u32_e64 v11, v11, 4 clamp
	s_delay_alu instid0(VALU_DEP_1) | instskip(NEXT) | instid1(VALU_DEP_1)
	v_dual_lshlrev_b32 v13, v11, v9 :: v_dual_lshlrev_b32 v11, 23, v11
	v_lshrrev_b32_e32 v13, 4, v13
	s_delay_alu instid0(VALU_DEP_1) | instskip(SKIP_1) | instid1(VALU_DEP_2)
	v_sub_nc_u32_e32 v11, v13, v11
	v_ashrrev_i32_e32 v13, 8, v15
	v_add_nc_u32_e32 v11, 0x3c000000, v11
	s_delay_alu instid0(VALU_DEP_1) | instskip(NEXT) | instid1(VALU_DEP_1)
	v_and_or_b32 v11, 0x7f800000, v13, v11
	v_cndmask_b32_e32 v9, 0, v11, vcc_lo
	s_delay_alu instid0(VALU_DEP_1) | instskip(SKIP_1) | instid1(VALU_DEP_2)
	v_and_or_b32 v7, 0x80000000, v7, v9
	v_bfe_u32 v9, v9, 16, 1
	v_cmp_o_f32_e32 vcc_lo, v7, v7
	s_delay_alu instid0(VALU_DEP_2) | instskip(NEXT) | instid1(VALU_DEP_1)
	v_add3_u32 v9, v7, v9, 0x7fff
	v_lshrrev_b32_e32 v9, 16, v9
	s_wait_xcnt 0x1
	s_delay_alu instid0(VALU_DEP_1)
	v_cndmask_b32_e32 v18, 0x7fc0, v9, vcc_lo
.LBB199_2085:
	s_mov_b32 s12, 0
.LBB199_2086:
	s_delay_alu instid0(SALU_CYCLE_1)
	s_and_not1_b32 vcc_lo, exec_lo, s12
	s_cbranch_vccnz .LBB199_2088
; %bb.2087:
	global_load_u8 v7, v[16:17], off
	s_wait_loadcnt 0x0
	v_lshlrev_b32_e32 v9, 25, v7
	v_lshlrev_b16 v7, 8, v7
	s_delay_alu instid0(VALU_DEP_1) | instskip(SKIP_1) | instid1(VALU_DEP_2)
	v_and_or_b32 v13, 0x7f00, v7, 0.5
	v_bfe_i32 v7, v7, 0, 16
	v_add_f32_e32 v13, -0.5, v13
	v_lshrrev_b32_e32 v11, 4, v9
	v_cmp_gt_u32_e32 vcc_lo, 0x8000000, v9
	s_delay_alu instid0(VALU_DEP_2) | instskip(NEXT) | instid1(VALU_DEP_1)
	v_or_b32_e32 v11, 0x70000000, v11
	v_mul_f32_e32 v11, 0x7800000, v11
	s_delay_alu instid0(VALU_DEP_1) | instskip(NEXT) | instid1(VALU_DEP_1)
	v_cndmask_b32_e32 v9, v11, v13, vcc_lo
	v_and_or_b32 v7, 0x80000000, v7, v9
	v_bfe_u32 v9, v9, 16, 1
	s_delay_alu instid0(VALU_DEP_2) | instskip(NEXT) | instid1(VALU_DEP_2)
	v_cmp_o_f32_e32 vcc_lo, v7, v7
	v_add3_u32 v9, v7, v9, 0x7fff
	s_delay_alu instid0(VALU_DEP_1) | instskip(SKIP_1) | instid1(VALU_DEP_1)
	v_lshrrev_b32_e32 v9, 16, v9
	s_wait_xcnt 0x1
	v_cndmask_b32_e32 v18, 0x7fc0, v9, vcc_lo
.LBB199_2088:
	s_mov_b32 s12, 0
	s_mov_b32 s13, -1
.LBB199_2089:
	s_and_not1_b32 vcc_lo, exec_lo, s12
	s_mov_b32 s12, 0
	s_cbranch_vccnz .LBB199_2100
; %bb.2090:
	s_cmp_gt_i32 s10, 14
	s_cbranch_scc0 .LBB199_2093
; %bb.2091:
	s_cmp_eq_u32 s10, 15
	s_cbranch_scc0 .LBB199_2096
; %bb.2092:
	s_wait_loadcnt 0x0
	global_load_u16 v18, v[16:17], off
	s_mov_b32 s11, 0
	s_mov_b32 s13, -1
	s_branch .LBB199_2098
.LBB199_2093:
	s_mov_b32 s12, -1
	s_branch .LBB199_2097
.LBB199_2094:
	s_or_saveexec_b32 s13, s13
	v_mov_b32_e32 v9, 0x7f800001
	s_xor_b32 exec_lo, exec_lo, s13
	s_cbranch_execz .LBB199_2075
.LBB199_2095:
	v_cmp_ne_u16_e32 vcc_lo, 0, v7
	v_mov_b32_e32 v9, 0
	s_and_not1_b32 s12, s12, exec_lo
	s_and_b32 s14, vcc_lo, exec_lo
	s_delay_alu instid0(SALU_CYCLE_1)
	s_or_b32 s12, s12, s14
	s_or_b32 exec_lo, exec_lo, s13
	s_and_saveexec_b32 s13, s12
	s_cbranch_execnz .LBB199_2076
	s_branch .LBB199_2077
.LBB199_2096:
	s_mov_b32 s11, -1
.LBB199_2097:
                                        ; implicit-def: $vgpr18
.LBB199_2098:
	s_and_b32 vcc_lo, exec_lo, s12
	s_mov_b32 s12, 0
	s_cbranch_vccz .LBB199_2100
; %bb.2099:
	s_cmp_lg_u32 s10, 11
	s_mov_b32 s12, -1
	s_cselect_b32 s11, -1, 0
.LBB199_2100:
	s_delay_alu instid0(SALU_CYCLE_1)
	s_and_b32 vcc_lo, exec_lo, s11
	s_cbranch_vccnz .LBB199_2165
; %bb.2101:
	s_and_not1_b32 vcc_lo, exec_lo, s12
	s_cbranch_vccnz .LBB199_2103
.LBB199_2102:
	global_load_u8 v7, v[16:17], off
	s_mov_b32 s13, -1
	s_wait_loadcnt 0x0
	v_cmp_ne_u16_e32 vcc_lo, 0, v7
	v_cndmask_b32_e64 v7, 0, 1.0, vcc_lo
	s_wait_xcnt 0x1
	s_delay_alu instid0(VALU_DEP_1)
	v_lshrrev_b32_e32 v18, 16, v7
.LBB199_2103:
	s_mov_b32 s11, 0
.LBB199_2104:
	s_delay_alu instid0(SALU_CYCLE_1)
	s_and_b32 vcc_lo, exec_lo, s11
	s_cbranch_vccz .LBB199_2153
; %bb.2105:
	s_cmp_lt_i32 s10, 5
	s_cbranch_scc1 .LBB199_2110
; %bb.2106:
	s_cmp_lt_i32 s10, 8
	s_cbranch_scc1 .LBB199_2111
	;; [unrolled: 3-line block ×3, first 2 shown]
; %bb.2108:
	s_cmp_gt_i32 s10, 9
	s_cbranch_scc0 .LBB199_2113
; %bb.2109:
	s_wait_loadcnt 0x0
	global_load_b64 v[18:19], v[16:17], off
	s_mov_b32 s11, 0
	s_wait_loadcnt 0x0
	v_cvt_f32_f64_e32 v7, v[18:19]
	s_delay_alu instid0(VALU_DEP_1) | instskip(SKIP_1) | instid1(VALU_DEP_2)
	v_bfe_u32 v9, v7, 16, 1
	v_cmp_o_f32_e32 vcc_lo, v7, v7
	v_add3_u32 v9, v7, v9, 0x7fff
	s_delay_alu instid0(VALU_DEP_1) | instskip(NEXT) | instid1(VALU_DEP_1)
	v_lshrrev_b32_e32 v9, 16, v9
	v_cndmask_b32_e32 v18, 0x7fc0, v9, vcc_lo
	s_branch .LBB199_2114
.LBB199_2110:
	s_mov_b32 s11, -1
                                        ; implicit-def: $vgpr18
	s_branch .LBB199_2132
.LBB199_2111:
	s_mov_b32 s11, -1
                                        ; implicit-def: $vgpr18
	s_branch .LBB199_2120
.LBB199_2112:
	s_mov_b32 s11, -1
                                        ; implicit-def: $vgpr18
	s_branch .LBB199_2117
.LBB199_2113:
	s_mov_b32 s11, -1
                                        ; implicit-def: $vgpr18
.LBB199_2114:
	s_delay_alu instid0(SALU_CYCLE_1)
	s_and_not1_b32 vcc_lo, exec_lo, s11
	s_cbranch_vccnz .LBB199_2116
; %bb.2115:
	global_load_b32 v7, v[16:17], off
	s_wait_loadcnt 0x0
	v_bfe_u32 v9, v7, 16, 1
	v_cmp_o_f32_e32 vcc_lo, v7, v7
	s_delay_alu instid0(VALU_DEP_2) | instskip(NEXT) | instid1(VALU_DEP_1)
	v_add3_u32 v9, v7, v9, 0x7fff
	v_lshrrev_b32_e32 v9, 16, v9
	s_wait_xcnt 0x1
	s_delay_alu instid0(VALU_DEP_1)
	v_cndmask_b32_e32 v18, 0x7fc0, v9, vcc_lo
.LBB199_2116:
	s_mov_b32 s11, 0
.LBB199_2117:
	s_delay_alu instid0(SALU_CYCLE_1)
	s_and_not1_b32 vcc_lo, exec_lo, s11
	s_cbranch_vccnz .LBB199_2119
; %bb.2118:
	global_load_b32 v7, v[16:17], off
	s_wait_loadcnt 0x0
	v_cvt_f32_f16_e32 v9, v7
	v_cmp_o_f16_e32 vcc_lo, v7, v7
	s_delay_alu instid0(VALU_DEP_2) | instskip(NEXT) | instid1(VALU_DEP_1)
	v_bfe_u32 v11, v9, 16, 1
	v_add3_u32 v9, v9, v11, 0x7fff
	s_delay_alu instid0(VALU_DEP_1) | instskip(SKIP_1) | instid1(VALU_DEP_1)
	v_lshrrev_b32_e32 v9, 16, v9
	s_wait_xcnt 0x1
	v_cndmask_b32_e32 v18, 0x7fc0, v9, vcc_lo
.LBB199_2119:
	s_mov_b32 s11, 0
.LBB199_2120:
	s_delay_alu instid0(SALU_CYCLE_1)
	s_and_not1_b32 vcc_lo, exec_lo, s11
	s_cbranch_vccnz .LBB199_2131
; %bb.2121:
	s_cmp_lt_i32 s10, 6
	s_cbranch_scc1 .LBB199_2124
; %bb.2122:
	s_cmp_gt_i32 s10, 6
	s_cbranch_scc0 .LBB199_2125
; %bb.2123:
	s_wait_loadcnt 0x0
	global_load_b64 v[18:19], v[16:17], off
	s_mov_b32 s11, 0
	s_wait_loadcnt 0x0
	v_cvt_f32_f64_e32 v7, v[18:19]
	s_delay_alu instid0(VALU_DEP_1) | instskip(SKIP_1) | instid1(VALU_DEP_2)
	v_bfe_u32 v9, v7, 16, 1
	v_cmp_o_f32_e32 vcc_lo, v7, v7
	v_add3_u32 v9, v7, v9, 0x7fff
	s_delay_alu instid0(VALU_DEP_1) | instskip(NEXT) | instid1(VALU_DEP_1)
	v_lshrrev_b32_e32 v9, 16, v9
	v_cndmask_b32_e32 v18, 0x7fc0, v9, vcc_lo
	s_branch .LBB199_2126
.LBB199_2124:
	s_mov_b32 s11, -1
                                        ; implicit-def: $vgpr18
	s_branch .LBB199_2129
.LBB199_2125:
	s_mov_b32 s11, -1
                                        ; implicit-def: $vgpr18
.LBB199_2126:
	s_delay_alu instid0(SALU_CYCLE_1)
	s_and_not1_b32 vcc_lo, exec_lo, s11
	s_cbranch_vccnz .LBB199_2128
; %bb.2127:
	global_load_b32 v7, v[16:17], off
	s_wait_loadcnt 0x0
	v_bfe_u32 v9, v7, 16, 1
	v_cmp_o_f32_e32 vcc_lo, v7, v7
	s_delay_alu instid0(VALU_DEP_2) | instskip(NEXT) | instid1(VALU_DEP_1)
	v_add3_u32 v9, v7, v9, 0x7fff
	v_lshrrev_b32_e32 v9, 16, v9
	s_wait_xcnt 0x1
	s_delay_alu instid0(VALU_DEP_1)
	v_cndmask_b32_e32 v18, 0x7fc0, v9, vcc_lo
.LBB199_2128:
	s_mov_b32 s11, 0
.LBB199_2129:
	s_delay_alu instid0(SALU_CYCLE_1)
	s_and_not1_b32 vcc_lo, exec_lo, s11
	s_cbranch_vccnz .LBB199_2131
; %bb.2130:
	global_load_u16 v7, v[16:17], off
	s_wait_loadcnt 0x0
	v_cvt_f32_f16_e32 v9, v7
	v_cmp_o_f16_e32 vcc_lo, v7, v7
	s_delay_alu instid0(VALU_DEP_2) | instskip(NEXT) | instid1(VALU_DEP_1)
	v_bfe_u32 v11, v9, 16, 1
	v_add3_u32 v9, v9, v11, 0x7fff
	s_delay_alu instid0(VALU_DEP_1) | instskip(SKIP_1) | instid1(VALU_DEP_1)
	v_lshrrev_b32_e32 v9, 16, v9
	s_wait_xcnt 0x1
	v_cndmask_b32_e32 v18, 0x7fc0, v9, vcc_lo
.LBB199_2131:
	s_mov_b32 s11, 0
.LBB199_2132:
	s_delay_alu instid0(SALU_CYCLE_1)
	s_and_not1_b32 vcc_lo, exec_lo, s11
	s_cbranch_vccnz .LBB199_2152
; %bb.2133:
	s_cmp_lt_i32 s10, 2
	s_cbranch_scc1 .LBB199_2137
; %bb.2134:
	s_cmp_lt_i32 s10, 3
	s_cbranch_scc1 .LBB199_2138
; %bb.2135:
	s_cmp_gt_i32 s10, 3
	s_cbranch_scc0 .LBB199_2139
; %bb.2136:
	s_wait_loadcnt 0x0
	global_load_b64 v[18:19], v[16:17], off
	s_mov_b32 s11, 0
	s_wait_loadcnt 0x0
	v_xor_b32_e32 v7, v18, v19
	v_cls_i32_e32 v9, v19
	s_delay_alu instid0(VALU_DEP_2) | instskip(NEXT) | instid1(VALU_DEP_1)
	v_ashrrev_i32_e32 v7, 31, v7
	v_add_nc_u32_e32 v7, 32, v7
	s_delay_alu instid0(VALU_DEP_1) | instskip(NEXT) | instid1(VALU_DEP_1)
	v_add_min_u32_e64 v7, v9, -1, v7
	v_lshlrev_b64_e32 v[18:19], v7, v[18:19]
	v_sub_nc_u32_e32 v7, 32, v7
	s_delay_alu instid0(VALU_DEP_2) | instskip(NEXT) | instid1(VALU_DEP_1)
	v_min_u32_e32 v9, 1, v18
	v_or_b32_e32 v9, v19, v9
	s_delay_alu instid0(VALU_DEP_1) | instskip(NEXT) | instid1(VALU_DEP_1)
	v_cvt_f32_i32_e32 v9, v9
	v_ldexp_f32 v7, v9, v7
	s_delay_alu instid0(VALU_DEP_1) | instskip(NEXT) | instid1(VALU_DEP_1)
	v_bfe_u32 v9, v7, 16, 1
	v_add3_u32 v7, v7, v9, 0x7fff
	s_delay_alu instid0(VALU_DEP_1)
	v_lshrrev_b32_e32 v18, 16, v7
	s_branch .LBB199_2140
.LBB199_2137:
	s_mov_b32 s11, -1
                                        ; implicit-def: $vgpr18
	s_branch .LBB199_2146
.LBB199_2138:
	s_mov_b32 s11, -1
                                        ; implicit-def: $vgpr18
	s_branch .LBB199_2143
.LBB199_2139:
	s_mov_b32 s11, -1
                                        ; implicit-def: $vgpr18
.LBB199_2140:
	s_delay_alu instid0(SALU_CYCLE_1)
	s_and_not1_b32 vcc_lo, exec_lo, s11
	s_cbranch_vccnz .LBB199_2142
; %bb.2141:
	global_load_b32 v7, v[16:17], off
	s_wait_loadcnt 0x0
	v_cvt_f32_i32_e32 v7, v7
	s_delay_alu instid0(VALU_DEP_1) | instskip(NEXT) | instid1(VALU_DEP_1)
	v_bfe_u32 v9, v7, 16, 1
	v_add3_u32 v7, v7, v9, 0x7fff
	s_wait_xcnt 0x1
	s_delay_alu instid0(VALU_DEP_1)
	v_lshrrev_b32_e32 v18, 16, v7
.LBB199_2142:
	s_mov_b32 s11, 0
.LBB199_2143:
	s_delay_alu instid0(SALU_CYCLE_1)
	s_and_not1_b32 vcc_lo, exec_lo, s11
	s_cbranch_vccnz .LBB199_2145
; %bb.2144:
	global_load_i16 v7, v[16:17], off
	s_wait_loadcnt 0x0
	v_cvt_f32_i32_e32 v7, v7
	s_delay_alu instid0(VALU_DEP_1) | instskip(NEXT) | instid1(VALU_DEP_1)
	v_bfe_u32 v9, v7, 16, 1
	v_add3_u32 v7, v7, v9, 0x7fff
	s_wait_xcnt 0x1
	s_delay_alu instid0(VALU_DEP_1)
	v_lshrrev_b32_e32 v18, 16, v7
.LBB199_2145:
	s_mov_b32 s11, 0
.LBB199_2146:
	s_delay_alu instid0(SALU_CYCLE_1)
	s_and_not1_b32 vcc_lo, exec_lo, s11
	s_cbranch_vccnz .LBB199_2152
; %bb.2147:
	s_cmp_gt_i32 s10, 0
	s_mov_b32 s11, 0
	s_cbranch_scc0 .LBB199_2149
; %bb.2148:
	global_load_i8 v7, v[16:17], off
	s_wait_loadcnt 0x0
	v_cvt_f32_i32_e32 v7, v7
	s_delay_alu instid0(VALU_DEP_1) | instskip(NEXT) | instid1(VALU_DEP_1)
	v_bfe_u32 v9, v7, 16, 1
	v_add3_u32 v7, v7, v9, 0x7fff
	s_wait_xcnt 0x1
	s_delay_alu instid0(VALU_DEP_1)
	v_lshrrev_b32_e32 v18, 16, v7
	s_branch .LBB199_2150
.LBB199_2149:
	s_mov_b32 s11, -1
                                        ; implicit-def: $vgpr18
.LBB199_2150:
	s_delay_alu instid0(SALU_CYCLE_1)
	s_and_not1_b32 vcc_lo, exec_lo, s11
	s_cbranch_vccnz .LBB199_2152
; %bb.2151:
	global_load_u8 v7, v[16:17], off
	s_wait_loadcnt 0x0
	v_cvt_f32_ubyte0_e32 v7, v7
	s_delay_alu instid0(VALU_DEP_1) | instskip(NEXT) | instid1(VALU_DEP_1)
	v_bfe_u32 v9, v7, 16, 1
	v_add3_u32 v7, v7, v9, 0x7fff
	s_wait_xcnt 0x1
	s_delay_alu instid0(VALU_DEP_1)
	v_lshrrev_b32_e32 v18, 16, v7
.LBB199_2152:
	s_mov_b32 s13, -1
.LBB199_2153:
	s_delay_alu instid0(SALU_CYCLE_1)
	s_and_not1_b32 vcc_lo, exec_lo, s13
	s_cbranch_vccnz .LBB199_3112
; %bb.2154:
	v_mov_b32_e32 v15, 0
	s_cmp_lt_i32 s2, 11
	s_delay_alu instid0(VALU_DEP_1)
	v_add_nc_u64_e32 v[14:15], s[6:7], v[14:15]
	s_cbranch_scc1 .LBB199_2161
; %bb.2155:
	s_cmp_gt_i32 s2, 25
	s_mov_b32 s12, 0
	s_cbranch_scc0 .LBB199_2162
; %bb.2156:
	s_cmp_gt_i32 s2, 28
	s_cbranch_scc0 .LBB199_2163
; %bb.2157:
	s_cmp_gt_i32 s2, 43
	;; [unrolled: 3-line block ×3, first 2 shown]
	s_cbranch_scc0 .LBB199_2166
; %bb.2159:
	s_cmp_eq_u32 s2, 46
	s_mov_b32 s14, 0
	s_cbranch_scc0 .LBB199_2167
; %bb.2160:
	global_load_b32 v16, v[14:15], off
	s_mov_b32 s11, 0
	s_mov_b32 s13, -1
	s_branch .LBB199_2169
.LBB199_2161:
	s_mov_b32 s11, -1
	s_mov_b32 s13, 0
                                        ; implicit-def: $vgpr16
	s_branch .LBB199_2235
.LBB199_2162:
	s_mov_b32 s14, -1
	s_mov_b32 s13, 0
	s_mov_b32 s11, 0
                                        ; implicit-def: $vgpr16
	s_branch .LBB199_2198
.LBB199_2163:
	s_mov_b32 s14, -1
	s_mov_b32 s13, 0
	s_mov_b32 s11, 0
                                        ; implicit-def: $vgpr16
	s_branch .LBB199_2179
.LBB199_2164:
	s_mov_b32 s14, -1
	s_mov_b32 s13, 0
	s_mov_b32 s11, 0
                                        ; implicit-def: $vgpr16
	s_branch .LBB199_2174
.LBB199_2165:
	s_or_b32 s9, s9, exec_lo
	s_trap 2
	s_cbranch_execz .LBB199_2102
	s_branch .LBB199_2103
.LBB199_2166:
	s_mov_b32 s14, -1
	s_mov_b32 s13, 0
	s_mov_b32 s11, 0
	s_branch .LBB199_2168
.LBB199_2167:
	s_mov_b32 s11, -1
	s_mov_b32 s13, 0
.LBB199_2168:
                                        ; implicit-def: $vgpr16
.LBB199_2169:
	s_and_b32 vcc_lo, exec_lo, s14
	s_cbranch_vccz .LBB199_2173
; %bb.2170:
	s_cmp_eq_u32 s2, 44
	s_cbranch_scc0 .LBB199_2172
; %bb.2171:
	global_load_u8 v7, v[14:15], off
	s_mov_b32 s11, 0
	s_mov_b32 s13, -1
	s_wait_loadcnt 0x0
	v_lshlrev_b32_e32 v9, 23, v7
	v_cmp_ne_u32_e32 vcc_lo, 0xff, v7
	s_delay_alu instid0(VALU_DEP_2) | instskip(SKIP_1) | instid1(VALU_DEP_2)
	v_cndmask_b32_e32 v9, 0x7f800001, v9, vcc_lo
	v_cmp_ne_u32_e32 vcc_lo, 0, v7
	v_cndmask_b32_e32 v7, 0x400000, v9, vcc_lo
	s_delay_alu instid0(VALU_DEP_1) | instskip(SKIP_1) | instid1(VALU_DEP_2)
	v_add_nc_u32_e32 v9, 0x7fff, v7
	v_cmp_o_f32_e32 vcc_lo, v7, v7
	v_lshrrev_b32_e32 v9, 16, v9
	s_wait_xcnt 0x1
	s_delay_alu instid0(VALU_DEP_1)
	v_cndmask_b32_e32 v16, 0x7fc0, v9, vcc_lo
	s_branch .LBB199_2173
.LBB199_2172:
	s_mov_b32 s11, -1
                                        ; implicit-def: $vgpr16
.LBB199_2173:
	s_mov_b32 s14, 0
.LBB199_2174:
	s_delay_alu instid0(SALU_CYCLE_1)
	s_and_b32 vcc_lo, exec_lo, s14
	s_cbranch_vccz .LBB199_2178
; %bb.2175:
	s_cmp_eq_u32 s2, 29
	s_cbranch_scc0 .LBB199_2177
; %bb.2176:
	s_wait_loadcnt 0x0
	global_load_b64 v[16:17], v[14:15], off
	s_mov_b32 s11, 0
	s_mov_b32 s13, -1
	s_mov_b32 s14, 0
	s_wait_loadcnt 0x0
	v_clz_i32_u32_e32 v7, v17
	s_delay_alu instid0(VALU_DEP_1) | instskip(NEXT) | instid1(VALU_DEP_1)
	v_min_u32_e32 v7, 32, v7
	v_lshlrev_b64_e32 v[16:17], v7, v[16:17]
	v_sub_nc_u32_e32 v7, 32, v7
	s_delay_alu instid0(VALU_DEP_2) | instskip(NEXT) | instid1(VALU_DEP_1)
	v_min_u32_e32 v9, 1, v16
	v_or_b32_e32 v9, v17, v9
	s_delay_alu instid0(VALU_DEP_1) | instskip(NEXT) | instid1(VALU_DEP_1)
	v_cvt_f32_u32_e32 v9, v9
	v_ldexp_f32 v7, v9, v7
	s_delay_alu instid0(VALU_DEP_1) | instskip(NEXT) | instid1(VALU_DEP_1)
	v_bfe_u32 v9, v7, 16, 1
	v_add3_u32 v7, v7, v9, 0x7fff
	s_delay_alu instid0(VALU_DEP_1)
	v_lshrrev_b32_e32 v16, 16, v7
	s_branch .LBB199_2179
.LBB199_2177:
	s_mov_b32 s11, -1
                                        ; implicit-def: $vgpr16
.LBB199_2178:
	s_mov_b32 s14, 0
.LBB199_2179:
	s_delay_alu instid0(SALU_CYCLE_1)
	s_and_b32 vcc_lo, exec_lo, s14
	s_cbranch_vccz .LBB199_2197
; %bb.2180:
	s_cmp_lt_i32 s2, 27
	s_cbranch_scc1 .LBB199_2183
; %bb.2181:
	s_cmp_gt_i32 s2, 27
	s_cbranch_scc0 .LBB199_2184
; %bb.2182:
	global_load_b32 v7, v[14:15], off
	s_mov_b32 s13, 0
	s_wait_loadcnt 0x0
	v_cvt_f32_u32_e32 v7, v7
	s_delay_alu instid0(VALU_DEP_1) | instskip(NEXT) | instid1(VALU_DEP_1)
	v_bfe_u32 v9, v7, 16, 1
	v_add3_u32 v7, v7, v9, 0x7fff
	s_wait_xcnt 0x1
	s_delay_alu instid0(VALU_DEP_1)
	v_lshrrev_b32_e32 v16, 16, v7
	s_branch .LBB199_2185
.LBB199_2183:
	s_mov_b32 s13, -1
                                        ; implicit-def: $vgpr16
	s_branch .LBB199_2188
.LBB199_2184:
	s_mov_b32 s13, -1
                                        ; implicit-def: $vgpr16
.LBB199_2185:
	s_delay_alu instid0(SALU_CYCLE_1)
	s_and_not1_b32 vcc_lo, exec_lo, s13
	s_cbranch_vccnz .LBB199_2187
; %bb.2186:
	global_load_u16 v7, v[14:15], off
	s_wait_loadcnt 0x0
	v_cvt_f32_u32_e32 v7, v7
	s_delay_alu instid0(VALU_DEP_1) | instskip(NEXT) | instid1(VALU_DEP_1)
	v_bfe_u32 v9, v7, 16, 1
	v_add3_u32 v7, v7, v9, 0x7fff
	s_wait_xcnt 0x1
	s_delay_alu instid0(VALU_DEP_1)
	v_lshrrev_b32_e32 v16, 16, v7
.LBB199_2187:
	s_mov_b32 s13, 0
.LBB199_2188:
	s_delay_alu instid0(SALU_CYCLE_1)
	s_and_not1_b32 vcc_lo, exec_lo, s13
	s_cbranch_vccnz .LBB199_2196
; %bb.2189:
	global_load_u8 v7, v[14:15], off
	s_mov_b32 s13, 0
	s_mov_b32 s14, exec_lo
	s_wait_loadcnt 0x0
	v_cmpx_lt_i16_e32 0x7f, v7
	s_xor_b32 s14, exec_lo, s14
	s_cbranch_execz .LBB199_2210
; %bb.2190:
	s_mov_b32 s13, -1
	s_mov_b32 s15, exec_lo
	v_cmpx_eq_u16_e32 0x80, v7
; %bb.2191:
	s_xor_b32 s13, exec_lo, -1
; %bb.2192:
	s_or_b32 exec_lo, exec_lo, s15
	s_delay_alu instid0(SALU_CYCLE_1)
	s_and_b32 s13, s13, exec_lo
	s_or_saveexec_b32 s14, s14
	v_mov_b32_e32 v9, 0x7f800001
	s_xor_b32 exec_lo, exec_lo, s14
	s_cbranch_execnz .LBB199_2211
.LBB199_2193:
	s_or_b32 exec_lo, exec_lo, s14
	s_and_saveexec_b32 s14, s13
	s_cbranch_execz .LBB199_2195
.LBB199_2194:
	v_and_b32_e32 v9, 0xffff, v7
	s_delay_alu instid0(VALU_DEP_1) | instskip(SKIP_1) | instid1(VALU_DEP_2)
	v_dual_lshlrev_b32 v7, 24, v7 :: v_dual_bitop2_b32 v11, 7, v9 bitop3:0x40
	v_bfe_u32 v17, v9, 3, 4
	v_and_b32_e32 v7, 0x80000000, v7
	s_delay_alu instid0(VALU_DEP_3) | instskip(NEXT) | instid1(VALU_DEP_3)
	v_clz_i32_u32_e32 v13, v11
	v_cmp_eq_u32_e32 vcc_lo, 0, v17
	s_delay_alu instid0(VALU_DEP_2) | instskip(NEXT) | instid1(VALU_DEP_1)
	v_min_u32_e32 v13, 32, v13
	v_subrev_nc_u32_e32 v16, 28, v13
	v_sub_nc_u32_e32 v13, 29, v13
	s_delay_alu instid0(VALU_DEP_2) | instskip(NEXT) | instid1(VALU_DEP_2)
	v_lshlrev_b32_e32 v9, v16, v9
	v_cndmask_b32_e32 v13, v17, v13, vcc_lo
	s_delay_alu instid0(VALU_DEP_2) | instskip(NEXT) | instid1(VALU_DEP_1)
	v_and_b32_e32 v9, 7, v9
	v_cndmask_b32_e32 v9, v11, v9, vcc_lo
	s_delay_alu instid0(VALU_DEP_3) | instskip(NEXT) | instid1(VALU_DEP_2)
	v_lshl_add_u32 v11, v13, 23, 0x3b800000
	v_lshlrev_b32_e32 v9, 20, v9
	s_delay_alu instid0(VALU_DEP_1)
	v_or3_b32 v9, v7, v11, v9
.LBB199_2195:
	s_or_b32 exec_lo, exec_lo, s14
	s_delay_alu instid0(VALU_DEP_1) | instskip(SKIP_1) | instid1(VALU_DEP_2)
	v_bfe_u32 v7, v9, 16, 1
	v_cmp_o_f32_e32 vcc_lo, v9, v9
	v_add3_u32 v7, v9, v7, 0x7fff
	s_delay_alu instid0(VALU_DEP_1) | instskip(NEXT) | instid1(VALU_DEP_1)
	v_lshrrev_b32_e32 v7, 16, v7
	v_cndmask_b32_e32 v16, 0x7fc0, v7, vcc_lo
.LBB199_2196:
	s_mov_b32 s13, -1
.LBB199_2197:
	s_mov_b32 s14, 0
.LBB199_2198:
	s_delay_alu instid0(SALU_CYCLE_1)
	s_and_b32 vcc_lo, exec_lo, s14
	s_cbranch_vccz .LBB199_2231
; %bb.2199:
	s_cmp_gt_i32 s2, 22
	s_cbranch_scc0 .LBB199_2209
; %bb.2200:
	s_cmp_lt_i32 s2, 24
	s_cbranch_scc1 .LBB199_2212
; %bb.2201:
	s_cmp_gt_i32 s2, 24
	s_cbranch_scc0 .LBB199_2213
; %bb.2202:
	global_load_u8 v7, v[14:15], off
	s_mov_b32 s13, exec_lo
	s_wait_loadcnt 0x0
	v_cmpx_lt_i16_e32 0x7f, v7
	s_xor_b32 s13, exec_lo, s13
	s_cbranch_execz .LBB199_2225
; %bb.2203:
	s_mov_b32 s12, -1
	s_mov_b32 s14, exec_lo
	v_cmpx_eq_u16_e32 0x80, v7
; %bb.2204:
	s_xor_b32 s12, exec_lo, -1
; %bb.2205:
	s_or_b32 exec_lo, exec_lo, s14
	s_delay_alu instid0(SALU_CYCLE_1)
	s_and_b32 s12, s12, exec_lo
	s_or_saveexec_b32 s13, s13
	v_mov_b32_e32 v9, 0x7f800001
	s_xor_b32 exec_lo, exec_lo, s13
	s_cbranch_execnz .LBB199_2226
.LBB199_2206:
	s_or_b32 exec_lo, exec_lo, s13
	s_and_saveexec_b32 s13, s12
	s_cbranch_execz .LBB199_2208
.LBB199_2207:
	v_and_b32_e32 v9, 0xffff, v7
	s_delay_alu instid0(VALU_DEP_1) | instskip(SKIP_1) | instid1(VALU_DEP_2)
	v_dual_lshlrev_b32 v7, 24, v7 :: v_dual_bitop2_b32 v11, 3, v9 bitop3:0x40
	v_bfe_u32 v17, v9, 2, 5
	v_and_b32_e32 v7, 0x80000000, v7
	s_delay_alu instid0(VALU_DEP_3) | instskip(NEXT) | instid1(VALU_DEP_3)
	v_clz_i32_u32_e32 v13, v11
	v_cmp_eq_u32_e32 vcc_lo, 0, v17
	s_delay_alu instid0(VALU_DEP_2) | instskip(NEXT) | instid1(VALU_DEP_1)
	v_min_u32_e32 v13, 32, v13
	v_subrev_nc_u32_e32 v16, 29, v13
	v_sub_nc_u32_e32 v13, 30, v13
	s_delay_alu instid0(VALU_DEP_2) | instskip(NEXT) | instid1(VALU_DEP_2)
	v_lshlrev_b32_e32 v9, v16, v9
	v_cndmask_b32_e32 v13, v17, v13, vcc_lo
	s_delay_alu instid0(VALU_DEP_2) | instskip(NEXT) | instid1(VALU_DEP_1)
	v_and_b32_e32 v9, 3, v9
	v_cndmask_b32_e32 v9, v11, v9, vcc_lo
	s_delay_alu instid0(VALU_DEP_3) | instskip(NEXT) | instid1(VALU_DEP_2)
	v_lshl_add_u32 v11, v13, 23, 0x37800000
	v_lshlrev_b32_e32 v9, 21, v9
	s_delay_alu instid0(VALU_DEP_1)
	v_or3_b32 v9, v7, v11, v9
.LBB199_2208:
	s_or_b32 exec_lo, exec_lo, s13
	s_delay_alu instid0(VALU_DEP_1) | instskip(SKIP_2) | instid1(VALU_DEP_2)
	v_bfe_u32 v7, v9, 16, 1
	v_cmp_o_f32_e32 vcc_lo, v9, v9
	s_mov_b32 s12, 0
	v_add3_u32 v7, v9, v7, 0x7fff
	s_delay_alu instid0(VALU_DEP_1) | instskip(NEXT) | instid1(VALU_DEP_1)
	v_lshrrev_b32_e32 v7, 16, v7
	v_cndmask_b32_e32 v16, 0x7fc0, v7, vcc_lo
	s_branch .LBB199_2214
.LBB199_2209:
	s_mov_b32 s12, -1
                                        ; implicit-def: $vgpr16
	s_branch .LBB199_2220
.LBB199_2210:
	s_or_saveexec_b32 s14, s14
	v_mov_b32_e32 v9, 0x7f800001
	s_xor_b32 exec_lo, exec_lo, s14
	s_cbranch_execz .LBB199_2193
.LBB199_2211:
	v_cmp_ne_u16_e32 vcc_lo, 0, v7
	v_mov_b32_e32 v9, 0
	s_and_not1_b32 s13, s13, exec_lo
	s_and_b32 s15, vcc_lo, exec_lo
	s_delay_alu instid0(SALU_CYCLE_1)
	s_or_b32 s13, s13, s15
	s_or_b32 exec_lo, exec_lo, s14
	s_and_saveexec_b32 s14, s13
	s_cbranch_execnz .LBB199_2194
	s_branch .LBB199_2195
.LBB199_2212:
	s_mov_b32 s12, -1
                                        ; implicit-def: $vgpr16
	s_branch .LBB199_2217
.LBB199_2213:
	s_mov_b32 s12, -1
                                        ; implicit-def: $vgpr16
.LBB199_2214:
	s_delay_alu instid0(SALU_CYCLE_1)
	s_and_b32 vcc_lo, exec_lo, s12
	s_cbranch_vccz .LBB199_2216
; %bb.2215:
	global_load_u8 v7, v[14:15], off
	s_wait_loadcnt 0x0
	v_lshlrev_b32_e32 v7, 24, v7
	s_delay_alu instid0(VALU_DEP_1) | instskip(NEXT) | instid1(VALU_DEP_1)
	v_and_b32_e32 v9, 0x7f000000, v7
	v_clz_i32_u32_e32 v11, v9
	v_cmp_ne_u32_e32 vcc_lo, 0, v9
	s_wait_xcnt 0x1
	v_add_nc_u32_e32 v16, 0x1000000, v9
	s_delay_alu instid0(VALU_DEP_3) | instskip(NEXT) | instid1(VALU_DEP_1)
	v_min_u32_e32 v11, 32, v11
	v_sub_nc_u32_e64 v11, v11, 4 clamp
	s_delay_alu instid0(VALU_DEP_1) | instskip(NEXT) | instid1(VALU_DEP_1)
	v_dual_lshlrev_b32 v13, v11, v9 :: v_dual_lshlrev_b32 v11, 23, v11
	v_lshrrev_b32_e32 v13, 4, v13
	s_delay_alu instid0(VALU_DEP_1) | instskip(NEXT) | instid1(VALU_DEP_1)
	v_dual_sub_nc_u32 v11, v13, v11 :: v_dual_ashrrev_i32 v13, 8, v16
	v_add_nc_u32_e32 v11, 0x3c000000, v11
	s_delay_alu instid0(VALU_DEP_1) | instskip(NEXT) | instid1(VALU_DEP_1)
	v_and_or_b32 v11, 0x7f800000, v13, v11
	v_cndmask_b32_e32 v9, 0, v11, vcc_lo
	s_delay_alu instid0(VALU_DEP_1) | instskip(SKIP_1) | instid1(VALU_DEP_2)
	v_and_or_b32 v7, 0x80000000, v7, v9
	v_bfe_u32 v9, v9, 16, 1
	v_cmp_o_f32_e32 vcc_lo, v7, v7
	s_delay_alu instid0(VALU_DEP_2) | instskip(NEXT) | instid1(VALU_DEP_1)
	v_add3_u32 v9, v7, v9, 0x7fff
	v_lshrrev_b32_e32 v9, 16, v9
	s_delay_alu instid0(VALU_DEP_1)
	v_cndmask_b32_e32 v16, 0x7fc0, v9, vcc_lo
.LBB199_2216:
	s_mov_b32 s12, 0
.LBB199_2217:
	s_delay_alu instid0(SALU_CYCLE_1)
	s_and_not1_b32 vcc_lo, exec_lo, s12
	s_cbranch_vccnz .LBB199_2219
; %bb.2218:
	global_load_u8 v7, v[14:15], off
	s_wait_loadcnt 0x0
	v_lshlrev_b32_e32 v9, 25, v7
	v_lshlrev_b16 v7, 8, v7
	s_delay_alu instid0(VALU_DEP_1) | instskip(SKIP_1) | instid1(VALU_DEP_2)
	v_and_or_b32 v13, 0x7f00, v7, 0.5
	v_bfe_i32 v7, v7, 0, 16
	v_add_f32_e32 v13, -0.5, v13
	v_lshrrev_b32_e32 v11, 4, v9
	v_cmp_gt_u32_e32 vcc_lo, 0x8000000, v9
	s_delay_alu instid0(VALU_DEP_2) | instskip(NEXT) | instid1(VALU_DEP_1)
	v_or_b32_e32 v11, 0x70000000, v11
	v_mul_f32_e32 v11, 0x7800000, v11
	s_delay_alu instid0(VALU_DEP_1) | instskip(NEXT) | instid1(VALU_DEP_1)
	v_cndmask_b32_e32 v9, v11, v13, vcc_lo
	v_and_or_b32 v7, 0x80000000, v7, v9
	v_bfe_u32 v9, v9, 16, 1
	s_delay_alu instid0(VALU_DEP_2) | instskip(NEXT) | instid1(VALU_DEP_2)
	v_cmp_o_f32_e32 vcc_lo, v7, v7
	v_add3_u32 v9, v7, v9, 0x7fff
	s_delay_alu instid0(VALU_DEP_1) | instskip(SKIP_1) | instid1(VALU_DEP_1)
	v_lshrrev_b32_e32 v9, 16, v9
	s_wait_xcnt 0x1
	v_cndmask_b32_e32 v16, 0x7fc0, v9, vcc_lo
.LBB199_2219:
	s_mov_b32 s12, 0
	s_mov_b32 s13, -1
.LBB199_2220:
	s_and_not1_b32 vcc_lo, exec_lo, s12
	s_mov_b32 s12, 0
	s_cbranch_vccnz .LBB199_2231
; %bb.2221:
	s_cmp_gt_i32 s2, 14
	s_cbranch_scc0 .LBB199_2224
; %bb.2222:
	s_cmp_eq_u32 s2, 15
	s_cbranch_scc0 .LBB199_2227
; %bb.2223:
	s_wait_loadcnt 0x0
	global_load_u16 v16, v[14:15], off
	s_mov_b32 s11, 0
	s_mov_b32 s13, -1
	s_branch .LBB199_2229
.LBB199_2224:
	s_mov_b32 s12, -1
	s_branch .LBB199_2228
.LBB199_2225:
	s_or_saveexec_b32 s13, s13
	v_mov_b32_e32 v9, 0x7f800001
	s_xor_b32 exec_lo, exec_lo, s13
	s_cbranch_execz .LBB199_2206
.LBB199_2226:
	v_cmp_ne_u16_e32 vcc_lo, 0, v7
	v_mov_b32_e32 v9, 0
	s_and_not1_b32 s12, s12, exec_lo
	s_and_b32 s14, vcc_lo, exec_lo
	s_delay_alu instid0(SALU_CYCLE_1)
	s_or_b32 s12, s12, s14
	s_or_b32 exec_lo, exec_lo, s13
	s_and_saveexec_b32 s13, s12
	s_cbranch_execnz .LBB199_2207
	s_branch .LBB199_2208
.LBB199_2227:
	s_mov_b32 s11, -1
.LBB199_2228:
                                        ; implicit-def: $vgpr16
.LBB199_2229:
	s_and_b32 vcc_lo, exec_lo, s12
	s_mov_b32 s12, 0
	s_cbranch_vccz .LBB199_2231
; %bb.2230:
	s_cmp_lg_u32 s2, 11
	s_mov_b32 s12, -1
	s_cselect_b32 s11, -1, 0
.LBB199_2231:
	s_delay_alu instid0(SALU_CYCLE_1)
	s_and_b32 vcc_lo, exec_lo, s11
	s_cbranch_vccnz .LBB199_2296
; %bb.2232:
	s_and_not1_b32 vcc_lo, exec_lo, s12
	s_cbranch_vccnz .LBB199_2234
.LBB199_2233:
	global_load_u8 v7, v[14:15], off
	s_mov_b32 s13, -1
	s_wait_loadcnt 0x0
	v_cmp_ne_u16_e32 vcc_lo, 0, v7
	v_cndmask_b32_e64 v7, 0, 1.0, vcc_lo
	s_wait_xcnt 0x1
	s_delay_alu instid0(VALU_DEP_1)
	v_lshrrev_b32_e32 v16, 16, v7
.LBB199_2234:
	s_mov_b32 s11, 0
.LBB199_2235:
	s_delay_alu instid0(SALU_CYCLE_1)
	s_and_b32 vcc_lo, exec_lo, s11
	s_cbranch_vccz .LBB199_2284
; %bb.2236:
	s_cmp_lt_i32 s2, 5
	s_cbranch_scc1 .LBB199_2241
; %bb.2237:
	s_cmp_lt_i32 s2, 8
	s_cbranch_scc1 .LBB199_2242
	;; [unrolled: 3-line block ×3, first 2 shown]
; %bb.2239:
	s_cmp_gt_i32 s2, 9
	s_cbranch_scc0 .LBB199_2244
; %bb.2240:
	s_wait_loadcnt 0x0
	global_load_b64 v[16:17], v[14:15], off
	s_mov_b32 s11, 0
	s_wait_loadcnt 0x0
	v_cvt_f32_f64_e32 v7, v[16:17]
	s_delay_alu instid0(VALU_DEP_1) | instskip(SKIP_1) | instid1(VALU_DEP_2)
	v_bfe_u32 v9, v7, 16, 1
	v_cmp_o_f32_e32 vcc_lo, v7, v7
	v_add3_u32 v9, v7, v9, 0x7fff
	s_delay_alu instid0(VALU_DEP_1) | instskip(NEXT) | instid1(VALU_DEP_1)
	v_lshrrev_b32_e32 v9, 16, v9
	v_cndmask_b32_e32 v16, 0x7fc0, v9, vcc_lo
	s_branch .LBB199_2245
.LBB199_2241:
	s_mov_b32 s11, -1
                                        ; implicit-def: $vgpr16
	s_branch .LBB199_2263
.LBB199_2242:
	s_mov_b32 s11, -1
                                        ; implicit-def: $vgpr16
	s_branch .LBB199_2251
.LBB199_2243:
	s_mov_b32 s11, -1
                                        ; implicit-def: $vgpr16
	s_branch .LBB199_2248
.LBB199_2244:
	s_mov_b32 s11, -1
                                        ; implicit-def: $vgpr16
.LBB199_2245:
	s_delay_alu instid0(SALU_CYCLE_1)
	s_and_not1_b32 vcc_lo, exec_lo, s11
	s_cbranch_vccnz .LBB199_2247
; %bb.2246:
	global_load_b32 v7, v[14:15], off
	s_wait_loadcnt 0x0
	v_bfe_u32 v9, v7, 16, 1
	v_cmp_o_f32_e32 vcc_lo, v7, v7
	s_delay_alu instid0(VALU_DEP_2) | instskip(NEXT) | instid1(VALU_DEP_1)
	v_add3_u32 v9, v7, v9, 0x7fff
	v_lshrrev_b32_e32 v9, 16, v9
	s_wait_xcnt 0x1
	s_delay_alu instid0(VALU_DEP_1)
	v_cndmask_b32_e32 v16, 0x7fc0, v9, vcc_lo
.LBB199_2247:
	s_mov_b32 s11, 0
.LBB199_2248:
	s_delay_alu instid0(SALU_CYCLE_1)
	s_and_not1_b32 vcc_lo, exec_lo, s11
	s_cbranch_vccnz .LBB199_2250
; %bb.2249:
	global_load_b32 v7, v[14:15], off
	s_wait_loadcnt 0x0
	v_cvt_f32_f16_e32 v9, v7
	v_cmp_o_f16_e32 vcc_lo, v7, v7
	s_delay_alu instid0(VALU_DEP_2) | instskip(NEXT) | instid1(VALU_DEP_1)
	v_bfe_u32 v11, v9, 16, 1
	v_add3_u32 v9, v9, v11, 0x7fff
	s_delay_alu instid0(VALU_DEP_1) | instskip(SKIP_1) | instid1(VALU_DEP_1)
	v_lshrrev_b32_e32 v9, 16, v9
	s_wait_xcnt 0x1
	v_cndmask_b32_e32 v16, 0x7fc0, v9, vcc_lo
.LBB199_2250:
	s_mov_b32 s11, 0
.LBB199_2251:
	s_delay_alu instid0(SALU_CYCLE_1)
	s_and_not1_b32 vcc_lo, exec_lo, s11
	s_cbranch_vccnz .LBB199_2262
; %bb.2252:
	s_cmp_lt_i32 s2, 6
	s_cbranch_scc1 .LBB199_2255
; %bb.2253:
	s_cmp_gt_i32 s2, 6
	s_cbranch_scc0 .LBB199_2256
; %bb.2254:
	s_wait_loadcnt 0x0
	global_load_b64 v[16:17], v[14:15], off
	s_mov_b32 s11, 0
	s_wait_loadcnt 0x0
	v_cvt_f32_f64_e32 v7, v[16:17]
	s_delay_alu instid0(VALU_DEP_1) | instskip(SKIP_1) | instid1(VALU_DEP_2)
	v_bfe_u32 v9, v7, 16, 1
	v_cmp_o_f32_e32 vcc_lo, v7, v7
	v_add3_u32 v9, v7, v9, 0x7fff
	s_delay_alu instid0(VALU_DEP_1) | instskip(NEXT) | instid1(VALU_DEP_1)
	v_lshrrev_b32_e32 v9, 16, v9
	v_cndmask_b32_e32 v16, 0x7fc0, v9, vcc_lo
	s_branch .LBB199_2257
.LBB199_2255:
	s_mov_b32 s11, -1
                                        ; implicit-def: $vgpr16
	s_branch .LBB199_2260
.LBB199_2256:
	s_mov_b32 s11, -1
                                        ; implicit-def: $vgpr16
.LBB199_2257:
	s_delay_alu instid0(SALU_CYCLE_1)
	s_and_not1_b32 vcc_lo, exec_lo, s11
	s_cbranch_vccnz .LBB199_2259
; %bb.2258:
	global_load_b32 v7, v[14:15], off
	s_wait_loadcnt 0x0
	v_bfe_u32 v9, v7, 16, 1
	v_cmp_o_f32_e32 vcc_lo, v7, v7
	s_delay_alu instid0(VALU_DEP_2) | instskip(NEXT) | instid1(VALU_DEP_1)
	v_add3_u32 v9, v7, v9, 0x7fff
	v_lshrrev_b32_e32 v9, 16, v9
	s_wait_xcnt 0x1
	s_delay_alu instid0(VALU_DEP_1)
	v_cndmask_b32_e32 v16, 0x7fc0, v9, vcc_lo
.LBB199_2259:
	s_mov_b32 s11, 0
.LBB199_2260:
	s_delay_alu instid0(SALU_CYCLE_1)
	s_and_not1_b32 vcc_lo, exec_lo, s11
	s_cbranch_vccnz .LBB199_2262
; %bb.2261:
	global_load_u16 v7, v[14:15], off
	s_wait_loadcnt 0x0
	v_cvt_f32_f16_e32 v9, v7
	v_cmp_o_f16_e32 vcc_lo, v7, v7
	s_delay_alu instid0(VALU_DEP_2) | instskip(NEXT) | instid1(VALU_DEP_1)
	v_bfe_u32 v11, v9, 16, 1
	v_add3_u32 v9, v9, v11, 0x7fff
	s_delay_alu instid0(VALU_DEP_1) | instskip(SKIP_1) | instid1(VALU_DEP_1)
	v_lshrrev_b32_e32 v9, 16, v9
	s_wait_xcnt 0x1
	v_cndmask_b32_e32 v16, 0x7fc0, v9, vcc_lo
.LBB199_2262:
	s_mov_b32 s11, 0
.LBB199_2263:
	s_delay_alu instid0(SALU_CYCLE_1)
	s_and_not1_b32 vcc_lo, exec_lo, s11
	s_cbranch_vccnz .LBB199_2283
; %bb.2264:
	s_cmp_lt_i32 s2, 2
	s_cbranch_scc1 .LBB199_2268
; %bb.2265:
	s_cmp_lt_i32 s2, 3
	s_cbranch_scc1 .LBB199_2269
; %bb.2266:
	s_cmp_gt_i32 s2, 3
	s_cbranch_scc0 .LBB199_2270
; %bb.2267:
	s_wait_loadcnt 0x0
	global_load_b64 v[16:17], v[14:15], off
	s_mov_b32 s11, 0
	s_wait_loadcnt 0x0
	v_xor_b32_e32 v7, v16, v17
	v_cls_i32_e32 v9, v17
	s_delay_alu instid0(VALU_DEP_2) | instskip(NEXT) | instid1(VALU_DEP_1)
	v_ashrrev_i32_e32 v7, 31, v7
	v_add_nc_u32_e32 v7, 32, v7
	s_delay_alu instid0(VALU_DEP_1) | instskip(NEXT) | instid1(VALU_DEP_1)
	v_add_min_u32_e64 v7, v9, -1, v7
	v_lshlrev_b64_e32 v[16:17], v7, v[16:17]
	v_sub_nc_u32_e32 v7, 32, v7
	s_delay_alu instid0(VALU_DEP_2) | instskip(NEXT) | instid1(VALU_DEP_1)
	v_min_u32_e32 v9, 1, v16
	v_or_b32_e32 v9, v17, v9
	s_delay_alu instid0(VALU_DEP_1) | instskip(NEXT) | instid1(VALU_DEP_1)
	v_cvt_f32_i32_e32 v9, v9
	v_ldexp_f32 v7, v9, v7
	s_delay_alu instid0(VALU_DEP_1) | instskip(NEXT) | instid1(VALU_DEP_1)
	v_bfe_u32 v9, v7, 16, 1
	v_add3_u32 v7, v7, v9, 0x7fff
	s_delay_alu instid0(VALU_DEP_1)
	v_lshrrev_b32_e32 v16, 16, v7
	s_branch .LBB199_2271
.LBB199_2268:
	s_mov_b32 s11, -1
                                        ; implicit-def: $vgpr16
	s_branch .LBB199_2277
.LBB199_2269:
	s_mov_b32 s11, -1
                                        ; implicit-def: $vgpr16
	s_branch .LBB199_2274
.LBB199_2270:
	s_mov_b32 s11, -1
                                        ; implicit-def: $vgpr16
.LBB199_2271:
	s_delay_alu instid0(SALU_CYCLE_1)
	s_and_not1_b32 vcc_lo, exec_lo, s11
	s_cbranch_vccnz .LBB199_2273
; %bb.2272:
	global_load_b32 v7, v[14:15], off
	s_wait_loadcnt 0x0
	v_cvt_f32_i32_e32 v7, v7
	s_delay_alu instid0(VALU_DEP_1) | instskip(NEXT) | instid1(VALU_DEP_1)
	v_bfe_u32 v9, v7, 16, 1
	v_add3_u32 v7, v7, v9, 0x7fff
	s_wait_xcnt 0x1
	s_delay_alu instid0(VALU_DEP_1)
	v_lshrrev_b32_e32 v16, 16, v7
.LBB199_2273:
	s_mov_b32 s11, 0
.LBB199_2274:
	s_delay_alu instid0(SALU_CYCLE_1)
	s_and_not1_b32 vcc_lo, exec_lo, s11
	s_cbranch_vccnz .LBB199_2276
; %bb.2275:
	global_load_i16 v7, v[14:15], off
	s_wait_loadcnt 0x0
	v_cvt_f32_i32_e32 v7, v7
	s_delay_alu instid0(VALU_DEP_1) | instskip(NEXT) | instid1(VALU_DEP_1)
	v_bfe_u32 v9, v7, 16, 1
	v_add3_u32 v7, v7, v9, 0x7fff
	s_wait_xcnt 0x1
	s_delay_alu instid0(VALU_DEP_1)
	v_lshrrev_b32_e32 v16, 16, v7
.LBB199_2276:
	s_mov_b32 s11, 0
.LBB199_2277:
	s_delay_alu instid0(SALU_CYCLE_1)
	s_and_not1_b32 vcc_lo, exec_lo, s11
	s_cbranch_vccnz .LBB199_2283
; %bb.2278:
	s_cmp_gt_i32 s2, 0
	s_mov_b32 s11, 0
	s_cbranch_scc0 .LBB199_2280
; %bb.2279:
	global_load_i8 v7, v[14:15], off
	s_wait_loadcnt 0x0
	v_cvt_f32_i32_e32 v7, v7
	s_delay_alu instid0(VALU_DEP_1) | instskip(NEXT) | instid1(VALU_DEP_1)
	v_bfe_u32 v9, v7, 16, 1
	v_add3_u32 v7, v7, v9, 0x7fff
	s_wait_xcnt 0x1
	s_delay_alu instid0(VALU_DEP_1)
	v_lshrrev_b32_e32 v16, 16, v7
	s_branch .LBB199_2281
.LBB199_2280:
	s_mov_b32 s11, -1
                                        ; implicit-def: $vgpr16
.LBB199_2281:
	s_delay_alu instid0(SALU_CYCLE_1)
	s_and_not1_b32 vcc_lo, exec_lo, s11
	s_cbranch_vccnz .LBB199_2283
; %bb.2282:
	global_load_u8 v7, v[14:15], off
	s_wait_loadcnt 0x0
	v_cvt_f32_ubyte0_e32 v7, v7
	s_delay_alu instid0(VALU_DEP_1) | instskip(NEXT) | instid1(VALU_DEP_1)
	v_bfe_u32 v9, v7, 16, 1
	v_add3_u32 v7, v7, v9, 0x7fff
	s_wait_xcnt 0x1
	s_delay_alu instid0(VALU_DEP_1)
	v_lshrrev_b32_e32 v16, 16, v7
.LBB199_2283:
	s_mov_b32 s13, -1
.LBB199_2284:
	s_delay_alu instid0(SALU_CYCLE_1)
	s_and_not1_b32 vcc_lo, exec_lo, s13
	s_cbranch_vccnz .LBB199_3112
; %bb.2285:
	v_mov_b32_e32 v13, 0
	s_cmp_lt_i32 s10, 11
	s_delay_alu instid0(VALU_DEP_1)
	v_add_nc_u64_e32 v[12:13], s[0:1], v[12:13]
	s_cbranch_scc1 .LBB199_2292
; %bb.2286:
	s_cmp_gt_i32 s10, 25
	s_mov_b32 s12, 0
	s_cbranch_scc0 .LBB199_2293
; %bb.2287:
	s_cmp_gt_i32 s10, 28
	s_cbranch_scc0 .LBB199_2294
; %bb.2288:
	s_cmp_gt_i32 s10, 43
	s_cbranch_scc0 .LBB199_2295
; %bb.2289:
	s_cmp_gt_i32 s10, 45
	s_cbranch_scc0 .LBB199_2297
; %bb.2290:
	s_cmp_eq_u32 s10, 46
	s_mov_b32 s14, 0
	s_cbranch_scc0 .LBB199_2300
; %bb.2291:
	global_load_b32 v14, v[12:13], off
	s_mov_b32 s11, 0
	s_mov_b32 s13, -1
	s_branch .LBB199_2302
.LBB199_2292:
	s_mov_b32 s11, -1
	s_mov_b32 s13, 0
                                        ; implicit-def: $vgpr14
	s_branch .LBB199_2368
.LBB199_2293:
	s_mov_b32 s14, -1
	s_mov_b32 s13, 0
	s_mov_b32 s11, 0
                                        ; implicit-def: $vgpr14
	s_branch .LBB199_2331
.LBB199_2294:
	s_mov_b32 s14, -1
	s_mov_b32 s13, 0
	s_mov_b32 s11, 0
                                        ; implicit-def: $vgpr14
	s_branch .LBB199_2312
.LBB199_2295:
	s_mov_b32 s14, -1
	s_mov_b32 s13, 0
	s_mov_b32 s11, 0
                                        ; implicit-def: $vgpr14
	s_branch .LBB199_2307
.LBB199_2296:
	s_or_b32 s9, s9, exec_lo
	s_trap 2
	s_cbranch_execz .LBB199_2233
	s_branch .LBB199_2234
.LBB199_2297:
	s_mov_b32 s14, -1
	s_mov_b32 s13, 0
	s_mov_b32 s11, 0
	s_branch .LBB199_2301
.LBB199_2298:
	s_and_not1_saveexec_b32 s53, s53
	s_cbranch_execz .LBB199_1121
.LBB199_2299:
	v_add_f32_e32 v1, 0x42800000, v4
	s_and_not1_b32 s52, s52, exec_lo
	s_delay_alu instid0(VALU_DEP_1) | instskip(NEXT) | instid1(VALU_DEP_1)
	v_and_b32_e32 v1, 0xff, v1
	v_cmp_ne_u32_e32 vcc_lo, 0, v1
	s_and_b32 s54, vcc_lo, exec_lo
	s_delay_alu instid0(SALU_CYCLE_1)
	s_or_b32 s52, s52, s54
	s_or_b32 exec_lo, exec_lo, s53
	v_mov_b32_e32 v5, 0
	s_and_saveexec_b32 s53, s52
	s_cbranch_execnz .LBB199_1122
	s_branch .LBB199_1123
.LBB199_2300:
	s_mov_b32 s11, -1
	s_mov_b32 s13, 0
.LBB199_2301:
                                        ; implicit-def: $vgpr14
.LBB199_2302:
	s_and_b32 vcc_lo, exec_lo, s14
	s_cbranch_vccz .LBB199_2306
; %bb.2303:
	s_cmp_eq_u32 s10, 44
	s_cbranch_scc0 .LBB199_2305
; %bb.2304:
	global_load_u8 v7, v[12:13], off
	s_mov_b32 s11, 0
	s_mov_b32 s13, -1
	s_wait_loadcnt 0x0
	v_lshlrev_b32_e32 v9, 23, v7
	v_cmp_ne_u32_e32 vcc_lo, 0xff, v7
	s_delay_alu instid0(VALU_DEP_2) | instskip(SKIP_1) | instid1(VALU_DEP_2)
	v_cndmask_b32_e32 v9, 0x7f800001, v9, vcc_lo
	v_cmp_ne_u32_e32 vcc_lo, 0, v7
	v_cndmask_b32_e32 v7, 0x400000, v9, vcc_lo
	s_delay_alu instid0(VALU_DEP_1) | instskip(SKIP_1) | instid1(VALU_DEP_2)
	v_add_nc_u32_e32 v9, 0x7fff, v7
	v_cmp_o_f32_e32 vcc_lo, v7, v7
	v_lshrrev_b32_e32 v9, 16, v9
	s_wait_xcnt 0x1
	s_delay_alu instid0(VALU_DEP_1)
	v_cndmask_b32_e32 v14, 0x7fc0, v9, vcc_lo
	s_branch .LBB199_2306
.LBB199_2305:
	s_mov_b32 s11, -1
                                        ; implicit-def: $vgpr14
.LBB199_2306:
	s_mov_b32 s14, 0
.LBB199_2307:
	s_delay_alu instid0(SALU_CYCLE_1)
	s_and_b32 vcc_lo, exec_lo, s14
	s_cbranch_vccz .LBB199_2311
; %bb.2308:
	s_cmp_eq_u32 s10, 29
	s_cbranch_scc0 .LBB199_2310
; %bb.2309:
	s_wait_loadcnt 0x0
	global_load_b64 v[14:15], v[12:13], off
	s_mov_b32 s11, 0
	s_mov_b32 s13, -1
	s_mov_b32 s14, 0
	s_wait_loadcnt 0x0
	v_clz_i32_u32_e32 v7, v15
	s_delay_alu instid0(VALU_DEP_1) | instskip(NEXT) | instid1(VALU_DEP_1)
	v_min_u32_e32 v7, 32, v7
	v_lshlrev_b64_e32 v[14:15], v7, v[14:15]
	v_sub_nc_u32_e32 v7, 32, v7
	s_delay_alu instid0(VALU_DEP_2) | instskip(NEXT) | instid1(VALU_DEP_1)
	v_min_u32_e32 v9, 1, v14
	v_or_b32_e32 v9, v15, v9
	s_delay_alu instid0(VALU_DEP_1) | instskip(NEXT) | instid1(VALU_DEP_1)
	v_cvt_f32_u32_e32 v9, v9
	v_ldexp_f32 v7, v9, v7
	s_delay_alu instid0(VALU_DEP_1) | instskip(NEXT) | instid1(VALU_DEP_1)
	v_bfe_u32 v9, v7, 16, 1
	v_add3_u32 v7, v7, v9, 0x7fff
	s_delay_alu instid0(VALU_DEP_1)
	v_lshrrev_b32_e32 v14, 16, v7
	s_branch .LBB199_2312
.LBB199_2310:
	s_mov_b32 s11, -1
                                        ; implicit-def: $vgpr14
.LBB199_2311:
	s_mov_b32 s14, 0
.LBB199_2312:
	s_delay_alu instid0(SALU_CYCLE_1)
	s_and_b32 vcc_lo, exec_lo, s14
	s_cbranch_vccz .LBB199_2330
; %bb.2313:
	s_cmp_lt_i32 s10, 27
	s_cbranch_scc1 .LBB199_2316
; %bb.2314:
	s_cmp_gt_i32 s10, 27
	s_cbranch_scc0 .LBB199_2317
; %bb.2315:
	global_load_b32 v7, v[12:13], off
	s_mov_b32 s13, 0
	s_wait_loadcnt 0x0
	v_cvt_f32_u32_e32 v7, v7
	s_delay_alu instid0(VALU_DEP_1) | instskip(NEXT) | instid1(VALU_DEP_1)
	v_bfe_u32 v9, v7, 16, 1
	v_add3_u32 v7, v7, v9, 0x7fff
	s_wait_xcnt 0x1
	s_delay_alu instid0(VALU_DEP_1)
	v_lshrrev_b32_e32 v14, 16, v7
	s_branch .LBB199_2318
.LBB199_2316:
	s_mov_b32 s13, -1
                                        ; implicit-def: $vgpr14
	s_branch .LBB199_2321
.LBB199_2317:
	s_mov_b32 s13, -1
                                        ; implicit-def: $vgpr14
.LBB199_2318:
	s_delay_alu instid0(SALU_CYCLE_1)
	s_and_not1_b32 vcc_lo, exec_lo, s13
	s_cbranch_vccnz .LBB199_2320
; %bb.2319:
	global_load_u16 v7, v[12:13], off
	s_wait_loadcnt 0x0
	v_cvt_f32_u32_e32 v7, v7
	s_delay_alu instid0(VALU_DEP_1) | instskip(NEXT) | instid1(VALU_DEP_1)
	v_bfe_u32 v9, v7, 16, 1
	v_add3_u32 v7, v7, v9, 0x7fff
	s_wait_xcnt 0x1
	s_delay_alu instid0(VALU_DEP_1)
	v_lshrrev_b32_e32 v14, 16, v7
.LBB199_2320:
	s_mov_b32 s13, 0
.LBB199_2321:
	s_delay_alu instid0(SALU_CYCLE_1)
	s_and_not1_b32 vcc_lo, exec_lo, s13
	s_cbranch_vccnz .LBB199_2329
; %bb.2322:
	global_load_u8 v7, v[12:13], off
	s_mov_b32 s13, 0
	s_mov_b32 s14, exec_lo
	s_wait_loadcnt 0x0
	v_cmpx_lt_i16_e32 0x7f, v7
	s_xor_b32 s14, exec_lo, s14
	s_cbranch_execz .LBB199_2343
; %bb.2323:
	s_mov_b32 s13, -1
	s_mov_b32 s15, exec_lo
	v_cmpx_eq_u16_e32 0x80, v7
; %bb.2324:
	s_xor_b32 s13, exec_lo, -1
; %bb.2325:
	s_or_b32 exec_lo, exec_lo, s15
	s_delay_alu instid0(SALU_CYCLE_1)
	s_and_b32 s13, s13, exec_lo
	s_or_saveexec_b32 s14, s14
	v_mov_b32_e32 v9, 0x7f800001
	s_xor_b32 exec_lo, exec_lo, s14
	s_cbranch_execnz .LBB199_2344
.LBB199_2326:
	s_or_b32 exec_lo, exec_lo, s14
	s_and_saveexec_b32 s14, s13
	s_cbranch_execz .LBB199_2328
.LBB199_2327:
	v_and_b32_e32 v9, 0xffff, v7
	s_delay_alu instid0(VALU_DEP_1) | instskip(SKIP_1) | instid1(VALU_DEP_2)
	v_and_b32_e32 v11, 7, v9
	v_bfe_u32 v17, v9, 3, 4
	v_clz_i32_u32_e32 v14, v11
	s_delay_alu instid0(VALU_DEP_2) | instskip(NEXT) | instid1(VALU_DEP_2)
	v_cmp_eq_u32_e32 vcc_lo, 0, v17
	v_min_u32_e32 v14, 32, v14
	s_delay_alu instid0(VALU_DEP_1) | instskip(NEXT) | instid1(VALU_DEP_1)
	v_subrev_nc_u32_e32 v15, 28, v14
	v_dual_lshlrev_b32 v9, v15, v9 :: v_dual_sub_nc_u32 v14, 29, v14
	s_delay_alu instid0(VALU_DEP_1) | instskip(NEXT) | instid1(VALU_DEP_1)
	v_dual_lshlrev_b32 v7, 24, v7 :: v_dual_bitop2_b32 v9, 7, v9 bitop3:0x40
	v_dual_cndmask_b32 v14, v17, v14 :: v_dual_cndmask_b32 v9, v11, v9
	s_delay_alu instid0(VALU_DEP_2) | instskip(NEXT) | instid1(VALU_DEP_2)
	v_and_b32_e32 v7, 0x80000000, v7
	v_lshl_add_u32 v11, v14, 23, 0x3b800000
	s_delay_alu instid0(VALU_DEP_3) | instskip(NEXT) | instid1(VALU_DEP_1)
	v_lshlrev_b32_e32 v9, 20, v9
	v_or3_b32 v9, v7, v11, v9
.LBB199_2328:
	s_or_b32 exec_lo, exec_lo, s14
	s_delay_alu instid0(VALU_DEP_1) | instskip(SKIP_1) | instid1(VALU_DEP_2)
	v_bfe_u32 v7, v9, 16, 1
	v_cmp_o_f32_e32 vcc_lo, v9, v9
	v_add3_u32 v7, v9, v7, 0x7fff
	s_delay_alu instid0(VALU_DEP_1) | instskip(NEXT) | instid1(VALU_DEP_1)
	v_lshrrev_b32_e32 v7, 16, v7
	v_cndmask_b32_e32 v14, 0x7fc0, v7, vcc_lo
.LBB199_2329:
	s_mov_b32 s13, -1
.LBB199_2330:
	s_mov_b32 s14, 0
.LBB199_2331:
	s_delay_alu instid0(SALU_CYCLE_1)
	s_and_b32 vcc_lo, exec_lo, s14
	s_cbranch_vccz .LBB199_2364
; %bb.2332:
	s_cmp_gt_i32 s10, 22
	s_cbranch_scc0 .LBB199_2342
; %bb.2333:
	s_cmp_lt_i32 s10, 24
	s_cbranch_scc1 .LBB199_2345
; %bb.2334:
	s_cmp_gt_i32 s10, 24
	s_cbranch_scc0 .LBB199_2346
; %bb.2335:
	global_load_u8 v7, v[12:13], off
	s_mov_b32 s13, exec_lo
	s_wait_loadcnt 0x0
	v_cmpx_lt_i16_e32 0x7f, v7
	s_xor_b32 s13, exec_lo, s13
	s_cbranch_execz .LBB199_2358
; %bb.2336:
	s_mov_b32 s12, -1
	s_mov_b32 s14, exec_lo
	v_cmpx_eq_u16_e32 0x80, v7
; %bb.2337:
	s_xor_b32 s12, exec_lo, -1
; %bb.2338:
	s_or_b32 exec_lo, exec_lo, s14
	s_delay_alu instid0(SALU_CYCLE_1)
	s_and_b32 s12, s12, exec_lo
	s_or_saveexec_b32 s13, s13
	v_mov_b32_e32 v9, 0x7f800001
	s_xor_b32 exec_lo, exec_lo, s13
	s_cbranch_execnz .LBB199_2359
.LBB199_2339:
	s_or_b32 exec_lo, exec_lo, s13
	s_and_saveexec_b32 s13, s12
	s_cbranch_execz .LBB199_2341
.LBB199_2340:
	v_and_b32_e32 v9, 0xffff, v7
	s_delay_alu instid0(VALU_DEP_1) | instskip(SKIP_1) | instid1(VALU_DEP_2)
	v_and_b32_e32 v11, 3, v9
	v_bfe_u32 v17, v9, 2, 5
	v_clz_i32_u32_e32 v14, v11
	s_delay_alu instid0(VALU_DEP_2) | instskip(NEXT) | instid1(VALU_DEP_2)
	v_cmp_eq_u32_e32 vcc_lo, 0, v17
	v_min_u32_e32 v14, 32, v14
	s_delay_alu instid0(VALU_DEP_1) | instskip(NEXT) | instid1(VALU_DEP_1)
	v_subrev_nc_u32_e32 v15, 29, v14
	v_dual_lshlrev_b32 v9, v15, v9 :: v_dual_sub_nc_u32 v14, 30, v14
	s_delay_alu instid0(VALU_DEP_1) | instskip(NEXT) | instid1(VALU_DEP_1)
	v_dual_lshlrev_b32 v7, 24, v7 :: v_dual_bitop2_b32 v9, 3, v9 bitop3:0x40
	v_dual_cndmask_b32 v14, v17, v14 :: v_dual_cndmask_b32 v9, v11, v9
	s_delay_alu instid0(VALU_DEP_2) | instskip(NEXT) | instid1(VALU_DEP_2)
	v_and_b32_e32 v7, 0x80000000, v7
	v_lshl_add_u32 v11, v14, 23, 0x37800000
	s_delay_alu instid0(VALU_DEP_3) | instskip(NEXT) | instid1(VALU_DEP_1)
	v_lshlrev_b32_e32 v9, 21, v9
	v_or3_b32 v9, v7, v11, v9
.LBB199_2341:
	s_or_b32 exec_lo, exec_lo, s13
	s_delay_alu instid0(VALU_DEP_1) | instskip(SKIP_2) | instid1(VALU_DEP_2)
	v_bfe_u32 v7, v9, 16, 1
	v_cmp_o_f32_e32 vcc_lo, v9, v9
	s_mov_b32 s12, 0
	v_add3_u32 v7, v9, v7, 0x7fff
	s_delay_alu instid0(VALU_DEP_1) | instskip(NEXT) | instid1(VALU_DEP_1)
	v_lshrrev_b32_e32 v7, 16, v7
	v_cndmask_b32_e32 v14, 0x7fc0, v7, vcc_lo
	s_branch .LBB199_2347
.LBB199_2342:
	s_mov_b32 s12, -1
                                        ; implicit-def: $vgpr14
	s_branch .LBB199_2353
.LBB199_2343:
	s_or_saveexec_b32 s14, s14
	v_mov_b32_e32 v9, 0x7f800001
	s_xor_b32 exec_lo, exec_lo, s14
	s_cbranch_execz .LBB199_2326
.LBB199_2344:
	v_cmp_ne_u16_e32 vcc_lo, 0, v7
	v_mov_b32_e32 v9, 0
	s_and_not1_b32 s13, s13, exec_lo
	s_and_b32 s15, vcc_lo, exec_lo
	s_delay_alu instid0(SALU_CYCLE_1)
	s_or_b32 s13, s13, s15
	s_or_b32 exec_lo, exec_lo, s14
	s_and_saveexec_b32 s14, s13
	s_cbranch_execnz .LBB199_2327
	s_branch .LBB199_2328
.LBB199_2345:
	s_mov_b32 s12, -1
                                        ; implicit-def: $vgpr14
	s_branch .LBB199_2350
.LBB199_2346:
	s_mov_b32 s12, -1
                                        ; implicit-def: $vgpr14
.LBB199_2347:
	s_delay_alu instid0(SALU_CYCLE_1)
	s_and_b32 vcc_lo, exec_lo, s12
	s_cbranch_vccz .LBB199_2349
; %bb.2348:
	global_load_u8 v7, v[12:13], off
	s_wait_loadcnt 0x0
	v_lshlrev_b32_e32 v7, 24, v7
	s_delay_alu instid0(VALU_DEP_1) | instskip(NEXT) | instid1(VALU_DEP_1)
	v_and_b32_e32 v9, 0x7f000000, v7
	v_clz_i32_u32_e32 v11, v9
	s_wait_xcnt 0x1
	v_add_nc_u32_e32 v15, 0x1000000, v9
	v_cmp_ne_u32_e32 vcc_lo, 0, v9
	s_delay_alu instid0(VALU_DEP_3) | instskip(NEXT) | instid1(VALU_DEP_1)
	v_min_u32_e32 v11, 32, v11
	v_sub_nc_u32_e64 v11, v11, 4 clamp
	s_delay_alu instid0(VALU_DEP_1) | instskip(NEXT) | instid1(VALU_DEP_1)
	v_dual_lshlrev_b32 v14, v11, v9 :: v_dual_lshlrev_b32 v11, 23, v11
	v_lshrrev_b32_e32 v14, 4, v14
	s_delay_alu instid0(VALU_DEP_1) | instskip(SKIP_1) | instid1(VALU_DEP_2)
	v_sub_nc_u32_e32 v11, v14, v11
	v_ashrrev_i32_e32 v14, 8, v15
	v_add_nc_u32_e32 v11, 0x3c000000, v11
	s_delay_alu instid0(VALU_DEP_1) | instskip(NEXT) | instid1(VALU_DEP_1)
	v_and_or_b32 v11, 0x7f800000, v14, v11
	v_cndmask_b32_e32 v9, 0, v11, vcc_lo
	s_delay_alu instid0(VALU_DEP_1) | instskip(SKIP_1) | instid1(VALU_DEP_2)
	v_and_or_b32 v7, 0x80000000, v7, v9
	v_bfe_u32 v9, v9, 16, 1
	v_cmp_o_f32_e32 vcc_lo, v7, v7
	s_delay_alu instid0(VALU_DEP_2) | instskip(NEXT) | instid1(VALU_DEP_1)
	v_add3_u32 v9, v7, v9, 0x7fff
	v_lshrrev_b32_e32 v9, 16, v9
	s_delay_alu instid0(VALU_DEP_1)
	v_cndmask_b32_e32 v14, 0x7fc0, v9, vcc_lo
.LBB199_2349:
	s_mov_b32 s12, 0
.LBB199_2350:
	s_delay_alu instid0(SALU_CYCLE_1)
	s_and_not1_b32 vcc_lo, exec_lo, s12
	s_cbranch_vccnz .LBB199_2352
; %bb.2351:
	global_load_u8 v7, v[12:13], off
	s_wait_loadcnt 0x0
	v_lshlrev_b32_e32 v9, 25, v7
	v_lshlrev_b16 v7, 8, v7
	s_wait_xcnt 0x1
	s_delay_alu instid0(VALU_DEP_1) | instskip(SKIP_1) | instid1(VALU_DEP_2)
	v_and_or_b32 v14, 0x7f00, v7, 0.5
	v_bfe_i32 v7, v7, 0, 16
	v_dual_add_f32 v14, -0.5, v14 :: v_dual_lshrrev_b32 v11, 4, v9
	v_cmp_gt_u32_e32 vcc_lo, 0x8000000, v9
	s_delay_alu instid0(VALU_DEP_2) | instskip(NEXT) | instid1(VALU_DEP_1)
	v_or_b32_e32 v11, 0x70000000, v11
	v_mul_f32_e32 v11, 0x7800000, v11
	s_delay_alu instid0(VALU_DEP_1) | instskip(NEXT) | instid1(VALU_DEP_1)
	v_cndmask_b32_e32 v9, v11, v14, vcc_lo
	v_and_or_b32 v7, 0x80000000, v7, v9
	v_bfe_u32 v9, v9, 16, 1
	s_delay_alu instid0(VALU_DEP_2) | instskip(NEXT) | instid1(VALU_DEP_2)
	v_cmp_o_f32_e32 vcc_lo, v7, v7
	v_add3_u32 v9, v7, v9, 0x7fff
	s_delay_alu instid0(VALU_DEP_1) | instskip(NEXT) | instid1(VALU_DEP_1)
	v_lshrrev_b32_e32 v9, 16, v9
	v_cndmask_b32_e32 v14, 0x7fc0, v9, vcc_lo
.LBB199_2352:
	s_mov_b32 s12, 0
	s_mov_b32 s13, -1
.LBB199_2353:
	s_and_not1_b32 vcc_lo, exec_lo, s12
	s_mov_b32 s12, 0
	s_cbranch_vccnz .LBB199_2364
; %bb.2354:
	s_cmp_gt_i32 s10, 14
	s_cbranch_scc0 .LBB199_2357
; %bb.2355:
	s_cmp_eq_u32 s10, 15
	s_cbranch_scc0 .LBB199_2360
; %bb.2356:
	s_wait_loadcnt 0x0
	global_load_u16 v14, v[12:13], off
	s_mov_b32 s11, 0
	s_mov_b32 s13, -1
	s_branch .LBB199_2362
.LBB199_2357:
	s_mov_b32 s12, -1
	s_branch .LBB199_2361
.LBB199_2358:
	s_or_saveexec_b32 s13, s13
	v_mov_b32_e32 v9, 0x7f800001
	s_xor_b32 exec_lo, exec_lo, s13
	s_cbranch_execz .LBB199_2339
.LBB199_2359:
	v_cmp_ne_u16_e32 vcc_lo, 0, v7
	v_mov_b32_e32 v9, 0
	s_and_not1_b32 s12, s12, exec_lo
	s_and_b32 s14, vcc_lo, exec_lo
	s_delay_alu instid0(SALU_CYCLE_1)
	s_or_b32 s12, s12, s14
	s_or_b32 exec_lo, exec_lo, s13
	s_and_saveexec_b32 s13, s12
	s_cbranch_execnz .LBB199_2340
	s_branch .LBB199_2341
.LBB199_2360:
	s_mov_b32 s11, -1
.LBB199_2361:
                                        ; implicit-def: $vgpr14
.LBB199_2362:
	s_and_b32 vcc_lo, exec_lo, s12
	s_mov_b32 s12, 0
	s_cbranch_vccz .LBB199_2364
; %bb.2363:
	s_cmp_lg_u32 s10, 11
	s_mov_b32 s12, -1
	s_cselect_b32 s11, -1, 0
.LBB199_2364:
	s_delay_alu instid0(SALU_CYCLE_1)
	s_and_b32 vcc_lo, exec_lo, s11
	s_cbranch_vccnz .LBB199_2429
; %bb.2365:
	s_and_not1_b32 vcc_lo, exec_lo, s12
	s_cbranch_vccnz .LBB199_2367
.LBB199_2366:
	global_load_u8 v7, v[12:13], off
	s_mov_b32 s13, -1
	s_wait_loadcnt 0x0
	v_cmp_ne_u16_e32 vcc_lo, 0, v7
	v_cndmask_b32_e64 v7, 0, 1.0, vcc_lo
	s_wait_xcnt 0x1
	s_delay_alu instid0(VALU_DEP_1)
	v_lshrrev_b32_e32 v14, 16, v7
.LBB199_2367:
	s_mov_b32 s11, 0
.LBB199_2368:
	s_delay_alu instid0(SALU_CYCLE_1)
	s_and_b32 vcc_lo, exec_lo, s11
	s_cbranch_vccz .LBB199_2417
; %bb.2369:
	s_cmp_lt_i32 s10, 5
	s_cbranch_scc1 .LBB199_2374
; %bb.2370:
	s_cmp_lt_i32 s10, 8
	s_cbranch_scc1 .LBB199_2375
	;; [unrolled: 3-line block ×3, first 2 shown]
; %bb.2372:
	s_cmp_gt_i32 s10, 9
	s_cbranch_scc0 .LBB199_2377
; %bb.2373:
	s_wait_loadcnt 0x0
	global_load_b64 v[14:15], v[12:13], off
	s_mov_b32 s11, 0
	s_wait_loadcnt 0x0
	v_cvt_f32_f64_e32 v7, v[14:15]
	s_delay_alu instid0(VALU_DEP_1) | instskip(SKIP_1) | instid1(VALU_DEP_2)
	v_bfe_u32 v9, v7, 16, 1
	v_cmp_o_f32_e32 vcc_lo, v7, v7
	v_add3_u32 v9, v7, v9, 0x7fff
	s_delay_alu instid0(VALU_DEP_1) | instskip(NEXT) | instid1(VALU_DEP_1)
	v_lshrrev_b32_e32 v9, 16, v9
	v_cndmask_b32_e32 v14, 0x7fc0, v9, vcc_lo
	s_branch .LBB199_2378
.LBB199_2374:
	s_mov_b32 s11, -1
                                        ; implicit-def: $vgpr14
	s_branch .LBB199_2396
.LBB199_2375:
	s_mov_b32 s11, -1
                                        ; implicit-def: $vgpr14
	s_branch .LBB199_2384
.LBB199_2376:
	s_mov_b32 s11, -1
                                        ; implicit-def: $vgpr14
	s_branch .LBB199_2381
.LBB199_2377:
	s_mov_b32 s11, -1
                                        ; implicit-def: $vgpr14
.LBB199_2378:
	s_delay_alu instid0(SALU_CYCLE_1)
	s_and_not1_b32 vcc_lo, exec_lo, s11
	s_cbranch_vccnz .LBB199_2380
; %bb.2379:
	global_load_b32 v7, v[12:13], off
	s_wait_loadcnt 0x0
	v_bfe_u32 v9, v7, 16, 1
	v_cmp_o_f32_e32 vcc_lo, v7, v7
	s_delay_alu instid0(VALU_DEP_2) | instskip(NEXT) | instid1(VALU_DEP_1)
	v_add3_u32 v9, v7, v9, 0x7fff
	v_lshrrev_b32_e32 v9, 16, v9
	s_wait_xcnt 0x1
	s_delay_alu instid0(VALU_DEP_1)
	v_cndmask_b32_e32 v14, 0x7fc0, v9, vcc_lo
.LBB199_2380:
	s_mov_b32 s11, 0
.LBB199_2381:
	s_delay_alu instid0(SALU_CYCLE_1)
	s_and_not1_b32 vcc_lo, exec_lo, s11
	s_cbranch_vccnz .LBB199_2383
; %bb.2382:
	global_load_b32 v7, v[12:13], off
	s_wait_loadcnt 0x0
	v_cvt_f32_f16_e32 v9, v7
	v_cmp_o_f16_e32 vcc_lo, v7, v7
	s_delay_alu instid0(VALU_DEP_2) | instskip(NEXT) | instid1(VALU_DEP_1)
	v_bfe_u32 v11, v9, 16, 1
	v_add3_u32 v9, v9, v11, 0x7fff
	s_delay_alu instid0(VALU_DEP_1) | instskip(SKIP_1) | instid1(VALU_DEP_1)
	v_lshrrev_b32_e32 v9, 16, v9
	s_wait_xcnt 0x1
	v_cndmask_b32_e32 v14, 0x7fc0, v9, vcc_lo
.LBB199_2383:
	s_mov_b32 s11, 0
.LBB199_2384:
	s_delay_alu instid0(SALU_CYCLE_1)
	s_and_not1_b32 vcc_lo, exec_lo, s11
	s_cbranch_vccnz .LBB199_2395
; %bb.2385:
	s_cmp_lt_i32 s10, 6
	s_cbranch_scc1 .LBB199_2388
; %bb.2386:
	s_cmp_gt_i32 s10, 6
	s_cbranch_scc0 .LBB199_2389
; %bb.2387:
	s_wait_loadcnt 0x0
	global_load_b64 v[14:15], v[12:13], off
	s_mov_b32 s11, 0
	s_wait_loadcnt 0x0
	v_cvt_f32_f64_e32 v7, v[14:15]
	s_delay_alu instid0(VALU_DEP_1) | instskip(SKIP_1) | instid1(VALU_DEP_2)
	v_bfe_u32 v9, v7, 16, 1
	v_cmp_o_f32_e32 vcc_lo, v7, v7
	v_add3_u32 v9, v7, v9, 0x7fff
	s_delay_alu instid0(VALU_DEP_1) | instskip(NEXT) | instid1(VALU_DEP_1)
	v_lshrrev_b32_e32 v9, 16, v9
	v_cndmask_b32_e32 v14, 0x7fc0, v9, vcc_lo
	s_branch .LBB199_2390
.LBB199_2388:
	s_mov_b32 s11, -1
                                        ; implicit-def: $vgpr14
	s_branch .LBB199_2393
.LBB199_2389:
	s_mov_b32 s11, -1
                                        ; implicit-def: $vgpr14
.LBB199_2390:
	s_delay_alu instid0(SALU_CYCLE_1)
	s_and_not1_b32 vcc_lo, exec_lo, s11
	s_cbranch_vccnz .LBB199_2392
; %bb.2391:
	global_load_b32 v7, v[12:13], off
	s_wait_loadcnt 0x0
	v_bfe_u32 v9, v7, 16, 1
	v_cmp_o_f32_e32 vcc_lo, v7, v7
	s_delay_alu instid0(VALU_DEP_2) | instskip(NEXT) | instid1(VALU_DEP_1)
	v_add3_u32 v9, v7, v9, 0x7fff
	v_lshrrev_b32_e32 v9, 16, v9
	s_wait_xcnt 0x1
	s_delay_alu instid0(VALU_DEP_1)
	v_cndmask_b32_e32 v14, 0x7fc0, v9, vcc_lo
.LBB199_2392:
	s_mov_b32 s11, 0
.LBB199_2393:
	s_delay_alu instid0(SALU_CYCLE_1)
	s_and_not1_b32 vcc_lo, exec_lo, s11
	s_cbranch_vccnz .LBB199_2395
; %bb.2394:
	global_load_u16 v7, v[12:13], off
	s_wait_loadcnt 0x0
	v_cvt_f32_f16_e32 v9, v7
	v_cmp_o_f16_e32 vcc_lo, v7, v7
	s_delay_alu instid0(VALU_DEP_2) | instskip(NEXT) | instid1(VALU_DEP_1)
	v_bfe_u32 v11, v9, 16, 1
	v_add3_u32 v9, v9, v11, 0x7fff
	s_delay_alu instid0(VALU_DEP_1) | instskip(SKIP_1) | instid1(VALU_DEP_1)
	v_lshrrev_b32_e32 v9, 16, v9
	s_wait_xcnt 0x1
	v_cndmask_b32_e32 v14, 0x7fc0, v9, vcc_lo
.LBB199_2395:
	s_mov_b32 s11, 0
.LBB199_2396:
	s_delay_alu instid0(SALU_CYCLE_1)
	s_and_not1_b32 vcc_lo, exec_lo, s11
	s_cbranch_vccnz .LBB199_2416
; %bb.2397:
	s_cmp_lt_i32 s10, 2
	s_cbranch_scc1 .LBB199_2401
; %bb.2398:
	s_cmp_lt_i32 s10, 3
	s_cbranch_scc1 .LBB199_2402
; %bb.2399:
	s_cmp_gt_i32 s10, 3
	s_cbranch_scc0 .LBB199_2403
; %bb.2400:
	s_wait_loadcnt 0x0
	global_load_b64 v[14:15], v[12:13], off
	s_mov_b32 s11, 0
	s_wait_loadcnt 0x0
	v_xor_b32_e32 v7, v14, v15
	v_cls_i32_e32 v9, v15
	s_delay_alu instid0(VALU_DEP_2) | instskip(NEXT) | instid1(VALU_DEP_1)
	v_ashrrev_i32_e32 v7, 31, v7
	v_add_nc_u32_e32 v7, 32, v7
	s_delay_alu instid0(VALU_DEP_1) | instskip(NEXT) | instid1(VALU_DEP_1)
	v_add_min_u32_e64 v7, v9, -1, v7
	v_lshlrev_b64_e32 v[14:15], v7, v[14:15]
	v_sub_nc_u32_e32 v7, 32, v7
	s_delay_alu instid0(VALU_DEP_2) | instskip(NEXT) | instid1(VALU_DEP_1)
	v_min_u32_e32 v9, 1, v14
	v_or_b32_e32 v9, v15, v9
	s_delay_alu instid0(VALU_DEP_1) | instskip(NEXT) | instid1(VALU_DEP_1)
	v_cvt_f32_i32_e32 v9, v9
	v_ldexp_f32 v7, v9, v7
	s_delay_alu instid0(VALU_DEP_1) | instskip(NEXT) | instid1(VALU_DEP_1)
	v_bfe_u32 v9, v7, 16, 1
	v_add3_u32 v7, v7, v9, 0x7fff
	s_delay_alu instid0(VALU_DEP_1)
	v_lshrrev_b32_e32 v14, 16, v7
	s_branch .LBB199_2404
.LBB199_2401:
	s_mov_b32 s11, -1
                                        ; implicit-def: $vgpr14
	s_branch .LBB199_2410
.LBB199_2402:
	s_mov_b32 s11, -1
                                        ; implicit-def: $vgpr14
	s_branch .LBB199_2407
.LBB199_2403:
	s_mov_b32 s11, -1
                                        ; implicit-def: $vgpr14
.LBB199_2404:
	s_delay_alu instid0(SALU_CYCLE_1)
	s_and_not1_b32 vcc_lo, exec_lo, s11
	s_cbranch_vccnz .LBB199_2406
; %bb.2405:
	global_load_b32 v7, v[12:13], off
	s_wait_loadcnt 0x0
	v_cvt_f32_i32_e32 v7, v7
	s_delay_alu instid0(VALU_DEP_1) | instskip(NEXT) | instid1(VALU_DEP_1)
	v_bfe_u32 v9, v7, 16, 1
	v_add3_u32 v7, v7, v9, 0x7fff
	s_wait_xcnt 0x1
	s_delay_alu instid0(VALU_DEP_1)
	v_lshrrev_b32_e32 v14, 16, v7
.LBB199_2406:
	s_mov_b32 s11, 0
.LBB199_2407:
	s_delay_alu instid0(SALU_CYCLE_1)
	s_and_not1_b32 vcc_lo, exec_lo, s11
	s_cbranch_vccnz .LBB199_2409
; %bb.2408:
	global_load_i16 v7, v[12:13], off
	s_wait_loadcnt 0x0
	v_cvt_f32_i32_e32 v7, v7
	s_delay_alu instid0(VALU_DEP_1) | instskip(NEXT) | instid1(VALU_DEP_1)
	v_bfe_u32 v9, v7, 16, 1
	v_add3_u32 v7, v7, v9, 0x7fff
	s_wait_xcnt 0x1
	s_delay_alu instid0(VALU_DEP_1)
	v_lshrrev_b32_e32 v14, 16, v7
.LBB199_2409:
	s_mov_b32 s11, 0
.LBB199_2410:
	s_delay_alu instid0(SALU_CYCLE_1)
	s_and_not1_b32 vcc_lo, exec_lo, s11
	s_cbranch_vccnz .LBB199_2416
; %bb.2411:
	s_cmp_gt_i32 s10, 0
	s_mov_b32 s11, 0
	s_cbranch_scc0 .LBB199_2413
; %bb.2412:
	global_load_i8 v7, v[12:13], off
	s_wait_loadcnt 0x0
	v_cvt_f32_i32_e32 v7, v7
	s_delay_alu instid0(VALU_DEP_1) | instskip(NEXT) | instid1(VALU_DEP_1)
	v_bfe_u32 v9, v7, 16, 1
	v_add3_u32 v7, v7, v9, 0x7fff
	s_wait_xcnt 0x1
	s_delay_alu instid0(VALU_DEP_1)
	v_lshrrev_b32_e32 v14, 16, v7
	s_branch .LBB199_2414
.LBB199_2413:
	s_mov_b32 s11, -1
                                        ; implicit-def: $vgpr14
.LBB199_2414:
	s_delay_alu instid0(SALU_CYCLE_1)
	s_and_not1_b32 vcc_lo, exec_lo, s11
	s_cbranch_vccnz .LBB199_2416
; %bb.2415:
	global_load_u8 v7, v[12:13], off
	s_wait_loadcnt 0x0
	v_cvt_f32_ubyte0_e32 v7, v7
	s_delay_alu instid0(VALU_DEP_1) | instskip(NEXT) | instid1(VALU_DEP_1)
	v_bfe_u32 v9, v7, 16, 1
	v_add3_u32 v7, v7, v9, 0x7fff
	s_wait_xcnt 0x1
	s_delay_alu instid0(VALU_DEP_1)
	v_lshrrev_b32_e32 v14, 16, v7
.LBB199_2416:
	s_mov_b32 s13, -1
.LBB199_2417:
	s_delay_alu instid0(SALU_CYCLE_1)
	s_and_not1_b32 vcc_lo, exec_lo, s13
	s_cbranch_vccnz .LBB199_3112
; %bb.2418:
	v_mov_b32_e32 v11, 0
	s_cmp_lt_i32 s2, 11
	s_delay_alu instid0(VALU_DEP_1)
	v_add_nc_u64_e32 v[10:11], s[6:7], v[10:11]
	s_cbranch_scc1 .LBB199_2425
; %bb.2419:
	s_cmp_gt_i32 s2, 25
	s_mov_b32 s7, 0
	s_cbranch_scc0 .LBB199_2426
; %bb.2420:
	s_cmp_gt_i32 s2, 28
	s_cbranch_scc0 .LBB199_2427
; %bb.2421:
	s_cmp_gt_i32 s2, 43
	;; [unrolled: 3-line block ×3, first 2 shown]
	s_cbranch_scc0 .LBB199_2430
; %bb.2423:
	s_cmp_eq_u32 s2, 46
	s_mov_b32 s12, 0
	s_cbranch_scc0 .LBB199_2431
; %bb.2424:
	global_load_b32 v12, v[10:11], off
	s_mov_b32 s6, 0
	s_mov_b32 s11, -1
	s_branch .LBB199_2433
.LBB199_2425:
	s_mov_b32 s6, -1
	s_mov_b32 s11, 0
                                        ; implicit-def: $vgpr12
	s_branch .LBB199_2499
.LBB199_2426:
	s_mov_b32 s12, -1
	s_mov_b32 s11, 0
	s_mov_b32 s6, 0
                                        ; implicit-def: $vgpr12
	s_branch .LBB199_2462
.LBB199_2427:
	s_mov_b32 s12, -1
	s_mov_b32 s11, 0
	s_mov_b32 s6, 0
                                        ; implicit-def: $vgpr12
	s_branch .LBB199_2443
.LBB199_2428:
	s_mov_b32 s12, -1
	s_mov_b32 s11, 0
	s_mov_b32 s6, 0
                                        ; implicit-def: $vgpr12
	s_branch .LBB199_2438
.LBB199_2429:
	s_or_b32 s9, s9, exec_lo
	s_trap 2
	s_cbranch_execz .LBB199_2366
	s_branch .LBB199_2367
.LBB199_2430:
	s_mov_b32 s12, -1
	s_mov_b32 s11, 0
	s_mov_b32 s6, 0
	s_branch .LBB199_2432
.LBB199_2431:
	s_mov_b32 s6, -1
	s_mov_b32 s11, 0
.LBB199_2432:
                                        ; implicit-def: $vgpr12
.LBB199_2433:
	s_and_b32 vcc_lo, exec_lo, s12
	s_cbranch_vccz .LBB199_2437
; %bb.2434:
	s_cmp_eq_u32 s2, 44
	s_cbranch_scc0 .LBB199_2436
; %bb.2435:
	global_load_u8 v7, v[10:11], off
	s_mov_b32 s6, 0
	s_mov_b32 s11, -1
	s_wait_loadcnt 0x0
	v_lshlrev_b32_e32 v9, 23, v7
	v_cmp_ne_u32_e32 vcc_lo, 0xff, v7
	s_delay_alu instid0(VALU_DEP_2) | instskip(SKIP_1) | instid1(VALU_DEP_2)
	v_cndmask_b32_e32 v9, 0x7f800001, v9, vcc_lo
	v_cmp_ne_u32_e32 vcc_lo, 0, v7
	v_cndmask_b32_e32 v7, 0x400000, v9, vcc_lo
	s_delay_alu instid0(VALU_DEP_1) | instskip(SKIP_1) | instid1(VALU_DEP_2)
	v_add_nc_u32_e32 v9, 0x7fff, v7
	v_cmp_o_f32_e32 vcc_lo, v7, v7
	v_lshrrev_b32_e32 v9, 16, v9
	s_wait_xcnt 0x1
	s_delay_alu instid0(VALU_DEP_1)
	v_cndmask_b32_e32 v12, 0x7fc0, v9, vcc_lo
	s_branch .LBB199_2437
.LBB199_2436:
	s_mov_b32 s6, -1
                                        ; implicit-def: $vgpr12
.LBB199_2437:
	s_mov_b32 s12, 0
.LBB199_2438:
	s_delay_alu instid0(SALU_CYCLE_1)
	s_and_b32 vcc_lo, exec_lo, s12
	s_cbranch_vccz .LBB199_2442
; %bb.2439:
	s_cmp_eq_u32 s2, 29
	s_cbranch_scc0 .LBB199_2441
; %bb.2440:
	s_wait_loadcnt 0x0
	global_load_b64 v[12:13], v[10:11], off
	s_mov_b32 s6, 0
	s_mov_b32 s11, -1
	s_mov_b32 s12, 0
	s_wait_loadcnt 0x0
	v_clz_i32_u32_e32 v7, v13
	s_delay_alu instid0(VALU_DEP_1) | instskip(NEXT) | instid1(VALU_DEP_1)
	v_min_u32_e32 v7, 32, v7
	v_lshlrev_b64_e32 v[12:13], v7, v[12:13]
	v_sub_nc_u32_e32 v7, 32, v7
	s_delay_alu instid0(VALU_DEP_2) | instskip(NEXT) | instid1(VALU_DEP_1)
	v_min_u32_e32 v9, 1, v12
	v_or_b32_e32 v9, v13, v9
	s_delay_alu instid0(VALU_DEP_1) | instskip(NEXT) | instid1(VALU_DEP_1)
	v_cvt_f32_u32_e32 v9, v9
	v_ldexp_f32 v7, v9, v7
	s_delay_alu instid0(VALU_DEP_1) | instskip(NEXT) | instid1(VALU_DEP_1)
	v_bfe_u32 v9, v7, 16, 1
	v_add3_u32 v7, v7, v9, 0x7fff
	s_delay_alu instid0(VALU_DEP_1)
	v_lshrrev_b32_e32 v12, 16, v7
	s_branch .LBB199_2443
.LBB199_2441:
	s_mov_b32 s6, -1
                                        ; implicit-def: $vgpr12
.LBB199_2442:
	s_mov_b32 s12, 0
.LBB199_2443:
	s_delay_alu instid0(SALU_CYCLE_1)
	s_and_b32 vcc_lo, exec_lo, s12
	s_cbranch_vccz .LBB199_2461
; %bb.2444:
	s_cmp_lt_i32 s2, 27
	s_cbranch_scc1 .LBB199_2447
; %bb.2445:
	s_cmp_gt_i32 s2, 27
	s_cbranch_scc0 .LBB199_2448
; %bb.2446:
	global_load_b32 v7, v[10:11], off
	s_mov_b32 s11, 0
	s_wait_loadcnt 0x0
	v_cvt_f32_u32_e32 v7, v7
	s_delay_alu instid0(VALU_DEP_1) | instskip(NEXT) | instid1(VALU_DEP_1)
	v_bfe_u32 v9, v7, 16, 1
	v_add3_u32 v7, v7, v9, 0x7fff
	s_wait_xcnt 0x1
	s_delay_alu instid0(VALU_DEP_1)
	v_lshrrev_b32_e32 v12, 16, v7
	s_branch .LBB199_2449
.LBB199_2447:
	s_mov_b32 s11, -1
                                        ; implicit-def: $vgpr12
	s_branch .LBB199_2452
.LBB199_2448:
	s_mov_b32 s11, -1
                                        ; implicit-def: $vgpr12
.LBB199_2449:
	s_delay_alu instid0(SALU_CYCLE_1)
	s_and_not1_b32 vcc_lo, exec_lo, s11
	s_cbranch_vccnz .LBB199_2451
; %bb.2450:
	global_load_u16 v7, v[10:11], off
	s_wait_loadcnt 0x0
	v_cvt_f32_u32_e32 v7, v7
	s_delay_alu instid0(VALU_DEP_1) | instskip(NEXT) | instid1(VALU_DEP_1)
	v_bfe_u32 v9, v7, 16, 1
	v_add3_u32 v7, v7, v9, 0x7fff
	s_wait_xcnt 0x1
	s_delay_alu instid0(VALU_DEP_1)
	v_lshrrev_b32_e32 v12, 16, v7
.LBB199_2451:
	s_mov_b32 s11, 0
.LBB199_2452:
	s_delay_alu instid0(SALU_CYCLE_1)
	s_and_not1_b32 vcc_lo, exec_lo, s11
	s_cbranch_vccnz .LBB199_2460
; %bb.2453:
	global_load_u8 v7, v[10:11], off
	s_mov_b32 s11, 0
	s_mov_b32 s12, exec_lo
	s_wait_loadcnt 0x0
	v_cmpx_lt_i16_e32 0x7f, v7
	s_xor_b32 s12, exec_lo, s12
	s_cbranch_execz .LBB199_2474
; %bb.2454:
	s_mov_b32 s11, -1
	s_mov_b32 s13, exec_lo
	v_cmpx_eq_u16_e32 0x80, v7
; %bb.2455:
	s_xor_b32 s11, exec_lo, -1
; %bb.2456:
	s_or_b32 exec_lo, exec_lo, s13
	s_delay_alu instid0(SALU_CYCLE_1)
	s_and_b32 s11, s11, exec_lo
	s_or_saveexec_b32 s12, s12
	v_mov_b32_e32 v9, 0x7f800001
	s_xor_b32 exec_lo, exec_lo, s12
	s_cbranch_execnz .LBB199_2475
.LBB199_2457:
	s_or_b32 exec_lo, exec_lo, s12
	s_and_saveexec_b32 s12, s11
	s_cbranch_execz .LBB199_2459
.LBB199_2458:
	v_and_b32_e32 v9, 0xffff, v7
	s_delay_alu instid0(VALU_DEP_1) | instskip(SKIP_1) | instid1(VALU_DEP_2)
	v_dual_lshlrev_b32 v7, 24, v7 :: v_dual_bitop2_b32 v12, 7, v9 bitop3:0x40
	v_bfe_u32 v17, v9, 3, 4
	v_and_b32_e32 v7, 0x80000000, v7
	s_delay_alu instid0(VALU_DEP_3) | instskip(NEXT) | instid1(VALU_DEP_3)
	v_clz_i32_u32_e32 v13, v12
	v_cmp_eq_u32_e32 vcc_lo, 0, v17
	s_delay_alu instid0(VALU_DEP_2) | instskip(NEXT) | instid1(VALU_DEP_1)
	v_min_u32_e32 v13, 32, v13
	v_subrev_nc_u32_e32 v15, 28, v13
	v_sub_nc_u32_e32 v13, 29, v13
	s_delay_alu instid0(VALU_DEP_2) | instskip(NEXT) | instid1(VALU_DEP_2)
	v_lshlrev_b32_e32 v9, v15, v9
	v_cndmask_b32_e32 v13, v17, v13, vcc_lo
	s_delay_alu instid0(VALU_DEP_2) | instskip(NEXT) | instid1(VALU_DEP_1)
	v_and_b32_e32 v9, 7, v9
	v_cndmask_b32_e32 v9, v12, v9, vcc_lo
	s_delay_alu instid0(VALU_DEP_3) | instskip(NEXT) | instid1(VALU_DEP_2)
	v_lshl_add_u32 v12, v13, 23, 0x3b800000
	v_lshlrev_b32_e32 v9, 20, v9
	s_delay_alu instid0(VALU_DEP_1)
	v_or3_b32 v9, v7, v12, v9
.LBB199_2459:
	s_or_b32 exec_lo, exec_lo, s12
	s_delay_alu instid0(VALU_DEP_1) | instskip(SKIP_1) | instid1(VALU_DEP_2)
	v_bfe_u32 v7, v9, 16, 1
	v_cmp_o_f32_e32 vcc_lo, v9, v9
	v_add3_u32 v7, v9, v7, 0x7fff
	s_delay_alu instid0(VALU_DEP_1) | instskip(NEXT) | instid1(VALU_DEP_1)
	v_lshrrev_b32_e32 v7, 16, v7
	v_cndmask_b32_e32 v12, 0x7fc0, v7, vcc_lo
.LBB199_2460:
	s_mov_b32 s11, -1
.LBB199_2461:
	s_mov_b32 s12, 0
.LBB199_2462:
	s_delay_alu instid0(SALU_CYCLE_1)
	s_and_b32 vcc_lo, exec_lo, s12
	s_cbranch_vccz .LBB199_2495
; %bb.2463:
	s_cmp_gt_i32 s2, 22
	s_cbranch_scc0 .LBB199_2473
; %bb.2464:
	s_cmp_lt_i32 s2, 24
	s_cbranch_scc1 .LBB199_2476
; %bb.2465:
	s_cmp_gt_i32 s2, 24
	s_cbranch_scc0 .LBB199_2477
; %bb.2466:
	global_load_u8 v7, v[10:11], off
	s_mov_b32 s11, exec_lo
	s_wait_loadcnt 0x0
	v_cmpx_lt_i16_e32 0x7f, v7
	s_xor_b32 s11, exec_lo, s11
	s_cbranch_execz .LBB199_2489
; %bb.2467:
	s_mov_b32 s7, -1
	s_mov_b32 s12, exec_lo
	v_cmpx_eq_u16_e32 0x80, v7
; %bb.2468:
	s_xor_b32 s7, exec_lo, -1
; %bb.2469:
	s_or_b32 exec_lo, exec_lo, s12
	s_delay_alu instid0(SALU_CYCLE_1)
	s_and_b32 s7, s7, exec_lo
	s_or_saveexec_b32 s11, s11
	v_mov_b32_e32 v9, 0x7f800001
	s_xor_b32 exec_lo, exec_lo, s11
	s_cbranch_execnz .LBB199_2490
.LBB199_2470:
	s_or_b32 exec_lo, exec_lo, s11
	s_and_saveexec_b32 s11, s7
	s_cbranch_execz .LBB199_2472
.LBB199_2471:
	v_and_b32_e32 v9, 0xffff, v7
	s_delay_alu instid0(VALU_DEP_1) | instskip(SKIP_1) | instid1(VALU_DEP_2)
	v_dual_lshlrev_b32 v7, 24, v7 :: v_dual_bitop2_b32 v12, 3, v9 bitop3:0x40
	v_bfe_u32 v17, v9, 2, 5
	v_and_b32_e32 v7, 0x80000000, v7
	s_delay_alu instid0(VALU_DEP_3) | instskip(NEXT) | instid1(VALU_DEP_3)
	v_clz_i32_u32_e32 v13, v12
	v_cmp_eq_u32_e32 vcc_lo, 0, v17
	s_delay_alu instid0(VALU_DEP_2) | instskip(NEXT) | instid1(VALU_DEP_1)
	v_min_u32_e32 v13, 32, v13
	v_subrev_nc_u32_e32 v15, 29, v13
	v_sub_nc_u32_e32 v13, 30, v13
	s_delay_alu instid0(VALU_DEP_2) | instskip(NEXT) | instid1(VALU_DEP_2)
	v_lshlrev_b32_e32 v9, v15, v9
	v_cndmask_b32_e32 v13, v17, v13, vcc_lo
	s_delay_alu instid0(VALU_DEP_2) | instskip(NEXT) | instid1(VALU_DEP_1)
	v_and_b32_e32 v9, 3, v9
	v_cndmask_b32_e32 v9, v12, v9, vcc_lo
	s_delay_alu instid0(VALU_DEP_3) | instskip(NEXT) | instid1(VALU_DEP_2)
	v_lshl_add_u32 v12, v13, 23, 0x37800000
	v_lshlrev_b32_e32 v9, 21, v9
	s_delay_alu instid0(VALU_DEP_1)
	v_or3_b32 v9, v7, v12, v9
.LBB199_2472:
	s_or_b32 exec_lo, exec_lo, s11
	s_delay_alu instid0(VALU_DEP_1) | instskip(SKIP_2) | instid1(VALU_DEP_2)
	v_bfe_u32 v7, v9, 16, 1
	v_cmp_o_f32_e32 vcc_lo, v9, v9
	s_mov_b32 s7, 0
	v_add3_u32 v7, v9, v7, 0x7fff
	s_delay_alu instid0(VALU_DEP_1) | instskip(NEXT) | instid1(VALU_DEP_1)
	v_lshrrev_b32_e32 v7, 16, v7
	v_cndmask_b32_e32 v12, 0x7fc0, v7, vcc_lo
	s_branch .LBB199_2478
.LBB199_2473:
	s_mov_b32 s7, -1
                                        ; implicit-def: $vgpr12
	s_branch .LBB199_2484
.LBB199_2474:
	s_or_saveexec_b32 s12, s12
	v_mov_b32_e32 v9, 0x7f800001
	s_xor_b32 exec_lo, exec_lo, s12
	s_cbranch_execz .LBB199_2457
.LBB199_2475:
	v_cmp_ne_u16_e32 vcc_lo, 0, v7
	v_mov_b32_e32 v9, 0
	s_and_not1_b32 s11, s11, exec_lo
	s_and_b32 s13, vcc_lo, exec_lo
	s_delay_alu instid0(SALU_CYCLE_1)
	s_or_b32 s11, s11, s13
	s_or_b32 exec_lo, exec_lo, s12
	s_and_saveexec_b32 s12, s11
	s_cbranch_execnz .LBB199_2458
	s_branch .LBB199_2459
.LBB199_2476:
	s_mov_b32 s7, -1
                                        ; implicit-def: $vgpr12
	s_branch .LBB199_2481
.LBB199_2477:
	s_mov_b32 s7, -1
                                        ; implicit-def: $vgpr12
.LBB199_2478:
	s_delay_alu instid0(SALU_CYCLE_1)
	s_and_b32 vcc_lo, exec_lo, s7
	s_cbranch_vccz .LBB199_2480
; %bb.2479:
	global_load_u8 v7, v[10:11], off
	s_wait_loadcnt 0x0
	v_lshlrev_b32_e32 v7, 24, v7
	s_delay_alu instid0(VALU_DEP_1) | instskip(SKIP_1) | instid1(VALU_DEP_1)
	v_and_b32_e32 v9, 0x7f000000, v7
	s_wait_xcnt 0x1
	v_clz_i32_u32_e32 v12, v9
	v_add_nc_u32_e32 v15, 0x1000000, v9
	v_cmp_ne_u32_e32 vcc_lo, 0, v9
	s_delay_alu instid0(VALU_DEP_3) | instskip(NEXT) | instid1(VALU_DEP_1)
	v_min_u32_e32 v12, 32, v12
	v_sub_nc_u32_e64 v12, v12, 4 clamp
	s_delay_alu instid0(VALU_DEP_1) | instskip(NEXT) | instid1(VALU_DEP_1)
	v_dual_lshlrev_b32 v13, v12, v9 :: v_dual_lshlrev_b32 v12, 23, v12
	v_lshrrev_b32_e32 v13, 4, v13
	s_delay_alu instid0(VALU_DEP_1) | instskip(NEXT) | instid1(VALU_DEP_1)
	v_dual_sub_nc_u32 v12, v13, v12 :: v_dual_ashrrev_i32 v13, 8, v15
	v_add_nc_u32_e32 v12, 0x3c000000, v12
	s_delay_alu instid0(VALU_DEP_1) | instskip(NEXT) | instid1(VALU_DEP_1)
	v_and_or_b32 v12, 0x7f800000, v13, v12
	v_cndmask_b32_e32 v9, 0, v12, vcc_lo
	s_delay_alu instid0(VALU_DEP_1) | instskip(SKIP_1) | instid1(VALU_DEP_2)
	v_and_or_b32 v7, 0x80000000, v7, v9
	v_bfe_u32 v9, v9, 16, 1
	v_cmp_o_f32_e32 vcc_lo, v7, v7
	s_delay_alu instid0(VALU_DEP_2) | instskip(NEXT) | instid1(VALU_DEP_1)
	v_add3_u32 v9, v7, v9, 0x7fff
	v_lshrrev_b32_e32 v9, 16, v9
	s_delay_alu instid0(VALU_DEP_1)
	v_cndmask_b32_e32 v12, 0x7fc0, v9, vcc_lo
.LBB199_2480:
	s_mov_b32 s7, 0
.LBB199_2481:
	s_delay_alu instid0(SALU_CYCLE_1)
	s_and_not1_b32 vcc_lo, exec_lo, s7
	s_cbranch_vccnz .LBB199_2483
; %bb.2482:
	global_load_u8 v7, v[10:11], off
	s_wait_loadcnt 0x0
	v_lshlrev_b32_e32 v9, 25, v7
	v_lshlrev_b16 v7, 8, v7
	s_wait_xcnt 0x1
	s_delay_alu instid0(VALU_DEP_1) | instskip(SKIP_1) | instid1(VALU_DEP_2)
	v_and_or_b32 v13, 0x7f00, v7, 0.5
	v_bfe_i32 v7, v7, 0, 16
	v_add_f32_e32 v13, -0.5, v13
	v_lshrrev_b32_e32 v12, 4, v9
	v_cmp_gt_u32_e32 vcc_lo, 0x8000000, v9
	s_delay_alu instid0(VALU_DEP_2) | instskip(NEXT) | instid1(VALU_DEP_1)
	v_or_b32_e32 v12, 0x70000000, v12
	v_mul_f32_e32 v12, 0x7800000, v12
	s_delay_alu instid0(VALU_DEP_1) | instskip(NEXT) | instid1(VALU_DEP_1)
	v_cndmask_b32_e32 v9, v12, v13, vcc_lo
	v_and_or_b32 v7, 0x80000000, v7, v9
	v_bfe_u32 v9, v9, 16, 1
	s_delay_alu instid0(VALU_DEP_2) | instskip(NEXT) | instid1(VALU_DEP_2)
	v_cmp_o_f32_e32 vcc_lo, v7, v7
	v_add3_u32 v9, v7, v9, 0x7fff
	s_delay_alu instid0(VALU_DEP_1) | instskip(NEXT) | instid1(VALU_DEP_1)
	v_lshrrev_b32_e32 v9, 16, v9
	v_cndmask_b32_e32 v12, 0x7fc0, v9, vcc_lo
.LBB199_2483:
	s_mov_b32 s7, 0
	s_mov_b32 s11, -1
.LBB199_2484:
	s_and_not1_b32 vcc_lo, exec_lo, s7
	s_mov_b32 s7, 0
	s_cbranch_vccnz .LBB199_2495
; %bb.2485:
	s_cmp_gt_i32 s2, 14
	s_cbranch_scc0 .LBB199_2488
; %bb.2486:
	s_cmp_eq_u32 s2, 15
	s_cbranch_scc0 .LBB199_2491
; %bb.2487:
	s_wait_loadcnt 0x0
	global_load_u16 v12, v[10:11], off
	s_mov_b32 s6, 0
	s_mov_b32 s11, -1
	s_branch .LBB199_2493
.LBB199_2488:
	s_mov_b32 s7, -1
	s_branch .LBB199_2492
.LBB199_2489:
	s_or_saveexec_b32 s11, s11
	v_mov_b32_e32 v9, 0x7f800001
	s_xor_b32 exec_lo, exec_lo, s11
	s_cbranch_execz .LBB199_2470
.LBB199_2490:
	v_cmp_ne_u16_e32 vcc_lo, 0, v7
	v_mov_b32_e32 v9, 0
	s_and_not1_b32 s7, s7, exec_lo
	s_and_b32 s12, vcc_lo, exec_lo
	s_delay_alu instid0(SALU_CYCLE_1)
	s_or_b32 s7, s7, s12
	s_or_b32 exec_lo, exec_lo, s11
	s_and_saveexec_b32 s11, s7
	s_cbranch_execnz .LBB199_2471
	s_branch .LBB199_2472
.LBB199_2491:
	s_mov_b32 s6, -1
.LBB199_2492:
                                        ; implicit-def: $vgpr12
.LBB199_2493:
	s_and_b32 vcc_lo, exec_lo, s7
	s_mov_b32 s7, 0
	s_cbranch_vccz .LBB199_2495
; %bb.2494:
	s_cmp_lg_u32 s2, 11
	s_mov_b32 s7, -1
	s_cselect_b32 s6, -1, 0
.LBB199_2495:
	s_delay_alu instid0(SALU_CYCLE_1)
	s_and_b32 vcc_lo, exec_lo, s6
	s_cbranch_vccnz .LBB199_2560
; %bb.2496:
	s_and_not1_b32 vcc_lo, exec_lo, s7
	s_cbranch_vccnz .LBB199_2498
.LBB199_2497:
	global_load_u8 v7, v[10:11], off
	s_mov_b32 s11, -1
	s_wait_loadcnt 0x0
	v_cmp_ne_u16_e32 vcc_lo, 0, v7
	v_cndmask_b32_e64 v7, 0, 1.0, vcc_lo
	s_wait_xcnt 0x1
	s_delay_alu instid0(VALU_DEP_1)
	v_lshrrev_b32_e32 v12, 16, v7
.LBB199_2498:
	s_mov_b32 s6, 0
.LBB199_2499:
	s_delay_alu instid0(SALU_CYCLE_1)
	s_and_b32 vcc_lo, exec_lo, s6
	s_cbranch_vccz .LBB199_2548
; %bb.2500:
	s_cmp_lt_i32 s2, 5
	s_cbranch_scc1 .LBB199_2505
; %bb.2501:
	s_cmp_lt_i32 s2, 8
	s_cbranch_scc1 .LBB199_2506
	;; [unrolled: 3-line block ×3, first 2 shown]
; %bb.2503:
	s_cmp_gt_i32 s2, 9
	s_cbranch_scc0 .LBB199_2508
; %bb.2504:
	s_wait_loadcnt 0x0
	global_load_b64 v[12:13], v[10:11], off
	s_mov_b32 s6, 0
	s_wait_loadcnt 0x0
	v_cvt_f32_f64_e32 v7, v[12:13]
	s_delay_alu instid0(VALU_DEP_1) | instskip(SKIP_1) | instid1(VALU_DEP_2)
	v_bfe_u32 v9, v7, 16, 1
	v_cmp_o_f32_e32 vcc_lo, v7, v7
	v_add3_u32 v9, v7, v9, 0x7fff
	s_delay_alu instid0(VALU_DEP_1) | instskip(NEXT) | instid1(VALU_DEP_1)
	v_lshrrev_b32_e32 v9, 16, v9
	v_cndmask_b32_e32 v12, 0x7fc0, v9, vcc_lo
	s_branch .LBB199_2509
.LBB199_2505:
	s_mov_b32 s6, -1
                                        ; implicit-def: $vgpr12
	s_branch .LBB199_2527
.LBB199_2506:
	s_mov_b32 s6, -1
                                        ; implicit-def: $vgpr12
	s_branch .LBB199_2515
.LBB199_2507:
	s_mov_b32 s6, -1
                                        ; implicit-def: $vgpr12
	s_branch .LBB199_2512
.LBB199_2508:
	s_mov_b32 s6, -1
                                        ; implicit-def: $vgpr12
.LBB199_2509:
	s_delay_alu instid0(SALU_CYCLE_1)
	s_and_not1_b32 vcc_lo, exec_lo, s6
	s_cbranch_vccnz .LBB199_2511
; %bb.2510:
	global_load_b32 v7, v[10:11], off
	s_wait_loadcnt 0x0
	v_bfe_u32 v9, v7, 16, 1
	v_cmp_o_f32_e32 vcc_lo, v7, v7
	s_delay_alu instid0(VALU_DEP_2) | instskip(NEXT) | instid1(VALU_DEP_1)
	v_add3_u32 v9, v7, v9, 0x7fff
	v_lshrrev_b32_e32 v9, 16, v9
	s_wait_xcnt 0x1
	s_delay_alu instid0(VALU_DEP_1)
	v_cndmask_b32_e32 v12, 0x7fc0, v9, vcc_lo
.LBB199_2511:
	s_mov_b32 s6, 0
.LBB199_2512:
	s_delay_alu instid0(SALU_CYCLE_1)
	s_and_not1_b32 vcc_lo, exec_lo, s6
	s_cbranch_vccnz .LBB199_2514
; %bb.2513:
	global_load_b32 v7, v[10:11], off
	s_wait_loadcnt 0x0
	v_cvt_f32_f16_e32 v9, v7
	v_cmp_o_f16_e32 vcc_lo, v7, v7
	s_wait_xcnt 0x1
	s_delay_alu instid0(VALU_DEP_2) | instskip(NEXT) | instid1(VALU_DEP_1)
	v_bfe_u32 v12, v9, 16, 1
	v_add3_u32 v9, v9, v12, 0x7fff
	s_delay_alu instid0(VALU_DEP_1) | instskip(NEXT) | instid1(VALU_DEP_1)
	v_lshrrev_b32_e32 v9, 16, v9
	v_cndmask_b32_e32 v12, 0x7fc0, v9, vcc_lo
.LBB199_2514:
	s_mov_b32 s6, 0
.LBB199_2515:
	s_delay_alu instid0(SALU_CYCLE_1)
	s_and_not1_b32 vcc_lo, exec_lo, s6
	s_cbranch_vccnz .LBB199_2526
; %bb.2516:
	s_cmp_lt_i32 s2, 6
	s_cbranch_scc1 .LBB199_2519
; %bb.2517:
	s_cmp_gt_i32 s2, 6
	s_cbranch_scc0 .LBB199_2520
; %bb.2518:
	s_wait_loadcnt 0x0
	global_load_b64 v[12:13], v[10:11], off
	s_mov_b32 s6, 0
	s_wait_loadcnt 0x0
	v_cvt_f32_f64_e32 v7, v[12:13]
	s_delay_alu instid0(VALU_DEP_1) | instskip(SKIP_1) | instid1(VALU_DEP_2)
	v_bfe_u32 v9, v7, 16, 1
	v_cmp_o_f32_e32 vcc_lo, v7, v7
	v_add3_u32 v9, v7, v9, 0x7fff
	s_delay_alu instid0(VALU_DEP_1) | instskip(NEXT) | instid1(VALU_DEP_1)
	v_lshrrev_b32_e32 v9, 16, v9
	v_cndmask_b32_e32 v12, 0x7fc0, v9, vcc_lo
	s_branch .LBB199_2521
.LBB199_2519:
	s_mov_b32 s6, -1
                                        ; implicit-def: $vgpr12
	s_branch .LBB199_2524
.LBB199_2520:
	s_mov_b32 s6, -1
                                        ; implicit-def: $vgpr12
.LBB199_2521:
	s_delay_alu instid0(SALU_CYCLE_1)
	s_and_not1_b32 vcc_lo, exec_lo, s6
	s_cbranch_vccnz .LBB199_2523
; %bb.2522:
	global_load_b32 v7, v[10:11], off
	s_wait_loadcnt 0x0
	v_bfe_u32 v9, v7, 16, 1
	v_cmp_o_f32_e32 vcc_lo, v7, v7
	s_delay_alu instid0(VALU_DEP_2) | instskip(NEXT) | instid1(VALU_DEP_1)
	v_add3_u32 v9, v7, v9, 0x7fff
	v_lshrrev_b32_e32 v9, 16, v9
	s_wait_xcnt 0x1
	s_delay_alu instid0(VALU_DEP_1)
	v_cndmask_b32_e32 v12, 0x7fc0, v9, vcc_lo
.LBB199_2523:
	s_mov_b32 s6, 0
.LBB199_2524:
	s_delay_alu instid0(SALU_CYCLE_1)
	s_and_not1_b32 vcc_lo, exec_lo, s6
	s_cbranch_vccnz .LBB199_2526
; %bb.2525:
	global_load_u16 v7, v[10:11], off
	s_wait_loadcnt 0x0
	v_cvt_f32_f16_e32 v9, v7
	v_cmp_o_f16_e32 vcc_lo, v7, v7
	s_wait_xcnt 0x1
	s_delay_alu instid0(VALU_DEP_2) | instskip(NEXT) | instid1(VALU_DEP_1)
	v_bfe_u32 v12, v9, 16, 1
	v_add3_u32 v9, v9, v12, 0x7fff
	s_delay_alu instid0(VALU_DEP_1) | instskip(NEXT) | instid1(VALU_DEP_1)
	v_lshrrev_b32_e32 v9, 16, v9
	v_cndmask_b32_e32 v12, 0x7fc0, v9, vcc_lo
.LBB199_2526:
	s_mov_b32 s6, 0
.LBB199_2527:
	s_delay_alu instid0(SALU_CYCLE_1)
	s_and_not1_b32 vcc_lo, exec_lo, s6
	s_cbranch_vccnz .LBB199_2547
; %bb.2528:
	s_cmp_lt_i32 s2, 2
	s_cbranch_scc1 .LBB199_2532
; %bb.2529:
	s_cmp_lt_i32 s2, 3
	s_cbranch_scc1 .LBB199_2533
; %bb.2530:
	s_cmp_gt_i32 s2, 3
	s_cbranch_scc0 .LBB199_2534
; %bb.2531:
	s_wait_loadcnt 0x0
	global_load_b64 v[12:13], v[10:11], off
	s_mov_b32 s6, 0
	s_wait_loadcnt 0x0
	v_xor_b32_e32 v7, v12, v13
	v_cls_i32_e32 v9, v13
	s_delay_alu instid0(VALU_DEP_2) | instskip(NEXT) | instid1(VALU_DEP_1)
	v_ashrrev_i32_e32 v7, 31, v7
	v_add_nc_u32_e32 v7, 32, v7
	s_delay_alu instid0(VALU_DEP_1) | instskip(NEXT) | instid1(VALU_DEP_1)
	v_add_min_u32_e64 v7, v9, -1, v7
	v_lshlrev_b64_e32 v[12:13], v7, v[12:13]
	v_sub_nc_u32_e32 v7, 32, v7
	s_delay_alu instid0(VALU_DEP_2) | instskip(NEXT) | instid1(VALU_DEP_1)
	v_min_u32_e32 v9, 1, v12
	v_or_b32_e32 v9, v13, v9
	s_delay_alu instid0(VALU_DEP_1) | instskip(NEXT) | instid1(VALU_DEP_1)
	v_cvt_f32_i32_e32 v9, v9
	v_ldexp_f32 v7, v9, v7
	s_delay_alu instid0(VALU_DEP_1) | instskip(NEXT) | instid1(VALU_DEP_1)
	v_bfe_u32 v9, v7, 16, 1
	v_add3_u32 v7, v7, v9, 0x7fff
	s_delay_alu instid0(VALU_DEP_1)
	v_lshrrev_b32_e32 v12, 16, v7
	s_branch .LBB199_2535
.LBB199_2532:
	s_mov_b32 s6, -1
                                        ; implicit-def: $vgpr12
	s_branch .LBB199_2541
.LBB199_2533:
	s_mov_b32 s6, -1
                                        ; implicit-def: $vgpr12
	s_branch .LBB199_2538
.LBB199_2534:
	s_mov_b32 s6, -1
                                        ; implicit-def: $vgpr12
.LBB199_2535:
	s_delay_alu instid0(SALU_CYCLE_1)
	s_and_not1_b32 vcc_lo, exec_lo, s6
	s_cbranch_vccnz .LBB199_2537
; %bb.2536:
	global_load_b32 v7, v[10:11], off
	s_wait_loadcnt 0x0
	v_cvt_f32_i32_e32 v7, v7
	s_delay_alu instid0(VALU_DEP_1) | instskip(NEXT) | instid1(VALU_DEP_1)
	v_bfe_u32 v9, v7, 16, 1
	v_add3_u32 v7, v7, v9, 0x7fff
	s_wait_xcnt 0x1
	s_delay_alu instid0(VALU_DEP_1)
	v_lshrrev_b32_e32 v12, 16, v7
.LBB199_2537:
	s_mov_b32 s6, 0
.LBB199_2538:
	s_delay_alu instid0(SALU_CYCLE_1)
	s_and_not1_b32 vcc_lo, exec_lo, s6
	s_cbranch_vccnz .LBB199_2540
; %bb.2539:
	global_load_i16 v7, v[10:11], off
	s_wait_loadcnt 0x0
	v_cvt_f32_i32_e32 v7, v7
	s_delay_alu instid0(VALU_DEP_1) | instskip(NEXT) | instid1(VALU_DEP_1)
	v_bfe_u32 v9, v7, 16, 1
	v_add3_u32 v7, v7, v9, 0x7fff
	s_wait_xcnt 0x1
	s_delay_alu instid0(VALU_DEP_1)
	v_lshrrev_b32_e32 v12, 16, v7
.LBB199_2540:
	s_mov_b32 s6, 0
.LBB199_2541:
	s_delay_alu instid0(SALU_CYCLE_1)
	s_and_not1_b32 vcc_lo, exec_lo, s6
	s_cbranch_vccnz .LBB199_2547
; %bb.2542:
	s_cmp_gt_i32 s2, 0
	s_mov_b32 s2, 0
	s_cbranch_scc0 .LBB199_2544
; %bb.2543:
	global_load_i8 v7, v[10:11], off
	s_wait_loadcnt 0x0
	v_cvt_f32_i32_e32 v7, v7
	s_delay_alu instid0(VALU_DEP_1) | instskip(NEXT) | instid1(VALU_DEP_1)
	v_bfe_u32 v9, v7, 16, 1
	v_add3_u32 v7, v7, v9, 0x7fff
	s_wait_xcnt 0x1
	s_delay_alu instid0(VALU_DEP_1)
	v_lshrrev_b32_e32 v12, 16, v7
	s_branch .LBB199_2545
.LBB199_2544:
	s_mov_b32 s2, -1
                                        ; implicit-def: $vgpr12
.LBB199_2545:
	s_delay_alu instid0(SALU_CYCLE_1)
	s_and_not1_b32 vcc_lo, exec_lo, s2
	s_cbranch_vccnz .LBB199_2547
; %bb.2546:
	global_load_u8 v7, v[10:11], off
	s_wait_loadcnt 0x0
	v_cvt_f32_ubyte0_e32 v7, v7
	s_delay_alu instid0(VALU_DEP_1) | instskip(NEXT) | instid1(VALU_DEP_1)
	v_bfe_u32 v9, v7, 16, 1
	v_add3_u32 v7, v7, v9, 0x7fff
	s_wait_xcnt 0x1
	s_delay_alu instid0(VALU_DEP_1)
	v_lshrrev_b32_e32 v12, 16, v7
.LBB199_2547:
	s_mov_b32 s11, -1
.LBB199_2548:
	s_delay_alu instid0(SALU_CYCLE_1)
	s_and_not1_b32 vcc_lo, exec_lo, s11
	s_cbranch_vccnz .LBB199_3112
; %bb.2549:
	v_mov_b32_e32 v9, 0
	s_cmp_lt_i32 s10, 11
	s_delay_alu instid0(VALU_DEP_1)
	v_add_nc_u64_e32 v[8:9], s[0:1], v[8:9]
	s_cbranch_scc1 .LBB199_2556
; %bb.2550:
	s_cmp_gt_i32 s10, 25
	s_mov_b32 s1, 0
	s_cbranch_scc0 .LBB199_2557
; %bb.2551:
	s_cmp_gt_i32 s10, 28
	s_cbranch_scc0 .LBB199_2558
; %bb.2552:
	s_cmp_gt_i32 s10, 43
	;; [unrolled: 3-line block ×3, first 2 shown]
	s_cbranch_scc0 .LBB199_2561
; %bb.2554:
	s_cmp_eq_u32 s10, 46
	s_mov_b32 s6, 0
	s_cbranch_scc0 .LBB199_2562
; %bb.2555:
	global_load_b32 v10, v[8:9], off
	s_mov_b32 s0, 0
	s_mov_b32 s2, -1
	s_branch .LBB199_2564
.LBB199_2556:
	s_mov_b32 s0, -1
	s_mov_b32 s2, 0
                                        ; implicit-def: $vgpr10
	s_branch .LBB199_2630
.LBB199_2557:
	s_mov_b32 s6, -1
	s_mov_b32 s2, 0
	s_mov_b32 s0, 0
                                        ; implicit-def: $vgpr10
	s_branch .LBB199_2593
.LBB199_2558:
	s_mov_b32 s6, -1
	s_mov_b32 s2, 0
	s_mov_b32 s0, 0
                                        ; implicit-def: $vgpr10
	s_branch .LBB199_2574
.LBB199_2559:
	s_mov_b32 s6, -1
	s_mov_b32 s2, 0
	s_mov_b32 s0, 0
                                        ; implicit-def: $vgpr10
	s_branch .LBB199_2569
.LBB199_2560:
	s_or_b32 s9, s9, exec_lo
	s_trap 2
	s_cbranch_execz .LBB199_2497
	s_branch .LBB199_2498
.LBB199_2561:
	s_mov_b32 s6, -1
	s_mov_b32 s2, 0
	s_mov_b32 s0, 0
	s_branch .LBB199_2563
.LBB199_2562:
	s_mov_b32 s0, -1
	s_mov_b32 s2, 0
.LBB199_2563:
                                        ; implicit-def: $vgpr10
.LBB199_2564:
	s_and_b32 vcc_lo, exec_lo, s6
	s_cbranch_vccz .LBB199_2568
; %bb.2565:
	s_cmp_eq_u32 s10, 44
	s_cbranch_scc0 .LBB199_2567
; %bb.2566:
	global_load_u8 v7, v[8:9], off
	s_mov_b32 s0, 0
	s_mov_b32 s2, -1
	s_wait_loadcnt 0x0
	s_wait_xcnt 0x1
	v_lshlrev_b32_e32 v10, 23, v7
	v_cmp_ne_u32_e32 vcc_lo, 0xff, v7
	s_delay_alu instid0(VALU_DEP_2) | instskip(SKIP_1) | instid1(VALU_DEP_2)
	v_cndmask_b32_e32 v10, 0x7f800001, v10, vcc_lo
	v_cmp_ne_u32_e32 vcc_lo, 0, v7
	v_cndmask_b32_e32 v7, 0x400000, v10, vcc_lo
	s_delay_alu instid0(VALU_DEP_1) | instskip(NEXT) | instid1(VALU_DEP_1)
	v_add_nc_u32_e32 v10, 0x7fff, v7
	v_lshrrev_b32_e32 v10, 16, v10
	v_cmp_o_f32_e32 vcc_lo, v7, v7
	s_delay_alu instid0(VALU_DEP_2)
	v_cndmask_b32_e32 v10, 0x7fc0, v10, vcc_lo
	s_branch .LBB199_2568
.LBB199_2567:
	s_mov_b32 s0, -1
                                        ; implicit-def: $vgpr10
.LBB199_2568:
	s_mov_b32 s6, 0
.LBB199_2569:
	s_delay_alu instid0(SALU_CYCLE_1)
	s_and_b32 vcc_lo, exec_lo, s6
	s_cbranch_vccz .LBB199_2573
; %bb.2570:
	s_cmp_eq_u32 s10, 29
	s_cbranch_scc0 .LBB199_2572
; %bb.2571:
	s_wait_loadcnt 0x0
	global_load_b64 v[10:11], v[8:9], off
	s_mov_b32 s0, 0
	s_mov_b32 s2, -1
	s_mov_b32 s6, 0
	s_wait_loadcnt 0x0
	v_clz_i32_u32_e32 v7, v11
	s_delay_alu instid0(VALU_DEP_1) | instskip(NEXT) | instid1(VALU_DEP_1)
	v_min_u32_e32 v7, 32, v7
	v_lshlrev_b64_e32 v[10:11], v7, v[10:11]
	v_sub_nc_u32_e32 v7, 32, v7
	s_delay_alu instid0(VALU_DEP_2) | instskip(NEXT) | instid1(VALU_DEP_1)
	v_min_u32_e32 v10, 1, v10
	v_or_b32_e32 v10, v11, v10
	s_delay_alu instid0(VALU_DEP_1) | instskip(NEXT) | instid1(VALU_DEP_1)
	v_cvt_f32_u32_e32 v10, v10
	v_ldexp_f32 v7, v10, v7
	s_delay_alu instid0(VALU_DEP_1) | instskip(NEXT) | instid1(VALU_DEP_1)
	v_bfe_u32 v10, v7, 16, 1
	v_add3_u32 v7, v7, v10, 0x7fff
	s_delay_alu instid0(VALU_DEP_1)
	v_lshrrev_b32_e32 v10, 16, v7
	s_branch .LBB199_2574
.LBB199_2572:
	s_mov_b32 s0, -1
                                        ; implicit-def: $vgpr10
.LBB199_2573:
	s_mov_b32 s6, 0
.LBB199_2574:
	s_delay_alu instid0(SALU_CYCLE_1)
	s_and_b32 vcc_lo, exec_lo, s6
	s_cbranch_vccz .LBB199_2592
; %bb.2575:
	s_cmp_lt_i32 s10, 27
	s_cbranch_scc1 .LBB199_2578
; %bb.2576:
	s_cmp_gt_i32 s10, 27
	s_cbranch_scc0 .LBB199_2579
; %bb.2577:
	global_load_b32 v7, v[8:9], off
	s_mov_b32 s2, 0
	s_wait_loadcnt 0x0
	v_cvt_f32_u32_e32 v7, v7
	s_wait_xcnt 0x1
	s_delay_alu instid0(VALU_DEP_1) | instskip(NEXT) | instid1(VALU_DEP_1)
	v_bfe_u32 v10, v7, 16, 1
	v_add3_u32 v7, v7, v10, 0x7fff
	s_delay_alu instid0(VALU_DEP_1)
	v_lshrrev_b32_e32 v10, 16, v7
	s_branch .LBB199_2580
.LBB199_2578:
	s_mov_b32 s2, -1
                                        ; implicit-def: $vgpr10
	s_branch .LBB199_2583
.LBB199_2579:
	s_mov_b32 s2, -1
                                        ; implicit-def: $vgpr10
.LBB199_2580:
	s_delay_alu instid0(SALU_CYCLE_1)
	s_and_not1_b32 vcc_lo, exec_lo, s2
	s_cbranch_vccnz .LBB199_2582
; %bb.2581:
	global_load_u16 v7, v[8:9], off
	s_wait_loadcnt 0x0
	v_cvt_f32_u32_e32 v7, v7
	s_wait_xcnt 0x1
	s_delay_alu instid0(VALU_DEP_1) | instskip(NEXT) | instid1(VALU_DEP_1)
	v_bfe_u32 v10, v7, 16, 1
	v_add3_u32 v7, v7, v10, 0x7fff
	s_delay_alu instid0(VALU_DEP_1)
	v_lshrrev_b32_e32 v10, 16, v7
.LBB199_2582:
	s_mov_b32 s2, 0
.LBB199_2583:
	s_delay_alu instid0(SALU_CYCLE_1)
	s_and_not1_b32 vcc_lo, exec_lo, s2
	s_cbranch_vccnz .LBB199_2591
; %bb.2584:
	global_load_u8 v7, v[8:9], off
	s_mov_b32 s2, 0
	s_mov_b32 s6, exec_lo
	s_wait_loadcnt 0x0
	v_cmpx_lt_i16_e32 0x7f, v7
	s_xor_b32 s6, exec_lo, s6
	s_cbranch_execz .LBB199_2605
; %bb.2585:
	s_mov_b32 s2, -1
	s_mov_b32 s7, exec_lo
	v_cmpx_eq_u16_e32 0x80, v7
; %bb.2586:
	s_xor_b32 s2, exec_lo, -1
; %bb.2587:
	s_or_b32 exec_lo, exec_lo, s7
	s_delay_alu instid0(SALU_CYCLE_1)
	s_and_b32 s2, s2, exec_lo
	s_or_saveexec_b32 s6, s6
	v_mov_b32_e32 v10, 0x7f800001
	s_xor_b32 exec_lo, exec_lo, s6
	s_cbranch_execnz .LBB199_2606
.LBB199_2588:
	s_or_b32 exec_lo, exec_lo, s6
	s_and_saveexec_b32 s6, s2
	s_cbranch_execz .LBB199_2590
.LBB199_2589:
	v_and_b32_e32 v10, 0xffff, v7
	s_delay_alu instid0(VALU_DEP_1) | instskip(SKIP_1) | instid1(VALU_DEP_2)
	v_and_b32_e32 v11, 7, v10
	v_bfe_u32 v17, v10, 3, 4
	v_clz_i32_u32_e32 v13, v11
	s_delay_alu instid0(VALU_DEP_2) | instskip(NEXT) | instid1(VALU_DEP_2)
	v_cmp_eq_u32_e32 vcc_lo, 0, v17
	v_min_u32_e32 v13, 32, v13
	s_delay_alu instid0(VALU_DEP_1) | instskip(NEXT) | instid1(VALU_DEP_1)
	v_subrev_nc_u32_e32 v15, 28, v13
	v_dual_lshlrev_b32 v10, v15, v10 :: v_dual_sub_nc_u32 v13, 29, v13
	s_delay_alu instid0(VALU_DEP_1) | instskip(NEXT) | instid1(VALU_DEP_1)
	v_dual_lshlrev_b32 v7, 24, v7 :: v_dual_bitop2_b32 v10, 7, v10 bitop3:0x40
	v_dual_cndmask_b32 v13, v17, v13 :: v_dual_cndmask_b32 v10, v11, v10
	s_delay_alu instid0(VALU_DEP_2) | instskip(NEXT) | instid1(VALU_DEP_2)
	v_and_b32_e32 v7, 0x80000000, v7
	v_lshl_add_u32 v11, v13, 23, 0x3b800000
	s_delay_alu instid0(VALU_DEP_3) | instskip(NEXT) | instid1(VALU_DEP_1)
	v_lshlrev_b32_e32 v10, 20, v10
	v_or3_b32 v10, v7, v11, v10
.LBB199_2590:
	s_or_b32 exec_lo, exec_lo, s6
	s_delay_alu instid0(VALU_DEP_1) | instskip(SKIP_1) | instid1(VALU_DEP_2)
	v_bfe_u32 v7, v10, 16, 1
	v_cmp_o_f32_e32 vcc_lo, v10, v10
	v_add3_u32 v7, v10, v7, 0x7fff
	s_delay_alu instid0(VALU_DEP_1) | instskip(NEXT) | instid1(VALU_DEP_1)
	v_lshrrev_b32_e32 v7, 16, v7
	v_cndmask_b32_e32 v10, 0x7fc0, v7, vcc_lo
.LBB199_2591:
	s_mov_b32 s2, -1
.LBB199_2592:
	s_mov_b32 s6, 0
.LBB199_2593:
	s_delay_alu instid0(SALU_CYCLE_1)
	s_and_b32 vcc_lo, exec_lo, s6
	s_cbranch_vccz .LBB199_2626
; %bb.2594:
	s_cmp_gt_i32 s10, 22
	s_cbranch_scc0 .LBB199_2604
; %bb.2595:
	s_cmp_lt_i32 s10, 24
	s_cbranch_scc1 .LBB199_2607
; %bb.2596:
	s_cmp_gt_i32 s10, 24
	s_cbranch_scc0 .LBB199_2608
; %bb.2597:
	global_load_u8 v7, v[8:9], off
	s_mov_b32 s2, exec_lo
	s_wait_loadcnt 0x0
	v_cmpx_lt_i16_e32 0x7f, v7
	s_xor_b32 s2, exec_lo, s2
	s_cbranch_execz .LBB199_2620
; %bb.2598:
	s_mov_b32 s1, -1
	s_mov_b32 s6, exec_lo
	v_cmpx_eq_u16_e32 0x80, v7
; %bb.2599:
	s_xor_b32 s1, exec_lo, -1
; %bb.2600:
	s_or_b32 exec_lo, exec_lo, s6
	s_delay_alu instid0(SALU_CYCLE_1)
	s_and_b32 s1, s1, exec_lo
	s_or_saveexec_b32 s2, s2
	v_mov_b32_e32 v10, 0x7f800001
	s_xor_b32 exec_lo, exec_lo, s2
	s_cbranch_execnz .LBB199_2621
.LBB199_2601:
	s_or_b32 exec_lo, exec_lo, s2
	s_and_saveexec_b32 s2, s1
	s_cbranch_execz .LBB199_2603
.LBB199_2602:
	v_and_b32_e32 v10, 0xffff, v7
	s_delay_alu instid0(VALU_DEP_1) | instskip(SKIP_1) | instid1(VALU_DEP_2)
	v_and_b32_e32 v11, 3, v10
	v_bfe_u32 v17, v10, 2, 5
	v_clz_i32_u32_e32 v13, v11
	s_delay_alu instid0(VALU_DEP_2) | instskip(NEXT) | instid1(VALU_DEP_2)
	v_cmp_eq_u32_e32 vcc_lo, 0, v17
	v_min_u32_e32 v13, 32, v13
	s_delay_alu instid0(VALU_DEP_1) | instskip(NEXT) | instid1(VALU_DEP_1)
	v_subrev_nc_u32_e32 v15, 29, v13
	v_dual_lshlrev_b32 v10, v15, v10 :: v_dual_sub_nc_u32 v13, 30, v13
	s_delay_alu instid0(VALU_DEP_1) | instskip(NEXT) | instid1(VALU_DEP_1)
	v_dual_lshlrev_b32 v7, 24, v7 :: v_dual_bitop2_b32 v10, 3, v10 bitop3:0x40
	v_dual_cndmask_b32 v13, v17, v13 :: v_dual_cndmask_b32 v10, v11, v10
	s_delay_alu instid0(VALU_DEP_2) | instskip(NEXT) | instid1(VALU_DEP_2)
	v_and_b32_e32 v7, 0x80000000, v7
	v_lshl_add_u32 v11, v13, 23, 0x37800000
	s_delay_alu instid0(VALU_DEP_3) | instskip(NEXT) | instid1(VALU_DEP_1)
	v_lshlrev_b32_e32 v10, 21, v10
	v_or3_b32 v10, v7, v11, v10
.LBB199_2603:
	s_or_b32 exec_lo, exec_lo, s2
	s_delay_alu instid0(VALU_DEP_1) | instskip(SKIP_2) | instid1(VALU_DEP_2)
	v_bfe_u32 v7, v10, 16, 1
	v_cmp_o_f32_e32 vcc_lo, v10, v10
	s_mov_b32 s1, 0
	v_add3_u32 v7, v10, v7, 0x7fff
	s_delay_alu instid0(VALU_DEP_1) | instskip(NEXT) | instid1(VALU_DEP_1)
	v_lshrrev_b32_e32 v7, 16, v7
	v_cndmask_b32_e32 v10, 0x7fc0, v7, vcc_lo
	s_branch .LBB199_2609
.LBB199_2604:
	s_mov_b32 s1, -1
                                        ; implicit-def: $vgpr10
	s_branch .LBB199_2615
.LBB199_2605:
	s_or_saveexec_b32 s6, s6
	v_mov_b32_e32 v10, 0x7f800001
	s_xor_b32 exec_lo, exec_lo, s6
	s_cbranch_execz .LBB199_2588
.LBB199_2606:
	v_cmp_ne_u16_e32 vcc_lo, 0, v7
	v_mov_b32_e32 v10, 0
	s_and_not1_b32 s2, s2, exec_lo
	s_and_b32 s7, vcc_lo, exec_lo
	s_delay_alu instid0(SALU_CYCLE_1)
	s_or_b32 s2, s2, s7
	s_or_b32 exec_lo, exec_lo, s6
	s_and_saveexec_b32 s6, s2
	s_cbranch_execnz .LBB199_2589
	s_branch .LBB199_2590
.LBB199_2607:
	s_mov_b32 s1, -1
                                        ; implicit-def: $vgpr10
	s_branch .LBB199_2612
.LBB199_2608:
	s_mov_b32 s1, -1
                                        ; implicit-def: $vgpr10
.LBB199_2609:
	s_delay_alu instid0(SALU_CYCLE_1)
	s_and_b32 vcc_lo, exec_lo, s1
	s_cbranch_vccz .LBB199_2611
; %bb.2610:
	global_load_u8 v7, v[8:9], off
	s_wait_loadcnt 0x0
	v_lshlrev_b32_e32 v7, 24, v7
	s_wait_xcnt 0x1
	s_delay_alu instid0(VALU_DEP_1) | instskip(NEXT) | instid1(VALU_DEP_1)
	v_and_b32_e32 v10, 0x7f000000, v7
	v_clz_i32_u32_e32 v11, v10
	v_cmp_ne_u32_e32 vcc_lo, 0, v10
	v_add_nc_u32_e32 v15, 0x1000000, v10
	s_delay_alu instid0(VALU_DEP_3) | instskip(NEXT) | instid1(VALU_DEP_1)
	v_min_u32_e32 v11, 32, v11
	v_sub_nc_u32_e64 v11, v11, 4 clamp
	s_delay_alu instid0(VALU_DEP_1) | instskip(NEXT) | instid1(VALU_DEP_1)
	v_dual_lshlrev_b32 v13, v11, v10 :: v_dual_lshlrev_b32 v11, 23, v11
	v_lshrrev_b32_e32 v13, 4, v13
	s_delay_alu instid0(VALU_DEP_1) | instskip(SKIP_1) | instid1(VALU_DEP_2)
	v_sub_nc_u32_e32 v11, v13, v11
	v_ashrrev_i32_e32 v13, 8, v15
	v_add_nc_u32_e32 v11, 0x3c000000, v11
	s_delay_alu instid0(VALU_DEP_1) | instskip(NEXT) | instid1(VALU_DEP_1)
	v_and_or_b32 v11, 0x7f800000, v13, v11
	v_cndmask_b32_e32 v10, 0, v11, vcc_lo
	s_delay_alu instid0(VALU_DEP_1) | instskip(SKIP_1) | instid1(VALU_DEP_2)
	v_and_or_b32 v7, 0x80000000, v7, v10
	v_bfe_u32 v10, v10, 16, 1
	v_cmp_o_f32_e32 vcc_lo, v7, v7
	s_delay_alu instid0(VALU_DEP_2) | instskip(NEXT) | instid1(VALU_DEP_1)
	v_add3_u32 v10, v7, v10, 0x7fff
	v_lshrrev_b32_e32 v10, 16, v10
	s_delay_alu instid0(VALU_DEP_1)
	v_cndmask_b32_e32 v10, 0x7fc0, v10, vcc_lo
.LBB199_2611:
	s_mov_b32 s1, 0
.LBB199_2612:
	s_delay_alu instid0(SALU_CYCLE_1)
	s_and_not1_b32 vcc_lo, exec_lo, s1
	s_cbranch_vccnz .LBB199_2614
; %bb.2613:
	global_load_u8 v7, v[8:9], off
	s_wait_loadcnt 0x0
	s_wait_xcnt 0x1
	v_lshlrev_b32_e32 v10, 25, v7
	v_lshlrev_b16 v7, 8, v7
	s_delay_alu instid0(VALU_DEP_1) | instskip(SKIP_1) | instid1(VALU_DEP_2)
	v_and_or_b32 v13, 0x7f00, v7, 0.5
	v_bfe_i32 v7, v7, 0, 16
	v_dual_add_f32 v13, -0.5, v13 :: v_dual_lshrrev_b32 v11, 4, v10
	v_cmp_gt_u32_e32 vcc_lo, 0x8000000, v10
	s_delay_alu instid0(VALU_DEP_2) | instskip(NEXT) | instid1(VALU_DEP_1)
	v_or_b32_e32 v11, 0x70000000, v11
	v_mul_f32_e32 v11, 0x7800000, v11
	s_delay_alu instid0(VALU_DEP_1) | instskip(NEXT) | instid1(VALU_DEP_1)
	v_cndmask_b32_e32 v10, v11, v13, vcc_lo
	v_and_or_b32 v7, 0x80000000, v7, v10
	v_bfe_u32 v10, v10, 16, 1
	s_delay_alu instid0(VALU_DEP_2) | instskip(NEXT) | instid1(VALU_DEP_2)
	v_cmp_o_f32_e32 vcc_lo, v7, v7
	v_add3_u32 v10, v7, v10, 0x7fff
	s_delay_alu instid0(VALU_DEP_1) | instskip(NEXT) | instid1(VALU_DEP_1)
	v_lshrrev_b32_e32 v10, 16, v10
	v_cndmask_b32_e32 v10, 0x7fc0, v10, vcc_lo
.LBB199_2614:
	s_mov_b32 s1, 0
	s_mov_b32 s2, -1
.LBB199_2615:
	s_and_not1_b32 vcc_lo, exec_lo, s1
	s_mov_b32 s1, 0
	s_cbranch_vccnz .LBB199_2626
; %bb.2616:
	s_cmp_gt_i32 s10, 14
	s_cbranch_scc0 .LBB199_2619
; %bb.2617:
	s_cmp_eq_u32 s10, 15
	s_cbranch_scc0 .LBB199_2622
; %bb.2618:
	s_wait_loadcnt 0x0
	global_load_u16 v10, v[8:9], off
	s_mov_b32 s0, 0
	s_mov_b32 s2, -1
	s_branch .LBB199_2624
.LBB199_2619:
	s_mov_b32 s1, -1
	s_branch .LBB199_2623
.LBB199_2620:
	s_or_saveexec_b32 s2, s2
	v_mov_b32_e32 v10, 0x7f800001
	s_xor_b32 exec_lo, exec_lo, s2
	s_cbranch_execz .LBB199_2601
.LBB199_2621:
	v_cmp_ne_u16_e32 vcc_lo, 0, v7
	v_mov_b32_e32 v10, 0
	s_and_not1_b32 s1, s1, exec_lo
	s_and_b32 s6, vcc_lo, exec_lo
	s_delay_alu instid0(SALU_CYCLE_1)
	s_or_b32 s1, s1, s6
	s_or_b32 exec_lo, exec_lo, s2
	s_and_saveexec_b32 s2, s1
	s_cbranch_execnz .LBB199_2602
	s_branch .LBB199_2603
.LBB199_2622:
	s_mov_b32 s0, -1
.LBB199_2623:
                                        ; implicit-def: $vgpr10
.LBB199_2624:
	s_and_b32 vcc_lo, exec_lo, s1
	s_mov_b32 s1, 0
	s_cbranch_vccz .LBB199_2626
; %bb.2625:
	s_cmp_lg_u32 s10, 11
	s_mov_b32 s1, -1
	s_cselect_b32 s0, -1, 0
.LBB199_2626:
	s_delay_alu instid0(SALU_CYCLE_1)
	s_and_b32 vcc_lo, exec_lo, s0
	s_cbranch_vccnz .LBB199_3158
; %bb.2627:
	s_and_not1_b32 vcc_lo, exec_lo, s1
	s_cbranch_vccnz .LBB199_2629
.LBB199_2628:
	global_load_u8 v7, v[8:9], off
	s_mov_b32 s2, -1
	s_wait_loadcnt 0x0
	v_cmp_ne_u16_e32 vcc_lo, 0, v7
	v_cndmask_b32_e64 v7, 0, 1.0, vcc_lo
	s_wait_xcnt 0x1
	s_delay_alu instid0(VALU_DEP_1)
	v_lshrrev_b32_e32 v10, 16, v7
.LBB199_2629:
	s_mov_b32 s0, 0
.LBB199_2630:
	s_delay_alu instid0(SALU_CYCLE_1)
	s_and_b32 vcc_lo, exec_lo, s0
	s_cbranch_vccz .LBB199_2679
; %bb.2631:
	s_cmp_lt_i32 s10, 5
	s_cbranch_scc1 .LBB199_2636
; %bb.2632:
	s_cmp_lt_i32 s10, 8
	s_cbranch_scc1 .LBB199_2637
; %bb.2633:
	s_cmp_lt_i32 s10, 9
	s_cbranch_scc1 .LBB199_2638
; %bb.2634:
	s_cmp_gt_i32 s10, 9
	s_cbranch_scc0 .LBB199_2639
; %bb.2635:
	s_wait_loadcnt 0x0
	global_load_b64 v[10:11], v[8:9], off
	s_mov_b32 s0, 0
	s_wait_loadcnt 0x0
	v_cvt_f32_f64_e32 v7, v[10:11]
	s_delay_alu instid0(VALU_DEP_1) | instskip(SKIP_1) | instid1(VALU_DEP_2)
	v_bfe_u32 v10, v7, 16, 1
	v_cmp_o_f32_e32 vcc_lo, v7, v7
	v_add3_u32 v10, v7, v10, 0x7fff
	s_delay_alu instid0(VALU_DEP_1) | instskip(NEXT) | instid1(VALU_DEP_1)
	v_lshrrev_b32_e32 v10, 16, v10
	v_cndmask_b32_e32 v10, 0x7fc0, v10, vcc_lo
	s_branch .LBB199_2640
.LBB199_2636:
	s_mov_b32 s0, -1
                                        ; implicit-def: $vgpr10
	s_branch .LBB199_2658
.LBB199_2637:
	s_mov_b32 s0, -1
                                        ; implicit-def: $vgpr10
	s_branch .LBB199_2646
.LBB199_2638:
	s_mov_b32 s0, -1
                                        ; implicit-def: $vgpr10
	s_branch .LBB199_2643
.LBB199_2639:
	s_mov_b32 s0, -1
                                        ; implicit-def: $vgpr10
.LBB199_2640:
	s_delay_alu instid0(SALU_CYCLE_1)
	s_and_not1_b32 vcc_lo, exec_lo, s0
	s_cbranch_vccnz .LBB199_2642
; %bb.2641:
	global_load_b32 v7, v[8:9], off
	s_wait_loadcnt 0x0
	s_wait_xcnt 0x1
	v_bfe_u32 v10, v7, 16, 1
	v_cmp_o_f32_e32 vcc_lo, v7, v7
	s_delay_alu instid0(VALU_DEP_2) | instskip(NEXT) | instid1(VALU_DEP_1)
	v_add3_u32 v10, v7, v10, 0x7fff
	v_lshrrev_b32_e32 v10, 16, v10
	s_delay_alu instid0(VALU_DEP_1)
	v_cndmask_b32_e32 v10, 0x7fc0, v10, vcc_lo
.LBB199_2642:
	s_mov_b32 s0, 0
.LBB199_2643:
	s_delay_alu instid0(SALU_CYCLE_1)
	s_and_not1_b32 vcc_lo, exec_lo, s0
	s_cbranch_vccnz .LBB199_2645
; %bb.2644:
	global_load_b32 v7, v[8:9], off
	s_wait_loadcnt 0x0
	s_wait_xcnt 0x1
	v_cvt_f32_f16_e32 v10, v7
	v_cmp_o_f16_e32 vcc_lo, v7, v7
	s_delay_alu instid0(VALU_DEP_2) | instskip(NEXT) | instid1(VALU_DEP_1)
	v_bfe_u32 v11, v10, 16, 1
	v_add3_u32 v10, v10, v11, 0x7fff
	s_delay_alu instid0(VALU_DEP_1) | instskip(NEXT) | instid1(VALU_DEP_1)
	v_lshrrev_b32_e32 v10, 16, v10
	v_cndmask_b32_e32 v10, 0x7fc0, v10, vcc_lo
.LBB199_2645:
	s_mov_b32 s0, 0
.LBB199_2646:
	s_delay_alu instid0(SALU_CYCLE_1)
	s_and_not1_b32 vcc_lo, exec_lo, s0
	s_cbranch_vccnz .LBB199_2657
; %bb.2647:
	s_cmp_lt_i32 s10, 6
	s_cbranch_scc1 .LBB199_2650
; %bb.2648:
	s_cmp_gt_i32 s10, 6
	s_cbranch_scc0 .LBB199_2651
; %bb.2649:
	s_wait_loadcnt 0x0
	global_load_b64 v[10:11], v[8:9], off
	s_mov_b32 s0, 0
	s_wait_loadcnt 0x0
	v_cvt_f32_f64_e32 v7, v[10:11]
	s_delay_alu instid0(VALU_DEP_1) | instskip(SKIP_1) | instid1(VALU_DEP_2)
	v_bfe_u32 v10, v7, 16, 1
	v_cmp_o_f32_e32 vcc_lo, v7, v7
	v_add3_u32 v10, v7, v10, 0x7fff
	s_delay_alu instid0(VALU_DEP_1) | instskip(NEXT) | instid1(VALU_DEP_1)
	v_lshrrev_b32_e32 v10, 16, v10
	v_cndmask_b32_e32 v10, 0x7fc0, v10, vcc_lo
	s_branch .LBB199_2652
.LBB199_2650:
	s_mov_b32 s0, -1
                                        ; implicit-def: $vgpr10
	s_branch .LBB199_2655
.LBB199_2651:
	s_mov_b32 s0, -1
                                        ; implicit-def: $vgpr10
.LBB199_2652:
	s_delay_alu instid0(SALU_CYCLE_1)
	s_and_not1_b32 vcc_lo, exec_lo, s0
	s_cbranch_vccnz .LBB199_2654
; %bb.2653:
	global_load_b32 v7, v[8:9], off
	s_wait_loadcnt 0x0
	s_wait_xcnt 0x1
	v_bfe_u32 v10, v7, 16, 1
	v_cmp_o_f32_e32 vcc_lo, v7, v7
	s_delay_alu instid0(VALU_DEP_2) | instskip(NEXT) | instid1(VALU_DEP_1)
	v_add3_u32 v10, v7, v10, 0x7fff
	v_lshrrev_b32_e32 v10, 16, v10
	s_delay_alu instid0(VALU_DEP_1)
	v_cndmask_b32_e32 v10, 0x7fc0, v10, vcc_lo
.LBB199_2654:
	s_mov_b32 s0, 0
.LBB199_2655:
	s_delay_alu instid0(SALU_CYCLE_1)
	s_and_not1_b32 vcc_lo, exec_lo, s0
	s_cbranch_vccnz .LBB199_2657
; %bb.2656:
	global_load_u16 v7, v[8:9], off
	s_wait_loadcnt 0x0
	s_wait_xcnt 0x1
	v_cvt_f32_f16_e32 v10, v7
	v_cmp_o_f16_e32 vcc_lo, v7, v7
	s_delay_alu instid0(VALU_DEP_2) | instskip(NEXT) | instid1(VALU_DEP_1)
	v_bfe_u32 v11, v10, 16, 1
	v_add3_u32 v10, v10, v11, 0x7fff
	s_delay_alu instid0(VALU_DEP_1) | instskip(NEXT) | instid1(VALU_DEP_1)
	v_lshrrev_b32_e32 v10, 16, v10
	v_cndmask_b32_e32 v10, 0x7fc0, v10, vcc_lo
.LBB199_2657:
	s_mov_b32 s0, 0
.LBB199_2658:
	s_delay_alu instid0(SALU_CYCLE_1)
	s_and_not1_b32 vcc_lo, exec_lo, s0
	s_cbranch_vccnz .LBB199_2678
; %bb.2659:
	s_cmp_lt_i32 s10, 2
	s_cbranch_scc1 .LBB199_2663
; %bb.2660:
	s_cmp_lt_i32 s10, 3
	s_cbranch_scc1 .LBB199_2664
; %bb.2661:
	s_cmp_gt_i32 s10, 3
	s_cbranch_scc0 .LBB199_2665
; %bb.2662:
	s_wait_loadcnt 0x0
	global_load_b64 v[10:11], v[8:9], off
	s_mov_b32 s0, 0
	s_wait_loadcnt 0x0
	v_xor_b32_e32 v7, v10, v11
	v_cls_i32_e32 v13, v11
	s_delay_alu instid0(VALU_DEP_2) | instskip(NEXT) | instid1(VALU_DEP_1)
	v_ashrrev_i32_e32 v7, 31, v7
	v_add_nc_u32_e32 v7, 32, v7
	s_delay_alu instid0(VALU_DEP_1) | instskip(NEXT) | instid1(VALU_DEP_1)
	v_add_min_u32_e64 v7, v13, -1, v7
	v_lshlrev_b64_e32 v[10:11], v7, v[10:11]
	v_sub_nc_u32_e32 v7, 32, v7
	s_delay_alu instid0(VALU_DEP_2) | instskip(NEXT) | instid1(VALU_DEP_1)
	v_min_u32_e32 v10, 1, v10
	v_or_b32_e32 v10, v11, v10
	s_delay_alu instid0(VALU_DEP_1) | instskip(NEXT) | instid1(VALU_DEP_1)
	v_cvt_f32_i32_e32 v10, v10
	v_ldexp_f32 v7, v10, v7
	s_delay_alu instid0(VALU_DEP_1) | instskip(NEXT) | instid1(VALU_DEP_1)
	v_bfe_u32 v10, v7, 16, 1
	v_add3_u32 v7, v7, v10, 0x7fff
	s_delay_alu instid0(VALU_DEP_1)
	v_lshrrev_b32_e32 v10, 16, v7
	s_branch .LBB199_2666
.LBB199_2663:
	s_mov_b32 s0, -1
                                        ; implicit-def: $vgpr10
	s_branch .LBB199_2672
.LBB199_2664:
	s_mov_b32 s0, -1
                                        ; implicit-def: $vgpr10
	s_branch .LBB199_2669
.LBB199_2665:
	s_mov_b32 s0, -1
                                        ; implicit-def: $vgpr10
.LBB199_2666:
	s_delay_alu instid0(SALU_CYCLE_1)
	s_and_not1_b32 vcc_lo, exec_lo, s0
	s_cbranch_vccnz .LBB199_2668
; %bb.2667:
	global_load_b32 v7, v[8:9], off
	s_wait_loadcnt 0x0
	v_cvt_f32_i32_e32 v7, v7
	s_wait_xcnt 0x1
	s_delay_alu instid0(VALU_DEP_1) | instskip(NEXT) | instid1(VALU_DEP_1)
	v_bfe_u32 v10, v7, 16, 1
	v_add3_u32 v7, v7, v10, 0x7fff
	s_delay_alu instid0(VALU_DEP_1)
	v_lshrrev_b32_e32 v10, 16, v7
.LBB199_2668:
	s_mov_b32 s0, 0
.LBB199_2669:
	s_delay_alu instid0(SALU_CYCLE_1)
	s_and_not1_b32 vcc_lo, exec_lo, s0
	s_cbranch_vccnz .LBB199_2671
; %bb.2670:
	global_load_i16 v7, v[8:9], off
	s_wait_loadcnt 0x0
	v_cvt_f32_i32_e32 v7, v7
	s_wait_xcnt 0x1
	s_delay_alu instid0(VALU_DEP_1) | instskip(NEXT) | instid1(VALU_DEP_1)
	v_bfe_u32 v10, v7, 16, 1
	v_add3_u32 v7, v7, v10, 0x7fff
	s_delay_alu instid0(VALU_DEP_1)
	v_lshrrev_b32_e32 v10, 16, v7
.LBB199_2671:
	s_mov_b32 s0, 0
.LBB199_2672:
	s_delay_alu instid0(SALU_CYCLE_1)
	s_and_not1_b32 vcc_lo, exec_lo, s0
	s_cbranch_vccnz .LBB199_2678
; %bb.2673:
	s_cmp_gt_i32 s10, 0
	s_mov_b32 s0, 0
	s_cbranch_scc0 .LBB199_2675
; %bb.2674:
	global_load_i8 v7, v[8:9], off
	s_wait_loadcnt 0x0
	v_cvt_f32_i32_e32 v7, v7
	s_wait_xcnt 0x1
	s_delay_alu instid0(VALU_DEP_1) | instskip(NEXT) | instid1(VALU_DEP_1)
	v_bfe_u32 v10, v7, 16, 1
	v_add3_u32 v7, v7, v10, 0x7fff
	s_delay_alu instid0(VALU_DEP_1)
	v_lshrrev_b32_e32 v10, 16, v7
	s_branch .LBB199_2676
.LBB199_2675:
	s_mov_b32 s0, -1
                                        ; implicit-def: $vgpr10
.LBB199_2676:
	s_delay_alu instid0(SALU_CYCLE_1)
	s_and_not1_b32 vcc_lo, exec_lo, s0
	s_cbranch_vccnz .LBB199_2678
; %bb.2677:
	global_load_u8 v7, v[8:9], off
	s_wait_loadcnt 0x0
	v_cvt_f32_ubyte0_e32 v7, v7
	s_wait_xcnt 0x0
	s_delay_alu instid0(VALU_DEP_1) | instskip(NEXT) | instid1(VALU_DEP_1)
	v_bfe_u32 v8, v7, 16, 1
	v_add3_u32 v7, v7, v8, 0x7fff
	s_delay_alu instid0(VALU_DEP_1)
	v_lshrrev_b32_e32 v10, 16, v7
.LBB199_2678:
	s_mov_b32 s2, -1
.LBB199_2679:
	s_delay_alu instid0(SALU_CYCLE_1)
	s_and_not1_b32 vcc_lo, exec_lo, s2
	s_cbranch_vccnz .LBB199_3112
; %bb.2680:
	s_load_b64 s[0:1], s[20:21], 0x1a0
	s_wait_loadcnt 0x0
	v_dual_lshlrev_b32 v3, 16, v3 :: v_dual_lshlrev_b32 v1, 16, v1
	s_mov_b32 s11, 0
	s_mov_b32 s2, -1
	s_delay_alu instid0(VALU_DEP_1)
	v_cmp_eq_f32_e32 vcc_lo, v1, v3
	v_cndmask_b32_e64 v7, 0, 1, vcc_lo
	v_cmp_neq_f32_e32 vcc_lo, v1, v3
	v_cndmask_b32_e64 v1, 0, 1, vcc_lo
	s_wait_kmcnt 0x0
	s_cmp_eq_u32 s0, 0
	s_cselect_b32 s0, -1, 0
	s_and_b32 s6, s1, 0xff
	v_dual_cndmask_b32 v1, v1, v7, s0 :: v_dual_mov_b32 v7, 0
	s_cmp_lt_i32 s6, 11
	s_delay_alu instid0(VALU_DEP_1) | instskip(NEXT) | instid1(VALU_DEP_2)
	v_and_b32_e32 v1, 1, v1
	v_add_nc_u64_e32 v[6:7], s[4:5], v[6:7]
	s_delay_alu instid0(VALU_DEP_2)
	v_cmp_eq_u32_e64 s1, 1, v1
	s_cbranch_scc1 .LBB199_2759
; %bb.2681:
	s_and_b32 s7, 0xffff, s6
	s_mov_b32 s12, -1
	s_mov_b32 s10, 0
	s_cmp_gt_i32 s7, 25
	s_mov_b32 s2, 0
	s_cbranch_scc0 .LBB199_2714
; %bb.2682:
	s_cmp_gt_i32 s7, 28
	s_cbranch_scc0 .LBB199_2697
; %bb.2683:
	s_cmp_gt_i32 s7, 43
	;; [unrolled: 3-line block ×3, first 2 shown]
	s_cbranch_scc0 .LBB199_2687
; %bb.2685:
	s_mov_b32 s2, -1
	s_mov_b32 s12, 0
	s_cmp_eq_u32 s7, 46
	s_cbranch_scc0 .LBB199_2687
; %bb.2686:
	v_cndmask_b32_e64 v1, 0, 1.0, s1
	s_mov_b32 s2, 0
	s_mov_b32 s11, -1
	s_delay_alu instid0(VALU_DEP_1) | instskip(NEXT) | instid1(VALU_DEP_1)
	v_bfe_u32 v3, v1, 16, 1
	v_add3_u32 v1, v1, v3, 0x7fff
	s_delay_alu instid0(VALU_DEP_1)
	v_lshrrev_b32_e32 v1, 16, v1
	global_store_b32 v[6:7], v1, off
.LBB199_2687:
	s_and_b32 vcc_lo, exec_lo, s12
	s_cbranch_vccz .LBB199_2692
; %bb.2688:
	s_cmp_eq_u32 s7, 44
	s_mov_b32 s2, -1
	s_cbranch_scc0 .LBB199_2692
; %bb.2689:
	v_cndmask_b32_e64 v8, 0, 1.0, s1
	v_mov_b32_e32 v3, 0xff
	s_mov_b32 s11, exec_lo
	s_wait_xcnt 0x0
	s_delay_alu instid0(VALU_DEP_2) | instskip(NEXT) | instid1(VALU_DEP_1)
	v_lshrrev_b32_e32 v1, 23, v8
	v_cmpx_ne_u32_e32 0xff, v1
; %bb.2690:
	v_and_b32_e32 v3, 0x400000, v8
	v_and_or_b32 v8, 0x3fffff, v8, v1
	s_delay_alu instid0(VALU_DEP_2) | instskip(NEXT) | instid1(VALU_DEP_2)
	v_cmp_ne_u32_e32 vcc_lo, 0, v3
	v_cmp_ne_u32_e64 s2, 0, v8
	s_and_b32 s2, vcc_lo, s2
	s_delay_alu instid0(SALU_CYCLE_1) | instskip(NEXT) | instid1(VALU_DEP_1)
	v_cndmask_b32_e64 v3, 0, 1, s2
	v_add_nc_u32_e32 v3, v1, v3
; %bb.2691:
	s_or_b32 exec_lo, exec_lo, s11
	s_mov_b32 s2, 0
	s_mov_b32 s11, -1
	global_store_b8 v[6:7], v3, off
.LBB199_2692:
	s_mov_b32 s12, 0
.LBB199_2693:
	s_delay_alu instid0(SALU_CYCLE_1)
	s_and_b32 vcc_lo, exec_lo, s12
	s_cbranch_vccz .LBB199_2696
; %bb.2694:
	s_cmp_eq_u32 s7, 29
	s_mov_b32 s2, -1
	s_cbranch_scc0 .LBB199_2696
; %bb.2695:
	s_mov_b32 s2, 0
	v_cndmask_b32_e64 v8, 0, 1, s1
	v_mov_b32_e32 v9, s2
	s_mov_b32 s11, -1
	global_store_b64 v[6:7], v[8:9], off
.LBB199_2696:
	s_mov_b32 s12, 0
.LBB199_2697:
	s_delay_alu instid0(SALU_CYCLE_1)
	s_and_b32 vcc_lo, exec_lo, s12
	s_cbranch_vccz .LBB199_2713
; %bb.2698:
	s_cmp_lt_i32 s7, 27
	s_mov_b32 s11, -1
	s_cbranch_scc1 .LBB199_2704
; %bb.2699:
	s_cmp_gt_i32 s7, 27
	s_cbranch_scc0 .LBB199_2701
; %bb.2700:
	s_wait_xcnt 0x0
	v_cndmask_b32_e64 v1, 0, 1, s1
	s_mov_b32 s11, 0
	global_store_b32 v[6:7], v1, off
.LBB199_2701:
	s_and_not1_b32 vcc_lo, exec_lo, s11
	s_cbranch_vccnz .LBB199_2703
; %bb.2702:
	s_wait_xcnt 0x0
	v_cndmask_b32_e64 v1, 0, 1, s1
	global_store_b16 v[6:7], v1, off
.LBB199_2703:
	s_mov_b32 s11, 0
.LBB199_2704:
	s_delay_alu instid0(SALU_CYCLE_1)
	s_and_not1_b32 vcc_lo, exec_lo, s11
	s_cbranch_vccnz .LBB199_2712
; %bb.2705:
	s_wait_xcnt 0x0
	v_cndmask_b32_e64 v3, 0, 1.0, s1
	v_mov_b32_e32 v8, 0x80
	s_mov_b32 s11, exec_lo
	s_delay_alu instid0(VALU_DEP_2)
	v_cmpx_gt_u32_e32 0x43800000, v3
	s_cbranch_execz .LBB199_2711
; %bb.2706:
	s_mov_b32 s12, 0
	s_mov_b32 s13, exec_lo
                                        ; implicit-def: $vgpr1
	v_cmpx_lt_u32_e32 0x3bffffff, v3
	s_xor_b32 s13, exec_lo, s13
	s_cbranch_execz .LBB199_3159
; %bb.2707:
	v_bfe_u32 v1, v3, 20, 1
	s_mov_b32 s12, exec_lo
	s_delay_alu instid0(VALU_DEP_1) | instskip(NEXT) | instid1(VALU_DEP_1)
	v_add3_u32 v1, v3, v1, 0x487ffff
                                        ; implicit-def: $vgpr3
	v_lshrrev_b32_e32 v1, 20, v1
	s_and_not1_saveexec_b32 s13, s13
	s_cbranch_execnz .LBB199_3160
.LBB199_2708:
	s_or_b32 exec_lo, exec_lo, s13
	v_mov_b32_e32 v8, 0
	s_and_saveexec_b32 s13, s12
.LBB199_2709:
	v_mov_b32_e32 v8, v1
.LBB199_2710:
	s_or_b32 exec_lo, exec_lo, s13
.LBB199_2711:
	s_delay_alu instid0(SALU_CYCLE_1)
	s_or_b32 exec_lo, exec_lo, s11
	global_store_b8 v[6:7], v8, off
.LBB199_2712:
	s_mov_b32 s11, -1
.LBB199_2713:
	s_mov_b32 s12, 0
.LBB199_2714:
	s_delay_alu instid0(SALU_CYCLE_1)
	s_and_b32 vcc_lo, exec_lo, s12
	s_cbranch_vccz .LBB199_2754
; %bb.2715:
	s_cmp_gt_i32 s7, 22
	s_mov_b32 s10, -1
	s_cbranch_scc0 .LBB199_2747
; %bb.2716:
	s_cmp_lt_i32 s7, 24
	s_cbranch_scc1 .LBB199_2736
; %bb.2717:
	s_cmp_gt_i32 s7, 24
	s_cbranch_scc0 .LBB199_2725
; %bb.2718:
	s_wait_xcnt 0x0
	v_cndmask_b32_e64 v3, 0, 1.0, s1
	v_mov_b32_e32 v8, 0x80
	s_mov_b32 s10, exec_lo
	s_delay_alu instid0(VALU_DEP_2)
	v_cmpx_gt_u32_e32 0x47800000, v3
	s_cbranch_execz .LBB199_2724
; %bb.2719:
	s_mov_b32 s11, 0
	s_mov_b32 s12, exec_lo
                                        ; implicit-def: $vgpr1
	v_cmpx_lt_u32_e32 0x37ffffff, v3
	s_xor_b32 s12, exec_lo, s12
	s_cbranch_execz .LBB199_3162
; %bb.2720:
	v_bfe_u32 v1, v3, 21, 1
	s_mov_b32 s11, exec_lo
	s_delay_alu instid0(VALU_DEP_1) | instskip(NEXT) | instid1(VALU_DEP_1)
	v_add3_u32 v1, v3, v1, 0x88fffff
                                        ; implicit-def: $vgpr3
	v_lshrrev_b32_e32 v1, 21, v1
	s_and_not1_saveexec_b32 s12, s12
	s_cbranch_execnz .LBB199_3163
.LBB199_2721:
	s_or_b32 exec_lo, exec_lo, s12
	v_mov_b32_e32 v8, 0
	s_and_saveexec_b32 s12, s11
.LBB199_2722:
	v_mov_b32_e32 v8, v1
.LBB199_2723:
	s_or_b32 exec_lo, exec_lo, s12
.LBB199_2724:
	s_delay_alu instid0(SALU_CYCLE_1)
	s_or_b32 exec_lo, exec_lo, s10
	s_mov_b32 s10, 0
	global_store_b8 v[6:7], v8, off
.LBB199_2725:
	s_and_b32 vcc_lo, exec_lo, s10
	s_cbranch_vccz .LBB199_2735
; %bb.2726:
	s_wait_xcnt 0x0
	v_cndmask_b32_e64 v3, 0, 1.0, s1
	s_mov_b32 s10, exec_lo
                                        ; implicit-def: $vgpr1
	s_delay_alu instid0(VALU_DEP_1)
	v_cmpx_gt_u32_e32 0x43f00000, v3
	s_xor_b32 s10, exec_lo, s10
	s_cbranch_execz .LBB199_2732
; %bb.2727:
	s_mov_b32 s11, exec_lo
                                        ; implicit-def: $vgpr1
	v_cmpx_lt_u32_e32 0x3c7fffff, v3
	s_xor_b32 s11, exec_lo, s11
; %bb.2728:
	v_bfe_u32 v1, v3, 20, 1
	s_delay_alu instid0(VALU_DEP_1) | instskip(NEXT) | instid1(VALU_DEP_1)
	v_add3_u32 v1, v3, v1, 0x407ffff
	v_and_b32_e32 v3, 0xff00000, v1
	v_lshrrev_b32_e32 v1, 20, v1
	s_delay_alu instid0(VALU_DEP_2) | instskip(NEXT) | instid1(VALU_DEP_2)
	v_cmp_ne_u32_e32 vcc_lo, 0x7f00000, v3
                                        ; implicit-def: $vgpr3
	v_cndmask_b32_e32 v1, 0x7e, v1, vcc_lo
; %bb.2729:
	s_and_not1_saveexec_b32 s11, s11
; %bb.2730:
	v_add_f32_e32 v1, 0x46800000, v3
; %bb.2731:
	s_or_b32 exec_lo, exec_lo, s11
                                        ; implicit-def: $vgpr3
.LBB199_2732:
	s_and_not1_saveexec_b32 s10, s10
; %bb.2733:
	v_mov_b32_e32 v1, 0x7f
	v_cmp_lt_u32_e32 vcc_lo, 0x7f800000, v3
	s_delay_alu instid0(VALU_DEP_2)
	v_cndmask_b32_e32 v1, 0x7e, v1, vcc_lo
; %bb.2734:
	s_or_b32 exec_lo, exec_lo, s10
	global_store_b8 v[6:7], v1, off
.LBB199_2735:
	s_mov_b32 s10, 0
.LBB199_2736:
	s_delay_alu instid0(SALU_CYCLE_1)
	s_and_not1_b32 vcc_lo, exec_lo, s10
	s_cbranch_vccnz .LBB199_2746
; %bb.2737:
	s_wait_xcnt 0x0
	v_cndmask_b32_e64 v3, 0, 1.0, s1
	s_mov_b32 s10, exec_lo
                                        ; implicit-def: $vgpr1
	s_delay_alu instid0(VALU_DEP_1)
	v_cmpx_gt_u32_e32 0x47800000, v3
	s_xor_b32 s10, exec_lo, s10
	s_cbranch_execz .LBB199_2743
; %bb.2738:
	s_mov_b32 s11, exec_lo
                                        ; implicit-def: $vgpr1
	v_cmpx_lt_u32_e32 0x387fffff, v3
	s_xor_b32 s11, exec_lo, s11
; %bb.2739:
	v_bfe_u32 v1, v3, 21, 1
	s_delay_alu instid0(VALU_DEP_1) | instskip(NEXT) | instid1(VALU_DEP_1)
	v_add3_u32 v1, v3, v1, 0x80fffff
                                        ; implicit-def: $vgpr3
	v_lshrrev_b32_e32 v1, 21, v1
; %bb.2740:
	s_and_not1_saveexec_b32 s11, s11
; %bb.2741:
	v_add_f32_e32 v1, 0x43000000, v3
; %bb.2742:
	s_or_b32 exec_lo, exec_lo, s11
                                        ; implicit-def: $vgpr3
.LBB199_2743:
	s_and_not1_saveexec_b32 s10, s10
; %bb.2744:
	v_mov_b32_e32 v1, 0x7f
	v_cmp_lt_u32_e32 vcc_lo, 0x7f800000, v3
	s_delay_alu instid0(VALU_DEP_2)
	v_cndmask_b32_e32 v1, 0x7c, v1, vcc_lo
; %bb.2745:
	s_or_b32 exec_lo, exec_lo, s10
	global_store_b8 v[6:7], v1, off
.LBB199_2746:
	s_mov_b32 s10, 0
	s_mov_b32 s11, -1
.LBB199_2747:
	s_and_not1_b32 vcc_lo, exec_lo, s10
	s_mov_b32 s10, 0
	s_cbranch_vccnz .LBB199_2754
; %bb.2748:
	s_cmp_gt_i32 s7, 14
	s_mov_b32 s10, -1
	s_cbranch_scc0 .LBB199_2752
; %bb.2749:
	s_cmp_eq_u32 s7, 15
	s_mov_b32 s2, -1
	s_cbranch_scc0 .LBB199_2751
; %bb.2750:
	s_wait_xcnt 0x0
	v_cndmask_b32_e64 v1, 0, 1.0, s1
	s_mov_b32 s2, 0
	s_mov_b32 s11, -1
	s_delay_alu instid0(VALU_DEP_1) | instskip(NEXT) | instid1(VALU_DEP_1)
	v_bfe_u32 v3, v1, 16, 1
	v_add3_u32 v1, v1, v3, 0x7fff
	global_store_d16_hi_b16 v[6:7], v1, off
.LBB199_2751:
	s_mov_b32 s10, 0
.LBB199_2752:
	s_delay_alu instid0(SALU_CYCLE_1)
	s_and_b32 vcc_lo, exec_lo, s10
	s_mov_b32 s10, 0
	s_cbranch_vccz .LBB199_2754
; %bb.2753:
	s_cmp_lg_u32 s7, 11
	s_mov_b32 s10, -1
	s_cselect_b32 s2, -1, 0
.LBB199_2754:
	s_delay_alu instid0(SALU_CYCLE_1)
	s_and_b32 vcc_lo, exec_lo, s2
	s_cbranch_vccnz .LBB199_3161
; %bb.2755:
	s_and_not1_b32 vcc_lo, exec_lo, s10
	s_cbranch_vccnz .LBB199_2757
.LBB199_2756:
	s_wait_xcnt 0x0
	v_cndmask_b32_e64 v1, 0, 1, s1
	s_mov_b32 s11, -1
	global_store_b8 v[6:7], v1, off
.LBB199_2757:
.LBB199_2758:
	s_and_not1_b32 vcc_lo, exec_lo, s11
	s_cbranch_vccnz .LBB199_3112
	s_branch .LBB199_2798
.LBB199_2759:
	s_and_b32 vcc_lo, exec_lo, s2
	s_cbranch_vccz .LBB199_2758
; %bb.2760:
	s_and_b32 s2, 0xffff, s6
	s_mov_b32 s7, -1
	s_cmp_lt_i32 s2, 5
	s_cbranch_scc1 .LBB199_2781
; %bb.2761:
	s_cmp_lt_i32 s2, 8
	s_cbranch_scc1 .LBB199_2771
; %bb.2762:
	;; [unrolled: 3-line block ×3, first 2 shown]
	s_cmp_gt_i32 s2, 9
	s_cbranch_scc0 .LBB199_2765
; %bb.2764:
	s_wait_xcnt 0x0
	v_cndmask_b32_e64 v1, 0, 1, s1
	v_mov_b32_e32 v22, 0
	s_mov_b32 s7, 0
	s_delay_alu instid0(VALU_DEP_2) | instskip(NEXT) | instid1(VALU_DEP_2)
	v_cvt_f64_u32_e32 v[20:21], v1
	v_mov_b32_e32 v23, v22
	global_store_b128 v[6:7], v[20:23], off
.LBB199_2765:
	s_and_not1_b32 vcc_lo, exec_lo, s7
	s_cbranch_vccnz .LBB199_2767
; %bb.2766:
	s_wait_xcnt 0x0
	v_cndmask_b32_e64 v8, 0, 1.0, s1
	v_mov_b32_e32 v9, 0
	global_store_b64 v[6:7], v[8:9], off
.LBB199_2767:
	s_mov_b32 s7, 0
.LBB199_2768:
	s_delay_alu instid0(SALU_CYCLE_1)
	s_and_not1_b32 vcc_lo, exec_lo, s7
	s_cbranch_vccnz .LBB199_2770
; %bb.2769:
	s_wait_xcnt 0x0
	v_cndmask_b32_e64 v1, 0, 1.0, s1
	s_delay_alu instid0(VALU_DEP_1) | instskip(NEXT) | instid1(VALU_DEP_1)
	v_cvt_f16_f32_e32 v1, v1
	v_and_b32_e32 v1, 0xffff, v1
	global_store_b32 v[6:7], v1, off
.LBB199_2770:
	s_mov_b32 s7, 0
.LBB199_2771:
	s_delay_alu instid0(SALU_CYCLE_1)
	s_and_not1_b32 vcc_lo, exec_lo, s7
	s_cbranch_vccnz .LBB199_2780
; %bb.2772:
	s_cmp_lt_i32 s2, 6
	s_mov_b32 s7, -1
	s_cbranch_scc1 .LBB199_2778
; %bb.2773:
	s_cmp_gt_i32 s2, 6
	s_cbranch_scc0 .LBB199_2775
; %bb.2774:
	s_wait_xcnt 0x0
	v_cndmask_b32_e64 v1, 0, 1, s1
	s_mov_b32 s7, 0
	s_delay_alu instid0(VALU_DEP_1)
	v_cvt_f64_u32_e32 v[8:9], v1
	global_store_b64 v[6:7], v[8:9], off
.LBB199_2775:
	s_and_not1_b32 vcc_lo, exec_lo, s7
	s_cbranch_vccnz .LBB199_2777
; %bb.2776:
	s_wait_xcnt 0x0
	v_cndmask_b32_e64 v1, 0, 1.0, s1
	global_store_b32 v[6:7], v1, off
.LBB199_2777:
	s_mov_b32 s7, 0
.LBB199_2778:
	s_delay_alu instid0(SALU_CYCLE_1)
	s_and_not1_b32 vcc_lo, exec_lo, s7
	s_cbranch_vccnz .LBB199_2780
; %bb.2779:
	s_wait_xcnt 0x0
	v_cndmask_b32_e64 v1, 0, 1.0, s1
	s_delay_alu instid0(VALU_DEP_1)
	v_cvt_f16_f32_e32 v1, v1
	global_store_b16 v[6:7], v1, off
.LBB199_2780:
	s_mov_b32 s7, 0
.LBB199_2781:
	s_delay_alu instid0(SALU_CYCLE_1)
	s_and_not1_b32 vcc_lo, exec_lo, s7
	s_cbranch_vccnz .LBB199_2797
; %bb.2782:
	s_cmp_lt_i32 s2, 2
	s_mov_b32 s7, -1
	s_cbranch_scc1 .LBB199_2792
; %bb.2783:
	s_cmp_lt_i32 s2, 3
	s_cbranch_scc1 .LBB199_2789
; %bb.2784:
	s_cmp_gt_i32 s2, 3
	s_cbranch_scc0 .LBB199_2786
; %bb.2785:
	s_mov_b32 s7, 0
	s_wait_xcnt 0x0
	v_cndmask_b32_e64 v8, 0, 1, s1
	v_mov_b32_e32 v9, s7
	global_store_b64 v[6:7], v[8:9], off
.LBB199_2786:
	s_and_not1_b32 vcc_lo, exec_lo, s7
	s_cbranch_vccnz .LBB199_2788
; %bb.2787:
	s_wait_xcnt 0x0
	v_cndmask_b32_e64 v1, 0, 1, s1
	global_store_b32 v[6:7], v1, off
.LBB199_2788:
	s_mov_b32 s7, 0
.LBB199_2789:
	s_delay_alu instid0(SALU_CYCLE_1)
	s_and_not1_b32 vcc_lo, exec_lo, s7
	s_cbranch_vccnz .LBB199_2791
; %bb.2790:
	s_wait_xcnt 0x0
	v_cndmask_b32_e64 v1, 0, 1, s1
	global_store_b16 v[6:7], v1, off
.LBB199_2791:
	s_mov_b32 s7, 0
.LBB199_2792:
	s_delay_alu instid0(SALU_CYCLE_1)
	s_and_not1_b32 vcc_lo, exec_lo, s7
	s_cbranch_vccnz .LBB199_2797
; %bb.2793:
	s_wait_xcnt 0x0
	v_cndmask_b32_e64 v1, 0, 1, s1
	s_cmp_gt_i32 s2, 0
	s_mov_b32 s1, -1
	s_cbranch_scc0 .LBB199_2795
; %bb.2794:
	s_mov_b32 s1, 0
	global_store_b8 v[6:7], v1, off
.LBB199_2795:
	s_and_not1_b32 vcc_lo, exec_lo, s1
	s_cbranch_vccnz .LBB199_2797
; %bb.2796:
	global_store_b8 v[6:7], v1, off
.LBB199_2797:
.LBB199_2798:
	s_wait_xcnt 0x0
	v_dual_lshlrev_b32 v1, 16, v18 :: v_dual_lshlrev_b32 v3, 16, v5
	s_and_b32 s7, 0xffff, s6
	s_delay_alu instid0(SALU_CYCLE_1) | instskip(NEXT) | instid1(VALU_DEP_1)
	s_cmp_lt_i32 s7, 11
	v_cmp_eq_f32_e32 vcc_lo, v3, v1
	v_cndmask_b32_e64 v5, 0, 1, vcc_lo
	v_cmp_neq_f32_e32 vcc_lo, v3, v1
	v_cndmask_b32_e64 v1, 0, 1, vcc_lo
	s_delay_alu instid0(VALU_DEP_1) | instskip(NEXT) | instid1(VALU_DEP_1)
	v_dual_cndmask_b32 v1, v1, v5, s0 :: v_dual_mov_b32 v5, 0
	v_and_b32_e32 v1, 1, v1
	s_delay_alu instid0(VALU_DEP_2) | instskip(NEXT) | instid1(VALU_DEP_2)
	v_add_nc_u64_e32 v[4:5], s[4:5], v[4:5]
	v_cmp_eq_u32_e64 s1, 1, v1
	s_cbranch_scc1 .LBB199_2876
; %bb.2799:
	s_mov_b32 s12, -1
	s_mov_b32 s10, 0
	s_cmp_gt_i32 s7, 25
	s_mov_b32 s11, 0
	s_mov_b32 s2, 0
	s_cbranch_scc0 .LBB199_2832
; %bb.2800:
	s_cmp_gt_i32 s7, 28
	s_cbranch_scc0 .LBB199_2815
; %bb.2801:
	s_cmp_gt_i32 s7, 43
	;; [unrolled: 3-line block ×3, first 2 shown]
	s_cbranch_scc0 .LBB199_2805
; %bb.2803:
	s_mov_b32 s2, -1
	s_mov_b32 s12, 0
	s_cmp_eq_u32 s7, 46
	s_cbranch_scc0 .LBB199_2805
; %bb.2804:
	v_cndmask_b32_e64 v1, 0, 1.0, s1
	s_mov_b32 s2, 0
	s_mov_b32 s11, -1
	s_delay_alu instid0(VALU_DEP_1) | instskip(NEXT) | instid1(VALU_DEP_1)
	v_bfe_u32 v3, v1, 16, 1
	v_add3_u32 v1, v1, v3, 0x7fff
	s_delay_alu instid0(VALU_DEP_1)
	v_lshrrev_b32_e32 v1, 16, v1
	global_store_b32 v[4:5], v1, off
.LBB199_2805:
	s_and_b32 vcc_lo, exec_lo, s12
	s_cbranch_vccz .LBB199_2810
; %bb.2806:
	s_cmp_eq_u32 s7, 44
	s_mov_b32 s2, -1
	s_cbranch_scc0 .LBB199_2810
; %bb.2807:
	v_cndmask_b32_e64 v6, 0, 1.0, s1
	v_mov_b32_e32 v3, 0xff
	s_mov_b32 s11, exec_lo
	s_wait_xcnt 0x0
	s_delay_alu instid0(VALU_DEP_2) | instskip(NEXT) | instid1(VALU_DEP_1)
	v_lshrrev_b32_e32 v1, 23, v6
	v_cmpx_ne_u32_e32 0xff, v1
; %bb.2808:
	v_and_b32_e32 v3, 0x400000, v6
	v_and_or_b32 v6, 0x3fffff, v6, v1
	s_delay_alu instid0(VALU_DEP_2) | instskip(NEXT) | instid1(VALU_DEP_2)
	v_cmp_ne_u32_e32 vcc_lo, 0, v3
	v_cmp_ne_u32_e64 s2, 0, v6
	s_and_b32 s2, vcc_lo, s2
	s_delay_alu instid0(SALU_CYCLE_1) | instskip(NEXT) | instid1(VALU_DEP_1)
	v_cndmask_b32_e64 v3, 0, 1, s2
	v_add_nc_u32_e32 v3, v1, v3
; %bb.2809:
	s_or_b32 exec_lo, exec_lo, s11
	s_mov_b32 s2, 0
	s_mov_b32 s11, -1
	global_store_b8 v[4:5], v3, off
.LBB199_2810:
	s_mov_b32 s12, 0
.LBB199_2811:
	s_delay_alu instid0(SALU_CYCLE_1)
	s_and_b32 vcc_lo, exec_lo, s12
	s_cbranch_vccz .LBB199_2814
; %bb.2812:
	s_cmp_eq_u32 s7, 29
	s_mov_b32 s2, -1
	s_cbranch_scc0 .LBB199_2814
; %bb.2813:
	s_mov_b32 s2, 0
	v_cndmask_b32_e64 v6, 0, 1, s1
	v_mov_b32_e32 v7, s2
	s_mov_b32 s11, -1
	global_store_b64 v[4:5], v[6:7], off
.LBB199_2814:
	s_mov_b32 s12, 0
.LBB199_2815:
	s_delay_alu instid0(SALU_CYCLE_1)
	s_and_b32 vcc_lo, exec_lo, s12
	s_cbranch_vccz .LBB199_2831
; %bb.2816:
	s_cmp_lt_i32 s7, 27
	s_mov_b32 s11, -1
	s_cbranch_scc1 .LBB199_2822
; %bb.2817:
	s_cmp_gt_i32 s7, 27
	s_cbranch_scc0 .LBB199_2819
; %bb.2818:
	s_wait_xcnt 0x0
	v_cndmask_b32_e64 v1, 0, 1, s1
	s_mov_b32 s11, 0
	global_store_b32 v[4:5], v1, off
.LBB199_2819:
	s_and_not1_b32 vcc_lo, exec_lo, s11
	s_cbranch_vccnz .LBB199_2821
; %bb.2820:
	s_wait_xcnt 0x0
	v_cndmask_b32_e64 v1, 0, 1, s1
	global_store_b16 v[4:5], v1, off
.LBB199_2821:
	s_mov_b32 s11, 0
.LBB199_2822:
	s_delay_alu instid0(SALU_CYCLE_1)
	s_and_not1_b32 vcc_lo, exec_lo, s11
	s_cbranch_vccnz .LBB199_2830
; %bb.2823:
	s_wait_xcnt 0x0
	v_cndmask_b32_e64 v3, 0, 1.0, s1
	v_mov_b32_e32 v6, 0x80
	s_mov_b32 s11, exec_lo
	s_delay_alu instid0(VALU_DEP_2)
	v_cmpx_gt_u32_e32 0x43800000, v3
	s_cbranch_execz .LBB199_2829
; %bb.2824:
	s_mov_b32 s12, 0
	s_mov_b32 s13, exec_lo
                                        ; implicit-def: $vgpr1
	v_cmpx_lt_u32_e32 0x3bffffff, v3
	s_xor_b32 s13, exec_lo, s13
	s_cbranch_execz .LBB199_3164
; %bb.2825:
	v_bfe_u32 v1, v3, 20, 1
	s_mov_b32 s12, exec_lo
	s_delay_alu instid0(VALU_DEP_1) | instskip(NEXT) | instid1(VALU_DEP_1)
	v_add3_u32 v1, v3, v1, 0x487ffff
                                        ; implicit-def: $vgpr3
	v_lshrrev_b32_e32 v1, 20, v1
	s_and_not1_saveexec_b32 s13, s13
	s_cbranch_execnz .LBB199_3165
.LBB199_2826:
	s_or_b32 exec_lo, exec_lo, s13
	v_mov_b32_e32 v6, 0
	s_and_saveexec_b32 s13, s12
.LBB199_2827:
	v_mov_b32_e32 v6, v1
.LBB199_2828:
	s_or_b32 exec_lo, exec_lo, s13
.LBB199_2829:
	s_delay_alu instid0(SALU_CYCLE_1)
	s_or_b32 exec_lo, exec_lo, s11
	global_store_b8 v[4:5], v6, off
.LBB199_2830:
	s_mov_b32 s11, -1
.LBB199_2831:
	s_mov_b32 s12, 0
.LBB199_2832:
	s_delay_alu instid0(SALU_CYCLE_1)
	s_and_b32 vcc_lo, exec_lo, s12
	s_cbranch_vccz .LBB199_2872
; %bb.2833:
	s_cmp_gt_i32 s7, 22
	s_mov_b32 s10, -1
	s_cbranch_scc0 .LBB199_2865
; %bb.2834:
	s_cmp_lt_i32 s7, 24
	s_cbranch_scc1 .LBB199_2854
; %bb.2835:
	s_cmp_gt_i32 s7, 24
	s_cbranch_scc0 .LBB199_2843
; %bb.2836:
	s_wait_xcnt 0x0
	v_cndmask_b32_e64 v3, 0, 1.0, s1
	v_mov_b32_e32 v6, 0x80
	s_mov_b32 s10, exec_lo
	s_delay_alu instid0(VALU_DEP_2)
	v_cmpx_gt_u32_e32 0x47800000, v3
	s_cbranch_execz .LBB199_2842
; %bb.2837:
	s_mov_b32 s11, 0
	s_mov_b32 s12, exec_lo
                                        ; implicit-def: $vgpr1
	v_cmpx_lt_u32_e32 0x37ffffff, v3
	s_xor_b32 s12, exec_lo, s12
	s_cbranch_execz .LBB199_3167
; %bb.2838:
	v_bfe_u32 v1, v3, 21, 1
	s_mov_b32 s11, exec_lo
	s_delay_alu instid0(VALU_DEP_1) | instskip(NEXT) | instid1(VALU_DEP_1)
	v_add3_u32 v1, v3, v1, 0x88fffff
                                        ; implicit-def: $vgpr3
	v_lshrrev_b32_e32 v1, 21, v1
	s_and_not1_saveexec_b32 s12, s12
	s_cbranch_execnz .LBB199_3168
.LBB199_2839:
	s_or_b32 exec_lo, exec_lo, s12
	v_mov_b32_e32 v6, 0
	s_and_saveexec_b32 s12, s11
.LBB199_2840:
	v_mov_b32_e32 v6, v1
.LBB199_2841:
	s_or_b32 exec_lo, exec_lo, s12
.LBB199_2842:
	s_delay_alu instid0(SALU_CYCLE_1)
	s_or_b32 exec_lo, exec_lo, s10
	s_mov_b32 s10, 0
	global_store_b8 v[4:5], v6, off
.LBB199_2843:
	s_and_b32 vcc_lo, exec_lo, s10
	s_cbranch_vccz .LBB199_2853
; %bb.2844:
	s_wait_xcnt 0x0
	v_cndmask_b32_e64 v3, 0, 1.0, s1
	s_mov_b32 s10, exec_lo
                                        ; implicit-def: $vgpr1
	s_delay_alu instid0(VALU_DEP_1)
	v_cmpx_gt_u32_e32 0x43f00000, v3
	s_xor_b32 s10, exec_lo, s10
	s_cbranch_execz .LBB199_2850
; %bb.2845:
	s_mov_b32 s11, exec_lo
                                        ; implicit-def: $vgpr1
	v_cmpx_lt_u32_e32 0x3c7fffff, v3
	s_xor_b32 s11, exec_lo, s11
; %bb.2846:
	v_bfe_u32 v1, v3, 20, 1
	s_delay_alu instid0(VALU_DEP_1) | instskip(NEXT) | instid1(VALU_DEP_1)
	v_add3_u32 v1, v3, v1, 0x407ffff
	v_and_b32_e32 v3, 0xff00000, v1
	v_lshrrev_b32_e32 v1, 20, v1
	s_delay_alu instid0(VALU_DEP_2) | instskip(NEXT) | instid1(VALU_DEP_2)
	v_cmp_ne_u32_e32 vcc_lo, 0x7f00000, v3
                                        ; implicit-def: $vgpr3
	v_cndmask_b32_e32 v1, 0x7e, v1, vcc_lo
; %bb.2847:
	s_and_not1_saveexec_b32 s11, s11
; %bb.2848:
	v_add_f32_e32 v1, 0x46800000, v3
; %bb.2849:
	s_or_b32 exec_lo, exec_lo, s11
                                        ; implicit-def: $vgpr3
.LBB199_2850:
	s_and_not1_saveexec_b32 s10, s10
; %bb.2851:
	v_mov_b32_e32 v1, 0x7f
	v_cmp_lt_u32_e32 vcc_lo, 0x7f800000, v3
	s_delay_alu instid0(VALU_DEP_2)
	v_cndmask_b32_e32 v1, 0x7e, v1, vcc_lo
; %bb.2852:
	s_or_b32 exec_lo, exec_lo, s10
	global_store_b8 v[4:5], v1, off
.LBB199_2853:
	s_mov_b32 s10, 0
.LBB199_2854:
	s_delay_alu instid0(SALU_CYCLE_1)
	s_and_not1_b32 vcc_lo, exec_lo, s10
	s_cbranch_vccnz .LBB199_2864
; %bb.2855:
	s_wait_xcnt 0x0
	v_cndmask_b32_e64 v3, 0, 1.0, s1
	s_mov_b32 s10, exec_lo
                                        ; implicit-def: $vgpr1
	s_delay_alu instid0(VALU_DEP_1)
	v_cmpx_gt_u32_e32 0x47800000, v3
	s_xor_b32 s10, exec_lo, s10
	s_cbranch_execz .LBB199_2861
; %bb.2856:
	s_mov_b32 s11, exec_lo
                                        ; implicit-def: $vgpr1
	v_cmpx_lt_u32_e32 0x387fffff, v3
	s_xor_b32 s11, exec_lo, s11
; %bb.2857:
	v_bfe_u32 v1, v3, 21, 1
	s_delay_alu instid0(VALU_DEP_1) | instskip(NEXT) | instid1(VALU_DEP_1)
	v_add3_u32 v1, v3, v1, 0x80fffff
                                        ; implicit-def: $vgpr3
	v_lshrrev_b32_e32 v1, 21, v1
; %bb.2858:
	s_and_not1_saveexec_b32 s11, s11
; %bb.2859:
	v_add_f32_e32 v1, 0x43000000, v3
; %bb.2860:
	s_or_b32 exec_lo, exec_lo, s11
                                        ; implicit-def: $vgpr3
.LBB199_2861:
	s_and_not1_saveexec_b32 s10, s10
; %bb.2862:
	v_mov_b32_e32 v1, 0x7f
	v_cmp_lt_u32_e32 vcc_lo, 0x7f800000, v3
	s_delay_alu instid0(VALU_DEP_2)
	v_cndmask_b32_e32 v1, 0x7c, v1, vcc_lo
; %bb.2863:
	s_or_b32 exec_lo, exec_lo, s10
	global_store_b8 v[4:5], v1, off
.LBB199_2864:
	s_mov_b32 s10, 0
	s_mov_b32 s11, -1
.LBB199_2865:
	s_and_not1_b32 vcc_lo, exec_lo, s10
	s_mov_b32 s10, 0
	s_cbranch_vccnz .LBB199_2872
; %bb.2866:
	s_cmp_gt_i32 s7, 14
	s_mov_b32 s10, -1
	s_cbranch_scc0 .LBB199_2870
; %bb.2867:
	s_cmp_eq_u32 s7, 15
	s_mov_b32 s2, -1
	s_cbranch_scc0 .LBB199_2869
; %bb.2868:
	s_wait_xcnt 0x0
	v_cndmask_b32_e64 v1, 0, 1.0, s1
	s_mov_b32 s2, 0
	s_mov_b32 s11, -1
	s_delay_alu instid0(VALU_DEP_1) | instskip(NEXT) | instid1(VALU_DEP_1)
	v_bfe_u32 v3, v1, 16, 1
	v_add3_u32 v1, v1, v3, 0x7fff
	global_store_d16_hi_b16 v[4:5], v1, off
.LBB199_2869:
	s_mov_b32 s10, 0
.LBB199_2870:
	s_delay_alu instid0(SALU_CYCLE_1)
	s_and_b32 vcc_lo, exec_lo, s10
	s_mov_b32 s10, 0
	s_cbranch_vccz .LBB199_2872
; %bb.2871:
	s_cmp_lg_u32 s7, 11
	s_mov_b32 s10, -1
	s_cselect_b32 s2, -1, 0
.LBB199_2872:
	s_delay_alu instid0(SALU_CYCLE_1)
	s_and_b32 vcc_lo, exec_lo, s2
	s_cbranch_vccnz .LBB199_3166
; %bb.2873:
	s_and_not1_b32 vcc_lo, exec_lo, s10
	s_cbranch_vccnz .LBB199_2875
.LBB199_2874:
	s_wait_xcnt 0x0
	v_cndmask_b32_e64 v1, 0, 1, s1
	s_mov_b32 s11, -1
	global_store_b8 v[4:5], v1, off
.LBB199_2875:
	s_mov_b32 s2, 0
	s_branch .LBB199_2877
.LBB199_2876:
	s_mov_b32 s2, -1
	s_mov_b32 s11, 0
.LBB199_2877:
	s_and_b32 vcc_lo, exec_lo, s2
	s_cbranch_vccz .LBB199_2916
; %bb.2878:
	s_cmp_lt_i32 s7, 5
	s_mov_b32 s2, -1
	s_cbranch_scc1 .LBB199_2899
; %bb.2879:
	s_cmp_lt_i32 s7, 8
	s_cbranch_scc1 .LBB199_2889
; %bb.2880:
	s_cmp_lt_i32 s7, 9
	s_cbranch_scc1 .LBB199_2886
; %bb.2881:
	s_cmp_gt_i32 s7, 9
	s_cbranch_scc0 .LBB199_2883
; %bb.2882:
	s_wait_xcnt 0x0
	v_cndmask_b32_e64 v1, 0, 1, s1
	v_mov_b32_e32 v8, 0
	s_mov_b32 s2, 0
	s_delay_alu instid0(VALU_DEP_2) | instskip(NEXT) | instid1(VALU_DEP_2)
	v_cvt_f64_u32_e32 v[6:7], v1
	v_mov_b32_e32 v9, v8
	global_store_b128 v[4:5], v[6:9], off
.LBB199_2883:
	s_and_not1_b32 vcc_lo, exec_lo, s2
	s_cbranch_vccnz .LBB199_2885
; %bb.2884:
	s_wait_xcnt 0x0
	v_cndmask_b32_e64 v6, 0, 1.0, s1
	v_mov_b32_e32 v7, 0
	global_store_b64 v[4:5], v[6:7], off
.LBB199_2885:
	s_mov_b32 s2, 0
.LBB199_2886:
	s_delay_alu instid0(SALU_CYCLE_1)
	s_and_not1_b32 vcc_lo, exec_lo, s2
	s_cbranch_vccnz .LBB199_2888
; %bb.2887:
	s_wait_xcnt 0x0
	v_cndmask_b32_e64 v1, 0, 1.0, s1
	s_delay_alu instid0(VALU_DEP_1) | instskip(NEXT) | instid1(VALU_DEP_1)
	v_cvt_f16_f32_e32 v1, v1
	v_and_b32_e32 v1, 0xffff, v1
	global_store_b32 v[4:5], v1, off
.LBB199_2888:
	s_mov_b32 s2, 0
.LBB199_2889:
	s_delay_alu instid0(SALU_CYCLE_1)
	s_and_not1_b32 vcc_lo, exec_lo, s2
	s_cbranch_vccnz .LBB199_2898
; %bb.2890:
	s_cmp_lt_i32 s7, 6
	s_mov_b32 s2, -1
	s_cbranch_scc1 .LBB199_2896
; %bb.2891:
	s_cmp_gt_i32 s7, 6
	s_cbranch_scc0 .LBB199_2893
; %bb.2892:
	s_wait_xcnt 0x0
	v_cndmask_b32_e64 v1, 0, 1, s1
	s_mov_b32 s2, 0
	s_delay_alu instid0(VALU_DEP_1)
	v_cvt_f64_u32_e32 v[6:7], v1
	global_store_b64 v[4:5], v[6:7], off
.LBB199_2893:
	s_and_not1_b32 vcc_lo, exec_lo, s2
	s_cbranch_vccnz .LBB199_2895
; %bb.2894:
	s_wait_xcnt 0x0
	v_cndmask_b32_e64 v1, 0, 1.0, s1
	global_store_b32 v[4:5], v1, off
.LBB199_2895:
	s_mov_b32 s2, 0
.LBB199_2896:
	s_delay_alu instid0(SALU_CYCLE_1)
	s_and_not1_b32 vcc_lo, exec_lo, s2
	s_cbranch_vccnz .LBB199_2898
; %bb.2897:
	s_wait_xcnt 0x0
	v_cndmask_b32_e64 v1, 0, 1.0, s1
	s_delay_alu instid0(VALU_DEP_1)
	v_cvt_f16_f32_e32 v1, v1
	global_store_b16 v[4:5], v1, off
.LBB199_2898:
	s_mov_b32 s2, 0
.LBB199_2899:
	s_delay_alu instid0(SALU_CYCLE_1)
	s_and_not1_b32 vcc_lo, exec_lo, s2
	s_cbranch_vccnz .LBB199_2915
; %bb.2900:
	s_cmp_lt_i32 s7, 2
	s_mov_b32 s2, -1
	s_cbranch_scc1 .LBB199_2910
; %bb.2901:
	s_cmp_lt_i32 s7, 3
	s_cbranch_scc1 .LBB199_2907
; %bb.2902:
	s_cmp_gt_i32 s7, 3
	s_cbranch_scc0 .LBB199_2904
; %bb.2903:
	s_mov_b32 s2, 0
	s_wait_xcnt 0x0
	v_cndmask_b32_e64 v6, 0, 1, s1
	v_mov_b32_e32 v7, s2
	global_store_b64 v[4:5], v[6:7], off
.LBB199_2904:
	s_and_not1_b32 vcc_lo, exec_lo, s2
	s_cbranch_vccnz .LBB199_2906
; %bb.2905:
	s_wait_xcnt 0x0
	v_cndmask_b32_e64 v1, 0, 1, s1
	global_store_b32 v[4:5], v1, off
.LBB199_2906:
	s_mov_b32 s2, 0
.LBB199_2907:
	s_delay_alu instid0(SALU_CYCLE_1)
	s_and_not1_b32 vcc_lo, exec_lo, s2
	s_cbranch_vccnz .LBB199_2909
; %bb.2908:
	s_wait_xcnt 0x0
	v_cndmask_b32_e64 v1, 0, 1, s1
	global_store_b16 v[4:5], v1, off
.LBB199_2909:
	s_mov_b32 s2, 0
.LBB199_2910:
	s_delay_alu instid0(SALU_CYCLE_1)
	s_and_not1_b32 vcc_lo, exec_lo, s2
	s_cbranch_vccnz .LBB199_2915
; %bb.2911:
	s_wait_xcnt 0x0
	v_cndmask_b32_e64 v1, 0, 1, s1
	s_cmp_gt_i32 s7, 0
	s_mov_b32 s1, -1
	s_cbranch_scc0 .LBB199_2913
; %bb.2912:
	s_mov_b32 s1, 0
	global_store_b8 v[4:5], v1, off
.LBB199_2913:
	s_and_not1_b32 vcc_lo, exec_lo, s1
	s_cbranch_vccnz .LBB199_2915
; %bb.2914:
	global_store_b8 v[4:5], v1, off
.LBB199_2915:
	s_mov_b32 s11, -1
.LBB199_2916:
	s_delay_alu instid0(SALU_CYCLE_1)
	s_and_not1_b32 vcc_lo, exec_lo, s11
	s_cbranch_vccnz .LBB199_3112
; %bb.2917:
	s_wait_xcnt 0x0
	v_dual_lshlrev_b32 v1, 16, v14 :: v_dual_lshlrev_b32 v3, 16, v16
	s_cmp_lt_i32 s7, 11
	s_delay_alu instid0(VALU_DEP_1) | instskip(SKIP_4) | instid1(VALU_DEP_2)
	v_cmp_eq_f32_e32 vcc_lo, v3, v1
	v_cndmask_b32_e64 v4, 0, 1, vcc_lo
	v_cmp_neq_f32_e32 vcc_lo, v3, v1
	v_mov_b32_e32 v3, 0
	v_cndmask_b32_e64 v1, 0, 1, vcc_lo
	v_add_nc_u64_e32 v[2:3], s[4:5], v[2:3]
	s_delay_alu instid0(VALU_DEP_2) | instskip(NEXT) | instid1(VALU_DEP_1)
	v_cndmask_b32_e64 v1, v1, v4, s0
	v_and_b32_e32 v1, 1, v1
	s_delay_alu instid0(VALU_DEP_1)
	v_cmp_eq_u32_e64 s1, 1, v1
	s_cbranch_scc1 .LBB199_2995
; %bb.2918:
	s_mov_b32 s12, -1
	s_mov_b32 s10, 0
	s_cmp_gt_i32 s7, 25
	s_mov_b32 s11, 0
	s_mov_b32 s2, 0
	s_cbranch_scc0 .LBB199_2951
; %bb.2919:
	s_cmp_gt_i32 s7, 28
	s_cbranch_scc0 .LBB199_2934
; %bb.2920:
	s_cmp_gt_i32 s7, 43
	;; [unrolled: 3-line block ×3, first 2 shown]
	s_cbranch_scc0 .LBB199_2924
; %bb.2922:
	s_mov_b32 s2, -1
	s_mov_b32 s12, 0
	s_cmp_eq_u32 s7, 46
	s_cbranch_scc0 .LBB199_2924
; %bb.2923:
	v_cndmask_b32_e64 v1, 0, 1.0, s1
	s_mov_b32 s2, 0
	s_mov_b32 s11, -1
	s_delay_alu instid0(VALU_DEP_1) | instskip(NEXT) | instid1(VALU_DEP_1)
	v_bfe_u32 v4, v1, 16, 1
	v_add3_u32 v1, v1, v4, 0x7fff
	s_delay_alu instid0(VALU_DEP_1)
	v_lshrrev_b32_e32 v1, 16, v1
	global_store_b32 v[2:3], v1, off
.LBB199_2924:
	s_and_b32 vcc_lo, exec_lo, s12
	s_cbranch_vccz .LBB199_2929
; %bb.2925:
	s_cmp_eq_u32 s7, 44
	s_mov_b32 s2, -1
	s_cbranch_scc0 .LBB199_2929
; %bb.2926:
	v_cndmask_b32_e64 v5, 0, 1.0, s1
	s_mov_b32 s11, exec_lo
	s_wait_xcnt 0x0
	s_delay_alu instid0(VALU_DEP_1) | instskip(NEXT) | instid1(VALU_DEP_1)
	v_dual_mov_b32 v4, 0xff :: v_dual_lshrrev_b32 v1, 23, v5
	v_cmpx_ne_u32_e32 0xff, v1
; %bb.2927:
	v_and_b32_e32 v4, 0x400000, v5
	v_and_or_b32 v5, 0x3fffff, v5, v1
	s_delay_alu instid0(VALU_DEP_2) | instskip(NEXT) | instid1(VALU_DEP_2)
	v_cmp_ne_u32_e32 vcc_lo, 0, v4
	v_cmp_ne_u32_e64 s2, 0, v5
	s_and_b32 s2, vcc_lo, s2
	s_delay_alu instid0(SALU_CYCLE_1) | instskip(NEXT) | instid1(VALU_DEP_1)
	v_cndmask_b32_e64 v4, 0, 1, s2
	v_add_nc_u32_e32 v4, v1, v4
; %bb.2928:
	s_or_b32 exec_lo, exec_lo, s11
	s_mov_b32 s2, 0
	s_mov_b32 s11, -1
	global_store_b8 v[2:3], v4, off
.LBB199_2929:
	s_mov_b32 s12, 0
.LBB199_2930:
	s_delay_alu instid0(SALU_CYCLE_1)
	s_and_b32 vcc_lo, exec_lo, s12
	s_cbranch_vccz .LBB199_2933
; %bb.2931:
	s_cmp_eq_u32 s7, 29
	s_mov_b32 s2, -1
	s_cbranch_scc0 .LBB199_2933
; %bb.2932:
	s_mov_b32 s2, 0
	s_wait_xcnt 0x0
	v_cndmask_b32_e64 v4, 0, 1, s1
	v_mov_b32_e32 v5, s2
	s_mov_b32 s11, -1
	global_store_b64 v[2:3], v[4:5], off
.LBB199_2933:
	s_mov_b32 s12, 0
.LBB199_2934:
	s_delay_alu instid0(SALU_CYCLE_1)
	s_and_b32 vcc_lo, exec_lo, s12
	s_cbranch_vccz .LBB199_2950
; %bb.2935:
	s_cmp_lt_i32 s7, 27
	s_mov_b32 s11, -1
	s_cbranch_scc1 .LBB199_2941
; %bb.2936:
	s_cmp_gt_i32 s7, 27
	s_cbranch_scc0 .LBB199_2938
; %bb.2937:
	s_wait_xcnt 0x0
	v_cndmask_b32_e64 v1, 0, 1, s1
	s_mov_b32 s11, 0
	global_store_b32 v[2:3], v1, off
.LBB199_2938:
	s_and_not1_b32 vcc_lo, exec_lo, s11
	s_cbranch_vccnz .LBB199_2940
; %bb.2939:
	s_wait_xcnt 0x0
	v_cndmask_b32_e64 v1, 0, 1, s1
	global_store_b16 v[2:3], v1, off
.LBB199_2940:
	s_mov_b32 s11, 0
.LBB199_2941:
	s_delay_alu instid0(SALU_CYCLE_1)
	s_and_not1_b32 vcc_lo, exec_lo, s11
	s_cbranch_vccnz .LBB199_2949
; %bb.2942:
	s_wait_xcnt 0x0
	v_cndmask_b32_e64 v4, 0, 1.0, s1
	v_mov_b32_e32 v5, 0x80
	s_mov_b32 s11, exec_lo
	s_delay_alu instid0(VALU_DEP_2)
	v_cmpx_gt_u32_e32 0x43800000, v4
	s_cbranch_execz .LBB199_2948
; %bb.2943:
	s_mov_b32 s12, 0
	s_mov_b32 s13, exec_lo
                                        ; implicit-def: $vgpr1
	v_cmpx_lt_u32_e32 0x3bffffff, v4
	s_xor_b32 s13, exec_lo, s13
	s_cbranch_execz .LBB199_3169
; %bb.2944:
	v_bfe_u32 v1, v4, 20, 1
	s_mov_b32 s12, exec_lo
	s_delay_alu instid0(VALU_DEP_1) | instskip(NEXT) | instid1(VALU_DEP_1)
	v_add3_u32 v1, v4, v1, 0x487ffff
                                        ; implicit-def: $vgpr4
	v_lshrrev_b32_e32 v1, 20, v1
	s_and_not1_saveexec_b32 s13, s13
	s_cbranch_execnz .LBB199_3170
.LBB199_2945:
	s_or_b32 exec_lo, exec_lo, s13
	v_mov_b32_e32 v5, 0
	s_and_saveexec_b32 s13, s12
.LBB199_2946:
	v_mov_b32_e32 v5, v1
.LBB199_2947:
	s_or_b32 exec_lo, exec_lo, s13
.LBB199_2948:
	s_delay_alu instid0(SALU_CYCLE_1)
	s_or_b32 exec_lo, exec_lo, s11
	global_store_b8 v[2:3], v5, off
.LBB199_2949:
	s_mov_b32 s11, -1
.LBB199_2950:
	s_mov_b32 s12, 0
.LBB199_2951:
	s_delay_alu instid0(SALU_CYCLE_1)
	s_and_b32 vcc_lo, exec_lo, s12
	s_cbranch_vccz .LBB199_2991
; %bb.2952:
	s_cmp_gt_i32 s7, 22
	s_mov_b32 s10, -1
	s_cbranch_scc0 .LBB199_2984
; %bb.2953:
	s_cmp_lt_i32 s7, 24
	s_cbranch_scc1 .LBB199_2973
; %bb.2954:
	s_cmp_gt_i32 s7, 24
	s_cbranch_scc0 .LBB199_2962
; %bb.2955:
	s_wait_xcnt 0x0
	v_cndmask_b32_e64 v4, 0, 1.0, s1
	v_mov_b32_e32 v5, 0x80
	s_mov_b32 s10, exec_lo
	s_delay_alu instid0(VALU_DEP_2)
	v_cmpx_gt_u32_e32 0x47800000, v4
	s_cbranch_execz .LBB199_2961
; %bb.2956:
	s_mov_b32 s11, 0
	s_mov_b32 s12, exec_lo
                                        ; implicit-def: $vgpr1
	v_cmpx_lt_u32_e32 0x37ffffff, v4
	s_xor_b32 s12, exec_lo, s12
	s_cbranch_execz .LBB199_3172
; %bb.2957:
	v_bfe_u32 v1, v4, 21, 1
	s_mov_b32 s11, exec_lo
	s_delay_alu instid0(VALU_DEP_1) | instskip(NEXT) | instid1(VALU_DEP_1)
	v_add3_u32 v1, v4, v1, 0x88fffff
                                        ; implicit-def: $vgpr4
	v_lshrrev_b32_e32 v1, 21, v1
	s_and_not1_saveexec_b32 s12, s12
	s_cbranch_execnz .LBB199_3173
.LBB199_2958:
	s_or_b32 exec_lo, exec_lo, s12
	v_mov_b32_e32 v5, 0
	s_and_saveexec_b32 s12, s11
.LBB199_2959:
	v_mov_b32_e32 v5, v1
.LBB199_2960:
	s_or_b32 exec_lo, exec_lo, s12
.LBB199_2961:
	s_delay_alu instid0(SALU_CYCLE_1)
	s_or_b32 exec_lo, exec_lo, s10
	s_mov_b32 s10, 0
	global_store_b8 v[2:3], v5, off
.LBB199_2962:
	s_and_b32 vcc_lo, exec_lo, s10
	s_cbranch_vccz .LBB199_2972
; %bb.2963:
	s_wait_xcnt 0x0
	v_cndmask_b32_e64 v4, 0, 1.0, s1
	s_mov_b32 s10, exec_lo
                                        ; implicit-def: $vgpr1
	s_delay_alu instid0(VALU_DEP_1)
	v_cmpx_gt_u32_e32 0x43f00000, v4
	s_xor_b32 s10, exec_lo, s10
	s_cbranch_execz .LBB199_2969
; %bb.2964:
	s_mov_b32 s11, exec_lo
                                        ; implicit-def: $vgpr1
	v_cmpx_lt_u32_e32 0x3c7fffff, v4
	s_xor_b32 s11, exec_lo, s11
; %bb.2965:
	v_bfe_u32 v1, v4, 20, 1
	s_delay_alu instid0(VALU_DEP_1) | instskip(NEXT) | instid1(VALU_DEP_1)
	v_add3_u32 v1, v4, v1, 0x407ffff
	v_and_b32_e32 v4, 0xff00000, v1
	v_lshrrev_b32_e32 v1, 20, v1
	s_delay_alu instid0(VALU_DEP_2) | instskip(NEXT) | instid1(VALU_DEP_2)
	v_cmp_ne_u32_e32 vcc_lo, 0x7f00000, v4
                                        ; implicit-def: $vgpr4
	v_cndmask_b32_e32 v1, 0x7e, v1, vcc_lo
; %bb.2966:
	s_and_not1_saveexec_b32 s11, s11
; %bb.2967:
	v_add_f32_e32 v1, 0x46800000, v4
; %bb.2968:
	s_or_b32 exec_lo, exec_lo, s11
                                        ; implicit-def: $vgpr4
.LBB199_2969:
	s_and_not1_saveexec_b32 s10, s10
; %bb.2970:
	v_mov_b32_e32 v1, 0x7f
	v_cmp_lt_u32_e32 vcc_lo, 0x7f800000, v4
	s_delay_alu instid0(VALU_DEP_2)
	v_cndmask_b32_e32 v1, 0x7e, v1, vcc_lo
; %bb.2971:
	s_or_b32 exec_lo, exec_lo, s10
	global_store_b8 v[2:3], v1, off
.LBB199_2972:
	s_mov_b32 s10, 0
.LBB199_2973:
	s_delay_alu instid0(SALU_CYCLE_1)
	s_and_not1_b32 vcc_lo, exec_lo, s10
	s_cbranch_vccnz .LBB199_2983
; %bb.2974:
	s_wait_xcnt 0x0
	v_cndmask_b32_e64 v4, 0, 1.0, s1
	s_mov_b32 s10, exec_lo
                                        ; implicit-def: $vgpr1
	s_delay_alu instid0(VALU_DEP_1)
	v_cmpx_gt_u32_e32 0x47800000, v4
	s_xor_b32 s10, exec_lo, s10
	s_cbranch_execz .LBB199_2980
; %bb.2975:
	s_mov_b32 s11, exec_lo
                                        ; implicit-def: $vgpr1
	v_cmpx_lt_u32_e32 0x387fffff, v4
	s_xor_b32 s11, exec_lo, s11
; %bb.2976:
	v_bfe_u32 v1, v4, 21, 1
	s_delay_alu instid0(VALU_DEP_1) | instskip(NEXT) | instid1(VALU_DEP_1)
	v_add3_u32 v1, v4, v1, 0x80fffff
                                        ; implicit-def: $vgpr4
	v_lshrrev_b32_e32 v1, 21, v1
; %bb.2977:
	s_and_not1_saveexec_b32 s11, s11
; %bb.2978:
	v_add_f32_e32 v1, 0x43000000, v4
; %bb.2979:
	s_or_b32 exec_lo, exec_lo, s11
                                        ; implicit-def: $vgpr4
.LBB199_2980:
	s_and_not1_saveexec_b32 s10, s10
; %bb.2981:
	v_mov_b32_e32 v1, 0x7f
	v_cmp_lt_u32_e32 vcc_lo, 0x7f800000, v4
	s_delay_alu instid0(VALU_DEP_2)
	v_cndmask_b32_e32 v1, 0x7c, v1, vcc_lo
; %bb.2982:
	s_or_b32 exec_lo, exec_lo, s10
	global_store_b8 v[2:3], v1, off
.LBB199_2983:
	s_mov_b32 s10, 0
	s_mov_b32 s11, -1
.LBB199_2984:
	s_and_not1_b32 vcc_lo, exec_lo, s10
	s_mov_b32 s10, 0
	s_cbranch_vccnz .LBB199_2991
; %bb.2985:
	s_cmp_gt_i32 s7, 14
	s_mov_b32 s10, -1
	s_cbranch_scc0 .LBB199_2989
; %bb.2986:
	s_cmp_eq_u32 s7, 15
	s_mov_b32 s2, -1
	s_cbranch_scc0 .LBB199_2988
; %bb.2987:
	s_wait_xcnt 0x0
	v_cndmask_b32_e64 v1, 0, 1.0, s1
	s_mov_b32 s2, 0
	s_mov_b32 s11, -1
	s_delay_alu instid0(VALU_DEP_1) | instskip(NEXT) | instid1(VALU_DEP_1)
	v_bfe_u32 v4, v1, 16, 1
	v_add3_u32 v1, v1, v4, 0x7fff
	global_store_d16_hi_b16 v[2:3], v1, off
.LBB199_2988:
	s_mov_b32 s10, 0
.LBB199_2989:
	s_delay_alu instid0(SALU_CYCLE_1)
	s_and_b32 vcc_lo, exec_lo, s10
	s_mov_b32 s10, 0
	s_cbranch_vccz .LBB199_2991
; %bb.2990:
	s_cmp_lg_u32 s7, 11
	s_mov_b32 s10, -1
	s_cselect_b32 s2, -1, 0
.LBB199_2991:
	s_delay_alu instid0(SALU_CYCLE_1)
	s_and_b32 vcc_lo, exec_lo, s2
	s_cbranch_vccnz .LBB199_3171
; %bb.2992:
	s_and_not1_b32 vcc_lo, exec_lo, s10
	s_cbranch_vccnz .LBB199_2994
.LBB199_2993:
	s_wait_xcnt 0x0
	v_cndmask_b32_e64 v1, 0, 1, s1
	s_mov_b32 s11, -1
	global_store_b8 v[2:3], v1, off
.LBB199_2994:
	s_mov_b32 s2, 0
	s_branch .LBB199_2996
.LBB199_2995:
	s_mov_b32 s2, -1
	s_mov_b32 s11, 0
.LBB199_2996:
	s_and_b32 vcc_lo, exec_lo, s2
	s_cbranch_vccz .LBB199_3035
; %bb.2997:
	s_cmp_lt_i32 s7, 5
	s_mov_b32 s2, -1
	s_cbranch_scc1 .LBB199_3018
; %bb.2998:
	s_cmp_lt_i32 s7, 8
	s_cbranch_scc1 .LBB199_3008
; %bb.2999:
	s_cmp_lt_i32 s7, 9
	s_cbranch_scc1 .LBB199_3005
; %bb.3000:
	s_cmp_gt_i32 s7, 9
	s_cbranch_scc0 .LBB199_3002
; %bb.3001:
	s_wait_xcnt 0x0
	v_cndmask_b32_e64 v1, 0, 1, s1
	v_mov_b32_e32 v6, 0
	s_mov_b32 s2, 0
	s_delay_alu instid0(VALU_DEP_2) | instskip(NEXT) | instid1(VALU_DEP_2)
	v_cvt_f64_u32_e32 v[4:5], v1
	v_mov_b32_e32 v7, v6
	global_store_b128 v[2:3], v[4:7], off
.LBB199_3002:
	s_and_not1_b32 vcc_lo, exec_lo, s2
	s_cbranch_vccnz .LBB199_3004
; %bb.3003:
	s_wait_xcnt 0x0
	v_cndmask_b32_e64 v4, 0, 1.0, s1
	v_mov_b32_e32 v5, 0
	global_store_b64 v[2:3], v[4:5], off
.LBB199_3004:
	s_mov_b32 s2, 0
.LBB199_3005:
	s_delay_alu instid0(SALU_CYCLE_1)
	s_and_not1_b32 vcc_lo, exec_lo, s2
	s_cbranch_vccnz .LBB199_3007
; %bb.3006:
	s_wait_xcnt 0x0
	v_cndmask_b32_e64 v1, 0, 1.0, s1
	s_delay_alu instid0(VALU_DEP_1) | instskip(NEXT) | instid1(VALU_DEP_1)
	v_cvt_f16_f32_e32 v1, v1
	v_and_b32_e32 v1, 0xffff, v1
	global_store_b32 v[2:3], v1, off
.LBB199_3007:
	s_mov_b32 s2, 0
.LBB199_3008:
	s_delay_alu instid0(SALU_CYCLE_1)
	s_and_not1_b32 vcc_lo, exec_lo, s2
	s_cbranch_vccnz .LBB199_3017
; %bb.3009:
	s_cmp_lt_i32 s7, 6
	s_mov_b32 s2, -1
	s_cbranch_scc1 .LBB199_3015
; %bb.3010:
	s_cmp_gt_i32 s7, 6
	s_cbranch_scc0 .LBB199_3012
; %bb.3011:
	s_wait_xcnt 0x0
	v_cndmask_b32_e64 v1, 0, 1, s1
	s_mov_b32 s2, 0
	s_delay_alu instid0(VALU_DEP_1)
	v_cvt_f64_u32_e32 v[4:5], v1
	global_store_b64 v[2:3], v[4:5], off
.LBB199_3012:
	s_and_not1_b32 vcc_lo, exec_lo, s2
	s_cbranch_vccnz .LBB199_3014
; %bb.3013:
	s_wait_xcnt 0x0
	v_cndmask_b32_e64 v1, 0, 1.0, s1
	global_store_b32 v[2:3], v1, off
.LBB199_3014:
	s_mov_b32 s2, 0
.LBB199_3015:
	s_delay_alu instid0(SALU_CYCLE_1)
	s_and_not1_b32 vcc_lo, exec_lo, s2
	s_cbranch_vccnz .LBB199_3017
; %bb.3016:
	s_wait_xcnt 0x0
	v_cndmask_b32_e64 v1, 0, 1.0, s1
	s_delay_alu instid0(VALU_DEP_1)
	v_cvt_f16_f32_e32 v1, v1
	global_store_b16 v[2:3], v1, off
.LBB199_3017:
	s_mov_b32 s2, 0
.LBB199_3018:
	s_delay_alu instid0(SALU_CYCLE_1)
	s_and_not1_b32 vcc_lo, exec_lo, s2
	s_cbranch_vccnz .LBB199_3034
; %bb.3019:
	s_cmp_lt_i32 s7, 2
	s_mov_b32 s2, -1
	s_cbranch_scc1 .LBB199_3029
; %bb.3020:
	s_cmp_lt_i32 s7, 3
	s_cbranch_scc1 .LBB199_3026
; %bb.3021:
	s_cmp_gt_i32 s7, 3
	s_cbranch_scc0 .LBB199_3023
; %bb.3022:
	s_mov_b32 s2, 0
	s_wait_xcnt 0x0
	v_cndmask_b32_e64 v4, 0, 1, s1
	v_mov_b32_e32 v5, s2
	global_store_b64 v[2:3], v[4:5], off
.LBB199_3023:
	s_and_not1_b32 vcc_lo, exec_lo, s2
	s_cbranch_vccnz .LBB199_3025
; %bb.3024:
	s_wait_xcnt 0x0
	v_cndmask_b32_e64 v1, 0, 1, s1
	global_store_b32 v[2:3], v1, off
.LBB199_3025:
	s_mov_b32 s2, 0
.LBB199_3026:
	s_delay_alu instid0(SALU_CYCLE_1)
	s_and_not1_b32 vcc_lo, exec_lo, s2
	s_cbranch_vccnz .LBB199_3028
; %bb.3027:
	s_wait_xcnt 0x0
	v_cndmask_b32_e64 v1, 0, 1, s1
	global_store_b16 v[2:3], v1, off
.LBB199_3028:
	s_mov_b32 s2, 0
.LBB199_3029:
	s_delay_alu instid0(SALU_CYCLE_1)
	s_and_not1_b32 vcc_lo, exec_lo, s2
	s_cbranch_vccnz .LBB199_3034
; %bb.3030:
	s_cmp_gt_i32 s7, 0
	s_mov_b32 s2, -1
	s_cbranch_scc0 .LBB199_3032
; %bb.3031:
	s_wait_xcnt 0x0
	v_cndmask_b32_e64 v1, 0, 1, s1
	s_mov_b32 s2, 0
	global_store_b8 v[2:3], v1, off
.LBB199_3032:
	s_and_not1_b32 vcc_lo, exec_lo, s2
	s_cbranch_vccnz .LBB199_3034
; %bb.3033:
	s_wait_xcnt 0x0
	v_cndmask_b32_e64 v1, 0, 1, s1
	global_store_b8 v[2:3], v1, off
.LBB199_3034:
	s_mov_b32 s11, -1
.LBB199_3035:
	s_delay_alu instid0(SALU_CYCLE_1)
	s_and_not1_b32 vcc_lo, exec_lo, s11
	s_cbranch_vccnz .LBB199_3112
; %bb.3036:
	s_wait_xcnt 0x0
	v_dual_lshlrev_b32 v1, 16, v10 :: v_dual_lshlrev_b32 v2, 16, v12
	s_cmp_lt_i32 s7, 11
	s_delay_alu instid0(VALU_DEP_1) | instskip(SKIP_3) | instid1(VALU_DEP_1)
	v_cmp_eq_f32_e32 vcc_lo, v2, v1
	v_cndmask_b32_e64 v3, 0, 1, vcc_lo
	v_cmp_neq_f32_e32 vcc_lo, v2, v1
	v_cndmask_b32_e64 v1, 0, 1, vcc_lo
	v_dual_cndmask_b32 v2, v1, v3, s0 :: v_dual_mov_b32 v1, 0
	s_delay_alu instid0(VALU_DEP_1) | instskip(NEXT) | instid1(VALU_DEP_2)
	v_and_b32_e32 v4, 1, v2
	v_add_nc_u64_e32 v[2:3], s[4:5], v[0:1]
	s_delay_alu instid0(VALU_DEP_2)
	v_cmp_eq_u32_e64 s1, 1, v4
	s_cbranch_scc1 .LBB199_3157
; %bb.3037:
	s_mov_b32 s4, -1
	s_mov_b32 s2, 0
	s_cmp_gt_i32 s7, 25
	s_mov_b32 s0, 0
	s_cbranch_scc0 .LBB199_3070
; %bb.3038:
	s_cmp_gt_i32 s7, 28
	s_cbranch_scc0 .LBB199_3054
; %bb.3039:
	s_cmp_gt_i32 s7, 43
	;; [unrolled: 3-line block ×3, first 2 shown]
	s_cbranch_scc0 .LBB199_3044
; %bb.3041:
	s_cmp_eq_u32 s7, 46
	s_mov_b32 s0, -1
	s_cbranch_scc0 .LBB199_3043
; %bb.3042:
	v_cndmask_b32_e64 v0, 0, 1.0, s1
	s_mov_b32 s0, 0
	s_delay_alu instid0(VALU_DEP_1) | instskip(NEXT) | instid1(VALU_DEP_1)
	v_bfe_u32 v1, v0, 16, 1
	v_add3_u32 v0, v0, v1, 0x7fff
	s_delay_alu instid0(VALU_DEP_1)
	v_lshrrev_b32_e32 v0, 16, v0
	global_store_b32 v[2:3], v0, off
.LBB199_3043:
	s_mov_b32 s4, 0
.LBB199_3044:
	s_delay_alu instid0(SALU_CYCLE_1)
	s_and_b32 vcc_lo, exec_lo, s4
	s_cbranch_vccz .LBB199_3049
; %bb.3045:
	s_cmp_eq_u32 s7, 44
	s_mov_b32 s0, -1
	s_cbranch_scc0 .LBB199_3049
; %bb.3046:
	v_cndmask_b32_e64 v4, 0, 1.0, s1
	s_mov_b32 s4, exec_lo
	s_wait_xcnt 0x0
	s_delay_alu instid0(VALU_DEP_1) | instskip(NEXT) | instid1(VALU_DEP_1)
	v_dual_mov_b32 v1, 0xff :: v_dual_lshrrev_b32 v0, 23, v4
	v_cmpx_ne_u32_e32 0xff, v0
; %bb.3047:
	v_and_b32_e32 v1, 0x400000, v4
	v_and_or_b32 v4, 0x3fffff, v4, v0
	s_delay_alu instid0(VALU_DEP_2) | instskip(NEXT) | instid1(VALU_DEP_2)
	v_cmp_ne_u32_e32 vcc_lo, 0, v1
	v_cmp_ne_u32_e64 s0, 0, v4
	s_and_b32 s0, vcc_lo, s0
	s_delay_alu instid0(SALU_CYCLE_1) | instskip(NEXT) | instid1(VALU_DEP_1)
	v_cndmask_b32_e64 v1, 0, 1, s0
	v_add_nc_u32_e32 v1, v0, v1
; %bb.3048:
	s_or_b32 exec_lo, exec_lo, s4
	s_mov_b32 s0, 0
	global_store_b8 v[2:3], v1, off
.LBB199_3049:
	s_mov_b32 s4, 0
.LBB199_3050:
	s_delay_alu instid0(SALU_CYCLE_1)
	s_and_b32 vcc_lo, exec_lo, s4
	s_cbranch_vccz .LBB199_3053
; %bb.3051:
	s_cmp_eq_u32 s7, 29
	s_mov_b32 s0, -1
	s_cbranch_scc0 .LBB199_3053
; %bb.3052:
	s_mov_b32 s0, 0
	s_wait_xcnt 0x0
	v_cndmask_b32_e64 v0, 0, 1, s1
	v_mov_b32_e32 v1, s0
	global_store_b64 v[2:3], v[0:1], off
.LBB199_3053:
	s_mov_b32 s4, 0
.LBB199_3054:
	s_delay_alu instid0(SALU_CYCLE_1)
	s_and_b32 vcc_lo, exec_lo, s4
	s_cbranch_vccz .LBB199_3069
; %bb.3055:
	s_cmp_lt_i32 s7, 27
	s_mov_b32 s4, -1
	s_cbranch_scc1 .LBB199_3061
; %bb.3056:
	s_wait_xcnt 0x0
	v_cndmask_b32_e64 v0, 0, 1, s1
	s_cmp_gt_i32 s7, 27
	s_cbranch_scc0 .LBB199_3058
; %bb.3057:
	s_mov_b32 s4, 0
	global_store_b32 v[2:3], v0, off
.LBB199_3058:
	s_and_not1_b32 vcc_lo, exec_lo, s4
	s_cbranch_vccnz .LBB199_3060
; %bb.3059:
	global_store_b16 v[2:3], v0, off
.LBB199_3060:
	s_mov_b32 s4, 0
.LBB199_3061:
	s_delay_alu instid0(SALU_CYCLE_1)
	s_and_not1_b32 vcc_lo, exec_lo, s4
	s_cbranch_vccnz .LBB199_3069
; %bb.3062:
	s_wait_xcnt 0x0
	v_cndmask_b32_e64 v1, 0, 1.0, s1
	v_mov_b32_e32 v4, 0x80
	s_mov_b32 s4, exec_lo
	s_delay_alu instid0(VALU_DEP_2)
	v_cmpx_gt_u32_e32 0x43800000, v1
	s_cbranch_execz .LBB199_3068
; %bb.3063:
	s_mov_b32 s5, 0
	s_mov_b32 s10, exec_lo
                                        ; implicit-def: $vgpr0
	v_cmpx_lt_u32_e32 0x3bffffff, v1
	s_xor_b32 s10, exec_lo, s10
	s_cbranch_execz .LBB199_3174
; %bb.3064:
	v_bfe_u32 v0, v1, 20, 1
	s_mov_b32 s5, exec_lo
	s_delay_alu instid0(VALU_DEP_1) | instskip(NEXT) | instid1(VALU_DEP_1)
	v_add3_u32 v0, v1, v0, 0x487ffff
                                        ; implicit-def: $vgpr1
	v_lshrrev_b32_e32 v0, 20, v0
	s_and_not1_saveexec_b32 s10, s10
	s_cbranch_execnz .LBB199_3175
.LBB199_3065:
	s_or_b32 exec_lo, exec_lo, s10
	v_mov_b32_e32 v4, 0
	s_and_saveexec_b32 s10, s5
.LBB199_3066:
	v_mov_b32_e32 v4, v0
.LBB199_3067:
	s_or_b32 exec_lo, exec_lo, s10
.LBB199_3068:
	s_delay_alu instid0(SALU_CYCLE_1)
	s_or_b32 exec_lo, exec_lo, s4
	global_store_b8 v[2:3], v4, off
.LBB199_3069:
	s_mov_b32 s4, 0
.LBB199_3070:
	s_delay_alu instid0(SALU_CYCLE_1)
	s_and_b32 vcc_lo, exec_lo, s4
	s_cbranch_vccz .LBB199_3110
; %bb.3071:
	s_cmp_gt_i32 s7, 22
	s_mov_b32 s2, -1
	s_cbranch_scc0 .LBB199_3103
; %bb.3072:
	s_cmp_lt_i32 s7, 24
	s_cbranch_scc1 .LBB199_3092
; %bb.3073:
	s_cmp_gt_i32 s7, 24
	s_cbranch_scc0 .LBB199_3081
; %bb.3074:
	s_wait_xcnt 0x0
	v_cndmask_b32_e64 v1, 0, 1.0, s1
	v_mov_b32_e32 v4, 0x80
	s_mov_b32 s2, exec_lo
	s_delay_alu instid0(VALU_DEP_2)
	v_cmpx_gt_u32_e32 0x47800000, v1
	s_cbranch_execz .LBB199_3080
; %bb.3075:
	s_mov_b32 s4, 0
	s_mov_b32 s5, exec_lo
                                        ; implicit-def: $vgpr0
	v_cmpx_lt_u32_e32 0x37ffffff, v1
	s_xor_b32 s5, exec_lo, s5
	s_cbranch_execz .LBB199_3177
; %bb.3076:
	v_bfe_u32 v0, v1, 21, 1
	s_mov_b32 s4, exec_lo
	s_delay_alu instid0(VALU_DEP_1) | instskip(NEXT) | instid1(VALU_DEP_1)
	v_add3_u32 v0, v1, v0, 0x88fffff
                                        ; implicit-def: $vgpr1
	v_lshrrev_b32_e32 v0, 21, v0
	s_and_not1_saveexec_b32 s5, s5
	s_cbranch_execnz .LBB199_3178
.LBB199_3077:
	s_or_b32 exec_lo, exec_lo, s5
	v_mov_b32_e32 v4, 0
	s_and_saveexec_b32 s5, s4
.LBB199_3078:
	v_mov_b32_e32 v4, v0
.LBB199_3079:
	s_or_b32 exec_lo, exec_lo, s5
.LBB199_3080:
	s_delay_alu instid0(SALU_CYCLE_1)
	s_or_b32 exec_lo, exec_lo, s2
	s_mov_b32 s2, 0
	global_store_b8 v[2:3], v4, off
.LBB199_3081:
	s_and_b32 vcc_lo, exec_lo, s2
	s_cbranch_vccz .LBB199_3091
; %bb.3082:
	s_wait_xcnt 0x0
	v_cndmask_b32_e64 v1, 0, 1.0, s1
	s_mov_b32 s2, exec_lo
                                        ; implicit-def: $vgpr0
	s_delay_alu instid0(VALU_DEP_1)
	v_cmpx_gt_u32_e32 0x43f00000, v1
	s_xor_b32 s2, exec_lo, s2
	s_cbranch_execz .LBB199_3088
; %bb.3083:
	s_mov_b32 s4, exec_lo
                                        ; implicit-def: $vgpr0
	v_cmpx_lt_u32_e32 0x3c7fffff, v1
	s_xor_b32 s4, exec_lo, s4
; %bb.3084:
	v_bfe_u32 v0, v1, 20, 1
	s_delay_alu instid0(VALU_DEP_1) | instskip(NEXT) | instid1(VALU_DEP_1)
	v_add3_u32 v0, v1, v0, 0x407ffff
	v_and_b32_e32 v1, 0xff00000, v0
	v_lshrrev_b32_e32 v0, 20, v0
	s_delay_alu instid0(VALU_DEP_2) | instskip(NEXT) | instid1(VALU_DEP_2)
	v_cmp_ne_u32_e32 vcc_lo, 0x7f00000, v1
                                        ; implicit-def: $vgpr1
	v_cndmask_b32_e32 v0, 0x7e, v0, vcc_lo
; %bb.3085:
	s_and_not1_saveexec_b32 s4, s4
; %bb.3086:
	v_add_f32_e32 v0, 0x46800000, v1
; %bb.3087:
	s_or_b32 exec_lo, exec_lo, s4
                                        ; implicit-def: $vgpr1
.LBB199_3088:
	s_and_not1_saveexec_b32 s2, s2
; %bb.3089:
	v_mov_b32_e32 v0, 0x7f
	v_cmp_lt_u32_e32 vcc_lo, 0x7f800000, v1
	s_delay_alu instid0(VALU_DEP_2)
	v_cndmask_b32_e32 v0, 0x7e, v0, vcc_lo
; %bb.3090:
	s_or_b32 exec_lo, exec_lo, s2
	global_store_b8 v[2:3], v0, off
.LBB199_3091:
	s_mov_b32 s2, 0
.LBB199_3092:
	s_delay_alu instid0(SALU_CYCLE_1)
	s_and_not1_b32 vcc_lo, exec_lo, s2
	s_cbranch_vccnz .LBB199_3102
; %bb.3093:
	s_wait_xcnt 0x0
	v_cndmask_b32_e64 v1, 0, 1.0, s1
	s_mov_b32 s2, exec_lo
                                        ; implicit-def: $vgpr0
	s_delay_alu instid0(VALU_DEP_1)
	v_cmpx_gt_u32_e32 0x47800000, v1
	s_xor_b32 s2, exec_lo, s2
	s_cbranch_execz .LBB199_3099
; %bb.3094:
	s_mov_b32 s4, exec_lo
                                        ; implicit-def: $vgpr0
	v_cmpx_lt_u32_e32 0x387fffff, v1
	s_xor_b32 s4, exec_lo, s4
; %bb.3095:
	v_bfe_u32 v0, v1, 21, 1
	s_delay_alu instid0(VALU_DEP_1) | instskip(NEXT) | instid1(VALU_DEP_1)
	v_add3_u32 v0, v1, v0, 0x80fffff
                                        ; implicit-def: $vgpr1
	v_lshrrev_b32_e32 v0, 21, v0
; %bb.3096:
	s_and_not1_saveexec_b32 s4, s4
; %bb.3097:
	v_add_f32_e32 v0, 0x43000000, v1
; %bb.3098:
	s_or_b32 exec_lo, exec_lo, s4
                                        ; implicit-def: $vgpr1
.LBB199_3099:
	s_and_not1_saveexec_b32 s2, s2
; %bb.3100:
	v_mov_b32_e32 v0, 0x7f
	v_cmp_lt_u32_e32 vcc_lo, 0x7f800000, v1
	s_delay_alu instid0(VALU_DEP_2)
	v_cndmask_b32_e32 v0, 0x7c, v0, vcc_lo
; %bb.3101:
	s_or_b32 exec_lo, exec_lo, s2
	global_store_b8 v[2:3], v0, off
.LBB199_3102:
	s_mov_b32 s2, 0
.LBB199_3103:
	s_delay_alu instid0(SALU_CYCLE_1)
	s_and_not1_b32 vcc_lo, exec_lo, s2
	s_mov_b32 s2, 0
	s_cbranch_vccnz .LBB199_3110
; %bb.3104:
	s_cmp_gt_i32 s7, 14
	s_mov_b32 s2, -1
	s_cbranch_scc0 .LBB199_3108
; %bb.3105:
	s_cmp_eq_u32 s7, 15
	s_mov_b32 s0, -1
	s_cbranch_scc0 .LBB199_3107
; %bb.3106:
	s_wait_xcnt 0x0
	v_cndmask_b32_e64 v0, 0, 1.0, s1
	s_mov_b32 s0, 0
	s_delay_alu instid0(VALU_DEP_1) | instskip(NEXT) | instid1(VALU_DEP_1)
	v_bfe_u32 v1, v0, 16, 1
	v_add3_u32 v0, v0, v1, 0x7fff
	global_store_d16_hi_b16 v[2:3], v0, off
.LBB199_3107:
	s_mov_b32 s2, 0
.LBB199_3108:
	s_delay_alu instid0(SALU_CYCLE_1)
	s_and_b32 vcc_lo, exec_lo, s2
	s_mov_b32 s2, 0
	s_cbranch_vccz .LBB199_3110
; %bb.3109:
	s_cmp_lg_u32 s7, 11
	s_mov_b32 s2, -1
	s_cselect_b32 s0, -1, 0
.LBB199_3110:
	s_delay_alu instid0(SALU_CYCLE_1)
	s_and_b32 vcc_lo, exec_lo, s0
	s_cbranch_vccnz .LBB199_3176
.LBB199_3111:
	s_mov_b32 s0, 0
	s_branch .LBB199_3113
.LBB199_3112:
	s_mov_b32 s0, 0
	s_mov_b32 s2, 0
                                        ; implicit-def: $sgpr1
                                        ; implicit-def: $vgpr2_vgpr3
                                        ; implicit-def: $sgpr6
.LBB199_3113:
	s_and_not1_b32 s3, s3, exec_lo
	s_and_b32 s4, s9, exec_lo
	s_and_b32 s0, s0, exec_lo
	;; [unrolled: 1-line block ×3, first 2 shown]
	s_or_b32 s3, s3, s4
.LBB199_3114:
	s_wait_xcnt 0x0
	s_or_b32 exec_lo, exec_lo, s8
	s_and_saveexec_b32 s2, s3
	s_cbranch_execz .LBB199_3117
; %bb.3115:
	; divergent unreachable
	s_or_b32 exec_lo, exec_lo, s2
	s_and_saveexec_b32 s2, s33
	s_delay_alu instid0(SALU_CYCLE_1)
	s_xor_b32 s2, exec_lo, s2
	s_cbranch_execnz .LBB199_3118
.LBB199_3116:
	s_or_b32 exec_lo, exec_lo, s2
	s_and_saveexec_b32 s2, s0
	s_cbranch_execnz .LBB199_3119
	s_branch .LBB199_3156
.LBB199_3117:
	s_or_b32 exec_lo, exec_lo, s2
	s_and_saveexec_b32 s2, s33
	s_delay_alu instid0(SALU_CYCLE_1)
	s_xor_b32 s2, exec_lo, s2
	s_cbranch_execz .LBB199_3116
.LBB199_3118:
	v_cndmask_b32_e64 v0, 0, 1, s1
	s_wait_loadcnt 0x0
	global_store_b8 v[2:3], v0, off
	s_wait_xcnt 0x0
	s_or_b32 exec_lo, exec_lo, s2
	s_and_saveexec_b32 s2, s0
	s_cbranch_execz .LBB199_3156
.LBB199_3119:
	s_sext_i32_i16 s2, s6
	s_mov_b32 s0, -1
	s_cmp_lt_i32 s2, 5
	s_cbranch_scc1 .LBB199_3140
; %bb.3120:
	s_cmp_lt_i32 s2, 8
	s_cbranch_scc1 .LBB199_3130
; %bb.3121:
	;; [unrolled: 3-line block ×3, first 2 shown]
	s_cmp_gt_i32 s2, 9
	s_cbranch_scc0 .LBB199_3124
; %bb.3123:
	v_cndmask_b32_e64 v0, 0, 1, s1
	v_mov_b32_e32 v6, 0
	s_mov_b32 s0, 0
	s_wait_loadcnt 0x0
	s_delay_alu instid0(VALU_DEP_2) | instskip(NEXT) | instid1(VALU_DEP_2)
	v_cvt_f64_u32_e32 v[4:5], v0
	v_mov_b32_e32 v7, v6
	global_store_b128 v[2:3], v[4:7], off
.LBB199_3124:
	s_and_not1_b32 vcc_lo, exec_lo, s0
	s_cbranch_vccnz .LBB199_3126
; %bb.3125:
	v_cndmask_b32_e64 v0, 0, 1.0, s1
	s_wait_loadcnt 0x0
	v_mov_b32_e32 v1, 0
	global_store_b64 v[2:3], v[0:1], off
.LBB199_3126:
	s_mov_b32 s0, 0
.LBB199_3127:
	s_delay_alu instid0(SALU_CYCLE_1)
	s_and_not1_b32 vcc_lo, exec_lo, s0
	s_cbranch_vccnz .LBB199_3129
; %bb.3128:
	s_wait_xcnt 0x0
	v_cndmask_b32_e64 v0, 0, 1.0, s1
	s_delay_alu instid0(VALU_DEP_1) | instskip(NEXT) | instid1(VALU_DEP_1)
	v_cvt_f16_f32_e32 v0, v0
	v_and_b32_e32 v0, 0xffff, v0
	s_wait_loadcnt 0x0
	global_store_b32 v[2:3], v0, off
.LBB199_3129:
	s_mov_b32 s0, 0
.LBB199_3130:
	s_delay_alu instid0(SALU_CYCLE_1)
	s_and_not1_b32 vcc_lo, exec_lo, s0
	s_cbranch_vccnz .LBB199_3139
; %bb.3131:
	s_sext_i32_i16 s2, s6
	s_mov_b32 s0, -1
	s_cmp_lt_i32 s2, 6
	s_cbranch_scc1 .LBB199_3137
; %bb.3132:
	s_cmp_gt_i32 s2, 6
	s_cbranch_scc0 .LBB199_3134
; %bb.3133:
	s_wait_xcnt 0x0
	v_cndmask_b32_e64 v0, 0, 1, s1
	s_mov_b32 s0, 0
	s_wait_loadcnt 0x0
	s_delay_alu instid0(VALU_DEP_1)
	v_cvt_f64_u32_e32 v[0:1], v0
	global_store_b64 v[2:3], v[0:1], off
.LBB199_3134:
	s_and_not1_b32 vcc_lo, exec_lo, s0
	s_cbranch_vccnz .LBB199_3136
; %bb.3135:
	s_wait_xcnt 0x0
	v_cndmask_b32_e64 v0, 0, 1.0, s1
	s_wait_loadcnt 0x0
	global_store_b32 v[2:3], v0, off
.LBB199_3136:
	s_mov_b32 s0, 0
.LBB199_3137:
	s_delay_alu instid0(SALU_CYCLE_1)
	s_and_not1_b32 vcc_lo, exec_lo, s0
	s_cbranch_vccnz .LBB199_3139
; %bb.3138:
	s_wait_xcnt 0x0
	v_cndmask_b32_e64 v0, 0, 1.0, s1
	s_delay_alu instid0(VALU_DEP_1)
	v_cvt_f16_f32_e32 v0, v0
	s_wait_loadcnt 0x0
	global_store_b16 v[2:3], v0, off
.LBB199_3139:
	s_mov_b32 s0, 0
.LBB199_3140:
	s_delay_alu instid0(SALU_CYCLE_1)
	s_and_not1_b32 vcc_lo, exec_lo, s0
	s_cbranch_vccnz .LBB199_3156
; %bb.3141:
	s_sext_i32_i16 s2, s6
	s_mov_b32 s0, -1
	s_cmp_lt_i32 s2, 2
	s_cbranch_scc1 .LBB199_3151
; %bb.3142:
	s_cmp_lt_i32 s2, 3
	s_cbranch_scc1 .LBB199_3148
; %bb.3143:
	s_cmp_gt_i32 s2, 3
	s_cbranch_scc0 .LBB199_3145
; %bb.3144:
	s_mov_b32 s0, 0
	s_wait_xcnt 0x0
	v_cndmask_b32_e64 v0, 0, 1, s1
	s_wait_loadcnt 0x0
	v_mov_b32_e32 v1, s0
	global_store_b64 v[2:3], v[0:1], off
.LBB199_3145:
	s_and_not1_b32 vcc_lo, exec_lo, s0
	s_cbranch_vccnz .LBB199_3147
; %bb.3146:
	s_wait_xcnt 0x0
	v_cndmask_b32_e64 v0, 0, 1, s1
	s_wait_loadcnt 0x0
	global_store_b32 v[2:3], v0, off
.LBB199_3147:
	s_mov_b32 s0, 0
.LBB199_3148:
	s_delay_alu instid0(SALU_CYCLE_1)
	s_and_not1_b32 vcc_lo, exec_lo, s0
	s_cbranch_vccnz .LBB199_3150
; %bb.3149:
	s_wait_xcnt 0x0
	v_cndmask_b32_e64 v0, 0, 1, s1
	s_wait_loadcnt 0x0
	global_store_b16 v[2:3], v0, off
.LBB199_3150:
	s_mov_b32 s0, 0
.LBB199_3151:
	s_delay_alu instid0(SALU_CYCLE_1)
	s_and_not1_b32 vcc_lo, exec_lo, s0
	s_cbranch_vccnz .LBB199_3156
; %bb.3152:
	s_sext_i32_i16 s0, s6
	s_delay_alu instid0(SALU_CYCLE_1)
	s_cmp_gt_i32 s0, 0
	s_mov_b32 s0, -1
	s_cbranch_scc0 .LBB199_3154
; %bb.3153:
	s_wait_xcnt 0x0
	v_cndmask_b32_e64 v0, 0, 1, s1
	s_mov_b32 s0, 0
	s_wait_loadcnt 0x0
	global_store_b8 v[2:3], v0, off
.LBB199_3154:
	s_and_not1_b32 vcc_lo, exec_lo, s0
	s_cbranch_vccnz .LBB199_3156
; %bb.3155:
	s_wait_xcnt 0x0
	v_cndmask_b32_e64 v0, 0, 1, s1
	s_wait_loadcnt 0x0
	global_store_b8 v[2:3], v0, off
	s_endpgm
.LBB199_3156:
	s_endpgm
.LBB199_3157:
	s_mov_b32 s2, 0
	s_mov_b32 s0, -1
	s_branch .LBB199_3113
.LBB199_3158:
	s_or_b32 s9, s9, exec_lo
	s_trap 2
	s_cbranch_execz .LBB199_2628
	s_branch .LBB199_2629
.LBB199_3159:
	s_and_not1_saveexec_b32 s13, s13
	s_cbranch_execz .LBB199_2708
.LBB199_3160:
	v_add_f32_e32 v1, 0x46000000, v3
	s_and_not1_b32 s12, s12, exec_lo
	s_delay_alu instid0(VALU_DEP_1) | instskip(NEXT) | instid1(VALU_DEP_1)
	v_and_b32_e32 v1, 0xff, v1
	v_cmp_ne_u32_e32 vcc_lo, 0, v1
	s_and_b32 s14, vcc_lo, exec_lo
	s_delay_alu instid0(SALU_CYCLE_1)
	s_or_b32 s12, s12, s14
	s_or_b32 exec_lo, exec_lo, s13
	v_mov_b32_e32 v8, 0
	s_and_saveexec_b32 s13, s12
	s_cbranch_execnz .LBB199_2709
	s_branch .LBB199_2710
.LBB199_3161:
	s_or_b32 s9, s9, exec_lo
	s_trap 2
	s_cbranch_execz .LBB199_2756
	s_branch .LBB199_2757
.LBB199_3162:
	s_and_not1_saveexec_b32 s12, s12
	s_cbranch_execz .LBB199_2721
.LBB199_3163:
	v_add_f32_e32 v1, 0x42800000, v3
	s_and_not1_b32 s11, s11, exec_lo
	s_delay_alu instid0(VALU_DEP_1) | instskip(NEXT) | instid1(VALU_DEP_1)
	v_and_b32_e32 v1, 0xff, v1
	v_cmp_ne_u32_e32 vcc_lo, 0, v1
	s_and_b32 s13, vcc_lo, exec_lo
	s_delay_alu instid0(SALU_CYCLE_1)
	s_or_b32 s11, s11, s13
	s_or_b32 exec_lo, exec_lo, s12
	v_mov_b32_e32 v8, 0
	s_and_saveexec_b32 s12, s11
	s_cbranch_execnz .LBB199_2722
	s_branch .LBB199_2723
.LBB199_3164:
	s_and_not1_saveexec_b32 s13, s13
	s_cbranch_execz .LBB199_2826
.LBB199_3165:
	v_add_f32_e32 v1, 0x46000000, v3
	s_and_not1_b32 s12, s12, exec_lo
	s_delay_alu instid0(VALU_DEP_1) | instskip(NEXT) | instid1(VALU_DEP_1)
	v_and_b32_e32 v1, 0xff, v1
	v_cmp_ne_u32_e32 vcc_lo, 0, v1
	s_and_b32 s14, vcc_lo, exec_lo
	s_delay_alu instid0(SALU_CYCLE_1)
	s_or_b32 s12, s12, s14
	s_or_b32 exec_lo, exec_lo, s13
	v_mov_b32_e32 v6, 0
	s_and_saveexec_b32 s13, s12
	s_cbranch_execnz .LBB199_2827
	s_branch .LBB199_2828
.LBB199_3166:
	s_or_b32 s9, s9, exec_lo
	s_trap 2
	s_cbranch_execz .LBB199_2874
	s_branch .LBB199_2875
.LBB199_3167:
	s_and_not1_saveexec_b32 s12, s12
	s_cbranch_execz .LBB199_2839
.LBB199_3168:
	v_add_f32_e32 v1, 0x42800000, v3
	s_and_not1_b32 s11, s11, exec_lo
	s_delay_alu instid0(VALU_DEP_1) | instskip(NEXT) | instid1(VALU_DEP_1)
	v_and_b32_e32 v1, 0xff, v1
	v_cmp_ne_u32_e32 vcc_lo, 0, v1
	s_and_b32 s13, vcc_lo, exec_lo
	s_delay_alu instid0(SALU_CYCLE_1)
	s_or_b32 s11, s11, s13
	s_or_b32 exec_lo, exec_lo, s12
	v_mov_b32_e32 v6, 0
	s_and_saveexec_b32 s12, s11
	s_cbranch_execnz .LBB199_2840
	s_branch .LBB199_2841
.LBB199_3169:
	s_and_not1_saveexec_b32 s13, s13
	s_cbranch_execz .LBB199_2945
.LBB199_3170:
	v_add_f32_e32 v1, 0x46000000, v4
	s_and_not1_b32 s12, s12, exec_lo
	s_delay_alu instid0(VALU_DEP_1) | instskip(NEXT) | instid1(VALU_DEP_1)
	v_and_b32_e32 v1, 0xff, v1
	v_cmp_ne_u32_e32 vcc_lo, 0, v1
	s_and_b32 s14, vcc_lo, exec_lo
	s_delay_alu instid0(SALU_CYCLE_1)
	s_or_b32 s12, s12, s14
	s_or_b32 exec_lo, exec_lo, s13
	v_mov_b32_e32 v5, 0
	s_and_saveexec_b32 s13, s12
	s_cbranch_execnz .LBB199_2946
	s_branch .LBB199_2947
.LBB199_3171:
	s_or_b32 s9, s9, exec_lo
	s_trap 2
	s_cbranch_execz .LBB199_2993
	s_branch .LBB199_2994
.LBB199_3172:
	s_and_not1_saveexec_b32 s12, s12
	s_cbranch_execz .LBB199_2958
.LBB199_3173:
	v_add_f32_e32 v1, 0x42800000, v4
	s_and_not1_b32 s11, s11, exec_lo
	s_delay_alu instid0(VALU_DEP_1) | instskip(NEXT) | instid1(VALU_DEP_1)
	v_and_b32_e32 v1, 0xff, v1
	v_cmp_ne_u32_e32 vcc_lo, 0, v1
	s_and_b32 s13, vcc_lo, exec_lo
	s_delay_alu instid0(SALU_CYCLE_1)
	s_or_b32 s11, s11, s13
	s_or_b32 exec_lo, exec_lo, s12
	v_mov_b32_e32 v5, 0
	s_and_saveexec_b32 s12, s11
	s_cbranch_execnz .LBB199_2959
	s_branch .LBB199_2960
.LBB199_3174:
	s_and_not1_saveexec_b32 s10, s10
	s_cbranch_execz .LBB199_3065
.LBB199_3175:
	v_add_f32_e32 v0, 0x46000000, v1
	s_and_not1_b32 s5, s5, exec_lo
	s_delay_alu instid0(VALU_DEP_1) | instskip(NEXT) | instid1(VALU_DEP_1)
	v_and_b32_e32 v0, 0xff, v0
	v_cmp_ne_u32_e32 vcc_lo, 0, v0
	s_and_b32 s11, vcc_lo, exec_lo
	s_delay_alu instid0(SALU_CYCLE_1)
	s_or_b32 s5, s5, s11
	s_or_b32 exec_lo, exec_lo, s10
	v_mov_b32_e32 v4, 0
	s_and_saveexec_b32 s10, s5
	s_cbranch_execnz .LBB199_3066
	s_branch .LBB199_3067
.LBB199_3176:
	s_mov_b32 s2, 0
	s_or_b32 s9, s9, exec_lo
	s_trap 2
	s_branch .LBB199_3111
.LBB199_3177:
	s_and_not1_saveexec_b32 s5, s5
	s_cbranch_execz .LBB199_3077
.LBB199_3178:
	v_add_f32_e32 v0, 0x42800000, v1
	s_and_not1_b32 s4, s4, exec_lo
	s_delay_alu instid0(VALU_DEP_1) | instskip(NEXT) | instid1(VALU_DEP_1)
	v_and_b32_e32 v0, 0xff, v0
	v_cmp_ne_u32_e32 vcc_lo, 0, v0
	s_and_b32 s10, vcc_lo, exec_lo
	s_delay_alu instid0(SALU_CYCLE_1)
	s_or_b32 s4, s4, s10
	s_or_b32 exec_lo, exec_lo, s5
	v_mov_b32_e32 v4, 0
	s_and_saveexec_b32 s5, s4
	s_cbranch_execnz .LBB199_3078
	s_branch .LBB199_3079
	.section	.rodata,"a",@progbits
	.p2align	6, 0x0
	.amdhsa_kernel _ZN2at6native32elementwise_kernel_manual_unrollILi128ELi4EZNS0_15gpu_kernel_implINS0_13BinaryFunctorIN3c108BFloat16ES5_bNS0_12_GLOBAL__N_116CompareEqFunctorIS5_EEEEEEvRNS_18TensorIteratorBaseERKT_EUlibE0_EEviT1_
		.amdhsa_group_segment_fixed_size 0
		.amdhsa_private_segment_fixed_size 0
		.amdhsa_kernarg_size 432
		.amdhsa_user_sgpr_count 2
		.amdhsa_user_sgpr_dispatch_ptr 0
		.amdhsa_user_sgpr_queue_ptr 0
		.amdhsa_user_sgpr_kernarg_segment_ptr 1
		.amdhsa_user_sgpr_dispatch_id 0
		.amdhsa_user_sgpr_kernarg_preload_length 0
		.amdhsa_user_sgpr_kernarg_preload_offset 0
		.amdhsa_user_sgpr_private_segment_size 0
		.amdhsa_wavefront_size32 1
		.amdhsa_uses_dynamic_stack 0
		.amdhsa_enable_private_segment 0
		.amdhsa_system_sgpr_workgroup_id_x 1
		.amdhsa_system_sgpr_workgroup_id_y 0
		.amdhsa_system_sgpr_workgroup_id_z 0
		.amdhsa_system_sgpr_workgroup_info 0
		.amdhsa_system_vgpr_workitem_id 0
		.amdhsa_next_free_vgpr 26
		.amdhsa_next_free_sgpr 62
		.amdhsa_named_barrier_count 0
		.amdhsa_reserve_vcc 1
		.amdhsa_float_round_mode_32 0
		.amdhsa_float_round_mode_16_64 0
		.amdhsa_float_denorm_mode_32 3
		.amdhsa_float_denorm_mode_16_64 3
		.amdhsa_fp16_overflow 0
		.amdhsa_memory_ordered 1
		.amdhsa_forward_progress 1
		.amdhsa_inst_pref_size 255
		.amdhsa_round_robin_scheduling 0
		.amdhsa_exception_fp_ieee_invalid_op 0
		.amdhsa_exception_fp_denorm_src 0
		.amdhsa_exception_fp_ieee_div_zero 0
		.amdhsa_exception_fp_ieee_overflow 0
		.amdhsa_exception_fp_ieee_underflow 0
		.amdhsa_exception_fp_ieee_inexact 0
		.amdhsa_exception_int_div_zero 0
	.end_amdhsa_kernel
	.section	.text._ZN2at6native32elementwise_kernel_manual_unrollILi128ELi4EZNS0_15gpu_kernel_implINS0_13BinaryFunctorIN3c108BFloat16ES5_bNS0_12_GLOBAL__N_116CompareEqFunctorIS5_EEEEEEvRNS_18TensorIteratorBaseERKT_EUlibE0_EEviT1_,"axG",@progbits,_ZN2at6native32elementwise_kernel_manual_unrollILi128ELi4EZNS0_15gpu_kernel_implINS0_13BinaryFunctorIN3c108BFloat16ES5_bNS0_12_GLOBAL__N_116CompareEqFunctorIS5_EEEEEEvRNS_18TensorIteratorBaseERKT_EUlibE0_EEviT1_,comdat
.Lfunc_end199:
	.size	_ZN2at6native32elementwise_kernel_manual_unrollILi128ELi4EZNS0_15gpu_kernel_implINS0_13BinaryFunctorIN3c108BFloat16ES5_bNS0_12_GLOBAL__N_116CompareEqFunctorIS5_EEEEEEvRNS_18TensorIteratorBaseERKT_EUlibE0_EEviT1_, .Lfunc_end199-_ZN2at6native32elementwise_kernel_manual_unrollILi128ELi4EZNS0_15gpu_kernel_implINS0_13BinaryFunctorIN3c108BFloat16ES5_bNS0_12_GLOBAL__N_116CompareEqFunctorIS5_EEEEEEvRNS_18TensorIteratorBaseERKT_EUlibE0_EEviT1_
                                        ; -- End function
	.set _ZN2at6native32elementwise_kernel_manual_unrollILi128ELi4EZNS0_15gpu_kernel_implINS0_13BinaryFunctorIN3c108BFloat16ES5_bNS0_12_GLOBAL__N_116CompareEqFunctorIS5_EEEEEEvRNS_18TensorIteratorBaseERKT_EUlibE0_EEviT1_.num_vgpr, 26
	.set _ZN2at6native32elementwise_kernel_manual_unrollILi128ELi4EZNS0_15gpu_kernel_implINS0_13BinaryFunctorIN3c108BFloat16ES5_bNS0_12_GLOBAL__N_116CompareEqFunctorIS5_EEEEEEvRNS_18TensorIteratorBaseERKT_EUlibE0_EEviT1_.num_agpr, 0
	.set _ZN2at6native32elementwise_kernel_manual_unrollILi128ELi4EZNS0_15gpu_kernel_implINS0_13BinaryFunctorIN3c108BFloat16ES5_bNS0_12_GLOBAL__N_116CompareEqFunctorIS5_EEEEEEvRNS_18TensorIteratorBaseERKT_EUlibE0_EEviT1_.numbered_sgpr, 62
	.set _ZN2at6native32elementwise_kernel_manual_unrollILi128ELi4EZNS0_15gpu_kernel_implINS0_13BinaryFunctorIN3c108BFloat16ES5_bNS0_12_GLOBAL__N_116CompareEqFunctorIS5_EEEEEEvRNS_18TensorIteratorBaseERKT_EUlibE0_EEviT1_.num_named_barrier, 0
	.set _ZN2at6native32elementwise_kernel_manual_unrollILi128ELi4EZNS0_15gpu_kernel_implINS0_13BinaryFunctorIN3c108BFloat16ES5_bNS0_12_GLOBAL__N_116CompareEqFunctorIS5_EEEEEEvRNS_18TensorIteratorBaseERKT_EUlibE0_EEviT1_.private_seg_size, 0
	.set _ZN2at6native32elementwise_kernel_manual_unrollILi128ELi4EZNS0_15gpu_kernel_implINS0_13BinaryFunctorIN3c108BFloat16ES5_bNS0_12_GLOBAL__N_116CompareEqFunctorIS5_EEEEEEvRNS_18TensorIteratorBaseERKT_EUlibE0_EEviT1_.uses_vcc, 1
	.set _ZN2at6native32elementwise_kernel_manual_unrollILi128ELi4EZNS0_15gpu_kernel_implINS0_13BinaryFunctorIN3c108BFloat16ES5_bNS0_12_GLOBAL__N_116CompareEqFunctorIS5_EEEEEEvRNS_18TensorIteratorBaseERKT_EUlibE0_EEviT1_.uses_flat_scratch, 0
	.set _ZN2at6native32elementwise_kernel_manual_unrollILi128ELi4EZNS0_15gpu_kernel_implINS0_13BinaryFunctorIN3c108BFloat16ES5_bNS0_12_GLOBAL__N_116CompareEqFunctorIS5_EEEEEEvRNS_18TensorIteratorBaseERKT_EUlibE0_EEviT1_.has_dyn_sized_stack, 0
	.set _ZN2at6native32elementwise_kernel_manual_unrollILi128ELi4EZNS0_15gpu_kernel_implINS0_13BinaryFunctorIN3c108BFloat16ES5_bNS0_12_GLOBAL__N_116CompareEqFunctorIS5_EEEEEEvRNS_18TensorIteratorBaseERKT_EUlibE0_EEviT1_.has_recursion, 0
	.set _ZN2at6native32elementwise_kernel_manual_unrollILi128ELi4EZNS0_15gpu_kernel_implINS0_13BinaryFunctorIN3c108BFloat16ES5_bNS0_12_GLOBAL__N_116CompareEqFunctorIS5_EEEEEEvRNS_18TensorIteratorBaseERKT_EUlibE0_EEviT1_.has_indirect_call, 0
	.section	.AMDGPU.csdata,"",@progbits
; Kernel info:
; codeLenInByte = 71560
; TotalNumSgprs: 64
; NumVgprs: 26
; ScratchSize: 0
; MemoryBound: 0
; FloatMode: 240
; IeeeMode: 1
; LDSByteSize: 0 bytes/workgroup (compile time only)
; SGPRBlocks: 0
; VGPRBlocks: 1
; NumSGPRsForWavesPerEU: 64
; NumVGPRsForWavesPerEU: 26
; NamedBarCnt: 0
; Occupancy: 16
; WaveLimiterHint : 1
; COMPUTE_PGM_RSRC2:SCRATCH_EN: 0
; COMPUTE_PGM_RSRC2:USER_SGPR: 2
; COMPUTE_PGM_RSRC2:TRAP_HANDLER: 0
; COMPUTE_PGM_RSRC2:TGID_X_EN: 1
; COMPUTE_PGM_RSRC2:TGID_Y_EN: 0
; COMPUTE_PGM_RSRC2:TGID_Z_EN: 0
; COMPUTE_PGM_RSRC2:TIDIG_COMP_CNT: 0
	.section	.text._ZN2at6native29vectorized_elementwise_kernelILi16ENS0_13AUnaryFunctorIN3c108BFloat16ES4_bNS0_12_GLOBAL__N_116CompareEqFunctorIS4_EEEESt5arrayIPcLm2EEEEviT0_T1_,"axG",@progbits,_ZN2at6native29vectorized_elementwise_kernelILi16ENS0_13AUnaryFunctorIN3c108BFloat16ES4_bNS0_12_GLOBAL__N_116CompareEqFunctorIS4_EEEESt5arrayIPcLm2EEEEviT0_T1_,comdat
	.globl	_ZN2at6native29vectorized_elementwise_kernelILi16ENS0_13AUnaryFunctorIN3c108BFloat16ES4_bNS0_12_GLOBAL__N_116CompareEqFunctorIS4_EEEESt5arrayIPcLm2EEEEviT0_T1_ ; -- Begin function _ZN2at6native29vectorized_elementwise_kernelILi16ENS0_13AUnaryFunctorIN3c108BFloat16ES4_bNS0_12_GLOBAL__N_116CompareEqFunctorIS4_EEEESt5arrayIPcLm2EEEEviT0_T1_
	.p2align	8
	.type	_ZN2at6native29vectorized_elementwise_kernelILi16ENS0_13AUnaryFunctorIN3c108BFloat16ES4_bNS0_12_GLOBAL__N_116CompareEqFunctorIS4_EEEESt5arrayIPcLm2EEEEviT0_T1_,@function
_ZN2at6native29vectorized_elementwise_kernelILi16ENS0_13AUnaryFunctorIN3c108BFloat16ES4_bNS0_12_GLOBAL__N_116CompareEqFunctorIS4_EEEESt5arrayIPcLm2EEEEviT0_T1_: ; @_ZN2at6native29vectorized_elementwise_kernelILi16ENS0_13AUnaryFunctorIN3c108BFloat16ES4_bNS0_12_GLOBAL__N_116CompareEqFunctorIS4_EEEESt5arrayIPcLm2EEEEviT0_T1_
; %bb.0:
	s_clause 0x1
	s_load_b96 s[8:10], s[0:1], 0x0
	s_load_b128 s[4:7], s[0:1], 0x10
	s_wait_xcnt 0x0
	s_bfe_u32 s0, ttmp6, 0x4000c
	s_and_b32 s1, ttmp6, 15
	s_add_co_i32 s0, s0, 1
	s_getreg_b32 s2, hwreg(HW_REG_IB_STS2, 6, 4)
	s_mul_i32 s0, ttmp9, s0
	s_delay_alu instid0(SALU_CYCLE_1) | instskip(SKIP_2) | instid1(SALU_CYCLE_1)
	s_add_co_i32 s1, s1, s0
	s_cmp_eq_u32 s2, 0
	s_cselect_b32 s0, ttmp9, s1
	s_lshl_b32 s2, s0, 12
	s_mov_b32 s0, -1
	s_wait_kmcnt 0x0
	s_sub_co_i32 s8, s8, s2
	s_delay_alu instid0(SALU_CYCLE_1)
	s_cmp_gt_i32 s8, 0xfff
	s_cbranch_scc0 .LBB200_2
; %bb.1:
	s_ashr_i32 s3, s2, 31
	v_lshlrev_b32_e32 v1, 5, v0
	s_lshl_b64 s[0:1], s[2:3], 1
	s_cmp_eq_u32 s9, 0
	s_add_nc_u64 s[0:1], s[6:7], s[0:1]
	s_cselect_b32 vcc_lo, -1, 0
	s_clause 0x1
	global_load_b128 v[2:5], v1, s[0:1]
	global_load_b128 v[6:9], v1, s[0:1] offset:16
	s_wait_xcnt 0x0
	s_lshl_b32 s1, s10, 16
	s_add_nc_u64 s[12:13], s[4:5], s[2:3]
	s_wait_loadcnt 0x1
	v_dual_lshlrev_b32 v1, 16, v3 :: v_dual_lshlrev_b32 v11, 16, v5
	v_and_b32_e32 v3, 0xffff0000, v3
	v_lshlrev_b32_e32 v10, 16, v2
	v_and_b32_e32 v2, 0xffff0000, v2
	s_delay_alu instid0(VALU_DEP_4)
	v_cmp_eq_f32_e64 s0, s1, v1
	v_and_b32_e32 v5, 0xffff0000, v5
	s_wait_loadcnt 0x0
	v_dual_lshlrev_b32 v12, 16, v4 :: v_dual_lshlrev_b32 v13, 16, v7
	v_and_b32_e32 v4, 0xffff0000, v4
	v_cndmask_b32_e64 v17, 0, 1, s0
	v_cmp_neq_f32_e64 s0, s1, v1
	v_and_b32_e32 v7, 0xffff0000, v7
	v_dual_lshlrev_b32 v14, 16, v6 :: v_dual_lshlrev_b32 v15, 16, v9
	v_and_b32_e32 v6, 0xffff0000, v6
	s_delay_alu instid0(VALU_DEP_4)
	v_cndmask_b32_e64 v1, 0, 1, s0
	v_cmp_eq_f32_e64 s0, s1, v3
	v_and_b32_e32 v9, 0xffff0000, v9
	v_lshlrev_b32_e32 v16, 16, v8
	v_and_b32_e32 v8, 0xffff0000, v8
	v_cndmask_b32_e32 v1, v1, v17, vcc_lo
	v_cndmask_b32_e64 v18, 0, 1, s0
	v_cmp_neq_f32_e64 s0, s1, v3
	s_delay_alu instid0(VALU_DEP_1) | instskip(SKIP_1) | instid1(VALU_DEP_1)
	v_cndmask_b32_e64 v3, 0, 1, s0
	v_cmp_eq_f32_e64 s0, s1, v10
	v_cndmask_b32_e64 v19, 0, 1, s0
	v_cmp_neq_f32_e64 s0, s1, v10
	s_delay_alu instid0(VALU_DEP_1) | instskip(SKIP_1) | instid1(VALU_DEP_2)
	v_cndmask_b32_e64 v10, 0, 1, s0
	v_cmp_eq_f32_e64 s0, s1, v2
	v_dual_cndmask_b32 v3, v3, v18 :: v_dual_cndmask_b32 v10, v10, v19
	s_delay_alu instid0(VALU_DEP_2) | instskip(SKIP_1) | instid1(VALU_DEP_3)
	v_cndmask_b32_e64 v20, 0, 1, s0
	v_cmp_neq_f32_e64 s0, s1, v2
	v_and_b32_e32 v3, 1, v3
	s_delay_alu instid0(VALU_DEP_2) | instskip(SKIP_1) | instid1(VALU_DEP_3)
	v_cndmask_b32_e64 v2, 0, 1, s0
	v_cmp_eq_f32_e64 s0, s1, v11
	v_lshlrev_b16 v3, 8, v3
	s_delay_alu instid0(VALU_DEP_2) | instskip(SKIP_1) | instid1(VALU_DEP_3)
	v_cndmask_b32_e64 v21, 0, 1, s0
	v_cmp_neq_f32_e64 s0, s1, v11
	v_bitop3_b16 v1, v1, v3, 1 bitop3:0xec
	s_delay_alu instid0(VALU_DEP_2) | instskip(SKIP_1) | instid1(VALU_DEP_3)
	v_cndmask_b32_e64 v11, 0, 1, s0
	v_cmp_eq_f32_e64 s0, s1, v5
	v_dual_cndmask_b32 v2, v2, v20 :: v_dual_lshlrev_b32 v1, 16, v1
	s_delay_alu instid0(VALU_DEP_3) | instskip(NEXT) | instid1(VALU_DEP_3)
	v_cndmask_b32_e32 v11, v11, v21, vcc_lo
	v_cndmask_b32_e64 v22, 0, 1, s0
	v_cmp_neq_f32_e64 s0, s1, v5
	s_delay_alu instid0(VALU_DEP_4) | instskip(NEXT) | instid1(VALU_DEP_2)
	v_and_b32_e32 v2, 1, v2
	v_cndmask_b32_e64 v5, 0, 1, s0
	v_cmp_eq_f32_e64 s0, s1, v12
	s_delay_alu instid0(VALU_DEP_3) | instskip(NEXT) | instid1(VALU_DEP_2)
	v_lshlrev_b16 v2, 8, v2
	v_cndmask_b32_e64 v23, 0, 1, s0
	v_cmp_neq_f32_e64 s0, s1, v12
	s_delay_alu instid0(VALU_DEP_3) | instskip(NEXT) | instid1(VALU_DEP_2)
	v_bitop3_b16 v2, v10, v2, 1 bitop3:0xec
	v_cndmask_b32_e64 v12, 0, 1, s0
	v_cmp_eq_f32_e64 s0, s1, v4
	v_cndmask_b32_e32 v5, v5, v22, vcc_lo
	s_delay_alu instid0(VALU_DEP_4) | instskip(NEXT) | instid1(VALU_DEP_4)
	v_and_b32_e32 v2, 0xffff, v2
	v_cndmask_b32_e32 v12, v12, v23, vcc_lo
	s_delay_alu instid0(VALU_DEP_4) | instskip(SKIP_1) | instid1(VALU_DEP_4)
	v_cndmask_b32_e64 v24, 0, 1, s0
	v_cmp_neq_f32_e64 s0, s1, v4
	v_or_b32_e32 v2, v2, v1
	v_and_b32_e32 v5, 1, v5
	s_delay_alu instid0(VALU_DEP_3) | instskip(SKIP_1) | instid1(VALU_DEP_3)
	v_cndmask_b32_e64 v4, 0, 1, s0
	v_cmp_eq_f32_e64 s0, s1, v13
	v_lshlrev_b16 v5, 8, v5
	s_delay_alu instid0(VALU_DEP_2) | instskip(SKIP_1) | instid1(VALU_DEP_3)
	v_cndmask_b32_e64 v25, 0, 1, s0
	v_cmp_neq_f32_e64 s0, s1, v13
	v_bitop3_b16 v5, v11, v5, 1 bitop3:0xec
	s_delay_alu instid0(VALU_DEP_2) | instskip(SKIP_1) | instid1(VALU_DEP_3)
	v_cndmask_b32_e64 v13, 0, 1, s0
	v_cmp_eq_f32_e64 s0, s1, v7
	v_dual_cndmask_b32 v4, v4, v24 :: v_dual_lshlrev_b32 v5, 16, v5
	s_delay_alu instid0(VALU_DEP_3) | instskip(NEXT) | instid1(VALU_DEP_3)
	v_cndmask_b32_e32 v13, v13, v25, vcc_lo
	v_cndmask_b32_e64 v26, 0, 1, s0
	v_cmp_neq_f32_e64 s0, s1, v7
	s_delay_alu instid0(VALU_DEP_4) | instskip(NEXT) | instid1(VALU_DEP_2)
	v_and_b32_e32 v4, 1, v4
	v_cndmask_b32_e64 v7, 0, 1, s0
	v_cmp_eq_f32_e64 s0, s1, v14
	s_delay_alu instid0(VALU_DEP_3) | instskip(NEXT) | instid1(VALU_DEP_2)
	v_lshlrev_b16 v4, 8, v4
	v_cndmask_b32_e64 v27, 0, 1, s0
	v_cmp_neq_f32_e64 s0, s1, v14
	s_delay_alu instid0(VALU_DEP_3) | instskip(NEXT) | instid1(VALU_DEP_2)
	v_bitop3_b16 v4, v12, v4, 1 bitop3:0xec
	v_cndmask_b32_e64 v14, 0, 1, s0
	v_cmp_eq_f32_e64 s0, s1, v6
	v_cndmask_b32_e32 v7, v7, v26, vcc_lo
	s_delay_alu instid0(VALU_DEP_4) | instskip(NEXT) | instid1(VALU_DEP_4)
	v_and_b32_e32 v4, 0xffff, v4
	v_cndmask_b32_e32 v14, v14, v27, vcc_lo
	s_delay_alu instid0(VALU_DEP_4) | instskip(SKIP_2) | instid1(VALU_DEP_2)
	v_cndmask_b32_e64 v28, 0, 1, s0
	v_cmp_neq_f32_e64 s0, s1, v6
	v_and_b32_e32 v7, 1, v7
	v_cndmask_b32_e64 v6, 0, 1, s0
	v_cmp_eq_f32_e64 s0, s1, v15
	s_delay_alu instid0(VALU_DEP_3) | instskip(NEXT) | instid1(VALU_DEP_2)
	v_lshlrev_b16 v7, 8, v7
	v_cndmask_b32_e64 v29, 0, 1, s0
	v_cmp_neq_f32_e64 s0, s1, v15
	s_delay_alu instid0(VALU_DEP_3) | instskip(NEXT) | instid1(VALU_DEP_2)
	v_bitop3_b16 v7, v13, v7, 1 bitop3:0xec
	v_cndmask_b32_e64 v15, 0, 1, s0
	v_cmp_eq_f32_e64 s0, s1, v9
	s_delay_alu instid0(VALU_DEP_3) | instskip(NEXT) | instid1(VALU_DEP_3)
	v_dual_cndmask_b32 v6, v6, v28 :: v_dual_lshlrev_b32 v7, 16, v7
	v_cndmask_b32_e32 v15, v15, v29, vcc_lo
	s_delay_alu instid0(VALU_DEP_3) | instskip(SKIP_1) | instid1(VALU_DEP_4)
	v_cndmask_b32_e64 v30, 0, 1, s0
	v_cmp_neq_f32_e64 s0, s1, v9
	v_and_b32_e32 v6, 1, v6
	s_delay_alu instid0(VALU_DEP_2) | instskip(SKIP_1) | instid1(VALU_DEP_3)
	v_cndmask_b32_e64 v9, 0, 1, s0
	v_cmp_eq_f32_e64 s0, s1, v16
	v_lshlrev_b16 v6, 8, v6
	s_delay_alu instid0(VALU_DEP_2) | instskip(SKIP_1) | instid1(VALU_DEP_3)
	v_cndmask_b32_e64 v31, 0, 1, s0
	v_cmp_neq_f32_e64 s0, s1, v16
	v_bitop3_b16 v6, v14, v6, 1 bitop3:0xec
	s_delay_alu instid0(VALU_DEP_2) | instskip(SKIP_2) | instid1(VALU_DEP_4)
	v_cndmask_b32_e64 v16, 0, 1, s0
	v_cmp_eq_f32_e64 s0, s1, v8
	v_cndmask_b32_e32 v9, v9, v30, vcc_lo
	v_and_b32_e32 v6, 0xffff, v6
	s_delay_alu instid0(VALU_DEP_4) | instskip(NEXT) | instid1(VALU_DEP_4)
	v_cndmask_b32_e32 v16, v16, v31, vcc_lo
	v_cndmask_b32_e64 v32, 0, 1, s0
	v_cmp_neq_f32_e64 s0, s1, v8
	v_and_b32_e32 v9, 1, v9
	s_delay_alu instid0(VALU_DEP_2) | instskip(NEXT) | instid1(VALU_DEP_2)
	v_cndmask_b32_e64 v8, 0, 1, s0
	v_lshlrev_b16 v9, 8, v9
	s_mov_b32 s0, 0
	s_delay_alu instid0(VALU_DEP_2) | instskip(NEXT) | instid1(VALU_DEP_1)
	v_cndmask_b32_e32 v8, v8, v32, vcc_lo
	v_and_b32_e32 v8, 1, v8
	s_delay_alu instid0(VALU_DEP_1) | instskip(NEXT) | instid1(VALU_DEP_1)
	v_lshlrev_b16 v8, 8, v8
	v_bitop3_b16 v3, v16, v8, 1 bitop3:0xec
	v_bitop3_b16 v8, v15, v9, 1 bitop3:0xec
	s_delay_alu instid0(VALU_DEP_2) | instskip(NEXT) | instid1(VALU_DEP_2)
	v_and_b32_e32 v9, 0xffff, v3
	v_dual_lshlrev_b32 v8, 16, v8 :: v_dual_bitop2_b32 v3, v4, v5 bitop3:0x54
	v_or_b32_e32 v4, v6, v7
	s_delay_alu instid0(VALU_DEP_2)
	v_or_b32_e32 v5, v9, v8
	global_store_b128 v0, v[2:5], s[12:13] scale_offset
.LBB200_2:
	s_and_not1_b32 vcc_lo, exec_lo, s0
	s_cbranch_vccnz .LBB200_52
; %bb.3:
	v_cmp_gt_i32_e32 vcc_lo, s8, v0
	v_dual_mov_b32 v9, 0 :: v_dual_bitop2_b32 v1, s2, v0 bitop3:0x54
	s_wait_xcnt 0x0
	v_or_b32_e32 v2, 0x100, v0
	v_dual_mov_b32 v10, 0 :: v_dual_mov_b32 v12, v0
	s_and_saveexec_b32 s0, vcc_lo
	s_cbranch_execz .LBB200_5
; %bb.4:
	global_load_u16 v3, v1, s[6:7] scale_offset
	v_or_b32_e32 v12, 0x100, v0
	s_wait_loadcnt 0x0
	v_lshlrev_b32_e32 v10, 16, v3
.LBB200_5:
	s_wait_xcnt 0x0
	s_or_b32 exec_lo, exec_lo, s0
	s_delay_alu instid0(SALU_CYCLE_1)
	s_mov_b32 s1, exec_lo
	v_cmpx_gt_i32_e64 s8, v12
	s_cbranch_execz .LBB200_7
; %bb.6:
	v_add_nc_u32_e32 v3, s2, v12
	v_add_nc_u32_e32 v12, 0x100, v12
	global_load_u16 v3, v3, s[6:7] scale_offset
	s_wait_loadcnt 0x0
	v_lshlrev_b32_e32 v9, 16, v3
.LBB200_7:
	s_wait_xcnt 0x0
	s_or_b32 exec_lo, exec_lo, s1
	v_dual_mov_b32 v4, 0 :: v_dual_mov_b32 v7, 0
	s_mov_b32 s1, exec_lo
	v_cmpx_gt_i32_e64 s8, v12
	s_cbranch_execz .LBB200_9
; %bb.8:
	v_add_nc_u32_e32 v3, s2, v12
	v_add_nc_u32_e32 v12, 0x100, v12
	global_load_u16 v3, v3, s[6:7] scale_offset
	s_wait_loadcnt 0x0
	v_lshlrev_b32_e32 v7, 16, v3
.LBB200_9:
	s_wait_xcnt 0x0
	s_or_b32 exec_lo, exec_lo, s1
	s_delay_alu instid0(SALU_CYCLE_1)
	s_mov_b32 s1, exec_lo
	v_cmpx_gt_i32_e64 s8, v12
	s_cbranch_execz .LBB200_11
; %bb.10:
	v_add_nc_u32_e32 v3, s2, v12
	v_add_nc_u32_e32 v12, 0x100, v12
	global_load_u16 v3, v3, s[6:7] scale_offset
	s_wait_loadcnt 0x0
	v_lshlrev_b32_e32 v4, 16, v3
.LBB200_11:
	s_wait_xcnt 0x0
	s_or_b32 exec_lo, exec_lo, s1
	v_dual_mov_b32 v13, 0 :: v_dual_mov_b32 v16, 0
	s_mov_b32 s1, exec_lo
	v_cmpx_gt_i32_e64 s8, v12
	s_cbranch_execz .LBB200_13
; %bb.12:
	v_add_nc_u32_e32 v3, s2, v12
	v_add_nc_u32_e32 v12, 0x100, v12
	global_load_u16 v3, v3, s[6:7] scale_offset
	s_wait_loadcnt 0x0
	v_lshlrev_b32_e32 v16, 16, v3
.LBB200_13:
	;; [unrolled: 26-line block ×5, first 2 shown]
	s_or_b32 exec_lo, exec_lo, s1
	s_delay_alu instid0(SALU_CYCLE_1)
	s_mov_b32 s1, exec_lo
	v_cmpx_gt_i32_e64 s8, v12
	s_cbranch_execz .LBB200_27
; %bb.26:
	v_add_nc_u32_e32 v3, s2, v12
	v_add_nc_u32_e32 v12, 0x100, v12
	global_load_u16 v3, v3, s[6:7] scale_offset
	s_wait_loadcnt 0x0
	v_lshlrev_b32_e32 v3, 16, v3
.LBB200_27:
	s_or_b32 exec_lo, exec_lo, s1
	v_dual_mov_b32 v18, 0 :: v_dual_mov_b32 v19, 0
	s_mov_b32 s1, exec_lo
	v_cmpx_gt_i32_e64 s8, v12
	s_cbranch_execz .LBB200_29
; %bb.28:
	v_add_nc_u32_e32 v14, s2, v12
	v_add_nc_u32_e32 v12, 0x100, v12
	global_load_u16 v14, v14, s[6:7] scale_offset
	s_wait_loadcnt 0x0
	v_lshlrev_b32_e32 v19, 16, v14
.LBB200_29:
	s_wait_xcnt 0x0
	s_or_b32 exec_lo, exec_lo, s1
	s_delay_alu instid0(SALU_CYCLE_1)
	s_mov_b32 s1, exec_lo
	v_cmpx_gt_i32_e64 s8, v12
	s_cbranch_execz .LBB200_31
; %bb.30:
	v_add_nc_u32_e32 v14, s2, v12
	v_add_nc_u32_e32 v12, 0x100, v12
	global_load_u16 v14, v14, s[6:7] scale_offset
	s_wait_loadcnt 0x0
	v_lshlrev_b32_e32 v18, 16, v14
.LBB200_31:
	s_wait_xcnt 0x0
	s_or_b32 exec_lo, exec_lo, s1
	v_dual_mov_b32 v14, 0 :: v_dual_mov_b32 v17, 0
	s_mov_b32 s1, exec_lo
	v_cmpx_gt_i32_e64 s8, v12
	s_cbranch_execz .LBB200_33
; %bb.32:
	v_add_nc_u32_e32 v17, s2, v12
	v_add_nc_u32_e32 v12, 0x100, v12
	global_load_u16 v17, v17, s[6:7] scale_offset
	s_wait_loadcnt 0x0
	v_lshlrev_b32_e32 v17, 16, v17
.LBB200_33:
	s_or_b32 exec_lo, exec_lo, s1
	s_delay_alu instid0(SALU_CYCLE_1)
	s_mov_b32 s1, exec_lo
	v_cmpx_gt_i32_e64 s8, v12
	s_cbranch_execz .LBB200_35
; %bb.34:
	v_add_nc_u32_e32 v12, s2, v12
	global_load_u16 v12, v12, s[6:7] scale_offset
	s_wait_loadcnt 0x0
	v_lshlrev_b32_e32 v14, 16, v12
.LBB200_35:
	s_wait_xcnt 0x0
	s_or_b32 exec_lo, exec_lo, s1
	s_cmp_eq_u32 s9, 0
	s_cselect_b32 s0, -1, 0
	s_lshl_b32 s3, s10, 16
	s_delay_alu instid0(SALU_CYCLE_1) | instskip(NEXT) | instid1(VALU_DEP_1)
	v_cmp_eq_f32_e64 s1, s3, v10
	v_cndmask_b32_e64 v12, 0, 1, s1
	v_cmp_neq_f32_e64 s1, s3, v10
	s_delay_alu instid0(VALU_DEP_1) | instskip(SKIP_1) | instid1(VALU_DEP_1)
	v_cndmask_b32_e64 v10, 0, 1, s1
	v_cmp_eq_f32_e64 s1, s3, v9
	v_cndmask_b32_e64 v20, 0, 1, s1
	v_cmp_neq_f32_e64 s1, s3, v9
	s_delay_alu instid0(VALU_DEP_1) | instskip(SKIP_1) | instid1(VALU_DEP_2)
	v_cndmask_b32_e64 v9, 0, 1, s1
	v_cmp_eq_f32_e64 s1, s3, v16
	v_cndmask_b32_e64 v9, v9, v20, s0
	s_delay_alu instid0(VALU_DEP_2) | instskip(SKIP_4) | instid1(VALU_DEP_4)
	v_cndmask_b32_e64 v20, 0, 1, s1
	v_cmp_neq_f32_e64 s1, s3, v16
	v_cndmask_b32_e64 v10, v10, v12, s0
	v_cndmask_b32_e64 v12, 0, 1, vcc_lo
	v_and_b32_e32 v9, 1, v9
	v_cndmask_b32_e64 v16, 0, 1, s1
	v_cmp_eq_f32_e64 s1, s3, v13
	s_delay_alu instid0(VALU_DEP_4) | instskip(NEXT) | instid1(VALU_DEP_4)
	v_and_b32_e32 v10, v12, v10
	v_lshlrev_b16 v9, 8, v9
	s_delay_alu instid0(VALU_DEP_4) | instskip(NEXT) | instid1(VALU_DEP_4)
	v_cndmask_b32_e64 v12, v16, v20, s0
	v_cndmask_b32_e64 v16, 0, 1, s1
	v_cmp_neq_f32_e64 s1, s3, v13
	s_delay_alu instid0(VALU_DEP_4) | instskip(SKIP_2) | instid1(VALU_DEP_4)
	v_or_b32_e32 v9, v10, v9
	v_or_b32_e32 v20, 0x400, v0
	v_bitop3_b16 v12, v12, 0, 1 bitop3:0xec
	v_cndmask_b32_e64 v13, 0, 1, s1
	v_cmp_eq_f32_e64 s1, s3, v7
	v_and_b32_e32 v9, 0xffff, v9
	s_delay_alu instid0(VALU_DEP_4) | instskip(NEXT) | instid1(VALU_DEP_4)
	v_and_b32_e32 v12, 0xffff, v12
	v_cndmask_b32_e64 v13, v13, v16, s0
	s_delay_alu instid0(VALU_DEP_4) | instskip(SKIP_1) | instid1(VALU_DEP_1)
	v_cndmask_b32_e64 v16, 0, 1, s1
	v_cmp_neq_f32_e64 s1, s3, v7
	v_cndmask_b32_e64 v7, 0, 1, s1
	v_cmp_gt_i32_e64 s1, s8, v20
	s_delay_alu instid0(VALU_DEP_2) | instskip(NEXT) | instid1(VALU_DEP_2)
	v_dual_cndmask_b32 v7, v7, v16, s0 :: v_dual_bitop2_b32 v13, 1, v13 bitop3:0x40
	v_cndmask_b32_e64 v12, 0, v12, s1
	v_cmp_gt_i32_e64 s1, s8, v2
	s_delay_alu instid0(VALU_DEP_3) | instskip(NEXT) | instid1(VALU_DEP_4)
	v_and_b32_e32 v7, 1, v7
	v_lshlrev_b16 v13, 8, v13
	s_delay_alu instid0(VALU_DEP_3) | instskip(SKIP_2) | instid1(VALU_DEP_4)
	v_cndmask_b32_e64 v9, v10, v9, s1
	v_cmp_eq_f32_e64 s1, s3, v4
	v_or_b32_e32 v10, 0x500, v0
	v_bitop3_b16 v13, v12, v13, 0xff bitop3:0xec
	s_delay_alu instid0(VALU_DEP_4) | instskip(NEXT) | instid1(VALU_DEP_4)
	v_lshl_or_b32 v7, v7, 16, v9
	v_cndmask_b32_e64 v16, 0, 1, s1
	v_cmp_neq_f32_e64 s1, s3, v4
	s_delay_alu instid0(VALU_DEP_4) | instskip(NEXT) | instid1(VALU_DEP_2)
	v_and_b32_e32 v13, 0xffff, v13
	v_cndmask_b32_e64 v4, 0, 1, s1
	v_cmp_gt_i32_e64 s1, s8, v10
	s_delay_alu instid0(VALU_DEP_1) | instskip(SKIP_3) | instid1(VALU_DEP_3)
	v_cndmask_b32_e64 v10, v12, v13, s1
	v_cmp_eq_f32_e64 s1, s3, v15
	v_or_b32_e32 v12, 0x200, v0
	v_cndmask_b32_e64 v4, v4, v16, s0
	v_cndmask_b32_e64 v16, 0, 1, s1
	v_cmp_neq_f32_e64 s1, s3, v15
	s_delay_alu instid0(VALU_DEP_1) | instskip(SKIP_1) | instid1(VALU_DEP_1)
	v_cndmask_b32_e64 v15, 0, 1, s1
	v_cmp_gt_i32_e64 s1, s8, v12
	v_dual_cndmask_b32 v12, v15, v16, s0 :: v_dual_cndmask_b32 v7, v9, v7, s1
	v_lshrrev_b32_e32 v13, 16, v10
	v_cmp_eq_f32_e64 s1, s3, v11
	v_and_b32_e32 v4, 1, v4
	s_delay_alu instid0(VALU_DEP_3) | instskip(SKIP_1) | instid1(VALU_DEP_3)
	v_and_b32_e32 v9, 0xffffff00, v13
	v_lshrrev_b32_e32 v13, 16, v7
	v_lshlrev_b16 v4, 8, v4
	s_delay_alu instid0(VALU_DEP_3) | instskip(SKIP_2) | instid1(VALU_DEP_4)
	v_bitop3_b16 v9, v12, v9, 1 bitop3:0xec
	v_cndmask_b32_e64 v12, 0, 1, s1
	v_cmp_neq_f32_e64 s1, s3, v11
	v_bitop3_b16 v4, v13, v4, 0xff bitop3:0xec
	v_or_b32_e32 v13, 0x600, v0
	v_lshlrev_b32_e32 v9, 16, v9
	s_delay_alu instid0(VALU_DEP_4) | instskip(SKIP_1) | instid1(VALU_DEP_3)
	v_cndmask_b32_e64 v11, 0, 1, s1
	v_cmp_eq_f32_e64 s1, s3, v6
	v_and_or_b32 v9, 0xffff, v10, v9
	s_delay_alu instid0(VALU_DEP_2) | instskip(SKIP_1) | instid1(VALU_DEP_1)
	v_cndmask_b32_e64 v15, 0, 1, s1
	v_cmp_eq_f32_e64 s1, s3, v19
	v_cndmask_b32_e64 v16, 0, 1, s1
	v_cmp_neq_f32_e64 s1, s3, v19
	s_delay_alu instid0(VALU_DEP_1) | instskip(SKIP_1) | instid1(VALU_DEP_1)
	v_cndmask_b32_e64 v19, 0, 1, s1
	v_cmp_eq_f32_e64 s1, s3, v18
	v_cndmask_b32_e64 v20, 0, 1, s1
	v_cmp_neq_f32_e64 s1, s3, v18
	s_delay_alu instid0(VALU_DEP_1) | instskip(SKIP_1) | instid1(VALU_DEP_1)
	v_cndmask_b32_e64 v18, 0, 1, s1
	v_cmp_neq_f32_e64 s1, s3, v6
	v_cndmask_b32_e64 v6, 0, 1, s1
	v_cmp_eq_f32_e64 s1, s3, v5
	v_cndmask_b32_e64 v11, v11, v12, s0
	v_or_b32_e32 v12, 0x800, v0
	s_delay_alu instid0(VALU_DEP_4) | instskip(NEXT) | instid1(VALU_DEP_4)
	v_cndmask_b32_e64 v6, v6, v15, s0
	v_cndmask_b32_e64 v21, 0, 1, s1
	v_cmp_neq_f32_e64 s1, s3, v5
	v_and_b32_e32 v11, 1, v11
	s_delay_alu instid0(VALU_DEP_2) | instskip(SKIP_2) | instid1(VALU_DEP_4)
	v_cndmask_b32_e64 v5, 0, 1, s1
	v_cndmask_b32_e64 v16, v19, v16, s0
	v_or_b32_e32 v19, 0xc00, v0
	v_lshlrev_b16 v11, 8, v11
	s_delay_alu instid0(VALU_DEP_3) | instskip(NEXT) | instid1(VALU_DEP_3)
	v_dual_cndmask_b32 v5, v5, v21, s0 :: v_dual_bitop2_b32 v16, 1, v16 bitop3:0x40
	v_cmp_gt_i32_e64 s1, s8, v19
	s_delay_alu instid0(VALU_DEP_2) | instskip(SKIP_1) | instid1(VALU_DEP_3)
	v_dual_cndmask_b32 v18, v18, v20, s0 :: v_dual_bitop2_b32 v5, 1, v5 bitop3:0x40
	v_lshlrev_b32_e32 v4, 16, v4
	v_cndmask_b32_e64 v15, 0, v16, s1
	v_cmp_gt_i32_e64 s1, s8, v12
	s_delay_alu instid0(VALU_DEP_4) | instskip(SKIP_2) | instid1(VALU_DEP_4)
	v_and_b32_e32 v18, 1, v18
	v_lshlrev_b16 v5, 8, v5
	v_and_or_b32 v4, 0xffff, v7, v4
	v_cndmask_b32_e64 v12, 0, 1, s1
	v_cmp_gt_i32_e64 s1, s8, v13
	v_lshlrev_b16 v16, 8, v18
	s_delay_alu instid0(VALU_DEP_2) | instskip(SKIP_1) | instid1(VALU_DEP_3)
	v_cndmask_b32_e64 v9, v10, v9, s1
	v_cmp_eq_f32_e64 s1, s3, v8
	v_bitop3_b16 v10, v15, v16, 0xff bitop3:0xec
	v_and_b32_e32 v6, v12, v6
	v_or_b32_e32 v12, 0xd00, v0
	s_delay_alu instid0(VALU_DEP_4) | instskip(SKIP_2) | instid1(VALU_DEP_2)
	v_cndmask_b32_e64 v13, 0, 1, s1
	v_cmp_neq_f32_e64 s1, s3, v8
	v_and_b32_e32 v10, 0xffff, v10
	v_cndmask_b32_e64 v8, 0, 1, s1
	v_cmp_gt_i32_e64 s1, s8, v12
	v_lshrrev_b32_e32 v12, 16, v9
	s_delay_alu instid0(VALU_DEP_2) | instskip(SKIP_2) | instid1(VALU_DEP_3)
	v_dual_cndmask_b32 v10, v15, v10, s1 :: v_dual_bitop2_b32 v5, v6, v5 bitop3:0x54
	v_cmp_eq_f32_e64 s1, s3, v17
	v_cndmask_b32_e64 v8, v8, v13, s0
	v_and_b32_e32 v5, 0xffff, v5
	s_delay_alu instid0(VALU_DEP_4) | instskip(NEXT) | instid1(VALU_DEP_4)
	v_lshrrev_b32_e32 v13, 16, v10
	v_cndmask_b32_e64 v15, 0, 1, s1
	v_cmp_neq_f32_e64 s1, s3, v17
	v_or_b32_e32 v17, 0x900, v0
	s_delay_alu instid0(VALU_DEP_4) | instskip(NEXT) | instid1(VALU_DEP_3)
	v_and_b32_e32 v13, 0xffffff00, v13
	v_cndmask_b32_e64 v16, 0, 1, s1
	s_delay_alu instid0(VALU_DEP_3) | instskip(NEXT) | instid1(VALU_DEP_2)
	v_cmp_gt_i32_e64 s1, s8, v17
	v_dual_cndmask_b32 v15, v16, v15, s0 :: v_dual_bitop2_b32 v8, 1, v8 bitop3:0x40
	s_delay_alu instid0(VALU_DEP_1) | instskip(SKIP_2) | instid1(VALU_DEP_4)
	v_dual_cndmask_b32 v5, v6, v5, s1 :: v_dual_lshlrev_b32 v8, 16, v8
	v_cmp_eq_f32_e64 s1, s3, v3
	v_or_b32_e32 v6, 0xa00, v0
	v_bitop3_b16 v13, v15, v13, 1 bitop3:0xec
	s_delay_alu instid0(VALU_DEP_4) | instskip(NEXT) | instid1(VALU_DEP_4)
	v_and_or_b32 v8, 0x1ff, v5, v8
	v_cndmask_b32_e64 v15, 0, 1, s1
	v_cmp_neq_f32_e64 s1, s3, v3
	s_delay_alu instid0(VALU_DEP_1) | instskip(SKIP_1) | instid1(VALU_DEP_2)
	v_cndmask_b32_e64 v3, 0, 1, s1
	v_cmp_eq_f32_e64 s1, s3, v14
	v_dual_lshlrev_b32 v13, 16, v13 :: v_dual_cndmask_b32 v3, v3, v15, s0
	s_delay_alu instid0(VALU_DEP_2) | instskip(SKIP_2) | instid1(VALU_DEP_4)
	v_cndmask_b32_e64 v16, 0, 1, s1
	v_cmp_neq_f32_e64 s1, s3, v14
	v_or_b32_e32 v15, 0xe00, v0
	v_and_or_b32 v13, 0xffff, v10, v13
	v_and_b32_e32 v3, 1, v3
	s_delay_alu instid0(VALU_DEP_4) | instskip(NEXT) | instid1(VALU_DEP_2)
	v_cndmask_b32_e64 v14, 0, 1, s1
	v_lshlrev_b16 v3, 8, v3
	s_delay_alu instid0(VALU_DEP_2) | instskip(SKIP_2) | instid1(VALU_DEP_2)
	v_cndmask_b32_e64 v14, v14, v16, s0
	v_cmp_gt_i32_e64 s0, s8, v6
	v_bitop3_b16 v6, v12, v11, 0xff bitop3:0xec
	v_cndmask_b32_e64 v8, v5, v8, s0
	v_cmp_gt_i32_e64 s0, s8, v15
	s_delay_alu instid0(VALU_DEP_1) | instskip(NEXT) | instid1(VALU_DEP_3)
	v_dual_cndmask_b32 v10, v10, v13, s0 :: v_dual_bitop2_b32 v5, 1, v14 bitop3:0x40
	v_lshrrev_b32_e32 v11, 16, v8
	v_or_b32_e32 v13, 0x300, v0
	s_delay_alu instid0(VALU_DEP_3) | instskip(NEXT) | instid1(VALU_DEP_3)
	v_lshlrev_b16 v5, 8, v5
	v_bitop3_b16 v3, v11, v3, 0xff bitop3:0xec
	s_delay_alu instid0(VALU_DEP_3) | instskip(SKIP_1) | instid1(VALU_DEP_3)
	v_cmp_gt_i32_e64 s0, s8, v13
	v_lshrrev_b32_e32 v12, 16, v10
	v_dual_lshlrev_b32 v11, 16, v6 :: v_dual_lshlrev_b32 v3, 16, v3
	s_delay_alu instid0(VALU_DEP_3) | instskip(NEXT) | instid1(VALU_DEP_3)
	v_cndmask_b32_e64 v6, v7, v4, s0
	v_bitop3_b16 v5, v12, v5, 0xff bitop3:0xec
	v_or_b32_e32 v4, 0x700, v0
	s_delay_alu instid0(VALU_DEP_4)
	v_and_or_b32 v7, 0xffff, v9, v11
	v_or_b32_e32 v11, 0xb00, v0
	v_and_or_b32 v3, 0xffff, v8, v3
	v_lshlrev_b32_e32 v5, 16, v5
	v_cmp_gt_i32_e64 s0, s8, v4
	v_or_b32_e32 v12, 0xf00, v0
	s_delay_alu instid0(VALU_DEP_3) | instskip(NEXT) | instid1(VALU_DEP_3)
	v_and_or_b32 v13, 0xffff, v10, v5
	v_cndmask_b32_e64 v5, v9, v7, s0
	v_cmp_gt_i32_e64 s0, s8, v11
	s_delay_alu instid0(VALU_DEP_1) | instskip(SKIP_1) | instid1(VALU_DEP_1)
	v_cndmask_b32_e64 v4, v8, v3, s0
	v_cmp_gt_i32_e64 s0, s8, v12
	v_cndmask_b32_e64 v3, v10, v13, s0
	s_and_saveexec_b32 s0, vcc_lo
	s_cbranch_execnz .LBB200_53
; %bb.36:
	s_or_b32 exec_lo, exec_lo, s0
	s_delay_alu instid0(SALU_CYCLE_1)
	s_mov_b32 s0, exec_lo
	v_cmpx_gt_i32_e64 s8, v0
	s_cbranch_execnz .LBB200_54
.LBB200_37:
	s_or_b32 exec_lo, exec_lo, s0
	s_delay_alu instid0(SALU_CYCLE_1)
	s_mov_b32 s0, exec_lo
	v_cmpx_gt_i32_e64 s8, v0
	s_cbranch_execnz .LBB200_55
.LBB200_38:
	s_or_b32 exec_lo, exec_lo, s0
	s_delay_alu instid0(SALU_CYCLE_1)
	s_mov_b32 s0, exec_lo
	v_cmpx_gt_i32_e64 s8, v0
	s_cbranch_execnz .LBB200_56
.LBB200_39:
	s_or_b32 exec_lo, exec_lo, s0
	s_delay_alu instid0(SALU_CYCLE_1)
	s_mov_b32 s0, exec_lo
	v_cmpx_gt_i32_e64 s8, v0
	s_cbranch_execnz .LBB200_57
.LBB200_40:
	s_or_b32 exec_lo, exec_lo, s0
	s_delay_alu instid0(SALU_CYCLE_1)
	s_mov_b32 s0, exec_lo
	v_cmpx_gt_i32_e64 s8, v0
	s_cbranch_execnz .LBB200_58
.LBB200_41:
	s_or_b32 exec_lo, exec_lo, s0
	s_delay_alu instid0(SALU_CYCLE_1)
	s_mov_b32 s0, exec_lo
	v_cmpx_gt_i32_e64 s8, v0
	s_cbranch_execnz .LBB200_59
.LBB200_42:
	s_or_b32 exec_lo, exec_lo, s0
	s_delay_alu instid0(SALU_CYCLE_1)
	s_mov_b32 s0, exec_lo
	v_cmpx_gt_i32_e64 s8, v0
	s_cbranch_execnz .LBB200_60
.LBB200_43:
	s_or_b32 exec_lo, exec_lo, s0
	s_delay_alu instid0(SALU_CYCLE_1)
	s_mov_b32 s0, exec_lo
	v_cmpx_gt_i32_e64 s8, v0
	s_cbranch_execnz .LBB200_61
.LBB200_44:
	s_or_b32 exec_lo, exec_lo, s0
	s_delay_alu instid0(SALU_CYCLE_1)
	s_mov_b32 s0, exec_lo
	v_cmpx_gt_i32_e64 s8, v0
	s_cbranch_execnz .LBB200_62
.LBB200_45:
	s_or_b32 exec_lo, exec_lo, s0
	s_delay_alu instid0(SALU_CYCLE_1)
	s_mov_b32 s0, exec_lo
	v_cmpx_gt_i32_e64 s8, v0
	s_cbranch_execnz .LBB200_63
.LBB200_46:
	s_or_b32 exec_lo, exec_lo, s0
	s_delay_alu instid0(SALU_CYCLE_1)
	s_mov_b32 s0, exec_lo
	v_cmpx_gt_i32_e64 s8, v0
	s_cbranch_execnz .LBB200_64
.LBB200_47:
	s_or_b32 exec_lo, exec_lo, s0
	s_delay_alu instid0(SALU_CYCLE_1)
	s_mov_b32 s0, exec_lo
	v_cmpx_gt_i32_e64 s8, v0
	s_cbranch_execnz .LBB200_65
.LBB200_48:
	s_or_b32 exec_lo, exec_lo, s0
	s_delay_alu instid0(SALU_CYCLE_1)
	s_mov_b32 s0, exec_lo
	v_cmpx_gt_i32_e64 s8, v0
	s_cbranch_execnz .LBB200_66
.LBB200_49:
	s_or_b32 exec_lo, exec_lo, s0
	s_delay_alu instid0(SALU_CYCLE_1)
	s_mov_b32 s0, exec_lo
	v_cmpx_gt_i32_e64 s8, v0
	s_cbranch_execnz .LBB200_67
.LBB200_50:
	s_or_b32 exec_lo, exec_lo, s0
	s_delay_alu instid0(SALU_CYCLE_1)
	s_mov_b32 s0, exec_lo
	v_cmpx_gt_i32_e64 s8, v0
	s_cbranch_execz .LBB200_52
.LBB200_51:
	v_dual_lshrrev_b32 v1, 24, v3 :: v_dual_add_nc_u32 v0, s2, v0
	global_store_b8 v0, v1, s[4:5]
.LBB200_52:
	s_endpgm
.LBB200_53:
	v_mov_b32_e32 v0, v2
	global_store_b8 v1, v6, s[4:5]
	s_wait_xcnt 0x0
	s_or_b32 exec_lo, exec_lo, s0
	s_delay_alu instid0(SALU_CYCLE_1)
	s_mov_b32 s0, exec_lo
	v_cmpx_gt_i32_e64 s8, v0
	s_cbranch_execz .LBB200_37
.LBB200_54:
	v_dual_lshrrev_b32 v1, 8, v6 :: v_dual_add_nc_u32 v2, s2, v0
	v_add_nc_u32_e32 v0, 0x100, v0
	global_store_b8 v2, v1, s[4:5]
	s_wait_xcnt 0x0
	s_or_b32 exec_lo, exec_lo, s0
	s_delay_alu instid0(SALU_CYCLE_1)
	s_mov_b32 s0, exec_lo
	v_cmpx_gt_i32_e64 s8, v0
	s_cbranch_execz .LBB200_38
.LBB200_55:
	v_add_nc_u32_e32 v1, s2, v0
	v_add_nc_u32_e32 v0, 0x100, v0
	global_store_d16_hi_b8 v1, v6, s[4:5]
	s_wait_xcnt 0x0
	s_or_b32 exec_lo, exec_lo, s0
	s_delay_alu instid0(SALU_CYCLE_1)
	s_mov_b32 s0, exec_lo
	v_cmpx_gt_i32_e64 s8, v0
	s_cbranch_execz .LBB200_39
.LBB200_56:
	v_dual_lshrrev_b32 v1, 24, v6 :: v_dual_add_nc_u32 v2, s2, v0
	v_add_nc_u32_e32 v0, 0x100, v0
	global_store_b8 v2, v1, s[4:5]
	s_wait_xcnt 0x0
	s_or_b32 exec_lo, exec_lo, s0
	s_delay_alu instid0(SALU_CYCLE_1)
	s_mov_b32 s0, exec_lo
	v_cmpx_gt_i32_e64 s8, v0
	s_cbranch_execz .LBB200_40
.LBB200_57:
	v_add_nc_u32_e32 v1, s2, v0
	v_add_nc_u32_e32 v0, 0x100, v0
	global_store_b8 v1, v5, s[4:5]
	s_wait_xcnt 0x0
	s_or_b32 exec_lo, exec_lo, s0
	s_delay_alu instid0(SALU_CYCLE_1)
	s_mov_b32 s0, exec_lo
	v_cmpx_gt_i32_e64 s8, v0
	s_cbranch_execz .LBB200_41
.LBB200_58:
	v_dual_lshrrev_b32 v1, 8, v5 :: v_dual_add_nc_u32 v2, s2, v0
	v_add_nc_u32_e32 v0, 0x100, v0
	global_store_b8 v2, v1, s[4:5]
	s_wait_xcnt 0x0
	s_or_b32 exec_lo, exec_lo, s0
	s_delay_alu instid0(SALU_CYCLE_1)
	s_mov_b32 s0, exec_lo
	v_cmpx_gt_i32_e64 s8, v0
	s_cbranch_execz .LBB200_42
.LBB200_59:
	v_add_nc_u32_e32 v1, s2, v0
	v_add_nc_u32_e32 v0, 0x100, v0
	global_store_d16_hi_b8 v1, v5, s[4:5]
	s_wait_xcnt 0x0
	s_or_b32 exec_lo, exec_lo, s0
	s_delay_alu instid0(SALU_CYCLE_1)
	s_mov_b32 s0, exec_lo
	v_cmpx_gt_i32_e64 s8, v0
	s_cbranch_execz .LBB200_43
.LBB200_60:
	v_dual_lshrrev_b32 v1, 24, v5 :: v_dual_add_nc_u32 v2, s2, v0
	v_add_nc_u32_e32 v0, 0x100, v0
	global_store_b8 v2, v1, s[4:5]
	s_wait_xcnt 0x0
	s_or_b32 exec_lo, exec_lo, s0
	s_delay_alu instid0(SALU_CYCLE_1)
	s_mov_b32 s0, exec_lo
	v_cmpx_gt_i32_e64 s8, v0
	s_cbranch_execz .LBB200_44
.LBB200_61:
	v_add_nc_u32_e32 v1, s2, v0
	v_add_nc_u32_e32 v0, 0x100, v0
	global_store_b8 v1, v4, s[4:5]
	s_wait_xcnt 0x0
	s_or_b32 exec_lo, exec_lo, s0
	s_delay_alu instid0(SALU_CYCLE_1)
	s_mov_b32 s0, exec_lo
	v_cmpx_gt_i32_e64 s8, v0
	s_cbranch_execz .LBB200_45
.LBB200_62:
	v_lshrrev_b32_e32 v1, 8, v4
	v_add_nc_u32_e32 v2, s2, v0
	v_add_nc_u32_e32 v0, 0x100, v0
	global_store_b8 v2, v1, s[4:5]
	s_wait_xcnt 0x0
	s_or_b32 exec_lo, exec_lo, s0
	s_delay_alu instid0(SALU_CYCLE_1)
	s_mov_b32 s0, exec_lo
	v_cmpx_gt_i32_e64 s8, v0
	s_cbranch_execz .LBB200_46
.LBB200_63:
	v_add_nc_u32_e32 v1, s2, v0
	v_add_nc_u32_e32 v0, 0x100, v0
	global_store_d16_hi_b8 v1, v4, s[4:5]
	s_wait_xcnt 0x0
	s_or_b32 exec_lo, exec_lo, s0
	s_delay_alu instid0(SALU_CYCLE_1)
	s_mov_b32 s0, exec_lo
	v_cmpx_gt_i32_e64 s8, v0
	s_cbranch_execz .LBB200_47
.LBB200_64:
	v_lshrrev_b32_e32 v1, 24, v4
	v_add_nc_u32_e32 v2, s2, v0
	v_add_nc_u32_e32 v0, 0x100, v0
	global_store_b8 v2, v1, s[4:5]
	s_wait_xcnt 0x0
	s_or_b32 exec_lo, exec_lo, s0
	s_delay_alu instid0(SALU_CYCLE_1)
	s_mov_b32 s0, exec_lo
	v_cmpx_gt_i32_e64 s8, v0
	s_cbranch_execz .LBB200_48
.LBB200_65:
	v_add_nc_u32_e32 v1, s2, v0
	v_add_nc_u32_e32 v0, 0x100, v0
	global_store_b8 v1, v3, s[4:5]
	s_wait_xcnt 0x0
	s_or_b32 exec_lo, exec_lo, s0
	s_delay_alu instid0(SALU_CYCLE_1)
	s_mov_b32 s0, exec_lo
	v_cmpx_gt_i32_e64 s8, v0
	s_cbranch_execz .LBB200_49
.LBB200_66:
	v_dual_lshrrev_b32 v1, 8, v3 :: v_dual_add_nc_u32 v2, s2, v0
	v_add_nc_u32_e32 v0, 0x100, v0
	global_store_b8 v2, v1, s[4:5]
	s_wait_xcnt 0x0
	s_or_b32 exec_lo, exec_lo, s0
	s_delay_alu instid0(SALU_CYCLE_1)
	s_mov_b32 s0, exec_lo
	v_cmpx_gt_i32_e64 s8, v0
	s_cbranch_execz .LBB200_50
.LBB200_67:
	v_add_nc_u32_e32 v1, s2, v0
	v_add_nc_u32_e32 v0, 0x100, v0
	global_store_d16_hi_b8 v1, v3, s[4:5]
	s_wait_xcnt 0x0
	s_or_b32 exec_lo, exec_lo, s0
	s_delay_alu instid0(SALU_CYCLE_1)
	s_mov_b32 s0, exec_lo
	v_cmpx_gt_i32_e64 s8, v0
	s_cbranch_execnz .LBB200_51
	s_branch .LBB200_52
	.section	.rodata,"a",@progbits
	.p2align	6, 0x0
	.amdhsa_kernel _ZN2at6native29vectorized_elementwise_kernelILi16ENS0_13AUnaryFunctorIN3c108BFloat16ES4_bNS0_12_GLOBAL__N_116CompareEqFunctorIS4_EEEESt5arrayIPcLm2EEEEviT0_T1_
		.amdhsa_group_segment_fixed_size 0
		.amdhsa_private_segment_fixed_size 0
		.amdhsa_kernarg_size 32
		.amdhsa_user_sgpr_count 2
		.amdhsa_user_sgpr_dispatch_ptr 0
		.amdhsa_user_sgpr_queue_ptr 0
		.amdhsa_user_sgpr_kernarg_segment_ptr 1
		.amdhsa_user_sgpr_dispatch_id 0
		.amdhsa_user_sgpr_kernarg_preload_length 0
		.amdhsa_user_sgpr_kernarg_preload_offset 0
		.amdhsa_user_sgpr_private_segment_size 0
		.amdhsa_wavefront_size32 1
		.amdhsa_uses_dynamic_stack 0
		.amdhsa_enable_private_segment 0
		.amdhsa_system_sgpr_workgroup_id_x 1
		.amdhsa_system_sgpr_workgroup_id_y 0
		.amdhsa_system_sgpr_workgroup_id_z 0
		.amdhsa_system_sgpr_workgroup_info 0
		.amdhsa_system_vgpr_workitem_id 0
		.amdhsa_next_free_vgpr 33
		.amdhsa_next_free_sgpr 14
		.amdhsa_named_barrier_count 0
		.amdhsa_reserve_vcc 1
		.amdhsa_float_round_mode_32 0
		.amdhsa_float_round_mode_16_64 0
		.amdhsa_float_denorm_mode_32 3
		.amdhsa_float_denorm_mode_16_64 3
		.amdhsa_fp16_overflow 0
		.amdhsa_memory_ordered 1
		.amdhsa_forward_progress 1
		.amdhsa_inst_pref_size 40
		.amdhsa_round_robin_scheduling 0
		.amdhsa_exception_fp_ieee_invalid_op 0
		.amdhsa_exception_fp_denorm_src 0
		.amdhsa_exception_fp_ieee_div_zero 0
		.amdhsa_exception_fp_ieee_overflow 0
		.amdhsa_exception_fp_ieee_underflow 0
		.amdhsa_exception_fp_ieee_inexact 0
		.amdhsa_exception_int_div_zero 0
	.end_amdhsa_kernel
	.section	.text._ZN2at6native29vectorized_elementwise_kernelILi16ENS0_13AUnaryFunctorIN3c108BFloat16ES4_bNS0_12_GLOBAL__N_116CompareEqFunctorIS4_EEEESt5arrayIPcLm2EEEEviT0_T1_,"axG",@progbits,_ZN2at6native29vectorized_elementwise_kernelILi16ENS0_13AUnaryFunctorIN3c108BFloat16ES4_bNS0_12_GLOBAL__N_116CompareEqFunctorIS4_EEEESt5arrayIPcLm2EEEEviT0_T1_,comdat
.Lfunc_end200:
	.size	_ZN2at6native29vectorized_elementwise_kernelILi16ENS0_13AUnaryFunctorIN3c108BFloat16ES4_bNS0_12_GLOBAL__N_116CompareEqFunctorIS4_EEEESt5arrayIPcLm2EEEEviT0_T1_, .Lfunc_end200-_ZN2at6native29vectorized_elementwise_kernelILi16ENS0_13AUnaryFunctorIN3c108BFloat16ES4_bNS0_12_GLOBAL__N_116CompareEqFunctorIS4_EEEESt5arrayIPcLm2EEEEviT0_T1_
                                        ; -- End function
	.set _ZN2at6native29vectorized_elementwise_kernelILi16ENS0_13AUnaryFunctorIN3c108BFloat16ES4_bNS0_12_GLOBAL__N_116CompareEqFunctorIS4_EEEESt5arrayIPcLm2EEEEviT0_T1_.num_vgpr, 33
	.set _ZN2at6native29vectorized_elementwise_kernelILi16ENS0_13AUnaryFunctorIN3c108BFloat16ES4_bNS0_12_GLOBAL__N_116CompareEqFunctorIS4_EEEESt5arrayIPcLm2EEEEviT0_T1_.num_agpr, 0
	.set _ZN2at6native29vectorized_elementwise_kernelILi16ENS0_13AUnaryFunctorIN3c108BFloat16ES4_bNS0_12_GLOBAL__N_116CompareEqFunctorIS4_EEEESt5arrayIPcLm2EEEEviT0_T1_.numbered_sgpr, 14
	.set _ZN2at6native29vectorized_elementwise_kernelILi16ENS0_13AUnaryFunctorIN3c108BFloat16ES4_bNS0_12_GLOBAL__N_116CompareEqFunctorIS4_EEEESt5arrayIPcLm2EEEEviT0_T1_.num_named_barrier, 0
	.set _ZN2at6native29vectorized_elementwise_kernelILi16ENS0_13AUnaryFunctorIN3c108BFloat16ES4_bNS0_12_GLOBAL__N_116CompareEqFunctorIS4_EEEESt5arrayIPcLm2EEEEviT0_T1_.private_seg_size, 0
	.set _ZN2at6native29vectorized_elementwise_kernelILi16ENS0_13AUnaryFunctorIN3c108BFloat16ES4_bNS0_12_GLOBAL__N_116CompareEqFunctorIS4_EEEESt5arrayIPcLm2EEEEviT0_T1_.uses_vcc, 1
	.set _ZN2at6native29vectorized_elementwise_kernelILi16ENS0_13AUnaryFunctorIN3c108BFloat16ES4_bNS0_12_GLOBAL__N_116CompareEqFunctorIS4_EEEESt5arrayIPcLm2EEEEviT0_T1_.uses_flat_scratch, 0
	.set _ZN2at6native29vectorized_elementwise_kernelILi16ENS0_13AUnaryFunctorIN3c108BFloat16ES4_bNS0_12_GLOBAL__N_116CompareEqFunctorIS4_EEEESt5arrayIPcLm2EEEEviT0_T1_.has_dyn_sized_stack, 0
	.set _ZN2at6native29vectorized_elementwise_kernelILi16ENS0_13AUnaryFunctorIN3c108BFloat16ES4_bNS0_12_GLOBAL__N_116CompareEqFunctorIS4_EEEESt5arrayIPcLm2EEEEviT0_T1_.has_recursion, 0
	.set _ZN2at6native29vectorized_elementwise_kernelILi16ENS0_13AUnaryFunctorIN3c108BFloat16ES4_bNS0_12_GLOBAL__N_116CompareEqFunctorIS4_EEEESt5arrayIPcLm2EEEEviT0_T1_.has_indirect_call, 0
	.section	.AMDGPU.csdata,"",@progbits
; Kernel info:
; codeLenInByte = 5080
; TotalNumSgprs: 16
; NumVgprs: 33
; ScratchSize: 0
; MemoryBound: 0
; FloatMode: 240
; IeeeMode: 1
; LDSByteSize: 0 bytes/workgroup (compile time only)
; SGPRBlocks: 0
; VGPRBlocks: 2
; NumSGPRsForWavesPerEU: 16
; NumVGPRsForWavesPerEU: 33
; NamedBarCnt: 0
; Occupancy: 16
; WaveLimiterHint : 0
; COMPUTE_PGM_RSRC2:SCRATCH_EN: 0
; COMPUTE_PGM_RSRC2:USER_SGPR: 2
; COMPUTE_PGM_RSRC2:TRAP_HANDLER: 0
; COMPUTE_PGM_RSRC2:TGID_X_EN: 1
; COMPUTE_PGM_RSRC2:TGID_Y_EN: 0
; COMPUTE_PGM_RSRC2:TGID_Z_EN: 0
; COMPUTE_PGM_RSRC2:TIDIG_COMP_CNT: 0
	.section	.text._ZN2at6native29vectorized_elementwise_kernelILi8ENS0_13AUnaryFunctorIN3c108BFloat16ES4_bNS0_12_GLOBAL__N_116CompareEqFunctorIS4_EEEESt5arrayIPcLm2EEEEviT0_T1_,"axG",@progbits,_ZN2at6native29vectorized_elementwise_kernelILi8ENS0_13AUnaryFunctorIN3c108BFloat16ES4_bNS0_12_GLOBAL__N_116CompareEqFunctorIS4_EEEESt5arrayIPcLm2EEEEviT0_T1_,comdat
	.globl	_ZN2at6native29vectorized_elementwise_kernelILi8ENS0_13AUnaryFunctorIN3c108BFloat16ES4_bNS0_12_GLOBAL__N_116CompareEqFunctorIS4_EEEESt5arrayIPcLm2EEEEviT0_T1_ ; -- Begin function _ZN2at6native29vectorized_elementwise_kernelILi8ENS0_13AUnaryFunctorIN3c108BFloat16ES4_bNS0_12_GLOBAL__N_116CompareEqFunctorIS4_EEEESt5arrayIPcLm2EEEEviT0_T1_
	.p2align	8
	.type	_ZN2at6native29vectorized_elementwise_kernelILi8ENS0_13AUnaryFunctorIN3c108BFloat16ES4_bNS0_12_GLOBAL__N_116CompareEqFunctorIS4_EEEESt5arrayIPcLm2EEEEviT0_T1_,@function
_ZN2at6native29vectorized_elementwise_kernelILi8ENS0_13AUnaryFunctorIN3c108BFloat16ES4_bNS0_12_GLOBAL__N_116CompareEqFunctorIS4_EEEESt5arrayIPcLm2EEEEviT0_T1_: ; @_ZN2at6native29vectorized_elementwise_kernelILi8ENS0_13AUnaryFunctorIN3c108BFloat16ES4_bNS0_12_GLOBAL__N_116CompareEqFunctorIS4_EEEESt5arrayIPcLm2EEEEviT0_T1_
; %bb.0:
	s_clause 0x1
	s_load_b96 s[8:10], s[0:1], 0x0
	s_load_b128 s[4:7], s[0:1], 0x10
	s_wait_xcnt 0x0
	s_bfe_u32 s0, ttmp6, 0x4000c
	s_and_b32 s1, ttmp6, 15
	s_add_co_i32 s0, s0, 1
	s_getreg_b32 s2, hwreg(HW_REG_IB_STS2, 6, 4)
	s_mul_i32 s0, ttmp9, s0
	s_delay_alu instid0(SALU_CYCLE_1) | instskip(SKIP_2) | instid1(SALU_CYCLE_1)
	s_add_co_i32 s1, s1, s0
	s_cmp_eq_u32 s2, 0
	s_cselect_b32 s0, ttmp9, s1
	s_lshl_b32 s2, s0, 12
	s_mov_b32 s0, -1
	s_wait_kmcnt 0x0
	s_sub_co_i32 s8, s8, s2
	s_delay_alu instid0(SALU_CYCLE_1)
	s_cmp_gt_i32 s8, 0xfff
	s_cbranch_scc0 .LBB201_2
; %bb.1:
	s_ashr_i32 s3, s2, 31
	s_delay_alu instid0(SALU_CYCLE_1)
	s_lshl_b64 s[0:1], s[2:3], 1
	s_cmp_eq_u32 s9, 0
	s_add_nc_u64 s[0:1], s[6:7], s[0:1]
	s_cselect_b32 vcc_lo, -1, 0
	s_clause 0x1
	global_load_b128 v[2:5], v0, s[0:1] scale_offset
	global_load_b128 v[6:9], v0, s[0:1] offset:4096 scale_offset
	s_wait_xcnt 0x0
	s_lshl_b32 s1, s10, 16
	s_add_nc_u64 s[12:13], s[4:5], s[2:3]
	s_wait_loadcnt 0x1
	v_dual_lshlrev_b32 v1, 16, v2 :: v_dual_lshlrev_b32 v10, 16, v3
	v_and_b32_e32 v2, 0xffff0000, v2
	v_and_b32_e32 v3, 0xffff0000, v3
	s_wait_loadcnt 0x0
	v_dual_lshlrev_b32 v11, 16, v4 :: v_dual_lshlrev_b32 v12, 16, v6
	v_cmp_eq_f32_e64 s0, s1, v1
	v_and_b32_e32 v4, 0xffff0000, v4
	v_and_b32_e32 v15, 0xffff0000, v5
	v_lshlrev_b32_e32 v5, 16, v5
	v_and_b32_e32 v16, 0xffff0000, v7
	v_cndmask_b32_e64 v17, 0, 1, s0
	v_cmp_neq_f32_e64 s0, s1, v1
	v_lshlrev_b32_e32 v7, 16, v7
	v_and_b32_e32 v6, 0xffff0000, v6
	v_dual_lshlrev_b32 v13, 16, v8 :: v_dual_lshlrev_b32 v14, 16, v9
	s_delay_alu instid0(VALU_DEP_4) | instskip(SKIP_3) | instid1(VALU_DEP_3)
	v_cndmask_b32_e64 v1, 0, 1, s0
	v_cmp_eq_f32_e64 s0, s1, v2
	v_and_b32_e32 v8, 0xffff0000, v8
	v_and_b32_e32 v9, 0xffff0000, v9
	v_cndmask_b32_e64 v18, 0, 1, s0
	v_cmp_neq_f32_e64 s0, s1, v2
	s_delay_alu instid0(VALU_DEP_1) | instskip(SKIP_1) | instid1(VALU_DEP_2)
	v_cndmask_b32_e64 v2, 0, 1, s0
	v_cmp_eq_f32_e64 s0, s1, v10
	v_dual_cndmask_b32 v1, v1, v17 :: v_dual_cndmask_b32 v2, v2, v18
	s_delay_alu instid0(VALU_DEP_2) | instskip(SKIP_1) | instid1(VALU_DEP_3)
	v_cndmask_b32_e64 v19, 0, 1, s0
	v_cmp_neq_f32_e64 s0, s1, v10
	v_and_b32_e32 v2, 1, v2
	s_delay_alu instid0(VALU_DEP_2) | instskip(SKIP_1) | instid1(VALU_DEP_3)
	v_cndmask_b32_e64 v10, 0, 1, s0
	v_cmp_eq_f32_e64 s0, s1, v3
	v_lshlrev_b16 v2, 8, v2
	s_delay_alu instid0(VALU_DEP_2) | instskip(SKIP_1) | instid1(VALU_DEP_3)
	v_cndmask_b32_e64 v20, 0, 1, s0
	v_cmp_neq_f32_e64 s0, s1, v3
	v_bitop3_b16 v1, v1, v2, 1 bitop3:0xec
	s_delay_alu instid0(VALU_DEP_2) | instskip(SKIP_2) | instid1(VALU_DEP_4)
	v_cndmask_b32_e64 v3, 0, 1, s0
	v_cmp_eq_f32_e64 s0, s1, v11
	v_cndmask_b32_e32 v10, v10, v19, vcc_lo
	v_and_b32_e32 v1, 0xffff, v1
	s_delay_alu instid0(VALU_DEP_4) | instskip(NEXT) | instid1(VALU_DEP_4)
	v_cndmask_b32_e32 v3, v3, v20, vcc_lo
	v_cndmask_b32_e64 v21, 0, 1, s0
	v_cmp_neq_f32_e64 s0, s1, v11
	s_delay_alu instid0(VALU_DEP_3) | instskip(NEXT) | instid1(VALU_DEP_2)
	v_and_b32_e32 v3, 1, v3
	v_cndmask_b32_e64 v11, 0, 1, s0
	v_cmp_eq_f32_e64 s0, s1, v4
	s_delay_alu instid0(VALU_DEP_3) | instskip(NEXT) | instid1(VALU_DEP_2)
	v_lshlrev_b16 v3, 8, v3
	v_cndmask_b32_e64 v22, 0, 1, s0
	v_cmp_neq_f32_e64 s0, s1, v4
	s_delay_alu instid0(VALU_DEP_3) | instskip(NEXT) | instid1(VALU_DEP_2)
	v_bitop3_b16 v2, v10, v3, 1 bitop3:0xec
	v_cndmask_b32_e64 v4, 0, 1, s0
	v_cmp_eq_f32_e64 s0, s1, v5
	s_delay_alu instid0(VALU_DEP_3) | instskip(NEXT) | instid1(VALU_DEP_3)
	v_dual_cndmask_b32 v11, v11, v21 :: v_dual_lshlrev_b32 v2, 16, v2
	v_cndmask_b32_e32 v4, v4, v22, vcc_lo
	s_delay_alu instid0(VALU_DEP_3) | instskip(SKIP_1) | instid1(VALU_DEP_4)
	v_cndmask_b32_e64 v23, 0, 1, s0
	v_cmp_neq_f32_e64 s0, s1, v5
	v_or_b32_e32 v2, v1, v2
	s_delay_alu instid0(VALU_DEP_4) | instskip(NEXT) | instid1(VALU_DEP_3)
	v_and_b32_e32 v4, 1, v4
	v_cndmask_b32_e64 v5, 0, 1, s0
	v_cmp_eq_f32_e64 s0, s1, v15
	s_delay_alu instid0(VALU_DEP_3) | instskip(NEXT) | instid1(VALU_DEP_2)
	v_lshlrev_b16 v4, 8, v4
	v_cndmask_b32_e64 v24, 0, 1, s0
	v_cmp_neq_f32_e64 s0, s1, v15
	s_delay_alu instid0(VALU_DEP_3) | instskip(NEXT) | instid1(VALU_DEP_2)
	v_bitop3_b16 v3, v11, v4, 1 bitop3:0xec
	v_cndmask_b32_e64 v15, 0, 1, s0
	v_cmp_eq_f32_e64 s0, s1, v12
	v_cndmask_b32_e32 v5, v5, v23, vcc_lo
	s_delay_alu instid0(VALU_DEP_4) | instskip(NEXT) | instid1(VALU_DEP_4)
	v_and_b32_e32 v3, 0xffff, v3
	v_cndmask_b32_e32 v15, v15, v24, vcc_lo
	s_delay_alu instid0(VALU_DEP_4) | instskip(SKIP_1) | instid1(VALU_DEP_3)
	v_cndmask_b32_e64 v25, 0, 1, s0
	v_cmp_neq_f32_e64 s0, s1, v12
	v_and_b32_e32 v15, 1, v15
	s_delay_alu instid0(VALU_DEP_2) | instskip(SKIP_1) | instid1(VALU_DEP_3)
	v_cndmask_b32_e64 v12, 0, 1, s0
	v_cmp_eq_f32_e64 s0, s1, v6
	v_lshlrev_b16 v15, 8, v15
	s_delay_alu instid0(VALU_DEP_2) | instskip(SKIP_1) | instid1(VALU_DEP_3)
	v_cndmask_b32_e64 v26, 0, 1, s0
	v_cmp_neq_f32_e64 s0, s1, v6
	v_bitop3_b16 v4, v5, v15, 1 bitop3:0xec
	s_delay_alu instid0(VALU_DEP_2) | instskip(SKIP_1) | instid1(VALU_DEP_3)
	v_cndmask_b32_e64 v6, 0, 1, s0
	v_cmp_eq_f32_e64 s0, s1, v7
	v_dual_cndmask_b32 v12, v12, v25, vcc_lo :: v_dual_lshlrev_b32 v4, 16, v4
	s_delay_alu instid0(VALU_DEP_3) | instskip(NEXT) | instid1(VALU_DEP_3)
	v_cndmask_b32_e32 v6, v6, v26, vcc_lo
	v_cndmask_b32_e64 v27, 0, 1, s0
	v_cmp_neq_f32_e64 s0, s1, v7
	s_delay_alu instid0(VALU_DEP_4) | instskip(NEXT) | instid1(VALU_DEP_4)
	v_or_b32_e32 v3, v3, v4
	v_and_b32_e32 v6, 1, v6
	s_delay_alu instid0(VALU_DEP_3) | instskip(SKIP_1) | instid1(VALU_DEP_3)
	v_cndmask_b32_e64 v7, 0, 1, s0
	v_cmp_eq_f32_e64 s0, s1, v16
	v_lshlrev_b16 v6, 8, v6
	s_delay_alu instid0(VALU_DEP_2) | instskip(SKIP_1) | instid1(VALU_DEP_3)
	v_cndmask_b32_e64 v28, 0, 1, s0
	v_cmp_neq_f32_e64 s0, s1, v16
	v_bitop3_b16 v5, v12, v6, 1 bitop3:0xec
	s_delay_alu instid0(VALU_DEP_2) | instskip(SKIP_2) | instid1(VALU_DEP_4)
	v_cndmask_b32_e64 v16, 0, 1, s0
	v_cmp_eq_f32_e64 s0, s1, v13
	v_cndmask_b32_e32 v7, v7, v27, vcc_lo
	v_and_b32_e32 v5, 0xffff, v5
	s_delay_alu instid0(VALU_DEP_4) | instskip(NEXT) | instid1(VALU_DEP_4)
	v_cndmask_b32_e32 v16, v16, v28, vcc_lo
	v_cndmask_b32_e64 v29, 0, 1, s0
	v_cmp_neq_f32_e64 s0, s1, v13
	s_delay_alu instid0(VALU_DEP_3) | instskip(NEXT) | instid1(VALU_DEP_2)
	v_and_b32_e32 v16, 1, v16
	v_cndmask_b32_e64 v13, 0, 1, s0
	v_cmp_eq_f32_e64 s0, s1, v8
	s_delay_alu instid0(VALU_DEP_3) | instskip(NEXT) | instid1(VALU_DEP_2)
	v_lshlrev_b16 v16, 8, v16
	v_cndmask_b32_e64 v30, 0, 1, s0
	v_cmp_neq_f32_e64 s0, s1, v8
	s_delay_alu instid0(VALU_DEP_3) | instskip(NEXT) | instid1(VALU_DEP_2)
	v_bitop3_b16 v6, v7, v16, 1 bitop3:0xec
	v_cndmask_b32_e64 v8, 0, 1, s0
	v_cmp_eq_f32_e64 s0, s1, v14
	s_delay_alu instid0(VALU_DEP_3) | instskip(NEXT) | instid1(VALU_DEP_3)
	v_dual_cndmask_b32 v13, v13, v29 :: v_dual_lshlrev_b32 v6, 16, v6
	v_cndmask_b32_e32 v8, v8, v30, vcc_lo
	s_delay_alu instid0(VALU_DEP_3) | instskip(SKIP_1) | instid1(VALU_DEP_4)
	v_cndmask_b32_e64 v31, 0, 1, s0
	v_cmp_neq_f32_e64 s0, s1, v14
	v_or_b32_e32 v4, v5, v6
	s_delay_alu instid0(VALU_DEP_4) | instskip(NEXT) | instid1(VALU_DEP_3)
	v_and_b32_e32 v8, 1, v8
	v_cndmask_b32_e64 v14, 0, 1, s0
	v_cmp_eq_f32_e64 s0, s1, v9
	s_delay_alu instid0(VALU_DEP_3) | instskip(NEXT) | instid1(VALU_DEP_2)
	v_lshlrev_b16 v8, 8, v8
	v_cndmask_b32_e64 v32, 0, 1, s0
	v_cmp_neq_f32_e64 s0, s1, v9
	s_delay_alu instid0(VALU_DEP_3) | instskip(NEXT) | instid1(VALU_DEP_2)
	v_bitop3_b16 v7, v13, v8, 1 bitop3:0xec
	v_cndmask_b32_e64 v9, 0, 1, s0
	v_cndmask_b32_e32 v14, v14, v31, vcc_lo
	s_delay_alu instid0(VALU_DEP_3) | instskip(SKIP_1) | instid1(VALU_DEP_3)
	v_and_b32_e32 v7, 0xffff, v7
	s_mov_b32 s0, 0
	v_cndmask_b32_e32 v9, v9, v32, vcc_lo
	s_delay_alu instid0(VALU_DEP_1) | instskip(NEXT) | instid1(VALU_DEP_1)
	v_and_b32_e32 v9, 1, v9
	v_lshlrev_b16 v9, 8, v9
	s_delay_alu instid0(VALU_DEP_1) | instskip(NEXT) | instid1(VALU_DEP_1)
	v_bitop3_b16 v8, v14, v9, 1 bitop3:0xec
	v_lshlrev_b32_e32 v8, 16, v8
	s_delay_alu instid0(VALU_DEP_1)
	v_or_b32_e32 v5, v7, v8
	s_clause 0x1
	global_store_b64 v0, v[2:3], s[12:13] scale_offset
	global_store_b64 v0, v[4:5], s[12:13] offset:2048 scale_offset
.LBB201_2:
	s_and_not1_b32 vcc_lo, exec_lo, s0
	s_cbranch_vccnz .LBB201_52
; %bb.3:
	v_cmp_gt_i32_e32 vcc_lo, s8, v0
	v_dual_mov_b32 v9, 0 :: v_dual_bitop2_b32 v1, s2, v0 bitop3:0x54
	s_wait_xcnt 0x1
	v_or_b32_e32 v2, 0x100, v0
	v_dual_mov_b32 v10, 0 :: v_dual_mov_b32 v12, v0
	s_wait_xcnt 0x0
	s_and_saveexec_b32 s0, vcc_lo
	s_cbranch_execz .LBB201_5
; %bb.4:
	global_load_u16 v3, v1, s[6:7] scale_offset
	v_or_b32_e32 v12, 0x100, v0
	s_wait_loadcnt 0x0
	v_lshlrev_b32_e32 v10, 16, v3
.LBB201_5:
	s_wait_xcnt 0x0
	s_or_b32 exec_lo, exec_lo, s0
	s_delay_alu instid0(SALU_CYCLE_1)
	s_mov_b32 s1, exec_lo
	v_cmpx_gt_i32_e64 s8, v12
	s_cbranch_execz .LBB201_7
; %bb.6:
	v_add_nc_u32_e32 v3, s2, v12
	v_add_nc_u32_e32 v12, 0x100, v12
	global_load_u16 v3, v3, s[6:7] scale_offset
	s_wait_loadcnt 0x0
	v_lshlrev_b32_e32 v9, 16, v3
.LBB201_7:
	s_wait_xcnt 0x0
	s_or_b32 exec_lo, exec_lo, s1
	v_dual_mov_b32 v4, 0 :: v_dual_mov_b32 v7, 0
	s_mov_b32 s1, exec_lo
	v_cmpx_gt_i32_e64 s8, v12
	s_cbranch_execz .LBB201_9
; %bb.8:
	v_add_nc_u32_e32 v3, s2, v12
	v_add_nc_u32_e32 v12, 0x100, v12
	global_load_u16 v3, v3, s[6:7] scale_offset
	s_wait_loadcnt 0x0
	v_lshlrev_b32_e32 v7, 16, v3
.LBB201_9:
	s_wait_xcnt 0x0
	s_or_b32 exec_lo, exec_lo, s1
	s_delay_alu instid0(SALU_CYCLE_1)
	s_mov_b32 s1, exec_lo
	v_cmpx_gt_i32_e64 s8, v12
	s_cbranch_execz .LBB201_11
; %bb.10:
	v_add_nc_u32_e32 v3, s2, v12
	v_add_nc_u32_e32 v12, 0x100, v12
	global_load_u16 v3, v3, s[6:7] scale_offset
	s_wait_loadcnt 0x0
	v_lshlrev_b32_e32 v4, 16, v3
.LBB201_11:
	s_wait_xcnt 0x0
	s_or_b32 exec_lo, exec_lo, s1
	v_dual_mov_b32 v13, 0 :: v_dual_mov_b32 v16, 0
	s_mov_b32 s1, exec_lo
	v_cmpx_gt_i32_e64 s8, v12
	s_cbranch_execz .LBB201_13
; %bb.12:
	v_add_nc_u32_e32 v3, s2, v12
	v_add_nc_u32_e32 v12, 0x100, v12
	global_load_u16 v3, v3, s[6:7] scale_offset
	s_wait_loadcnt 0x0
	v_lshlrev_b32_e32 v16, 16, v3
.LBB201_13:
	;; [unrolled: 26-line block ×5, first 2 shown]
	s_or_b32 exec_lo, exec_lo, s1
	s_delay_alu instid0(SALU_CYCLE_1)
	s_mov_b32 s1, exec_lo
	v_cmpx_gt_i32_e64 s8, v12
	s_cbranch_execz .LBB201_27
; %bb.26:
	v_add_nc_u32_e32 v3, s2, v12
	v_add_nc_u32_e32 v12, 0x100, v12
	global_load_u16 v3, v3, s[6:7] scale_offset
	s_wait_loadcnt 0x0
	v_lshlrev_b32_e32 v3, 16, v3
.LBB201_27:
	s_or_b32 exec_lo, exec_lo, s1
	v_dual_mov_b32 v18, 0 :: v_dual_mov_b32 v19, 0
	s_mov_b32 s1, exec_lo
	v_cmpx_gt_i32_e64 s8, v12
	s_cbranch_execz .LBB201_29
; %bb.28:
	v_add_nc_u32_e32 v14, s2, v12
	v_add_nc_u32_e32 v12, 0x100, v12
	global_load_u16 v14, v14, s[6:7] scale_offset
	s_wait_loadcnt 0x0
	v_lshlrev_b32_e32 v19, 16, v14
.LBB201_29:
	s_wait_xcnt 0x0
	s_or_b32 exec_lo, exec_lo, s1
	s_delay_alu instid0(SALU_CYCLE_1)
	s_mov_b32 s1, exec_lo
	v_cmpx_gt_i32_e64 s8, v12
	s_cbranch_execz .LBB201_31
; %bb.30:
	v_add_nc_u32_e32 v14, s2, v12
	v_add_nc_u32_e32 v12, 0x100, v12
	global_load_u16 v14, v14, s[6:7] scale_offset
	s_wait_loadcnt 0x0
	v_lshlrev_b32_e32 v18, 16, v14
.LBB201_31:
	s_wait_xcnt 0x0
	s_or_b32 exec_lo, exec_lo, s1
	v_dual_mov_b32 v14, 0 :: v_dual_mov_b32 v17, 0
	s_mov_b32 s1, exec_lo
	v_cmpx_gt_i32_e64 s8, v12
	s_cbranch_execz .LBB201_33
; %bb.32:
	v_add_nc_u32_e32 v17, s2, v12
	v_add_nc_u32_e32 v12, 0x100, v12
	global_load_u16 v17, v17, s[6:7] scale_offset
	s_wait_loadcnt 0x0
	v_lshlrev_b32_e32 v17, 16, v17
.LBB201_33:
	s_or_b32 exec_lo, exec_lo, s1
	s_delay_alu instid0(SALU_CYCLE_1)
	s_mov_b32 s1, exec_lo
	v_cmpx_gt_i32_e64 s8, v12
	s_cbranch_execz .LBB201_35
; %bb.34:
	v_add_nc_u32_e32 v12, s2, v12
	global_load_u16 v12, v12, s[6:7] scale_offset
	s_wait_loadcnt 0x0
	v_lshlrev_b32_e32 v14, 16, v12
.LBB201_35:
	s_wait_xcnt 0x0
	s_or_b32 exec_lo, exec_lo, s1
	s_cmp_eq_u32 s9, 0
	s_cselect_b32 s0, -1, 0
	s_lshl_b32 s3, s10, 16
	s_delay_alu instid0(SALU_CYCLE_1) | instskip(NEXT) | instid1(VALU_DEP_1)
	v_cmp_eq_f32_e64 s1, s3, v10
	v_cndmask_b32_e64 v12, 0, 1, s1
	v_cmp_neq_f32_e64 s1, s3, v10
	s_delay_alu instid0(VALU_DEP_1) | instskip(SKIP_1) | instid1(VALU_DEP_1)
	v_cndmask_b32_e64 v10, 0, 1, s1
	v_cmp_eq_f32_e64 s1, s3, v9
	v_cndmask_b32_e64 v20, 0, 1, s1
	v_cmp_neq_f32_e64 s1, s3, v9
	s_delay_alu instid0(VALU_DEP_1) | instskip(SKIP_1) | instid1(VALU_DEP_2)
	v_cndmask_b32_e64 v9, 0, 1, s1
	v_cmp_eq_f32_e64 s1, s3, v16
	v_cndmask_b32_e64 v9, v9, v20, s0
	s_delay_alu instid0(VALU_DEP_2) | instskip(SKIP_4) | instid1(VALU_DEP_4)
	v_cndmask_b32_e64 v20, 0, 1, s1
	v_cmp_neq_f32_e64 s1, s3, v16
	v_cndmask_b32_e64 v10, v10, v12, s0
	v_cndmask_b32_e64 v12, 0, 1, vcc_lo
	v_and_b32_e32 v9, 1, v9
	v_cndmask_b32_e64 v16, 0, 1, s1
	v_cmp_eq_f32_e64 s1, s3, v13
	s_delay_alu instid0(VALU_DEP_4) | instskip(NEXT) | instid1(VALU_DEP_4)
	v_and_b32_e32 v10, v12, v10
	v_lshlrev_b16 v9, 8, v9
	s_delay_alu instid0(VALU_DEP_4) | instskip(NEXT) | instid1(VALU_DEP_4)
	v_cndmask_b32_e64 v12, v16, v20, s0
	v_cndmask_b32_e64 v16, 0, 1, s1
	v_cmp_neq_f32_e64 s1, s3, v13
	s_delay_alu instid0(VALU_DEP_4) | instskip(SKIP_2) | instid1(VALU_DEP_4)
	v_or_b32_e32 v9, v10, v9
	v_or_b32_e32 v20, 0x400, v0
	v_bitop3_b16 v12, v12, 0, 1 bitop3:0xec
	v_cndmask_b32_e64 v13, 0, 1, s1
	v_cmp_eq_f32_e64 s1, s3, v7
	v_and_b32_e32 v9, 0xffff, v9
	s_delay_alu instid0(VALU_DEP_4) | instskip(NEXT) | instid1(VALU_DEP_4)
	v_and_b32_e32 v12, 0xffff, v12
	v_cndmask_b32_e64 v13, v13, v16, s0
	s_delay_alu instid0(VALU_DEP_4) | instskip(SKIP_1) | instid1(VALU_DEP_1)
	v_cndmask_b32_e64 v16, 0, 1, s1
	v_cmp_neq_f32_e64 s1, s3, v7
	v_cndmask_b32_e64 v7, 0, 1, s1
	v_cmp_gt_i32_e64 s1, s8, v20
	s_delay_alu instid0(VALU_DEP_2) | instskip(NEXT) | instid1(VALU_DEP_2)
	v_dual_cndmask_b32 v7, v7, v16, s0 :: v_dual_bitop2_b32 v13, 1, v13 bitop3:0x40
	v_cndmask_b32_e64 v12, 0, v12, s1
	v_cmp_gt_i32_e64 s1, s8, v2
	s_delay_alu instid0(VALU_DEP_3) | instskip(NEXT) | instid1(VALU_DEP_4)
	v_and_b32_e32 v7, 1, v7
	v_lshlrev_b16 v13, 8, v13
	s_delay_alu instid0(VALU_DEP_3) | instskip(SKIP_2) | instid1(VALU_DEP_4)
	v_cndmask_b32_e64 v9, v10, v9, s1
	v_cmp_eq_f32_e64 s1, s3, v4
	v_or_b32_e32 v10, 0x500, v0
	v_bitop3_b16 v13, v12, v13, 0xff bitop3:0xec
	s_delay_alu instid0(VALU_DEP_4) | instskip(NEXT) | instid1(VALU_DEP_4)
	v_lshl_or_b32 v7, v7, 16, v9
	v_cndmask_b32_e64 v16, 0, 1, s1
	v_cmp_neq_f32_e64 s1, s3, v4
	s_delay_alu instid0(VALU_DEP_4) | instskip(NEXT) | instid1(VALU_DEP_2)
	v_and_b32_e32 v13, 0xffff, v13
	v_cndmask_b32_e64 v4, 0, 1, s1
	v_cmp_gt_i32_e64 s1, s8, v10
	s_delay_alu instid0(VALU_DEP_1) | instskip(SKIP_3) | instid1(VALU_DEP_3)
	v_cndmask_b32_e64 v10, v12, v13, s1
	v_cmp_eq_f32_e64 s1, s3, v15
	v_or_b32_e32 v12, 0x200, v0
	v_cndmask_b32_e64 v4, v4, v16, s0
	v_cndmask_b32_e64 v16, 0, 1, s1
	v_cmp_neq_f32_e64 s1, s3, v15
	s_delay_alu instid0(VALU_DEP_1) | instskip(SKIP_1) | instid1(VALU_DEP_1)
	v_cndmask_b32_e64 v15, 0, 1, s1
	v_cmp_gt_i32_e64 s1, s8, v12
	v_dual_cndmask_b32 v12, v15, v16, s0 :: v_dual_cndmask_b32 v7, v9, v7, s1
	v_lshrrev_b32_e32 v13, 16, v10
	v_cmp_eq_f32_e64 s1, s3, v11
	v_and_b32_e32 v4, 1, v4
	s_delay_alu instid0(VALU_DEP_3) | instskip(SKIP_1) | instid1(VALU_DEP_3)
	v_and_b32_e32 v9, 0xffffff00, v13
	v_lshrrev_b32_e32 v13, 16, v7
	v_lshlrev_b16 v4, 8, v4
	s_delay_alu instid0(VALU_DEP_3) | instskip(SKIP_2) | instid1(VALU_DEP_4)
	v_bitop3_b16 v9, v12, v9, 1 bitop3:0xec
	v_cndmask_b32_e64 v12, 0, 1, s1
	v_cmp_neq_f32_e64 s1, s3, v11
	v_bitop3_b16 v4, v13, v4, 0xff bitop3:0xec
	v_or_b32_e32 v13, 0x600, v0
	v_lshlrev_b32_e32 v9, 16, v9
	s_delay_alu instid0(VALU_DEP_4) | instskip(SKIP_1) | instid1(VALU_DEP_3)
	v_cndmask_b32_e64 v11, 0, 1, s1
	v_cmp_eq_f32_e64 s1, s3, v6
	v_and_or_b32 v9, 0xffff, v10, v9
	s_delay_alu instid0(VALU_DEP_2) | instskip(SKIP_1) | instid1(VALU_DEP_1)
	v_cndmask_b32_e64 v15, 0, 1, s1
	v_cmp_eq_f32_e64 s1, s3, v19
	v_cndmask_b32_e64 v16, 0, 1, s1
	v_cmp_neq_f32_e64 s1, s3, v19
	s_delay_alu instid0(VALU_DEP_1) | instskip(SKIP_1) | instid1(VALU_DEP_1)
	v_cndmask_b32_e64 v19, 0, 1, s1
	v_cmp_eq_f32_e64 s1, s3, v18
	v_cndmask_b32_e64 v20, 0, 1, s1
	v_cmp_neq_f32_e64 s1, s3, v18
	s_delay_alu instid0(VALU_DEP_1) | instskip(SKIP_1) | instid1(VALU_DEP_1)
	v_cndmask_b32_e64 v18, 0, 1, s1
	v_cmp_neq_f32_e64 s1, s3, v6
	v_cndmask_b32_e64 v6, 0, 1, s1
	v_cmp_eq_f32_e64 s1, s3, v5
	v_cndmask_b32_e64 v11, v11, v12, s0
	v_or_b32_e32 v12, 0x800, v0
	s_delay_alu instid0(VALU_DEP_4) | instskip(NEXT) | instid1(VALU_DEP_4)
	v_cndmask_b32_e64 v6, v6, v15, s0
	v_cndmask_b32_e64 v21, 0, 1, s1
	v_cmp_neq_f32_e64 s1, s3, v5
	v_and_b32_e32 v11, 1, v11
	s_delay_alu instid0(VALU_DEP_2) | instskip(SKIP_2) | instid1(VALU_DEP_4)
	v_cndmask_b32_e64 v5, 0, 1, s1
	v_cndmask_b32_e64 v16, v19, v16, s0
	v_or_b32_e32 v19, 0xc00, v0
	v_lshlrev_b16 v11, 8, v11
	s_delay_alu instid0(VALU_DEP_3) | instskip(NEXT) | instid1(VALU_DEP_3)
	v_dual_cndmask_b32 v5, v5, v21, s0 :: v_dual_bitop2_b32 v16, 1, v16 bitop3:0x40
	v_cmp_gt_i32_e64 s1, s8, v19
	s_delay_alu instid0(VALU_DEP_2) | instskip(SKIP_1) | instid1(VALU_DEP_3)
	v_dual_cndmask_b32 v18, v18, v20, s0 :: v_dual_bitop2_b32 v5, 1, v5 bitop3:0x40
	v_lshlrev_b32_e32 v4, 16, v4
	v_cndmask_b32_e64 v15, 0, v16, s1
	v_cmp_gt_i32_e64 s1, s8, v12
	s_delay_alu instid0(VALU_DEP_4) | instskip(SKIP_2) | instid1(VALU_DEP_4)
	v_and_b32_e32 v18, 1, v18
	v_lshlrev_b16 v5, 8, v5
	v_and_or_b32 v4, 0xffff, v7, v4
	v_cndmask_b32_e64 v12, 0, 1, s1
	v_cmp_gt_i32_e64 s1, s8, v13
	v_lshlrev_b16 v16, 8, v18
	s_delay_alu instid0(VALU_DEP_2) | instskip(SKIP_1) | instid1(VALU_DEP_3)
	v_cndmask_b32_e64 v9, v10, v9, s1
	v_cmp_eq_f32_e64 s1, s3, v8
	v_bitop3_b16 v10, v15, v16, 0xff bitop3:0xec
	v_and_b32_e32 v6, v12, v6
	v_or_b32_e32 v12, 0xd00, v0
	s_delay_alu instid0(VALU_DEP_4) | instskip(SKIP_2) | instid1(VALU_DEP_2)
	v_cndmask_b32_e64 v13, 0, 1, s1
	v_cmp_neq_f32_e64 s1, s3, v8
	v_and_b32_e32 v10, 0xffff, v10
	v_cndmask_b32_e64 v8, 0, 1, s1
	v_cmp_gt_i32_e64 s1, s8, v12
	v_lshrrev_b32_e32 v12, 16, v9
	s_delay_alu instid0(VALU_DEP_2) | instskip(SKIP_2) | instid1(VALU_DEP_3)
	v_dual_cndmask_b32 v10, v15, v10, s1 :: v_dual_bitop2_b32 v5, v6, v5 bitop3:0x54
	v_cmp_eq_f32_e64 s1, s3, v17
	v_cndmask_b32_e64 v8, v8, v13, s0
	v_and_b32_e32 v5, 0xffff, v5
	s_delay_alu instid0(VALU_DEP_4) | instskip(NEXT) | instid1(VALU_DEP_4)
	v_lshrrev_b32_e32 v13, 16, v10
	v_cndmask_b32_e64 v15, 0, 1, s1
	v_cmp_neq_f32_e64 s1, s3, v17
	v_or_b32_e32 v17, 0x900, v0
	s_delay_alu instid0(VALU_DEP_4) | instskip(NEXT) | instid1(VALU_DEP_3)
	v_and_b32_e32 v13, 0xffffff00, v13
	v_cndmask_b32_e64 v16, 0, 1, s1
	s_delay_alu instid0(VALU_DEP_3) | instskip(NEXT) | instid1(VALU_DEP_2)
	v_cmp_gt_i32_e64 s1, s8, v17
	v_dual_cndmask_b32 v15, v16, v15, s0 :: v_dual_bitop2_b32 v8, 1, v8 bitop3:0x40
	s_delay_alu instid0(VALU_DEP_1) | instskip(SKIP_2) | instid1(VALU_DEP_4)
	v_dual_cndmask_b32 v5, v6, v5, s1 :: v_dual_lshlrev_b32 v8, 16, v8
	v_cmp_eq_f32_e64 s1, s3, v3
	v_or_b32_e32 v6, 0xa00, v0
	v_bitop3_b16 v13, v15, v13, 1 bitop3:0xec
	s_delay_alu instid0(VALU_DEP_4) | instskip(NEXT) | instid1(VALU_DEP_4)
	v_and_or_b32 v8, 0x1ff, v5, v8
	v_cndmask_b32_e64 v15, 0, 1, s1
	v_cmp_neq_f32_e64 s1, s3, v3
	s_delay_alu instid0(VALU_DEP_1) | instskip(SKIP_1) | instid1(VALU_DEP_2)
	v_cndmask_b32_e64 v3, 0, 1, s1
	v_cmp_eq_f32_e64 s1, s3, v14
	v_dual_lshlrev_b32 v13, 16, v13 :: v_dual_cndmask_b32 v3, v3, v15, s0
	s_delay_alu instid0(VALU_DEP_2) | instskip(SKIP_2) | instid1(VALU_DEP_4)
	v_cndmask_b32_e64 v16, 0, 1, s1
	v_cmp_neq_f32_e64 s1, s3, v14
	v_or_b32_e32 v15, 0xe00, v0
	v_and_or_b32 v13, 0xffff, v10, v13
	v_and_b32_e32 v3, 1, v3
	s_delay_alu instid0(VALU_DEP_4) | instskip(NEXT) | instid1(VALU_DEP_2)
	v_cndmask_b32_e64 v14, 0, 1, s1
	v_lshlrev_b16 v3, 8, v3
	s_delay_alu instid0(VALU_DEP_2) | instskip(SKIP_2) | instid1(VALU_DEP_2)
	v_cndmask_b32_e64 v14, v14, v16, s0
	v_cmp_gt_i32_e64 s0, s8, v6
	v_bitop3_b16 v6, v12, v11, 0xff bitop3:0xec
	v_cndmask_b32_e64 v8, v5, v8, s0
	v_cmp_gt_i32_e64 s0, s8, v15
	s_delay_alu instid0(VALU_DEP_1) | instskip(NEXT) | instid1(VALU_DEP_3)
	v_dual_cndmask_b32 v10, v10, v13, s0 :: v_dual_bitop2_b32 v5, 1, v14 bitop3:0x40
	v_lshrrev_b32_e32 v11, 16, v8
	v_or_b32_e32 v13, 0x300, v0
	s_delay_alu instid0(VALU_DEP_3) | instskip(NEXT) | instid1(VALU_DEP_3)
	v_lshlrev_b16 v5, 8, v5
	v_bitop3_b16 v3, v11, v3, 0xff bitop3:0xec
	s_delay_alu instid0(VALU_DEP_3) | instskip(SKIP_1) | instid1(VALU_DEP_3)
	v_cmp_gt_i32_e64 s0, s8, v13
	v_lshrrev_b32_e32 v12, 16, v10
	v_dual_lshlrev_b32 v11, 16, v6 :: v_dual_lshlrev_b32 v3, 16, v3
	s_delay_alu instid0(VALU_DEP_3) | instskip(NEXT) | instid1(VALU_DEP_3)
	v_cndmask_b32_e64 v6, v7, v4, s0
	v_bitop3_b16 v5, v12, v5, 0xff bitop3:0xec
	v_or_b32_e32 v4, 0x700, v0
	s_delay_alu instid0(VALU_DEP_4)
	v_and_or_b32 v7, 0xffff, v9, v11
	v_or_b32_e32 v11, 0xb00, v0
	v_and_or_b32 v3, 0xffff, v8, v3
	v_lshlrev_b32_e32 v5, 16, v5
	v_cmp_gt_i32_e64 s0, s8, v4
	v_or_b32_e32 v12, 0xf00, v0
	s_delay_alu instid0(VALU_DEP_3) | instskip(NEXT) | instid1(VALU_DEP_3)
	v_and_or_b32 v13, 0xffff, v10, v5
	v_cndmask_b32_e64 v5, v9, v7, s0
	v_cmp_gt_i32_e64 s0, s8, v11
	s_delay_alu instid0(VALU_DEP_1) | instskip(SKIP_1) | instid1(VALU_DEP_1)
	v_cndmask_b32_e64 v4, v8, v3, s0
	v_cmp_gt_i32_e64 s0, s8, v12
	v_cndmask_b32_e64 v3, v10, v13, s0
	s_and_saveexec_b32 s0, vcc_lo
	s_cbranch_execnz .LBB201_53
; %bb.36:
	s_or_b32 exec_lo, exec_lo, s0
	s_delay_alu instid0(SALU_CYCLE_1)
	s_mov_b32 s0, exec_lo
	v_cmpx_gt_i32_e64 s8, v0
	s_cbranch_execnz .LBB201_54
.LBB201_37:
	s_or_b32 exec_lo, exec_lo, s0
	s_delay_alu instid0(SALU_CYCLE_1)
	s_mov_b32 s0, exec_lo
	v_cmpx_gt_i32_e64 s8, v0
	s_cbranch_execnz .LBB201_55
.LBB201_38:
	s_or_b32 exec_lo, exec_lo, s0
	s_delay_alu instid0(SALU_CYCLE_1)
	s_mov_b32 s0, exec_lo
	v_cmpx_gt_i32_e64 s8, v0
	s_cbranch_execnz .LBB201_56
.LBB201_39:
	s_or_b32 exec_lo, exec_lo, s0
	s_delay_alu instid0(SALU_CYCLE_1)
	s_mov_b32 s0, exec_lo
	v_cmpx_gt_i32_e64 s8, v0
	s_cbranch_execnz .LBB201_57
.LBB201_40:
	s_or_b32 exec_lo, exec_lo, s0
	s_delay_alu instid0(SALU_CYCLE_1)
	s_mov_b32 s0, exec_lo
	v_cmpx_gt_i32_e64 s8, v0
	s_cbranch_execnz .LBB201_58
.LBB201_41:
	s_or_b32 exec_lo, exec_lo, s0
	s_delay_alu instid0(SALU_CYCLE_1)
	s_mov_b32 s0, exec_lo
	v_cmpx_gt_i32_e64 s8, v0
	s_cbranch_execnz .LBB201_59
.LBB201_42:
	s_or_b32 exec_lo, exec_lo, s0
	s_delay_alu instid0(SALU_CYCLE_1)
	s_mov_b32 s0, exec_lo
	v_cmpx_gt_i32_e64 s8, v0
	s_cbranch_execnz .LBB201_60
.LBB201_43:
	s_or_b32 exec_lo, exec_lo, s0
	s_delay_alu instid0(SALU_CYCLE_1)
	s_mov_b32 s0, exec_lo
	v_cmpx_gt_i32_e64 s8, v0
	s_cbranch_execnz .LBB201_61
.LBB201_44:
	s_or_b32 exec_lo, exec_lo, s0
	s_delay_alu instid0(SALU_CYCLE_1)
	s_mov_b32 s0, exec_lo
	v_cmpx_gt_i32_e64 s8, v0
	s_cbranch_execnz .LBB201_62
.LBB201_45:
	s_or_b32 exec_lo, exec_lo, s0
	s_delay_alu instid0(SALU_CYCLE_1)
	s_mov_b32 s0, exec_lo
	v_cmpx_gt_i32_e64 s8, v0
	s_cbranch_execnz .LBB201_63
.LBB201_46:
	s_or_b32 exec_lo, exec_lo, s0
	s_delay_alu instid0(SALU_CYCLE_1)
	s_mov_b32 s0, exec_lo
	v_cmpx_gt_i32_e64 s8, v0
	s_cbranch_execnz .LBB201_64
.LBB201_47:
	s_or_b32 exec_lo, exec_lo, s0
	s_delay_alu instid0(SALU_CYCLE_1)
	s_mov_b32 s0, exec_lo
	v_cmpx_gt_i32_e64 s8, v0
	s_cbranch_execnz .LBB201_65
.LBB201_48:
	s_or_b32 exec_lo, exec_lo, s0
	s_delay_alu instid0(SALU_CYCLE_1)
	s_mov_b32 s0, exec_lo
	v_cmpx_gt_i32_e64 s8, v0
	s_cbranch_execnz .LBB201_66
.LBB201_49:
	s_or_b32 exec_lo, exec_lo, s0
	s_delay_alu instid0(SALU_CYCLE_1)
	s_mov_b32 s0, exec_lo
	v_cmpx_gt_i32_e64 s8, v0
	s_cbranch_execnz .LBB201_67
.LBB201_50:
	s_or_b32 exec_lo, exec_lo, s0
	s_delay_alu instid0(SALU_CYCLE_1)
	s_mov_b32 s0, exec_lo
	v_cmpx_gt_i32_e64 s8, v0
	s_cbranch_execz .LBB201_52
.LBB201_51:
	v_dual_lshrrev_b32 v1, 24, v3 :: v_dual_add_nc_u32 v0, s2, v0
	global_store_b8 v0, v1, s[4:5]
.LBB201_52:
	s_endpgm
.LBB201_53:
	v_mov_b32_e32 v0, v2
	global_store_b8 v1, v6, s[4:5]
	s_wait_xcnt 0x0
	s_or_b32 exec_lo, exec_lo, s0
	s_delay_alu instid0(SALU_CYCLE_1)
	s_mov_b32 s0, exec_lo
	v_cmpx_gt_i32_e64 s8, v0
	s_cbranch_execz .LBB201_37
.LBB201_54:
	v_dual_lshrrev_b32 v1, 8, v6 :: v_dual_add_nc_u32 v2, s2, v0
	v_add_nc_u32_e32 v0, 0x100, v0
	global_store_b8 v2, v1, s[4:5]
	s_wait_xcnt 0x0
	s_or_b32 exec_lo, exec_lo, s0
	s_delay_alu instid0(SALU_CYCLE_1)
	s_mov_b32 s0, exec_lo
	v_cmpx_gt_i32_e64 s8, v0
	s_cbranch_execz .LBB201_38
.LBB201_55:
	v_add_nc_u32_e32 v1, s2, v0
	v_add_nc_u32_e32 v0, 0x100, v0
	global_store_d16_hi_b8 v1, v6, s[4:5]
	s_wait_xcnt 0x0
	s_or_b32 exec_lo, exec_lo, s0
	s_delay_alu instid0(SALU_CYCLE_1)
	s_mov_b32 s0, exec_lo
	v_cmpx_gt_i32_e64 s8, v0
	s_cbranch_execz .LBB201_39
.LBB201_56:
	v_dual_lshrrev_b32 v1, 24, v6 :: v_dual_add_nc_u32 v2, s2, v0
	v_add_nc_u32_e32 v0, 0x100, v0
	global_store_b8 v2, v1, s[4:5]
	s_wait_xcnt 0x0
	s_or_b32 exec_lo, exec_lo, s0
	s_delay_alu instid0(SALU_CYCLE_1)
	s_mov_b32 s0, exec_lo
	v_cmpx_gt_i32_e64 s8, v0
	s_cbranch_execz .LBB201_40
.LBB201_57:
	v_add_nc_u32_e32 v1, s2, v0
	v_add_nc_u32_e32 v0, 0x100, v0
	global_store_b8 v1, v5, s[4:5]
	s_wait_xcnt 0x0
	s_or_b32 exec_lo, exec_lo, s0
	s_delay_alu instid0(SALU_CYCLE_1)
	s_mov_b32 s0, exec_lo
	v_cmpx_gt_i32_e64 s8, v0
	s_cbranch_execz .LBB201_41
.LBB201_58:
	v_dual_lshrrev_b32 v1, 8, v5 :: v_dual_add_nc_u32 v2, s2, v0
	v_add_nc_u32_e32 v0, 0x100, v0
	global_store_b8 v2, v1, s[4:5]
	s_wait_xcnt 0x0
	s_or_b32 exec_lo, exec_lo, s0
	s_delay_alu instid0(SALU_CYCLE_1)
	s_mov_b32 s0, exec_lo
	v_cmpx_gt_i32_e64 s8, v0
	s_cbranch_execz .LBB201_42
.LBB201_59:
	v_add_nc_u32_e32 v1, s2, v0
	v_add_nc_u32_e32 v0, 0x100, v0
	global_store_d16_hi_b8 v1, v5, s[4:5]
	s_wait_xcnt 0x0
	s_or_b32 exec_lo, exec_lo, s0
	s_delay_alu instid0(SALU_CYCLE_1)
	s_mov_b32 s0, exec_lo
	v_cmpx_gt_i32_e64 s8, v0
	s_cbranch_execz .LBB201_43
.LBB201_60:
	v_dual_lshrrev_b32 v1, 24, v5 :: v_dual_add_nc_u32 v2, s2, v0
	v_add_nc_u32_e32 v0, 0x100, v0
	global_store_b8 v2, v1, s[4:5]
	s_wait_xcnt 0x0
	s_or_b32 exec_lo, exec_lo, s0
	s_delay_alu instid0(SALU_CYCLE_1)
	s_mov_b32 s0, exec_lo
	v_cmpx_gt_i32_e64 s8, v0
	s_cbranch_execz .LBB201_44
.LBB201_61:
	v_add_nc_u32_e32 v1, s2, v0
	v_add_nc_u32_e32 v0, 0x100, v0
	global_store_b8 v1, v4, s[4:5]
	s_wait_xcnt 0x0
	s_or_b32 exec_lo, exec_lo, s0
	s_delay_alu instid0(SALU_CYCLE_1)
	s_mov_b32 s0, exec_lo
	v_cmpx_gt_i32_e64 s8, v0
	s_cbranch_execz .LBB201_45
.LBB201_62:
	v_lshrrev_b32_e32 v1, 8, v4
	v_add_nc_u32_e32 v2, s2, v0
	v_add_nc_u32_e32 v0, 0x100, v0
	global_store_b8 v2, v1, s[4:5]
	s_wait_xcnt 0x0
	s_or_b32 exec_lo, exec_lo, s0
	s_delay_alu instid0(SALU_CYCLE_1)
	s_mov_b32 s0, exec_lo
	v_cmpx_gt_i32_e64 s8, v0
	s_cbranch_execz .LBB201_46
.LBB201_63:
	v_add_nc_u32_e32 v1, s2, v0
	v_add_nc_u32_e32 v0, 0x100, v0
	global_store_d16_hi_b8 v1, v4, s[4:5]
	s_wait_xcnt 0x0
	s_or_b32 exec_lo, exec_lo, s0
	s_delay_alu instid0(SALU_CYCLE_1)
	s_mov_b32 s0, exec_lo
	v_cmpx_gt_i32_e64 s8, v0
	s_cbranch_execz .LBB201_47
.LBB201_64:
	v_lshrrev_b32_e32 v1, 24, v4
	v_add_nc_u32_e32 v2, s2, v0
	v_add_nc_u32_e32 v0, 0x100, v0
	global_store_b8 v2, v1, s[4:5]
	s_wait_xcnt 0x0
	s_or_b32 exec_lo, exec_lo, s0
	s_delay_alu instid0(SALU_CYCLE_1)
	s_mov_b32 s0, exec_lo
	v_cmpx_gt_i32_e64 s8, v0
	s_cbranch_execz .LBB201_48
.LBB201_65:
	v_add_nc_u32_e32 v1, s2, v0
	v_add_nc_u32_e32 v0, 0x100, v0
	global_store_b8 v1, v3, s[4:5]
	s_wait_xcnt 0x0
	s_or_b32 exec_lo, exec_lo, s0
	s_delay_alu instid0(SALU_CYCLE_1)
	s_mov_b32 s0, exec_lo
	v_cmpx_gt_i32_e64 s8, v0
	s_cbranch_execz .LBB201_49
.LBB201_66:
	v_dual_lshrrev_b32 v1, 8, v3 :: v_dual_add_nc_u32 v2, s2, v0
	v_add_nc_u32_e32 v0, 0x100, v0
	global_store_b8 v2, v1, s[4:5]
	s_wait_xcnt 0x0
	s_or_b32 exec_lo, exec_lo, s0
	s_delay_alu instid0(SALU_CYCLE_1)
	s_mov_b32 s0, exec_lo
	v_cmpx_gt_i32_e64 s8, v0
	s_cbranch_execz .LBB201_50
.LBB201_67:
	v_add_nc_u32_e32 v1, s2, v0
	v_add_nc_u32_e32 v0, 0x100, v0
	global_store_d16_hi_b8 v1, v3, s[4:5]
	s_wait_xcnt 0x0
	s_or_b32 exec_lo, exec_lo, s0
	s_delay_alu instid0(SALU_CYCLE_1)
	s_mov_b32 s0, exec_lo
	v_cmpx_gt_i32_e64 s8, v0
	s_cbranch_execnz .LBB201_51
	s_branch .LBB201_52
	.section	.rodata,"a",@progbits
	.p2align	6, 0x0
	.amdhsa_kernel _ZN2at6native29vectorized_elementwise_kernelILi8ENS0_13AUnaryFunctorIN3c108BFloat16ES4_bNS0_12_GLOBAL__N_116CompareEqFunctorIS4_EEEESt5arrayIPcLm2EEEEviT0_T1_
		.amdhsa_group_segment_fixed_size 0
		.amdhsa_private_segment_fixed_size 0
		.amdhsa_kernarg_size 32
		.amdhsa_user_sgpr_count 2
		.amdhsa_user_sgpr_dispatch_ptr 0
		.amdhsa_user_sgpr_queue_ptr 0
		.amdhsa_user_sgpr_kernarg_segment_ptr 1
		.amdhsa_user_sgpr_dispatch_id 0
		.amdhsa_user_sgpr_kernarg_preload_length 0
		.amdhsa_user_sgpr_kernarg_preload_offset 0
		.amdhsa_user_sgpr_private_segment_size 0
		.amdhsa_wavefront_size32 1
		.amdhsa_uses_dynamic_stack 0
		.amdhsa_enable_private_segment 0
		.amdhsa_system_sgpr_workgroup_id_x 1
		.amdhsa_system_sgpr_workgroup_id_y 0
		.amdhsa_system_sgpr_workgroup_id_z 0
		.amdhsa_system_sgpr_workgroup_info 0
		.amdhsa_system_vgpr_workitem_id 0
		.amdhsa_next_free_vgpr 33
		.amdhsa_next_free_sgpr 14
		.amdhsa_named_barrier_count 0
		.amdhsa_reserve_vcc 1
		.amdhsa_float_round_mode_32 0
		.amdhsa_float_round_mode_16_64 0
		.amdhsa_float_denorm_mode_32 3
		.amdhsa_float_denorm_mode_16_64 3
		.amdhsa_fp16_overflow 0
		.amdhsa_memory_ordered 1
		.amdhsa_forward_progress 1
		.amdhsa_inst_pref_size 40
		.amdhsa_round_robin_scheduling 0
		.amdhsa_exception_fp_ieee_invalid_op 0
		.amdhsa_exception_fp_denorm_src 0
		.amdhsa_exception_fp_ieee_div_zero 0
		.amdhsa_exception_fp_ieee_overflow 0
		.amdhsa_exception_fp_ieee_underflow 0
		.amdhsa_exception_fp_ieee_inexact 0
		.amdhsa_exception_int_div_zero 0
	.end_amdhsa_kernel
	.section	.text._ZN2at6native29vectorized_elementwise_kernelILi8ENS0_13AUnaryFunctorIN3c108BFloat16ES4_bNS0_12_GLOBAL__N_116CompareEqFunctorIS4_EEEESt5arrayIPcLm2EEEEviT0_T1_,"axG",@progbits,_ZN2at6native29vectorized_elementwise_kernelILi8ENS0_13AUnaryFunctorIN3c108BFloat16ES4_bNS0_12_GLOBAL__N_116CompareEqFunctorIS4_EEEESt5arrayIPcLm2EEEEviT0_T1_,comdat
.Lfunc_end201:
	.size	_ZN2at6native29vectorized_elementwise_kernelILi8ENS0_13AUnaryFunctorIN3c108BFloat16ES4_bNS0_12_GLOBAL__N_116CompareEqFunctorIS4_EEEESt5arrayIPcLm2EEEEviT0_T1_, .Lfunc_end201-_ZN2at6native29vectorized_elementwise_kernelILi8ENS0_13AUnaryFunctorIN3c108BFloat16ES4_bNS0_12_GLOBAL__N_116CompareEqFunctorIS4_EEEESt5arrayIPcLm2EEEEviT0_T1_
                                        ; -- End function
	.set _ZN2at6native29vectorized_elementwise_kernelILi8ENS0_13AUnaryFunctorIN3c108BFloat16ES4_bNS0_12_GLOBAL__N_116CompareEqFunctorIS4_EEEESt5arrayIPcLm2EEEEviT0_T1_.num_vgpr, 33
	.set _ZN2at6native29vectorized_elementwise_kernelILi8ENS0_13AUnaryFunctorIN3c108BFloat16ES4_bNS0_12_GLOBAL__N_116CompareEqFunctorIS4_EEEESt5arrayIPcLm2EEEEviT0_T1_.num_agpr, 0
	.set _ZN2at6native29vectorized_elementwise_kernelILi8ENS0_13AUnaryFunctorIN3c108BFloat16ES4_bNS0_12_GLOBAL__N_116CompareEqFunctorIS4_EEEESt5arrayIPcLm2EEEEviT0_T1_.numbered_sgpr, 14
	.set _ZN2at6native29vectorized_elementwise_kernelILi8ENS0_13AUnaryFunctorIN3c108BFloat16ES4_bNS0_12_GLOBAL__N_116CompareEqFunctorIS4_EEEESt5arrayIPcLm2EEEEviT0_T1_.num_named_barrier, 0
	.set _ZN2at6native29vectorized_elementwise_kernelILi8ENS0_13AUnaryFunctorIN3c108BFloat16ES4_bNS0_12_GLOBAL__N_116CompareEqFunctorIS4_EEEESt5arrayIPcLm2EEEEviT0_T1_.private_seg_size, 0
	.set _ZN2at6native29vectorized_elementwise_kernelILi8ENS0_13AUnaryFunctorIN3c108BFloat16ES4_bNS0_12_GLOBAL__N_116CompareEqFunctorIS4_EEEESt5arrayIPcLm2EEEEviT0_T1_.uses_vcc, 1
	.set _ZN2at6native29vectorized_elementwise_kernelILi8ENS0_13AUnaryFunctorIN3c108BFloat16ES4_bNS0_12_GLOBAL__N_116CompareEqFunctorIS4_EEEESt5arrayIPcLm2EEEEviT0_T1_.uses_flat_scratch, 0
	.set _ZN2at6native29vectorized_elementwise_kernelILi8ENS0_13AUnaryFunctorIN3c108BFloat16ES4_bNS0_12_GLOBAL__N_116CompareEqFunctorIS4_EEEESt5arrayIPcLm2EEEEviT0_T1_.has_dyn_sized_stack, 0
	.set _ZN2at6native29vectorized_elementwise_kernelILi8ENS0_13AUnaryFunctorIN3c108BFloat16ES4_bNS0_12_GLOBAL__N_116CompareEqFunctorIS4_EEEESt5arrayIPcLm2EEEEviT0_T1_.has_recursion, 0
	.set _ZN2at6native29vectorized_elementwise_kernelILi8ENS0_13AUnaryFunctorIN3c108BFloat16ES4_bNS0_12_GLOBAL__N_116CompareEqFunctorIS4_EEEESt5arrayIPcLm2EEEEviT0_T1_.has_indirect_call, 0
	.section	.AMDGPU.csdata,"",@progbits
; Kernel info:
; codeLenInByte = 5108
; TotalNumSgprs: 16
; NumVgprs: 33
; ScratchSize: 0
; MemoryBound: 0
; FloatMode: 240
; IeeeMode: 1
; LDSByteSize: 0 bytes/workgroup (compile time only)
; SGPRBlocks: 0
; VGPRBlocks: 2
; NumSGPRsForWavesPerEU: 16
; NumVGPRsForWavesPerEU: 33
; NamedBarCnt: 0
; Occupancy: 16
; WaveLimiterHint : 1
; COMPUTE_PGM_RSRC2:SCRATCH_EN: 0
; COMPUTE_PGM_RSRC2:USER_SGPR: 2
; COMPUTE_PGM_RSRC2:TRAP_HANDLER: 0
; COMPUTE_PGM_RSRC2:TGID_X_EN: 1
; COMPUTE_PGM_RSRC2:TGID_Y_EN: 0
; COMPUTE_PGM_RSRC2:TGID_Z_EN: 0
; COMPUTE_PGM_RSRC2:TIDIG_COMP_CNT: 0
	.section	.text._ZN2at6native29vectorized_elementwise_kernelILi4ENS0_13AUnaryFunctorIN3c108BFloat16ES4_bNS0_12_GLOBAL__N_116CompareEqFunctorIS4_EEEESt5arrayIPcLm2EEEEviT0_T1_,"axG",@progbits,_ZN2at6native29vectorized_elementwise_kernelILi4ENS0_13AUnaryFunctorIN3c108BFloat16ES4_bNS0_12_GLOBAL__N_116CompareEqFunctorIS4_EEEESt5arrayIPcLm2EEEEviT0_T1_,comdat
	.globl	_ZN2at6native29vectorized_elementwise_kernelILi4ENS0_13AUnaryFunctorIN3c108BFloat16ES4_bNS0_12_GLOBAL__N_116CompareEqFunctorIS4_EEEESt5arrayIPcLm2EEEEviT0_T1_ ; -- Begin function _ZN2at6native29vectorized_elementwise_kernelILi4ENS0_13AUnaryFunctorIN3c108BFloat16ES4_bNS0_12_GLOBAL__N_116CompareEqFunctorIS4_EEEESt5arrayIPcLm2EEEEviT0_T1_
	.p2align	8
	.type	_ZN2at6native29vectorized_elementwise_kernelILi4ENS0_13AUnaryFunctorIN3c108BFloat16ES4_bNS0_12_GLOBAL__N_116CompareEqFunctorIS4_EEEESt5arrayIPcLm2EEEEviT0_T1_,@function
_ZN2at6native29vectorized_elementwise_kernelILi4ENS0_13AUnaryFunctorIN3c108BFloat16ES4_bNS0_12_GLOBAL__N_116CompareEqFunctorIS4_EEEESt5arrayIPcLm2EEEEviT0_T1_: ; @_ZN2at6native29vectorized_elementwise_kernelILi4ENS0_13AUnaryFunctorIN3c108BFloat16ES4_bNS0_12_GLOBAL__N_116CompareEqFunctorIS4_EEEESt5arrayIPcLm2EEEEviT0_T1_
; %bb.0:
	s_clause 0x1
	s_load_b96 s[8:10], s[0:1], 0x0
	s_load_b128 s[4:7], s[0:1], 0x10
	s_wait_xcnt 0x0
	s_bfe_u32 s0, ttmp6, 0x4000c
	s_and_b32 s1, ttmp6, 15
	s_add_co_i32 s0, s0, 1
	s_getreg_b32 s2, hwreg(HW_REG_IB_STS2, 6, 4)
	s_mul_i32 s0, ttmp9, s0
	s_delay_alu instid0(SALU_CYCLE_1) | instskip(SKIP_2) | instid1(SALU_CYCLE_1)
	s_add_co_i32 s1, s1, s0
	s_cmp_eq_u32 s2, 0
	s_cselect_b32 s0, ttmp9, s1
	s_lshl_b32 s2, s0, 12
	s_mov_b32 s0, -1
	s_wait_kmcnt 0x0
	s_sub_co_i32 s8, s8, s2
	s_delay_alu instid0(SALU_CYCLE_1)
	s_cmp_gt_i32 s8, 0xfff
	s_cbranch_scc0 .LBB202_2
; %bb.1:
	s_ashr_i32 s3, s2, 31
	s_delay_alu instid0(SALU_CYCLE_1)
	s_lshl_b64 s[0:1], s[2:3], 1
	s_cmp_eq_u32 s9, 0
	s_add_nc_u64 s[0:1], s[6:7], s[0:1]
	s_cselect_b32 vcc_lo, -1, 0
	s_clause 0x3
	global_load_b64 v[2:3], v0, s[0:1] scale_offset
	global_load_b64 v[4:5], v0, s[0:1] offset:2048 scale_offset
	global_load_b64 v[6:7], v0, s[0:1] offset:4096 scale_offset
	;; [unrolled: 1-line block ×3, first 2 shown]
	s_wait_xcnt 0x0
	s_lshl_b32 s1, s10, 16
	s_add_nc_u64 s[12:13], s[4:5], s[2:3]
	s_wait_loadcnt 0x3
	v_dual_lshlrev_b32 v1, 16, v2 :: v_dual_lshlrev_b32 v10, 16, v3
	v_and_b32_e32 v2, 0xffff0000, v2
	v_and_b32_e32 v3, 0xffff0000, v3
	s_wait_loadcnt 0x2
	v_dual_lshlrev_b32 v11, 16, v4 :: v_dual_lshlrev_b32 v12, 16, v5
	v_cmp_eq_f32_e64 s0, s1, v1
	v_and_b32_e32 v4, 0xffff0000, v4
	v_and_b32_e32 v5, 0xffff0000, v5
	s_wait_loadcnt 0x1
	v_dual_lshlrev_b32 v13, 16, v6 :: v_dual_lshlrev_b32 v14, 16, v7
	v_cndmask_b32_e64 v17, 0, 1, s0
	v_cmp_neq_f32_e64 s0, s1, v1
	v_and_b32_e32 v6, 0xffff0000, v6
	v_and_b32_e32 v7, 0xffff0000, v7
	s_wait_loadcnt 0x0
	v_dual_lshlrev_b32 v15, 16, v8 :: v_dual_lshlrev_b32 v16, 16, v9
	v_cndmask_b32_e64 v1, 0, 1, s0
	v_cmp_eq_f32_e64 s0, s1, v2
	v_and_b32_e32 v8, 0xffff0000, v8
	v_and_b32_e32 v9, 0xffff0000, v9
	s_delay_alu instid0(VALU_DEP_3) | instskip(SKIP_1) | instid1(VALU_DEP_1)
	v_cndmask_b32_e64 v18, 0, 1, s0
	v_cmp_neq_f32_e64 s0, s1, v2
	v_cndmask_b32_e64 v2, 0, 1, s0
	v_cmp_eq_f32_e64 s0, s1, v10
	s_delay_alu instid0(VALU_DEP_2) | instskip(NEXT) | instid1(VALU_DEP_2)
	v_dual_cndmask_b32 v1, v1, v17 :: v_dual_cndmask_b32 v2, v2, v18
	v_cndmask_b32_e64 v19, 0, 1, s0
	v_cmp_neq_f32_e64 s0, s1, v10
	s_delay_alu instid0(VALU_DEP_1) | instskip(SKIP_1) | instid1(VALU_DEP_1)
	v_cndmask_b32_e64 v10, 0, 1, s0
	v_cmp_eq_f32_e64 s0, s1, v3
	v_cndmask_b32_e64 v20, 0, 1, s0
	v_cmp_neq_f32_e64 s0, s1, v3
	s_delay_alu instid0(VALU_DEP_1) | instskip(SKIP_1) | instid1(VALU_DEP_2)
	v_cndmask_b32_e64 v3, 0, 1, s0
	v_cmp_eq_f32_e64 s0, s1, v11
	v_dual_cndmask_b32 v10, v10, v19 :: v_dual_cndmask_b32 v3, v3, v20
	s_delay_alu instid0(VALU_DEP_2) | instskip(SKIP_1) | instid1(VALU_DEP_3)
	v_cndmask_b32_e64 v21, 0, 1, s0
	v_cmp_neq_f32_e64 s0, s1, v11
	v_and_b32_e32 v3, 1, v3
	s_delay_alu instid0(VALU_DEP_2) | instskip(SKIP_1) | instid1(VALU_DEP_3)
	v_cndmask_b32_e64 v11, 0, 1, s0
	v_cmp_eq_f32_e64 s0, s1, v4
	v_lshlrev_b16 v3, 8, v3
	s_delay_alu instid0(VALU_DEP_2) | instskip(SKIP_1) | instid1(VALU_DEP_1)
	v_cndmask_b32_e64 v22, 0, 1, s0
	v_cmp_neq_f32_e64 s0, s1, v4
	v_cndmask_b32_e64 v4, 0, 1, s0
	v_cmp_eq_f32_e64 s0, s1, v12
	s_delay_alu instid0(VALU_DEP_2) | instskip(NEXT) | instid1(VALU_DEP_2)
	v_dual_cndmask_b32 v11, v11, v21 :: v_dual_cndmask_b32 v4, v4, v22
	v_cndmask_b32_e64 v23, 0, 1, s0
	v_cmp_neq_f32_e64 s0, s1, v12
	s_delay_alu instid0(VALU_DEP_1) | instskip(SKIP_1) | instid1(VALU_DEP_1)
	v_cndmask_b32_e64 v12, 0, 1, s0
	v_cmp_eq_f32_e64 s0, s1, v5
	v_cndmask_b32_e64 v24, 0, 1, s0
	v_cmp_neq_f32_e64 s0, s1, v5
	s_delay_alu instid0(VALU_DEP_1) | instskip(SKIP_1) | instid1(VALU_DEP_2)
	v_cndmask_b32_e64 v5, 0, 1, s0
	v_cmp_eq_f32_e64 s0, s1, v13
	v_dual_cndmask_b32 v12, v12, v23 :: v_dual_cndmask_b32 v5, v5, v24
	s_delay_alu instid0(VALU_DEP_2) | instskip(SKIP_1) | instid1(VALU_DEP_3)
	v_cndmask_b32_e64 v25, 0, 1, s0
	v_cmp_neq_f32_e64 s0, s1, v13
	v_and_b32_e32 v5, 1, v5
	s_delay_alu instid0(VALU_DEP_2) | instskip(SKIP_1) | instid1(VALU_DEP_3)
	v_cndmask_b32_e64 v13, 0, 1, s0
	v_cmp_eq_f32_e64 s0, s1, v6
	v_lshlrev_b16 v5, 8, v5
	s_delay_alu instid0(VALU_DEP_2) | instskip(SKIP_1) | instid1(VALU_DEP_3)
	v_cndmask_b32_e64 v26, 0, 1, s0
	v_cmp_neq_f32_e64 s0, s1, v6
	v_bitop3_b16 v5, v12, v5, 1 bitop3:0xec
	v_and_b32_e32 v2, 1, v2
	s_delay_alu instid0(VALU_DEP_3)
	v_cndmask_b32_e64 v6, 0, 1, s0
	v_cmp_eq_f32_e64 s0, s1, v14
	v_cndmask_b32_e32 v13, v13, v25, vcc_lo
	v_lshlrev_b32_e32 v5, 16, v5
	v_lshlrev_b16 v2, 8, v2
	v_cndmask_b32_e32 v6, v6, v26, vcc_lo
	v_cndmask_b32_e64 v27, 0, 1, s0
	v_cmp_neq_f32_e64 s0, s1, v14
	s_delay_alu instid0(VALU_DEP_4) | instskip(SKIP_1) | instid1(VALU_DEP_3)
	v_bitop3_b16 v1, v1, v2, 1 bitop3:0xec
	v_bitop3_b16 v2, v10, v3, 1 bitop3:0xec
	v_cndmask_b32_e64 v14, 0, 1, s0
	v_cmp_eq_f32_e64 s0, s1, v7
	s_delay_alu instid0(VALU_DEP_4) | instskip(NEXT) | instid1(VALU_DEP_4)
	v_and_b32_e32 v1, 0xffff, v1
	v_lshlrev_b32_e32 v2, 16, v2
	s_delay_alu instid0(VALU_DEP_3) | instskip(SKIP_1) | instid1(VALU_DEP_3)
	v_cndmask_b32_e64 v28, 0, 1, s0
	v_cmp_neq_f32_e64 s0, s1, v7
	v_or_b32_e32 v1, v1, v2
	s_delay_alu instid0(VALU_DEP_2) | instskip(SKIP_1) | instid1(VALU_DEP_2)
	v_cndmask_b32_e64 v7, 0, 1, s0
	v_cmp_eq_f32_e64 s0, s1, v15
	v_dual_cndmask_b32 v14, v14, v27 :: v_dual_cndmask_b32 v7, v7, v28
	s_delay_alu instid0(VALU_DEP_2) | instskip(SKIP_1) | instid1(VALU_DEP_3)
	v_cndmask_b32_e64 v29, 0, 1, s0
	v_cmp_neq_f32_e64 s0, s1, v15
	v_and_b32_e32 v7, 1, v7
	s_delay_alu instid0(VALU_DEP_2) | instskip(SKIP_1) | instid1(VALU_DEP_3)
	v_cndmask_b32_e64 v15, 0, 1, s0
	v_cmp_eq_f32_e64 s0, s1, v8
	v_lshlrev_b16 v7, 8, v7
	s_delay_alu instid0(VALU_DEP_2) | instskip(SKIP_1) | instid1(VALU_DEP_3)
	v_cndmask_b32_e64 v30, 0, 1, s0
	v_cmp_neq_f32_e64 s0, s1, v8
	v_bitop3_b16 v7, v14, v7, 1 bitop3:0xec
	v_and_b32_e32 v4, 1, v4
	s_delay_alu instid0(VALU_DEP_3) | instskip(SKIP_1) | instid1(VALU_DEP_4)
	v_cndmask_b32_e64 v8, 0, 1, s0
	v_cmp_eq_f32_e64 s0, s1, v16
	v_dual_cndmask_b32 v15, v15, v29, vcc_lo :: v_dual_lshlrev_b32 v7, 16, v7
	s_delay_alu instid0(VALU_DEP_4) | instskip(NEXT) | instid1(VALU_DEP_4)
	v_lshlrev_b16 v4, 8, v4
	v_cndmask_b32_e32 v8, v8, v30, vcc_lo
	s_delay_alu instid0(VALU_DEP_4) | instskip(SKIP_1) | instid1(VALU_DEP_4)
	v_cndmask_b32_e64 v31, 0, 1, s0
	v_cmp_neq_f32_e64 s0, s1, v16
	v_bitop3_b16 v4, v11, v4, 1 bitop3:0xec
	s_delay_alu instid0(VALU_DEP_4) | instskip(NEXT) | instid1(VALU_DEP_3)
	v_and_b32_e32 v8, 1, v8
	v_cndmask_b32_e64 v16, 0, 1, s0
	v_cmp_eq_f32_e64 s0, s1, v9
	s_delay_alu instid0(VALU_DEP_4) | instskip(NEXT) | instid1(VALU_DEP_4)
	v_and_b32_e32 v4, 0xffff, v4
	v_lshlrev_b16 v8, 8, v8
	s_delay_alu instid0(VALU_DEP_3) | instskip(SKIP_1) | instid1(VALU_DEP_3)
	v_cndmask_b32_e64 v32, 0, 1, s0
	v_cmp_neq_f32_e64 s0, s1, v9
	v_bitop3_b16 v8, v15, v8, 1 bitop3:0xec
	v_or_b32_e32 v2, v4, v5
	s_delay_alu instid0(VALU_DEP_3) | instskip(SKIP_1) | instid1(VALU_DEP_4)
	v_cndmask_b32_e64 v9, 0, 1, s0
	v_cndmask_b32_e32 v16, v16, v31, vcc_lo
	v_and_b32_e32 v3, 0xffff, v8
	s_mov_b32 s0, 0
	s_delay_alu instid0(VALU_DEP_3) | instskip(NEXT) | instid1(VALU_DEP_1)
	v_cndmask_b32_e32 v9, v9, v32, vcc_lo
	v_and_b32_e32 v9, 1, v9
	s_delay_alu instid0(VALU_DEP_1) | instskip(NEXT) | instid1(VALU_DEP_1)
	v_lshlrev_b16 v9, 8, v9
	v_bitop3_b16 v9, v16, v9, 1 bitop3:0xec
	s_delay_alu instid0(VALU_DEP_1) | instskip(NEXT) | instid1(VALU_DEP_1)
	v_dual_lshlrev_b32 v8, 16, v9 :: v_dual_bitop2_b32 v6, 1, v6 bitop3:0x40
	v_lshlrev_b16 v6, 8, v6
	s_delay_alu instid0(VALU_DEP_2) | instskip(NEXT) | instid1(VALU_DEP_2)
	v_or_b32_e32 v3, v3, v8
	v_bitop3_b16 v6, v13, v6, 1 bitop3:0xec
	s_delay_alu instid0(VALU_DEP_1) | instskip(NEXT) | instid1(VALU_DEP_1)
	v_and_b32_e32 v6, 0xffff, v6
	v_or_b32_e32 v4, v6, v7
	s_clause 0x3
	global_store_b32 v0, v1, s[12:13] scale_offset
	global_store_b32 v0, v2, s[12:13] offset:1024 scale_offset
	global_store_b32 v0, v4, s[12:13] offset:2048 scale_offset
	;; [unrolled: 1-line block ×3, first 2 shown]
.LBB202_2:
	s_and_not1_b32 vcc_lo, exec_lo, s0
	s_cbranch_vccnz .LBB202_52
; %bb.3:
	v_cmp_gt_i32_e32 vcc_lo, s8, v0
	s_wait_xcnt 0x3
	v_dual_mov_b32 v9, 0 :: v_dual_bitop2_b32 v1, s2, v0 bitop3:0x54
	s_wait_xcnt 0x2
	v_or_b32_e32 v2, 0x100, v0
	v_dual_mov_b32 v10, 0 :: v_dual_mov_b32 v12, v0
	s_wait_xcnt 0x0
	s_and_saveexec_b32 s0, vcc_lo
	s_cbranch_execz .LBB202_5
; %bb.4:
	global_load_u16 v3, v1, s[6:7] scale_offset
	v_or_b32_e32 v12, 0x100, v0
	s_wait_loadcnt 0x0
	v_lshlrev_b32_e32 v10, 16, v3
.LBB202_5:
	s_wait_xcnt 0x0
	s_or_b32 exec_lo, exec_lo, s0
	s_delay_alu instid0(SALU_CYCLE_1)
	s_mov_b32 s1, exec_lo
	v_cmpx_gt_i32_e64 s8, v12
	s_cbranch_execz .LBB202_7
; %bb.6:
	v_add_nc_u32_e32 v3, s2, v12
	v_add_nc_u32_e32 v12, 0x100, v12
	global_load_u16 v3, v3, s[6:7] scale_offset
	s_wait_loadcnt 0x0
	v_lshlrev_b32_e32 v9, 16, v3
.LBB202_7:
	s_wait_xcnt 0x0
	s_or_b32 exec_lo, exec_lo, s1
	v_dual_mov_b32 v4, 0 :: v_dual_mov_b32 v7, 0
	s_mov_b32 s1, exec_lo
	v_cmpx_gt_i32_e64 s8, v12
	s_cbranch_execz .LBB202_9
; %bb.8:
	v_add_nc_u32_e32 v3, s2, v12
	v_add_nc_u32_e32 v12, 0x100, v12
	global_load_u16 v3, v3, s[6:7] scale_offset
	s_wait_loadcnt 0x0
	v_lshlrev_b32_e32 v7, 16, v3
.LBB202_9:
	s_wait_xcnt 0x0
	s_or_b32 exec_lo, exec_lo, s1
	s_delay_alu instid0(SALU_CYCLE_1)
	s_mov_b32 s1, exec_lo
	v_cmpx_gt_i32_e64 s8, v12
	s_cbranch_execz .LBB202_11
; %bb.10:
	v_add_nc_u32_e32 v3, s2, v12
	v_add_nc_u32_e32 v12, 0x100, v12
	global_load_u16 v3, v3, s[6:7] scale_offset
	s_wait_loadcnt 0x0
	v_lshlrev_b32_e32 v4, 16, v3
.LBB202_11:
	s_wait_xcnt 0x0
	s_or_b32 exec_lo, exec_lo, s1
	v_dual_mov_b32 v13, 0 :: v_dual_mov_b32 v16, 0
	s_mov_b32 s1, exec_lo
	v_cmpx_gt_i32_e64 s8, v12
	s_cbranch_execz .LBB202_13
; %bb.12:
	v_add_nc_u32_e32 v3, s2, v12
	v_add_nc_u32_e32 v12, 0x100, v12
	global_load_u16 v3, v3, s[6:7] scale_offset
	s_wait_loadcnt 0x0
	v_lshlrev_b32_e32 v16, 16, v3
.LBB202_13:
	;; [unrolled: 26-line block ×5, first 2 shown]
	s_or_b32 exec_lo, exec_lo, s1
	s_delay_alu instid0(SALU_CYCLE_1)
	s_mov_b32 s1, exec_lo
	v_cmpx_gt_i32_e64 s8, v12
	s_cbranch_execz .LBB202_27
; %bb.26:
	v_add_nc_u32_e32 v3, s2, v12
	v_add_nc_u32_e32 v12, 0x100, v12
	global_load_u16 v3, v3, s[6:7] scale_offset
	s_wait_loadcnt 0x0
	v_lshlrev_b32_e32 v3, 16, v3
.LBB202_27:
	s_or_b32 exec_lo, exec_lo, s1
	v_dual_mov_b32 v18, 0 :: v_dual_mov_b32 v19, 0
	s_mov_b32 s1, exec_lo
	v_cmpx_gt_i32_e64 s8, v12
	s_cbranch_execz .LBB202_29
; %bb.28:
	v_add_nc_u32_e32 v14, s2, v12
	v_add_nc_u32_e32 v12, 0x100, v12
	global_load_u16 v14, v14, s[6:7] scale_offset
	s_wait_loadcnt 0x0
	v_lshlrev_b32_e32 v19, 16, v14
.LBB202_29:
	s_wait_xcnt 0x0
	s_or_b32 exec_lo, exec_lo, s1
	s_delay_alu instid0(SALU_CYCLE_1)
	s_mov_b32 s1, exec_lo
	v_cmpx_gt_i32_e64 s8, v12
	s_cbranch_execz .LBB202_31
; %bb.30:
	v_add_nc_u32_e32 v14, s2, v12
	v_add_nc_u32_e32 v12, 0x100, v12
	global_load_u16 v14, v14, s[6:7] scale_offset
	s_wait_loadcnt 0x0
	v_lshlrev_b32_e32 v18, 16, v14
.LBB202_31:
	s_wait_xcnt 0x0
	s_or_b32 exec_lo, exec_lo, s1
	v_dual_mov_b32 v14, 0 :: v_dual_mov_b32 v17, 0
	s_mov_b32 s1, exec_lo
	v_cmpx_gt_i32_e64 s8, v12
	s_cbranch_execz .LBB202_33
; %bb.32:
	v_add_nc_u32_e32 v17, s2, v12
	v_add_nc_u32_e32 v12, 0x100, v12
	global_load_u16 v17, v17, s[6:7] scale_offset
	s_wait_loadcnt 0x0
	v_lshlrev_b32_e32 v17, 16, v17
.LBB202_33:
	s_or_b32 exec_lo, exec_lo, s1
	s_delay_alu instid0(SALU_CYCLE_1)
	s_mov_b32 s1, exec_lo
	v_cmpx_gt_i32_e64 s8, v12
	s_cbranch_execz .LBB202_35
; %bb.34:
	v_add_nc_u32_e32 v12, s2, v12
	global_load_u16 v12, v12, s[6:7] scale_offset
	s_wait_loadcnt 0x0
	v_lshlrev_b32_e32 v14, 16, v12
.LBB202_35:
	s_wait_xcnt 0x0
	s_or_b32 exec_lo, exec_lo, s1
	s_cmp_eq_u32 s9, 0
	s_cselect_b32 s0, -1, 0
	s_lshl_b32 s3, s10, 16
	s_delay_alu instid0(SALU_CYCLE_1) | instskip(NEXT) | instid1(VALU_DEP_1)
	v_cmp_eq_f32_e64 s1, s3, v10
	v_cndmask_b32_e64 v12, 0, 1, s1
	v_cmp_neq_f32_e64 s1, s3, v10
	s_delay_alu instid0(VALU_DEP_1) | instskip(SKIP_1) | instid1(VALU_DEP_1)
	v_cndmask_b32_e64 v10, 0, 1, s1
	v_cmp_eq_f32_e64 s1, s3, v9
	v_cndmask_b32_e64 v20, 0, 1, s1
	v_cmp_neq_f32_e64 s1, s3, v9
	s_delay_alu instid0(VALU_DEP_1) | instskip(SKIP_1) | instid1(VALU_DEP_2)
	v_cndmask_b32_e64 v9, 0, 1, s1
	v_cmp_eq_f32_e64 s1, s3, v16
	v_cndmask_b32_e64 v9, v9, v20, s0
	s_delay_alu instid0(VALU_DEP_2) | instskip(SKIP_4) | instid1(VALU_DEP_4)
	v_cndmask_b32_e64 v20, 0, 1, s1
	v_cmp_neq_f32_e64 s1, s3, v16
	v_cndmask_b32_e64 v10, v10, v12, s0
	v_cndmask_b32_e64 v12, 0, 1, vcc_lo
	v_and_b32_e32 v9, 1, v9
	v_cndmask_b32_e64 v16, 0, 1, s1
	v_cmp_eq_f32_e64 s1, s3, v13
	s_delay_alu instid0(VALU_DEP_4) | instskip(NEXT) | instid1(VALU_DEP_4)
	v_and_b32_e32 v10, v12, v10
	v_lshlrev_b16 v9, 8, v9
	s_delay_alu instid0(VALU_DEP_4) | instskip(NEXT) | instid1(VALU_DEP_4)
	v_cndmask_b32_e64 v12, v16, v20, s0
	v_cndmask_b32_e64 v16, 0, 1, s1
	v_cmp_neq_f32_e64 s1, s3, v13
	s_delay_alu instid0(VALU_DEP_4) | instskip(SKIP_2) | instid1(VALU_DEP_4)
	v_or_b32_e32 v9, v10, v9
	v_or_b32_e32 v20, 0x400, v0
	v_bitop3_b16 v12, v12, 0, 1 bitop3:0xec
	v_cndmask_b32_e64 v13, 0, 1, s1
	v_cmp_eq_f32_e64 s1, s3, v7
	v_and_b32_e32 v9, 0xffff, v9
	s_delay_alu instid0(VALU_DEP_4) | instskip(NEXT) | instid1(VALU_DEP_4)
	v_and_b32_e32 v12, 0xffff, v12
	v_cndmask_b32_e64 v13, v13, v16, s0
	s_delay_alu instid0(VALU_DEP_4) | instskip(SKIP_1) | instid1(VALU_DEP_1)
	v_cndmask_b32_e64 v16, 0, 1, s1
	v_cmp_neq_f32_e64 s1, s3, v7
	v_cndmask_b32_e64 v7, 0, 1, s1
	v_cmp_gt_i32_e64 s1, s8, v20
	s_delay_alu instid0(VALU_DEP_2) | instskip(NEXT) | instid1(VALU_DEP_2)
	v_dual_cndmask_b32 v7, v7, v16, s0 :: v_dual_bitop2_b32 v13, 1, v13 bitop3:0x40
	v_cndmask_b32_e64 v12, 0, v12, s1
	v_cmp_gt_i32_e64 s1, s8, v2
	s_delay_alu instid0(VALU_DEP_3) | instskip(NEXT) | instid1(VALU_DEP_4)
	v_and_b32_e32 v7, 1, v7
	v_lshlrev_b16 v13, 8, v13
	s_delay_alu instid0(VALU_DEP_3) | instskip(SKIP_2) | instid1(VALU_DEP_4)
	v_cndmask_b32_e64 v9, v10, v9, s1
	v_cmp_eq_f32_e64 s1, s3, v4
	v_or_b32_e32 v10, 0x500, v0
	v_bitop3_b16 v13, v12, v13, 0xff bitop3:0xec
	s_delay_alu instid0(VALU_DEP_4) | instskip(NEXT) | instid1(VALU_DEP_4)
	v_lshl_or_b32 v7, v7, 16, v9
	v_cndmask_b32_e64 v16, 0, 1, s1
	v_cmp_neq_f32_e64 s1, s3, v4
	s_delay_alu instid0(VALU_DEP_4) | instskip(NEXT) | instid1(VALU_DEP_2)
	v_and_b32_e32 v13, 0xffff, v13
	v_cndmask_b32_e64 v4, 0, 1, s1
	v_cmp_gt_i32_e64 s1, s8, v10
	s_delay_alu instid0(VALU_DEP_1) | instskip(SKIP_3) | instid1(VALU_DEP_3)
	v_cndmask_b32_e64 v10, v12, v13, s1
	v_cmp_eq_f32_e64 s1, s3, v15
	v_or_b32_e32 v12, 0x200, v0
	v_cndmask_b32_e64 v4, v4, v16, s0
	v_cndmask_b32_e64 v16, 0, 1, s1
	v_cmp_neq_f32_e64 s1, s3, v15
	s_delay_alu instid0(VALU_DEP_1) | instskip(SKIP_1) | instid1(VALU_DEP_1)
	v_cndmask_b32_e64 v15, 0, 1, s1
	v_cmp_gt_i32_e64 s1, s8, v12
	v_dual_cndmask_b32 v12, v15, v16, s0 :: v_dual_cndmask_b32 v7, v9, v7, s1
	v_lshrrev_b32_e32 v13, 16, v10
	v_cmp_eq_f32_e64 s1, s3, v11
	v_and_b32_e32 v4, 1, v4
	s_delay_alu instid0(VALU_DEP_3) | instskip(SKIP_1) | instid1(VALU_DEP_3)
	v_and_b32_e32 v9, 0xffffff00, v13
	v_lshrrev_b32_e32 v13, 16, v7
	v_lshlrev_b16 v4, 8, v4
	s_delay_alu instid0(VALU_DEP_3) | instskip(SKIP_2) | instid1(VALU_DEP_4)
	v_bitop3_b16 v9, v12, v9, 1 bitop3:0xec
	v_cndmask_b32_e64 v12, 0, 1, s1
	v_cmp_neq_f32_e64 s1, s3, v11
	v_bitop3_b16 v4, v13, v4, 0xff bitop3:0xec
	v_or_b32_e32 v13, 0x600, v0
	v_lshlrev_b32_e32 v9, 16, v9
	s_delay_alu instid0(VALU_DEP_4) | instskip(SKIP_1) | instid1(VALU_DEP_3)
	v_cndmask_b32_e64 v11, 0, 1, s1
	v_cmp_eq_f32_e64 s1, s3, v6
	v_and_or_b32 v9, 0xffff, v10, v9
	s_delay_alu instid0(VALU_DEP_2) | instskip(SKIP_1) | instid1(VALU_DEP_1)
	v_cndmask_b32_e64 v15, 0, 1, s1
	v_cmp_eq_f32_e64 s1, s3, v19
	v_cndmask_b32_e64 v16, 0, 1, s1
	v_cmp_neq_f32_e64 s1, s3, v19
	s_delay_alu instid0(VALU_DEP_1) | instskip(SKIP_1) | instid1(VALU_DEP_1)
	v_cndmask_b32_e64 v19, 0, 1, s1
	v_cmp_eq_f32_e64 s1, s3, v18
	v_cndmask_b32_e64 v20, 0, 1, s1
	v_cmp_neq_f32_e64 s1, s3, v18
	s_delay_alu instid0(VALU_DEP_1) | instskip(SKIP_1) | instid1(VALU_DEP_1)
	v_cndmask_b32_e64 v18, 0, 1, s1
	v_cmp_neq_f32_e64 s1, s3, v6
	v_cndmask_b32_e64 v6, 0, 1, s1
	v_cmp_eq_f32_e64 s1, s3, v5
	v_cndmask_b32_e64 v11, v11, v12, s0
	v_or_b32_e32 v12, 0x800, v0
	s_delay_alu instid0(VALU_DEP_4) | instskip(NEXT) | instid1(VALU_DEP_4)
	v_cndmask_b32_e64 v6, v6, v15, s0
	v_cndmask_b32_e64 v21, 0, 1, s1
	v_cmp_neq_f32_e64 s1, s3, v5
	v_and_b32_e32 v11, 1, v11
	s_delay_alu instid0(VALU_DEP_2) | instskip(SKIP_2) | instid1(VALU_DEP_4)
	v_cndmask_b32_e64 v5, 0, 1, s1
	v_cndmask_b32_e64 v16, v19, v16, s0
	v_or_b32_e32 v19, 0xc00, v0
	v_lshlrev_b16 v11, 8, v11
	s_delay_alu instid0(VALU_DEP_3) | instskip(NEXT) | instid1(VALU_DEP_3)
	v_dual_cndmask_b32 v5, v5, v21, s0 :: v_dual_bitop2_b32 v16, 1, v16 bitop3:0x40
	v_cmp_gt_i32_e64 s1, s8, v19
	s_delay_alu instid0(VALU_DEP_2) | instskip(SKIP_1) | instid1(VALU_DEP_3)
	v_dual_cndmask_b32 v18, v18, v20, s0 :: v_dual_bitop2_b32 v5, 1, v5 bitop3:0x40
	v_lshlrev_b32_e32 v4, 16, v4
	v_cndmask_b32_e64 v15, 0, v16, s1
	v_cmp_gt_i32_e64 s1, s8, v12
	s_delay_alu instid0(VALU_DEP_4) | instskip(SKIP_2) | instid1(VALU_DEP_4)
	v_and_b32_e32 v18, 1, v18
	v_lshlrev_b16 v5, 8, v5
	v_and_or_b32 v4, 0xffff, v7, v4
	v_cndmask_b32_e64 v12, 0, 1, s1
	v_cmp_gt_i32_e64 s1, s8, v13
	v_lshlrev_b16 v16, 8, v18
	s_delay_alu instid0(VALU_DEP_2) | instskip(SKIP_1) | instid1(VALU_DEP_3)
	v_cndmask_b32_e64 v9, v10, v9, s1
	v_cmp_eq_f32_e64 s1, s3, v8
	v_bitop3_b16 v10, v15, v16, 0xff bitop3:0xec
	v_and_b32_e32 v6, v12, v6
	v_or_b32_e32 v12, 0xd00, v0
	s_delay_alu instid0(VALU_DEP_4) | instskip(SKIP_2) | instid1(VALU_DEP_2)
	v_cndmask_b32_e64 v13, 0, 1, s1
	v_cmp_neq_f32_e64 s1, s3, v8
	v_and_b32_e32 v10, 0xffff, v10
	v_cndmask_b32_e64 v8, 0, 1, s1
	v_cmp_gt_i32_e64 s1, s8, v12
	v_lshrrev_b32_e32 v12, 16, v9
	s_delay_alu instid0(VALU_DEP_2) | instskip(SKIP_2) | instid1(VALU_DEP_3)
	v_dual_cndmask_b32 v10, v15, v10, s1 :: v_dual_bitop2_b32 v5, v6, v5 bitop3:0x54
	v_cmp_eq_f32_e64 s1, s3, v17
	v_cndmask_b32_e64 v8, v8, v13, s0
	v_and_b32_e32 v5, 0xffff, v5
	s_delay_alu instid0(VALU_DEP_4) | instskip(NEXT) | instid1(VALU_DEP_4)
	v_lshrrev_b32_e32 v13, 16, v10
	v_cndmask_b32_e64 v15, 0, 1, s1
	v_cmp_neq_f32_e64 s1, s3, v17
	v_or_b32_e32 v17, 0x900, v0
	s_delay_alu instid0(VALU_DEP_4) | instskip(NEXT) | instid1(VALU_DEP_3)
	v_and_b32_e32 v13, 0xffffff00, v13
	v_cndmask_b32_e64 v16, 0, 1, s1
	s_delay_alu instid0(VALU_DEP_3) | instskip(NEXT) | instid1(VALU_DEP_2)
	v_cmp_gt_i32_e64 s1, s8, v17
	v_dual_cndmask_b32 v15, v16, v15, s0 :: v_dual_bitop2_b32 v8, 1, v8 bitop3:0x40
	s_delay_alu instid0(VALU_DEP_1) | instskip(SKIP_2) | instid1(VALU_DEP_4)
	v_dual_cndmask_b32 v5, v6, v5, s1 :: v_dual_lshlrev_b32 v8, 16, v8
	v_cmp_eq_f32_e64 s1, s3, v3
	v_or_b32_e32 v6, 0xa00, v0
	v_bitop3_b16 v13, v15, v13, 1 bitop3:0xec
	s_delay_alu instid0(VALU_DEP_4) | instskip(NEXT) | instid1(VALU_DEP_4)
	v_and_or_b32 v8, 0x1ff, v5, v8
	v_cndmask_b32_e64 v15, 0, 1, s1
	v_cmp_neq_f32_e64 s1, s3, v3
	s_delay_alu instid0(VALU_DEP_1) | instskip(SKIP_1) | instid1(VALU_DEP_2)
	v_cndmask_b32_e64 v3, 0, 1, s1
	v_cmp_eq_f32_e64 s1, s3, v14
	v_dual_lshlrev_b32 v13, 16, v13 :: v_dual_cndmask_b32 v3, v3, v15, s0
	s_delay_alu instid0(VALU_DEP_2) | instskip(SKIP_2) | instid1(VALU_DEP_4)
	v_cndmask_b32_e64 v16, 0, 1, s1
	v_cmp_neq_f32_e64 s1, s3, v14
	v_or_b32_e32 v15, 0xe00, v0
	v_and_or_b32 v13, 0xffff, v10, v13
	v_and_b32_e32 v3, 1, v3
	s_delay_alu instid0(VALU_DEP_4) | instskip(NEXT) | instid1(VALU_DEP_2)
	v_cndmask_b32_e64 v14, 0, 1, s1
	v_lshlrev_b16 v3, 8, v3
	s_delay_alu instid0(VALU_DEP_2) | instskip(SKIP_2) | instid1(VALU_DEP_2)
	v_cndmask_b32_e64 v14, v14, v16, s0
	v_cmp_gt_i32_e64 s0, s8, v6
	v_bitop3_b16 v6, v12, v11, 0xff bitop3:0xec
	v_cndmask_b32_e64 v8, v5, v8, s0
	v_cmp_gt_i32_e64 s0, s8, v15
	s_delay_alu instid0(VALU_DEP_1) | instskip(NEXT) | instid1(VALU_DEP_3)
	v_dual_cndmask_b32 v10, v10, v13, s0 :: v_dual_bitop2_b32 v5, 1, v14 bitop3:0x40
	v_lshrrev_b32_e32 v11, 16, v8
	v_or_b32_e32 v13, 0x300, v0
	s_delay_alu instid0(VALU_DEP_3) | instskip(NEXT) | instid1(VALU_DEP_3)
	v_lshlrev_b16 v5, 8, v5
	v_bitop3_b16 v3, v11, v3, 0xff bitop3:0xec
	s_delay_alu instid0(VALU_DEP_3) | instskip(SKIP_1) | instid1(VALU_DEP_3)
	v_cmp_gt_i32_e64 s0, s8, v13
	v_lshrrev_b32_e32 v12, 16, v10
	v_dual_lshlrev_b32 v11, 16, v6 :: v_dual_lshlrev_b32 v3, 16, v3
	s_delay_alu instid0(VALU_DEP_3) | instskip(NEXT) | instid1(VALU_DEP_3)
	v_cndmask_b32_e64 v6, v7, v4, s0
	v_bitop3_b16 v5, v12, v5, 0xff bitop3:0xec
	v_or_b32_e32 v4, 0x700, v0
	s_delay_alu instid0(VALU_DEP_4)
	v_and_or_b32 v7, 0xffff, v9, v11
	v_or_b32_e32 v11, 0xb00, v0
	v_and_or_b32 v3, 0xffff, v8, v3
	v_lshlrev_b32_e32 v5, 16, v5
	v_cmp_gt_i32_e64 s0, s8, v4
	v_or_b32_e32 v12, 0xf00, v0
	s_delay_alu instid0(VALU_DEP_3) | instskip(NEXT) | instid1(VALU_DEP_3)
	v_and_or_b32 v13, 0xffff, v10, v5
	v_cndmask_b32_e64 v5, v9, v7, s0
	v_cmp_gt_i32_e64 s0, s8, v11
	s_delay_alu instid0(VALU_DEP_1) | instskip(SKIP_1) | instid1(VALU_DEP_1)
	v_cndmask_b32_e64 v4, v8, v3, s0
	v_cmp_gt_i32_e64 s0, s8, v12
	v_cndmask_b32_e64 v3, v10, v13, s0
	s_and_saveexec_b32 s0, vcc_lo
	s_cbranch_execnz .LBB202_53
; %bb.36:
	s_or_b32 exec_lo, exec_lo, s0
	s_delay_alu instid0(SALU_CYCLE_1)
	s_mov_b32 s0, exec_lo
	v_cmpx_gt_i32_e64 s8, v0
	s_cbranch_execnz .LBB202_54
.LBB202_37:
	s_or_b32 exec_lo, exec_lo, s0
	s_delay_alu instid0(SALU_CYCLE_1)
	s_mov_b32 s0, exec_lo
	v_cmpx_gt_i32_e64 s8, v0
	s_cbranch_execnz .LBB202_55
.LBB202_38:
	s_or_b32 exec_lo, exec_lo, s0
	s_delay_alu instid0(SALU_CYCLE_1)
	s_mov_b32 s0, exec_lo
	v_cmpx_gt_i32_e64 s8, v0
	s_cbranch_execnz .LBB202_56
.LBB202_39:
	s_or_b32 exec_lo, exec_lo, s0
	s_delay_alu instid0(SALU_CYCLE_1)
	s_mov_b32 s0, exec_lo
	v_cmpx_gt_i32_e64 s8, v0
	s_cbranch_execnz .LBB202_57
.LBB202_40:
	s_or_b32 exec_lo, exec_lo, s0
	s_delay_alu instid0(SALU_CYCLE_1)
	s_mov_b32 s0, exec_lo
	v_cmpx_gt_i32_e64 s8, v0
	s_cbranch_execnz .LBB202_58
.LBB202_41:
	s_or_b32 exec_lo, exec_lo, s0
	s_delay_alu instid0(SALU_CYCLE_1)
	s_mov_b32 s0, exec_lo
	v_cmpx_gt_i32_e64 s8, v0
	s_cbranch_execnz .LBB202_59
.LBB202_42:
	s_or_b32 exec_lo, exec_lo, s0
	s_delay_alu instid0(SALU_CYCLE_1)
	s_mov_b32 s0, exec_lo
	v_cmpx_gt_i32_e64 s8, v0
	s_cbranch_execnz .LBB202_60
.LBB202_43:
	s_or_b32 exec_lo, exec_lo, s0
	s_delay_alu instid0(SALU_CYCLE_1)
	s_mov_b32 s0, exec_lo
	v_cmpx_gt_i32_e64 s8, v0
	s_cbranch_execnz .LBB202_61
.LBB202_44:
	s_or_b32 exec_lo, exec_lo, s0
	s_delay_alu instid0(SALU_CYCLE_1)
	s_mov_b32 s0, exec_lo
	v_cmpx_gt_i32_e64 s8, v0
	s_cbranch_execnz .LBB202_62
.LBB202_45:
	s_or_b32 exec_lo, exec_lo, s0
	s_delay_alu instid0(SALU_CYCLE_1)
	s_mov_b32 s0, exec_lo
	v_cmpx_gt_i32_e64 s8, v0
	s_cbranch_execnz .LBB202_63
.LBB202_46:
	s_or_b32 exec_lo, exec_lo, s0
	s_delay_alu instid0(SALU_CYCLE_1)
	s_mov_b32 s0, exec_lo
	v_cmpx_gt_i32_e64 s8, v0
	s_cbranch_execnz .LBB202_64
.LBB202_47:
	s_or_b32 exec_lo, exec_lo, s0
	s_delay_alu instid0(SALU_CYCLE_1)
	s_mov_b32 s0, exec_lo
	v_cmpx_gt_i32_e64 s8, v0
	s_cbranch_execnz .LBB202_65
.LBB202_48:
	s_or_b32 exec_lo, exec_lo, s0
	s_delay_alu instid0(SALU_CYCLE_1)
	s_mov_b32 s0, exec_lo
	v_cmpx_gt_i32_e64 s8, v0
	s_cbranch_execnz .LBB202_66
.LBB202_49:
	s_or_b32 exec_lo, exec_lo, s0
	s_delay_alu instid0(SALU_CYCLE_1)
	s_mov_b32 s0, exec_lo
	v_cmpx_gt_i32_e64 s8, v0
	s_cbranch_execnz .LBB202_67
.LBB202_50:
	s_or_b32 exec_lo, exec_lo, s0
	s_delay_alu instid0(SALU_CYCLE_1)
	s_mov_b32 s0, exec_lo
	v_cmpx_gt_i32_e64 s8, v0
	s_cbranch_execz .LBB202_52
.LBB202_51:
	v_dual_lshrrev_b32 v1, 24, v3 :: v_dual_add_nc_u32 v0, s2, v0
	global_store_b8 v0, v1, s[4:5]
.LBB202_52:
	s_endpgm
.LBB202_53:
	v_mov_b32_e32 v0, v2
	global_store_b8 v1, v6, s[4:5]
	s_wait_xcnt 0x0
	s_or_b32 exec_lo, exec_lo, s0
	s_delay_alu instid0(SALU_CYCLE_1)
	s_mov_b32 s0, exec_lo
	v_cmpx_gt_i32_e64 s8, v0
	s_cbranch_execz .LBB202_37
.LBB202_54:
	v_dual_lshrrev_b32 v1, 8, v6 :: v_dual_add_nc_u32 v2, s2, v0
	v_add_nc_u32_e32 v0, 0x100, v0
	global_store_b8 v2, v1, s[4:5]
	s_wait_xcnt 0x0
	s_or_b32 exec_lo, exec_lo, s0
	s_delay_alu instid0(SALU_CYCLE_1)
	s_mov_b32 s0, exec_lo
	v_cmpx_gt_i32_e64 s8, v0
	s_cbranch_execz .LBB202_38
.LBB202_55:
	v_add_nc_u32_e32 v1, s2, v0
	v_add_nc_u32_e32 v0, 0x100, v0
	global_store_d16_hi_b8 v1, v6, s[4:5]
	s_wait_xcnt 0x0
	s_or_b32 exec_lo, exec_lo, s0
	s_delay_alu instid0(SALU_CYCLE_1)
	s_mov_b32 s0, exec_lo
	v_cmpx_gt_i32_e64 s8, v0
	s_cbranch_execz .LBB202_39
.LBB202_56:
	v_dual_lshrrev_b32 v1, 24, v6 :: v_dual_add_nc_u32 v2, s2, v0
	v_add_nc_u32_e32 v0, 0x100, v0
	global_store_b8 v2, v1, s[4:5]
	s_wait_xcnt 0x0
	s_or_b32 exec_lo, exec_lo, s0
	s_delay_alu instid0(SALU_CYCLE_1)
	s_mov_b32 s0, exec_lo
	v_cmpx_gt_i32_e64 s8, v0
	s_cbranch_execz .LBB202_40
.LBB202_57:
	v_add_nc_u32_e32 v1, s2, v0
	v_add_nc_u32_e32 v0, 0x100, v0
	global_store_b8 v1, v5, s[4:5]
	s_wait_xcnt 0x0
	s_or_b32 exec_lo, exec_lo, s0
	s_delay_alu instid0(SALU_CYCLE_1)
	s_mov_b32 s0, exec_lo
	v_cmpx_gt_i32_e64 s8, v0
	s_cbranch_execz .LBB202_41
.LBB202_58:
	v_dual_lshrrev_b32 v1, 8, v5 :: v_dual_add_nc_u32 v2, s2, v0
	v_add_nc_u32_e32 v0, 0x100, v0
	global_store_b8 v2, v1, s[4:5]
	s_wait_xcnt 0x0
	s_or_b32 exec_lo, exec_lo, s0
	s_delay_alu instid0(SALU_CYCLE_1)
	s_mov_b32 s0, exec_lo
	v_cmpx_gt_i32_e64 s8, v0
	s_cbranch_execz .LBB202_42
.LBB202_59:
	v_add_nc_u32_e32 v1, s2, v0
	v_add_nc_u32_e32 v0, 0x100, v0
	global_store_d16_hi_b8 v1, v5, s[4:5]
	s_wait_xcnt 0x0
	s_or_b32 exec_lo, exec_lo, s0
	s_delay_alu instid0(SALU_CYCLE_1)
	s_mov_b32 s0, exec_lo
	v_cmpx_gt_i32_e64 s8, v0
	s_cbranch_execz .LBB202_43
.LBB202_60:
	v_dual_lshrrev_b32 v1, 24, v5 :: v_dual_add_nc_u32 v2, s2, v0
	v_add_nc_u32_e32 v0, 0x100, v0
	global_store_b8 v2, v1, s[4:5]
	s_wait_xcnt 0x0
	s_or_b32 exec_lo, exec_lo, s0
	s_delay_alu instid0(SALU_CYCLE_1)
	s_mov_b32 s0, exec_lo
	v_cmpx_gt_i32_e64 s8, v0
	s_cbranch_execz .LBB202_44
.LBB202_61:
	v_add_nc_u32_e32 v1, s2, v0
	v_add_nc_u32_e32 v0, 0x100, v0
	global_store_b8 v1, v4, s[4:5]
	s_wait_xcnt 0x0
	s_or_b32 exec_lo, exec_lo, s0
	s_delay_alu instid0(SALU_CYCLE_1)
	s_mov_b32 s0, exec_lo
	v_cmpx_gt_i32_e64 s8, v0
	s_cbranch_execz .LBB202_45
.LBB202_62:
	v_lshrrev_b32_e32 v1, 8, v4
	v_add_nc_u32_e32 v2, s2, v0
	v_add_nc_u32_e32 v0, 0x100, v0
	global_store_b8 v2, v1, s[4:5]
	s_wait_xcnt 0x0
	s_or_b32 exec_lo, exec_lo, s0
	s_delay_alu instid0(SALU_CYCLE_1)
	s_mov_b32 s0, exec_lo
	v_cmpx_gt_i32_e64 s8, v0
	s_cbranch_execz .LBB202_46
.LBB202_63:
	v_add_nc_u32_e32 v1, s2, v0
	v_add_nc_u32_e32 v0, 0x100, v0
	global_store_d16_hi_b8 v1, v4, s[4:5]
	s_wait_xcnt 0x0
	s_or_b32 exec_lo, exec_lo, s0
	s_delay_alu instid0(SALU_CYCLE_1)
	s_mov_b32 s0, exec_lo
	v_cmpx_gt_i32_e64 s8, v0
	s_cbranch_execz .LBB202_47
.LBB202_64:
	v_lshrrev_b32_e32 v1, 24, v4
	v_add_nc_u32_e32 v2, s2, v0
	v_add_nc_u32_e32 v0, 0x100, v0
	global_store_b8 v2, v1, s[4:5]
	s_wait_xcnt 0x0
	s_or_b32 exec_lo, exec_lo, s0
	s_delay_alu instid0(SALU_CYCLE_1)
	s_mov_b32 s0, exec_lo
	v_cmpx_gt_i32_e64 s8, v0
	s_cbranch_execz .LBB202_48
.LBB202_65:
	v_add_nc_u32_e32 v1, s2, v0
	v_add_nc_u32_e32 v0, 0x100, v0
	global_store_b8 v1, v3, s[4:5]
	s_wait_xcnt 0x0
	s_or_b32 exec_lo, exec_lo, s0
	s_delay_alu instid0(SALU_CYCLE_1)
	s_mov_b32 s0, exec_lo
	v_cmpx_gt_i32_e64 s8, v0
	s_cbranch_execz .LBB202_49
.LBB202_66:
	v_dual_lshrrev_b32 v1, 8, v3 :: v_dual_add_nc_u32 v2, s2, v0
	v_add_nc_u32_e32 v0, 0x100, v0
	global_store_b8 v2, v1, s[4:5]
	s_wait_xcnt 0x0
	s_or_b32 exec_lo, exec_lo, s0
	s_delay_alu instid0(SALU_CYCLE_1)
	s_mov_b32 s0, exec_lo
	v_cmpx_gt_i32_e64 s8, v0
	s_cbranch_execz .LBB202_50
.LBB202_67:
	v_add_nc_u32_e32 v1, s2, v0
	v_add_nc_u32_e32 v0, 0x100, v0
	global_store_d16_hi_b8 v1, v3, s[4:5]
	s_wait_xcnt 0x0
	s_or_b32 exec_lo, exec_lo, s0
	s_delay_alu instid0(SALU_CYCLE_1)
	s_mov_b32 s0, exec_lo
	v_cmpx_gt_i32_e64 s8, v0
	s_cbranch_execnz .LBB202_51
	s_branch .LBB202_52
	.section	.rodata,"a",@progbits
	.p2align	6, 0x0
	.amdhsa_kernel _ZN2at6native29vectorized_elementwise_kernelILi4ENS0_13AUnaryFunctorIN3c108BFloat16ES4_bNS0_12_GLOBAL__N_116CompareEqFunctorIS4_EEEESt5arrayIPcLm2EEEEviT0_T1_
		.amdhsa_group_segment_fixed_size 0
		.amdhsa_private_segment_fixed_size 0
		.amdhsa_kernarg_size 32
		.amdhsa_user_sgpr_count 2
		.amdhsa_user_sgpr_dispatch_ptr 0
		.amdhsa_user_sgpr_queue_ptr 0
		.amdhsa_user_sgpr_kernarg_segment_ptr 1
		.amdhsa_user_sgpr_dispatch_id 0
		.amdhsa_user_sgpr_kernarg_preload_length 0
		.amdhsa_user_sgpr_kernarg_preload_offset 0
		.amdhsa_user_sgpr_private_segment_size 0
		.amdhsa_wavefront_size32 1
		.amdhsa_uses_dynamic_stack 0
		.amdhsa_enable_private_segment 0
		.amdhsa_system_sgpr_workgroup_id_x 1
		.amdhsa_system_sgpr_workgroup_id_y 0
		.amdhsa_system_sgpr_workgroup_id_z 0
		.amdhsa_system_sgpr_workgroup_info 0
		.amdhsa_system_vgpr_workitem_id 0
		.amdhsa_next_free_vgpr 33
		.amdhsa_next_free_sgpr 14
		.amdhsa_named_barrier_count 0
		.amdhsa_reserve_vcc 1
		.amdhsa_float_round_mode_32 0
		.amdhsa_float_round_mode_16_64 0
		.amdhsa_float_denorm_mode_32 3
		.amdhsa_float_denorm_mode_16_64 3
		.amdhsa_fp16_overflow 0
		.amdhsa_memory_ordered 1
		.amdhsa_forward_progress 1
		.amdhsa_inst_pref_size 41
		.amdhsa_round_robin_scheduling 0
		.amdhsa_exception_fp_ieee_invalid_op 0
		.amdhsa_exception_fp_denorm_src 0
		.amdhsa_exception_fp_ieee_div_zero 0
		.amdhsa_exception_fp_ieee_overflow 0
		.amdhsa_exception_fp_ieee_underflow 0
		.amdhsa_exception_fp_ieee_inexact 0
		.amdhsa_exception_int_div_zero 0
	.end_amdhsa_kernel
	.section	.text._ZN2at6native29vectorized_elementwise_kernelILi4ENS0_13AUnaryFunctorIN3c108BFloat16ES4_bNS0_12_GLOBAL__N_116CompareEqFunctorIS4_EEEESt5arrayIPcLm2EEEEviT0_T1_,"axG",@progbits,_ZN2at6native29vectorized_elementwise_kernelILi4ENS0_13AUnaryFunctorIN3c108BFloat16ES4_bNS0_12_GLOBAL__N_116CompareEqFunctorIS4_EEEESt5arrayIPcLm2EEEEviT0_T1_,comdat
.Lfunc_end202:
	.size	_ZN2at6native29vectorized_elementwise_kernelILi4ENS0_13AUnaryFunctorIN3c108BFloat16ES4_bNS0_12_GLOBAL__N_116CompareEqFunctorIS4_EEEESt5arrayIPcLm2EEEEviT0_T1_, .Lfunc_end202-_ZN2at6native29vectorized_elementwise_kernelILi4ENS0_13AUnaryFunctorIN3c108BFloat16ES4_bNS0_12_GLOBAL__N_116CompareEqFunctorIS4_EEEESt5arrayIPcLm2EEEEviT0_T1_
                                        ; -- End function
	.set _ZN2at6native29vectorized_elementwise_kernelILi4ENS0_13AUnaryFunctorIN3c108BFloat16ES4_bNS0_12_GLOBAL__N_116CompareEqFunctorIS4_EEEESt5arrayIPcLm2EEEEviT0_T1_.num_vgpr, 33
	.set _ZN2at6native29vectorized_elementwise_kernelILi4ENS0_13AUnaryFunctorIN3c108BFloat16ES4_bNS0_12_GLOBAL__N_116CompareEqFunctorIS4_EEEESt5arrayIPcLm2EEEEviT0_T1_.num_agpr, 0
	.set _ZN2at6native29vectorized_elementwise_kernelILi4ENS0_13AUnaryFunctorIN3c108BFloat16ES4_bNS0_12_GLOBAL__N_116CompareEqFunctorIS4_EEEESt5arrayIPcLm2EEEEviT0_T1_.numbered_sgpr, 14
	.set _ZN2at6native29vectorized_elementwise_kernelILi4ENS0_13AUnaryFunctorIN3c108BFloat16ES4_bNS0_12_GLOBAL__N_116CompareEqFunctorIS4_EEEESt5arrayIPcLm2EEEEviT0_T1_.num_named_barrier, 0
	.set _ZN2at6native29vectorized_elementwise_kernelILi4ENS0_13AUnaryFunctorIN3c108BFloat16ES4_bNS0_12_GLOBAL__N_116CompareEqFunctorIS4_EEEESt5arrayIPcLm2EEEEviT0_T1_.private_seg_size, 0
	.set _ZN2at6native29vectorized_elementwise_kernelILi4ENS0_13AUnaryFunctorIN3c108BFloat16ES4_bNS0_12_GLOBAL__N_116CompareEqFunctorIS4_EEEESt5arrayIPcLm2EEEEviT0_T1_.uses_vcc, 1
	.set _ZN2at6native29vectorized_elementwise_kernelILi4ENS0_13AUnaryFunctorIN3c108BFloat16ES4_bNS0_12_GLOBAL__N_116CompareEqFunctorIS4_EEEESt5arrayIPcLm2EEEEviT0_T1_.uses_flat_scratch, 0
	.set _ZN2at6native29vectorized_elementwise_kernelILi4ENS0_13AUnaryFunctorIN3c108BFloat16ES4_bNS0_12_GLOBAL__N_116CompareEqFunctorIS4_EEEESt5arrayIPcLm2EEEEviT0_T1_.has_dyn_sized_stack, 0
	.set _ZN2at6native29vectorized_elementwise_kernelILi4ENS0_13AUnaryFunctorIN3c108BFloat16ES4_bNS0_12_GLOBAL__N_116CompareEqFunctorIS4_EEEESt5arrayIPcLm2EEEEviT0_T1_.has_recursion, 0
	.set _ZN2at6native29vectorized_elementwise_kernelILi4ENS0_13AUnaryFunctorIN3c108BFloat16ES4_bNS0_12_GLOBAL__N_116CompareEqFunctorIS4_EEEESt5arrayIPcLm2EEEEviT0_T1_.has_indirect_call, 0
	.section	.AMDGPU.csdata,"",@progbits
; Kernel info:
; codeLenInByte = 5156
; TotalNumSgprs: 16
; NumVgprs: 33
; ScratchSize: 0
; MemoryBound: 0
; FloatMode: 240
; IeeeMode: 1
; LDSByteSize: 0 bytes/workgroup (compile time only)
; SGPRBlocks: 0
; VGPRBlocks: 2
; NumSGPRsForWavesPerEU: 16
; NumVGPRsForWavesPerEU: 33
; NamedBarCnt: 0
; Occupancy: 16
; WaveLimiterHint : 1
; COMPUTE_PGM_RSRC2:SCRATCH_EN: 0
; COMPUTE_PGM_RSRC2:USER_SGPR: 2
; COMPUTE_PGM_RSRC2:TRAP_HANDLER: 0
; COMPUTE_PGM_RSRC2:TGID_X_EN: 1
; COMPUTE_PGM_RSRC2:TGID_Y_EN: 0
; COMPUTE_PGM_RSRC2:TGID_Z_EN: 0
; COMPUTE_PGM_RSRC2:TIDIG_COMP_CNT: 0
	.section	.text._ZN2at6native29vectorized_elementwise_kernelILi2ENS0_13AUnaryFunctorIN3c108BFloat16ES4_bNS0_12_GLOBAL__N_116CompareEqFunctorIS4_EEEESt5arrayIPcLm2EEEEviT0_T1_,"axG",@progbits,_ZN2at6native29vectorized_elementwise_kernelILi2ENS0_13AUnaryFunctorIN3c108BFloat16ES4_bNS0_12_GLOBAL__N_116CompareEqFunctorIS4_EEEESt5arrayIPcLm2EEEEviT0_T1_,comdat
	.globl	_ZN2at6native29vectorized_elementwise_kernelILi2ENS0_13AUnaryFunctorIN3c108BFloat16ES4_bNS0_12_GLOBAL__N_116CompareEqFunctorIS4_EEEESt5arrayIPcLm2EEEEviT0_T1_ ; -- Begin function _ZN2at6native29vectorized_elementwise_kernelILi2ENS0_13AUnaryFunctorIN3c108BFloat16ES4_bNS0_12_GLOBAL__N_116CompareEqFunctorIS4_EEEESt5arrayIPcLm2EEEEviT0_T1_
	.p2align	8
	.type	_ZN2at6native29vectorized_elementwise_kernelILi2ENS0_13AUnaryFunctorIN3c108BFloat16ES4_bNS0_12_GLOBAL__N_116CompareEqFunctorIS4_EEEESt5arrayIPcLm2EEEEviT0_T1_,@function
_ZN2at6native29vectorized_elementwise_kernelILi2ENS0_13AUnaryFunctorIN3c108BFloat16ES4_bNS0_12_GLOBAL__N_116CompareEqFunctorIS4_EEEESt5arrayIPcLm2EEEEviT0_T1_: ; @_ZN2at6native29vectorized_elementwise_kernelILi2ENS0_13AUnaryFunctorIN3c108BFloat16ES4_bNS0_12_GLOBAL__N_116CompareEqFunctorIS4_EEEESt5arrayIPcLm2EEEEviT0_T1_
; %bb.0:
	s_clause 0x1
	s_load_b96 s[8:10], s[0:1], 0x0
	s_load_b128 s[4:7], s[0:1], 0x10
	s_wait_xcnt 0x0
	s_bfe_u32 s0, ttmp6, 0x4000c
	s_and_b32 s1, ttmp6, 15
	s_add_co_i32 s0, s0, 1
	s_getreg_b32 s2, hwreg(HW_REG_IB_STS2, 6, 4)
	s_mul_i32 s0, ttmp9, s0
	s_delay_alu instid0(SALU_CYCLE_1)
	s_add_co_i32 s1, s1, s0
	s_cmp_eq_u32 s2, 0
	s_cselect_b32 s0, ttmp9, s1
	s_mov_b32 s1, -1
	s_lshl_b32 s2, s0, 12
	s_wait_kmcnt 0x0
	s_sub_co_i32 s8, s8, s2
	s_delay_alu instid0(SALU_CYCLE_1)
	s_cmp_gt_i32 s8, 0xfff
	s_cbranch_scc0 .LBB203_2
; %bb.1:
	s_ashr_i32 s3, s2, 31
	s_delay_alu instid0(SALU_CYCLE_1)
	s_lshl_b64 s[0:1], s[2:3], 1
	s_cmp_eq_u32 s9, 0
	s_add_nc_u64 s[0:1], s[6:7], s[0:1]
	s_add_nc_u64 s[12:13], s[4:5], s[2:3]
	s_clause 0x7
	global_load_b32 v1, v0, s[0:1] scale_offset
	global_load_b32 v2, v0, s[0:1] offset:1024 scale_offset
	global_load_b32 v3, v0, s[0:1] offset:2048 scale_offset
	;; [unrolled: 1-line block ×7, first 2 shown]
	s_cselect_b32 vcc_lo, -1, 0
	s_lshl_b32 s3, s10, 16
	s_wait_xcnt 0x0
	s_mov_b32 s1, 0
	s_wait_loadcnt 0x6
	v_dual_lshlrev_b32 v9, 16, v1 :: v_dual_lshlrev_b32 v10, 16, v2
	v_and_b32_e32 v1, 0xffff0000, v1
	v_and_b32_e32 v2, 0xffff0000, v2
	s_wait_loadcnt 0x4
	v_dual_lshlrev_b32 v11, 16, v3 :: v_dual_lshlrev_b32 v12, 16, v4
	v_cmp_eq_f32_e64 s0, s3, v9
	v_and_b32_e32 v3, 0xffff0000, v3
	v_and_b32_e32 v4, 0xffff0000, v4
	s_wait_loadcnt 0x2
	v_dual_lshlrev_b32 v13, 16, v5 :: v_dual_lshlrev_b32 v14, 16, v6
	v_cndmask_b32_e64 v17, 0, 1, s0
	v_cmp_neq_f32_e64 s0, s3, v9
	v_and_b32_e32 v5, 0xffff0000, v5
	v_and_b32_e32 v6, 0xffff0000, v6
	s_wait_loadcnt 0x0
	v_dual_lshlrev_b32 v15, 16, v7 :: v_dual_lshlrev_b32 v16, 16, v8
	v_cndmask_b32_e64 v9, 0, 1, s0
	v_cmp_eq_f32_e64 s0, s3, v1
	v_and_b32_e32 v7, 0xffff0000, v7
	v_and_b32_e32 v8, 0xffff0000, v8
	s_delay_alu instid0(VALU_DEP_3) | instskip(SKIP_1) | instid1(VALU_DEP_1)
	v_cndmask_b32_e64 v18, 0, 1, s0
	v_cmp_neq_f32_e64 s0, s3, v1
	v_cndmask_b32_e64 v1, 0, 1, s0
	v_cmp_eq_f32_e64 s0, s3, v10
	s_delay_alu instid0(VALU_DEP_1) | instskip(SKIP_1) | instid1(VALU_DEP_1)
	v_cndmask_b32_e64 v19, 0, 1, s0
	v_cmp_neq_f32_e64 s0, s3, v10
	v_cndmask_b32_e64 v10, 0, 1, s0
	v_cmp_eq_f32_e64 s0, s3, v2
	s_delay_alu instid0(VALU_DEP_2) | instskip(NEXT) | instid1(VALU_DEP_2)
	v_dual_cndmask_b32 v9, v9, v17 :: v_dual_cndmask_b32 v10, v10, v19
	v_cndmask_b32_e64 v20, 0, 1, s0
	v_cmp_neq_f32_e64 s0, s3, v2
	s_delay_alu instid0(VALU_DEP_1) | instskip(SKIP_1) | instid1(VALU_DEP_2)
	v_cndmask_b32_e64 v2, 0, 1, s0
	v_cmp_eq_f32_e64 s0, s3, v11
	v_dual_cndmask_b32 v1, v1, v18 :: v_dual_cndmask_b32 v2, v2, v20
	s_delay_alu instid0(VALU_DEP_2) | instskip(SKIP_1) | instid1(VALU_DEP_3)
	v_cndmask_b32_e64 v21, 0, 1, s0
	v_cmp_neq_f32_e64 s0, s3, v11
	v_and_b32_e32 v1, 1, v1
	s_delay_alu instid0(VALU_DEP_4) | instskip(NEXT) | instid1(VALU_DEP_3)
	v_and_b32_e32 v2, 1, v2
	v_cndmask_b32_e64 v11, 0, 1, s0
	v_cmp_eq_f32_e64 s0, s3, v3
	s_delay_alu instid0(VALU_DEP_4) | instskip(NEXT) | instid1(VALU_DEP_4)
	v_lshlrev_b16 v1, 8, v1
	v_lshlrev_b16 v2, 8, v2
	s_delay_alu instid0(VALU_DEP_3) | instskip(SKIP_1) | instid1(VALU_DEP_4)
	v_cndmask_b32_e64 v22, 0, 1, s0
	v_cmp_neq_f32_e64 s0, s3, v3
	v_bitop3_b16 v1, v9, v1, 1 bitop3:0xec
	s_delay_alu instid0(VALU_DEP_4) | instskip(NEXT) | instid1(VALU_DEP_3)
	v_bitop3_b16 v2, v10, v2, 1 bitop3:0xec
	v_cndmask_b32_e64 v3, 0, 1, s0
	v_cmp_eq_f32_e64 s0, s3, v12
	s_delay_alu instid0(VALU_DEP_1) | instskip(SKIP_1) | instid1(VALU_DEP_1)
	v_cndmask_b32_e64 v23, 0, 1, s0
	v_cmp_neq_f32_e64 s0, s3, v12
	v_cndmask_b32_e64 v12, 0, 1, s0
	v_cmp_eq_f32_e64 s0, s3, v4
	s_delay_alu instid0(VALU_DEP_2) | instskip(NEXT) | instid1(VALU_DEP_2)
	v_dual_cndmask_b32 v11, v11, v21 :: v_dual_cndmask_b32 v12, v12, v23
	v_cndmask_b32_e64 v24, 0, 1, s0
	v_cmp_neq_f32_e64 s0, s3, v4
	s_delay_alu instid0(VALU_DEP_1) | instskip(SKIP_1) | instid1(VALU_DEP_2)
	v_cndmask_b32_e64 v4, 0, 1, s0
	v_cmp_eq_f32_e64 s0, s3, v13
	v_dual_cndmask_b32 v3, v3, v22 :: v_dual_cndmask_b32 v4, v4, v24
	s_delay_alu instid0(VALU_DEP_2) | instskip(SKIP_1) | instid1(VALU_DEP_3)
	v_cndmask_b32_e64 v25, 0, 1, s0
	v_cmp_neq_f32_e64 s0, s3, v13
	v_and_b32_e32 v3, 1, v3
	s_delay_alu instid0(VALU_DEP_4) | instskip(NEXT) | instid1(VALU_DEP_3)
	v_and_b32_e32 v4, 1, v4
	v_cndmask_b32_e64 v13, 0, 1, s0
	v_cmp_eq_f32_e64 s0, s3, v5
	s_delay_alu instid0(VALU_DEP_4) | instskip(NEXT) | instid1(VALU_DEP_4)
	v_lshlrev_b16 v3, 8, v3
	v_lshlrev_b16 v4, 8, v4
	s_delay_alu instid0(VALU_DEP_3) | instskip(SKIP_1) | instid1(VALU_DEP_4)
	v_cndmask_b32_e64 v26, 0, 1, s0
	v_cmp_neq_f32_e64 s0, s3, v5
	v_bitop3_b16 v3, v11, v3, 1 bitop3:0xec
	s_delay_alu instid0(VALU_DEP_4) | instskip(NEXT) | instid1(VALU_DEP_3)
	v_bitop3_b16 v4, v12, v4, 1 bitop3:0xec
	;; [unrolled: 32-line block ×3, first 2 shown]
	v_cndmask_b32_e64 v7, 0, 1, s0
	v_cmp_eq_f32_e64 s0, s3, v16
	s_delay_alu instid0(VALU_DEP_1) | instskip(SKIP_1) | instid1(VALU_DEP_1)
	v_cndmask_b32_e64 v31, 0, 1, s0
	v_cmp_neq_f32_e64 s0, s3, v16
	v_cndmask_b32_e64 v16, 0, 1, s0
	v_cmp_eq_f32_e64 s0, s3, v8
	s_delay_alu instid0(VALU_DEP_2) | instskip(NEXT) | instid1(VALU_DEP_2)
	v_dual_cndmask_b32 v7, v7, v30 :: v_dual_cndmask_b32 v16, v16, v31
	v_cndmask_b32_e64 v32, 0, 1, s0
	v_cmp_neq_f32_e64 s0, s3, v8
	s_delay_alu instid0(VALU_DEP_3) | instskip(NEXT) | instid1(VALU_DEP_2)
	v_and_b32_e32 v7, 1, v7
	v_cndmask_b32_e64 v8, 0, 1, s0
	v_cndmask_b32_e32 v15, v15, v29, vcc_lo
	s_delay_alu instid0(VALU_DEP_3) | instskip(NEXT) | instid1(VALU_DEP_3)
	v_lshlrev_b16 v7, 8, v7
	v_cndmask_b32_e32 v8, v8, v32, vcc_lo
	s_delay_alu instid0(VALU_DEP_2) | instskip(NEXT) | instid1(VALU_DEP_2)
	v_bitop3_b16 v7, v15, v7, 1 bitop3:0xec
	v_and_b32_e32 v8, 1, v8
	s_delay_alu instid0(VALU_DEP_1) | instskip(NEXT) | instid1(VALU_DEP_1)
	v_lshlrev_b16 v8, 8, v8
	v_bitop3_b16 v8, v16, v8, 1 bitop3:0xec
	s_clause 0x7
	global_store_b16 v0, v1, s[12:13] scale_offset
	global_store_b16 v0, v2, s[12:13] offset:512 scale_offset
	global_store_b16 v0, v3, s[12:13] offset:1024 scale_offset
	global_store_b16 v0, v4, s[12:13] offset:1536 scale_offset
	global_store_b16 v0, v5, s[12:13] offset:2048 scale_offset
	global_store_b16 v0, v6, s[12:13] offset:2560 scale_offset
	global_store_b16 v0, v7, s[12:13] offset:3072 scale_offset
	global_store_b16 v0, v8, s[12:13] offset:3584 scale_offset
.LBB203_2:
	s_and_not1_b32 vcc_lo, exec_lo, s1
	s_cbranch_vccnz .LBB203_52
; %bb.3:
	v_cmp_gt_i32_e32 vcc_lo, s8, v0
	s_wait_xcnt 0x7
	v_dual_mov_b32 v9, 0 :: v_dual_bitop2_b32 v1, s2, v0 bitop3:0x54
	s_wait_xcnt 0x6
	v_or_b32_e32 v2, 0x100, v0
	v_dual_mov_b32 v10, 0 :: v_dual_mov_b32 v12, v0
	s_wait_xcnt 0x0
	s_and_saveexec_b32 s0, vcc_lo
	s_cbranch_execz .LBB203_5
; %bb.4:
	global_load_u16 v3, v1, s[6:7] scale_offset
	v_or_b32_e32 v12, 0x100, v0
	s_wait_loadcnt 0x0
	v_lshlrev_b32_e32 v10, 16, v3
.LBB203_5:
	s_wait_xcnt 0x0
	s_or_b32 exec_lo, exec_lo, s0
	s_delay_alu instid0(SALU_CYCLE_1)
	s_mov_b32 s1, exec_lo
	v_cmpx_gt_i32_e64 s8, v12
	s_cbranch_execz .LBB203_7
; %bb.6:
	v_add_nc_u32_e32 v3, s2, v12
	v_add_nc_u32_e32 v12, 0x100, v12
	global_load_u16 v3, v3, s[6:7] scale_offset
	s_wait_loadcnt 0x0
	v_lshlrev_b32_e32 v9, 16, v3
.LBB203_7:
	s_wait_xcnt 0x0
	s_or_b32 exec_lo, exec_lo, s1
	v_dual_mov_b32 v4, 0 :: v_dual_mov_b32 v7, 0
	s_mov_b32 s1, exec_lo
	v_cmpx_gt_i32_e64 s8, v12
	s_cbranch_execz .LBB203_9
; %bb.8:
	v_add_nc_u32_e32 v3, s2, v12
	v_add_nc_u32_e32 v12, 0x100, v12
	global_load_u16 v3, v3, s[6:7] scale_offset
	s_wait_loadcnt 0x0
	v_lshlrev_b32_e32 v7, 16, v3
.LBB203_9:
	s_wait_xcnt 0x0
	s_or_b32 exec_lo, exec_lo, s1
	s_delay_alu instid0(SALU_CYCLE_1)
	s_mov_b32 s1, exec_lo
	v_cmpx_gt_i32_e64 s8, v12
	s_cbranch_execz .LBB203_11
; %bb.10:
	v_add_nc_u32_e32 v3, s2, v12
	v_add_nc_u32_e32 v12, 0x100, v12
	global_load_u16 v3, v3, s[6:7] scale_offset
	s_wait_loadcnt 0x0
	v_lshlrev_b32_e32 v4, 16, v3
.LBB203_11:
	s_wait_xcnt 0x0
	s_or_b32 exec_lo, exec_lo, s1
	v_dual_mov_b32 v13, 0 :: v_dual_mov_b32 v16, 0
	s_mov_b32 s1, exec_lo
	v_cmpx_gt_i32_e64 s8, v12
	s_cbranch_execz .LBB203_13
; %bb.12:
	v_add_nc_u32_e32 v3, s2, v12
	v_add_nc_u32_e32 v12, 0x100, v12
	global_load_u16 v3, v3, s[6:7] scale_offset
	s_wait_loadcnt 0x0
	v_lshlrev_b32_e32 v16, 16, v3
.LBB203_13:
	s_wait_xcnt 0x0
	s_or_b32 exec_lo, exec_lo, s1
	s_delay_alu instid0(SALU_CYCLE_1)
	s_mov_b32 s1, exec_lo
	v_cmpx_gt_i32_e64 s8, v12
	s_cbranch_execz .LBB203_15
; %bb.14:
	v_add_nc_u32_e32 v3, s2, v12
	v_add_nc_u32_e32 v12, 0x100, v12
	global_load_u16 v3, v3, s[6:7] scale_offset
	s_wait_loadcnt 0x0
	v_lshlrev_b32_e32 v13, 16, v3
.LBB203_15:
	s_wait_xcnt 0x0
	s_or_b32 exec_lo, exec_lo, s1
	v_dual_mov_b32 v11, 0 :: v_dual_mov_b32 v15, 0
	s_mov_b32 s1, exec_lo
	v_cmpx_gt_i32_e64 s8, v12
	s_cbranch_execz .LBB203_17
; %bb.16:
	v_add_nc_u32_e32 v3, s2, v12
	v_add_nc_u32_e32 v12, 0x100, v12
	global_load_u16 v3, v3, s[6:7] scale_offset
	s_wait_loadcnt 0x0
	v_lshlrev_b32_e32 v15, 16, v3
.LBB203_17:
	s_wait_xcnt 0x0
	s_or_b32 exec_lo, exec_lo, s1
	s_delay_alu instid0(SALU_CYCLE_1)
	s_mov_b32 s1, exec_lo
	v_cmpx_gt_i32_e64 s8, v12
	s_cbranch_execz .LBB203_19
; %bb.18:
	v_add_nc_u32_e32 v3, s2, v12
	v_add_nc_u32_e32 v12, 0x100, v12
	global_load_u16 v3, v3, s[6:7] scale_offset
	s_wait_loadcnt 0x0
	v_lshlrev_b32_e32 v11, 16, v3
.LBB203_19:
	s_wait_xcnt 0x0
	s_or_b32 exec_lo, exec_lo, s1
	v_dual_mov_b32 v5, 0 :: v_dual_mov_b32 v6, 0
	s_mov_b32 s1, exec_lo
	v_cmpx_gt_i32_e64 s8, v12
	s_cbranch_execz .LBB203_21
; %bb.20:
	v_add_nc_u32_e32 v3, s2, v12
	v_add_nc_u32_e32 v12, 0x100, v12
	global_load_u16 v3, v3, s[6:7] scale_offset
	s_wait_loadcnt 0x0
	v_lshlrev_b32_e32 v6, 16, v3
.LBB203_21:
	s_wait_xcnt 0x0
	s_or_b32 exec_lo, exec_lo, s1
	s_delay_alu instid0(SALU_CYCLE_1)
	s_mov_b32 s1, exec_lo
	v_cmpx_gt_i32_e64 s8, v12
	s_cbranch_execz .LBB203_23
; %bb.22:
	v_add_nc_u32_e32 v3, s2, v12
	v_add_nc_u32_e32 v12, 0x100, v12
	global_load_u16 v3, v3, s[6:7] scale_offset
	s_wait_loadcnt 0x0
	v_lshlrev_b32_e32 v5, 16, v3
.LBB203_23:
	s_wait_xcnt 0x0
	s_or_b32 exec_lo, exec_lo, s1
	v_dual_mov_b32 v3, 0 :: v_dual_mov_b32 v8, 0
	s_mov_b32 s1, exec_lo
	v_cmpx_gt_i32_e64 s8, v12
	s_cbranch_execz .LBB203_25
; %bb.24:
	v_add_nc_u32_e32 v8, s2, v12
	v_add_nc_u32_e32 v12, 0x100, v12
	global_load_u16 v8, v8, s[6:7] scale_offset
	s_wait_loadcnt 0x0
	v_lshlrev_b32_e32 v8, 16, v8
.LBB203_25:
	s_or_b32 exec_lo, exec_lo, s1
	s_delay_alu instid0(SALU_CYCLE_1)
	s_mov_b32 s1, exec_lo
	v_cmpx_gt_i32_e64 s8, v12
	s_cbranch_execz .LBB203_27
; %bb.26:
	v_add_nc_u32_e32 v3, s2, v12
	v_add_nc_u32_e32 v12, 0x100, v12
	global_load_u16 v3, v3, s[6:7] scale_offset
	s_wait_loadcnt 0x0
	v_lshlrev_b32_e32 v3, 16, v3
.LBB203_27:
	s_or_b32 exec_lo, exec_lo, s1
	v_dual_mov_b32 v18, 0 :: v_dual_mov_b32 v19, 0
	s_mov_b32 s1, exec_lo
	v_cmpx_gt_i32_e64 s8, v12
	s_cbranch_execz .LBB203_29
; %bb.28:
	v_add_nc_u32_e32 v14, s2, v12
	v_add_nc_u32_e32 v12, 0x100, v12
	global_load_u16 v14, v14, s[6:7] scale_offset
	s_wait_loadcnt 0x0
	v_lshlrev_b32_e32 v19, 16, v14
.LBB203_29:
	s_wait_xcnt 0x0
	s_or_b32 exec_lo, exec_lo, s1
	s_delay_alu instid0(SALU_CYCLE_1)
	s_mov_b32 s1, exec_lo
	v_cmpx_gt_i32_e64 s8, v12
	s_cbranch_execz .LBB203_31
; %bb.30:
	v_add_nc_u32_e32 v14, s2, v12
	v_add_nc_u32_e32 v12, 0x100, v12
	global_load_u16 v14, v14, s[6:7] scale_offset
	s_wait_loadcnt 0x0
	v_lshlrev_b32_e32 v18, 16, v14
.LBB203_31:
	s_wait_xcnt 0x0
	s_or_b32 exec_lo, exec_lo, s1
	v_dual_mov_b32 v14, 0 :: v_dual_mov_b32 v17, 0
	s_mov_b32 s1, exec_lo
	v_cmpx_gt_i32_e64 s8, v12
	s_cbranch_execz .LBB203_33
; %bb.32:
	v_add_nc_u32_e32 v17, s2, v12
	v_add_nc_u32_e32 v12, 0x100, v12
	global_load_u16 v17, v17, s[6:7] scale_offset
	s_wait_loadcnt 0x0
	v_lshlrev_b32_e32 v17, 16, v17
.LBB203_33:
	s_or_b32 exec_lo, exec_lo, s1
	s_delay_alu instid0(SALU_CYCLE_1)
	s_mov_b32 s1, exec_lo
	v_cmpx_gt_i32_e64 s8, v12
	s_cbranch_execz .LBB203_35
; %bb.34:
	v_add_nc_u32_e32 v12, s2, v12
	global_load_u16 v12, v12, s[6:7] scale_offset
	s_wait_loadcnt 0x0
	v_lshlrev_b32_e32 v14, 16, v12
.LBB203_35:
	s_wait_xcnt 0x0
	s_or_b32 exec_lo, exec_lo, s1
	s_cmp_eq_u32 s9, 0
	s_cselect_b32 s0, -1, 0
	s_lshl_b32 s3, s10, 16
	s_delay_alu instid0(SALU_CYCLE_1) | instskip(NEXT) | instid1(VALU_DEP_1)
	v_cmp_eq_f32_e64 s1, s3, v10
	v_cndmask_b32_e64 v12, 0, 1, s1
	v_cmp_neq_f32_e64 s1, s3, v10
	s_delay_alu instid0(VALU_DEP_1) | instskip(SKIP_1) | instid1(VALU_DEP_1)
	v_cndmask_b32_e64 v10, 0, 1, s1
	v_cmp_eq_f32_e64 s1, s3, v9
	v_cndmask_b32_e64 v20, 0, 1, s1
	v_cmp_neq_f32_e64 s1, s3, v9
	s_delay_alu instid0(VALU_DEP_1) | instskip(SKIP_1) | instid1(VALU_DEP_2)
	v_cndmask_b32_e64 v9, 0, 1, s1
	v_cmp_eq_f32_e64 s1, s3, v16
	v_cndmask_b32_e64 v9, v9, v20, s0
	s_delay_alu instid0(VALU_DEP_2) | instskip(SKIP_4) | instid1(VALU_DEP_4)
	v_cndmask_b32_e64 v20, 0, 1, s1
	v_cmp_neq_f32_e64 s1, s3, v16
	v_cndmask_b32_e64 v10, v10, v12, s0
	v_cndmask_b32_e64 v12, 0, 1, vcc_lo
	v_and_b32_e32 v9, 1, v9
	v_cndmask_b32_e64 v16, 0, 1, s1
	v_cmp_eq_f32_e64 s1, s3, v13
	s_delay_alu instid0(VALU_DEP_4) | instskip(NEXT) | instid1(VALU_DEP_4)
	v_and_b32_e32 v10, v12, v10
	v_lshlrev_b16 v9, 8, v9
	s_delay_alu instid0(VALU_DEP_4) | instskip(NEXT) | instid1(VALU_DEP_4)
	v_cndmask_b32_e64 v12, v16, v20, s0
	v_cndmask_b32_e64 v16, 0, 1, s1
	v_cmp_neq_f32_e64 s1, s3, v13
	s_delay_alu instid0(VALU_DEP_4) | instskip(SKIP_2) | instid1(VALU_DEP_4)
	v_or_b32_e32 v9, v10, v9
	v_or_b32_e32 v20, 0x400, v0
	v_bitop3_b16 v12, v12, 0, 1 bitop3:0xec
	v_cndmask_b32_e64 v13, 0, 1, s1
	v_cmp_eq_f32_e64 s1, s3, v7
	v_and_b32_e32 v9, 0xffff, v9
	s_delay_alu instid0(VALU_DEP_4) | instskip(NEXT) | instid1(VALU_DEP_4)
	v_and_b32_e32 v12, 0xffff, v12
	v_cndmask_b32_e64 v13, v13, v16, s0
	s_delay_alu instid0(VALU_DEP_4) | instskip(SKIP_1) | instid1(VALU_DEP_1)
	v_cndmask_b32_e64 v16, 0, 1, s1
	v_cmp_neq_f32_e64 s1, s3, v7
	v_cndmask_b32_e64 v7, 0, 1, s1
	v_cmp_gt_i32_e64 s1, s8, v20
	s_delay_alu instid0(VALU_DEP_2) | instskip(NEXT) | instid1(VALU_DEP_2)
	v_dual_cndmask_b32 v7, v7, v16, s0 :: v_dual_bitop2_b32 v13, 1, v13 bitop3:0x40
	v_cndmask_b32_e64 v12, 0, v12, s1
	v_cmp_gt_i32_e64 s1, s8, v2
	s_delay_alu instid0(VALU_DEP_3) | instskip(NEXT) | instid1(VALU_DEP_4)
	v_and_b32_e32 v7, 1, v7
	v_lshlrev_b16 v13, 8, v13
	s_delay_alu instid0(VALU_DEP_3) | instskip(SKIP_2) | instid1(VALU_DEP_4)
	v_cndmask_b32_e64 v9, v10, v9, s1
	v_cmp_eq_f32_e64 s1, s3, v4
	v_or_b32_e32 v10, 0x500, v0
	v_bitop3_b16 v13, v12, v13, 0xff bitop3:0xec
	s_delay_alu instid0(VALU_DEP_4) | instskip(NEXT) | instid1(VALU_DEP_4)
	v_lshl_or_b32 v7, v7, 16, v9
	v_cndmask_b32_e64 v16, 0, 1, s1
	v_cmp_neq_f32_e64 s1, s3, v4
	s_delay_alu instid0(VALU_DEP_4) | instskip(NEXT) | instid1(VALU_DEP_2)
	v_and_b32_e32 v13, 0xffff, v13
	v_cndmask_b32_e64 v4, 0, 1, s1
	v_cmp_gt_i32_e64 s1, s8, v10
	s_delay_alu instid0(VALU_DEP_1) | instskip(SKIP_3) | instid1(VALU_DEP_3)
	v_cndmask_b32_e64 v10, v12, v13, s1
	v_cmp_eq_f32_e64 s1, s3, v15
	v_or_b32_e32 v12, 0x200, v0
	v_cndmask_b32_e64 v4, v4, v16, s0
	v_cndmask_b32_e64 v16, 0, 1, s1
	v_cmp_neq_f32_e64 s1, s3, v15
	s_delay_alu instid0(VALU_DEP_1) | instskip(SKIP_1) | instid1(VALU_DEP_1)
	v_cndmask_b32_e64 v15, 0, 1, s1
	v_cmp_gt_i32_e64 s1, s8, v12
	v_dual_cndmask_b32 v12, v15, v16, s0 :: v_dual_cndmask_b32 v7, v9, v7, s1
	v_lshrrev_b32_e32 v13, 16, v10
	v_cmp_eq_f32_e64 s1, s3, v11
	v_and_b32_e32 v4, 1, v4
	s_delay_alu instid0(VALU_DEP_3) | instskip(SKIP_1) | instid1(VALU_DEP_3)
	v_and_b32_e32 v9, 0xffffff00, v13
	v_lshrrev_b32_e32 v13, 16, v7
	v_lshlrev_b16 v4, 8, v4
	s_delay_alu instid0(VALU_DEP_3) | instskip(SKIP_2) | instid1(VALU_DEP_4)
	v_bitop3_b16 v9, v12, v9, 1 bitop3:0xec
	v_cndmask_b32_e64 v12, 0, 1, s1
	v_cmp_neq_f32_e64 s1, s3, v11
	v_bitop3_b16 v4, v13, v4, 0xff bitop3:0xec
	v_or_b32_e32 v13, 0x600, v0
	v_lshlrev_b32_e32 v9, 16, v9
	s_delay_alu instid0(VALU_DEP_4) | instskip(SKIP_1) | instid1(VALU_DEP_3)
	v_cndmask_b32_e64 v11, 0, 1, s1
	v_cmp_eq_f32_e64 s1, s3, v6
	v_and_or_b32 v9, 0xffff, v10, v9
	s_delay_alu instid0(VALU_DEP_2) | instskip(SKIP_1) | instid1(VALU_DEP_1)
	v_cndmask_b32_e64 v15, 0, 1, s1
	v_cmp_eq_f32_e64 s1, s3, v19
	v_cndmask_b32_e64 v16, 0, 1, s1
	v_cmp_neq_f32_e64 s1, s3, v19
	s_delay_alu instid0(VALU_DEP_1) | instskip(SKIP_1) | instid1(VALU_DEP_1)
	v_cndmask_b32_e64 v19, 0, 1, s1
	v_cmp_eq_f32_e64 s1, s3, v18
	v_cndmask_b32_e64 v20, 0, 1, s1
	v_cmp_neq_f32_e64 s1, s3, v18
	s_delay_alu instid0(VALU_DEP_1) | instskip(SKIP_1) | instid1(VALU_DEP_1)
	v_cndmask_b32_e64 v18, 0, 1, s1
	v_cmp_neq_f32_e64 s1, s3, v6
	v_cndmask_b32_e64 v6, 0, 1, s1
	v_cmp_eq_f32_e64 s1, s3, v5
	v_cndmask_b32_e64 v11, v11, v12, s0
	v_or_b32_e32 v12, 0x800, v0
	s_delay_alu instid0(VALU_DEP_4) | instskip(NEXT) | instid1(VALU_DEP_4)
	v_cndmask_b32_e64 v6, v6, v15, s0
	v_cndmask_b32_e64 v21, 0, 1, s1
	v_cmp_neq_f32_e64 s1, s3, v5
	v_and_b32_e32 v11, 1, v11
	s_delay_alu instid0(VALU_DEP_2) | instskip(SKIP_2) | instid1(VALU_DEP_4)
	v_cndmask_b32_e64 v5, 0, 1, s1
	v_cndmask_b32_e64 v16, v19, v16, s0
	v_or_b32_e32 v19, 0xc00, v0
	v_lshlrev_b16 v11, 8, v11
	s_delay_alu instid0(VALU_DEP_3) | instskip(NEXT) | instid1(VALU_DEP_3)
	v_dual_cndmask_b32 v5, v5, v21, s0 :: v_dual_bitop2_b32 v16, 1, v16 bitop3:0x40
	v_cmp_gt_i32_e64 s1, s8, v19
	s_delay_alu instid0(VALU_DEP_2) | instskip(SKIP_1) | instid1(VALU_DEP_3)
	v_dual_cndmask_b32 v18, v18, v20, s0 :: v_dual_bitop2_b32 v5, 1, v5 bitop3:0x40
	v_lshlrev_b32_e32 v4, 16, v4
	v_cndmask_b32_e64 v15, 0, v16, s1
	v_cmp_gt_i32_e64 s1, s8, v12
	s_delay_alu instid0(VALU_DEP_4) | instskip(SKIP_2) | instid1(VALU_DEP_4)
	v_and_b32_e32 v18, 1, v18
	v_lshlrev_b16 v5, 8, v5
	v_and_or_b32 v4, 0xffff, v7, v4
	v_cndmask_b32_e64 v12, 0, 1, s1
	v_cmp_gt_i32_e64 s1, s8, v13
	v_lshlrev_b16 v16, 8, v18
	s_delay_alu instid0(VALU_DEP_2) | instskip(SKIP_1) | instid1(VALU_DEP_3)
	v_cndmask_b32_e64 v9, v10, v9, s1
	v_cmp_eq_f32_e64 s1, s3, v8
	v_bitop3_b16 v10, v15, v16, 0xff bitop3:0xec
	v_and_b32_e32 v6, v12, v6
	v_or_b32_e32 v12, 0xd00, v0
	s_delay_alu instid0(VALU_DEP_4) | instskip(SKIP_2) | instid1(VALU_DEP_2)
	v_cndmask_b32_e64 v13, 0, 1, s1
	v_cmp_neq_f32_e64 s1, s3, v8
	v_and_b32_e32 v10, 0xffff, v10
	v_cndmask_b32_e64 v8, 0, 1, s1
	v_cmp_gt_i32_e64 s1, s8, v12
	v_lshrrev_b32_e32 v12, 16, v9
	s_delay_alu instid0(VALU_DEP_2) | instskip(SKIP_2) | instid1(VALU_DEP_3)
	v_dual_cndmask_b32 v10, v15, v10, s1 :: v_dual_bitop2_b32 v5, v6, v5 bitop3:0x54
	v_cmp_eq_f32_e64 s1, s3, v17
	v_cndmask_b32_e64 v8, v8, v13, s0
	v_and_b32_e32 v5, 0xffff, v5
	s_delay_alu instid0(VALU_DEP_4) | instskip(NEXT) | instid1(VALU_DEP_4)
	v_lshrrev_b32_e32 v13, 16, v10
	v_cndmask_b32_e64 v15, 0, 1, s1
	v_cmp_neq_f32_e64 s1, s3, v17
	v_or_b32_e32 v17, 0x900, v0
	s_delay_alu instid0(VALU_DEP_4) | instskip(NEXT) | instid1(VALU_DEP_3)
	v_and_b32_e32 v13, 0xffffff00, v13
	v_cndmask_b32_e64 v16, 0, 1, s1
	s_delay_alu instid0(VALU_DEP_3) | instskip(NEXT) | instid1(VALU_DEP_2)
	v_cmp_gt_i32_e64 s1, s8, v17
	v_dual_cndmask_b32 v15, v16, v15, s0 :: v_dual_bitop2_b32 v8, 1, v8 bitop3:0x40
	s_delay_alu instid0(VALU_DEP_1) | instskip(SKIP_2) | instid1(VALU_DEP_4)
	v_dual_cndmask_b32 v5, v6, v5, s1 :: v_dual_lshlrev_b32 v8, 16, v8
	v_cmp_eq_f32_e64 s1, s3, v3
	v_or_b32_e32 v6, 0xa00, v0
	v_bitop3_b16 v13, v15, v13, 1 bitop3:0xec
	s_delay_alu instid0(VALU_DEP_4) | instskip(NEXT) | instid1(VALU_DEP_4)
	v_and_or_b32 v8, 0x1ff, v5, v8
	v_cndmask_b32_e64 v15, 0, 1, s1
	v_cmp_neq_f32_e64 s1, s3, v3
	s_delay_alu instid0(VALU_DEP_1) | instskip(SKIP_1) | instid1(VALU_DEP_2)
	v_cndmask_b32_e64 v3, 0, 1, s1
	v_cmp_eq_f32_e64 s1, s3, v14
	v_dual_lshlrev_b32 v13, 16, v13 :: v_dual_cndmask_b32 v3, v3, v15, s0
	s_delay_alu instid0(VALU_DEP_2) | instskip(SKIP_2) | instid1(VALU_DEP_4)
	v_cndmask_b32_e64 v16, 0, 1, s1
	v_cmp_neq_f32_e64 s1, s3, v14
	v_or_b32_e32 v15, 0xe00, v0
	v_and_or_b32 v13, 0xffff, v10, v13
	v_and_b32_e32 v3, 1, v3
	s_delay_alu instid0(VALU_DEP_4) | instskip(NEXT) | instid1(VALU_DEP_2)
	v_cndmask_b32_e64 v14, 0, 1, s1
	v_lshlrev_b16 v3, 8, v3
	s_delay_alu instid0(VALU_DEP_2) | instskip(SKIP_2) | instid1(VALU_DEP_2)
	v_cndmask_b32_e64 v14, v14, v16, s0
	v_cmp_gt_i32_e64 s0, s8, v6
	v_bitop3_b16 v6, v12, v11, 0xff bitop3:0xec
	v_cndmask_b32_e64 v8, v5, v8, s0
	v_cmp_gt_i32_e64 s0, s8, v15
	s_delay_alu instid0(VALU_DEP_1) | instskip(NEXT) | instid1(VALU_DEP_3)
	v_dual_cndmask_b32 v10, v10, v13, s0 :: v_dual_bitop2_b32 v5, 1, v14 bitop3:0x40
	v_lshrrev_b32_e32 v11, 16, v8
	v_or_b32_e32 v13, 0x300, v0
	s_delay_alu instid0(VALU_DEP_3) | instskip(NEXT) | instid1(VALU_DEP_3)
	v_lshlrev_b16 v5, 8, v5
	v_bitop3_b16 v3, v11, v3, 0xff bitop3:0xec
	s_delay_alu instid0(VALU_DEP_3) | instskip(SKIP_1) | instid1(VALU_DEP_3)
	v_cmp_gt_i32_e64 s0, s8, v13
	v_lshrrev_b32_e32 v12, 16, v10
	v_dual_lshlrev_b32 v11, 16, v6 :: v_dual_lshlrev_b32 v3, 16, v3
	s_delay_alu instid0(VALU_DEP_3) | instskip(NEXT) | instid1(VALU_DEP_3)
	v_cndmask_b32_e64 v6, v7, v4, s0
	v_bitop3_b16 v5, v12, v5, 0xff bitop3:0xec
	v_or_b32_e32 v4, 0x700, v0
	s_delay_alu instid0(VALU_DEP_4)
	v_and_or_b32 v7, 0xffff, v9, v11
	v_or_b32_e32 v11, 0xb00, v0
	v_and_or_b32 v3, 0xffff, v8, v3
	v_lshlrev_b32_e32 v5, 16, v5
	v_cmp_gt_i32_e64 s0, s8, v4
	v_or_b32_e32 v12, 0xf00, v0
	s_delay_alu instid0(VALU_DEP_3) | instskip(NEXT) | instid1(VALU_DEP_3)
	v_and_or_b32 v13, 0xffff, v10, v5
	v_cndmask_b32_e64 v5, v9, v7, s0
	v_cmp_gt_i32_e64 s0, s8, v11
	s_delay_alu instid0(VALU_DEP_1) | instskip(SKIP_1) | instid1(VALU_DEP_1)
	v_cndmask_b32_e64 v4, v8, v3, s0
	v_cmp_gt_i32_e64 s0, s8, v12
	v_cndmask_b32_e64 v3, v10, v13, s0
	s_and_saveexec_b32 s0, vcc_lo
	s_cbranch_execnz .LBB203_53
; %bb.36:
	s_or_b32 exec_lo, exec_lo, s0
	s_delay_alu instid0(SALU_CYCLE_1)
	s_mov_b32 s0, exec_lo
	v_cmpx_gt_i32_e64 s8, v0
	s_cbranch_execnz .LBB203_54
.LBB203_37:
	s_or_b32 exec_lo, exec_lo, s0
	s_delay_alu instid0(SALU_CYCLE_1)
	s_mov_b32 s0, exec_lo
	v_cmpx_gt_i32_e64 s8, v0
	s_cbranch_execnz .LBB203_55
.LBB203_38:
	s_or_b32 exec_lo, exec_lo, s0
	s_delay_alu instid0(SALU_CYCLE_1)
	s_mov_b32 s0, exec_lo
	v_cmpx_gt_i32_e64 s8, v0
	s_cbranch_execnz .LBB203_56
.LBB203_39:
	s_or_b32 exec_lo, exec_lo, s0
	s_delay_alu instid0(SALU_CYCLE_1)
	s_mov_b32 s0, exec_lo
	v_cmpx_gt_i32_e64 s8, v0
	s_cbranch_execnz .LBB203_57
.LBB203_40:
	s_or_b32 exec_lo, exec_lo, s0
	s_delay_alu instid0(SALU_CYCLE_1)
	s_mov_b32 s0, exec_lo
	v_cmpx_gt_i32_e64 s8, v0
	s_cbranch_execnz .LBB203_58
.LBB203_41:
	s_or_b32 exec_lo, exec_lo, s0
	s_delay_alu instid0(SALU_CYCLE_1)
	s_mov_b32 s0, exec_lo
	v_cmpx_gt_i32_e64 s8, v0
	s_cbranch_execnz .LBB203_59
.LBB203_42:
	s_or_b32 exec_lo, exec_lo, s0
	s_delay_alu instid0(SALU_CYCLE_1)
	s_mov_b32 s0, exec_lo
	v_cmpx_gt_i32_e64 s8, v0
	s_cbranch_execnz .LBB203_60
.LBB203_43:
	s_or_b32 exec_lo, exec_lo, s0
	s_delay_alu instid0(SALU_CYCLE_1)
	s_mov_b32 s0, exec_lo
	v_cmpx_gt_i32_e64 s8, v0
	s_cbranch_execnz .LBB203_61
.LBB203_44:
	s_or_b32 exec_lo, exec_lo, s0
	s_delay_alu instid0(SALU_CYCLE_1)
	s_mov_b32 s0, exec_lo
	v_cmpx_gt_i32_e64 s8, v0
	s_cbranch_execnz .LBB203_62
.LBB203_45:
	s_or_b32 exec_lo, exec_lo, s0
	s_delay_alu instid0(SALU_CYCLE_1)
	s_mov_b32 s0, exec_lo
	v_cmpx_gt_i32_e64 s8, v0
	s_cbranch_execnz .LBB203_63
.LBB203_46:
	s_or_b32 exec_lo, exec_lo, s0
	s_delay_alu instid0(SALU_CYCLE_1)
	s_mov_b32 s0, exec_lo
	v_cmpx_gt_i32_e64 s8, v0
	s_cbranch_execnz .LBB203_64
.LBB203_47:
	s_or_b32 exec_lo, exec_lo, s0
	s_delay_alu instid0(SALU_CYCLE_1)
	s_mov_b32 s0, exec_lo
	v_cmpx_gt_i32_e64 s8, v0
	s_cbranch_execnz .LBB203_65
.LBB203_48:
	s_or_b32 exec_lo, exec_lo, s0
	s_delay_alu instid0(SALU_CYCLE_1)
	s_mov_b32 s0, exec_lo
	v_cmpx_gt_i32_e64 s8, v0
	s_cbranch_execnz .LBB203_66
.LBB203_49:
	s_or_b32 exec_lo, exec_lo, s0
	s_delay_alu instid0(SALU_CYCLE_1)
	s_mov_b32 s0, exec_lo
	v_cmpx_gt_i32_e64 s8, v0
	s_cbranch_execnz .LBB203_67
.LBB203_50:
	s_or_b32 exec_lo, exec_lo, s0
	s_delay_alu instid0(SALU_CYCLE_1)
	s_mov_b32 s0, exec_lo
	v_cmpx_gt_i32_e64 s8, v0
	s_cbranch_execz .LBB203_52
.LBB203_51:
	v_dual_lshrrev_b32 v1, 24, v3 :: v_dual_add_nc_u32 v0, s2, v0
	global_store_b8 v0, v1, s[4:5]
.LBB203_52:
	s_endpgm
.LBB203_53:
	v_mov_b32_e32 v0, v2
	global_store_b8 v1, v6, s[4:5]
	s_wait_xcnt 0x0
	s_or_b32 exec_lo, exec_lo, s0
	s_delay_alu instid0(SALU_CYCLE_1)
	s_mov_b32 s0, exec_lo
	v_cmpx_gt_i32_e64 s8, v0
	s_cbranch_execz .LBB203_37
.LBB203_54:
	v_dual_lshrrev_b32 v1, 8, v6 :: v_dual_add_nc_u32 v2, s2, v0
	v_add_nc_u32_e32 v0, 0x100, v0
	global_store_b8 v2, v1, s[4:5]
	s_wait_xcnt 0x0
	s_or_b32 exec_lo, exec_lo, s0
	s_delay_alu instid0(SALU_CYCLE_1)
	s_mov_b32 s0, exec_lo
	v_cmpx_gt_i32_e64 s8, v0
	s_cbranch_execz .LBB203_38
.LBB203_55:
	v_add_nc_u32_e32 v1, s2, v0
	v_add_nc_u32_e32 v0, 0x100, v0
	global_store_d16_hi_b8 v1, v6, s[4:5]
	s_wait_xcnt 0x0
	s_or_b32 exec_lo, exec_lo, s0
	s_delay_alu instid0(SALU_CYCLE_1)
	s_mov_b32 s0, exec_lo
	v_cmpx_gt_i32_e64 s8, v0
	s_cbranch_execz .LBB203_39
.LBB203_56:
	v_dual_lshrrev_b32 v1, 24, v6 :: v_dual_add_nc_u32 v2, s2, v0
	v_add_nc_u32_e32 v0, 0x100, v0
	global_store_b8 v2, v1, s[4:5]
	s_wait_xcnt 0x0
	s_or_b32 exec_lo, exec_lo, s0
	s_delay_alu instid0(SALU_CYCLE_1)
	s_mov_b32 s0, exec_lo
	v_cmpx_gt_i32_e64 s8, v0
	s_cbranch_execz .LBB203_40
.LBB203_57:
	v_add_nc_u32_e32 v1, s2, v0
	v_add_nc_u32_e32 v0, 0x100, v0
	global_store_b8 v1, v5, s[4:5]
	s_wait_xcnt 0x0
	s_or_b32 exec_lo, exec_lo, s0
	s_delay_alu instid0(SALU_CYCLE_1)
	s_mov_b32 s0, exec_lo
	v_cmpx_gt_i32_e64 s8, v0
	s_cbranch_execz .LBB203_41
.LBB203_58:
	v_dual_lshrrev_b32 v1, 8, v5 :: v_dual_add_nc_u32 v2, s2, v0
	v_add_nc_u32_e32 v0, 0x100, v0
	global_store_b8 v2, v1, s[4:5]
	s_wait_xcnt 0x0
	s_or_b32 exec_lo, exec_lo, s0
	s_delay_alu instid0(SALU_CYCLE_1)
	s_mov_b32 s0, exec_lo
	v_cmpx_gt_i32_e64 s8, v0
	s_cbranch_execz .LBB203_42
.LBB203_59:
	v_add_nc_u32_e32 v1, s2, v0
	v_add_nc_u32_e32 v0, 0x100, v0
	global_store_d16_hi_b8 v1, v5, s[4:5]
	s_wait_xcnt 0x0
	s_or_b32 exec_lo, exec_lo, s0
	s_delay_alu instid0(SALU_CYCLE_1)
	s_mov_b32 s0, exec_lo
	v_cmpx_gt_i32_e64 s8, v0
	s_cbranch_execz .LBB203_43
.LBB203_60:
	v_dual_lshrrev_b32 v1, 24, v5 :: v_dual_add_nc_u32 v2, s2, v0
	v_add_nc_u32_e32 v0, 0x100, v0
	global_store_b8 v2, v1, s[4:5]
	s_wait_xcnt 0x0
	s_or_b32 exec_lo, exec_lo, s0
	s_delay_alu instid0(SALU_CYCLE_1)
	s_mov_b32 s0, exec_lo
	v_cmpx_gt_i32_e64 s8, v0
	s_cbranch_execz .LBB203_44
.LBB203_61:
	v_add_nc_u32_e32 v1, s2, v0
	v_add_nc_u32_e32 v0, 0x100, v0
	global_store_b8 v1, v4, s[4:5]
	s_wait_xcnt 0x0
	s_or_b32 exec_lo, exec_lo, s0
	s_delay_alu instid0(SALU_CYCLE_1)
	s_mov_b32 s0, exec_lo
	v_cmpx_gt_i32_e64 s8, v0
	s_cbranch_execz .LBB203_45
.LBB203_62:
	v_lshrrev_b32_e32 v1, 8, v4
	v_add_nc_u32_e32 v2, s2, v0
	v_add_nc_u32_e32 v0, 0x100, v0
	global_store_b8 v2, v1, s[4:5]
	s_wait_xcnt 0x0
	s_or_b32 exec_lo, exec_lo, s0
	s_delay_alu instid0(SALU_CYCLE_1)
	s_mov_b32 s0, exec_lo
	v_cmpx_gt_i32_e64 s8, v0
	s_cbranch_execz .LBB203_46
.LBB203_63:
	v_add_nc_u32_e32 v1, s2, v0
	v_add_nc_u32_e32 v0, 0x100, v0
	global_store_d16_hi_b8 v1, v4, s[4:5]
	s_wait_xcnt 0x0
	s_or_b32 exec_lo, exec_lo, s0
	s_delay_alu instid0(SALU_CYCLE_1)
	s_mov_b32 s0, exec_lo
	v_cmpx_gt_i32_e64 s8, v0
	s_cbranch_execz .LBB203_47
.LBB203_64:
	v_lshrrev_b32_e32 v1, 24, v4
	v_add_nc_u32_e32 v2, s2, v0
	v_add_nc_u32_e32 v0, 0x100, v0
	global_store_b8 v2, v1, s[4:5]
	s_wait_xcnt 0x0
	s_or_b32 exec_lo, exec_lo, s0
	s_delay_alu instid0(SALU_CYCLE_1)
	s_mov_b32 s0, exec_lo
	v_cmpx_gt_i32_e64 s8, v0
	s_cbranch_execz .LBB203_48
.LBB203_65:
	v_add_nc_u32_e32 v1, s2, v0
	v_add_nc_u32_e32 v0, 0x100, v0
	global_store_b8 v1, v3, s[4:5]
	s_wait_xcnt 0x0
	s_or_b32 exec_lo, exec_lo, s0
	s_delay_alu instid0(SALU_CYCLE_1)
	s_mov_b32 s0, exec_lo
	v_cmpx_gt_i32_e64 s8, v0
	s_cbranch_execz .LBB203_49
.LBB203_66:
	v_dual_lshrrev_b32 v1, 8, v3 :: v_dual_add_nc_u32 v2, s2, v0
	v_add_nc_u32_e32 v0, 0x100, v0
	global_store_b8 v2, v1, s[4:5]
	s_wait_xcnt 0x0
	s_or_b32 exec_lo, exec_lo, s0
	s_delay_alu instid0(SALU_CYCLE_1)
	s_mov_b32 s0, exec_lo
	v_cmpx_gt_i32_e64 s8, v0
	s_cbranch_execz .LBB203_50
.LBB203_67:
	v_add_nc_u32_e32 v1, s2, v0
	v_add_nc_u32_e32 v0, 0x100, v0
	global_store_d16_hi_b8 v1, v3, s[4:5]
	s_wait_xcnt 0x0
	s_or_b32 exec_lo, exec_lo, s0
	s_delay_alu instid0(SALU_CYCLE_1)
	s_mov_b32 s0, exec_lo
	v_cmpx_gt_i32_e64 s8, v0
	s_cbranch_execnz .LBB203_51
	s_branch .LBB203_52
	.section	.rodata,"a",@progbits
	.p2align	6, 0x0
	.amdhsa_kernel _ZN2at6native29vectorized_elementwise_kernelILi2ENS0_13AUnaryFunctorIN3c108BFloat16ES4_bNS0_12_GLOBAL__N_116CompareEqFunctorIS4_EEEESt5arrayIPcLm2EEEEviT0_T1_
		.amdhsa_group_segment_fixed_size 0
		.amdhsa_private_segment_fixed_size 0
		.amdhsa_kernarg_size 32
		.amdhsa_user_sgpr_count 2
		.amdhsa_user_sgpr_dispatch_ptr 0
		.amdhsa_user_sgpr_queue_ptr 0
		.amdhsa_user_sgpr_kernarg_segment_ptr 1
		.amdhsa_user_sgpr_dispatch_id 0
		.amdhsa_user_sgpr_kernarg_preload_length 0
		.amdhsa_user_sgpr_kernarg_preload_offset 0
		.amdhsa_user_sgpr_private_segment_size 0
		.amdhsa_wavefront_size32 1
		.amdhsa_uses_dynamic_stack 0
		.amdhsa_enable_private_segment 0
		.amdhsa_system_sgpr_workgroup_id_x 1
		.amdhsa_system_sgpr_workgroup_id_y 0
		.amdhsa_system_sgpr_workgroup_id_z 0
		.amdhsa_system_sgpr_workgroup_info 0
		.amdhsa_system_vgpr_workitem_id 0
		.amdhsa_next_free_vgpr 33
		.amdhsa_next_free_sgpr 14
		.amdhsa_named_barrier_count 0
		.amdhsa_reserve_vcc 1
		.amdhsa_float_round_mode_32 0
		.amdhsa_float_round_mode_16_64 0
		.amdhsa_float_denorm_mode_32 3
		.amdhsa_float_denorm_mode_16_64 3
		.amdhsa_fp16_overflow 0
		.amdhsa_memory_ordered 1
		.amdhsa_forward_progress 1
		.amdhsa_inst_pref_size 41
		.amdhsa_round_robin_scheduling 0
		.amdhsa_exception_fp_ieee_invalid_op 0
		.amdhsa_exception_fp_denorm_src 0
		.amdhsa_exception_fp_ieee_div_zero 0
		.amdhsa_exception_fp_ieee_overflow 0
		.amdhsa_exception_fp_ieee_underflow 0
		.amdhsa_exception_fp_ieee_inexact 0
		.amdhsa_exception_int_div_zero 0
	.end_amdhsa_kernel
	.section	.text._ZN2at6native29vectorized_elementwise_kernelILi2ENS0_13AUnaryFunctorIN3c108BFloat16ES4_bNS0_12_GLOBAL__N_116CompareEqFunctorIS4_EEEESt5arrayIPcLm2EEEEviT0_T1_,"axG",@progbits,_ZN2at6native29vectorized_elementwise_kernelILi2ENS0_13AUnaryFunctorIN3c108BFloat16ES4_bNS0_12_GLOBAL__N_116CompareEqFunctorIS4_EEEESt5arrayIPcLm2EEEEviT0_T1_,comdat
.Lfunc_end203:
	.size	_ZN2at6native29vectorized_elementwise_kernelILi2ENS0_13AUnaryFunctorIN3c108BFloat16ES4_bNS0_12_GLOBAL__N_116CompareEqFunctorIS4_EEEESt5arrayIPcLm2EEEEviT0_T1_, .Lfunc_end203-_ZN2at6native29vectorized_elementwise_kernelILi2ENS0_13AUnaryFunctorIN3c108BFloat16ES4_bNS0_12_GLOBAL__N_116CompareEqFunctorIS4_EEEESt5arrayIPcLm2EEEEviT0_T1_
                                        ; -- End function
	.set _ZN2at6native29vectorized_elementwise_kernelILi2ENS0_13AUnaryFunctorIN3c108BFloat16ES4_bNS0_12_GLOBAL__N_116CompareEqFunctorIS4_EEEESt5arrayIPcLm2EEEEviT0_T1_.num_vgpr, 33
	.set _ZN2at6native29vectorized_elementwise_kernelILi2ENS0_13AUnaryFunctorIN3c108BFloat16ES4_bNS0_12_GLOBAL__N_116CompareEqFunctorIS4_EEEESt5arrayIPcLm2EEEEviT0_T1_.num_agpr, 0
	.set _ZN2at6native29vectorized_elementwise_kernelILi2ENS0_13AUnaryFunctorIN3c108BFloat16ES4_bNS0_12_GLOBAL__N_116CompareEqFunctorIS4_EEEESt5arrayIPcLm2EEEEviT0_T1_.numbered_sgpr, 14
	.set _ZN2at6native29vectorized_elementwise_kernelILi2ENS0_13AUnaryFunctorIN3c108BFloat16ES4_bNS0_12_GLOBAL__N_116CompareEqFunctorIS4_EEEESt5arrayIPcLm2EEEEviT0_T1_.num_named_barrier, 0
	.set _ZN2at6native29vectorized_elementwise_kernelILi2ENS0_13AUnaryFunctorIN3c108BFloat16ES4_bNS0_12_GLOBAL__N_116CompareEqFunctorIS4_EEEESt5arrayIPcLm2EEEEviT0_T1_.private_seg_size, 0
	.set _ZN2at6native29vectorized_elementwise_kernelILi2ENS0_13AUnaryFunctorIN3c108BFloat16ES4_bNS0_12_GLOBAL__N_116CompareEqFunctorIS4_EEEESt5arrayIPcLm2EEEEviT0_T1_.uses_vcc, 1
	.set _ZN2at6native29vectorized_elementwise_kernelILi2ENS0_13AUnaryFunctorIN3c108BFloat16ES4_bNS0_12_GLOBAL__N_116CompareEqFunctorIS4_EEEESt5arrayIPcLm2EEEEviT0_T1_.uses_flat_scratch, 0
	.set _ZN2at6native29vectorized_elementwise_kernelILi2ENS0_13AUnaryFunctorIN3c108BFloat16ES4_bNS0_12_GLOBAL__N_116CompareEqFunctorIS4_EEEESt5arrayIPcLm2EEEEviT0_T1_.has_dyn_sized_stack, 0
	.set _ZN2at6native29vectorized_elementwise_kernelILi2ENS0_13AUnaryFunctorIN3c108BFloat16ES4_bNS0_12_GLOBAL__N_116CompareEqFunctorIS4_EEEESt5arrayIPcLm2EEEEviT0_T1_.has_recursion, 0
	.set _ZN2at6native29vectorized_elementwise_kernelILi2ENS0_13AUnaryFunctorIN3c108BFloat16ES4_bNS0_12_GLOBAL__N_116CompareEqFunctorIS4_EEEESt5arrayIPcLm2EEEEviT0_T1_.has_indirect_call, 0
	.section	.AMDGPU.csdata,"",@progbits
; Kernel info:
; codeLenInByte = 5172
; TotalNumSgprs: 16
; NumVgprs: 33
; ScratchSize: 0
; MemoryBound: 0
; FloatMode: 240
; IeeeMode: 1
; LDSByteSize: 0 bytes/workgroup (compile time only)
; SGPRBlocks: 0
; VGPRBlocks: 2
; NumSGPRsForWavesPerEU: 16
; NumVGPRsForWavesPerEU: 33
; NamedBarCnt: 0
; Occupancy: 16
; WaveLimiterHint : 1
; COMPUTE_PGM_RSRC2:SCRATCH_EN: 0
; COMPUTE_PGM_RSRC2:USER_SGPR: 2
; COMPUTE_PGM_RSRC2:TRAP_HANDLER: 0
; COMPUTE_PGM_RSRC2:TGID_X_EN: 1
; COMPUTE_PGM_RSRC2:TGID_Y_EN: 0
; COMPUTE_PGM_RSRC2:TGID_Z_EN: 0
; COMPUTE_PGM_RSRC2:TIDIG_COMP_CNT: 0
	.section	.text._ZN2at6native27unrolled_elementwise_kernelINS0_13AUnaryFunctorIN3c108BFloat16ES4_bNS0_12_GLOBAL__N_116CompareEqFunctorIS4_EEEESt5arrayIPcLm2EELi4E23TrivialOffsetCalculatorILi1EjESD_NS0_6memory15LoadWithoutCastENSE_16StoreWithoutCastEEEviT_T0_T2_T3_T4_T5_,"axG",@progbits,_ZN2at6native27unrolled_elementwise_kernelINS0_13AUnaryFunctorIN3c108BFloat16ES4_bNS0_12_GLOBAL__N_116CompareEqFunctorIS4_EEEESt5arrayIPcLm2EELi4E23TrivialOffsetCalculatorILi1EjESD_NS0_6memory15LoadWithoutCastENSE_16StoreWithoutCastEEEviT_T0_T2_T3_T4_T5_,comdat
	.globl	_ZN2at6native27unrolled_elementwise_kernelINS0_13AUnaryFunctorIN3c108BFloat16ES4_bNS0_12_GLOBAL__N_116CompareEqFunctorIS4_EEEESt5arrayIPcLm2EELi4E23TrivialOffsetCalculatorILi1EjESD_NS0_6memory15LoadWithoutCastENSE_16StoreWithoutCastEEEviT_T0_T2_T3_T4_T5_ ; -- Begin function _ZN2at6native27unrolled_elementwise_kernelINS0_13AUnaryFunctorIN3c108BFloat16ES4_bNS0_12_GLOBAL__N_116CompareEqFunctorIS4_EEEESt5arrayIPcLm2EELi4E23TrivialOffsetCalculatorILi1EjESD_NS0_6memory15LoadWithoutCastENSE_16StoreWithoutCastEEEviT_T0_T2_T3_T4_T5_
	.p2align	8
	.type	_ZN2at6native27unrolled_elementwise_kernelINS0_13AUnaryFunctorIN3c108BFloat16ES4_bNS0_12_GLOBAL__N_116CompareEqFunctorIS4_EEEESt5arrayIPcLm2EELi4E23TrivialOffsetCalculatorILi1EjESD_NS0_6memory15LoadWithoutCastENSE_16StoreWithoutCastEEEviT_T0_T2_T3_T4_T5_,@function
_ZN2at6native27unrolled_elementwise_kernelINS0_13AUnaryFunctorIN3c108BFloat16ES4_bNS0_12_GLOBAL__N_116CompareEqFunctorIS4_EEEESt5arrayIPcLm2EELi4E23TrivialOffsetCalculatorILi1EjESD_NS0_6memory15LoadWithoutCastENSE_16StoreWithoutCastEEEviT_T0_T2_T3_T4_T5_: ; @_ZN2at6native27unrolled_elementwise_kernelINS0_13AUnaryFunctorIN3c108BFloat16ES4_bNS0_12_GLOBAL__N_116CompareEqFunctorIS4_EEEESt5arrayIPcLm2EELi4E23TrivialOffsetCalculatorILi1EjESD_NS0_6memory15LoadWithoutCastENSE_16StoreWithoutCastEEEviT_T0_T2_T3_T4_T5_
; %bb.0:
	s_clause 0x1
	s_load_b96 s[8:10], s[0:1], 0x0
	s_load_b128 s[4:7], s[0:1], 0x10
	s_bfe_u32 s2, ttmp6, 0x4000c
	s_wait_xcnt 0x0
	s_and_b32 s0, ttmp6, 15
	s_add_co_i32 s2, s2, 1
	v_dual_mov_b32 v3, 0 :: v_dual_mov_b32 v5, 0
	s_mul_i32 s1, ttmp9, s2
	s_getreg_b32 s2, hwreg(HW_REG_IB_STS2, 6, 4)
	s_add_co_i32 s0, s0, s1
	s_cmp_eq_u32 s2, 0
	v_or_b32_e32 v1, 0x100, v0
	s_cselect_b32 s0, ttmp9, s0
	v_mov_b32_e32 v7, v0
	s_lshl_b32 s2, s0, 10
	s_delay_alu instid0(SALU_CYCLE_1) | instskip(SKIP_2) | instid1(SALU_CYCLE_1)
	v_or_b32_e32 v2, s2, v0
	s_wait_kmcnt 0x0
	s_sub_co_i32 s3, s8, s2
	v_cmp_gt_i32_e32 vcc_lo, s3, v0
	s_and_saveexec_b32 s0, vcc_lo
	s_cbranch_execz .LBB204_2
; %bb.1:
	global_load_u16 v4, v2, s[6:7] scale_offset
	v_or_b32_e32 v7, 0x100, v0
	s_wait_loadcnt 0x0
	v_lshlrev_b32_e32 v5, 16, v4
.LBB204_2:
	s_or_b32 exec_lo, exec_lo, s0
	s_delay_alu instid0(SALU_CYCLE_1)
	s_mov_b32 s1, exec_lo
	v_cmpx_gt_i32_e64 s3, v7
	s_cbranch_execz .LBB204_4
; %bb.3:
	v_add_nc_u32_e32 v3, s2, v7
	v_add_nc_u32_e32 v7, 0x100, v7
	global_load_u16 v3, v3, s[6:7] scale_offset
	s_wait_loadcnt 0x0
	v_lshlrev_b32_e32 v3, 16, v3
.LBB204_4:
	s_or_b32 exec_lo, exec_lo, s1
	v_dual_mov_b32 v4, 0 :: v_dual_mov_b32 v6, 0
	s_mov_b32 s1, exec_lo
	v_cmpx_gt_i32_e64 s3, v7
	s_cbranch_execz .LBB204_6
; %bb.5:
	v_add_nc_u32_e32 v6, s2, v7
	v_add_nc_u32_e32 v7, 0x100, v7
	global_load_u16 v6, v6, s[6:7] scale_offset
	s_wait_loadcnt 0x0
	v_lshlrev_b32_e32 v6, 16, v6
.LBB204_6:
	s_or_b32 exec_lo, exec_lo, s1
	s_delay_alu instid0(SALU_CYCLE_1)
	s_mov_b32 s1, exec_lo
	v_cmpx_gt_i32_e64 s3, v7
	s_cbranch_execz .LBB204_8
; %bb.7:
	v_add_nc_u32_e32 v4, s2, v7
	global_load_u16 v4, v4, s[6:7] scale_offset
	s_wait_loadcnt 0x0
	v_lshlrev_b32_e32 v4, 16, v4
.LBB204_8:
	s_or_b32 exec_lo, exec_lo, s1
	s_cmp_eq_u32 s9, 0
	s_cselect_b32 s0, -1, 0
	s_lshl_b32 s6, s10, 16
	s_delay_alu instid0(SALU_CYCLE_1) | instskip(NEXT) | instid1(VALU_DEP_1)
	v_cmp_eq_f32_e64 s1, s6, v5
	v_cndmask_b32_e64 v7, 0, 1, s1
	v_cmp_neq_f32_e64 s1, s6, v5
	s_delay_alu instid0(VALU_DEP_1) | instskip(SKIP_1) | instid1(VALU_DEP_1)
	v_cndmask_b32_e64 v5, 0, 1, s1
	v_cmp_eq_f32_e64 s1, s6, v3
	v_cndmask_b32_e64 v8, 0, 1, s1
	v_cmp_neq_f32_e64 s1, s6, v3
	s_delay_alu instid0(VALU_DEP_1) | instskip(SKIP_3) | instid1(VALU_DEP_4)
	v_cndmask_b32_e64 v3, 0, 1, s1
	v_cmp_eq_f32_e64 s1, s6, v6
	v_cndmask_b32_e64 v5, v5, v7, s0
	v_cndmask_b32_e64 v7, 0, 1, vcc_lo
	v_cndmask_b32_e64 v3, v3, v8, s0
	s_delay_alu instid0(VALU_DEP_4) | instskip(SKIP_1) | instid1(VALU_DEP_1)
	v_cndmask_b32_e64 v8, 0, 1, s1
	v_cmp_neq_f32_e64 s1, s6, v6
	v_cndmask_b32_e64 v6, 0, 1, s1
	s_delay_alu instid0(VALU_DEP_4) | instskip(SKIP_1) | instid1(VALU_DEP_3)
	v_and_b32_e32 v3, 1, v3
	v_cmp_eq_f32_e64 s1, s6, v4
	v_cndmask_b32_e64 v6, v6, v8, s0
	s_delay_alu instid0(VALU_DEP_3) | instskip(NEXT) | instid1(VALU_DEP_2)
	v_lshlrev_b16 v3, 8, v3
	v_and_b32_e32 v6, 1, v6
	v_and_b32_e32 v5, v7, v5
	v_cndmask_b32_e64 v7, 0, 1, s1
	v_cmp_gt_i32_e64 s1, s3, v1
	s_delay_alu instid0(VALU_DEP_3) | instskip(NEXT) | instid1(VALU_DEP_1)
	v_dual_lshlrev_b32 v6, 16, v6 :: v_dual_bitop2_b32 v3, v5, v3 bitop3:0x54
	v_and_b32_e32 v3, 0xffff, v3
	s_delay_alu instid0(VALU_DEP_1) | instskip(SKIP_2) | instid1(VALU_DEP_2)
	v_cndmask_b32_e64 v3, v5, v3, s1
	v_cmp_neq_f32_e64 s1, s6, v4
	v_or_b32_e32 v5, 0x200, v0
	v_cndmask_b32_e64 v4, 0, 1, s1
	s_delay_alu instid0(VALU_DEP_1) | instskip(NEXT) | instid1(VALU_DEP_3)
	v_dual_cndmask_b32 v4, v4, v7, s0 :: v_dual_bitop2_b32 v6, v3, v6 bitop3:0x54
	v_cmp_gt_i32_e64 s0, s3, v5
	s_delay_alu instid0(VALU_DEP_1) | instskip(NEXT) | instid1(VALU_DEP_1)
	v_dual_cndmask_b32 v3, v3, v6, s0 :: v_dual_bitop2_b32 v4, 1, v4 bitop3:0x40
	v_lshlrev_b16 v4, 8, v4
	s_delay_alu instid0(VALU_DEP_2) | instskip(NEXT) | instid1(VALU_DEP_1)
	v_lshrrev_b32_e32 v5, 16, v3
	v_bitop3_b16 v4, v5, v4, 0xff bitop3:0xec
	v_or_b32_e32 v5, 0x300, v0
	s_delay_alu instid0(VALU_DEP_2) | instskip(NEXT) | instid1(VALU_DEP_2)
	v_lshlrev_b32_e32 v4, 16, v4
	v_cmp_gt_i32_e64 s0, s3, v5
	s_delay_alu instid0(VALU_DEP_2) | instskip(NEXT) | instid1(VALU_DEP_1)
	v_and_or_b32 v4, 0xffff, v3, v4
	v_cndmask_b32_e64 v3, v3, v4, s0
	s_and_saveexec_b32 s0, vcc_lo
	s_cbranch_execnz .LBB204_13
; %bb.9:
	s_or_b32 exec_lo, exec_lo, s0
	s_delay_alu instid0(SALU_CYCLE_1)
	s_mov_b32 s0, exec_lo
	v_cmpx_gt_i32_e64 s3, v0
	s_cbranch_execnz .LBB204_14
.LBB204_10:
	s_or_b32 exec_lo, exec_lo, s0
	s_delay_alu instid0(SALU_CYCLE_1)
	s_mov_b32 s0, exec_lo
	v_cmpx_gt_i32_e64 s3, v0
	s_cbranch_execnz .LBB204_15
.LBB204_11:
	s_or_b32 exec_lo, exec_lo, s0
	s_delay_alu instid0(SALU_CYCLE_1)
	s_mov_b32 s0, exec_lo
	v_cmpx_gt_i32_e64 s3, v0
	s_cbranch_execnz .LBB204_16
.LBB204_12:
	s_endpgm
.LBB204_13:
	v_mov_b32_e32 v0, v1
	global_store_b8 v2, v3, s[4:5]
	s_wait_xcnt 0x0
	s_or_b32 exec_lo, exec_lo, s0
	s_delay_alu instid0(SALU_CYCLE_1)
	s_mov_b32 s0, exec_lo
	v_cmpx_gt_i32_e64 s3, v0
	s_cbranch_execz .LBB204_10
.LBB204_14:
	v_add_nc_u32_e32 v1, 0x100, v0
	v_dual_add_nc_u32 v2, s2, v0 :: v_dual_lshrrev_b32 v4, 8, v3
	s_delay_alu instid0(VALU_DEP_2) | instskip(SKIP_3) | instid1(SALU_CYCLE_1)
	v_mov_b32_e32 v0, v1
	global_store_b8 v2, v4, s[4:5]
	s_wait_xcnt 0x0
	s_or_b32 exec_lo, exec_lo, s0
	s_mov_b32 s0, exec_lo
	v_cmpx_gt_i32_e64 s3, v0
	s_cbranch_execz .LBB204_11
.LBB204_15:
	v_add_nc_u32_e32 v1, 0x100, v0
	s_delay_alu instid0(VALU_DEP_1) | instskip(SKIP_3) | instid1(SALU_CYCLE_1)
	v_dual_add_nc_u32 v2, s2, v0 :: v_dual_mov_b32 v0, v1
	global_store_d16_hi_b8 v2, v3, s[4:5]
	s_wait_xcnt 0x0
	s_or_b32 exec_lo, exec_lo, s0
	s_mov_b32 s0, exec_lo
	v_cmpx_gt_i32_e64 s3, v0
	s_cbranch_execz .LBB204_12
.LBB204_16:
	v_dual_add_nc_u32 v0, s2, v0 :: v_dual_lshrrev_b32 v1, 24, v3
	global_store_b8 v0, v1, s[4:5]
	s_endpgm
	.section	.rodata,"a",@progbits
	.p2align	6, 0x0
	.amdhsa_kernel _ZN2at6native27unrolled_elementwise_kernelINS0_13AUnaryFunctorIN3c108BFloat16ES4_bNS0_12_GLOBAL__N_116CompareEqFunctorIS4_EEEESt5arrayIPcLm2EELi4E23TrivialOffsetCalculatorILi1EjESD_NS0_6memory15LoadWithoutCastENSE_16StoreWithoutCastEEEviT_T0_T2_T3_T4_T5_
		.amdhsa_group_segment_fixed_size 0
		.amdhsa_private_segment_fixed_size 0
		.amdhsa_kernarg_size 36
		.amdhsa_user_sgpr_count 2
		.amdhsa_user_sgpr_dispatch_ptr 0
		.amdhsa_user_sgpr_queue_ptr 0
		.amdhsa_user_sgpr_kernarg_segment_ptr 1
		.amdhsa_user_sgpr_dispatch_id 0
		.amdhsa_user_sgpr_kernarg_preload_length 0
		.amdhsa_user_sgpr_kernarg_preload_offset 0
		.amdhsa_user_sgpr_private_segment_size 0
		.amdhsa_wavefront_size32 1
		.amdhsa_uses_dynamic_stack 0
		.amdhsa_enable_private_segment 0
		.amdhsa_system_sgpr_workgroup_id_x 1
		.amdhsa_system_sgpr_workgroup_id_y 0
		.amdhsa_system_sgpr_workgroup_id_z 0
		.amdhsa_system_sgpr_workgroup_info 0
		.amdhsa_system_vgpr_workitem_id 0
		.amdhsa_next_free_vgpr 9
		.amdhsa_next_free_sgpr 11
		.amdhsa_named_barrier_count 0
		.amdhsa_reserve_vcc 1
		.amdhsa_float_round_mode_32 0
		.amdhsa_float_round_mode_16_64 0
		.amdhsa_float_denorm_mode_32 3
		.amdhsa_float_denorm_mode_16_64 3
		.amdhsa_fp16_overflow 0
		.amdhsa_memory_ordered 1
		.amdhsa_forward_progress 1
		.amdhsa_inst_pref_size 8
		.amdhsa_round_robin_scheduling 0
		.amdhsa_exception_fp_ieee_invalid_op 0
		.amdhsa_exception_fp_denorm_src 0
		.amdhsa_exception_fp_ieee_div_zero 0
		.amdhsa_exception_fp_ieee_overflow 0
		.amdhsa_exception_fp_ieee_underflow 0
		.amdhsa_exception_fp_ieee_inexact 0
		.amdhsa_exception_int_div_zero 0
	.end_amdhsa_kernel
	.section	.text._ZN2at6native27unrolled_elementwise_kernelINS0_13AUnaryFunctorIN3c108BFloat16ES4_bNS0_12_GLOBAL__N_116CompareEqFunctorIS4_EEEESt5arrayIPcLm2EELi4E23TrivialOffsetCalculatorILi1EjESD_NS0_6memory15LoadWithoutCastENSE_16StoreWithoutCastEEEviT_T0_T2_T3_T4_T5_,"axG",@progbits,_ZN2at6native27unrolled_elementwise_kernelINS0_13AUnaryFunctorIN3c108BFloat16ES4_bNS0_12_GLOBAL__N_116CompareEqFunctorIS4_EEEESt5arrayIPcLm2EELi4E23TrivialOffsetCalculatorILi1EjESD_NS0_6memory15LoadWithoutCastENSE_16StoreWithoutCastEEEviT_T0_T2_T3_T4_T5_,comdat
.Lfunc_end204:
	.size	_ZN2at6native27unrolled_elementwise_kernelINS0_13AUnaryFunctorIN3c108BFloat16ES4_bNS0_12_GLOBAL__N_116CompareEqFunctorIS4_EEEESt5arrayIPcLm2EELi4E23TrivialOffsetCalculatorILi1EjESD_NS0_6memory15LoadWithoutCastENSE_16StoreWithoutCastEEEviT_T0_T2_T3_T4_T5_, .Lfunc_end204-_ZN2at6native27unrolled_elementwise_kernelINS0_13AUnaryFunctorIN3c108BFloat16ES4_bNS0_12_GLOBAL__N_116CompareEqFunctorIS4_EEEESt5arrayIPcLm2EELi4E23TrivialOffsetCalculatorILi1EjESD_NS0_6memory15LoadWithoutCastENSE_16StoreWithoutCastEEEviT_T0_T2_T3_T4_T5_
                                        ; -- End function
	.set _ZN2at6native27unrolled_elementwise_kernelINS0_13AUnaryFunctorIN3c108BFloat16ES4_bNS0_12_GLOBAL__N_116CompareEqFunctorIS4_EEEESt5arrayIPcLm2EELi4E23TrivialOffsetCalculatorILi1EjESD_NS0_6memory15LoadWithoutCastENSE_16StoreWithoutCastEEEviT_T0_T2_T3_T4_T5_.num_vgpr, 9
	.set _ZN2at6native27unrolled_elementwise_kernelINS0_13AUnaryFunctorIN3c108BFloat16ES4_bNS0_12_GLOBAL__N_116CompareEqFunctorIS4_EEEESt5arrayIPcLm2EELi4E23TrivialOffsetCalculatorILi1EjESD_NS0_6memory15LoadWithoutCastENSE_16StoreWithoutCastEEEviT_T0_T2_T3_T4_T5_.num_agpr, 0
	.set _ZN2at6native27unrolled_elementwise_kernelINS0_13AUnaryFunctorIN3c108BFloat16ES4_bNS0_12_GLOBAL__N_116CompareEqFunctorIS4_EEEESt5arrayIPcLm2EELi4E23TrivialOffsetCalculatorILi1EjESD_NS0_6memory15LoadWithoutCastENSE_16StoreWithoutCastEEEviT_T0_T2_T3_T4_T5_.numbered_sgpr, 11
	.set _ZN2at6native27unrolled_elementwise_kernelINS0_13AUnaryFunctorIN3c108BFloat16ES4_bNS0_12_GLOBAL__N_116CompareEqFunctorIS4_EEEESt5arrayIPcLm2EELi4E23TrivialOffsetCalculatorILi1EjESD_NS0_6memory15LoadWithoutCastENSE_16StoreWithoutCastEEEviT_T0_T2_T3_T4_T5_.num_named_barrier, 0
	.set _ZN2at6native27unrolled_elementwise_kernelINS0_13AUnaryFunctorIN3c108BFloat16ES4_bNS0_12_GLOBAL__N_116CompareEqFunctorIS4_EEEESt5arrayIPcLm2EELi4E23TrivialOffsetCalculatorILi1EjESD_NS0_6memory15LoadWithoutCastENSE_16StoreWithoutCastEEEviT_T0_T2_T3_T4_T5_.private_seg_size, 0
	.set _ZN2at6native27unrolled_elementwise_kernelINS0_13AUnaryFunctorIN3c108BFloat16ES4_bNS0_12_GLOBAL__N_116CompareEqFunctorIS4_EEEESt5arrayIPcLm2EELi4E23TrivialOffsetCalculatorILi1EjESD_NS0_6memory15LoadWithoutCastENSE_16StoreWithoutCastEEEviT_T0_T2_T3_T4_T5_.uses_vcc, 1
	.set _ZN2at6native27unrolled_elementwise_kernelINS0_13AUnaryFunctorIN3c108BFloat16ES4_bNS0_12_GLOBAL__N_116CompareEqFunctorIS4_EEEESt5arrayIPcLm2EELi4E23TrivialOffsetCalculatorILi1EjESD_NS0_6memory15LoadWithoutCastENSE_16StoreWithoutCastEEEviT_T0_T2_T3_T4_T5_.uses_flat_scratch, 0
	.set _ZN2at6native27unrolled_elementwise_kernelINS0_13AUnaryFunctorIN3c108BFloat16ES4_bNS0_12_GLOBAL__N_116CompareEqFunctorIS4_EEEESt5arrayIPcLm2EELi4E23TrivialOffsetCalculatorILi1EjESD_NS0_6memory15LoadWithoutCastENSE_16StoreWithoutCastEEEviT_T0_T2_T3_T4_T5_.has_dyn_sized_stack, 0
	.set _ZN2at6native27unrolled_elementwise_kernelINS0_13AUnaryFunctorIN3c108BFloat16ES4_bNS0_12_GLOBAL__N_116CompareEqFunctorIS4_EEEESt5arrayIPcLm2EELi4E23TrivialOffsetCalculatorILi1EjESD_NS0_6memory15LoadWithoutCastENSE_16StoreWithoutCastEEEviT_T0_T2_T3_T4_T5_.has_recursion, 0
	.set _ZN2at6native27unrolled_elementwise_kernelINS0_13AUnaryFunctorIN3c108BFloat16ES4_bNS0_12_GLOBAL__N_116CompareEqFunctorIS4_EEEESt5arrayIPcLm2EELi4E23TrivialOffsetCalculatorILi1EjESD_NS0_6memory15LoadWithoutCastENSE_16StoreWithoutCastEEEviT_T0_T2_T3_T4_T5_.has_indirect_call, 0
	.section	.AMDGPU.csdata,"",@progbits
; Kernel info:
; codeLenInByte = 980
; TotalNumSgprs: 13
; NumVgprs: 9
; ScratchSize: 0
; MemoryBound: 0
; FloatMode: 240
; IeeeMode: 1
; LDSByteSize: 0 bytes/workgroup (compile time only)
; SGPRBlocks: 0
; VGPRBlocks: 0
; NumSGPRsForWavesPerEU: 13
; NumVGPRsForWavesPerEU: 9
; NamedBarCnt: 0
; Occupancy: 16
; WaveLimiterHint : 0
; COMPUTE_PGM_RSRC2:SCRATCH_EN: 0
; COMPUTE_PGM_RSRC2:USER_SGPR: 2
; COMPUTE_PGM_RSRC2:TRAP_HANDLER: 0
; COMPUTE_PGM_RSRC2:TGID_X_EN: 1
; COMPUTE_PGM_RSRC2:TGID_Y_EN: 0
; COMPUTE_PGM_RSRC2:TGID_Z_EN: 0
; COMPUTE_PGM_RSRC2:TIDIG_COMP_CNT: 0
	.section	.text._ZN2at6native32elementwise_kernel_manual_unrollILi128ELi8EZNS0_22gpu_kernel_impl_nocastINS0_13AUnaryFunctorIN3c108BFloat16ES5_bNS0_12_GLOBAL__N_116CompareEqFunctorIS5_EEEEEEvRNS_18TensorIteratorBaseERKT_EUlibE_EEviT1_,"axG",@progbits,_ZN2at6native32elementwise_kernel_manual_unrollILi128ELi8EZNS0_22gpu_kernel_impl_nocastINS0_13AUnaryFunctorIN3c108BFloat16ES5_bNS0_12_GLOBAL__N_116CompareEqFunctorIS5_EEEEEEvRNS_18TensorIteratorBaseERKT_EUlibE_EEviT1_,comdat
	.globl	_ZN2at6native32elementwise_kernel_manual_unrollILi128ELi8EZNS0_22gpu_kernel_impl_nocastINS0_13AUnaryFunctorIN3c108BFloat16ES5_bNS0_12_GLOBAL__N_116CompareEqFunctorIS5_EEEEEEvRNS_18TensorIteratorBaseERKT_EUlibE_EEviT1_ ; -- Begin function _ZN2at6native32elementwise_kernel_manual_unrollILi128ELi8EZNS0_22gpu_kernel_impl_nocastINS0_13AUnaryFunctorIN3c108BFloat16ES5_bNS0_12_GLOBAL__N_116CompareEqFunctorIS5_EEEEEEvRNS_18TensorIteratorBaseERKT_EUlibE_EEviT1_
	.p2align	8
	.type	_ZN2at6native32elementwise_kernel_manual_unrollILi128ELi8EZNS0_22gpu_kernel_impl_nocastINS0_13AUnaryFunctorIN3c108BFloat16ES5_bNS0_12_GLOBAL__N_116CompareEqFunctorIS5_EEEEEEvRNS_18TensorIteratorBaseERKT_EUlibE_EEviT1_,@function
_ZN2at6native32elementwise_kernel_manual_unrollILi128ELi8EZNS0_22gpu_kernel_impl_nocastINS0_13AUnaryFunctorIN3c108BFloat16ES5_bNS0_12_GLOBAL__N_116CompareEqFunctorIS5_EEEEEEvRNS_18TensorIteratorBaseERKT_EUlibE_EEviT1_: ; @_ZN2at6native32elementwise_kernel_manual_unrollILi128ELi8EZNS0_22gpu_kernel_impl_nocastINS0_13AUnaryFunctorIN3c108BFloat16ES5_bNS0_12_GLOBAL__N_116CompareEqFunctorIS5_EEEEEEvRNS_18TensorIteratorBaseERKT_EUlibE_EEviT1_
; %bb.0:
	s_clause 0x1
	s_load_b32 s28, s[0:1], 0x8
	s_load_b32 s34, s[0:1], 0x0
	s_bfe_u32 s2, ttmp6, 0x4000c
	s_and_b32 s3, ttmp6, 15
	s_add_co_i32 s2, s2, 1
	s_getreg_b32 s4, hwreg(HW_REG_IB_STS2, 6, 4)
	s_mul_i32 s2, ttmp9, s2
	s_mov_b32 s17, 0
	s_add_co_i32 s3, s3, s2
	s_cmp_eq_u32 s4, 0
	s_cselect_b32 s2, ttmp9, s3
	s_delay_alu instid0(SALU_CYCLE_1) | instskip(SKIP_3) | instid1(VALU_DEP_1)
	v_lshl_or_b32 v0, s2, 10, v0
	s_add_nc_u64 s[2:3], s[0:1], 8
	s_wait_xcnt 0x0
	s_mov_b32 s0, exec_lo
	v_or_b32_e32 v16, 0x380, v0
	s_wait_kmcnt 0x0
	s_add_co_i32 s29, s28, -1
	s_delay_alu instid0(SALU_CYCLE_1)
	s_cmp_gt_u32 s29, 1
	s_cselect_b32 s30, -1, 0
	v_cmpx_le_i32_e64 s34, v16
	s_xor_b32 s31, exec_lo, s0
	s_cbranch_execz .LBB205_7
; %bb.1:
	s_clause 0x4
	s_load_b128 s[8:11], s[2:3], 0x4
	s_load_b64 s[22:23], s[2:3], 0x158
	s_load_b64 s[0:1], s[2:3], 0x14
	s_load_b128 s[12:15], s[2:3], 0xc4
	s_load_b128 s[4:7], s[2:3], 0x148
	s_cmp_lg_u32 s28, 0
	s_add_nc_u64 s[20:21], s[2:3], 0xc4
	s_cselect_b32 s36, -1, 0
	s_min_u32 s35, s29, 15
	s_cmp_gt_u32 s28, 1
	s_mov_b32 s19, s17
	s_cselect_b32 s33, -1, 0
	s_mov_b32 s37, exec_lo
	s_wait_kmcnt 0x0
	s_mov_b32 s16, s9
	s_cmp_eq_u32 s22, 0
	s_mov_b32 s18, s0
	s_cselect_b32 s0, -1, 0
	s_lshl_b32 s9, s23, 16
	v_cmpx_gt_i32_e64 s34, v0
	s_cbranch_execz .LBB205_14
; %bb.2:
	s_and_not1_b32 vcc_lo, exec_lo, s30
	s_cbranch_vccnz .LBB205_21
; %bb.3:
	s_and_not1_b32 vcc_lo, exec_lo, s36
	s_cbranch_vccnz .LBB205_129
; %bb.4:
	s_add_co_i32 s23, s35, 1
	s_cmp_eq_u32 s29, 2
	s_cbranch_scc1 .LBB205_131
; %bb.5:
	v_dual_mov_b32 v2, 0 :: v_dual_mov_b32 v3, 0
	v_mov_b32_e32 v1, v0
	s_and_b32 s22, s23, 28
	s_mov_b32 s38, 0
	s_mov_b64 s[24:25], s[2:3]
	s_mov_b64 s[26:27], s[20:21]
.LBB205_6:                              ; =>This Inner Loop Header: Depth=1
	s_clause 0x1
	s_load_b256 s[40:47], s[24:25], 0x4
	s_load_b128 s[56:59], s[24:25], 0x24
	s_load_b256 s[48:55], s[26:27], 0x0
	s_add_co_i32 s38, s38, 4
	s_wait_xcnt 0x0
	s_add_nc_u64 s[24:25], s[24:25], 48
	s_cmp_lg_u32 s22, s38
	s_add_nc_u64 s[26:27], s[26:27], 32
	s_wait_kmcnt 0x0
	v_mul_hi_u32 v4, s41, v1
	s_delay_alu instid0(VALU_DEP_1) | instskip(NEXT) | instid1(VALU_DEP_1)
	v_add_nc_u32_e32 v4, v1, v4
	v_lshrrev_b32_e32 v4, s42, v4
	s_delay_alu instid0(VALU_DEP_1) | instskip(NEXT) | instid1(VALU_DEP_1)
	v_mul_hi_u32 v5, s44, v4
	v_add_nc_u32_e32 v5, v4, v5
	s_delay_alu instid0(VALU_DEP_1) | instskip(NEXT) | instid1(VALU_DEP_1)
	v_lshrrev_b32_e32 v5, s45, v5
	v_mul_hi_u32 v6, s47, v5
	s_delay_alu instid0(VALU_DEP_1) | instskip(SKIP_1) | instid1(VALU_DEP_1)
	v_add_nc_u32_e32 v6, v5, v6
	v_mul_lo_u32 v7, v4, s40
	v_sub_nc_u32_e32 v1, v1, v7
	v_mul_lo_u32 v7, v5, s43
	s_delay_alu instid0(VALU_DEP_4) | instskip(NEXT) | instid1(VALU_DEP_3)
	v_lshrrev_b32_e32 v6, s56, v6
	v_mad_u32 v3, v1, s49, v3
	v_mad_u32 v1, v1, s48, v2
	s_delay_alu instid0(VALU_DEP_4) | instskip(NEXT) | instid1(VALU_DEP_4)
	v_sub_nc_u32_e32 v2, v4, v7
	v_mul_hi_u32 v8, s58, v6
	v_mul_lo_u32 v4, v6, s46
	s_delay_alu instid0(VALU_DEP_3) | instskip(SKIP_1) | instid1(VALU_DEP_4)
	v_mad_u32 v3, v2, s51, v3
	v_mad_u32 v2, v2, s50, v1
	v_add_nc_u32_e32 v7, v6, v8
	s_delay_alu instid0(VALU_DEP_1) | instskip(NEXT) | instid1(VALU_DEP_1)
	v_dual_sub_nc_u32 v4, v5, v4 :: v_dual_lshrrev_b32 v1, s59, v7
	v_mad_u32 v3, v4, s53, v3
	s_delay_alu instid0(VALU_DEP_4) | instskip(NEXT) | instid1(VALU_DEP_3)
	v_mad_u32 v2, v4, s52, v2
	v_mul_lo_u32 v5, v1, s57
	s_delay_alu instid0(VALU_DEP_1) | instskip(NEXT) | instid1(VALU_DEP_1)
	v_sub_nc_u32_e32 v4, v6, v5
	v_mad_u32 v3, v4, s55, v3
	s_delay_alu instid0(VALU_DEP_4)
	v_mad_u32 v2, v4, s54, v2
	s_cbranch_scc1 .LBB205_6
	s_branch .LBB205_132
.LBB205_7:
	s_and_not1_saveexec_b32 s0, s31
	s_cbranch_execz .LBB205_221
.LBB205_8:
	v_cndmask_b32_e64 v14, 0, 1, s30
	s_and_not1_b32 vcc_lo, exec_lo, s30
	s_cbranch_vccnz .LBB205_20
; %bb.9:
	s_cmp_lg_u32 s28, 0
	s_mov_b32 s8, 0
	s_cbranch_scc0 .LBB205_23
; %bb.10:
	s_min_u32 s1, s29, 15
	s_delay_alu instid0(SALU_CYCLE_1)
	s_add_co_i32 s1, s1, 1
	s_cmp_eq_u32 s29, 2
	s_cbranch_scc1 .LBB205_24
; %bb.11:
	v_dual_mov_b32 v2, 0 :: v_dual_mov_b32 v3, 0
	v_mov_b32_e32 v1, v0
	s_and_b32 s0, s1, 28
	s_add_nc_u64 s[4:5], s[2:3], 0xc4
	s_mov_b32 s9, 0
	s_mov_b64 s[6:7], s[2:3]
.LBB205_12:                             ; =>This Inner Loop Header: Depth=1
	s_clause 0x1
	s_load_b256 s[12:19], s[6:7], 0x4
	s_load_b128 s[36:39], s[6:7], 0x24
	s_load_b256 s[20:27], s[4:5], 0x0
	s_add_co_i32 s9, s9, 4
	s_wait_xcnt 0x0
	s_add_nc_u64 s[6:7], s[6:7], 48
	s_cmp_lg_u32 s0, s9
	s_add_nc_u64 s[4:5], s[4:5], 32
	s_wait_kmcnt 0x0
	v_mul_hi_u32 v4, s13, v1
	s_delay_alu instid0(VALU_DEP_1) | instskip(NEXT) | instid1(VALU_DEP_1)
	v_add_nc_u32_e32 v4, v1, v4
	v_lshrrev_b32_e32 v4, s14, v4
	s_delay_alu instid0(VALU_DEP_1) | instskip(NEXT) | instid1(VALU_DEP_1)
	v_mul_hi_u32 v5, s16, v4
	v_add_nc_u32_e32 v5, v4, v5
	s_delay_alu instid0(VALU_DEP_1) | instskip(NEXT) | instid1(VALU_DEP_1)
	v_lshrrev_b32_e32 v5, s17, v5
	v_mul_hi_u32 v6, s19, v5
	s_delay_alu instid0(VALU_DEP_1) | instskip(SKIP_1) | instid1(VALU_DEP_1)
	v_add_nc_u32_e32 v6, v5, v6
	v_mul_lo_u32 v7, v4, s12
	v_sub_nc_u32_e32 v1, v1, v7
	v_mul_lo_u32 v7, v5, s15
	s_delay_alu instid0(VALU_DEP_4) | instskip(NEXT) | instid1(VALU_DEP_3)
	v_lshrrev_b32_e32 v6, s36, v6
	v_mad_u32 v3, v1, s21, v3
	v_mad_u32 v1, v1, s20, v2
	s_delay_alu instid0(VALU_DEP_4) | instskip(NEXT) | instid1(VALU_DEP_4)
	v_sub_nc_u32_e32 v2, v4, v7
	v_mul_hi_u32 v8, s38, v6
	v_mul_lo_u32 v4, v6, s18
	s_delay_alu instid0(VALU_DEP_3) | instskip(SKIP_1) | instid1(VALU_DEP_4)
	v_mad_u32 v3, v2, s23, v3
	v_mad_u32 v2, v2, s22, v1
	v_add_nc_u32_e32 v7, v6, v8
	s_delay_alu instid0(VALU_DEP_1) | instskip(NEXT) | instid1(VALU_DEP_1)
	v_dual_sub_nc_u32 v4, v5, v4 :: v_dual_lshrrev_b32 v1, s39, v7
	v_mad_u32 v3, v4, s25, v3
	s_delay_alu instid0(VALU_DEP_4) | instskip(NEXT) | instid1(VALU_DEP_3)
	v_mad_u32 v2, v4, s24, v2
	v_mul_lo_u32 v5, v1, s37
	s_delay_alu instid0(VALU_DEP_1) | instskip(NEXT) | instid1(VALU_DEP_1)
	v_sub_nc_u32_e32 v4, v6, v5
	v_mad_u32 v3, v4, s27, v3
	s_delay_alu instid0(VALU_DEP_4)
	v_mad_u32 v2, v4, s26, v2
	s_cbranch_scc1 .LBB205_12
; %bb.13:
	s_and_b32 s6, s1, 3
	s_mov_b32 s1, 0
	s_cmp_eq_u32 s6, 0
	s_cbranch_scc0 .LBB205_25
	s_branch .LBB205_27
.LBB205_14:
	s_or_b32 exec_lo, exec_lo, s37
	s_delay_alu instid0(SALU_CYCLE_1)
	s_mov_b32 s37, exec_lo
	v_cmpx_gt_i32_e64 s34, v0
	s_cbranch_execz .LBB205_139
.LBB205_15:
	s_and_not1_b32 vcc_lo, exec_lo, s30
	s_cbranch_vccnz .LBB205_22
; %bb.16:
	s_and_not1_b32 vcc_lo, exec_lo, s36
	s_cbranch_vccnz .LBB205_130
; %bb.17:
	s_add_co_i32 s23, s35, 1
	s_cmp_eq_u32 s29, 2
	s_cbranch_scc1 .LBB205_147
; %bb.18:
	v_dual_mov_b32 v2, 0 :: v_dual_mov_b32 v3, 0
	v_mov_b32_e32 v1, v0
	s_and_b32 s22, s23, 28
	s_mov_b32 s38, 0
	s_mov_b64 s[24:25], s[2:3]
	s_mov_b64 s[26:27], s[20:21]
.LBB205_19:                             ; =>This Inner Loop Header: Depth=1
	s_clause 0x1
	s_load_b256 s[40:47], s[24:25], 0x4
	s_load_b128 s[56:59], s[24:25], 0x24
	s_load_b256 s[48:55], s[26:27], 0x0
	s_add_co_i32 s38, s38, 4
	s_wait_xcnt 0x0
	s_add_nc_u64 s[24:25], s[24:25], 48
	s_cmp_eq_u32 s22, s38
	s_add_nc_u64 s[26:27], s[26:27], 32
	s_wait_kmcnt 0x0
	v_mul_hi_u32 v4, s41, v1
	s_delay_alu instid0(VALU_DEP_1) | instskip(NEXT) | instid1(VALU_DEP_1)
	v_add_nc_u32_e32 v4, v1, v4
	v_lshrrev_b32_e32 v4, s42, v4
	s_delay_alu instid0(VALU_DEP_1) | instskip(NEXT) | instid1(VALU_DEP_1)
	v_mul_hi_u32 v5, s44, v4
	v_add_nc_u32_e32 v5, v4, v5
	s_delay_alu instid0(VALU_DEP_1) | instskip(NEXT) | instid1(VALU_DEP_1)
	v_lshrrev_b32_e32 v5, s45, v5
	v_mul_hi_u32 v6, s47, v5
	s_delay_alu instid0(VALU_DEP_1) | instskip(SKIP_1) | instid1(VALU_DEP_1)
	v_add_nc_u32_e32 v6, v5, v6
	v_mul_lo_u32 v7, v4, s40
	v_sub_nc_u32_e32 v1, v1, v7
	v_mul_lo_u32 v7, v5, s43
	s_delay_alu instid0(VALU_DEP_4) | instskip(NEXT) | instid1(VALU_DEP_3)
	v_lshrrev_b32_e32 v6, s56, v6
	v_mad_u32 v3, v1, s49, v3
	v_mad_u32 v1, v1, s48, v2
	s_delay_alu instid0(VALU_DEP_4) | instskip(NEXT) | instid1(VALU_DEP_4)
	v_sub_nc_u32_e32 v2, v4, v7
	v_mul_hi_u32 v8, s58, v6
	v_mul_lo_u32 v4, v6, s46
	s_delay_alu instid0(VALU_DEP_3) | instskip(SKIP_1) | instid1(VALU_DEP_4)
	v_mad_u32 v3, v2, s51, v3
	v_mad_u32 v2, v2, s50, v1
	v_add_nc_u32_e32 v7, v6, v8
	s_delay_alu instid0(VALU_DEP_1) | instskip(NEXT) | instid1(VALU_DEP_1)
	v_dual_sub_nc_u32 v4, v5, v4 :: v_dual_lshrrev_b32 v1, s59, v7
	v_mad_u32 v3, v4, s53, v3
	s_delay_alu instid0(VALU_DEP_4) | instskip(NEXT) | instid1(VALU_DEP_3)
	v_mad_u32 v2, v4, s52, v2
	v_mul_lo_u32 v5, v1, s57
	s_delay_alu instid0(VALU_DEP_1) | instskip(NEXT) | instid1(VALU_DEP_1)
	v_sub_nc_u32_e32 v4, v6, v5
	v_mad_u32 v3, v4, s55, v3
	s_delay_alu instid0(VALU_DEP_4)
	v_mad_u32 v2, v4, s54, v2
	s_cbranch_scc0 .LBB205_19
	s_branch .LBB205_148
.LBB205_20:
	s_mov_b32 s8, -1
                                        ; implicit-def: $vgpr3
	s_branch .LBB205_27
.LBB205_21:
                                        ; implicit-def: $vgpr3
	s_branch .LBB205_136
.LBB205_22:
                                        ; implicit-def: $vgpr3
	s_branch .LBB205_152
.LBB205_23:
	v_dual_mov_b32 v3, 0 :: v_dual_mov_b32 v2, 0
	s_branch .LBB205_27
.LBB205_24:
	v_mov_b64_e32 v[2:3], 0
	v_mov_b32_e32 v1, v0
	s_mov_b32 s0, 0
	s_and_b32 s6, s1, 3
	s_mov_b32 s1, 0
	s_cmp_eq_u32 s6, 0
	s_cbranch_scc1 .LBB205_27
.LBB205_25:
	s_lshl_b32 s4, s0, 3
	s_mov_b32 s5, s1
	s_mul_u64 s[10:11], s[0:1], 12
	s_add_nc_u64 s[4:5], s[2:3], s[4:5]
	s_delay_alu instid0(SALU_CYCLE_1)
	s_add_nc_u64 s[0:1], s[4:5], 0xc4
	s_add_nc_u64 s[4:5], s[2:3], s[10:11]
.LBB205_26:                             ; =>This Inner Loop Header: Depth=1
	s_load_b96 s[12:14], s[4:5], 0x4
	s_load_b64 s[10:11], s[0:1], 0x0
	s_add_co_i32 s6, s6, -1
	s_wait_xcnt 0x0
	s_add_nc_u64 s[4:5], s[4:5], 12
	s_cmp_lg_u32 s6, 0
	s_add_nc_u64 s[0:1], s[0:1], 8
	s_wait_kmcnt 0x0
	v_mul_hi_u32 v4, s13, v1
	s_delay_alu instid0(VALU_DEP_1) | instskip(NEXT) | instid1(VALU_DEP_1)
	v_add_nc_u32_e32 v4, v1, v4
	v_lshrrev_b32_e32 v4, s14, v4
	s_delay_alu instid0(VALU_DEP_1) | instskip(NEXT) | instid1(VALU_DEP_1)
	v_mul_lo_u32 v5, v4, s12
	v_sub_nc_u32_e32 v1, v1, v5
	s_delay_alu instid0(VALU_DEP_1)
	v_mad_u32 v3, v1, s11, v3
	v_mad_u32 v2, v1, s10, v2
	v_mov_b32_e32 v1, v4
	s_cbranch_scc1 .LBB205_26
.LBB205_27:
	s_and_not1_b32 vcc_lo, exec_lo, s8
	s_cbranch_vccnz .LBB205_30
; %bb.28:
	s_clause 0x1
	s_load_b96 s[4:6], s[2:3], 0x4
	s_load_b64 s[0:1], s[2:3], 0xc4
	s_cmp_lt_u32 s28, 2
	s_wait_kmcnt 0x0
	v_mul_hi_u32 v1, s5, v0
	s_delay_alu instid0(VALU_DEP_1) | instskip(NEXT) | instid1(VALU_DEP_1)
	v_add_nc_u32_e32 v1, v0, v1
	v_lshrrev_b32_e32 v1, s6, v1
	s_delay_alu instid0(VALU_DEP_1) | instskip(NEXT) | instid1(VALU_DEP_1)
	v_mul_lo_u32 v2, v1, s4
	v_sub_nc_u32_e32 v2, v0, v2
	s_delay_alu instid0(VALU_DEP_1)
	v_mul_lo_u32 v3, v2, s1
	v_mul_lo_u32 v2, v2, s0
	s_cbranch_scc1 .LBB205_30
; %bb.29:
	s_clause 0x1
	s_load_b96 s[4:6], s[2:3], 0x10
	s_load_b64 s[0:1], s[2:3], 0xcc
	s_wait_kmcnt 0x0
	v_mul_hi_u32 v4, s5, v1
	s_delay_alu instid0(VALU_DEP_1) | instskip(NEXT) | instid1(VALU_DEP_1)
	v_add_nc_u32_e32 v4, v1, v4
	v_lshrrev_b32_e32 v4, s6, v4
	s_delay_alu instid0(VALU_DEP_1) | instskip(NEXT) | instid1(VALU_DEP_1)
	v_mul_lo_u32 v4, v4, s4
	v_sub_nc_u32_e32 v1, v1, v4
	s_delay_alu instid0(VALU_DEP_1)
	v_mad_u32 v2, v1, s0, v2
	v_mad_u32 v3, v1, s1, v3
.LBB205_30:
	v_cmp_ne_u32_e32 vcc_lo, 1, v14
	v_add_nc_u32_e32 v1, 0x80, v0
	s_cbranch_vccnz .LBB205_36
; %bb.31:
	s_cmp_lg_u32 s28, 0
	s_mov_b32 s8, 0
	s_cbranch_scc0 .LBB205_37
; %bb.32:
	s_min_u32 s1, s29, 15
	s_delay_alu instid0(SALU_CYCLE_1)
	s_add_co_i32 s1, s1, 1
	s_cmp_eq_u32 s29, 2
	s_cbranch_scc1 .LBB205_38
; %bb.33:
	v_dual_mov_b32 v4, 0 :: v_dual_mov_b32 v5, 0
	v_mov_b32_e32 v6, v1
	s_and_b32 s0, s1, 28
	s_add_nc_u64 s[4:5], s[2:3], 0xc4
	s_mov_b32 s9, 0
	s_mov_b64 s[6:7], s[2:3]
.LBB205_34:                             ; =>This Inner Loop Header: Depth=1
	s_clause 0x1
	s_load_b256 s[12:19], s[6:7], 0x4
	s_load_b128 s[36:39], s[6:7], 0x24
	s_load_b256 s[20:27], s[4:5], 0x0
	s_add_co_i32 s9, s9, 4
	s_wait_xcnt 0x0
	s_add_nc_u64 s[6:7], s[6:7], 48
	s_cmp_lg_u32 s0, s9
	s_add_nc_u64 s[4:5], s[4:5], 32
	s_wait_kmcnt 0x0
	v_mul_hi_u32 v7, s13, v6
	s_delay_alu instid0(VALU_DEP_1) | instskip(NEXT) | instid1(VALU_DEP_1)
	v_add_nc_u32_e32 v7, v6, v7
	v_lshrrev_b32_e32 v7, s14, v7
	s_delay_alu instid0(VALU_DEP_1) | instskip(NEXT) | instid1(VALU_DEP_1)
	v_mul_hi_u32 v8, s16, v7
	v_add_nc_u32_e32 v8, v7, v8
	s_delay_alu instid0(VALU_DEP_1) | instskip(NEXT) | instid1(VALU_DEP_1)
	v_lshrrev_b32_e32 v8, s17, v8
	v_mul_hi_u32 v9, s19, v8
	s_delay_alu instid0(VALU_DEP_1) | instskip(SKIP_1) | instid1(VALU_DEP_1)
	v_add_nc_u32_e32 v9, v8, v9
	v_mul_lo_u32 v10, v7, s12
	v_sub_nc_u32_e32 v6, v6, v10
	v_mul_lo_u32 v10, v8, s15
	s_delay_alu instid0(VALU_DEP_4) | instskip(NEXT) | instid1(VALU_DEP_3)
	v_lshrrev_b32_e32 v9, s36, v9
	v_mad_u32 v5, v6, s21, v5
	v_mad_u32 v4, v6, s20, v4
	s_delay_alu instid0(VALU_DEP_4) | instskip(NEXT) | instid1(VALU_DEP_4)
	v_sub_nc_u32_e32 v6, v7, v10
	v_mul_hi_u32 v11, s38, v9
	v_mul_lo_u32 v7, v9, s18
	s_delay_alu instid0(VALU_DEP_3) | instskip(SKIP_1) | instid1(VALU_DEP_4)
	v_mad_u32 v5, v6, s23, v5
	v_mad_u32 v4, v6, s22, v4
	v_add_nc_u32_e32 v10, v9, v11
	s_delay_alu instid0(VALU_DEP_1) | instskip(NEXT) | instid1(VALU_DEP_1)
	v_dual_sub_nc_u32 v7, v8, v7 :: v_dual_lshrrev_b32 v6, s39, v10
	v_mad_u32 v5, v7, s25, v5
	s_delay_alu instid0(VALU_DEP_4) | instskip(NEXT) | instid1(VALU_DEP_3)
	v_mad_u32 v4, v7, s24, v4
	v_mul_lo_u32 v8, v6, s37
	s_delay_alu instid0(VALU_DEP_1) | instskip(NEXT) | instid1(VALU_DEP_1)
	v_sub_nc_u32_e32 v7, v9, v8
	v_mad_u32 v5, v7, s27, v5
	s_delay_alu instid0(VALU_DEP_4)
	v_mad_u32 v4, v7, s26, v4
	s_cbranch_scc1 .LBB205_34
; %bb.35:
	s_and_b32 s6, s1, 3
	s_mov_b32 s1, 0
	s_cmp_eq_u32 s6, 0
	s_cbranch_scc0 .LBB205_39
	s_branch .LBB205_41
.LBB205_36:
	s_mov_b32 s8, -1
                                        ; implicit-def: $vgpr5
	s_branch .LBB205_41
.LBB205_37:
	v_dual_mov_b32 v5, 0 :: v_dual_mov_b32 v4, 0
	s_branch .LBB205_41
.LBB205_38:
	v_mov_b64_e32 v[4:5], 0
	v_mov_b32_e32 v6, v1
	s_mov_b32 s0, 0
	s_and_b32 s6, s1, 3
	s_mov_b32 s1, 0
	s_cmp_eq_u32 s6, 0
	s_cbranch_scc1 .LBB205_41
.LBB205_39:
	s_lshl_b32 s4, s0, 3
	s_mov_b32 s5, s1
	s_mul_u64 s[10:11], s[0:1], 12
	s_add_nc_u64 s[4:5], s[2:3], s[4:5]
	s_delay_alu instid0(SALU_CYCLE_1)
	s_add_nc_u64 s[0:1], s[4:5], 0xc4
	s_add_nc_u64 s[4:5], s[2:3], s[10:11]
.LBB205_40:                             ; =>This Inner Loop Header: Depth=1
	s_load_b96 s[12:14], s[4:5], 0x4
	s_load_b64 s[10:11], s[0:1], 0x0
	s_add_co_i32 s6, s6, -1
	s_wait_xcnt 0x0
	s_add_nc_u64 s[4:5], s[4:5], 12
	s_cmp_lg_u32 s6, 0
	s_add_nc_u64 s[0:1], s[0:1], 8
	s_wait_kmcnt 0x0
	v_mul_hi_u32 v7, s13, v6
	s_delay_alu instid0(VALU_DEP_1) | instskip(NEXT) | instid1(VALU_DEP_1)
	v_add_nc_u32_e32 v7, v6, v7
	v_lshrrev_b32_e32 v7, s14, v7
	s_delay_alu instid0(VALU_DEP_1) | instskip(NEXT) | instid1(VALU_DEP_1)
	v_mul_lo_u32 v8, v7, s12
	v_sub_nc_u32_e32 v6, v6, v8
	s_delay_alu instid0(VALU_DEP_1)
	v_mad_u32 v5, v6, s11, v5
	v_mad_u32 v4, v6, s10, v4
	v_mov_b32_e32 v6, v7
	s_cbranch_scc1 .LBB205_40
.LBB205_41:
	s_and_not1_b32 vcc_lo, exec_lo, s8
	s_cbranch_vccnz .LBB205_44
; %bb.42:
	s_clause 0x1
	s_load_b96 s[4:6], s[2:3], 0x4
	s_load_b64 s[0:1], s[2:3], 0xc4
	s_cmp_lt_u32 s28, 2
	s_wait_kmcnt 0x0
	v_mul_hi_u32 v4, s5, v1
	s_delay_alu instid0(VALU_DEP_1) | instskip(NEXT) | instid1(VALU_DEP_1)
	v_add_nc_u32_e32 v4, v1, v4
	v_lshrrev_b32_e32 v6, s6, v4
	s_delay_alu instid0(VALU_DEP_1) | instskip(NEXT) | instid1(VALU_DEP_1)
	v_mul_lo_u32 v4, v6, s4
	v_sub_nc_u32_e32 v1, v1, v4
	s_delay_alu instid0(VALU_DEP_1)
	v_mul_lo_u32 v5, v1, s1
	v_mul_lo_u32 v4, v1, s0
	s_cbranch_scc1 .LBB205_44
; %bb.43:
	s_clause 0x1
	s_load_b96 s[4:6], s[2:3], 0x10
	s_load_b64 s[0:1], s[2:3], 0xcc
	s_wait_kmcnt 0x0
	v_mul_hi_u32 v1, s5, v6
	s_delay_alu instid0(VALU_DEP_1) | instskip(NEXT) | instid1(VALU_DEP_1)
	v_add_nc_u32_e32 v1, v6, v1
	v_lshrrev_b32_e32 v1, s6, v1
	s_delay_alu instid0(VALU_DEP_1) | instskip(NEXT) | instid1(VALU_DEP_1)
	v_mul_lo_u32 v1, v1, s4
	v_sub_nc_u32_e32 v1, v6, v1
	s_delay_alu instid0(VALU_DEP_1)
	v_mad_u32 v4, v1, s0, v4
	v_mad_u32 v5, v1, s1, v5
.LBB205_44:
	v_cmp_ne_u32_e32 vcc_lo, 1, v14
	v_add_nc_u32_e32 v1, 0x100, v0
	s_cbranch_vccnz .LBB205_50
; %bb.45:
	s_cmp_lg_u32 s28, 0
	s_mov_b32 s8, 0
	s_cbranch_scc0 .LBB205_51
; %bb.46:
	s_min_u32 s1, s29, 15
	s_delay_alu instid0(SALU_CYCLE_1)
	s_add_co_i32 s1, s1, 1
	s_cmp_eq_u32 s29, 2
	s_cbranch_scc1 .LBB205_52
; %bb.47:
	v_dual_mov_b32 v6, 0 :: v_dual_mov_b32 v7, 0
	v_mov_b32_e32 v8, v1
	s_and_b32 s0, s1, 28
	s_add_nc_u64 s[4:5], s[2:3], 0xc4
	s_mov_b32 s9, 0
	s_mov_b64 s[6:7], s[2:3]
.LBB205_48:                             ; =>This Inner Loop Header: Depth=1
	s_clause 0x1
	s_load_b256 s[12:19], s[6:7], 0x4
	s_load_b128 s[36:39], s[6:7], 0x24
	s_load_b256 s[20:27], s[4:5], 0x0
	s_add_co_i32 s9, s9, 4
	s_wait_xcnt 0x0
	s_add_nc_u64 s[6:7], s[6:7], 48
	s_cmp_lg_u32 s0, s9
	s_add_nc_u64 s[4:5], s[4:5], 32
	s_wait_kmcnt 0x0
	v_mul_hi_u32 v9, s13, v8
	s_delay_alu instid0(VALU_DEP_1) | instskip(NEXT) | instid1(VALU_DEP_1)
	v_add_nc_u32_e32 v9, v8, v9
	v_lshrrev_b32_e32 v9, s14, v9
	s_delay_alu instid0(VALU_DEP_1) | instskip(NEXT) | instid1(VALU_DEP_1)
	v_mul_hi_u32 v10, s16, v9
	v_add_nc_u32_e32 v10, v9, v10
	s_delay_alu instid0(VALU_DEP_1) | instskip(NEXT) | instid1(VALU_DEP_1)
	v_lshrrev_b32_e32 v10, s17, v10
	v_mul_hi_u32 v11, s19, v10
	s_delay_alu instid0(VALU_DEP_1) | instskip(SKIP_1) | instid1(VALU_DEP_1)
	v_add_nc_u32_e32 v11, v10, v11
	v_mul_lo_u32 v12, v9, s12
	v_sub_nc_u32_e32 v8, v8, v12
	v_mul_lo_u32 v12, v10, s15
	s_delay_alu instid0(VALU_DEP_4) | instskip(NEXT) | instid1(VALU_DEP_3)
	v_lshrrev_b32_e32 v11, s36, v11
	v_mad_u32 v7, v8, s21, v7
	v_mad_u32 v6, v8, s20, v6
	s_delay_alu instid0(VALU_DEP_4) | instskip(NEXT) | instid1(VALU_DEP_4)
	v_sub_nc_u32_e32 v8, v9, v12
	v_mul_hi_u32 v13, s38, v11
	v_mul_lo_u32 v9, v11, s18
	s_delay_alu instid0(VALU_DEP_3) | instskip(SKIP_1) | instid1(VALU_DEP_4)
	v_mad_u32 v7, v8, s23, v7
	v_mad_u32 v6, v8, s22, v6
	v_add_nc_u32_e32 v12, v11, v13
	s_delay_alu instid0(VALU_DEP_1) | instskip(NEXT) | instid1(VALU_DEP_1)
	v_dual_sub_nc_u32 v9, v10, v9 :: v_dual_lshrrev_b32 v8, s39, v12
	v_mad_u32 v7, v9, s25, v7
	s_delay_alu instid0(VALU_DEP_4) | instskip(NEXT) | instid1(VALU_DEP_3)
	v_mad_u32 v6, v9, s24, v6
	v_mul_lo_u32 v10, v8, s37
	s_delay_alu instid0(VALU_DEP_1) | instskip(NEXT) | instid1(VALU_DEP_1)
	v_sub_nc_u32_e32 v9, v11, v10
	v_mad_u32 v7, v9, s27, v7
	s_delay_alu instid0(VALU_DEP_4)
	v_mad_u32 v6, v9, s26, v6
	s_cbranch_scc1 .LBB205_48
; %bb.49:
	s_and_b32 s6, s1, 3
	s_mov_b32 s1, 0
	s_cmp_eq_u32 s6, 0
	s_cbranch_scc0 .LBB205_53
	s_branch .LBB205_55
.LBB205_50:
	s_mov_b32 s8, -1
                                        ; implicit-def: $vgpr7
	s_branch .LBB205_55
.LBB205_51:
	v_dual_mov_b32 v7, 0 :: v_dual_mov_b32 v6, 0
	s_branch .LBB205_55
.LBB205_52:
	v_mov_b64_e32 v[6:7], 0
	v_mov_b32_e32 v8, v1
	s_mov_b32 s0, 0
	s_and_b32 s6, s1, 3
	s_mov_b32 s1, 0
	s_cmp_eq_u32 s6, 0
	s_cbranch_scc1 .LBB205_55
.LBB205_53:
	s_lshl_b32 s4, s0, 3
	s_mov_b32 s5, s1
	s_mul_u64 s[10:11], s[0:1], 12
	s_add_nc_u64 s[4:5], s[2:3], s[4:5]
	s_delay_alu instid0(SALU_CYCLE_1)
	s_add_nc_u64 s[0:1], s[4:5], 0xc4
	s_add_nc_u64 s[4:5], s[2:3], s[10:11]
.LBB205_54:                             ; =>This Inner Loop Header: Depth=1
	s_load_b96 s[12:14], s[4:5], 0x4
	s_load_b64 s[10:11], s[0:1], 0x0
	s_add_co_i32 s6, s6, -1
	s_wait_xcnt 0x0
	s_add_nc_u64 s[4:5], s[4:5], 12
	s_cmp_lg_u32 s6, 0
	s_add_nc_u64 s[0:1], s[0:1], 8
	s_wait_kmcnt 0x0
	v_mul_hi_u32 v9, s13, v8
	s_delay_alu instid0(VALU_DEP_1) | instskip(NEXT) | instid1(VALU_DEP_1)
	v_add_nc_u32_e32 v9, v8, v9
	v_lshrrev_b32_e32 v9, s14, v9
	s_delay_alu instid0(VALU_DEP_1) | instskip(NEXT) | instid1(VALU_DEP_1)
	v_mul_lo_u32 v10, v9, s12
	v_sub_nc_u32_e32 v8, v8, v10
	s_delay_alu instid0(VALU_DEP_1)
	v_mad_u32 v7, v8, s11, v7
	v_mad_u32 v6, v8, s10, v6
	v_mov_b32_e32 v8, v9
	s_cbranch_scc1 .LBB205_54
.LBB205_55:
	s_and_not1_b32 vcc_lo, exec_lo, s8
	s_cbranch_vccnz .LBB205_58
; %bb.56:
	s_clause 0x1
	s_load_b96 s[4:6], s[2:3], 0x4
	s_load_b64 s[0:1], s[2:3], 0xc4
	s_cmp_lt_u32 s28, 2
	s_wait_kmcnt 0x0
	v_mul_hi_u32 v6, s5, v1
	s_delay_alu instid0(VALU_DEP_1) | instskip(NEXT) | instid1(VALU_DEP_1)
	v_add_nc_u32_e32 v6, v1, v6
	v_lshrrev_b32_e32 v8, s6, v6
	s_delay_alu instid0(VALU_DEP_1) | instskip(NEXT) | instid1(VALU_DEP_1)
	v_mul_lo_u32 v6, v8, s4
	v_sub_nc_u32_e32 v1, v1, v6
	s_delay_alu instid0(VALU_DEP_1)
	v_mul_lo_u32 v7, v1, s1
	v_mul_lo_u32 v6, v1, s0
	s_cbranch_scc1 .LBB205_58
; %bb.57:
	s_clause 0x1
	s_load_b96 s[4:6], s[2:3], 0x10
	s_load_b64 s[0:1], s[2:3], 0xcc
	s_wait_kmcnt 0x0
	v_mul_hi_u32 v1, s5, v8
	s_delay_alu instid0(VALU_DEP_1) | instskip(NEXT) | instid1(VALU_DEP_1)
	v_add_nc_u32_e32 v1, v8, v1
	v_lshrrev_b32_e32 v1, s6, v1
	s_delay_alu instid0(VALU_DEP_1) | instskip(NEXT) | instid1(VALU_DEP_1)
	v_mul_lo_u32 v1, v1, s4
	v_sub_nc_u32_e32 v1, v8, v1
	s_delay_alu instid0(VALU_DEP_1)
	v_mad_u32 v6, v1, s0, v6
	v_mad_u32 v7, v1, s1, v7
.LBB205_58:
	v_cmp_ne_u32_e32 vcc_lo, 1, v14
	v_add_nc_u32_e32 v1, 0x180, v0
	s_cbranch_vccnz .LBB205_64
; %bb.59:
	s_cmp_lg_u32 s28, 0
	s_mov_b32 s8, 0
	s_cbranch_scc0 .LBB205_65
; %bb.60:
	s_min_u32 s1, s29, 15
	s_delay_alu instid0(SALU_CYCLE_1)
	s_add_co_i32 s1, s1, 1
	s_cmp_eq_u32 s29, 2
	s_cbranch_scc1 .LBB205_66
; %bb.61:
	v_dual_mov_b32 v8, 0 :: v_dual_mov_b32 v9, 0
	v_mov_b32_e32 v10, v1
	s_and_b32 s0, s1, 28
	s_add_nc_u64 s[4:5], s[2:3], 0xc4
	s_mov_b32 s9, 0
	s_mov_b64 s[6:7], s[2:3]
.LBB205_62:                             ; =>This Inner Loop Header: Depth=1
	s_clause 0x1
	s_load_b256 s[12:19], s[6:7], 0x4
	s_load_b128 s[36:39], s[6:7], 0x24
	s_load_b256 s[20:27], s[4:5], 0x0
	s_add_co_i32 s9, s9, 4
	s_wait_xcnt 0x0
	s_add_nc_u64 s[6:7], s[6:7], 48
	s_cmp_lg_u32 s0, s9
	s_add_nc_u64 s[4:5], s[4:5], 32
	s_wait_kmcnt 0x0
	v_mul_hi_u32 v11, s13, v10
	s_delay_alu instid0(VALU_DEP_1) | instskip(NEXT) | instid1(VALU_DEP_1)
	v_add_nc_u32_e32 v11, v10, v11
	v_lshrrev_b32_e32 v11, s14, v11
	s_delay_alu instid0(VALU_DEP_1) | instskip(NEXT) | instid1(VALU_DEP_1)
	v_mul_hi_u32 v12, s16, v11
	v_add_nc_u32_e32 v12, v11, v12
	s_delay_alu instid0(VALU_DEP_1) | instskip(NEXT) | instid1(VALU_DEP_1)
	v_lshrrev_b32_e32 v12, s17, v12
	v_mul_hi_u32 v13, s19, v12
	s_delay_alu instid0(VALU_DEP_1) | instskip(SKIP_1) | instid1(VALU_DEP_1)
	v_add_nc_u32_e32 v13, v12, v13
	v_mul_lo_u32 v15, v11, s12
	v_sub_nc_u32_e32 v10, v10, v15
	v_mul_lo_u32 v15, v12, s15
	s_delay_alu instid0(VALU_DEP_4) | instskip(NEXT) | instid1(VALU_DEP_3)
	v_lshrrev_b32_e32 v13, s36, v13
	v_mad_u32 v9, v10, s21, v9
	v_mad_u32 v8, v10, s20, v8
	s_delay_alu instid0(VALU_DEP_4) | instskip(NEXT) | instid1(VALU_DEP_4)
	v_sub_nc_u32_e32 v10, v11, v15
	v_mul_hi_u32 v17, s38, v13
	v_mul_lo_u32 v11, v13, s18
	s_delay_alu instid0(VALU_DEP_3) | instskip(SKIP_1) | instid1(VALU_DEP_3)
	v_mad_u32 v9, v10, s23, v9
	v_mad_u32 v8, v10, s22, v8
	v_dual_add_nc_u32 v15, v13, v17 :: v_dual_sub_nc_u32 v11, v12, v11
	s_delay_alu instid0(VALU_DEP_1) | instskip(NEXT) | instid1(VALU_DEP_2)
	v_lshrrev_b32_e32 v10, s39, v15
	v_mad_u32 v9, v11, s25, v9
	s_delay_alu instid0(VALU_DEP_4) | instskip(NEXT) | instid1(VALU_DEP_3)
	v_mad_u32 v8, v11, s24, v8
	v_mul_lo_u32 v12, v10, s37
	s_delay_alu instid0(VALU_DEP_1) | instskip(NEXT) | instid1(VALU_DEP_1)
	v_sub_nc_u32_e32 v11, v13, v12
	v_mad_u32 v9, v11, s27, v9
	s_delay_alu instid0(VALU_DEP_4)
	v_mad_u32 v8, v11, s26, v8
	s_cbranch_scc1 .LBB205_62
; %bb.63:
	s_and_b32 s6, s1, 3
	s_mov_b32 s1, 0
	s_cmp_eq_u32 s6, 0
	s_cbranch_scc0 .LBB205_67
	s_branch .LBB205_69
.LBB205_64:
	s_mov_b32 s8, -1
                                        ; implicit-def: $vgpr9
	s_branch .LBB205_69
.LBB205_65:
	v_dual_mov_b32 v9, 0 :: v_dual_mov_b32 v8, 0
	s_branch .LBB205_69
.LBB205_66:
	v_mov_b64_e32 v[8:9], 0
	v_mov_b32_e32 v10, v1
	s_mov_b32 s0, 0
	s_and_b32 s6, s1, 3
	s_mov_b32 s1, 0
	s_cmp_eq_u32 s6, 0
	s_cbranch_scc1 .LBB205_69
.LBB205_67:
	s_lshl_b32 s4, s0, 3
	s_mov_b32 s5, s1
	s_mul_u64 s[10:11], s[0:1], 12
	s_add_nc_u64 s[4:5], s[2:3], s[4:5]
	s_delay_alu instid0(SALU_CYCLE_1)
	s_add_nc_u64 s[0:1], s[4:5], 0xc4
	s_add_nc_u64 s[4:5], s[2:3], s[10:11]
.LBB205_68:                             ; =>This Inner Loop Header: Depth=1
	s_load_b96 s[12:14], s[4:5], 0x4
	s_load_b64 s[10:11], s[0:1], 0x0
	s_add_co_i32 s6, s6, -1
	s_wait_xcnt 0x0
	s_add_nc_u64 s[4:5], s[4:5], 12
	s_cmp_lg_u32 s6, 0
	s_add_nc_u64 s[0:1], s[0:1], 8
	s_wait_kmcnt 0x0
	v_mul_hi_u32 v11, s13, v10
	s_delay_alu instid0(VALU_DEP_1) | instskip(NEXT) | instid1(VALU_DEP_1)
	v_add_nc_u32_e32 v11, v10, v11
	v_lshrrev_b32_e32 v11, s14, v11
	s_delay_alu instid0(VALU_DEP_1) | instskip(NEXT) | instid1(VALU_DEP_1)
	v_mul_lo_u32 v12, v11, s12
	v_sub_nc_u32_e32 v10, v10, v12
	s_delay_alu instid0(VALU_DEP_1)
	v_mad_u32 v9, v10, s11, v9
	v_mad_u32 v8, v10, s10, v8
	v_mov_b32_e32 v10, v11
	s_cbranch_scc1 .LBB205_68
.LBB205_69:
	s_and_not1_b32 vcc_lo, exec_lo, s8
	s_cbranch_vccnz .LBB205_72
; %bb.70:
	s_clause 0x1
	s_load_b96 s[4:6], s[2:3], 0x4
	s_load_b64 s[0:1], s[2:3], 0xc4
	s_cmp_lt_u32 s28, 2
	s_wait_kmcnt 0x0
	v_mul_hi_u32 v8, s5, v1
	s_delay_alu instid0(VALU_DEP_1) | instskip(NEXT) | instid1(VALU_DEP_1)
	v_add_nc_u32_e32 v8, v1, v8
	v_lshrrev_b32_e32 v10, s6, v8
	s_delay_alu instid0(VALU_DEP_1) | instskip(NEXT) | instid1(VALU_DEP_1)
	v_mul_lo_u32 v8, v10, s4
	v_sub_nc_u32_e32 v1, v1, v8
	s_delay_alu instid0(VALU_DEP_1)
	v_mul_lo_u32 v9, v1, s1
	v_mul_lo_u32 v8, v1, s0
	s_cbranch_scc1 .LBB205_72
; %bb.71:
	s_clause 0x1
	s_load_b96 s[4:6], s[2:3], 0x10
	s_load_b64 s[0:1], s[2:3], 0xcc
	s_wait_kmcnt 0x0
	v_mul_hi_u32 v1, s5, v10
	s_delay_alu instid0(VALU_DEP_1) | instskip(NEXT) | instid1(VALU_DEP_1)
	v_add_nc_u32_e32 v1, v10, v1
	v_lshrrev_b32_e32 v1, s6, v1
	s_delay_alu instid0(VALU_DEP_1) | instskip(NEXT) | instid1(VALU_DEP_1)
	v_mul_lo_u32 v1, v1, s4
	v_sub_nc_u32_e32 v1, v10, v1
	s_delay_alu instid0(VALU_DEP_1)
	v_mad_u32 v8, v1, s0, v8
	v_mad_u32 v9, v1, s1, v9
.LBB205_72:
	v_cmp_ne_u32_e32 vcc_lo, 1, v14
	v_add_nc_u32_e32 v1, 0x200, v0
	s_cbranch_vccnz .LBB205_78
; %bb.73:
	s_cmp_lg_u32 s28, 0
	s_mov_b32 s8, 0
	s_cbranch_scc0 .LBB205_79
; %bb.74:
	s_min_u32 s1, s29, 15
	s_delay_alu instid0(SALU_CYCLE_1)
	s_add_co_i32 s1, s1, 1
	s_cmp_eq_u32 s29, 2
	s_cbranch_scc1 .LBB205_80
; %bb.75:
	v_dual_mov_b32 v10, 0 :: v_dual_mov_b32 v11, 0
	v_mov_b32_e32 v12, v1
	s_and_b32 s0, s1, 28
	s_add_nc_u64 s[4:5], s[2:3], 0xc4
	s_mov_b32 s9, 0
	s_mov_b64 s[6:7], s[2:3]
.LBB205_76:                             ; =>This Inner Loop Header: Depth=1
	s_clause 0x1
	s_load_b256 s[12:19], s[6:7], 0x4
	s_load_b128 s[36:39], s[6:7], 0x24
	s_load_b256 s[20:27], s[4:5], 0x0
	s_add_co_i32 s9, s9, 4
	s_wait_xcnt 0x0
	s_add_nc_u64 s[6:7], s[6:7], 48
	s_cmp_lg_u32 s0, s9
	s_add_nc_u64 s[4:5], s[4:5], 32
	s_wait_kmcnt 0x0
	v_mul_hi_u32 v13, s13, v12
	s_delay_alu instid0(VALU_DEP_1) | instskip(NEXT) | instid1(VALU_DEP_1)
	v_add_nc_u32_e32 v13, v12, v13
	v_lshrrev_b32_e32 v13, s14, v13
	s_delay_alu instid0(VALU_DEP_1) | instskip(NEXT) | instid1(VALU_DEP_1)
	v_mul_lo_u32 v18, v13, s12
	v_sub_nc_u32_e32 v12, v12, v18
	v_mul_hi_u32 v15, s16, v13
	s_delay_alu instid0(VALU_DEP_2) | instskip(SKIP_1) | instid1(VALU_DEP_3)
	v_mad_u32 v11, v12, s21, v11
	v_mad_u32 v10, v12, s20, v10
	v_add_nc_u32_e32 v15, v13, v15
	s_delay_alu instid0(VALU_DEP_1) | instskip(NEXT) | instid1(VALU_DEP_1)
	v_lshrrev_b32_e32 v15, s17, v15
	v_mul_hi_u32 v17, s19, v15
	v_mul_lo_u32 v18, v15, s15
	s_delay_alu instid0(VALU_DEP_1) | instskip(NEXT) | instid1(VALU_DEP_1)
	v_dual_add_nc_u32 v17, v15, v17 :: v_dual_sub_nc_u32 v12, v13, v18
	v_lshrrev_b32_e32 v17, s36, v17
	s_delay_alu instid0(VALU_DEP_2) | instskip(SKIP_1) | instid1(VALU_DEP_3)
	v_mad_u32 v11, v12, s23, v11
	v_mad_u32 v10, v12, s22, v10
	v_mul_hi_u32 v19, s38, v17
	v_mul_lo_u32 v13, v17, s18
	s_delay_alu instid0(VALU_DEP_1) | instskip(NEXT) | instid1(VALU_DEP_1)
	v_dual_add_nc_u32 v18, v17, v19 :: v_dual_sub_nc_u32 v13, v15, v13
	v_lshrrev_b32_e32 v12, s39, v18
	s_delay_alu instid0(VALU_DEP_2) | instskip(SKIP_1) | instid1(VALU_DEP_3)
	v_mad_u32 v11, v13, s25, v11
	v_mad_u32 v10, v13, s24, v10
	v_mul_lo_u32 v15, v12, s37
	s_delay_alu instid0(VALU_DEP_1) | instskip(NEXT) | instid1(VALU_DEP_1)
	v_sub_nc_u32_e32 v13, v17, v15
	v_mad_u32 v11, v13, s27, v11
	s_delay_alu instid0(VALU_DEP_4)
	v_mad_u32 v10, v13, s26, v10
	s_cbranch_scc1 .LBB205_76
; %bb.77:
	s_and_b32 s6, s1, 3
	s_mov_b32 s1, 0
	s_cmp_eq_u32 s6, 0
	s_cbranch_scc0 .LBB205_81
	s_branch .LBB205_83
.LBB205_78:
	s_mov_b32 s8, -1
                                        ; implicit-def: $vgpr11
	s_branch .LBB205_83
.LBB205_79:
	v_dual_mov_b32 v11, 0 :: v_dual_mov_b32 v10, 0
	s_branch .LBB205_83
.LBB205_80:
	v_mov_b64_e32 v[10:11], 0
	v_mov_b32_e32 v12, v1
	s_mov_b32 s0, 0
	s_and_b32 s6, s1, 3
	s_mov_b32 s1, 0
	s_cmp_eq_u32 s6, 0
	s_cbranch_scc1 .LBB205_83
.LBB205_81:
	s_lshl_b32 s4, s0, 3
	s_mov_b32 s5, s1
	s_mul_u64 s[10:11], s[0:1], 12
	s_add_nc_u64 s[4:5], s[2:3], s[4:5]
	s_delay_alu instid0(SALU_CYCLE_1)
	s_add_nc_u64 s[0:1], s[4:5], 0xc4
	s_add_nc_u64 s[4:5], s[2:3], s[10:11]
.LBB205_82:                             ; =>This Inner Loop Header: Depth=1
	s_load_b96 s[12:14], s[4:5], 0x4
	s_load_b64 s[10:11], s[0:1], 0x0
	s_add_co_i32 s6, s6, -1
	s_wait_xcnt 0x0
	s_add_nc_u64 s[4:5], s[4:5], 12
	s_cmp_lg_u32 s6, 0
	s_add_nc_u64 s[0:1], s[0:1], 8
	s_wait_kmcnt 0x0
	v_mul_hi_u32 v13, s13, v12
	s_delay_alu instid0(VALU_DEP_1) | instskip(NEXT) | instid1(VALU_DEP_1)
	v_add_nc_u32_e32 v13, v12, v13
	v_lshrrev_b32_e32 v13, s14, v13
	s_delay_alu instid0(VALU_DEP_1) | instskip(NEXT) | instid1(VALU_DEP_1)
	v_mul_lo_u32 v15, v13, s12
	v_sub_nc_u32_e32 v12, v12, v15
	s_delay_alu instid0(VALU_DEP_1)
	v_mad_u32 v11, v12, s11, v11
	v_mad_u32 v10, v12, s10, v10
	v_mov_b32_e32 v12, v13
	s_cbranch_scc1 .LBB205_82
.LBB205_83:
	s_and_not1_b32 vcc_lo, exec_lo, s8
	s_cbranch_vccnz .LBB205_86
; %bb.84:
	s_clause 0x1
	s_load_b96 s[4:6], s[2:3], 0x4
	s_load_b64 s[0:1], s[2:3], 0xc4
	s_cmp_lt_u32 s28, 2
	s_wait_kmcnt 0x0
	v_mul_hi_u32 v10, s5, v1
	s_delay_alu instid0(VALU_DEP_1) | instskip(NEXT) | instid1(VALU_DEP_1)
	v_add_nc_u32_e32 v10, v1, v10
	v_lshrrev_b32_e32 v12, s6, v10
	s_delay_alu instid0(VALU_DEP_1) | instskip(NEXT) | instid1(VALU_DEP_1)
	v_mul_lo_u32 v10, v12, s4
	v_sub_nc_u32_e32 v1, v1, v10
	s_delay_alu instid0(VALU_DEP_1)
	v_mul_lo_u32 v11, v1, s1
	v_mul_lo_u32 v10, v1, s0
	s_cbranch_scc1 .LBB205_86
; %bb.85:
	s_clause 0x1
	s_load_b96 s[4:6], s[2:3], 0x10
	s_load_b64 s[0:1], s[2:3], 0xcc
	s_wait_kmcnt 0x0
	v_mul_hi_u32 v1, s5, v12
	s_delay_alu instid0(VALU_DEP_1) | instskip(NEXT) | instid1(VALU_DEP_1)
	v_add_nc_u32_e32 v1, v12, v1
	v_lshrrev_b32_e32 v1, s6, v1
	s_delay_alu instid0(VALU_DEP_1) | instskip(NEXT) | instid1(VALU_DEP_1)
	v_mul_lo_u32 v1, v1, s4
	v_sub_nc_u32_e32 v1, v12, v1
	s_delay_alu instid0(VALU_DEP_1)
	v_mad_u32 v10, v1, s0, v10
	v_mad_u32 v11, v1, s1, v11
.LBB205_86:
	v_cmp_ne_u32_e32 vcc_lo, 1, v14
	v_add_nc_u32_e32 v1, 0x280, v0
	s_cbranch_vccnz .LBB205_92
; %bb.87:
	s_cmp_lg_u32 s28, 0
	s_mov_b32 s8, 0
	s_cbranch_scc0 .LBB205_93
; %bb.88:
	s_min_u32 s1, s29, 15
	s_delay_alu instid0(SALU_CYCLE_1)
	s_add_co_i32 s1, s1, 1
	s_cmp_eq_u32 s29, 2
	s_cbranch_scc1 .LBB205_94
; %bb.89:
	v_dual_mov_b32 v12, 0 :: v_dual_mov_b32 v13, 0
	v_mov_b32_e32 v15, v1
	s_and_b32 s0, s1, 28
	s_add_nc_u64 s[4:5], s[2:3], 0xc4
	s_mov_b32 s9, 0
	s_mov_b64 s[6:7], s[2:3]
.LBB205_90:                             ; =>This Inner Loop Header: Depth=1
	s_clause 0x1
	s_load_b256 s[12:19], s[6:7], 0x4
	s_load_b128 s[36:39], s[6:7], 0x24
	s_load_b256 s[20:27], s[4:5], 0x0
	s_add_co_i32 s9, s9, 4
	s_wait_xcnt 0x0
	s_add_nc_u64 s[6:7], s[6:7], 48
	s_cmp_lg_u32 s0, s9
	s_add_nc_u64 s[4:5], s[4:5], 32
	s_wait_kmcnt 0x0
	v_mul_hi_u32 v17, s13, v15
	s_delay_alu instid0(VALU_DEP_1) | instskip(NEXT) | instid1(VALU_DEP_1)
	v_add_nc_u32_e32 v17, v15, v17
	v_lshrrev_b32_e32 v17, s14, v17
	s_delay_alu instid0(VALU_DEP_1) | instskip(NEXT) | instid1(VALU_DEP_1)
	v_mul_hi_u32 v18, s16, v17
	v_add_nc_u32_e32 v18, v17, v18
	s_delay_alu instid0(VALU_DEP_1) | instskip(NEXT) | instid1(VALU_DEP_1)
	v_lshrrev_b32_e32 v18, s17, v18
	v_mul_hi_u32 v19, s19, v18
	s_delay_alu instid0(VALU_DEP_1) | instskip(SKIP_1) | instid1(VALU_DEP_1)
	v_add_nc_u32_e32 v19, v18, v19
	v_mul_lo_u32 v20, v17, s12
	v_sub_nc_u32_e32 v15, v15, v20
	v_mul_lo_u32 v20, v18, s15
	s_delay_alu instid0(VALU_DEP_4) | instskip(NEXT) | instid1(VALU_DEP_3)
	v_lshrrev_b32_e32 v19, s36, v19
	v_mad_u32 v13, v15, s21, v13
	v_mad_u32 v12, v15, s20, v12
	s_delay_alu instid0(VALU_DEP_4) | instskip(NEXT) | instid1(VALU_DEP_4)
	v_sub_nc_u32_e32 v15, v17, v20
	v_mul_hi_u32 v21, s38, v19
	v_mul_lo_u32 v17, v19, s18
	s_delay_alu instid0(VALU_DEP_3) | instskip(SKIP_1) | instid1(VALU_DEP_4)
	v_mad_u32 v13, v15, s23, v13
	v_mad_u32 v12, v15, s22, v12
	v_add_nc_u32_e32 v20, v19, v21
	s_delay_alu instid0(VALU_DEP_1) | instskip(NEXT) | instid1(VALU_DEP_1)
	v_dual_sub_nc_u32 v17, v18, v17 :: v_dual_lshrrev_b32 v15, s39, v20
	v_mad_u32 v13, v17, s25, v13
	s_delay_alu instid0(VALU_DEP_4) | instskip(NEXT) | instid1(VALU_DEP_3)
	v_mad_u32 v12, v17, s24, v12
	v_mul_lo_u32 v18, v15, s37
	s_delay_alu instid0(VALU_DEP_1) | instskip(NEXT) | instid1(VALU_DEP_1)
	v_sub_nc_u32_e32 v17, v19, v18
	v_mad_u32 v13, v17, s27, v13
	s_delay_alu instid0(VALU_DEP_4)
	v_mad_u32 v12, v17, s26, v12
	s_cbranch_scc1 .LBB205_90
; %bb.91:
	s_and_b32 s6, s1, 3
	s_mov_b32 s1, 0
	s_cmp_eq_u32 s6, 0
	s_cbranch_scc0 .LBB205_95
	s_branch .LBB205_97
.LBB205_92:
	s_mov_b32 s8, -1
                                        ; implicit-def: $vgpr13
	s_branch .LBB205_97
.LBB205_93:
	v_dual_mov_b32 v13, 0 :: v_dual_mov_b32 v12, 0
	s_branch .LBB205_97
.LBB205_94:
	v_mov_b64_e32 v[12:13], 0
	v_mov_b32_e32 v15, v1
	s_mov_b32 s0, 0
	s_and_b32 s6, s1, 3
	s_mov_b32 s1, 0
	s_cmp_eq_u32 s6, 0
	s_cbranch_scc1 .LBB205_97
.LBB205_95:
	s_lshl_b32 s4, s0, 3
	s_mov_b32 s5, s1
	s_mul_u64 s[10:11], s[0:1], 12
	s_add_nc_u64 s[4:5], s[2:3], s[4:5]
	s_delay_alu instid0(SALU_CYCLE_1)
	s_add_nc_u64 s[0:1], s[4:5], 0xc4
	s_add_nc_u64 s[4:5], s[2:3], s[10:11]
.LBB205_96:                             ; =>This Inner Loop Header: Depth=1
	s_load_b96 s[12:14], s[4:5], 0x4
	s_load_b64 s[10:11], s[0:1], 0x0
	s_add_co_i32 s6, s6, -1
	s_wait_xcnt 0x0
	s_add_nc_u64 s[4:5], s[4:5], 12
	s_cmp_lg_u32 s6, 0
	s_add_nc_u64 s[0:1], s[0:1], 8
	s_wait_kmcnt 0x0
	v_mul_hi_u32 v17, s13, v15
	s_delay_alu instid0(VALU_DEP_1) | instskip(NEXT) | instid1(VALU_DEP_1)
	v_add_nc_u32_e32 v17, v15, v17
	v_lshrrev_b32_e32 v17, s14, v17
	s_delay_alu instid0(VALU_DEP_1) | instskip(NEXT) | instid1(VALU_DEP_1)
	v_mul_lo_u32 v18, v17, s12
	v_sub_nc_u32_e32 v15, v15, v18
	s_delay_alu instid0(VALU_DEP_1)
	v_mad_u32 v13, v15, s11, v13
	v_mad_u32 v12, v15, s10, v12
	v_mov_b32_e32 v15, v17
	s_cbranch_scc1 .LBB205_96
.LBB205_97:
	s_and_not1_b32 vcc_lo, exec_lo, s8
	s_cbranch_vccnz .LBB205_100
; %bb.98:
	s_clause 0x1
	s_load_b96 s[4:6], s[2:3], 0x4
	s_load_b64 s[0:1], s[2:3], 0xc4
	s_cmp_lt_u32 s28, 2
	s_wait_kmcnt 0x0
	v_mul_hi_u32 v12, s5, v1
	s_delay_alu instid0(VALU_DEP_1) | instskip(NEXT) | instid1(VALU_DEP_1)
	v_add_nc_u32_e32 v12, v1, v12
	v_lshrrev_b32_e32 v15, s6, v12
	s_delay_alu instid0(VALU_DEP_1) | instskip(NEXT) | instid1(VALU_DEP_1)
	v_mul_lo_u32 v12, v15, s4
	v_sub_nc_u32_e32 v1, v1, v12
	s_delay_alu instid0(VALU_DEP_1)
	v_mul_lo_u32 v13, v1, s1
	v_mul_lo_u32 v12, v1, s0
	s_cbranch_scc1 .LBB205_100
; %bb.99:
	s_clause 0x1
	s_load_b96 s[4:6], s[2:3], 0x10
	s_load_b64 s[0:1], s[2:3], 0xcc
	s_wait_kmcnt 0x0
	v_mul_hi_u32 v1, s5, v15
	s_delay_alu instid0(VALU_DEP_1) | instskip(NEXT) | instid1(VALU_DEP_1)
	v_add_nc_u32_e32 v1, v15, v1
	v_lshrrev_b32_e32 v1, s6, v1
	s_delay_alu instid0(VALU_DEP_1) | instskip(NEXT) | instid1(VALU_DEP_1)
	v_mul_lo_u32 v1, v1, s4
	v_sub_nc_u32_e32 v1, v15, v1
	s_delay_alu instid0(VALU_DEP_1)
	v_mad_u32 v12, v1, s0, v12
	v_mad_u32 v13, v1, s1, v13
.LBB205_100:
	v_cmp_ne_u32_e32 vcc_lo, 1, v14
	v_add_nc_u32_e32 v15, 0x300, v0
	s_cbranch_vccnz .LBB205_106
; %bb.101:
	s_cmp_lg_u32 s28, 0
	s_mov_b32 s8, 0
	s_cbranch_scc0 .LBB205_107
; %bb.102:
	s_min_u32 s1, s29, 15
	s_delay_alu instid0(SALU_CYCLE_1)
	s_add_co_i32 s1, s1, 1
	s_cmp_eq_u32 s29, 2
	s_cbranch_scc1 .LBB205_108
; %bb.103:
	v_dual_mov_b32 v0, 0 :: v_dual_mov_b32 v1, 0
	v_mov_b32_e32 v17, v15
	s_and_b32 s0, s1, 28
	s_add_nc_u64 s[4:5], s[2:3], 0xc4
	s_mov_b32 s9, 0
	s_mov_b64 s[6:7], s[2:3]
.LBB205_104:                            ; =>This Inner Loop Header: Depth=1
	s_clause 0x1
	s_load_b256 s[12:19], s[6:7], 0x4
	s_load_b128 s[36:39], s[6:7], 0x24
	s_load_b256 s[20:27], s[4:5], 0x0
	s_add_co_i32 s9, s9, 4
	s_wait_xcnt 0x0
	s_add_nc_u64 s[6:7], s[6:7], 48
	s_cmp_lg_u32 s0, s9
	s_add_nc_u64 s[4:5], s[4:5], 32
	s_wait_kmcnt 0x0
	v_mul_hi_u32 v18, s13, v17
	s_delay_alu instid0(VALU_DEP_1) | instskip(NEXT) | instid1(VALU_DEP_1)
	v_add_nc_u32_e32 v18, v17, v18
	v_lshrrev_b32_e32 v18, s14, v18
	s_delay_alu instid0(VALU_DEP_1) | instskip(NEXT) | instid1(VALU_DEP_1)
	v_mul_hi_u32 v19, s16, v18
	v_add_nc_u32_e32 v19, v18, v19
	s_delay_alu instid0(VALU_DEP_1) | instskip(NEXT) | instid1(VALU_DEP_1)
	v_lshrrev_b32_e32 v19, s17, v19
	v_mul_hi_u32 v20, s19, v19
	s_delay_alu instid0(VALU_DEP_1) | instskip(SKIP_1) | instid1(VALU_DEP_1)
	v_add_nc_u32_e32 v20, v19, v20
	v_mul_lo_u32 v21, v18, s12
	v_sub_nc_u32_e32 v17, v17, v21
	v_mul_lo_u32 v21, v19, s15
	s_delay_alu instid0(VALU_DEP_4) | instskip(NEXT) | instid1(VALU_DEP_3)
	v_lshrrev_b32_e32 v20, s36, v20
	v_mad_u32 v1, v17, s21, v1
	v_mad_u32 v0, v17, s20, v0
	s_delay_alu instid0(VALU_DEP_4) | instskip(NEXT) | instid1(VALU_DEP_4)
	v_sub_nc_u32_e32 v17, v18, v21
	v_mul_hi_u32 v22, s38, v20
	v_mul_lo_u32 v18, v20, s18
	s_delay_alu instid0(VALU_DEP_3) | instskip(SKIP_1) | instid1(VALU_DEP_4)
	v_mad_u32 v1, v17, s23, v1
	v_mad_u32 v0, v17, s22, v0
	v_add_nc_u32_e32 v21, v20, v22
	s_delay_alu instid0(VALU_DEP_1) | instskip(NEXT) | instid1(VALU_DEP_1)
	v_dual_sub_nc_u32 v18, v19, v18 :: v_dual_lshrrev_b32 v17, s39, v21
	v_mad_u32 v1, v18, s25, v1
	s_delay_alu instid0(VALU_DEP_4) | instskip(NEXT) | instid1(VALU_DEP_3)
	v_mad_u32 v0, v18, s24, v0
	v_mul_lo_u32 v19, v17, s37
	s_delay_alu instid0(VALU_DEP_1) | instskip(NEXT) | instid1(VALU_DEP_1)
	v_sub_nc_u32_e32 v18, v20, v19
	v_mad_u32 v1, v18, s27, v1
	s_delay_alu instid0(VALU_DEP_4)
	v_mad_u32 v0, v18, s26, v0
	s_cbranch_scc1 .LBB205_104
; %bb.105:
	s_and_b32 s6, s1, 3
	s_mov_b32 s1, 0
	s_cmp_eq_u32 s6, 0
	s_cbranch_scc0 .LBB205_109
	s_branch .LBB205_111
.LBB205_106:
	s_mov_b32 s8, -1
                                        ; implicit-def: $vgpr1
	s_branch .LBB205_111
.LBB205_107:
	v_dual_mov_b32 v1, 0 :: v_dual_mov_b32 v0, 0
	s_branch .LBB205_111
.LBB205_108:
	v_mov_b64_e32 v[0:1], 0
	v_mov_b32_e32 v17, v15
	s_mov_b32 s0, 0
	s_and_b32 s6, s1, 3
	s_mov_b32 s1, 0
	s_cmp_eq_u32 s6, 0
	s_cbranch_scc1 .LBB205_111
.LBB205_109:
	s_lshl_b32 s4, s0, 3
	s_mov_b32 s5, s1
	s_mul_u64 s[10:11], s[0:1], 12
	s_add_nc_u64 s[4:5], s[2:3], s[4:5]
	s_delay_alu instid0(SALU_CYCLE_1)
	s_add_nc_u64 s[0:1], s[4:5], 0xc4
	s_add_nc_u64 s[4:5], s[2:3], s[10:11]
.LBB205_110:                            ; =>This Inner Loop Header: Depth=1
	s_load_b96 s[12:14], s[4:5], 0x4
	s_load_b64 s[10:11], s[0:1], 0x0
	s_add_co_i32 s6, s6, -1
	s_wait_xcnt 0x0
	s_add_nc_u64 s[4:5], s[4:5], 12
	s_cmp_lg_u32 s6, 0
	s_add_nc_u64 s[0:1], s[0:1], 8
	s_wait_kmcnt 0x0
	v_mul_hi_u32 v18, s13, v17
	s_delay_alu instid0(VALU_DEP_1) | instskip(NEXT) | instid1(VALU_DEP_1)
	v_add_nc_u32_e32 v18, v17, v18
	v_lshrrev_b32_e32 v18, s14, v18
	s_delay_alu instid0(VALU_DEP_1) | instskip(NEXT) | instid1(VALU_DEP_1)
	v_mul_lo_u32 v19, v18, s12
	v_sub_nc_u32_e32 v17, v17, v19
	s_delay_alu instid0(VALU_DEP_1)
	v_mad_u32 v1, v17, s11, v1
	v_mad_u32 v0, v17, s10, v0
	v_mov_b32_e32 v17, v18
	s_cbranch_scc1 .LBB205_110
.LBB205_111:
	s_and_not1_b32 vcc_lo, exec_lo, s8
	s_cbranch_vccnz .LBB205_114
; %bb.112:
	s_clause 0x1
	s_load_b96 s[4:6], s[2:3], 0x4
	s_load_b64 s[0:1], s[2:3], 0xc4
	s_cmp_lt_u32 s28, 2
	s_wait_kmcnt 0x0
	v_mul_hi_u32 v0, s5, v15
	s_delay_alu instid0(VALU_DEP_1) | instskip(NEXT) | instid1(VALU_DEP_1)
	v_add_nc_u32_e32 v0, v15, v0
	v_lshrrev_b32_e32 v17, s6, v0
	s_delay_alu instid0(VALU_DEP_1) | instskip(NEXT) | instid1(VALU_DEP_1)
	v_mul_lo_u32 v0, v17, s4
	v_sub_nc_u32_e32 v0, v15, v0
	s_delay_alu instid0(VALU_DEP_1)
	v_mul_lo_u32 v1, v0, s1
	v_mul_lo_u32 v0, v0, s0
	s_cbranch_scc1 .LBB205_114
; %bb.113:
	s_clause 0x1
	s_load_b96 s[4:6], s[2:3], 0x10
	s_load_b64 s[0:1], s[2:3], 0xcc
	s_wait_kmcnt 0x0
	v_mul_hi_u32 v15, s5, v17
	s_delay_alu instid0(VALU_DEP_1) | instskip(NEXT) | instid1(VALU_DEP_1)
	v_add_nc_u32_e32 v15, v17, v15
	v_lshrrev_b32_e32 v15, s6, v15
	s_delay_alu instid0(VALU_DEP_1) | instskip(NEXT) | instid1(VALU_DEP_1)
	v_mul_lo_u32 v15, v15, s4
	v_sub_nc_u32_e32 v15, v17, v15
	s_delay_alu instid0(VALU_DEP_1)
	v_mad_u32 v0, v15, s0, v0
	v_mad_u32 v1, v15, s1, v1
.LBB205_114:
	v_cmp_ne_u32_e32 vcc_lo, 1, v14
	s_cbranch_vccnz .LBB205_120
; %bb.115:
	s_cmp_lg_u32 s28, 0
	s_mov_b32 s8, 0
	s_cbranch_scc0 .LBB205_121
; %bb.116:
	s_min_u32 s1, s29, 15
	s_delay_alu instid0(SALU_CYCLE_1)
	s_add_co_i32 s1, s1, 1
	s_cmp_eq_u32 s29, 2
	s_cbranch_scc1 .LBB205_122
; %bb.117:
	v_dual_mov_b32 v14, 0 :: v_dual_mov_b32 v15, 0
	v_mov_b32_e32 v17, v16
	s_and_b32 s0, s1, 28
	s_add_nc_u64 s[4:5], s[2:3], 0xc4
	s_mov_b32 s9, 0
	s_mov_b64 s[6:7], s[2:3]
.LBB205_118:                            ; =>This Inner Loop Header: Depth=1
	s_clause 0x1
	s_load_b256 s[12:19], s[6:7], 0x4
	s_load_b128 s[36:39], s[6:7], 0x24
	s_load_b256 s[20:27], s[4:5], 0x0
	s_add_co_i32 s9, s9, 4
	s_wait_xcnt 0x0
	s_add_nc_u64 s[6:7], s[6:7], 48
	s_cmp_lg_u32 s0, s9
	s_add_nc_u64 s[4:5], s[4:5], 32
	s_wait_kmcnt 0x0
	v_mul_hi_u32 v18, s13, v17
	s_delay_alu instid0(VALU_DEP_1) | instskip(NEXT) | instid1(VALU_DEP_1)
	v_add_nc_u32_e32 v18, v17, v18
	v_lshrrev_b32_e32 v18, s14, v18
	s_delay_alu instid0(VALU_DEP_1) | instskip(NEXT) | instid1(VALU_DEP_1)
	v_mul_hi_u32 v19, s16, v18
	v_add_nc_u32_e32 v19, v18, v19
	s_delay_alu instid0(VALU_DEP_1) | instskip(NEXT) | instid1(VALU_DEP_1)
	v_lshrrev_b32_e32 v19, s17, v19
	v_mul_hi_u32 v20, s19, v19
	s_delay_alu instid0(VALU_DEP_1) | instskip(SKIP_1) | instid1(VALU_DEP_1)
	v_add_nc_u32_e32 v20, v19, v20
	v_mul_lo_u32 v21, v18, s12
	v_sub_nc_u32_e32 v17, v17, v21
	v_mul_lo_u32 v21, v19, s15
	s_delay_alu instid0(VALU_DEP_4) | instskip(NEXT) | instid1(VALU_DEP_3)
	v_lshrrev_b32_e32 v20, s36, v20
	v_mad_u32 v15, v17, s21, v15
	v_mad_u32 v14, v17, s20, v14
	s_delay_alu instid0(VALU_DEP_4) | instskip(NEXT) | instid1(VALU_DEP_4)
	v_sub_nc_u32_e32 v17, v18, v21
	v_mul_hi_u32 v22, s38, v20
	v_mul_lo_u32 v18, v20, s18
	s_delay_alu instid0(VALU_DEP_3) | instskip(SKIP_1) | instid1(VALU_DEP_4)
	v_mad_u32 v15, v17, s23, v15
	v_mad_u32 v14, v17, s22, v14
	v_add_nc_u32_e32 v21, v20, v22
	s_delay_alu instid0(VALU_DEP_1) | instskip(NEXT) | instid1(VALU_DEP_1)
	v_dual_sub_nc_u32 v18, v19, v18 :: v_dual_lshrrev_b32 v17, s39, v21
	v_mad_u32 v15, v18, s25, v15
	s_delay_alu instid0(VALU_DEP_4) | instskip(NEXT) | instid1(VALU_DEP_3)
	v_mad_u32 v14, v18, s24, v14
	v_mul_lo_u32 v19, v17, s37
	s_delay_alu instid0(VALU_DEP_1) | instskip(NEXT) | instid1(VALU_DEP_1)
	v_sub_nc_u32_e32 v18, v20, v19
	v_mad_u32 v15, v18, s27, v15
	s_delay_alu instid0(VALU_DEP_4)
	v_mad_u32 v14, v18, s26, v14
	s_cbranch_scc1 .LBB205_118
; %bb.119:
	s_and_b32 s6, s1, 3
	s_mov_b32 s1, 0
	s_cmp_eq_u32 s6, 0
	s_cbranch_scc0 .LBB205_123
	s_branch .LBB205_125
.LBB205_120:
	s_mov_b32 s8, -1
                                        ; implicit-def: $vgpr15
	s_branch .LBB205_125
.LBB205_121:
	v_dual_mov_b32 v15, 0 :: v_dual_mov_b32 v14, 0
	s_branch .LBB205_125
.LBB205_122:
	v_mov_b64_e32 v[14:15], 0
	v_mov_b32_e32 v17, v16
	s_mov_b32 s0, 0
	s_and_b32 s6, s1, 3
	s_mov_b32 s1, 0
	s_cmp_eq_u32 s6, 0
	s_cbranch_scc1 .LBB205_125
.LBB205_123:
	s_lshl_b32 s4, s0, 3
	s_mov_b32 s5, s1
	s_mul_u64 s[10:11], s[0:1], 12
	s_add_nc_u64 s[4:5], s[2:3], s[4:5]
	s_delay_alu instid0(SALU_CYCLE_1)
	s_add_nc_u64 s[0:1], s[4:5], 0xc4
	s_add_nc_u64 s[4:5], s[2:3], s[10:11]
.LBB205_124:                            ; =>This Inner Loop Header: Depth=1
	s_load_b96 s[12:14], s[4:5], 0x4
	s_load_b64 s[10:11], s[0:1], 0x0
	s_add_co_i32 s6, s6, -1
	s_wait_xcnt 0x0
	s_add_nc_u64 s[4:5], s[4:5], 12
	s_cmp_lg_u32 s6, 0
	s_add_nc_u64 s[0:1], s[0:1], 8
	s_wait_kmcnt 0x0
	v_mul_hi_u32 v18, s13, v17
	s_delay_alu instid0(VALU_DEP_1) | instskip(NEXT) | instid1(VALU_DEP_1)
	v_add_nc_u32_e32 v18, v17, v18
	v_lshrrev_b32_e32 v18, s14, v18
	s_delay_alu instid0(VALU_DEP_1) | instskip(NEXT) | instid1(VALU_DEP_1)
	v_mul_lo_u32 v19, v18, s12
	v_sub_nc_u32_e32 v17, v17, v19
	s_delay_alu instid0(VALU_DEP_1)
	v_mad_u32 v15, v17, s11, v15
	v_mad_u32 v14, v17, s10, v14
	v_mov_b32_e32 v17, v18
	s_cbranch_scc1 .LBB205_124
.LBB205_125:
	s_and_not1_b32 vcc_lo, exec_lo, s8
	s_cbranch_vccnz .LBB205_128
; %bb.126:
	s_clause 0x1
	s_load_b96 s[4:6], s[2:3], 0x4
	s_load_b64 s[0:1], s[2:3], 0xc4
	s_cmp_lt_u32 s28, 2
	s_wait_kmcnt 0x0
	v_mul_hi_u32 v14, s5, v16
	s_delay_alu instid0(VALU_DEP_1) | instskip(NEXT) | instid1(VALU_DEP_1)
	v_add_nc_u32_e32 v14, v16, v14
	v_lshrrev_b32_e32 v17, s6, v14
	s_delay_alu instid0(VALU_DEP_1) | instskip(NEXT) | instid1(VALU_DEP_1)
	v_mul_lo_u32 v14, v17, s4
	v_sub_nc_u32_e32 v14, v16, v14
	s_delay_alu instid0(VALU_DEP_1)
	v_mul_lo_u32 v15, v14, s1
	v_mul_lo_u32 v14, v14, s0
	s_cbranch_scc1 .LBB205_128
; %bb.127:
	s_clause 0x1
	s_load_b96 s[4:6], s[2:3], 0x10
	s_load_b64 s[0:1], s[2:3], 0xcc
	s_wait_kmcnt 0x0
	v_mul_hi_u32 v16, s5, v17
	s_delay_alu instid0(VALU_DEP_1) | instskip(NEXT) | instid1(VALU_DEP_1)
	v_add_nc_u32_e32 v16, v17, v16
	v_lshrrev_b32_e32 v16, s6, v16
	s_delay_alu instid0(VALU_DEP_1) | instskip(NEXT) | instid1(VALU_DEP_1)
	v_mul_lo_u32 v16, v16, s4
	v_sub_nc_u32_e32 v16, v17, v16
	s_delay_alu instid0(VALU_DEP_1)
	v_mad_u32 v14, v16, s0, v14
	v_mad_u32 v15, v16, s1, v15
.LBB205_128:
	s_clause 0x1
	s_load_b128 s[4:7], s[2:3], 0x148
	s_load_b64 s[0:1], s[2:3], 0x158
	s_wait_kmcnt 0x0
	s_clause 0x7
	global_load_u16 v16, v3, s[6:7]
	global_load_u16 v17, v5, s[6:7]
	;; [unrolled: 1-line block ×8, first 2 shown]
	s_cmp_eq_u32 s0, 0
	s_cselect_b32 vcc_lo, -1, 0
	s_lshl_b32 s1, s1, 16
	s_wait_loadcnt 0x6
	s_wait_xcnt 0x1
	v_dual_lshlrev_b32 v1, 16, v16 :: v_dual_lshlrev_b32 v3, 16, v17
	s_wait_loadcnt 0x4
	v_dual_lshlrev_b32 v5, 16, v18 :: v_dual_lshlrev_b32 v7, 16, v19
	s_wait_loadcnt 0x2
	v_dual_lshlrev_b32 v9, 16, v20 :: v_dual_lshlrev_b32 v11, 16, v21
	v_cmp_eq_f32_e64 s0, s1, v1
	s_wait_loadcnt 0x0
	v_dual_lshlrev_b32 v13, 16, v22 :: v_dual_lshlrev_b32 v15, 16, v23
	s_delay_alu instid0(VALU_DEP_2) | instskip(SKIP_1) | instid1(VALU_DEP_1)
	v_cndmask_b32_e64 v16, 0, 1, s0
	v_cmp_neq_f32_e64 s0, s1, v1
	v_cndmask_b32_e64 v1, 0, 1, s0
	v_cmp_eq_f32_e64 s0, s1, v3
	s_delay_alu instid0(VALU_DEP_1) | instskip(SKIP_1) | instid1(VALU_DEP_1)
	v_cndmask_b32_e64 v17, 0, 1, s0
	v_cmp_neq_f32_e64 s0, s1, v3
	v_cndmask_b32_e64 v3, 0, 1, s0
	v_cmp_eq_f32_e64 s0, s1, v5
	s_delay_alu instid0(VALU_DEP_2) | instskip(NEXT) | instid1(VALU_DEP_2)
	v_dual_cndmask_b32 v1, v1, v16, vcc_lo :: v_dual_cndmask_b32 v3, v3, v17, vcc_lo
	v_cndmask_b32_e64 v18, 0, 1, s0
	v_cmp_neq_f32_e64 s0, s1, v5
	s_delay_alu instid0(VALU_DEP_3) | instskip(NEXT) | instid1(VALU_DEP_4)
	v_and_b32_e32 v1, 1, v1
	v_and_b32_e32 v3, 1, v3
	s_delay_alu instid0(VALU_DEP_3) | instskip(SKIP_1) | instid1(VALU_DEP_1)
	v_cndmask_b32_e64 v5, 0, 1, s0
	v_cmp_eq_f32_e64 s0, s1, v7
	v_cndmask_b32_e64 v19, 0, 1, s0
	v_cmp_neq_f32_e64 s0, s1, v7
	s_delay_alu instid0(VALU_DEP_1) | instskip(SKIP_1) | instid1(VALU_DEP_2)
	v_cndmask_b32_e64 v7, 0, 1, s0
	v_cmp_eq_f32_e64 s0, s1, v9
	v_dual_cndmask_b32 v5, v5, v18, vcc_lo :: v_dual_cndmask_b32 v7, v7, v19, vcc_lo
	s_delay_alu instid0(VALU_DEP_2) | instskip(SKIP_1) | instid1(VALU_DEP_3)
	v_cndmask_b32_e64 v20, 0, 1, s0
	v_cmp_neq_f32_e64 s0, s1, v9
	v_and_b32_e32 v5, 1, v5
	s_delay_alu instid0(VALU_DEP_4) | instskip(NEXT) | instid1(VALU_DEP_3)
	v_and_b32_e32 v7, 1, v7
	v_cndmask_b32_e64 v9, 0, 1, s0
	v_cmp_eq_f32_e64 s0, s1, v11
	s_delay_alu instid0(VALU_DEP_1) | instskip(SKIP_1) | instid1(VALU_DEP_1)
	v_cndmask_b32_e64 v21, 0, 1, s0
	v_cmp_neq_f32_e64 s0, s1, v11
	v_cndmask_b32_e64 v11, 0, 1, s0
	v_cmp_eq_f32_e64 s0, s1, v13
	s_delay_alu instid0(VALU_DEP_2) | instskip(NEXT) | instid1(VALU_DEP_2)
	v_dual_cndmask_b32 v9, v9, v20, vcc_lo :: v_dual_cndmask_b32 v11, v11, v21, vcc_lo
	v_cndmask_b32_e64 v22, 0, 1, s0
	v_cmp_neq_f32_e64 s0, s1, v13
	s_delay_alu instid0(VALU_DEP_3) | instskip(NEXT) | instid1(VALU_DEP_4)
	v_and_b32_e32 v9, 1, v9
	v_and_b32_e32 v11, 1, v11
	s_delay_alu instid0(VALU_DEP_3) | instskip(SKIP_1) | instid1(VALU_DEP_1)
	v_cndmask_b32_e64 v13, 0, 1, s0
	v_cmp_eq_f32_e64 s0, s1, v15
	v_cndmask_b32_e64 v23, 0, 1, s0
	v_cmp_neq_f32_e64 s0, s1, v15
	s_delay_alu instid0(VALU_DEP_1) | instskip(NEXT) | instid1(VALU_DEP_1)
	v_cndmask_b32_e64 v15, 0, 1, s0
	v_dual_cndmask_b32 v13, v13, v22, vcc_lo :: v_dual_cndmask_b32 v15, v15, v23, vcc_lo
	s_delay_alu instid0(VALU_DEP_1) | instskip(NEXT) | instid1(VALU_DEP_2)
	v_and_b32_e32 v13, 1, v13
	v_and_b32_e32 v15, 1, v15
	s_clause 0x7
	global_store_b8 v2, v1, s[4:5]
	global_store_b8 v4, v3, s[4:5]
	;; [unrolled: 1-line block ×8, first 2 shown]
	s_endpgm
.LBB205_129:
	v_dual_mov_b32 v3, 0 :: v_dual_mov_b32 v2, 0
	s_branch .LBB205_135
.LBB205_130:
	v_dual_mov_b32 v3, 0 :: v_dual_mov_b32 v2, 0
	s_branch .LBB205_151
.LBB205_131:
	v_mov_b64_e32 v[2:3], 0
	v_mov_b32_e32 v1, v0
	s_mov_b32 s22, 0
.LBB205_132:
	s_and_b32 s26, s23, 3
	s_mov_b32 s23, 0
	s_cmp_eq_u32 s26, 0
	s_cbranch_scc1 .LBB205_135
; %bb.133:
	s_lshl_b32 s24, s22, 3
	s_mov_b32 s25, s23
	s_mul_u64 s[38:39], s[22:23], 12
	s_add_nc_u64 s[24:25], s[2:3], s[24:25]
	s_delay_alu instid0(SALU_CYCLE_1)
	s_add_nc_u64 s[22:23], s[24:25], 0xc4
	s_add_nc_u64 s[24:25], s[2:3], s[38:39]
.LBB205_134:                            ; =>This Inner Loop Header: Depth=1
	s_load_b96 s[40:42], s[24:25], 0x4
	s_load_b64 s[38:39], s[22:23], 0x0
	s_add_co_i32 s26, s26, -1
	s_wait_xcnt 0x0
	s_add_nc_u64 s[24:25], s[24:25], 12
	s_cmp_lg_u32 s26, 0
	s_add_nc_u64 s[22:23], s[22:23], 8
	s_wait_kmcnt 0x0
	v_mul_hi_u32 v4, s41, v1
	s_delay_alu instid0(VALU_DEP_1) | instskip(NEXT) | instid1(VALU_DEP_1)
	v_add_nc_u32_e32 v4, v1, v4
	v_lshrrev_b32_e32 v4, s42, v4
	s_delay_alu instid0(VALU_DEP_1) | instskip(NEXT) | instid1(VALU_DEP_1)
	v_mul_lo_u32 v5, v4, s40
	v_sub_nc_u32_e32 v1, v1, v5
	s_delay_alu instid0(VALU_DEP_1)
	v_mad_u32 v3, v1, s39, v3
	v_mad_u32 v2, v1, s38, v2
	v_mov_b32_e32 v1, v4
	s_cbranch_scc1 .LBB205_134
.LBB205_135:
	s_cbranch_execnz .LBB205_138
.LBB205_136:
	v_mov_b32_e32 v1, 0
	s_and_not1_b32 vcc_lo, exec_lo, s33
	s_delay_alu instid0(VALU_DEP_1) | instskip(NEXT) | instid1(VALU_DEP_1)
	v_mul_u64_e32 v[2:3], s[16:17], v[0:1]
	v_add_nc_u32_e32 v2, v0, v3
	s_delay_alu instid0(VALU_DEP_1) | instskip(NEXT) | instid1(VALU_DEP_1)
	v_lshrrev_b32_e32 v4, s10, v2
	v_mul_lo_u32 v2, v4, s8
	s_delay_alu instid0(VALU_DEP_1) | instskip(NEXT) | instid1(VALU_DEP_1)
	v_sub_nc_u32_e32 v2, v0, v2
	v_mul_lo_u32 v3, v2, s13
	v_mul_lo_u32 v2, v2, s12
	s_cbranch_vccnz .LBB205_138
; %bb.137:
	v_mov_b32_e32 v5, v1
	s_delay_alu instid0(VALU_DEP_1) | instskip(NEXT) | instid1(VALU_DEP_1)
	v_mul_u64_e32 v[6:7], s[18:19], v[4:5]
	v_add_nc_u32_e32 v1, v4, v7
	s_delay_alu instid0(VALU_DEP_1) | instskip(NEXT) | instid1(VALU_DEP_1)
	v_lshrrev_b32_e32 v1, s1, v1
	v_mul_lo_u32 v1, v1, s11
	s_delay_alu instid0(VALU_DEP_1) | instskip(NEXT) | instid1(VALU_DEP_1)
	v_sub_nc_u32_e32 v1, v4, v1
	v_mad_u32 v2, v1, s14, v2
	v_mad_u32 v3, v1, s15, v3
.LBB205_138:
	global_load_u16 v1, v3, s[6:7]
	v_add_nc_u32_e32 v0, 0x80, v0
	s_wait_loadcnt 0x0
	v_lshlrev_b32_e32 v1, 16, v1
	s_delay_alu instid0(VALU_DEP_1) | instskip(SKIP_3) | instid1(VALU_DEP_1)
	v_cmp_eq_f32_e32 vcc_lo, s9, v1
	v_cndmask_b32_e64 v3, 0, 1, vcc_lo
	v_cmp_neq_f32_e32 vcc_lo, s9, v1
	v_cndmask_b32_e64 v1, 0, 1, vcc_lo
	v_cndmask_b32_e64 v1, v1, v3, s0
	s_delay_alu instid0(VALU_DEP_1) | instskip(SKIP_3) | instid1(SALU_CYCLE_1)
	v_and_b32_e32 v1, 1, v1
	global_store_b8 v2, v1, s[4:5]
	s_wait_xcnt 0x0
	s_or_b32 exec_lo, exec_lo, s37
	s_mov_b32 s37, exec_lo
	v_cmpx_gt_i32_e64 s34, v0
	s_cbranch_execnz .LBB205_15
.LBB205_139:
	s_or_b32 exec_lo, exec_lo, s37
	s_delay_alu instid0(SALU_CYCLE_1)
	s_mov_b32 s37, exec_lo
	v_cmpx_gt_i32_e64 s34, v0
	s_cbranch_execz .LBB205_155
.LBB205_140:
	s_and_not1_b32 vcc_lo, exec_lo, s30
	s_cbranch_vccnz .LBB205_145
; %bb.141:
	s_and_not1_b32 vcc_lo, exec_lo, s36
	s_cbranch_vccnz .LBB205_146
; %bb.142:
	s_add_co_i32 s23, s35, 1
	s_cmp_eq_u32 s29, 2
	s_cbranch_scc1 .LBB205_163
; %bb.143:
	v_dual_mov_b32 v2, 0 :: v_dual_mov_b32 v3, 0
	v_mov_b32_e32 v1, v0
	s_and_b32 s22, s23, 28
	s_mov_b32 s38, 0
	s_mov_b64 s[24:25], s[2:3]
	s_mov_b64 s[26:27], s[20:21]
.LBB205_144:                            ; =>This Inner Loop Header: Depth=1
	s_clause 0x1
	s_load_b256 s[40:47], s[24:25], 0x4
	s_load_b128 s[56:59], s[24:25], 0x24
	s_load_b256 s[48:55], s[26:27], 0x0
	s_add_co_i32 s38, s38, 4
	s_wait_xcnt 0x0
	s_add_nc_u64 s[24:25], s[24:25], 48
	s_cmp_eq_u32 s22, s38
	s_add_nc_u64 s[26:27], s[26:27], 32
	s_wait_kmcnt 0x0
	v_mul_hi_u32 v4, s41, v1
	s_delay_alu instid0(VALU_DEP_1) | instskip(NEXT) | instid1(VALU_DEP_1)
	v_add_nc_u32_e32 v4, v1, v4
	v_lshrrev_b32_e32 v4, s42, v4
	s_delay_alu instid0(VALU_DEP_1) | instskip(NEXT) | instid1(VALU_DEP_1)
	v_mul_hi_u32 v5, s44, v4
	v_add_nc_u32_e32 v5, v4, v5
	s_delay_alu instid0(VALU_DEP_1) | instskip(NEXT) | instid1(VALU_DEP_1)
	v_lshrrev_b32_e32 v5, s45, v5
	v_mul_hi_u32 v6, s47, v5
	s_delay_alu instid0(VALU_DEP_1) | instskip(SKIP_1) | instid1(VALU_DEP_1)
	v_add_nc_u32_e32 v6, v5, v6
	v_mul_lo_u32 v7, v4, s40
	v_sub_nc_u32_e32 v1, v1, v7
	v_mul_lo_u32 v7, v5, s43
	s_delay_alu instid0(VALU_DEP_4) | instskip(NEXT) | instid1(VALU_DEP_3)
	v_lshrrev_b32_e32 v6, s56, v6
	v_mad_u32 v3, v1, s49, v3
	v_mad_u32 v1, v1, s48, v2
	s_delay_alu instid0(VALU_DEP_4) | instskip(NEXT) | instid1(VALU_DEP_4)
	v_sub_nc_u32_e32 v2, v4, v7
	v_mul_hi_u32 v8, s58, v6
	v_mul_lo_u32 v4, v6, s46
	s_delay_alu instid0(VALU_DEP_3) | instskip(SKIP_1) | instid1(VALU_DEP_4)
	v_mad_u32 v3, v2, s51, v3
	v_mad_u32 v2, v2, s50, v1
	v_add_nc_u32_e32 v7, v6, v8
	s_delay_alu instid0(VALU_DEP_1) | instskip(NEXT) | instid1(VALU_DEP_1)
	v_dual_sub_nc_u32 v4, v5, v4 :: v_dual_lshrrev_b32 v1, s59, v7
	v_mad_u32 v3, v4, s53, v3
	s_delay_alu instid0(VALU_DEP_4) | instskip(NEXT) | instid1(VALU_DEP_3)
	v_mad_u32 v2, v4, s52, v2
	v_mul_lo_u32 v5, v1, s57
	s_delay_alu instid0(VALU_DEP_1) | instskip(NEXT) | instid1(VALU_DEP_1)
	v_sub_nc_u32_e32 v4, v6, v5
	v_mad_u32 v3, v4, s55, v3
	s_delay_alu instid0(VALU_DEP_4)
	v_mad_u32 v2, v4, s54, v2
	s_cbranch_scc0 .LBB205_144
	s_branch .LBB205_164
.LBB205_145:
                                        ; implicit-def: $vgpr3
	s_branch .LBB205_168
.LBB205_146:
	v_dual_mov_b32 v3, 0 :: v_dual_mov_b32 v2, 0
	s_branch .LBB205_167
.LBB205_147:
	v_mov_b64_e32 v[2:3], 0
	v_mov_b32_e32 v1, v0
	s_mov_b32 s22, 0
.LBB205_148:
	s_and_b32 s26, s23, 3
	s_mov_b32 s23, 0
	s_cmp_eq_u32 s26, 0
	s_cbranch_scc1 .LBB205_151
; %bb.149:
	s_lshl_b32 s24, s22, 3
	s_mov_b32 s25, s23
	s_mul_u64 s[38:39], s[22:23], 12
	s_add_nc_u64 s[24:25], s[2:3], s[24:25]
	s_delay_alu instid0(SALU_CYCLE_1)
	s_add_nc_u64 s[22:23], s[24:25], 0xc4
	s_add_nc_u64 s[24:25], s[2:3], s[38:39]
.LBB205_150:                            ; =>This Inner Loop Header: Depth=1
	s_load_b96 s[40:42], s[24:25], 0x4
	s_load_b64 s[38:39], s[22:23], 0x0
	s_add_co_i32 s26, s26, -1
	s_wait_xcnt 0x0
	s_add_nc_u64 s[24:25], s[24:25], 12
	s_cmp_lg_u32 s26, 0
	s_add_nc_u64 s[22:23], s[22:23], 8
	s_wait_kmcnt 0x0
	v_mul_hi_u32 v4, s41, v1
	s_delay_alu instid0(VALU_DEP_1) | instskip(NEXT) | instid1(VALU_DEP_1)
	v_add_nc_u32_e32 v4, v1, v4
	v_lshrrev_b32_e32 v4, s42, v4
	s_delay_alu instid0(VALU_DEP_1) | instskip(NEXT) | instid1(VALU_DEP_1)
	v_mul_lo_u32 v5, v4, s40
	v_sub_nc_u32_e32 v1, v1, v5
	s_delay_alu instid0(VALU_DEP_1)
	v_mad_u32 v3, v1, s39, v3
	v_mad_u32 v2, v1, s38, v2
	v_mov_b32_e32 v1, v4
	s_cbranch_scc1 .LBB205_150
.LBB205_151:
	s_cbranch_execnz .LBB205_154
.LBB205_152:
	v_mov_b32_e32 v1, 0
	s_and_not1_b32 vcc_lo, exec_lo, s33
	s_delay_alu instid0(VALU_DEP_1) | instskip(NEXT) | instid1(VALU_DEP_1)
	v_mul_u64_e32 v[2:3], s[16:17], v[0:1]
	v_add_nc_u32_e32 v2, v0, v3
	s_delay_alu instid0(VALU_DEP_1) | instskip(NEXT) | instid1(VALU_DEP_1)
	v_lshrrev_b32_e32 v4, s10, v2
	v_mul_lo_u32 v2, v4, s8
	s_delay_alu instid0(VALU_DEP_1) | instskip(NEXT) | instid1(VALU_DEP_1)
	v_sub_nc_u32_e32 v2, v0, v2
	v_mul_lo_u32 v3, v2, s13
	v_mul_lo_u32 v2, v2, s12
	s_cbranch_vccnz .LBB205_154
; %bb.153:
	v_mov_b32_e32 v5, v1
	s_delay_alu instid0(VALU_DEP_1) | instskip(NEXT) | instid1(VALU_DEP_1)
	v_mul_u64_e32 v[6:7], s[18:19], v[4:5]
	v_add_nc_u32_e32 v1, v4, v7
	s_delay_alu instid0(VALU_DEP_1) | instskip(NEXT) | instid1(VALU_DEP_1)
	v_lshrrev_b32_e32 v1, s1, v1
	v_mul_lo_u32 v1, v1, s11
	s_delay_alu instid0(VALU_DEP_1) | instskip(NEXT) | instid1(VALU_DEP_1)
	v_sub_nc_u32_e32 v1, v4, v1
	v_mad_u32 v2, v1, s14, v2
	v_mad_u32 v3, v1, s15, v3
.LBB205_154:
	global_load_u16 v1, v3, s[6:7]
	v_add_nc_u32_e32 v0, 0x80, v0
	s_wait_loadcnt 0x0
	v_lshlrev_b32_e32 v1, 16, v1
	s_delay_alu instid0(VALU_DEP_1) | instskip(SKIP_4) | instid1(VALU_DEP_1)
	v_cmp_eq_f32_e32 vcc_lo, s9, v1
	s_wait_xcnt 0x0
	v_cndmask_b32_e64 v3, 0, 1, vcc_lo
	v_cmp_neq_f32_e32 vcc_lo, s9, v1
	v_cndmask_b32_e64 v1, 0, 1, vcc_lo
	v_cndmask_b32_e64 v1, v1, v3, s0
	s_delay_alu instid0(VALU_DEP_1) | instskip(SKIP_3) | instid1(SALU_CYCLE_1)
	v_and_b32_e32 v1, 1, v1
	global_store_b8 v2, v1, s[4:5]
	s_wait_xcnt 0x0
	s_or_b32 exec_lo, exec_lo, s37
	s_mov_b32 s37, exec_lo
	v_cmpx_gt_i32_e64 s34, v0
	s_cbranch_execnz .LBB205_140
.LBB205_155:
	s_or_b32 exec_lo, exec_lo, s37
	s_delay_alu instid0(SALU_CYCLE_1)
	s_mov_b32 s37, exec_lo
	v_cmpx_gt_i32_e64 s34, v0
	s_cbranch_execz .LBB205_171
.LBB205_156:
	s_and_not1_b32 vcc_lo, exec_lo, s30
	s_cbranch_vccnz .LBB205_161
; %bb.157:
	s_and_not1_b32 vcc_lo, exec_lo, s36
	s_cbranch_vccnz .LBB205_162
; %bb.158:
	s_add_co_i32 s23, s35, 1
	s_cmp_eq_u32 s29, 2
	s_cbranch_scc1 .LBB205_179
; %bb.159:
	v_dual_mov_b32 v2, 0 :: v_dual_mov_b32 v3, 0
	v_mov_b32_e32 v1, v0
	s_and_b32 s22, s23, 28
	s_mov_b32 s38, 0
	s_mov_b64 s[24:25], s[2:3]
	s_mov_b64 s[26:27], s[20:21]
.LBB205_160:                            ; =>This Inner Loop Header: Depth=1
	s_clause 0x1
	s_load_b256 s[40:47], s[24:25], 0x4
	s_load_b128 s[56:59], s[24:25], 0x24
	s_load_b256 s[48:55], s[26:27], 0x0
	s_add_co_i32 s38, s38, 4
	s_wait_xcnt 0x0
	s_add_nc_u64 s[24:25], s[24:25], 48
	s_cmp_eq_u32 s22, s38
	s_add_nc_u64 s[26:27], s[26:27], 32
	s_wait_kmcnt 0x0
	v_mul_hi_u32 v4, s41, v1
	s_delay_alu instid0(VALU_DEP_1) | instskip(NEXT) | instid1(VALU_DEP_1)
	v_add_nc_u32_e32 v4, v1, v4
	v_lshrrev_b32_e32 v4, s42, v4
	s_delay_alu instid0(VALU_DEP_1) | instskip(NEXT) | instid1(VALU_DEP_1)
	v_mul_hi_u32 v5, s44, v4
	v_add_nc_u32_e32 v5, v4, v5
	s_delay_alu instid0(VALU_DEP_1) | instskip(NEXT) | instid1(VALU_DEP_1)
	v_lshrrev_b32_e32 v5, s45, v5
	v_mul_hi_u32 v6, s47, v5
	s_delay_alu instid0(VALU_DEP_1) | instskip(SKIP_1) | instid1(VALU_DEP_1)
	v_add_nc_u32_e32 v6, v5, v6
	v_mul_lo_u32 v7, v4, s40
	v_sub_nc_u32_e32 v1, v1, v7
	v_mul_lo_u32 v7, v5, s43
	s_delay_alu instid0(VALU_DEP_4) | instskip(NEXT) | instid1(VALU_DEP_3)
	v_lshrrev_b32_e32 v6, s56, v6
	v_mad_u32 v3, v1, s49, v3
	v_mad_u32 v1, v1, s48, v2
	s_delay_alu instid0(VALU_DEP_4) | instskip(NEXT) | instid1(VALU_DEP_4)
	v_sub_nc_u32_e32 v2, v4, v7
	v_mul_hi_u32 v8, s58, v6
	v_mul_lo_u32 v4, v6, s46
	s_delay_alu instid0(VALU_DEP_3) | instskip(SKIP_1) | instid1(VALU_DEP_4)
	v_mad_u32 v3, v2, s51, v3
	v_mad_u32 v2, v2, s50, v1
	v_add_nc_u32_e32 v7, v6, v8
	s_delay_alu instid0(VALU_DEP_1) | instskip(NEXT) | instid1(VALU_DEP_1)
	v_dual_sub_nc_u32 v4, v5, v4 :: v_dual_lshrrev_b32 v1, s59, v7
	v_mad_u32 v3, v4, s53, v3
	s_delay_alu instid0(VALU_DEP_4) | instskip(NEXT) | instid1(VALU_DEP_3)
	v_mad_u32 v2, v4, s52, v2
	v_mul_lo_u32 v5, v1, s57
	s_delay_alu instid0(VALU_DEP_1) | instskip(NEXT) | instid1(VALU_DEP_1)
	v_sub_nc_u32_e32 v4, v6, v5
	v_mad_u32 v3, v4, s55, v3
	s_delay_alu instid0(VALU_DEP_4)
	v_mad_u32 v2, v4, s54, v2
	s_cbranch_scc0 .LBB205_160
	s_branch .LBB205_180
.LBB205_161:
                                        ; implicit-def: $vgpr3
	s_branch .LBB205_184
.LBB205_162:
	v_dual_mov_b32 v3, 0 :: v_dual_mov_b32 v2, 0
	s_branch .LBB205_183
.LBB205_163:
	v_mov_b64_e32 v[2:3], 0
	v_mov_b32_e32 v1, v0
	s_mov_b32 s22, 0
.LBB205_164:
	s_and_b32 s26, s23, 3
	s_mov_b32 s23, 0
	s_cmp_eq_u32 s26, 0
	s_cbranch_scc1 .LBB205_167
; %bb.165:
	s_lshl_b32 s24, s22, 3
	s_mov_b32 s25, s23
	s_mul_u64 s[38:39], s[22:23], 12
	s_add_nc_u64 s[24:25], s[2:3], s[24:25]
	s_delay_alu instid0(SALU_CYCLE_1)
	s_add_nc_u64 s[22:23], s[24:25], 0xc4
	s_add_nc_u64 s[24:25], s[2:3], s[38:39]
.LBB205_166:                            ; =>This Inner Loop Header: Depth=1
	s_load_b96 s[40:42], s[24:25], 0x4
	s_load_b64 s[38:39], s[22:23], 0x0
	s_add_co_i32 s26, s26, -1
	s_wait_xcnt 0x0
	s_add_nc_u64 s[24:25], s[24:25], 12
	s_cmp_lg_u32 s26, 0
	s_add_nc_u64 s[22:23], s[22:23], 8
	s_wait_kmcnt 0x0
	v_mul_hi_u32 v4, s41, v1
	s_delay_alu instid0(VALU_DEP_1) | instskip(NEXT) | instid1(VALU_DEP_1)
	v_add_nc_u32_e32 v4, v1, v4
	v_lshrrev_b32_e32 v4, s42, v4
	s_delay_alu instid0(VALU_DEP_1) | instskip(NEXT) | instid1(VALU_DEP_1)
	v_mul_lo_u32 v5, v4, s40
	v_sub_nc_u32_e32 v1, v1, v5
	s_delay_alu instid0(VALU_DEP_1)
	v_mad_u32 v3, v1, s39, v3
	v_mad_u32 v2, v1, s38, v2
	v_mov_b32_e32 v1, v4
	s_cbranch_scc1 .LBB205_166
.LBB205_167:
	s_cbranch_execnz .LBB205_170
.LBB205_168:
	v_mov_b32_e32 v1, 0
	s_and_not1_b32 vcc_lo, exec_lo, s33
	s_delay_alu instid0(VALU_DEP_1) | instskip(NEXT) | instid1(VALU_DEP_1)
	v_mul_u64_e32 v[2:3], s[16:17], v[0:1]
	v_add_nc_u32_e32 v2, v0, v3
	s_delay_alu instid0(VALU_DEP_1) | instskip(NEXT) | instid1(VALU_DEP_1)
	v_lshrrev_b32_e32 v4, s10, v2
	v_mul_lo_u32 v2, v4, s8
	s_delay_alu instid0(VALU_DEP_1) | instskip(NEXT) | instid1(VALU_DEP_1)
	v_sub_nc_u32_e32 v2, v0, v2
	v_mul_lo_u32 v3, v2, s13
	v_mul_lo_u32 v2, v2, s12
	s_cbranch_vccnz .LBB205_170
; %bb.169:
	v_mov_b32_e32 v5, v1
	s_delay_alu instid0(VALU_DEP_1) | instskip(NEXT) | instid1(VALU_DEP_1)
	v_mul_u64_e32 v[6:7], s[18:19], v[4:5]
	v_add_nc_u32_e32 v1, v4, v7
	s_delay_alu instid0(VALU_DEP_1) | instskip(NEXT) | instid1(VALU_DEP_1)
	v_lshrrev_b32_e32 v1, s1, v1
	v_mul_lo_u32 v1, v1, s11
	s_delay_alu instid0(VALU_DEP_1) | instskip(NEXT) | instid1(VALU_DEP_1)
	v_sub_nc_u32_e32 v1, v4, v1
	v_mad_u32 v2, v1, s14, v2
	v_mad_u32 v3, v1, s15, v3
.LBB205_170:
	global_load_u16 v1, v3, s[6:7]
	v_add_nc_u32_e32 v0, 0x80, v0
	s_wait_loadcnt 0x0
	v_lshlrev_b32_e32 v1, 16, v1
	s_delay_alu instid0(VALU_DEP_1) | instskip(SKIP_4) | instid1(VALU_DEP_1)
	v_cmp_eq_f32_e32 vcc_lo, s9, v1
	s_wait_xcnt 0x0
	v_cndmask_b32_e64 v3, 0, 1, vcc_lo
	v_cmp_neq_f32_e32 vcc_lo, s9, v1
	v_cndmask_b32_e64 v1, 0, 1, vcc_lo
	v_cndmask_b32_e64 v1, v1, v3, s0
	s_delay_alu instid0(VALU_DEP_1) | instskip(SKIP_3) | instid1(SALU_CYCLE_1)
	v_and_b32_e32 v1, 1, v1
	global_store_b8 v2, v1, s[4:5]
	s_wait_xcnt 0x0
	s_or_b32 exec_lo, exec_lo, s37
	s_mov_b32 s37, exec_lo
	v_cmpx_gt_i32_e64 s34, v0
	s_cbranch_execnz .LBB205_156
.LBB205_171:
	s_or_b32 exec_lo, exec_lo, s37
	s_delay_alu instid0(SALU_CYCLE_1)
	s_mov_b32 s37, exec_lo
	v_cmpx_gt_i32_e64 s34, v0
	s_cbranch_execz .LBB205_187
.LBB205_172:
	s_and_not1_b32 vcc_lo, exec_lo, s30
	s_cbranch_vccnz .LBB205_177
; %bb.173:
	s_and_not1_b32 vcc_lo, exec_lo, s36
	s_cbranch_vccnz .LBB205_178
; %bb.174:
	s_add_co_i32 s23, s35, 1
	s_cmp_eq_u32 s29, 2
	s_cbranch_scc1 .LBB205_195
; %bb.175:
	v_dual_mov_b32 v2, 0 :: v_dual_mov_b32 v3, 0
	v_mov_b32_e32 v1, v0
	s_and_b32 s22, s23, 28
	s_mov_b32 s38, 0
	s_mov_b64 s[24:25], s[2:3]
	s_mov_b64 s[26:27], s[20:21]
.LBB205_176:                            ; =>This Inner Loop Header: Depth=1
	s_clause 0x1
	s_load_b256 s[40:47], s[24:25], 0x4
	s_load_b128 s[56:59], s[24:25], 0x24
	s_load_b256 s[48:55], s[26:27], 0x0
	s_add_co_i32 s38, s38, 4
	s_wait_xcnt 0x0
	s_add_nc_u64 s[24:25], s[24:25], 48
	s_cmp_eq_u32 s22, s38
	s_add_nc_u64 s[26:27], s[26:27], 32
	s_wait_kmcnt 0x0
	v_mul_hi_u32 v4, s41, v1
	s_delay_alu instid0(VALU_DEP_1) | instskip(NEXT) | instid1(VALU_DEP_1)
	v_add_nc_u32_e32 v4, v1, v4
	v_lshrrev_b32_e32 v4, s42, v4
	s_delay_alu instid0(VALU_DEP_1) | instskip(NEXT) | instid1(VALU_DEP_1)
	v_mul_hi_u32 v5, s44, v4
	v_add_nc_u32_e32 v5, v4, v5
	s_delay_alu instid0(VALU_DEP_1) | instskip(NEXT) | instid1(VALU_DEP_1)
	v_lshrrev_b32_e32 v5, s45, v5
	v_mul_hi_u32 v6, s47, v5
	s_delay_alu instid0(VALU_DEP_1) | instskip(SKIP_1) | instid1(VALU_DEP_1)
	v_add_nc_u32_e32 v6, v5, v6
	v_mul_lo_u32 v7, v4, s40
	v_sub_nc_u32_e32 v1, v1, v7
	v_mul_lo_u32 v7, v5, s43
	s_delay_alu instid0(VALU_DEP_4) | instskip(NEXT) | instid1(VALU_DEP_3)
	v_lshrrev_b32_e32 v6, s56, v6
	v_mad_u32 v3, v1, s49, v3
	v_mad_u32 v1, v1, s48, v2
	s_delay_alu instid0(VALU_DEP_4) | instskip(NEXT) | instid1(VALU_DEP_4)
	v_sub_nc_u32_e32 v2, v4, v7
	v_mul_hi_u32 v8, s58, v6
	v_mul_lo_u32 v4, v6, s46
	s_delay_alu instid0(VALU_DEP_3) | instskip(SKIP_1) | instid1(VALU_DEP_4)
	v_mad_u32 v3, v2, s51, v3
	v_mad_u32 v2, v2, s50, v1
	v_add_nc_u32_e32 v7, v6, v8
	s_delay_alu instid0(VALU_DEP_1) | instskip(NEXT) | instid1(VALU_DEP_1)
	v_dual_sub_nc_u32 v4, v5, v4 :: v_dual_lshrrev_b32 v1, s59, v7
	v_mad_u32 v3, v4, s53, v3
	s_delay_alu instid0(VALU_DEP_4) | instskip(NEXT) | instid1(VALU_DEP_3)
	v_mad_u32 v2, v4, s52, v2
	v_mul_lo_u32 v5, v1, s57
	s_delay_alu instid0(VALU_DEP_1) | instskip(NEXT) | instid1(VALU_DEP_1)
	v_sub_nc_u32_e32 v4, v6, v5
	v_mad_u32 v3, v4, s55, v3
	s_delay_alu instid0(VALU_DEP_4)
	v_mad_u32 v2, v4, s54, v2
	s_cbranch_scc0 .LBB205_176
	s_branch .LBB205_196
.LBB205_177:
                                        ; implicit-def: $vgpr3
	s_branch .LBB205_200
.LBB205_178:
	v_dual_mov_b32 v3, 0 :: v_dual_mov_b32 v2, 0
	s_branch .LBB205_199
.LBB205_179:
	v_mov_b64_e32 v[2:3], 0
	v_mov_b32_e32 v1, v0
	s_mov_b32 s22, 0
.LBB205_180:
	s_and_b32 s26, s23, 3
	s_mov_b32 s23, 0
	s_cmp_eq_u32 s26, 0
	s_cbranch_scc1 .LBB205_183
; %bb.181:
	s_lshl_b32 s24, s22, 3
	s_mov_b32 s25, s23
	s_mul_u64 s[38:39], s[22:23], 12
	s_add_nc_u64 s[24:25], s[2:3], s[24:25]
	s_delay_alu instid0(SALU_CYCLE_1)
	s_add_nc_u64 s[22:23], s[24:25], 0xc4
	s_add_nc_u64 s[24:25], s[2:3], s[38:39]
.LBB205_182:                            ; =>This Inner Loop Header: Depth=1
	s_load_b96 s[40:42], s[24:25], 0x4
	s_load_b64 s[38:39], s[22:23], 0x0
	s_add_co_i32 s26, s26, -1
	s_wait_xcnt 0x0
	s_add_nc_u64 s[24:25], s[24:25], 12
	s_cmp_lg_u32 s26, 0
	s_add_nc_u64 s[22:23], s[22:23], 8
	s_wait_kmcnt 0x0
	v_mul_hi_u32 v4, s41, v1
	s_delay_alu instid0(VALU_DEP_1) | instskip(NEXT) | instid1(VALU_DEP_1)
	v_add_nc_u32_e32 v4, v1, v4
	v_lshrrev_b32_e32 v4, s42, v4
	s_delay_alu instid0(VALU_DEP_1) | instskip(NEXT) | instid1(VALU_DEP_1)
	v_mul_lo_u32 v5, v4, s40
	v_sub_nc_u32_e32 v1, v1, v5
	s_delay_alu instid0(VALU_DEP_1)
	v_mad_u32 v3, v1, s39, v3
	v_mad_u32 v2, v1, s38, v2
	v_mov_b32_e32 v1, v4
	s_cbranch_scc1 .LBB205_182
.LBB205_183:
	s_cbranch_execnz .LBB205_186
.LBB205_184:
	v_mov_b32_e32 v1, 0
	s_and_not1_b32 vcc_lo, exec_lo, s33
	s_delay_alu instid0(VALU_DEP_1) | instskip(NEXT) | instid1(VALU_DEP_1)
	v_mul_u64_e32 v[2:3], s[16:17], v[0:1]
	v_add_nc_u32_e32 v2, v0, v3
	s_delay_alu instid0(VALU_DEP_1) | instskip(NEXT) | instid1(VALU_DEP_1)
	v_lshrrev_b32_e32 v4, s10, v2
	v_mul_lo_u32 v2, v4, s8
	s_delay_alu instid0(VALU_DEP_1) | instskip(NEXT) | instid1(VALU_DEP_1)
	v_sub_nc_u32_e32 v2, v0, v2
	v_mul_lo_u32 v3, v2, s13
	v_mul_lo_u32 v2, v2, s12
	s_cbranch_vccnz .LBB205_186
; %bb.185:
	v_mov_b32_e32 v5, v1
	s_delay_alu instid0(VALU_DEP_1) | instskip(NEXT) | instid1(VALU_DEP_1)
	v_mul_u64_e32 v[6:7], s[18:19], v[4:5]
	v_add_nc_u32_e32 v1, v4, v7
	s_delay_alu instid0(VALU_DEP_1) | instskip(NEXT) | instid1(VALU_DEP_1)
	v_lshrrev_b32_e32 v1, s1, v1
	v_mul_lo_u32 v1, v1, s11
	s_delay_alu instid0(VALU_DEP_1) | instskip(NEXT) | instid1(VALU_DEP_1)
	v_sub_nc_u32_e32 v1, v4, v1
	v_mad_u32 v2, v1, s14, v2
	v_mad_u32 v3, v1, s15, v3
.LBB205_186:
	global_load_u16 v1, v3, s[6:7]
	v_add_nc_u32_e32 v0, 0x80, v0
	s_wait_loadcnt 0x0
	v_lshlrev_b32_e32 v1, 16, v1
	s_delay_alu instid0(VALU_DEP_1) | instskip(SKIP_4) | instid1(VALU_DEP_1)
	v_cmp_eq_f32_e32 vcc_lo, s9, v1
	s_wait_xcnt 0x0
	v_cndmask_b32_e64 v3, 0, 1, vcc_lo
	v_cmp_neq_f32_e32 vcc_lo, s9, v1
	v_cndmask_b32_e64 v1, 0, 1, vcc_lo
	v_cndmask_b32_e64 v1, v1, v3, s0
	s_delay_alu instid0(VALU_DEP_1) | instskip(SKIP_3) | instid1(SALU_CYCLE_1)
	v_and_b32_e32 v1, 1, v1
	global_store_b8 v2, v1, s[4:5]
	s_wait_xcnt 0x0
	s_or_b32 exec_lo, exec_lo, s37
	s_mov_b32 s37, exec_lo
	v_cmpx_gt_i32_e64 s34, v0
	s_cbranch_execnz .LBB205_172
.LBB205_187:
	s_or_b32 exec_lo, exec_lo, s37
	s_delay_alu instid0(SALU_CYCLE_1)
	s_mov_b32 s37, exec_lo
	v_cmpx_gt_i32_e64 s34, v0
	s_cbranch_execz .LBB205_203
.LBB205_188:
	s_and_not1_b32 vcc_lo, exec_lo, s30
	s_cbranch_vccnz .LBB205_193
; %bb.189:
	s_and_not1_b32 vcc_lo, exec_lo, s36
	s_cbranch_vccnz .LBB205_194
; %bb.190:
	s_add_co_i32 s23, s35, 1
	s_cmp_eq_u32 s29, 2
	s_cbranch_scc1 .LBB205_211
; %bb.191:
	v_dual_mov_b32 v2, 0 :: v_dual_mov_b32 v3, 0
	v_mov_b32_e32 v1, v0
	s_and_b32 s22, s23, 28
	s_mov_b32 s38, 0
	s_mov_b64 s[24:25], s[2:3]
	s_mov_b64 s[26:27], s[20:21]
.LBB205_192:                            ; =>This Inner Loop Header: Depth=1
	s_clause 0x1
	s_load_b256 s[40:47], s[24:25], 0x4
	s_load_b128 s[56:59], s[24:25], 0x24
	s_load_b256 s[48:55], s[26:27], 0x0
	s_add_co_i32 s38, s38, 4
	s_wait_xcnt 0x0
	s_add_nc_u64 s[24:25], s[24:25], 48
	s_cmp_eq_u32 s22, s38
	s_add_nc_u64 s[26:27], s[26:27], 32
	s_wait_kmcnt 0x0
	v_mul_hi_u32 v4, s41, v1
	s_delay_alu instid0(VALU_DEP_1) | instskip(NEXT) | instid1(VALU_DEP_1)
	v_add_nc_u32_e32 v4, v1, v4
	v_lshrrev_b32_e32 v4, s42, v4
	s_delay_alu instid0(VALU_DEP_1) | instskip(NEXT) | instid1(VALU_DEP_1)
	v_mul_hi_u32 v5, s44, v4
	v_add_nc_u32_e32 v5, v4, v5
	s_delay_alu instid0(VALU_DEP_1) | instskip(NEXT) | instid1(VALU_DEP_1)
	v_lshrrev_b32_e32 v5, s45, v5
	v_mul_hi_u32 v6, s47, v5
	s_delay_alu instid0(VALU_DEP_1) | instskip(SKIP_1) | instid1(VALU_DEP_1)
	v_add_nc_u32_e32 v6, v5, v6
	v_mul_lo_u32 v7, v4, s40
	v_sub_nc_u32_e32 v1, v1, v7
	v_mul_lo_u32 v7, v5, s43
	s_delay_alu instid0(VALU_DEP_4) | instskip(NEXT) | instid1(VALU_DEP_3)
	v_lshrrev_b32_e32 v6, s56, v6
	v_mad_u32 v3, v1, s49, v3
	v_mad_u32 v1, v1, s48, v2
	s_delay_alu instid0(VALU_DEP_4) | instskip(NEXT) | instid1(VALU_DEP_4)
	v_sub_nc_u32_e32 v2, v4, v7
	v_mul_hi_u32 v8, s58, v6
	v_mul_lo_u32 v4, v6, s46
	s_delay_alu instid0(VALU_DEP_3) | instskip(SKIP_1) | instid1(VALU_DEP_4)
	v_mad_u32 v3, v2, s51, v3
	v_mad_u32 v2, v2, s50, v1
	v_add_nc_u32_e32 v7, v6, v8
	s_delay_alu instid0(VALU_DEP_1) | instskip(NEXT) | instid1(VALU_DEP_1)
	v_dual_sub_nc_u32 v4, v5, v4 :: v_dual_lshrrev_b32 v1, s59, v7
	v_mad_u32 v3, v4, s53, v3
	s_delay_alu instid0(VALU_DEP_4) | instskip(NEXT) | instid1(VALU_DEP_3)
	v_mad_u32 v2, v4, s52, v2
	v_mul_lo_u32 v5, v1, s57
	s_delay_alu instid0(VALU_DEP_1) | instskip(NEXT) | instid1(VALU_DEP_1)
	v_sub_nc_u32_e32 v4, v6, v5
	v_mad_u32 v3, v4, s55, v3
	s_delay_alu instid0(VALU_DEP_4)
	v_mad_u32 v2, v4, s54, v2
	s_cbranch_scc0 .LBB205_192
	s_branch .LBB205_212
.LBB205_193:
                                        ; implicit-def: $vgpr3
	s_branch .LBB205_216
.LBB205_194:
	v_dual_mov_b32 v3, 0 :: v_dual_mov_b32 v2, 0
	s_branch .LBB205_215
.LBB205_195:
	v_mov_b64_e32 v[2:3], 0
	v_mov_b32_e32 v1, v0
	s_mov_b32 s22, 0
.LBB205_196:
	s_and_b32 s26, s23, 3
	s_mov_b32 s23, 0
	s_cmp_eq_u32 s26, 0
	s_cbranch_scc1 .LBB205_199
; %bb.197:
	s_lshl_b32 s24, s22, 3
	s_mov_b32 s25, s23
	s_mul_u64 s[38:39], s[22:23], 12
	s_add_nc_u64 s[24:25], s[2:3], s[24:25]
	s_delay_alu instid0(SALU_CYCLE_1)
	s_add_nc_u64 s[22:23], s[24:25], 0xc4
	s_add_nc_u64 s[24:25], s[2:3], s[38:39]
.LBB205_198:                            ; =>This Inner Loop Header: Depth=1
	s_load_b96 s[40:42], s[24:25], 0x4
	s_load_b64 s[38:39], s[22:23], 0x0
	s_add_co_i32 s26, s26, -1
	s_wait_xcnt 0x0
	s_add_nc_u64 s[24:25], s[24:25], 12
	s_cmp_lg_u32 s26, 0
	s_add_nc_u64 s[22:23], s[22:23], 8
	s_wait_kmcnt 0x0
	v_mul_hi_u32 v4, s41, v1
	s_delay_alu instid0(VALU_DEP_1) | instskip(NEXT) | instid1(VALU_DEP_1)
	v_add_nc_u32_e32 v4, v1, v4
	v_lshrrev_b32_e32 v4, s42, v4
	s_delay_alu instid0(VALU_DEP_1) | instskip(NEXT) | instid1(VALU_DEP_1)
	v_mul_lo_u32 v5, v4, s40
	v_sub_nc_u32_e32 v1, v1, v5
	s_delay_alu instid0(VALU_DEP_1)
	v_mad_u32 v3, v1, s39, v3
	v_mad_u32 v2, v1, s38, v2
	v_mov_b32_e32 v1, v4
	s_cbranch_scc1 .LBB205_198
.LBB205_199:
	s_cbranch_execnz .LBB205_202
.LBB205_200:
	v_mov_b32_e32 v1, 0
	s_and_not1_b32 vcc_lo, exec_lo, s33
	s_delay_alu instid0(VALU_DEP_1) | instskip(NEXT) | instid1(VALU_DEP_1)
	v_mul_u64_e32 v[2:3], s[16:17], v[0:1]
	v_add_nc_u32_e32 v2, v0, v3
	s_delay_alu instid0(VALU_DEP_1) | instskip(NEXT) | instid1(VALU_DEP_1)
	v_lshrrev_b32_e32 v4, s10, v2
	v_mul_lo_u32 v2, v4, s8
	s_delay_alu instid0(VALU_DEP_1) | instskip(NEXT) | instid1(VALU_DEP_1)
	v_sub_nc_u32_e32 v2, v0, v2
	v_mul_lo_u32 v3, v2, s13
	v_mul_lo_u32 v2, v2, s12
	s_cbranch_vccnz .LBB205_202
; %bb.201:
	v_mov_b32_e32 v5, v1
	s_delay_alu instid0(VALU_DEP_1) | instskip(NEXT) | instid1(VALU_DEP_1)
	v_mul_u64_e32 v[6:7], s[18:19], v[4:5]
	v_add_nc_u32_e32 v1, v4, v7
	s_delay_alu instid0(VALU_DEP_1) | instskip(NEXT) | instid1(VALU_DEP_1)
	v_lshrrev_b32_e32 v1, s1, v1
	v_mul_lo_u32 v1, v1, s11
	s_delay_alu instid0(VALU_DEP_1) | instskip(NEXT) | instid1(VALU_DEP_1)
	v_sub_nc_u32_e32 v1, v4, v1
	v_mad_u32 v2, v1, s14, v2
	v_mad_u32 v3, v1, s15, v3
.LBB205_202:
	global_load_u16 v1, v3, s[6:7]
	v_add_nc_u32_e32 v0, 0x80, v0
	s_wait_loadcnt 0x0
	v_lshlrev_b32_e32 v1, 16, v1
	s_delay_alu instid0(VALU_DEP_1) | instskip(SKIP_4) | instid1(VALU_DEP_1)
	v_cmp_eq_f32_e32 vcc_lo, s9, v1
	s_wait_xcnt 0x0
	v_cndmask_b32_e64 v3, 0, 1, vcc_lo
	v_cmp_neq_f32_e32 vcc_lo, s9, v1
	v_cndmask_b32_e64 v1, 0, 1, vcc_lo
	v_cndmask_b32_e64 v1, v1, v3, s0
	s_delay_alu instid0(VALU_DEP_1) | instskip(SKIP_3) | instid1(SALU_CYCLE_1)
	v_and_b32_e32 v1, 1, v1
	global_store_b8 v2, v1, s[4:5]
	s_wait_xcnt 0x0
	s_or_b32 exec_lo, exec_lo, s37
	s_mov_b32 s37, exec_lo
	v_cmpx_gt_i32_e64 s34, v0
	s_cbranch_execnz .LBB205_188
.LBB205_203:
	s_or_b32 exec_lo, exec_lo, s37
	s_delay_alu instid0(SALU_CYCLE_1)
	s_mov_b32 s37, exec_lo
	v_cmpx_gt_i32_e64 s34, v0
	s_cbranch_execz .LBB205_219
.LBB205_204:
	s_and_not1_b32 vcc_lo, exec_lo, s30
	s_cbranch_vccnz .LBB205_209
; %bb.205:
	s_and_not1_b32 vcc_lo, exec_lo, s36
	s_cbranch_vccnz .LBB205_210
; %bb.206:
	s_add_co_i32 s23, s35, 1
	s_cmp_eq_u32 s29, 2
	s_cbranch_scc1 .LBB205_222
; %bb.207:
	v_dual_mov_b32 v2, 0 :: v_dual_mov_b32 v3, 0
	v_mov_b32_e32 v1, v0
	s_and_b32 s22, s23, 28
	s_mov_b32 s38, 0
	s_mov_b64 s[24:25], s[2:3]
	s_mov_b64 s[26:27], s[20:21]
.LBB205_208:                            ; =>This Inner Loop Header: Depth=1
	s_clause 0x1
	s_load_b256 s[40:47], s[24:25], 0x4
	s_load_b128 s[56:59], s[24:25], 0x24
	s_load_b256 s[48:55], s[26:27], 0x0
	s_add_co_i32 s38, s38, 4
	s_wait_xcnt 0x0
	s_add_nc_u64 s[24:25], s[24:25], 48
	s_cmp_eq_u32 s22, s38
	s_add_nc_u64 s[26:27], s[26:27], 32
	s_wait_kmcnt 0x0
	v_mul_hi_u32 v4, s41, v1
	s_delay_alu instid0(VALU_DEP_1) | instskip(NEXT) | instid1(VALU_DEP_1)
	v_add_nc_u32_e32 v4, v1, v4
	v_lshrrev_b32_e32 v4, s42, v4
	s_delay_alu instid0(VALU_DEP_1) | instskip(NEXT) | instid1(VALU_DEP_1)
	v_mul_hi_u32 v5, s44, v4
	v_add_nc_u32_e32 v5, v4, v5
	s_delay_alu instid0(VALU_DEP_1) | instskip(NEXT) | instid1(VALU_DEP_1)
	v_lshrrev_b32_e32 v5, s45, v5
	v_mul_hi_u32 v6, s47, v5
	s_delay_alu instid0(VALU_DEP_1) | instskip(SKIP_1) | instid1(VALU_DEP_1)
	v_add_nc_u32_e32 v6, v5, v6
	v_mul_lo_u32 v7, v4, s40
	v_sub_nc_u32_e32 v1, v1, v7
	v_mul_lo_u32 v7, v5, s43
	s_delay_alu instid0(VALU_DEP_4) | instskip(NEXT) | instid1(VALU_DEP_3)
	v_lshrrev_b32_e32 v6, s56, v6
	v_mad_u32 v3, v1, s49, v3
	v_mad_u32 v1, v1, s48, v2
	s_delay_alu instid0(VALU_DEP_4) | instskip(NEXT) | instid1(VALU_DEP_4)
	v_sub_nc_u32_e32 v2, v4, v7
	v_mul_hi_u32 v8, s58, v6
	v_mul_lo_u32 v4, v6, s46
	s_delay_alu instid0(VALU_DEP_3) | instskip(SKIP_1) | instid1(VALU_DEP_4)
	v_mad_u32 v3, v2, s51, v3
	v_mad_u32 v2, v2, s50, v1
	v_add_nc_u32_e32 v7, v6, v8
	s_delay_alu instid0(VALU_DEP_1) | instskip(NEXT) | instid1(VALU_DEP_1)
	v_dual_sub_nc_u32 v4, v5, v4 :: v_dual_lshrrev_b32 v1, s59, v7
	v_mad_u32 v3, v4, s53, v3
	s_delay_alu instid0(VALU_DEP_4) | instskip(NEXT) | instid1(VALU_DEP_3)
	v_mad_u32 v2, v4, s52, v2
	v_mul_lo_u32 v5, v1, s57
	s_delay_alu instid0(VALU_DEP_1) | instskip(NEXT) | instid1(VALU_DEP_1)
	v_sub_nc_u32_e32 v4, v6, v5
	v_mad_u32 v3, v4, s55, v3
	s_delay_alu instid0(VALU_DEP_4)
	v_mad_u32 v2, v4, s54, v2
	s_cbranch_scc0 .LBB205_208
	s_branch .LBB205_223
.LBB205_209:
                                        ; implicit-def: $vgpr3
	s_branch .LBB205_227
.LBB205_210:
	v_dual_mov_b32 v3, 0 :: v_dual_mov_b32 v2, 0
	s_branch .LBB205_226
.LBB205_211:
	v_mov_b64_e32 v[2:3], 0
	v_mov_b32_e32 v1, v0
	s_mov_b32 s22, 0
.LBB205_212:
	s_and_b32 s26, s23, 3
	s_mov_b32 s23, 0
	s_cmp_eq_u32 s26, 0
	s_cbranch_scc1 .LBB205_215
; %bb.213:
	s_lshl_b32 s24, s22, 3
	s_mov_b32 s25, s23
	s_mul_u64 s[38:39], s[22:23], 12
	s_add_nc_u64 s[24:25], s[2:3], s[24:25]
	s_delay_alu instid0(SALU_CYCLE_1)
	s_add_nc_u64 s[22:23], s[24:25], 0xc4
	s_add_nc_u64 s[24:25], s[2:3], s[38:39]
.LBB205_214:                            ; =>This Inner Loop Header: Depth=1
	s_load_b96 s[40:42], s[24:25], 0x4
	s_load_b64 s[38:39], s[22:23], 0x0
	s_add_co_i32 s26, s26, -1
	s_wait_xcnt 0x0
	s_add_nc_u64 s[24:25], s[24:25], 12
	s_cmp_lg_u32 s26, 0
	s_add_nc_u64 s[22:23], s[22:23], 8
	s_wait_kmcnt 0x0
	v_mul_hi_u32 v4, s41, v1
	s_delay_alu instid0(VALU_DEP_1) | instskip(NEXT) | instid1(VALU_DEP_1)
	v_add_nc_u32_e32 v4, v1, v4
	v_lshrrev_b32_e32 v4, s42, v4
	s_delay_alu instid0(VALU_DEP_1) | instskip(NEXT) | instid1(VALU_DEP_1)
	v_mul_lo_u32 v5, v4, s40
	v_sub_nc_u32_e32 v1, v1, v5
	s_delay_alu instid0(VALU_DEP_1)
	v_mad_u32 v3, v1, s39, v3
	v_mad_u32 v2, v1, s38, v2
	v_mov_b32_e32 v1, v4
	s_cbranch_scc1 .LBB205_214
.LBB205_215:
	s_cbranch_execnz .LBB205_218
.LBB205_216:
	v_mov_b32_e32 v1, 0
	s_and_not1_b32 vcc_lo, exec_lo, s33
	s_delay_alu instid0(VALU_DEP_1) | instskip(NEXT) | instid1(VALU_DEP_1)
	v_mul_u64_e32 v[2:3], s[16:17], v[0:1]
	v_add_nc_u32_e32 v2, v0, v3
	s_delay_alu instid0(VALU_DEP_1) | instskip(NEXT) | instid1(VALU_DEP_1)
	v_lshrrev_b32_e32 v4, s10, v2
	v_mul_lo_u32 v2, v4, s8
	s_delay_alu instid0(VALU_DEP_1) | instskip(NEXT) | instid1(VALU_DEP_1)
	v_sub_nc_u32_e32 v2, v0, v2
	v_mul_lo_u32 v3, v2, s13
	v_mul_lo_u32 v2, v2, s12
	s_cbranch_vccnz .LBB205_218
; %bb.217:
	v_mov_b32_e32 v5, v1
	s_delay_alu instid0(VALU_DEP_1) | instskip(NEXT) | instid1(VALU_DEP_1)
	v_mul_u64_e32 v[6:7], s[18:19], v[4:5]
	v_add_nc_u32_e32 v1, v4, v7
	s_delay_alu instid0(VALU_DEP_1) | instskip(NEXT) | instid1(VALU_DEP_1)
	v_lshrrev_b32_e32 v1, s1, v1
	v_mul_lo_u32 v1, v1, s11
	s_delay_alu instid0(VALU_DEP_1) | instskip(NEXT) | instid1(VALU_DEP_1)
	v_sub_nc_u32_e32 v1, v4, v1
	v_mad_u32 v2, v1, s14, v2
	v_mad_u32 v3, v1, s15, v3
.LBB205_218:
	global_load_u16 v1, v3, s[6:7]
	v_add_nc_u32_e32 v0, 0x80, v0
	s_wait_loadcnt 0x0
	v_lshlrev_b32_e32 v1, 16, v1
	s_delay_alu instid0(VALU_DEP_1) | instskip(SKIP_4) | instid1(VALU_DEP_1)
	v_cmp_eq_f32_e32 vcc_lo, s9, v1
	s_wait_xcnt 0x0
	v_cndmask_b32_e64 v3, 0, 1, vcc_lo
	v_cmp_neq_f32_e32 vcc_lo, s9, v1
	v_cndmask_b32_e64 v1, 0, 1, vcc_lo
	v_cndmask_b32_e64 v1, v1, v3, s0
	s_delay_alu instid0(VALU_DEP_1) | instskip(SKIP_3) | instid1(SALU_CYCLE_1)
	v_and_b32_e32 v1, 1, v1
	global_store_b8 v2, v1, s[4:5]
	s_wait_xcnt 0x0
	s_or_b32 exec_lo, exec_lo, s37
	s_mov_b32 s37, exec_lo
	v_cmpx_gt_i32_e64 s34, v0
	s_cbranch_execnz .LBB205_204
.LBB205_219:
	s_or_b32 exec_lo, exec_lo, s37
	s_delay_alu instid0(SALU_CYCLE_1)
	s_mov_b32 s26, exec_lo
	v_cmpx_gt_i32_e64 s34, v0
	s_cbranch_execnz .LBB205_230
.LBB205_220:
	s_or_b32 exec_lo, exec_lo, s26
                                        ; implicit-def: $vgpr16
                                        ; implicit-def: $vgpr0
	s_and_not1_saveexec_b32 s0, s31
	s_cbranch_execnz .LBB205_8
.LBB205_221:
	s_endpgm
.LBB205_222:
	v_mov_b64_e32 v[2:3], 0
	v_mov_b32_e32 v1, v0
	s_mov_b32 s22, 0
.LBB205_223:
	s_and_b32 s26, s23, 3
	s_mov_b32 s23, 0
	s_cmp_eq_u32 s26, 0
	s_cbranch_scc1 .LBB205_226
; %bb.224:
	s_lshl_b32 s24, s22, 3
	s_mov_b32 s25, s23
	s_mul_u64 s[38:39], s[22:23], 12
	s_add_nc_u64 s[24:25], s[2:3], s[24:25]
	s_delay_alu instid0(SALU_CYCLE_1)
	s_add_nc_u64 s[22:23], s[24:25], 0xc4
	s_add_nc_u64 s[24:25], s[2:3], s[38:39]
.LBB205_225:                            ; =>This Inner Loop Header: Depth=1
	s_load_b96 s[40:42], s[24:25], 0x4
	s_load_b64 s[38:39], s[22:23], 0x0
	s_add_co_i32 s26, s26, -1
	s_wait_xcnt 0x0
	s_add_nc_u64 s[24:25], s[24:25], 12
	s_cmp_lg_u32 s26, 0
	s_add_nc_u64 s[22:23], s[22:23], 8
	s_wait_kmcnt 0x0
	v_mul_hi_u32 v4, s41, v1
	s_delay_alu instid0(VALU_DEP_1) | instskip(NEXT) | instid1(VALU_DEP_1)
	v_add_nc_u32_e32 v4, v1, v4
	v_lshrrev_b32_e32 v4, s42, v4
	s_delay_alu instid0(VALU_DEP_1) | instskip(NEXT) | instid1(VALU_DEP_1)
	v_mul_lo_u32 v5, v4, s40
	v_sub_nc_u32_e32 v1, v1, v5
	s_delay_alu instid0(VALU_DEP_1)
	v_mad_u32 v3, v1, s39, v3
	v_mad_u32 v2, v1, s38, v2
	v_mov_b32_e32 v1, v4
	s_cbranch_scc1 .LBB205_225
.LBB205_226:
	s_cbranch_execnz .LBB205_229
.LBB205_227:
	v_mov_b32_e32 v1, 0
	s_and_not1_b32 vcc_lo, exec_lo, s33
	s_delay_alu instid0(VALU_DEP_1) | instskip(NEXT) | instid1(VALU_DEP_1)
	v_mul_u64_e32 v[2:3], s[16:17], v[0:1]
	v_add_nc_u32_e32 v2, v0, v3
	s_delay_alu instid0(VALU_DEP_1) | instskip(NEXT) | instid1(VALU_DEP_1)
	v_lshrrev_b32_e32 v4, s10, v2
	v_mul_lo_u32 v2, v4, s8
	s_delay_alu instid0(VALU_DEP_1) | instskip(NEXT) | instid1(VALU_DEP_1)
	v_sub_nc_u32_e32 v2, v0, v2
	v_mul_lo_u32 v3, v2, s13
	v_mul_lo_u32 v2, v2, s12
	s_cbranch_vccnz .LBB205_229
; %bb.228:
	v_mov_b32_e32 v5, v1
	s_delay_alu instid0(VALU_DEP_1) | instskip(NEXT) | instid1(VALU_DEP_1)
	v_mul_u64_e32 v[6:7], s[18:19], v[4:5]
	v_add_nc_u32_e32 v1, v4, v7
	s_delay_alu instid0(VALU_DEP_1) | instskip(NEXT) | instid1(VALU_DEP_1)
	v_lshrrev_b32_e32 v1, s1, v1
	v_mul_lo_u32 v1, v1, s11
	s_delay_alu instid0(VALU_DEP_1) | instskip(NEXT) | instid1(VALU_DEP_1)
	v_sub_nc_u32_e32 v1, v4, v1
	v_mad_u32 v2, v1, s14, v2
	v_mad_u32 v3, v1, s15, v3
.LBB205_229:
	global_load_u16 v1, v3, s[6:7]
	v_add_nc_u32_e32 v0, 0x80, v0
	s_wait_loadcnt 0x0
	v_lshlrev_b32_e32 v1, 16, v1
	s_delay_alu instid0(VALU_DEP_1) | instskip(SKIP_4) | instid1(VALU_DEP_1)
	v_cmp_eq_f32_e32 vcc_lo, s9, v1
	s_wait_xcnt 0x0
	v_cndmask_b32_e64 v3, 0, 1, vcc_lo
	v_cmp_neq_f32_e32 vcc_lo, s9, v1
	v_cndmask_b32_e64 v1, 0, 1, vcc_lo
	v_cndmask_b32_e64 v1, v1, v3, s0
	s_delay_alu instid0(VALU_DEP_1) | instskip(SKIP_3) | instid1(SALU_CYCLE_1)
	v_and_b32_e32 v1, 1, v1
	global_store_b8 v2, v1, s[4:5]
	s_wait_xcnt 0x0
	s_or_b32 exec_lo, exec_lo, s37
	s_mov_b32 s26, exec_lo
	v_cmpx_gt_i32_e64 s34, v0
	s_cbranch_execz .LBB205_220
.LBB205_230:
	s_and_not1_b32 vcc_lo, exec_lo, s30
	s_cbranch_vccnz .LBB205_235
; %bb.231:
	s_and_not1_b32 vcc_lo, exec_lo, s36
	s_cbranch_vccnz .LBB205_236
; %bb.232:
	s_add_co_i32 s35, s35, 1
	s_cmp_eq_u32 s29, 2
	s_cbranch_scc1 .LBB205_237
; %bb.233:
	v_dual_mov_b32 v2, 0 :: v_dual_mov_b32 v3, 0
	v_mov_b32_e32 v1, v0
	s_and_b32 s22, s35, 28
	s_mov_b32 s23, 0
	s_mov_b64 s[24:25], s[2:3]
.LBB205_234:                            ; =>This Inner Loop Header: Depth=1
	s_clause 0x1
	s_load_b256 s[36:43], s[24:25], 0x4
	s_load_b128 s[52:55], s[24:25], 0x24
	s_load_b256 s[44:51], s[20:21], 0x0
	s_add_co_i32 s23, s23, 4
	s_wait_xcnt 0x0
	s_add_nc_u64 s[24:25], s[24:25], 48
	s_cmp_eq_u32 s22, s23
	s_add_nc_u64 s[20:21], s[20:21], 32
	s_wait_kmcnt 0x0
	v_mul_hi_u32 v4, s37, v1
	s_delay_alu instid0(VALU_DEP_1) | instskip(NEXT) | instid1(VALU_DEP_1)
	v_add_nc_u32_e32 v4, v1, v4
	v_lshrrev_b32_e32 v4, s38, v4
	s_delay_alu instid0(VALU_DEP_1) | instskip(NEXT) | instid1(VALU_DEP_1)
	v_mul_hi_u32 v5, s40, v4
	v_add_nc_u32_e32 v5, v4, v5
	s_delay_alu instid0(VALU_DEP_1) | instskip(NEXT) | instid1(VALU_DEP_1)
	v_lshrrev_b32_e32 v5, s41, v5
	v_mul_hi_u32 v6, s43, v5
	s_delay_alu instid0(VALU_DEP_1) | instskip(SKIP_1) | instid1(VALU_DEP_1)
	v_add_nc_u32_e32 v6, v5, v6
	v_mul_lo_u32 v7, v4, s36
	v_sub_nc_u32_e32 v1, v1, v7
	v_mul_lo_u32 v7, v5, s39
	s_delay_alu instid0(VALU_DEP_4) | instskip(NEXT) | instid1(VALU_DEP_3)
	v_lshrrev_b32_e32 v6, s52, v6
	v_mad_u32 v3, v1, s45, v3
	v_mad_u32 v1, v1, s44, v2
	s_delay_alu instid0(VALU_DEP_4) | instskip(NEXT) | instid1(VALU_DEP_4)
	v_sub_nc_u32_e32 v2, v4, v7
	v_mul_hi_u32 v8, s54, v6
	v_mul_lo_u32 v4, v6, s42
	s_delay_alu instid0(VALU_DEP_3) | instskip(SKIP_1) | instid1(VALU_DEP_4)
	v_mad_u32 v3, v2, s47, v3
	v_mad_u32 v2, v2, s46, v1
	v_add_nc_u32_e32 v7, v6, v8
	s_delay_alu instid0(VALU_DEP_1) | instskip(NEXT) | instid1(VALU_DEP_1)
	v_dual_sub_nc_u32 v4, v5, v4 :: v_dual_lshrrev_b32 v1, s55, v7
	v_mad_u32 v3, v4, s49, v3
	s_delay_alu instid0(VALU_DEP_4) | instskip(NEXT) | instid1(VALU_DEP_3)
	v_mad_u32 v2, v4, s48, v2
	v_mul_lo_u32 v5, v1, s53
	s_delay_alu instid0(VALU_DEP_1) | instskip(NEXT) | instid1(VALU_DEP_1)
	v_sub_nc_u32_e32 v4, v6, v5
	v_mad_u32 v3, v4, s51, v3
	s_delay_alu instid0(VALU_DEP_4)
	v_mad_u32 v2, v4, s50, v2
	s_cbranch_scc0 .LBB205_234
	s_branch .LBB205_238
.LBB205_235:
                                        ; implicit-def: $vgpr3
	s_branch .LBB205_242
.LBB205_236:
	v_dual_mov_b32 v3, 0 :: v_dual_mov_b32 v2, 0
	s_branch .LBB205_241
.LBB205_237:
	v_mov_b64_e32 v[2:3], 0
	v_mov_b32_e32 v1, v0
	s_mov_b32 s22, 0
.LBB205_238:
	s_and_b32 s24, s35, 3
	s_mov_b32 s23, 0
	s_cmp_eq_u32 s24, 0
	s_cbranch_scc1 .LBB205_241
; %bb.239:
	s_lshl_b32 s20, s22, 3
	s_mov_b32 s21, s23
	s_mul_u64 s[22:23], s[22:23], 12
	s_add_nc_u64 s[20:21], s[2:3], s[20:21]
	s_add_nc_u64 s[22:23], s[2:3], s[22:23]
	;; [unrolled: 1-line block ×3, first 2 shown]
.LBB205_240:                            ; =>This Inner Loop Header: Depth=1
	s_load_b96 s[36:38], s[22:23], 0x4
	s_load_b64 s[34:35], s[20:21], 0x0
	s_add_co_i32 s24, s24, -1
	s_wait_xcnt 0x0
	s_add_nc_u64 s[22:23], s[22:23], 12
	s_cmp_lg_u32 s24, 0
	s_add_nc_u64 s[20:21], s[20:21], 8
	s_wait_kmcnt 0x0
	v_mul_hi_u32 v4, s37, v1
	s_delay_alu instid0(VALU_DEP_1) | instskip(NEXT) | instid1(VALU_DEP_1)
	v_add_nc_u32_e32 v4, v1, v4
	v_lshrrev_b32_e32 v4, s38, v4
	s_delay_alu instid0(VALU_DEP_1) | instskip(NEXT) | instid1(VALU_DEP_1)
	v_mul_lo_u32 v5, v4, s36
	v_sub_nc_u32_e32 v1, v1, v5
	s_delay_alu instid0(VALU_DEP_1)
	v_mad_u32 v3, v1, s35, v3
	v_mad_u32 v2, v1, s34, v2
	v_mov_b32_e32 v1, v4
	s_cbranch_scc1 .LBB205_240
.LBB205_241:
	s_cbranch_execnz .LBB205_244
.LBB205_242:
	v_mov_b32_e32 v1, 0
	s_and_not1_b32 vcc_lo, exec_lo, s33
	s_delay_alu instid0(VALU_DEP_1) | instskip(NEXT) | instid1(VALU_DEP_1)
	v_mul_u64_e32 v[2:3], s[16:17], v[0:1]
	v_add_nc_u32_e32 v2, v0, v3
	s_delay_alu instid0(VALU_DEP_1) | instskip(NEXT) | instid1(VALU_DEP_1)
	v_lshrrev_b32_e32 v4, s10, v2
	v_mul_lo_u32 v2, v4, s8
	s_delay_alu instid0(VALU_DEP_1) | instskip(NEXT) | instid1(VALU_DEP_1)
	v_sub_nc_u32_e32 v0, v0, v2
	v_mul_lo_u32 v3, v0, s13
	v_mul_lo_u32 v2, v0, s12
	s_cbranch_vccnz .LBB205_244
; %bb.243:
	v_mov_b32_e32 v5, v1
	s_delay_alu instid0(VALU_DEP_1) | instskip(NEXT) | instid1(VALU_DEP_1)
	v_mul_u64_e32 v[0:1], s[18:19], v[4:5]
	v_add_nc_u32_e32 v0, v4, v1
	s_delay_alu instid0(VALU_DEP_1) | instskip(NEXT) | instid1(VALU_DEP_1)
	v_lshrrev_b32_e32 v0, s1, v0
	v_mul_lo_u32 v0, v0, s11
	s_delay_alu instid0(VALU_DEP_1) | instskip(NEXT) | instid1(VALU_DEP_1)
	v_sub_nc_u32_e32 v0, v4, v0
	v_mad_u32 v2, v0, s14, v2
	v_mad_u32 v3, v0, s15, v3
.LBB205_244:
	global_load_u16 v0, v3, s[6:7]
	s_wait_loadcnt 0x0
	v_lshlrev_b32_e32 v0, 16, v0
	s_delay_alu instid0(VALU_DEP_1) | instskip(SKIP_3) | instid1(VALU_DEP_1)
	v_cmp_eq_f32_e32 vcc_lo, s9, v0
	v_cndmask_b32_e64 v1, 0, 1, vcc_lo
	v_cmp_neq_f32_e32 vcc_lo, s9, v0
	v_cndmask_b32_e64 v0, 0, 1, vcc_lo
	v_cndmask_b32_e64 v0, v0, v1, s0
	s_delay_alu instid0(VALU_DEP_1)
	v_and_b32_e32 v0, 1, v0
	global_store_b8 v2, v0, s[4:5]
	s_wait_xcnt 0x0
	s_or_b32 exec_lo, exec_lo, s26
                                        ; implicit-def: $vgpr16
                                        ; implicit-def: $vgpr0
	s_and_not1_saveexec_b32 s0, s31
	s_cbranch_execz .LBB205_221
	s_branch .LBB205_8
	.section	.rodata,"a",@progbits
	.p2align	6, 0x0
	.amdhsa_kernel _ZN2at6native32elementwise_kernel_manual_unrollILi128ELi8EZNS0_22gpu_kernel_impl_nocastINS0_13AUnaryFunctorIN3c108BFloat16ES5_bNS0_12_GLOBAL__N_116CompareEqFunctorIS5_EEEEEEvRNS_18TensorIteratorBaseERKT_EUlibE_EEviT1_
		.amdhsa_group_segment_fixed_size 0
		.amdhsa_private_segment_fixed_size 0
		.amdhsa_kernarg_size 360
		.amdhsa_user_sgpr_count 2
		.amdhsa_user_sgpr_dispatch_ptr 0
		.amdhsa_user_sgpr_queue_ptr 0
		.amdhsa_user_sgpr_kernarg_segment_ptr 1
		.amdhsa_user_sgpr_dispatch_id 0
		.amdhsa_user_sgpr_kernarg_preload_length 0
		.amdhsa_user_sgpr_kernarg_preload_offset 0
		.amdhsa_user_sgpr_private_segment_size 0
		.amdhsa_wavefront_size32 1
		.amdhsa_uses_dynamic_stack 0
		.amdhsa_enable_private_segment 0
		.amdhsa_system_sgpr_workgroup_id_x 1
		.amdhsa_system_sgpr_workgroup_id_y 0
		.amdhsa_system_sgpr_workgroup_id_z 0
		.amdhsa_system_sgpr_workgroup_info 0
		.amdhsa_system_vgpr_workitem_id 0
		.amdhsa_next_free_vgpr 24
		.amdhsa_next_free_sgpr 60
		.amdhsa_named_barrier_count 0
		.amdhsa_reserve_vcc 1
		.amdhsa_float_round_mode_32 0
		.amdhsa_float_round_mode_16_64 0
		.amdhsa_float_denorm_mode_32 3
		.amdhsa_float_denorm_mode_16_64 3
		.amdhsa_fp16_overflow 0
		.amdhsa_memory_ordered 1
		.amdhsa_forward_progress 1
		.amdhsa_inst_pref_size 103
		.amdhsa_round_robin_scheduling 0
		.amdhsa_exception_fp_ieee_invalid_op 0
		.amdhsa_exception_fp_denorm_src 0
		.amdhsa_exception_fp_ieee_div_zero 0
		.amdhsa_exception_fp_ieee_overflow 0
		.amdhsa_exception_fp_ieee_underflow 0
		.amdhsa_exception_fp_ieee_inexact 0
		.amdhsa_exception_int_div_zero 0
	.end_amdhsa_kernel
	.section	.text._ZN2at6native32elementwise_kernel_manual_unrollILi128ELi8EZNS0_22gpu_kernel_impl_nocastINS0_13AUnaryFunctorIN3c108BFloat16ES5_bNS0_12_GLOBAL__N_116CompareEqFunctorIS5_EEEEEEvRNS_18TensorIteratorBaseERKT_EUlibE_EEviT1_,"axG",@progbits,_ZN2at6native32elementwise_kernel_manual_unrollILi128ELi8EZNS0_22gpu_kernel_impl_nocastINS0_13AUnaryFunctorIN3c108BFloat16ES5_bNS0_12_GLOBAL__N_116CompareEqFunctorIS5_EEEEEEvRNS_18TensorIteratorBaseERKT_EUlibE_EEviT1_,comdat
.Lfunc_end205:
	.size	_ZN2at6native32elementwise_kernel_manual_unrollILi128ELi8EZNS0_22gpu_kernel_impl_nocastINS0_13AUnaryFunctorIN3c108BFloat16ES5_bNS0_12_GLOBAL__N_116CompareEqFunctorIS5_EEEEEEvRNS_18TensorIteratorBaseERKT_EUlibE_EEviT1_, .Lfunc_end205-_ZN2at6native32elementwise_kernel_manual_unrollILi128ELi8EZNS0_22gpu_kernel_impl_nocastINS0_13AUnaryFunctorIN3c108BFloat16ES5_bNS0_12_GLOBAL__N_116CompareEqFunctorIS5_EEEEEEvRNS_18TensorIteratorBaseERKT_EUlibE_EEviT1_
                                        ; -- End function
	.set _ZN2at6native32elementwise_kernel_manual_unrollILi128ELi8EZNS0_22gpu_kernel_impl_nocastINS0_13AUnaryFunctorIN3c108BFloat16ES5_bNS0_12_GLOBAL__N_116CompareEqFunctorIS5_EEEEEEvRNS_18TensorIteratorBaseERKT_EUlibE_EEviT1_.num_vgpr, 24
	.set _ZN2at6native32elementwise_kernel_manual_unrollILi128ELi8EZNS0_22gpu_kernel_impl_nocastINS0_13AUnaryFunctorIN3c108BFloat16ES5_bNS0_12_GLOBAL__N_116CompareEqFunctorIS5_EEEEEEvRNS_18TensorIteratorBaseERKT_EUlibE_EEviT1_.num_agpr, 0
	.set _ZN2at6native32elementwise_kernel_manual_unrollILi128ELi8EZNS0_22gpu_kernel_impl_nocastINS0_13AUnaryFunctorIN3c108BFloat16ES5_bNS0_12_GLOBAL__N_116CompareEqFunctorIS5_EEEEEEvRNS_18TensorIteratorBaseERKT_EUlibE_EEviT1_.numbered_sgpr, 60
	.set _ZN2at6native32elementwise_kernel_manual_unrollILi128ELi8EZNS0_22gpu_kernel_impl_nocastINS0_13AUnaryFunctorIN3c108BFloat16ES5_bNS0_12_GLOBAL__N_116CompareEqFunctorIS5_EEEEEEvRNS_18TensorIteratorBaseERKT_EUlibE_EEviT1_.num_named_barrier, 0
	.set _ZN2at6native32elementwise_kernel_manual_unrollILi128ELi8EZNS0_22gpu_kernel_impl_nocastINS0_13AUnaryFunctorIN3c108BFloat16ES5_bNS0_12_GLOBAL__N_116CompareEqFunctorIS5_EEEEEEvRNS_18TensorIteratorBaseERKT_EUlibE_EEviT1_.private_seg_size, 0
	.set _ZN2at6native32elementwise_kernel_manual_unrollILi128ELi8EZNS0_22gpu_kernel_impl_nocastINS0_13AUnaryFunctorIN3c108BFloat16ES5_bNS0_12_GLOBAL__N_116CompareEqFunctorIS5_EEEEEEvRNS_18TensorIteratorBaseERKT_EUlibE_EEviT1_.uses_vcc, 1
	.set _ZN2at6native32elementwise_kernel_manual_unrollILi128ELi8EZNS0_22gpu_kernel_impl_nocastINS0_13AUnaryFunctorIN3c108BFloat16ES5_bNS0_12_GLOBAL__N_116CompareEqFunctorIS5_EEEEEEvRNS_18TensorIteratorBaseERKT_EUlibE_EEviT1_.uses_flat_scratch, 0
	.set _ZN2at6native32elementwise_kernel_manual_unrollILi128ELi8EZNS0_22gpu_kernel_impl_nocastINS0_13AUnaryFunctorIN3c108BFloat16ES5_bNS0_12_GLOBAL__N_116CompareEqFunctorIS5_EEEEEEvRNS_18TensorIteratorBaseERKT_EUlibE_EEviT1_.has_dyn_sized_stack, 0
	.set _ZN2at6native32elementwise_kernel_manual_unrollILi128ELi8EZNS0_22gpu_kernel_impl_nocastINS0_13AUnaryFunctorIN3c108BFloat16ES5_bNS0_12_GLOBAL__N_116CompareEqFunctorIS5_EEEEEEvRNS_18TensorIteratorBaseERKT_EUlibE_EEviT1_.has_recursion, 0
	.set _ZN2at6native32elementwise_kernel_manual_unrollILi128ELi8EZNS0_22gpu_kernel_impl_nocastINS0_13AUnaryFunctorIN3c108BFloat16ES5_bNS0_12_GLOBAL__N_116CompareEqFunctorIS5_EEEEEEvRNS_18TensorIteratorBaseERKT_EUlibE_EEviT1_.has_indirect_call, 0
	.section	.AMDGPU.csdata,"",@progbits
; Kernel info:
; codeLenInByte = 13068
; TotalNumSgprs: 62
; NumVgprs: 24
; ScratchSize: 0
; MemoryBound: 0
; FloatMode: 240
; IeeeMode: 1
; LDSByteSize: 0 bytes/workgroup (compile time only)
; SGPRBlocks: 0
; VGPRBlocks: 1
; NumSGPRsForWavesPerEU: 62
; NumVGPRsForWavesPerEU: 24
; NamedBarCnt: 0
; Occupancy: 16
; WaveLimiterHint : 1
; COMPUTE_PGM_RSRC2:SCRATCH_EN: 0
; COMPUTE_PGM_RSRC2:USER_SGPR: 2
; COMPUTE_PGM_RSRC2:TRAP_HANDLER: 0
; COMPUTE_PGM_RSRC2:TGID_X_EN: 1
; COMPUTE_PGM_RSRC2:TGID_Y_EN: 0
; COMPUTE_PGM_RSRC2:TGID_Z_EN: 0
; COMPUTE_PGM_RSRC2:TIDIG_COMP_CNT: 0
	.section	.text._ZN2at6native32elementwise_kernel_manual_unrollILi128ELi4EZNS0_15gpu_kernel_implINS0_13AUnaryFunctorIN3c108BFloat16ES5_bNS0_12_GLOBAL__N_116CompareEqFunctorIS5_EEEEEEvRNS_18TensorIteratorBaseERKT_EUlibE_EEviT1_,"axG",@progbits,_ZN2at6native32elementwise_kernel_manual_unrollILi128ELi4EZNS0_15gpu_kernel_implINS0_13AUnaryFunctorIN3c108BFloat16ES5_bNS0_12_GLOBAL__N_116CompareEqFunctorIS5_EEEEEEvRNS_18TensorIteratorBaseERKT_EUlibE_EEviT1_,comdat
	.globl	_ZN2at6native32elementwise_kernel_manual_unrollILi128ELi4EZNS0_15gpu_kernel_implINS0_13AUnaryFunctorIN3c108BFloat16ES5_bNS0_12_GLOBAL__N_116CompareEqFunctorIS5_EEEEEEvRNS_18TensorIteratorBaseERKT_EUlibE_EEviT1_ ; -- Begin function _ZN2at6native32elementwise_kernel_manual_unrollILi128ELi4EZNS0_15gpu_kernel_implINS0_13AUnaryFunctorIN3c108BFloat16ES5_bNS0_12_GLOBAL__N_116CompareEqFunctorIS5_EEEEEEvRNS_18TensorIteratorBaseERKT_EUlibE_EEviT1_
	.p2align	8
	.type	_ZN2at6native32elementwise_kernel_manual_unrollILi128ELi4EZNS0_15gpu_kernel_implINS0_13AUnaryFunctorIN3c108BFloat16ES5_bNS0_12_GLOBAL__N_116CompareEqFunctorIS5_EEEEEEvRNS_18TensorIteratorBaseERKT_EUlibE_EEviT1_,@function
_ZN2at6native32elementwise_kernel_manual_unrollILi128ELi4EZNS0_15gpu_kernel_implINS0_13AUnaryFunctorIN3c108BFloat16ES5_bNS0_12_GLOBAL__N_116CompareEqFunctorIS5_EEEEEEvRNS_18TensorIteratorBaseERKT_EUlibE_EEviT1_: ; @_ZN2at6native32elementwise_kernel_manual_unrollILi128ELi4EZNS0_15gpu_kernel_implINS0_13AUnaryFunctorIN3c108BFloat16ES5_bNS0_12_GLOBAL__N_116CompareEqFunctorIS5_EEEEEEvRNS_18TensorIteratorBaseERKT_EUlibE_EEviT1_
; %bb.0:
	s_clause 0x1
	s_load_b256 s[4:11], s[0:1], 0x8
	s_load_b32 s3, s[0:1], 0x28
	s_bfe_u32 s12, ttmp6, 0x4000c
	s_load_b32 s16, s[0:1], 0x0
	s_add_co_i32 s12, s12, 1
	s_and_b32 s2, ttmp6, 15
	s_wait_xcnt 0x0
	s_mul_i32 s1, ttmp9, s12
	s_getreg_b32 s0, hwreg(HW_REG_IB_STS2, 6, 4)
	s_add_co_i32 s2, s2, s1
	s_mov_b32 s12, 0
	s_mov_b32 s15, 0
	s_wait_kmcnt 0x0
	s_and_b32 s11, s11, 0xffff
	s_bfe_u32 s13, s3, 0x80008
	s_cmp_eq_u32 s0, 0
	s_cselect_b32 s0, ttmp9, s2
	s_delay_alu instid0(SALU_CYCLE_1) | instskip(SKIP_1) | instid1(VALU_DEP_1)
	v_lshl_or_b32 v4, s0, 9, v0
	s_mov_b32 s0, exec_lo
	v_or_b32_e32 v0, 0x180, v4
	s_delay_alu instid0(VALU_DEP_1)
	v_cmpx_le_i32_e64 s16, v0
	s_xor_b32 s14, exec_lo, s0
	s_cbranch_execz .LBB206_1031
; %bb.1:
	s_cmp_eq_u32 s10, 0
	s_mov_b32 s20, 0
	s_cselect_b32 s0, -1, 0
	s_lshl_b32 s15, s11, 16
	s_mov_b32 s1, -1
	s_mov_b32 s18, 0
	s_mov_b32 s17, 0
	s_mov_b32 s19, exec_lo
	v_cmpx_gt_i32_e64 s16, v4
	s_cbranch_execz .LBB206_252
; %bb.2:
	v_mul_lo_u32 v0, v4, s9
	s_and_b32 s1, 0xffff, s13
	s_delay_alu instid0(SALU_CYCLE_1) | instskip(NEXT) | instid1(VALU_DEP_1)
	s_cmp_lt_i32 s1, 11
	v_ashrrev_i32_e32 v1, 31, v0
	s_delay_alu instid0(VALU_DEP_1)
	v_add_nc_u64_e32 v[0:1], s[6:7], v[0:1]
	s_cbranch_scc1 .LBB206_9
; %bb.3:
	s_cmp_gt_i32 s1, 25
	s_cbranch_scc0 .LBB206_18
; %bb.4:
	s_cmp_gt_i32 s1, 28
	s_cbranch_scc0 .LBB206_21
	;; [unrolled: 3-line block ×4, first 2 shown]
; %bb.7:
	s_cmp_eq_u32 s1, 46
	s_cbranch_scc0 .LBB206_27
; %bb.8:
	global_load_b32 v2, v[0:1], off
	s_mov_b32 s2, -1
	s_branch .LBB206_29
.LBB206_9:
	s_mov_b32 s2, 0
                                        ; implicit-def: $vgpr2
	s_cbranch_execnz .LBB206_202
.LBB206_10:
	s_and_not1_b32 vcc_lo, exec_lo, s2
	s_cbranch_vccnz .LBB206_249
.LBB206_11:
	s_wait_loadcnt 0x0
	s_delay_alu instid0(VALU_DEP_1) | instskip(SKIP_2) | instid1(SALU_CYCLE_1)
	v_lshlrev_b32_e32 v1, 16, v2
	v_mul_lo_u32 v0, v4, s8
	s_and_b32 s17, s3, 0xff
	s_cmp_lt_i32 s17, 11
	s_delay_alu instid0(VALU_DEP_2) | instskip(SKIP_3) | instid1(VALU_DEP_1)
	v_cmp_eq_f32_e32 vcc_lo, s15, v1
	v_cndmask_b32_e64 v2, 0, 1, vcc_lo
	v_cmp_neq_f32_e32 vcc_lo, s15, v1
	v_cndmask_b32_e64 v1, 0, 1, vcc_lo
	v_dual_cndmask_b32 v2, v1, v2, s0 :: v_dual_ashrrev_i32 v1, 31, v0
	s_delay_alu instid0(VALU_DEP_1) | instskip(NEXT) | instid1(VALU_DEP_2)
	v_and_b32_e32 v2, 1, v2
	v_add_nc_u64_e32 v[0:1], s[4:5], v[0:1]
	s_delay_alu instid0(VALU_DEP_2)
	v_cmp_eq_u32_e64 s1, 1, v2
	s_cbranch_scc1 .LBB206_19
; %bb.12:
	s_and_b32 s21, 0xffff, s17
	s_delay_alu instid0(SALU_CYCLE_1)
	s_cmp_gt_i32 s21, 25
	s_cbranch_scc0 .LBB206_22
; %bb.13:
	s_cmp_gt_i32 s21, 28
	s_cbranch_scc0 .LBB206_24
; %bb.14:
	;; [unrolled: 3-line block ×4, first 2 shown]
	s_mov_b32 s23, 0
	s_mov_b32 s2, -1
	s_cmp_eq_u32 s21, 46
	s_mov_b32 s22, 0
	s_cbranch_scc0 .LBB206_33
; %bb.17:
	v_cndmask_b32_e64 v2, 0, 1.0, s1
	s_mov_b32 s22, -1
	s_mov_b32 s2, 0
	s_delay_alu instid0(VALU_DEP_1) | instskip(NEXT) | instid1(VALU_DEP_1)
	v_bfe_u32 v3, v2, 16, 1
	v_add3_u32 v2, v2, v3, 0x7fff
	s_delay_alu instid0(VALU_DEP_1)
	v_lshrrev_b32_e32 v2, 16, v2
	global_store_b32 v[0:1], v2, off
	s_branch .LBB206_33
.LBB206_18:
	s_mov_b32 s2, 0
                                        ; implicit-def: $vgpr2
	s_cbranch_execnz .LBB206_167
	s_branch .LBB206_201
.LBB206_19:
	s_mov_b32 s2, 0
	s_mov_b32 s22, 0
	s_cbranch_execnz .LBB206_102
.LBB206_20:
	s_and_not1_b32 vcc_lo, exec_lo, s22
	s_cbranch_vccnz .LBB206_250
	s_branch .LBB206_140
.LBB206_21:
	s_mov_b32 s17, -1
	s_mov_b32 s2, 0
                                        ; implicit-def: $vgpr2
	s_branch .LBB206_148
.LBB206_22:
	s_mov_b32 s23, -1
	s_mov_b32 s2, 0
	s_mov_b32 s22, 0
	s_branch .LBB206_60
.LBB206_23:
	s_mov_b32 s17, -1
	s_mov_b32 s2, 0
                                        ; implicit-def: $vgpr2
	s_branch .LBB206_143
.LBB206_24:
	s_mov_b32 s23, -1
	s_mov_b32 s2, 0
	s_mov_b32 s22, 0
	s_branch .LBB206_43
.LBB206_25:
	s_mov_b32 s17, -1
	s_branch .LBB206_28
.LBB206_26:
	s_mov_b32 s23, -1
	s_mov_b32 s2, 0
	s_mov_b32 s22, 0
	s_branch .LBB206_39
.LBB206_27:
	s_mov_b32 s18, -1
.LBB206_28:
	s_mov_b32 s2, 0
                                        ; implicit-def: $vgpr2
.LBB206_29:
	s_and_b32 vcc_lo, exec_lo, s17
	s_cbranch_vccz .LBB206_142
; %bb.30:
	s_cmp_eq_u32 s1, 44
	s_cbranch_scc0 .LBB206_141
; %bb.31:
	s_wait_loadcnt 0x0
	global_load_u8 v2, v[0:1], off
	s_mov_b32 s18, 0
	s_mov_b32 s2, -1
	s_wait_loadcnt 0x0
	v_lshlrev_b32_e32 v3, 23, v2
	v_cmp_ne_u32_e32 vcc_lo, 0xff, v2
	s_delay_alu instid0(VALU_DEP_2) | instskip(SKIP_1) | instid1(VALU_DEP_2)
	v_cndmask_b32_e32 v3, 0x7f800001, v3, vcc_lo
	v_cmp_ne_u32_e32 vcc_lo, 0, v2
	v_cndmask_b32_e32 v2, 0x400000, v3, vcc_lo
	s_delay_alu instid0(VALU_DEP_1) | instskip(NEXT) | instid1(VALU_DEP_1)
	v_add_nc_u32_e32 v3, 0x7fff, v2
	v_lshrrev_b32_e32 v3, 16, v3
	v_cmp_o_f32_e32 vcc_lo, v2, v2
	s_delay_alu instid0(VALU_DEP_2)
	v_cndmask_b32_e32 v2, 0x7fc0, v3, vcc_lo
	s_branch .LBB206_142
.LBB206_32:
	s_mov_b32 s23, -1
	s_mov_b32 s2, 0
	s_mov_b32 s22, 0
.LBB206_33:
	s_and_b32 vcc_lo, exec_lo, s23
	s_cbranch_vccz .LBB206_38
; %bb.34:
	s_cmp_eq_u32 s21, 44
	s_mov_b32 s2, -1
	s_cbranch_scc0 .LBB206_38
; %bb.35:
	v_cndmask_b32_e64 v5, 0, 1.0, s1
	s_mov_b32 s22, exec_lo
	s_wait_xcnt 0x0
	s_delay_alu instid0(VALU_DEP_1) | instskip(NEXT) | instid1(VALU_DEP_1)
	v_dual_mov_b32 v3, 0xff :: v_dual_lshrrev_b32 v2, 23, v5
	v_cmpx_ne_u32_e32 0xff, v2
; %bb.36:
	v_and_b32_e32 v3, 0x400000, v5
	v_and_or_b32 v5, 0x3fffff, v5, v2
	s_delay_alu instid0(VALU_DEP_2) | instskip(NEXT) | instid1(VALU_DEP_2)
	v_cmp_ne_u32_e32 vcc_lo, 0, v3
	v_cmp_ne_u32_e64 s2, 0, v5
	s_and_b32 s2, vcc_lo, s2
	s_delay_alu instid0(SALU_CYCLE_1) | instskip(NEXT) | instid1(VALU_DEP_1)
	v_cndmask_b32_e64 v3, 0, 1, s2
	v_add_nc_u32_e32 v3, v2, v3
; %bb.37:
	s_or_b32 exec_lo, exec_lo, s22
	s_mov_b32 s22, -1
	s_mov_b32 s2, 0
	global_store_b8 v[0:1], v3, off
.LBB206_38:
	s_mov_b32 s23, 0
.LBB206_39:
	s_delay_alu instid0(SALU_CYCLE_1)
	s_and_b32 vcc_lo, exec_lo, s23
	s_cbranch_vccz .LBB206_42
; %bb.40:
	s_cmp_eq_u32 s21, 29
	s_mov_b32 s2, -1
	s_cbranch_scc0 .LBB206_42
; %bb.41:
	s_mov_b32 s2, 0
	s_wait_xcnt 0x0
	v_cndmask_b32_e64 v2, 0, 1, s1
	v_mov_b32_e32 v3, s2
	s_mov_b32 s22, -1
	s_mov_b32 s23, 0
	global_store_b64 v[0:1], v[2:3], off
	s_branch .LBB206_43
.LBB206_42:
	s_mov_b32 s23, 0
.LBB206_43:
	s_delay_alu instid0(SALU_CYCLE_1)
	s_and_b32 vcc_lo, exec_lo, s23
	s_cbranch_vccz .LBB206_59
; %bb.44:
	s_cmp_lt_i32 s21, 27
	s_mov_b32 s22, -1
	s_cbranch_scc1 .LBB206_50
; %bb.45:
	s_cmp_gt_i32 s21, 27
	s_cbranch_scc0 .LBB206_47
; %bb.46:
	s_wait_xcnt 0x0
	v_cndmask_b32_e64 v2, 0, 1, s1
	s_mov_b32 s22, 0
	global_store_b32 v[0:1], v2, off
.LBB206_47:
	s_and_not1_b32 vcc_lo, exec_lo, s22
	s_cbranch_vccnz .LBB206_49
; %bb.48:
	s_wait_xcnt 0x0
	v_cndmask_b32_e64 v2, 0, 1, s1
	global_store_b16 v[0:1], v2, off
.LBB206_49:
	s_mov_b32 s22, 0
.LBB206_50:
	s_delay_alu instid0(SALU_CYCLE_1)
	s_and_not1_b32 vcc_lo, exec_lo, s22
	s_cbranch_vccnz .LBB206_58
; %bb.51:
	s_wait_xcnt 0x0
	v_cndmask_b32_e64 v3, 0, 1.0, s1
	v_mov_b32_e32 v5, 0x80
	s_mov_b32 s22, exec_lo
	s_delay_alu instid0(VALU_DEP_2)
	v_cmpx_gt_u32_e32 0x43800000, v3
	s_cbranch_execz .LBB206_57
; %bb.52:
	s_mov_b32 s23, 0
	s_mov_b32 s24, exec_lo
                                        ; implicit-def: $vgpr2
	v_cmpx_lt_u32_e32 0x3bffffff, v3
	s_xor_b32 s24, exec_lo, s24
	s_cbranch_execz .LBB206_279
; %bb.53:
	v_bfe_u32 v2, v3, 20, 1
	s_mov_b32 s23, exec_lo
	s_delay_alu instid0(VALU_DEP_1) | instskip(NEXT) | instid1(VALU_DEP_1)
	v_add3_u32 v2, v3, v2, 0x487ffff
                                        ; implicit-def: $vgpr3
	v_lshrrev_b32_e32 v2, 20, v2
	s_and_not1_saveexec_b32 s24, s24
	s_cbranch_execnz .LBB206_280
.LBB206_54:
	s_or_b32 exec_lo, exec_lo, s24
	v_mov_b32_e32 v5, 0
	s_and_saveexec_b32 s24, s23
.LBB206_55:
	v_mov_b32_e32 v5, v2
.LBB206_56:
	s_or_b32 exec_lo, exec_lo, s24
.LBB206_57:
	s_delay_alu instid0(SALU_CYCLE_1)
	s_or_b32 exec_lo, exec_lo, s22
	global_store_b8 v[0:1], v5, off
.LBB206_58:
	s_mov_b32 s22, -1
.LBB206_59:
	s_mov_b32 s23, 0
.LBB206_60:
	s_delay_alu instid0(SALU_CYCLE_1)
	s_and_b32 vcc_lo, exec_lo, s23
	s_cbranch_vccz .LBB206_101
; %bb.61:
	s_cmp_gt_i32 s21, 22
	s_mov_b32 s23, -1
	s_cbranch_scc0 .LBB206_93
; %bb.62:
	s_cmp_lt_i32 s21, 24
	s_mov_b32 s22, -1
	s_cbranch_scc1 .LBB206_82
; %bb.63:
	s_cmp_gt_i32 s21, 24
	s_cbranch_scc0 .LBB206_71
; %bb.64:
	s_wait_xcnt 0x0
	v_cndmask_b32_e64 v3, 0, 1.0, s1
	v_mov_b32_e32 v5, 0x80
	s_mov_b32 s22, exec_lo
	s_delay_alu instid0(VALU_DEP_2)
	v_cmpx_gt_u32_e32 0x47800000, v3
	s_cbranch_execz .LBB206_70
; %bb.65:
	s_mov_b32 s23, 0
	s_mov_b32 s24, exec_lo
                                        ; implicit-def: $vgpr2
	v_cmpx_lt_u32_e32 0x37ffffff, v3
	s_xor_b32 s24, exec_lo, s24
	s_cbranch_execz .LBB206_283
; %bb.66:
	v_bfe_u32 v2, v3, 21, 1
	s_mov_b32 s23, exec_lo
	s_delay_alu instid0(VALU_DEP_1) | instskip(NEXT) | instid1(VALU_DEP_1)
	v_add3_u32 v2, v3, v2, 0x88fffff
                                        ; implicit-def: $vgpr3
	v_lshrrev_b32_e32 v2, 21, v2
	s_and_not1_saveexec_b32 s24, s24
	s_cbranch_execnz .LBB206_284
.LBB206_67:
	s_or_b32 exec_lo, exec_lo, s24
	v_mov_b32_e32 v5, 0
	s_and_saveexec_b32 s24, s23
.LBB206_68:
	v_mov_b32_e32 v5, v2
.LBB206_69:
	s_or_b32 exec_lo, exec_lo, s24
.LBB206_70:
	s_delay_alu instid0(SALU_CYCLE_1)
	s_or_b32 exec_lo, exec_lo, s22
	s_mov_b32 s22, 0
	global_store_b8 v[0:1], v5, off
.LBB206_71:
	s_and_b32 vcc_lo, exec_lo, s22
	s_cbranch_vccz .LBB206_81
; %bb.72:
	s_wait_xcnt 0x0
	v_cndmask_b32_e64 v3, 0, 1.0, s1
	s_mov_b32 s22, exec_lo
                                        ; implicit-def: $vgpr2
	s_delay_alu instid0(VALU_DEP_1)
	v_cmpx_gt_u32_e32 0x43f00000, v3
	s_xor_b32 s22, exec_lo, s22
	s_cbranch_execz .LBB206_78
; %bb.73:
	s_mov_b32 s23, exec_lo
                                        ; implicit-def: $vgpr2
	v_cmpx_lt_u32_e32 0x3c7fffff, v3
	s_xor_b32 s23, exec_lo, s23
; %bb.74:
	v_bfe_u32 v2, v3, 20, 1
	s_delay_alu instid0(VALU_DEP_1) | instskip(NEXT) | instid1(VALU_DEP_1)
	v_add3_u32 v2, v3, v2, 0x407ffff
	v_and_b32_e32 v3, 0xff00000, v2
	v_lshrrev_b32_e32 v2, 20, v2
	s_delay_alu instid0(VALU_DEP_2) | instskip(NEXT) | instid1(VALU_DEP_2)
	v_cmp_ne_u32_e32 vcc_lo, 0x7f00000, v3
                                        ; implicit-def: $vgpr3
	v_cndmask_b32_e32 v2, 0x7e, v2, vcc_lo
; %bb.75:
	s_and_not1_saveexec_b32 s23, s23
; %bb.76:
	v_add_f32_e32 v2, 0x46800000, v3
; %bb.77:
	s_or_b32 exec_lo, exec_lo, s23
                                        ; implicit-def: $vgpr3
.LBB206_78:
	s_and_not1_saveexec_b32 s22, s22
; %bb.79:
	v_mov_b32_e32 v2, 0x7f
	v_cmp_lt_u32_e32 vcc_lo, 0x7f800000, v3
	s_delay_alu instid0(VALU_DEP_2)
	v_cndmask_b32_e32 v2, 0x7e, v2, vcc_lo
; %bb.80:
	s_or_b32 exec_lo, exec_lo, s22
	global_store_b8 v[0:1], v2, off
.LBB206_81:
	s_mov_b32 s22, 0
.LBB206_82:
	s_delay_alu instid0(SALU_CYCLE_1)
	s_and_not1_b32 vcc_lo, exec_lo, s22
	s_cbranch_vccnz .LBB206_92
; %bb.83:
	s_wait_xcnt 0x0
	v_cndmask_b32_e64 v3, 0, 1.0, s1
	s_mov_b32 s22, exec_lo
                                        ; implicit-def: $vgpr2
	s_delay_alu instid0(VALU_DEP_1)
	v_cmpx_gt_u32_e32 0x47800000, v3
	s_xor_b32 s22, exec_lo, s22
	s_cbranch_execz .LBB206_89
; %bb.84:
	s_mov_b32 s23, exec_lo
                                        ; implicit-def: $vgpr2
	v_cmpx_lt_u32_e32 0x387fffff, v3
	s_xor_b32 s23, exec_lo, s23
; %bb.85:
	v_bfe_u32 v2, v3, 21, 1
	s_delay_alu instid0(VALU_DEP_1) | instskip(NEXT) | instid1(VALU_DEP_1)
	v_add3_u32 v2, v3, v2, 0x80fffff
                                        ; implicit-def: $vgpr3
	v_lshrrev_b32_e32 v2, 21, v2
; %bb.86:
	s_and_not1_saveexec_b32 s23, s23
; %bb.87:
	v_add_f32_e32 v2, 0x43000000, v3
; %bb.88:
	s_or_b32 exec_lo, exec_lo, s23
                                        ; implicit-def: $vgpr3
.LBB206_89:
	s_and_not1_saveexec_b32 s22, s22
; %bb.90:
	v_mov_b32_e32 v2, 0x7f
	v_cmp_lt_u32_e32 vcc_lo, 0x7f800000, v3
	s_delay_alu instid0(VALU_DEP_2)
	v_cndmask_b32_e32 v2, 0x7c, v2, vcc_lo
; %bb.91:
	s_or_b32 exec_lo, exec_lo, s22
	global_store_b8 v[0:1], v2, off
.LBB206_92:
	s_mov_b32 s23, 0
	s_mov_b32 s22, -1
.LBB206_93:
	s_and_not1_b32 vcc_lo, exec_lo, s23
	s_cbranch_vccnz .LBB206_101
; %bb.94:
	s_cmp_gt_i32 s21, 14
	s_mov_b32 s23, -1
	s_cbranch_scc0 .LBB206_98
; %bb.95:
	s_cmp_eq_u32 s21, 15
	s_mov_b32 s2, -1
	s_cbranch_scc0 .LBB206_97
; %bb.96:
	s_wait_xcnt 0x0
	v_cndmask_b32_e64 v2, 0, 1.0, s1
	s_mov_b32 s22, -1
	s_mov_b32 s2, 0
	s_delay_alu instid0(VALU_DEP_1) | instskip(NEXT) | instid1(VALU_DEP_1)
	v_bfe_u32 v3, v2, 16, 1
	v_add3_u32 v2, v2, v3, 0x7fff
	global_store_d16_hi_b16 v[0:1], v2, off
.LBB206_97:
	s_mov_b32 s23, 0
.LBB206_98:
	s_delay_alu instid0(SALU_CYCLE_1)
	s_and_b32 vcc_lo, exec_lo, s23
	s_cbranch_vccz .LBB206_101
; %bb.99:
	s_cmp_eq_u32 s21, 11
	s_mov_b32 s2, -1
	s_cbranch_scc0 .LBB206_101
; %bb.100:
	s_wait_xcnt 0x0
	v_cndmask_b32_e64 v2, 0, 1, s1
	s_mov_b32 s22, -1
	s_mov_b32 s2, 0
	global_store_b8 v[0:1], v2, off
.LBB206_101:
	s_branch .LBB206_20
.LBB206_102:
	s_and_b32 s17, 0xffff, s17
	s_mov_b32 s21, -1
	s_cmp_lt_i32 s17, 5
	s_cbranch_scc1 .LBB206_123
; %bb.103:
	s_cmp_lt_i32 s17, 8
	s_cbranch_scc1 .LBB206_113
; %bb.104:
	;; [unrolled: 3-line block ×3, first 2 shown]
	s_cmp_gt_i32 s17, 9
	s_cbranch_scc0 .LBB206_107
; %bb.106:
	s_wait_xcnt 0x0
	v_cndmask_b32_e64 v2, 0, 1, s1
	v_mov_b32_e32 v8, 0
	s_mov_b32 s21, 0
	s_delay_alu instid0(VALU_DEP_2) | instskip(NEXT) | instid1(VALU_DEP_2)
	v_cvt_f64_u32_e32 v[6:7], v2
	v_mov_b32_e32 v9, v8
	global_store_b128 v[0:1], v[6:9], off
.LBB206_107:
	s_and_not1_b32 vcc_lo, exec_lo, s21
	s_cbranch_vccnz .LBB206_109
; %bb.108:
	s_wait_xcnt 0x0
	v_cndmask_b32_e64 v2, 0, 1.0, s1
	v_mov_b32_e32 v3, 0
	global_store_b64 v[0:1], v[2:3], off
.LBB206_109:
	s_mov_b32 s21, 0
.LBB206_110:
	s_delay_alu instid0(SALU_CYCLE_1)
	s_and_not1_b32 vcc_lo, exec_lo, s21
	s_cbranch_vccnz .LBB206_112
; %bb.111:
	s_wait_xcnt 0x0
	v_cndmask_b32_e64 v2, 0, 1.0, s1
	s_delay_alu instid0(VALU_DEP_1) | instskip(NEXT) | instid1(VALU_DEP_1)
	v_cvt_f16_f32_e32 v2, v2
	v_and_b32_e32 v2, 0xffff, v2
	global_store_b32 v[0:1], v2, off
.LBB206_112:
	s_mov_b32 s21, 0
.LBB206_113:
	s_delay_alu instid0(SALU_CYCLE_1)
	s_and_not1_b32 vcc_lo, exec_lo, s21
	s_cbranch_vccnz .LBB206_122
; %bb.114:
	s_cmp_lt_i32 s17, 6
	s_mov_b32 s21, -1
	s_cbranch_scc1 .LBB206_120
; %bb.115:
	s_cmp_gt_i32 s17, 6
	s_cbranch_scc0 .LBB206_117
; %bb.116:
	s_wait_xcnt 0x0
	v_cndmask_b32_e64 v2, 0, 1, s1
	s_mov_b32 s21, 0
	s_delay_alu instid0(VALU_DEP_1)
	v_cvt_f64_u32_e32 v[2:3], v2
	global_store_b64 v[0:1], v[2:3], off
.LBB206_117:
	s_and_not1_b32 vcc_lo, exec_lo, s21
	s_cbranch_vccnz .LBB206_119
; %bb.118:
	s_wait_xcnt 0x0
	v_cndmask_b32_e64 v2, 0, 1.0, s1
	global_store_b32 v[0:1], v2, off
.LBB206_119:
	s_mov_b32 s21, 0
.LBB206_120:
	s_delay_alu instid0(SALU_CYCLE_1)
	s_and_not1_b32 vcc_lo, exec_lo, s21
	s_cbranch_vccnz .LBB206_122
; %bb.121:
	s_wait_xcnt 0x0
	v_cndmask_b32_e64 v2, 0, 1.0, s1
	s_delay_alu instid0(VALU_DEP_1)
	v_cvt_f16_f32_e32 v2, v2
	global_store_b16 v[0:1], v2, off
.LBB206_122:
	s_mov_b32 s21, 0
.LBB206_123:
	s_delay_alu instid0(SALU_CYCLE_1)
	s_and_not1_b32 vcc_lo, exec_lo, s21
	s_cbranch_vccnz .LBB206_139
; %bb.124:
	s_cmp_lt_i32 s17, 2
	s_mov_b32 s21, -1
	s_cbranch_scc1 .LBB206_134
; %bb.125:
	s_cmp_lt_i32 s17, 3
	s_cbranch_scc1 .LBB206_131
; %bb.126:
	s_cmp_gt_i32 s17, 3
	s_cbranch_scc0 .LBB206_128
; %bb.127:
	s_mov_b32 s21, 0
	s_wait_xcnt 0x0
	v_cndmask_b32_e64 v2, 0, 1, s1
	v_mov_b32_e32 v3, s21
	global_store_b64 v[0:1], v[2:3], off
.LBB206_128:
	s_and_not1_b32 vcc_lo, exec_lo, s21
	s_cbranch_vccnz .LBB206_130
; %bb.129:
	s_wait_xcnt 0x0
	v_cndmask_b32_e64 v2, 0, 1, s1
	global_store_b32 v[0:1], v2, off
.LBB206_130:
	s_mov_b32 s21, 0
.LBB206_131:
	s_delay_alu instid0(SALU_CYCLE_1)
	s_and_not1_b32 vcc_lo, exec_lo, s21
	s_cbranch_vccnz .LBB206_133
; %bb.132:
	s_wait_xcnt 0x0
	v_cndmask_b32_e64 v2, 0, 1, s1
	global_store_b16 v[0:1], v2, off
.LBB206_133:
	s_mov_b32 s21, 0
.LBB206_134:
	s_delay_alu instid0(SALU_CYCLE_1)
	s_and_not1_b32 vcc_lo, exec_lo, s21
	s_cbranch_vccnz .LBB206_139
; %bb.135:
	s_wait_xcnt 0x0
	v_cndmask_b32_e64 v2, 0, 1, s1
	s_cmp_gt_i32 s17, 0
	s_mov_b32 s1, -1
	s_cbranch_scc0 .LBB206_137
; %bb.136:
	s_mov_b32 s1, 0
	global_store_b8 v[0:1], v2, off
.LBB206_137:
	s_and_not1_b32 vcc_lo, exec_lo, s1
	s_cbranch_vccnz .LBB206_139
; %bb.138:
	global_store_b8 v[0:1], v2, off
.LBB206_139:
.LBB206_140:
	v_add_nc_u32_e32 v4, 0x80, v4
	s_mov_b32 s1, -1
	s_branch .LBB206_251
.LBB206_141:
	s_mov_b32 s18, -1
                                        ; implicit-def: $vgpr2
.LBB206_142:
	s_mov_b32 s17, 0
.LBB206_143:
	s_delay_alu instid0(SALU_CYCLE_1)
	s_and_b32 vcc_lo, exec_lo, s17
	s_cbranch_vccz .LBB206_147
; %bb.144:
	s_cmp_eq_u32 s1, 29
	s_cbranch_scc0 .LBB206_146
; %bb.145:
	s_wait_loadcnt 0x0
	global_load_b64 v[2:3], v[0:1], off
	s_mov_b32 s2, -1
	s_mov_b32 s18, 0
	s_mov_b32 s17, 0
	s_wait_loadcnt 0x0
	v_clz_i32_u32_e32 v5, v3
	s_delay_alu instid0(VALU_DEP_1) | instskip(NEXT) | instid1(VALU_DEP_1)
	v_min_u32_e32 v5, 32, v5
	v_lshlrev_b64_e32 v[2:3], v5, v[2:3]
	s_delay_alu instid0(VALU_DEP_1) | instskip(NEXT) | instid1(VALU_DEP_1)
	v_min_u32_e32 v2, 1, v2
	v_dual_sub_nc_u32 v3, 32, v5 :: v_dual_bitop2_b32 v2, v3, v2 bitop3:0x54
	s_delay_alu instid0(VALU_DEP_1) | instskip(NEXT) | instid1(VALU_DEP_1)
	v_cvt_f32_u32_e32 v2, v2
	v_ldexp_f32 v2, v2, v3
	s_delay_alu instid0(VALU_DEP_1) | instskip(NEXT) | instid1(VALU_DEP_1)
	v_bfe_u32 v3, v2, 16, 1
	v_add3_u32 v2, v2, v3, 0x7fff
	s_delay_alu instid0(VALU_DEP_1)
	v_lshrrev_b32_e32 v2, 16, v2
	s_branch .LBB206_148
.LBB206_146:
	s_mov_b32 s18, -1
                                        ; implicit-def: $vgpr2
.LBB206_147:
	s_mov_b32 s17, 0
.LBB206_148:
	s_delay_alu instid0(SALU_CYCLE_1)
	s_and_b32 vcc_lo, exec_lo, s17
	s_cbranch_vccz .LBB206_166
; %bb.149:
	s_cmp_lt_i32 s1, 27
	s_cbranch_scc1 .LBB206_152
; %bb.150:
	s_cmp_gt_i32 s1, 27
	s_cbranch_scc0 .LBB206_153
; %bb.151:
	s_wait_loadcnt 0x0
	global_load_b32 v2, v[0:1], off
	s_mov_b32 s2, 0
	s_wait_loadcnt 0x0
	v_cvt_f32_u32_e32 v2, v2
	s_delay_alu instid0(VALU_DEP_1) | instskip(NEXT) | instid1(VALU_DEP_1)
	v_bfe_u32 v3, v2, 16, 1
	v_add3_u32 v2, v2, v3, 0x7fff
	s_delay_alu instid0(VALU_DEP_1)
	v_lshrrev_b32_e32 v2, 16, v2
	s_branch .LBB206_154
.LBB206_152:
	s_mov_b32 s2, -1
                                        ; implicit-def: $vgpr2
	s_branch .LBB206_157
.LBB206_153:
	s_mov_b32 s2, -1
                                        ; implicit-def: $vgpr2
.LBB206_154:
	s_delay_alu instid0(SALU_CYCLE_1)
	s_and_not1_b32 vcc_lo, exec_lo, s2
	s_cbranch_vccnz .LBB206_156
; %bb.155:
	s_wait_loadcnt 0x0
	global_load_u16 v2, v[0:1], off
	s_wait_loadcnt 0x0
	v_cvt_f32_u32_e32 v2, v2
	s_delay_alu instid0(VALU_DEP_1) | instskip(NEXT) | instid1(VALU_DEP_1)
	v_bfe_u32 v3, v2, 16, 1
	v_add3_u32 v2, v2, v3, 0x7fff
	s_delay_alu instid0(VALU_DEP_1)
	v_lshrrev_b32_e32 v2, 16, v2
.LBB206_156:
	s_mov_b32 s2, 0
.LBB206_157:
	s_delay_alu instid0(SALU_CYCLE_1)
	s_and_not1_b32 vcc_lo, exec_lo, s2
	s_cbranch_vccnz .LBB206_165
; %bb.158:
	s_wait_loadcnt 0x0
	global_load_u8 v2, v[0:1], off
	s_mov_b32 s2, 0
	s_mov_b32 s17, exec_lo
	s_wait_loadcnt 0x0
	v_cmpx_lt_i16_e32 0x7f, v2
	s_xor_b32 s17, exec_lo, s17
	s_cbranch_execz .LBB206_178
; %bb.159:
	s_mov_b32 s2, -1
	s_mov_b32 s21, exec_lo
	v_cmpx_eq_u16_e32 0x80, v2
; %bb.160:
	s_xor_b32 s2, exec_lo, -1
; %bb.161:
	s_or_b32 exec_lo, exec_lo, s21
	s_delay_alu instid0(SALU_CYCLE_1)
	s_and_b32 s2, s2, exec_lo
	s_or_saveexec_b32 s17, s17
	v_mov_b32_e32 v3, 0x7f800001
	s_xor_b32 exec_lo, exec_lo, s17
	s_cbranch_execnz .LBB206_179
.LBB206_162:
	s_or_b32 exec_lo, exec_lo, s17
	s_and_saveexec_b32 s17, s2
	s_cbranch_execz .LBB206_164
.LBB206_163:
	v_and_b32_e32 v3, 0xffff, v2
	s_delay_alu instid0(VALU_DEP_1) | instskip(SKIP_1) | instid1(VALU_DEP_2)
	v_and_b32_e32 v5, 7, v3
	v_bfe_u32 v8, v3, 3, 4
	v_clz_i32_u32_e32 v6, v5
	s_delay_alu instid0(VALU_DEP_2) | instskip(NEXT) | instid1(VALU_DEP_2)
	v_cmp_eq_u32_e32 vcc_lo, 0, v8
	v_min_u32_e32 v6, 32, v6
	s_delay_alu instid0(VALU_DEP_1) | instskip(NEXT) | instid1(VALU_DEP_1)
	v_subrev_nc_u32_e32 v7, 28, v6
	v_dual_lshlrev_b32 v3, v7, v3 :: v_dual_sub_nc_u32 v6, 29, v6
	s_delay_alu instid0(VALU_DEP_1) | instskip(NEXT) | instid1(VALU_DEP_1)
	v_dual_lshlrev_b32 v2, 24, v2 :: v_dual_bitop2_b32 v3, 7, v3 bitop3:0x40
	v_dual_cndmask_b32 v3, v5, v3 :: v_dual_cndmask_b32 v6, v8, v6
	s_delay_alu instid0(VALU_DEP_2) | instskip(NEXT) | instid1(VALU_DEP_2)
	v_and_b32_e32 v2, 0x80000000, v2
	v_lshlrev_b32_e32 v3, 20, v3
	s_delay_alu instid0(VALU_DEP_3) | instskip(NEXT) | instid1(VALU_DEP_1)
	v_lshl_add_u32 v5, v6, 23, 0x3b800000
	v_or3_b32 v3, v2, v5, v3
.LBB206_164:
	s_or_b32 exec_lo, exec_lo, s17
	s_delay_alu instid0(VALU_DEP_1) | instskip(SKIP_1) | instid1(VALU_DEP_2)
	v_bfe_u32 v2, v3, 16, 1
	v_cmp_o_f32_e32 vcc_lo, v3, v3
	v_add3_u32 v2, v3, v2, 0x7fff
	s_delay_alu instid0(VALU_DEP_1) | instskip(NEXT) | instid1(VALU_DEP_1)
	v_lshrrev_b32_e32 v2, 16, v2
	v_cndmask_b32_e32 v2, 0x7fc0, v2, vcc_lo
.LBB206_165:
	s_mov_b32 s2, -1
.LBB206_166:
	s_branch .LBB206_201
.LBB206_167:
	s_cmp_gt_i32 s1, 22
	s_cbranch_scc0 .LBB206_177
; %bb.168:
	s_cmp_lt_i32 s1, 24
	s_cbranch_scc1 .LBB206_180
; %bb.169:
	s_cmp_gt_i32 s1, 24
	s_cbranch_scc0 .LBB206_181
; %bb.170:
	s_wait_loadcnt 0x0
	global_load_u8 v2, v[0:1], off
	s_mov_b32 s2, 0
	s_mov_b32 s17, exec_lo
	s_wait_loadcnt 0x0
	v_cmpx_lt_i16_e32 0x7f, v2
	s_xor_b32 s17, exec_lo, s17
	s_cbranch_execz .LBB206_193
; %bb.171:
	s_mov_b32 s2, -1
	s_mov_b32 s21, exec_lo
	v_cmpx_eq_u16_e32 0x80, v2
; %bb.172:
	s_xor_b32 s2, exec_lo, -1
; %bb.173:
	s_or_b32 exec_lo, exec_lo, s21
	s_delay_alu instid0(SALU_CYCLE_1)
	s_and_b32 s2, s2, exec_lo
	s_or_saveexec_b32 s17, s17
	v_mov_b32_e32 v3, 0x7f800001
	s_xor_b32 exec_lo, exec_lo, s17
	s_cbranch_execnz .LBB206_194
.LBB206_174:
	s_or_b32 exec_lo, exec_lo, s17
	s_and_saveexec_b32 s17, s2
	s_cbranch_execz .LBB206_176
.LBB206_175:
	v_and_b32_e32 v3, 0xffff, v2
	s_delay_alu instid0(VALU_DEP_1) | instskip(SKIP_1) | instid1(VALU_DEP_2)
	v_and_b32_e32 v5, 3, v3
	v_bfe_u32 v8, v3, 2, 5
	v_clz_i32_u32_e32 v6, v5
	s_delay_alu instid0(VALU_DEP_2) | instskip(NEXT) | instid1(VALU_DEP_2)
	v_cmp_eq_u32_e32 vcc_lo, 0, v8
	v_min_u32_e32 v6, 32, v6
	s_delay_alu instid0(VALU_DEP_1) | instskip(NEXT) | instid1(VALU_DEP_1)
	v_subrev_nc_u32_e32 v7, 29, v6
	v_dual_lshlrev_b32 v3, v7, v3 :: v_dual_sub_nc_u32 v6, 30, v6
	s_delay_alu instid0(VALU_DEP_1) | instskip(NEXT) | instid1(VALU_DEP_1)
	v_dual_lshlrev_b32 v2, 24, v2 :: v_dual_bitop2_b32 v3, 3, v3 bitop3:0x40
	v_dual_cndmask_b32 v3, v5, v3 :: v_dual_cndmask_b32 v6, v8, v6
	s_delay_alu instid0(VALU_DEP_2) | instskip(NEXT) | instid1(VALU_DEP_2)
	v_and_b32_e32 v2, 0x80000000, v2
	v_lshlrev_b32_e32 v3, 21, v3
	s_delay_alu instid0(VALU_DEP_3) | instskip(NEXT) | instid1(VALU_DEP_1)
	v_lshl_add_u32 v5, v6, 23, 0x37800000
	v_or3_b32 v3, v2, v5, v3
.LBB206_176:
	s_or_b32 exec_lo, exec_lo, s17
	s_delay_alu instid0(VALU_DEP_1) | instskip(SKIP_2) | instid1(VALU_DEP_2)
	v_bfe_u32 v2, v3, 16, 1
	v_cmp_o_f32_e32 vcc_lo, v3, v3
	s_mov_b32 s2, 0
	v_add3_u32 v2, v3, v2, 0x7fff
	s_delay_alu instid0(VALU_DEP_1) | instskip(NEXT) | instid1(VALU_DEP_1)
	v_lshrrev_b32_e32 v2, 16, v2
	v_cndmask_b32_e32 v2, 0x7fc0, v2, vcc_lo
	s_branch .LBB206_182
.LBB206_177:
	s_mov_b32 s17, -1
                                        ; implicit-def: $vgpr2
	s_branch .LBB206_188
.LBB206_178:
	s_or_saveexec_b32 s17, s17
	v_mov_b32_e32 v3, 0x7f800001
	s_xor_b32 exec_lo, exec_lo, s17
	s_cbranch_execz .LBB206_162
.LBB206_179:
	v_cmp_ne_u16_e32 vcc_lo, 0, v2
	v_mov_b32_e32 v3, 0
	s_and_not1_b32 s2, s2, exec_lo
	s_and_b32 s21, vcc_lo, exec_lo
	s_delay_alu instid0(SALU_CYCLE_1)
	s_or_b32 s2, s2, s21
	s_or_b32 exec_lo, exec_lo, s17
	s_and_saveexec_b32 s17, s2
	s_cbranch_execnz .LBB206_163
	s_branch .LBB206_164
.LBB206_180:
	s_mov_b32 s2, -1
                                        ; implicit-def: $vgpr2
	s_branch .LBB206_185
.LBB206_181:
	s_mov_b32 s2, -1
                                        ; implicit-def: $vgpr2
.LBB206_182:
	s_delay_alu instid0(SALU_CYCLE_1)
	s_and_b32 vcc_lo, exec_lo, s2
	s_cbranch_vccz .LBB206_184
; %bb.183:
	s_wait_loadcnt 0x0
	global_load_u8 v2, v[0:1], off
	s_wait_loadcnt 0x0
	v_lshlrev_b32_e32 v2, 24, v2
	s_delay_alu instid0(VALU_DEP_1) | instskip(NEXT) | instid1(VALU_DEP_1)
	v_and_b32_e32 v3, 0x7f000000, v2
	v_clz_i32_u32_e32 v5, v3
	v_add_nc_u32_e32 v7, 0x1000000, v3
	v_cmp_ne_u32_e32 vcc_lo, 0, v3
	s_delay_alu instid0(VALU_DEP_3) | instskip(NEXT) | instid1(VALU_DEP_1)
	v_min_u32_e32 v5, 32, v5
	v_sub_nc_u32_e64 v5, v5, 4 clamp
	s_delay_alu instid0(VALU_DEP_1) | instskip(NEXT) | instid1(VALU_DEP_1)
	v_dual_lshlrev_b32 v6, v5, v3 :: v_dual_lshlrev_b32 v5, 23, v5
	v_lshrrev_b32_e32 v6, 4, v6
	s_delay_alu instid0(VALU_DEP_1) | instskip(NEXT) | instid1(VALU_DEP_1)
	v_dual_sub_nc_u32 v5, v6, v5 :: v_dual_ashrrev_i32 v6, 8, v7
	v_add_nc_u32_e32 v5, 0x3c000000, v5
	s_delay_alu instid0(VALU_DEP_1) | instskip(NEXT) | instid1(VALU_DEP_1)
	v_and_or_b32 v5, 0x7f800000, v6, v5
	v_cndmask_b32_e32 v3, 0, v5, vcc_lo
	s_delay_alu instid0(VALU_DEP_1) | instskip(SKIP_1) | instid1(VALU_DEP_2)
	v_and_or_b32 v2, 0x80000000, v2, v3
	v_bfe_u32 v3, v3, 16, 1
	v_cmp_o_f32_e32 vcc_lo, v2, v2
	s_delay_alu instid0(VALU_DEP_2) | instskip(NEXT) | instid1(VALU_DEP_1)
	v_add3_u32 v3, v2, v3, 0x7fff
	v_lshrrev_b32_e32 v3, 16, v3
	s_delay_alu instid0(VALU_DEP_1)
	v_cndmask_b32_e32 v2, 0x7fc0, v3, vcc_lo
.LBB206_184:
	s_mov_b32 s2, 0
.LBB206_185:
	s_delay_alu instid0(SALU_CYCLE_1)
	s_and_not1_b32 vcc_lo, exec_lo, s2
	s_cbranch_vccnz .LBB206_187
; %bb.186:
	s_wait_loadcnt 0x0
	global_load_u8 v2, v[0:1], off
	s_wait_loadcnt 0x0
	v_lshlrev_b32_e32 v3, 25, v2
	v_lshlrev_b16 v2, 8, v2
	s_delay_alu instid0(VALU_DEP_2) | instskip(NEXT) | instid1(VALU_DEP_2)
	v_cmp_gt_u32_e32 vcc_lo, 0x8000000, v3
	v_and_or_b32 v6, 0x7f00, v2, 0.5
	v_lshrrev_b32_e32 v5, 4, v3
	v_bfe_i32 v2, v2, 0, 16
	s_delay_alu instid0(VALU_DEP_3) | instskip(NEXT) | instid1(VALU_DEP_3)
	v_add_f32_e32 v6, -0.5, v6
	v_or_b32_e32 v5, 0x70000000, v5
	s_delay_alu instid0(VALU_DEP_1) | instskip(NEXT) | instid1(VALU_DEP_1)
	v_mul_f32_e32 v5, 0x7800000, v5
	v_cndmask_b32_e32 v3, v5, v6, vcc_lo
	s_delay_alu instid0(VALU_DEP_1) | instskip(SKIP_1) | instid1(VALU_DEP_2)
	v_and_or_b32 v2, 0x80000000, v2, v3
	v_bfe_u32 v3, v3, 16, 1
	v_cmp_o_f32_e32 vcc_lo, v2, v2
	s_delay_alu instid0(VALU_DEP_2) | instskip(NEXT) | instid1(VALU_DEP_1)
	v_add3_u32 v3, v2, v3, 0x7fff
	v_lshrrev_b32_e32 v3, 16, v3
	s_delay_alu instid0(VALU_DEP_1)
	v_cndmask_b32_e32 v2, 0x7fc0, v3, vcc_lo
.LBB206_187:
	s_mov_b32 s17, 0
	s_mov_b32 s2, -1
.LBB206_188:
	s_and_not1_b32 vcc_lo, exec_lo, s17
	s_cbranch_vccnz .LBB206_201
; %bb.189:
	s_cmp_gt_i32 s1, 14
	s_cbranch_scc0 .LBB206_192
; %bb.190:
	s_cmp_eq_u32 s1, 15
	s_cbranch_scc0 .LBB206_195
; %bb.191:
	s_wait_loadcnt 0x0
	global_load_u16 v2, v[0:1], off
	s_mov_b32 s2, -1
	s_mov_b32 s18, 0
	s_branch .LBB206_196
.LBB206_192:
	s_mov_b32 s17, -1
                                        ; implicit-def: $vgpr2
	s_branch .LBB206_197
.LBB206_193:
	s_or_saveexec_b32 s17, s17
	v_mov_b32_e32 v3, 0x7f800001
	s_xor_b32 exec_lo, exec_lo, s17
	s_cbranch_execz .LBB206_174
.LBB206_194:
	v_cmp_ne_u16_e32 vcc_lo, 0, v2
	v_mov_b32_e32 v3, 0
	s_and_not1_b32 s2, s2, exec_lo
	s_and_b32 s21, vcc_lo, exec_lo
	s_delay_alu instid0(SALU_CYCLE_1)
	s_or_b32 s2, s2, s21
	s_or_b32 exec_lo, exec_lo, s17
	s_and_saveexec_b32 s17, s2
	s_cbranch_execnz .LBB206_175
	s_branch .LBB206_176
.LBB206_195:
	s_mov_b32 s18, -1
                                        ; implicit-def: $vgpr2
.LBB206_196:
	s_mov_b32 s17, 0
.LBB206_197:
	s_delay_alu instid0(SALU_CYCLE_1)
	s_and_b32 vcc_lo, exec_lo, s17
	s_cbranch_vccz .LBB206_201
; %bb.198:
	s_cmp_eq_u32 s1, 11
	s_cbranch_scc0 .LBB206_200
; %bb.199:
	s_wait_loadcnt 0x0
	global_load_u8 v2, v[0:1], off
	s_mov_b32 s18, 0
	s_mov_b32 s2, -1
	s_wait_loadcnt 0x0
	v_cmp_ne_u16_e32 vcc_lo, 0, v2
	v_cndmask_b32_e64 v2, 0, 1.0, vcc_lo
	s_delay_alu instid0(VALU_DEP_1)
	v_lshrrev_b32_e32 v2, 16, v2
	s_branch .LBB206_201
.LBB206_200:
	s_mov_b32 s18, -1
                                        ; implicit-def: $vgpr2
.LBB206_201:
	s_branch .LBB206_10
.LBB206_202:
	s_cmp_lt_i32 s1, 5
	s_cbranch_scc1 .LBB206_207
; %bb.203:
	s_cmp_lt_i32 s1, 8
	s_cbranch_scc1 .LBB206_208
; %bb.204:
	;; [unrolled: 3-line block ×3, first 2 shown]
	s_cmp_gt_i32 s1, 9
	s_cbranch_scc0 .LBB206_210
; %bb.206:
	s_wait_loadcnt 0x0
	global_load_b64 v[2:3], v[0:1], off
	s_mov_b32 s2, 0
	s_wait_loadcnt 0x0
	v_cvt_f32_f64_e32 v2, v[2:3]
	s_delay_alu instid0(VALU_DEP_1) | instskip(SKIP_1) | instid1(VALU_DEP_2)
	v_bfe_u32 v3, v2, 16, 1
	v_cmp_o_f32_e32 vcc_lo, v2, v2
	v_add3_u32 v3, v2, v3, 0x7fff
	s_delay_alu instid0(VALU_DEP_1) | instskip(NEXT) | instid1(VALU_DEP_1)
	v_lshrrev_b32_e32 v3, 16, v3
	v_cndmask_b32_e32 v2, 0x7fc0, v3, vcc_lo
	s_branch .LBB206_211
.LBB206_207:
                                        ; implicit-def: $vgpr2
	s_branch .LBB206_229
.LBB206_208:
	s_mov_b32 s2, -1
                                        ; implicit-def: $vgpr2
	s_branch .LBB206_217
.LBB206_209:
	s_mov_b32 s2, -1
                                        ; implicit-def: $vgpr2
	s_branch .LBB206_214
.LBB206_210:
	s_mov_b32 s2, -1
                                        ; implicit-def: $vgpr2
.LBB206_211:
	s_delay_alu instid0(SALU_CYCLE_1)
	s_and_not1_b32 vcc_lo, exec_lo, s2
	s_cbranch_vccnz .LBB206_213
; %bb.212:
	s_wait_loadcnt 0x0
	global_load_b32 v2, v[0:1], off
	s_wait_loadcnt 0x0
	v_bfe_u32 v3, v2, 16, 1
	v_cmp_o_f32_e32 vcc_lo, v2, v2
	s_delay_alu instid0(VALU_DEP_2) | instskip(NEXT) | instid1(VALU_DEP_1)
	v_add3_u32 v3, v2, v3, 0x7fff
	v_lshrrev_b32_e32 v3, 16, v3
	s_delay_alu instid0(VALU_DEP_1)
	v_cndmask_b32_e32 v2, 0x7fc0, v3, vcc_lo
.LBB206_213:
	s_mov_b32 s2, 0
.LBB206_214:
	s_delay_alu instid0(SALU_CYCLE_1)
	s_and_not1_b32 vcc_lo, exec_lo, s2
	s_cbranch_vccnz .LBB206_216
; %bb.215:
	s_wait_loadcnt 0x0
	global_load_b32 v2, v[0:1], off
	s_wait_loadcnt 0x0
	v_cvt_f32_f16_e32 v3, v2
	v_cmp_o_f16_e32 vcc_lo, v2, v2
	s_delay_alu instid0(VALU_DEP_2) | instskip(NEXT) | instid1(VALU_DEP_1)
	v_bfe_u32 v5, v3, 16, 1
	v_add3_u32 v3, v3, v5, 0x7fff
	s_delay_alu instid0(VALU_DEP_1) | instskip(NEXT) | instid1(VALU_DEP_1)
	v_lshrrev_b32_e32 v3, 16, v3
	v_cndmask_b32_e32 v2, 0x7fc0, v3, vcc_lo
.LBB206_216:
	s_mov_b32 s2, 0
.LBB206_217:
	s_delay_alu instid0(SALU_CYCLE_1)
	s_and_not1_b32 vcc_lo, exec_lo, s2
	s_cbranch_vccnz .LBB206_228
; %bb.218:
	s_cmp_lt_i32 s1, 6
	s_cbranch_scc1 .LBB206_221
; %bb.219:
	s_cmp_gt_i32 s1, 6
	s_cbranch_scc0 .LBB206_222
; %bb.220:
	s_wait_loadcnt 0x0
	global_load_b64 v[2:3], v[0:1], off
	s_mov_b32 s2, 0
	s_wait_loadcnt 0x0
	v_cvt_f32_f64_e32 v2, v[2:3]
	s_delay_alu instid0(VALU_DEP_1) | instskip(SKIP_1) | instid1(VALU_DEP_2)
	v_bfe_u32 v3, v2, 16, 1
	v_cmp_o_f32_e32 vcc_lo, v2, v2
	v_add3_u32 v3, v2, v3, 0x7fff
	s_delay_alu instid0(VALU_DEP_1) | instskip(NEXT) | instid1(VALU_DEP_1)
	v_lshrrev_b32_e32 v3, 16, v3
	v_cndmask_b32_e32 v2, 0x7fc0, v3, vcc_lo
	s_branch .LBB206_223
.LBB206_221:
	s_mov_b32 s2, -1
                                        ; implicit-def: $vgpr2
	s_branch .LBB206_226
.LBB206_222:
	s_mov_b32 s2, -1
                                        ; implicit-def: $vgpr2
.LBB206_223:
	s_delay_alu instid0(SALU_CYCLE_1)
	s_and_not1_b32 vcc_lo, exec_lo, s2
	s_cbranch_vccnz .LBB206_225
; %bb.224:
	s_wait_loadcnt 0x0
	global_load_b32 v2, v[0:1], off
	s_wait_loadcnt 0x0
	v_bfe_u32 v3, v2, 16, 1
	v_cmp_o_f32_e32 vcc_lo, v2, v2
	s_delay_alu instid0(VALU_DEP_2) | instskip(NEXT) | instid1(VALU_DEP_1)
	v_add3_u32 v3, v2, v3, 0x7fff
	v_lshrrev_b32_e32 v3, 16, v3
	s_delay_alu instid0(VALU_DEP_1)
	v_cndmask_b32_e32 v2, 0x7fc0, v3, vcc_lo
.LBB206_225:
	s_mov_b32 s2, 0
.LBB206_226:
	s_delay_alu instid0(SALU_CYCLE_1)
	s_and_not1_b32 vcc_lo, exec_lo, s2
	s_cbranch_vccnz .LBB206_228
; %bb.227:
	s_wait_loadcnt 0x0
	global_load_u16 v2, v[0:1], off
	s_wait_loadcnt 0x0
	v_cvt_f32_f16_e32 v3, v2
	v_cmp_o_f16_e32 vcc_lo, v2, v2
	s_delay_alu instid0(VALU_DEP_2) | instskip(NEXT) | instid1(VALU_DEP_1)
	v_bfe_u32 v5, v3, 16, 1
	v_add3_u32 v3, v3, v5, 0x7fff
	s_delay_alu instid0(VALU_DEP_1) | instskip(NEXT) | instid1(VALU_DEP_1)
	v_lshrrev_b32_e32 v3, 16, v3
	v_cndmask_b32_e32 v2, 0x7fc0, v3, vcc_lo
.LBB206_228:
	s_cbranch_execnz .LBB206_248
.LBB206_229:
	s_cmp_lt_i32 s1, 2
	s_cbranch_scc1 .LBB206_233
; %bb.230:
	s_cmp_lt_i32 s1, 3
	s_cbranch_scc1 .LBB206_234
; %bb.231:
	s_cmp_gt_i32 s1, 3
	s_cbranch_scc0 .LBB206_235
; %bb.232:
	s_wait_loadcnt 0x0
	global_load_b64 v[2:3], v[0:1], off
	s_mov_b32 s2, 0
	s_wait_loadcnt 0x0
	v_xor_b32_e32 v5, v2, v3
	v_cls_i32_e32 v6, v3
	s_delay_alu instid0(VALU_DEP_2) | instskip(NEXT) | instid1(VALU_DEP_1)
	v_ashrrev_i32_e32 v5, 31, v5
	v_add_nc_u32_e32 v5, 32, v5
	s_delay_alu instid0(VALU_DEP_1) | instskip(NEXT) | instid1(VALU_DEP_1)
	v_add_min_u32_e64 v5, v6, -1, v5
	v_lshlrev_b64_e32 v[2:3], v5, v[2:3]
	s_delay_alu instid0(VALU_DEP_1) | instskip(NEXT) | instid1(VALU_DEP_1)
	v_min_u32_e32 v2, 1, v2
	v_dual_sub_nc_u32 v3, 32, v5 :: v_dual_bitop2_b32 v2, v3, v2 bitop3:0x54
	s_delay_alu instid0(VALU_DEP_1) | instskip(NEXT) | instid1(VALU_DEP_1)
	v_cvt_f32_i32_e32 v2, v2
	v_ldexp_f32 v2, v2, v3
	s_delay_alu instid0(VALU_DEP_1) | instskip(NEXT) | instid1(VALU_DEP_1)
	v_bfe_u32 v3, v2, 16, 1
	v_add3_u32 v2, v2, v3, 0x7fff
	s_delay_alu instid0(VALU_DEP_1)
	v_lshrrev_b32_e32 v2, 16, v2
	s_branch .LBB206_236
.LBB206_233:
	s_mov_b32 s2, -1
                                        ; implicit-def: $vgpr2
	s_branch .LBB206_242
.LBB206_234:
	s_mov_b32 s2, -1
                                        ; implicit-def: $vgpr2
	s_branch .LBB206_239
.LBB206_235:
	s_mov_b32 s2, -1
                                        ; implicit-def: $vgpr2
.LBB206_236:
	s_delay_alu instid0(SALU_CYCLE_1)
	s_and_not1_b32 vcc_lo, exec_lo, s2
	s_cbranch_vccnz .LBB206_238
; %bb.237:
	s_wait_loadcnt 0x0
	global_load_b32 v2, v[0:1], off
	s_wait_loadcnt 0x0
	v_cvt_f32_i32_e32 v2, v2
	s_delay_alu instid0(VALU_DEP_1) | instskip(NEXT) | instid1(VALU_DEP_1)
	v_bfe_u32 v3, v2, 16, 1
	v_add3_u32 v2, v2, v3, 0x7fff
	s_delay_alu instid0(VALU_DEP_1)
	v_lshrrev_b32_e32 v2, 16, v2
.LBB206_238:
	s_mov_b32 s2, 0
.LBB206_239:
	s_delay_alu instid0(SALU_CYCLE_1)
	s_and_not1_b32 vcc_lo, exec_lo, s2
	s_cbranch_vccnz .LBB206_241
; %bb.240:
	s_wait_loadcnt 0x0
	global_load_i16 v2, v[0:1], off
	s_wait_loadcnt 0x0
	v_cvt_f32_i32_e32 v2, v2
	s_delay_alu instid0(VALU_DEP_1) | instskip(NEXT) | instid1(VALU_DEP_1)
	v_bfe_u32 v3, v2, 16, 1
	v_add3_u32 v2, v2, v3, 0x7fff
	s_delay_alu instid0(VALU_DEP_1)
	v_lshrrev_b32_e32 v2, 16, v2
.LBB206_241:
	s_mov_b32 s2, 0
.LBB206_242:
	s_delay_alu instid0(SALU_CYCLE_1)
	s_and_not1_b32 vcc_lo, exec_lo, s2
	s_cbranch_vccnz .LBB206_248
; %bb.243:
	s_cmp_gt_i32 s1, 0
	s_mov_b32 s1, 0
	s_cbranch_scc0 .LBB206_245
; %bb.244:
	s_wait_loadcnt 0x0
	global_load_i8 v2, v[0:1], off
	s_wait_loadcnt 0x0
	v_cvt_f32_i32_e32 v2, v2
	s_delay_alu instid0(VALU_DEP_1) | instskip(NEXT) | instid1(VALU_DEP_1)
	v_bfe_u32 v3, v2, 16, 1
	v_add3_u32 v2, v2, v3, 0x7fff
	s_delay_alu instid0(VALU_DEP_1)
	v_lshrrev_b32_e32 v2, 16, v2
	s_branch .LBB206_246
.LBB206_245:
	s_mov_b32 s1, -1
                                        ; implicit-def: $vgpr2
.LBB206_246:
	s_delay_alu instid0(SALU_CYCLE_1)
	s_and_not1_b32 vcc_lo, exec_lo, s1
	s_cbranch_vccnz .LBB206_248
; %bb.247:
	global_load_u8 v0, v[0:1], off
	s_wait_loadcnt 0x0
	v_cvt_f32_ubyte0_e32 v0, v0
	s_delay_alu instid0(VALU_DEP_1) | instskip(NEXT) | instid1(VALU_DEP_1)
	v_bfe_u32 v1, v0, 16, 1
	v_add3_u32 v0, v0, v1, 0x7fff
	s_delay_alu instid0(VALU_DEP_1)
	v_lshrrev_b32_e32 v2, 16, v0
.LBB206_248:
	s_branch .LBB206_11
.LBB206_249:
	s_mov_b32 s2, 0
.LBB206_250:
	s_mov_b32 s1, 0
                                        ; implicit-def: $vgpr4
.LBB206_251:
	s_and_b32 s17, s2, exec_lo
	s_and_b32 s18, s18, exec_lo
	s_or_not1_b32 s1, s1, exec_lo
.LBB206_252:
	s_wait_xcnt 0x0
	s_or_b32 exec_lo, exec_lo, s19
	s_mov_b32 s22, 0
	s_mov_b32 s21, 0
                                        ; implicit-def: $vgpr0_vgpr1
                                        ; implicit-def: $vgpr2
	s_and_saveexec_b32 s19, s1
	s_cbranch_execz .LBB206_261
; %bb.253:
	s_mov_b32 s24, -1
	s_mov_b32 s20, s18
	s_mov_b32 s21, s17
	s_mov_b32 s22, exec_lo
	v_cmpx_gt_i32_e64 s16, v4
	s_cbranch_execz .LBB206_515
; %bb.254:
	v_mul_lo_u32 v0, v4, s9
	s_and_b32 s1, 0xffff, s13
	s_delay_alu instid0(SALU_CYCLE_1) | instskip(NEXT) | instid1(VALU_DEP_1)
	s_cmp_lt_i32 s1, 11
	v_ashrrev_i32_e32 v1, 31, v0
	s_delay_alu instid0(VALU_DEP_1)
	v_add_nc_u64_e32 v[0:1], s[6:7], v[0:1]
	s_cbranch_scc1 .LBB206_264
; %bb.255:
	s_cmp_gt_i32 s1, 25
	s_cbranch_scc0 .LBB206_273
; %bb.256:
	s_cmp_gt_i32 s1, 28
	s_cbranch_scc0 .LBB206_275
	;; [unrolled: 3-line block ×4, first 2 shown]
; %bb.259:
	s_cmp_eq_u32 s1, 46
	s_mov_b32 s21, 0
	s_cbranch_scc0 .LBB206_285
; %bb.260:
	s_wait_loadcnt 0x0
	global_load_b32 v2, v[0:1], off
	s_mov_b32 s2, -1
	s_mov_b32 s20, 0
	s_branch .LBB206_287
.LBB206_261:
	s_or_b32 exec_lo, exec_lo, s19
	s_mov_b32 s1, 0
	s_and_saveexec_b32 s2, s18
	s_cbranch_execnz .LBB206_863
.LBB206_262:
	s_or_b32 exec_lo, exec_lo, s2
	s_and_saveexec_b32 s2, s20
	s_delay_alu instid0(SALU_CYCLE_1)
	s_xor_b32 s2, exec_lo, s2
	s_cbranch_execz .LBB206_864
.LBB206_263:
	s_wait_loadcnt 0x0
	global_load_u8 v2, v[0:1], off
	s_or_b32 s21, s21, exec_lo
	s_wait_loadcnt 0x0
	v_cmp_ne_u16_e32 vcc_lo, 0, v2
	v_cndmask_b32_e64 v2, 0, 1.0, vcc_lo
	s_delay_alu instid0(VALU_DEP_1)
	v_lshrrev_b32_e32 v2, 16, v2
	s_wait_xcnt 0x0
	s_or_b32 exec_lo, exec_lo, s2
	s_and_saveexec_b32 s2, s22
	s_cbranch_execz .LBB206_910
	s_branch .LBB206_865
.LBB206_264:
	s_mov_b32 s2, 0
	s_mov_b32 s20, s18
                                        ; implicit-def: $vgpr2
	s_cbranch_execnz .LBB206_464
.LBB206_265:
	s_and_not1_b32 vcc_lo, exec_lo, s2
	s_cbranch_vccnz .LBB206_512
.LBB206_266:
	s_wait_loadcnt 0x0
	s_delay_alu instid0(VALU_DEP_1) | instskip(SKIP_2) | instid1(SALU_CYCLE_1)
	v_lshlrev_b32_e32 v1, 16, v2
	v_mul_lo_u32 v0, v4, s8
	s_and_b32 s21, s3, 0xff
	s_cmp_lt_i32 s21, 11
	s_delay_alu instid0(VALU_DEP_2) | instskip(SKIP_3) | instid1(VALU_DEP_1)
	v_cmp_eq_f32_e32 vcc_lo, s15, v1
	v_cndmask_b32_e64 v2, 0, 1, vcc_lo
	v_cmp_neq_f32_e32 vcc_lo, s15, v1
	v_cndmask_b32_e64 v1, 0, 1, vcc_lo
	v_dual_cndmask_b32 v2, v1, v2, s0 :: v_dual_ashrrev_i32 v1, 31, v0
	s_delay_alu instid0(VALU_DEP_1) | instskip(NEXT) | instid1(VALU_DEP_2)
	v_and_b32_e32 v2, 1, v2
	v_add_nc_u64_e32 v[0:1], s[4:5], v[0:1]
	s_delay_alu instid0(VALU_DEP_2)
	v_cmp_eq_u32_e64 s1, 1, v2
	s_cbranch_scc1 .LBB206_274
; %bb.267:
	s_and_b32 s23, 0xffff, s21
	s_delay_alu instid0(SALU_CYCLE_1)
	s_cmp_gt_i32 s23, 25
	s_cbranch_scc0 .LBB206_276
; %bb.268:
	s_cmp_gt_i32 s23, 28
	s_cbranch_scc0 .LBB206_278
; %bb.269:
	s_cmp_gt_i32 s23, 43
	s_cbranch_scc0 .LBB206_282
; %bb.270:
	s_cmp_gt_i32 s23, 45
	s_cbranch_scc0 .LBB206_290
; %bb.271:
	s_mov_b32 s25, 0
	s_mov_b32 s2, -1
	s_cmp_eq_u32 s23, 46
	s_mov_b32 s24, 0
	s_cbranch_scc0 .LBB206_291
; %bb.272:
	v_cndmask_b32_e64 v2, 0, 1.0, s1
	s_mov_b32 s24, -1
	s_mov_b32 s2, 0
	s_delay_alu instid0(VALU_DEP_1) | instskip(NEXT) | instid1(VALU_DEP_1)
	v_bfe_u32 v3, v2, 16, 1
	v_add3_u32 v2, v2, v3, 0x7fff
	s_delay_alu instid0(VALU_DEP_1)
	v_lshrrev_b32_e32 v2, 16, v2
	global_store_b32 v[0:1], v2, off
	s_branch .LBB206_291
.LBB206_273:
	s_mov_b32 s21, -1
	s_mov_b32 s2, 0
	s_mov_b32 s20, s18
                                        ; implicit-def: $vgpr2
	s_branch .LBB206_428
.LBB206_274:
	s_mov_b32 s23, -1
	s_mov_b32 s24, 0
	s_mov_b32 s2, s17
	s_branch .LBB206_360
.LBB206_275:
	s_mov_b32 s21, -1
	s_mov_b32 s2, 0
	s_mov_b32 s20, s18
                                        ; implicit-def: $vgpr2
	s_branch .LBB206_409
.LBB206_276:
	s_mov_b32 s25, -1
	s_mov_b32 s24, 0
	s_mov_b32 s2, s17
	s_branch .LBB206_318
.LBB206_277:
	s_mov_b32 s21, -1
	s_mov_b32 s2, 0
	s_mov_b32 s20, s18
                                        ; implicit-def: $vgpr2
	s_branch .LBB206_404
.LBB206_278:
	s_mov_b32 s25, -1
	s_mov_b32 s24, 0
	s_mov_b32 s2, s17
	s_branch .LBB206_301
.LBB206_279:
	s_and_not1_saveexec_b32 s24, s24
	s_cbranch_execz .LBB206_54
.LBB206_280:
	v_add_f32_e32 v2, 0x46000000, v3
	s_and_not1_b32 s23, s23, exec_lo
	s_delay_alu instid0(VALU_DEP_1) | instskip(NEXT) | instid1(VALU_DEP_1)
	v_and_b32_e32 v2, 0xff, v2
	v_cmp_ne_u32_e32 vcc_lo, 0, v2
	s_and_b32 s25, vcc_lo, exec_lo
	s_delay_alu instid0(SALU_CYCLE_1)
	s_or_b32 s23, s23, s25
	s_or_b32 exec_lo, exec_lo, s24
	v_mov_b32_e32 v5, 0
	s_and_saveexec_b32 s24, s23
	s_cbranch_execnz .LBB206_55
	s_branch .LBB206_56
.LBB206_281:
	s_mov_b32 s21, -1
	s_mov_b32 s2, 0
	s_mov_b32 s20, s18
	s_branch .LBB206_286
.LBB206_282:
	s_mov_b32 s25, -1
	s_mov_b32 s24, 0
	s_mov_b32 s2, s17
	s_branch .LBB206_297
.LBB206_283:
	s_and_not1_saveexec_b32 s24, s24
	s_cbranch_execz .LBB206_67
.LBB206_284:
	v_add_f32_e32 v2, 0x42800000, v3
	s_and_not1_b32 s23, s23, exec_lo
	s_delay_alu instid0(VALU_DEP_1) | instskip(NEXT) | instid1(VALU_DEP_1)
	v_and_b32_e32 v2, 0xff, v2
	v_cmp_ne_u32_e32 vcc_lo, 0, v2
	s_and_b32 s25, vcc_lo, exec_lo
	s_delay_alu instid0(SALU_CYCLE_1)
	s_or_b32 s23, s23, s25
	s_or_b32 exec_lo, exec_lo, s24
	v_mov_b32_e32 v5, 0
	s_and_saveexec_b32 s24, s23
	s_cbranch_execnz .LBB206_68
	s_branch .LBB206_69
.LBB206_285:
	s_mov_b32 s20, -1
	s_mov_b32 s2, 0
.LBB206_286:
                                        ; implicit-def: $vgpr2
.LBB206_287:
	s_and_b32 vcc_lo, exec_lo, s21
	s_cbranch_vccz .LBB206_403
; %bb.288:
	s_cmp_eq_u32 s1, 44
	s_cbranch_scc0 .LBB206_402
; %bb.289:
	s_wait_loadcnt 0x0
	global_load_u8 v2, v[0:1], off
	s_mov_b32 s20, 0
	s_mov_b32 s2, -1
	s_wait_loadcnt 0x0
	v_lshlrev_b32_e32 v3, 23, v2
	v_cmp_ne_u32_e32 vcc_lo, 0xff, v2
	s_delay_alu instid0(VALU_DEP_2) | instskip(SKIP_1) | instid1(VALU_DEP_2)
	v_cndmask_b32_e32 v3, 0x7f800001, v3, vcc_lo
	v_cmp_ne_u32_e32 vcc_lo, 0, v2
	v_cndmask_b32_e32 v2, 0x400000, v3, vcc_lo
	s_delay_alu instid0(VALU_DEP_1) | instskip(NEXT) | instid1(VALU_DEP_1)
	v_add_nc_u32_e32 v3, 0x7fff, v2
	v_lshrrev_b32_e32 v3, 16, v3
	v_cmp_o_f32_e32 vcc_lo, v2, v2
	s_delay_alu instid0(VALU_DEP_2)
	v_cndmask_b32_e32 v2, 0x7fc0, v3, vcc_lo
	s_branch .LBB206_403
.LBB206_290:
	s_mov_b32 s25, -1
	s_mov_b32 s24, 0
	s_mov_b32 s2, s17
.LBB206_291:
	s_and_b32 vcc_lo, exec_lo, s25
	s_cbranch_vccz .LBB206_296
; %bb.292:
	s_cmp_eq_u32 s23, 44
	s_mov_b32 s2, -1
	s_cbranch_scc0 .LBB206_296
; %bb.293:
	v_cndmask_b32_e64 v5, 0, 1.0, s1
	s_mov_b32 s24, exec_lo
	s_wait_xcnt 0x0
	s_delay_alu instid0(VALU_DEP_1) | instskip(NEXT) | instid1(VALU_DEP_1)
	v_dual_mov_b32 v3, 0xff :: v_dual_lshrrev_b32 v2, 23, v5
	v_cmpx_ne_u32_e32 0xff, v2
; %bb.294:
	v_and_b32_e32 v3, 0x400000, v5
	v_and_or_b32 v5, 0x3fffff, v5, v2
	s_delay_alu instid0(VALU_DEP_2) | instskip(NEXT) | instid1(VALU_DEP_2)
	v_cmp_ne_u32_e32 vcc_lo, 0, v3
	v_cmp_ne_u32_e64 s2, 0, v5
	s_and_b32 s2, vcc_lo, s2
	s_delay_alu instid0(SALU_CYCLE_1) | instskip(NEXT) | instid1(VALU_DEP_1)
	v_cndmask_b32_e64 v3, 0, 1, s2
	v_add_nc_u32_e32 v3, v2, v3
; %bb.295:
	s_or_b32 exec_lo, exec_lo, s24
	s_mov_b32 s24, -1
	s_mov_b32 s2, 0
	global_store_b8 v[0:1], v3, off
.LBB206_296:
	s_mov_b32 s25, 0
.LBB206_297:
	s_delay_alu instid0(SALU_CYCLE_1)
	s_and_b32 vcc_lo, exec_lo, s25
	s_cbranch_vccz .LBB206_300
; %bb.298:
	s_cmp_eq_u32 s23, 29
	s_mov_b32 s2, -1
	s_cbranch_scc0 .LBB206_300
; %bb.299:
	s_mov_b32 s2, 0
	s_wait_xcnt 0x0
	v_cndmask_b32_e64 v2, 0, 1, s1
	v_mov_b32_e32 v3, s2
	s_mov_b32 s24, -1
	s_mov_b32 s25, 0
	global_store_b64 v[0:1], v[2:3], off
	s_branch .LBB206_301
.LBB206_300:
	s_mov_b32 s25, 0
.LBB206_301:
	s_delay_alu instid0(SALU_CYCLE_1)
	s_and_b32 vcc_lo, exec_lo, s25
	s_cbranch_vccz .LBB206_317
; %bb.302:
	s_cmp_lt_i32 s23, 27
	s_mov_b32 s24, -1
	s_cbranch_scc1 .LBB206_308
; %bb.303:
	s_cmp_gt_i32 s23, 27
	s_cbranch_scc0 .LBB206_305
; %bb.304:
	s_wait_xcnt 0x0
	v_cndmask_b32_e64 v2, 0, 1, s1
	s_mov_b32 s24, 0
	global_store_b32 v[0:1], v2, off
.LBB206_305:
	s_and_not1_b32 vcc_lo, exec_lo, s24
	s_cbranch_vccnz .LBB206_307
; %bb.306:
	s_wait_xcnt 0x0
	v_cndmask_b32_e64 v2, 0, 1, s1
	global_store_b16 v[0:1], v2, off
.LBB206_307:
	s_mov_b32 s24, 0
.LBB206_308:
	s_delay_alu instid0(SALU_CYCLE_1)
	s_and_not1_b32 vcc_lo, exec_lo, s24
	s_cbranch_vccnz .LBB206_316
; %bb.309:
	s_wait_xcnt 0x0
	v_cndmask_b32_e64 v3, 0, 1.0, s1
	v_mov_b32_e32 v5, 0x80
	s_mov_b32 s24, exec_lo
	s_delay_alu instid0(VALU_DEP_2)
	v_cmpx_gt_u32_e32 0x43800000, v3
	s_cbranch_execz .LBB206_315
; %bb.310:
	s_mov_b32 s25, 0
	s_mov_b32 s26, exec_lo
                                        ; implicit-def: $vgpr2
	v_cmpx_lt_u32_e32 0x3bffffff, v3
	s_xor_b32 s26, exec_lo, s26
	s_cbranch_execz .LBB206_528
; %bb.311:
	v_bfe_u32 v2, v3, 20, 1
	s_mov_b32 s25, exec_lo
	s_delay_alu instid0(VALU_DEP_1) | instskip(NEXT) | instid1(VALU_DEP_1)
	v_add3_u32 v2, v3, v2, 0x487ffff
                                        ; implicit-def: $vgpr3
	v_lshrrev_b32_e32 v2, 20, v2
	s_and_not1_saveexec_b32 s26, s26
	s_cbranch_execnz .LBB206_529
.LBB206_312:
	s_or_b32 exec_lo, exec_lo, s26
	v_mov_b32_e32 v5, 0
	s_and_saveexec_b32 s26, s25
.LBB206_313:
	v_mov_b32_e32 v5, v2
.LBB206_314:
	s_or_b32 exec_lo, exec_lo, s26
.LBB206_315:
	s_delay_alu instid0(SALU_CYCLE_1)
	s_or_b32 exec_lo, exec_lo, s24
	global_store_b8 v[0:1], v5, off
.LBB206_316:
	s_mov_b32 s24, -1
.LBB206_317:
	s_mov_b32 s25, 0
.LBB206_318:
	s_delay_alu instid0(SALU_CYCLE_1)
	s_and_b32 vcc_lo, exec_lo, s25
	s_cbranch_vccz .LBB206_359
; %bb.319:
	s_cmp_gt_i32 s23, 22
	s_mov_b32 s25, -1
	s_cbranch_scc0 .LBB206_351
; %bb.320:
	s_cmp_lt_i32 s23, 24
	s_mov_b32 s24, -1
	s_cbranch_scc1 .LBB206_340
; %bb.321:
	s_cmp_gt_i32 s23, 24
	s_cbranch_scc0 .LBB206_329
; %bb.322:
	s_wait_xcnt 0x0
	v_cndmask_b32_e64 v3, 0, 1.0, s1
	v_mov_b32_e32 v5, 0x80
	s_mov_b32 s24, exec_lo
	s_delay_alu instid0(VALU_DEP_2)
	v_cmpx_gt_u32_e32 0x47800000, v3
	s_cbranch_execz .LBB206_328
; %bb.323:
	s_mov_b32 s25, 0
	s_mov_b32 s26, exec_lo
                                        ; implicit-def: $vgpr2
	v_cmpx_lt_u32_e32 0x37ffffff, v3
	s_xor_b32 s26, exec_lo, s26
	s_cbranch_execz .LBB206_531
; %bb.324:
	v_bfe_u32 v2, v3, 21, 1
	s_mov_b32 s25, exec_lo
	s_delay_alu instid0(VALU_DEP_1) | instskip(NEXT) | instid1(VALU_DEP_1)
	v_add3_u32 v2, v3, v2, 0x88fffff
                                        ; implicit-def: $vgpr3
	v_lshrrev_b32_e32 v2, 21, v2
	s_and_not1_saveexec_b32 s26, s26
	s_cbranch_execnz .LBB206_532
.LBB206_325:
	s_or_b32 exec_lo, exec_lo, s26
	v_mov_b32_e32 v5, 0
	s_and_saveexec_b32 s26, s25
.LBB206_326:
	v_mov_b32_e32 v5, v2
.LBB206_327:
	s_or_b32 exec_lo, exec_lo, s26
.LBB206_328:
	s_delay_alu instid0(SALU_CYCLE_1)
	s_or_b32 exec_lo, exec_lo, s24
	s_mov_b32 s24, 0
	global_store_b8 v[0:1], v5, off
.LBB206_329:
	s_and_b32 vcc_lo, exec_lo, s24
	s_cbranch_vccz .LBB206_339
; %bb.330:
	s_wait_xcnt 0x0
	v_cndmask_b32_e64 v3, 0, 1.0, s1
	s_mov_b32 s24, exec_lo
                                        ; implicit-def: $vgpr2
	s_delay_alu instid0(VALU_DEP_1)
	v_cmpx_gt_u32_e32 0x43f00000, v3
	s_xor_b32 s24, exec_lo, s24
	s_cbranch_execz .LBB206_336
; %bb.331:
	s_mov_b32 s25, exec_lo
                                        ; implicit-def: $vgpr2
	v_cmpx_lt_u32_e32 0x3c7fffff, v3
	s_xor_b32 s25, exec_lo, s25
; %bb.332:
	v_bfe_u32 v2, v3, 20, 1
	s_delay_alu instid0(VALU_DEP_1) | instskip(NEXT) | instid1(VALU_DEP_1)
	v_add3_u32 v2, v3, v2, 0x407ffff
	v_and_b32_e32 v3, 0xff00000, v2
	v_lshrrev_b32_e32 v2, 20, v2
	s_delay_alu instid0(VALU_DEP_2) | instskip(NEXT) | instid1(VALU_DEP_2)
	v_cmp_ne_u32_e32 vcc_lo, 0x7f00000, v3
                                        ; implicit-def: $vgpr3
	v_cndmask_b32_e32 v2, 0x7e, v2, vcc_lo
; %bb.333:
	s_and_not1_saveexec_b32 s25, s25
; %bb.334:
	v_add_f32_e32 v2, 0x46800000, v3
; %bb.335:
	s_or_b32 exec_lo, exec_lo, s25
                                        ; implicit-def: $vgpr3
.LBB206_336:
	s_and_not1_saveexec_b32 s24, s24
; %bb.337:
	v_mov_b32_e32 v2, 0x7f
	v_cmp_lt_u32_e32 vcc_lo, 0x7f800000, v3
	s_delay_alu instid0(VALU_DEP_2)
	v_cndmask_b32_e32 v2, 0x7e, v2, vcc_lo
; %bb.338:
	s_or_b32 exec_lo, exec_lo, s24
	global_store_b8 v[0:1], v2, off
.LBB206_339:
	s_mov_b32 s24, 0
.LBB206_340:
	s_delay_alu instid0(SALU_CYCLE_1)
	s_and_not1_b32 vcc_lo, exec_lo, s24
	s_cbranch_vccnz .LBB206_350
; %bb.341:
	s_wait_xcnt 0x0
	v_cndmask_b32_e64 v3, 0, 1.0, s1
	s_mov_b32 s24, exec_lo
                                        ; implicit-def: $vgpr2
	s_delay_alu instid0(VALU_DEP_1)
	v_cmpx_gt_u32_e32 0x47800000, v3
	s_xor_b32 s24, exec_lo, s24
	s_cbranch_execz .LBB206_347
; %bb.342:
	s_mov_b32 s25, exec_lo
                                        ; implicit-def: $vgpr2
	v_cmpx_lt_u32_e32 0x387fffff, v3
	s_xor_b32 s25, exec_lo, s25
; %bb.343:
	v_bfe_u32 v2, v3, 21, 1
	s_delay_alu instid0(VALU_DEP_1) | instskip(NEXT) | instid1(VALU_DEP_1)
	v_add3_u32 v2, v3, v2, 0x80fffff
                                        ; implicit-def: $vgpr3
	v_lshrrev_b32_e32 v2, 21, v2
; %bb.344:
	s_and_not1_saveexec_b32 s25, s25
; %bb.345:
	v_add_f32_e32 v2, 0x43000000, v3
; %bb.346:
	s_or_b32 exec_lo, exec_lo, s25
                                        ; implicit-def: $vgpr3
.LBB206_347:
	s_and_not1_saveexec_b32 s24, s24
; %bb.348:
	v_mov_b32_e32 v2, 0x7f
	v_cmp_lt_u32_e32 vcc_lo, 0x7f800000, v3
	s_delay_alu instid0(VALU_DEP_2)
	v_cndmask_b32_e32 v2, 0x7c, v2, vcc_lo
; %bb.349:
	s_or_b32 exec_lo, exec_lo, s24
	global_store_b8 v[0:1], v2, off
.LBB206_350:
	s_mov_b32 s25, 0
	s_mov_b32 s24, -1
.LBB206_351:
	s_and_not1_b32 vcc_lo, exec_lo, s25
	s_cbranch_vccnz .LBB206_359
; %bb.352:
	s_cmp_gt_i32 s23, 14
	s_mov_b32 s25, -1
	s_cbranch_scc0 .LBB206_356
; %bb.353:
	s_cmp_eq_u32 s23, 15
	s_mov_b32 s2, -1
	s_cbranch_scc0 .LBB206_355
; %bb.354:
	s_wait_xcnt 0x0
	v_cndmask_b32_e64 v2, 0, 1.0, s1
	s_mov_b32 s24, -1
	s_mov_b32 s2, 0
	s_delay_alu instid0(VALU_DEP_1) | instskip(NEXT) | instid1(VALU_DEP_1)
	v_bfe_u32 v3, v2, 16, 1
	v_add3_u32 v2, v2, v3, 0x7fff
	global_store_d16_hi_b16 v[0:1], v2, off
.LBB206_355:
	s_mov_b32 s25, 0
.LBB206_356:
	s_delay_alu instid0(SALU_CYCLE_1)
	s_and_b32 vcc_lo, exec_lo, s25
	s_cbranch_vccz .LBB206_359
; %bb.357:
	s_cmp_eq_u32 s23, 11
	s_mov_b32 s2, -1
	s_cbranch_scc0 .LBB206_359
; %bb.358:
	s_wait_xcnt 0x0
	v_cndmask_b32_e64 v2, 0, 1, s1
	s_mov_b32 s24, -1
	s_mov_b32 s2, 0
	global_store_b8 v[0:1], v2, off
.LBB206_359:
	s_mov_b32 s23, 0
.LBB206_360:
	s_delay_alu instid0(SALU_CYCLE_1)
	s_and_b32 vcc_lo, exec_lo, s23
	s_cbranch_vccz .LBB206_399
; %bb.361:
	s_and_b32 s21, 0xffff, s21
	s_mov_b32 s23, -1
	s_cmp_lt_i32 s21, 5
	s_cbranch_scc1 .LBB206_382
; %bb.362:
	s_cmp_lt_i32 s21, 8
	s_cbranch_scc1 .LBB206_372
; %bb.363:
	;; [unrolled: 3-line block ×3, first 2 shown]
	s_cmp_gt_i32 s21, 9
	s_cbranch_scc0 .LBB206_366
; %bb.365:
	s_wait_xcnt 0x0
	v_cndmask_b32_e64 v2, 0, 1, s1
	v_mov_b32_e32 v8, 0
	s_mov_b32 s23, 0
	s_delay_alu instid0(VALU_DEP_2) | instskip(NEXT) | instid1(VALU_DEP_2)
	v_cvt_f64_u32_e32 v[6:7], v2
	v_mov_b32_e32 v9, v8
	global_store_b128 v[0:1], v[6:9], off
.LBB206_366:
	s_and_not1_b32 vcc_lo, exec_lo, s23
	s_cbranch_vccnz .LBB206_368
; %bb.367:
	s_wait_xcnt 0x0
	v_cndmask_b32_e64 v2, 0, 1.0, s1
	v_mov_b32_e32 v3, 0
	global_store_b64 v[0:1], v[2:3], off
.LBB206_368:
	s_mov_b32 s23, 0
.LBB206_369:
	s_delay_alu instid0(SALU_CYCLE_1)
	s_and_not1_b32 vcc_lo, exec_lo, s23
	s_cbranch_vccnz .LBB206_371
; %bb.370:
	s_wait_xcnt 0x0
	v_cndmask_b32_e64 v2, 0, 1.0, s1
	s_delay_alu instid0(VALU_DEP_1) | instskip(NEXT) | instid1(VALU_DEP_1)
	v_cvt_f16_f32_e32 v2, v2
	v_and_b32_e32 v2, 0xffff, v2
	global_store_b32 v[0:1], v2, off
.LBB206_371:
	s_mov_b32 s23, 0
.LBB206_372:
	s_delay_alu instid0(SALU_CYCLE_1)
	s_and_not1_b32 vcc_lo, exec_lo, s23
	s_cbranch_vccnz .LBB206_381
; %bb.373:
	s_cmp_lt_i32 s21, 6
	s_mov_b32 s23, -1
	s_cbranch_scc1 .LBB206_379
; %bb.374:
	s_cmp_gt_i32 s21, 6
	s_cbranch_scc0 .LBB206_376
; %bb.375:
	s_wait_xcnt 0x0
	v_cndmask_b32_e64 v2, 0, 1, s1
	s_mov_b32 s23, 0
	s_delay_alu instid0(VALU_DEP_1)
	v_cvt_f64_u32_e32 v[2:3], v2
	global_store_b64 v[0:1], v[2:3], off
.LBB206_376:
	s_and_not1_b32 vcc_lo, exec_lo, s23
	s_cbranch_vccnz .LBB206_378
; %bb.377:
	s_wait_xcnt 0x0
	v_cndmask_b32_e64 v2, 0, 1.0, s1
	global_store_b32 v[0:1], v2, off
.LBB206_378:
	s_mov_b32 s23, 0
.LBB206_379:
	s_delay_alu instid0(SALU_CYCLE_1)
	s_and_not1_b32 vcc_lo, exec_lo, s23
	s_cbranch_vccnz .LBB206_381
; %bb.380:
	s_wait_xcnt 0x0
	v_cndmask_b32_e64 v2, 0, 1.0, s1
	s_delay_alu instid0(VALU_DEP_1)
	v_cvt_f16_f32_e32 v2, v2
	global_store_b16 v[0:1], v2, off
.LBB206_381:
	s_mov_b32 s23, 0
.LBB206_382:
	s_delay_alu instid0(SALU_CYCLE_1)
	s_and_not1_b32 vcc_lo, exec_lo, s23
	s_cbranch_vccnz .LBB206_398
; %bb.383:
	s_cmp_lt_i32 s21, 2
	s_mov_b32 s23, -1
	s_cbranch_scc1 .LBB206_393
; %bb.384:
	s_cmp_lt_i32 s21, 3
	s_cbranch_scc1 .LBB206_390
; %bb.385:
	s_cmp_gt_i32 s21, 3
	s_cbranch_scc0 .LBB206_387
; %bb.386:
	s_mov_b32 s23, 0
	s_wait_xcnt 0x0
	v_cndmask_b32_e64 v2, 0, 1, s1
	v_mov_b32_e32 v3, s23
	global_store_b64 v[0:1], v[2:3], off
.LBB206_387:
	s_and_not1_b32 vcc_lo, exec_lo, s23
	s_cbranch_vccnz .LBB206_389
; %bb.388:
	s_wait_xcnt 0x0
	v_cndmask_b32_e64 v2, 0, 1, s1
	global_store_b32 v[0:1], v2, off
.LBB206_389:
	s_mov_b32 s23, 0
.LBB206_390:
	s_delay_alu instid0(SALU_CYCLE_1)
	s_and_not1_b32 vcc_lo, exec_lo, s23
	s_cbranch_vccnz .LBB206_392
; %bb.391:
	s_wait_xcnt 0x0
	v_cndmask_b32_e64 v2, 0, 1, s1
	global_store_b16 v[0:1], v2, off
.LBB206_392:
	s_mov_b32 s23, 0
.LBB206_393:
	s_delay_alu instid0(SALU_CYCLE_1)
	s_and_not1_b32 vcc_lo, exec_lo, s23
	s_cbranch_vccnz .LBB206_398
; %bb.394:
	s_wait_xcnt 0x0
	v_cndmask_b32_e64 v2, 0, 1, s1
	s_cmp_gt_i32 s21, 0
	s_mov_b32 s1, -1
	s_cbranch_scc0 .LBB206_396
; %bb.395:
	s_mov_b32 s1, 0
	global_store_b8 v[0:1], v2, off
.LBB206_396:
	s_and_not1_b32 vcc_lo, exec_lo, s1
	s_cbranch_vccnz .LBB206_398
; %bb.397:
	global_store_b8 v[0:1], v2, off
.LBB206_398:
	s_mov_b32 s24, -1
.LBB206_399:
	s_delay_alu instid0(SALU_CYCLE_1)
	s_and_not1_b32 vcc_lo, exec_lo, s24
	s_cbranch_vccnz .LBB206_401
; %bb.400:
	v_add_nc_u32_e32 v4, 0x80, v4
	s_mov_b32 s1, -1
	s_branch .LBB206_514
.LBB206_401:
	s_mov_b32 s1, 0
	s_branch .LBB206_513
.LBB206_402:
	s_mov_b32 s20, -1
                                        ; implicit-def: $vgpr2
.LBB206_403:
	s_mov_b32 s21, 0
.LBB206_404:
	s_delay_alu instid0(SALU_CYCLE_1)
	s_and_b32 vcc_lo, exec_lo, s21
	s_cbranch_vccz .LBB206_408
; %bb.405:
	s_cmp_eq_u32 s1, 29
	s_cbranch_scc0 .LBB206_407
; %bb.406:
	s_wait_loadcnt 0x0
	global_load_b64 v[2:3], v[0:1], off
	s_mov_b32 s2, -1
	s_mov_b32 s20, 0
	s_mov_b32 s21, 0
	s_wait_loadcnt 0x0
	v_clz_i32_u32_e32 v5, v3
	s_delay_alu instid0(VALU_DEP_1) | instskip(NEXT) | instid1(VALU_DEP_1)
	v_min_u32_e32 v5, 32, v5
	v_lshlrev_b64_e32 v[2:3], v5, v[2:3]
	s_delay_alu instid0(VALU_DEP_1) | instskip(NEXT) | instid1(VALU_DEP_1)
	v_min_u32_e32 v2, 1, v2
	v_dual_sub_nc_u32 v3, 32, v5 :: v_dual_bitop2_b32 v2, v3, v2 bitop3:0x54
	s_delay_alu instid0(VALU_DEP_1) | instskip(NEXT) | instid1(VALU_DEP_1)
	v_cvt_f32_u32_e32 v2, v2
	v_ldexp_f32 v2, v2, v3
	s_delay_alu instid0(VALU_DEP_1) | instskip(NEXT) | instid1(VALU_DEP_1)
	v_bfe_u32 v3, v2, 16, 1
	v_add3_u32 v2, v2, v3, 0x7fff
	s_delay_alu instid0(VALU_DEP_1)
	v_lshrrev_b32_e32 v2, 16, v2
	s_branch .LBB206_409
.LBB206_407:
	s_mov_b32 s20, -1
                                        ; implicit-def: $vgpr2
.LBB206_408:
	s_mov_b32 s21, 0
.LBB206_409:
	s_delay_alu instid0(SALU_CYCLE_1)
	s_and_b32 vcc_lo, exec_lo, s21
	s_cbranch_vccz .LBB206_427
; %bb.410:
	s_cmp_lt_i32 s1, 27
	s_cbranch_scc1 .LBB206_413
; %bb.411:
	s_cmp_gt_i32 s1, 27
	s_cbranch_scc0 .LBB206_414
; %bb.412:
	s_wait_loadcnt 0x0
	global_load_b32 v2, v[0:1], off
	s_mov_b32 s2, 0
	s_wait_loadcnt 0x0
	v_cvt_f32_u32_e32 v2, v2
	s_delay_alu instid0(VALU_DEP_1) | instskip(NEXT) | instid1(VALU_DEP_1)
	v_bfe_u32 v3, v2, 16, 1
	v_add3_u32 v2, v2, v3, 0x7fff
	s_delay_alu instid0(VALU_DEP_1)
	v_lshrrev_b32_e32 v2, 16, v2
	s_branch .LBB206_415
.LBB206_413:
	s_mov_b32 s2, -1
                                        ; implicit-def: $vgpr2
	s_branch .LBB206_418
.LBB206_414:
	s_mov_b32 s2, -1
                                        ; implicit-def: $vgpr2
.LBB206_415:
	s_delay_alu instid0(SALU_CYCLE_1)
	s_and_not1_b32 vcc_lo, exec_lo, s2
	s_cbranch_vccnz .LBB206_417
; %bb.416:
	s_wait_loadcnt 0x0
	global_load_u16 v2, v[0:1], off
	s_wait_loadcnt 0x0
	v_cvt_f32_u32_e32 v2, v2
	s_delay_alu instid0(VALU_DEP_1) | instskip(NEXT) | instid1(VALU_DEP_1)
	v_bfe_u32 v3, v2, 16, 1
	v_add3_u32 v2, v2, v3, 0x7fff
	s_delay_alu instid0(VALU_DEP_1)
	v_lshrrev_b32_e32 v2, 16, v2
.LBB206_417:
	s_mov_b32 s2, 0
.LBB206_418:
	s_delay_alu instid0(SALU_CYCLE_1)
	s_and_not1_b32 vcc_lo, exec_lo, s2
	s_cbranch_vccnz .LBB206_426
; %bb.419:
	s_wait_loadcnt 0x0
	global_load_u8 v2, v[0:1], off
	s_mov_b32 s2, 0
	s_mov_b32 s21, exec_lo
	s_wait_loadcnt 0x0
	v_cmpx_lt_i16_e32 0x7f, v2
	s_xor_b32 s21, exec_lo, s21
	s_cbranch_execz .LBB206_440
; %bb.420:
	s_mov_b32 s2, -1
	s_mov_b32 s23, exec_lo
	v_cmpx_eq_u16_e32 0x80, v2
; %bb.421:
	s_xor_b32 s2, exec_lo, -1
; %bb.422:
	s_or_b32 exec_lo, exec_lo, s23
	s_delay_alu instid0(SALU_CYCLE_1)
	s_and_b32 s2, s2, exec_lo
	s_or_saveexec_b32 s21, s21
	v_mov_b32_e32 v3, 0x7f800001
	s_xor_b32 exec_lo, exec_lo, s21
	s_cbranch_execnz .LBB206_441
.LBB206_423:
	s_or_b32 exec_lo, exec_lo, s21
	s_and_saveexec_b32 s21, s2
	s_cbranch_execz .LBB206_425
.LBB206_424:
	v_and_b32_e32 v3, 0xffff, v2
	s_delay_alu instid0(VALU_DEP_1) | instskip(SKIP_1) | instid1(VALU_DEP_2)
	v_and_b32_e32 v5, 7, v3
	v_bfe_u32 v8, v3, 3, 4
	v_clz_i32_u32_e32 v6, v5
	s_delay_alu instid0(VALU_DEP_2) | instskip(NEXT) | instid1(VALU_DEP_2)
	v_cmp_eq_u32_e32 vcc_lo, 0, v8
	v_min_u32_e32 v6, 32, v6
	s_delay_alu instid0(VALU_DEP_1) | instskip(NEXT) | instid1(VALU_DEP_1)
	v_subrev_nc_u32_e32 v7, 28, v6
	v_dual_lshlrev_b32 v3, v7, v3 :: v_dual_sub_nc_u32 v6, 29, v6
	s_delay_alu instid0(VALU_DEP_1) | instskip(NEXT) | instid1(VALU_DEP_1)
	v_dual_lshlrev_b32 v2, 24, v2 :: v_dual_bitop2_b32 v3, 7, v3 bitop3:0x40
	v_dual_cndmask_b32 v3, v5, v3 :: v_dual_cndmask_b32 v6, v8, v6
	s_delay_alu instid0(VALU_DEP_2) | instskip(NEXT) | instid1(VALU_DEP_2)
	v_and_b32_e32 v2, 0x80000000, v2
	v_lshlrev_b32_e32 v3, 20, v3
	s_delay_alu instid0(VALU_DEP_3) | instskip(NEXT) | instid1(VALU_DEP_1)
	v_lshl_add_u32 v5, v6, 23, 0x3b800000
	v_or3_b32 v3, v2, v5, v3
.LBB206_425:
	s_or_b32 exec_lo, exec_lo, s21
	s_delay_alu instid0(VALU_DEP_1) | instskip(SKIP_1) | instid1(VALU_DEP_2)
	v_bfe_u32 v2, v3, 16, 1
	v_cmp_o_f32_e32 vcc_lo, v3, v3
	v_add3_u32 v2, v3, v2, 0x7fff
	s_delay_alu instid0(VALU_DEP_1) | instskip(NEXT) | instid1(VALU_DEP_1)
	v_lshrrev_b32_e32 v2, 16, v2
	v_cndmask_b32_e32 v2, 0x7fc0, v2, vcc_lo
.LBB206_426:
	s_mov_b32 s2, -1
.LBB206_427:
	s_mov_b32 s21, 0
.LBB206_428:
	s_delay_alu instid0(SALU_CYCLE_1)
	s_and_b32 vcc_lo, exec_lo, s21
	s_cbranch_vccz .LBB206_463
; %bb.429:
	s_cmp_gt_i32 s1, 22
	s_cbranch_scc0 .LBB206_439
; %bb.430:
	s_cmp_lt_i32 s1, 24
	s_cbranch_scc1 .LBB206_442
; %bb.431:
	s_cmp_gt_i32 s1, 24
	s_cbranch_scc0 .LBB206_443
; %bb.432:
	s_wait_loadcnt 0x0
	global_load_u8 v2, v[0:1], off
	s_mov_b32 s2, 0
	s_mov_b32 s21, exec_lo
	s_wait_loadcnt 0x0
	v_cmpx_lt_i16_e32 0x7f, v2
	s_xor_b32 s21, exec_lo, s21
	s_cbranch_execz .LBB206_455
; %bb.433:
	s_mov_b32 s2, -1
	s_mov_b32 s23, exec_lo
	v_cmpx_eq_u16_e32 0x80, v2
; %bb.434:
	s_xor_b32 s2, exec_lo, -1
; %bb.435:
	s_or_b32 exec_lo, exec_lo, s23
	s_delay_alu instid0(SALU_CYCLE_1)
	s_and_b32 s2, s2, exec_lo
	s_or_saveexec_b32 s21, s21
	v_mov_b32_e32 v3, 0x7f800001
	s_xor_b32 exec_lo, exec_lo, s21
	s_cbranch_execnz .LBB206_456
.LBB206_436:
	s_or_b32 exec_lo, exec_lo, s21
	s_and_saveexec_b32 s21, s2
	s_cbranch_execz .LBB206_438
.LBB206_437:
	v_and_b32_e32 v3, 0xffff, v2
	s_delay_alu instid0(VALU_DEP_1) | instskip(SKIP_1) | instid1(VALU_DEP_2)
	v_and_b32_e32 v5, 3, v3
	v_bfe_u32 v8, v3, 2, 5
	v_clz_i32_u32_e32 v6, v5
	s_delay_alu instid0(VALU_DEP_2) | instskip(NEXT) | instid1(VALU_DEP_2)
	v_cmp_eq_u32_e32 vcc_lo, 0, v8
	v_min_u32_e32 v6, 32, v6
	s_delay_alu instid0(VALU_DEP_1) | instskip(NEXT) | instid1(VALU_DEP_1)
	v_subrev_nc_u32_e32 v7, 29, v6
	v_dual_lshlrev_b32 v3, v7, v3 :: v_dual_sub_nc_u32 v6, 30, v6
	s_delay_alu instid0(VALU_DEP_1) | instskip(NEXT) | instid1(VALU_DEP_1)
	v_dual_lshlrev_b32 v2, 24, v2 :: v_dual_bitop2_b32 v3, 3, v3 bitop3:0x40
	v_dual_cndmask_b32 v3, v5, v3 :: v_dual_cndmask_b32 v6, v8, v6
	s_delay_alu instid0(VALU_DEP_2) | instskip(NEXT) | instid1(VALU_DEP_2)
	v_and_b32_e32 v2, 0x80000000, v2
	v_lshlrev_b32_e32 v3, 21, v3
	s_delay_alu instid0(VALU_DEP_3) | instskip(NEXT) | instid1(VALU_DEP_1)
	v_lshl_add_u32 v5, v6, 23, 0x37800000
	v_or3_b32 v3, v2, v5, v3
.LBB206_438:
	s_or_b32 exec_lo, exec_lo, s21
	s_delay_alu instid0(VALU_DEP_1) | instskip(SKIP_2) | instid1(VALU_DEP_2)
	v_bfe_u32 v2, v3, 16, 1
	v_cmp_o_f32_e32 vcc_lo, v3, v3
	s_mov_b32 s2, 0
	v_add3_u32 v2, v3, v2, 0x7fff
	s_delay_alu instid0(VALU_DEP_1) | instskip(NEXT) | instid1(VALU_DEP_1)
	v_lshrrev_b32_e32 v2, 16, v2
	v_cndmask_b32_e32 v2, 0x7fc0, v2, vcc_lo
	s_branch .LBB206_444
.LBB206_439:
	s_mov_b32 s21, -1
                                        ; implicit-def: $vgpr2
	s_branch .LBB206_450
.LBB206_440:
	s_or_saveexec_b32 s21, s21
	v_mov_b32_e32 v3, 0x7f800001
	s_xor_b32 exec_lo, exec_lo, s21
	s_cbranch_execz .LBB206_423
.LBB206_441:
	v_cmp_ne_u16_e32 vcc_lo, 0, v2
	v_mov_b32_e32 v3, 0
	s_and_not1_b32 s2, s2, exec_lo
	s_and_b32 s23, vcc_lo, exec_lo
	s_delay_alu instid0(SALU_CYCLE_1)
	s_or_b32 s2, s2, s23
	s_or_b32 exec_lo, exec_lo, s21
	s_and_saveexec_b32 s21, s2
	s_cbranch_execnz .LBB206_424
	s_branch .LBB206_425
.LBB206_442:
	s_mov_b32 s2, -1
                                        ; implicit-def: $vgpr2
	s_branch .LBB206_447
.LBB206_443:
	s_mov_b32 s2, -1
                                        ; implicit-def: $vgpr2
.LBB206_444:
	s_delay_alu instid0(SALU_CYCLE_1)
	s_and_b32 vcc_lo, exec_lo, s2
	s_cbranch_vccz .LBB206_446
; %bb.445:
	s_wait_loadcnt 0x0
	global_load_u8 v2, v[0:1], off
	s_wait_loadcnt 0x0
	v_lshlrev_b32_e32 v2, 24, v2
	s_delay_alu instid0(VALU_DEP_1) | instskip(NEXT) | instid1(VALU_DEP_1)
	v_and_b32_e32 v3, 0x7f000000, v2
	v_clz_i32_u32_e32 v5, v3
	v_add_nc_u32_e32 v7, 0x1000000, v3
	v_cmp_ne_u32_e32 vcc_lo, 0, v3
	s_delay_alu instid0(VALU_DEP_3) | instskip(NEXT) | instid1(VALU_DEP_1)
	v_min_u32_e32 v5, 32, v5
	v_sub_nc_u32_e64 v5, v5, 4 clamp
	s_delay_alu instid0(VALU_DEP_1) | instskip(NEXT) | instid1(VALU_DEP_1)
	v_dual_lshlrev_b32 v6, v5, v3 :: v_dual_lshlrev_b32 v5, 23, v5
	v_lshrrev_b32_e32 v6, 4, v6
	s_delay_alu instid0(VALU_DEP_1) | instskip(NEXT) | instid1(VALU_DEP_1)
	v_dual_sub_nc_u32 v5, v6, v5 :: v_dual_ashrrev_i32 v6, 8, v7
	v_add_nc_u32_e32 v5, 0x3c000000, v5
	s_delay_alu instid0(VALU_DEP_1) | instskip(NEXT) | instid1(VALU_DEP_1)
	v_and_or_b32 v5, 0x7f800000, v6, v5
	v_cndmask_b32_e32 v3, 0, v5, vcc_lo
	s_delay_alu instid0(VALU_DEP_1) | instskip(SKIP_1) | instid1(VALU_DEP_2)
	v_and_or_b32 v2, 0x80000000, v2, v3
	v_bfe_u32 v3, v3, 16, 1
	v_cmp_o_f32_e32 vcc_lo, v2, v2
	s_delay_alu instid0(VALU_DEP_2) | instskip(NEXT) | instid1(VALU_DEP_1)
	v_add3_u32 v3, v2, v3, 0x7fff
	v_lshrrev_b32_e32 v3, 16, v3
	s_delay_alu instid0(VALU_DEP_1)
	v_cndmask_b32_e32 v2, 0x7fc0, v3, vcc_lo
.LBB206_446:
	s_mov_b32 s2, 0
.LBB206_447:
	s_delay_alu instid0(SALU_CYCLE_1)
	s_and_not1_b32 vcc_lo, exec_lo, s2
	s_cbranch_vccnz .LBB206_449
; %bb.448:
	s_wait_loadcnt 0x0
	global_load_u8 v2, v[0:1], off
	s_wait_loadcnt 0x0
	v_lshlrev_b32_e32 v3, 25, v2
	v_lshlrev_b16 v2, 8, v2
	s_delay_alu instid0(VALU_DEP_2) | instskip(NEXT) | instid1(VALU_DEP_2)
	v_cmp_gt_u32_e32 vcc_lo, 0x8000000, v3
	v_and_or_b32 v6, 0x7f00, v2, 0.5
	v_lshrrev_b32_e32 v5, 4, v3
	v_bfe_i32 v2, v2, 0, 16
	s_delay_alu instid0(VALU_DEP_3) | instskip(NEXT) | instid1(VALU_DEP_3)
	v_add_f32_e32 v6, -0.5, v6
	v_or_b32_e32 v5, 0x70000000, v5
	s_delay_alu instid0(VALU_DEP_1) | instskip(NEXT) | instid1(VALU_DEP_1)
	v_mul_f32_e32 v5, 0x7800000, v5
	v_cndmask_b32_e32 v3, v5, v6, vcc_lo
	s_delay_alu instid0(VALU_DEP_1) | instskip(SKIP_1) | instid1(VALU_DEP_2)
	v_and_or_b32 v2, 0x80000000, v2, v3
	v_bfe_u32 v3, v3, 16, 1
	v_cmp_o_f32_e32 vcc_lo, v2, v2
	s_delay_alu instid0(VALU_DEP_2) | instskip(NEXT) | instid1(VALU_DEP_1)
	v_add3_u32 v3, v2, v3, 0x7fff
	v_lshrrev_b32_e32 v3, 16, v3
	s_delay_alu instid0(VALU_DEP_1)
	v_cndmask_b32_e32 v2, 0x7fc0, v3, vcc_lo
.LBB206_449:
	s_mov_b32 s21, 0
	s_mov_b32 s2, -1
.LBB206_450:
	s_and_not1_b32 vcc_lo, exec_lo, s21
	s_cbranch_vccnz .LBB206_463
; %bb.451:
	s_cmp_gt_i32 s1, 14
	s_cbranch_scc0 .LBB206_454
; %bb.452:
	s_cmp_eq_u32 s1, 15
	s_cbranch_scc0 .LBB206_457
; %bb.453:
	s_wait_loadcnt 0x0
	global_load_u16 v2, v[0:1], off
	s_mov_b32 s2, -1
	s_mov_b32 s20, 0
	s_branch .LBB206_458
.LBB206_454:
	s_mov_b32 s21, -1
                                        ; implicit-def: $vgpr2
	s_branch .LBB206_459
.LBB206_455:
	s_or_saveexec_b32 s21, s21
	v_mov_b32_e32 v3, 0x7f800001
	s_xor_b32 exec_lo, exec_lo, s21
	s_cbranch_execz .LBB206_436
.LBB206_456:
	v_cmp_ne_u16_e32 vcc_lo, 0, v2
	v_mov_b32_e32 v3, 0
	s_and_not1_b32 s2, s2, exec_lo
	s_and_b32 s23, vcc_lo, exec_lo
	s_delay_alu instid0(SALU_CYCLE_1)
	s_or_b32 s2, s2, s23
	s_or_b32 exec_lo, exec_lo, s21
	s_and_saveexec_b32 s21, s2
	s_cbranch_execnz .LBB206_437
	s_branch .LBB206_438
.LBB206_457:
	s_mov_b32 s20, -1
                                        ; implicit-def: $vgpr2
.LBB206_458:
	s_mov_b32 s21, 0
.LBB206_459:
	s_delay_alu instid0(SALU_CYCLE_1)
	s_and_b32 vcc_lo, exec_lo, s21
	s_cbranch_vccz .LBB206_463
; %bb.460:
	s_cmp_eq_u32 s1, 11
	s_cbranch_scc0 .LBB206_462
; %bb.461:
	s_wait_loadcnt 0x0
	global_load_u8 v2, v[0:1], off
	s_mov_b32 s20, 0
	s_mov_b32 s2, -1
	s_wait_loadcnt 0x0
	v_cmp_ne_u16_e32 vcc_lo, 0, v2
	v_cndmask_b32_e64 v2, 0, 1.0, vcc_lo
	s_delay_alu instid0(VALU_DEP_1)
	v_lshrrev_b32_e32 v2, 16, v2
	s_branch .LBB206_463
.LBB206_462:
	s_mov_b32 s20, -1
                                        ; implicit-def: $vgpr2
.LBB206_463:
	s_branch .LBB206_265
.LBB206_464:
	s_cmp_lt_i32 s1, 5
	s_cbranch_scc1 .LBB206_469
; %bb.465:
	s_cmp_lt_i32 s1, 8
	s_cbranch_scc1 .LBB206_470
; %bb.466:
	;; [unrolled: 3-line block ×3, first 2 shown]
	s_cmp_gt_i32 s1, 9
	s_cbranch_scc0 .LBB206_472
; %bb.468:
	s_wait_loadcnt 0x0
	global_load_b64 v[2:3], v[0:1], off
	s_mov_b32 s2, 0
	s_wait_loadcnt 0x0
	v_cvt_f32_f64_e32 v2, v[2:3]
	s_delay_alu instid0(VALU_DEP_1) | instskip(SKIP_1) | instid1(VALU_DEP_2)
	v_bfe_u32 v3, v2, 16, 1
	v_cmp_o_f32_e32 vcc_lo, v2, v2
	v_add3_u32 v3, v2, v3, 0x7fff
	s_delay_alu instid0(VALU_DEP_1) | instskip(NEXT) | instid1(VALU_DEP_1)
	v_lshrrev_b32_e32 v3, 16, v3
	v_cndmask_b32_e32 v2, 0x7fc0, v3, vcc_lo
	s_branch .LBB206_473
.LBB206_469:
	s_mov_b32 s2, -1
                                        ; implicit-def: $vgpr2
	s_branch .LBB206_491
.LBB206_470:
	s_mov_b32 s2, -1
                                        ; implicit-def: $vgpr2
	s_branch .LBB206_479
.LBB206_471:
	s_mov_b32 s2, -1
                                        ; implicit-def: $vgpr2
	s_branch .LBB206_476
.LBB206_472:
	s_mov_b32 s2, -1
                                        ; implicit-def: $vgpr2
.LBB206_473:
	s_delay_alu instid0(SALU_CYCLE_1)
	s_and_not1_b32 vcc_lo, exec_lo, s2
	s_cbranch_vccnz .LBB206_475
; %bb.474:
	s_wait_loadcnt 0x0
	global_load_b32 v2, v[0:1], off
	s_wait_loadcnt 0x0
	v_bfe_u32 v3, v2, 16, 1
	v_cmp_o_f32_e32 vcc_lo, v2, v2
	s_delay_alu instid0(VALU_DEP_2) | instskip(NEXT) | instid1(VALU_DEP_1)
	v_add3_u32 v3, v2, v3, 0x7fff
	v_lshrrev_b32_e32 v3, 16, v3
	s_delay_alu instid0(VALU_DEP_1)
	v_cndmask_b32_e32 v2, 0x7fc0, v3, vcc_lo
.LBB206_475:
	s_mov_b32 s2, 0
.LBB206_476:
	s_delay_alu instid0(SALU_CYCLE_1)
	s_and_not1_b32 vcc_lo, exec_lo, s2
	s_cbranch_vccnz .LBB206_478
; %bb.477:
	s_wait_loadcnt 0x0
	global_load_b32 v2, v[0:1], off
	s_wait_loadcnt 0x0
	v_cvt_f32_f16_e32 v3, v2
	v_cmp_o_f16_e32 vcc_lo, v2, v2
	s_delay_alu instid0(VALU_DEP_2) | instskip(NEXT) | instid1(VALU_DEP_1)
	v_bfe_u32 v5, v3, 16, 1
	v_add3_u32 v3, v3, v5, 0x7fff
	s_delay_alu instid0(VALU_DEP_1) | instskip(NEXT) | instid1(VALU_DEP_1)
	v_lshrrev_b32_e32 v3, 16, v3
	v_cndmask_b32_e32 v2, 0x7fc0, v3, vcc_lo
.LBB206_478:
	s_mov_b32 s2, 0
.LBB206_479:
	s_delay_alu instid0(SALU_CYCLE_1)
	s_and_not1_b32 vcc_lo, exec_lo, s2
	s_cbranch_vccnz .LBB206_490
; %bb.480:
	s_cmp_lt_i32 s1, 6
	s_cbranch_scc1 .LBB206_483
; %bb.481:
	s_cmp_gt_i32 s1, 6
	s_cbranch_scc0 .LBB206_484
; %bb.482:
	s_wait_loadcnt 0x0
	global_load_b64 v[2:3], v[0:1], off
	s_mov_b32 s2, 0
	s_wait_loadcnt 0x0
	v_cvt_f32_f64_e32 v2, v[2:3]
	s_delay_alu instid0(VALU_DEP_1) | instskip(SKIP_1) | instid1(VALU_DEP_2)
	v_bfe_u32 v3, v2, 16, 1
	v_cmp_o_f32_e32 vcc_lo, v2, v2
	v_add3_u32 v3, v2, v3, 0x7fff
	s_delay_alu instid0(VALU_DEP_1) | instskip(NEXT) | instid1(VALU_DEP_1)
	v_lshrrev_b32_e32 v3, 16, v3
	v_cndmask_b32_e32 v2, 0x7fc0, v3, vcc_lo
	s_branch .LBB206_485
.LBB206_483:
	s_mov_b32 s2, -1
                                        ; implicit-def: $vgpr2
	s_branch .LBB206_488
.LBB206_484:
	s_mov_b32 s2, -1
                                        ; implicit-def: $vgpr2
.LBB206_485:
	s_delay_alu instid0(SALU_CYCLE_1)
	s_and_not1_b32 vcc_lo, exec_lo, s2
	s_cbranch_vccnz .LBB206_487
; %bb.486:
	s_wait_loadcnt 0x0
	global_load_b32 v2, v[0:1], off
	s_wait_loadcnt 0x0
	v_bfe_u32 v3, v2, 16, 1
	v_cmp_o_f32_e32 vcc_lo, v2, v2
	s_delay_alu instid0(VALU_DEP_2) | instskip(NEXT) | instid1(VALU_DEP_1)
	v_add3_u32 v3, v2, v3, 0x7fff
	v_lshrrev_b32_e32 v3, 16, v3
	s_delay_alu instid0(VALU_DEP_1)
	v_cndmask_b32_e32 v2, 0x7fc0, v3, vcc_lo
.LBB206_487:
	s_mov_b32 s2, 0
.LBB206_488:
	s_delay_alu instid0(SALU_CYCLE_1)
	s_and_not1_b32 vcc_lo, exec_lo, s2
	s_cbranch_vccnz .LBB206_490
; %bb.489:
	s_wait_loadcnt 0x0
	global_load_u16 v2, v[0:1], off
	s_wait_loadcnt 0x0
	v_cvt_f32_f16_e32 v3, v2
	v_cmp_o_f16_e32 vcc_lo, v2, v2
	s_delay_alu instid0(VALU_DEP_2) | instskip(NEXT) | instid1(VALU_DEP_1)
	v_bfe_u32 v5, v3, 16, 1
	v_add3_u32 v3, v3, v5, 0x7fff
	s_delay_alu instid0(VALU_DEP_1) | instskip(NEXT) | instid1(VALU_DEP_1)
	v_lshrrev_b32_e32 v3, 16, v3
	v_cndmask_b32_e32 v2, 0x7fc0, v3, vcc_lo
.LBB206_490:
	s_mov_b32 s2, 0
.LBB206_491:
	s_delay_alu instid0(SALU_CYCLE_1)
	s_and_not1_b32 vcc_lo, exec_lo, s2
	s_cbranch_vccnz .LBB206_511
; %bb.492:
	s_cmp_lt_i32 s1, 2
	s_cbranch_scc1 .LBB206_496
; %bb.493:
	s_cmp_lt_i32 s1, 3
	s_cbranch_scc1 .LBB206_497
; %bb.494:
	s_cmp_gt_i32 s1, 3
	s_cbranch_scc0 .LBB206_498
; %bb.495:
	s_wait_loadcnt 0x0
	global_load_b64 v[2:3], v[0:1], off
	s_mov_b32 s2, 0
	s_wait_loadcnt 0x0
	v_xor_b32_e32 v5, v2, v3
	v_cls_i32_e32 v6, v3
	s_delay_alu instid0(VALU_DEP_2) | instskip(NEXT) | instid1(VALU_DEP_1)
	v_ashrrev_i32_e32 v5, 31, v5
	v_add_nc_u32_e32 v5, 32, v5
	s_delay_alu instid0(VALU_DEP_1) | instskip(NEXT) | instid1(VALU_DEP_1)
	v_add_min_u32_e64 v5, v6, -1, v5
	v_lshlrev_b64_e32 v[2:3], v5, v[2:3]
	s_delay_alu instid0(VALU_DEP_1) | instskip(NEXT) | instid1(VALU_DEP_1)
	v_min_u32_e32 v2, 1, v2
	v_dual_sub_nc_u32 v3, 32, v5 :: v_dual_bitop2_b32 v2, v3, v2 bitop3:0x54
	s_delay_alu instid0(VALU_DEP_1) | instskip(NEXT) | instid1(VALU_DEP_1)
	v_cvt_f32_i32_e32 v2, v2
	v_ldexp_f32 v2, v2, v3
	s_delay_alu instid0(VALU_DEP_1) | instskip(NEXT) | instid1(VALU_DEP_1)
	v_bfe_u32 v3, v2, 16, 1
	v_add3_u32 v2, v2, v3, 0x7fff
	s_delay_alu instid0(VALU_DEP_1)
	v_lshrrev_b32_e32 v2, 16, v2
	s_branch .LBB206_499
.LBB206_496:
	s_mov_b32 s2, -1
                                        ; implicit-def: $vgpr2
	s_branch .LBB206_505
.LBB206_497:
	s_mov_b32 s2, -1
                                        ; implicit-def: $vgpr2
	s_branch .LBB206_502
.LBB206_498:
	s_mov_b32 s2, -1
                                        ; implicit-def: $vgpr2
.LBB206_499:
	s_delay_alu instid0(SALU_CYCLE_1)
	s_and_not1_b32 vcc_lo, exec_lo, s2
	s_cbranch_vccnz .LBB206_501
; %bb.500:
	s_wait_loadcnt 0x0
	global_load_b32 v2, v[0:1], off
	s_wait_loadcnt 0x0
	v_cvt_f32_i32_e32 v2, v2
	s_delay_alu instid0(VALU_DEP_1) | instskip(NEXT) | instid1(VALU_DEP_1)
	v_bfe_u32 v3, v2, 16, 1
	v_add3_u32 v2, v2, v3, 0x7fff
	s_delay_alu instid0(VALU_DEP_1)
	v_lshrrev_b32_e32 v2, 16, v2
.LBB206_501:
	s_mov_b32 s2, 0
.LBB206_502:
	s_delay_alu instid0(SALU_CYCLE_1)
	s_and_not1_b32 vcc_lo, exec_lo, s2
	s_cbranch_vccnz .LBB206_504
; %bb.503:
	s_wait_loadcnt 0x0
	global_load_i16 v2, v[0:1], off
	s_wait_loadcnt 0x0
	v_cvt_f32_i32_e32 v2, v2
	s_delay_alu instid0(VALU_DEP_1) | instskip(NEXT) | instid1(VALU_DEP_1)
	v_bfe_u32 v3, v2, 16, 1
	v_add3_u32 v2, v2, v3, 0x7fff
	s_delay_alu instid0(VALU_DEP_1)
	v_lshrrev_b32_e32 v2, 16, v2
.LBB206_504:
	s_mov_b32 s2, 0
.LBB206_505:
	s_delay_alu instid0(SALU_CYCLE_1)
	s_and_not1_b32 vcc_lo, exec_lo, s2
	s_cbranch_vccnz .LBB206_511
; %bb.506:
	s_cmp_gt_i32 s1, 0
	s_mov_b32 s1, 0
	s_cbranch_scc0 .LBB206_508
; %bb.507:
	s_wait_loadcnt 0x0
	global_load_i8 v2, v[0:1], off
	s_wait_loadcnt 0x0
	v_cvt_f32_i32_e32 v2, v2
	s_delay_alu instid0(VALU_DEP_1) | instskip(NEXT) | instid1(VALU_DEP_1)
	v_bfe_u32 v3, v2, 16, 1
	v_add3_u32 v2, v2, v3, 0x7fff
	s_delay_alu instid0(VALU_DEP_1)
	v_lshrrev_b32_e32 v2, 16, v2
	s_branch .LBB206_509
.LBB206_508:
	s_mov_b32 s1, -1
                                        ; implicit-def: $vgpr2
.LBB206_509:
	s_delay_alu instid0(SALU_CYCLE_1)
	s_and_not1_b32 vcc_lo, exec_lo, s1
	s_cbranch_vccnz .LBB206_511
; %bb.510:
	global_load_u8 v0, v[0:1], off
	s_wait_loadcnt 0x0
	v_cvt_f32_ubyte0_e32 v0, v0
	s_delay_alu instid0(VALU_DEP_1) | instskip(NEXT) | instid1(VALU_DEP_1)
	v_bfe_u32 v1, v0, 16, 1
	v_add3_u32 v0, v0, v1, 0x7fff
	s_delay_alu instid0(VALU_DEP_1)
	v_lshrrev_b32_e32 v2, 16, v0
.LBB206_511:
	s_branch .LBB206_266
.LBB206_512:
	s_mov_b32 s1, 0
	s_mov_b32 s2, s17
.LBB206_513:
                                        ; implicit-def: $vgpr4
.LBB206_514:
	s_and_not1_b32 s21, s17, exec_lo
	s_and_b32 s2, s2, exec_lo
	s_and_not1_b32 s23, s18, exec_lo
	s_and_b32 s20, s20, exec_lo
	s_or_b32 s21, s21, s2
	s_or_b32 s20, s23, s20
	s_or_not1_b32 s24, s1, exec_lo
.LBB206_515:
	s_wait_xcnt 0x0
	s_or_b32 exec_lo, exec_lo, s22
	s_mov_b32 s1, 0
	s_mov_b32 s2, 0
	;; [unrolled: 1-line block ×3, first 2 shown]
                                        ; implicit-def: $vgpr0_vgpr1
                                        ; implicit-def: $vgpr2
	s_and_saveexec_b32 s22, s24
	s_cbranch_execz .LBB206_862
; %bb.516:
	s_mov_b32 s27, -1
	s_mov_b32 s1, s20
	s_mov_b32 s2, s21
	s_mov_b32 s23, exec_lo
	v_cmpx_gt_i32_e64 s16, v4
	s_cbranch_execz .LBB206_776
; %bb.517:
	v_mul_lo_u32 v0, v4, s9
	s_and_b32 s1, 0xffff, s13
	s_delay_alu instid0(SALU_CYCLE_1) | instskip(NEXT) | instid1(VALU_DEP_1)
	s_cmp_lt_i32 s1, 11
	v_ashrrev_i32_e32 v1, 31, v0
	s_delay_alu instid0(VALU_DEP_1)
	v_add_nc_u64_e32 v[0:1], s[6:7], v[0:1]
	s_cbranch_scc1 .LBB206_524
; %bb.518:
	s_cmp_gt_i32 s1, 25
	s_cbranch_scc0 .LBB206_525
; %bb.519:
	s_cmp_gt_i32 s1, 28
	s_cbranch_scc0 .LBB206_526
	;; [unrolled: 3-line block ×4, first 2 shown]
; %bb.522:
	s_cmp_eq_u32 s1, 46
	s_mov_b32 s25, 0
	s_cbranch_scc0 .LBB206_533
; %bb.523:
	s_wait_loadcnt 0x0
	global_load_b32 v2, v[0:1], off
	s_mov_b32 s2, -1
	s_mov_b32 s24, 0
	s_branch .LBB206_535
.LBB206_524:
	s_mov_b32 s25, -1
	s_mov_b32 s2, 0
	s_mov_b32 s24, s20
                                        ; implicit-def: $vgpr2
	s_branch .LBB206_600
.LBB206_525:
	s_mov_b32 s25, -1
	s_mov_b32 s2, 0
	s_mov_b32 s24, s20
                                        ; implicit-def: $vgpr2
	s_branch .LBB206_564
.LBB206_526:
	s_mov_b32 s25, -1
	s_mov_b32 s2, 0
	s_mov_b32 s24, s20
                                        ; implicit-def: $vgpr2
	s_branch .LBB206_545
.LBB206_527:
	s_mov_b32 s25, -1
	s_mov_b32 s2, 0
	s_mov_b32 s24, s20
                                        ; implicit-def: $vgpr2
	s_branch .LBB206_540
.LBB206_528:
	s_and_not1_saveexec_b32 s26, s26
	s_cbranch_execz .LBB206_312
.LBB206_529:
	v_add_f32_e32 v2, 0x46000000, v3
	s_and_not1_b32 s25, s25, exec_lo
	s_delay_alu instid0(VALU_DEP_1) | instskip(NEXT) | instid1(VALU_DEP_1)
	v_and_b32_e32 v2, 0xff, v2
	v_cmp_ne_u32_e32 vcc_lo, 0, v2
	s_and_b32 s27, vcc_lo, exec_lo
	s_delay_alu instid0(SALU_CYCLE_1)
	s_or_b32 s25, s25, s27
	s_or_b32 exec_lo, exec_lo, s26
	v_mov_b32_e32 v5, 0
	s_and_saveexec_b32 s26, s25
	s_cbranch_execnz .LBB206_313
	s_branch .LBB206_314
.LBB206_530:
	s_mov_b32 s25, -1
	s_mov_b32 s2, 0
	s_mov_b32 s24, s20
	s_branch .LBB206_534
.LBB206_531:
	s_and_not1_saveexec_b32 s26, s26
	s_cbranch_execz .LBB206_325
.LBB206_532:
	v_add_f32_e32 v2, 0x42800000, v3
	s_and_not1_b32 s25, s25, exec_lo
	s_delay_alu instid0(VALU_DEP_1) | instskip(NEXT) | instid1(VALU_DEP_1)
	v_and_b32_e32 v2, 0xff, v2
	v_cmp_ne_u32_e32 vcc_lo, 0, v2
	s_and_b32 s27, vcc_lo, exec_lo
	s_delay_alu instid0(SALU_CYCLE_1)
	s_or_b32 s25, s25, s27
	s_or_b32 exec_lo, exec_lo, s26
	v_mov_b32_e32 v5, 0
	s_and_saveexec_b32 s26, s25
	s_cbranch_execnz .LBB206_326
	s_branch .LBB206_327
.LBB206_533:
	s_mov_b32 s24, -1
	s_mov_b32 s2, 0
.LBB206_534:
                                        ; implicit-def: $vgpr2
.LBB206_535:
	s_and_b32 vcc_lo, exec_lo, s25
	s_cbranch_vccz .LBB206_539
; %bb.536:
	s_cmp_eq_u32 s1, 44
	s_cbranch_scc0 .LBB206_538
; %bb.537:
	s_wait_loadcnt 0x0
	global_load_u8 v2, v[0:1], off
	s_mov_b32 s24, 0
	s_mov_b32 s2, -1
	s_wait_loadcnt 0x0
	v_lshlrev_b32_e32 v3, 23, v2
	v_cmp_ne_u32_e32 vcc_lo, 0xff, v2
	s_delay_alu instid0(VALU_DEP_2) | instskip(SKIP_1) | instid1(VALU_DEP_2)
	v_cndmask_b32_e32 v3, 0x7f800001, v3, vcc_lo
	v_cmp_ne_u32_e32 vcc_lo, 0, v2
	v_cndmask_b32_e32 v2, 0x400000, v3, vcc_lo
	s_delay_alu instid0(VALU_DEP_1) | instskip(NEXT) | instid1(VALU_DEP_1)
	v_add_nc_u32_e32 v3, 0x7fff, v2
	v_lshrrev_b32_e32 v3, 16, v3
	v_cmp_o_f32_e32 vcc_lo, v2, v2
	s_delay_alu instid0(VALU_DEP_2)
	v_cndmask_b32_e32 v2, 0x7fc0, v3, vcc_lo
	s_branch .LBB206_539
.LBB206_538:
	s_mov_b32 s24, -1
                                        ; implicit-def: $vgpr2
.LBB206_539:
	s_mov_b32 s25, 0
.LBB206_540:
	s_delay_alu instid0(SALU_CYCLE_1)
	s_and_b32 vcc_lo, exec_lo, s25
	s_cbranch_vccz .LBB206_544
; %bb.541:
	s_cmp_eq_u32 s1, 29
	s_cbranch_scc0 .LBB206_543
; %bb.542:
	s_wait_loadcnt 0x0
	global_load_b64 v[2:3], v[0:1], off
	s_mov_b32 s2, -1
	s_mov_b32 s24, 0
	s_mov_b32 s25, 0
	s_wait_loadcnt 0x0
	v_clz_i32_u32_e32 v5, v3
	s_delay_alu instid0(VALU_DEP_1) | instskip(NEXT) | instid1(VALU_DEP_1)
	v_min_u32_e32 v5, 32, v5
	v_lshlrev_b64_e32 v[2:3], v5, v[2:3]
	s_delay_alu instid0(VALU_DEP_1) | instskip(NEXT) | instid1(VALU_DEP_1)
	v_min_u32_e32 v2, 1, v2
	v_dual_sub_nc_u32 v3, 32, v5 :: v_dual_bitop2_b32 v2, v3, v2 bitop3:0x54
	s_delay_alu instid0(VALU_DEP_1) | instskip(NEXT) | instid1(VALU_DEP_1)
	v_cvt_f32_u32_e32 v2, v2
	v_ldexp_f32 v2, v2, v3
	s_delay_alu instid0(VALU_DEP_1) | instskip(NEXT) | instid1(VALU_DEP_1)
	v_bfe_u32 v3, v2, 16, 1
	v_add3_u32 v2, v2, v3, 0x7fff
	s_delay_alu instid0(VALU_DEP_1)
	v_lshrrev_b32_e32 v2, 16, v2
	s_branch .LBB206_545
.LBB206_543:
	s_mov_b32 s24, -1
                                        ; implicit-def: $vgpr2
.LBB206_544:
	s_mov_b32 s25, 0
.LBB206_545:
	s_delay_alu instid0(SALU_CYCLE_1)
	s_and_b32 vcc_lo, exec_lo, s25
	s_cbranch_vccz .LBB206_563
; %bb.546:
	s_cmp_lt_i32 s1, 27
	s_cbranch_scc1 .LBB206_549
; %bb.547:
	s_cmp_gt_i32 s1, 27
	s_cbranch_scc0 .LBB206_550
; %bb.548:
	s_wait_loadcnt 0x0
	global_load_b32 v2, v[0:1], off
	s_mov_b32 s2, 0
	s_wait_loadcnt 0x0
	v_cvt_f32_u32_e32 v2, v2
	s_delay_alu instid0(VALU_DEP_1) | instskip(NEXT) | instid1(VALU_DEP_1)
	v_bfe_u32 v3, v2, 16, 1
	v_add3_u32 v2, v2, v3, 0x7fff
	s_delay_alu instid0(VALU_DEP_1)
	v_lshrrev_b32_e32 v2, 16, v2
	s_branch .LBB206_551
.LBB206_549:
	s_mov_b32 s2, -1
                                        ; implicit-def: $vgpr2
	s_branch .LBB206_554
.LBB206_550:
	s_mov_b32 s2, -1
                                        ; implicit-def: $vgpr2
.LBB206_551:
	s_delay_alu instid0(SALU_CYCLE_1)
	s_and_not1_b32 vcc_lo, exec_lo, s2
	s_cbranch_vccnz .LBB206_553
; %bb.552:
	s_wait_loadcnt 0x0
	global_load_u16 v2, v[0:1], off
	s_wait_loadcnt 0x0
	v_cvt_f32_u32_e32 v2, v2
	s_delay_alu instid0(VALU_DEP_1) | instskip(NEXT) | instid1(VALU_DEP_1)
	v_bfe_u32 v3, v2, 16, 1
	v_add3_u32 v2, v2, v3, 0x7fff
	s_delay_alu instid0(VALU_DEP_1)
	v_lshrrev_b32_e32 v2, 16, v2
.LBB206_553:
	s_mov_b32 s2, 0
.LBB206_554:
	s_delay_alu instid0(SALU_CYCLE_1)
	s_and_not1_b32 vcc_lo, exec_lo, s2
	s_cbranch_vccnz .LBB206_562
; %bb.555:
	s_wait_loadcnt 0x0
	global_load_u8 v2, v[0:1], off
	s_mov_b32 s2, 0
	s_mov_b32 s25, exec_lo
	s_wait_loadcnt 0x0
	v_cmpx_lt_i16_e32 0x7f, v2
	s_xor_b32 s25, exec_lo, s25
	s_cbranch_execz .LBB206_576
; %bb.556:
	s_mov_b32 s2, -1
	s_mov_b32 s26, exec_lo
	v_cmpx_eq_u16_e32 0x80, v2
; %bb.557:
	s_xor_b32 s2, exec_lo, -1
; %bb.558:
	s_or_b32 exec_lo, exec_lo, s26
	s_delay_alu instid0(SALU_CYCLE_1)
	s_and_b32 s2, s2, exec_lo
	s_or_saveexec_b32 s25, s25
	v_mov_b32_e32 v3, 0x7f800001
	s_xor_b32 exec_lo, exec_lo, s25
	s_cbranch_execnz .LBB206_577
.LBB206_559:
	s_or_b32 exec_lo, exec_lo, s25
	s_and_saveexec_b32 s25, s2
	s_cbranch_execz .LBB206_561
.LBB206_560:
	v_and_b32_e32 v3, 0xffff, v2
	s_delay_alu instid0(VALU_DEP_1) | instskip(SKIP_1) | instid1(VALU_DEP_2)
	v_and_b32_e32 v5, 7, v3
	v_bfe_u32 v8, v3, 3, 4
	v_clz_i32_u32_e32 v6, v5
	s_delay_alu instid0(VALU_DEP_2) | instskip(NEXT) | instid1(VALU_DEP_2)
	v_cmp_eq_u32_e32 vcc_lo, 0, v8
	v_min_u32_e32 v6, 32, v6
	s_delay_alu instid0(VALU_DEP_1) | instskip(NEXT) | instid1(VALU_DEP_1)
	v_subrev_nc_u32_e32 v7, 28, v6
	v_dual_lshlrev_b32 v3, v7, v3 :: v_dual_sub_nc_u32 v6, 29, v6
	s_delay_alu instid0(VALU_DEP_1) | instskip(NEXT) | instid1(VALU_DEP_1)
	v_dual_lshlrev_b32 v2, 24, v2 :: v_dual_bitop2_b32 v3, 7, v3 bitop3:0x40
	v_dual_cndmask_b32 v3, v5, v3 :: v_dual_cndmask_b32 v6, v8, v6
	s_delay_alu instid0(VALU_DEP_2) | instskip(NEXT) | instid1(VALU_DEP_2)
	v_and_b32_e32 v2, 0x80000000, v2
	v_lshlrev_b32_e32 v3, 20, v3
	s_delay_alu instid0(VALU_DEP_3) | instskip(NEXT) | instid1(VALU_DEP_1)
	v_lshl_add_u32 v5, v6, 23, 0x3b800000
	v_or3_b32 v3, v2, v5, v3
.LBB206_561:
	s_or_b32 exec_lo, exec_lo, s25
	s_delay_alu instid0(VALU_DEP_1) | instskip(SKIP_1) | instid1(VALU_DEP_2)
	v_bfe_u32 v2, v3, 16, 1
	v_cmp_o_f32_e32 vcc_lo, v3, v3
	v_add3_u32 v2, v3, v2, 0x7fff
	s_delay_alu instid0(VALU_DEP_1) | instskip(NEXT) | instid1(VALU_DEP_1)
	v_lshrrev_b32_e32 v2, 16, v2
	v_cndmask_b32_e32 v2, 0x7fc0, v2, vcc_lo
.LBB206_562:
	s_mov_b32 s2, -1
.LBB206_563:
	s_mov_b32 s25, 0
.LBB206_564:
	s_delay_alu instid0(SALU_CYCLE_1)
	s_and_b32 vcc_lo, exec_lo, s25
	s_cbranch_vccz .LBB206_599
; %bb.565:
	s_cmp_gt_i32 s1, 22
	s_cbranch_scc0 .LBB206_575
; %bb.566:
	s_cmp_lt_i32 s1, 24
	s_cbranch_scc1 .LBB206_578
; %bb.567:
	s_cmp_gt_i32 s1, 24
	s_cbranch_scc0 .LBB206_579
; %bb.568:
	s_wait_loadcnt 0x0
	global_load_u8 v2, v[0:1], off
	s_mov_b32 s2, 0
	s_mov_b32 s25, exec_lo
	s_wait_loadcnt 0x0
	v_cmpx_lt_i16_e32 0x7f, v2
	s_xor_b32 s25, exec_lo, s25
	s_cbranch_execz .LBB206_591
; %bb.569:
	s_mov_b32 s2, -1
	s_mov_b32 s26, exec_lo
	v_cmpx_eq_u16_e32 0x80, v2
; %bb.570:
	s_xor_b32 s2, exec_lo, -1
; %bb.571:
	s_or_b32 exec_lo, exec_lo, s26
	s_delay_alu instid0(SALU_CYCLE_1)
	s_and_b32 s2, s2, exec_lo
	s_or_saveexec_b32 s25, s25
	v_mov_b32_e32 v3, 0x7f800001
	s_xor_b32 exec_lo, exec_lo, s25
	s_cbranch_execnz .LBB206_592
.LBB206_572:
	s_or_b32 exec_lo, exec_lo, s25
	s_and_saveexec_b32 s25, s2
	s_cbranch_execz .LBB206_574
.LBB206_573:
	v_and_b32_e32 v3, 0xffff, v2
	s_delay_alu instid0(VALU_DEP_1) | instskip(SKIP_1) | instid1(VALU_DEP_2)
	v_and_b32_e32 v5, 3, v3
	v_bfe_u32 v8, v3, 2, 5
	v_clz_i32_u32_e32 v6, v5
	s_delay_alu instid0(VALU_DEP_2) | instskip(NEXT) | instid1(VALU_DEP_2)
	v_cmp_eq_u32_e32 vcc_lo, 0, v8
	v_min_u32_e32 v6, 32, v6
	s_delay_alu instid0(VALU_DEP_1) | instskip(NEXT) | instid1(VALU_DEP_1)
	v_subrev_nc_u32_e32 v7, 29, v6
	v_dual_lshlrev_b32 v3, v7, v3 :: v_dual_sub_nc_u32 v6, 30, v6
	s_delay_alu instid0(VALU_DEP_1) | instskip(NEXT) | instid1(VALU_DEP_1)
	v_dual_lshlrev_b32 v2, 24, v2 :: v_dual_bitop2_b32 v3, 3, v3 bitop3:0x40
	v_dual_cndmask_b32 v3, v5, v3 :: v_dual_cndmask_b32 v6, v8, v6
	s_delay_alu instid0(VALU_DEP_2) | instskip(NEXT) | instid1(VALU_DEP_2)
	v_and_b32_e32 v2, 0x80000000, v2
	v_lshlrev_b32_e32 v3, 21, v3
	s_delay_alu instid0(VALU_DEP_3) | instskip(NEXT) | instid1(VALU_DEP_1)
	v_lshl_add_u32 v5, v6, 23, 0x37800000
	v_or3_b32 v3, v2, v5, v3
.LBB206_574:
	s_or_b32 exec_lo, exec_lo, s25
	s_delay_alu instid0(VALU_DEP_1) | instskip(SKIP_2) | instid1(VALU_DEP_2)
	v_bfe_u32 v2, v3, 16, 1
	v_cmp_o_f32_e32 vcc_lo, v3, v3
	s_mov_b32 s2, 0
	v_add3_u32 v2, v3, v2, 0x7fff
	s_delay_alu instid0(VALU_DEP_1) | instskip(NEXT) | instid1(VALU_DEP_1)
	v_lshrrev_b32_e32 v2, 16, v2
	v_cndmask_b32_e32 v2, 0x7fc0, v2, vcc_lo
	s_branch .LBB206_580
.LBB206_575:
	s_mov_b32 s25, -1
                                        ; implicit-def: $vgpr2
	s_branch .LBB206_586
.LBB206_576:
	s_or_saveexec_b32 s25, s25
	v_mov_b32_e32 v3, 0x7f800001
	s_xor_b32 exec_lo, exec_lo, s25
	s_cbranch_execz .LBB206_559
.LBB206_577:
	v_cmp_ne_u16_e32 vcc_lo, 0, v2
	v_mov_b32_e32 v3, 0
	s_and_not1_b32 s2, s2, exec_lo
	s_and_b32 s26, vcc_lo, exec_lo
	s_delay_alu instid0(SALU_CYCLE_1)
	s_or_b32 s2, s2, s26
	s_or_b32 exec_lo, exec_lo, s25
	s_and_saveexec_b32 s25, s2
	s_cbranch_execnz .LBB206_560
	s_branch .LBB206_561
.LBB206_578:
	s_mov_b32 s2, -1
                                        ; implicit-def: $vgpr2
	s_branch .LBB206_583
.LBB206_579:
	s_mov_b32 s2, -1
                                        ; implicit-def: $vgpr2
.LBB206_580:
	s_delay_alu instid0(SALU_CYCLE_1)
	s_and_b32 vcc_lo, exec_lo, s2
	s_cbranch_vccz .LBB206_582
; %bb.581:
	s_wait_loadcnt 0x0
	global_load_u8 v2, v[0:1], off
	s_wait_loadcnt 0x0
	v_lshlrev_b32_e32 v2, 24, v2
	s_delay_alu instid0(VALU_DEP_1) | instskip(NEXT) | instid1(VALU_DEP_1)
	v_and_b32_e32 v3, 0x7f000000, v2
	v_clz_i32_u32_e32 v5, v3
	v_add_nc_u32_e32 v7, 0x1000000, v3
	v_cmp_ne_u32_e32 vcc_lo, 0, v3
	s_delay_alu instid0(VALU_DEP_3) | instskip(NEXT) | instid1(VALU_DEP_1)
	v_min_u32_e32 v5, 32, v5
	v_sub_nc_u32_e64 v5, v5, 4 clamp
	s_delay_alu instid0(VALU_DEP_1) | instskip(NEXT) | instid1(VALU_DEP_1)
	v_dual_lshlrev_b32 v6, v5, v3 :: v_dual_lshlrev_b32 v5, 23, v5
	v_lshrrev_b32_e32 v6, 4, v6
	s_delay_alu instid0(VALU_DEP_1) | instskip(NEXT) | instid1(VALU_DEP_1)
	v_dual_sub_nc_u32 v5, v6, v5 :: v_dual_ashrrev_i32 v6, 8, v7
	v_add_nc_u32_e32 v5, 0x3c000000, v5
	s_delay_alu instid0(VALU_DEP_1) | instskip(NEXT) | instid1(VALU_DEP_1)
	v_and_or_b32 v5, 0x7f800000, v6, v5
	v_cndmask_b32_e32 v3, 0, v5, vcc_lo
	s_delay_alu instid0(VALU_DEP_1) | instskip(SKIP_1) | instid1(VALU_DEP_2)
	v_and_or_b32 v2, 0x80000000, v2, v3
	v_bfe_u32 v3, v3, 16, 1
	v_cmp_o_f32_e32 vcc_lo, v2, v2
	s_delay_alu instid0(VALU_DEP_2) | instskip(NEXT) | instid1(VALU_DEP_1)
	v_add3_u32 v3, v2, v3, 0x7fff
	v_lshrrev_b32_e32 v3, 16, v3
	s_delay_alu instid0(VALU_DEP_1)
	v_cndmask_b32_e32 v2, 0x7fc0, v3, vcc_lo
.LBB206_582:
	s_mov_b32 s2, 0
.LBB206_583:
	s_delay_alu instid0(SALU_CYCLE_1)
	s_and_not1_b32 vcc_lo, exec_lo, s2
	s_cbranch_vccnz .LBB206_585
; %bb.584:
	s_wait_loadcnt 0x0
	global_load_u8 v2, v[0:1], off
	s_wait_loadcnt 0x0
	v_lshlrev_b32_e32 v3, 25, v2
	v_lshlrev_b16 v2, 8, v2
	s_delay_alu instid0(VALU_DEP_2) | instskip(NEXT) | instid1(VALU_DEP_2)
	v_cmp_gt_u32_e32 vcc_lo, 0x8000000, v3
	v_and_or_b32 v6, 0x7f00, v2, 0.5
	v_lshrrev_b32_e32 v5, 4, v3
	v_bfe_i32 v2, v2, 0, 16
	s_delay_alu instid0(VALU_DEP_3) | instskip(NEXT) | instid1(VALU_DEP_3)
	v_add_f32_e32 v6, -0.5, v6
	v_or_b32_e32 v5, 0x70000000, v5
	s_delay_alu instid0(VALU_DEP_1) | instskip(NEXT) | instid1(VALU_DEP_1)
	v_mul_f32_e32 v5, 0x7800000, v5
	v_cndmask_b32_e32 v3, v5, v6, vcc_lo
	s_delay_alu instid0(VALU_DEP_1) | instskip(SKIP_1) | instid1(VALU_DEP_2)
	v_and_or_b32 v2, 0x80000000, v2, v3
	v_bfe_u32 v3, v3, 16, 1
	v_cmp_o_f32_e32 vcc_lo, v2, v2
	s_delay_alu instid0(VALU_DEP_2) | instskip(NEXT) | instid1(VALU_DEP_1)
	v_add3_u32 v3, v2, v3, 0x7fff
	v_lshrrev_b32_e32 v3, 16, v3
	s_delay_alu instid0(VALU_DEP_1)
	v_cndmask_b32_e32 v2, 0x7fc0, v3, vcc_lo
.LBB206_585:
	s_mov_b32 s25, 0
	s_mov_b32 s2, -1
.LBB206_586:
	s_and_not1_b32 vcc_lo, exec_lo, s25
	s_cbranch_vccnz .LBB206_599
; %bb.587:
	s_cmp_gt_i32 s1, 14
	s_cbranch_scc0 .LBB206_590
; %bb.588:
	s_cmp_eq_u32 s1, 15
	s_cbranch_scc0 .LBB206_593
; %bb.589:
	s_wait_loadcnt 0x0
	global_load_u16 v2, v[0:1], off
	s_mov_b32 s2, -1
	s_mov_b32 s24, 0
	s_branch .LBB206_594
.LBB206_590:
	s_mov_b32 s25, -1
                                        ; implicit-def: $vgpr2
	s_branch .LBB206_595
.LBB206_591:
	s_or_saveexec_b32 s25, s25
	v_mov_b32_e32 v3, 0x7f800001
	s_xor_b32 exec_lo, exec_lo, s25
	s_cbranch_execz .LBB206_572
.LBB206_592:
	v_cmp_ne_u16_e32 vcc_lo, 0, v2
	v_mov_b32_e32 v3, 0
	s_and_not1_b32 s2, s2, exec_lo
	s_and_b32 s26, vcc_lo, exec_lo
	s_delay_alu instid0(SALU_CYCLE_1)
	s_or_b32 s2, s2, s26
	s_or_b32 exec_lo, exec_lo, s25
	s_and_saveexec_b32 s25, s2
	s_cbranch_execnz .LBB206_573
	s_branch .LBB206_574
.LBB206_593:
	s_mov_b32 s24, -1
                                        ; implicit-def: $vgpr2
.LBB206_594:
	s_mov_b32 s25, 0
.LBB206_595:
	s_delay_alu instid0(SALU_CYCLE_1)
	s_and_b32 vcc_lo, exec_lo, s25
	s_cbranch_vccz .LBB206_599
; %bb.596:
	s_cmp_eq_u32 s1, 11
	s_cbranch_scc0 .LBB206_598
; %bb.597:
	s_wait_loadcnt 0x0
	global_load_u8 v2, v[0:1], off
	s_mov_b32 s24, 0
	s_mov_b32 s2, -1
	s_wait_loadcnt 0x0
	v_cmp_ne_u16_e32 vcc_lo, 0, v2
	v_cndmask_b32_e64 v2, 0, 1.0, vcc_lo
	s_delay_alu instid0(VALU_DEP_1)
	v_lshrrev_b32_e32 v2, 16, v2
	s_branch .LBB206_599
.LBB206_598:
	s_mov_b32 s24, -1
                                        ; implicit-def: $vgpr2
.LBB206_599:
	s_mov_b32 s25, 0
.LBB206_600:
	s_delay_alu instid0(SALU_CYCLE_1)
	s_and_b32 vcc_lo, exec_lo, s25
	s_cbranch_vccz .LBB206_649
; %bb.601:
	s_cmp_lt_i32 s1, 5
	s_cbranch_scc1 .LBB206_606
; %bb.602:
	s_cmp_lt_i32 s1, 8
	s_cbranch_scc1 .LBB206_607
	;; [unrolled: 3-line block ×3, first 2 shown]
; %bb.604:
	s_cmp_gt_i32 s1, 9
	s_cbranch_scc0 .LBB206_609
; %bb.605:
	s_wait_loadcnt 0x0
	global_load_b64 v[2:3], v[0:1], off
	s_mov_b32 s2, 0
	s_wait_loadcnt 0x0
	v_cvt_f32_f64_e32 v2, v[2:3]
	s_delay_alu instid0(VALU_DEP_1) | instskip(SKIP_1) | instid1(VALU_DEP_2)
	v_bfe_u32 v3, v2, 16, 1
	v_cmp_o_f32_e32 vcc_lo, v2, v2
	v_add3_u32 v3, v2, v3, 0x7fff
	s_delay_alu instid0(VALU_DEP_1) | instskip(NEXT) | instid1(VALU_DEP_1)
	v_lshrrev_b32_e32 v3, 16, v3
	v_cndmask_b32_e32 v2, 0x7fc0, v3, vcc_lo
	s_branch .LBB206_610
.LBB206_606:
	s_mov_b32 s2, -1
                                        ; implicit-def: $vgpr2
	s_branch .LBB206_628
.LBB206_607:
	s_mov_b32 s2, -1
                                        ; implicit-def: $vgpr2
	s_branch .LBB206_616
.LBB206_608:
	s_mov_b32 s2, -1
                                        ; implicit-def: $vgpr2
	s_branch .LBB206_613
.LBB206_609:
	s_mov_b32 s2, -1
                                        ; implicit-def: $vgpr2
.LBB206_610:
	s_delay_alu instid0(SALU_CYCLE_1)
	s_and_not1_b32 vcc_lo, exec_lo, s2
	s_cbranch_vccnz .LBB206_612
; %bb.611:
	s_wait_loadcnt 0x0
	global_load_b32 v2, v[0:1], off
	s_wait_loadcnt 0x0
	v_bfe_u32 v3, v2, 16, 1
	v_cmp_o_f32_e32 vcc_lo, v2, v2
	s_delay_alu instid0(VALU_DEP_2) | instskip(NEXT) | instid1(VALU_DEP_1)
	v_add3_u32 v3, v2, v3, 0x7fff
	v_lshrrev_b32_e32 v3, 16, v3
	s_delay_alu instid0(VALU_DEP_1)
	v_cndmask_b32_e32 v2, 0x7fc0, v3, vcc_lo
.LBB206_612:
	s_mov_b32 s2, 0
.LBB206_613:
	s_delay_alu instid0(SALU_CYCLE_1)
	s_and_not1_b32 vcc_lo, exec_lo, s2
	s_cbranch_vccnz .LBB206_615
; %bb.614:
	s_wait_loadcnt 0x0
	global_load_b32 v2, v[0:1], off
	s_wait_loadcnt 0x0
	v_cvt_f32_f16_e32 v3, v2
	v_cmp_o_f16_e32 vcc_lo, v2, v2
	s_delay_alu instid0(VALU_DEP_2) | instskip(NEXT) | instid1(VALU_DEP_1)
	v_bfe_u32 v5, v3, 16, 1
	v_add3_u32 v3, v3, v5, 0x7fff
	s_delay_alu instid0(VALU_DEP_1) | instskip(NEXT) | instid1(VALU_DEP_1)
	v_lshrrev_b32_e32 v3, 16, v3
	v_cndmask_b32_e32 v2, 0x7fc0, v3, vcc_lo
.LBB206_615:
	s_mov_b32 s2, 0
.LBB206_616:
	s_delay_alu instid0(SALU_CYCLE_1)
	s_and_not1_b32 vcc_lo, exec_lo, s2
	s_cbranch_vccnz .LBB206_627
; %bb.617:
	s_cmp_lt_i32 s1, 6
	s_cbranch_scc1 .LBB206_620
; %bb.618:
	s_cmp_gt_i32 s1, 6
	s_cbranch_scc0 .LBB206_621
; %bb.619:
	s_wait_loadcnt 0x0
	global_load_b64 v[2:3], v[0:1], off
	s_mov_b32 s2, 0
	s_wait_loadcnt 0x0
	v_cvt_f32_f64_e32 v2, v[2:3]
	s_delay_alu instid0(VALU_DEP_1) | instskip(SKIP_1) | instid1(VALU_DEP_2)
	v_bfe_u32 v3, v2, 16, 1
	v_cmp_o_f32_e32 vcc_lo, v2, v2
	v_add3_u32 v3, v2, v3, 0x7fff
	s_delay_alu instid0(VALU_DEP_1) | instskip(NEXT) | instid1(VALU_DEP_1)
	v_lshrrev_b32_e32 v3, 16, v3
	v_cndmask_b32_e32 v2, 0x7fc0, v3, vcc_lo
	s_branch .LBB206_622
.LBB206_620:
	s_mov_b32 s2, -1
                                        ; implicit-def: $vgpr2
	s_branch .LBB206_625
.LBB206_621:
	s_mov_b32 s2, -1
                                        ; implicit-def: $vgpr2
.LBB206_622:
	s_delay_alu instid0(SALU_CYCLE_1)
	s_and_not1_b32 vcc_lo, exec_lo, s2
	s_cbranch_vccnz .LBB206_624
; %bb.623:
	s_wait_loadcnt 0x0
	global_load_b32 v2, v[0:1], off
	s_wait_loadcnt 0x0
	v_bfe_u32 v3, v2, 16, 1
	v_cmp_o_f32_e32 vcc_lo, v2, v2
	s_delay_alu instid0(VALU_DEP_2) | instskip(NEXT) | instid1(VALU_DEP_1)
	v_add3_u32 v3, v2, v3, 0x7fff
	v_lshrrev_b32_e32 v3, 16, v3
	s_delay_alu instid0(VALU_DEP_1)
	v_cndmask_b32_e32 v2, 0x7fc0, v3, vcc_lo
.LBB206_624:
	s_mov_b32 s2, 0
.LBB206_625:
	s_delay_alu instid0(SALU_CYCLE_1)
	s_and_not1_b32 vcc_lo, exec_lo, s2
	s_cbranch_vccnz .LBB206_627
; %bb.626:
	s_wait_loadcnt 0x0
	global_load_u16 v2, v[0:1], off
	s_wait_loadcnt 0x0
	v_cvt_f32_f16_e32 v3, v2
	v_cmp_o_f16_e32 vcc_lo, v2, v2
	s_delay_alu instid0(VALU_DEP_2) | instskip(NEXT) | instid1(VALU_DEP_1)
	v_bfe_u32 v5, v3, 16, 1
	v_add3_u32 v3, v3, v5, 0x7fff
	s_delay_alu instid0(VALU_DEP_1) | instskip(NEXT) | instid1(VALU_DEP_1)
	v_lshrrev_b32_e32 v3, 16, v3
	v_cndmask_b32_e32 v2, 0x7fc0, v3, vcc_lo
.LBB206_627:
	s_mov_b32 s2, 0
.LBB206_628:
	s_delay_alu instid0(SALU_CYCLE_1)
	s_and_not1_b32 vcc_lo, exec_lo, s2
	s_cbranch_vccnz .LBB206_648
; %bb.629:
	s_cmp_lt_i32 s1, 2
	s_cbranch_scc1 .LBB206_633
; %bb.630:
	s_cmp_lt_i32 s1, 3
	s_cbranch_scc1 .LBB206_634
; %bb.631:
	s_cmp_gt_i32 s1, 3
	s_cbranch_scc0 .LBB206_635
; %bb.632:
	s_wait_loadcnt 0x0
	global_load_b64 v[2:3], v[0:1], off
	s_mov_b32 s2, 0
	s_wait_loadcnt 0x0
	v_xor_b32_e32 v5, v2, v3
	v_cls_i32_e32 v6, v3
	s_delay_alu instid0(VALU_DEP_2) | instskip(NEXT) | instid1(VALU_DEP_1)
	v_ashrrev_i32_e32 v5, 31, v5
	v_add_nc_u32_e32 v5, 32, v5
	s_delay_alu instid0(VALU_DEP_1) | instskip(NEXT) | instid1(VALU_DEP_1)
	v_add_min_u32_e64 v5, v6, -1, v5
	v_lshlrev_b64_e32 v[2:3], v5, v[2:3]
	s_delay_alu instid0(VALU_DEP_1) | instskip(NEXT) | instid1(VALU_DEP_1)
	v_min_u32_e32 v2, 1, v2
	v_dual_sub_nc_u32 v3, 32, v5 :: v_dual_bitop2_b32 v2, v3, v2 bitop3:0x54
	s_delay_alu instid0(VALU_DEP_1) | instskip(NEXT) | instid1(VALU_DEP_1)
	v_cvt_f32_i32_e32 v2, v2
	v_ldexp_f32 v2, v2, v3
	s_delay_alu instid0(VALU_DEP_1) | instskip(NEXT) | instid1(VALU_DEP_1)
	v_bfe_u32 v3, v2, 16, 1
	v_add3_u32 v2, v2, v3, 0x7fff
	s_delay_alu instid0(VALU_DEP_1)
	v_lshrrev_b32_e32 v2, 16, v2
	s_branch .LBB206_636
.LBB206_633:
	s_mov_b32 s2, -1
                                        ; implicit-def: $vgpr2
	s_branch .LBB206_642
.LBB206_634:
	s_mov_b32 s2, -1
                                        ; implicit-def: $vgpr2
	s_branch .LBB206_639
.LBB206_635:
	s_mov_b32 s2, -1
                                        ; implicit-def: $vgpr2
.LBB206_636:
	s_delay_alu instid0(SALU_CYCLE_1)
	s_and_not1_b32 vcc_lo, exec_lo, s2
	s_cbranch_vccnz .LBB206_638
; %bb.637:
	s_wait_loadcnt 0x0
	global_load_b32 v2, v[0:1], off
	s_wait_loadcnt 0x0
	v_cvt_f32_i32_e32 v2, v2
	s_delay_alu instid0(VALU_DEP_1) | instskip(NEXT) | instid1(VALU_DEP_1)
	v_bfe_u32 v3, v2, 16, 1
	v_add3_u32 v2, v2, v3, 0x7fff
	s_delay_alu instid0(VALU_DEP_1)
	v_lshrrev_b32_e32 v2, 16, v2
.LBB206_638:
	s_mov_b32 s2, 0
.LBB206_639:
	s_delay_alu instid0(SALU_CYCLE_1)
	s_and_not1_b32 vcc_lo, exec_lo, s2
	s_cbranch_vccnz .LBB206_641
; %bb.640:
	s_wait_loadcnt 0x0
	global_load_i16 v2, v[0:1], off
	s_wait_loadcnt 0x0
	v_cvt_f32_i32_e32 v2, v2
	s_delay_alu instid0(VALU_DEP_1) | instskip(NEXT) | instid1(VALU_DEP_1)
	v_bfe_u32 v3, v2, 16, 1
	v_add3_u32 v2, v2, v3, 0x7fff
	s_delay_alu instid0(VALU_DEP_1)
	v_lshrrev_b32_e32 v2, 16, v2
.LBB206_641:
	s_mov_b32 s2, 0
.LBB206_642:
	s_delay_alu instid0(SALU_CYCLE_1)
	s_and_not1_b32 vcc_lo, exec_lo, s2
	s_cbranch_vccnz .LBB206_648
; %bb.643:
	s_cmp_gt_i32 s1, 0
	s_mov_b32 s1, 0
	s_cbranch_scc0 .LBB206_645
; %bb.644:
	s_wait_loadcnt 0x0
	global_load_i8 v2, v[0:1], off
	s_wait_loadcnt 0x0
	v_cvt_f32_i32_e32 v2, v2
	s_delay_alu instid0(VALU_DEP_1) | instskip(NEXT) | instid1(VALU_DEP_1)
	v_bfe_u32 v3, v2, 16, 1
	v_add3_u32 v2, v2, v3, 0x7fff
	s_delay_alu instid0(VALU_DEP_1)
	v_lshrrev_b32_e32 v2, 16, v2
	s_branch .LBB206_646
.LBB206_645:
	s_mov_b32 s1, -1
                                        ; implicit-def: $vgpr2
.LBB206_646:
	s_delay_alu instid0(SALU_CYCLE_1)
	s_and_not1_b32 vcc_lo, exec_lo, s1
	s_cbranch_vccnz .LBB206_648
; %bb.647:
	global_load_u8 v0, v[0:1], off
	s_wait_loadcnt 0x0
	v_cvt_f32_ubyte0_e32 v0, v0
	s_delay_alu instid0(VALU_DEP_1) | instskip(NEXT) | instid1(VALU_DEP_1)
	v_bfe_u32 v1, v0, 16, 1
	v_add3_u32 v0, v0, v1, 0x7fff
	s_delay_alu instid0(VALU_DEP_1)
	v_lshrrev_b32_e32 v2, 16, v0
.LBB206_648:
	s_mov_b32 s2, -1
.LBB206_649:
	s_delay_alu instid0(SALU_CYCLE_1)
	s_and_not1_b32 vcc_lo, exec_lo, s2
	s_cbranch_vccnz .LBB206_657
; %bb.650:
	s_wait_loadcnt 0x0
	v_lshlrev_b32_e32 v1, 16, v2
	v_mul_lo_u32 v0, v4, s8
	s_and_b32 s25, s3, 0xff
	s_delay_alu instid0(SALU_CYCLE_1) | instskip(NEXT) | instid1(VALU_DEP_2)
	s_cmp_lt_i32 s25, 11
	v_cmp_eq_f32_e32 vcc_lo, s15, v1
	v_cndmask_b32_e64 v2, 0, 1, vcc_lo
	v_cmp_neq_f32_e32 vcc_lo, s15, v1
	v_cndmask_b32_e64 v1, 0, 1, vcc_lo
	s_delay_alu instid0(VALU_DEP_1) | instskip(NEXT) | instid1(VALU_DEP_1)
	v_dual_cndmask_b32 v2, v1, v2, s0 :: v_dual_ashrrev_i32 v1, 31, v0
	v_and_b32_e32 v2, 1, v2
	s_delay_alu instid0(VALU_DEP_2) | instskip(NEXT) | instid1(VALU_DEP_2)
	v_add_nc_u64_e32 v[0:1], s[4:5], v[0:1]
	v_cmp_eq_u32_e64 s1, 1, v2
	s_cbranch_scc1 .LBB206_658
; %bb.651:
	s_and_b32 s26, 0xffff, s25
	s_delay_alu instid0(SALU_CYCLE_1)
	s_cmp_gt_i32 s26, 25
	s_cbranch_scc0 .LBB206_659
; %bb.652:
	s_cmp_gt_i32 s26, 28
	s_cbranch_scc0 .LBB206_660
; %bb.653:
	;; [unrolled: 3-line block ×4, first 2 shown]
	s_mov_b32 s28, 0
	s_mov_b32 s2, -1
	s_cmp_eq_u32 s26, 46
	s_mov_b32 s27, 0
	s_cbranch_scc0 .LBB206_663
; %bb.656:
	v_cndmask_b32_e64 v2, 0, 1.0, s1
	s_mov_b32 s27, -1
	s_mov_b32 s2, 0
	s_delay_alu instid0(VALU_DEP_1) | instskip(NEXT) | instid1(VALU_DEP_1)
	v_bfe_u32 v3, v2, 16, 1
	v_add3_u32 v2, v2, v3, 0x7fff
	s_delay_alu instid0(VALU_DEP_1)
	v_lshrrev_b32_e32 v2, 16, v2
	global_store_b32 v[0:1], v2, off
	s_branch .LBB206_663
.LBB206_657:
	s_mov_b32 s25, 0
	s_mov_b32 s2, s21
	s_branch .LBB206_774
.LBB206_658:
	s_mov_b32 s26, -1
	s_mov_b32 s27, 0
	s_mov_b32 s2, s21
	s_branch .LBB206_732
.LBB206_659:
	s_mov_b32 s28, -1
	s_mov_b32 s27, 0
	s_mov_b32 s2, s21
	s_branch .LBB206_690
.LBB206_660:
	s_mov_b32 s28, -1
	s_mov_b32 s27, 0
	s_mov_b32 s2, s21
	s_branch .LBB206_673
.LBB206_661:
	s_mov_b32 s28, -1
	s_mov_b32 s27, 0
	s_mov_b32 s2, s21
	s_branch .LBB206_669
.LBB206_662:
	s_mov_b32 s28, -1
	s_mov_b32 s27, 0
	s_mov_b32 s2, s21
.LBB206_663:
	s_and_b32 vcc_lo, exec_lo, s28
	s_cbranch_vccz .LBB206_668
; %bb.664:
	s_cmp_eq_u32 s26, 44
	s_mov_b32 s2, -1
	s_cbranch_scc0 .LBB206_668
; %bb.665:
	v_cndmask_b32_e64 v5, 0, 1.0, s1
	s_mov_b32 s27, exec_lo
	s_wait_xcnt 0x0
	s_delay_alu instid0(VALU_DEP_1) | instskip(NEXT) | instid1(VALU_DEP_1)
	v_dual_mov_b32 v3, 0xff :: v_dual_lshrrev_b32 v2, 23, v5
	v_cmpx_ne_u32_e32 0xff, v2
; %bb.666:
	v_and_b32_e32 v3, 0x400000, v5
	v_and_or_b32 v5, 0x3fffff, v5, v2
	s_delay_alu instid0(VALU_DEP_2) | instskip(NEXT) | instid1(VALU_DEP_2)
	v_cmp_ne_u32_e32 vcc_lo, 0, v3
	v_cmp_ne_u32_e64 s2, 0, v5
	s_and_b32 s2, vcc_lo, s2
	s_delay_alu instid0(SALU_CYCLE_1) | instskip(NEXT) | instid1(VALU_DEP_1)
	v_cndmask_b32_e64 v3, 0, 1, s2
	v_add_nc_u32_e32 v3, v2, v3
; %bb.667:
	s_or_b32 exec_lo, exec_lo, s27
	s_mov_b32 s27, -1
	s_mov_b32 s2, 0
	global_store_b8 v[0:1], v3, off
.LBB206_668:
	s_mov_b32 s28, 0
.LBB206_669:
	s_delay_alu instid0(SALU_CYCLE_1)
	s_and_b32 vcc_lo, exec_lo, s28
	s_cbranch_vccz .LBB206_672
; %bb.670:
	s_cmp_eq_u32 s26, 29
	s_mov_b32 s2, -1
	s_cbranch_scc0 .LBB206_672
; %bb.671:
	s_mov_b32 s2, 0
	s_wait_xcnt 0x0
	v_cndmask_b32_e64 v2, 0, 1, s1
	v_mov_b32_e32 v3, s2
	s_mov_b32 s27, -1
	s_mov_b32 s28, 0
	global_store_b64 v[0:1], v[2:3], off
	s_branch .LBB206_673
.LBB206_672:
	s_mov_b32 s28, 0
.LBB206_673:
	s_delay_alu instid0(SALU_CYCLE_1)
	s_and_b32 vcc_lo, exec_lo, s28
	s_cbranch_vccz .LBB206_689
; %bb.674:
	s_cmp_lt_i32 s26, 27
	s_mov_b32 s27, -1
	s_cbranch_scc1 .LBB206_680
; %bb.675:
	s_cmp_gt_i32 s26, 27
	s_cbranch_scc0 .LBB206_677
; %bb.676:
	s_wait_xcnt 0x0
	v_cndmask_b32_e64 v2, 0, 1, s1
	s_mov_b32 s27, 0
	global_store_b32 v[0:1], v2, off
.LBB206_677:
	s_and_not1_b32 vcc_lo, exec_lo, s27
	s_cbranch_vccnz .LBB206_679
; %bb.678:
	s_wait_xcnt 0x0
	v_cndmask_b32_e64 v2, 0, 1, s1
	global_store_b16 v[0:1], v2, off
.LBB206_679:
	s_mov_b32 s27, 0
.LBB206_680:
	s_delay_alu instid0(SALU_CYCLE_1)
	s_and_not1_b32 vcc_lo, exec_lo, s27
	s_cbranch_vccnz .LBB206_688
; %bb.681:
	s_wait_xcnt 0x0
	v_cndmask_b32_e64 v3, 0, 1.0, s1
	v_mov_b32_e32 v5, 0x80
	s_mov_b32 s27, exec_lo
	s_delay_alu instid0(VALU_DEP_2)
	v_cmpx_gt_u32_e32 0x43800000, v3
	s_cbranch_execz .LBB206_687
; %bb.682:
	s_mov_b32 s28, 0
	s_mov_b32 s29, exec_lo
                                        ; implicit-def: $vgpr2
	v_cmpx_lt_u32_e32 0x3bffffff, v3
	s_xor_b32 s29, exec_lo, s29
	s_cbranch_execz .LBB206_789
; %bb.683:
	v_bfe_u32 v2, v3, 20, 1
	s_mov_b32 s28, exec_lo
	s_delay_alu instid0(VALU_DEP_1) | instskip(NEXT) | instid1(VALU_DEP_1)
	v_add3_u32 v2, v3, v2, 0x487ffff
                                        ; implicit-def: $vgpr3
	v_lshrrev_b32_e32 v2, 20, v2
	s_and_not1_saveexec_b32 s29, s29
	s_cbranch_execnz .LBB206_790
.LBB206_684:
	s_or_b32 exec_lo, exec_lo, s29
	v_mov_b32_e32 v5, 0
	s_and_saveexec_b32 s29, s28
.LBB206_685:
	v_mov_b32_e32 v5, v2
.LBB206_686:
	s_or_b32 exec_lo, exec_lo, s29
.LBB206_687:
	s_delay_alu instid0(SALU_CYCLE_1)
	s_or_b32 exec_lo, exec_lo, s27
	global_store_b8 v[0:1], v5, off
.LBB206_688:
	s_mov_b32 s27, -1
.LBB206_689:
	s_mov_b32 s28, 0
.LBB206_690:
	s_delay_alu instid0(SALU_CYCLE_1)
	s_and_b32 vcc_lo, exec_lo, s28
	s_cbranch_vccz .LBB206_731
; %bb.691:
	s_cmp_gt_i32 s26, 22
	s_mov_b32 s28, -1
	s_cbranch_scc0 .LBB206_723
; %bb.692:
	s_cmp_lt_i32 s26, 24
	s_mov_b32 s27, -1
	s_cbranch_scc1 .LBB206_712
; %bb.693:
	s_cmp_gt_i32 s26, 24
	s_cbranch_scc0 .LBB206_701
; %bb.694:
	s_wait_xcnt 0x0
	v_cndmask_b32_e64 v3, 0, 1.0, s1
	v_mov_b32_e32 v5, 0x80
	s_mov_b32 s27, exec_lo
	s_delay_alu instid0(VALU_DEP_2)
	v_cmpx_gt_u32_e32 0x47800000, v3
	s_cbranch_execz .LBB206_700
; %bb.695:
	s_mov_b32 s28, 0
	s_mov_b32 s29, exec_lo
                                        ; implicit-def: $vgpr2
	v_cmpx_lt_u32_e32 0x37ffffff, v3
	s_xor_b32 s29, exec_lo, s29
	s_cbranch_execz .LBB206_792
; %bb.696:
	v_bfe_u32 v2, v3, 21, 1
	s_mov_b32 s28, exec_lo
	s_delay_alu instid0(VALU_DEP_1) | instskip(NEXT) | instid1(VALU_DEP_1)
	v_add3_u32 v2, v3, v2, 0x88fffff
                                        ; implicit-def: $vgpr3
	v_lshrrev_b32_e32 v2, 21, v2
	s_and_not1_saveexec_b32 s29, s29
	s_cbranch_execnz .LBB206_793
.LBB206_697:
	s_or_b32 exec_lo, exec_lo, s29
	v_mov_b32_e32 v5, 0
	s_and_saveexec_b32 s29, s28
.LBB206_698:
	v_mov_b32_e32 v5, v2
.LBB206_699:
	s_or_b32 exec_lo, exec_lo, s29
.LBB206_700:
	s_delay_alu instid0(SALU_CYCLE_1)
	s_or_b32 exec_lo, exec_lo, s27
	s_mov_b32 s27, 0
	global_store_b8 v[0:1], v5, off
.LBB206_701:
	s_and_b32 vcc_lo, exec_lo, s27
	s_cbranch_vccz .LBB206_711
; %bb.702:
	s_wait_xcnt 0x0
	v_cndmask_b32_e64 v3, 0, 1.0, s1
	s_mov_b32 s27, exec_lo
                                        ; implicit-def: $vgpr2
	s_delay_alu instid0(VALU_DEP_1)
	v_cmpx_gt_u32_e32 0x43f00000, v3
	s_xor_b32 s27, exec_lo, s27
	s_cbranch_execz .LBB206_708
; %bb.703:
	s_mov_b32 s28, exec_lo
                                        ; implicit-def: $vgpr2
	v_cmpx_lt_u32_e32 0x3c7fffff, v3
	s_xor_b32 s28, exec_lo, s28
; %bb.704:
	v_bfe_u32 v2, v3, 20, 1
	s_delay_alu instid0(VALU_DEP_1) | instskip(NEXT) | instid1(VALU_DEP_1)
	v_add3_u32 v2, v3, v2, 0x407ffff
	v_and_b32_e32 v3, 0xff00000, v2
	v_lshrrev_b32_e32 v2, 20, v2
	s_delay_alu instid0(VALU_DEP_2) | instskip(NEXT) | instid1(VALU_DEP_2)
	v_cmp_ne_u32_e32 vcc_lo, 0x7f00000, v3
                                        ; implicit-def: $vgpr3
	v_cndmask_b32_e32 v2, 0x7e, v2, vcc_lo
; %bb.705:
	s_and_not1_saveexec_b32 s28, s28
; %bb.706:
	v_add_f32_e32 v2, 0x46800000, v3
; %bb.707:
	s_or_b32 exec_lo, exec_lo, s28
                                        ; implicit-def: $vgpr3
.LBB206_708:
	s_and_not1_saveexec_b32 s27, s27
; %bb.709:
	v_mov_b32_e32 v2, 0x7f
	v_cmp_lt_u32_e32 vcc_lo, 0x7f800000, v3
	s_delay_alu instid0(VALU_DEP_2)
	v_cndmask_b32_e32 v2, 0x7e, v2, vcc_lo
; %bb.710:
	s_or_b32 exec_lo, exec_lo, s27
	global_store_b8 v[0:1], v2, off
.LBB206_711:
	s_mov_b32 s27, 0
.LBB206_712:
	s_delay_alu instid0(SALU_CYCLE_1)
	s_and_not1_b32 vcc_lo, exec_lo, s27
	s_cbranch_vccnz .LBB206_722
; %bb.713:
	s_wait_xcnt 0x0
	v_cndmask_b32_e64 v3, 0, 1.0, s1
	s_mov_b32 s27, exec_lo
                                        ; implicit-def: $vgpr2
	s_delay_alu instid0(VALU_DEP_1)
	v_cmpx_gt_u32_e32 0x47800000, v3
	s_xor_b32 s27, exec_lo, s27
	s_cbranch_execz .LBB206_719
; %bb.714:
	s_mov_b32 s28, exec_lo
                                        ; implicit-def: $vgpr2
	v_cmpx_lt_u32_e32 0x387fffff, v3
	s_xor_b32 s28, exec_lo, s28
; %bb.715:
	v_bfe_u32 v2, v3, 21, 1
	s_delay_alu instid0(VALU_DEP_1) | instskip(NEXT) | instid1(VALU_DEP_1)
	v_add3_u32 v2, v3, v2, 0x80fffff
                                        ; implicit-def: $vgpr3
	v_lshrrev_b32_e32 v2, 21, v2
; %bb.716:
	s_and_not1_saveexec_b32 s28, s28
; %bb.717:
	v_add_f32_e32 v2, 0x43000000, v3
; %bb.718:
	s_or_b32 exec_lo, exec_lo, s28
                                        ; implicit-def: $vgpr3
.LBB206_719:
	s_and_not1_saveexec_b32 s27, s27
; %bb.720:
	v_mov_b32_e32 v2, 0x7f
	v_cmp_lt_u32_e32 vcc_lo, 0x7f800000, v3
	s_delay_alu instid0(VALU_DEP_2)
	v_cndmask_b32_e32 v2, 0x7c, v2, vcc_lo
; %bb.721:
	s_or_b32 exec_lo, exec_lo, s27
	global_store_b8 v[0:1], v2, off
.LBB206_722:
	s_mov_b32 s28, 0
	s_mov_b32 s27, -1
.LBB206_723:
	s_and_not1_b32 vcc_lo, exec_lo, s28
	s_cbranch_vccnz .LBB206_731
; %bb.724:
	s_cmp_gt_i32 s26, 14
	s_mov_b32 s28, -1
	s_cbranch_scc0 .LBB206_728
; %bb.725:
	s_cmp_eq_u32 s26, 15
	s_mov_b32 s2, -1
	s_cbranch_scc0 .LBB206_727
; %bb.726:
	s_wait_xcnt 0x0
	v_cndmask_b32_e64 v2, 0, 1.0, s1
	s_mov_b32 s27, -1
	s_mov_b32 s2, 0
	s_delay_alu instid0(VALU_DEP_1) | instskip(NEXT) | instid1(VALU_DEP_1)
	v_bfe_u32 v3, v2, 16, 1
	v_add3_u32 v2, v2, v3, 0x7fff
	global_store_d16_hi_b16 v[0:1], v2, off
.LBB206_727:
	s_mov_b32 s28, 0
.LBB206_728:
	s_delay_alu instid0(SALU_CYCLE_1)
	s_and_b32 vcc_lo, exec_lo, s28
	s_cbranch_vccz .LBB206_731
; %bb.729:
	s_cmp_eq_u32 s26, 11
	s_mov_b32 s2, -1
	s_cbranch_scc0 .LBB206_731
; %bb.730:
	s_wait_xcnt 0x0
	v_cndmask_b32_e64 v2, 0, 1, s1
	s_mov_b32 s27, -1
	s_mov_b32 s2, 0
	global_store_b8 v[0:1], v2, off
.LBB206_731:
	s_mov_b32 s26, 0
.LBB206_732:
	s_delay_alu instid0(SALU_CYCLE_1)
	s_and_b32 vcc_lo, exec_lo, s26
	s_cbranch_vccz .LBB206_771
; %bb.733:
	s_and_b32 s25, 0xffff, s25
	s_mov_b32 s26, -1
	s_cmp_lt_i32 s25, 5
	s_cbranch_scc1 .LBB206_754
; %bb.734:
	s_cmp_lt_i32 s25, 8
	s_cbranch_scc1 .LBB206_744
; %bb.735:
	;; [unrolled: 3-line block ×3, first 2 shown]
	s_cmp_gt_i32 s25, 9
	s_cbranch_scc0 .LBB206_738
; %bb.737:
	s_wait_xcnt 0x0
	v_cndmask_b32_e64 v2, 0, 1, s1
	v_mov_b32_e32 v8, 0
	s_mov_b32 s26, 0
	s_delay_alu instid0(VALU_DEP_2) | instskip(NEXT) | instid1(VALU_DEP_2)
	v_cvt_f64_u32_e32 v[6:7], v2
	v_mov_b32_e32 v9, v8
	global_store_b128 v[0:1], v[6:9], off
.LBB206_738:
	s_and_not1_b32 vcc_lo, exec_lo, s26
	s_cbranch_vccnz .LBB206_740
; %bb.739:
	s_wait_xcnt 0x0
	v_cndmask_b32_e64 v2, 0, 1.0, s1
	v_mov_b32_e32 v3, 0
	global_store_b64 v[0:1], v[2:3], off
.LBB206_740:
	s_mov_b32 s26, 0
.LBB206_741:
	s_delay_alu instid0(SALU_CYCLE_1)
	s_and_not1_b32 vcc_lo, exec_lo, s26
	s_cbranch_vccnz .LBB206_743
; %bb.742:
	s_wait_xcnt 0x0
	v_cndmask_b32_e64 v2, 0, 1.0, s1
	s_delay_alu instid0(VALU_DEP_1) | instskip(NEXT) | instid1(VALU_DEP_1)
	v_cvt_f16_f32_e32 v2, v2
	v_and_b32_e32 v2, 0xffff, v2
	global_store_b32 v[0:1], v2, off
.LBB206_743:
	s_mov_b32 s26, 0
.LBB206_744:
	s_delay_alu instid0(SALU_CYCLE_1)
	s_and_not1_b32 vcc_lo, exec_lo, s26
	s_cbranch_vccnz .LBB206_753
; %bb.745:
	s_cmp_lt_i32 s25, 6
	s_mov_b32 s26, -1
	s_cbranch_scc1 .LBB206_751
; %bb.746:
	s_cmp_gt_i32 s25, 6
	s_cbranch_scc0 .LBB206_748
; %bb.747:
	s_wait_xcnt 0x0
	v_cndmask_b32_e64 v2, 0, 1, s1
	s_mov_b32 s26, 0
	s_delay_alu instid0(VALU_DEP_1)
	v_cvt_f64_u32_e32 v[2:3], v2
	global_store_b64 v[0:1], v[2:3], off
.LBB206_748:
	s_and_not1_b32 vcc_lo, exec_lo, s26
	s_cbranch_vccnz .LBB206_750
; %bb.749:
	s_wait_xcnt 0x0
	v_cndmask_b32_e64 v2, 0, 1.0, s1
	global_store_b32 v[0:1], v2, off
.LBB206_750:
	s_mov_b32 s26, 0
.LBB206_751:
	s_delay_alu instid0(SALU_CYCLE_1)
	s_and_not1_b32 vcc_lo, exec_lo, s26
	s_cbranch_vccnz .LBB206_753
; %bb.752:
	s_wait_xcnt 0x0
	v_cndmask_b32_e64 v2, 0, 1.0, s1
	s_delay_alu instid0(VALU_DEP_1)
	v_cvt_f16_f32_e32 v2, v2
	global_store_b16 v[0:1], v2, off
.LBB206_753:
	s_mov_b32 s26, 0
.LBB206_754:
	s_delay_alu instid0(SALU_CYCLE_1)
	s_and_not1_b32 vcc_lo, exec_lo, s26
	s_cbranch_vccnz .LBB206_770
; %bb.755:
	s_cmp_lt_i32 s25, 2
	s_mov_b32 s26, -1
	s_cbranch_scc1 .LBB206_765
; %bb.756:
	s_cmp_lt_i32 s25, 3
	s_cbranch_scc1 .LBB206_762
; %bb.757:
	s_cmp_gt_i32 s25, 3
	s_cbranch_scc0 .LBB206_759
; %bb.758:
	s_mov_b32 s26, 0
	s_wait_xcnt 0x0
	v_cndmask_b32_e64 v2, 0, 1, s1
	v_mov_b32_e32 v3, s26
	global_store_b64 v[0:1], v[2:3], off
.LBB206_759:
	s_and_not1_b32 vcc_lo, exec_lo, s26
	s_cbranch_vccnz .LBB206_761
; %bb.760:
	s_wait_xcnt 0x0
	v_cndmask_b32_e64 v2, 0, 1, s1
	global_store_b32 v[0:1], v2, off
.LBB206_761:
	s_mov_b32 s26, 0
.LBB206_762:
	s_delay_alu instid0(SALU_CYCLE_1)
	s_and_not1_b32 vcc_lo, exec_lo, s26
	s_cbranch_vccnz .LBB206_764
; %bb.763:
	s_wait_xcnt 0x0
	v_cndmask_b32_e64 v2, 0, 1, s1
	global_store_b16 v[0:1], v2, off
.LBB206_764:
	s_mov_b32 s26, 0
.LBB206_765:
	s_delay_alu instid0(SALU_CYCLE_1)
	s_and_not1_b32 vcc_lo, exec_lo, s26
	s_cbranch_vccnz .LBB206_770
; %bb.766:
	s_wait_xcnt 0x0
	v_cndmask_b32_e64 v2, 0, 1, s1
	s_cmp_gt_i32 s25, 0
	s_mov_b32 s1, -1
	s_cbranch_scc0 .LBB206_768
; %bb.767:
	s_mov_b32 s1, 0
	global_store_b8 v[0:1], v2, off
.LBB206_768:
	s_and_not1_b32 vcc_lo, exec_lo, s1
	s_cbranch_vccnz .LBB206_770
; %bb.769:
	global_store_b8 v[0:1], v2, off
.LBB206_770:
	s_mov_b32 s27, -1
.LBB206_771:
	s_delay_alu instid0(SALU_CYCLE_1)
	s_and_not1_b32 vcc_lo, exec_lo, s27
	s_cbranch_vccnz .LBB206_773
; %bb.772:
	v_add_nc_u32_e32 v4, 0x80, v4
	s_mov_b32 s25, -1
	s_branch .LBB206_775
.LBB206_773:
	s_mov_b32 s25, 0
.LBB206_774:
                                        ; implicit-def: $vgpr4
.LBB206_775:
	s_and_not1_b32 s1, s21, exec_lo
	s_and_b32 s2, s2, exec_lo
	s_and_not1_b32 s26, s20, exec_lo
	s_and_b32 s24, s24, exec_lo
	s_or_b32 s2, s1, s2
	s_or_b32 s1, s26, s24
	s_or_not1_b32 s27, s25, exec_lo
.LBB206_776:
	s_wait_xcnt 0x0
	s_or_b32 exec_lo, exec_lo, s23
	s_mov_b32 s24, 0
	s_mov_b32 s25, 0
	;; [unrolled: 1-line block ×3, first 2 shown]
                                        ; implicit-def: $vgpr0_vgpr1
                                        ; implicit-def: $vgpr2
	s_and_saveexec_b32 s23, s27
	s_cbranch_execz .LBB206_861
; %bb.777:
	v_cmp_gt_i32_e32 vcc_lo, s16, v4
	s_mov_b32 s28, s1
	s_mov_b32 s27, 0
	;; [unrolled: 1-line block ×3, first 2 shown]
                                        ; implicit-def: $vgpr0_vgpr1
                                        ; implicit-def: $vgpr2
	s_and_saveexec_b32 s16, vcc_lo
	s_cbranch_execz .LBB206_860
; %bb.778:
	v_mul_lo_u32 v0, v4, s9
	s_and_b32 s24, 0xffff, s13
	s_delay_alu instid0(SALU_CYCLE_1) | instskip(NEXT) | instid1(VALU_DEP_1)
	s_cmp_lt_i32 s24, 11
	v_ashrrev_i32_e32 v1, 31, v0
	s_delay_alu instid0(VALU_DEP_1)
	v_add_nc_u64_e32 v[0:1], s[6:7], v[0:1]
	s_cbranch_scc1 .LBB206_785
; %bb.779:
	s_cmp_gt_i32 s24, 25
	s_cbranch_scc0 .LBB206_786
; %bb.780:
	s_cmp_gt_i32 s24, 28
	s_cbranch_scc0 .LBB206_787
	;; [unrolled: 3-line block ×4, first 2 shown]
; %bb.783:
	s_cmp_eq_u32 s24, 46
	s_mov_b32 s28, 0
	s_cbranch_scc0 .LBB206_794
; %bb.784:
	s_wait_loadcnt 0x0
	global_load_b32 v2, v[0:1], off
	s_mov_b32 s27, -1
	s_branch .LBB206_796
.LBB206_785:
	s_mov_b32 s24, -1
	s_mov_b32 s25, s1
                                        ; implicit-def: $vgpr2
	s_branch .LBB206_859
.LBB206_786:
	s_mov_b32 s28, -1
	s_mov_b32 s25, s1
                                        ; implicit-def: $vgpr2
	s_branch .LBB206_825
.LBB206_787:
	s_mov_b32 s28, -1
	s_mov_b32 s25, s1
                                        ; implicit-def: $vgpr2
	s_branch .LBB206_806
.LBB206_788:
	s_mov_b32 s28, -1
	s_mov_b32 s25, s1
                                        ; implicit-def: $vgpr2
	s_branch .LBB206_801
.LBB206_789:
	s_and_not1_saveexec_b32 s29, s29
	s_cbranch_execz .LBB206_684
.LBB206_790:
	v_add_f32_e32 v2, 0x46000000, v3
	s_and_not1_b32 s28, s28, exec_lo
	s_delay_alu instid0(VALU_DEP_1) | instskip(NEXT) | instid1(VALU_DEP_1)
	v_and_b32_e32 v2, 0xff, v2
	v_cmp_ne_u32_e32 vcc_lo, 0, v2
	s_and_b32 s30, vcc_lo, exec_lo
	s_delay_alu instid0(SALU_CYCLE_1)
	s_or_b32 s28, s28, s30
	s_or_b32 exec_lo, exec_lo, s29
	v_mov_b32_e32 v5, 0
	s_and_saveexec_b32 s29, s28
	s_cbranch_execnz .LBB206_685
	s_branch .LBB206_686
.LBB206_791:
	s_mov_b32 s28, -1
	s_mov_b32 s25, s1
	s_branch .LBB206_795
.LBB206_792:
	s_and_not1_saveexec_b32 s29, s29
	s_cbranch_execz .LBB206_697
.LBB206_793:
	v_add_f32_e32 v2, 0x42800000, v3
	s_and_not1_b32 s28, s28, exec_lo
	s_delay_alu instid0(VALU_DEP_1) | instskip(NEXT) | instid1(VALU_DEP_1)
	v_and_b32_e32 v2, 0xff, v2
	v_cmp_ne_u32_e32 vcc_lo, 0, v2
	s_and_b32 s30, vcc_lo, exec_lo
	s_delay_alu instid0(SALU_CYCLE_1)
	s_or_b32 s28, s28, s30
	s_or_b32 exec_lo, exec_lo, s29
	v_mov_b32_e32 v5, 0
	s_and_saveexec_b32 s29, s28
	s_cbranch_execnz .LBB206_698
	s_branch .LBB206_699
.LBB206_794:
	s_mov_b32 s25, -1
.LBB206_795:
                                        ; implicit-def: $vgpr2
.LBB206_796:
	s_and_b32 vcc_lo, exec_lo, s28
	s_cbranch_vccz .LBB206_800
; %bb.797:
	s_cmp_eq_u32 s24, 44
	s_cbranch_scc0 .LBB206_799
; %bb.798:
	s_wait_loadcnt 0x0
	global_load_u8 v2, v[0:1], off
	s_mov_b32 s25, 0
	s_mov_b32 s27, -1
	s_wait_loadcnt 0x0
	v_lshlrev_b32_e32 v3, 23, v2
	v_cmp_ne_u32_e32 vcc_lo, 0xff, v2
	s_delay_alu instid0(VALU_DEP_2) | instskip(SKIP_1) | instid1(VALU_DEP_2)
	v_cndmask_b32_e32 v3, 0x7f800001, v3, vcc_lo
	v_cmp_ne_u32_e32 vcc_lo, 0, v2
	v_cndmask_b32_e32 v2, 0x400000, v3, vcc_lo
	s_delay_alu instid0(VALU_DEP_1) | instskip(NEXT) | instid1(VALU_DEP_1)
	v_add_nc_u32_e32 v3, 0x7fff, v2
	v_lshrrev_b32_e32 v3, 16, v3
	v_cmp_o_f32_e32 vcc_lo, v2, v2
	s_delay_alu instid0(VALU_DEP_2)
	v_cndmask_b32_e32 v2, 0x7fc0, v3, vcc_lo
	s_branch .LBB206_800
.LBB206_799:
	s_mov_b32 s25, -1
                                        ; implicit-def: $vgpr2
.LBB206_800:
	s_mov_b32 s28, 0
.LBB206_801:
	s_delay_alu instid0(SALU_CYCLE_1)
	s_and_b32 vcc_lo, exec_lo, s28
	s_cbranch_vccz .LBB206_805
; %bb.802:
	s_cmp_eq_u32 s24, 29
	s_cbranch_scc0 .LBB206_804
; %bb.803:
	s_wait_loadcnt 0x0
	global_load_b64 v[2:3], v[0:1], off
	s_mov_b32 s25, 0
	s_mov_b32 s27, -1
	s_mov_b32 s28, 0
	s_wait_loadcnt 0x0
	v_clz_i32_u32_e32 v5, v3
	s_delay_alu instid0(VALU_DEP_1) | instskip(NEXT) | instid1(VALU_DEP_1)
	v_min_u32_e32 v5, 32, v5
	v_lshlrev_b64_e32 v[2:3], v5, v[2:3]
	s_delay_alu instid0(VALU_DEP_1) | instskip(NEXT) | instid1(VALU_DEP_1)
	v_min_u32_e32 v2, 1, v2
	v_dual_sub_nc_u32 v3, 32, v5 :: v_dual_bitop2_b32 v2, v3, v2 bitop3:0x54
	s_delay_alu instid0(VALU_DEP_1) | instskip(NEXT) | instid1(VALU_DEP_1)
	v_cvt_f32_u32_e32 v2, v2
	v_ldexp_f32 v2, v2, v3
	s_delay_alu instid0(VALU_DEP_1) | instskip(NEXT) | instid1(VALU_DEP_1)
	v_bfe_u32 v3, v2, 16, 1
	v_add3_u32 v2, v2, v3, 0x7fff
	s_delay_alu instid0(VALU_DEP_1)
	v_lshrrev_b32_e32 v2, 16, v2
	s_branch .LBB206_806
.LBB206_804:
	s_mov_b32 s25, -1
                                        ; implicit-def: $vgpr2
.LBB206_805:
	s_mov_b32 s28, 0
.LBB206_806:
	s_delay_alu instid0(SALU_CYCLE_1)
	s_and_b32 vcc_lo, exec_lo, s28
	s_cbranch_vccz .LBB206_824
; %bb.807:
	s_cmp_lt_i32 s24, 27
	s_cbranch_scc1 .LBB206_810
; %bb.808:
	s_cmp_gt_i32 s24, 27
	s_cbranch_scc0 .LBB206_811
; %bb.809:
	s_wait_loadcnt 0x0
	global_load_b32 v2, v[0:1], off
	s_mov_b32 s27, 0
	s_wait_loadcnt 0x0
	v_cvt_f32_u32_e32 v2, v2
	s_delay_alu instid0(VALU_DEP_1) | instskip(NEXT) | instid1(VALU_DEP_1)
	v_bfe_u32 v3, v2, 16, 1
	v_add3_u32 v2, v2, v3, 0x7fff
	s_delay_alu instid0(VALU_DEP_1)
	v_lshrrev_b32_e32 v2, 16, v2
	s_branch .LBB206_812
.LBB206_810:
	s_mov_b32 s27, -1
                                        ; implicit-def: $vgpr2
	s_branch .LBB206_815
.LBB206_811:
	s_mov_b32 s27, -1
                                        ; implicit-def: $vgpr2
.LBB206_812:
	s_delay_alu instid0(SALU_CYCLE_1)
	s_and_not1_b32 vcc_lo, exec_lo, s27
	s_cbranch_vccnz .LBB206_814
; %bb.813:
	s_wait_loadcnt 0x0
	global_load_u16 v2, v[0:1], off
	s_wait_loadcnt 0x0
	v_cvt_f32_u32_e32 v2, v2
	s_delay_alu instid0(VALU_DEP_1) | instskip(NEXT) | instid1(VALU_DEP_1)
	v_bfe_u32 v3, v2, 16, 1
	v_add3_u32 v2, v2, v3, 0x7fff
	s_delay_alu instid0(VALU_DEP_1)
	v_lshrrev_b32_e32 v2, 16, v2
.LBB206_814:
	s_mov_b32 s27, 0
.LBB206_815:
	s_delay_alu instid0(SALU_CYCLE_1)
	s_and_not1_b32 vcc_lo, exec_lo, s27
	s_cbranch_vccnz .LBB206_823
; %bb.816:
	s_wait_loadcnt 0x0
	global_load_u8 v2, v[0:1], off
	s_mov_b32 s27, 0
	s_mov_b32 s28, exec_lo
	s_wait_loadcnt 0x0
	v_cmpx_lt_i16_e32 0x7f, v2
	s_xor_b32 s28, exec_lo, s28
	s_cbranch_execz .LBB206_837
; %bb.817:
	s_mov_b32 s27, -1
	s_mov_b32 s29, exec_lo
	v_cmpx_eq_u16_e32 0x80, v2
; %bb.818:
	s_xor_b32 s27, exec_lo, -1
; %bb.819:
	s_or_b32 exec_lo, exec_lo, s29
	s_delay_alu instid0(SALU_CYCLE_1)
	s_and_b32 s27, s27, exec_lo
	s_or_saveexec_b32 s28, s28
	v_mov_b32_e32 v3, 0x7f800001
	s_xor_b32 exec_lo, exec_lo, s28
	s_cbranch_execnz .LBB206_838
.LBB206_820:
	s_or_b32 exec_lo, exec_lo, s28
	s_and_saveexec_b32 s28, s27
	s_cbranch_execz .LBB206_822
.LBB206_821:
	v_and_b32_e32 v3, 0xffff, v2
	s_delay_alu instid0(VALU_DEP_1) | instskip(SKIP_1) | instid1(VALU_DEP_2)
	v_and_b32_e32 v5, 7, v3
	v_bfe_u32 v8, v3, 3, 4
	v_clz_i32_u32_e32 v6, v5
	s_delay_alu instid0(VALU_DEP_2) | instskip(NEXT) | instid1(VALU_DEP_2)
	v_cmp_eq_u32_e32 vcc_lo, 0, v8
	v_min_u32_e32 v6, 32, v6
	s_delay_alu instid0(VALU_DEP_1) | instskip(NEXT) | instid1(VALU_DEP_1)
	v_subrev_nc_u32_e32 v7, 28, v6
	v_dual_lshlrev_b32 v3, v7, v3 :: v_dual_sub_nc_u32 v6, 29, v6
	s_delay_alu instid0(VALU_DEP_1) | instskip(NEXT) | instid1(VALU_DEP_1)
	v_dual_lshlrev_b32 v2, 24, v2 :: v_dual_bitop2_b32 v3, 7, v3 bitop3:0x40
	v_dual_cndmask_b32 v3, v5, v3 :: v_dual_cndmask_b32 v6, v8, v6
	s_delay_alu instid0(VALU_DEP_2) | instskip(NEXT) | instid1(VALU_DEP_2)
	v_and_b32_e32 v2, 0x80000000, v2
	v_lshlrev_b32_e32 v3, 20, v3
	s_delay_alu instid0(VALU_DEP_3) | instskip(NEXT) | instid1(VALU_DEP_1)
	v_lshl_add_u32 v5, v6, 23, 0x3b800000
	v_or3_b32 v3, v2, v5, v3
.LBB206_822:
	s_or_b32 exec_lo, exec_lo, s28
	s_delay_alu instid0(VALU_DEP_1) | instskip(SKIP_1) | instid1(VALU_DEP_2)
	v_bfe_u32 v2, v3, 16, 1
	v_cmp_o_f32_e32 vcc_lo, v3, v3
	v_add3_u32 v2, v3, v2, 0x7fff
	s_delay_alu instid0(VALU_DEP_1) | instskip(NEXT) | instid1(VALU_DEP_1)
	v_lshrrev_b32_e32 v2, 16, v2
	v_cndmask_b32_e32 v2, 0x7fc0, v2, vcc_lo
.LBB206_823:
	s_mov_b32 s27, -1
.LBB206_824:
	s_mov_b32 s28, 0
.LBB206_825:
	s_delay_alu instid0(SALU_CYCLE_1)
	s_and_b32 vcc_lo, exec_lo, s28
	s_cbranch_vccz .LBB206_858
; %bb.826:
	s_cmp_gt_i32 s24, 22
	s_cbranch_scc0 .LBB206_836
; %bb.827:
	s_cmp_lt_i32 s24, 24
	s_cbranch_scc1 .LBB206_839
; %bb.828:
	s_cmp_gt_i32 s24, 24
	s_cbranch_scc0 .LBB206_840
; %bb.829:
	s_wait_loadcnt 0x0
	global_load_u8 v2, v[0:1], off
	s_mov_b32 s27, exec_lo
	s_wait_loadcnt 0x0
	v_cmpx_lt_i16_e32 0x7f, v2
	s_xor_b32 s27, exec_lo, s27
	s_cbranch_execz .LBB206_852
; %bb.830:
	s_mov_b32 s26, -1
	s_mov_b32 s28, exec_lo
	v_cmpx_eq_u16_e32 0x80, v2
; %bb.831:
	s_xor_b32 s26, exec_lo, -1
; %bb.832:
	s_or_b32 exec_lo, exec_lo, s28
	s_delay_alu instid0(SALU_CYCLE_1)
	s_and_b32 s26, s26, exec_lo
	s_or_saveexec_b32 s27, s27
	v_mov_b32_e32 v3, 0x7f800001
	s_xor_b32 exec_lo, exec_lo, s27
	s_cbranch_execnz .LBB206_853
.LBB206_833:
	s_or_b32 exec_lo, exec_lo, s27
	s_and_saveexec_b32 s27, s26
	s_cbranch_execz .LBB206_835
.LBB206_834:
	v_and_b32_e32 v3, 0xffff, v2
	s_delay_alu instid0(VALU_DEP_1) | instskip(SKIP_1) | instid1(VALU_DEP_2)
	v_and_b32_e32 v5, 3, v3
	v_bfe_u32 v8, v3, 2, 5
	v_clz_i32_u32_e32 v6, v5
	s_delay_alu instid0(VALU_DEP_2) | instskip(NEXT) | instid1(VALU_DEP_2)
	v_cmp_eq_u32_e32 vcc_lo, 0, v8
	v_min_u32_e32 v6, 32, v6
	s_delay_alu instid0(VALU_DEP_1) | instskip(NEXT) | instid1(VALU_DEP_1)
	v_subrev_nc_u32_e32 v7, 29, v6
	v_dual_lshlrev_b32 v3, v7, v3 :: v_dual_sub_nc_u32 v6, 30, v6
	s_delay_alu instid0(VALU_DEP_1) | instskip(NEXT) | instid1(VALU_DEP_1)
	v_dual_lshlrev_b32 v2, 24, v2 :: v_dual_bitop2_b32 v3, 3, v3 bitop3:0x40
	v_dual_cndmask_b32 v3, v5, v3 :: v_dual_cndmask_b32 v6, v8, v6
	s_delay_alu instid0(VALU_DEP_2) | instskip(NEXT) | instid1(VALU_DEP_2)
	v_and_b32_e32 v2, 0x80000000, v2
	v_lshlrev_b32_e32 v3, 21, v3
	s_delay_alu instid0(VALU_DEP_3) | instskip(NEXT) | instid1(VALU_DEP_1)
	v_lshl_add_u32 v5, v6, 23, 0x37800000
	v_or3_b32 v3, v2, v5, v3
.LBB206_835:
	s_or_b32 exec_lo, exec_lo, s27
	s_delay_alu instid0(VALU_DEP_1) | instskip(SKIP_2) | instid1(VALU_DEP_2)
	v_bfe_u32 v2, v3, 16, 1
	v_cmp_o_f32_e32 vcc_lo, v3, v3
	s_mov_b32 s26, 0
	v_add3_u32 v2, v3, v2, 0x7fff
	s_delay_alu instid0(VALU_DEP_1) | instskip(NEXT) | instid1(VALU_DEP_1)
	v_lshrrev_b32_e32 v2, 16, v2
	v_cndmask_b32_e32 v2, 0x7fc0, v2, vcc_lo
	s_branch .LBB206_841
.LBB206_836:
	s_mov_b32 s26, -1
                                        ; implicit-def: $vgpr2
	s_branch .LBB206_847
.LBB206_837:
	s_or_saveexec_b32 s28, s28
	v_mov_b32_e32 v3, 0x7f800001
	s_xor_b32 exec_lo, exec_lo, s28
	s_cbranch_execz .LBB206_820
.LBB206_838:
	v_cmp_ne_u16_e32 vcc_lo, 0, v2
	v_mov_b32_e32 v3, 0
	s_and_not1_b32 s27, s27, exec_lo
	s_and_b32 s29, vcc_lo, exec_lo
	s_delay_alu instid0(SALU_CYCLE_1)
	s_or_b32 s27, s27, s29
	s_or_b32 exec_lo, exec_lo, s28
	s_and_saveexec_b32 s28, s27
	s_cbranch_execnz .LBB206_821
	s_branch .LBB206_822
.LBB206_839:
	s_mov_b32 s26, -1
                                        ; implicit-def: $vgpr2
	s_branch .LBB206_844
.LBB206_840:
	s_mov_b32 s26, -1
                                        ; implicit-def: $vgpr2
.LBB206_841:
	s_delay_alu instid0(SALU_CYCLE_1)
	s_and_b32 vcc_lo, exec_lo, s26
	s_cbranch_vccz .LBB206_843
; %bb.842:
	s_wait_loadcnt 0x0
	global_load_u8 v2, v[0:1], off
	s_wait_loadcnt 0x0
	v_lshlrev_b32_e32 v2, 24, v2
	s_delay_alu instid0(VALU_DEP_1) | instskip(NEXT) | instid1(VALU_DEP_1)
	v_and_b32_e32 v3, 0x7f000000, v2
	v_clz_i32_u32_e32 v5, v3
	v_add_nc_u32_e32 v7, 0x1000000, v3
	v_cmp_ne_u32_e32 vcc_lo, 0, v3
	s_delay_alu instid0(VALU_DEP_3) | instskip(NEXT) | instid1(VALU_DEP_1)
	v_min_u32_e32 v5, 32, v5
	v_sub_nc_u32_e64 v5, v5, 4 clamp
	s_delay_alu instid0(VALU_DEP_1) | instskip(NEXT) | instid1(VALU_DEP_1)
	v_dual_lshlrev_b32 v6, v5, v3 :: v_dual_lshlrev_b32 v5, 23, v5
	v_lshrrev_b32_e32 v6, 4, v6
	s_delay_alu instid0(VALU_DEP_1) | instskip(NEXT) | instid1(VALU_DEP_1)
	v_dual_sub_nc_u32 v5, v6, v5 :: v_dual_ashrrev_i32 v6, 8, v7
	v_add_nc_u32_e32 v5, 0x3c000000, v5
	s_delay_alu instid0(VALU_DEP_1) | instskip(NEXT) | instid1(VALU_DEP_1)
	v_and_or_b32 v5, 0x7f800000, v6, v5
	v_cndmask_b32_e32 v3, 0, v5, vcc_lo
	s_delay_alu instid0(VALU_DEP_1) | instskip(SKIP_1) | instid1(VALU_DEP_2)
	v_and_or_b32 v2, 0x80000000, v2, v3
	v_bfe_u32 v3, v3, 16, 1
	v_cmp_o_f32_e32 vcc_lo, v2, v2
	s_delay_alu instid0(VALU_DEP_2) | instskip(NEXT) | instid1(VALU_DEP_1)
	v_add3_u32 v3, v2, v3, 0x7fff
	v_lshrrev_b32_e32 v3, 16, v3
	s_delay_alu instid0(VALU_DEP_1)
	v_cndmask_b32_e32 v2, 0x7fc0, v3, vcc_lo
.LBB206_843:
	s_mov_b32 s26, 0
.LBB206_844:
	s_delay_alu instid0(SALU_CYCLE_1)
	s_and_not1_b32 vcc_lo, exec_lo, s26
	s_cbranch_vccnz .LBB206_846
; %bb.845:
	s_wait_loadcnt 0x0
	global_load_u8 v2, v[0:1], off
	s_wait_loadcnt 0x0
	v_lshlrev_b32_e32 v3, 25, v2
	v_lshlrev_b16 v2, 8, v2
	s_delay_alu instid0(VALU_DEP_2) | instskip(NEXT) | instid1(VALU_DEP_2)
	v_cmp_gt_u32_e32 vcc_lo, 0x8000000, v3
	v_and_or_b32 v6, 0x7f00, v2, 0.5
	v_lshrrev_b32_e32 v5, 4, v3
	v_bfe_i32 v2, v2, 0, 16
	s_delay_alu instid0(VALU_DEP_3) | instskip(NEXT) | instid1(VALU_DEP_3)
	v_add_f32_e32 v6, -0.5, v6
	v_or_b32_e32 v5, 0x70000000, v5
	s_delay_alu instid0(VALU_DEP_1) | instskip(NEXT) | instid1(VALU_DEP_1)
	v_mul_f32_e32 v5, 0x7800000, v5
	v_cndmask_b32_e32 v3, v5, v6, vcc_lo
	s_delay_alu instid0(VALU_DEP_1) | instskip(SKIP_1) | instid1(VALU_DEP_2)
	v_and_or_b32 v2, 0x80000000, v2, v3
	v_bfe_u32 v3, v3, 16, 1
	v_cmp_o_f32_e32 vcc_lo, v2, v2
	s_delay_alu instid0(VALU_DEP_2) | instskip(NEXT) | instid1(VALU_DEP_1)
	v_add3_u32 v3, v2, v3, 0x7fff
	v_lshrrev_b32_e32 v3, 16, v3
	s_delay_alu instid0(VALU_DEP_1)
	v_cndmask_b32_e32 v2, 0x7fc0, v3, vcc_lo
.LBB206_846:
	s_mov_b32 s26, 0
	s_mov_b32 s27, -1
.LBB206_847:
	s_and_not1_b32 vcc_lo, exec_lo, s26
	s_mov_b32 s26, 0
	s_cbranch_vccnz .LBB206_858
; %bb.848:
	s_cmp_gt_i32 s24, 14
	s_cbranch_scc0 .LBB206_851
; %bb.849:
	s_cmp_eq_u32 s24, 15
	s_cbranch_scc0 .LBB206_854
; %bb.850:
	s_wait_loadcnt 0x0
	global_load_u16 v2, v[0:1], off
	s_mov_b32 s25, 0
	s_mov_b32 s27, -1
	s_branch .LBB206_856
.LBB206_851:
	s_mov_b32 s26, -1
	s_branch .LBB206_855
.LBB206_852:
	s_or_saveexec_b32 s27, s27
	v_mov_b32_e32 v3, 0x7f800001
	s_xor_b32 exec_lo, exec_lo, s27
	s_cbranch_execz .LBB206_833
.LBB206_853:
	v_cmp_ne_u16_e32 vcc_lo, 0, v2
	v_mov_b32_e32 v3, 0
	s_and_not1_b32 s26, s26, exec_lo
	s_and_b32 s28, vcc_lo, exec_lo
	s_delay_alu instid0(SALU_CYCLE_1)
	s_or_b32 s26, s26, s28
	s_or_b32 exec_lo, exec_lo, s27
	s_and_saveexec_b32 s27, s26
	s_cbranch_execnz .LBB206_834
	s_branch .LBB206_835
.LBB206_854:
	s_mov_b32 s25, -1
.LBB206_855:
                                        ; implicit-def: $vgpr2
.LBB206_856:
	s_and_b32 vcc_lo, exec_lo, s26
	s_mov_b32 s26, 0
	s_cbranch_vccz .LBB206_858
; %bb.857:
	s_cmp_lg_u32 s24, 11
	s_mov_b32 s26, -1
	s_cselect_b32 s24, -1, 0
	s_and_not1_b32 s25, s25, exec_lo
	s_and_b32 s24, s24, exec_lo
	s_delay_alu instid0(SALU_CYCLE_1)
	s_or_b32 s25, s25, s24
.LBB206_858:
	s_mov_b32 s24, 0
.LBB206_859:
	s_and_not1_b32 s28, s1, exec_lo
	s_and_b32 s25, s25, exec_lo
	s_and_b32 s29, s27, exec_lo
	s_and_b32 s27, s24, exec_lo
	s_and_b32 s24, s26, exec_lo
	s_or_b32 s28, s28, s25
.LBB206_860:
	s_wait_xcnt 0x0
	s_or_b32 exec_lo, exec_lo, s16
	s_delay_alu instid0(SALU_CYCLE_1)
	s_and_not1_b32 s1, s1, exec_lo
	s_and_b32 s16, s28, exec_lo
	s_and_b32 s26, s29, exec_lo
	;; [unrolled: 1-line block ×4, first 2 shown]
	s_or_b32 s1, s1, s16
.LBB206_861:
	s_or_b32 exec_lo, exec_lo, s23
	s_delay_alu instid0(SALU_CYCLE_1)
	s_and_not1_b32 s16, s21, exec_lo
	s_and_b32 s2, s2, exec_lo
	s_and_b32 s23, s26, exec_lo
	s_or_b32 s21, s16, s2
	s_and_not1_b32 s16, s20, exec_lo
	s_and_b32 s20, s1, exec_lo
	s_and_b32 s2, s25, exec_lo
	;; [unrolled: 1-line block ×3, first 2 shown]
	s_or_b32 s20, s16, s20
.LBB206_862:
	s_or_b32 exec_lo, exec_lo, s22
	s_delay_alu instid0(SALU_CYCLE_1)
	s_and_not1_b32 s16, s17, exec_lo
	s_and_b32 s17, s21, exec_lo
	s_and_b32 s22, s2, exec_lo
	s_or_b32 s17, s16, s17
	s_and_not1_b32 s2, s18, exec_lo
	s_and_b32 s16, s20, exec_lo
	s_and_b32 s21, s23, exec_lo
	;; [unrolled: 1-line block ×3, first 2 shown]
	s_or_b32 s18, s2, s16
	s_or_b32 exec_lo, exec_lo, s19
	s_mov_b32 s1, 0
	s_and_saveexec_b32 s2, s18
	s_cbranch_execz .LBB206_262
.LBB206_863:
	s_mov_b32 s1, exec_lo
	s_and_not1_b32 s20, s20, exec_lo
	s_trap 2
	s_or_b32 exec_lo, exec_lo, s2
	s_and_saveexec_b32 s2, s20
	s_delay_alu instid0(SALU_CYCLE_1)
	s_xor_b32 s2, exec_lo, s2
	s_cbranch_execnz .LBB206_263
.LBB206_864:
	s_or_b32 exec_lo, exec_lo, s2
	s_and_saveexec_b32 s2, s22
	s_cbranch_execz .LBB206_910
.LBB206_865:
	s_sext_i32_i16 s16, s13
	s_delay_alu instid0(SALU_CYCLE_1)
	s_cmp_lt_i32 s16, 5
	s_cbranch_scc1 .LBB206_870
; %bb.866:
	s_cmp_lt_i32 s16, 8
	s_cbranch_scc1 .LBB206_871
; %bb.867:
	;; [unrolled: 3-line block ×3, first 2 shown]
	s_cmp_gt_i32 s16, 9
	s_cbranch_scc0 .LBB206_873
; %bb.869:
	s_wait_loadcnt 0x0
	global_load_b64 v[2:3], v[0:1], off
	s_mov_b32 s16, 0
	s_wait_loadcnt 0x0
	v_cvt_f32_f64_e32 v2, v[2:3]
	s_delay_alu instid0(VALU_DEP_1) | instskip(SKIP_1) | instid1(VALU_DEP_2)
	v_bfe_u32 v3, v2, 16, 1
	v_cmp_o_f32_e32 vcc_lo, v2, v2
	v_add3_u32 v3, v2, v3, 0x7fff
	s_delay_alu instid0(VALU_DEP_1) | instskip(NEXT) | instid1(VALU_DEP_1)
	v_lshrrev_b32_e32 v3, 16, v3
	v_cndmask_b32_e32 v2, 0x7fc0, v3, vcc_lo
	s_branch .LBB206_874
.LBB206_870:
                                        ; implicit-def: $vgpr2
	s_branch .LBB206_891
.LBB206_871:
                                        ; implicit-def: $vgpr2
	s_branch .LBB206_880
.LBB206_872:
	s_mov_b32 s16, -1
                                        ; implicit-def: $vgpr2
	s_branch .LBB206_877
.LBB206_873:
	s_mov_b32 s16, -1
                                        ; implicit-def: $vgpr2
.LBB206_874:
	s_delay_alu instid0(SALU_CYCLE_1)
	s_and_not1_b32 vcc_lo, exec_lo, s16
	s_cbranch_vccnz .LBB206_876
; %bb.875:
	s_wait_loadcnt 0x0
	global_load_b32 v2, v[0:1], off
	s_wait_loadcnt 0x0
	v_bfe_u32 v3, v2, 16, 1
	v_cmp_o_f32_e32 vcc_lo, v2, v2
	s_delay_alu instid0(VALU_DEP_2) | instskip(NEXT) | instid1(VALU_DEP_1)
	v_add3_u32 v3, v2, v3, 0x7fff
	v_lshrrev_b32_e32 v3, 16, v3
	s_delay_alu instid0(VALU_DEP_1)
	v_cndmask_b32_e32 v2, 0x7fc0, v3, vcc_lo
.LBB206_876:
	s_mov_b32 s16, 0
.LBB206_877:
	s_delay_alu instid0(SALU_CYCLE_1)
	s_and_not1_b32 vcc_lo, exec_lo, s16
	s_cbranch_vccnz .LBB206_879
; %bb.878:
	s_wait_loadcnt 0x0
	global_load_b32 v2, v[0:1], off
	s_wait_loadcnt 0x0
	v_cvt_f32_f16_e32 v3, v2
	v_cmp_o_f16_e32 vcc_lo, v2, v2
	s_delay_alu instid0(VALU_DEP_2) | instskip(NEXT) | instid1(VALU_DEP_1)
	v_bfe_u32 v5, v3, 16, 1
	v_add3_u32 v3, v3, v5, 0x7fff
	s_delay_alu instid0(VALU_DEP_1) | instskip(NEXT) | instid1(VALU_DEP_1)
	v_lshrrev_b32_e32 v3, 16, v3
	v_cndmask_b32_e32 v2, 0x7fc0, v3, vcc_lo
.LBB206_879:
	s_cbranch_execnz .LBB206_890
.LBB206_880:
	s_sext_i32_i16 s16, s13
	s_delay_alu instid0(SALU_CYCLE_1)
	s_cmp_lt_i32 s16, 6
	s_cbranch_scc1 .LBB206_883
; %bb.881:
	s_cmp_gt_i32 s16, 6
	s_cbranch_scc0 .LBB206_884
; %bb.882:
	s_wait_loadcnt 0x0
	global_load_b64 v[2:3], v[0:1], off
	s_mov_b32 s16, 0
	s_wait_loadcnt 0x0
	v_cvt_f32_f64_e32 v2, v[2:3]
	s_delay_alu instid0(VALU_DEP_1) | instskip(SKIP_1) | instid1(VALU_DEP_2)
	v_bfe_u32 v3, v2, 16, 1
	v_cmp_o_f32_e32 vcc_lo, v2, v2
	v_add3_u32 v3, v2, v3, 0x7fff
	s_delay_alu instid0(VALU_DEP_1) | instskip(NEXT) | instid1(VALU_DEP_1)
	v_lshrrev_b32_e32 v3, 16, v3
	v_cndmask_b32_e32 v2, 0x7fc0, v3, vcc_lo
	s_branch .LBB206_885
.LBB206_883:
	s_mov_b32 s16, -1
                                        ; implicit-def: $vgpr2
	s_branch .LBB206_888
.LBB206_884:
	s_mov_b32 s16, -1
                                        ; implicit-def: $vgpr2
.LBB206_885:
	s_delay_alu instid0(SALU_CYCLE_1)
	s_and_not1_b32 vcc_lo, exec_lo, s16
	s_cbranch_vccnz .LBB206_887
; %bb.886:
	s_wait_loadcnt 0x0
	global_load_b32 v2, v[0:1], off
	s_wait_loadcnt 0x0
	v_bfe_u32 v3, v2, 16, 1
	v_cmp_o_f32_e32 vcc_lo, v2, v2
	s_delay_alu instid0(VALU_DEP_2) | instskip(NEXT) | instid1(VALU_DEP_1)
	v_add3_u32 v3, v2, v3, 0x7fff
	v_lshrrev_b32_e32 v3, 16, v3
	s_delay_alu instid0(VALU_DEP_1)
	v_cndmask_b32_e32 v2, 0x7fc0, v3, vcc_lo
.LBB206_887:
	s_mov_b32 s16, 0
.LBB206_888:
	s_delay_alu instid0(SALU_CYCLE_1)
	s_and_not1_b32 vcc_lo, exec_lo, s16
	s_cbranch_vccnz .LBB206_890
; %bb.889:
	s_wait_loadcnt 0x0
	global_load_u16 v2, v[0:1], off
	s_wait_loadcnt 0x0
	v_cvt_f32_f16_e32 v3, v2
	v_cmp_o_f16_e32 vcc_lo, v2, v2
	s_delay_alu instid0(VALU_DEP_2) | instskip(NEXT) | instid1(VALU_DEP_1)
	v_bfe_u32 v5, v3, 16, 1
	v_add3_u32 v3, v3, v5, 0x7fff
	s_delay_alu instid0(VALU_DEP_1) | instskip(NEXT) | instid1(VALU_DEP_1)
	v_lshrrev_b32_e32 v3, 16, v3
	v_cndmask_b32_e32 v2, 0x7fc0, v3, vcc_lo
.LBB206_890:
	s_cbranch_execnz .LBB206_909
.LBB206_891:
	s_sext_i32_i16 s16, s13
	s_delay_alu instid0(SALU_CYCLE_1)
	s_cmp_lt_i32 s16, 2
	s_cbranch_scc1 .LBB206_895
; %bb.892:
	s_cmp_lt_i32 s16, 3
	s_cbranch_scc1 .LBB206_896
; %bb.893:
	s_cmp_gt_i32 s16, 3
	s_cbranch_scc0 .LBB206_897
; %bb.894:
	s_wait_loadcnt 0x0
	global_load_b64 v[2:3], v[0:1], off
	s_mov_b32 s16, 0
	s_wait_loadcnt 0x0
	v_xor_b32_e32 v5, v2, v3
	v_cls_i32_e32 v6, v3
	s_delay_alu instid0(VALU_DEP_2) | instskip(NEXT) | instid1(VALU_DEP_1)
	v_ashrrev_i32_e32 v5, 31, v5
	v_add_nc_u32_e32 v5, 32, v5
	s_delay_alu instid0(VALU_DEP_1) | instskip(NEXT) | instid1(VALU_DEP_1)
	v_add_min_u32_e64 v5, v6, -1, v5
	v_lshlrev_b64_e32 v[2:3], v5, v[2:3]
	s_delay_alu instid0(VALU_DEP_1) | instskip(NEXT) | instid1(VALU_DEP_1)
	v_min_u32_e32 v2, 1, v2
	v_dual_sub_nc_u32 v3, 32, v5 :: v_dual_bitop2_b32 v2, v3, v2 bitop3:0x54
	s_delay_alu instid0(VALU_DEP_1) | instskip(NEXT) | instid1(VALU_DEP_1)
	v_cvt_f32_i32_e32 v2, v2
	v_ldexp_f32 v2, v2, v3
	s_delay_alu instid0(VALU_DEP_1) | instskip(NEXT) | instid1(VALU_DEP_1)
	v_bfe_u32 v3, v2, 16, 1
	v_add3_u32 v2, v2, v3, 0x7fff
	s_delay_alu instid0(VALU_DEP_1)
	v_lshrrev_b32_e32 v2, 16, v2
	s_branch .LBB206_898
.LBB206_895:
                                        ; implicit-def: $vgpr2
	s_branch .LBB206_904
.LBB206_896:
	s_mov_b32 s16, -1
                                        ; implicit-def: $vgpr2
	s_branch .LBB206_901
.LBB206_897:
	s_mov_b32 s16, -1
                                        ; implicit-def: $vgpr2
.LBB206_898:
	s_delay_alu instid0(SALU_CYCLE_1)
	s_and_not1_b32 vcc_lo, exec_lo, s16
	s_cbranch_vccnz .LBB206_900
; %bb.899:
	s_wait_loadcnt 0x0
	global_load_b32 v2, v[0:1], off
	s_wait_loadcnt 0x0
	v_cvt_f32_i32_e32 v2, v2
	s_delay_alu instid0(VALU_DEP_1) | instskip(NEXT) | instid1(VALU_DEP_1)
	v_bfe_u32 v3, v2, 16, 1
	v_add3_u32 v2, v2, v3, 0x7fff
	s_delay_alu instid0(VALU_DEP_1)
	v_lshrrev_b32_e32 v2, 16, v2
.LBB206_900:
	s_mov_b32 s16, 0
.LBB206_901:
	s_delay_alu instid0(SALU_CYCLE_1)
	s_and_not1_b32 vcc_lo, exec_lo, s16
	s_cbranch_vccnz .LBB206_903
; %bb.902:
	s_wait_loadcnt 0x0
	global_load_i16 v2, v[0:1], off
	s_wait_loadcnt 0x0
	v_cvt_f32_i32_e32 v2, v2
	s_delay_alu instid0(VALU_DEP_1) | instskip(NEXT) | instid1(VALU_DEP_1)
	v_bfe_u32 v3, v2, 16, 1
	v_add3_u32 v2, v2, v3, 0x7fff
	s_delay_alu instid0(VALU_DEP_1)
	v_lshrrev_b32_e32 v2, 16, v2
.LBB206_903:
	s_cbranch_execnz .LBB206_909
.LBB206_904:
	s_sext_i32_i16 s16, s13
	s_delay_alu instid0(SALU_CYCLE_1)
	s_cmp_gt_i32 s16, 0
	s_mov_b32 s16, 0
	s_cbranch_scc0 .LBB206_906
; %bb.905:
	s_wait_loadcnt 0x0
	global_load_i8 v2, v[0:1], off
	s_wait_loadcnt 0x0
	v_cvt_f32_i32_e32 v2, v2
	s_delay_alu instid0(VALU_DEP_1) | instskip(NEXT) | instid1(VALU_DEP_1)
	v_bfe_u32 v3, v2, 16, 1
	v_add3_u32 v2, v2, v3, 0x7fff
	s_delay_alu instid0(VALU_DEP_1)
	v_lshrrev_b32_e32 v2, 16, v2
	s_branch .LBB206_907
.LBB206_906:
	s_mov_b32 s16, -1
                                        ; implicit-def: $vgpr2
.LBB206_907:
	s_delay_alu instid0(SALU_CYCLE_1)
	s_and_not1_b32 vcc_lo, exec_lo, s16
	s_cbranch_vccnz .LBB206_909
; %bb.908:
	global_load_u8 v0, v[0:1], off
	s_wait_loadcnt 0x0
	v_cvt_f32_ubyte0_e32 v0, v0
	s_delay_alu instid0(VALU_DEP_1) | instskip(NEXT) | instid1(VALU_DEP_1)
	v_bfe_u32 v1, v0, 16, 1
	v_add3_u32 v0, v0, v1, 0x7fff
	s_delay_alu instid0(VALU_DEP_1)
	v_lshrrev_b32_e32 v2, 16, v0
.LBB206_909:
	s_or_b32 s21, s21, exec_lo
.LBB206_910:
	s_wait_xcnt 0x0
	s_or_b32 exec_lo, exec_lo, s2
	s_mov_b32 s20, 0
	s_mov_b32 s19, 0
                                        ; implicit-def: $sgpr2
                                        ; implicit-def: $sgpr16
                                        ; implicit-def: $vgpr0_vgpr1
	s_and_saveexec_b32 s18, s21
	s_cbranch_execz .LBB206_918
; %bb.911:
	s_wait_loadcnt 0x0
	v_lshlrev_b32_e32 v1, 16, v2
	v_mul_lo_u32 v0, v4, s8
	s_and_b32 s16, s3, 0xff
	s_delay_alu instid0(SALU_CYCLE_1) | instskip(NEXT) | instid1(VALU_DEP_2)
	s_cmp_lt_i32 s16, 11
	v_cmp_eq_f32_e32 vcc_lo, s15, v1
	v_cndmask_b32_e64 v2, 0, 1, vcc_lo
	v_cmp_neq_f32_e32 vcc_lo, s15, v1
	v_cndmask_b32_e64 v1, 0, 1, vcc_lo
	s_delay_alu instid0(VALU_DEP_1) | instskip(NEXT) | instid1(VALU_DEP_1)
	v_dual_cndmask_b32 v2, v1, v2, s0 :: v_dual_ashrrev_i32 v1, 31, v0
	v_and_b32_e32 v2, 1, v2
	s_delay_alu instid0(VALU_DEP_2) | instskip(NEXT) | instid1(VALU_DEP_2)
	v_add_nc_u64_e32 v[0:1], s[4:5], v[0:1]
	v_cmp_eq_u32_e64 s2, 1, v2
	s_cbranch_scc1 .LBB206_921
; %bb.912:
	s_and_b32 s15, 0xffff, s16
	s_mov_b32 s19, -1
	s_cmp_gt_i32 s15, 25
	s_mov_b32 s0, s17
	s_cbranch_scc0 .LBB206_949
; %bb.913:
	s_cmp_gt_i32 s15, 28
	s_mov_b32 s0, s17
	s_cbranch_scc0 .LBB206_933
; %bb.914:
	;; [unrolled: 4-line block ×4, first 2 shown]
	s_cmp_eq_u32 s15, 46
	s_mov_b32 s0, -1
	s_cbranch_scc0 .LBB206_922
; %bb.917:
	v_cndmask_b32_e64 v2, 0, 1.0, s2
	s_mov_b32 s0, 0
	s_mov_b32 s19, 0
	s_delay_alu instid0(VALU_DEP_1) | instskip(NEXT) | instid1(VALU_DEP_1)
	v_bfe_u32 v3, v2, 16, 1
	v_add3_u32 v2, v2, v3, 0x7fff
	s_delay_alu instid0(VALU_DEP_1)
	v_lshrrev_b32_e32 v2, 16, v2
	global_store_b32 v[0:1], v2, off
	s_branch .LBB206_923
.LBB206_918:
	s_or_b32 exec_lo, exec_lo, s18
	s_and_saveexec_b32 s0, s17
	s_cbranch_execnz .LBB206_991
.LBB206_919:
	s_or_b32 exec_lo, exec_lo, s0
	s_and_saveexec_b32 s0, s20
	s_delay_alu instid0(SALU_CYCLE_1)
	s_xor_b32 s0, exec_lo, s0
	s_cbranch_execz .LBB206_992
.LBB206_920:
	s_wait_loadcnt 0x0
	v_cndmask_b32_e64 v2, 0, 1, s2
	global_store_b8 v[0:1], v2, off
	s_wait_xcnt 0x0
	s_or_b32 exec_lo, exec_lo, s0
	s_and_saveexec_b32 s0, s19
	s_delay_alu instid0(SALU_CYCLE_1)
	s_xor_b32 s0, exec_lo, s0
	s_cbranch_execz .LBB206_1030
	s_branch .LBB206_993
.LBB206_921:
	s_mov_b32 s19, -1
	s_mov_b32 s0, s17
	s_branch .LBB206_990
.LBB206_922:
	s_mov_b32 s19, 0
.LBB206_923:
	s_delay_alu instid0(SALU_CYCLE_1)
	s_and_b32 vcc_lo, exec_lo, s19
	s_cbranch_vccz .LBB206_928
; %bb.924:
	s_cmp_eq_u32 s15, 44
	s_mov_b32 s0, -1
	s_cbranch_scc0 .LBB206_928
; %bb.925:
	v_cndmask_b32_e64 v4, 0, 1.0, s2
	s_mov_b32 s19, exec_lo
	s_wait_xcnt 0x0
	s_delay_alu instid0(VALU_DEP_1) | instskip(NEXT) | instid1(VALU_DEP_1)
	v_dual_mov_b32 v3, 0xff :: v_dual_lshrrev_b32 v2, 23, v4
	v_cmpx_ne_u32_e32 0xff, v2
; %bb.926:
	v_and_b32_e32 v3, 0x400000, v4
	v_and_or_b32 v4, 0x3fffff, v4, v2
	s_delay_alu instid0(VALU_DEP_2) | instskip(NEXT) | instid1(VALU_DEP_2)
	v_cmp_ne_u32_e32 vcc_lo, 0, v3
	v_cmp_ne_u32_e64 s0, 0, v4
	s_and_b32 s0, vcc_lo, s0
	s_delay_alu instid0(SALU_CYCLE_1) | instskip(NEXT) | instid1(VALU_DEP_1)
	v_cndmask_b32_e64 v3, 0, 1, s0
	v_add_nc_u32_e32 v3, v2, v3
; %bb.927:
	s_or_b32 exec_lo, exec_lo, s19
	s_mov_b32 s0, 0
	global_store_b8 v[0:1], v3, off
.LBB206_928:
	s_mov_b32 s19, 0
.LBB206_929:
	s_delay_alu instid0(SALU_CYCLE_1)
	s_and_b32 vcc_lo, exec_lo, s19
	s_cbranch_vccz .LBB206_932
; %bb.930:
	s_cmp_eq_u32 s15, 29
	s_mov_b32 s0, -1
	s_cbranch_scc0 .LBB206_932
; %bb.931:
	s_mov_b32 s0, 0
	s_wait_xcnt 0x0
	v_cndmask_b32_e64 v2, 0, 1, s2
	v_mov_b32_e32 v3, s0
	s_mov_b32 s19, 0
	global_store_b64 v[0:1], v[2:3], off
	s_branch .LBB206_933
.LBB206_932:
	s_mov_b32 s19, 0
.LBB206_933:
	s_delay_alu instid0(SALU_CYCLE_1)
	s_and_b32 vcc_lo, exec_lo, s19
	s_cbranch_vccz .LBB206_948
; %bb.934:
	s_cmp_lt_i32 s15, 27
	s_mov_b32 s19, -1
	s_cbranch_scc1 .LBB206_940
; %bb.935:
	s_wait_xcnt 0x0
	v_cndmask_b32_e64 v2, 0, 1, s2
	s_cmp_gt_i32 s15, 27
	s_cbranch_scc0 .LBB206_937
; %bb.936:
	s_mov_b32 s19, 0
	global_store_b32 v[0:1], v2, off
.LBB206_937:
	s_and_not1_b32 vcc_lo, exec_lo, s19
	s_cbranch_vccnz .LBB206_939
; %bb.938:
	global_store_b16 v[0:1], v2, off
.LBB206_939:
	s_mov_b32 s19, 0
.LBB206_940:
	s_delay_alu instid0(SALU_CYCLE_1)
	s_and_not1_b32 vcc_lo, exec_lo, s19
	s_cbranch_vccnz .LBB206_948
; %bb.941:
	s_wait_xcnt 0x0
	v_cndmask_b32_e64 v3, 0, 1.0, s2
	v_mov_b32_e32 v4, 0x80
	s_mov_b32 s19, exec_lo
	s_delay_alu instid0(VALU_DEP_2)
	v_cmpx_gt_u32_e32 0x43800000, v3
	s_cbranch_execz .LBB206_947
; %bb.942:
	s_mov_b32 s21, exec_lo
                                        ; implicit-def: $vgpr2
	v_cmpx_lt_u32_e32 0x3bffffff, v3
	s_xor_b32 s21, exec_lo, s21
	s_cbranch_execz .LBB206_1045
; %bb.943:
	v_bfe_u32 v2, v3, 20, 1
	s_mov_b32 s20, exec_lo
	s_delay_alu instid0(VALU_DEP_1) | instskip(NEXT) | instid1(VALU_DEP_1)
	v_add3_u32 v2, v3, v2, 0x487ffff
                                        ; implicit-def: $vgpr3
	v_lshrrev_b32_e32 v2, 20, v2
	s_and_not1_saveexec_b32 s21, s21
	s_cbranch_execnz .LBB206_1046
.LBB206_944:
	s_or_b32 exec_lo, exec_lo, s21
	v_mov_b32_e32 v4, 0
	s_and_saveexec_b32 s21, s20
.LBB206_945:
	v_mov_b32_e32 v4, v2
.LBB206_946:
	s_or_b32 exec_lo, exec_lo, s21
.LBB206_947:
	s_delay_alu instid0(SALU_CYCLE_1)
	s_or_b32 exec_lo, exec_lo, s19
	global_store_b8 v[0:1], v4, off
.LBB206_948:
	s_mov_b32 s19, 0
.LBB206_949:
	s_delay_alu instid0(SALU_CYCLE_1)
	s_and_b32 vcc_lo, exec_lo, s19
	s_mov_b32 s19, 0
	s_cbranch_vccz .LBB206_989
; %bb.950:
	s_cmp_gt_i32 s15, 22
	s_mov_b32 s20, -1
	s_cbranch_scc0 .LBB206_982
; %bb.951:
	s_cmp_lt_i32 s15, 24
	s_cbranch_scc1 .LBB206_971
; %bb.952:
	s_cmp_gt_i32 s15, 24
	s_cbranch_scc0 .LBB206_960
; %bb.953:
	s_wait_xcnt 0x0
	v_cndmask_b32_e64 v3, 0, 1.0, s2
	v_mov_b32_e32 v4, 0x80
	s_mov_b32 s20, exec_lo
	s_delay_alu instid0(VALU_DEP_2)
	v_cmpx_gt_u32_e32 0x47800000, v3
	s_cbranch_execz .LBB206_959
; %bb.954:
	s_mov_b32 s21, 0
	s_mov_b32 s22, exec_lo
                                        ; implicit-def: $vgpr2
	v_cmpx_lt_u32_e32 0x37ffffff, v3
	s_xor_b32 s22, exec_lo, s22
	s_cbranch_execz .LBB206_1171
; %bb.955:
	v_bfe_u32 v2, v3, 21, 1
	s_mov_b32 s21, exec_lo
	s_delay_alu instid0(VALU_DEP_1) | instskip(NEXT) | instid1(VALU_DEP_1)
	v_add3_u32 v2, v3, v2, 0x88fffff
                                        ; implicit-def: $vgpr3
	v_lshrrev_b32_e32 v2, 21, v2
	s_and_not1_saveexec_b32 s22, s22
	s_cbranch_execnz .LBB206_1172
.LBB206_956:
	s_or_b32 exec_lo, exec_lo, s22
	v_mov_b32_e32 v4, 0
	s_and_saveexec_b32 s22, s21
.LBB206_957:
	v_mov_b32_e32 v4, v2
.LBB206_958:
	s_or_b32 exec_lo, exec_lo, s22
.LBB206_959:
	s_delay_alu instid0(SALU_CYCLE_1)
	s_or_b32 exec_lo, exec_lo, s20
	s_mov_b32 s20, 0
	global_store_b8 v[0:1], v4, off
.LBB206_960:
	s_and_b32 vcc_lo, exec_lo, s20
	s_cbranch_vccz .LBB206_970
; %bb.961:
	s_wait_xcnt 0x0
	v_cndmask_b32_e64 v3, 0, 1.0, s2
	s_mov_b32 s20, exec_lo
                                        ; implicit-def: $vgpr2
	s_delay_alu instid0(VALU_DEP_1)
	v_cmpx_gt_u32_e32 0x43f00000, v3
	s_xor_b32 s20, exec_lo, s20
	s_cbranch_execz .LBB206_967
; %bb.962:
	s_mov_b32 s21, exec_lo
                                        ; implicit-def: $vgpr2
	v_cmpx_lt_u32_e32 0x3c7fffff, v3
	s_xor_b32 s21, exec_lo, s21
; %bb.963:
	v_bfe_u32 v2, v3, 20, 1
	s_delay_alu instid0(VALU_DEP_1) | instskip(NEXT) | instid1(VALU_DEP_1)
	v_add3_u32 v2, v3, v2, 0x407ffff
	v_and_b32_e32 v3, 0xff00000, v2
	v_lshrrev_b32_e32 v2, 20, v2
	s_delay_alu instid0(VALU_DEP_2) | instskip(NEXT) | instid1(VALU_DEP_2)
	v_cmp_ne_u32_e32 vcc_lo, 0x7f00000, v3
                                        ; implicit-def: $vgpr3
	v_cndmask_b32_e32 v2, 0x7e, v2, vcc_lo
; %bb.964:
	s_and_not1_saveexec_b32 s21, s21
; %bb.965:
	v_add_f32_e32 v2, 0x46800000, v3
; %bb.966:
	s_or_b32 exec_lo, exec_lo, s21
                                        ; implicit-def: $vgpr3
.LBB206_967:
	s_and_not1_saveexec_b32 s20, s20
; %bb.968:
	v_mov_b32_e32 v2, 0x7f
	v_cmp_lt_u32_e32 vcc_lo, 0x7f800000, v3
	s_delay_alu instid0(VALU_DEP_2)
	v_cndmask_b32_e32 v2, 0x7e, v2, vcc_lo
; %bb.969:
	s_or_b32 exec_lo, exec_lo, s20
	global_store_b8 v[0:1], v2, off
.LBB206_970:
	s_mov_b32 s20, 0
.LBB206_971:
	s_delay_alu instid0(SALU_CYCLE_1)
	s_and_not1_b32 vcc_lo, exec_lo, s20
	s_cbranch_vccnz .LBB206_981
; %bb.972:
	s_wait_xcnt 0x0
	v_cndmask_b32_e64 v3, 0, 1.0, s2
	s_mov_b32 s20, exec_lo
                                        ; implicit-def: $vgpr2
	s_delay_alu instid0(VALU_DEP_1)
	v_cmpx_gt_u32_e32 0x47800000, v3
	s_xor_b32 s20, exec_lo, s20
	s_cbranch_execz .LBB206_978
; %bb.973:
	s_mov_b32 s21, exec_lo
                                        ; implicit-def: $vgpr2
	v_cmpx_lt_u32_e32 0x387fffff, v3
	s_xor_b32 s21, exec_lo, s21
; %bb.974:
	v_bfe_u32 v2, v3, 21, 1
	s_delay_alu instid0(VALU_DEP_1) | instskip(NEXT) | instid1(VALU_DEP_1)
	v_add3_u32 v2, v3, v2, 0x80fffff
                                        ; implicit-def: $vgpr3
	v_lshrrev_b32_e32 v2, 21, v2
; %bb.975:
	s_and_not1_saveexec_b32 s21, s21
; %bb.976:
	v_add_f32_e32 v2, 0x43000000, v3
; %bb.977:
	s_or_b32 exec_lo, exec_lo, s21
                                        ; implicit-def: $vgpr3
.LBB206_978:
	s_and_not1_saveexec_b32 s20, s20
; %bb.979:
	v_mov_b32_e32 v2, 0x7f
	v_cmp_lt_u32_e32 vcc_lo, 0x7f800000, v3
	s_delay_alu instid0(VALU_DEP_2)
	v_cndmask_b32_e32 v2, 0x7c, v2, vcc_lo
; %bb.980:
	s_or_b32 exec_lo, exec_lo, s20
	global_store_b8 v[0:1], v2, off
.LBB206_981:
	s_mov_b32 s20, 0
.LBB206_982:
	s_delay_alu instid0(SALU_CYCLE_1)
	s_and_not1_b32 vcc_lo, exec_lo, s20
	s_mov_b32 s20, 0
	s_cbranch_vccnz .LBB206_990
; %bb.983:
	s_cmp_gt_i32 s15, 14
	s_mov_b32 s20, -1
	s_cbranch_scc0 .LBB206_987
; %bb.984:
	s_cmp_eq_u32 s15, 15
	s_mov_b32 s0, -1
	s_cbranch_scc0 .LBB206_986
; %bb.985:
	s_wait_xcnt 0x0
	v_cndmask_b32_e64 v2, 0, 1.0, s2
	s_mov_b32 s0, 0
	s_delay_alu instid0(VALU_DEP_1) | instskip(NEXT) | instid1(VALU_DEP_1)
	v_bfe_u32 v3, v2, 16, 1
	v_add3_u32 v2, v2, v3, 0x7fff
	global_store_d16_hi_b16 v[0:1], v2, off
.LBB206_986:
	s_mov_b32 s20, 0
.LBB206_987:
	s_delay_alu instid0(SALU_CYCLE_1)
	s_and_b32 vcc_lo, exec_lo, s20
	s_mov_b32 s20, 0
	s_cbranch_vccz .LBB206_990
; %bb.988:
	s_cmp_lg_u32 s15, 11
	s_mov_b32 s20, -1
	s_cselect_b32 s15, -1, 0
	s_and_not1_b32 s0, s0, exec_lo
	s_and_b32 s15, s15, exec_lo
	s_delay_alu instid0(SALU_CYCLE_1)
	s_or_b32 s0, s0, s15
	s_branch .LBB206_990
.LBB206_989:
	s_mov_b32 s20, 0
.LBB206_990:
	s_and_not1_b32 s15, s17, exec_lo
	s_and_b32 s0, s0, exec_lo
	s_and_b32 s19, s19, exec_lo
	;; [unrolled: 1-line block ×3, first 2 shown]
	s_or_b32 s17, s15, s0
	s_wait_xcnt 0x0
	s_or_b32 exec_lo, exec_lo, s18
	s_and_saveexec_b32 s0, s17
	s_cbranch_execz .LBB206_919
.LBB206_991:
	s_or_b32 s1, s1, exec_lo
	s_and_not1_b32 s20, s20, exec_lo
	s_trap 2
	s_or_b32 exec_lo, exec_lo, s0
	s_and_saveexec_b32 s0, s20
	s_delay_alu instid0(SALU_CYCLE_1)
	s_xor_b32 s0, exec_lo, s0
	s_cbranch_execnz .LBB206_920
.LBB206_992:
	s_or_b32 exec_lo, exec_lo, s0
	s_and_saveexec_b32 s0, s19
	s_delay_alu instid0(SALU_CYCLE_1)
	s_xor_b32 s0, exec_lo, s0
	s_cbranch_execz .LBB206_1030
.LBB206_993:
	s_sext_i32_i16 s17, s16
	s_mov_b32 s15, -1
	s_cmp_lt_i32 s17, 5
	s_cbranch_scc1 .LBB206_1014
; %bb.994:
	s_cmp_lt_i32 s17, 8
	s_cbranch_scc1 .LBB206_1004
; %bb.995:
	;; [unrolled: 3-line block ×3, first 2 shown]
	s_cmp_gt_i32 s17, 9
	s_cbranch_scc0 .LBB206_998
; %bb.997:
	s_wait_loadcnt 0x0
	v_cndmask_b32_e64 v2, 0, 1, s2
	v_mov_b32_e32 v4, 0
	s_mov_b32 s15, 0
	s_delay_alu instid0(VALU_DEP_2) | instskip(NEXT) | instid1(VALU_DEP_2)
	v_cvt_f64_u32_e32 v[2:3], v2
	v_mov_b32_e32 v5, v4
	global_store_b128 v[0:1], v[2:5], off
.LBB206_998:
	s_and_not1_b32 vcc_lo, exec_lo, s15
	s_cbranch_vccnz .LBB206_1000
; %bb.999:
	s_wait_loadcnt 0x0
	v_cndmask_b32_e64 v2, 0, 1.0, s2
	v_mov_b32_e32 v3, 0
	global_store_b64 v[0:1], v[2:3], off
.LBB206_1000:
	s_mov_b32 s15, 0
.LBB206_1001:
	s_delay_alu instid0(SALU_CYCLE_1)
	s_and_not1_b32 vcc_lo, exec_lo, s15
	s_cbranch_vccnz .LBB206_1003
; %bb.1002:
	s_wait_loadcnt 0x0
	v_cndmask_b32_e64 v2, 0, 1.0, s2
	s_delay_alu instid0(VALU_DEP_1) | instskip(NEXT) | instid1(VALU_DEP_1)
	v_cvt_f16_f32_e32 v2, v2
	v_and_b32_e32 v2, 0xffff, v2
	global_store_b32 v[0:1], v2, off
.LBB206_1003:
	s_mov_b32 s15, 0
.LBB206_1004:
	s_delay_alu instid0(SALU_CYCLE_1)
	s_and_not1_b32 vcc_lo, exec_lo, s15
	s_cbranch_vccnz .LBB206_1013
; %bb.1005:
	s_sext_i32_i16 s17, s16
	s_mov_b32 s15, -1
	s_cmp_lt_i32 s17, 6
	s_cbranch_scc1 .LBB206_1011
; %bb.1006:
	s_cmp_gt_i32 s17, 6
	s_cbranch_scc0 .LBB206_1008
; %bb.1007:
	s_wait_loadcnt 0x0
	v_cndmask_b32_e64 v2, 0, 1, s2
	s_mov_b32 s15, 0
	s_delay_alu instid0(VALU_DEP_1)
	v_cvt_f64_u32_e32 v[2:3], v2
	global_store_b64 v[0:1], v[2:3], off
.LBB206_1008:
	s_and_not1_b32 vcc_lo, exec_lo, s15
	s_cbranch_vccnz .LBB206_1010
; %bb.1009:
	s_wait_loadcnt 0x0
	v_cndmask_b32_e64 v2, 0, 1.0, s2
	global_store_b32 v[0:1], v2, off
.LBB206_1010:
	s_mov_b32 s15, 0
.LBB206_1011:
	s_delay_alu instid0(SALU_CYCLE_1)
	s_and_not1_b32 vcc_lo, exec_lo, s15
	s_cbranch_vccnz .LBB206_1013
; %bb.1012:
	s_wait_loadcnt 0x0
	v_cndmask_b32_e64 v2, 0, 1.0, s2
	s_delay_alu instid0(VALU_DEP_1)
	v_cvt_f16_f32_e32 v2, v2
	global_store_b16 v[0:1], v2, off
.LBB206_1013:
	s_mov_b32 s15, 0
.LBB206_1014:
	s_delay_alu instid0(SALU_CYCLE_1)
	s_and_not1_b32 vcc_lo, exec_lo, s15
	s_cbranch_vccnz .LBB206_1030
; %bb.1015:
	s_sext_i32_i16 s17, s16
	s_mov_b32 s15, -1
	s_cmp_lt_i32 s17, 2
	s_cbranch_scc1 .LBB206_1025
; %bb.1016:
	s_cmp_lt_i32 s17, 3
	s_cbranch_scc1 .LBB206_1022
; %bb.1017:
	s_cmp_gt_i32 s17, 3
	s_cbranch_scc0 .LBB206_1019
; %bb.1018:
	s_mov_b32 s15, 0
	s_wait_loadcnt 0x0
	v_cndmask_b32_e64 v2, 0, 1, s2
	v_mov_b32_e32 v3, s15
	global_store_b64 v[0:1], v[2:3], off
.LBB206_1019:
	s_and_not1_b32 vcc_lo, exec_lo, s15
	s_cbranch_vccnz .LBB206_1021
; %bb.1020:
	s_wait_loadcnt 0x0
	v_cndmask_b32_e64 v2, 0, 1, s2
	global_store_b32 v[0:1], v2, off
.LBB206_1021:
	s_mov_b32 s15, 0
.LBB206_1022:
	s_delay_alu instid0(SALU_CYCLE_1)
	s_and_not1_b32 vcc_lo, exec_lo, s15
	s_cbranch_vccnz .LBB206_1024
; %bb.1023:
	s_wait_loadcnt 0x0
	v_cndmask_b32_e64 v2, 0, 1, s2
	global_store_b16 v[0:1], v2, off
.LBB206_1024:
	s_mov_b32 s15, 0
.LBB206_1025:
	s_delay_alu instid0(SALU_CYCLE_1)
	s_and_not1_b32 vcc_lo, exec_lo, s15
	s_cbranch_vccnz .LBB206_1030
; %bb.1026:
	s_wait_loadcnt 0x0
	v_cndmask_b32_e64 v2, 0, 1, s2
	s_sext_i32_i16 s15, s16
	s_mov_b32 s2, -1
	s_cmp_gt_i32 s15, 0
	s_cbranch_scc0 .LBB206_1028
; %bb.1027:
	s_mov_b32 s2, 0
	global_store_b8 v[0:1], v2, off
.LBB206_1028:
	s_and_not1_b32 vcc_lo, exec_lo, s2
	s_cbranch_vccnz .LBB206_1030
; %bb.1029:
	global_store_b8 v[0:1], v2, off
.LBB206_1030:
	s_wait_xcnt 0x0
	s_or_b32 exec_lo, exec_lo, s0
	s_delay_alu instid0(SALU_CYCLE_1)
	s_and_b32 s15, s1, exec_lo
                                        ; implicit-def: $vgpr4
.LBB206_1031:
	s_or_saveexec_b32 s14, s14
	s_mov_b32 s0, 0
                                        ; implicit-def: $sgpr1
                                        ; implicit-def: $sgpr16
                                        ; implicit-def: $vgpr0_vgpr1
	s_xor_b32 exec_lo, exec_lo, s14
	s_cbranch_execz .LBB206_1982
; %bb.1032:
	v_mul_lo_u32 v0, s9, v4
	s_and_b32 s0, 0xffff, s13
	s_delay_alu instid0(SALU_CYCLE_1) | instskip(NEXT) | instid1(VALU_DEP_1)
	s_cmp_lt_i32 s0, 11
	v_ashrrev_i32_e32 v1, 31, v0
	s_wait_loadcnt 0x0
	s_delay_alu instid0(VALU_DEP_1)
	v_add_nc_u64_e32 v[2:3], s[6:7], v[0:1]
	s_cbranch_scc1 .LBB206_1039
; %bb.1033:
	s_cmp_gt_i32 s0, 25
	s_mov_b32 s2, 0
	s_cbranch_scc0 .LBB206_1041
; %bb.1034:
	s_cmp_gt_i32 s0, 28
	s_cbranch_scc0 .LBB206_1042
; %bb.1035:
	s_cmp_gt_i32 s0, 43
	;; [unrolled: 3-line block ×3, first 2 shown]
	s_cbranch_scc0 .LBB206_1044
; %bb.1037:
	s_cmp_eq_u32 s0, 46
	s_cbranch_scc0 .LBB206_1047
; %bb.1038:
	global_load_b32 v5, v[2:3], off
	s_mov_b32 s1, 0
	s_mov_b32 s13, -1
	s_branch .LBB206_1049
.LBB206_1039:
	s_mov_b32 s13, 0
	s_mov_b32 s12, s15
                                        ; implicit-def: $vgpr5
	s_cbranch_execnz .LBB206_1112
.LBB206_1040:
	s_and_not1_b32 vcc_lo, exec_lo, s13
	s_cbranch_vccz .LBB206_1157
	s_branch .LBB206_1980
.LBB206_1041:
	s_mov_b32 s13, 0
	s_mov_b32 s1, 0
                                        ; implicit-def: $vgpr5
	s_cbranch_execnz .LBB206_1077
	s_branch .LBB206_1108
.LBB206_1042:
	s_mov_b32 s12, -1
	s_mov_b32 s13, 0
	s_mov_b32 s1, 0
                                        ; implicit-def: $vgpr5
	s_branch .LBB206_1058
.LBB206_1043:
	s_mov_b32 s13, 0
	s_mov_b32 s1, 0
                                        ; implicit-def: $vgpr5
	s_cbranch_execnz .LBB206_1054
	s_branch .LBB206_1057
.LBB206_1044:
	s_mov_b32 s12, -1
	s_mov_b32 s13, 0
	s_mov_b32 s1, 0
	s_branch .LBB206_1048
.LBB206_1045:
	s_and_not1_saveexec_b32 s21, s21
	s_cbranch_execz .LBB206_944
.LBB206_1046:
	v_add_f32_e32 v2, 0x46000000, v3
	s_and_not1_b32 s20, s20, exec_lo
	s_delay_alu instid0(VALU_DEP_1) | instskip(NEXT) | instid1(VALU_DEP_1)
	v_and_b32_e32 v2, 0xff, v2
	v_cmp_ne_u32_e32 vcc_lo, 0, v2
	s_and_b32 s22, vcc_lo, exec_lo
	s_delay_alu instid0(SALU_CYCLE_1)
	s_or_b32 s20, s20, s22
	s_or_b32 exec_lo, exec_lo, s21
	v_mov_b32_e32 v4, 0
	s_and_saveexec_b32 s21, s20
	s_cbranch_execnz .LBB206_945
	s_branch .LBB206_946
.LBB206_1047:
	s_mov_b32 s1, -1
	s_mov_b32 s13, 0
.LBB206_1048:
                                        ; implicit-def: $vgpr5
.LBB206_1049:
	s_and_b32 vcc_lo, exec_lo, s12
	s_cbranch_vccz .LBB206_1052
; %bb.1050:
	s_cmp_eq_u32 s0, 44
	s_cbranch_scc0 .LBB206_1053
; %bb.1051:
	global_load_u8 v1, v[2:3], off
	s_mov_b32 s1, 0
	s_mov_b32 s13, -1
	s_wait_loadcnt 0x0
	v_lshlrev_b32_e32 v5, 23, v1
	v_cmp_ne_u32_e32 vcc_lo, 0xff, v1
	s_delay_alu instid0(VALU_DEP_2) | instskip(SKIP_1) | instid1(VALU_DEP_2)
	v_cndmask_b32_e32 v5, 0x7f800001, v5, vcc_lo
	v_cmp_ne_u32_e32 vcc_lo, 0, v1
	v_cndmask_b32_e32 v1, 0x400000, v5, vcc_lo
	s_delay_alu instid0(VALU_DEP_1) | instskip(SKIP_1) | instid1(VALU_DEP_2)
	v_add_nc_u32_e32 v5, 0x7fff, v1
	v_cmp_o_f32_e32 vcc_lo, v1, v1
	v_lshrrev_b32_e32 v5, 16, v5
	s_delay_alu instid0(VALU_DEP_1)
	v_cndmask_b32_e32 v5, 0x7fc0, v5, vcc_lo
.LBB206_1052:
	s_branch .LBB206_1057
.LBB206_1053:
	s_mov_b32 s1, -1
                                        ; implicit-def: $vgpr5
	s_branch .LBB206_1057
.LBB206_1054:
	s_cmp_eq_u32 s0, 29
	s_cbranch_scc0 .LBB206_1056
; %bb.1055:
	global_load_b64 v[6:7], v[2:3], off
	s_mov_b32 s1, 0
	s_mov_b32 s13, -1
	s_mov_b32 s12, 0
	s_wait_loadcnt 0x0
	v_clz_i32_u32_e32 v1, v7
	s_delay_alu instid0(VALU_DEP_1) | instskip(NEXT) | instid1(VALU_DEP_1)
	v_min_u32_e32 v1, 32, v1
	v_lshlrev_b64_e32 v[6:7], v1, v[6:7]
	v_sub_nc_u32_e32 v1, 32, v1
	s_delay_alu instid0(VALU_DEP_2) | instskip(NEXT) | instid1(VALU_DEP_1)
	v_min_u32_e32 v5, 1, v6
	v_or_b32_e32 v5, v7, v5
	s_delay_alu instid0(VALU_DEP_1) | instskip(NEXT) | instid1(VALU_DEP_1)
	v_cvt_f32_u32_e32 v5, v5
	v_ldexp_f32 v1, v5, v1
	s_delay_alu instid0(VALU_DEP_1) | instskip(NEXT) | instid1(VALU_DEP_1)
	v_bfe_u32 v5, v1, 16, 1
	v_add3_u32 v1, v1, v5, 0x7fff
	s_delay_alu instid0(VALU_DEP_1)
	v_lshrrev_b32_e32 v5, 16, v1
	s_branch .LBB206_1058
.LBB206_1056:
	s_mov_b32 s1, -1
                                        ; implicit-def: $vgpr5
.LBB206_1057:
	s_mov_b32 s12, 0
.LBB206_1058:
	s_delay_alu instid0(SALU_CYCLE_1)
	s_and_b32 vcc_lo, exec_lo, s12
	s_cbranch_vccz .LBB206_1076
; %bb.1059:
	s_cmp_lt_i32 s0, 27
	s_cbranch_scc1 .LBB206_1062
; %bb.1060:
	s_cmp_gt_i32 s0, 27
	s_cbranch_scc0 .LBB206_1063
; %bb.1061:
	global_load_b32 v1, v[2:3], off
	s_mov_b32 s12, 0
	s_wait_loadcnt 0x0
	v_cvt_f32_u32_e32 v1, v1
	s_delay_alu instid0(VALU_DEP_1) | instskip(NEXT) | instid1(VALU_DEP_1)
	v_bfe_u32 v5, v1, 16, 1
	v_add3_u32 v1, v1, v5, 0x7fff
	s_delay_alu instid0(VALU_DEP_1)
	v_lshrrev_b32_e32 v5, 16, v1
	s_branch .LBB206_1064
.LBB206_1062:
	s_mov_b32 s12, -1
                                        ; implicit-def: $vgpr5
	s_branch .LBB206_1067
.LBB206_1063:
	s_mov_b32 s12, -1
                                        ; implicit-def: $vgpr5
.LBB206_1064:
	s_delay_alu instid0(SALU_CYCLE_1)
	s_and_not1_b32 vcc_lo, exec_lo, s12
	s_cbranch_vccnz .LBB206_1066
; %bb.1065:
	global_load_u16 v1, v[2:3], off
	s_wait_loadcnt 0x0
	v_cvt_f32_u32_e32 v1, v1
	s_delay_alu instid0(VALU_DEP_1) | instskip(NEXT) | instid1(VALU_DEP_1)
	v_bfe_u32 v5, v1, 16, 1
	v_add3_u32 v1, v1, v5, 0x7fff
	s_delay_alu instid0(VALU_DEP_1)
	v_lshrrev_b32_e32 v5, 16, v1
.LBB206_1066:
	s_mov_b32 s12, 0
.LBB206_1067:
	s_delay_alu instid0(SALU_CYCLE_1)
	s_and_not1_b32 vcc_lo, exec_lo, s12
	s_cbranch_vccnz .LBB206_1075
; %bb.1068:
	global_load_u8 v1, v[2:3], off
	s_mov_b32 s12, 0
	s_mov_b32 s13, exec_lo
	s_wait_loadcnt 0x0
	v_cmpx_lt_i16_e32 0x7f, v1
	s_xor_b32 s13, exec_lo, s13
	s_cbranch_execz .LBB206_1088
; %bb.1069:
	s_mov_b32 s12, -1
	s_mov_b32 s16, exec_lo
	v_cmpx_eq_u16_e32 0x80, v1
; %bb.1070:
	s_xor_b32 s12, exec_lo, -1
; %bb.1071:
	s_or_b32 exec_lo, exec_lo, s16
	s_delay_alu instid0(SALU_CYCLE_1)
	s_and_b32 s12, s12, exec_lo
	s_or_saveexec_b32 s13, s13
	v_mov_b32_e32 v5, 0x7f800001
	s_xor_b32 exec_lo, exec_lo, s13
	s_cbranch_execnz .LBB206_1089
.LBB206_1072:
	s_or_b32 exec_lo, exec_lo, s13
	s_and_saveexec_b32 s13, s12
	s_cbranch_execz .LBB206_1074
.LBB206_1073:
	v_and_b32_e32 v5, 0xffff, v1
	s_delay_alu instid0(VALU_DEP_1) | instskip(SKIP_1) | instid1(VALU_DEP_2)
	v_and_b32_e32 v6, 7, v5
	v_bfe_u32 v9, v5, 3, 4
	v_clz_i32_u32_e32 v7, v6
	s_delay_alu instid0(VALU_DEP_2) | instskip(NEXT) | instid1(VALU_DEP_2)
	v_cmp_eq_u32_e32 vcc_lo, 0, v9
	v_min_u32_e32 v7, 32, v7
	s_delay_alu instid0(VALU_DEP_1) | instskip(NEXT) | instid1(VALU_DEP_1)
	v_subrev_nc_u32_e32 v8, 28, v7
	v_dual_lshlrev_b32 v5, v8, v5 :: v_dual_sub_nc_u32 v7, 29, v7
	s_delay_alu instid0(VALU_DEP_1) | instskip(NEXT) | instid1(VALU_DEP_2)
	v_and_b32_e32 v5, 7, v5
	v_dual_lshlrev_b32 v1, 24, v1 :: v_dual_cndmask_b32 v7, v9, v7, vcc_lo
	s_delay_alu instid0(VALU_DEP_2) | instskip(NEXT) | instid1(VALU_DEP_2)
	v_cndmask_b32_e32 v5, v6, v5, vcc_lo
	v_and_b32_e32 v1, 0x80000000, v1
	s_delay_alu instid0(VALU_DEP_3) | instskip(NEXT) | instid1(VALU_DEP_3)
	v_lshl_add_u32 v6, v7, 23, 0x3b800000
	v_lshlrev_b32_e32 v5, 20, v5
	s_delay_alu instid0(VALU_DEP_1)
	v_or3_b32 v5, v1, v6, v5
.LBB206_1074:
	s_or_b32 exec_lo, exec_lo, s13
	s_delay_alu instid0(VALU_DEP_1) | instskip(SKIP_1) | instid1(VALU_DEP_2)
	v_bfe_u32 v1, v5, 16, 1
	v_cmp_o_f32_e32 vcc_lo, v5, v5
	v_add3_u32 v1, v5, v1, 0x7fff
	s_delay_alu instid0(VALU_DEP_1) | instskip(NEXT) | instid1(VALU_DEP_1)
	v_lshrrev_b32_e32 v1, 16, v1
	v_cndmask_b32_e32 v5, 0x7fc0, v1, vcc_lo
.LBB206_1075:
	s_mov_b32 s13, -1
.LBB206_1076:
	s_branch .LBB206_1108
.LBB206_1077:
	s_cmp_gt_i32 s0, 22
	s_cbranch_scc0 .LBB206_1087
; %bb.1078:
	s_cmp_lt_i32 s0, 24
	s_cbranch_scc1 .LBB206_1090
; %bb.1079:
	s_cmp_gt_i32 s0, 24
	s_cbranch_scc0 .LBB206_1091
; %bb.1080:
	global_load_u8 v1, v[2:3], off
	s_mov_b32 s12, exec_lo
	s_wait_loadcnt 0x0
	v_cmpx_lt_i16_e32 0x7f, v1
	s_xor_b32 s12, exec_lo, s12
	s_cbranch_execz .LBB206_1102
; %bb.1081:
	s_mov_b32 s2, -1
	s_mov_b32 s13, exec_lo
	v_cmpx_eq_u16_e32 0x80, v1
; %bb.1082:
	s_xor_b32 s2, exec_lo, -1
; %bb.1083:
	s_or_b32 exec_lo, exec_lo, s13
	s_delay_alu instid0(SALU_CYCLE_1)
	s_and_b32 s2, s2, exec_lo
	s_or_saveexec_b32 s12, s12
	v_mov_b32_e32 v5, 0x7f800001
	s_xor_b32 exec_lo, exec_lo, s12
	s_cbranch_execnz .LBB206_1103
.LBB206_1084:
	s_or_b32 exec_lo, exec_lo, s12
	s_and_saveexec_b32 s12, s2
	s_cbranch_execz .LBB206_1086
.LBB206_1085:
	v_and_b32_e32 v5, 0xffff, v1
	s_delay_alu instid0(VALU_DEP_1) | instskip(SKIP_1) | instid1(VALU_DEP_2)
	v_and_b32_e32 v6, 3, v5
	v_bfe_u32 v9, v5, 2, 5
	v_clz_i32_u32_e32 v7, v6
	s_delay_alu instid0(VALU_DEP_2) | instskip(NEXT) | instid1(VALU_DEP_2)
	v_cmp_eq_u32_e32 vcc_lo, 0, v9
	v_min_u32_e32 v7, 32, v7
	s_delay_alu instid0(VALU_DEP_1) | instskip(NEXT) | instid1(VALU_DEP_1)
	v_subrev_nc_u32_e32 v8, 29, v7
	v_dual_lshlrev_b32 v5, v8, v5 :: v_dual_sub_nc_u32 v7, 30, v7
	s_delay_alu instid0(VALU_DEP_1) | instskip(NEXT) | instid1(VALU_DEP_2)
	v_and_b32_e32 v5, 3, v5
	v_dual_lshlrev_b32 v1, 24, v1 :: v_dual_cndmask_b32 v7, v9, v7, vcc_lo
	s_delay_alu instid0(VALU_DEP_2) | instskip(NEXT) | instid1(VALU_DEP_2)
	v_cndmask_b32_e32 v5, v6, v5, vcc_lo
	v_and_b32_e32 v1, 0x80000000, v1
	s_delay_alu instid0(VALU_DEP_3) | instskip(NEXT) | instid1(VALU_DEP_3)
	v_lshl_add_u32 v6, v7, 23, 0x37800000
	v_lshlrev_b32_e32 v5, 21, v5
	s_delay_alu instid0(VALU_DEP_1)
	v_or3_b32 v5, v1, v6, v5
.LBB206_1086:
	s_or_b32 exec_lo, exec_lo, s12
	s_delay_alu instid0(VALU_DEP_1) | instskip(SKIP_2) | instid1(VALU_DEP_2)
	v_bfe_u32 v1, v5, 16, 1
	v_cmp_o_f32_e32 vcc_lo, v5, v5
	s_mov_b32 s2, 0
	v_add3_u32 v1, v5, v1, 0x7fff
	s_delay_alu instid0(VALU_DEP_1) | instskip(NEXT) | instid1(VALU_DEP_1)
	v_lshrrev_b32_e32 v1, 16, v1
	v_cndmask_b32_e32 v5, 0x7fc0, v1, vcc_lo
	s_branch .LBB206_1092
.LBB206_1087:
                                        ; implicit-def: $vgpr5
	s_mov_b32 s2, 0
	s_branch .LBB206_1098
.LBB206_1088:
	s_or_saveexec_b32 s13, s13
	v_mov_b32_e32 v5, 0x7f800001
	s_xor_b32 exec_lo, exec_lo, s13
	s_cbranch_execz .LBB206_1072
.LBB206_1089:
	v_cmp_ne_u16_e32 vcc_lo, 0, v1
	v_mov_b32_e32 v5, 0
	s_and_not1_b32 s12, s12, exec_lo
	s_and_b32 s16, vcc_lo, exec_lo
	s_delay_alu instid0(SALU_CYCLE_1)
	s_or_b32 s12, s12, s16
	s_or_b32 exec_lo, exec_lo, s13
	s_and_saveexec_b32 s13, s12
	s_cbranch_execnz .LBB206_1073
	s_branch .LBB206_1074
.LBB206_1090:
	s_mov_b32 s2, -1
                                        ; implicit-def: $vgpr5
	s_branch .LBB206_1095
.LBB206_1091:
	s_mov_b32 s2, -1
                                        ; implicit-def: $vgpr5
.LBB206_1092:
	s_delay_alu instid0(SALU_CYCLE_1)
	s_and_b32 vcc_lo, exec_lo, s2
	s_cbranch_vccz .LBB206_1094
; %bb.1093:
	global_load_u8 v1, v[2:3], off
	s_wait_loadcnt 0x0
	v_lshlrev_b32_e32 v1, 24, v1
	s_delay_alu instid0(VALU_DEP_1) | instskip(NEXT) | instid1(VALU_DEP_1)
	v_and_b32_e32 v5, 0x7f000000, v1
	v_clz_i32_u32_e32 v6, v5
	v_cmp_ne_u32_e32 vcc_lo, 0, v5
	v_add_nc_u32_e32 v8, 0x1000000, v5
	s_delay_alu instid0(VALU_DEP_3) | instskip(NEXT) | instid1(VALU_DEP_1)
	v_min_u32_e32 v6, 32, v6
	v_sub_nc_u32_e64 v6, v6, 4 clamp
	s_delay_alu instid0(VALU_DEP_1) | instskip(NEXT) | instid1(VALU_DEP_1)
	v_dual_lshlrev_b32 v7, v6, v5 :: v_dual_lshlrev_b32 v6, 23, v6
	v_lshrrev_b32_e32 v7, 4, v7
	s_delay_alu instid0(VALU_DEP_1) | instskip(NEXT) | instid1(VALU_DEP_1)
	v_dual_sub_nc_u32 v6, v7, v6 :: v_dual_ashrrev_i32 v7, 8, v8
	v_add_nc_u32_e32 v6, 0x3c000000, v6
	s_delay_alu instid0(VALU_DEP_1) | instskip(NEXT) | instid1(VALU_DEP_1)
	v_and_or_b32 v6, 0x7f800000, v7, v6
	v_cndmask_b32_e32 v5, 0, v6, vcc_lo
	s_delay_alu instid0(VALU_DEP_1) | instskip(SKIP_1) | instid1(VALU_DEP_2)
	v_and_or_b32 v1, 0x80000000, v1, v5
	v_bfe_u32 v5, v5, 16, 1
	v_cmp_o_f32_e32 vcc_lo, v1, v1
	s_delay_alu instid0(VALU_DEP_2) | instskip(NEXT) | instid1(VALU_DEP_1)
	v_add3_u32 v5, v1, v5, 0x7fff
	v_lshrrev_b32_e32 v5, 16, v5
	s_delay_alu instid0(VALU_DEP_1)
	v_cndmask_b32_e32 v5, 0x7fc0, v5, vcc_lo
.LBB206_1094:
	s_mov_b32 s2, 0
.LBB206_1095:
	s_delay_alu instid0(SALU_CYCLE_1)
	s_and_not1_b32 vcc_lo, exec_lo, s2
	s_cbranch_vccnz .LBB206_1097
; %bb.1096:
	global_load_u8 v1, v[2:3], off
	s_wait_loadcnt 0x0
	v_lshlrev_b32_e32 v5, 25, v1
	v_lshlrev_b16 v1, 8, v1
	s_delay_alu instid0(VALU_DEP_1) | instskip(SKIP_1) | instid1(VALU_DEP_2)
	v_and_or_b32 v7, 0x7f00, v1, 0.5
	v_bfe_i32 v1, v1, 0, 16
	v_dual_add_f32 v7, -0.5, v7 :: v_dual_lshrrev_b32 v6, 4, v5
	v_cmp_gt_u32_e32 vcc_lo, 0x8000000, v5
	s_delay_alu instid0(VALU_DEP_2) | instskip(NEXT) | instid1(VALU_DEP_1)
	v_or_b32_e32 v6, 0x70000000, v6
	v_mul_f32_e32 v6, 0x7800000, v6
	s_delay_alu instid0(VALU_DEP_1) | instskip(NEXT) | instid1(VALU_DEP_1)
	v_cndmask_b32_e32 v5, v6, v7, vcc_lo
	v_and_or_b32 v1, 0x80000000, v1, v5
	v_bfe_u32 v5, v5, 16, 1
	s_delay_alu instid0(VALU_DEP_2) | instskip(NEXT) | instid1(VALU_DEP_2)
	v_cmp_o_f32_e32 vcc_lo, v1, v1
	v_add3_u32 v5, v1, v5, 0x7fff
	s_delay_alu instid0(VALU_DEP_1) | instskip(NEXT) | instid1(VALU_DEP_1)
	v_lshrrev_b32_e32 v5, 16, v5
	v_cndmask_b32_e32 v5, 0x7fc0, v5, vcc_lo
.LBB206_1097:
	s_mov_b32 s13, -1
	s_mov_b32 s2, 0
	s_cbranch_execnz .LBB206_1108
.LBB206_1098:
	s_cmp_gt_i32 s0, 14
	s_cbranch_scc0 .LBB206_1101
; %bb.1099:
	s_cmp_eq_u32 s0, 15
	s_cbranch_scc0 .LBB206_1104
; %bb.1100:
	s_wait_loadcnt 0x0
	global_load_u16 v5, v[2:3], off
	s_mov_b32 s1, 0
	s_mov_b32 s13, -1
	s_branch .LBB206_1106
.LBB206_1101:
	s_mov_b32 s2, -1
	s_branch .LBB206_1105
.LBB206_1102:
	s_or_saveexec_b32 s12, s12
	v_mov_b32_e32 v5, 0x7f800001
	s_xor_b32 exec_lo, exec_lo, s12
	s_cbranch_execz .LBB206_1084
.LBB206_1103:
	v_cmp_ne_u16_e32 vcc_lo, 0, v1
	v_mov_b32_e32 v5, 0
	s_and_not1_b32 s2, s2, exec_lo
	s_and_b32 s13, vcc_lo, exec_lo
	s_delay_alu instid0(SALU_CYCLE_1)
	s_or_b32 s2, s2, s13
	s_or_b32 exec_lo, exec_lo, s12
	s_and_saveexec_b32 s12, s2
	s_cbranch_execnz .LBB206_1085
	s_branch .LBB206_1086
.LBB206_1104:
	s_mov_b32 s1, -1
.LBB206_1105:
                                        ; implicit-def: $vgpr5
.LBB206_1106:
	s_and_b32 vcc_lo, exec_lo, s2
	s_mov_b32 s2, 0
	s_cbranch_vccz .LBB206_1108
; %bb.1107:
	s_cmp_lg_u32 s0, 11
	s_mov_b32 s2, -1
	s_cselect_b32 s1, -1, 0
.LBB206_1108:
	s_delay_alu instid0(SALU_CYCLE_1)
	s_and_b32 vcc_lo, exec_lo, s1
	s_mov_b32 s12, s15
	s_cbranch_vccnz .LBB206_1169
; %bb.1109:
	s_and_not1_b32 vcc_lo, exec_lo, s2
	s_cbranch_vccnz .LBB206_1111
.LBB206_1110:
	global_load_u8 v1, v[2:3], off
	s_mov_b32 s13, -1
	s_wait_loadcnt 0x0
	v_cmp_ne_u16_e32 vcc_lo, 0, v1
	v_cndmask_b32_e64 v1, 0, 1.0, vcc_lo
	s_delay_alu instid0(VALU_DEP_1)
	v_lshrrev_b32_e32 v5, 16, v1
.LBB206_1111:
	s_branch .LBB206_1040
.LBB206_1112:
	s_cmp_lt_i32 s0, 5
	s_cbranch_scc1 .LBB206_1117
; %bb.1113:
	s_cmp_lt_i32 s0, 8
	s_cbranch_scc1 .LBB206_1118
; %bb.1114:
	;; [unrolled: 3-line block ×3, first 2 shown]
	s_cmp_gt_i32 s0, 9
	s_cbranch_scc0 .LBB206_1120
; %bb.1116:
	global_load_b64 v[6:7], v[2:3], off
	s_mov_b32 s1, 0
	s_wait_loadcnt 0x0
	v_cvt_f32_f64_e32 v1, v[6:7]
	s_delay_alu instid0(VALU_DEP_1) | instskip(SKIP_1) | instid1(VALU_DEP_2)
	v_bfe_u32 v5, v1, 16, 1
	v_cmp_o_f32_e32 vcc_lo, v1, v1
	v_add3_u32 v5, v1, v5, 0x7fff
	s_delay_alu instid0(VALU_DEP_1) | instskip(NEXT) | instid1(VALU_DEP_1)
	v_lshrrev_b32_e32 v5, 16, v5
	v_cndmask_b32_e32 v5, 0x7fc0, v5, vcc_lo
	s_branch .LBB206_1121
.LBB206_1117:
                                        ; implicit-def: $vgpr5
	s_branch .LBB206_1138
.LBB206_1118:
                                        ; implicit-def: $vgpr5
	s_branch .LBB206_1127
.LBB206_1119:
	s_mov_b32 s1, -1
                                        ; implicit-def: $vgpr5
	s_branch .LBB206_1124
.LBB206_1120:
	s_mov_b32 s1, -1
                                        ; implicit-def: $vgpr5
.LBB206_1121:
	s_delay_alu instid0(SALU_CYCLE_1)
	s_and_not1_b32 vcc_lo, exec_lo, s1
	s_cbranch_vccnz .LBB206_1123
; %bb.1122:
	global_load_b32 v1, v[2:3], off
	s_wait_loadcnt 0x0
	v_bfe_u32 v5, v1, 16, 1
	v_cmp_o_f32_e32 vcc_lo, v1, v1
	s_delay_alu instid0(VALU_DEP_2) | instskip(NEXT) | instid1(VALU_DEP_1)
	v_add3_u32 v5, v1, v5, 0x7fff
	v_lshrrev_b32_e32 v5, 16, v5
	s_delay_alu instid0(VALU_DEP_1)
	v_cndmask_b32_e32 v5, 0x7fc0, v5, vcc_lo
.LBB206_1123:
	s_mov_b32 s1, 0
.LBB206_1124:
	s_delay_alu instid0(SALU_CYCLE_1)
	s_and_not1_b32 vcc_lo, exec_lo, s1
	s_cbranch_vccnz .LBB206_1126
; %bb.1125:
	global_load_b32 v1, v[2:3], off
	s_wait_loadcnt 0x0
	v_cvt_f32_f16_e32 v5, v1
	v_cmp_o_f16_e32 vcc_lo, v1, v1
	s_delay_alu instid0(VALU_DEP_2) | instskip(NEXT) | instid1(VALU_DEP_1)
	v_bfe_u32 v6, v5, 16, 1
	v_add3_u32 v5, v5, v6, 0x7fff
	s_delay_alu instid0(VALU_DEP_1) | instskip(NEXT) | instid1(VALU_DEP_1)
	v_lshrrev_b32_e32 v5, 16, v5
	v_cndmask_b32_e32 v5, 0x7fc0, v5, vcc_lo
.LBB206_1126:
	s_cbranch_execnz .LBB206_1137
.LBB206_1127:
	s_cmp_lt_i32 s0, 6
	s_cbranch_scc1 .LBB206_1130
; %bb.1128:
	s_cmp_gt_i32 s0, 6
	s_cbranch_scc0 .LBB206_1131
; %bb.1129:
	global_load_b64 v[6:7], v[2:3], off
	s_mov_b32 s1, 0
	s_wait_loadcnt 0x0
	v_cvt_f32_f64_e32 v1, v[6:7]
	s_delay_alu instid0(VALU_DEP_1) | instskip(SKIP_1) | instid1(VALU_DEP_2)
	v_bfe_u32 v5, v1, 16, 1
	v_cmp_o_f32_e32 vcc_lo, v1, v1
	v_add3_u32 v5, v1, v5, 0x7fff
	s_delay_alu instid0(VALU_DEP_1) | instskip(NEXT) | instid1(VALU_DEP_1)
	v_lshrrev_b32_e32 v5, 16, v5
	v_cndmask_b32_e32 v5, 0x7fc0, v5, vcc_lo
	s_branch .LBB206_1132
.LBB206_1130:
	s_mov_b32 s1, -1
                                        ; implicit-def: $vgpr5
	s_branch .LBB206_1135
.LBB206_1131:
	s_mov_b32 s1, -1
                                        ; implicit-def: $vgpr5
.LBB206_1132:
	s_delay_alu instid0(SALU_CYCLE_1)
	s_and_not1_b32 vcc_lo, exec_lo, s1
	s_cbranch_vccnz .LBB206_1134
; %bb.1133:
	global_load_b32 v1, v[2:3], off
	s_wait_loadcnt 0x0
	v_bfe_u32 v5, v1, 16, 1
	v_cmp_o_f32_e32 vcc_lo, v1, v1
	s_delay_alu instid0(VALU_DEP_2) | instskip(NEXT) | instid1(VALU_DEP_1)
	v_add3_u32 v5, v1, v5, 0x7fff
	v_lshrrev_b32_e32 v5, 16, v5
	s_delay_alu instid0(VALU_DEP_1)
	v_cndmask_b32_e32 v5, 0x7fc0, v5, vcc_lo
.LBB206_1134:
	s_mov_b32 s1, 0
.LBB206_1135:
	s_delay_alu instid0(SALU_CYCLE_1)
	s_and_not1_b32 vcc_lo, exec_lo, s1
	s_cbranch_vccnz .LBB206_1137
; %bb.1136:
	global_load_u16 v1, v[2:3], off
	s_wait_loadcnt 0x0
	v_cvt_f32_f16_e32 v5, v1
	v_cmp_o_f16_e32 vcc_lo, v1, v1
	s_delay_alu instid0(VALU_DEP_2) | instskip(NEXT) | instid1(VALU_DEP_1)
	v_bfe_u32 v6, v5, 16, 1
	v_add3_u32 v5, v5, v6, 0x7fff
	s_delay_alu instid0(VALU_DEP_1) | instskip(NEXT) | instid1(VALU_DEP_1)
	v_lshrrev_b32_e32 v5, 16, v5
	v_cndmask_b32_e32 v5, 0x7fc0, v5, vcc_lo
.LBB206_1137:
	s_cbranch_execnz .LBB206_1156
.LBB206_1138:
	s_cmp_lt_i32 s0, 2
	s_cbranch_scc1 .LBB206_1142
; %bb.1139:
	s_cmp_lt_i32 s0, 3
	s_cbranch_scc1 .LBB206_1143
; %bb.1140:
	s_cmp_gt_i32 s0, 3
	s_cbranch_scc0 .LBB206_1144
; %bb.1141:
	global_load_b64 v[6:7], v[2:3], off
	s_mov_b32 s1, 0
	s_wait_loadcnt 0x0
	v_xor_b32_e32 v1, v6, v7
	v_cls_i32_e32 v5, v7
	s_delay_alu instid0(VALU_DEP_2) | instskip(NEXT) | instid1(VALU_DEP_1)
	v_ashrrev_i32_e32 v1, 31, v1
	v_add_nc_u32_e32 v1, 32, v1
	s_delay_alu instid0(VALU_DEP_1) | instskip(NEXT) | instid1(VALU_DEP_1)
	v_add_min_u32_e64 v1, v5, -1, v1
	v_lshlrev_b64_e32 v[6:7], v1, v[6:7]
	v_sub_nc_u32_e32 v1, 32, v1
	s_delay_alu instid0(VALU_DEP_2) | instskip(NEXT) | instid1(VALU_DEP_1)
	v_min_u32_e32 v5, 1, v6
	v_or_b32_e32 v5, v7, v5
	s_delay_alu instid0(VALU_DEP_1) | instskip(NEXT) | instid1(VALU_DEP_1)
	v_cvt_f32_i32_e32 v5, v5
	v_ldexp_f32 v1, v5, v1
	s_delay_alu instid0(VALU_DEP_1) | instskip(NEXT) | instid1(VALU_DEP_1)
	v_bfe_u32 v5, v1, 16, 1
	v_add3_u32 v1, v1, v5, 0x7fff
	s_delay_alu instid0(VALU_DEP_1)
	v_lshrrev_b32_e32 v5, 16, v1
	s_branch .LBB206_1145
.LBB206_1142:
                                        ; implicit-def: $vgpr5
	s_branch .LBB206_1151
.LBB206_1143:
	s_mov_b32 s1, -1
                                        ; implicit-def: $vgpr5
	s_branch .LBB206_1148
.LBB206_1144:
	s_mov_b32 s1, -1
                                        ; implicit-def: $vgpr5
.LBB206_1145:
	s_delay_alu instid0(SALU_CYCLE_1)
	s_and_not1_b32 vcc_lo, exec_lo, s1
	s_cbranch_vccnz .LBB206_1147
; %bb.1146:
	global_load_b32 v1, v[2:3], off
	s_wait_loadcnt 0x0
	v_cvt_f32_i32_e32 v1, v1
	s_delay_alu instid0(VALU_DEP_1) | instskip(NEXT) | instid1(VALU_DEP_1)
	v_bfe_u32 v5, v1, 16, 1
	v_add3_u32 v1, v1, v5, 0x7fff
	s_delay_alu instid0(VALU_DEP_1)
	v_lshrrev_b32_e32 v5, 16, v1
.LBB206_1147:
	s_mov_b32 s1, 0
.LBB206_1148:
	s_delay_alu instid0(SALU_CYCLE_1)
	s_and_not1_b32 vcc_lo, exec_lo, s1
	s_cbranch_vccnz .LBB206_1150
; %bb.1149:
	global_load_i16 v1, v[2:3], off
	s_wait_loadcnt 0x0
	v_cvt_f32_i32_e32 v1, v1
	s_delay_alu instid0(VALU_DEP_1) | instskip(NEXT) | instid1(VALU_DEP_1)
	v_bfe_u32 v5, v1, 16, 1
	v_add3_u32 v1, v1, v5, 0x7fff
	s_delay_alu instid0(VALU_DEP_1)
	v_lshrrev_b32_e32 v5, 16, v1
.LBB206_1150:
	s_cbranch_execnz .LBB206_1156
.LBB206_1151:
	s_cmp_gt_i32 s0, 0
	s_mov_b32 s1, 0
	s_cbranch_scc0 .LBB206_1153
; %bb.1152:
	global_load_i8 v1, v[2:3], off
	s_wait_loadcnt 0x0
	v_cvt_f32_i32_e32 v1, v1
	s_delay_alu instid0(VALU_DEP_1) | instskip(NEXT) | instid1(VALU_DEP_1)
	v_bfe_u32 v5, v1, 16, 1
	v_add3_u32 v1, v1, v5, 0x7fff
	s_delay_alu instid0(VALU_DEP_1)
	v_lshrrev_b32_e32 v5, 16, v1
	s_branch .LBB206_1154
.LBB206_1153:
	s_mov_b32 s1, -1
                                        ; implicit-def: $vgpr5
.LBB206_1154:
	s_delay_alu instid0(SALU_CYCLE_1)
	s_and_not1_b32 vcc_lo, exec_lo, s1
	s_cbranch_vccnz .LBB206_1156
; %bb.1155:
	global_load_u8 v1, v[2:3], off
	s_wait_loadcnt 0x0
	v_cvt_f32_ubyte0_e32 v1, v1
	s_wait_xcnt 0x0
	s_delay_alu instid0(VALU_DEP_1) | instskip(NEXT) | instid1(VALU_DEP_1)
	v_bfe_u32 v2, v1, 16, 1
	v_add3_u32 v1, v1, v2, 0x7fff
	s_delay_alu instid0(VALU_DEP_1)
	v_lshrrev_b32_e32 v5, 16, v1
.LBB206_1156:
.LBB206_1157:
	s_lshl_b32 s1, s9, 7
	s_cmp_lt_i32 s0, 11
	v_add_nc_u32_e32 v0, s1, v0
	s_delay_alu instid0(VALU_DEP_1) | instskip(SKIP_1) | instid1(VALU_DEP_1)
	v_ashrrev_i32_e32 v1, 31, v0
	s_wait_xcnt 0x0
	v_add_nc_u64_e32 v[2:3], s[6:7], v[0:1]
	s_cbranch_scc1 .LBB206_1164
; %bb.1158:
	s_cmp_gt_i32 s0, 25
	s_mov_b32 s9, 0
	s_cbranch_scc0 .LBB206_1166
; %bb.1159:
	s_cmp_gt_i32 s0, 28
	s_cbranch_scc0 .LBB206_1167
; %bb.1160:
	s_cmp_gt_i32 s0, 43
	;; [unrolled: 3-line block ×3, first 2 shown]
	s_cbranch_scc0 .LBB206_1170
; %bb.1162:
	s_cmp_eq_u32 s0, 46
	s_mov_b32 s16, 0
	s_cbranch_scc0 .LBB206_1173
; %bb.1163:
	global_load_b32 v6, v[2:3], off
	s_mov_b32 s2, 0
	s_mov_b32 s13, -1
	s_branch .LBB206_1175
.LBB206_1164:
	s_mov_b32 s13, 0
                                        ; implicit-def: $vgpr6
	s_cbranch_execnz .LBB206_1240
.LBB206_1165:
	s_and_not1_b32 vcc_lo, exec_lo, s13
	s_cbranch_vccnz .LBB206_1980
	s_branch .LBB206_1287
.LBB206_1166:
	s_mov_b32 s13, 0
	s_mov_b32 s2, 0
                                        ; implicit-def: $vgpr6
	s_cbranch_execnz .LBB206_1204
	s_branch .LBB206_1236
.LBB206_1167:
	s_mov_b32 s16, -1
	s_mov_b32 s13, 0
	s_mov_b32 s2, 0
                                        ; implicit-def: $vgpr6
	s_branch .LBB206_1185
.LBB206_1168:
	s_mov_b32 s16, -1
	s_mov_b32 s13, 0
	s_mov_b32 s2, 0
                                        ; implicit-def: $vgpr6
	s_branch .LBB206_1180
.LBB206_1169:
	s_or_b32 s12, s15, exec_lo
	s_trap 2
	s_cbranch_execz .LBB206_1110
	s_branch .LBB206_1111
.LBB206_1170:
	s_mov_b32 s16, -1
	s_mov_b32 s13, 0
	s_mov_b32 s2, 0
	s_branch .LBB206_1174
.LBB206_1171:
	s_and_not1_saveexec_b32 s22, s22
	s_cbranch_execz .LBB206_956
.LBB206_1172:
	v_add_f32_e32 v2, 0x42800000, v3
	s_and_not1_b32 s21, s21, exec_lo
	s_delay_alu instid0(VALU_DEP_1) | instskip(NEXT) | instid1(VALU_DEP_1)
	v_and_b32_e32 v2, 0xff, v2
	v_cmp_ne_u32_e32 vcc_lo, 0, v2
	s_and_b32 s23, vcc_lo, exec_lo
	s_delay_alu instid0(SALU_CYCLE_1)
	s_or_b32 s21, s21, s23
	s_or_b32 exec_lo, exec_lo, s22
	v_mov_b32_e32 v4, 0
	s_and_saveexec_b32 s22, s21
	s_cbranch_execnz .LBB206_957
	s_branch .LBB206_958
.LBB206_1173:
	s_mov_b32 s2, -1
	s_mov_b32 s13, 0
.LBB206_1174:
                                        ; implicit-def: $vgpr6
.LBB206_1175:
	s_and_b32 vcc_lo, exec_lo, s16
	s_cbranch_vccz .LBB206_1179
; %bb.1176:
	s_cmp_eq_u32 s0, 44
	s_cbranch_scc0 .LBB206_1178
; %bb.1177:
	global_load_u8 v1, v[2:3], off
	s_mov_b32 s2, 0
	s_mov_b32 s13, -1
	s_wait_loadcnt 0x0
	v_lshlrev_b32_e32 v6, 23, v1
	v_cmp_ne_u32_e32 vcc_lo, 0xff, v1
	s_delay_alu instid0(VALU_DEP_2) | instskip(SKIP_1) | instid1(VALU_DEP_2)
	v_cndmask_b32_e32 v6, 0x7f800001, v6, vcc_lo
	v_cmp_ne_u32_e32 vcc_lo, 0, v1
	v_cndmask_b32_e32 v1, 0x400000, v6, vcc_lo
	s_delay_alu instid0(VALU_DEP_1) | instskip(NEXT) | instid1(VALU_DEP_1)
	v_add_nc_u32_e32 v6, 0x7fff, v1
	v_lshrrev_b32_e32 v6, 16, v6
	v_cmp_o_f32_e32 vcc_lo, v1, v1
	s_delay_alu instid0(VALU_DEP_2)
	v_cndmask_b32_e32 v6, 0x7fc0, v6, vcc_lo
	s_branch .LBB206_1179
.LBB206_1178:
	s_mov_b32 s2, -1
                                        ; implicit-def: $vgpr6
.LBB206_1179:
	s_mov_b32 s16, 0
.LBB206_1180:
	s_delay_alu instid0(SALU_CYCLE_1)
	s_and_b32 vcc_lo, exec_lo, s16
	s_cbranch_vccz .LBB206_1184
; %bb.1181:
	s_cmp_eq_u32 s0, 29
	s_cbranch_scc0 .LBB206_1183
; %bb.1182:
	s_wait_loadcnt 0x0
	global_load_b64 v[6:7], v[2:3], off
	s_mov_b32 s2, 0
	s_mov_b32 s13, -1
	s_mov_b32 s16, 0
	s_wait_loadcnt 0x0
	v_clz_i32_u32_e32 v1, v7
	s_delay_alu instid0(VALU_DEP_1) | instskip(NEXT) | instid1(VALU_DEP_1)
	v_min_u32_e32 v1, 32, v1
	v_lshlrev_b64_e32 v[6:7], v1, v[6:7]
	v_sub_nc_u32_e32 v1, 32, v1
	s_delay_alu instid0(VALU_DEP_2) | instskip(NEXT) | instid1(VALU_DEP_1)
	v_min_u32_e32 v6, 1, v6
	v_or_b32_e32 v6, v7, v6
	s_delay_alu instid0(VALU_DEP_1) | instskip(NEXT) | instid1(VALU_DEP_1)
	v_cvt_f32_u32_e32 v6, v6
	v_ldexp_f32 v1, v6, v1
	s_delay_alu instid0(VALU_DEP_1) | instskip(NEXT) | instid1(VALU_DEP_1)
	v_bfe_u32 v6, v1, 16, 1
	v_add3_u32 v1, v1, v6, 0x7fff
	s_delay_alu instid0(VALU_DEP_1)
	v_lshrrev_b32_e32 v6, 16, v1
	s_branch .LBB206_1185
.LBB206_1183:
	s_mov_b32 s2, -1
                                        ; implicit-def: $vgpr6
.LBB206_1184:
	s_mov_b32 s16, 0
.LBB206_1185:
	s_delay_alu instid0(SALU_CYCLE_1)
	s_and_b32 vcc_lo, exec_lo, s16
	s_cbranch_vccz .LBB206_1203
; %bb.1186:
	s_cmp_lt_i32 s0, 27
	s_cbranch_scc1 .LBB206_1189
; %bb.1187:
	s_cmp_gt_i32 s0, 27
	s_cbranch_scc0 .LBB206_1190
; %bb.1188:
	global_load_b32 v1, v[2:3], off
	s_mov_b32 s13, 0
	s_wait_loadcnt 0x0
	v_cvt_f32_u32_e32 v1, v1
	s_delay_alu instid0(VALU_DEP_1) | instskip(NEXT) | instid1(VALU_DEP_1)
	v_bfe_u32 v6, v1, 16, 1
	v_add3_u32 v1, v1, v6, 0x7fff
	s_delay_alu instid0(VALU_DEP_1)
	v_lshrrev_b32_e32 v6, 16, v1
	s_branch .LBB206_1191
.LBB206_1189:
	s_mov_b32 s13, -1
                                        ; implicit-def: $vgpr6
	s_branch .LBB206_1194
.LBB206_1190:
	s_mov_b32 s13, -1
                                        ; implicit-def: $vgpr6
.LBB206_1191:
	s_delay_alu instid0(SALU_CYCLE_1)
	s_and_not1_b32 vcc_lo, exec_lo, s13
	s_cbranch_vccnz .LBB206_1193
; %bb.1192:
	global_load_u16 v1, v[2:3], off
	s_wait_loadcnt 0x0
	v_cvt_f32_u32_e32 v1, v1
	s_delay_alu instid0(VALU_DEP_1) | instskip(NEXT) | instid1(VALU_DEP_1)
	v_bfe_u32 v6, v1, 16, 1
	v_add3_u32 v1, v1, v6, 0x7fff
	s_delay_alu instid0(VALU_DEP_1)
	v_lshrrev_b32_e32 v6, 16, v1
.LBB206_1193:
	s_mov_b32 s13, 0
.LBB206_1194:
	s_delay_alu instid0(SALU_CYCLE_1)
	s_and_not1_b32 vcc_lo, exec_lo, s13
	s_cbranch_vccnz .LBB206_1202
; %bb.1195:
	global_load_u8 v1, v[2:3], off
	s_mov_b32 s13, 0
	s_mov_b32 s16, exec_lo
	s_wait_loadcnt 0x0
	v_cmpx_lt_i16_e32 0x7f, v1
	s_xor_b32 s16, exec_lo, s16
	s_cbranch_execz .LBB206_1215
; %bb.1196:
	s_mov_b32 s13, -1
	s_mov_b32 s17, exec_lo
	v_cmpx_eq_u16_e32 0x80, v1
; %bb.1197:
	s_xor_b32 s13, exec_lo, -1
; %bb.1198:
	s_or_b32 exec_lo, exec_lo, s17
	s_delay_alu instid0(SALU_CYCLE_1)
	s_and_b32 s13, s13, exec_lo
	s_or_saveexec_b32 s16, s16
	v_mov_b32_e32 v6, 0x7f800001
	s_xor_b32 exec_lo, exec_lo, s16
	s_cbranch_execnz .LBB206_1216
.LBB206_1199:
	s_or_b32 exec_lo, exec_lo, s16
	s_and_saveexec_b32 s16, s13
	s_cbranch_execz .LBB206_1201
.LBB206_1200:
	v_and_b32_e32 v6, 0xffff, v1
	s_delay_alu instid0(VALU_DEP_1) | instskip(SKIP_1) | instid1(VALU_DEP_2)
	v_and_b32_e32 v7, 7, v6
	v_bfe_u32 v10, v6, 3, 4
	v_clz_i32_u32_e32 v8, v7
	s_delay_alu instid0(VALU_DEP_2) | instskip(NEXT) | instid1(VALU_DEP_2)
	v_cmp_eq_u32_e32 vcc_lo, 0, v10
	v_min_u32_e32 v8, 32, v8
	s_delay_alu instid0(VALU_DEP_1) | instskip(NEXT) | instid1(VALU_DEP_1)
	v_subrev_nc_u32_e32 v9, 28, v8
	v_dual_lshlrev_b32 v6, v9, v6 :: v_dual_sub_nc_u32 v8, 29, v8
	s_delay_alu instid0(VALU_DEP_1) | instskip(NEXT) | instid1(VALU_DEP_1)
	v_dual_lshlrev_b32 v1, 24, v1 :: v_dual_bitop2_b32 v6, 7, v6 bitop3:0x40
	v_dual_cndmask_b32 v8, v10, v8, vcc_lo :: v_dual_cndmask_b32 v6, v7, v6, vcc_lo
	s_delay_alu instid0(VALU_DEP_2) | instskip(NEXT) | instid1(VALU_DEP_2)
	v_and_b32_e32 v1, 0x80000000, v1
	v_lshl_add_u32 v7, v8, 23, 0x3b800000
	s_delay_alu instid0(VALU_DEP_3) | instskip(NEXT) | instid1(VALU_DEP_1)
	v_lshlrev_b32_e32 v6, 20, v6
	v_or3_b32 v6, v1, v7, v6
.LBB206_1201:
	s_or_b32 exec_lo, exec_lo, s16
	s_delay_alu instid0(VALU_DEP_1) | instskip(SKIP_1) | instid1(VALU_DEP_2)
	v_bfe_u32 v1, v6, 16, 1
	v_cmp_o_f32_e32 vcc_lo, v6, v6
	v_add3_u32 v1, v6, v1, 0x7fff
	s_delay_alu instid0(VALU_DEP_1) | instskip(NEXT) | instid1(VALU_DEP_1)
	v_lshrrev_b32_e32 v1, 16, v1
	v_cndmask_b32_e32 v6, 0x7fc0, v1, vcc_lo
.LBB206_1202:
	s_mov_b32 s13, -1
.LBB206_1203:
	s_branch .LBB206_1236
.LBB206_1204:
	s_cmp_gt_i32 s0, 22
	s_cbranch_scc0 .LBB206_1214
; %bb.1205:
	s_cmp_lt_i32 s0, 24
	s_cbranch_scc1 .LBB206_1217
; %bb.1206:
	s_cmp_gt_i32 s0, 24
	s_cbranch_scc0 .LBB206_1218
; %bb.1207:
	global_load_u8 v1, v[2:3], off
	s_mov_b32 s13, exec_lo
	s_wait_loadcnt 0x0
	v_cmpx_lt_i16_e32 0x7f, v1
	s_xor_b32 s13, exec_lo, s13
	s_cbranch_execz .LBB206_1230
; %bb.1208:
	s_mov_b32 s9, -1
	s_mov_b32 s16, exec_lo
	v_cmpx_eq_u16_e32 0x80, v1
; %bb.1209:
	s_xor_b32 s9, exec_lo, -1
; %bb.1210:
	s_or_b32 exec_lo, exec_lo, s16
	s_delay_alu instid0(SALU_CYCLE_1)
	s_and_b32 s9, s9, exec_lo
	s_or_saveexec_b32 s13, s13
	v_mov_b32_e32 v6, 0x7f800001
	s_xor_b32 exec_lo, exec_lo, s13
	s_cbranch_execnz .LBB206_1231
.LBB206_1211:
	s_or_b32 exec_lo, exec_lo, s13
	s_and_saveexec_b32 s13, s9
	s_cbranch_execz .LBB206_1213
.LBB206_1212:
	v_and_b32_e32 v6, 0xffff, v1
	s_delay_alu instid0(VALU_DEP_1) | instskip(SKIP_1) | instid1(VALU_DEP_2)
	v_and_b32_e32 v7, 3, v6
	v_bfe_u32 v10, v6, 2, 5
	v_clz_i32_u32_e32 v8, v7
	s_delay_alu instid0(VALU_DEP_2) | instskip(NEXT) | instid1(VALU_DEP_2)
	v_cmp_eq_u32_e32 vcc_lo, 0, v10
	v_min_u32_e32 v8, 32, v8
	s_delay_alu instid0(VALU_DEP_1) | instskip(NEXT) | instid1(VALU_DEP_1)
	v_subrev_nc_u32_e32 v9, 29, v8
	v_dual_lshlrev_b32 v6, v9, v6 :: v_dual_sub_nc_u32 v8, 30, v8
	s_delay_alu instid0(VALU_DEP_1) | instskip(NEXT) | instid1(VALU_DEP_1)
	v_dual_lshlrev_b32 v1, 24, v1 :: v_dual_bitop2_b32 v6, 3, v6 bitop3:0x40
	v_dual_cndmask_b32 v8, v10, v8, vcc_lo :: v_dual_cndmask_b32 v6, v7, v6, vcc_lo
	s_delay_alu instid0(VALU_DEP_2) | instskip(NEXT) | instid1(VALU_DEP_2)
	v_and_b32_e32 v1, 0x80000000, v1
	v_lshl_add_u32 v7, v8, 23, 0x37800000
	s_delay_alu instid0(VALU_DEP_3) | instskip(NEXT) | instid1(VALU_DEP_1)
	v_lshlrev_b32_e32 v6, 21, v6
	v_or3_b32 v6, v1, v7, v6
.LBB206_1213:
	s_or_b32 exec_lo, exec_lo, s13
	s_delay_alu instid0(VALU_DEP_1) | instskip(SKIP_2) | instid1(VALU_DEP_2)
	v_bfe_u32 v1, v6, 16, 1
	v_cmp_o_f32_e32 vcc_lo, v6, v6
	s_mov_b32 s9, 0
	v_add3_u32 v1, v6, v1, 0x7fff
	s_delay_alu instid0(VALU_DEP_1) | instskip(NEXT) | instid1(VALU_DEP_1)
	v_lshrrev_b32_e32 v1, 16, v1
	v_cndmask_b32_e32 v6, 0x7fc0, v1, vcc_lo
	s_branch .LBB206_1219
.LBB206_1214:
	s_mov_b32 s9, -1
                                        ; implicit-def: $vgpr6
	s_branch .LBB206_1225
.LBB206_1215:
	s_or_saveexec_b32 s16, s16
	v_mov_b32_e32 v6, 0x7f800001
	s_xor_b32 exec_lo, exec_lo, s16
	s_cbranch_execz .LBB206_1199
.LBB206_1216:
	v_cmp_ne_u16_e32 vcc_lo, 0, v1
	v_mov_b32_e32 v6, 0
	s_and_not1_b32 s13, s13, exec_lo
	s_and_b32 s17, vcc_lo, exec_lo
	s_delay_alu instid0(SALU_CYCLE_1)
	s_or_b32 s13, s13, s17
	s_or_b32 exec_lo, exec_lo, s16
	s_and_saveexec_b32 s16, s13
	s_cbranch_execnz .LBB206_1200
	s_branch .LBB206_1201
.LBB206_1217:
	s_mov_b32 s9, -1
                                        ; implicit-def: $vgpr6
	s_branch .LBB206_1222
.LBB206_1218:
	s_mov_b32 s9, -1
                                        ; implicit-def: $vgpr6
.LBB206_1219:
	s_delay_alu instid0(SALU_CYCLE_1)
	s_and_b32 vcc_lo, exec_lo, s9
	s_cbranch_vccz .LBB206_1221
; %bb.1220:
	global_load_u8 v1, v[2:3], off
	s_wait_loadcnt 0x0
	v_lshlrev_b32_e32 v1, 24, v1
	s_delay_alu instid0(VALU_DEP_1) | instskip(NEXT) | instid1(VALU_DEP_1)
	v_and_b32_e32 v6, 0x7f000000, v1
	v_clz_i32_u32_e32 v7, v6
	v_cmp_ne_u32_e32 vcc_lo, 0, v6
	v_add_nc_u32_e32 v9, 0x1000000, v6
	s_delay_alu instid0(VALU_DEP_3) | instskip(NEXT) | instid1(VALU_DEP_1)
	v_min_u32_e32 v7, 32, v7
	v_sub_nc_u32_e64 v7, v7, 4 clamp
	s_delay_alu instid0(VALU_DEP_1) | instskip(NEXT) | instid1(VALU_DEP_1)
	v_dual_lshlrev_b32 v8, v7, v6 :: v_dual_lshlrev_b32 v7, 23, v7
	v_lshrrev_b32_e32 v8, 4, v8
	s_delay_alu instid0(VALU_DEP_1) | instskip(NEXT) | instid1(VALU_DEP_1)
	v_dual_sub_nc_u32 v7, v8, v7 :: v_dual_ashrrev_i32 v8, 8, v9
	v_add_nc_u32_e32 v7, 0x3c000000, v7
	s_delay_alu instid0(VALU_DEP_1) | instskip(NEXT) | instid1(VALU_DEP_1)
	v_and_or_b32 v7, 0x7f800000, v8, v7
	v_cndmask_b32_e32 v6, 0, v7, vcc_lo
	s_delay_alu instid0(VALU_DEP_1) | instskip(SKIP_1) | instid1(VALU_DEP_2)
	v_and_or_b32 v1, 0x80000000, v1, v6
	v_bfe_u32 v6, v6, 16, 1
	v_cmp_o_f32_e32 vcc_lo, v1, v1
	s_delay_alu instid0(VALU_DEP_2) | instskip(NEXT) | instid1(VALU_DEP_1)
	v_add3_u32 v6, v1, v6, 0x7fff
	v_lshrrev_b32_e32 v6, 16, v6
	s_delay_alu instid0(VALU_DEP_1)
	v_cndmask_b32_e32 v6, 0x7fc0, v6, vcc_lo
.LBB206_1221:
	s_mov_b32 s9, 0
.LBB206_1222:
	s_delay_alu instid0(SALU_CYCLE_1)
	s_and_not1_b32 vcc_lo, exec_lo, s9
	s_cbranch_vccnz .LBB206_1224
; %bb.1223:
	global_load_u8 v1, v[2:3], off
	s_wait_loadcnt 0x0
	v_lshlrev_b32_e32 v6, 25, v1
	v_lshlrev_b16 v1, 8, v1
	s_delay_alu instid0(VALU_DEP_1) | instskip(SKIP_1) | instid1(VALU_DEP_2)
	v_and_or_b32 v8, 0x7f00, v1, 0.5
	v_bfe_i32 v1, v1, 0, 16
	v_dual_add_f32 v8, -0.5, v8 :: v_dual_lshrrev_b32 v7, 4, v6
	v_cmp_gt_u32_e32 vcc_lo, 0x8000000, v6
	s_delay_alu instid0(VALU_DEP_2) | instskip(NEXT) | instid1(VALU_DEP_1)
	v_or_b32_e32 v7, 0x70000000, v7
	v_mul_f32_e32 v7, 0x7800000, v7
	s_delay_alu instid0(VALU_DEP_1) | instskip(NEXT) | instid1(VALU_DEP_1)
	v_cndmask_b32_e32 v6, v7, v8, vcc_lo
	v_and_or_b32 v1, 0x80000000, v1, v6
	v_bfe_u32 v6, v6, 16, 1
	s_delay_alu instid0(VALU_DEP_2) | instskip(NEXT) | instid1(VALU_DEP_2)
	v_cmp_o_f32_e32 vcc_lo, v1, v1
	v_add3_u32 v6, v1, v6, 0x7fff
	s_delay_alu instid0(VALU_DEP_1) | instskip(NEXT) | instid1(VALU_DEP_1)
	v_lshrrev_b32_e32 v6, 16, v6
	v_cndmask_b32_e32 v6, 0x7fc0, v6, vcc_lo
.LBB206_1224:
	s_mov_b32 s9, 0
	s_mov_b32 s13, -1
.LBB206_1225:
	s_and_not1_b32 vcc_lo, exec_lo, s9
	s_mov_b32 s9, 0
	s_cbranch_vccnz .LBB206_1236
; %bb.1226:
	s_cmp_gt_i32 s0, 14
	s_cbranch_scc0 .LBB206_1229
; %bb.1227:
	s_cmp_eq_u32 s0, 15
	s_cbranch_scc0 .LBB206_1232
; %bb.1228:
	s_wait_loadcnt 0x0
	global_load_u16 v6, v[2:3], off
	s_mov_b32 s2, 0
	s_mov_b32 s13, -1
	s_branch .LBB206_1234
.LBB206_1229:
	s_mov_b32 s9, -1
	s_branch .LBB206_1233
.LBB206_1230:
	s_or_saveexec_b32 s13, s13
	v_mov_b32_e32 v6, 0x7f800001
	s_xor_b32 exec_lo, exec_lo, s13
	s_cbranch_execz .LBB206_1211
.LBB206_1231:
	v_cmp_ne_u16_e32 vcc_lo, 0, v1
	v_mov_b32_e32 v6, 0
	s_and_not1_b32 s9, s9, exec_lo
	s_and_b32 s16, vcc_lo, exec_lo
	s_delay_alu instid0(SALU_CYCLE_1)
	s_or_b32 s9, s9, s16
	s_or_b32 exec_lo, exec_lo, s13
	s_and_saveexec_b32 s13, s9
	s_cbranch_execnz .LBB206_1212
	s_branch .LBB206_1213
.LBB206_1232:
	s_mov_b32 s2, -1
.LBB206_1233:
                                        ; implicit-def: $vgpr6
.LBB206_1234:
	s_and_b32 vcc_lo, exec_lo, s9
	s_mov_b32 s9, 0
	s_cbranch_vccz .LBB206_1236
; %bb.1235:
	s_cmp_lg_u32 s0, 11
	s_mov_b32 s9, -1
	s_cselect_b32 s2, -1, 0
.LBB206_1236:
	s_delay_alu instid0(SALU_CYCLE_1)
	s_and_b32 vcc_lo, exec_lo, s2
	s_cbranch_vccnz .LBB206_1299
; %bb.1237:
	s_and_not1_b32 vcc_lo, exec_lo, s9
	s_cbranch_vccnz .LBB206_1239
.LBB206_1238:
	global_load_u8 v1, v[2:3], off
	s_mov_b32 s13, -1
	s_wait_loadcnt 0x0
	v_cmp_ne_u16_e32 vcc_lo, 0, v1
	v_cndmask_b32_e64 v1, 0, 1.0, vcc_lo
	s_delay_alu instid0(VALU_DEP_1)
	v_lshrrev_b32_e32 v6, 16, v1
.LBB206_1239:
	s_branch .LBB206_1165
.LBB206_1240:
	s_cmp_lt_i32 s0, 5
	s_cbranch_scc1 .LBB206_1245
; %bb.1241:
	s_cmp_lt_i32 s0, 8
	s_cbranch_scc1 .LBB206_1246
; %bb.1242:
	;; [unrolled: 3-line block ×3, first 2 shown]
	s_cmp_gt_i32 s0, 9
	s_cbranch_scc0 .LBB206_1248
; %bb.1244:
	s_wait_loadcnt 0x0
	global_load_b64 v[6:7], v[2:3], off
	s_mov_b32 s2, 0
	s_wait_loadcnt 0x0
	v_cvt_f32_f64_e32 v1, v[6:7]
	s_delay_alu instid0(VALU_DEP_1) | instskip(SKIP_1) | instid1(VALU_DEP_2)
	v_bfe_u32 v6, v1, 16, 1
	v_cmp_o_f32_e32 vcc_lo, v1, v1
	v_add3_u32 v6, v1, v6, 0x7fff
	s_delay_alu instid0(VALU_DEP_1) | instskip(NEXT) | instid1(VALU_DEP_1)
	v_lshrrev_b32_e32 v6, 16, v6
	v_cndmask_b32_e32 v6, 0x7fc0, v6, vcc_lo
	s_branch .LBB206_1249
.LBB206_1245:
                                        ; implicit-def: $vgpr6
	s_branch .LBB206_1267
.LBB206_1246:
	s_mov_b32 s2, -1
                                        ; implicit-def: $vgpr6
	s_branch .LBB206_1255
.LBB206_1247:
	s_mov_b32 s2, -1
                                        ; implicit-def: $vgpr6
	s_branch .LBB206_1252
.LBB206_1248:
	s_mov_b32 s2, -1
                                        ; implicit-def: $vgpr6
.LBB206_1249:
	s_delay_alu instid0(SALU_CYCLE_1)
	s_and_not1_b32 vcc_lo, exec_lo, s2
	s_cbranch_vccnz .LBB206_1251
; %bb.1250:
	global_load_b32 v1, v[2:3], off
	s_wait_loadcnt 0x0
	v_bfe_u32 v6, v1, 16, 1
	v_cmp_o_f32_e32 vcc_lo, v1, v1
	s_delay_alu instid0(VALU_DEP_2) | instskip(NEXT) | instid1(VALU_DEP_1)
	v_add3_u32 v6, v1, v6, 0x7fff
	v_lshrrev_b32_e32 v6, 16, v6
	s_delay_alu instid0(VALU_DEP_1)
	v_cndmask_b32_e32 v6, 0x7fc0, v6, vcc_lo
.LBB206_1251:
	s_mov_b32 s2, 0
.LBB206_1252:
	s_delay_alu instid0(SALU_CYCLE_1)
	s_and_not1_b32 vcc_lo, exec_lo, s2
	s_cbranch_vccnz .LBB206_1254
; %bb.1253:
	global_load_b32 v1, v[2:3], off
	s_wait_loadcnt 0x0
	v_cvt_f32_f16_e32 v6, v1
	v_cmp_o_f16_e32 vcc_lo, v1, v1
	s_delay_alu instid0(VALU_DEP_2) | instskip(NEXT) | instid1(VALU_DEP_1)
	v_bfe_u32 v7, v6, 16, 1
	v_add3_u32 v6, v6, v7, 0x7fff
	s_delay_alu instid0(VALU_DEP_1) | instskip(NEXT) | instid1(VALU_DEP_1)
	v_lshrrev_b32_e32 v6, 16, v6
	v_cndmask_b32_e32 v6, 0x7fc0, v6, vcc_lo
.LBB206_1254:
	s_mov_b32 s2, 0
.LBB206_1255:
	s_delay_alu instid0(SALU_CYCLE_1)
	s_and_not1_b32 vcc_lo, exec_lo, s2
	s_cbranch_vccnz .LBB206_1266
; %bb.1256:
	s_cmp_lt_i32 s0, 6
	s_cbranch_scc1 .LBB206_1259
; %bb.1257:
	s_cmp_gt_i32 s0, 6
	s_cbranch_scc0 .LBB206_1260
; %bb.1258:
	s_wait_loadcnt 0x0
	global_load_b64 v[6:7], v[2:3], off
	s_mov_b32 s2, 0
	s_wait_loadcnt 0x0
	v_cvt_f32_f64_e32 v1, v[6:7]
	s_delay_alu instid0(VALU_DEP_1) | instskip(SKIP_1) | instid1(VALU_DEP_2)
	v_bfe_u32 v6, v1, 16, 1
	v_cmp_o_f32_e32 vcc_lo, v1, v1
	v_add3_u32 v6, v1, v6, 0x7fff
	s_delay_alu instid0(VALU_DEP_1) | instskip(NEXT) | instid1(VALU_DEP_1)
	v_lshrrev_b32_e32 v6, 16, v6
	v_cndmask_b32_e32 v6, 0x7fc0, v6, vcc_lo
	s_branch .LBB206_1261
.LBB206_1259:
	s_mov_b32 s2, -1
                                        ; implicit-def: $vgpr6
	s_branch .LBB206_1264
.LBB206_1260:
	s_mov_b32 s2, -1
                                        ; implicit-def: $vgpr6
.LBB206_1261:
	s_delay_alu instid0(SALU_CYCLE_1)
	s_and_not1_b32 vcc_lo, exec_lo, s2
	s_cbranch_vccnz .LBB206_1263
; %bb.1262:
	global_load_b32 v1, v[2:3], off
	s_wait_loadcnt 0x0
	v_bfe_u32 v6, v1, 16, 1
	v_cmp_o_f32_e32 vcc_lo, v1, v1
	s_delay_alu instid0(VALU_DEP_2) | instskip(NEXT) | instid1(VALU_DEP_1)
	v_add3_u32 v6, v1, v6, 0x7fff
	v_lshrrev_b32_e32 v6, 16, v6
	s_delay_alu instid0(VALU_DEP_1)
	v_cndmask_b32_e32 v6, 0x7fc0, v6, vcc_lo
.LBB206_1263:
	s_mov_b32 s2, 0
.LBB206_1264:
	s_delay_alu instid0(SALU_CYCLE_1)
	s_and_not1_b32 vcc_lo, exec_lo, s2
	s_cbranch_vccnz .LBB206_1266
; %bb.1265:
	global_load_u16 v1, v[2:3], off
	s_wait_loadcnt 0x0
	v_cvt_f32_f16_e32 v6, v1
	v_cmp_o_f16_e32 vcc_lo, v1, v1
	s_delay_alu instid0(VALU_DEP_2) | instskip(NEXT) | instid1(VALU_DEP_1)
	v_bfe_u32 v7, v6, 16, 1
	v_add3_u32 v6, v6, v7, 0x7fff
	s_delay_alu instid0(VALU_DEP_1) | instskip(NEXT) | instid1(VALU_DEP_1)
	v_lshrrev_b32_e32 v6, 16, v6
	v_cndmask_b32_e32 v6, 0x7fc0, v6, vcc_lo
.LBB206_1266:
	s_cbranch_execnz .LBB206_1286
.LBB206_1267:
	s_cmp_lt_i32 s0, 2
	s_cbranch_scc1 .LBB206_1271
; %bb.1268:
	s_cmp_lt_i32 s0, 3
	s_cbranch_scc1 .LBB206_1272
; %bb.1269:
	s_cmp_gt_i32 s0, 3
	s_cbranch_scc0 .LBB206_1273
; %bb.1270:
	s_wait_loadcnt 0x0
	global_load_b64 v[6:7], v[2:3], off
	s_mov_b32 s2, 0
	s_wait_loadcnt 0x0
	v_xor_b32_e32 v1, v6, v7
	v_cls_i32_e32 v8, v7
	s_delay_alu instid0(VALU_DEP_2) | instskip(NEXT) | instid1(VALU_DEP_1)
	v_ashrrev_i32_e32 v1, 31, v1
	v_add_nc_u32_e32 v1, 32, v1
	s_delay_alu instid0(VALU_DEP_1) | instskip(NEXT) | instid1(VALU_DEP_1)
	v_add_min_u32_e64 v1, v8, -1, v1
	v_lshlrev_b64_e32 v[6:7], v1, v[6:7]
	v_sub_nc_u32_e32 v1, 32, v1
	s_delay_alu instid0(VALU_DEP_2) | instskip(NEXT) | instid1(VALU_DEP_1)
	v_min_u32_e32 v6, 1, v6
	v_or_b32_e32 v6, v7, v6
	s_delay_alu instid0(VALU_DEP_1) | instskip(NEXT) | instid1(VALU_DEP_1)
	v_cvt_f32_i32_e32 v6, v6
	v_ldexp_f32 v1, v6, v1
	s_delay_alu instid0(VALU_DEP_1) | instskip(NEXT) | instid1(VALU_DEP_1)
	v_bfe_u32 v6, v1, 16, 1
	v_add3_u32 v1, v1, v6, 0x7fff
	s_delay_alu instid0(VALU_DEP_1)
	v_lshrrev_b32_e32 v6, 16, v1
	s_branch .LBB206_1274
.LBB206_1271:
	s_mov_b32 s2, -1
                                        ; implicit-def: $vgpr6
	s_branch .LBB206_1280
.LBB206_1272:
	s_mov_b32 s2, -1
                                        ; implicit-def: $vgpr6
	s_branch .LBB206_1277
.LBB206_1273:
	s_mov_b32 s2, -1
                                        ; implicit-def: $vgpr6
.LBB206_1274:
	s_delay_alu instid0(SALU_CYCLE_1)
	s_and_not1_b32 vcc_lo, exec_lo, s2
	s_cbranch_vccnz .LBB206_1276
; %bb.1275:
	global_load_b32 v1, v[2:3], off
	s_wait_loadcnt 0x0
	v_cvt_f32_i32_e32 v1, v1
	s_delay_alu instid0(VALU_DEP_1) | instskip(NEXT) | instid1(VALU_DEP_1)
	v_bfe_u32 v6, v1, 16, 1
	v_add3_u32 v1, v1, v6, 0x7fff
	s_delay_alu instid0(VALU_DEP_1)
	v_lshrrev_b32_e32 v6, 16, v1
.LBB206_1276:
	s_mov_b32 s2, 0
.LBB206_1277:
	s_delay_alu instid0(SALU_CYCLE_1)
	s_and_not1_b32 vcc_lo, exec_lo, s2
	s_cbranch_vccnz .LBB206_1279
; %bb.1278:
	global_load_i16 v1, v[2:3], off
	s_wait_loadcnt 0x0
	v_cvt_f32_i32_e32 v1, v1
	s_delay_alu instid0(VALU_DEP_1) | instskip(NEXT) | instid1(VALU_DEP_1)
	v_bfe_u32 v6, v1, 16, 1
	v_add3_u32 v1, v1, v6, 0x7fff
	s_delay_alu instid0(VALU_DEP_1)
	v_lshrrev_b32_e32 v6, 16, v1
.LBB206_1279:
	s_mov_b32 s2, 0
.LBB206_1280:
	s_delay_alu instid0(SALU_CYCLE_1)
	s_and_not1_b32 vcc_lo, exec_lo, s2
	s_cbranch_vccnz .LBB206_1286
; %bb.1281:
	s_cmp_gt_i32 s0, 0
	s_mov_b32 s2, 0
	s_cbranch_scc0 .LBB206_1283
; %bb.1282:
	global_load_i8 v1, v[2:3], off
	s_wait_loadcnt 0x0
	v_cvt_f32_i32_e32 v1, v1
	s_delay_alu instid0(VALU_DEP_1) | instskip(NEXT) | instid1(VALU_DEP_1)
	v_bfe_u32 v6, v1, 16, 1
	v_add3_u32 v1, v1, v6, 0x7fff
	s_delay_alu instid0(VALU_DEP_1)
	v_lshrrev_b32_e32 v6, 16, v1
	s_branch .LBB206_1284
.LBB206_1283:
	s_mov_b32 s2, -1
                                        ; implicit-def: $vgpr6
.LBB206_1284:
	s_delay_alu instid0(SALU_CYCLE_1)
	s_and_not1_b32 vcc_lo, exec_lo, s2
	s_cbranch_vccnz .LBB206_1286
; %bb.1285:
	global_load_u8 v1, v[2:3], off
	s_wait_loadcnt 0x0
	v_cvt_f32_ubyte0_e32 v1, v1
	s_wait_xcnt 0x0
	s_delay_alu instid0(VALU_DEP_1) | instskip(NEXT) | instid1(VALU_DEP_1)
	v_bfe_u32 v2, v1, 16, 1
	v_add3_u32 v1, v1, v2, 0x7fff
	s_delay_alu instid0(VALU_DEP_1)
	v_lshrrev_b32_e32 v6, 16, v1
.LBB206_1286:
.LBB206_1287:
	v_add_nc_u32_e32 v0, s1, v0
	s_cmp_lt_i32 s0, 11
	s_delay_alu instid0(VALU_DEP_1) | instskip(SKIP_1) | instid1(VALU_DEP_1)
	v_ashrrev_i32_e32 v1, 31, v0
	s_wait_xcnt 0x0
	v_add_nc_u64_e32 v[2:3], s[6:7], v[0:1]
	s_cbranch_scc1 .LBB206_1294
; %bb.1288:
	s_cmp_gt_i32 s0, 25
	s_mov_b32 s9, 0
	s_cbranch_scc0 .LBB206_1296
; %bb.1289:
	s_cmp_gt_i32 s0, 28
	s_cbranch_scc0 .LBB206_1297
; %bb.1290:
	s_cmp_gt_i32 s0, 43
	;; [unrolled: 3-line block ×3, first 2 shown]
	s_cbranch_scc0 .LBB206_1300
; %bb.1292:
	s_cmp_eq_u32 s0, 46
	s_mov_b32 s16, 0
	s_cbranch_scc0 .LBB206_1301
; %bb.1293:
	global_load_b32 v7, v[2:3], off
	s_mov_b32 s2, 0
	s_mov_b32 s13, -1
	s_branch .LBB206_1303
.LBB206_1294:
	s_mov_b32 s13, 0
                                        ; implicit-def: $vgpr7
	s_cbranch_execnz .LBB206_1369
.LBB206_1295:
	s_and_not1_b32 vcc_lo, exec_lo, s13
	s_cbranch_vccnz .LBB206_1980
	s_branch .LBB206_1417
.LBB206_1296:
	s_mov_b32 s16, -1
	s_mov_b32 s13, 0
	s_mov_b32 s2, 0
                                        ; implicit-def: $vgpr7
	s_branch .LBB206_1332
.LBB206_1297:
	s_mov_b32 s16, -1
	s_mov_b32 s13, 0
	s_mov_b32 s2, 0
                                        ; implicit-def: $vgpr7
	s_branch .LBB206_1313
.LBB206_1298:
	s_mov_b32 s16, -1
	s_mov_b32 s13, 0
	s_mov_b32 s2, 0
                                        ; implicit-def: $vgpr7
	s_branch .LBB206_1308
.LBB206_1299:
	s_or_b32 s12, s12, exec_lo
	s_trap 2
	s_cbranch_execz .LBB206_1238
	s_branch .LBB206_1239
.LBB206_1300:
	s_mov_b32 s16, -1
	s_mov_b32 s13, 0
	s_mov_b32 s2, 0
	s_branch .LBB206_1302
.LBB206_1301:
	s_mov_b32 s2, -1
	s_mov_b32 s13, 0
.LBB206_1302:
                                        ; implicit-def: $vgpr7
.LBB206_1303:
	s_and_b32 vcc_lo, exec_lo, s16
	s_cbranch_vccz .LBB206_1307
; %bb.1304:
	s_cmp_eq_u32 s0, 44
	s_cbranch_scc0 .LBB206_1306
; %bb.1305:
	global_load_u8 v1, v[2:3], off
	s_mov_b32 s2, 0
	s_mov_b32 s13, -1
	s_wait_loadcnt 0x0
	v_lshlrev_b32_e32 v7, 23, v1
	v_cmp_ne_u32_e32 vcc_lo, 0xff, v1
	s_delay_alu instid0(VALU_DEP_2) | instskip(SKIP_1) | instid1(VALU_DEP_2)
	v_cndmask_b32_e32 v7, 0x7f800001, v7, vcc_lo
	v_cmp_ne_u32_e32 vcc_lo, 0, v1
	v_cndmask_b32_e32 v1, 0x400000, v7, vcc_lo
	s_delay_alu instid0(VALU_DEP_1) | instskip(SKIP_1) | instid1(VALU_DEP_2)
	v_add_nc_u32_e32 v7, 0x7fff, v1
	v_cmp_o_f32_e32 vcc_lo, v1, v1
	v_lshrrev_b32_e32 v7, 16, v7
	s_delay_alu instid0(VALU_DEP_1)
	v_cndmask_b32_e32 v7, 0x7fc0, v7, vcc_lo
	s_branch .LBB206_1307
.LBB206_1306:
	s_mov_b32 s2, -1
                                        ; implicit-def: $vgpr7
.LBB206_1307:
	s_mov_b32 s16, 0
.LBB206_1308:
	s_delay_alu instid0(SALU_CYCLE_1)
	s_and_b32 vcc_lo, exec_lo, s16
	s_cbranch_vccz .LBB206_1312
; %bb.1309:
	s_cmp_eq_u32 s0, 29
	s_cbranch_scc0 .LBB206_1311
; %bb.1310:
	global_load_b64 v[8:9], v[2:3], off
	s_mov_b32 s2, 0
	s_mov_b32 s13, -1
	s_mov_b32 s16, 0
	s_wait_loadcnt 0x0
	v_clz_i32_u32_e32 v1, v9
	s_delay_alu instid0(VALU_DEP_1) | instskip(NEXT) | instid1(VALU_DEP_1)
	v_min_u32_e32 v1, 32, v1
	v_lshlrev_b64_e32 v[8:9], v1, v[8:9]
	v_sub_nc_u32_e32 v1, 32, v1
	s_delay_alu instid0(VALU_DEP_2) | instskip(NEXT) | instid1(VALU_DEP_1)
	v_min_u32_e32 v7, 1, v8
	v_or_b32_e32 v7, v9, v7
	s_delay_alu instid0(VALU_DEP_1) | instskip(NEXT) | instid1(VALU_DEP_1)
	v_cvt_f32_u32_e32 v7, v7
	v_ldexp_f32 v1, v7, v1
	s_delay_alu instid0(VALU_DEP_1) | instskip(NEXT) | instid1(VALU_DEP_1)
	v_bfe_u32 v7, v1, 16, 1
	v_add3_u32 v1, v1, v7, 0x7fff
	s_delay_alu instid0(VALU_DEP_1)
	v_lshrrev_b32_e32 v7, 16, v1
	s_branch .LBB206_1313
.LBB206_1311:
	s_mov_b32 s2, -1
                                        ; implicit-def: $vgpr7
.LBB206_1312:
	s_mov_b32 s16, 0
.LBB206_1313:
	s_delay_alu instid0(SALU_CYCLE_1)
	s_and_b32 vcc_lo, exec_lo, s16
	s_cbranch_vccz .LBB206_1331
; %bb.1314:
	s_cmp_lt_i32 s0, 27
	s_cbranch_scc1 .LBB206_1317
; %bb.1315:
	s_cmp_gt_i32 s0, 27
	s_cbranch_scc0 .LBB206_1318
; %bb.1316:
	global_load_b32 v1, v[2:3], off
	s_mov_b32 s13, 0
	s_wait_loadcnt 0x0
	v_cvt_f32_u32_e32 v1, v1
	s_delay_alu instid0(VALU_DEP_1) | instskip(NEXT) | instid1(VALU_DEP_1)
	v_bfe_u32 v7, v1, 16, 1
	v_add3_u32 v1, v1, v7, 0x7fff
	s_delay_alu instid0(VALU_DEP_1)
	v_lshrrev_b32_e32 v7, 16, v1
	s_branch .LBB206_1319
.LBB206_1317:
	s_mov_b32 s13, -1
                                        ; implicit-def: $vgpr7
	s_branch .LBB206_1322
.LBB206_1318:
	s_mov_b32 s13, -1
                                        ; implicit-def: $vgpr7
.LBB206_1319:
	s_delay_alu instid0(SALU_CYCLE_1)
	s_and_not1_b32 vcc_lo, exec_lo, s13
	s_cbranch_vccnz .LBB206_1321
; %bb.1320:
	global_load_u16 v1, v[2:3], off
	s_wait_loadcnt 0x0
	v_cvt_f32_u32_e32 v1, v1
	s_delay_alu instid0(VALU_DEP_1) | instskip(NEXT) | instid1(VALU_DEP_1)
	v_bfe_u32 v7, v1, 16, 1
	v_add3_u32 v1, v1, v7, 0x7fff
	s_delay_alu instid0(VALU_DEP_1)
	v_lshrrev_b32_e32 v7, 16, v1
.LBB206_1321:
	s_mov_b32 s13, 0
.LBB206_1322:
	s_delay_alu instid0(SALU_CYCLE_1)
	s_and_not1_b32 vcc_lo, exec_lo, s13
	s_cbranch_vccnz .LBB206_1330
; %bb.1323:
	global_load_u8 v1, v[2:3], off
	s_mov_b32 s13, 0
	s_mov_b32 s16, exec_lo
	s_wait_loadcnt 0x0
	v_cmpx_lt_i16_e32 0x7f, v1
	s_xor_b32 s16, exec_lo, s16
	s_cbranch_execz .LBB206_1344
; %bb.1324:
	s_mov_b32 s13, -1
	s_mov_b32 s17, exec_lo
	v_cmpx_eq_u16_e32 0x80, v1
; %bb.1325:
	s_xor_b32 s13, exec_lo, -1
; %bb.1326:
	s_or_b32 exec_lo, exec_lo, s17
	s_delay_alu instid0(SALU_CYCLE_1)
	s_and_b32 s13, s13, exec_lo
	s_or_saveexec_b32 s16, s16
	v_mov_b32_e32 v7, 0x7f800001
	s_xor_b32 exec_lo, exec_lo, s16
	s_cbranch_execnz .LBB206_1345
.LBB206_1327:
	s_or_b32 exec_lo, exec_lo, s16
	s_and_saveexec_b32 s16, s13
	s_cbranch_execz .LBB206_1329
.LBB206_1328:
	v_and_b32_e32 v7, 0xffff, v1
	s_delay_alu instid0(VALU_DEP_1) | instskip(SKIP_1) | instid1(VALU_DEP_2)
	v_and_b32_e32 v8, 7, v7
	v_bfe_u32 v11, v7, 3, 4
	v_clz_i32_u32_e32 v9, v8
	s_delay_alu instid0(VALU_DEP_2) | instskip(NEXT) | instid1(VALU_DEP_2)
	v_cmp_eq_u32_e32 vcc_lo, 0, v11
	v_min_u32_e32 v9, 32, v9
	s_delay_alu instid0(VALU_DEP_1) | instskip(NEXT) | instid1(VALU_DEP_1)
	v_subrev_nc_u32_e32 v10, 28, v9
	v_dual_lshlrev_b32 v7, v10, v7 :: v_dual_sub_nc_u32 v9, 29, v9
	s_delay_alu instid0(VALU_DEP_1) | instskip(NEXT) | instid1(VALU_DEP_1)
	v_dual_lshlrev_b32 v1, 24, v1 :: v_dual_bitop2_b32 v7, 7, v7 bitop3:0x40
	v_dual_cndmask_b32 v7, v8, v7, vcc_lo :: v_dual_cndmask_b32 v9, v11, v9, vcc_lo
	s_delay_alu instid0(VALU_DEP_2) | instskip(NEXT) | instid1(VALU_DEP_2)
	v_and_b32_e32 v1, 0x80000000, v1
	v_lshlrev_b32_e32 v7, 20, v7
	s_delay_alu instid0(VALU_DEP_3) | instskip(NEXT) | instid1(VALU_DEP_1)
	v_lshl_add_u32 v8, v9, 23, 0x3b800000
	v_or3_b32 v7, v1, v8, v7
.LBB206_1329:
	s_or_b32 exec_lo, exec_lo, s16
	s_delay_alu instid0(VALU_DEP_1) | instskip(SKIP_1) | instid1(VALU_DEP_2)
	v_bfe_u32 v1, v7, 16, 1
	v_cmp_o_f32_e32 vcc_lo, v7, v7
	v_add3_u32 v1, v7, v1, 0x7fff
	s_delay_alu instid0(VALU_DEP_1) | instskip(NEXT) | instid1(VALU_DEP_1)
	v_lshrrev_b32_e32 v1, 16, v1
	v_cndmask_b32_e32 v7, 0x7fc0, v1, vcc_lo
.LBB206_1330:
	s_mov_b32 s13, -1
.LBB206_1331:
	s_mov_b32 s16, 0
.LBB206_1332:
	s_delay_alu instid0(SALU_CYCLE_1)
	s_and_b32 vcc_lo, exec_lo, s16
	s_cbranch_vccz .LBB206_1365
; %bb.1333:
	s_cmp_gt_i32 s0, 22
	s_cbranch_scc0 .LBB206_1343
; %bb.1334:
	s_cmp_lt_i32 s0, 24
	s_cbranch_scc1 .LBB206_1346
; %bb.1335:
	s_cmp_gt_i32 s0, 24
	s_cbranch_scc0 .LBB206_1347
; %bb.1336:
	global_load_u8 v1, v[2:3], off
	s_mov_b32 s13, exec_lo
	s_wait_loadcnt 0x0
	v_cmpx_lt_i16_e32 0x7f, v1
	s_xor_b32 s13, exec_lo, s13
	s_cbranch_execz .LBB206_1359
; %bb.1337:
	s_mov_b32 s9, -1
	s_mov_b32 s16, exec_lo
	v_cmpx_eq_u16_e32 0x80, v1
; %bb.1338:
	s_xor_b32 s9, exec_lo, -1
; %bb.1339:
	s_or_b32 exec_lo, exec_lo, s16
	s_delay_alu instid0(SALU_CYCLE_1)
	s_and_b32 s9, s9, exec_lo
	s_or_saveexec_b32 s13, s13
	v_mov_b32_e32 v7, 0x7f800001
	s_xor_b32 exec_lo, exec_lo, s13
	s_cbranch_execnz .LBB206_1360
.LBB206_1340:
	s_or_b32 exec_lo, exec_lo, s13
	s_and_saveexec_b32 s13, s9
	s_cbranch_execz .LBB206_1342
.LBB206_1341:
	v_and_b32_e32 v7, 0xffff, v1
	s_delay_alu instid0(VALU_DEP_1) | instskip(SKIP_1) | instid1(VALU_DEP_2)
	v_and_b32_e32 v8, 3, v7
	v_bfe_u32 v11, v7, 2, 5
	v_clz_i32_u32_e32 v9, v8
	s_delay_alu instid0(VALU_DEP_2) | instskip(NEXT) | instid1(VALU_DEP_2)
	v_cmp_eq_u32_e32 vcc_lo, 0, v11
	v_min_u32_e32 v9, 32, v9
	s_delay_alu instid0(VALU_DEP_1) | instskip(NEXT) | instid1(VALU_DEP_1)
	v_subrev_nc_u32_e32 v10, 29, v9
	v_dual_lshlrev_b32 v7, v10, v7 :: v_dual_sub_nc_u32 v9, 30, v9
	s_delay_alu instid0(VALU_DEP_1) | instskip(NEXT) | instid1(VALU_DEP_1)
	v_dual_lshlrev_b32 v1, 24, v1 :: v_dual_bitop2_b32 v7, 3, v7 bitop3:0x40
	v_dual_cndmask_b32 v7, v8, v7, vcc_lo :: v_dual_cndmask_b32 v9, v11, v9, vcc_lo
	s_delay_alu instid0(VALU_DEP_2) | instskip(NEXT) | instid1(VALU_DEP_2)
	v_and_b32_e32 v1, 0x80000000, v1
	v_lshlrev_b32_e32 v7, 21, v7
	s_delay_alu instid0(VALU_DEP_3) | instskip(NEXT) | instid1(VALU_DEP_1)
	v_lshl_add_u32 v8, v9, 23, 0x37800000
	v_or3_b32 v7, v1, v8, v7
.LBB206_1342:
	s_or_b32 exec_lo, exec_lo, s13
	s_delay_alu instid0(VALU_DEP_1) | instskip(SKIP_2) | instid1(VALU_DEP_2)
	v_bfe_u32 v1, v7, 16, 1
	v_cmp_o_f32_e32 vcc_lo, v7, v7
	s_mov_b32 s9, 0
	v_add3_u32 v1, v7, v1, 0x7fff
	s_delay_alu instid0(VALU_DEP_1) | instskip(NEXT) | instid1(VALU_DEP_1)
	v_lshrrev_b32_e32 v1, 16, v1
	v_cndmask_b32_e32 v7, 0x7fc0, v1, vcc_lo
	s_branch .LBB206_1348
.LBB206_1343:
	s_mov_b32 s9, -1
                                        ; implicit-def: $vgpr7
	s_branch .LBB206_1354
.LBB206_1344:
	s_or_saveexec_b32 s16, s16
	v_mov_b32_e32 v7, 0x7f800001
	s_xor_b32 exec_lo, exec_lo, s16
	s_cbranch_execz .LBB206_1327
.LBB206_1345:
	v_cmp_ne_u16_e32 vcc_lo, 0, v1
	v_mov_b32_e32 v7, 0
	s_and_not1_b32 s13, s13, exec_lo
	s_and_b32 s17, vcc_lo, exec_lo
	s_delay_alu instid0(SALU_CYCLE_1)
	s_or_b32 s13, s13, s17
	s_or_b32 exec_lo, exec_lo, s16
	s_and_saveexec_b32 s16, s13
	s_cbranch_execnz .LBB206_1328
	s_branch .LBB206_1329
.LBB206_1346:
	s_mov_b32 s9, -1
                                        ; implicit-def: $vgpr7
	s_branch .LBB206_1351
.LBB206_1347:
	s_mov_b32 s9, -1
                                        ; implicit-def: $vgpr7
.LBB206_1348:
	s_delay_alu instid0(SALU_CYCLE_1)
	s_and_b32 vcc_lo, exec_lo, s9
	s_cbranch_vccz .LBB206_1350
; %bb.1349:
	global_load_u8 v1, v[2:3], off
	s_wait_loadcnt 0x0
	v_lshlrev_b32_e32 v1, 24, v1
	s_delay_alu instid0(VALU_DEP_1) | instskip(NEXT) | instid1(VALU_DEP_1)
	v_and_b32_e32 v7, 0x7f000000, v1
	v_clz_i32_u32_e32 v8, v7
	v_cmp_ne_u32_e32 vcc_lo, 0, v7
	v_add_nc_u32_e32 v10, 0x1000000, v7
	s_delay_alu instid0(VALU_DEP_3) | instskip(NEXT) | instid1(VALU_DEP_1)
	v_min_u32_e32 v8, 32, v8
	v_sub_nc_u32_e64 v8, v8, 4 clamp
	s_delay_alu instid0(VALU_DEP_1) | instskip(NEXT) | instid1(VALU_DEP_1)
	v_dual_lshlrev_b32 v9, v8, v7 :: v_dual_lshlrev_b32 v8, 23, v8
	v_lshrrev_b32_e32 v9, 4, v9
	s_delay_alu instid0(VALU_DEP_1) | instskip(NEXT) | instid1(VALU_DEP_1)
	v_dual_sub_nc_u32 v8, v9, v8 :: v_dual_ashrrev_i32 v9, 8, v10
	v_add_nc_u32_e32 v8, 0x3c000000, v8
	s_delay_alu instid0(VALU_DEP_1) | instskip(NEXT) | instid1(VALU_DEP_1)
	v_and_or_b32 v8, 0x7f800000, v9, v8
	v_cndmask_b32_e32 v7, 0, v8, vcc_lo
	s_delay_alu instid0(VALU_DEP_1) | instskip(SKIP_1) | instid1(VALU_DEP_2)
	v_and_or_b32 v1, 0x80000000, v1, v7
	v_bfe_u32 v7, v7, 16, 1
	v_cmp_o_f32_e32 vcc_lo, v1, v1
	s_delay_alu instid0(VALU_DEP_2) | instskip(NEXT) | instid1(VALU_DEP_1)
	v_add3_u32 v7, v1, v7, 0x7fff
	v_lshrrev_b32_e32 v7, 16, v7
	s_delay_alu instid0(VALU_DEP_1)
	v_cndmask_b32_e32 v7, 0x7fc0, v7, vcc_lo
.LBB206_1350:
	s_mov_b32 s9, 0
.LBB206_1351:
	s_delay_alu instid0(SALU_CYCLE_1)
	s_and_not1_b32 vcc_lo, exec_lo, s9
	s_cbranch_vccnz .LBB206_1353
; %bb.1352:
	global_load_u8 v1, v[2:3], off
	s_wait_loadcnt 0x0
	v_lshlrev_b32_e32 v7, 25, v1
	v_lshlrev_b16 v1, 8, v1
	s_delay_alu instid0(VALU_DEP_1) | instskip(NEXT) | instid1(VALU_DEP_3)
	v_and_or_b32 v9, 0x7f00, v1, 0.5
	v_lshrrev_b32_e32 v8, 4, v7
	v_bfe_i32 v1, v1, 0, 16
	s_delay_alu instid0(VALU_DEP_3) | instskip(NEXT) | instid1(VALU_DEP_3)
	v_add_f32_e32 v9, -0.5, v9
	v_or_b32_e32 v8, 0x70000000, v8
	s_delay_alu instid0(VALU_DEP_1) | instskip(SKIP_1) | instid1(VALU_DEP_2)
	v_mul_f32_e32 v8, 0x7800000, v8
	v_cmp_gt_u32_e32 vcc_lo, 0x8000000, v7
	v_cndmask_b32_e32 v7, v8, v9, vcc_lo
	s_delay_alu instid0(VALU_DEP_1) | instskip(SKIP_1) | instid1(VALU_DEP_2)
	v_and_or_b32 v1, 0x80000000, v1, v7
	v_bfe_u32 v7, v7, 16, 1
	v_cmp_o_f32_e32 vcc_lo, v1, v1
	s_delay_alu instid0(VALU_DEP_2) | instskip(NEXT) | instid1(VALU_DEP_1)
	v_add3_u32 v7, v1, v7, 0x7fff
	v_lshrrev_b32_e32 v7, 16, v7
	s_delay_alu instid0(VALU_DEP_1)
	v_cndmask_b32_e32 v7, 0x7fc0, v7, vcc_lo
.LBB206_1353:
	s_mov_b32 s9, 0
	s_mov_b32 s13, -1
.LBB206_1354:
	s_and_not1_b32 vcc_lo, exec_lo, s9
	s_mov_b32 s9, 0
	s_cbranch_vccnz .LBB206_1365
; %bb.1355:
	s_cmp_gt_i32 s0, 14
	s_cbranch_scc0 .LBB206_1358
; %bb.1356:
	s_cmp_eq_u32 s0, 15
	s_cbranch_scc0 .LBB206_1361
; %bb.1357:
	s_wait_loadcnt 0x0
	global_load_u16 v7, v[2:3], off
	s_mov_b32 s2, 0
	s_mov_b32 s13, -1
	s_branch .LBB206_1363
.LBB206_1358:
	s_mov_b32 s9, -1
	s_branch .LBB206_1362
.LBB206_1359:
	s_or_saveexec_b32 s13, s13
	v_mov_b32_e32 v7, 0x7f800001
	s_xor_b32 exec_lo, exec_lo, s13
	s_cbranch_execz .LBB206_1340
.LBB206_1360:
	v_cmp_ne_u16_e32 vcc_lo, 0, v1
	v_mov_b32_e32 v7, 0
	s_and_not1_b32 s9, s9, exec_lo
	s_and_b32 s16, vcc_lo, exec_lo
	s_delay_alu instid0(SALU_CYCLE_1)
	s_or_b32 s9, s9, s16
	s_or_b32 exec_lo, exec_lo, s13
	s_and_saveexec_b32 s13, s9
	s_cbranch_execnz .LBB206_1341
	s_branch .LBB206_1342
.LBB206_1361:
	s_mov_b32 s2, -1
.LBB206_1362:
                                        ; implicit-def: $vgpr7
.LBB206_1363:
	s_and_b32 vcc_lo, exec_lo, s9
	s_mov_b32 s9, 0
	s_cbranch_vccz .LBB206_1365
; %bb.1364:
	s_cmp_lg_u32 s0, 11
	s_mov_b32 s9, -1
	s_cselect_b32 s2, -1, 0
.LBB206_1365:
	s_delay_alu instid0(SALU_CYCLE_1)
	s_and_b32 vcc_lo, exec_lo, s2
	s_cbranch_vccnz .LBB206_1428
; %bb.1366:
	s_and_not1_b32 vcc_lo, exec_lo, s9
	s_cbranch_vccnz .LBB206_1368
.LBB206_1367:
	global_load_u8 v1, v[2:3], off
	s_mov_b32 s13, -1
	s_wait_loadcnt 0x0
	v_cmp_ne_u16_e32 vcc_lo, 0, v1
	v_cndmask_b32_e64 v1, 0, 1.0, vcc_lo
	s_delay_alu instid0(VALU_DEP_1)
	v_lshrrev_b32_e32 v7, 16, v1
.LBB206_1368:
	s_branch .LBB206_1295
.LBB206_1369:
	s_cmp_lt_i32 s0, 5
	s_cbranch_scc1 .LBB206_1374
; %bb.1370:
	s_cmp_lt_i32 s0, 8
	s_cbranch_scc1 .LBB206_1375
; %bb.1371:
	;; [unrolled: 3-line block ×3, first 2 shown]
	s_cmp_gt_i32 s0, 9
	s_cbranch_scc0 .LBB206_1377
; %bb.1373:
	global_load_b64 v[8:9], v[2:3], off
	s_mov_b32 s2, 0
	s_wait_loadcnt 0x0
	v_cvt_f32_f64_e32 v1, v[8:9]
	s_delay_alu instid0(VALU_DEP_1) | instskip(SKIP_1) | instid1(VALU_DEP_2)
	v_bfe_u32 v7, v1, 16, 1
	v_cmp_o_f32_e32 vcc_lo, v1, v1
	v_add3_u32 v7, v1, v7, 0x7fff
	s_delay_alu instid0(VALU_DEP_1) | instskip(NEXT) | instid1(VALU_DEP_1)
	v_lshrrev_b32_e32 v7, 16, v7
	v_cndmask_b32_e32 v7, 0x7fc0, v7, vcc_lo
	s_branch .LBB206_1378
.LBB206_1374:
	s_mov_b32 s2, -1
                                        ; implicit-def: $vgpr7
	s_branch .LBB206_1396
.LBB206_1375:
	s_mov_b32 s2, -1
                                        ; implicit-def: $vgpr7
	s_branch .LBB206_1384
.LBB206_1376:
	s_mov_b32 s2, -1
                                        ; implicit-def: $vgpr7
	s_branch .LBB206_1381
.LBB206_1377:
	s_mov_b32 s2, -1
                                        ; implicit-def: $vgpr7
.LBB206_1378:
	s_delay_alu instid0(SALU_CYCLE_1)
	s_and_not1_b32 vcc_lo, exec_lo, s2
	s_cbranch_vccnz .LBB206_1380
; %bb.1379:
	global_load_b32 v1, v[2:3], off
	s_wait_loadcnt 0x0
	v_bfe_u32 v7, v1, 16, 1
	v_cmp_o_f32_e32 vcc_lo, v1, v1
	s_delay_alu instid0(VALU_DEP_2) | instskip(NEXT) | instid1(VALU_DEP_1)
	v_add3_u32 v7, v1, v7, 0x7fff
	v_lshrrev_b32_e32 v7, 16, v7
	s_delay_alu instid0(VALU_DEP_1)
	v_cndmask_b32_e32 v7, 0x7fc0, v7, vcc_lo
.LBB206_1380:
	s_mov_b32 s2, 0
.LBB206_1381:
	s_delay_alu instid0(SALU_CYCLE_1)
	s_and_not1_b32 vcc_lo, exec_lo, s2
	s_cbranch_vccnz .LBB206_1383
; %bb.1382:
	global_load_b32 v1, v[2:3], off
	s_wait_loadcnt 0x0
	v_cvt_f32_f16_e32 v7, v1
	v_cmp_o_f16_e32 vcc_lo, v1, v1
	s_delay_alu instid0(VALU_DEP_2) | instskip(NEXT) | instid1(VALU_DEP_1)
	v_bfe_u32 v8, v7, 16, 1
	v_add3_u32 v7, v7, v8, 0x7fff
	s_delay_alu instid0(VALU_DEP_1) | instskip(NEXT) | instid1(VALU_DEP_1)
	v_lshrrev_b32_e32 v7, 16, v7
	v_cndmask_b32_e32 v7, 0x7fc0, v7, vcc_lo
.LBB206_1383:
	s_mov_b32 s2, 0
.LBB206_1384:
	s_delay_alu instid0(SALU_CYCLE_1)
	s_and_not1_b32 vcc_lo, exec_lo, s2
	s_cbranch_vccnz .LBB206_1395
; %bb.1385:
	s_cmp_lt_i32 s0, 6
	s_cbranch_scc1 .LBB206_1388
; %bb.1386:
	s_cmp_gt_i32 s0, 6
	s_cbranch_scc0 .LBB206_1389
; %bb.1387:
	global_load_b64 v[8:9], v[2:3], off
	s_mov_b32 s2, 0
	s_wait_loadcnt 0x0
	v_cvt_f32_f64_e32 v1, v[8:9]
	s_delay_alu instid0(VALU_DEP_1) | instskip(SKIP_1) | instid1(VALU_DEP_2)
	v_bfe_u32 v7, v1, 16, 1
	v_cmp_o_f32_e32 vcc_lo, v1, v1
	v_add3_u32 v7, v1, v7, 0x7fff
	s_delay_alu instid0(VALU_DEP_1) | instskip(NEXT) | instid1(VALU_DEP_1)
	v_lshrrev_b32_e32 v7, 16, v7
	v_cndmask_b32_e32 v7, 0x7fc0, v7, vcc_lo
	s_branch .LBB206_1390
.LBB206_1388:
	s_mov_b32 s2, -1
                                        ; implicit-def: $vgpr7
	s_branch .LBB206_1393
.LBB206_1389:
	s_mov_b32 s2, -1
                                        ; implicit-def: $vgpr7
.LBB206_1390:
	s_delay_alu instid0(SALU_CYCLE_1)
	s_and_not1_b32 vcc_lo, exec_lo, s2
	s_cbranch_vccnz .LBB206_1392
; %bb.1391:
	global_load_b32 v1, v[2:3], off
	s_wait_loadcnt 0x0
	v_bfe_u32 v7, v1, 16, 1
	v_cmp_o_f32_e32 vcc_lo, v1, v1
	s_delay_alu instid0(VALU_DEP_2) | instskip(NEXT) | instid1(VALU_DEP_1)
	v_add3_u32 v7, v1, v7, 0x7fff
	v_lshrrev_b32_e32 v7, 16, v7
	s_delay_alu instid0(VALU_DEP_1)
	v_cndmask_b32_e32 v7, 0x7fc0, v7, vcc_lo
.LBB206_1392:
	s_mov_b32 s2, 0
.LBB206_1393:
	s_delay_alu instid0(SALU_CYCLE_1)
	s_and_not1_b32 vcc_lo, exec_lo, s2
	s_cbranch_vccnz .LBB206_1395
; %bb.1394:
	global_load_u16 v1, v[2:3], off
	s_wait_loadcnt 0x0
	v_cvt_f32_f16_e32 v7, v1
	v_cmp_o_f16_e32 vcc_lo, v1, v1
	s_delay_alu instid0(VALU_DEP_2) | instskip(NEXT) | instid1(VALU_DEP_1)
	v_bfe_u32 v8, v7, 16, 1
	v_add3_u32 v7, v7, v8, 0x7fff
	s_delay_alu instid0(VALU_DEP_1) | instskip(NEXT) | instid1(VALU_DEP_1)
	v_lshrrev_b32_e32 v7, 16, v7
	v_cndmask_b32_e32 v7, 0x7fc0, v7, vcc_lo
.LBB206_1395:
	s_mov_b32 s2, 0
.LBB206_1396:
	s_delay_alu instid0(SALU_CYCLE_1)
	s_and_not1_b32 vcc_lo, exec_lo, s2
	s_cbranch_vccnz .LBB206_1416
; %bb.1397:
	s_cmp_lt_i32 s0, 2
	s_cbranch_scc1 .LBB206_1401
; %bb.1398:
	s_cmp_lt_i32 s0, 3
	s_cbranch_scc1 .LBB206_1402
; %bb.1399:
	s_cmp_gt_i32 s0, 3
	s_cbranch_scc0 .LBB206_1403
; %bb.1400:
	global_load_b64 v[8:9], v[2:3], off
	s_mov_b32 s2, 0
	s_wait_loadcnt 0x0
	v_xor_b32_e32 v1, v8, v9
	v_cls_i32_e32 v7, v9
	s_delay_alu instid0(VALU_DEP_2) | instskip(NEXT) | instid1(VALU_DEP_1)
	v_ashrrev_i32_e32 v1, 31, v1
	v_add_nc_u32_e32 v1, 32, v1
	s_delay_alu instid0(VALU_DEP_1) | instskip(NEXT) | instid1(VALU_DEP_1)
	v_add_min_u32_e64 v1, v7, -1, v1
	v_lshlrev_b64_e32 v[8:9], v1, v[8:9]
	v_sub_nc_u32_e32 v1, 32, v1
	s_delay_alu instid0(VALU_DEP_2) | instskip(NEXT) | instid1(VALU_DEP_1)
	v_min_u32_e32 v7, 1, v8
	v_or_b32_e32 v7, v9, v7
	s_delay_alu instid0(VALU_DEP_1) | instskip(NEXT) | instid1(VALU_DEP_1)
	v_cvt_f32_i32_e32 v7, v7
	v_ldexp_f32 v1, v7, v1
	s_delay_alu instid0(VALU_DEP_1) | instskip(NEXT) | instid1(VALU_DEP_1)
	v_bfe_u32 v7, v1, 16, 1
	v_add3_u32 v1, v1, v7, 0x7fff
	s_delay_alu instid0(VALU_DEP_1)
	v_lshrrev_b32_e32 v7, 16, v1
	s_branch .LBB206_1404
.LBB206_1401:
	s_mov_b32 s2, -1
                                        ; implicit-def: $vgpr7
	s_branch .LBB206_1410
.LBB206_1402:
	s_mov_b32 s2, -1
                                        ; implicit-def: $vgpr7
	s_branch .LBB206_1407
.LBB206_1403:
	s_mov_b32 s2, -1
                                        ; implicit-def: $vgpr7
.LBB206_1404:
	s_delay_alu instid0(SALU_CYCLE_1)
	s_and_not1_b32 vcc_lo, exec_lo, s2
	s_cbranch_vccnz .LBB206_1406
; %bb.1405:
	global_load_b32 v1, v[2:3], off
	s_wait_loadcnt 0x0
	v_cvt_f32_i32_e32 v1, v1
	s_delay_alu instid0(VALU_DEP_1) | instskip(NEXT) | instid1(VALU_DEP_1)
	v_bfe_u32 v7, v1, 16, 1
	v_add3_u32 v1, v1, v7, 0x7fff
	s_delay_alu instid0(VALU_DEP_1)
	v_lshrrev_b32_e32 v7, 16, v1
.LBB206_1406:
	s_mov_b32 s2, 0
.LBB206_1407:
	s_delay_alu instid0(SALU_CYCLE_1)
	s_and_not1_b32 vcc_lo, exec_lo, s2
	s_cbranch_vccnz .LBB206_1409
; %bb.1408:
	global_load_i16 v1, v[2:3], off
	s_wait_loadcnt 0x0
	v_cvt_f32_i32_e32 v1, v1
	s_delay_alu instid0(VALU_DEP_1) | instskip(NEXT) | instid1(VALU_DEP_1)
	v_bfe_u32 v7, v1, 16, 1
	v_add3_u32 v1, v1, v7, 0x7fff
	s_delay_alu instid0(VALU_DEP_1)
	v_lshrrev_b32_e32 v7, 16, v1
.LBB206_1409:
	s_mov_b32 s2, 0
.LBB206_1410:
	s_delay_alu instid0(SALU_CYCLE_1)
	s_and_not1_b32 vcc_lo, exec_lo, s2
	s_cbranch_vccnz .LBB206_1416
; %bb.1411:
	s_cmp_gt_i32 s0, 0
	s_mov_b32 s2, 0
	s_cbranch_scc0 .LBB206_1413
; %bb.1412:
	global_load_i8 v1, v[2:3], off
	s_wait_loadcnt 0x0
	v_cvt_f32_i32_e32 v1, v1
	s_delay_alu instid0(VALU_DEP_1) | instskip(NEXT) | instid1(VALU_DEP_1)
	v_bfe_u32 v7, v1, 16, 1
	v_add3_u32 v1, v1, v7, 0x7fff
	s_delay_alu instid0(VALU_DEP_1)
	v_lshrrev_b32_e32 v7, 16, v1
	s_branch .LBB206_1414
.LBB206_1413:
	s_mov_b32 s2, -1
                                        ; implicit-def: $vgpr7
.LBB206_1414:
	s_delay_alu instid0(SALU_CYCLE_1)
	s_and_not1_b32 vcc_lo, exec_lo, s2
	s_cbranch_vccnz .LBB206_1416
; %bb.1415:
	global_load_u8 v1, v[2:3], off
	s_wait_loadcnt 0x0
	v_cvt_f32_ubyte0_e32 v1, v1
	s_wait_xcnt 0x0
	s_delay_alu instid0(VALU_DEP_1) | instskip(NEXT) | instid1(VALU_DEP_1)
	v_bfe_u32 v2, v1, 16, 1
	v_add3_u32 v1, v1, v2, 0x7fff
	s_delay_alu instid0(VALU_DEP_1)
	v_lshrrev_b32_e32 v7, 16, v1
.LBB206_1416:
.LBB206_1417:
	v_add_nc_u32_e32 v0, s1, v0
	s_cmp_lt_i32 s0, 11
	s_delay_alu instid0(VALU_DEP_1) | instskip(NEXT) | instid1(VALU_DEP_1)
	v_ashrrev_i32_e32 v1, 31, v0
	v_add_nc_u64_e32 v[0:1], s[6:7], v[0:1]
	s_cbranch_scc1 .LBB206_1424
; %bb.1418:
	s_cmp_gt_i32 s0, 25
	s_mov_b32 s2, 0
	s_cbranch_scc0 .LBB206_1425
; %bb.1419:
	s_cmp_gt_i32 s0, 28
	s_cbranch_scc0 .LBB206_1426
; %bb.1420:
	s_cmp_gt_i32 s0, 43
	;; [unrolled: 3-line block ×3, first 2 shown]
	s_cbranch_scc0 .LBB206_1429
; %bb.1422:
	s_cmp_eq_u32 s0, 46
	s_mov_b32 s7, 0
	s_cbranch_scc0 .LBB206_1430
; %bb.1423:
	global_load_b32 v8, v[0:1], off
	s_mov_b32 s1, 0
	s_mov_b32 s6, -1
	s_branch .LBB206_1432
.LBB206_1424:
	s_mov_b32 s1, -1
	s_mov_b32 s6, 0
                                        ; implicit-def: $vgpr8
	s_branch .LBB206_1498
.LBB206_1425:
	s_mov_b32 s7, -1
	s_mov_b32 s6, 0
	s_mov_b32 s1, 0
                                        ; implicit-def: $vgpr8
	s_branch .LBB206_1461
.LBB206_1426:
	s_mov_b32 s7, -1
	s_mov_b32 s6, 0
	s_mov_b32 s1, 0
                                        ; implicit-def: $vgpr8
	s_branch .LBB206_1442
.LBB206_1427:
	s_mov_b32 s7, -1
	s_mov_b32 s6, 0
	s_mov_b32 s1, 0
                                        ; implicit-def: $vgpr8
	s_branch .LBB206_1437
.LBB206_1428:
	s_or_b32 s12, s12, exec_lo
	s_trap 2
	s_cbranch_execz .LBB206_1367
	s_branch .LBB206_1368
.LBB206_1429:
	s_mov_b32 s7, -1
	s_mov_b32 s6, 0
	s_mov_b32 s1, 0
	s_branch .LBB206_1431
.LBB206_1430:
	s_mov_b32 s1, -1
	s_mov_b32 s6, 0
.LBB206_1431:
                                        ; implicit-def: $vgpr8
.LBB206_1432:
	s_and_b32 vcc_lo, exec_lo, s7
	s_cbranch_vccz .LBB206_1436
; %bb.1433:
	s_cmp_eq_u32 s0, 44
	s_cbranch_scc0 .LBB206_1435
; %bb.1434:
	global_load_u8 v2, v[0:1], off
	s_mov_b32 s1, 0
	s_mov_b32 s6, -1
	s_wait_loadcnt 0x0
	v_lshlrev_b32_e32 v3, 23, v2
	v_cmp_ne_u32_e32 vcc_lo, 0xff, v2
	s_delay_alu instid0(VALU_DEP_2) | instskip(SKIP_1) | instid1(VALU_DEP_2)
	v_cndmask_b32_e32 v3, 0x7f800001, v3, vcc_lo
	v_cmp_ne_u32_e32 vcc_lo, 0, v2
	v_cndmask_b32_e32 v2, 0x400000, v3, vcc_lo
	s_delay_alu instid0(VALU_DEP_1) | instskip(NEXT) | instid1(VALU_DEP_1)
	v_add_nc_u32_e32 v3, 0x7fff, v2
	v_lshrrev_b32_e32 v3, 16, v3
	v_cmp_o_f32_e32 vcc_lo, v2, v2
	s_delay_alu instid0(VALU_DEP_2)
	v_cndmask_b32_e32 v8, 0x7fc0, v3, vcc_lo
	s_branch .LBB206_1436
.LBB206_1435:
	s_mov_b32 s1, -1
                                        ; implicit-def: $vgpr8
.LBB206_1436:
	s_mov_b32 s7, 0
.LBB206_1437:
	s_delay_alu instid0(SALU_CYCLE_1)
	s_and_b32 vcc_lo, exec_lo, s7
	s_cbranch_vccz .LBB206_1441
; %bb.1438:
	s_cmp_eq_u32 s0, 29
	s_cbranch_scc0 .LBB206_1440
; %bb.1439:
	global_load_b64 v[2:3], v[0:1], off
	s_mov_b32 s1, 0
	s_mov_b32 s6, -1
	s_mov_b32 s7, 0
	s_wait_loadcnt 0x0
	v_clz_i32_u32_e32 v8, v3
	s_delay_alu instid0(VALU_DEP_1) | instskip(NEXT) | instid1(VALU_DEP_1)
	v_min_u32_e32 v8, 32, v8
	v_lshlrev_b64_e32 v[2:3], v8, v[2:3]
	s_delay_alu instid0(VALU_DEP_1) | instskip(NEXT) | instid1(VALU_DEP_1)
	v_min_u32_e32 v2, 1, v2
	v_dual_sub_nc_u32 v3, 32, v8 :: v_dual_bitop2_b32 v2, v3, v2 bitop3:0x54
	s_delay_alu instid0(VALU_DEP_1) | instskip(NEXT) | instid1(VALU_DEP_1)
	v_cvt_f32_u32_e32 v2, v2
	v_ldexp_f32 v2, v2, v3
	s_delay_alu instid0(VALU_DEP_1) | instskip(NEXT) | instid1(VALU_DEP_1)
	v_bfe_u32 v3, v2, 16, 1
	v_add3_u32 v2, v2, v3, 0x7fff
	s_delay_alu instid0(VALU_DEP_1)
	v_lshrrev_b32_e32 v8, 16, v2
	s_branch .LBB206_1442
.LBB206_1440:
	s_mov_b32 s1, -1
                                        ; implicit-def: $vgpr8
.LBB206_1441:
	s_mov_b32 s7, 0
.LBB206_1442:
	s_delay_alu instid0(SALU_CYCLE_1)
	s_and_b32 vcc_lo, exec_lo, s7
	s_cbranch_vccz .LBB206_1460
; %bb.1443:
	s_cmp_lt_i32 s0, 27
	s_cbranch_scc1 .LBB206_1446
; %bb.1444:
	s_cmp_gt_i32 s0, 27
	s_cbranch_scc0 .LBB206_1447
; %bb.1445:
	global_load_b32 v2, v[0:1], off
	s_mov_b32 s6, 0
	s_wait_loadcnt 0x0
	v_cvt_f32_u32_e32 v2, v2
	s_delay_alu instid0(VALU_DEP_1) | instskip(NEXT) | instid1(VALU_DEP_1)
	v_bfe_u32 v3, v2, 16, 1
	v_add3_u32 v2, v2, v3, 0x7fff
	s_delay_alu instid0(VALU_DEP_1)
	v_lshrrev_b32_e32 v8, 16, v2
	s_branch .LBB206_1448
.LBB206_1446:
	s_mov_b32 s6, -1
                                        ; implicit-def: $vgpr8
	s_branch .LBB206_1451
.LBB206_1447:
	s_mov_b32 s6, -1
                                        ; implicit-def: $vgpr8
.LBB206_1448:
	s_delay_alu instid0(SALU_CYCLE_1)
	s_and_not1_b32 vcc_lo, exec_lo, s6
	s_cbranch_vccnz .LBB206_1450
; %bb.1449:
	global_load_u16 v2, v[0:1], off
	s_wait_loadcnt 0x0
	v_cvt_f32_u32_e32 v2, v2
	s_delay_alu instid0(VALU_DEP_1) | instskip(NEXT) | instid1(VALU_DEP_1)
	v_bfe_u32 v3, v2, 16, 1
	v_add3_u32 v2, v2, v3, 0x7fff
	s_delay_alu instid0(VALU_DEP_1)
	v_lshrrev_b32_e32 v8, 16, v2
.LBB206_1450:
	s_mov_b32 s6, 0
.LBB206_1451:
	s_delay_alu instid0(SALU_CYCLE_1)
	s_and_not1_b32 vcc_lo, exec_lo, s6
	s_cbranch_vccnz .LBB206_1459
; %bb.1452:
	global_load_u8 v2, v[0:1], off
	s_mov_b32 s6, 0
	s_mov_b32 s7, exec_lo
	s_wait_loadcnt 0x0
	v_cmpx_lt_i16_e32 0x7f, v2
	s_xor_b32 s7, exec_lo, s7
	s_cbranch_execz .LBB206_1473
; %bb.1453:
	s_mov_b32 s6, -1
	s_mov_b32 s9, exec_lo
	v_cmpx_eq_u16_e32 0x80, v2
; %bb.1454:
	s_xor_b32 s6, exec_lo, -1
; %bb.1455:
	s_or_b32 exec_lo, exec_lo, s9
	s_delay_alu instid0(SALU_CYCLE_1)
	s_and_b32 s6, s6, exec_lo
	s_or_saveexec_b32 s7, s7
	v_mov_b32_e32 v3, 0x7f800001
	s_xor_b32 exec_lo, exec_lo, s7
	s_cbranch_execnz .LBB206_1474
.LBB206_1456:
	s_or_b32 exec_lo, exec_lo, s7
	s_and_saveexec_b32 s7, s6
	s_cbranch_execz .LBB206_1458
.LBB206_1457:
	v_and_b32_e32 v3, 0xffff, v2
	s_delay_alu instid0(VALU_DEP_1) | instskip(SKIP_1) | instid1(VALU_DEP_2)
	v_and_b32_e32 v8, 7, v3
	v_bfe_u32 v11, v3, 3, 4
	v_clz_i32_u32_e32 v9, v8
	s_delay_alu instid0(VALU_DEP_2) | instskip(NEXT) | instid1(VALU_DEP_2)
	v_cmp_eq_u32_e32 vcc_lo, 0, v11
	v_min_u32_e32 v9, 32, v9
	s_delay_alu instid0(VALU_DEP_1) | instskip(NEXT) | instid1(VALU_DEP_1)
	v_subrev_nc_u32_e32 v10, 28, v9
	v_dual_lshlrev_b32 v3, v10, v3 :: v_dual_sub_nc_u32 v9, 29, v9
	s_delay_alu instid0(VALU_DEP_1) | instskip(NEXT) | instid1(VALU_DEP_1)
	v_dual_lshlrev_b32 v2, 24, v2 :: v_dual_bitop2_b32 v3, 7, v3 bitop3:0x40
	v_dual_cndmask_b32 v9, v11, v9, vcc_lo :: v_dual_cndmask_b32 v3, v8, v3, vcc_lo
	s_delay_alu instid0(VALU_DEP_2) | instskip(NEXT) | instid1(VALU_DEP_2)
	v_and_b32_e32 v2, 0x80000000, v2
	v_lshl_add_u32 v8, v9, 23, 0x3b800000
	s_delay_alu instid0(VALU_DEP_3) | instskip(NEXT) | instid1(VALU_DEP_1)
	v_lshlrev_b32_e32 v3, 20, v3
	v_or3_b32 v3, v2, v8, v3
.LBB206_1458:
	s_or_b32 exec_lo, exec_lo, s7
	s_delay_alu instid0(VALU_DEP_1) | instskip(SKIP_1) | instid1(VALU_DEP_2)
	v_bfe_u32 v2, v3, 16, 1
	v_cmp_o_f32_e32 vcc_lo, v3, v3
	v_add3_u32 v2, v3, v2, 0x7fff
	s_delay_alu instid0(VALU_DEP_1) | instskip(NEXT) | instid1(VALU_DEP_1)
	v_lshrrev_b32_e32 v2, 16, v2
	v_cndmask_b32_e32 v8, 0x7fc0, v2, vcc_lo
.LBB206_1459:
	s_mov_b32 s6, -1
.LBB206_1460:
	s_mov_b32 s7, 0
.LBB206_1461:
	s_delay_alu instid0(SALU_CYCLE_1)
	s_and_b32 vcc_lo, exec_lo, s7
	s_cbranch_vccz .LBB206_1494
; %bb.1462:
	s_cmp_gt_i32 s0, 22
	s_cbranch_scc0 .LBB206_1472
; %bb.1463:
	s_cmp_lt_i32 s0, 24
	s_cbranch_scc1 .LBB206_1475
; %bb.1464:
	s_cmp_gt_i32 s0, 24
	s_cbranch_scc0 .LBB206_1476
; %bb.1465:
	global_load_u8 v2, v[0:1], off
	s_mov_b32 s6, exec_lo
	s_wait_loadcnt 0x0
	v_cmpx_lt_i16_e32 0x7f, v2
	s_xor_b32 s6, exec_lo, s6
	s_cbranch_execz .LBB206_1488
; %bb.1466:
	s_mov_b32 s2, -1
	s_mov_b32 s7, exec_lo
	v_cmpx_eq_u16_e32 0x80, v2
; %bb.1467:
	s_xor_b32 s2, exec_lo, -1
; %bb.1468:
	s_or_b32 exec_lo, exec_lo, s7
	s_delay_alu instid0(SALU_CYCLE_1)
	s_and_b32 s2, s2, exec_lo
	s_or_saveexec_b32 s6, s6
	v_mov_b32_e32 v3, 0x7f800001
	s_xor_b32 exec_lo, exec_lo, s6
	s_cbranch_execnz .LBB206_1489
.LBB206_1469:
	s_or_b32 exec_lo, exec_lo, s6
	s_and_saveexec_b32 s6, s2
	s_cbranch_execz .LBB206_1471
.LBB206_1470:
	v_and_b32_e32 v3, 0xffff, v2
	s_delay_alu instid0(VALU_DEP_1) | instskip(SKIP_1) | instid1(VALU_DEP_2)
	v_and_b32_e32 v8, 3, v3
	v_bfe_u32 v11, v3, 2, 5
	v_clz_i32_u32_e32 v9, v8
	s_delay_alu instid0(VALU_DEP_2) | instskip(NEXT) | instid1(VALU_DEP_2)
	v_cmp_eq_u32_e32 vcc_lo, 0, v11
	v_min_u32_e32 v9, 32, v9
	s_delay_alu instid0(VALU_DEP_1) | instskip(NEXT) | instid1(VALU_DEP_1)
	v_subrev_nc_u32_e32 v10, 29, v9
	v_dual_lshlrev_b32 v3, v10, v3 :: v_dual_sub_nc_u32 v9, 30, v9
	s_delay_alu instid0(VALU_DEP_1) | instskip(NEXT) | instid1(VALU_DEP_1)
	v_dual_lshlrev_b32 v2, 24, v2 :: v_dual_bitop2_b32 v3, 3, v3 bitop3:0x40
	v_dual_cndmask_b32 v9, v11, v9, vcc_lo :: v_dual_cndmask_b32 v3, v8, v3, vcc_lo
	s_delay_alu instid0(VALU_DEP_2) | instskip(NEXT) | instid1(VALU_DEP_2)
	v_and_b32_e32 v2, 0x80000000, v2
	v_lshl_add_u32 v8, v9, 23, 0x37800000
	s_delay_alu instid0(VALU_DEP_3) | instskip(NEXT) | instid1(VALU_DEP_1)
	v_lshlrev_b32_e32 v3, 21, v3
	v_or3_b32 v3, v2, v8, v3
.LBB206_1471:
	s_or_b32 exec_lo, exec_lo, s6
	s_delay_alu instid0(VALU_DEP_1) | instskip(SKIP_2) | instid1(VALU_DEP_2)
	v_bfe_u32 v2, v3, 16, 1
	v_cmp_o_f32_e32 vcc_lo, v3, v3
	s_mov_b32 s2, 0
	v_add3_u32 v2, v3, v2, 0x7fff
	s_delay_alu instid0(VALU_DEP_1) | instskip(NEXT) | instid1(VALU_DEP_1)
	v_lshrrev_b32_e32 v2, 16, v2
	v_cndmask_b32_e32 v8, 0x7fc0, v2, vcc_lo
	s_branch .LBB206_1477
.LBB206_1472:
	s_mov_b32 s2, -1
                                        ; implicit-def: $vgpr8
	s_branch .LBB206_1483
.LBB206_1473:
	s_or_saveexec_b32 s7, s7
	v_mov_b32_e32 v3, 0x7f800001
	s_xor_b32 exec_lo, exec_lo, s7
	s_cbranch_execz .LBB206_1456
.LBB206_1474:
	v_cmp_ne_u16_e32 vcc_lo, 0, v2
	v_mov_b32_e32 v3, 0
	s_and_not1_b32 s6, s6, exec_lo
	s_and_b32 s9, vcc_lo, exec_lo
	s_delay_alu instid0(SALU_CYCLE_1)
	s_or_b32 s6, s6, s9
	s_or_b32 exec_lo, exec_lo, s7
	s_and_saveexec_b32 s7, s6
	s_cbranch_execnz .LBB206_1457
	s_branch .LBB206_1458
.LBB206_1475:
	s_mov_b32 s2, -1
                                        ; implicit-def: $vgpr8
	s_branch .LBB206_1480
.LBB206_1476:
	s_mov_b32 s2, -1
                                        ; implicit-def: $vgpr8
.LBB206_1477:
	s_delay_alu instid0(SALU_CYCLE_1)
	s_and_b32 vcc_lo, exec_lo, s2
	s_cbranch_vccz .LBB206_1479
; %bb.1478:
	global_load_u8 v2, v[0:1], off
	s_wait_loadcnt 0x0
	v_lshlrev_b32_e32 v2, 24, v2
	s_delay_alu instid0(VALU_DEP_1) | instskip(NEXT) | instid1(VALU_DEP_1)
	v_and_b32_e32 v3, 0x7f000000, v2
	v_clz_i32_u32_e32 v8, v3
	v_cmp_ne_u32_e32 vcc_lo, 0, v3
	v_add_nc_u32_e32 v10, 0x1000000, v3
	s_delay_alu instid0(VALU_DEP_3) | instskip(NEXT) | instid1(VALU_DEP_1)
	v_min_u32_e32 v8, 32, v8
	v_sub_nc_u32_e64 v8, v8, 4 clamp
	s_delay_alu instid0(VALU_DEP_1) | instskip(NEXT) | instid1(VALU_DEP_1)
	v_dual_lshlrev_b32 v9, v8, v3 :: v_dual_lshlrev_b32 v8, 23, v8
	v_lshrrev_b32_e32 v9, 4, v9
	s_delay_alu instid0(VALU_DEP_1) | instskip(NEXT) | instid1(VALU_DEP_1)
	v_dual_sub_nc_u32 v8, v9, v8 :: v_dual_ashrrev_i32 v9, 8, v10
	v_add_nc_u32_e32 v8, 0x3c000000, v8
	s_delay_alu instid0(VALU_DEP_1) | instskip(NEXT) | instid1(VALU_DEP_1)
	v_and_or_b32 v8, 0x7f800000, v9, v8
	v_cndmask_b32_e32 v3, 0, v8, vcc_lo
	s_delay_alu instid0(VALU_DEP_1) | instskip(SKIP_1) | instid1(VALU_DEP_2)
	v_and_or_b32 v2, 0x80000000, v2, v3
	v_bfe_u32 v3, v3, 16, 1
	v_cmp_o_f32_e32 vcc_lo, v2, v2
	s_delay_alu instid0(VALU_DEP_2) | instskip(NEXT) | instid1(VALU_DEP_1)
	v_add3_u32 v3, v2, v3, 0x7fff
	v_lshrrev_b32_e32 v3, 16, v3
	s_delay_alu instid0(VALU_DEP_1)
	v_cndmask_b32_e32 v8, 0x7fc0, v3, vcc_lo
.LBB206_1479:
	s_mov_b32 s2, 0
.LBB206_1480:
	s_delay_alu instid0(SALU_CYCLE_1)
	s_and_not1_b32 vcc_lo, exec_lo, s2
	s_cbranch_vccnz .LBB206_1482
; %bb.1481:
	global_load_u8 v2, v[0:1], off
	s_wait_loadcnt 0x0
	v_lshlrev_b32_e32 v3, 25, v2
	v_lshlrev_b16 v2, 8, v2
	s_delay_alu instid0(VALU_DEP_1) | instskip(SKIP_1) | instid1(VALU_DEP_2)
	v_and_or_b32 v9, 0x7f00, v2, 0.5
	v_bfe_i32 v2, v2, 0, 16
	v_dual_add_f32 v9, -0.5, v9 :: v_dual_lshrrev_b32 v8, 4, v3
	v_cmp_gt_u32_e32 vcc_lo, 0x8000000, v3
	s_delay_alu instid0(VALU_DEP_2) | instskip(NEXT) | instid1(VALU_DEP_1)
	v_or_b32_e32 v8, 0x70000000, v8
	v_mul_f32_e32 v8, 0x7800000, v8
	s_delay_alu instid0(VALU_DEP_1) | instskip(NEXT) | instid1(VALU_DEP_1)
	v_cndmask_b32_e32 v3, v8, v9, vcc_lo
	v_and_or_b32 v2, 0x80000000, v2, v3
	v_bfe_u32 v3, v3, 16, 1
	s_delay_alu instid0(VALU_DEP_2) | instskip(NEXT) | instid1(VALU_DEP_2)
	v_cmp_o_f32_e32 vcc_lo, v2, v2
	v_add3_u32 v3, v2, v3, 0x7fff
	s_delay_alu instid0(VALU_DEP_1) | instskip(NEXT) | instid1(VALU_DEP_1)
	v_lshrrev_b32_e32 v3, 16, v3
	v_cndmask_b32_e32 v8, 0x7fc0, v3, vcc_lo
.LBB206_1482:
	s_mov_b32 s2, 0
	s_mov_b32 s6, -1
.LBB206_1483:
	s_and_not1_b32 vcc_lo, exec_lo, s2
	s_mov_b32 s2, 0
	s_cbranch_vccnz .LBB206_1494
; %bb.1484:
	s_cmp_gt_i32 s0, 14
	s_cbranch_scc0 .LBB206_1487
; %bb.1485:
	s_cmp_eq_u32 s0, 15
	s_cbranch_scc0 .LBB206_1490
; %bb.1486:
	s_wait_loadcnt 0x0
	global_load_u16 v8, v[0:1], off
	s_mov_b32 s1, 0
	s_mov_b32 s6, -1
	s_branch .LBB206_1492
.LBB206_1487:
	s_mov_b32 s2, -1
	s_branch .LBB206_1491
.LBB206_1488:
	s_or_saveexec_b32 s6, s6
	v_mov_b32_e32 v3, 0x7f800001
	s_xor_b32 exec_lo, exec_lo, s6
	s_cbranch_execz .LBB206_1469
.LBB206_1489:
	v_cmp_ne_u16_e32 vcc_lo, 0, v2
	v_mov_b32_e32 v3, 0
	s_and_not1_b32 s2, s2, exec_lo
	s_and_b32 s7, vcc_lo, exec_lo
	s_delay_alu instid0(SALU_CYCLE_1)
	s_or_b32 s2, s2, s7
	s_or_b32 exec_lo, exec_lo, s6
	s_and_saveexec_b32 s6, s2
	s_cbranch_execnz .LBB206_1470
	s_branch .LBB206_1471
.LBB206_1490:
	s_mov_b32 s1, -1
.LBB206_1491:
                                        ; implicit-def: $vgpr8
.LBB206_1492:
	s_and_b32 vcc_lo, exec_lo, s2
	s_mov_b32 s2, 0
	s_cbranch_vccz .LBB206_1494
; %bb.1493:
	s_cmp_lg_u32 s0, 11
	s_mov_b32 s2, -1
	s_cselect_b32 s1, -1, 0
.LBB206_1494:
	s_delay_alu instid0(SALU_CYCLE_1)
	s_and_b32 vcc_lo, exec_lo, s1
	s_cbranch_vccnz .LBB206_2026
; %bb.1495:
	s_and_not1_b32 vcc_lo, exec_lo, s2
	s_cbranch_vccnz .LBB206_1497
.LBB206_1496:
	global_load_u8 v2, v[0:1], off
	s_mov_b32 s6, -1
	s_wait_loadcnt 0x0
	v_cmp_ne_u16_e32 vcc_lo, 0, v2
	v_cndmask_b32_e64 v2, 0, 1.0, vcc_lo
	s_delay_alu instid0(VALU_DEP_1)
	v_lshrrev_b32_e32 v8, 16, v2
.LBB206_1497:
	s_mov_b32 s1, 0
.LBB206_1498:
	s_delay_alu instid0(SALU_CYCLE_1)
	s_and_b32 vcc_lo, exec_lo, s1
	s_cbranch_vccz .LBB206_1547
; %bb.1499:
	s_cmp_lt_i32 s0, 5
	s_cbranch_scc1 .LBB206_1504
; %bb.1500:
	s_cmp_lt_i32 s0, 8
	s_cbranch_scc1 .LBB206_1505
	;; [unrolled: 3-line block ×3, first 2 shown]
; %bb.1502:
	s_cmp_gt_i32 s0, 9
	s_cbranch_scc0 .LBB206_1507
; %bb.1503:
	global_load_b64 v[2:3], v[0:1], off
	s_mov_b32 s1, 0
	s_wait_loadcnt 0x0
	v_cvt_f32_f64_e32 v2, v[2:3]
	s_delay_alu instid0(VALU_DEP_1) | instskip(SKIP_1) | instid1(VALU_DEP_2)
	v_bfe_u32 v3, v2, 16, 1
	v_cmp_o_f32_e32 vcc_lo, v2, v2
	v_add3_u32 v3, v2, v3, 0x7fff
	s_delay_alu instid0(VALU_DEP_1) | instskip(NEXT) | instid1(VALU_DEP_1)
	v_lshrrev_b32_e32 v3, 16, v3
	v_cndmask_b32_e32 v8, 0x7fc0, v3, vcc_lo
	s_branch .LBB206_1508
.LBB206_1504:
	s_mov_b32 s1, -1
                                        ; implicit-def: $vgpr8
	s_branch .LBB206_1526
.LBB206_1505:
	s_mov_b32 s1, -1
                                        ; implicit-def: $vgpr8
	s_branch .LBB206_1514
.LBB206_1506:
	s_mov_b32 s1, -1
                                        ; implicit-def: $vgpr8
	s_branch .LBB206_1511
.LBB206_1507:
	s_mov_b32 s1, -1
                                        ; implicit-def: $vgpr8
.LBB206_1508:
	s_delay_alu instid0(SALU_CYCLE_1)
	s_and_not1_b32 vcc_lo, exec_lo, s1
	s_cbranch_vccnz .LBB206_1510
; %bb.1509:
	global_load_b32 v2, v[0:1], off
	s_wait_loadcnt 0x0
	v_bfe_u32 v3, v2, 16, 1
	v_cmp_o_f32_e32 vcc_lo, v2, v2
	s_delay_alu instid0(VALU_DEP_2) | instskip(NEXT) | instid1(VALU_DEP_1)
	v_add3_u32 v3, v2, v3, 0x7fff
	v_lshrrev_b32_e32 v3, 16, v3
	s_delay_alu instid0(VALU_DEP_1)
	v_cndmask_b32_e32 v8, 0x7fc0, v3, vcc_lo
.LBB206_1510:
	s_mov_b32 s1, 0
.LBB206_1511:
	s_delay_alu instid0(SALU_CYCLE_1)
	s_and_not1_b32 vcc_lo, exec_lo, s1
	s_cbranch_vccnz .LBB206_1513
; %bb.1512:
	global_load_b32 v2, v[0:1], off
	s_wait_loadcnt 0x0
	v_cvt_f32_f16_e32 v3, v2
	v_cmp_o_f16_e32 vcc_lo, v2, v2
	s_delay_alu instid0(VALU_DEP_2) | instskip(NEXT) | instid1(VALU_DEP_1)
	v_bfe_u32 v8, v3, 16, 1
	v_add3_u32 v3, v3, v8, 0x7fff
	s_delay_alu instid0(VALU_DEP_1) | instskip(NEXT) | instid1(VALU_DEP_1)
	v_lshrrev_b32_e32 v3, 16, v3
	v_cndmask_b32_e32 v8, 0x7fc0, v3, vcc_lo
.LBB206_1513:
	s_mov_b32 s1, 0
.LBB206_1514:
	s_delay_alu instid0(SALU_CYCLE_1)
	s_and_not1_b32 vcc_lo, exec_lo, s1
	s_cbranch_vccnz .LBB206_1525
; %bb.1515:
	s_cmp_lt_i32 s0, 6
	s_cbranch_scc1 .LBB206_1518
; %bb.1516:
	s_cmp_gt_i32 s0, 6
	s_cbranch_scc0 .LBB206_1519
; %bb.1517:
	global_load_b64 v[2:3], v[0:1], off
	s_mov_b32 s1, 0
	s_wait_loadcnt 0x0
	v_cvt_f32_f64_e32 v2, v[2:3]
	s_delay_alu instid0(VALU_DEP_1) | instskip(SKIP_1) | instid1(VALU_DEP_2)
	v_bfe_u32 v3, v2, 16, 1
	v_cmp_o_f32_e32 vcc_lo, v2, v2
	v_add3_u32 v3, v2, v3, 0x7fff
	s_delay_alu instid0(VALU_DEP_1) | instskip(NEXT) | instid1(VALU_DEP_1)
	v_lshrrev_b32_e32 v3, 16, v3
	v_cndmask_b32_e32 v8, 0x7fc0, v3, vcc_lo
	s_branch .LBB206_1520
.LBB206_1518:
	s_mov_b32 s1, -1
                                        ; implicit-def: $vgpr8
	s_branch .LBB206_1523
.LBB206_1519:
	s_mov_b32 s1, -1
                                        ; implicit-def: $vgpr8
.LBB206_1520:
	s_delay_alu instid0(SALU_CYCLE_1)
	s_and_not1_b32 vcc_lo, exec_lo, s1
	s_cbranch_vccnz .LBB206_1522
; %bb.1521:
	global_load_b32 v2, v[0:1], off
	s_wait_loadcnt 0x0
	v_bfe_u32 v3, v2, 16, 1
	v_cmp_o_f32_e32 vcc_lo, v2, v2
	s_delay_alu instid0(VALU_DEP_2) | instskip(NEXT) | instid1(VALU_DEP_1)
	v_add3_u32 v3, v2, v3, 0x7fff
	v_lshrrev_b32_e32 v3, 16, v3
	s_delay_alu instid0(VALU_DEP_1)
	v_cndmask_b32_e32 v8, 0x7fc0, v3, vcc_lo
.LBB206_1522:
	s_mov_b32 s1, 0
.LBB206_1523:
	s_delay_alu instid0(SALU_CYCLE_1)
	s_and_not1_b32 vcc_lo, exec_lo, s1
	s_cbranch_vccnz .LBB206_1525
; %bb.1524:
	global_load_u16 v2, v[0:1], off
	s_wait_loadcnt 0x0
	v_cvt_f32_f16_e32 v3, v2
	v_cmp_o_f16_e32 vcc_lo, v2, v2
	s_delay_alu instid0(VALU_DEP_2) | instskip(NEXT) | instid1(VALU_DEP_1)
	v_bfe_u32 v8, v3, 16, 1
	v_add3_u32 v3, v3, v8, 0x7fff
	s_delay_alu instid0(VALU_DEP_1) | instskip(NEXT) | instid1(VALU_DEP_1)
	v_lshrrev_b32_e32 v3, 16, v3
	v_cndmask_b32_e32 v8, 0x7fc0, v3, vcc_lo
.LBB206_1525:
	s_mov_b32 s1, 0
.LBB206_1526:
	s_delay_alu instid0(SALU_CYCLE_1)
	s_and_not1_b32 vcc_lo, exec_lo, s1
	s_cbranch_vccnz .LBB206_1546
; %bb.1527:
	s_cmp_lt_i32 s0, 2
	s_cbranch_scc1 .LBB206_1531
; %bb.1528:
	s_cmp_lt_i32 s0, 3
	s_cbranch_scc1 .LBB206_1532
; %bb.1529:
	s_cmp_gt_i32 s0, 3
	s_cbranch_scc0 .LBB206_1533
; %bb.1530:
	global_load_b64 v[2:3], v[0:1], off
	s_mov_b32 s1, 0
	s_wait_loadcnt 0x0
	v_xor_b32_e32 v8, v2, v3
	v_cls_i32_e32 v9, v3
	s_delay_alu instid0(VALU_DEP_2) | instskip(NEXT) | instid1(VALU_DEP_1)
	v_ashrrev_i32_e32 v8, 31, v8
	v_add_nc_u32_e32 v8, 32, v8
	s_delay_alu instid0(VALU_DEP_1) | instskip(NEXT) | instid1(VALU_DEP_1)
	v_add_min_u32_e64 v8, v9, -1, v8
	v_lshlrev_b64_e32 v[2:3], v8, v[2:3]
	s_delay_alu instid0(VALU_DEP_1) | instskip(NEXT) | instid1(VALU_DEP_1)
	v_min_u32_e32 v2, 1, v2
	v_dual_sub_nc_u32 v3, 32, v8 :: v_dual_bitop2_b32 v2, v3, v2 bitop3:0x54
	s_delay_alu instid0(VALU_DEP_1) | instskip(NEXT) | instid1(VALU_DEP_1)
	v_cvt_f32_i32_e32 v2, v2
	v_ldexp_f32 v2, v2, v3
	s_delay_alu instid0(VALU_DEP_1) | instskip(NEXT) | instid1(VALU_DEP_1)
	v_bfe_u32 v3, v2, 16, 1
	v_add3_u32 v2, v2, v3, 0x7fff
	s_delay_alu instid0(VALU_DEP_1)
	v_lshrrev_b32_e32 v8, 16, v2
	s_branch .LBB206_1534
.LBB206_1531:
	s_mov_b32 s1, -1
                                        ; implicit-def: $vgpr8
	s_branch .LBB206_1540
.LBB206_1532:
	s_mov_b32 s1, -1
                                        ; implicit-def: $vgpr8
	s_branch .LBB206_1537
.LBB206_1533:
	s_mov_b32 s1, -1
                                        ; implicit-def: $vgpr8
.LBB206_1534:
	s_delay_alu instid0(SALU_CYCLE_1)
	s_and_not1_b32 vcc_lo, exec_lo, s1
	s_cbranch_vccnz .LBB206_1536
; %bb.1535:
	global_load_b32 v2, v[0:1], off
	s_wait_loadcnt 0x0
	v_cvt_f32_i32_e32 v2, v2
	s_delay_alu instid0(VALU_DEP_1) | instskip(NEXT) | instid1(VALU_DEP_1)
	v_bfe_u32 v3, v2, 16, 1
	v_add3_u32 v2, v2, v3, 0x7fff
	s_delay_alu instid0(VALU_DEP_1)
	v_lshrrev_b32_e32 v8, 16, v2
.LBB206_1536:
	s_mov_b32 s1, 0
.LBB206_1537:
	s_delay_alu instid0(SALU_CYCLE_1)
	s_and_not1_b32 vcc_lo, exec_lo, s1
	s_cbranch_vccnz .LBB206_1539
; %bb.1538:
	global_load_i16 v2, v[0:1], off
	s_wait_loadcnt 0x0
	v_cvt_f32_i32_e32 v2, v2
	s_delay_alu instid0(VALU_DEP_1) | instskip(NEXT) | instid1(VALU_DEP_1)
	v_bfe_u32 v3, v2, 16, 1
	v_add3_u32 v2, v2, v3, 0x7fff
	s_delay_alu instid0(VALU_DEP_1)
	v_lshrrev_b32_e32 v8, 16, v2
.LBB206_1539:
	s_mov_b32 s1, 0
.LBB206_1540:
	s_delay_alu instid0(SALU_CYCLE_1)
	s_and_not1_b32 vcc_lo, exec_lo, s1
	s_cbranch_vccnz .LBB206_1546
; %bb.1541:
	s_cmp_gt_i32 s0, 0
	s_mov_b32 s0, 0
	s_cbranch_scc0 .LBB206_1543
; %bb.1542:
	global_load_i8 v2, v[0:1], off
	s_wait_loadcnt 0x0
	v_cvt_f32_i32_e32 v2, v2
	s_delay_alu instid0(VALU_DEP_1) | instskip(NEXT) | instid1(VALU_DEP_1)
	v_bfe_u32 v3, v2, 16, 1
	v_add3_u32 v2, v2, v3, 0x7fff
	s_delay_alu instid0(VALU_DEP_1)
	v_lshrrev_b32_e32 v8, 16, v2
	s_branch .LBB206_1544
.LBB206_1543:
	s_mov_b32 s0, -1
                                        ; implicit-def: $vgpr8
.LBB206_1544:
	s_delay_alu instid0(SALU_CYCLE_1)
	s_and_not1_b32 vcc_lo, exec_lo, s0
	s_cbranch_vccnz .LBB206_1546
; %bb.1545:
	global_load_u8 v0, v[0:1], off
	s_wait_loadcnt 0x0
	v_cvt_f32_ubyte0_e32 v0, v0
	s_delay_alu instid0(VALU_DEP_1) | instskip(NEXT) | instid1(VALU_DEP_1)
	v_bfe_u32 v1, v0, 16, 1
	v_add3_u32 v0, v0, v1, 0x7fff
	s_delay_alu instid0(VALU_DEP_1)
	v_lshrrev_b32_e32 v8, 16, v0
.LBB206_1546:
	s_mov_b32 s6, -1
.LBB206_1547:
	s_delay_alu instid0(SALU_CYCLE_1)
	s_and_not1_b32 vcc_lo, exec_lo, s6
	s_cbranch_vccnz .LBB206_1980
; %bb.1548:
	s_wait_loadcnt 0x0
	v_lshlrev_b32_e32 v1, 16, v5
	s_cmp_eq_u32 s10, 0
	v_mul_lo_u32 v0, s8, v4
	s_cselect_b32 s0, -1, 0
	s_lshl_b32 s6, s11, 16
	s_and_b32 s16, s3, 0xff
	v_cmp_eq_f32_e32 vcc_lo, s6, v1
	s_mov_b32 s9, 0
	s_cmp_lt_i32 s16, 11
	s_mov_b32 s2, -1
	v_cndmask_b32_e64 v2, 0, 1, vcc_lo
	v_cmp_neq_f32_e32 vcc_lo, s6, v1
	v_cndmask_b32_e64 v1, 0, 1, vcc_lo
	s_delay_alu instid0(VALU_DEP_1) | instskip(NEXT) | instid1(VALU_DEP_1)
	v_dual_cndmask_b32 v2, v1, v2, s0 :: v_dual_ashrrev_i32 v1, 31, v0
	v_and_b32_e32 v4, 1, v2
	s_delay_alu instid0(VALU_DEP_2) | instskip(NEXT) | instid1(VALU_DEP_2)
	v_add_nc_u64_e32 v[2:3], s[4:5], v[0:1]
	v_cmp_eq_u32_e64 s1, 1, v4
	s_cbranch_scc1 .LBB206_1627
; %bb.1549:
	s_and_b32 s3, 0xffff, s16
	s_mov_b32 s10, -1
	s_mov_b32 s7, 0
	s_cmp_gt_i32 s3, 25
	s_mov_b32 s2, 0
	s_cbranch_scc0 .LBB206_1582
; %bb.1550:
	s_cmp_gt_i32 s3, 28
	s_cbranch_scc0 .LBB206_1565
; %bb.1551:
	s_cmp_gt_i32 s3, 43
	;; [unrolled: 3-line block ×3, first 2 shown]
	s_cbranch_scc0 .LBB206_1555
; %bb.1553:
	s_mov_b32 s2, -1
	s_mov_b32 s10, 0
	s_cmp_eq_u32 s3, 46
	s_cbranch_scc0 .LBB206_1555
; %bb.1554:
	v_cndmask_b32_e64 v1, 0, 1.0, s1
	s_mov_b32 s2, 0
	s_mov_b32 s9, -1
	s_delay_alu instid0(VALU_DEP_1) | instskip(NEXT) | instid1(VALU_DEP_1)
	v_bfe_u32 v4, v1, 16, 1
	v_add3_u32 v1, v1, v4, 0x7fff
	s_delay_alu instid0(VALU_DEP_1)
	v_lshrrev_b32_e32 v1, 16, v1
	global_store_b32 v[2:3], v1, off
.LBB206_1555:
	s_and_b32 vcc_lo, exec_lo, s10
	s_cbranch_vccz .LBB206_1560
; %bb.1556:
	s_cmp_eq_u32 s3, 44
	s_mov_b32 s2, -1
	s_cbranch_scc0 .LBB206_1560
; %bb.1557:
	v_cndmask_b32_e64 v5, 0, 1.0, s1
	s_mov_b32 s9, exec_lo
	s_wait_xcnt 0x0
	s_delay_alu instid0(VALU_DEP_1) | instskip(NEXT) | instid1(VALU_DEP_1)
	v_dual_mov_b32 v4, 0xff :: v_dual_lshrrev_b32 v1, 23, v5
	v_cmpx_ne_u32_e32 0xff, v1
; %bb.1558:
	v_and_b32_e32 v4, 0x400000, v5
	v_and_or_b32 v5, 0x3fffff, v5, v1
	s_delay_alu instid0(VALU_DEP_2) | instskip(NEXT) | instid1(VALU_DEP_2)
	v_cmp_ne_u32_e32 vcc_lo, 0, v4
	v_cmp_ne_u32_e64 s2, 0, v5
	s_and_b32 s2, vcc_lo, s2
	s_delay_alu instid0(SALU_CYCLE_1) | instskip(NEXT) | instid1(VALU_DEP_1)
	v_cndmask_b32_e64 v4, 0, 1, s2
	v_add_nc_u32_e32 v4, v1, v4
; %bb.1559:
	s_or_b32 exec_lo, exec_lo, s9
	s_mov_b32 s2, 0
	s_mov_b32 s9, -1
	global_store_b8 v[2:3], v4, off
.LBB206_1560:
	s_mov_b32 s10, 0
.LBB206_1561:
	s_delay_alu instid0(SALU_CYCLE_1)
	s_and_b32 vcc_lo, exec_lo, s10
	s_cbranch_vccz .LBB206_1564
; %bb.1562:
	s_cmp_eq_u32 s3, 29
	s_mov_b32 s2, -1
	s_cbranch_scc0 .LBB206_1564
; %bb.1563:
	s_mov_b32 s2, 0
	s_wait_xcnt 0x0
	v_cndmask_b32_e64 v4, 0, 1, s1
	v_mov_b32_e32 v5, s2
	s_mov_b32 s9, -1
	global_store_b64 v[2:3], v[4:5], off
.LBB206_1564:
	s_mov_b32 s10, 0
.LBB206_1565:
	s_delay_alu instid0(SALU_CYCLE_1)
	s_and_b32 vcc_lo, exec_lo, s10
	s_cbranch_vccz .LBB206_1581
; %bb.1566:
	s_cmp_lt_i32 s3, 27
	s_mov_b32 s9, -1
	s_cbranch_scc1 .LBB206_1572
; %bb.1567:
	s_cmp_gt_i32 s3, 27
	s_cbranch_scc0 .LBB206_1569
; %bb.1568:
	s_wait_xcnt 0x0
	v_cndmask_b32_e64 v1, 0, 1, s1
	s_mov_b32 s9, 0
	global_store_b32 v[2:3], v1, off
.LBB206_1569:
	s_and_not1_b32 vcc_lo, exec_lo, s9
	s_cbranch_vccnz .LBB206_1571
; %bb.1570:
	s_wait_xcnt 0x0
	v_cndmask_b32_e64 v1, 0, 1, s1
	global_store_b16 v[2:3], v1, off
.LBB206_1571:
	s_mov_b32 s9, 0
.LBB206_1572:
	s_delay_alu instid0(SALU_CYCLE_1)
	s_and_not1_b32 vcc_lo, exec_lo, s9
	s_cbranch_vccnz .LBB206_1580
; %bb.1573:
	s_wait_xcnt 0x0
	v_cndmask_b32_e64 v4, 0, 1.0, s1
	v_mov_b32_e32 v5, 0x80
	s_mov_b32 s9, exec_lo
	s_delay_alu instid0(VALU_DEP_2)
	v_cmpx_gt_u32_e32 0x43800000, v4
	s_cbranch_execz .LBB206_1579
; %bb.1574:
	s_mov_b32 s10, 0
	s_mov_b32 s11, exec_lo
                                        ; implicit-def: $vgpr1
	v_cmpx_lt_u32_e32 0x3bffffff, v4
	s_xor_b32 s11, exec_lo, s11
	s_cbranch_execz .LBB206_2027
; %bb.1575:
	v_bfe_u32 v1, v4, 20, 1
	s_mov_b32 s10, exec_lo
	s_delay_alu instid0(VALU_DEP_1) | instskip(NEXT) | instid1(VALU_DEP_1)
	v_add3_u32 v1, v4, v1, 0x487ffff
                                        ; implicit-def: $vgpr4
	v_lshrrev_b32_e32 v1, 20, v1
	s_and_not1_saveexec_b32 s11, s11
	s_cbranch_execnz .LBB206_2028
.LBB206_1576:
	s_or_b32 exec_lo, exec_lo, s11
	v_mov_b32_e32 v5, 0
	s_and_saveexec_b32 s11, s10
.LBB206_1577:
	v_mov_b32_e32 v5, v1
.LBB206_1578:
	s_or_b32 exec_lo, exec_lo, s11
.LBB206_1579:
	s_delay_alu instid0(SALU_CYCLE_1)
	s_or_b32 exec_lo, exec_lo, s9
	global_store_b8 v[2:3], v5, off
.LBB206_1580:
	s_mov_b32 s9, -1
.LBB206_1581:
	s_mov_b32 s10, 0
.LBB206_1582:
	s_delay_alu instid0(SALU_CYCLE_1)
	s_and_b32 vcc_lo, exec_lo, s10
	s_cbranch_vccz .LBB206_1622
; %bb.1583:
	s_cmp_gt_i32 s3, 22
	s_mov_b32 s7, -1
	s_cbranch_scc0 .LBB206_1615
; %bb.1584:
	s_cmp_lt_i32 s3, 24
	s_cbranch_scc1 .LBB206_1604
; %bb.1585:
	s_cmp_gt_i32 s3, 24
	s_cbranch_scc0 .LBB206_1593
; %bb.1586:
	s_wait_xcnt 0x0
	v_cndmask_b32_e64 v4, 0, 1.0, s1
	v_mov_b32_e32 v5, 0x80
	s_mov_b32 s7, exec_lo
	s_delay_alu instid0(VALU_DEP_2)
	v_cmpx_gt_u32_e32 0x47800000, v4
	s_cbranch_execz .LBB206_1592
; %bb.1587:
	s_mov_b32 s9, 0
	s_mov_b32 s10, exec_lo
                                        ; implicit-def: $vgpr1
	v_cmpx_lt_u32_e32 0x37ffffff, v4
	s_xor_b32 s10, exec_lo, s10
	s_cbranch_execz .LBB206_2030
; %bb.1588:
	v_bfe_u32 v1, v4, 21, 1
	s_mov_b32 s9, exec_lo
	s_delay_alu instid0(VALU_DEP_1) | instskip(NEXT) | instid1(VALU_DEP_1)
	v_add3_u32 v1, v4, v1, 0x88fffff
                                        ; implicit-def: $vgpr4
	v_lshrrev_b32_e32 v1, 21, v1
	s_and_not1_saveexec_b32 s10, s10
	s_cbranch_execnz .LBB206_2031
.LBB206_1589:
	s_or_b32 exec_lo, exec_lo, s10
	v_mov_b32_e32 v5, 0
	s_and_saveexec_b32 s10, s9
.LBB206_1590:
	v_mov_b32_e32 v5, v1
.LBB206_1591:
	s_or_b32 exec_lo, exec_lo, s10
.LBB206_1592:
	s_delay_alu instid0(SALU_CYCLE_1)
	s_or_b32 exec_lo, exec_lo, s7
	s_mov_b32 s7, 0
	global_store_b8 v[2:3], v5, off
.LBB206_1593:
	s_and_b32 vcc_lo, exec_lo, s7
	s_cbranch_vccz .LBB206_1603
; %bb.1594:
	s_wait_xcnt 0x0
	v_cndmask_b32_e64 v4, 0, 1.0, s1
	s_mov_b32 s7, exec_lo
                                        ; implicit-def: $vgpr1
	s_delay_alu instid0(VALU_DEP_1)
	v_cmpx_gt_u32_e32 0x43f00000, v4
	s_xor_b32 s7, exec_lo, s7
	s_cbranch_execz .LBB206_1600
; %bb.1595:
	s_mov_b32 s9, exec_lo
                                        ; implicit-def: $vgpr1
	v_cmpx_lt_u32_e32 0x3c7fffff, v4
	s_xor_b32 s9, exec_lo, s9
; %bb.1596:
	v_bfe_u32 v1, v4, 20, 1
	s_delay_alu instid0(VALU_DEP_1) | instskip(NEXT) | instid1(VALU_DEP_1)
	v_add3_u32 v1, v4, v1, 0x407ffff
	v_and_b32_e32 v4, 0xff00000, v1
	v_lshrrev_b32_e32 v1, 20, v1
	s_delay_alu instid0(VALU_DEP_2) | instskip(NEXT) | instid1(VALU_DEP_2)
	v_cmp_ne_u32_e32 vcc_lo, 0x7f00000, v4
                                        ; implicit-def: $vgpr4
	v_cndmask_b32_e32 v1, 0x7e, v1, vcc_lo
; %bb.1597:
	s_and_not1_saveexec_b32 s9, s9
; %bb.1598:
	v_add_f32_e32 v1, 0x46800000, v4
; %bb.1599:
	s_or_b32 exec_lo, exec_lo, s9
                                        ; implicit-def: $vgpr4
.LBB206_1600:
	s_and_not1_saveexec_b32 s7, s7
; %bb.1601:
	v_mov_b32_e32 v1, 0x7f
	v_cmp_lt_u32_e32 vcc_lo, 0x7f800000, v4
	s_delay_alu instid0(VALU_DEP_2)
	v_cndmask_b32_e32 v1, 0x7e, v1, vcc_lo
; %bb.1602:
	s_or_b32 exec_lo, exec_lo, s7
	global_store_b8 v[2:3], v1, off
.LBB206_1603:
	s_mov_b32 s7, 0
.LBB206_1604:
	s_delay_alu instid0(SALU_CYCLE_1)
	s_and_not1_b32 vcc_lo, exec_lo, s7
	s_cbranch_vccnz .LBB206_1614
; %bb.1605:
	s_wait_xcnt 0x0
	v_cndmask_b32_e64 v4, 0, 1.0, s1
	s_mov_b32 s7, exec_lo
                                        ; implicit-def: $vgpr1
	s_delay_alu instid0(VALU_DEP_1)
	v_cmpx_gt_u32_e32 0x47800000, v4
	s_xor_b32 s7, exec_lo, s7
	s_cbranch_execz .LBB206_1611
; %bb.1606:
	s_mov_b32 s9, exec_lo
                                        ; implicit-def: $vgpr1
	v_cmpx_lt_u32_e32 0x387fffff, v4
	s_xor_b32 s9, exec_lo, s9
; %bb.1607:
	v_bfe_u32 v1, v4, 21, 1
	s_delay_alu instid0(VALU_DEP_1) | instskip(NEXT) | instid1(VALU_DEP_1)
	v_add3_u32 v1, v4, v1, 0x80fffff
                                        ; implicit-def: $vgpr4
	v_lshrrev_b32_e32 v1, 21, v1
; %bb.1608:
	s_and_not1_saveexec_b32 s9, s9
; %bb.1609:
	v_add_f32_e32 v1, 0x43000000, v4
; %bb.1610:
	s_or_b32 exec_lo, exec_lo, s9
                                        ; implicit-def: $vgpr4
.LBB206_1611:
	s_and_not1_saveexec_b32 s7, s7
; %bb.1612:
	v_mov_b32_e32 v1, 0x7f
	v_cmp_lt_u32_e32 vcc_lo, 0x7f800000, v4
	s_delay_alu instid0(VALU_DEP_2)
	v_cndmask_b32_e32 v1, 0x7c, v1, vcc_lo
; %bb.1613:
	s_or_b32 exec_lo, exec_lo, s7
	global_store_b8 v[2:3], v1, off
.LBB206_1614:
	s_mov_b32 s7, 0
	s_mov_b32 s9, -1
.LBB206_1615:
	s_and_not1_b32 vcc_lo, exec_lo, s7
	s_mov_b32 s7, 0
	s_cbranch_vccnz .LBB206_1622
; %bb.1616:
	s_cmp_gt_i32 s3, 14
	s_mov_b32 s7, -1
	s_cbranch_scc0 .LBB206_1620
; %bb.1617:
	s_cmp_eq_u32 s3, 15
	s_mov_b32 s2, -1
	s_cbranch_scc0 .LBB206_1619
; %bb.1618:
	s_wait_xcnt 0x0
	v_cndmask_b32_e64 v1, 0, 1.0, s1
	s_mov_b32 s2, 0
	s_mov_b32 s9, -1
	s_delay_alu instid0(VALU_DEP_1) | instskip(NEXT) | instid1(VALU_DEP_1)
	v_bfe_u32 v4, v1, 16, 1
	v_add3_u32 v1, v1, v4, 0x7fff
	global_store_d16_hi_b16 v[2:3], v1, off
.LBB206_1619:
	s_mov_b32 s7, 0
.LBB206_1620:
	s_delay_alu instid0(SALU_CYCLE_1)
	s_and_b32 vcc_lo, exec_lo, s7
	s_mov_b32 s7, 0
	s_cbranch_vccz .LBB206_1622
; %bb.1621:
	s_cmp_lg_u32 s3, 11
	s_mov_b32 s7, -1
	s_cselect_b32 s2, -1, 0
.LBB206_1622:
	s_delay_alu instid0(SALU_CYCLE_1)
	s_and_b32 vcc_lo, exec_lo, s2
	s_cbranch_vccnz .LBB206_2029
; %bb.1623:
	s_and_not1_b32 vcc_lo, exec_lo, s7
	s_cbranch_vccnz .LBB206_1625
.LBB206_1624:
	s_wait_xcnt 0x0
	v_cndmask_b32_e64 v1, 0, 1, s1
	s_mov_b32 s9, -1
	global_store_b8 v[2:3], v1, off
.LBB206_1625:
.LBB206_1626:
	s_and_not1_b32 vcc_lo, exec_lo, s9
	s_cbranch_vccnz .LBB206_1980
	s_branch .LBB206_1666
.LBB206_1627:
	s_and_b32 vcc_lo, exec_lo, s2
	s_cbranch_vccz .LBB206_1626
; %bb.1628:
	s_and_b32 s2, 0xffff, s16
	s_mov_b32 s3, -1
	s_cmp_lt_i32 s2, 5
	s_cbranch_scc1 .LBB206_1649
; %bb.1629:
	s_cmp_lt_i32 s2, 8
	s_cbranch_scc1 .LBB206_1639
; %bb.1630:
	;; [unrolled: 3-line block ×3, first 2 shown]
	s_cmp_gt_i32 s2, 9
	s_cbranch_scc0 .LBB206_1633
; %bb.1632:
	s_wait_xcnt 0x0
	v_cndmask_b32_e64 v1, 0, 1, s1
	v_mov_b32_e32 v12, 0
	s_mov_b32 s3, 0
	s_delay_alu instid0(VALU_DEP_2) | instskip(NEXT) | instid1(VALU_DEP_2)
	v_cvt_f64_u32_e32 v[10:11], v1
	v_mov_b32_e32 v13, v12
	global_store_b128 v[2:3], v[10:13], off
.LBB206_1633:
	s_and_not1_b32 vcc_lo, exec_lo, s3
	s_cbranch_vccnz .LBB206_1635
; %bb.1634:
	s_wait_xcnt 0x0
	v_cndmask_b32_e64 v4, 0, 1.0, s1
	v_mov_b32_e32 v5, 0
	global_store_b64 v[2:3], v[4:5], off
.LBB206_1635:
	s_mov_b32 s3, 0
.LBB206_1636:
	s_delay_alu instid0(SALU_CYCLE_1)
	s_and_not1_b32 vcc_lo, exec_lo, s3
	s_cbranch_vccnz .LBB206_1638
; %bb.1637:
	s_wait_xcnt 0x0
	v_cndmask_b32_e64 v1, 0, 1.0, s1
	s_delay_alu instid0(VALU_DEP_1) | instskip(NEXT) | instid1(VALU_DEP_1)
	v_cvt_f16_f32_e32 v1, v1
	v_and_b32_e32 v1, 0xffff, v1
	global_store_b32 v[2:3], v1, off
.LBB206_1638:
	s_mov_b32 s3, 0
.LBB206_1639:
	s_delay_alu instid0(SALU_CYCLE_1)
	s_and_not1_b32 vcc_lo, exec_lo, s3
	s_cbranch_vccnz .LBB206_1648
; %bb.1640:
	s_cmp_lt_i32 s2, 6
	s_mov_b32 s3, -1
	s_cbranch_scc1 .LBB206_1646
; %bb.1641:
	s_cmp_gt_i32 s2, 6
	s_cbranch_scc0 .LBB206_1643
; %bb.1642:
	s_wait_xcnt 0x0
	v_cndmask_b32_e64 v1, 0, 1, s1
	s_mov_b32 s3, 0
	s_delay_alu instid0(VALU_DEP_1)
	v_cvt_f64_u32_e32 v[4:5], v1
	global_store_b64 v[2:3], v[4:5], off
.LBB206_1643:
	s_and_not1_b32 vcc_lo, exec_lo, s3
	s_cbranch_vccnz .LBB206_1645
; %bb.1644:
	s_wait_xcnt 0x0
	v_cndmask_b32_e64 v1, 0, 1.0, s1
	global_store_b32 v[2:3], v1, off
.LBB206_1645:
	s_mov_b32 s3, 0
.LBB206_1646:
	s_delay_alu instid0(SALU_CYCLE_1)
	s_and_not1_b32 vcc_lo, exec_lo, s3
	s_cbranch_vccnz .LBB206_1648
; %bb.1647:
	s_wait_xcnt 0x0
	v_cndmask_b32_e64 v1, 0, 1.0, s1
	s_delay_alu instid0(VALU_DEP_1)
	v_cvt_f16_f32_e32 v1, v1
	global_store_b16 v[2:3], v1, off
.LBB206_1648:
	s_mov_b32 s3, 0
.LBB206_1649:
	s_delay_alu instid0(SALU_CYCLE_1)
	s_and_not1_b32 vcc_lo, exec_lo, s3
	s_cbranch_vccnz .LBB206_1665
; %bb.1650:
	s_cmp_lt_i32 s2, 2
	s_mov_b32 s3, -1
	s_cbranch_scc1 .LBB206_1660
; %bb.1651:
	s_cmp_lt_i32 s2, 3
	s_cbranch_scc1 .LBB206_1657
; %bb.1652:
	s_cmp_gt_i32 s2, 3
	s_cbranch_scc0 .LBB206_1654
; %bb.1653:
	s_mov_b32 s3, 0
	s_wait_xcnt 0x0
	v_cndmask_b32_e64 v4, 0, 1, s1
	v_mov_b32_e32 v5, s3
	global_store_b64 v[2:3], v[4:5], off
.LBB206_1654:
	s_and_not1_b32 vcc_lo, exec_lo, s3
	s_cbranch_vccnz .LBB206_1656
; %bb.1655:
	s_wait_xcnt 0x0
	v_cndmask_b32_e64 v1, 0, 1, s1
	global_store_b32 v[2:3], v1, off
.LBB206_1656:
	s_mov_b32 s3, 0
.LBB206_1657:
	s_delay_alu instid0(SALU_CYCLE_1)
	s_and_not1_b32 vcc_lo, exec_lo, s3
	s_cbranch_vccnz .LBB206_1659
; %bb.1658:
	s_wait_xcnt 0x0
	v_cndmask_b32_e64 v1, 0, 1, s1
	global_store_b16 v[2:3], v1, off
.LBB206_1659:
	s_mov_b32 s3, 0
.LBB206_1660:
	s_delay_alu instid0(SALU_CYCLE_1)
	s_and_not1_b32 vcc_lo, exec_lo, s3
	s_cbranch_vccnz .LBB206_1665
; %bb.1661:
	s_wait_xcnt 0x0
	v_cndmask_b32_e64 v1, 0, 1, s1
	s_cmp_gt_i32 s2, 0
	s_mov_b32 s1, -1
	s_cbranch_scc0 .LBB206_1663
; %bb.1662:
	s_mov_b32 s1, 0
	global_store_b8 v[2:3], v1, off
.LBB206_1663:
	s_and_not1_b32 vcc_lo, exec_lo, s1
	s_cbranch_vccnz .LBB206_1665
; %bb.1664:
	global_store_b8 v[2:3], v1, off
.LBB206_1665:
.LBB206_1666:
	s_lshl_b32 s3, s8, 7
	s_wait_xcnt 0x0
	v_dual_lshlrev_b32 v1, 16, v6 :: v_dual_add_nc_u32 v0, s3, v0
	s_cmp_lt_i32 s16, 11
	s_delay_alu instid0(VALU_DEP_1) | instskip(SKIP_3) | instid1(VALU_DEP_1)
	v_cmp_eq_f32_e32 vcc_lo, s6, v1
	v_cndmask_b32_e64 v2, 0, 1, vcc_lo
	v_cmp_neq_f32_e32 vcc_lo, s6, v1
	v_cndmask_b32_e64 v1, 0, 1, vcc_lo
	v_dual_cndmask_b32 v2, v1, v2, s0 :: v_dual_ashrrev_i32 v1, 31, v0
	s_delay_alu instid0(VALU_DEP_1) | instskip(NEXT) | instid1(VALU_DEP_2)
	v_and_b32_e32 v4, 1, v2
	v_add_nc_u64_e32 v[2:3], s[4:5], v[0:1]
	s_delay_alu instid0(VALU_DEP_2)
	v_cmp_eq_u32_e64 s1, 1, v4
	s_cbranch_scc1 .LBB206_1744
; %bb.1667:
	s_and_b32 s7, 0xffff, s16
	s_mov_b32 s10, -1
	s_mov_b32 s8, 0
	s_cmp_gt_i32 s7, 25
	s_mov_b32 s9, 0
	s_mov_b32 s2, 0
	s_cbranch_scc0 .LBB206_1700
; %bb.1668:
	s_cmp_gt_i32 s7, 28
	s_cbranch_scc0 .LBB206_1683
; %bb.1669:
	s_cmp_gt_i32 s7, 43
	;; [unrolled: 3-line block ×3, first 2 shown]
	s_cbranch_scc0 .LBB206_1673
; %bb.1671:
	s_mov_b32 s2, -1
	s_mov_b32 s10, 0
	s_cmp_eq_u32 s7, 46
	s_cbranch_scc0 .LBB206_1673
; %bb.1672:
	v_cndmask_b32_e64 v1, 0, 1.0, s1
	s_mov_b32 s2, 0
	s_mov_b32 s9, -1
	s_delay_alu instid0(VALU_DEP_1) | instskip(NEXT) | instid1(VALU_DEP_1)
	v_bfe_u32 v4, v1, 16, 1
	v_add3_u32 v1, v1, v4, 0x7fff
	s_delay_alu instid0(VALU_DEP_1)
	v_lshrrev_b32_e32 v1, 16, v1
	global_store_b32 v[2:3], v1, off
.LBB206_1673:
	s_and_b32 vcc_lo, exec_lo, s10
	s_cbranch_vccz .LBB206_1678
; %bb.1674:
	s_cmp_eq_u32 s7, 44
	s_mov_b32 s2, -1
	s_cbranch_scc0 .LBB206_1678
; %bb.1675:
	v_cndmask_b32_e64 v5, 0, 1.0, s1
	s_mov_b32 s9, exec_lo
	s_wait_xcnt 0x0
	s_delay_alu instid0(VALU_DEP_1) | instskip(NEXT) | instid1(VALU_DEP_1)
	v_dual_mov_b32 v4, 0xff :: v_dual_lshrrev_b32 v1, 23, v5
	v_cmpx_ne_u32_e32 0xff, v1
; %bb.1676:
	v_and_b32_e32 v4, 0x400000, v5
	v_and_or_b32 v5, 0x3fffff, v5, v1
	s_delay_alu instid0(VALU_DEP_2) | instskip(NEXT) | instid1(VALU_DEP_2)
	v_cmp_ne_u32_e32 vcc_lo, 0, v4
	v_cmp_ne_u32_e64 s2, 0, v5
	s_and_b32 s2, vcc_lo, s2
	s_delay_alu instid0(SALU_CYCLE_1) | instskip(NEXT) | instid1(VALU_DEP_1)
	v_cndmask_b32_e64 v4, 0, 1, s2
	v_add_nc_u32_e32 v4, v1, v4
; %bb.1677:
	s_or_b32 exec_lo, exec_lo, s9
	s_mov_b32 s2, 0
	s_mov_b32 s9, -1
	global_store_b8 v[2:3], v4, off
.LBB206_1678:
	s_mov_b32 s10, 0
.LBB206_1679:
	s_delay_alu instid0(SALU_CYCLE_1)
	s_and_b32 vcc_lo, exec_lo, s10
	s_cbranch_vccz .LBB206_1682
; %bb.1680:
	s_cmp_eq_u32 s7, 29
	s_mov_b32 s2, -1
	s_cbranch_scc0 .LBB206_1682
; %bb.1681:
	s_mov_b32 s2, 0
	s_wait_xcnt 0x0
	v_cndmask_b32_e64 v4, 0, 1, s1
	v_mov_b32_e32 v5, s2
	s_mov_b32 s9, -1
	global_store_b64 v[2:3], v[4:5], off
.LBB206_1682:
	s_mov_b32 s10, 0
.LBB206_1683:
	s_delay_alu instid0(SALU_CYCLE_1)
	s_and_b32 vcc_lo, exec_lo, s10
	s_cbranch_vccz .LBB206_1699
; %bb.1684:
	s_cmp_lt_i32 s7, 27
	s_mov_b32 s9, -1
	s_cbranch_scc1 .LBB206_1690
; %bb.1685:
	s_cmp_gt_i32 s7, 27
	s_cbranch_scc0 .LBB206_1687
; %bb.1686:
	s_wait_xcnt 0x0
	v_cndmask_b32_e64 v1, 0, 1, s1
	s_mov_b32 s9, 0
	global_store_b32 v[2:3], v1, off
.LBB206_1687:
	s_and_not1_b32 vcc_lo, exec_lo, s9
	s_cbranch_vccnz .LBB206_1689
; %bb.1688:
	s_wait_xcnt 0x0
	v_cndmask_b32_e64 v1, 0, 1, s1
	global_store_b16 v[2:3], v1, off
.LBB206_1689:
	s_mov_b32 s9, 0
.LBB206_1690:
	s_delay_alu instid0(SALU_CYCLE_1)
	s_and_not1_b32 vcc_lo, exec_lo, s9
	s_cbranch_vccnz .LBB206_1698
; %bb.1691:
	s_wait_xcnt 0x0
	v_cndmask_b32_e64 v4, 0, 1.0, s1
	v_mov_b32_e32 v5, 0x80
	s_mov_b32 s9, exec_lo
	s_delay_alu instid0(VALU_DEP_2)
	v_cmpx_gt_u32_e32 0x43800000, v4
	s_cbranch_execz .LBB206_1697
; %bb.1692:
	s_mov_b32 s10, 0
	s_mov_b32 s11, exec_lo
                                        ; implicit-def: $vgpr1
	v_cmpx_lt_u32_e32 0x3bffffff, v4
	s_xor_b32 s11, exec_lo, s11
	s_cbranch_execz .LBB206_2032
; %bb.1693:
	v_bfe_u32 v1, v4, 20, 1
	s_mov_b32 s10, exec_lo
	s_delay_alu instid0(VALU_DEP_1) | instskip(NEXT) | instid1(VALU_DEP_1)
	v_add3_u32 v1, v4, v1, 0x487ffff
                                        ; implicit-def: $vgpr4
	v_lshrrev_b32_e32 v1, 20, v1
	s_and_not1_saveexec_b32 s11, s11
	s_cbranch_execnz .LBB206_2033
.LBB206_1694:
	s_or_b32 exec_lo, exec_lo, s11
	v_mov_b32_e32 v5, 0
	s_and_saveexec_b32 s11, s10
.LBB206_1695:
	v_mov_b32_e32 v5, v1
.LBB206_1696:
	s_or_b32 exec_lo, exec_lo, s11
.LBB206_1697:
	s_delay_alu instid0(SALU_CYCLE_1)
	s_or_b32 exec_lo, exec_lo, s9
	global_store_b8 v[2:3], v5, off
.LBB206_1698:
	s_mov_b32 s9, -1
.LBB206_1699:
	s_mov_b32 s10, 0
.LBB206_1700:
	s_delay_alu instid0(SALU_CYCLE_1)
	s_and_b32 vcc_lo, exec_lo, s10
	s_cbranch_vccz .LBB206_1740
; %bb.1701:
	s_cmp_gt_i32 s7, 22
	s_mov_b32 s8, -1
	s_cbranch_scc0 .LBB206_1733
; %bb.1702:
	s_cmp_lt_i32 s7, 24
	s_cbranch_scc1 .LBB206_1722
; %bb.1703:
	s_cmp_gt_i32 s7, 24
	s_cbranch_scc0 .LBB206_1711
; %bb.1704:
	s_wait_xcnt 0x0
	v_cndmask_b32_e64 v4, 0, 1.0, s1
	v_mov_b32_e32 v5, 0x80
	s_mov_b32 s8, exec_lo
	s_delay_alu instid0(VALU_DEP_2)
	v_cmpx_gt_u32_e32 0x47800000, v4
	s_cbranch_execz .LBB206_1710
; %bb.1705:
	s_mov_b32 s9, 0
	s_mov_b32 s10, exec_lo
                                        ; implicit-def: $vgpr1
	v_cmpx_lt_u32_e32 0x37ffffff, v4
	s_xor_b32 s10, exec_lo, s10
	s_cbranch_execz .LBB206_2035
; %bb.1706:
	v_bfe_u32 v1, v4, 21, 1
	s_mov_b32 s9, exec_lo
	s_delay_alu instid0(VALU_DEP_1) | instskip(NEXT) | instid1(VALU_DEP_1)
	v_add3_u32 v1, v4, v1, 0x88fffff
                                        ; implicit-def: $vgpr4
	v_lshrrev_b32_e32 v1, 21, v1
	s_and_not1_saveexec_b32 s10, s10
	s_cbranch_execnz .LBB206_2036
.LBB206_1707:
	s_or_b32 exec_lo, exec_lo, s10
	v_mov_b32_e32 v5, 0
	s_and_saveexec_b32 s10, s9
.LBB206_1708:
	v_mov_b32_e32 v5, v1
.LBB206_1709:
	s_or_b32 exec_lo, exec_lo, s10
.LBB206_1710:
	s_delay_alu instid0(SALU_CYCLE_1)
	s_or_b32 exec_lo, exec_lo, s8
	s_mov_b32 s8, 0
	global_store_b8 v[2:3], v5, off
.LBB206_1711:
	s_and_b32 vcc_lo, exec_lo, s8
	s_cbranch_vccz .LBB206_1721
; %bb.1712:
	s_wait_xcnt 0x0
	v_cndmask_b32_e64 v4, 0, 1.0, s1
	s_mov_b32 s8, exec_lo
                                        ; implicit-def: $vgpr1
	s_delay_alu instid0(VALU_DEP_1)
	v_cmpx_gt_u32_e32 0x43f00000, v4
	s_xor_b32 s8, exec_lo, s8
	s_cbranch_execz .LBB206_1718
; %bb.1713:
	s_mov_b32 s9, exec_lo
                                        ; implicit-def: $vgpr1
	v_cmpx_lt_u32_e32 0x3c7fffff, v4
	s_xor_b32 s9, exec_lo, s9
; %bb.1714:
	v_bfe_u32 v1, v4, 20, 1
	s_delay_alu instid0(VALU_DEP_1) | instskip(NEXT) | instid1(VALU_DEP_1)
	v_add3_u32 v1, v4, v1, 0x407ffff
	v_and_b32_e32 v4, 0xff00000, v1
	v_lshrrev_b32_e32 v1, 20, v1
	s_delay_alu instid0(VALU_DEP_2) | instskip(NEXT) | instid1(VALU_DEP_2)
	v_cmp_ne_u32_e32 vcc_lo, 0x7f00000, v4
                                        ; implicit-def: $vgpr4
	v_cndmask_b32_e32 v1, 0x7e, v1, vcc_lo
; %bb.1715:
	s_and_not1_saveexec_b32 s9, s9
; %bb.1716:
	v_add_f32_e32 v1, 0x46800000, v4
; %bb.1717:
	s_or_b32 exec_lo, exec_lo, s9
                                        ; implicit-def: $vgpr4
.LBB206_1718:
	s_and_not1_saveexec_b32 s8, s8
; %bb.1719:
	v_mov_b32_e32 v1, 0x7f
	v_cmp_lt_u32_e32 vcc_lo, 0x7f800000, v4
	s_delay_alu instid0(VALU_DEP_2)
	v_cndmask_b32_e32 v1, 0x7e, v1, vcc_lo
; %bb.1720:
	s_or_b32 exec_lo, exec_lo, s8
	global_store_b8 v[2:3], v1, off
.LBB206_1721:
	s_mov_b32 s8, 0
.LBB206_1722:
	s_delay_alu instid0(SALU_CYCLE_1)
	s_and_not1_b32 vcc_lo, exec_lo, s8
	s_cbranch_vccnz .LBB206_1732
; %bb.1723:
	s_wait_xcnt 0x0
	v_cndmask_b32_e64 v4, 0, 1.0, s1
	s_mov_b32 s8, exec_lo
                                        ; implicit-def: $vgpr1
	s_delay_alu instid0(VALU_DEP_1)
	v_cmpx_gt_u32_e32 0x47800000, v4
	s_xor_b32 s8, exec_lo, s8
	s_cbranch_execz .LBB206_1729
; %bb.1724:
	s_mov_b32 s9, exec_lo
                                        ; implicit-def: $vgpr1
	v_cmpx_lt_u32_e32 0x387fffff, v4
	s_xor_b32 s9, exec_lo, s9
; %bb.1725:
	v_bfe_u32 v1, v4, 21, 1
	s_delay_alu instid0(VALU_DEP_1) | instskip(NEXT) | instid1(VALU_DEP_1)
	v_add3_u32 v1, v4, v1, 0x80fffff
                                        ; implicit-def: $vgpr4
	v_lshrrev_b32_e32 v1, 21, v1
; %bb.1726:
	s_and_not1_saveexec_b32 s9, s9
; %bb.1727:
	v_add_f32_e32 v1, 0x43000000, v4
; %bb.1728:
	s_or_b32 exec_lo, exec_lo, s9
                                        ; implicit-def: $vgpr4
.LBB206_1729:
	s_and_not1_saveexec_b32 s8, s8
; %bb.1730:
	v_mov_b32_e32 v1, 0x7f
	v_cmp_lt_u32_e32 vcc_lo, 0x7f800000, v4
	s_delay_alu instid0(VALU_DEP_2)
	v_cndmask_b32_e32 v1, 0x7c, v1, vcc_lo
; %bb.1731:
	s_or_b32 exec_lo, exec_lo, s8
	global_store_b8 v[2:3], v1, off
.LBB206_1732:
	s_mov_b32 s8, 0
	s_mov_b32 s9, -1
.LBB206_1733:
	s_and_not1_b32 vcc_lo, exec_lo, s8
	s_mov_b32 s8, 0
	s_cbranch_vccnz .LBB206_1740
; %bb.1734:
	s_cmp_gt_i32 s7, 14
	s_mov_b32 s8, -1
	s_cbranch_scc0 .LBB206_1738
; %bb.1735:
	s_cmp_eq_u32 s7, 15
	s_mov_b32 s2, -1
	s_cbranch_scc0 .LBB206_1737
; %bb.1736:
	s_wait_xcnt 0x0
	v_cndmask_b32_e64 v1, 0, 1.0, s1
	s_mov_b32 s2, 0
	s_mov_b32 s9, -1
	s_delay_alu instid0(VALU_DEP_1) | instskip(NEXT) | instid1(VALU_DEP_1)
	v_bfe_u32 v4, v1, 16, 1
	v_add3_u32 v1, v1, v4, 0x7fff
	global_store_d16_hi_b16 v[2:3], v1, off
.LBB206_1737:
	s_mov_b32 s8, 0
.LBB206_1738:
	s_delay_alu instid0(SALU_CYCLE_1)
	s_and_b32 vcc_lo, exec_lo, s8
	s_mov_b32 s8, 0
	s_cbranch_vccz .LBB206_1740
; %bb.1739:
	s_cmp_lg_u32 s7, 11
	s_mov_b32 s8, -1
	s_cselect_b32 s2, -1, 0
.LBB206_1740:
	s_delay_alu instid0(SALU_CYCLE_1)
	s_and_b32 vcc_lo, exec_lo, s2
	s_cbranch_vccnz .LBB206_2034
; %bb.1741:
	s_and_not1_b32 vcc_lo, exec_lo, s8
	s_cbranch_vccnz .LBB206_1743
.LBB206_1742:
	s_wait_xcnt 0x0
	v_cndmask_b32_e64 v1, 0, 1, s1
	s_mov_b32 s9, -1
	global_store_b8 v[2:3], v1, off
.LBB206_1743:
	s_mov_b32 s2, 0
	s_branch .LBB206_1745
.LBB206_1744:
	s_mov_b32 s2, -1
	s_mov_b32 s9, 0
.LBB206_1745:
	s_and_b32 vcc_lo, exec_lo, s2
	s_cbranch_vccz .LBB206_1784
; %bb.1746:
	s_and_b32 s2, 0xffff, s16
	s_mov_b32 s7, -1
	s_cmp_lt_i32 s2, 5
	s_cbranch_scc1 .LBB206_1767
; %bb.1747:
	s_cmp_lt_i32 s2, 8
	s_cbranch_scc1 .LBB206_1757
; %bb.1748:
	;; [unrolled: 3-line block ×3, first 2 shown]
	s_cmp_gt_i32 s2, 9
	s_cbranch_scc0 .LBB206_1751
; %bb.1750:
	s_wait_xcnt 0x0
	v_cndmask_b32_e64 v1, 0, 1, s1
	v_mov_b32_e32 v12, 0
	s_mov_b32 s7, 0
	s_delay_alu instid0(VALU_DEP_2) | instskip(NEXT) | instid1(VALU_DEP_2)
	v_cvt_f64_u32_e32 v[10:11], v1
	v_mov_b32_e32 v13, v12
	global_store_b128 v[2:3], v[10:13], off
.LBB206_1751:
	s_and_not1_b32 vcc_lo, exec_lo, s7
	s_cbranch_vccnz .LBB206_1753
; %bb.1752:
	s_wait_xcnt 0x0
	v_cndmask_b32_e64 v4, 0, 1.0, s1
	v_mov_b32_e32 v5, 0
	global_store_b64 v[2:3], v[4:5], off
.LBB206_1753:
	s_mov_b32 s7, 0
.LBB206_1754:
	s_delay_alu instid0(SALU_CYCLE_1)
	s_and_not1_b32 vcc_lo, exec_lo, s7
	s_cbranch_vccnz .LBB206_1756
; %bb.1755:
	s_wait_xcnt 0x0
	v_cndmask_b32_e64 v1, 0, 1.0, s1
	s_delay_alu instid0(VALU_DEP_1) | instskip(NEXT) | instid1(VALU_DEP_1)
	v_cvt_f16_f32_e32 v1, v1
	v_and_b32_e32 v1, 0xffff, v1
	global_store_b32 v[2:3], v1, off
.LBB206_1756:
	s_mov_b32 s7, 0
.LBB206_1757:
	s_delay_alu instid0(SALU_CYCLE_1)
	s_and_not1_b32 vcc_lo, exec_lo, s7
	s_cbranch_vccnz .LBB206_1766
; %bb.1758:
	s_cmp_lt_i32 s2, 6
	s_mov_b32 s7, -1
	s_cbranch_scc1 .LBB206_1764
; %bb.1759:
	s_cmp_gt_i32 s2, 6
	s_cbranch_scc0 .LBB206_1761
; %bb.1760:
	s_wait_xcnt 0x0
	v_cndmask_b32_e64 v1, 0, 1, s1
	s_mov_b32 s7, 0
	s_delay_alu instid0(VALU_DEP_1)
	v_cvt_f64_u32_e32 v[4:5], v1
	global_store_b64 v[2:3], v[4:5], off
.LBB206_1761:
	s_and_not1_b32 vcc_lo, exec_lo, s7
	s_cbranch_vccnz .LBB206_1763
; %bb.1762:
	s_wait_xcnt 0x0
	v_cndmask_b32_e64 v1, 0, 1.0, s1
	global_store_b32 v[2:3], v1, off
.LBB206_1763:
	s_mov_b32 s7, 0
.LBB206_1764:
	s_delay_alu instid0(SALU_CYCLE_1)
	s_and_not1_b32 vcc_lo, exec_lo, s7
	s_cbranch_vccnz .LBB206_1766
; %bb.1765:
	s_wait_xcnt 0x0
	v_cndmask_b32_e64 v1, 0, 1.0, s1
	s_delay_alu instid0(VALU_DEP_1)
	v_cvt_f16_f32_e32 v1, v1
	global_store_b16 v[2:3], v1, off
.LBB206_1766:
	s_mov_b32 s7, 0
.LBB206_1767:
	s_delay_alu instid0(SALU_CYCLE_1)
	s_and_not1_b32 vcc_lo, exec_lo, s7
	s_cbranch_vccnz .LBB206_1783
; %bb.1768:
	s_cmp_lt_i32 s2, 2
	s_mov_b32 s7, -1
	s_cbranch_scc1 .LBB206_1778
; %bb.1769:
	s_cmp_lt_i32 s2, 3
	s_cbranch_scc1 .LBB206_1775
; %bb.1770:
	s_cmp_gt_i32 s2, 3
	s_cbranch_scc0 .LBB206_1772
; %bb.1771:
	s_mov_b32 s7, 0
	s_wait_xcnt 0x0
	v_cndmask_b32_e64 v4, 0, 1, s1
	v_mov_b32_e32 v5, s7
	global_store_b64 v[2:3], v[4:5], off
.LBB206_1772:
	s_and_not1_b32 vcc_lo, exec_lo, s7
	s_cbranch_vccnz .LBB206_1774
; %bb.1773:
	s_wait_xcnt 0x0
	v_cndmask_b32_e64 v1, 0, 1, s1
	global_store_b32 v[2:3], v1, off
.LBB206_1774:
	s_mov_b32 s7, 0
.LBB206_1775:
	s_delay_alu instid0(SALU_CYCLE_1)
	s_and_not1_b32 vcc_lo, exec_lo, s7
	s_cbranch_vccnz .LBB206_1777
; %bb.1776:
	s_wait_xcnt 0x0
	v_cndmask_b32_e64 v1, 0, 1, s1
	global_store_b16 v[2:3], v1, off
.LBB206_1777:
	s_mov_b32 s7, 0
.LBB206_1778:
	s_delay_alu instid0(SALU_CYCLE_1)
	s_and_not1_b32 vcc_lo, exec_lo, s7
	s_cbranch_vccnz .LBB206_1783
; %bb.1779:
	s_wait_xcnt 0x0
	v_cndmask_b32_e64 v1, 0, 1, s1
	s_cmp_gt_i32 s2, 0
	s_mov_b32 s1, -1
	s_cbranch_scc0 .LBB206_1781
; %bb.1780:
	s_mov_b32 s1, 0
	global_store_b8 v[2:3], v1, off
.LBB206_1781:
	s_and_not1_b32 vcc_lo, exec_lo, s1
	s_cbranch_vccnz .LBB206_1783
; %bb.1782:
	global_store_b8 v[2:3], v1, off
.LBB206_1783:
	s_mov_b32 s9, -1
.LBB206_1784:
	s_delay_alu instid0(SALU_CYCLE_1)
	s_and_not1_b32 vcc_lo, exec_lo, s9
	s_cbranch_vccnz .LBB206_1980
; %bb.1785:
	s_wait_xcnt 0x0
	v_dual_lshlrev_b32 v1, 16, v7 :: v_dual_add_nc_u32 v0, s3, v0
	s_cmp_lt_i32 s16, 11
	s_delay_alu instid0(VALU_DEP_1) | instskip(SKIP_3) | instid1(VALU_DEP_1)
	v_cmp_eq_f32_e32 vcc_lo, s6, v1
	v_cndmask_b32_e64 v2, 0, 1, vcc_lo
	v_cmp_neq_f32_e32 vcc_lo, s6, v1
	v_cndmask_b32_e64 v1, 0, 1, vcc_lo
	v_dual_cndmask_b32 v2, v1, v2, s0 :: v_dual_ashrrev_i32 v1, 31, v0
	s_delay_alu instid0(VALU_DEP_1) | instskip(NEXT) | instid1(VALU_DEP_2)
	v_and_b32_e32 v4, 1, v2
	v_add_nc_u64_e32 v[2:3], s[4:5], v[0:1]
	s_delay_alu instid0(VALU_DEP_2)
	v_cmp_eq_u32_e64 s1, 1, v4
	s_cbranch_scc1 .LBB206_1863
; %bb.1786:
	s_and_b32 s7, 0xffff, s16
	s_mov_b32 s10, -1
	s_mov_b32 s8, 0
	s_cmp_gt_i32 s7, 25
	s_mov_b32 s9, 0
	s_mov_b32 s2, 0
	s_cbranch_scc0 .LBB206_1819
; %bb.1787:
	s_cmp_gt_i32 s7, 28
	s_cbranch_scc0 .LBB206_1802
; %bb.1788:
	s_cmp_gt_i32 s7, 43
	;; [unrolled: 3-line block ×3, first 2 shown]
	s_cbranch_scc0 .LBB206_1792
; %bb.1790:
	s_mov_b32 s2, -1
	s_mov_b32 s10, 0
	s_cmp_eq_u32 s7, 46
	s_cbranch_scc0 .LBB206_1792
; %bb.1791:
	v_cndmask_b32_e64 v1, 0, 1.0, s1
	s_mov_b32 s2, 0
	s_mov_b32 s9, -1
	s_delay_alu instid0(VALU_DEP_1) | instskip(NEXT) | instid1(VALU_DEP_1)
	v_bfe_u32 v4, v1, 16, 1
	v_add3_u32 v1, v1, v4, 0x7fff
	s_delay_alu instid0(VALU_DEP_1)
	v_lshrrev_b32_e32 v1, 16, v1
	global_store_b32 v[2:3], v1, off
.LBB206_1792:
	s_and_b32 vcc_lo, exec_lo, s10
	s_cbranch_vccz .LBB206_1797
; %bb.1793:
	s_cmp_eq_u32 s7, 44
	s_mov_b32 s2, -1
	s_cbranch_scc0 .LBB206_1797
; %bb.1794:
	v_cndmask_b32_e64 v5, 0, 1.0, s1
	s_mov_b32 s9, exec_lo
	s_wait_xcnt 0x0
	s_delay_alu instid0(VALU_DEP_1) | instskip(NEXT) | instid1(VALU_DEP_1)
	v_dual_mov_b32 v4, 0xff :: v_dual_lshrrev_b32 v1, 23, v5
	v_cmpx_ne_u32_e32 0xff, v1
; %bb.1795:
	v_and_b32_e32 v4, 0x400000, v5
	v_and_or_b32 v5, 0x3fffff, v5, v1
	s_delay_alu instid0(VALU_DEP_2) | instskip(NEXT) | instid1(VALU_DEP_2)
	v_cmp_ne_u32_e32 vcc_lo, 0, v4
	v_cmp_ne_u32_e64 s2, 0, v5
	s_and_b32 s2, vcc_lo, s2
	s_delay_alu instid0(SALU_CYCLE_1) | instskip(NEXT) | instid1(VALU_DEP_1)
	v_cndmask_b32_e64 v4, 0, 1, s2
	v_add_nc_u32_e32 v4, v1, v4
; %bb.1796:
	s_or_b32 exec_lo, exec_lo, s9
	s_mov_b32 s2, 0
	s_mov_b32 s9, -1
	global_store_b8 v[2:3], v4, off
.LBB206_1797:
	s_mov_b32 s10, 0
.LBB206_1798:
	s_delay_alu instid0(SALU_CYCLE_1)
	s_and_b32 vcc_lo, exec_lo, s10
	s_cbranch_vccz .LBB206_1801
; %bb.1799:
	s_cmp_eq_u32 s7, 29
	s_mov_b32 s2, -1
	s_cbranch_scc0 .LBB206_1801
; %bb.1800:
	s_mov_b32 s2, 0
	s_wait_xcnt 0x0
	v_cndmask_b32_e64 v4, 0, 1, s1
	v_mov_b32_e32 v5, s2
	s_mov_b32 s9, -1
	global_store_b64 v[2:3], v[4:5], off
.LBB206_1801:
	s_mov_b32 s10, 0
.LBB206_1802:
	s_delay_alu instid0(SALU_CYCLE_1)
	s_and_b32 vcc_lo, exec_lo, s10
	s_cbranch_vccz .LBB206_1818
; %bb.1803:
	s_cmp_lt_i32 s7, 27
	s_mov_b32 s9, -1
	s_cbranch_scc1 .LBB206_1809
; %bb.1804:
	s_cmp_gt_i32 s7, 27
	s_cbranch_scc0 .LBB206_1806
; %bb.1805:
	s_wait_xcnt 0x0
	v_cndmask_b32_e64 v1, 0, 1, s1
	s_mov_b32 s9, 0
	global_store_b32 v[2:3], v1, off
.LBB206_1806:
	s_and_not1_b32 vcc_lo, exec_lo, s9
	s_cbranch_vccnz .LBB206_1808
; %bb.1807:
	s_wait_xcnt 0x0
	v_cndmask_b32_e64 v1, 0, 1, s1
	global_store_b16 v[2:3], v1, off
.LBB206_1808:
	s_mov_b32 s9, 0
.LBB206_1809:
	s_delay_alu instid0(SALU_CYCLE_1)
	s_and_not1_b32 vcc_lo, exec_lo, s9
	s_cbranch_vccnz .LBB206_1817
; %bb.1810:
	s_wait_xcnt 0x0
	v_cndmask_b32_e64 v4, 0, 1.0, s1
	v_mov_b32_e32 v5, 0x80
	s_mov_b32 s9, exec_lo
	s_delay_alu instid0(VALU_DEP_2)
	v_cmpx_gt_u32_e32 0x43800000, v4
	s_cbranch_execz .LBB206_1816
; %bb.1811:
	s_mov_b32 s10, 0
	s_mov_b32 s11, exec_lo
                                        ; implicit-def: $vgpr1
	v_cmpx_lt_u32_e32 0x3bffffff, v4
	s_xor_b32 s11, exec_lo, s11
	s_cbranch_execz .LBB206_2037
; %bb.1812:
	v_bfe_u32 v1, v4, 20, 1
	s_mov_b32 s10, exec_lo
	s_delay_alu instid0(VALU_DEP_1) | instskip(NEXT) | instid1(VALU_DEP_1)
	v_add3_u32 v1, v4, v1, 0x487ffff
                                        ; implicit-def: $vgpr4
	v_lshrrev_b32_e32 v1, 20, v1
	s_and_not1_saveexec_b32 s11, s11
	s_cbranch_execnz .LBB206_2038
.LBB206_1813:
	s_or_b32 exec_lo, exec_lo, s11
	v_mov_b32_e32 v5, 0
	s_and_saveexec_b32 s11, s10
.LBB206_1814:
	v_mov_b32_e32 v5, v1
.LBB206_1815:
	s_or_b32 exec_lo, exec_lo, s11
.LBB206_1816:
	s_delay_alu instid0(SALU_CYCLE_1)
	s_or_b32 exec_lo, exec_lo, s9
	global_store_b8 v[2:3], v5, off
.LBB206_1817:
	s_mov_b32 s9, -1
.LBB206_1818:
	s_mov_b32 s10, 0
.LBB206_1819:
	s_delay_alu instid0(SALU_CYCLE_1)
	s_and_b32 vcc_lo, exec_lo, s10
	s_cbranch_vccz .LBB206_1859
; %bb.1820:
	s_cmp_gt_i32 s7, 22
	s_mov_b32 s8, -1
	s_cbranch_scc0 .LBB206_1852
; %bb.1821:
	s_cmp_lt_i32 s7, 24
	s_cbranch_scc1 .LBB206_1841
; %bb.1822:
	s_cmp_gt_i32 s7, 24
	s_cbranch_scc0 .LBB206_1830
; %bb.1823:
	s_wait_xcnt 0x0
	v_cndmask_b32_e64 v4, 0, 1.0, s1
	v_mov_b32_e32 v5, 0x80
	s_mov_b32 s8, exec_lo
	s_delay_alu instid0(VALU_DEP_2)
	v_cmpx_gt_u32_e32 0x47800000, v4
	s_cbranch_execz .LBB206_1829
; %bb.1824:
	s_mov_b32 s9, 0
	s_mov_b32 s10, exec_lo
                                        ; implicit-def: $vgpr1
	v_cmpx_lt_u32_e32 0x37ffffff, v4
	s_xor_b32 s10, exec_lo, s10
	s_cbranch_execz .LBB206_2040
; %bb.1825:
	v_bfe_u32 v1, v4, 21, 1
	s_mov_b32 s9, exec_lo
	s_delay_alu instid0(VALU_DEP_1) | instskip(NEXT) | instid1(VALU_DEP_1)
	v_add3_u32 v1, v4, v1, 0x88fffff
                                        ; implicit-def: $vgpr4
	v_lshrrev_b32_e32 v1, 21, v1
	s_and_not1_saveexec_b32 s10, s10
	s_cbranch_execnz .LBB206_2041
.LBB206_1826:
	s_or_b32 exec_lo, exec_lo, s10
	v_mov_b32_e32 v5, 0
	s_and_saveexec_b32 s10, s9
.LBB206_1827:
	v_mov_b32_e32 v5, v1
.LBB206_1828:
	s_or_b32 exec_lo, exec_lo, s10
.LBB206_1829:
	s_delay_alu instid0(SALU_CYCLE_1)
	s_or_b32 exec_lo, exec_lo, s8
	s_mov_b32 s8, 0
	global_store_b8 v[2:3], v5, off
.LBB206_1830:
	s_and_b32 vcc_lo, exec_lo, s8
	s_cbranch_vccz .LBB206_1840
; %bb.1831:
	s_wait_xcnt 0x0
	v_cndmask_b32_e64 v4, 0, 1.0, s1
	s_mov_b32 s8, exec_lo
                                        ; implicit-def: $vgpr1
	s_delay_alu instid0(VALU_DEP_1)
	v_cmpx_gt_u32_e32 0x43f00000, v4
	s_xor_b32 s8, exec_lo, s8
	s_cbranch_execz .LBB206_1837
; %bb.1832:
	s_mov_b32 s9, exec_lo
                                        ; implicit-def: $vgpr1
	v_cmpx_lt_u32_e32 0x3c7fffff, v4
	s_xor_b32 s9, exec_lo, s9
; %bb.1833:
	v_bfe_u32 v1, v4, 20, 1
	s_delay_alu instid0(VALU_DEP_1) | instskip(NEXT) | instid1(VALU_DEP_1)
	v_add3_u32 v1, v4, v1, 0x407ffff
	v_and_b32_e32 v4, 0xff00000, v1
	v_lshrrev_b32_e32 v1, 20, v1
	s_delay_alu instid0(VALU_DEP_2) | instskip(NEXT) | instid1(VALU_DEP_2)
	v_cmp_ne_u32_e32 vcc_lo, 0x7f00000, v4
                                        ; implicit-def: $vgpr4
	v_cndmask_b32_e32 v1, 0x7e, v1, vcc_lo
; %bb.1834:
	s_and_not1_saveexec_b32 s9, s9
; %bb.1835:
	v_add_f32_e32 v1, 0x46800000, v4
; %bb.1836:
	s_or_b32 exec_lo, exec_lo, s9
                                        ; implicit-def: $vgpr4
.LBB206_1837:
	s_and_not1_saveexec_b32 s8, s8
; %bb.1838:
	v_mov_b32_e32 v1, 0x7f
	v_cmp_lt_u32_e32 vcc_lo, 0x7f800000, v4
	s_delay_alu instid0(VALU_DEP_2)
	v_cndmask_b32_e32 v1, 0x7e, v1, vcc_lo
; %bb.1839:
	s_or_b32 exec_lo, exec_lo, s8
	global_store_b8 v[2:3], v1, off
.LBB206_1840:
	s_mov_b32 s8, 0
.LBB206_1841:
	s_delay_alu instid0(SALU_CYCLE_1)
	s_and_not1_b32 vcc_lo, exec_lo, s8
	s_cbranch_vccnz .LBB206_1851
; %bb.1842:
	s_wait_xcnt 0x0
	v_cndmask_b32_e64 v4, 0, 1.0, s1
	s_mov_b32 s8, exec_lo
                                        ; implicit-def: $vgpr1
	s_delay_alu instid0(VALU_DEP_1)
	v_cmpx_gt_u32_e32 0x47800000, v4
	s_xor_b32 s8, exec_lo, s8
	s_cbranch_execz .LBB206_1848
; %bb.1843:
	s_mov_b32 s9, exec_lo
                                        ; implicit-def: $vgpr1
	v_cmpx_lt_u32_e32 0x387fffff, v4
	s_xor_b32 s9, exec_lo, s9
; %bb.1844:
	v_bfe_u32 v1, v4, 21, 1
	s_delay_alu instid0(VALU_DEP_1) | instskip(NEXT) | instid1(VALU_DEP_1)
	v_add3_u32 v1, v4, v1, 0x80fffff
                                        ; implicit-def: $vgpr4
	v_lshrrev_b32_e32 v1, 21, v1
; %bb.1845:
	s_and_not1_saveexec_b32 s9, s9
; %bb.1846:
	v_add_f32_e32 v1, 0x43000000, v4
; %bb.1847:
	s_or_b32 exec_lo, exec_lo, s9
                                        ; implicit-def: $vgpr4
.LBB206_1848:
	s_and_not1_saveexec_b32 s8, s8
; %bb.1849:
	v_mov_b32_e32 v1, 0x7f
	v_cmp_lt_u32_e32 vcc_lo, 0x7f800000, v4
	s_delay_alu instid0(VALU_DEP_2)
	v_cndmask_b32_e32 v1, 0x7c, v1, vcc_lo
; %bb.1850:
	s_or_b32 exec_lo, exec_lo, s8
	global_store_b8 v[2:3], v1, off
.LBB206_1851:
	s_mov_b32 s8, 0
	s_mov_b32 s9, -1
.LBB206_1852:
	s_and_not1_b32 vcc_lo, exec_lo, s8
	s_mov_b32 s8, 0
	s_cbranch_vccnz .LBB206_1859
; %bb.1853:
	s_cmp_gt_i32 s7, 14
	s_mov_b32 s8, -1
	s_cbranch_scc0 .LBB206_1857
; %bb.1854:
	s_cmp_eq_u32 s7, 15
	s_mov_b32 s2, -1
	s_cbranch_scc0 .LBB206_1856
; %bb.1855:
	s_wait_xcnt 0x0
	v_cndmask_b32_e64 v1, 0, 1.0, s1
	s_mov_b32 s2, 0
	s_mov_b32 s9, -1
	s_delay_alu instid0(VALU_DEP_1) | instskip(NEXT) | instid1(VALU_DEP_1)
	v_bfe_u32 v4, v1, 16, 1
	v_add3_u32 v1, v1, v4, 0x7fff
	global_store_d16_hi_b16 v[2:3], v1, off
.LBB206_1856:
	s_mov_b32 s8, 0
.LBB206_1857:
	s_delay_alu instid0(SALU_CYCLE_1)
	s_and_b32 vcc_lo, exec_lo, s8
	s_mov_b32 s8, 0
	s_cbranch_vccz .LBB206_1859
; %bb.1858:
	s_cmp_lg_u32 s7, 11
	s_mov_b32 s8, -1
	s_cselect_b32 s2, -1, 0
.LBB206_1859:
	s_delay_alu instid0(SALU_CYCLE_1)
	s_and_b32 vcc_lo, exec_lo, s2
	s_cbranch_vccnz .LBB206_2039
; %bb.1860:
	s_and_not1_b32 vcc_lo, exec_lo, s8
	s_cbranch_vccnz .LBB206_1862
.LBB206_1861:
	s_wait_xcnt 0x0
	v_cndmask_b32_e64 v1, 0, 1, s1
	s_mov_b32 s9, -1
	global_store_b8 v[2:3], v1, off
.LBB206_1862:
	s_mov_b32 s2, 0
	s_branch .LBB206_1864
.LBB206_1863:
	s_mov_b32 s2, -1
	s_mov_b32 s9, 0
.LBB206_1864:
	s_and_b32 vcc_lo, exec_lo, s2
	s_cbranch_vccz .LBB206_1903
; %bb.1865:
	s_and_b32 s2, 0xffff, s16
	s_mov_b32 s7, -1
	s_cmp_lt_i32 s2, 5
	s_cbranch_scc1 .LBB206_1886
; %bb.1866:
	s_cmp_lt_i32 s2, 8
	s_cbranch_scc1 .LBB206_1876
; %bb.1867:
	;; [unrolled: 3-line block ×3, first 2 shown]
	s_cmp_gt_i32 s2, 9
	s_cbranch_scc0 .LBB206_1870
; %bb.1869:
	s_wait_xcnt 0x0
	v_cndmask_b32_e64 v1, 0, 1, s1
	v_mov_b32_e32 v6, 0
	s_mov_b32 s7, 0
	s_delay_alu instid0(VALU_DEP_2) | instskip(NEXT) | instid1(VALU_DEP_2)
	v_cvt_f64_u32_e32 v[4:5], v1
	v_mov_b32_e32 v7, v6
	global_store_b128 v[2:3], v[4:7], off
.LBB206_1870:
	s_and_not1_b32 vcc_lo, exec_lo, s7
	s_cbranch_vccnz .LBB206_1872
; %bb.1871:
	s_wait_xcnt 0x0
	v_cndmask_b32_e64 v4, 0, 1.0, s1
	v_mov_b32_e32 v5, 0
	global_store_b64 v[2:3], v[4:5], off
.LBB206_1872:
	s_mov_b32 s7, 0
.LBB206_1873:
	s_delay_alu instid0(SALU_CYCLE_1)
	s_and_not1_b32 vcc_lo, exec_lo, s7
	s_cbranch_vccnz .LBB206_1875
; %bb.1874:
	s_wait_xcnt 0x0
	v_cndmask_b32_e64 v1, 0, 1.0, s1
	s_delay_alu instid0(VALU_DEP_1) | instskip(NEXT) | instid1(VALU_DEP_1)
	v_cvt_f16_f32_e32 v1, v1
	v_and_b32_e32 v1, 0xffff, v1
	global_store_b32 v[2:3], v1, off
.LBB206_1875:
	s_mov_b32 s7, 0
.LBB206_1876:
	s_delay_alu instid0(SALU_CYCLE_1)
	s_and_not1_b32 vcc_lo, exec_lo, s7
	s_cbranch_vccnz .LBB206_1885
; %bb.1877:
	s_cmp_lt_i32 s2, 6
	s_mov_b32 s7, -1
	s_cbranch_scc1 .LBB206_1883
; %bb.1878:
	s_cmp_gt_i32 s2, 6
	s_cbranch_scc0 .LBB206_1880
; %bb.1879:
	s_wait_xcnt 0x0
	v_cndmask_b32_e64 v1, 0, 1, s1
	s_mov_b32 s7, 0
	s_delay_alu instid0(VALU_DEP_1)
	v_cvt_f64_u32_e32 v[4:5], v1
	global_store_b64 v[2:3], v[4:5], off
.LBB206_1880:
	s_and_not1_b32 vcc_lo, exec_lo, s7
	s_cbranch_vccnz .LBB206_1882
; %bb.1881:
	s_wait_xcnt 0x0
	v_cndmask_b32_e64 v1, 0, 1.0, s1
	global_store_b32 v[2:3], v1, off
.LBB206_1882:
	s_mov_b32 s7, 0
.LBB206_1883:
	s_delay_alu instid0(SALU_CYCLE_1)
	s_and_not1_b32 vcc_lo, exec_lo, s7
	s_cbranch_vccnz .LBB206_1885
; %bb.1884:
	s_wait_xcnt 0x0
	v_cndmask_b32_e64 v1, 0, 1.0, s1
	s_delay_alu instid0(VALU_DEP_1)
	v_cvt_f16_f32_e32 v1, v1
	global_store_b16 v[2:3], v1, off
.LBB206_1885:
	s_mov_b32 s7, 0
.LBB206_1886:
	s_delay_alu instid0(SALU_CYCLE_1)
	s_and_not1_b32 vcc_lo, exec_lo, s7
	s_cbranch_vccnz .LBB206_1902
; %bb.1887:
	s_cmp_lt_i32 s2, 2
	s_mov_b32 s7, -1
	s_cbranch_scc1 .LBB206_1897
; %bb.1888:
	s_cmp_lt_i32 s2, 3
	s_cbranch_scc1 .LBB206_1894
; %bb.1889:
	s_cmp_gt_i32 s2, 3
	s_cbranch_scc0 .LBB206_1891
; %bb.1890:
	s_mov_b32 s7, 0
	s_wait_xcnt 0x0
	v_cndmask_b32_e64 v4, 0, 1, s1
	v_mov_b32_e32 v5, s7
	global_store_b64 v[2:3], v[4:5], off
.LBB206_1891:
	s_and_not1_b32 vcc_lo, exec_lo, s7
	s_cbranch_vccnz .LBB206_1893
; %bb.1892:
	s_wait_xcnt 0x0
	v_cndmask_b32_e64 v1, 0, 1, s1
	global_store_b32 v[2:3], v1, off
.LBB206_1893:
	s_mov_b32 s7, 0
.LBB206_1894:
	s_delay_alu instid0(SALU_CYCLE_1)
	s_and_not1_b32 vcc_lo, exec_lo, s7
	s_cbranch_vccnz .LBB206_1896
; %bb.1895:
	s_wait_xcnt 0x0
	v_cndmask_b32_e64 v1, 0, 1, s1
	global_store_b16 v[2:3], v1, off
.LBB206_1896:
	s_mov_b32 s7, 0
.LBB206_1897:
	s_delay_alu instid0(SALU_CYCLE_1)
	s_and_not1_b32 vcc_lo, exec_lo, s7
	s_cbranch_vccnz .LBB206_1902
; %bb.1898:
	s_wait_xcnt 0x0
	v_cndmask_b32_e64 v1, 0, 1, s1
	s_cmp_gt_i32 s2, 0
	s_mov_b32 s1, -1
	s_cbranch_scc0 .LBB206_1900
; %bb.1899:
	s_mov_b32 s1, 0
	global_store_b8 v[2:3], v1, off
.LBB206_1900:
	s_and_not1_b32 vcc_lo, exec_lo, s1
	s_cbranch_vccnz .LBB206_1902
; %bb.1901:
	global_store_b8 v[2:3], v1, off
.LBB206_1902:
	s_mov_b32 s9, -1
.LBB206_1903:
	s_delay_alu instid0(SALU_CYCLE_1)
	s_and_not1_b32 vcc_lo, exec_lo, s9
	s_cbranch_vccnz .LBB206_1980
; %bb.1904:
	s_wait_xcnt 0x0
	v_lshlrev_b32_e32 v1, 16, v8
	s_cmp_lt_i32 s16, 11
	s_delay_alu instid0(VALU_DEP_1) | instskip(SKIP_3) | instid1(VALU_DEP_1)
	v_cmp_eq_f32_e32 vcc_lo, s6, v1
	v_cndmask_b32_e64 v2, 0, 1, vcc_lo
	v_cmp_neq_f32_e32 vcc_lo, s6, v1
	v_cndmask_b32_e64 v1, 0, 1, vcc_lo
	v_dual_add_nc_u32 v0, s3, v0 :: v_dual_cndmask_b32 v2, v1, v2, s0
	s_delay_alu instid0(VALU_DEP_1) | instskip(NEXT) | instid1(VALU_DEP_1)
	v_dual_ashrrev_i32 v1, 31, v0 :: v_dual_bitop2_b32 v2, 1, v2 bitop3:0x40
	v_add_nc_u64_e32 v[0:1], s[4:5], v[0:1]
	s_delay_alu instid0(VALU_DEP_2)
	v_cmp_eq_u32_e64 s1, 1, v2
	s_cbranch_scc1 .LBB206_2025
; %bb.1905:
	s_and_b32 s2, 0xffff, s16
	s_mov_b32 s4, -1
	s_mov_b32 s3, 0
	s_cmp_gt_i32 s2, 25
	s_mov_b32 s0, 0
	s_cbranch_scc0 .LBB206_1938
; %bb.1906:
	s_cmp_gt_i32 s2, 28
	s_cbranch_scc0 .LBB206_1922
; %bb.1907:
	s_cmp_gt_i32 s2, 43
	;; [unrolled: 3-line block ×3, first 2 shown]
	s_cbranch_scc0 .LBB206_1912
; %bb.1909:
	s_cmp_eq_u32 s2, 46
	s_mov_b32 s0, -1
	s_cbranch_scc0 .LBB206_1911
; %bb.1910:
	v_cndmask_b32_e64 v2, 0, 1.0, s1
	s_mov_b32 s0, 0
	s_delay_alu instid0(VALU_DEP_1) | instskip(NEXT) | instid1(VALU_DEP_1)
	v_bfe_u32 v3, v2, 16, 1
	v_add3_u32 v2, v2, v3, 0x7fff
	s_delay_alu instid0(VALU_DEP_1)
	v_lshrrev_b32_e32 v2, 16, v2
	global_store_b32 v[0:1], v2, off
.LBB206_1911:
	s_mov_b32 s4, 0
.LBB206_1912:
	s_delay_alu instid0(SALU_CYCLE_1)
	s_and_b32 vcc_lo, exec_lo, s4
	s_cbranch_vccz .LBB206_1917
; %bb.1913:
	s_cmp_eq_u32 s2, 44
	s_mov_b32 s0, -1
	s_cbranch_scc0 .LBB206_1917
; %bb.1914:
	v_cndmask_b32_e64 v4, 0, 1.0, s1
	s_mov_b32 s4, exec_lo
	s_wait_xcnt 0x0
	s_delay_alu instid0(VALU_DEP_1) | instskip(NEXT) | instid1(VALU_DEP_1)
	v_dual_mov_b32 v3, 0xff :: v_dual_lshrrev_b32 v2, 23, v4
	v_cmpx_ne_u32_e32 0xff, v2
; %bb.1915:
	v_and_b32_e32 v3, 0x400000, v4
	v_and_or_b32 v4, 0x3fffff, v4, v2
	s_delay_alu instid0(VALU_DEP_2) | instskip(NEXT) | instid1(VALU_DEP_2)
	v_cmp_ne_u32_e32 vcc_lo, 0, v3
	v_cmp_ne_u32_e64 s0, 0, v4
	s_and_b32 s0, vcc_lo, s0
	s_delay_alu instid0(SALU_CYCLE_1) | instskip(NEXT) | instid1(VALU_DEP_1)
	v_cndmask_b32_e64 v3, 0, 1, s0
	v_add_nc_u32_e32 v3, v2, v3
; %bb.1916:
	s_or_b32 exec_lo, exec_lo, s4
	s_mov_b32 s0, 0
	global_store_b8 v[0:1], v3, off
.LBB206_1917:
	s_mov_b32 s4, 0
.LBB206_1918:
	s_delay_alu instid0(SALU_CYCLE_1)
	s_and_b32 vcc_lo, exec_lo, s4
	s_cbranch_vccz .LBB206_1921
; %bb.1919:
	s_cmp_eq_u32 s2, 29
	s_mov_b32 s0, -1
	s_cbranch_scc0 .LBB206_1921
; %bb.1920:
	s_mov_b32 s0, 0
	s_wait_xcnt 0x0
	v_cndmask_b32_e64 v2, 0, 1, s1
	v_mov_b32_e32 v3, s0
	global_store_b64 v[0:1], v[2:3], off
.LBB206_1921:
	s_mov_b32 s4, 0
.LBB206_1922:
	s_delay_alu instid0(SALU_CYCLE_1)
	s_and_b32 vcc_lo, exec_lo, s4
	s_cbranch_vccz .LBB206_1937
; %bb.1923:
	s_cmp_lt_i32 s2, 27
	s_mov_b32 s4, -1
	s_cbranch_scc1 .LBB206_1929
; %bb.1924:
	s_wait_xcnt 0x0
	v_cndmask_b32_e64 v2, 0, 1, s1
	s_cmp_gt_i32 s2, 27
	s_cbranch_scc0 .LBB206_1926
; %bb.1925:
	s_mov_b32 s4, 0
	global_store_b32 v[0:1], v2, off
.LBB206_1926:
	s_and_not1_b32 vcc_lo, exec_lo, s4
	s_cbranch_vccnz .LBB206_1928
; %bb.1927:
	global_store_b16 v[0:1], v2, off
.LBB206_1928:
	s_mov_b32 s4, 0
.LBB206_1929:
	s_delay_alu instid0(SALU_CYCLE_1)
	s_and_not1_b32 vcc_lo, exec_lo, s4
	s_cbranch_vccnz .LBB206_1937
; %bb.1930:
	s_wait_xcnt 0x0
	v_cndmask_b32_e64 v3, 0, 1.0, s1
	v_mov_b32_e32 v4, 0x80
	s_mov_b32 s4, exec_lo
	s_delay_alu instid0(VALU_DEP_2)
	v_cmpx_gt_u32_e32 0x43800000, v3
	s_cbranch_execz .LBB206_1936
; %bb.1931:
	s_mov_b32 s5, 0
	s_mov_b32 s6, exec_lo
                                        ; implicit-def: $vgpr2
	v_cmpx_lt_u32_e32 0x3bffffff, v3
	s_xor_b32 s6, exec_lo, s6
	s_cbranch_execz .LBB206_2042
; %bb.1932:
	v_bfe_u32 v2, v3, 20, 1
	s_mov_b32 s5, exec_lo
	s_delay_alu instid0(VALU_DEP_1) | instskip(NEXT) | instid1(VALU_DEP_1)
	v_add3_u32 v2, v3, v2, 0x487ffff
                                        ; implicit-def: $vgpr3
	v_lshrrev_b32_e32 v2, 20, v2
	s_and_not1_saveexec_b32 s6, s6
	s_cbranch_execnz .LBB206_2043
.LBB206_1933:
	s_or_b32 exec_lo, exec_lo, s6
	v_mov_b32_e32 v4, 0
	s_and_saveexec_b32 s6, s5
.LBB206_1934:
	v_mov_b32_e32 v4, v2
.LBB206_1935:
	s_or_b32 exec_lo, exec_lo, s6
.LBB206_1936:
	s_delay_alu instid0(SALU_CYCLE_1)
	s_or_b32 exec_lo, exec_lo, s4
	global_store_b8 v[0:1], v4, off
.LBB206_1937:
	s_mov_b32 s4, 0
.LBB206_1938:
	s_delay_alu instid0(SALU_CYCLE_1)
	s_and_b32 vcc_lo, exec_lo, s4
	s_cbranch_vccz .LBB206_1978
; %bb.1939:
	s_cmp_gt_i32 s2, 22
	s_mov_b32 s3, -1
	s_cbranch_scc0 .LBB206_1971
; %bb.1940:
	s_cmp_lt_i32 s2, 24
	s_cbranch_scc1 .LBB206_1960
; %bb.1941:
	s_cmp_gt_i32 s2, 24
	s_cbranch_scc0 .LBB206_1949
; %bb.1942:
	s_wait_xcnt 0x0
	v_cndmask_b32_e64 v3, 0, 1.0, s1
	v_mov_b32_e32 v4, 0x80
	s_mov_b32 s3, exec_lo
	s_delay_alu instid0(VALU_DEP_2)
	v_cmpx_gt_u32_e32 0x47800000, v3
	s_cbranch_execz .LBB206_1948
; %bb.1943:
	s_mov_b32 s4, 0
	s_mov_b32 s5, exec_lo
                                        ; implicit-def: $vgpr2
	v_cmpx_lt_u32_e32 0x37ffffff, v3
	s_xor_b32 s5, exec_lo, s5
	s_cbranch_execz .LBB206_2045
; %bb.1944:
	v_bfe_u32 v2, v3, 21, 1
	s_mov_b32 s4, exec_lo
	s_delay_alu instid0(VALU_DEP_1) | instskip(NEXT) | instid1(VALU_DEP_1)
	v_add3_u32 v2, v3, v2, 0x88fffff
                                        ; implicit-def: $vgpr3
	v_lshrrev_b32_e32 v2, 21, v2
	s_and_not1_saveexec_b32 s5, s5
	s_cbranch_execnz .LBB206_2046
.LBB206_1945:
	s_or_b32 exec_lo, exec_lo, s5
	v_mov_b32_e32 v4, 0
	s_and_saveexec_b32 s5, s4
.LBB206_1946:
	v_mov_b32_e32 v4, v2
.LBB206_1947:
	s_or_b32 exec_lo, exec_lo, s5
.LBB206_1948:
	s_delay_alu instid0(SALU_CYCLE_1)
	s_or_b32 exec_lo, exec_lo, s3
	s_mov_b32 s3, 0
	global_store_b8 v[0:1], v4, off
.LBB206_1949:
	s_and_b32 vcc_lo, exec_lo, s3
	s_cbranch_vccz .LBB206_1959
; %bb.1950:
	s_wait_xcnt 0x0
	v_cndmask_b32_e64 v3, 0, 1.0, s1
	s_mov_b32 s3, exec_lo
                                        ; implicit-def: $vgpr2
	s_delay_alu instid0(VALU_DEP_1)
	v_cmpx_gt_u32_e32 0x43f00000, v3
	s_xor_b32 s3, exec_lo, s3
	s_cbranch_execz .LBB206_1956
; %bb.1951:
	s_mov_b32 s4, exec_lo
                                        ; implicit-def: $vgpr2
	v_cmpx_lt_u32_e32 0x3c7fffff, v3
	s_xor_b32 s4, exec_lo, s4
; %bb.1952:
	v_bfe_u32 v2, v3, 20, 1
	s_delay_alu instid0(VALU_DEP_1) | instskip(NEXT) | instid1(VALU_DEP_1)
	v_add3_u32 v2, v3, v2, 0x407ffff
	v_and_b32_e32 v3, 0xff00000, v2
	v_lshrrev_b32_e32 v2, 20, v2
	s_delay_alu instid0(VALU_DEP_2) | instskip(NEXT) | instid1(VALU_DEP_2)
	v_cmp_ne_u32_e32 vcc_lo, 0x7f00000, v3
                                        ; implicit-def: $vgpr3
	v_cndmask_b32_e32 v2, 0x7e, v2, vcc_lo
; %bb.1953:
	s_and_not1_saveexec_b32 s4, s4
; %bb.1954:
	v_add_f32_e32 v2, 0x46800000, v3
; %bb.1955:
	s_or_b32 exec_lo, exec_lo, s4
                                        ; implicit-def: $vgpr3
.LBB206_1956:
	s_and_not1_saveexec_b32 s3, s3
; %bb.1957:
	v_mov_b32_e32 v2, 0x7f
	v_cmp_lt_u32_e32 vcc_lo, 0x7f800000, v3
	s_delay_alu instid0(VALU_DEP_2)
	v_cndmask_b32_e32 v2, 0x7e, v2, vcc_lo
; %bb.1958:
	s_or_b32 exec_lo, exec_lo, s3
	global_store_b8 v[0:1], v2, off
.LBB206_1959:
	s_mov_b32 s3, 0
.LBB206_1960:
	s_delay_alu instid0(SALU_CYCLE_1)
	s_and_not1_b32 vcc_lo, exec_lo, s3
	s_cbranch_vccnz .LBB206_1970
; %bb.1961:
	s_wait_xcnt 0x0
	v_cndmask_b32_e64 v3, 0, 1.0, s1
	s_mov_b32 s3, exec_lo
                                        ; implicit-def: $vgpr2
	s_delay_alu instid0(VALU_DEP_1)
	v_cmpx_gt_u32_e32 0x47800000, v3
	s_xor_b32 s3, exec_lo, s3
	s_cbranch_execz .LBB206_1967
; %bb.1962:
	s_mov_b32 s4, exec_lo
                                        ; implicit-def: $vgpr2
	v_cmpx_lt_u32_e32 0x387fffff, v3
	s_xor_b32 s4, exec_lo, s4
; %bb.1963:
	v_bfe_u32 v2, v3, 21, 1
	s_delay_alu instid0(VALU_DEP_1) | instskip(NEXT) | instid1(VALU_DEP_1)
	v_add3_u32 v2, v3, v2, 0x80fffff
                                        ; implicit-def: $vgpr3
	v_lshrrev_b32_e32 v2, 21, v2
; %bb.1964:
	s_and_not1_saveexec_b32 s4, s4
; %bb.1965:
	v_add_f32_e32 v2, 0x43000000, v3
; %bb.1966:
	s_or_b32 exec_lo, exec_lo, s4
                                        ; implicit-def: $vgpr3
.LBB206_1967:
	s_and_not1_saveexec_b32 s3, s3
; %bb.1968:
	v_mov_b32_e32 v2, 0x7f
	v_cmp_lt_u32_e32 vcc_lo, 0x7f800000, v3
	s_delay_alu instid0(VALU_DEP_2)
	v_cndmask_b32_e32 v2, 0x7c, v2, vcc_lo
; %bb.1969:
	s_or_b32 exec_lo, exec_lo, s3
	global_store_b8 v[0:1], v2, off
.LBB206_1970:
	s_mov_b32 s3, 0
.LBB206_1971:
	s_delay_alu instid0(SALU_CYCLE_1)
	s_and_not1_b32 vcc_lo, exec_lo, s3
	s_mov_b32 s3, 0
	s_cbranch_vccnz .LBB206_1978
; %bb.1972:
	s_cmp_gt_i32 s2, 14
	s_mov_b32 s3, -1
	s_cbranch_scc0 .LBB206_1976
; %bb.1973:
	s_cmp_eq_u32 s2, 15
	s_mov_b32 s0, -1
	s_cbranch_scc0 .LBB206_1975
; %bb.1974:
	s_wait_xcnt 0x0
	v_cndmask_b32_e64 v2, 0, 1.0, s1
	s_mov_b32 s0, 0
	s_delay_alu instid0(VALU_DEP_1) | instskip(NEXT) | instid1(VALU_DEP_1)
	v_bfe_u32 v3, v2, 16, 1
	v_add3_u32 v2, v2, v3, 0x7fff
	global_store_d16_hi_b16 v[0:1], v2, off
.LBB206_1975:
	s_mov_b32 s3, 0
.LBB206_1976:
	s_delay_alu instid0(SALU_CYCLE_1)
	s_and_b32 vcc_lo, exec_lo, s3
	s_mov_b32 s3, 0
	s_cbranch_vccz .LBB206_1978
; %bb.1977:
	s_cmp_lg_u32 s2, 11
	s_mov_b32 s3, -1
	s_cselect_b32 s0, -1, 0
.LBB206_1978:
	s_delay_alu instid0(SALU_CYCLE_1)
	s_and_b32 vcc_lo, exec_lo, s0
	s_cbranch_vccnz .LBB206_2044
.LBB206_1979:
	s_mov_b32 s0, 0
	s_branch .LBB206_1981
.LBB206_1980:
	s_mov_b32 s0, 0
	s_mov_b32 s3, 0
                                        ; implicit-def: $sgpr1
                                        ; implicit-def: $sgpr16
                                        ; implicit-def: $vgpr0_vgpr1
.LBB206_1981:
	s_and_not1_b32 s2, s15, exec_lo
	s_and_b32 s4, s12, exec_lo
	s_and_b32 s0, s0, exec_lo
	;; [unrolled: 1-line block ×3, first 2 shown]
	s_or_b32 s15, s2, s4
.LBB206_1982:
	s_wait_xcnt 0x0
	s_or_b32 exec_lo, exec_lo, s14
	s_and_saveexec_b32 s2, s15
	s_cbranch_execz .LBB206_1985
; %bb.1983:
	; divergent unreachable
	s_or_b32 exec_lo, exec_lo, s2
	s_and_saveexec_b32 s2, s12
	s_delay_alu instid0(SALU_CYCLE_1)
	s_xor_b32 s2, exec_lo, s2
	s_cbranch_execnz .LBB206_1986
.LBB206_1984:
	s_or_b32 exec_lo, exec_lo, s2
	s_and_saveexec_b32 s2, s0
	s_cbranch_execnz .LBB206_1987
	s_branch .LBB206_2024
.LBB206_1985:
	s_or_b32 exec_lo, exec_lo, s2
	s_and_saveexec_b32 s2, s12
	s_delay_alu instid0(SALU_CYCLE_1)
	s_xor_b32 s2, exec_lo, s2
	s_cbranch_execz .LBB206_1984
.LBB206_1986:
	s_wait_loadcnt 0x0
	v_cndmask_b32_e64 v2, 0, 1, s1
	global_store_b8 v[0:1], v2, off
	s_wait_xcnt 0x0
	s_or_b32 exec_lo, exec_lo, s2
	s_and_saveexec_b32 s2, s0
	s_cbranch_execz .LBB206_2024
.LBB206_1987:
	s_sext_i32_i16 s2, s16
	s_mov_b32 s0, -1
	s_cmp_lt_i32 s2, 5
	s_cbranch_scc1 .LBB206_2008
; %bb.1988:
	s_cmp_lt_i32 s2, 8
	s_cbranch_scc1 .LBB206_1998
; %bb.1989:
	;; [unrolled: 3-line block ×3, first 2 shown]
	s_cmp_gt_i32 s2, 9
	s_cbranch_scc0 .LBB206_1992
; %bb.1991:
	s_wait_loadcnt 0x0
	v_cndmask_b32_e64 v2, 0, 1, s1
	v_mov_b32_e32 v4, 0
	s_mov_b32 s0, 0
	s_delay_alu instid0(VALU_DEP_2) | instskip(NEXT) | instid1(VALU_DEP_2)
	v_cvt_f64_u32_e32 v[2:3], v2
	v_mov_b32_e32 v5, v4
	global_store_b128 v[0:1], v[2:5], off
.LBB206_1992:
	s_and_not1_b32 vcc_lo, exec_lo, s0
	s_cbranch_vccnz .LBB206_1994
; %bb.1993:
	s_wait_loadcnt 0x0
	v_cndmask_b32_e64 v2, 0, 1.0, s1
	v_mov_b32_e32 v3, 0
	global_store_b64 v[0:1], v[2:3], off
.LBB206_1994:
	s_mov_b32 s0, 0
.LBB206_1995:
	s_delay_alu instid0(SALU_CYCLE_1)
	s_and_not1_b32 vcc_lo, exec_lo, s0
	s_cbranch_vccnz .LBB206_1997
; %bb.1996:
	s_wait_loadcnt 0x0
	v_cndmask_b32_e64 v2, 0, 1.0, s1
	s_delay_alu instid0(VALU_DEP_1) | instskip(NEXT) | instid1(VALU_DEP_1)
	v_cvt_f16_f32_e32 v2, v2
	v_and_b32_e32 v2, 0xffff, v2
	global_store_b32 v[0:1], v2, off
.LBB206_1997:
	s_mov_b32 s0, 0
.LBB206_1998:
	s_delay_alu instid0(SALU_CYCLE_1)
	s_and_not1_b32 vcc_lo, exec_lo, s0
	s_cbranch_vccnz .LBB206_2007
; %bb.1999:
	s_sext_i32_i16 s2, s16
	s_mov_b32 s0, -1
	s_cmp_lt_i32 s2, 6
	s_cbranch_scc1 .LBB206_2005
; %bb.2000:
	s_cmp_gt_i32 s2, 6
	s_cbranch_scc0 .LBB206_2002
; %bb.2001:
	s_wait_loadcnt 0x0
	v_cndmask_b32_e64 v2, 0, 1, s1
	s_mov_b32 s0, 0
	s_delay_alu instid0(VALU_DEP_1)
	v_cvt_f64_u32_e32 v[2:3], v2
	global_store_b64 v[0:1], v[2:3], off
.LBB206_2002:
	s_and_not1_b32 vcc_lo, exec_lo, s0
	s_cbranch_vccnz .LBB206_2004
; %bb.2003:
	s_wait_loadcnt 0x0
	v_cndmask_b32_e64 v2, 0, 1.0, s1
	global_store_b32 v[0:1], v2, off
.LBB206_2004:
	s_mov_b32 s0, 0
.LBB206_2005:
	s_delay_alu instid0(SALU_CYCLE_1)
	s_and_not1_b32 vcc_lo, exec_lo, s0
	s_cbranch_vccnz .LBB206_2007
; %bb.2006:
	s_wait_loadcnt 0x0
	v_cndmask_b32_e64 v2, 0, 1.0, s1
	s_delay_alu instid0(VALU_DEP_1)
	v_cvt_f16_f32_e32 v2, v2
	global_store_b16 v[0:1], v2, off
.LBB206_2007:
	s_mov_b32 s0, 0
.LBB206_2008:
	s_delay_alu instid0(SALU_CYCLE_1)
	s_and_not1_b32 vcc_lo, exec_lo, s0
	s_cbranch_vccnz .LBB206_2024
; %bb.2009:
	s_sext_i32_i16 s2, s16
	s_mov_b32 s0, -1
	s_cmp_lt_i32 s2, 2
	s_cbranch_scc1 .LBB206_2019
; %bb.2010:
	s_cmp_lt_i32 s2, 3
	s_cbranch_scc1 .LBB206_2016
; %bb.2011:
	s_cmp_gt_i32 s2, 3
	s_cbranch_scc0 .LBB206_2013
; %bb.2012:
	s_mov_b32 s0, 0
	s_wait_loadcnt 0x0
	v_cndmask_b32_e64 v2, 0, 1, s1
	v_mov_b32_e32 v3, s0
	global_store_b64 v[0:1], v[2:3], off
.LBB206_2013:
	s_and_not1_b32 vcc_lo, exec_lo, s0
	s_cbranch_vccnz .LBB206_2015
; %bb.2014:
	s_wait_loadcnt 0x0
	v_cndmask_b32_e64 v2, 0, 1, s1
	global_store_b32 v[0:1], v2, off
.LBB206_2015:
	s_mov_b32 s0, 0
.LBB206_2016:
	s_delay_alu instid0(SALU_CYCLE_1)
	s_and_not1_b32 vcc_lo, exec_lo, s0
	s_cbranch_vccnz .LBB206_2018
; %bb.2017:
	s_wait_loadcnt 0x0
	v_cndmask_b32_e64 v2, 0, 1, s1
	global_store_b16 v[0:1], v2, off
.LBB206_2018:
	s_mov_b32 s0, 0
.LBB206_2019:
	s_delay_alu instid0(SALU_CYCLE_1)
	s_and_not1_b32 vcc_lo, exec_lo, s0
	s_cbranch_vccnz .LBB206_2024
; %bb.2020:
	s_wait_loadcnt 0x0
	v_cndmask_b32_e64 v2, 0, 1, s1
	s_sext_i32_i16 s0, s16
	s_delay_alu instid0(SALU_CYCLE_1)
	s_cmp_gt_i32 s0, 0
	s_mov_b32 s0, -1
	s_cbranch_scc0 .LBB206_2022
; %bb.2021:
	s_mov_b32 s0, 0
	global_store_b8 v[0:1], v2, off
.LBB206_2022:
	s_and_not1_b32 vcc_lo, exec_lo, s0
	s_cbranch_vccnz .LBB206_2024
; %bb.2023:
	global_store_b8 v[0:1], v2, off
	s_endpgm
.LBB206_2024:
	s_endpgm
.LBB206_2025:
	s_mov_b32 s3, 0
	s_mov_b32 s0, -1
	s_branch .LBB206_1981
.LBB206_2026:
	s_or_b32 s12, s12, exec_lo
	s_trap 2
	s_cbranch_execz .LBB206_1496
	s_branch .LBB206_1497
.LBB206_2027:
	s_and_not1_saveexec_b32 s11, s11
	s_cbranch_execz .LBB206_1576
.LBB206_2028:
	v_add_f32_e32 v1, 0x46000000, v4
	s_and_not1_b32 s10, s10, exec_lo
	s_delay_alu instid0(VALU_DEP_1) | instskip(NEXT) | instid1(VALU_DEP_1)
	v_and_b32_e32 v1, 0xff, v1
	v_cmp_ne_u32_e32 vcc_lo, 0, v1
	s_and_b32 s13, vcc_lo, exec_lo
	s_delay_alu instid0(SALU_CYCLE_1)
	s_or_b32 s10, s10, s13
	s_or_b32 exec_lo, exec_lo, s11
	v_mov_b32_e32 v5, 0
	s_and_saveexec_b32 s11, s10
	s_cbranch_execnz .LBB206_1577
	s_branch .LBB206_1578
.LBB206_2029:
	s_or_b32 s12, s12, exec_lo
	s_trap 2
	s_cbranch_execz .LBB206_1624
	s_branch .LBB206_1625
.LBB206_2030:
	s_and_not1_saveexec_b32 s10, s10
	s_cbranch_execz .LBB206_1589
.LBB206_2031:
	v_add_f32_e32 v1, 0x42800000, v4
	s_and_not1_b32 s9, s9, exec_lo
	s_delay_alu instid0(VALU_DEP_1) | instskip(NEXT) | instid1(VALU_DEP_1)
	v_and_b32_e32 v1, 0xff, v1
	v_cmp_ne_u32_e32 vcc_lo, 0, v1
	s_and_b32 s11, vcc_lo, exec_lo
	s_delay_alu instid0(SALU_CYCLE_1)
	s_or_b32 s9, s9, s11
	s_or_b32 exec_lo, exec_lo, s10
	v_mov_b32_e32 v5, 0
	s_and_saveexec_b32 s10, s9
	s_cbranch_execnz .LBB206_1590
	s_branch .LBB206_1591
.LBB206_2032:
	s_and_not1_saveexec_b32 s11, s11
	s_cbranch_execz .LBB206_1694
.LBB206_2033:
	v_add_f32_e32 v1, 0x46000000, v4
	s_and_not1_b32 s10, s10, exec_lo
	s_delay_alu instid0(VALU_DEP_1) | instskip(NEXT) | instid1(VALU_DEP_1)
	v_and_b32_e32 v1, 0xff, v1
	v_cmp_ne_u32_e32 vcc_lo, 0, v1
	s_and_b32 s13, vcc_lo, exec_lo
	s_delay_alu instid0(SALU_CYCLE_1)
	s_or_b32 s10, s10, s13
	s_or_b32 exec_lo, exec_lo, s11
	v_mov_b32_e32 v5, 0
	s_and_saveexec_b32 s11, s10
	s_cbranch_execnz .LBB206_1695
	s_branch .LBB206_1696
.LBB206_2034:
	s_or_b32 s12, s12, exec_lo
	s_trap 2
	s_cbranch_execz .LBB206_1742
	s_branch .LBB206_1743
.LBB206_2035:
	s_and_not1_saveexec_b32 s10, s10
	s_cbranch_execz .LBB206_1707
.LBB206_2036:
	v_add_f32_e32 v1, 0x42800000, v4
	s_and_not1_b32 s9, s9, exec_lo
	s_delay_alu instid0(VALU_DEP_1) | instskip(NEXT) | instid1(VALU_DEP_1)
	v_and_b32_e32 v1, 0xff, v1
	v_cmp_ne_u32_e32 vcc_lo, 0, v1
	s_and_b32 s11, vcc_lo, exec_lo
	s_delay_alu instid0(SALU_CYCLE_1)
	s_or_b32 s9, s9, s11
	s_or_b32 exec_lo, exec_lo, s10
	v_mov_b32_e32 v5, 0
	s_and_saveexec_b32 s10, s9
	s_cbranch_execnz .LBB206_1708
	s_branch .LBB206_1709
.LBB206_2037:
	s_and_not1_saveexec_b32 s11, s11
	s_cbranch_execz .LBB206_1813
.LBB206_2038:
	v_add_f32_e32 v1, 0x46000000, v4
	s_and_not1_b32 s10, s10, exec_lo
	s_delay_alu instid0(VALU_DEP_1) | instskip(NEXT) | instid1(VALU_DEP_1)
	v_and_b32_e32 v1, 0xff, v1
	v_cmp_ne_u32_e32 vcc_lo, 0, v1
	s_and_b32 s13, vcc_lo, exec_lo
	s_delay_alu instid0(SALU_CYCLE_1)
	s_or_b32 s10, s10, s13
	s_or_b32 exec_lo, exec_lo, s11
	v_mov_b32_e32 v5, 0
	s_and_saveexec_b32 s11, s10
	s_cbranch_execnz .LBB206_1814
	s_branch .LBB206_1815
.LBB206_2039:
	s_or_b32 s12, s12, exec_lo
	s_trap 2
	s_cbranch_execz .LBB206_1861
	s_branch .LBB206_1862
.LBB206_2040:
	s_and_not1_saveexec_b32 s10, s10
	s_cbranch_execz .LBB206_1826
.LBB206_2041:
	v_add_f32_e32 v1, 0x42800000, v4
	s_and_not1_b32 s9, s9, exec_lo
	s_delay_alu instid0(VALU_DEP_1) | instskip(NEXT) | instid1(VALU_DEP_1)
	v_and_b32_e32 v1, 0xff, v1
	v_cmp_ne_u32_e32 vcc_lo, 0, v1
	s_and_b32 s11, vcc_lo, exec_lo
	s_delay_alu instid0(SALU_CYCLE_1)
	s_or_b32 s9, s9, s11
	s_or_b32 exec_lo, exec_lo, s10
	v_mov_b32_e32 v5, 0
	s_and_saveexec_b32 s10, s9
	s_cbranch_execnz .LBB206_1827
	s_branch .LBB206_1828
.LBB206_2042:
	s_and_not1_saveexec_b32 s6, s6
	s_cbranch_execz .LBB206_1933
.LBB206_2043:
	v_add_f32_e32 v2, 0x46000000, v3
	s_and_not1_b32 s5, s5, exec_lo
	s_delay_alu instid0(VALU_DEP_1) | instskip(NEXT) | instid1(VALU_DEP_1)
	v_and_b32_e32 v2, 0xff, v2
	v_cmp_ne_u32_e32 vcc_lo, 0, v2
	s_and_b32 s7, vcc_lo, exec_lo
	s_delay_alu instid0(SALU_CYCLE_1)
	s_or_b32 s5, s5, s7
	s_or_b32 exec_lo, exec_lo, s6
	v_mov_b32_e32 v4, 0
	s_and_saveexec_b32 s6, s5
	s_cbranch_execnz .LBB206_1934
	s_branch .LBB206_1935
.LBB206_2044:
	s_mov_b32 s3, 0
	s_or_b32 s12, s12, exec_lo
	s_trap 2
	s_branch .LBB206_1979
.LBB206_2045:
	s_and_not1_saveexec_b32 s5, s5
	s_cbranch_execz .LBB206_1945
.LBB206_2046:
	v_add_f32_e32 v2, 0x42800000, v3
	s_and_not1_b32 s4, s4, exec_lo
	s_delay_alu instid0(VALU_DEP_1) | instskip(NEXT) | instid1(VALU_DEP_1)
	v_and_b32_e32 v2, 0xff, v2
	v_cmp_ne_u32_e32 vcc_lo, 0, v2
	s_and_b32 s6, vcc_lo, exec_lo
	s_delay_alu instid0(SALU_CYCLE_1)
	s_or_b32 s4, s4, s6
	s_or_b32 exec_lo, exec_lo, s5
	v_mov_b32_e32 v4, 0
	s_and_saveexec_b32 s5, s4
	s_cbranch_execnz .LBB206_1946
	s_branch .LBB206_1947
	.section	.rodata,"a",@progbits
	.p2align	6, 0x0
	.amdhsa_kernel _ZN2at6native32elementwise_kernel_manual_unrollILi128ELi4EZNS0_15gpu_kernel_implINS0_13AUnaryFunctorIN3c108BFloat16ES5_bNS0_12_GLOBAL__N_116CompareEqFunctorIS5_EEEEEEvRNS_18TensorIteratorBaseERKT_EUlibE_EEviT1_
		.amdhsa_group_segment_fixed_size 0
		.amdhsa_private_segment_fixed_size 0
		.amdhsa_kernarg_size 48
		.amdhsa_user_sgpr_count 2
		.amdhsa_user_sgpr_dispatch_ptr 0
		.amdhsa_user_sgpr_queue_ptr 0
		.amdhsa_user_sgpr_kernarg_segment_ptr 1
		.amdhsa_user_sgpr_dispatch_id 0
		.amdhsa_user_sgpr_kernarg_preload_length 0
		.amdhsa_user_sgpr_kernarg_preload_offset 0
		.amdhsa_user_sgpr_private_segment_size 0
		.amdhsa_wavefront_size32 1
		.amdhsa_uses_dynamic_stack 0
		.amdhsa_enable_private_segment 0
		.amdhsa_system_sgpr_workgroup_id_x 1
		.amdhsa_system_sgpr_workgroup_id_y 0
		.amdhsa_system_sgpr_workgroup_id_z 0
		.amdhsa_system_sgpr_workgroup_info 0
		.amdhsa_system_vgpr_workitem_id 0
		.amdhsa_next_free_vgpr 14
		.amdhsa_next_free_sgpr 31
		.amdhsa_named_barrier_count 0
		.amdhsa_reserve_vcc 1
		.amdhsa_float_round_mode_32 0
		.amdhsa_float_round_mode_16_64 0
		.amdhsa_float_denorm_mode_32 3
		.amdhsa_float_denorm_mode_16_64 3
		.amdhsa_fp16_overflow 0
		.amdhsa_memory_ordered 1
		.amdhsa_forward_progress 1
		.amdhsa_inst_pref_size 255
		.amdhsa_round_robin_scheduling 0
		.amdhsa_exception_fp_ieee_invalid_op 0
		.amdhsa_exception_fp_denorm_src 0
		.amdhsa_exception_fp_ieee_div_zero 0
		.amdhsa_exception_fp_ieee_overflow 0
		.amdhsa_exception_fp_ieee_underflow 0
		.amdhsa_exception_fp_ieee_inexact 0
		.amdhsa_exception_int_div_zero 0
	.end_amdhsa_kernel
	.section	.text._ZN2at6native32elementwise_kernel_manual_unrollILi128ELi4EZNS0_15gpu_kernel_implINS0_13AUnaryFunctorIN3c108BFloat16ES5_bNS0_12_GLOBAL__N_116CompareEqFunctorIS5_EEEEEEvRNS_18TensorIteratorBaseERKT_EUlibE_EEviT1_,"axG",@progbits,_ZN2at6native32elementwise_kernel_manual_unrollILi128ELi4EZNS0_15gpu_kernel_implINS0_13AUnaryFunctorIN3c108BFloat16ES5_bNS0_12_GLOBAL__N_116CompareEqFunctorIS5_EEEEEEvRNS_18TensorIteratorBaseERKT_EUlibE_EEviT1_,comdat
.Lfunc_end206:
	.size	_ZN2at6native32elementwise_kernel_manual_unrollILi128ELi4EZNS0_15gpu_kernel_implINS0_13AUnaryFunctorIN3c108BFloat16ES5_bNS0_12_GLOBAL__N_116CompareEqFunctorIS5_EEEEEEvRNS_18TensorIteratorBaseERKT_EUlibE_EEviT1_, .Lfunc_end206-_ZN2at6native32elementwise_kernel_manual_unrollILi128ELi4EZNS0_15gpu_kernel_implINS0_13AUnaryFunctorIN3c108BFloat16ES5_bNS0_12_GLOBAL__N_116CompareEqFunctorIS5_EEEEEEvRNS_18TensorIteratorBaseERKT_EUlibE_EEviT1_
                                        ; -- End function
	.set _ZN2at6native32elementwise_kernel_manual_unrollILi128ELi4EZNS0_15gpu_kernel_implINS0_13AUnaryFunctorIN3c108BFloat16ES5_bNS0_12_GLOBAL__N_116CompareEqFunctorIS5_EEEEEEvRNS_18TensorIteratorBaseERKT_EUlibE_EEviT1_.num_vgpr, 14
	.set _ZN2at6native32elementwise_kernel_manual_unrollILi128ELi4EZNS0_15gpu_kernel_implINS0_13AUnaryFunctorIN3c108BFloat16ES5_bNS0_12_GLOBAL__N_116CompareEqFunctorIS5_EEEEEEvRNS_18TensorIteratorBaseERKT_EUlibE_EEviT1_.num_agpr, 0
	.set _ZN2at6native32elementwise_kernel_manual_unrollILi128ELi4EZNS0_15gpu_kernel_implINS0_13AUnaryFunctorIN3c108BFloat16ES5_bNS0_12_GLOBAL__N_116CompareEqFunctorIS5_EEEEEEvRNS_18TensorIteratorBaseERKT_EUlibE_EEviT1_.numbered_sgpr, 31
	.set _ZN2at6native32elementwise_kernel_manual_unrollILi128ELi4EZNS0_15gpu_kernel_implINS0_13AUnaryFunctorIN3c108BFloat16ES5_bNS0_12_GLOBAL__N_116CompareEqFunctorIS5_EEEEEEvRNS_18TensorIteratorBaseERKT_EUlibE_EEviT1_.num_named_barrier, 0
	.set _ZN2at6native32elementwise_kernel_manual_unrollILi128ELi4EZNS0_15gpu_kernel_implINS0_13AUnaryFunctorIN3c108BFloat16ES5_bNS0_12_GLOBAL__N_116CompareEqFunctorIS5_EEEEEEvRNS_18TensorIteratorBaseERKT_EUlibE_EEviT1_.private_seg_size, 0
	.set _ZN2at6native32elementwise_kernel_manual_unrollILi128ELi4EZNS0_15gpu_kernel_implINS0_13AUnaryFunctorIN3c108BFloat16ES5_bNS0_12_GLOBAL__N_116CompareEqFunctorIS5_EEEEEEvRNS_18TensorIteratorBaseERKT_EUlibE_EEviT1_.uses_vcc, 1
	.set _ZN2at6native32elementwise_kernel_manual_unrollILi128ELi4EZNS0_15gpu_kernel_implINS0_13AUnaryFunctorIN3c108BFloat16ES5_bNS0_12_GLOBAL__N_116CompareEqFunctorIS5_EEEEEEvRNS_18TensorIteratorBaseERKT_EUlibE_EEviT1_.uses_flat_scratch, 0
	.set _ZN2at6native32elementwise_kernel_manual_unrollILi128ELi4EZNS0_15gpu_kernel_implINS0_13AUnaryFunctorIN3c108BFloat16ES5_bNS0_12_GLOBAL__N_116CompareEqFunctorIS5_EEEEEEvRNS_18TensorIteratorBaseERKT_EUlibE_EEviT1_.has_dyn_sized_stack, 0
	.set _ZN2at6native32elementwise_kernel_manual_unrollILi128ELi4EZNS0_15gpu_kernel_implINS0_13AUnaryFunctorIN3c108BFloat16ES5_bNS0_12_GLOBAL__N_116CompareEqFunctorIS5_EEEEEEvRNS_18TensorIteratorBaseERKT_EUlibE_EEviT1_.has_recursion, 0
	.set _ZN2at6native32elementwise_kernel_manual_unrollILi128ELi4EZNS0_15gpu_kernel_implINS0_13AUnaryFunctorIN3c108BFloat16ES5_bNS0_12_GLOBAL__N_116CompareEqFunctorIS5_EEEEEEvRNS_18TensorIteratorBaseERKT_EUlibE_EEviT1_.has_indirect_call, 0
	.section	.AMDGPU.csdata,"",@progbits
; Kernel info:
; codeLenInByte = 42036
; TotalNumSgprs: 33
; NumVgprs: 14
; ScratchSize: 0
; MemoryBound: 0
; FloatMode: 240
; IeeeMode: 1
; LDSByteSize: 0 bytes/workgroup (compile time only)
; SGPRBlocks: 0
; VGPRBlocks: 0
; NumSGPRsForWavesPerEU: 33
; NumVGPRsForWavesPerEU: 14
; NamedBarCnt: 0
; Occupancy: 16
; WaveLimiterHint : 0
; COMPUTE_PGM_RSRC2:SCRATCH_EN: 0
; COMPUTE_PGM_RSRC2:USER_SGPR: 2
; COMPUTE_PGM_RSRC2:TRAP_HANDLER: 0
; COMPUTE_PGM_RSRC2:TGID_X_EN: 1
; COMPUTE_PGM_RSRC2:TGID_Y_EN: 0
; COMPUTE_PGM_RSRC2:TGID_Z_EN: 0
; COMPUTE_PGM_RSRC2:TIDIG_COMP_CNT: 0
	.section	.text._ZN2at6native32elementwise_kernel_manual_unrollILi128ELi4EZNS0_15gpu_kernel_implINS0_13AUnaryFunctorIN3c108BFloat16ES5_bNS0_12_GLOBAL__N_116CompareEqFunctorIS5_EEEEEEvRNS_18TensorIteratorBaseERKT_EUlibE0_EEviT1_,"axG",@progbits,_ZN2at6native32elementwise_kernel_manual_unrollILi128ELi4EZNS0_15gpu_kernel_implINS0_13AUnaryFunctorIN3c108BFloat16ES5_bNS0_12_GLOBAL__N_116CompareEqFunctorIS5_EEEEEEvRNS_18TensorIteratorBaseERKT_EUlibE0_EEviT1_,comdat
	.globl	_ZN2at6native32elementwise_kernel_manual_unrollILi128ELi4EZNS0_15gpu_kernel_implINS0_13AUnaryFunctorIN3c108BFloat16ES5_bNS0_12_GLOBAL__N_116CompareEqFunctorIS5_EEEEEEvRNS_18TensorIteratorBaseERKT_EUlibE0_EEviT1_ ; -- Begin function _ZN2at6native32elementwise_kernel_manual_unrollILi128ELi4EZNS0_15gpu_kernel_implINS0_13AUnaryFunctorIN3c108BFloat16ES5_bNS0_12_GLOBAL__N_116CompareEqFunctorIS5_EEEEEEvRNS_18TensorIteratorBaseERKT_EUlibE0_EEviT1_
	.p2align	8
	.type	_ZN2at6native32elementwise_kernel_manual_unrollILi128ELi4EZNS0_15gpu_kernel_implINS0_13AUnaryFunctorIN3c108BFloat16ES5_bNS0_12_GLOBAL__N_116CompareEqFunctorIS5_EEEEEEvRNS_18TensorIteratorBaseERKT_EUlibE0_EEviT1_,@function
_ZN2at6native32elementwise_kernel_manual_unrollILi128ELi4EZNS0_15gpu_kernel_implINS0_13AUnaryFunctorIN3c108BFloat16ES5_bNS0_12_GLOBAL__N_116CompareEqFunctorIS5_EEEEEEvRNS_18TensorIteratorBaseERKT_EUlibE0_EEviT1_: ; @_ZN2at6native32elementwise_kernel_manual_unrollILi128ELi4EZNS0_15gpu_kernel_implINS0_13AUnaryFunctorIN3c108BFloat16ES5_bNS0_12_GLOBAL__N_116CompareEqFunctorIS5_EEEEEEvRNS_18TensorIteratorBaseERKT_EUlibE0_EEviT1_
; %bb.0:
	s_clause 0x1
	s_load_b32 s19, s[0:1], 0x8
	s_load_b32 s39, s[0:1], 0x0
	s_bfe_u32 s2, ttmp6, 0x4000c
	s_and_b32 s3, ttmp6, 15
	s_add_co_i32 s2, s2, 1
	s_getreg_b32 s4, hwreg(HW_REG_IB_STS2, 6, 4)
	s_mul_i32 s2, ttmp9, s2
	s_mov_b32 s34, 0
	s_add_co_i32 s3, s3, s2
	s_cmp_eq_u32 s4, 0
	s_mov_b32 s28, -1
	s_cselect_b32 s2, ttmp9, s3
	s_add_nc_u64 s[20:21], s[0:1], 8
	v_lshl_or_b32 v0, s2, 9, v0
	s_mov_b32 s8, 0
	s_wait_xcnt 0x0
	s_mov_b32 s0, exec_lo
	s_delay_alu instid0(VALU_DEP_1) | instskip(SKIP_2) | instid1(SALU_CYCLE_1)
	v_or_b32_e32 v9, 0x180, v0
	s_wait_kmcnt 0x0
	s_add_co_i32 s33, s19, -1
	s_cmp_gt_u32 s33, 1
	s_cselect_b32 s35, -1, 0
	v_cmpx_le_i32_e64 s39, v9
	s_xor_b32 s36, exec_lo, s0
	s_cbranch_execz .LBB207_1096
; %bb.1:
	s_clause 0x4
	s_load_b128 s[8:11], s[20:21], 0x4
	s_load_b96 s[16:18], s[20:21], 0x158
	s_load_b64 s[2:3], s[20:21], 0x14
	s_load_b128 s[12:15], s[20:21], 0xc4
	s_load_b128 s[4:7], s[20:21], 0x148
	s_cmp_lg_u32 s19, 0
	s_mov_b32 s23, 0
	s_cselect_b32 s41, -1, 0
	s_min_u32 s40, s33, 15
	s_cmp_gt_u32 s19, 1
	s_add_nc_u64 s[26:27], s[20:21], 0xc4
	s_cselect_b32 s38, -1, 0
	s_mov_b32 s25, s23
	s_mov_b32 s43, s23
	;; [unrolled: 1-line block ×3, first 2 shown]
	s_mov_b32 s44, exec_lo
	s_wait_kmcnt 0x0
	s_mov_b32 s22, s9
	s_bfe_u32 s37, s18, 0x80008
	s_cmp_eq_u32 s16, 0
	s_mov_b32 s24, s2
	s_cselect_b32 s0, -1, 0
	s_lshl_b32 s9, s17, 16
	v_cmpx_gt_i32_e64 s39, v0
	s_cbranch_execz .LBB207_267
; %bb.2:
	s_and_not1_b32 vcc_lo, exec_lo, s35
	s_cbranch_vccnz .LBB207_8
; %bb.3:
	s_and_not1_b32 vcc_lo, exec_lo, s41
	s_cbranch_vccnz .LBB207_9
; %bb.4:
	s_add_co_i32 s1, s40, 1
	s_cmp_eq_u32 s33, 2
	s_cbranch_scc1 .LBB207_10
; %bb.5:
	v_dual_mov_b32 v2, 0 :: v_dual_mov_b32 v4, 0
	v_mov_b32_e32 v1, v0
	s_and_b32 s16, s1, 28
	s_mov_b32 s2, 0
	s_mov_b64 s[28:29], s[20:21]
	s_mov_b64 s[30:31], s[26:27]
.LBB207_6:                              ; =>This Inner Loop Header: Depth=1
	s_clause 0x1
	s_load_b256 s[48:55], s[28:29], 0x4
	s_load_b128 s[64:67], s[28:29], 0x24
	s_load_b256 s[56:63], s[30:31], 0x0
	s_add_co_i32 s2, s2, 4
	s_wait_xcnt 0x0
	s_add_nc_u64 s[28:29], s[28:29], 48
	s_cmp_lg_u32 s16, s2
	s_add_nc_u64 s[30:31], s[30:31], 32
	s_wait_kmcnt 0x0
	v_mul_hi_u32 v3, s49, v1
	s_delay_alu instid0(VALU_DEP_1) | instskip(NEXT) | instid1(VALU_DEP_1)
	v_add_nc_u32_e32 v3, v1, v3
	v_lshrrev_b32_e32 v3, s50, v3
	s_delay_alu instid0(VALU_DEP_1) | instskip(NEXT) | instid1(VALU_DEP_1)
	v_mul_hi_u32 v5, s52, v3
	v_add_nc_u32_e32 v5, v3, v5
	s_delay_alu instid0(VALU_DEP_1) | instskip(NEXT) | instid1(VALU_DEP_1)
	v_lshrrev_b32_e32 v5, s53, v5
	v_mul_hi_u32 v6, s55, v5
	s_delay_alu instid0(VALU_DEP_1) | instskip(SKIP_1) | instid1(VALU_DEP_1)
	v_add_nc_u32_e32 v6, v5, v6
	v_mul_lo_u32 v7, v3, s48
	v_sub_nc_u32_e32 v1, v1, v7
	v_mul_lo_u32 v7, v5, s51
	s_delay_alu instid0(VALU_DEP_4) | instskip(NEXT) | instid1(VALU_DEP_3)
	v_lshrrev_b32_e32 v6, s64, v6
	v_mad_u32 v4, v1, s57, v4
	v_mad_u32 v1, v1, s56, v2
	s_delay_alu instid0(VALU_DEP_4) | instskip(NEXT) | instid1(VALU_DEP_4)
	v_sub_nc_u32_e32 v2, v3, v7
	v_mul_hi_u32 v8, s66, v6
	v_mul_lo_u32 v3, v6, s54
	s_delay_alu instid0(VALU_DEP_3) | instskip(SKIP_1) | instid1(VALU_DEP_3)
	v_mad_u32 v4, v2, s59, v4
	v_mad_u32 v2, v2, s58, v1
	v_dual_add_nc_u32 v7, v6, v8 :: v_dual_sub_nc_u32 v3, v5, v3
	s_delay_alu instid0(VALU_DEP_1) | instskip(NEXT) | instid1(VALU_DEP_2)
	v_lshrrev_b32_e32 v1, s67, v7
	v_mad_u32 v4, v3, s61, v4
	s_delay_alu instid0(VALU_DEP_4) | instskip(NEXT) | instid1(VALU_DEP_3)
	v_mad_u32 v2, v3, s60, v2
	v_mul_lo_u32 v5, v1, s65
	s_delay_alu instid0(VALU_DEP_1) | instskip(NEXT) | instid1(VALU_DEP_1)
	v_sub_nc_u32_e32 v3, v6, v5
	v_mad_u32 v4, v3, s63, v4
	s_delay_alu instid0(VALU_DEP_4)
	v_mad_u32 v2, v3, s62, v2
	s_cbranch_scc1 .LBB207_6
; %bb.7:
	s_delay_alu instid0(VALU_DEP_2)
	v_mov_b32_e32 v3, v4
	s_and_b32 s1, s1, 3
	s_mov_b32 s17, 0
	s_cmp_eq_u32 s1, 0
	s_cbranch_scc0 .LBB207_11
	s_branch .LBB207_14
.LBB207_8:
                                        ; implicit-def: $vgpr4
                                        ; implicit-def: $vgpr2
	s_branch .LBB207_15
.LBB207_9:
	v_dual_mov_b32 v4, 0 :: v_dual_mov_b32 v2, 0
	s_branch .LBB207_14
.LBB207_10:
	v_mov_b64_e32 v[2:3], 0
	v_mov_b32_e32 v1, v0
	s_mov_b32 s16, 0
                                        ; implicit-def: $vgpr4
	s_and_b32 s1, s1, 3
	s_mov_b32 s17, 0
	s_cmp_eq_u32 s1, 0
	s_cbranch_scc1 .LBB207_14
.LBB207_11:
	s_lshl_b32 s28, s16, 3
	s_mov_b32 s29, s17
	s_mul_u64 s[30:31], s[16:17], 12
	s_add_nc_u64 s[28:29], s[20:21], s[28:29]
	s_delay_alu instid0(SALU_CYCLE_1)
	s_add_nc_u64 s[16:17], s[28:29], 0xc4
	s_add_nc_u64 s[28:29], s[20:21], s[30:31]
.LBB207_12:                             ; =>This Inner Loop Header: Depth=1
	s_load_b96 s[48:50], s[28:29], 0x4
	s_load_b64 s[30:31], s[16:17], 0x0
	s_add_co_i32 s1, s1, -1
	s_wait_xcnt 0x0
	s_add_nc_u64 s[28:29], s[28:29], 12
	s_cmp_lg_u32 s1, 0
	s_add_nc_u64 s[16:17], s[16:17], 8
	s_wait_kmcnt 0x0
	v_mul_hi_u32 v4, s49, v1
	s_delay_alu instid0(VALU_DEP_1) | instskip(NEXT) | instid1(VALU_DEP_1)
	v_add_nc_u32_e32 v4, v1, v4
	v_lshrrev_b32_e32 v4, s50, v4
	s_delay_alu instid0(VALU_DEP_1) | instskip(NEXT) | instid1(VALU_DEP_1)
	v_mul_lo_u32 v5, v4, s48
	v_sub_nc_u32_e32 v1, v1, v5
	s_delay_alu instid0(VALU_DEP_1)
	v_mad_u32 v3, v1, s31, v3
	v_mad_u32 v2, v1, s30, v2
	v_mov_b32_e32 v1, v4
	s_cbranch_scc1 .LBB207_12
; %bb.13:
	s_delay_alu instid0(VALU_DEP_3)
	v_mov_b32_e32 v4, v3
.LBB207_14:
	s_cbranch_execnz .LBB207_17
.LBB207_15:
	v_mov_b32_e32 v1, 0
	s_and_not1_b32 vcc_lo, exec_lo, s38
	s_delay_alu instid0(VALU_DEP_1) | instskip(NEXT) | instid1(VALU_DEP_1)
	v_mul_u64_e32 v[2:3], s[22:23], v[0:1]
	v_add_nc_u32_e32 v2, v0, v3
	s_delay_alu instid0(VALU_DEP_1) | instskip(NEXT) | instid1(VALU_DEP_1)
	v_lshrrev_b32_e32 v6, s10, v2
	v_mul_lo_u32 v2, v6, s8
	s_delay_alu instid0(VALU_DEP_1) | instskip(NEXT) | instid1(VALU_DEP_1)
	v_sub_nc_u32_e32 v2, v0, v2
	v_mul_lo_u32 v4, v2, s13
	v_mul_lo_u32 v2, v2, s12
	s_cbranch_vccnz .LBB207_17
; %bb.16:
	v_mov_b32_e32 v7, v1
	s_delay_alu instid0(VALU_DEP_1) | instskip(NEXT) | instid1(VALU_DEP_1)
	v_mul_u64_e32 v[8:9], s[24:25], v[6:7]
	v_add_nc_u32_e32 v1, v6, v9
	s_delay_alu instid0(VALU_DEP_1) | instskip(NEXT) | instid1(VALU_DEP_1)
	v_lshrrev_b32_e32 v1, s3, v1
	v_mul_lo_u32 v1, v1, s11
	s_delay_alu instid0(VALU_DEP_1) | instskip(NEXT) | instid1(VALU_DEP_1)
	v_sub_nc_u32_e32 v1, v6, v1
	v_mad_u32 v2, v1, s14, v2
	v_mad_u32 v4, v1, s15, v4
.LBB207_17:
	v_mov_b32_e32 v5, 0
	s_and_b32 s1, 0xffff, s37
	s_delay_alu instid0(SALU_CYCLE_1) | instskip(NEXT) | instid1(VALU_DEP_1)
	s_cmp_lt_i32 s1, 11
	v_add_nc_u64_e32 v[4:5], s[6:7], v[4:5]
	s_cbranch_scc1 .LBB207_24
; %bb.18:
	s_cmp_gt_i32 s1, 25
	s_cbranch_scc0 .LBB207_33
; %bb.19:
	s_cmp_gt_i32 s1, 28
	s_cbranch_scc0 .LBB207_36
	;; [unrolled: 3-line block ×4, first 2 shown]
; %bb.22:
	s_cmp_eq_u32 s1, 46
	s_mov_b32 s17, 0
	s_cbranch_scc0 .LBB207_42
; %bb.23:
	global_load_b32 v1, v[4:5], off
	s_mov_b32 s2, -1
	s_mov_b32 s16, 0
	s_branch .LBB207_44
.LBB207_24:
	s_mov_b32 s16, 0
	s_mov_b32 s2, 0
                                        ; implicit-def: $vgpr1
	s_cbranch_execnz .LBB207_217
.LBB207_25:
	s_and_not1_b32 vcc_lo, exec_lo, s2
	s_cbranch_vccnz .LBB207_264
.LBB207_26:
	s_wait_loadcnt 0x0
	s_delay_alu instid0(VALU_DEP_1) | instskip(SKIP_1) | instid1(SALU_CYCLE_1)
	v_lshlrev_b32_e32 v1, 16, v1
	s_and_b32 s17, s18, 0xff
	s_cmp_lt_i32 s17, 11
	s_delay_alu instid0(VALU_DEP_1) | instskip(SKIP_3) | instid1(VALU_DEP_1)
	v_cmp_eq_f32_e32 vcc_lo, s9, v1
	v_cndmask_b32_e64 v3, 0, 1, vcc_lo
	v_cmp_neq_f32_e32 vcc_lo, s9, v1
	v_cndmask_b32_e64 v1, 0, 1, vcc_lo
	v_dual_cndmask_b32 v1, v1, v3, s0 :: v_dual_mov_b32 v3, 0
	s_delay_alu instid0(VALU_DEP_1) | instskip(NEXT) | instid1(VALU_DEP_2)
	v_and_b32_e32 v1, 1, v1
	v_add_nc_u64_e32 v[2:3], s[4:5], v[2:3]
	s_delay_alu instid0(VALU_DEP_2)
	v_cmp_eq_u32_e64 s1, 1, v1
	s_cbranch_scc1 .LBB207_34
; %bb.27:
	s_and_b32 s28, 0xffff, s17
	s_delay_alu instid0(SALU_CYCLE_1)
	s_cmp_gt_i32 s28, 25
	s_cbranch_scc0 .LBB207_37
; %bb.28:
	s_cmp_gt_i32 s28, 28
	s_cbranch_scc0 .LBB207_39
; %bb.29:
	;; [unrolled: 3-line block ×4, first 2 shown]
	s_mov_b32 s30, 0
	s_mov_b32 s2, -1
	s_cmp_eq_u32 s28, 46
	s_mov_b32 s29, 0
	s_cbranch_scc0 .LBB207_48
; %bb.32:
	v_cndmask_b32_e64 v1, 0, 1.0, s1
	s_mov_b32 s29, -1
	s_mov_b32 s2, 0
	s_delay_alu instid0(VALU_DEP_1) | instskip(NEXT) | instid1(VALU_DEP_1)
	v_bfe_u32 v4, v1, 16, 1
	v_add3_u32 v1, v1, v4, 0x7fff
	s_delay_alu instid0(VALU_DEP_1)
	v_lshrrev_b32_e32 v1, 16, v1
	global_store_b32 v[2:3], v1, off
	s_branch .LBB207_48
.LBB207_33:
	s_mov_b32 s16, 0
	s_mov_b32 s2, 0
                                        ; implicit-def: $vgpr1
	s_cbranch_execnz .LBB207_182
	s_branch .LBB207_216
.LBB207_34:
	s_mov_b32 s2, 0
	s_mov_b32 s29, 0
	s_cbranch_execnz .LBB207_117
.LBB207_35:
	s_and_not1_b32 vcc_lo, exec_lo, s29
	s_cbranch_vccz .LBB207_155
	s_branch .LBB207_265
.LBB207_36:
	s_mov_b32 s17, -1
	s_mov_b32 s16, 0
	s_mov_b32 s2, 0
                                        ; implicit-def: $vgpr1
	s_branch .LBB207_163
.LBB207_37:
	s_mov_b32 s30, -1
	s_mov_b32 s2, 0
	s_mov_b32 s29, 0
	s_branch .LBB207_75
.LBB207_38:
	s_mov_b32 s17, -1
	s_mov_b32 s16, 0
	s_mov_b32 s2, 0
                                        ; implicit-def: $vgpr1
	s_branch .LBB207_158
.LBB207_39:
	s_mov_b32 s30, -1
	s_mov_b32 s2, 0
	s_mov_b32 s29, 0
	s_branch .LBB207_58
.LBB207_40:
	s_mov_b32 s17, -1
	s_mov_b32 s16, 0
	s_branch .LBB207_43
.LBB207_41:
	s_mov_b32 s30, -1
	s_mov_b32 s2, 0
	s_mov_b32 s29, 0
	s_branch .LBB207_54
.LBB207_42:
	s_mov_b32 s16, -1
.LBB207_43:
	s_mov_b32 s2, 0
                                        ; implicit-def: $vgpr1
.LBB207_44:
	s_and_b32 vcc_lo, exec_lo, s17
	s_cbranch_vccz .LBB207_157
; %bb.45:
	s_cmp_eq_u32 s1, 44
	s_cbranch_scc0 .LBB207_156
; %bb.46:
	s_wait_loadcnt 0x0
	global_load_u8 v1, v[4:5], off
	s_mov_b32 s16, 0
	s_mov_b32 s2, -1
	s_wait_loadcnt 0x0
	v_lshlrev_b32_e32 v3, 23, v1
	v_cmp_ne_u32_e32 vcc_lo, 0xff, v1
	s_delay_alu instid0(VALU_DEP_2) | instskip(SKIP_1) | instid1(VALU_DEP_2)
	v_cndmask_b32_e32 v3, 0x7f800001, v3, vcc_lo
	v_cmp_ne_u32_e32 vcc_lo, 0, v1
	v_cndmask_b32_e32 v1, 0x400000, v3, vcc_lo
	s_delay_alu instid0(VALU_DEP_1) | instskip(SKIP_1) | instid1(VALU_DEP_2)
	v_add_nc_u32_e32 v3, 0x7fff, v1
	v_cmp_o_f32_e32 vcc_lo, v1, v1
	v_lshrrev_b32_e32 v3, 16, v3
	s_delay_alu instid0(VALU_DEP_1)
	v_cndmask_b32_e32 v1, 0x7fc0, v3, vcc_lo
	s_branch .LBB207_157
.LBB207_47:
	s_mov_b32 s30, -1
	s_mov_b32 s2, 0
	s_mov_b32 s29, 0
.LBB207_48:
	s_and_b32 vcc_lo, exec_lo, s30
	s_cbranch_vccz .LBB207_53
; %bb.49:
	s_cmp_eq_u32 s28, 44
	s_mov_b32 s2, -1
	s_cbranch_scc0 .LBB207_53
; %bb.50:
	v_cndmask_b32_e64 v5, 0, 1.0, s1
	s_mov_b32 s29, exec_lo
	s_wait_xcnt 0x0
	s_delay_alu instid0(VALU_DEP_1) | instskip(NEXT) | instid1(VALU_DEP_1)
	v_dual_mov_b32 v4, 0xff :: v_dual_lshrrev_b32 v1, 23, v5
	v_cmpx_ne_u32_e32 0xff, v1
; %bb.51:
	v_and_b32_e32 v4, 0x400000, v5
	v_and_or_b32 v5, 0x3fffff, v5, v1
	s_delay_alu instid0(VALU_DEP_2) | instskip(NEXT) | instid1(VALU_DEP_2)
	v_cmp_ne_u32_e32 vcc_lo, 0, v4
	v_cmp_ne_u32_e64 s2, 0, v5
	s_and_b32 s2, vcc_lo, s2
	s_delay_alu instid0(SALU_CYCLE_1) | instskip(NEXT) | instid1(VALU_DEP_1)
	v_cndmask_b32_e64 v4, 0, 1, s2
	v_add_nc_u32_e32 v4, v1, v4
; %bb.52:
	s_or_b32 exec_lo, exec_lo, s29
	s_mov_b32 s29, -1
	s_mov_b32 s2, 0
	global_store_b8 v[2:3], v4, off
.LBB207_53:
	s_mov_b32 s30, 0
.LBB207_54:
	s_delay_alu instid0(SALU_CYCLE_1)
	s_and_b32 vcc_lo, exec_lo, s30
	s_cbranch_vccz .LBB207_57
; %bb.55:
	s_cmp_eq_u32 s28, 29
	s_mov_b32 s2, -1
	s_cbranch_scc0 .LBB207_57
; %bb.56:
	s_mov_b32 s2, 0
	s_wait_xcnt 0x0
	v_cndmask_b32_e64 v4, 0, 1, s1
	v_mov_b32_e32 v5, s2
	s_mov_b32 s29, -1
	s_mov_b32 s30, 0
	global_store_b64 v[2:3], v[4:5], off
	s_branch .LBB207_58
.LBB207_57:
	s_mov_b32 s30, 0
.LBB207_58:
	s_delay_alu instid0(SALU_CYCLE_1)
	s_and_b32 vcc_lo, exec_lo, s30
	s_cbranch_vccz .LBB207_74
; %bb.59:
	s_cmp_lt_i32 s28, 27
	s_mov_b32 s29, -1
	s_cbranch_scc1 .LBB207_65
; %bb.60:
	s_cmp_gt_i32 s28, 27
	s_cbranch_scc0 .LBB207_62
; %bb.61:
	s_wait_xcnt 0x0
	v_cndmask_b32_e64 v1, 0, 1, s1
	s_mov_b32 s29, 0
	global_store_b32 v[2:3], v1, off
.LBB207_62:
	s_and_not1_b32 vcc_lo, exec_lo, s29
	s_cbranch_vccnz .LBB207_64
; %bb.63:
	s_wait_xcnt 0x0
	v_cndmask_b32_e64 v1, 0, 1, s1
	global_store_b16 v[2:3], v1, off
.LBB207_64:
	s_mov_b32 s29, 0
.LBB207_65:
	s_delay_alu instid0(SALU_CYCLE_1)
	s_and_not1_b32 vcc_lo, exec_lo, s29
	s_cbranch_vccnz .LBB207_73
; %bb.66:
	s_wait_xcnt 0x0
	v_cndmask_b32_e64 v4, 0, 1.0, s1
	v_mov_b32_e32 v5, 0x80
	s_mov_b32 s29, exec_lo
	s_delay_alu instid0(VALU_DEP_2)
	v_cmpx_gt_u32_e32 0x43800000, v4
	s_cbranch_execz .LBB207_72
; %bb.67:
	s_mov_b32 s30, 0
	s_mov_b32 s31, exec_lo
                                        ; implicit-def: $vgpr1
	v_cmpx_lt_u32_e32 0x3bffffff, v4
	s_xor_b32 s31, exec_lo, s31
	s_cbranch_execz .LBB207_310
; %bb.68:
	v_bfe_u32 v1, v4, 20, 1
	s_mov_b32 s30, exec_lo
	s_delay_alu instid0(VALU_DEP_1) | instskip(NEXT) | instid1(VALU_DEP_1)
	v_add3_u32 v1, v4, v1, 0x487ffff
                                        ; implicit-def: $vgpr4
	v_lshrrev_b32_e32 v1, 20, v1
	s_and_not1_saveexec_b32 s31, s31
	s_cbranch_execnz .LBB207_311
.LBB207_69:
	s_or_b32 exec_lo, exec_lo, s31
	v_mov_b32_e32 v5, 0
	s_and_saveexec_b32 s31, s30
.LBB207_70:
	v_mov_b32_e32 v5, v1
.LBB207_71:
	s_or_b32 exec_lo, exec_lo, s31
.LBB207_72:
	s_delay_alu instid0(SALU_CYCLE_1)
	s_or_b32 exec_lo, exec_lo, s29
	global_store_b8 v[2:3], v5, off
.LBB207_73:
	s_mov_b32 s29, -1
.LBB207_74:
	s_mov_b32 s30, 0
.LBB207_75:
	s_delay_alu instid0(SALU_CYCLE_1)
	s_and_b32 vcc_lo, exec_lo, s30
	s_cbranch_vccz .LBB207_116
; %bb.76:
	s_cmp_gt_i32 s28, 22
	s_mov_b32 s30, -1
	s_cbranch_scc0 .LBB207_108
; %bb.77:
	s_cmp_lt_i32 s28, 24
	s_mov_b32 s29, -1
	s_cbranch_scc1 .LBB207_97
; %bb.78:
	s_cmp_gt_i32 s28, 24
	s_cbranch_scc0 .LBB207_86
; %bb.79:
	s_wait_xcnt 0x0
	v_cndmask_b32_e64 v4, 0, 1.0, s1
	v_mov_b32_e32 v5, 0x80
	s_mov_b32 s29, exec_lo
	s_delay_alu instid0(VALU_DEP_2)
	v_cmpx_gt_u32_e32 0x47800000, v4
	s_cbranch_execz .LBB207_85
; %bb.80:
	s_mov_b32 s30, 0
	s_mov_b32 s31, exec_lo
                                        ; implicit-def: $vgpr1
	v_cmpx_lt_u32_e32 0x37ffffff, v4
	s_xor_b32 s31, exec_lo, s31
	s_cbranch_execz .LBB207_314
; %bb.81:
	v_bfe_u32 v1, v4, 21, 1
	s_mov_b32 s30, exec_lo
	s_delay_alu instid0(VALU_DEP_1) | instskip(NEXT) | instid1(VALU_DEP_1)
	v_add3_u32 v1, v4, v1, 0x88fffff
                                        ; implicit-def: $vgpr4
	v_lshrrev_b32_e32 v1, 21, v1
	s_and_not1_saveexec_b32 s31, s31
	s_cbranch_execnz .LBB207_315
.LBB207_82:
	s_or_b32 exec_lo, exec_lo, s31
	v_mov_b32_e32 v5, 0
	s_and_saveexec_b32 s31, s30
.LBB207_83:
	v_mov_b32_e32 v5, v1
.LBB207_84:
	s_or_b32 exec_lo, exec_lo, s31
.LBB207_85:
	s_delay_alu instid0(SALU_CYCLE_1)
	s_or_b32 exec_lo, exec_lo, s29
	s_mov_b32 s29, 0
	global_store_b8 v[2:3], v5, off
.LBB207_86:
	s_and_b32 vcc_lo, exec_lo, s29
	s_cbranch_vccz .LBB207_96
; %bb.87:
	s_wait_xcnt 0x0
	v_cndmask_b32_e64 v4, 0, 1.0, s1
	s_mov_b32 s29, exec_lo
                                        ; implicit-def: $vgpr1
	s_delay_alu instid0(VALU_DEP_1)
	v_cmpx_gt_u32_e32 0x43f00000, v4
	s_xor_b32 s29, exec_lo, s29
	s_cbranch_execz .LBB207_93
; %bb.88:
	s_mov_b32 s30, exec_lo
                                        ; implicit-def: $vgpr1
	v_cmpx_lt_u32_e32 0x3c7fffff, v4
	s_xor_b32 s30, exec_lo, s30
; %bb.89:
	v_bfe_u32 v1, v4, 20, 1
	s_delay_alu instid0(VALU_DEP_1) | instskip(NEXT) | instid1(VALU_DEP_1)
	v_add3_u32 v1, v4, v1, 0x407ffff
	v_and_b32_e32 v4, 0xff00000, v1
	v_lshrrev_b32_e32 v1, 20, v1
	s_delay_alu instid0(VALU_DEP_2) | instskip(NEXT) | instid1(VALU_DEP_2)
	v_cmp_ne_u32_e32 vcc_lo, 0x7f00000, v4
                                        ; implicit-def: $vgpr4
	v_cndmask_b32_e32 v1, 0x7e, v1, vcc_lo
; %bb.90:
	s_and_not1_saveexec_b32 s30, s30
; %bb.91:
	v_add_f32_e32 v1, 0x46800000, v4
; %bb.92:
	s_or_b32 exec_lo, exec_lo, s30
                                        ; implicit-def: $vgpr4
.LBB207_93:
	s_and_not1_saveexec_b32 s29, s29
; %bb.94:
	v_mov_b32_e32 v1, 0x7f
	v_cmp_lt_u32_e32 vcc_lo, 0x7f800000, v4
	s_delay_alu instid0(VALU_DEP_2)
	v_cndmask_b32_e32 v1, 0x7e, v1, vcc_lo
; %bb.95:
	s_or_b32 exec_lo, exec_lo, s29
	global_store_b8 v[2:3], v1, off
.LBB207_96:
	s_mov_b32 s29, 0
.LBB207_97:
	s_delay_alu instid0(SALU_CYCLE_1)
	s_and_not1_b32 vcc_lo, exec_lo, s29
	s_cbranch_vccnz .LBB207_107
; %bb.98:
	s_wait_xcnt 0x0
	v_cndmask_b32_e64 v4, 0, 1.0, s1
	s_mov_b32 s29, exec_lo
                                        ; implicit-def: $vgpr1
	s_delay_alu instid0(VALU_DEP_1)
	v_cmpx_gt_u32_e32 0x47800000, v4
	s_xor_b32 s29, exec_lo, s29
	s_cbranch_execz .LBB207_104
; %bb.99:
	s_mov_b32 s30, exec_lo
                                        ; implicit-def: $vgpr1
	v_cmpx_lt_u32_e32 0x387fffff, v4
	s_xor_b32 s30, exec_lo, s30
; %bb.100:
	v_bfe_u32 v1, v4, 21, 1
	s_delay_alu instid0(VALU_DEP_1) | instskip(NEXT) | instid1(VALU_DEP_1)
	v_add3_u32 v1, v4, v1, 0x80fffff
                                        ; implicit-def: $vgpr4
	v_lshrrev_b32_e32 v1, 21, v1
; %bb.101:
	s_and_not1_saveexec_b32 s30, s30
; %bb.102:
	v_add_f32_e32 v1, 0x43000000, v4
; %bb.103:
	s_or_b32 exec_lo, exec_lo, s30
                                        ; implicit-def: $vgpr4
.LBB207_104:
	s_and_not1_saveexec_b32 s29, s29
; %bb.105:
	v_mov_b32_e32 v1, 0x7f
	v_cmp_lt_u32_e32 vcc_lo, 0x7f800000, v4
	s_delay_alu instid0(VALU_DEP_2)
	v_cndmask_b32_e32 v1, 0x7c, v1, vcc_lo
; %bb.106:
	s_or_b32 exec_lo, exec_lo, s29
	global_store_b8 v[2:3], v1, off
.LBB207_107:
	s_mov_b32 s30, 0
	s_mov_b32 s29, -1
.LBB207_108:
	s_and_not1_b32 vcc_lo, exec_lo, s30
	s_cbranch_vccnz .LBB207_116
; %bb.109:
	s_cmp_gt_i32 s28, 14
	s_mov_b32 s30, -1
	s_cbranch_scc0 .LBB207_113
; %bb.110:
	s_cmp_eq_u32 s28, 15
	s_mov_b32 s2, -1
	s_cbranch_scc0 .LBB207_112
; %bb.111:
	s_wait_xcnt 0x0
	v_cndmask_b32_e64 v1, 0, 1.0, s1
	s_mov_b32 s29, -1
	s_mov_b32 s2, 0
	s_delay_alu instid0(VALU_DEP_1) | instskip(NEXT) | instid1(VALU_DEP_1)
	v_bfe_u32 v4, v1, 16, 1
	v_add3_u32 v1, v1, v4, 0x7fff
	global_store_d16_hi_b16 v[2:3], v1, off
.LBB207_112:
	s_mov_b32 s30, 0
.LBB207_113:
	s_delay_alu instid0(SALU_CYCLE_1)
	s_and_b32 vcc_lo, exec_lo, s30
	s_cbranch_vccz .LBB207_116
; %bb.114:
	s_cmp_eq_u32 s28, 11
	s_mov_b32 s2, -1
	s_cbranch_scc0 .LBB207_116
; %bb.115:
	s_wait_xcnt 0x0
	v_cndmask_b32_e64 v1, 0, 1, s1
	s_mov_b32 s29, -1
	s_mov_b32 s2, 0
	global_store_b8 v[2:3], v1, off
.LBB207_116:
	s_branch .LBB207_35
.LBB207_117:
	s_and_b32 s17, 0xffff, s17
	s_mov_b32 s28, -1
	s_cmp_lt_i32 s17, 5
	s_cbranch_scc1 .LBB207_138
; %bb.118:
	s_cmp_lt_i32 s17, 8
	s_cbranch_scc1 .LBB207_128
; %bb.119:
	;; [unrolled: 3-line block ×3, first 2 shown]
	s_cmp_gt_i32 s17, 9
	s_cbranch_scc0 .LBB207_122
; %bb.121:
	s_wait_xcnt 0x0
	v_cndmask_b32_e64 v1, 0, 1, s1
	v_mov_b32_e32 v6, 0
	s_mov_b32 s28, 0
	s_delay_alu instid0(VALU_DEP_2) | instskip(NEXT) | instid1(VALU_DEP_2)
	v_cvt_f64_u32_e32 v[4:5], v1
	v_mov_b32_e32 v7, v6
	global_store_b128 v[2:3], v[4:7], off
.LBB207_122:
	s_and_not1_b32 vcc_lo, exec_lo, s28
	s_cbranch_vccnz .LBB207_124
; %bb.123:
	s_wait_xcnt 0x0
	v_cndmask_b32_e64 v4, 0, 1.0, s1
	v_mov_b32_e32 v5, 0
	global_store_b64 v[2:3], v[4:5], off
.LBB207_124:
	s_mov_b32 s28, 0
.LBB207_125:
	s_delay_alu instid0(SALU_CYCLE_1)
	s_and_not1_b32 vcc_lo, exec_lo, s28
	s_cbranch_vccnz .LBB207_127
; %bb.126:
	s_wait_xcnt 0x0
	v_cndmask_b32_e64 v1, 0, 1.0, s1
	s_delay_alu instid0(VALU_DEP_1) | instskip(NEXT) | instid1(VALU_DEP_1)
	v_cvt_f16_f32_e32 v1, v1
	v_and_b32_e32 v1, 0xffff, v1
	global_store_b32 v[2:3], v1, off
.LBB207_127:
	s_mov_b32 s28, 0
.LBB207_128:
	s_delay_alu instid0(SALU_CYCLE_1)
	s_and_not1_b32 vcc_lo, exec_lo, s28
	s_cbranch_vccnz .LBB207_137
; %bb.129:
	s_cmp_lt_i32 s17, 6
	s_mov_b32 s28, -1
	s_cbranch_scc1 .LBB207_135
; %bb.130:
	s_cmp_gt_i32 s17, 6
	s_cbranch_scc0 .LBB207_132
; %bb.131:
	s_wait_xcnt 0x0
	v_cndmask_b32_e64 v1, 0, 1, s1
	s_mov_b32 s28, 0
	s_delay_alu instid0(VALU_DEP_1)
	v_cvt_f64_u32_e32 v[4:5], v1
	global_store_b64 v[2:3], v[4:5], off
.LBB207_132:
	s_and_not1_b32 vcc_lo, exec_lo, s28
	s_cbranch_vccnz .LBB207_134
; %bb.133:
	s_wait_xcnt 0x0
	v_cndmask_b32_e64 v1, 0, 1.0, s1
	global_store_b32 v[2:3], v1, off
.LBB207_134:
	s_mov_b32 s28, 0
.LBB207_135:
	s_delay_alu instid0(SALU_CYCLE_1)
	s_and_not1_b32 vcc_lo, exec_lo, s28
	s_cbranch_vccnz .LBB207_137
; %bb.136:
	s_wait_xcnt 0x0
	v_cndmask_b32_e64 v1, 0, 1.0, s1
	s_delay_alu instid0(VALU_DEP_1)
	v_cvt_f16_f32_e32 v1, v1
	global_store_b16 v[2:3], v1, off
.LBB207_137:
	s_mov_b32 s28, 0
.LBB207_138:
	s_delay_alu instid0(SALU_CYCLE_1)
	s_and_not1_b32 vcc_lo, exec_lo, s28
	s_cbranch_vccnz .LBB207_154
; %bb.139:
	s_cmp_lt_i32 s17, 2
	s_mov_b32 s28, -1
	s_cbranch_scc1 .LBB207_149
; %bb.140:
	s_cmp_lt_i32 s17, 3
	s_cbranch_scc1 .LBB207_146
; %bb.141:
	s_cmp_gt_i32 s17, 3
	s_cbranch_scc0 .LBB207_143
; %bb.142:
	s_mov_b32 s28, 0
	s_wait_xcnt 0x0
	v_cndmask_b32_e64 v4, 0, 1, s1
	v_mov_b32_e32 v5, s28
	global_store_b64 v[2:3], v[4:5], off
.LBB207_143:
	s_and_not1_b32 vcc_lo, exec_lo, s28
	s_cbranch_vccnz .LBB207_145
; %bb.144:
	s_wait_xcnt 0x0
	v_cndmask_b32_e64 v1, 0, 1, s1
	global_store_b32 v[2:3], v1, off
.LBB207_145:
	s_mov_b32 s28, 0
.LBB207_146:
	s_delay_alu instid0(SALU_CYCLE_1)
	s_and_not1_b32 vcc_lo, exec_lo, s28
	s_cbranch_vccnz .LBB207_148
; %bb.147:
	s_wait_xcnt 0x0
	v_cndmask_b32_e64 v1, 0, 1, s1
	global_store_b16 v[2:3], v1, off
.LBB207_148:
	s_mov_b32 s28, 0
.LBB207_149:
	s_delay_alu instid0(SALU_CYCLE_1)
	s_and_not1_b32 vcc_lo, exec_lo, s28
	s_cbranch_vccnz .LBB207_154
; %bb.150:
	s_cmp_gt_i32 s17, 0
	s_mov_b32 s17, -1
	s_cbranch_scc0 .LBB207_152
; %bb.151:
	s_wait_xcnt 0x0
	v_cndmask_b32_e64 v1, 0, 1, s1
	s_mov_b32 s17, 0
	global_store_b8 v[2:3], v1, off
.LBB207_152:
	s_and_not1_b32 vcc_lo, exec_lo, s17
	s_cbranch_vccnz .LBB207_154
; %bb.153:
	s_wait_xcnt 0x0
	v_cndmask_b32_e64 v1, 0, 1, s1
	global_store_b8 v[2:3], v1, off
.LBB207_154:
.LBB207_155:
	v_add_nc_u32_e32 v0, 0x80, v0
	s_mov_b32 s1, -1
	s_branch .LBB207_266
.LBB207_156:
	s_mov_b32 s16, -1
                                        ; implicit-def: $vgpr1
.LBB207_157:
	s_mov_b32 s17, 0
.LBB207_158:
	s_delay_alu instid0(SALU_CYCLE_1)
	s_and_b32 vcc_lo, exec_lo, s17
	s_cbranch_vccz .LBB207_162
; %bb.159:
	s_cmp_eq_u32 s1, 29
	s_cbranch_scc0 .LBB207_161
; %bb.160:
	global_load_b64 v[6:7], v[4:5], off
	s_mov_b32 s2, -1
	s_mov_b32 s16, 0
	s_mov_b32 s17, 0
	s_wait_loadcnt 0x0
	v_clz_i32_u32_e32 v1, v7
	s_delay_alu instid0(VALU_DEP_1) | instskip(NEXT) | instid1(VALU_DEP_1)
	v_min_u32_e32 v1, 32, v1
	v_lshlrev_b64_e32 v[6:7], v1, v[6:7]
	v_sub_nc_u32_e32 v1, 32, v1
	s_delay_alu instid0(VALU_DEP_2) | instskip(NEXT) | instid1(VALU_DEP_1)
	v_min_u32_e32 v3, 1, v6
	v_or_b32_e32 v3, v7, v3
	s_delay_alu instid0(VALU_DEP_1) | instskip(NEXT) | instid1(VALU_DEP_1)
	v_cvt_f32_u32_e32 v3, v3
	v_ldexp_f32 v1, v3, v1
	s_delay_alu instid0(VALU_DEP_1) | instskip(NEXT) | instid1(VALU_DEP_1)
	v_bfe_u32 v3, v1, 16, 1
	v_add3_u32 v1, v1, v3, 0x7fff
	s_delay_alu instid0(VALU_DEP_1)
	v_lshrrev_b32_e32 v1, 16, v1
	s_branch .LBB207_163
.LBB207_161:
	s_mov_b32 s16, -1
                                        ; implicit-def: $vgpr1
.LBB207_162:
	s_mov_b32 s17, 0
.LBB207_163:
	s_delay_alu instid0(SALU_CYCLE_1)
	s_and_b32 vcc_lo, exec_lo, s17
	s_cbranch_vccz .LBB207_181
; %bb.164:
	s_cmp_lt_i32 s1, 27
	s_cbranch_scc1 .LBB207_167
; %bb.165:
	s_cmp_gt_i32 s1, 27
	s_cbranch_scc0 .LBB207_168
; %bb.166:
	s_wait_loadcnt 0x0
	global_load_b32 v1, v[4:5], off
	s_mov_b32 s2, 0
	s_wait_loadcnt 0x0
	v_cvt_f32_u32_e32 v1, v1
	s_delay_alu instid0(VALU_DEP_1) | instskip(NEXT) | instid1(VALU_DEP_1)
	v_bfe_u32 v3, v1, 16, 1
	v_add3_u32 v1, v1, v3, 0x7fff
	s_delay_alu instid0(VALU_DEP_1)
	v_lshrrev_b32_e32 v1, 16, v1
	s_branch .LBB207_169
.LBB207_167:
	s_mov_b32 s2, -1
                                        ; implicit-def: $vgpr1
	s_branch .LBB207_172
.LBB207_168:
	s_mov_b32 s2, -1
                                        ; implicit-def: $vgpr1
.LBB207_169:
	s_delay_alu instid0(SALU_CYCLE_1)
	s_and_not1_b32 vcc_lo, exec_lo, s2
	s_cbranch_vccnz .LBB207_171
; %bb.170:
	s_wait_loadcnt 0x0
	global_load_u16 v1, v[4:5], off
	s_wait_loadcnt 0x0
	v_cvt_f32_u32_e32 v1, v1
	s_delay_alu instid0(VALU_DEP_1) | instskip(NEXT) | instid1(VALU_DEP_1)
	v_bfe_u32 v3, v1, 16, 1
	v_add3_u32 v1, v1, v3, 0x7fff
	s_delay_alu instid0(VALU_DEP_1)
	v_lshrrev_b32_e32 v1, 16, v1
.LBB207_171:
	s_mov_b32 s2, 0
.LBB207_172:
	s_delay_alu instid0(SALU_CYCLE_1)
	s_and_not1_b32 vcc_lo, exec_lo, s2
	s_cbranch_vccnz .LBB207_180
; %bb.173:
	s_wait_loadcnt 0x0
	global_load_u8 v1, v[4:5], off
	s_mov_b32 s2, 0
	s_mov_b32 s17, exec_lo
	s_wait_loadcnt 0x0
	v_cmpx_lt_i16_e32 0x7f, v1
	s_xor_b32 s17, exec_lo, s17
	s_cbranch_execz .LBB207_193
; %bb.174:
	s_mov_b32 s2, -1
	s_mov_b32 s28, exec_lo
	v_cmpx_eq_u16_e32 0x80, v1
; %bb.175:
	s_xor_b32 s2, exec_lo, -1
; %bb.176:
	s_or_b32 exec_lo, exec_lo, s28
	s_delay_alu instid0(SALU_CYCLE_1)
	s_and_b32 s2, s2, exec_lo
	s_or_saveexec_b32 s17, s17
	v_mov_b32_e32 v3, 0x7f800001
	s_xor_b32 exec_lo, exec_lo, s17
	s_cbranch_execnz .LBB207_194
.LBB207_177:
	s_or_b32 exec_lo, exec_lo, s17
	s_and_saveexec_b32 s17, s2
	s_cbranch_execz .LBB207_179
.LBB207_178:
	v_and_b32_e32 v3, 0xffff, v1
	s_delay_alu instid0(VALU_DEP_1) | instskip(SKIP_1) | instid1(VALU_DEP_2)
	v_dual_lshlrev_b32 v1, 24, v1 :: v_dual_bitop2_b32 v6, 7, v3 bitop3:0x40
	v_bfe_u32 v9, v3, 3, 4
	v_and_b32_e32 v1, 0x80000000, v1
	s_delay_alu instid0(VALU_DEP_3) | instskip(NEXT) | instid1(VALU_DEP_3)
	v_clz_i32_u32_e32 v7, v6
	v_cmp_eq_u32_e32 vcc_lo, 0, v9
	s_delay_alu instid0(VALU_DEP_2) | instskip(NEXT) | instid1(VALU_DEP_1)
	v_min_u32_e32 v7, 32, v7
	v_subrev_nc_u32_e32 v8, 28, v7
	v_sub_nc_u32_e32 v7, 29, v7
	s_delay_alu instid0(VALU_DEP_2) | instskip(NEXT) | instid1(VALU_DEP_2)
	v_lshlrev_b32_e32 v3, v8, v3
	v_cndmask_b32_e32 v7, v9, v7, vcc_lo
	s_delay_alu instid0(VALU_DEP_2) | instskip(NEXT) | instid1(VALU_DEP_1)
	v_and_b32_e32 v3, 7, v3
	v_cndmask_b32_e32 v3, v6, v3, vcc_lo
	s_delay_alu instid0(VALU_DEP_3) | instskip(NEXT) | instid1(VALU_DEP_2)
	v_lshl_add_u32 v6, v7, 23, 0x3b800000
	v_lshlrev_b32_e32 v3, 20, v3
	s_delay_alu instid0(VALU_DEP_1)
	v_or3_b32 v3, v1, v6, v3
.LBB207_179:
	s_or_b32 exec_lo, exec_lo, s17
	s_delay_alu instid0(VALU_DEP_1) | instskip(SKIP_1) | instid1(VALU_DEP_2)
	v_bfe_u32 v1, v3, 16, 1
	v_cmp_o_f32_e32 vcc_lo, v3, v3
	v_add3_u32 v1, v3, v1, 0x7fff
	s_delay_alu instid0(VALU_DEP_1) | instskip(NEXT) | instid1(VALU_DEP_1)
	v_lshrrev_b32_e32 v1, 16, v1
	v_cndmask_b32_e32 v1, 0x7fc0, v1, vcc_lo
.LBB207_180:
	s_mov_b32 s2, -1
.LBB207_181:
	s_branch .LBB207_216
.LBB207_182:
	s_cmp_gt_i32 s1, 22
	s_cbranch_scc0 .LBB207_192
; %bb.183:
	s_cmp_lt_i32 s1, 24
	s_cbranch_scc1 .LBB207_195
; %bb.184:
	s_cmp_gt_i32 s1, 24
	s_cbranch_scc0 .LBB207_196
; %bb.185:
	s_wait_loadcnt 0x0
	global_load_u8 v1, v[4:5], off
	s_mov_b32 s2, 0
	s_mov_b32 s17, exec_lo
	s_wait_loadcnt 0x0
	v_cmpx_lt_i16_e32 0x7f, v1
	s_xor_b32 s17, exec_lo, s17
	s_cbranch_execz .LBB207_208
; %bb.186:
	s_mov_b32 s2, -1
	s_mov_b32 s28, exec_lo
	v_cmpx_eq_u16_e32 0x80, v1
; %bb.187:
	s_xor_b32 s2, exec_lo, -1
; %bb.188:
	s_or_b32 exec_lo, exec_lo, s28
	s_delay_alu instid0(SALU_CYCLE_1)
	s_and_b32 s2, s2, exec_lo
	s_or_saveexec_b32 s17, s17
	v_mov_b32_e32 v3, 0x7f800001
	s_xor_b32 exec_lo, exec_lo, s17
	s_cbranch_execnz .LBB207_209
.LBB207_189:
	s_or_b32 exec_lo, exec_lo, s17
	s_and_saveexec_b32 s17, s2
	s_cbranch_execz .LBB207_191
.LBB207_190:
	v_and_b32_e32 v3, 0xffff, v1
	s_delay_alu instid0(VALU_DEP_1) | instskip(SKIP_1) | instid1(VALU_DEP_2)
	v_dual_lshlrev_b32 v1, 24, v1 :: v_dual_bitop2_b32 v6, 3, v3 bitop3:0x40
	v_bfe_u32 v9, v3, 2, 5
	v_and_b32_e32 v1, 0x80000000, v1
	s_delay_alu instid0(VALU_DEP_3) | instskip(NEXT) | instid1(VALU_DEP_3)
	v_clz_i32_u32_e32 v7, v6
	v_cmp_eq_u32_e32 vcc_lo, 0, v9
	s_delay_alu instid0(VALU_DEP_2) | instskip(NEXT) | instid1(VALU_DEP_1)
	v_min_u32_e32 v7, 32, v7
	v_subrev_nc_u32_e32 v8, 29, v7
	v_sub_nc_u32_e32 v7, 30, v7
	s_delay_alu instid0(VALU_DEP_2) | instskip(NEXT) | instid1(VALU_DEP_2)
	v_lshlrev_b32_e32 v3, v8, v3
	v_cndmask_b32_e32 v7, v9, v7, vcc_lo
	s_delay_alu instid0(VALU_DEP_2) | instskip(NEXT) | instid1(VALU_DEP_1)
	v_and_b32_e32 v3, 3, v3
	v_cndmask_b32_e32 v3, v6, v3, vcc_lo
	s_delay_alu instid0(VALU_DEP_3) | instskip(NEXT) | instid1(VALU_DEP_2)
	v_lshl_add_u32 v6, v7, 23, 0x37800000
	v_lshlrev_b32_e32 v3, 21, v3
	s_delay_alu instid0(VALU_DEP_1)
	v_or3_b32 v3, v1, v6, v3
.LBB207_191:
	s_or_b32 exec_lo, exec_lo, s17
	s_delay_alu instid0(VALU_DEP_1) | instskip(SKIP_2) | instid1(VALU_DEP_2)
	v_bfe_u32 v1, v3, 16, 1
	v_cmp_o_f32_e32 vcc_lo, v3, v3
	s_mov_b32 s2, 0
	v_add3_u32 v1, v3, v1, 0x7fff
	s_delay_alu instid0(VALU_DEP_1) | instskip(NEXT) | instid1(VALU_DEP_1)
	v_lshrrev_b32_e32 v1, 16, v1
	v_cndmask_b32_e32 v1, 0x7fc0, v1, vcc_lo
	s_branch .LBB207_197
.LBB207_192:
	s_mov_b32 s17, -1
                                        ; implicit-def: $vgpr1
	s_branch .LBB207_203
.LBB207_193:
	s_or_saveexec_b32 s17, s17
	v_mov_b32_e32 v3, 0x7f800001
	s_xor_b32 exec_lo, exec_lo, s17
	s_cbranch_execz .LBB207_177
.LBB207_194:
	v_cmp_ne_u16_e32 vcc_lo, 0, v1
	v_mov_b32_e32 v3, 0
	s_and_not1_b32 s2, s2, exec_lo
	s_and_b32 s28, vcc_lo, exec_lo
	s_delay_alu instid0(SALU_CYCLE_1)
	s_or_b32 s2, s2, s28
	s_or_b32 exec_lo, exec_lo, s17
	s_and_saveexec_b32 s17, s2
	s_cbranch_execnz .LBB207_178
	s_branch .LBB207_179
.LBB207_195:
	s_mov_b32 s2, -1
                                        ; implicit-def: $vgpr1
	s_branch .LBB207_200
.LBB207_196:
	s_mov_b32 s2, -1
                                        ; implicit-def: $vgpr1
.LBB207_197:
	s_delay_alu instid0(SALU_CYCLE_1)
	s_and_b32 vcc_lo, exec_lo, s2
	s_cbranch_vccz .LBB207_199
; %bb.198:
	s_wait_loadcnt 0x0
	global_load_u8 v1, v[4:5], off
	s_wait_loadcnt 0x0
	v_lshlrev_b32_e32 v1, 24, v1
	s_delay_alu instid0(VALU_DEP_1) | instskip(NEXT) | instid1(VALU_DEP_1)
	v_and_b32_e32 v3, 0x7f000000, v1
	v_clz_i32_u32_e32 v6, v3
	v_cmp_ne_u32_e32 vcc_lo, 0, v3
	v_add_nc_u32_e32 v8, 0x1000000, v3
	s_delay_alu instid0(VALU_DEP_3) | instskip(NEXT) | instid1(VALU_DEP_1)
	v_min_u32_e32 v6, 32, v6
	v_sub_nc_u32_e64 v6, v6, 4 clamp
	s_delay_alu instid0(VALU_DEP_1) | instskip(NEXT) | instid1(VALU_DEP_1)
	v_dual_lshlrev_b32 v7, v6, v3 :: v_dual_lshlrev_b32 v6, 23, v6
	v_lshrrev_b32_e32 v7, 4, v7
	s_delay_alu instid0(VALU_DEP_1) | instskip(NEXT) | instid1(VALU_DEP_1)
	v_dual_sub_nc_u32 v6, v7, v6 :: v_dual_ashrrev_i32 v7, 8, v8
	v_add_nc_u32_e32 v6, 0x3c000000, v6
	s_delay_alu instid0(VALU_DEP_1) | instskip(NEXT) | instid1(VALU_DEP_1)
	v_and_or_b32 v6, 0x7f800000, v7, v6
	v_cndmask_b32_e32 v3, 0, v6, vcc_lo
	s_delay_alu instid0(VALU_DEP_1) | instskip(SKIP_1) | instid1(VALU_DEP_2)
	v_and_or_b32 v1, 0x80000000, v1, v3
	v_bfe_u32 v3, v3, 16, 1
	v_cmp_o_f32_e32 vcc_lo, v1, v1
	s_delay_alu instid0(VALU_DEP_2) | instskip(NEXT) | instid1(VALU_DEP_1)
	v_add3_u32 v3, v1, v3, 0x7fff
	v_lshrrev_b32_e32 v3, 16, v3
	s_delay_alu instid0(VALU_DEP_1)
	v_cndmask_b32_e32 v1, 0x7fc0, v3, vcc_lo
.LBB207_199:
	s_mov_b32 s2, 0
.LBB207_200:
	s_delay_alu instid0(SALU_CYCLE_1)
	s_and_not1_b32 vcc_lo, exec_lo, s2
	s_cbranch_vccnz .LBB207_202
; %bb.201:
	s_wait_loadcnt 0x0
	global_load_u8 v1, v[4:5], off
	s_wait_loadcnt 0x0
	v_lshlrev_b32_e32 v3, 25, v1
	v_lshlrev_b16 v1, 8, v1
	s_delay_alu instid0(VALU_DEP_1) | instskip(SKIP_1) | instid1(VALU_DEP_2)
	v_and_or_b32 v7, 0x7f00, v1, 0.5
	v_bfe_i32 v1, v1, 0, 16
	v_add_f32_e32 v7, -0.5, v7
	v_lshrrev_b32_e32 v6, 4, v3
	v_cmp_gt_u32_e32 vcc_lo, 0x8000000, v3
	s_delay_alu instid0(VALU_DEP_2) | instskip(NEXT) | instid1(VALU_DEP_1)
	v_or_b32_e32 v6, 0x70000000, v6
	v_mul_f32_e32 v6, 0x7800000, v6
	s_delay_alu instid0(VALU_DEP_1) | instskip(NEXT) | instid1(VALU_DEP_1)
	v_cndmask_b32_e32 v3, v6, v7, vcc_lo
	v_and_or_b32 v1, 0x80000000, v1, v3
	v_bfe_u32 v3, v3, 16, 1
	s_delay_alu instid0(VALU_DEP_2) | instskip(NEXT) | instid1(VALU_DEP_2)
	v_cmp_o_f32_e32 vcc_lo, v1, v1
	v_add3_u32 v3, v1, v3, 0x7fff
	s_delay_alu instid0(VALU_DEP_1) | instskip(NEXT) | instid1(VALU_DEP_1)
	v_lshrrev_b32_e32 v3, 16, v3
	v_cndmask_b32_e32 v1, 0x7fc0, v3, vcc_lo
.LBB207_202:
	s_mov_b32 s17, 0
	s_mov_b32 s2, -1
.LBB207_203:
	s_and_not1_b32 vcc_lo, exec_lo, s17
	s_cbranch_vccnz .LBB207_216
; %bb.204:
	s_cmp_gt_i32 s1, 14
	s_cbranch_scc0 .LBB207_207
; %bb.205:
	s_cmp_eq_u32 s1, 15
	s_cbranch_scc0 .LBB207_210
; %bb.206:
	s_wait_loadcnt 0x0
	global_load_u16 v1, v[4:5], off
	s_mov_b32 s2, -1
	s_mov_b32 s16, 0
	s_branch .LBB207_211
.LBB207_207:
	s_mov_b32 s17, -1
                                        ; implicit-def: $vgpr1
	s_branch .LBB207_212
.LBB207_208:
	s_or_saveexec_b32 s17, s17
	v_mov_b32_e32 v3, 0x7f800001
	s_xor_b32 exec_lo, exec_lo, s17
	s_cbranch_execz .LBB207_189
.LBB207_209:
	v_cmp_ne_u16_e32 vcc_lo, 0, v1
	v_mov_b32_e32 v3, 0
	s_and_not1_b32 s2, s2, exec_lo
	s_and_b32 s28, vcc_lo, exec_lo
	s_delay_alu instid0(SALU_CYCLE_1)
	s_or_b32 s2, s2, s28
	s_or_b32 exec_lo, exec_lo, s17
	s_and_saveexec_b32 s17, s2
	s_cbranch_execnz .LBB207_190
	s_branch .LBB207_191
.LBB207_210:
	s_mov_b32 s16, -1
                                        ; implicit-def: $vgpr1
.LBB207_211:
	s_mov_b32 s17, 0
.LBB207_212:
	s_delay_alu instid0(SALU_CYCLE_1)
	s_and_b32 vcc_lo, exec_lo, s17
	s_cbranch_vccz .LBB207_216
; %bb.213:
	s_cmp_eq_u32 s1, 11
	s_cbranch_scc0 .LBB207_215
; %bb.214:
	s_wait_loadcnt 0x0
	global_load_u8 v1, v[4:5], off
	s_mov_b32 s16, 0
	s_mov_b32 s2, -1
	s_wait_loadcnt 0x0
	v_cmp_ne_u16_e32 vcc_lo, 0, v1
	v_cndmask_b32_e64 v1, 0, 1.0, vcc_lo
	s_delay_alu instid0(VALU_DEP_1)
	v_lshrrev_b32_e32 v1, 16, v1
	s_branch .LBB207_216
.LBB207_215:
	s_mov_b32 s16, -1
                                        ; implicit-def: $vgpr1
.LBB207_216:
	s_branch .LBB207_25
.LBB207_217:
	s_cmp_lt_i32 s1, 5
	s_cbranch_scc1 .LBB207_222
; %bb.218:
	s_cmp_lt_i32 s1, 8
	s_cbranch_scc1 .LBB207_223
; %bb.219:
	;; [unrolled: 3-line block ×3, first 2 shown]
	s_cmp_gt_i32 s1, 9
	s_cbranch_scc0 .LBB207_225
; %bb.221:
	global_load_b64 v[6:7], v[4:5], off
	s_mov_b32 s2, 0
	s_wait_loadcnt 0x0
	v_cvt_f32_f64_e32 v1, v[6:7]
	s_delay_alu instid0(VALU_DEP_1) | instskip(SKIP_1) | instid1(VALU_DEP_2)
	v_bfe_u32 v3, v1, 16, 1
	v_cmp_o_f32_e32 vcc_lo, v1, v1
	v_add3_u32 v3, v1, v3, 0x7fff
	s_delay_alu instid0(VALU_DEP_1) | instskip(NEXT) | instid1(VALU_DEP_1)
	v_lshrrev_b32_e32 v3, 16, v3
	v_cndmask_b32_e32 v1, 0x7fc0, v3, vcc_lo
	s_branch .LBB207_226
.LBB207_222:
                                        ; implicit-def: $vgpr1
	s_branch .LBB207_244
.LBB207_223:
	s_mov_b32 s2, -1
                                        ; implicit-def: $vgpr1
	s_branch .LBB207_232
.LBB207_224:
	s_mov_b32 s2, -1
                                        ; implicit-def: $vgpr1
	s_branch .LBB207_229
.LBB207_225:
	s_mov_b32 s2, -1
                                        ; implicit-def: $vgpr1
.LBB207_226:
	s_delay_alu instid0(SALU_CYCLE_1)
	s_and_not1_b32 vcc_lo, exec_lo, s2
	s_cbranch_vccnz .LBB207_228
; %bb.227:
	s_wait_loadcnt 0x0
	global_load_b32 v1, v[4:5], off
	s_wait_loadcnt 0x0
	v_bfe_u32 v3, v1, 16, 1
	v_cmp_o_f32_e32 vcc_lo, v1, v1
	s_delay_alu instid0(VALU_DEP_2) | instskip(NEXT) | instid1(VALU_DEP_1)
	v_add3_u32 v3, v1, v3, 0x7fff
	v_lshrrev_b32_e32 v3, 16, v3
	s_delay_alu instid0(VALU_DEP_1)
	v_cndmask_b32_e32 v1, 0x7fc0, v3, vcc_lo
.LBB207_228:
	s_mov_b32 s2, 0
.LBB207_229:
	s_delay_alu instid0(SALU_CYCLE_1)
	s_and_not1_b32 vcc_lo, exec_lo, s2
	s_cbranch_vccnz .LBB207_231
; %bb.230:
	s_wait_loadcnt 0x0
	global_load_b32 v1, v[4:5], off
	s_wait_loadcnt 0x0
	v_cvt_f32_f16_e32 v3, v1
	v_cmp_o_f16_e32 vcc_lo, v1, v1
	s_delay_alu instid0(VALU_DEP_2) | instskip(NEXT) | instid1(VALU_DEP_1)
	v_bfe_u32 v6, v3, 16, 1
	v_add3_u32 v3, v3, v6, 0x7fff
	s_delay_alu instid0(VALU_DEP_1) | instskip(NEXT) | instid1(VALU_DEP_1)
	v_lshrrev_b32_e32 v3, 16, v3
	v_cndmask_b32_e32 v1, 0x7fc0, v3, vcc_lo
.LBB207_231:
	s_mov_b32 s2, 0
.LBB207_232:
	s_delay_alu instid0(SALU_CYCLE_1)
	s_and_not1_b32 vcc_lo, exec_lo, s2
	s_cbranch_vccnz .LBB207_243
; %bb.233:
	s_cmp_lt_i32 s1, 6
	s_cbranch_scc1 .LBB207_236
; %bb.234:
	s_cmp_gt_i32 s1, 6
	s_cbranch_scc0 .LBB207_237
; %bb.235:
	global_load_b64 v[6:7], v[4:5], off
	s_mov_b32 s2, 0
	s_wait_loadcnt 0x0
	v_cvt_f32_f64_e32 v1, v[6:7]
	s_delay_alu instid0(VALU_DEP_1) | instskip(SKIP_1) | instid1(VALU_DEP_2)
	v_bfe_u32 v3, v1, 16, 1
	v_cmp_o_f32_e32 vcc_lo, v1, v1
	v_add3_u32 v3, v1, v3, 0x7fff
	s_delay_alu instid0(VALU_DEP_1) | instskip(NEXT) | instid1(VALU_DEP_1)
	v_lshrrev_b32_e32 v3, 16, v3
	v_cndmask_b32_e32 v1, 0x7fc0, v3, vcc_lo
	s_branch .LBB207_238
.LBB207_236:
	s_mov_b32 s2, -1
                                        ; implicit-def: $vgpr1
	s_branch .LBB207_241
.LBB207_237:
	s_mov_b32 s2, -1
                                        ; implicit-def: $vgpr1
.LBB207_238:
	s_delay_alu instid0(SALU_CYCLE_1)
	s_and_not1_b32 vcc_lo, exec_lo, s2
	s_cbranch_vccnz .LBB207_240
; %bb.239:
	s_wait_loadcnt 0x0
	global_load_b32 v1, v[4:5], off
	s_wait_loadcnt 0x0
	v_bfe_u32 v3, v1, 16, 1
	v_cmp_o_f32_e32 vcc_lo, v1, v1
	s_delay_alu instid0(VALU_DEP_2) | instskip(NEXT) | instid1(VALU_DEP_1)
	v_add3_u32 v3, v1, v3, 0x7fff
	v_lshrrev_b32_e32 v3, 16, v3
	s_delay_alu instid0(VALU_DEP_1)
	v_cndmask_b32_e32 v1, 0x7fc0, v3, vcc_lo
.LBB207_240:
	s_mov_b32 s2, 0
.LBB207_241:
	s_delay_alu instid0(SALU_CYCLE_1)
	s_and_not1_b32 vcc_lo, exec_lo, s2
	s_cbranch_vccnz .LBB207_243
; %bb.242:
	s_wait_loadcnt 0x0
	global_load_u16 v1, v[4:5], off
	s_wait_loadcnt 0x0
	v_cvt_f32_f16_e32 v3, v1
	v_cmp_o_f16_e32 vcc_lo, v1, v1
	s_delay_alu instid0(VALU_DEP_2) | instskip(NEXT) | instid1(VALU_DEP_1)
	v_bfe_u32 v6, v3, 16, 1
	v_add3_u32 v3, v3, v6, 0x7fff
	s_delay_alu instid0(VALU_DEP_1) | instskip(NEXT) | instid1(VALU_DEP_1)
	v_lshrrev_b32_e32 v3, 16, v3
	v_cndmask_b32_e32 v1, 0x7fc0, v3, vcc_lo
.LBB207_243:
	s_cbranch_execnz .LBB207_263
.LBB207_244:
	s_cmp_lt_i32 s1, 2
	s_cbranch_scc1 .LBB207_248
; %bb.245:
	s_cmp_lt_i32 s1, 3
	s_cbranch_scc1 .LBB207_249
; %bb.246:
	s_cmp_gt_i32 s1, 3
	s_cbranch_scc0 .LBB207_250
; %bb.247:
	global_load_b64 v[6:7], v[4:5], off
	s_mov_b32 s2, 0
	s_wait_loadcnt 0x0
	v_xor_b32_e32 v1, v6, v7
	v_cls_i32_e32 v3, v7
	s_delay_alu instid0(VALU_DEP_2) | instskip(NEXT) | instid1(VALU_DEP_1)
	v_ashrrev_i32_e32 v1, 31, v1
	v_add_nc_u32_e32 v1, 32, v1
	s_delay_alu instid0(VALU_DEP_1) | instskip(NEXT) | instid1(VALU_DEP_1)
	v_add_min_u32_e64 v1, v3, -1, v1
	v_lshlrev_b64_e32 v[6:7], v1, v[6:7]
	v_sub_nc_u32_e32 v1, 32, v1
	s_delay_alu instid0(VALU_DEP_2) | instskip(NEXT) | instid1(VALU_DEP_1)
	v_min_u32_e32 v3, 1, v6
	v_or_b32_e32 v3, v7, v3
	s_delay_alu instid0(VALU_DEP_1) | instskip(NEXT) | instid1(VALU_DEP_1)
	v_cvt_f32_i32_e32 v3, v3
	v_ldexp_f32 v1, v3, v1
	s_delay_alu instid0(VALU_DEP_1) | instskip(NEXT) | instid1(VALU_DEP_1)
	v_bfe_u32 v3, v1, 16, 1
	v_add3_u32 v1, v1, v3, 0x7fff
	s_delay_alu instid0(VALU_DEP_1)
	v_lshrrev_b32_e32 v1, 16, v1
	s_branch .LBB207_251
.LBB207_248:
	s_mov_b32 s2, -1
                                        ; implicit-def: $vgpr1
	s_branch .LBB207_257
.LBB207_249:
	s_mov_b32 s2, -1
                                        ; implicit-def: $vgpr1
	s_branch .LBB207_254
.LBB207_250:
	s_mov_b32 s2, -1
                                        ; implicit-def: $vgpr1
.LBB207_251:
	s_delay_alu instid0(SALU_CYCLE_1)
	s_and_not1_b32 vcc_lo, exec_lo, s2
	s_cbranch_vccnz .LBB207_253
; %bb.252:
	s_wait_loadcnt 0x0
	global_load_b32 v1, v[4:5], off
	s_wait_loadcnt 0x0
	v_cvt_f32_i32_e32 v1, v1
	s_delay_alu instid0(VALU_DEP_1) | instskip(NEXT) | instid1(VALU_DEP_1)
	v_bfe_u32 v3, v1, 16, 1
	v_add3_u32 v1, v1, v3, 0x7fff
	s_delay_alu instid0(VALU_DEP_1)
	v_lshrrev_b32_e32 v1, 16, v1
.LBB207_253:
	s_mov_b32 s2, 0
.LBB207_254:
	s_delay_alu instid0(SALU_CYCLE_1)
	s_and_not1_b32 vcc_lo, exec_lo, s2
	s_cbranch_vccnz .LBB207_256
; %bb.255:
	s_wait_loadcnt 0x0
	global_load_i16 v1, v[4:5], off
	s_wait_loadcnt 0x0
	v_cvt_f32_i32_e32 v1, v1
	s_delay_alu instid0(VALU_DEP_1) | instskip(NEXT) | instid1(VALU_DEP_1)
	v_bfe_u32 v3, v1, 16, 1
	v_add3_u32 v1, v1, v3, 0x7fff
	s_delay_alu instid0(VALU_DEP_1)
	v_lshrrev_b32_e32 v1, 16, v1
.LBB207_256:
	s_mov_b32 s2, 0
.LBB207_257:
	s_delay_alu instid0(SALU_CYCLE_1)
	s_and_not1_b32 vcc_lo, exec_lo, s2
	s_cbranch_vccnz .LBB207_263
; %bb.258:
	s_cmp_gt_i32 s1, 0
	s_mov_b32 s1, 0
	s_cbranch_scc0 .LBB207_260
; %bb.259:
	s_wait_loadcnt 0x0
	global_load_i8 v1, v[4:5], off
	s_wait_loadcnt 0x0
	v_cvt_f32_i32_e32 v1, v1
	s_delay_alu instid0(VALU_DEP_1) | instskip(NEXT) | instid1(VALU_DEP_1)
	v_bfe_u32 v3, v1, 16, 1
	v_add3_u32 v1, v1, v3, 0x7fff
	s_delay_alu instid0(VALU_DEP_1)
	v_lshrrev_b32_e32 v1, 16, v1
	s_branch .LBB207_261
.LBB207_260:
	s_mov_b32 s1, -1
                                        ; implicit-def: $vgpr1
.LBB207_261:
	s_delay_alu instid0(SALU_CYCLE_1)
	s_and_not1_b32 vcc_lo, exec_lo, s1
	s_cbranch_vccnz .LBB207_263
; %bb.262:
	s_wait_loadcnt 0x0
	global_load_u8 v1, v[4:5], off
	s_wait_loadcnt 0x0
	v_cvt_f32_ubyte0_e32 v1, v1
	s_delay_alu instid0(VALU_DEP_1) | instskip(NEXT) | instid1(VALU_DEP_1)
	v_bfe_u32 v3, v1, 16, 1
	v_add3_u32 v1, v1, v3, 0x7fff
	s_delay_alu instid0(VALU_DEP_1)
	v_lshrrev_b32_e32 v1, 16, v1
.LBB207_263:
	s_branch .LBB207_26
.LBB207_264:
	s_mov_b32 s2, 0
.LBB207_265:
	s_mov_b32 s1, 0
                                        ; implicit-def: $vgpr0
.LBB207_266:
	s_and_b32 s42, s2, exec_lo
	s_and_b32 s43, s16, exec_lo
	s_or_not1_b32 s28, s1, exec_lo
.LBB207_267:
	s_wait_xcnt 0x0
	s_or_b32 exec_lo, exec_lo, s44
	s_mov_b32 s17, 0
	s_mov_b32 s16, 0
                                        ; implicit-def: $vgpr4_vgpr5
                                        ; implicit-def: $vgpr2
                                        ; implicit-def: $vgpr3
	s_and_saveexec_b32 s44, s28
	s_cbranch_execz .LBB207_275
; %bb.268:
	s_mov_b32 s16, -1
	s_mov_b32 s45, s43
	s_mov_b32 s46, s42
	s_mov_b32 s47, exec_lo
	v_cmpx_gt_i32_e64 s39, v0
	s_cbranch_execz .LBB207_546
; %bb.269:
	s_and_not1_b32 vcc_lo, exec_lo, s35
	s_cbranch_vccnz .LBB207_278
; %bb.270:
	s_and_not1_b32 vcc_lo, exec_lo, s41
	s_cbranch_vccnz .LBB207_279
; %bb.271:
	s_add_co_i32 s1, s40, 1
	s_cmp_eq_u32 s33, 2
	s_cbranch_scc1 .LBB207_280
; %bb.272:
	v_dual_mov_b32 v2, 0 :: v_dual_mov_b32 v4, 0
	s_wait_loadcnt 0x0
	v_mov_b32_e32 v1, v0
	s_and_b32 s16, s1, 28
	s_mov_b32 s2, 0
	s_mov_b64 s[28:29], s[20:21]
	s_mov_b64 s[30:31], s[26:27]
.LBB207_273:                            ; =>This Inner Loop Header: Depth=1
	s_clause 0x1
	s_load_b256 s[48:55], s[28:29], 0x4
	s_load_b128 s[64:67], s[28:29], 0x24
	s_load_b256 s[56:63], s[30:31], 0x0
	s_add_co_i32 s2, s2, 4
	s_wait_xcnt 0x0
	s_add_nc_u64 s[28:29], s[28:29], 48
	s_cmp_eq_u32 s16, s2
	s_add_nc_u64 s[30:31], s[30:31], 32
	s_wait_kmcnt 0x0
	v_mul_hi_u32 v3, s49, v1
	s_delay_alu instid0(VALU_DEP_1) | instskip(NEXT) | instid1(VALU_DEP_1)
	v_add_nc_u32_e32 v3, v1, v3
	v_lshrrev_b32_e32 v3, s50, v3
	s_delay_alu instid0(VALU_DEP_1) | instskip(NEXT) | instid1(VALU_DEP_1)
	v_mul_hi_u32 v5, s52, v3
	v_add_nc_u32_e32 v5, v3, v5
	s_delay_alu instid0(VALU_DEP_1) | instskip(NEXT) | instid1(VALU_DEP_1)
	v_lshrrev_b32_e32 v5, s53, v5
	v_mul_hi_u32 v6, s55, v5
	s_delay_alu instid0(VALU_DEP_1) | instskip(SKIP_1) | instid1(VALU_DEP_1)
	v_add_nc_u32_e32 v6, v5, v6
	v_mul_lo_u32 v7, v3, s48
	v_sub_nc_u32_e32 v1, v1, v7
	v_mul_lo_u32 v7, v5, s51
	s_delay_alu instid0(VALU_DEP_4) | instskip(NEXT) | instid1(VALU_DEP_3)
	v_lshrrev_b32_e32 v6, s64, v6
	v_mad_u32 v4, v1, s57, v4
	v_mad_u32 v1, v1, s56, v2
	s_delay_alu instid0(VALU_DEP_4) | instskip(NEXT) | instid1(VALU_DEP_4)
	v_sub_nc_u32_e32 v2, v3, v7
	v_mul_hi_u32 v8, s66, v6
	v_mul_lo_u32 v3, v6, s54
	s_delay_alu instid0(VALU_DEP_3) | instskip(SKIP_1) | instid1(VALU_DEP_3)
	v_mad_u32 v4, v2, s59, v4
	v_mad_u32 v2, v2, s58, v1
	v_dual_add_nc_u32 v7, v6, v8 :: v_dual_sub_nc_u32 v3, v5, v3
	s_delay_alu instid0(VALU_DEP_1) | instskip(NEXT) | instid1(VALU_DEP_2)
	v_lshrrev_b32_e32 v1, s67, v7
	v_mad_u32 v4, v3, s61, v4
	s_delay_alu instid0(VALU_DEP_4) | instskip(NEXT) | instid1(VALU_DEP_3)
	v_mad_u32 v2, v3, s60, v2
	v_mul_lo_u32 v5, v1, s65
	s_delay_alu instid0(VALU_DEP_1) | instskip(NEXT) | instid1(VALU_DEP_1)
	v_sub_nc_u32_e32 v3, v6, v5
	v_mad_u32 v4, v3, s63, v4
	s_delay_alu instid0(VALU_DEP_4)
	v_mad_u32 v2, v3, s62, v2
	s_cbranch_scc0 .LBB207_273
; %bb.274:
	s_delay_alu instid0(VALU_DEP_2)
	v_mov_b32_e32 v3, v4
	s_branch .LBB207_281
.LBB207_275:
	s_or_b32 exec_lo, exec_lo, s44
	s_mov_b32 s1, 0
	s_and_saveexec_b32 s2, s43
	s_cbranch_execnz .LBB207_928
.LBB207_276:
	s_or_b32 exec_lo, exec_lo, s2
	s_and_saveexec_b32 s2, s23
	s_delay_alu instid0(SALU_CYCLE_1)
	s_xor_b32 s2, exec_lo, s2
	s_cbranch_execz .LBB207_929
.LBB207_277:
	global_load_u8 v0, v[4:5], off
	s_or_b32 s16, s16, exec_lo
	s_wait_loadcnt 0x0
	v_cmp_ne_u16_e32 vcc_lo, 0, v0
	v_cndmask_b32_e64 v0, 0, 1.0, vcc_lo
	s_delay_alu instid0(VALU_DEP_1)
	v_lshrrev_b32_e32 v3, 16, v0
	s_wait_xcnt 0x0
	s_or_b32 exec_lo, exec_lo, s2
	s_and_saveexec_b32 s2, s17
	s_cbranch_execz .LBB207_975
	s_branch .LBB207_930
.LBB207_278:
                                        ; implicit-def: $vgpr4
                                        ; implicit-def: $vgpr2
	s_branch .LBB207_286
.LBB207_279:
	v_dual_mov_b32 v4, 0 :: v_dual_mov_b32 v2, 0
	s_branch .LBB207_285
.LBB207_280:
	v_mov_b64_e32 v[2:3], 0
	s_wait_loadcnt 0x0
	v_mov_b32_e32 v1, v0
	s_mov_b32 s16, 0
                                        ; implicit-def: $vgpr4
.LBB207_281:
	s_and_b32 s1, s1, 3
	s_mov_b32 s17, 0
	s_cmp_eq_u32 s1, 0
	s_cbranch_scc1 .LBB207_285
; %bb.282:
	s_lshl_b32 s28, s16, 3
	s_mov_b32 s29, s17
	s_mul_u64 s[30:31], s[16:17], 12
	s_add_nc_u64 s[28:29], s[20:21], s[28:29]
	s_delay_alu instid0(SALU_CYCLE_1)
	s_add_nc_u64 s[16:17], s[28:29], 0xc4
	s_add_nc_u64 s[28:29], s[20:21], s[30:31]
.LBB207_283:                            ; =>This Inner Loop Header: Depth=1
	s_load_b96 s[48:50], s[28:29], 0x4
	s_load_b64 s[30:31], s[16:17], 0x0
	s_add_co_i32 s1, s1, -1
	s_wait_xcnt 0x0
	s_add_nc_u64 s[28:29], s[28:29], 12
	s_cmp_lg_u32 s1, 0
	s_add_nc_u64 s[16:17], s[16:17], 8
	s_wait_kmcnt 0x0
	v_mul_hi_u32 v4, s49, v1
	s_delay_alu instid0(VALU_DEP_1) | instskip(NEXT) | instid1(VALU_DEP_1)
	v_add_nc_u32_e32 v4, v1, v4
	v_lshrrev_b32_e32 v4, s50, v4
	s_delay_alu instid0(VALU_DEP_1) | instskip(NEXT) | instid1(VALU_DEP_1)
	v_mul_lo_u32 v5, v4, s48
	v_sub_nc_u32_e32 v1, v1, v5
	s_delay_alu instid0(VALU_DEP_1)
	v_mad_u32 v3, v1, s31, v3
	v_mad_u32 v2, v1, s30, v2
	v_mov_b32_e32 v1, v4
	s_cbranch_scc1 .LBB207_283
; %bb.284:
	s_delay_alu instid0(VALU_DEP_3)
	v_mov_b32_e32 v4, v3
.LBB207_285:
	s_cbranch_execnz .LBB207_288
.LBB207_286:
	s_wait_loadcnt 0x0
	v_mov_b32_e32 v1, 0
	s_and_not1_b32 vcc_lo, exec_lo, s38
	s_delay_alu instid0(VALU_DEP_1) | instskip(NEXT) | instid1(VALU_DEP_1)
	v_mul_u64_e32 v[2:3], s[22:23], v[0:1]
	v_add_nc_u32_e32 v2, v0, v3
	s_delay_alu instid0(VALU_DEP_1) | instskip(NEXT) | instid1(VALU_DEP_1)
	v_lshrrev_b32_e32 v6, s10, v2
	v_mul_lo_u32 v2, v6, s8
	s_delay_alu instid0(VALU_DEP_1) | instskip(NEXT) | instid1(VALU_DEP_1)
	v_sub_nc_u32_e32 v2, v0, v2
	v_mul_lo_u32 v4, v2, s13
	v_mul_lo_u32 v2, v2, s12
	s_cbranch_vccnz .LBB207_288
; %bb.287:
	v_mov_b32_e32 v7, v1
	s_delay_alu instid0(VALU_DEP_1) | instskip(NEXT) | instid1(VALU_DEP_1)
	v_mul_u64_e32 v[8:9], s[24:25], v[6:7]
	v_add_nc_u32_e32 v1, v6, v9
	s_delay_alu instid0(VALU_DEP_1) | instskip(NEXT) | instid1(VALU_DEP_1)
	v_lshrrev_b32_e32 v1, s3, v1
	v_mul_lo_u32 v1, v1, s11
	s_delay_alu instid0(VALU_DEP_1) | instskip(NEXT) | instid1(VALU_DEP_1)
	v_sub_nc_u32_e32 v1, v6, v1
	v_mad_u32 v2, v1, s14, v2
	v_mad_u32 v4, v1, s15, v4
.LBB207_288:
	v_mov_b32_e32 v5, 0
	s_and_b32 s1, 0xffff, s37
	s_delay_alu instid0(SALU_CYCLE_1) | instskip(NEXT) | instid1(VALU_DEP_1)
	s_cmp_lt_i32 s1, 11
	v_add_nc_u64_e32 v[4:5], s[6:7], v[4:5]
	s_cbranch_scc1 .LBB207_295
; %bb.289:
	s_cmp_gt_i32 s1, 25
	s_cbranch_scc0 .LBB207_304
; %bb.290:
	s_cmp_gt_i32 s1, 28
	s_cbranch_scc0 .LBB207_306
	;; [unrolled: 3-line block ×4, first 2 shown]
; %bb.293:
	s_cmp_eq_u32 s1, 46
	s_mov_b32 s17, 0
	s_cbranch_scc0 .LBB207_316
; %bb.294:
	s_wait_loadcnt 0x0
	global_load_b32 v1, v[4:5], off
	s_mov_b32 s2, -1
	s_mov_b32 s16, 0
	s_branch .LBB207_318
.LBB207_295:
	s_mov_b32 s2, 0
	s_mov_b32 s16, s43
                                        ; implicit-def: $vgpr1
	s_cbranch_execnz .LBB207_495
.LBB207_296:
	s_and_not1_b32 vcc_lo, exec_lo, s2
	s_cbranch_vccnz .LBB207_543
.LBB207_297:
	s_wait_loadcnt 0x0
	s_delay_alu instid0(VALU_DEP_1) | instskip(SKIP_1) | instid1(SALU_CYCLE_1)
	v_lshlrev_b32_e32 v1, 16, v1
	s_and_b32 s17, s18, 0xff
	s_cmp_lt_i32 s17, 11
	s_delay_alu instid0(VALU_DEP_1) | instskip(SKIP_3) | instid1(VALU_DEP_1)
	v_cmp_eq_f32_e32 vcc_lo, s9, v1
	v_cndmask_b32_e64 v3, 0, 1, vcc_lo
	v_cmp_neq_f32_e32 vcc_lo, s9, v1
	v_cndmask_b32_e64 v1, 0, 1, vcc_lo
	v_dual_cndmask_b32 v1, v1, v3, s0 :: v_dual_mov_b32 v3, 0
	s_delay_alu instid0(VALU_DEP_1) | instskip(NEXT) | instid1(VALU_DEP_2)
	v_and_b32_e32 v1, 1, v1
	v_add_nc_u64_e32 v[2:3], s[4:5], v[2:3]
	s_delay_alu instid0(VALU_DEP_2)
	v_cmp_eq_u32_e64 s1, 1, v1
	s_cbranch_scc1 .LBB207_305
; %bb.298:
	s_and_b32 s28, 0xffff, s17
	s_delay_alu instid0(SALU_CYCLE_1)
	s_cmp_gt_i32 s28, 25
	s_cbranch_scc0 .LBB207_307
; %bb.299:
	s_cmp_gt_i32 s28, 28
	s_cbranch_scc0 .LBB207_309
; %bb.300:
	;; [unrolled: 3-line block ×4, first 2 shown]
	s_mov_b32 s30, 0
	s_mov_b32 s2, -1
	s_cmp_eq_u32 s28, 46
	s_mov_b32 s29, 0
	s_cbranch_scc0 .LBB207_322
; %bb.303:
	v_cndmask_b32_e64 v1, 0, 1.0, s1
	s_mov_b32 s29, -1
	s_mov_b32 s2, 0
	s_wait_xcnt 0x0
	s_delay_alu instid0(VALU_DEP_1) | instskip(NEXT) | instid1(VALU_DEP_1)
	v_bfe_u32 v4, v1, 16, 1
	v_add3_u32 v1, v1, v4, 0x7fff
	s_delay_alu instid0(VALU_DEP_1)
	v_lshrrev_b32_e32 v1, 16, v1
	global_store_b32 v[2:3], v1, off
	s_branch .LBB207_322
.LBB207_304:
	s_mov_b32 s17, -1
	s_mov_b32 s2, 0
	s_mov_b32 s16, s43
                                        ; implicit-def: $vgpr1
	s_branch .LBB207_459
.LBB207_305:
	s_mov_b32 s28, -1
	s_mov_b32 s29, 0
	s_mov_b32 s2, s42
	s_branch .LBB207_391
.LBB207_306:
	s_mov_b32 s17, -1
	s_mov_b32 s2, 0
	s_mov_b32 s16, s43
                                        ; implicit-def: $vgpr1
	s_branch .LBB207_440
.LBB207_307:
	s_mov_b32 s30, -1
	s_mov_b32 s29, 0
	s_mov_b32 s2, s42
	s_branch .LBB207_349
.LBB207_308:
	s_mov_b32 s17, -1
	s_mov_b32 s2, 0
	s_mov_b32 s16, s43
                                        ; implicit-def: $vgpr1
	s_branch .LBB207_435
.LBB207_309:
	s_mov_b32 s30, -1
	s_mov_b32 s29, 0
	s_mov_b32 s2, s42
	s_branch .LBB207_332
.LBB207_310:
	s_and_not1_saveexec_b32 s31, s31
	s_cbranch_execz .LBB207_69
.LBB207_311:
	v_add_f32_e32 v1, 0x46000000, v4
	s_and_not1_b32 s30, s30, exec_lo
	s_delay_alu instid0(VALU_DEP_1) | instskip(NEXT) | instid1(VALU_DEP_1)
	v_and_b32_e32 v1, 0xff, v1
	v_cmp_ne_u32_e32 vcc_lo, 0, v1
	s_and_b32 s42, vcc_lo, exec_lo
	s_delay_alu instid0(SALU_CYCLE_1)
	s_or_b32 s30, s30, s42
	s_or_b32 exec_lo, exec_lo, s31
	v_mov_b32_e32 v5, 0
	s_and_saveexec_b32 s31, s30
	s_cbranch_execnz .LBB207_70
	s_branch .LBB207_71
.LBB207_312:
	s_mov_b32 s17, -1
	s_mov_b32 s2, 0
	s_mov_b32 s16, s43
	s_branch .LBB207_317
.LBB207_313:
	s_mov_b32 s30, -1
	s_mov_b32 s29, 0
	s_mov_b32 s2, s42
	s_branch .LBB207_328
.LBB207_314:
	s_and_not1_saveexec_b32 s31, s31
	s_cbranch_execz .LBB207_82
.LBB207_315:
	v_add_f32_e32 v1, 0x42800000, v4
	s_and_not1_b32 s30, s30, exec_lo
	s_delay_alu instid0(VALU_DEP_1) | instskip(NEXT) | instid1(VALU_DEP_1)
	v_and_b32_e32 v1, 0xff, v1
	v_cmp_ne_u32_e32 vcc_lo, 0, v1
	s_and_b32 s42, vcc_lo, exec_lo
	s_delay_alu instid0(SALU_CYCLE_1)
	s_or_b32 s30, s30, s42
	s_or_b32 exec_lo, exec_lo, s31
	v_mov_b32_e32 v5, 0
	s_and_saveexec_b32 s31, s30
	s_cbranch_execnz .LBB207_83
	s_branch .LBB207_84
.LBB207_316:
	s_mov_b32 s16, -1
	s_mov_b32 s2, 0
.LBB207_317:
                                        ; implicit-def: $vgpr1
.LBB207_318:
	s_and_b32 vcc_lo, exec_lo, s17
	s_cbranch_vccz .LBB207_434
; %bb.319:
	s_cmp_eq_u32 s1, 44
	s_cbranch_scc0 .LBB207_433
; %bb.320:
	s_wait_loadcnt 0x0
	global_load_u8 v1, v[4:5], off
	s_mov_b32 s16, 0
	s_mov_b32 s2, -1
	s_wait_loadcnt 0x0
	v_lshlrev_b32_e32 v3, 23, v1
	v_cmp_ne_u32_e32 vcc_lo, 0xff, v1
	s_delay_alu instid0(VALU_DEP_2) | instskip(SKIP_1) | instid1(VALU_DEP_2)
	v_cndmask_b32_e32 v3, 0x7f800001, v3, vcc_lo
	v_cmp_ne_u32_e32 vcc_lo, 0, v1
	v_cndmask_b32_e32 v1, 0x400000, v3, vcc_lo
	s_delay_alu instid0(VALU_DEP_1) | instskip(SKIP_1) | instid1(VALU_DEP_2)
	v_add_nc_u32_e32 v3, 0x7fff, v1
	v_cmp_o_f32_e32 vcc_lo, v1, v1
	v_lshrrev_b32_e32 v3, 16, v3
	s_delay_alu instid0(VALU_DEP_1)
	v_cndmask_b32_e32 v1, 0x7fc0, v3, vcc_lo
	s_branch .LBB207_434
.LBB207_321:
	s_mov_b32 s30, -1
	s_mov_b32 s29, 0
	s_mov_b32 s2, s42
.LBB207_322:
	s_and_b32 vcc_lo, exec_lo, s30
	s_cbranch_vccz .LBB207_327
; %bb.323:
	s_cmp_eq_u32 s28, 44
	s_mov_b32 s2, -1
	s_cbranch_scc0 .LBB207_327
; %bb.324:
	s_wait_xcnt 0x0
	v_cndmask_b32_e64 v5, 0, 1.0, s1
	s_mov_b32 s29, exec_lo
	s_delay_alu instid0(VALU_DEP_1) | instskip(NEXT) | instid1(VALU_DEP_1)
	v_dual_mov_b32 v4, 0xff :: v_dual_lshrrev_b32 v1, 23, v5
	v_cmpx_ne_u32_e32 0xff, v1
; %bb.325:
	v_and_b32_e32 v4, 0x400000, v5
	v_and_or_b32 v5, 0x3fffff, v5, v1
	s_delay_alu instid0(VALU_DEP_2) | instskip(NEXT) | instid1(VALU_DEP_2)
	v_cmp_ne_u32_e32 vcc_lo, 0, v4
	v_cmp_ne_u32_e64 s2, 0, v5
	s_and_b32 s2, vcc_lo, s2
	s_delay_alu instid0(SALU_CYCLE_1) | instskip(NEXT) | instid1(VALU_DEP_1)
	v_cndmask_b32_e64 v4, 0, 1, s2
	v_add_nc_u32_e32 v4, v1, v4
; %bb.326:
	s_or_b32 exec_lo, exec_lo, s29
	s_mov_b32 s29, -1
	s_mov_b32 s2, 0
	global_store_b8 v[2:3], v4, off
.LBB207_327:
	s_mov_b32 s30, 0
.LBB207_328:
	s_delay_alu instid0(SALU_CYCLE_1)
	s_and_b32 vcc_lo, exec_lo, s30
	s_cbranch_vccz .LBB207_331
; %bb.329:
	s_cmp_eq_u32 s28, 29
	s_mov_b32 s2, -1
	s_cbranch_scc0 .LBB207_331
; %bb.330:
	s_mov_b32 s2, 0
	s_wait_xcnt 0x0
	v_cndmask_b32_e64 v4, 0, 1, s1
	v_mov_b32_e32 v5, s2
	s_mov_b32 s29, -1
	s_mov_b32 s30, 0
	global_store_b64 v[2:3], v[4:5], off
	s_branch .LBB207_332
.LBB207_331:
	s_mov_b32 s30, 0
.LBB207_332:
	s_delay_alu instid0(SALU_CYCLE_1)
	s_and_b32 vcc_lo, exec_lo, s30
	s_cbranch_vccz .LBB207_348
; %bb.333:
	s_cmp_lt_i32 s28, 27
	s_mov_b32 s29, -1
	s_cbranch_scc1 .LBB207_339
; %bb.334:
	s_cmp_gt_i32 s28, 27
	s_cbranch_scc0 .LBB207_336
; %bb.335:
	s_wait_xcnt 0x0
	v_cndmask_b32_e64 v1, 0, 1, s1
	s_mov_b32 s29, 0
	global_store_b32 v[2:3], v1, off
.LBB207_336:
	s_and_not1_b32 vcc_lo, exec_lo, s29
	s_cbranch_vccnz .LBB207_338
; %bb.337:
	s_wait_xcnt 0x0
	v_cndmask_b32_e64 v1, 0, 1, s1
	global_store_b16 v[2:3], v1, off
.LBB207_338:
	s_mov_b32 s29, 0
.LBB207_339:
	s_delay_alu instid0(SALU_CYCLE_1)
	s_and_not1_b32 vcc_lo, exec_lo, s29
	s_cbranch_vccnz .LBB207_347
; %bb.340:
	s_wait_xcnt 0x0
	v_cndmask_b32_e64 v4, 0, 1.0, s1
	v_mov_b32_e32 v5, 0x80
	s_mov_b32 s29, exec_lo
	s_delay_alu instid0(VALU_DEP_2)
	v_cmpx_gt_u32_e32 0x43800000, v4
	s_cbranch_execz .LBB207_346
; %bb.341:
	s_mov_b32 s30, 0
	s_mov_b32 s31, exec_lo
                                        ; implicit-def: $vgpr1
	v_cmpx_lt_u32_e32 0x3bffffff, v4
	s_xor_b32 s31, exec_lo, s31
	s_cbranch_execz .LBB207_576
; %bb.342:
	v_bfe_u32 v1, v4, 20, 1
	s_mov_b32 s30, exec_lo
	s_delay_alu instid0(VALU_DEP_1) | instskip(NEXT) | instid1(VALU_DEP_1)
	v_add3_u32 v1, v4, v1, 0x487ffff
                                        ; implicit-def: $vgpr4
	v_lshrrev_b32_e32 v1, 20, v1
	s_and_not1_saveexec_b32 s31, s31
	s_cbranch_execnz .LBB207_577
.LBB207_343:
	s_or_b32 exec_lo, exec_lo, s31
	v_mov_b32_e32 v5, 0
	s_and_saveexec_b32 s31, s30
.LBB207_344:
	v_mov_b32_e32 v5, v1
.LBB207_345:
	s_or_b32 exec_lo, exec_lo, s31
.LBB207_346:
	s_delay_alu instid0(SALU_CYCLE_1)
	s_or_b32 exec_lo, exec_lo, s29
	global_store_b8 v[2:3], v5, off
.LBB207_347:
	s_mov_b32 s29, -1
.LBB207_348:
	s_mov_b32 s30, 0
.LBB207_349:
	s_delay_alu instid0(SALU_CYCLE_1)
	s_and_b32 vcc_lo, exec_lo, s30
	s_cbranch_vccz .LBB207_390
; %bb.350:
	s_cmp_gt_i32 s28, 22
	s_mov_b32 s30, -1
	s_cbranch_scc0 .LBB207_382
; %bb.351:
	s_cmp_lt_i32 s28, 24
	s_mov_b32 s29, -1
	s_cbranch_scc1 .LBB207_371
; %bb.352:
	s_cmp_gt_i32 s28, 24
	s_cbranch_scc0 .LBB207_360
; %bb.353:
	s_wait_xcnt 0x0
	v_cndmask_b32_e64 v4, 0, 1.0, s1
	v_mov_b32_e32 v5, 0x80
	s_mov_b32 s29, exec_lo
	s_delay_alu instid0(VALU_DEP_2)
	v_cmpx_gt_u32_e32 0x47800000, v4
	s_cbranch_execz .LBB207_359
; %bb.354:
	s_mov_b32 s30, 0
	s_mov_b32 s31, exec_lo
                                        ; implicit-def: $vgpr1
	v_cmpx_lt_u32_e32 0x37ffffff, v4
	s_xor_b32 s31, exec_lo, s31
	s_cbranch_execz .LBB207_579
; %bb.355:
	v_bfe_u32 v1, v4, 21, 1
	s_mov_b32 s30, exec_lo
	s_delay_alu instid0(VALU_DEP_1) | instskip(NEXT) | instid1(VALU_DEP_1)
	v_add3_u32 v1, v4, v1, 0x88fffff
                                        ; implicit-def: $vgpr4
	v_lshrrev_b32_e32 v1, 21, v1
	s_and_not1_saveexec_b32 s31, s31
	s_cbranch_execnz .LBB207_580
.LBB207_356:
	s_or_b32 exec_lo, exec_lo, s31
	v_mov_b32_e32 v5, 0
	s_and_saveexec_b32 s31, s30
.LBB207_357:
	v_mov_b32_e32 v5, v1
.LBB207_358:
	s_or_b32 exec_lo, exec_lo, s31
.LBB207_359:
	s_delay_alu instid0(SALU_CYCLE_1)
	s_or_b32 exec_lo, exec_lo, s29
	s_mov_b32 s29, 0
	global_store_b8 v[2:3], v5, off
.LBB207_360:
	s_and_b32 vcc_lo, exec_lo, s29
	s_cbranch_vccz .LBB207_370
; %bb.361:
	s_wait_xcnt 0x0
	v_cndmask_b32_e64 v4, 0, 1.0, s1
	s_mov_b32 s29, exec_lo
                                        ; implicit-def: $vgpr1
	s_delay_alu instid0(VALU_DEP_1)
	v_cmpx_gt_u32_e32 0x43f00000, v4
	s_xor_b32 s29, exec_lo, s29
	s_cbranch_execz .LBB207_367
; %bb.362:
	s_mov_b32 s30, exec_lo
                                        ; implicit-def: $vgpr1
	v_cmpx_lt_u32_e32 0x3c7fffff, v4
	s_xor_b32 s30, exec_lo, s30
; %bb.363:
	v_bfe_u32 v1, v4, 20, 1
	s_delay_alu instid0(VALU_DEP_1) | instskip(NEXT) | instid1(VALU_DEP_1)
	v_add3_u32 v1, v4, v1, 0x407ffff
	v_and_b32_e32 v4, 0xff00000, v1
	v_lshrrev_b32_e32 v1, 20, v1
	s_delay_alu instid0(VALU_DEP_2) | instskip(NEXT) | instid1(VALU_DEP_2)
	v_cmp_ne_u32_e32 vcc_lo, 0x7f00000, v4
                                        ; implicit-def: $vgpr4
	v_cndmask_b32_e32 v1, 0x7e, v1, vcc_lo
; %bb.364:
	s_and_not1_saveexec_b32 s30, s30
; %bb.365:
	v_add_f32_e32 v1, 0x46800000, v4
; %bb.366:
	s_or_b32 exec_lo, exec_lo, s30
                                        ; implicit-def: $vgpr4
.LBB207_367:
	s_and_not1_saveexec_b32 s29, s29
; %bb.368:
	v_mov_b32_e32 v1, 0x7f
	v_cmp_lt_u32_e32 vcc_lo, 0x7f800000, v4
	s_delay_alu instid0(VALU_DEP_2)
	v_cndmask_b32_e32 v1, 0x7e, v1, vcc_lo
; %bb.369:
	s_or_b32 exec_lo, exec_lo, s29
	global_store_b8 v[2:3], v1, off
.LBB207_370:
	s_mov_b32 s29, 0
.LBB207_371:
	s_delay_alu instid0(SALU_CYCLE_1)
	s_and_not1_b32 vcc_lo, exec_lo, s29
	s_cbranch_vccnz .LBB207_381
; %bb.372:
	s_wait_xcnt 0x0
	v_cndmask_b32_e64 v4, 0, 1.0, s1
	s_mov_b32 s29, exec_lo
                                        ; implicit-def: $vgpr1
	s_delay_alu instid0(VALU_DEP_1)
	v_cmpx_gt_u32_e32 0x47800000, v4
	s_xor_b32 s29, exec_lo, s29
	s_cbranch_execz .LBB207_378
; %bb.373:
	s_mov_b32 s30, exec_lo
                                        ; implicit-def: $vgpr1
	v_cmpx_lt_u32_e32 0x387fffff, v4
	s_xor_b32 s30, exec_lo, s30
; %bb.374:
	v_bfe_u32 v1, v4, 21, 1
	s_delay_alu instid0(VALU_DEP_1) | instskip(NEXT) | instid1(VALU_DEP_1)
	v_add3_u32 v1, v4, v1, 0x80fffff
                                        ; implicit-def: $vgpr4
	v_lshrrev_b32_e32 v1, 21, v1
; %bb.375:
	s_and_not1_saveexec_b32 s30, s30
; %bb.376:
	v_add_f32_e32 v1, 0x43000000, v4
; %bb.377:
	s_or_b32 exec_lo, exec_lo, s30
                                        ; implicit-def: $vgpr4
.LBB207_378:
	s_and_not1_saveexec_b32 s29, s29
; %bb.379:
	v_mov_b32_e32 v1, 0x7f
	v_cmp_lt_u32_e32 vcc_lo, 0x7f800000, v4
	s_delay_alu instid0(VALU_DEP_2)
	v_cndmask_b32_e32 v1, 0x7c, v1, vcc_lo
; %bb.380:
	s_or_b32 exec_lo, exec_lo, s29
	global_store_b8 v[2:3], v1, off
.LBB207_381:
	s_mov_b32 s30, 0
	s_mov_b32 s29, -1
.LBB207_382:
	s_and_not1_b32 vcc_lo, exec_lo, s30
	s_cbranch_vccnz .LBB207_390
; %bb.383:
	s_cmp_gt_i32 s28, 14
	s_mov_b32 s30, -1
	s_cbranch_scc0 .LBB207_387
; %bb.384:
	s_cmp_eq_u32 s28, 15
	s_mov_b32 s2, -1
	s_cbranch_scc0 .LBB207_386
; %bb.385:
	s_wait_xcnt 0x0
	v_cndmask_b32_e64 v1, 0, 1.0, s1
	s_mov_b32 s29, -1
	s_mov_b32 s2, 0
	s_delay_alu instid0(VALU_DEP_1) | instskip(NEXT) | instid1(VALU_DEP_1)
	v_bfe_u32 v4, v1, 16, 1
	v_add3_u32 v1, v1, v4, 0x7fff
	global_store_d16_hi_b16 v[2:3], v1, off
.LBB207_386:
	s_mov_b32 s30, 0
.LBB207_387:
	s_delay_alu instid0(SALU_CYCLE_1)
	s_and_b32 vcc_lo, exec_lo, s30
	s_cbranch_vccz .LBB207_390
; %bb.388:
	s_cmp_eq_u32 s28, 11
	s_mov_b32 s2, -1
	s_cbranch_scc0 .LBB207_390
; %bb.389:
	s_wait_xcnt 0x0
	v_cndmask_b32_e64 v1, 0, 1, s1
	s_mov_b32 s29, -1
	s_mov_b32 s2, 0
	global_store_b8 v[2:3], v1, off
.LBB207_390:
	s_mov_b32 s28, 0
.LBB207_391:
	s_delay_alu instid0(SALU_CYCLE_1)
	s_and_b32 vcc_lo, exec_lo, s28
	s_cbranch_vccz .LBB207_430
; %bb.392:
	s_and_b32 s17, 0xffff, s17
	s_mov_b32 s28, -1
	s_cmp_lt_i32 s17, 5
	s_cbranch_scc1 .LBB207_413
; %bb.393:
	s_cmp_lt_i32 s17, 8
	s_cbranch_scc1 .LBB207_403
; %bb.394:
	;; [unrolled: 3-line block ×3, first 2 shown]
	s_cmp_gt_i32 s17, 9
	s_cbranch_scc0 .LBB207_397
; %bb.396:
	s_wait_xcnt 0x0
	v_cndmask_b32_e64 v1, 0, 1, s1
	v_mov_b32_e32 v6, 0
	s_mov_b32 s28, 0
	s_delay_alu instid0(VALU_DEP_2) | instskip(NEXT) | instid1(VALU_DEP_2)
	v_cvt_f64_u32_e32 v[4:5], v1
	v_mov_b32_e32 v7, v6
	global_store_b128 v[2:3], v[4:7], off
.LBB207_397:
	s_and_not1_b32 vcc_lo, exec_lo, s28
	s_cbranch_vccnz .LBB207_399
; %bb.398:
	s_wait_xcnt 0x0
	v_cndmask_b32_e64 v4, 0, 1.0, s1
	v_mov_b32_e32 v5, 0
	global_store_b64 v[2:3], v[4:5], off
.LBB207_399:
	s_mov_b32 s28, 0
.LBB207_400:
	s_delay_alu instid0(SALU_CYCLE_1)
	s_and_not1_b32 vcc_lo, exec_lo, s28
	s_cbranch_vccnz .LBB207_402
; %bb.401:
	s_wait_xcnt 0x0
	v_cndmask_b32_e64 v1, 0, 1.0, s1
	s_delay_alu instid0(VALU_DEP_1) | instskip(NEXT) | instid1(VALU_DEP_1)
	v_cvt_f16_f32_e32 v1, v1
	v_and_b32_e32 v1, 0xffff, v1
	global_store_b32 v[2:3], v1, off
.LBB207_402:
	s_mov_b32 s28, 0
.LBB207_403:
	s_delay_alu instid0(SALU_CYCLE_1)
	s_and_not1_b32 vcc_lo, exec_lo, s28
	s_cbranch_vccnz .LBB207_412
; %bb.404:
	s_cmp_lt_i32 s17, 6
	s_mov_b32 s28, -1
	s_cbranch_scc1 .LBB207_410
; %bb.405:
	s_cmp_gt_i32 s17, 6
	s_cbranch_scc0 .LBB207_407
; %bb.406:
	s_wait_xcnt 0x0
	v_cndmask_b32_e64 v1, 0, 1, s1
	s_mov_b32 s28, 0
	s_delay_alu instid0(VALU_DEP_1)
	v_cvt_f64_u32_e32 v[4:5], v1
	global_store_b64 v[2:3], v[4:5], off
.LBB207_407:
	s_and_not1_b32 vcc_lo, exec_lo, s28
	s_cbranch_vccnz .LBB207_409
; %bb.408:
	s_wait_xcnt 0x0
	v_cndmask_b32_e64 v1, 0, 1.0, s1
	global_store_b32 v[2:3], v1, off
.LBB207_409:
	s_mov_b32 s28, 0
.LBB207_410:
	s_delay_alu instid0(SALU_CYCLE_1)
	s_and_not1_b32 vcc_lo, exec_lo, s28
	s_cbranch_vccnz .LBB207_412
; %bb.411:
	s_wait_xcnt 0x0
	v_cndmask_b32_e64 v1, 0, 1.0, s1
	s_delay_alu instid0(VALU_DEP_1)
	v_cvt_f16_f32_e32 v1, v1
	global_store_b16 v[2:3], v1, off
.LBB207_412:
	s_mov_b32 s28, 0
.LBB207_413:
	s_delay_alu instid0(SALU_CYCLE_1)
	s_and_not1_b32 vcc_lo, exec_lo, s28
	s_cbranch_vccnz .LBB207_429
; %bb.414:
	s_cmp_lt_i32 s17, 2
	s_mov_b32 s28, -1
	s_cbranch_scc1 .LBB207_424
; %bb.415:
	s_cmp_lt_i32 s17, 3
	s_cbranch_scc1 .LBB207_421
; %bb.416:
	s_cmp_gt_i32 s17, 3
	s_cbranch_scc0 .LBB207_418
; %bb.417:
	s_mov_b32 s28, 0
	s_wait_xcnt 0x0
	v_cndmask_b32_e64 v4, 0, 1, s1
	v_mov_b32_e32 v5, s28
	global_store_b64 v[2:3], v[4:5], off
.LBB207_418:
	s_and_not1_b32 vcc_lo, exec_lo, s28
	s_cbranch_vccnz .LBB207_420
; %bb.419:
	s_wait_xcnt 0x0
	v_cndmask_b32_e64 v1, 0, 1, s1
	global_store_b32 v[2:3], v1, off
.LBB207_420:
	s_mov_b32 s28, 0
.LBB207_421:
	s_delay_alu instid0(SALU_CYCLE_1)
	s_and_not1_b32 vcc_lo, exec_lo, s28
	s_cbranch_vccnz .LBB207_423
; %bb.422:
	s_wait_xcnt 0x0
	v_cndmask_b32_e64 v1, 0, 1, s1
	global_store_b16 v[2:3], v1, off
.LBB207_423:
	s_mov_b32 s28, 0
.LBB207_424:
	s_delay_alu instid0(SALU_CYCLE_1)
	s_and_not1_b32 vcc_lo, exec_lo, s28
	s_cbranch_vccnz .LBB207_429
; %bb.425:
	s_wait_xcnt 0x0
	v_cndmask_b32_e64 v1, 0, 1, s1
	s_cmp_gt_i32 s17, 0
	s_mov_b32 s1, -1
	s_cbranch_scc0 .LBB207_427
; %bb.426:
	s_mov_b32 s1, 0
	global_store_b8 v[2:3], v1, off
.LBB207_427:
	s_and_not1_b32 vcc_lo, exec_lo, s1
	s_cbranch_vccnz .LBB207_429
; %bb.428:
	global_store_b8 v[2:3], v1, off
.LBB207_429:
	s_mov_b32 s29, -1
.LBB207_430:
	s_delay_alu instid0(SALU_CYCLE_1)
	s_and_not1_b32 vcc_lo, exec_lo, s29
	s_cbranch_vccnz .LBB207_432
; %bb.431:
	v_add_nc_u32_e32 v0, 0x80, v0
	s_mov_b32 s1, -1
	s_branch .LBB207_545
.LBB207_432:
	s_mov_b32 s1, 0
	s_branch .LBB207_544
.LBB207_433:
	s_mov_b32 s16, -1
                                        ; implicit-def: $vgpr1
.LBB207_434:
	s_mov_b32 s17, 0
.LBB207_435:
	s_delay_alu instid0(SALU_CYCLE_1)
	s_and_b32 vcc_lo, exec_lo, s17
	s_cbranch_vccz .LBB207_439
; %bb.436:
	s_cmp_eq_u32 s1, 29
	s_cbranch_scc0 .LBB207_438
; %bb.437:
	global_load_b64 v[6:7], v[4:5], off
	s_mov_b32 s2, -1
	s_mov_b32 s16, 0
	s_mov_b32 s17, 0
	s_wait_loadcnt 0x0
	v_clz_i32_u32_e32 v1, v7
	s_delay_alu instid0(VALU_DEP_1) | instskip(NEXT) | instid1(VALU_DEP_1)
	v_min_u32_e32 v1, 32, v1
	v_lshlrev_b64_e32 v[6:7], v1, v[6:7]
	v_sub_nc_u32_e32 v1, 32, v1
	s_delay_alu instid0(VALU_DEP_2) | instskip(NEXT) | instid1(VALU_DEP_1)
	v_min_u32_e32 v3, 1, v6
	v_or_b32_e32 v3, v7, v3
	s_delay_alu instid0(VALU_DEP_1) | instskip(NEXT) | instid1(VALU_DEP_1)
	v_cvt_f32_u32_e32 v3, v3
	v_ldexp_f32 v1, v3, v1
	s_delay_alu instid0(VALU_DEP_1) | instskip(NEXT) | instid1(VALU_DEP_1)
	v_bfe_u32 v3, v1, 16, 1
	v_add3_u32 v1, v1, v3, 0x7fff
	s_delay_alu instid0(VALU_DEP_1)
	v_lshrrev_b32_e32 v1, 16, v1
	s_branch .LBB207_440
.LBB207_438:
	s_mov_b32 s16, -1
                                        ; implicit-def: $vgpr1
.LBB207_439:
	s_mov_b32 s17, 0
.LBB207_440:
	s_delay_alu instid0(SALU_CYCLE_1)
	s_and_b32 vcc_lo, exec_lo, s17
	s_cbranch_vccz .LBB207_458
; %bb.441:
	s_cmp_lt_i32 s1, 27
	s_cbranch_scc1 .LBB207_444
; %bb.442:
	s_cmp_gt_i32 s1, 27
	s_cbranch_scc0 .LBB207_445
; %bb.443:
	s_wait_loadcnt 0x0
	global_load_b32 v1, v[4:5], off
	s_mov_b32 s2, 0
	s_wait_loadcnt 0x0
	v_cvt_f32_u32_e32 v1, v1
	s_delay_alu instid0(VALU_DEP_1) | instskip(NEXT) | instid1(VALU_DEP_1)
	v_bfe_u32 v3, v1, 16, 1
	v_add3_u32 v1, v1, v3, 0x7fff
	s_delay_alu instid0(VALU_DEP_1)
	v_lshrrev_b32_e32 v1, 16, v1
	s_branch .LBB207_446
.LBB207_444:
	s_mov_b32 s2, -1
                                        ; implicit-def: $vgpr1
	s_branch .LBB207_449
.LBB207_445:
	s_mov_b32 s2, -1
                                        ; implicit-def: $vgpr1
.LBB207_446:
	s_delay_alu instid0(SALU_CYCLE_1)
	s_and_not1_b32 vcc_lo, exec_lo, s2
	s_cbranch_vccnz .LBB207_448
; %bb.447:
	s_wait_loadcnt 0x0
	global_load_u16 v1, v[4:5], off
	s_wait_loadcnt 0x0
	v_cvt_f32_u32_e32 v1, v1
	s_delay_alu instid0(VALU_DEP_1) | instskip(NEXT) | instid1(VALU_DEP_1)
	v_bfe_u32 v3, v1, 16, 1
	v_add3_u32 v1, v1, v3, 0x7fff
	s_delay_alu instid0(VALU_DEP_1)
	v_lshrrev_b32_e32 v1, 16, v1
.LBB207_448:
	s_mov_b32 s2, 0
.LBB207_449:
	s_delay_alu instid0(SALU_CYCLE_1)
	s_and_not1_b32 vcc_lo, exec_lo, s2
	s_cbranch_vccnz .LBB207_457
; %bb.450:
	s_wait_loadcnt 0x0
	global_load_u8 v1, v[4:5], off
	s_mov_b32 s2, 0
	s_mov_b32 s17, exec_lo
	s_wait_loadcnt 0x0
	v_cmpx_lt_i16_e32 0x7f, v1
	s_xor_b32 s17, exec_lo, s17
	s_cbranch_execz .LBB207_471
; %bb.451:
	s_mov_b32 s2, -1
	s_mov_b32 s28, exec_lo
	v_cmpx_eq_u16_e32 0x80, v1
; %bb.452:
	s_xor_b32 s2, exec_lo, -1
; %bb.453:
	s_or_b32 exec_lo, exec_lo, s28
	s_delay_alu instid0(SALU_CYCLE_1)
	s_and_b32 s2, s2, exec_lo
	s_or_saveexec_b32 s17, s17
	v_mov_b32_e32 v3, 0x7f800001
	s_xor_b32 exec_lo, exec_lo, s17
	s_cbranch_execnz .LBB207_472
.LBB207_454:
	s_or_b32 exec_lo, exec_lo, s17
	s_and_saveexec_b32 s17, s2
	s_cbranch_execz .LBB207_456
.LBB207_455:
	v_and_b32_e32 v3, 0xffff, v1
	s_delay_alu instid0(VALU_DEP_1) | instskip(SKIP_1) | instid1(VALU_DEP_2)
	v_dual_lshlrev_b32 v1, 24, v1 :: v_dual_bitop2_b32 v6, 7, v3 bitop3:0x40
	v_bfe_u32 v9, v3, 3, 4
	v_and_b32_e32 v1, 0x80000000, v1
	s_delay_alu instid0(VALU_DEP_3) | instskip(NEXT) | instid1(VALU_DEP_3)
	v_clz_i32_u32_e32 v7, v6
	v_cmp_eq_u32_e32 vcc_lo, 0, v9
	s_delay_alu instid0(VALU_DEP_2) | instskip(NEXT) | instid1(VALU_DEP_1)
	v_min_u32_e32 v7, 32, v7
	v_subrev_nc_u32_e32 v8, 28, v7
	v_sub_nc_u32_e32 v7, 29, v7
	s_delay_alu instid0(VALU_DEP_2) | instskip(NEXT) | instid1(VALU_DEP_2)
	v_lshlrev_b32_e32 v3, v8, v3
	v_cndmask_b32_e32 v7, v9, v7, vcc_lo
	s_delay_alu instid0(VALU_DEP_2) | instskip(NEXT) | instid1(VALU_DEP_1)
	v_and_b32_e32 v3, 7, v3
	v_cndmask_b32_e32 v3, v6, v3, vcc_lo
	s_delay_alu instid0(VALU_DEP_3) | instskip(NEXT) | instid1(VALU_DEP_2)
	v_lshl_add_u32 v6, v7, 23, 0x3b800000
	v_lshlrev_b32_e32 v3, 20, v3
	s_delay_alu instid0(VALU_DEP_1)
	v_or3_b32 v3, v1, v6, v3
.LBB207_456:
	s_or_b32 exec_lo, exec_lo, s17
	s_delay_alu instid0(VALU_DEP_1) | instskip(SKIP_1) | instid1(VALU_DEP_2)
	v_bfe_u32 v1, v3, 16, 1
	v_cmp_o_f32_e32 vcc_lo, v3, v3
	v_add3_u32 v1, v3, v1, 0x7fff
	s_delay_alu instid0(VALU_DEP_1) | instskip(NEXT) | instid1(VALU_DEP_1)
	v_lshrrev_b32_e32 v1, 16, v1
	v_cndmask_b32_e32 v1, 0x7fc0, v1, vcc_lo
.LBB207_457:
	s_mov_b32 s2, -1
.LBB207_458:
	s_mov_b32 s17, 0
.LBB207_459:
	s_delay_alu instid0(SALU_CYCLE_1)
	s_and_b32 vcc_lo, exec_lo, s17
	s_cbranch_vccz .LBB207_494
; %bb.460:
	s_cmp_gt_i32 s1, 22
	s_cbranch_scc0 .LBB207_470
; %bb.461:
	s_cmp_lt_i32 s1, 24
	s_cbranch_scc1 .LBB207_473
; %bb.462:
	s_cmp_gt_i32 s1, 24
	s_cbranch_scc0 .LBB207_474
; %bb.463:
	s_wait_loadcnt 0x0
	global_load_u8 v1, v[4:5], off
	s_mov_b32 s2, 0
	s_mov_b32 s17, exec_lo
	s_wait_loadcnt 0x0
	v_cmpx_lt_i16_e32 0x7f, v1
	s_xor_b32 s17, exec_lo, s17
	s_cbranch_execz .LBB207_486
; %bb.464:
	s_mov_b32 s2, -1
	s_mov_b32 s28, exec_lo
	v_cmpx_eq_u16_e32 0x80, v1
; %bb.465:
	s_xor_b32 s2, exec_lo, -1
; %bb.466:
	s_or_b32 exec_lo, exec_lo, s28
	s_delay_alu instid0(SALU_CYCLE_1)
	s_and_b32 s2, s2, exec_lo
	s_or_saveexec_b32 s17, s17
	v_mov_b32_e32 v3, 0x7f800001
	s_xor_b32 exec_lo, exec_lo, s17
	s_cbranch_execnz .LBB207_487
.LBB207_467:
	s_or_b32 exec_lo, exec_lo, s17
	s_and_saveexec_b32 s17, s2
	s_cbranch_execz .LBB207_469
.LBB207_468:
	v_and_b32_e32 v3, 0xffff, v1
	s_delay_alu instid0(VALU_DEP_1) | instskip(SKIP_1) | instid1(VALU_DEP_2)
	v_dual_lshlrev_b32 v1, 24, v1 :: v_dual_bitop2_b32 v6, 3, v3 bitop3:0x40
	v_bfe_u32 v9, v3, 2, 5
	v_and_b32_e32 v1, 0x80000000, v1
	s_delay_alu instid0(VALU_DEP_3) | instskip(NEXT) | instid1(VALU_DEP_3)
	v_clz_i32_u32_e32 v7, v6
	v_cmp_eq_u32_e32 vcc_lo, 0, v9
	s_delay_alu instid0(VALU_DEP_2) | instskip(NEXT) | instid1(VALU_DEP_1)
	v_min_u32_e32 v7, 32, v7
	v_subrev_nc_u32_e32 v8, 29, v7
	v_sub_nc_u32_e32 v7, 30, v7
	s_delay_alu instid0(VALU_DEP_2) | instskip(NEXT) | instid1(VALU_DEP_2)
	v_lshlrev_b32_e32 v3, v8, v3
	v_cndmask_b32_e32 v7, v9, v7, vcc_lo
	s_delay_alu instid0(VALU_DEP_2) | instskip(NEXT) | instid1(VALU_DEP_1)
	v_and_b32_e32 v3, 3, v3
	v_cndmask_b32_e32 v3, v6, v3, vcc_lo
	s_delay_alu instid0(VALU_DEP_3) | instskip(NEXT) | instid1(VALU_DEP_2)
	v_lshl_add_u32 v6, v7, 23, 0x37800000
	v_lshlrev_b32_e32 v3, 21, v3
	s_delay_alu instid0(VALU_DEP_1)
	v_or3_b32 v3, v1, v6, v3
.LBB207_469:
	s_or_b32 exec_lo, exec_lo, s17
	s_delay_alu instid0(VALU_DEP_1) | instskip(SKIP_2) | instid1(VALU_DEP_2)
	v_bfe_u32 v1, v3, 16, 1
	v_cmp_o_f32_e32 vcc_lo, v3, v3
	s_mov_b32 s2, 0
	v_add3_u32 v1, v3, v1, 0x7fff
	s_delay_alu instid0(VALU_DEP_1) | instskip(NEXT) | instid1(VALU_DEP_1)
	v_lshrrev_b32_e32 v1, 16, v1
	v_cndmask_b32_e32 v1, 0x7fc0, v1, vcc_lo
	s_branch .LBB207_475
.LBB207_470:
	s_mov_b32 s17, -1
                                        ; implicit-def: $vgpr1
	s_branch .LBB207_481
.LBB207_471:
	s_or_saveexec_b32 s17, s17
	v_mov_b32_e32 v3, 0x7f800001
	s_xor_b32 exec_lo, exec_lo, s17
	s_cbranch_execz .LBB207_454
.LBB207_472:
	v_cmp_ne_u16_e32 vcc_lo, 0, v1
	v_mov_b32_e32 v3, 0
	s_and_not1_b32 s2, s2, exec_lo
	s_and_b32 s28, vcc_lo, exec_lo
	s_delay_alu instid0(SALU_CYCLE_1)
	s_or_b32 s2, s2, s28
	s_or_b32 exec_lo, exec_lo, s17
	s_and_saveexec_b32 s17, s2
	s_cbranch_execnz .LBB207_455
	s_branch .LBB207_456
.LBB207_473:
	s_mov_b32 s2, -1
                                        ; implicit-def: $vgpr1
	s_branch .LBB207_478
.LBB207_474:
	s_mov_b32 s2, -1
                                        ; implicit-def: $vgpr1
.LBB207_475:
	s_delay_alu instid0(SALU_CYCLE_1)
	s_and_b32 vcc_lo, exec_lo, s2
	s_cbranch_vccz .LBB207_477
; %bb.476:
	s_wait_loadcnt 0x0
	global_load_u8 v1, v[4:5], off
	s_wait_loadcnt 0x0
	v_lshlrev_b32_e32 v1, 24, v1
	s_delay_alu instid0(VALU_DEP_1) | instskip(NEXT) | instid1(VALU_DEP_1)
	v_and_b32_e32 v3, 0x7f000000, v1
	v_clz_i32_u32_e32 v6, v3
	v_cmp_ne_u32_e32 vcc_lo, 0, v3
	v_add_nc_u32_e32 v8, 0x1000000, v3
	s_delay_alu instid0(VALU_DEP_3) | instskip(NEXT) | instid1(VALU_DEP_1)
	v_min_u32_e32 v6, 32, v6
	v_sub_nc_u32_e64 v6, v6, 4 clamp
	s_delay_alu instid0(VALU_DEP_1) | instskip(NEXT) | instid1(VALU_DEP_1)
	v_dual_lshlrev_b32 v7, v6, v3 :: v_dual_lshlrev_b32 v6, 23, v6
	v_lshrrev_b32_e32 v7, 4, v7
	s_delay_alu instid0(VALU_DEP_1) | instskip(NEXT) | instid1(VALU_DEP_1)
	v_dual_sub_nc_u32 v6, v7, v6 :: v_dual_ashrrev_i32 v7, 8, v8
	v_add_nc_u32_e32 v6, 0x3c000000, v6
	s_delay_alu instid0(VALU_DEP_1) | instskip(NEXT) | instid1(VALU_DEP_1)
	v_and_or_b32 v6, 0x7f800000, v7, v6
	v_cndmask_b32_e32 v3, 0, v6, vcc_lo
	s_delay_alu instid0(VALU_DEP_1) | instskip(SKIP_1) | instid1(VALU_DEP_2)
	v_and_or_b32 v1, 0x80000000, v1, v3
	v_bfe_u32 v3, v3, 16, 1
	v_cmp_o_f32_e32 vcc_lo, v1, v1
	s_delay_alu instid0(VALU_DEP_2) | instskip(NEXT) | instid1(VALU_DEP_1)
	v_add3_u32 v3, v1, v3, 0x7fff
	v_lshrrev_b32_e32 v3, 16, v3
	s_delay_alu instid0(VALU_DEP_1)
	v_cndmask_b32_e32 v1, 0x7fc0, v3, vcc_lo
.LBB207_477:
	s_mov_b32 s2, 0
.LBB207_478:
	s_delay_alu instid0(SALU_CYCLE_1)
	s_and_not1_b32 vcc_lo, exec_lo, s2
	s_cbranch_vccnz .LBB207_480
; %bb.479:
	s_wait_loadcnt 0x0
	global_load_u8 v1, v[4:5], off
	s_wait_loadcnt 0x0
	v_lshlrev_b32_e32 v3, 25, v1
	v_lshlrev_b16 v1, 8, v1
	s_delay_alu instid0(VALU_DEP_1) | instskip(SKIP_1) | instid1(VALU_DEP_2)
	v_and_or_b32 v7, 0x7f00, v1, 0.5
	v_bfe_i32 v1, v1, 0, 16
	v_add_f32_e32 v7, -0.5, v7
	v_lshrrev_b32_e32 v6, 4, v3
	v_cmp_gt_u32_e32 vcc_lo, 0x8000000, v3
	s_delay_alu instid0(VALU_DEP_2) | instskip(NEXT) | instid1(VALU_DEP_1)
	v_or_b32_e32 v6, 0x70000000, v6
	v_mul_f32_e32 v6, 0x7800000, v6
	s_delay_alu instid0(VALU_DEP_1) | instskip(NEXT) | instid1(VALU_DEP_1)
	v_cndmask_b32_e32 v3, v6, v7, vcc_lo
	v_and_or_b32 v1, 0x80000000, v1, v3
	v_bfe_u32 v3, v3, 16, 1
	s_delay_alu instid0(VALU_DEP_2) | instskip(NEXT) | instid1(VALU_DEP_2)
	v_cmp_o_f32_e32 vcc_lo, v1, v1
	v_add3_u32 v3, v1, v3, 0x7fff
	s_delay_alu instid0(VALU_DEP_1) | instskip(NEXT) | instid1(VALU_DEP_1)
	v_lshrrev_b32_e32 v3, 16, v3
	v_cndmask_b32_e32 v1, 0x7fc0, v3, vcc_lo
.LBB207_480:
	s_mov_b32 s17, 0
	s_mov_b32 s2, -1
.LBB207_481:
	s_and_not1_b32 vcc_lo, exec_lo, s17
	s_cbranch_vccnz .LBB207_494
; %bb.482:
	s_cmp_gt_i32 s1, 14
	s_cbranch_scc0 .LBB207_485
; %bb.483:
	s_cmp_eq_u32 s1, 15
	s_cbranch_scc0 .LBB207_488
; %bb.484:
	s_wait_loadcnt 0x0
	global_load_u16 v1, v[4:5], off
	s_mov_b32 s2, -1
	s_mov_b32 s16, 0
	s_branch .LBB207_489
.LBB207_485:
	s_mov_b32 s17, -1
                                        ; implicit-def: $vgpr1
	s_branch .LBB207_490
.LBB207_486:
	s_or_saveexec_b32 s17, s17
	v_mov_b32_e32 v3, 0x7f800001
	s_xor_b32 exec_lo, exec_lo, s17
	s_cbranch_execz .LBB207_467
.LBB207_487:
	v_cmp_ne_u16_e32 vcc_lo, 0, v1
	v_mov_b32_e32 v3, 0
	s_and_not1_b32 s2, s2, exec_lo
	s_and_b32 s28, vcc_lo, exec_lo
	s_delay_alu instid0(SALU_CYCLE_1)
	s_or_b32 s2, s2, s28
	s_or_b32 exec_lo, exec_lo, s17
	s_and_saveexec_b32 s17, s2
	s_cbranch_execnz .LBB207_468
	s_branch .LBB207_469
.LBB207_488:
	s_mov_b32 s16, -1
                                        ; implicit-def: $vgpr1
.LBB207_489:
	s_mov_b32 s17, 0
.LBB207_490:
	s_delay_alu instid0(SALU_CYCLE_1)
	s_and_b32 vcc_lo, exec_lo, s17
	s_cbranch_vccz .LBB207_494
; %bb.491:
	s_cmp_eq_u32 s1, 11
	s_cbranch_scc0 .LBB207_493
; %bb.492:
	s_wait_loadcnt 0x0
	global_load_u8 v1, v[4:5], off
	s_mov_b32 s16, 0
	s_mov_b32 s2, -1
	s_wait_loadcnt 0x0
	v_cmp_ne_u16_e32 vcc_lo, 0, v1
	v_cndmask_b32_e64 v1, 0, 1.0, vcc_lo
	s_delay_alu instid0(VALU_DEP_1)
	v_lshrrev_b32_e32 v1, 16, v1
	s_branch .LBB207_494
.LBB207_493:
	s_mov_b32 s16, -1
                                        ; implicit-def: $vgpr1
.LBB207_494:
	s_branch .LBB207_296
.LBB207_495:
	s_cmp_lt_i32 s1, 5
	s_cbranch_scc1 .LBB207_500
; %bb.496:
	s_cmp_lt_i32 s1, 8
	s_cbranch_scc1 .LBB207_501
; %bb.497:
	;; [unrolled: 3-line block ×3, first 2 shown]
	s_cmp_gt_i32 s1, 9
	s_cbranch_scc0 .LBB207_503
; %bb.499:
	global_load_b64 v[6:7], v[4:5], off
	s_mov_b32 s2, 0
	s_wait_loadcnt 0x0
	v_cvt_f32_f64_e32 v1, v[6:7]
	s_delay_alu instid0(VALU_DEP_1) | instskip(SKIP_1) | instid1(VALU_DEP_2)
	v_bfe_u32 v3, v1, 16, 1
	v_cmp_o_f32_e32 vcc_lo, v1, v1
	v_add3_u32 v3, v1, v3, 0x7fff
	s_delay_alu instid0(VALU_DEP_1) | instskip(NEXT) | instid1(VALU_DEP_1)
	v_lshrrev_b32_e32 v3, 16, v3
	v_cndmask_b32_e32 v1, 0x7fc0, v3, vcc_lo
	s_branch .LBB207_504
.LBB207_500:
	s_mov_b32 s2, -1
                                        ; implicit-def: $vgpr1
	s_branch .LBB207_522
.LBB207_501:
	s_mov_b32 s2, -1
                                        ; implicit-def: $vgpr1
	s_branch .LBB207_510
.LBB207_502:
	s_mov_b32 s2, -1
                                        ; implicit-def: $vgpr1
	s_branch .LBB207_507
.LBB207_503:
	s_mov_b32 s2, -1
                                        ; implicit-def: $vgpr1
.LBB207_504:
	s_delay_alu instid0(SALU_CYCLE_1)
	s_and_not1_b32 vcc_lo, exec_lo, s2
	s_cbranch_vccnz .LBB207_506
; %bb.505:
	s_wait_loadcnt 0x0
	global_load_b32 v1, v[4:5], off
	s_wait_loadcnt 0x0
	v_bfe_u32 v3, v1, 16, 1
	v_cmp_o_f32_e32 vcc_lo, v1, v1
	s_delay_alu instid0(VALU_DEP_2) | instskip(NEXT) | instid1(VALU_DEP_1)
	v_add3_u32 v3, v1, v3, 0x7fff
	v_lshrrev_b32_e32 v3, 16, v3
	s_delay_alu instid0(VALU_DEP_1)
	v_cndmask_b32_e32 v1, 0x7fc0, v3, vcc_lo
.LBB207_506:
	s_mov_b32 s2, 0
.LBB207_507:
	s_delay_alu instid0(SALU_CYCLE_1)
	s_and_not1_b32 vcc_lo, exec_lo, s2
	s_cbranch_vccnz .LBB207_509
; %bb.508:
	s_wait_loadcnt 0x0
	global_load_b32 v1, v[4:5], off
	s_wait_loadcnt 0x0
	v_cvt_f32_f16_e32 v3, v1
	v_cmp_o_f16_e32 vcc_lo, v1, v1
	s_delay_alu instid0(VALU_DEP_2) | instskip(NEXT) | instid1(VALU_DEP_1)
	v_bfe_u32 v6, v3, 16, 1
	v_add3_u32 v3, v3, v6, 0x7fff
	s_delay_alu instid0(VALU_DEP_1) | instskip(NEXT) | instid1(VALU_DEP_1)
	v_lshrrev_b32_e32 v3, 16, v3
	v_cndmask_b32_e32 v1, 0x7fc0, v3, vcc_lo
.LBB207_509:
	s_mov_b32 s2, 0
.LBB207_510:
	s_delay_alu instid0(SALU_CYCLE_1)
	s_and_not1_b32 vcc_lo, exec_lo, s2
	s_cbranch_vccnz .LBB207_521
; %bb.511:
	s_cmp_lt_i32 s1, 6
	s_cbranch_scc1 .LBB207_514
; %bb.512:
	s_cmp_gt_i32 s1, 6
	s_cbranch_scc0 .LBB207_515
; %bb.513:
	global_load_b64 v[6:7], v[4:5], off
	s_mov_b32 s2, 0
	s_wait_loadcnt 0x0
	v_cvt_f32_f64_e32 v1, v[6:7]
	s_delay_alu instid0(VALU_DEP_1) | instskip(SKIP_1) | instid1(VALU_DEP_2)
	v_bfe_u32 v3, v1, 16, 1
	v_cmp_o_f32_e32 vcc_lo, v1, v1
	v_add3_u32 v3, v1, v3, 0x7fff
	s_delay_alu instid0(VALU_DEP_1) | instskip(NEXT) | instid1(VALU_DEP_1)
	v_lshrrev_b32_e32 v3, 16, v3
	v_cndmask_b32_e32 v1, 0x7fc0, v3, vcc_lo
	s_branch .LBB207_516
.LBB207_514:
	s_mov_b32 s2, -1
                                        ; implicit-def: $vgpr1
	s_branch .LBB207_519
.LBB207_515:
	s_mov_b32 s2, -1
                                        ; implicit-def: $vgpr1
.LBB207_516:
	s_delay_alu instid0(SALU_CYCLE_1)
	s_and_not1_b32 vcc_lo, exec_lo, s2
	s_cbranch_vccnz .LBB207_518
; %bb.517:
	s_wait_loadcnt 0x0
	global_load_b32 v1, v[4:5], off
	s_wait_loadcnt 0x0
	v_bfe_u32 v3, v1, 16, 1
	v_cmp_o_f32_e32 vcc_lo, v1, v1
	s_delay_alu instid0(VALU_DEP_2) | instskip(NEXT) | instid1(VALU_DEP_1)
	v_add3_u32 v3, v1, v3, 0x7fff
	v_lshrrev_b32_e32 v3, 16, v3
	s_delay_alu instid0(VALU_DEP_1)
	v_cndmask_b32_e32 v1, 0x7fc0, v3, vcc_lo
.LBB207_518:
	s_mov_b32 s2, 0
.LBB207_519:
	s_delay_alu instid0(SALU_CYCLE_1)
	s_and_not1_b32 vcc_lo, exec_lo, s2
	s_cbranch_vccnz .LBB207_521
; %bb.520:
	s_wait_loadcnt 0x0
	global_load_u16 v1, v[4:5], off
	s_wait_loadcnt 0x0
	v_cvt_f32_f16_e32 v3, v1
	v_cmp_o_f16_e32 vcc_lo, v1, v1
	s_delay_alu instid0(VALU_DEP_2) | instskip(NEXT) | instid1(VALU_DEP_1)
	v_bfe_u32 v6, v3, 16, 1
	v_add3_u32 v3, v3, v6, 0x7fff
	s_delay_alu instid0(VALU_DEP_1) | instskip(NEXT) | instid1(VALU_DEP_1)
	v_lshrrev_b32_e32 v3, 16, v3
	v_cndmask_b32_e32 v1, 0x7fc0, v3, vcc_lo
.LBB207_521:
	s_mov_b32 s2, 0
.LBB207_522:
	s_delay_alu instid0(SALU_CYCLE_1)
	s_and_not1_b32 vcc_lo, exec_lo, s2
	s_cbranch_vccnz .LBB207_542
; %bb.523:
	s_cmp_lt_i32 s1, 2
	s_cbranch_scc1 .LBB207_527
; %bb.524:
	s_cmp_lt_i32 s1, 3
	s_cbranch_scc1 .LBB207_528
; %bb.525:
	s_cmp_gt_i32 s1, 3
	s_cbranch_scc0 .LBB207_529
; %bb.526:
	global_load_b64 v[6:7], v[4:5], off
	s_mov_b32 s2, 0
	s_wait_loadcnt 0x0
	v_xor_b32_e32 v1, v6, v7
	v_cls_i32_e32 v3, v7
	s_delay_alu instid0(VALU_DEP_2) | instskip(NEXT) | instid1(VALU_DEP_1)
	v_ashrrev_i32_e32 v1, 31, v1
	v_add_nc_u32_e32 v1, 32, v1
	s_delay_alu instid0(VALU_DEP_1) | instskip(NEXT) | instid1(VALU_DEP_1)
	v_add_min_u32_e64 v1, v3, -1, v1
	v_lshlrev_b64_e32 v[6:7], v1, v[6:7]
	v_sub_nc_u32_e32 v1, 32, v1
	s_delay_alu instid0(VALU_DEP_2) | instskip(NEXT) | instid1(VALU_DEP_1)
	v_min_u32_e32 v3, 1, v6
	v_or_b32_e32 v3, v7, v3
	s_delay_alu instid0(VALU_DEP_1) | instskip(NEXT) | instid1(VALU_DEP_1)
	v_cvt_f32_i32_e32 v3, v3
	v_ldexp_f32 v1, v3, v1
	s_delay_alu instid0(VALU_DEP_1) | instskip(NEXT) | instid1(VALU_DEP_1)
	v_bfe_u32 v3, v1, 16, 1
	v_add3_u32 v1, v1, v3, 0x7fff
	s_delay_alu instid0(VALU_DEP_1)
	v_lshrrev_b32_e32 v1, 16, v1
	s_branch .LBB207_530
.LBB207_527:
	s_mov_b32 s2, -1
                                        ; implicit-def: $vgpr1
	s_branch .LBB207_536
.LBB207_528:
	s_mov_b32 s2, -1
                                        ; implicit-def: $vgpr1
	s_branch .LBB207_533
.LBB207_529:
	s_mov_b32 s2, -1
                                        ; implicit-def: $vgpr1
.LBB207_530:
	s_delay_alu instid0(SALU_CYCLE_1)
	s_and_not1_b32 vcc_lo, exec_lo, s2
	s_cbranch_vccnz .LBB207_532
; %bb.531:
	s_wait_loadcnt 0x0
	global_load_b32 v1, v[4:5], off
	s_wait_loadcnt 0x0
	v_cvt_f32_i32_e32 v1, v1
	s_delay_alu instid0(VALU_DEP_1) | instskip(NEXT) | instid1(VALU_DEP_1)
	v_bfe_u32 v3, v1, 16, 1
	v_add3_u32 v1, v1, v3, 0x7fff
	s_delay_alu instid0(VALU_DEP_1)
	v_lshrrev_b32_e32 v1, 16, v1
.LBB207_532:
	s_mov_b32 s2, 0
.LBB207_533:
	s_delay_alu instid0(SALU_CYCLE_1)
	s_and_not1_b32 vcc_lo, exec_lo, s2
	s_cbranch_vccnz .LBB207_535
; %bb.534:
	s_wait_loadcnt 0x0
	global_load_i16 v1, v[4:5], off
	s_wait_loadcnt 0x0
	v_cvt_f32_i32_e32 v1, v1
	s_delay_alu instid0(VALU_DEP_1) | instskip(NEXT) | instid1(VALU_DEP_1)
	v_bfe_u32 v3, v1, 16, 1
	v_add3_u32 v1, v1, v3, 0x7fff
	s_delay_alu instid0(VALU_DEP_1)
	v_lshrrev_b32_e32 v1, 16, v1
.LBB207_535:
	s_mov_b32 s2, 0
.LBB207_536:
	s_delay_alu instid0(SALU_CYCLE_1)
	s_and_not1_b32 vcc_lo, exec_lo, s2
	s_cbranch_vccnz .LBB207_542
; %bb.537:
	s_cmp_gt_i32 s1, 0
	s_mov_b32 s1, 0
	s_cbranch_scc0 .LBB207_539
; %bb.538:
	s_wait_loadcnt 0x0
	global_load_i8 v1, v[4:5], off
	s_wait_loadcnt 0x0
	v_cvt_f32_i32_e32 v1, v1
	s_delay_alu instid0(VALU_DEP_1) | instskip(NEXT) | instid1(VALU_DEP_1)
	v_bfe_u32 v3, v1, 16, 1
	v_add3_u32 v1, v1, v3, 0x7fff
	s_delay_alu instid0(VALU_DEP_1)
	v_lshrrev_b32_e32 v1, 16, v1
	s_branch .LBB207_540
.LBB207_539:
	s_mov_b32 s1, -1
                                        ; implicit-def: $vgpr1
.LBB207_540:
	s_delay_alu instid0(SALU_CYCLE_1)
	s_and_not1_b32 vcc_lo, exec_lo, s1
	s_cbranch_vccnz .LBB207_542
; %bb.541:
	s_wait_loadcnt 0x0
	global_load_u8 v1, v[4:5], off
	s_wait_loadcnt 0x0
	v_cvt_f32_ubyte0_e32 v1, v1
	s_delay_alu instid0(VALU_DEP_1) | instskip(NEXT) | instid1(VALU_DEP_1)
	v_bfe_u32 v3, v1, 16, 1
	v_add3_u32 v1, v1, v3, 0x7fff
	s_delay_alu instid0(VALU_DEP_1)
	v_lshrrev_b32_e32 v1, 16, v1
.LBB207_542:
	s_branch .LBB207_297
.LBB207_543:
	s_mov_b32 s1, 0
	s_mov_b32 s2, s42
.LBB207_544:
                                        ; implicit-def: $vgpr0
.LBB207_545:
	s_and_not1_b32 s17, s42, exec_lo
	s_and_b32 s2, s2, exec_lo
	s_and_not1_b32 s28, s43, exec_lo
	s_and_b32 s16, s16, exec_lo
	s_or_b32 s46, s17, s2
	s_or_b32 s45, s28, s16
	s_or_not1_b32 s16, s1, exec_lo
.LBB207_546:
	s_wait_xcnt 0x0
	s_or_b32 exec_lo, exec_lo, s47
	s_mov_b32 s1, 0
	s_mov_b32 s2, 0
	;; [unrolled: 1-line block ×3, first 2 shown]
                                        ; implicit-def: $vgpr4_vgpr5
                                        ; implicit-def: $vgpr2
                                        ; implicit-def: $vgpr3
	s_and_saveexec_b32 s47, s16
	s_cbranch_execz .LBB207_927
; %bb.547:
	s_mov_b32 s29, -1
	s_mov_b32 s1, s45
	s_mov_b32 s2, s46
	s_mov_b32 s48, exec_lo
	v_cmpx_gt_i32_e64 s39, v0
	s_cbranch_execz .LBB207_824
; %bb.548:
	s_and_not1_b32 vcc_lo, exec_lo, s35
	s_cbranch_vccnz .LBB207_554
; %bb.549:
	s_and_not1_b32 vcc_lo, exec_lo, s41
	s_cbranch_vccnz .LBB207_555
; %bb.550:
	s_add_co_i32 s1, s40, 1
	s_cmp_eq_u32 s33, 2
	s_cbranch_scc1 .LBB207_556
; %bb.551:
	v_dual_mov_b32 v2, 0 :: v_dual_mov_b32 v4, 0
	s_wait_loadcnt 0x0
	v_mov_b32_e32 v1, v0
	s_and_b32 s16, s1, 28
	s_mov_b32 s2, 0
	s_mov_b64 s[28:29], s[20:21]
	s_mov_b64 s[30:31], s[26:27]
.LBB207_552:                            ; =>This Inner Loop Header: Depth=1
	s_clause 0x1
	s_load_b256 s[52:59], s[28:29], 0x4
	s_load_b128 s[68:71], s[28:29], 0x24
	s_load_b256 s[60:67], s[30:31], 0x0
	s_add_co_i32 s2, s2, 4
	s_wait_xcnt 0x0
	s_add_nc_u64 s[28:29], s[28:29], 48
	s_cmp_eq_u32 s16, s2
	s_add_nc_u64 s[30:31], s[30:31], 32
	s_wait_kmcnt 0x0
	v_mul_hi_u32 v3, s53, v1
	s_delay_alu instid0(VALU_DEP_1) | instskip(NEXT) | instid1(VALU_DEP_1)
	v_add_nc_u32_e32 v3, v1, v3
	v_lshrrev_b32_e32 v3, s54, v3
	s_delay_alu instid0(VALU_DEP_1) | instskip(NEXT) | instid1(VALU_DEP_1)
	v_mul_hi_u32 v5, s56, v3
	v_add_nc_u32_e32 v5, v3, v5
	s_delay_alu instid0(VALU_DEP_1) | instskip(NEXT) | instid1(VALU_DEP_1)
	v_lshrrev_b32_e32 v5, s57, v5
	v_mul_hi_u32 v6, s59, v5
	s_delay_alu instid0(VALU_DEP_1) | instskip(SKIP_1) | instid1(VALU_DEP_1)
	v_add_nc_u32_e32 v6, v5, v6
	v_mul_lo_u32 v7, v3, s52
	v_sub_nc_u32_e32 v1, v1, v7
	v_mul_lo_u32 v7, v5, s55
	s_delay_alu instid0(VALU_DEP_4) | instskip(NEXT) | instid1(VALU_DEP_3)
	v_lshrrev_b32_e32 v6, s68, v6
	v_mad_u32 v4, v1, s61, v4
	v_mad_u32 v1, v1, s60, v2
	s_delay_alu instid0(VALU_DEP_4) | instskip(NEXT) | instid1(VALU_DEP_4)
	v_sub_nc_u32_e32 v2, v3, v7
	v_mul_hi_u32 v8, s70, v6
	v_mul_lo_u32 v3, v6, s58
	s_delay_alu instid0(VALU_DEP_3) | instskip(SKIP_1) | instid1(VALU_DEP_3)
	v_mad_u32 v4, v2, s63, v4
	v_mad_u32 v2, v2, s62, v1
	v_dual_add_nc_u32 v7, v6, v8 :: v_dual_sub_nc_u32 v3, v5, v3
	s_delay_alu instid0(VALU_DEP_1) | instskip(NEXT) | instid1(VALU_DEP_2)
	v_lshrrev_b32_e32 v1, s71, v7
	v_mad_u32 v4, v3, s65, v4
	s_delay_alu instid0(VALU_DEP_4) | instskip(NEXT) | instid1(VALU_DEP_3)
	v_mad_u32 v2, v3, s64, v2
	v_mul_lo_u32 v5, v1, s69
	s_delay_alu instid0(VALU_DEP_1) | instskip(NEXT) | instid1(VALU_DEP_1)
	v_sub_nc_u32_e32 v3, v6, v5
	v_mad_u32 v4, v3, s67, v4
	s_delay_alu instid0(VALU_DEP_4)
	v_mad_u32 v2, v3, s66, v2
	s_cbranch_scc0 .LBB207_552
; %bb.553:
	s_delay_alu instid0(VALU_DEP_2)
	v_mov_b32_e32 v3, v4
	s_branch .LBB207_557
.LBB207_554:
	s_mov_b32 s1, -1
                                        ; implicit-def: $vgpr4
                                        ; implicit-def: $vgpr2
	s_branch .LBB207_562
.LBB207_555:
	v_dual_mov_b32 v4, 0 :: v_dual_mov_b32 v2, 0
	s_branch .LBB207_561
.LBB207_556:
	v_mov_b64_e32 v[2:3], 0
	s_wait_loadcnt 0x0
	v_mov_b32_e32 v1, v0
	s_mov_b32 s16, 0
                                        ; implicit-def: $vgpr4
.LBB207_557:
	s_and_b32 s1, s1, 3
	s_mov_b32 s17, 0
	s_cmp_eq_u32 s1, 0
	s_cbranch_scc1 .LBB207_561
; %bb.558:
	s_lshl_b32 s28, s16, 3
	s_mov_b32 s29, s17
	s_mul_u64 s[30:31], s[16:17], 12
	s_add_nc_u64 s[28:29], s[20:21], s[28:29]
	s_delay_alu instid0(SALU_CYCLE_1)
	s_add_nc_u64 s[16:17], s[28:29], 0xc4
	s_add_nc_u64 s[28:29], s[20:21], s[30:31]
.LBB207_559:                            ; =>This Inner Loop Header: Depth=1
	s_load_b96 s[52:54], s[28:29], 0x4
	s_load_b64 s[30:31], s[16:17], 0x0
	s_add_co_i32 s1, s1, -1
	s_wait_xcnt 0x0
	s_add_nc_u64 s[28:29], s[28:29], 12
	s_cmp_lg_u32 s1, 0
	s_add_nc_u64 s[16:17], s[16:17], 8
	s_wait_kmcnt 0x0
	v_mul_hi_u32 v4, s53, v1
	s_delay_alu instid0(VALU_DEP_1) | instskip(NEXT) | instid1(VALU_DEP_1)
	v_add_nc_u32_e32 v4, v1, v4
	v_lshrrev_b32_e32 v4, s54, v4
	s_delay_alu instid0(VALU_DEP_1) | instskip(NEXT) | instid1(VALU_DEP_1)
	v_mul_lo_u32 v5, v4, s52
	v_sub_nc_u32_e32 v1, v1, v5
	s_delay_alu instid0(VALU_DEP_1)
	v_mad_u32 v3, v1, s31, v3
	v_mad_u32 v2, v1, s30, v2
	v_mov_b32_e32 v1, v4
	s_cbranch_scc1 .LBB207_559
; %bb.560:
	s_delay_alu instid0(VALU_DEP_3)
	v_mov_b32_e32 v4, v3
.LBB207_561:
	s_mov_b32 s1, 0
.LBB207_562:
	s_delay_alu instid0(SALU_CYCLE_1)
	s_and_not1_b32 vcc_lo, exec_lo, s1
	s_cbranch_vccnz .LBB207_565
; %bb.563:
	s_wait_loadcnt 0x0
	v_mov_b32_e32 v1, 0
	s_and_not1_b32 vcc_lo, exec_lo, s38
	s_delay_alu instid0(VALU_DEP_1) | instskip(NEXT) | instid1(VALU_DEP_1)
	v_mul_u64_e32 v[2:3], s[22:23], v[0:1]
	v_add_nc_u32_e32 v2, v0, v3
	s_delay_alu instid0(VALU_DEP_1) | instskip(NEXT) | instid1(VALU_DEP_1)
	v_lshrrev_b32_e32 v6, s10, v2
	v_mul_lo_u32 v2, v6, s8
	s_delay_alu instid0(VALU_DEP_1) | instskip(NEXT) | instid1(VALU_DEP_1)
	v_sub_nc_u32_e32 v2, v0, v2
	v_mul_lo_u32 v4, v2, s13
	v_mul_lo_u32 v2, v2, s12
	s_cbranch_vccnz .LBB207_565
; %bb.564:
	v_mov_b32_e32 v7, v1
	s_delay_alu instid0(VALU_DEP_1) | instskip(NEXT) | instid1(VALU_DEP_1)
	v_mul_u64_e32 v[8:9], s[24:25], v[6:7]
	v_add_nc_u32_e32 v1, v6, v9
	s_delay_alu instid0(VALU_DEP_1) | instskip(NEXT) | instid1(VALU_DEP_1)
	v_lshrrev_b32_e32 v1, s3, v1
	v_mul_lo_u32 v1, v1, s11
	s_delay_alu instid0(VALU_DEP_1) | instskip(NEXT) | instid1(VALU_DEP_1)
	v_sub_nc_u32_e32 v1, v6, v1
	v_mad_u32 v2, v1, s14, v2
	v_mad_u32 v4, v1, s15, v4
.LBB207_565:
	v_mov_b32_e32 v5, 0
	s_and_b32 s1, 0xffff, s37
	s_delay_alu instid0(SALU_CYCLE_1) | instskip(NEXT) | instid1(VALU_DEP_1)
	s_cmp_lt_i32 s1, 11
	v_add_nc_u64_e32 v[4:5], s[6:7], v[4:5]
	s_cbranch_scc1 .LBB207_572
; %bb.566:
	s_cmp_gt_i32 s1, 25
	s_cbranch_scc0 .LBB207_573
; %bb.567:
	s_cmp_gt_i32 s1, 28
	s_cbranch_scc0 .LBB207_574
	;; [unrolled: 3-line block ×4, first 2 shown]
; %bb.570:
	s_cmp_eq_u32 s1, 46
	s_mov_b32 s17, 0
	s_cbranch_scc0 .LBB207_581
; %bb.571:
	s_wait_loadcnt 0x0
	global_load_b32 v1, v[4:5], off
	s_mov_b32 s2, -1
	s_mov_b32 s16, 0
	s_branch .LBB207_583
.LBB207_572:
	s_mov_b32 s17, -1
	s_mov_b32 s2, 0
	s_mov_b32 s16, s45
                                        ; implicit-def: $vgpr1
	s_branch .LBB207_648
.LBB207_573:
	s_mov_b32 s17, -1
	s_mov_b32 s2, 0
	s_mov_b32 s16, s45
                                        ; implicit-def: $vgpr1
	s_branch .LBB207_612
.LBB207_574:
	s_mov_b32 s17, -1
	s_mov_b32 s2, 0
	s_mov_b32 s16, s45
                                        ; implicit-def: $vgpr1
	s_branch .LBB207_593
.LBB207_575:
	s_mov_b32 s17, -1
	s_mov_b32 s2, 0
	s_mov_b32 s16, s45
                                        ; implicit-def: $vgpr1
	s_branch .LBB207_588
.LBB207_576:
	s_and_not1_saveexec_b32 s31, s31
	s_cbranch_execz .LBB207_343
.LBB207_577:
	v_add_f32_e32 v1, 0x46000000, v4
	s_and_not1_b32 s30, s30, exec_lo
	s_delay_alu instid0(VALU_DEP_1) | instskip(NEXT) | instid1(VALU_DEP_1)
	v_and_b32_e32 v1, 0xff, v1
	v_cmp_ne_u32_e32 vcc_lo, 0, v1
	s_and_b32 s45, vcc_lo, exec_lo
	s_delay_alu instid0(SALU_CYCLE_1)
	s_or_b32 s30, s30, s45
	s_or_b32 exec_lo, exec_lo, s31
	v_mov_b32_e32 v5, 0
	s_and_saveexec_b32 s31, s30
	s_cbranch_execnz .LBB207_344
	s_branch .LBB207_345
.LBB207_578:
	s_mov_b32 s17, -1
	s_mov_b32 s2, 0
	s_mov_b32 s16, s45
	s_branch .LBB207_582
.LBB207_579:
	s_and_not1_saveexec_b32 s31, s31
	s_cbranch_execz .LBB207_356
.LBB207_580:
	v_add_f32_e32 v1, 0x42800000, v4
	s_and_not1_b32 s30, s30, exec_lo
	s_delay_alu instid0(VALU_DEP_1) | instskip(NEXT) | instid1(VALU_DEP_1)
	v_and_b32_e32 v1, 0xff, v1
	v_cmp_ne_u32_e32 vcc_lo, 0, v1
	s_and_b32 s45, vcc_lo, exec_lo
	s_delay_alu instid0(SALU_CYCLE_1)
	s_or_b32 s30, s30, s45
	s_or_b32 exec_lo, exec_lo, s31
	v_mov_b32_e32 v5, 0
	s_and_saveexec_b32 s31, s30
	s_cbranch_execnz .LBB207_357
	s_branch .LBB207_358
.LBB207_581:
	s_mov_b32 s16, -1
	s_mov_b32 s2, 0
.LBB207_582:
                                        ; implicit-def: $vgpr1
.LBB207_583:
	s_and_b32 vcc_lo, exec_lo, s17
	s_cbranch_vccz .LBB207_587
; %bb.584:
	s_cmp_eq_u32 s1, 44
	s_cbranch_scc0 .LBB207_586
; %bb.585:
	s_wait_loadcnt 0x0
	global_load_u8 v1, v[4:5], off
	s_mov_b32 s16, 0
	s_mov_b32 s2, -1
	s_wait_loadcnt 0x0
	v_lshlrev_b32_e32 v3, 23, v1
	v_cmp_ne_u32_e32 vcc_lo, 0xff, v1
	s_delay_alu instid0(VALU_DEP_2) | instskip(SKIP_1) | instid1(VALU_DEP_2)
	v_cndmask_b32_e32 v3, 0x7f800001, v3, vcc_lo
	v_cmp_ne_u32_e32 vcc_lo, 0, v1
	v_cndmask_b32_e32 v1, 0x400000, v3, vcc_lo
	s_delay_alu instid0(VALU_DEP_1) | instskip(SKIP_1) | instid1(VALU_DEP_2)
	v_add_nc_u32_e32 v3, 0x7fff, v1
	v_cmp_o_f32_e32 vcc_lo, v1, v1
	v_lshrrev_b32_e32 v3, 16, v3
	s_delay_alu instid0(VALU_DEP_1)
	v_cndmask_b32_e32 v1, 0x7fc0, v3, vcc_lo
	s_branch .LBB207_587
.LBB207_586:
	s_mov_b32 s16, -1
                                        ; implicit-def: $vgpr1
.LBB207_587:
	s_mov_b32 s17, 0
.LBB207_588:
	s_delay_alu instid0(SALU_CYCLE_1)
	s_and_b32 vcc_lo, exec_lo, s17
	s_cbranch_vccz .LBB207_592
; %bb.589:
	s_cmp_eq_u32 s1, 29
	s_cbranch_scc0 .LBB207_591
; %bb.590:
	global_load_b64 v[6:7], v[4:5], off
	s_mov_b32 s2, -1
	s_mov_b32 s16, 0
	s_mov_b32 s17, 0
	s_wait_loadcnt 0x0
	v_clz_i32_u32_e32 v1, v7
	s_delay_alu instid0(VALU_DEP_1) | instskip(NEXT) | instid1(VALU_DEP_1)
	v_min_u32_e32 v1, 32, v1
	v_lshlrev_b64_e32 v[6:7], v1, v[6:7]
	v_sub_nc_u32_e32 v1, 32, v1
	s_delay_alu instid0(VALU_DEP_2) | instskip(NEXT) | instid1(VALU_DEP_1)
	v_min_u32_e32 v3, 1, v6
	v_or_b32_e32 v3, v7, v3
	s_delay_alu instid0(VALU_DEP_1) | instskip(NEXT) | instid1(VALU_DEP_1)
	v_cvt_f32_u32_e32 v3, v3
	v_ldexp_f32 v1, v3, v1
	s_delay_alu instid0(VALU_DEP_1) | instskip(NEXT) | instid1(VALU_DEP_1)
	v_bfe_u32 v3, v1, 16, 1
	v_add3_u32 v1, v1, v3, 0x7fff
	s_delay_alu instid0(VALU_DEP_1)
	v_lshrrev_b32_e32 v1, 16, v1
	s_branch .LBB207_593
.LBB207_591:
	s_mov_b32 s16, -1
                                        ; implicit-def: $vgpr1
.LBB207_592:
	s_mov_b32 s17, 0
.LBB207_593:
	s_delay_alu instid0(SALU_CYCLE_1)
	s_and_b32 vcc_lo, exec_lo, s17
	s_cbranch_vccz .LBB207_611
; %bb.594:
	s_cmp_lt_i32 s1, 27
	s_cbranch_scc1 .LBB207_597
; %bb.595:
	s_cmp_gt_i32 s1, 27
	s_cbranch_scc0 .LBB207_598
; %bb.596:
	s_wait_loadcnt 0x0
	global_load_b32 v1, v[4:5], off
	s_mov_b32 s2, 0
	s_wait_loadcnt 0x0
	v_cvt_f32_u32_e32 v1, v1
	s_delay_alu instid0(VALU_DEP_1) | instskip(NEXT) | instid1(VALU_DEP_1)
	v_bfe_u32 v3, v1, 16, 1
	v_add3_u32 v1, v1, v3, 0x7fff
	s_delay_alu instid0(VALU_DEP_1)
	v_lshrrev_b32_e32 v1, 16, v1
	s_branch .LBB207_599
.LBB207_597:
	s_mov_b32 s2, -1
                                        ; implicit-def: $vgpr1
	s_branch .LBB207_602
.LBB207_598:
	s_mov_b32 s2, -1
                                        ; implicit-def: $vgpr1
.LBB207_599:
	s_delay_alu instid0(SALU_CYCLE_1)
	s_and_not1_b32 vcc_lo, exec_lo, s2
	s_cbranch_vccnz .LBB207_601
; %bb.600:
	s_wait_loadcnt 0x0
	global_load_u16 v1, v[4:5], off
	s_wait_loadcnt 0x0
	v_cvt_f32_u32_e32 v1, v1
	s_delay_alu instid0(VALU_DEP_1) | instskip(NEXT) | instid1(VALU_DEP_1)
	v_bfe_u32 v3, v1, 16, 1
	v_add3_u32 v1, v1, v3, 0x7fff
	s_delay_alu instid0(VALU_DEP_1)
	v_lshrrev_b32_e32 v1, 16, v1
.LBB207_601:
	s_mov_b32 s2, 0
.LBB207_602:
	s_delay_alu instid0(SALU_CYCLE_1)
	s_and_not1_b32 vcc_lo, exec_lo, s2
	s_cbranch_vccnz .LBB207_610
; %bb.603:
	s_wait_loadcnt 0x0
	global_load_u8 v1, v[4:5], off
	s_mov_b32 s2, 0
	s_mov_b32 s17, exec_lo
	s_wait_loadcnt 0x0
	v_cmpx_lt_i16_e32 0x7f, v1
	s_xor_b32 s17, exec_lo, s17
	s_cbranch_execz .LBB207_624
; %bb.604:
	s_mov_b32 s2, -1
	s_mov_b32 s28, exec_lo
	v_cmpx_eq_u16_e32 0x80, v1
; %bb.605:
	s_xor_b32 s2, exec_lo, -1
; %bb.606:
	s_or_b32 exec_lo, exec_lo, s28
	s_delay_alu instid0(SALU_CYCLE_1)
	s_and_b32 s2, s2, exec_lo
	s_or_saveexec_b32 s17, s17
	v_mov_b32_e32 v3, 0x7f800001
	s_xor_b32 exec_lo, exec_lo, s17
	s_cbranch_execnz .LBB207_625
.LBB207_607:
	s_or_b32 exec_lo, exec_lo, s17
	s_and_saveexec_b32 s17, s2
	s_cbranch_execz .LBB207_609
.LBB207_608:
	v_and_b32_e32 v3, 0xffff, v1
	s_delay_alu instid0(VALU_DEP_1) | instskip(SKIP_1) | instid1(VALU_DEP_2)
	v_dual_lshlrev_b32 v1, 24, v1 :: v_dual_bitop2_b32 v6, 7, v3 bitop3:0x40
	v_bfe_u32 v9, v3, 3, 4
	v_and_b32_e32 v1, 0x80000000, v1
	s_delay_alu instid0(VALU_DEP_3) | instskip(NEXT) | instid1(VALU_DEP_3)
	v_clz_i32_u32_e32 v7, v6
	v_cmp_eq_u32_e32 vcc_lo, 0, v9
	s_delay_alu instid0(VALU_DEP_2) | instskip(NEXT) | instid1(VALU_DEP_1)
	v_min_u32_e32 v7, 32, v7
	v_subrev_nc_u32_e32 v8, 28, v7
	v_sub_nc_u32_e32 v7, 29, v7
	s_delay_alu instid0(VALU_DEP_2) | instskip(NEXT) | instid1(VALU_DEP_2)
	v_lshlrev_b32_e32 v3, v8, v3
	v_cndmask_b32_e32 v7, v9, v7, vcc_lo
	s_delay_alu instid0(VALU_DEP_2) | instskip(NEXT) | instid1(VALU_DEP_1)
	v_and_b32_e32 v3, 7, v3
	v_cndmask_b32_e32 v3, v6, v3, vcc_lo
	s_delay_alu instid0(VALU_DEP_3) | instskip(NEXT) | instid1(VALU_DEP_2)
	v_lshl_add_u32 v6, v7, 23, 0x3b800000
	v_lshlrev_b32_e32 v3, 20, v3
	s_delay_alu instid0(VALU_DEP_1)
	v_or3_b32 v3, v1, v6, v3
.LBB207_609:
	s_or_b32 exec_lo, exec_lo, s17
	s_delay_alu instid0(VALU_DEP_1) | instskip(SKIP_1) | instid1(VALU_DEP_2)
	v_bfe_u32 v1, v3, 16, 1
	v_cmp_o_f32_e32 vcc_lo, v3, v3
	v_add3_u32 v1, v3, v1, 0x7fff
	s_delay_alu instid0(VALU_DEP_1) | instskip(NEXT) | instid1(VALU_DEP_1)
	v_lshrrev_b32_e32 v1, 16, v1
	v_cndmask_b32_e32 v1, 0x7fc0, v1, vcc_lo
.LBB207_610:
	s_mov_b32 s2, -1
.LBB207_611:
	s_mov_b32 s17, 0
.LBB207_612:
	s_delay_alu instid0(SALU_CYCLE_1)
	s_and_b32 vcc_lo, exec_lo, s17
	s_cbranch_vccz .LBB207_647
; %bb.613:
	s_cmp_gt_i32 s1, 22
	s_cbranch_scc0 .LBB207_623
; %bb.614:
	s_cmp_lt_i32 s1, 24
	s_cbranch_scc1 .LBB207_626
; %bb.615:
	s_cmp_gt_i32 s1, 24
	s_cbranch_scc0 .LBB207_627
; %bb.616:
	s_wait_loadcnt 0x0
	global_load_u8 v1, v[4:5], off
	s_mov_b32 s2, 0
	s_mov_b32 s17, exec_lo
	s_wait_loadcnt 0x0
	v_cmpx_lt_i16_e32 0x7f, v1
	s_xor_b32 s17, exec_lo, s17
	s_cbranch_execz .LBB207_639
; %bb.617:
	s_mov_b32 s2, -1
	s_mov_b32 s28, exec_lo
	v_cmpx_eq_u16_e32 0x80, v1
; %bb.618:
	s_xor_b32 s2, exec_lo, -1
; %bb.619:
	s_or_b32 exec_lo, exec_lo, s28
	s_delay_alu instid0(SALU_CYCLE_1)
	s_and_b32 s2, s2, exec_lo
	s_or_saveexec_b32 s17, s17
	v_mov_b32_e32 v3, 0x7f800001
	s_xor_b32 exec_lo, exec_lo, s17
	s_cbranch_execnz .LBB207_640
.LBB207_620:
	s_or_b32 exec_lo, exec_lo, s17
	s_and_saveexec_b32 s17, s2
	s_cbranch_execz .LBB207_622
.LBB207_621:
	v_and_b32_e32 v3, 0xffff, v1
	s_delay_alu instid0(VALU_DEP_1) | instskip(SKIP_1) | instid1(VALU_DEP_2)
	v_dual_lshlrev_b32 v1, 24, v1 :: v_dual_bitop2_b32 v6, 3, v3 bitop3:0x40
	v_bfe_u32 v9, v3, 2, 5
	v_and_b32_e32 v1, 0x80000000, v1
	s_delay_alu instid0(VALU_DEP_3) | instskip(NEXT) | instid1(VALU_DEP_3)
	v_clz_i32_u32_e32 v7, v6
	v_cmp_eq_u32_e32 vcc_lo, 0, v9
	s_delay_alu instid0(VALU_DEP_2) | instskip(NEXT) | instid1(VALU_DEP_1)
	v_min_u32_e32 v7, 32, v7
	v_subrev_nc_u32_e32 v8, 29, v7
	v_sub_nc_u32_e32 v7, 30, v7
	s_delay_alu instid0(VALU_DEP_2) | instskip(NEXT) | instid1(VALU_DEP_2)
	v_lshlrev_b32_e32 v3, v8, v3
	v_cndmask_b32_e32 v7, v9, v7, vcc_lo
	s_delay_alu instid0(VALU_DEP_2) | instskip(NEXT) | instid1(VALU_DEP_1)
	v_and_b32_e32 v3, 3, v3
	v_cndmask_b32_e32 v3, v6, v3, vcc_lo
	s_delay_alu instid0(VALU_DEP_3) | instskip(NEXT) | instid1(VALU_DEP_2)
	v_lshl_add_u32 v6, v7, 23, 0x37800000
	v_lshlrev_b32_e32 v3, 21, v3
	s_delay_alu instid0(VALU_DEP_1)
	v_or3_b32 v3, v1, v6, v3
.LBB207_622:
	s_or_b32 exec_lo, exec_lo, s17
	s_delay_alu instid0(VALU_DEP_1) | instskip(SKIP_2) | instid1(VALU_DEP_2)
	v_bfe_u32 v1, v3, 16, 1
	v_cmp_o_f32_e32 vcc_lo, v3, v3
	s_mov_b32 s2, 0
	v_add3_u32 v1, v3, v1, 0x7fff
	s_delay_alu instid0(VALU_DEP_1) | instskip(NEXT) | instid1(VALU_DEP_1)
	v_lshrrev_b32_e32 v1, 16, v1
	v_cndmask_b32_e32 v1, 0x7fc0, v1, vcc_lo
	s_branch .LBB207_628
.LBB207_623:
	s_mov_b32 s17, -1
                                        ; implicit-def: $vgpr1
	s_branch .LBB207_634
.LBB207_624:
	s_or_saveexec_b32 s17, s17
	v_mov_b32_e32 v3, 0x7f800001
	s_xor_b32 exec_lo, exec_lo, s17
	s_cbranch_execz .LBB207_607
.LBB207_625:
	v_cmp_ne_u16_e32 vcc_lo, 0, v1
	v_mov_b32_e32 v3, 0
	s_and_not1_b32 s2, s2, exec_lo
	s_and_b32 s28, vcc_lo, exec_lo
	s_delay_alu instid0(SALU_CYCLE_1)
	s_or_b32 s2, s2, s28
	s_or_b32 exec_lo, exec_lo, s17
	s_and_saveexec_b32 s17, s2
	s_cbranch_execnz .LBB207_608
	s_branch .LBB207_609
.LBB207_626:
	s_mov_b32 s2, -1
                                        ; implicit-def: $vgpr1
	s_branch .LBB207_631
.LBB207_627:
	s_mov_b32 s2, -1
                                        ; implicit-def: $vgpr1
.LBB207_628:
	s_delay_alu instid0(SALU_CYCLE_1)
	s_and_b32 vcc_lo, exec_lo, s2
	s_cbranch_vccz .LBB207_630
; %bb.629:
	s_wait_loadcnt 0x0
	global_load_u8 v1, v[4:5], off
	s_wait_loadcnt 0x0
	v_lshlrev_b32_e32 v1, 24, v1
	s_delay_alu instid0(VALU_DEP_1) | instskip(NEXT) | instid1(VALU_DEP_1)
	v_and_b32_e32 v3, 0x7f000000, v1
	v_clz_i32_u32_e32 v6, v3
	v_cmp_ne_u32_e32 vcc_lo, 0, v3
	v_add_nc_u32_e32 v8, 0x1000000, v3
	s_delay_alu instid0(VALU_DEP_3) | instskip(NEXT) | instid1(VALU_DEP_1)
	v_min_u32_e32 v6, 32, v6
	v_sub_nc_u32_e64 v6, v6, 4 clamp
	s_delay_alu instid0(VALU_DEP_1) | instskip(NEXT) | instid1(VALU_DEP_1)
	v_dual_lshlrev_b32 v7, v6, v3 :: v_dual_lshlrev_b32 v6, 23, v6
	v_lshrrev_b32_e32 v7, 4, v7
	s_delay_alu instid0(VALU_DEP_1) | instskip(NEXT) | instid1(VALU_DEP_1)
	v_dual_sub_nc_u32 v6, v7, v6 :: v_dual_ashrrev_i32 v7, 8, v8
	v_add_nc_u32_e32 v6, 0x3c000000, v6
	s_delay_alu instid0(VALU_DEP_1) | instskip(NEXT) | instid1(VALU_DEP_1)
	v_and_or_b32 v6, 0x7f800000, v7, v6
	v_cndmask_b32_e32 v3, 0, v6, vcc_lo
	s_delay_alu instid0(VALU_DEP_1) | instskip(SKIP_1) | instid1(VALU_DEP_2)
	v_and_or_b32 v1, 0x80000000, v1, v3
	v_bfe_u32 v3, v3, 16, 1
	v_cmp_o_f32_e32 vcc_lo, v1, v1
	s_delay_alu instid0(VALU_DEP_2) | instskip(NEXT) | instid1(VALU_DEP_1)
	v_add3_u32 v3, v1, v3, 0x7fff
	v_lshrrev_b32_e32 v3, 16, v3
	s_delay_alu instid0(VALU_DEP_1)
	v_cndmask_b32_e32 v1, 0x7fc0, v3, vcc_lo
.LBB207_630:
	s_mov_b32 s2, 0
.LBB207_631:
	s_delay_alu instid0(SALU_CYCLE_1)
	s_and_not1_b32 vcc_lo, exec_lo, s2
	s_cbranch_vccnz .LBB207_633
; %bb.632:
	s_wait_loadcnt 0x0
	global_load_u8 v1, v[4:5], off
	s_wait_loadcnt 0x0
	v_lshlrev_b32_e32 v3, 25, v1
	v_lshlrev_b16 v1, 8, v1
	s_delay_alu instid0(VALU_DEP_1) | instskip(SKIP_1) | instid1(VALU_DEP_2)
	v_and_or_b32 v7, 0x7f00, v1, 0.5
	v_bfe_i32 v1, v1, 0, 16
	v_add_f32_e32 v7, -0.5, v7
	v_lshrrev_b32_e32 v6, 4, v3
	v_cmp_gt_u32_e32 vcc_lo, 0x8000000, v3
	s_delay_alu instid0(VALU_DEP_2) | instskip(NEXT) | instid1(VALU_DEP_1)
	v_or_b32_e32 v6, 0x70000000, v6
	v_mul_f32_e32 v6, 0x7800000, v6
	s_delay_alu instid0(VALU_DEP_1) | instskip(NEXT) | instid1(VALU_DEP_1)
	v_cndmask_b32_e32 v3, v6, v7, vcc_lo
	v_and_or_b32 v1, 0x80000000, v1, v3
	v_bfe_u32 v3, v3, 16, 1
	s_delay_alu instid0(VALU_DEP_2) | instskip(NEXT) | instid1(VALU_DEP_2)
	v_cmp_o_f32_e32 vcc_lo, v1, v1
	v_add3_u32 v3, v1, v3, 0x7fff
	s_delay_alu instid0(VALU_DEP_1) | instskip(NEXT) | instid1(VALU_DEP_1)
	v_lshrrev_b32_e32 v3, 16, v3
	v_cndmask_b32_e32 v1, 0x7fc0, v3, vcc_lo
.LBB207_633:
	s_mov_b32 s17, 0
	s_mov_b32 s2, -1
.LBB207_634:
	s_and_not1_b32 vcc_lo, exec_lo, s17
	s_cbranch_vccnz .LBB207_647
; %bb.635:
	s_cmp_gt_i32 s1, 14
	s_cbranch_scc0 .LBB207_638
; %bb.636:
	s_cmp_eq_u32 s1, 15
	s_cbranch_scc0 .LBB207_641
; %bb.637:
	s_wait_loadcnt 0x0
	global_load_u16 v1, v[4:5], off
	s_mov_b32 s2, -1
	s_mov_b32 s16, 0
	s_branch .LBB207_642
.LBB207_638:
	s_mov_b32 s17, -1
                                        ; implicit-def: $vgpr1
	s_branch .LBB207_643
.LBB207_639:
	s_or_saveexec_b32 s17, s17
	v_mov_b32_e32 v3, 0x7f800001
	s_xor_b32 exec_lo, exec_lo, s17
	s_cbranch_execz .LBB207_620
.LBB207_640:
	v_cmp_ne_u16_e32 vcc_lo, 0, v1
	v_mov_b32_e32 v3, 0
	s_and_not1_b32 s2, s2, exec_lo
	s_and_b32 s28, vcc_lo, exec_lo
	s_delay_alu instid0(SALU_CYCLE_1)
	s_or_b32 s2, s2, s28
	s_or_b32 exec_lo, exec_lo, s17
	s_and_saveexec_b32 s17, s2
	s_cbranch_execnz .LBB207_621
	s_branch .LBB207_622
.LBB207_641:
	s_mov_b32 s16, -1
                                        ; implicit-def: $vgpr1
.LBB207_642:
	s_mov_b32 s17, 0
.LBB207_643:
	s_delay_alu instid0(SALU_CYCLE_1)
	s_and_b32 vcc_lo, exec_lo, s17
	s_cbranch_vccz .LBB207_647
; %bb.644:
	s_cmp_eq_u32 s1, 11
	s_cbranch_scc0 .LBB207_646
; %bb.645:
	s_wait_loadcnt 0x0
	global_load_u8 v1, v[4:5], off
	s_mov_b32 s16, 0
	s_mov_b32 s2, -1
	s_wait_loadcnt 0x0
	v_cmp_ne_u16_e32 vcc_lo, 0, v1
	v_cndmask_b32_e64 v1, 0, 1.0, vcc_lo
	s_delay_alu instid0(VALU_DEP_1)
	v_lshrrev_b32_e32 v1, 16, v1
	s_branch .LBB207_647
.LBB207_646:
	s_mov_b32 s16, -1
                                        ; implicit-def: $vgpr1
.LBB207_647:
	s_mov_b32 s17, 0
.LBB207_648:
	s_delay_alu instid0(SALU_CYCLE_1)
	s_and_b32 vcc_lo, exec_lo, s17
	s_cbranch_vccz .LBB207_697
; %bb.649:
	s_cmp_lt_i32 s1, 5
	s_cbranch_scc1 .LBB207_654
; %bb.650:
	s_cmp_lt_i32 s1, 8
	s_cbranch_scc1 .LBB207_655
	;; [unrolled: 3-line block ×3, first 2 shown]
; %bb.652:
	s_cmp_gt_i32 s1, 9
	s_cbranch_scc0 .LBB207_657
; %bb.653:
	global_load_b64 v[6:7], v[4:5], off
	s_mov_b32 s2, 0
	s_wait_loadcnt 0x0
	v_cvt_f32_f64_e32 v1, v[6:7]
	s_delay_alu instid0(VALU_DEP_1) | instskip(SKIP_1) | instid1(VALU_DEP_2)
	v_bfe_u32 v3, v1, 16, 1
	v_cmp_o_f32_e32 vcc_lo, v1, v1
	v_add3_u32 v3, v1, v3, 0x7fff
	s_delay_alu instid0(VALU_DEP_1) | instskip(NEXT) | instid1(VALU_DEP_1)
	v_lshrrev_b32_e32 v3, 16, v3
	v_cndmask_b32_e32 v1, 0x7fc0, v3, vcc_lo
	s_branch .LBB207_658
.LBB207_654:
	s_mov_b32 s2, -1
                                        ; implicit-def: $vgpr1
	s_branch .LBB207_676
.LBB207_655:
	s_mov_b32 s2, -1
                                        ; implicit-def: $vgpr1
	s_branch .LBB207_664
.LBB207_656:
	s_mov_b32 s2, -1
                                        ; implicit-def: $vgpr1
	s_branch .LBB207_661
.LBB207_657:
	s_mov_b32 s2, -1
                                        ; implicit-def: $vgpr1
.LBB207_658:
	s_delay_alu instid0(SALU_CYCLE_1)
	s_and_not1_b32 vcc_lo, exec_lo, s2
	s_cbranch_vccnz .LBB207_660
; %bb.659:
	s_wait_loadcnt 0x0
	global_load_b32 v1, v[4:5], off
	s_wait_loadcnt 0x0
	v_bfe_u32 v3, v1, 16, 1
	v_cmp_o_f32_e32 vcc_lo, v1, v1
	s_delay_alu instid0(VALU_DEP_2) | instskip(NEXT) | instid1(VALU_DEP_1)
	v_add3_u32 v3, v1, v3, 0x7fff
	v_lshrrev_b32_e32 v3, 16, v3
	s_delay_alu instid0(VALU_DEP_1)
	v_cndmask_b32_e32 v1, 0x7fc0, v3, vcc_lo
.LBB207_660:
	s_mov_b32 s2, 0
.LBB207_661:
	s_delay_alu instid0(SALU_CYCLE_1)
	s_and_not1_b32 vcc_lo, exec_lo, s2
	s_cbranch_vccnz .LBB207_663
; %bb.662:
	s_wait_loadcnt 0x0
	global_load_b32 v1, v[4:5], off
	s_wait_loadcnt 0x0
	v_cvt_f32_f16_e32 v3, v1
	v_cmp_o_f16_e32 vcc_lo, v1, v1
	s_delay_alu instid0(VALU_DEP_2) | instskip(NEXT) | instid1(VALU_DEP_1)
	v_bfe_u32 v6, v3, 16, 1
	v_add3_u32 v3, v3, v6, 0x7fff
	s_delay_alu instid0(VALU_DEP_1) | instskip(NEXT) | instid1(VALU_DEP_1)
	v_lshrrev_b32_e32 v3, 16, v3
	v_cndmask_b32_e32 v1, 0x7fc0, v3, vcc_lo
.LBB207_663:
	s_mov_b32 s2, 0
.LBB207_664:
	s_delay_alu instid0(SALU_CYCLE_1)
	s_and_not1_b32 vcc_lo, exec_lo, s2
	s_cbranch_vccnz .LBB207_675
; %bb.665:
	s_cmp_lt_i32 s1, 6
	s_cbranch_scc1 .LBB207_668
; %bb.666:
	s_cmp_gt_i32 s1, 6
	s_cbranch_scc0 .LBB207_669
; %bb.667:
	global_load_b64 v[6:7], v[4:5], off
	s_mov_b32 s2, 0
	s_wait_loadcnt 0x0
	v_cvt_f32_f64_e32 v1, v[6:7]
	s_delay_alu instid0(VALU_DEP_1) | instskip(SKIP_1) | instid1(VALU_DEP_2)
	v_bfe_u32 v3, v1, 16, 1
	v_cmp_o_f32_e32 vcc_lo, v1, v1
	v_add3_u32 v3, v1, v3, 0x7fff
	s_delay_alu instid0(VALU_DEP_1) | instskip(NEXT) | instid1(VALU_DEP_1)
	v_lshrrev_b32_e32 v3, 16, v3
	v_cndmask_b32_e32 v1, 0x7fc0, v3, vcc_lo
	s_branch .LBB207_670
.LBB207_668:
	s_mov_b32 s2, -1
                                        ; implicit-def: $vgpr1
	s_branch .LBB207_673
.LBB207_669:
	s_mov_b32 s2, -1
                                        ; implicit-def: $vgpr1
.LBB207_670:
	s_delay_alu instid0(SALU_CYCLE_1)
	s_and_not1_b32 vcc_lo, exec_lo, s2
	s_cbranch_vccnz .LBB207_672
; %bb.671:
	s_wait_loadcnt 0x0
	global_load_b32 v1, v[4:5], off
	s_wait_loadcnt 0x0
	v_bfe_u32 v3, v1, 16, 1
	v_cmp_o_f32_e32 vcc_lo, v1, v1
	s_delay_alu instid0(VALU_DEP_2) | instskip(NEXT) | instid1(VALU_DEP_1)
	v_add3_u32 v3, v1, v3, 0x7fff
	v_lshrrev_b32_e32 v3, 16, v3
	s_delay_alu instid0(VALU_DEP_1)
	v_cndmask_b32_e32 v1, 0x7fc0, v3, vcc_lo
.LBB207_672:
	s_mov_b32 s2, 0
.LBB207_673:
	s_delay_alu instid0(SALU_CYCLE_1)
	s_and_not1_b32 vcc_lo, exec_lo, s2
	s_cbranch_vccnz .LBB207_675
; %bb.674:
	s_wait_loadcnt 0x0
	global_load_u16 v1, v[4:5], off
	s_wait_loadcnt 0x0
	v_cvt_f32_f16_e32 v3, v1
	v_cmp_o_f16_e32 vcc_lo, v1, v1
	s_delay_alu instid0(VALU_DEP_2) | instskip(NEXT) | instid1(VALU_DEP_1)
	v_bfe_u32 v6, v3, 16, 1
	v_add3_u32 v3, v3, v6, 0x7fff
	s_delay_alu instid0(VALU_DEP_1) | instskip(NEXT) | instid1(VALU_DEP_1)
	v_lshrrev_b32_e32 v3, 16, v3
	v_cndmask_b32_e32 v1, 0x7fc0, v3, vcc_lo
.LBB207_675:
	s_mov_b32 s2, 0
.LBB207_676:
	s_delay_alu instid0(SALU_CYCLE_1)
	s_and_not1_b32 vcc_lo, exec_lo, s2
	s_cbranch_vccnz .LBB207_696
; %bb.677:
	s_cmp_lt_i32 s1, 2
	s_cbranch_scc1 .LBB207_681
; %bb.678:
	s_cmp_lt_i32 s1, 3
	s_cbranch_scc1 .LBB207_682
; %bb.679:
	s_cmp_gt_i32 s1, 3
	s_cbranch_scc0 .LBB207_683
; %bb.680:
	global_load_b64 v[6:7], v[4:5], off
	s_mov_b32 s2, 0
	s_wait_loadcnt 0x0
	v_xor_b32_e32 v1, v6, v7
	v_cls_i32_e32 v3, v7
	s_delay_alu instid0(VALU_DEP_2) | instskip(NEXT) | instid1(VALU_DEP_1)
	v_ashrrev_i32_e32 v1, 31, v1
	v_add_nc_u32_e32 v1, 32, v1
	s_delay_alu instid0(VALU_DEP_1) | instskip(NEXT) | instid1(VALU_DEP_1)
	v_add_min_u32_e64 v1, v3, -1, v1
	v_lshlrev_b64_e32 v[6:7], v1, v[6:7]
	v_sub_nc_u32_e32 v1, 32, v1
	s_delay_alu instid0(VALU_DEP_2) | instskip(NEXT) | instid1(VALU_DEP_1)
	v_min_u32_e32 v3, 1, v6
	v_or_b32_e32 v3, v7, v3
	s_delay_alu instid0(VALU_DEP_1) | instskip(NEXT) | instid1(VALU_DEP_1)
	v_cvt_f32_i32_e32 v3, v3
	v_ldexp_f32 v1, v3, v1
	s_delay_alu instid0(VALU_DEP_1) | instskip(NEXT) | instid1(VALU_DEP_1)
	v_bfe_u32 v3, v1, 16, 1
	v_add3_u32 v1, v1, v3, 0x7fff
	s_delay_alu instid0(VALU_DEP_1)
	v_lshrrev_b32_e32 v1, 16, v1
	s_branch .LBB207_684
.LBB207_681:
	s_mov_b32 s2, -1
                                        ; implicit-def: $vgpr1
	s_branch .LBB207_690
.LBB207_682:
	s_mov_b32 s2, -1
                                        ; implicit-def: $vgpr1
	s_branch .LBB207_687
.LBB207_683:
	s_mov_b32 s2, -1
                                        ; implicit-def: $vgpr1
.LBB207_684:
	s_delay_alu instid0(SALU_CYCLE_1)
	s_and_not1_b32 vcc_lo, exec_lo, s2
	s_cbranch_vccnz .LBB207_686
; %bb.685:
	s_wait_loadcnt 0x0
	global_load_b32 v1, v[4:5], off
	s_wait_loadcnt 0x0
	v_cvt_f32_i32_e32 v1, v1
	s_delay_alu instid0(VALU_DEP_1) | instskip(NEXT) | instid1(VALU_DEP_1)
	v_bfe_u32 v3, v1, 16, 1
	v_add3_u32 v1, v1, v3, 0x7fff
	s_delay_alu instid0(VALU_DEP_1)
	v_lshrrev_b32_e32 v1, 16, v1
.LBB207_686:
	s_mov_b32 s2, 0
.LBB207_687:
	s_delay_alu instid0(SALU_CYCLE_1)
	s_and_not1_b32 vcc_lo, exec_lo, s2
	s_cbranch_vccnz .LBB207_689
; %bb.688:
	s_wait_loadcnt 0x0
	global_load_i16 v1, v[4:5], off
	s_wait_loadcnt 0x0
	v_cvt_f32_i32_e32 v1, v1
	s_delay_alu instid0(VALU_DEP_1) | instskip(NEXT) | instid1(VALU_DEP_1)
	v_bfe_u32 v3, v1, 16, 1
	v_add3_u32 v1, v1, v3, 0x7fff
	s_delay_alu instid0(VALU_DEP_1)
	v_lshrrev_b32_e32 v1, 16, v1
.LBB207_689:
	s_mov_b32 s2, 0
.LBB207_690:
	s_delay_alu instid0(SALU_CYCLE_1)
	s_and_not1_b32 vcc_lo, exec_lo, s2
	s_cbranch_vccnz .LBB207_696
; %bb.691:
	s_cmp_gt_i32 s1, 0
	s_mov_b32 s1, 0
	s_cbranch_scc0 .LBB207_693
; %bb.692:
	s_wait_loadcnt 0x0
	global_load_i8 v1, v[4:5], off
	s_wait_loadcnt 0x0
	v_cvt_f32_i32_e32 v1, v1
	s_delay_alu instid0(VALU_DEP_1) | instskip(NEXT) | instid1(VALU_DEP_1)
	v_bfe_u32 v3, v1, 16, 1
	v_add3_u32 v1, v1, v3, 0x7fff
	s_delay_alu instid0(VALU_DEP_1)
	v_lshrrev_b32_e32 v1, 16, v1
	s_branch .LBB207_694
.LBB207_693:
	s_mov_b32 s1, -1
                                        ; implicit-def: $vgpr1
.LBB207_694:
	s_delay_alu instid0(SALU_CYCLE_1)
	s_and_not1_b32 vcc_lo, exec_lo, s1
	s_cbranch_vccnz .LBB207_696
; %bb.695:
	s_wait_loadcnt 0x0
	global_load_u8 v1, v[4:5], off
	s_wait_loadcnt 0x0
	v_cvt_f32_ubyte0_e32 v1, v1
	s_delay_alu instid0(VALU_DEP_1) | instskip(NEXT) | instid1(VALU_DEP_1)
	v_bfe_u32 v3, v1, 16, 1
	v_add3_u32 v1, v1, v3, 0x7fff
	s_delay_alu instid0(VALU_DEP_1)
	v_lshrrev_b32_e32 v1, 16, v1
.LBB207_696:
	s_mov_b32 s2, -1
.LBB207_697:
	s_delay_alu instid0(SALU_CYCLE_1)
	s_and_not1_b32 vcc_lo, exec_lo, s2
	s_cbranch_vccnz .LBB207_705
; %bb.698:
	s_wait_loadcnt 0x0
	v_lshlrev_b32_e32 v1, 16, v1
	s_and_b32 s17, s18, 0xff
	s_delay_alu instid0(SALU_CYCLE_1) | instskip(NEXT) | instid1(VALU_DEP_1)
	s_cmp_lt_i32 s17, 11
	v_cmp_eq_f32_e32 vcc_lo, s9, v1
	v_cndmask_b32_e64 v3, 0, 1, vcc_lo
	v_cmp_neq_f32_e32 vcc_lo, s9, v1
	v_cndmask_b32_e64 v1, 0, 1, vcc_lo
	s_delay_alu instid0(VALU_DEP_1) | instskip(NEXT) | instid1(VALU_DEP_1)
	v_dual_cndmask_b32 v1, v1, v3, s0 :: v_dual_mov_b32 v3, 0
	v_and_b32_e32 v1, 1, v1
	s_delay_alu instid0(VALU_DEP_2) | instskip(NEXT) | instid1(VALU_DEP_2)
	v_add_nc_u64_e32 v[2:3], s[4:5], v[2:3]
	v_cmp_eq_u32_e64 s1, 1, v1
	s_cbranch_scc1 .LBB207_706
; %bb.699:
	s_and_b32 s28, 0xffff, s17
	s_delay_alu instid0(SALU_CYCLE_1)
	s_cmp_gt_i32 s28, 25
	s_cbranch_scc0 .LBB207_707
; %bb.700:
	s_cmp_gt_i32 s28, 28
	s_cbranch_scc0 .LBB207_708
; %bb.701:
	;; [unrolled: 3-line block ×4, first 2 shown]
	s_mov_b32 s30, 0
	s_mov_b32 s2, -1
	s_cmp_eq_u32 s28, 46
	s_mov_b32 s29, 0
	s_cbranch_scc0 .LBB207_711
; %bb.704:
	v_cndmask_b32_e64 v1, 0, 1.0, s1
	s_mov_b32 s29, -1
	s_mov_b32 s2, 0
	s_wait_xcnt 0x0
	s_delay_alu instid0(VALU_DEP_1) | instskip(NEXT) | instid1(VALU_DEP_1)
	v_bfe_u32 v4, v1, 16, 1
	v_add3_u32 v1, v1, v4, 0x7fff
	s_delay_alu instid0(VALU_DEP_1)
	v_lshrrev_b32_e32 v1, 16, v1
	global_store_b32 v[2:3], v1, off
	s_branch .LBB207_711
.LBB207_705:
	s_mov_b32 s17, 0
	s_mov_b32 s2, s46
	s_branch .LBB207_822
.LBB207_706:
	s_mov_b32 s28, -1
	s_mov_b32 s29, 0
	s_mov_b32 s2, s46
	s_branch .LBB207_780
.LBB207_707:
	s_mov_b32 s30, -1
	s_mov_b32 s29, 0
	s_mov_b32 s2, s46
	s_branch .LBB207_738
.LBB207_708:
	s_mov_b32 s30, -1
	s_mov_b32 s29, 0
	s_mov_b32 s2, s46
	s_branch .LBB207_721
.LBB207_709:
	s_mov_b32 s30, -1
	s_mov_b32 s29, 0
	s_mov_b32 s2, s46
	s_branch .LBB207_717
.LBB207_710:
	s_mov_b32 s30, -1
	s_mov_b32 s29, 0
	s_mov_b32 s2, s46
.LBB207_711:
	s_and_b32 vcc_lo, exec_lo, s30
	s_cbranch_vccz .LBB207_716
; %bb.712:
	s_cmp_eq_u32 s28, 44
	s_mov_b32 s2, -1
	s_cbranch_scc0 .LBB207_716
; %bb.713:
	s_wait_xcnt 0x0
	v_cndmask_b32_e64 v5, 0, 1.0, s1
	s_mov_b32 s29, exec_lo
	s_delay_alu instid0(VALU_DEP_1) | instskip(NEXT) | instid1(VALU_DEP_1)
	v_dual_mov_b32 v4, 0xff :: v_dual_lshrrev_b32 v1, 23, v5
	v_cmpx_ne_u32_e32 0xff, v1
; %bb.714:
	v_and_b32_e32 v4, 0x400000, v5
	v_and_or_b32 v5, 0x3fffff, v5, v1
	s_delay_alu instid0(VALU_DEP_2) | instskip(NEXT) | instid1(VALU_DEP_2)
	v_cmp_ne_u32_e32 vcc_lo, 0, v4
	v_cmp_ne_u32_e64 s2, 0, v5
	s_and_b32 s2, vcc_lo, s2
	s_delay_alu instid0(SALU_CYCLE_1) | instskip(NEXT) | instid1(VALU_DEP_1)
	v_cndmask_b32_e64 v4, 0, 1, s2
	v_add_nc_u32_e32 v4, v1, v4
; %bb.715:
	s_or_b32 exec_lo, exec_lo, s29
	s_mov_b32 s29, -1
	s_mov_b32 s2, 0
	global_store_b8 v[2:3], v4, off
.LBB207_716:
	s_mov_b32 s30, 0
.LBB207_717:
	s_delay_alu instid0(SALU_CYCLE_1)
	s_and_b32 vcc_lo, exec_lo, s30
	s_cbranch_vccz .LBB207_720
; %bb.718:
	s_cmp_eq_u32 s28, 29
	s_mov_b32 s2, -1
	s_cbranch_scc0 .LBB207_720
; %bb.719:
	s_mov_b32 s2, 0
	s_wait_xcnt 0x0
	v_cndmask_b32_e64 v4, 0, 1, s1
	v_mov_b32_e32 v5, s2
	s_mov_b32 s29, -1
	s_mov_b32 s30, 0
	global_store_b64 v[2:3], v[4:5], off
	s_branch .LBB207_721
.LBB207_720:
	s_mov_b32 s30, 0
.LBB207_721:
	s_delay_alu instid0(SALU_CYCLE_1)
	s_and_b32 vcc_lo, exec_lo, s30
	s_cbranch_vccz .LBB207_737
; %bb.722:
	s_cmp_lt_i32 s28, 27
	s_mov_b32 s29, -1
	s_cbranch_scc1 .LBB207_728
; %bb.723:
	s_cmp_gt_i32 s28, 27
	s_cbranch_scc0 .LBB207_725
; %bb.724:
	s_wait_xcnt 0x0
	v_cndmask_b32_e64 v1, 0, 1, s1
	s_mov_b32 s29, 0
	global_store_b32 v[2:3], v1, off
.LBB207_725:
	s_and_not1_b32 vcc_lo, exec_lo, s29
	s_cbranch_vccnz .LBB207_727
; %bb.726:
	s_wait_xcnt 0x0
	v_cndmask_b32_e64 v1, 0, 1, s1
	global_store_b16 v[2:3], v1, off
.LBB207_727:
	s_mov_b32 s29, 0
.LBB207_728:
	s_delay_alu instid0(SALU_CYCLE_1)
	s_and_not1_b32 vcc_lo, exec_lo, s29
	s_cbranch_vccnz .LBB207_736
; %bb.729:
	s_wait_xcnt 0x0
	v_cndmask_b32_e64 v4, 0, 1.0, s1
	v_mov_b32_e32 v5, 0x80
	s_mov_b32 s29, exec_lo
	s_delay_alu instid0(VALU_DEP_2)
	v_cmpx_gt_u32_e32 0x43800000, v4
	s_cbranch_execz .LBB207_735
; %bb.730:
	s_mov_b32 s30, 0
	s_mov_b32 s31, exec_lo
                                        ; implicit-def: $vgpr1
	v_cmpx_lt_u32_e32 0x3bffffff, v4
	s_xor_b32 s31, exec_lo, s31
	s_cbranch_execz .LBB207_854
; %bb.731:
	v_bfe_u32 v1, v4, 20, 1
	s_mov_b32 s30, exec_lo
	s_delay_alu instid0(VALU_DEP_1) | instskip(NEXT) | instid1(VALU_DEP_1)
	v_add3_u32 v1, v4, v1, 0x487ffff
                                        ; implicit-def: $vgpr4
	v_lshrrev_b32_e32 v1, 20, v1
	s_and_not1_saveexec_b32 s31, s31
	s_cbranch_execnz .LBB207_855
.LBB207_732:
	s_or_b32 exec_lo, exec_lo, s31
	v_mov_b32_e32 v5, 0
	s_and_saveexec_b32 s31, s30
.LBB207_733:
	v_mov_b32_e32 v5, v1
.LBB207_734:
	s_or_b32 exec_lo, exec_lo, s31
.LBB207_735:
	s_delay_alu instid0(SALU_CYCLE_1)
	s_or_b32 exec_lo, exec_lo, s29
	global_store_b8 v[2:3], v5, off
.LBB207_736:
	s_mov_b32 s29, -1
.LBB207_737:
	s_mov_b32 s30, 0
.LBB207_738:
	s_delay_alu instid0(SALU_CYCLE_1)
	s_and_b32 vcc_lo, exec_lo, s30
	s_cbranch_vccz .LBB207_779
; %bb.739:
	s_cmp_gt_i32 s28, 22
	s_mov_b32 s30, -1
	s_cbranch_scc0 .LBB207_771
; %bb.740:
	s_cmp_lt_i32 s28, 24
	s_mov_b32 s29, -1
	s_cbranch_scc1 .LBB207_760
; %bb.741:
	s_cmp_gt_i32 s28, 24
	s_cbranch_scc0 .LBB207_749
; %bb.742:
	s_wait_xcnt 0x0
	v_cndmask_b32_e64 v4, 0, 1.0, s1
	v_mov_b32_e32 v5, 0x80
	s_mov_b32 s29, exec_lo
	s_delay_alu instid0(VALU_DEP_2)
	v_cmpx_gt_u32_e32 0x47800000, v4
	s_cbranch_execz .LBB207_748
; %bb.743:
	s_mov_b32 s30, 0
	s_mov_b32 s31, exec_lo
                                        ; implicit-def: $vgpr1
	v_cmpx_lt_u32_e32 0x37ffffff, v4
	s_xor_b32 s31, exec_lo, s31
	s_cbranch_execz .LBB207_857
; %bb.744:
	v_bfe_u32 v1, v4, 21, 1
	s_mov_b32 s30, exec_lo
	s_delay_alu instid0(VALU_DEP_1) | instskip(NEXT) | instid1(VALU_DEP_1)
	v_add3_u32 v1, v4, v1, 0x88fffff
                                        ; implicit-def: $vgpr4
	v_lshrrev_b32_e32 v1, 21, v1
	s_and_not1_saveexec_b32 s31, s31
	s_cbranch_execnz .LBB207_858
.LBB207_745:
	s_or_b32 exec_lo, exec_lo, s31
	v_mov_b32_e32 v5, 0
	s_and_saveexec_b32 s31, s30
.LBB207_746:
	v_mov_b32_e32 v5, v1
.LBB207_747:
	s_or_b32 exec_lo, exec_lo, s31
.LBB207_748:
	s_delay_alu instid0(SALU_CYCLE_1)
	s_or_b32 exec_lo, exec_lo, s29
	s_mov_b32 s29, 0
	global_store_b8 v[2:3], v5, off
.LBB207_749:
	s_and_b32 vcc_lo, exec_lo, s29
	s_cbranch_vccz .LBB207_759
; %bb.750:
	s_wait_xcnt 0x0
	v_cndmask_b32_e64 v4, 0, 1.0, s1
	s_mov_b32 s29, exec_lo
                                        ; implicit-def: $vgpr1
	s_delay_alu instid0(VALU_DEP_1)
	v_cmpx_gt_u32_e32 0x43f00000, v4
	s_xor_b32 s29, exec_lo, s29
	s_cbranch_execz .LBB207_756
; %bb.751:
	s_mov_b32 s30, exec_lo
                                        ; implicit-def: $vgpr1
	v_cmpx_lt_u32_e32 0x3c7fffff, v4
	s_xor_b32 s30, exec_lo, s30
; %bb.752:
	v_bfe_u32 v1, v4, 20, 1
	s_delay_alu instid0(VALU_DEP_1) | instskip(NEXT) | instid1(VALU_DEP_1)
	v_add3_u32 v1, v4, v1, 0x407ffff
	v_and_b32_e32 v4, 0xff00000, v1
	v_lshrrev_b32_e32 v1, 20, v1
	s_delay_alu instid0(VALU_DEP_2) | instskip(NEXT) | instid1(VALU_DEP_2)
	v_cmp_ne_u32_e32 vcc_lo, 0x7f00000, v4
                                        ; implicit-def: $vgpr4
	v_cndmask_b32_e32 v1, 0x7e, v1, vcc_lo
; %bb.753:
	s_and_not1_saveexec_b32 s30, s30
; %bb.754:
	v_add_f32_e32 v1, 0x46800000, v4
; %bb.755:
	s_or_b32 exec_lo, exec_lo, s30
                                        ; implicit-def: $vgpr4
.LBB207_756:
	s_and_not1_saveexec_b32 s29, s29
; %bb.757:
	v_mov_b32_e32 v1, 0x7f
	v_cmp_lt_u32_e32 vcc_lo, 0x7f800000, v4
	s_delay_alu instid0(VALU_DEP_2)
	v_cndmask_b32_e32 v1, 0x7e, v1, vcc_lo
; %bb.758:
	s_or_b32 exec_lo, exec_lo, s29
	global_store_b8 v[2:3], v1, off
.LBB207_759:
	s_mov_b32 s29, 0
.LBB207_760:
	s_delay_alu instid0(SALU_CYCLE_1)
	s_and_not1_b32 vcc_lo, exec_lo, s29
	s_cbranch_vccnz .LBB207_770
; %bb.761:
	s_wait_xcnt 0x0
	v_cndmask_b32_e64 v4, 0, 1.0, s1
	s_mov_b32 s29, exec_lo
                                        ; implicit-def: $vgpr1
	s_delay_alu instid0(VALU_DEP_1)
	v_cmpx_gt_u32_e32 0x47800000, v4
	s_xor_b32 s29, exec_lo, s29
	s_cbranch_execz .LBB207_767
; %bb.762:
	s_mov_b32 s30, exec_lo
                                        ; implicit-def: $vgpr1
	v_cmpx_lt_u32_e32 0x387fffff, v4
	s_xor_b32 s30, exec_lo, s30
; %bb.763:
	v_bfe_u32 v1, v4, 21, 1
	s_delay_alu instid0(VALU_DEP_1) | instskip(NEXT) | instid1(VALU_DEP_1)
	v_add3_u32 v1, v4, v1, 0x80fffff
                                        ; implicit-def: $vgpr4
	v_lshrrev_b32_e32 v1, 21, v1
; %bb.764:
	s_and_not1_saveexec_b32 s30, s30
; %bb.765:
	v_add_f32_e32 v1, 0x43000000, v4
; %bb.766:
	s_or_b32 exec_lo, exec_lo, s30
                                        ; implicit-def: $vgpr4
.LBB207_767:
	s_and_not1_saveexec_b32 s29, s29
; %bb.768:
	v_mov_b32_e32 v1, 0x7f
	v_cmp_lt_u32_e32 vcc_lo, 0x7f800000, v4
	s_delay_alu instid0(VALU_DEP_2)
	v_cndmask_b32_e32 v1, 0x7c, v1, vcc_lo
; %bb.769:
	s_or_b32 exec_lo, exec_lo, s29
	global_store_b8 v[2:3], v1, off
.LBB207_770:
	s_mov_b32 s30, 0
	s_mov_b32 s29, -1
.LBB207_771:
	s_and_not1_b32 vcc_lo, exec_lo, s30
	s_cbranch_vccnz .LBB207_779
; %bb.772:
	s_cmp_gt_i32 s28, 14
	s_mov_b32 s30, -1
	s_cbranch_scc0 .LBB207_776
; %bb.773:
	s_cmp_eq_u32 s28, 15
	s_mov_b32 s2, -1
	s_cbranch_scc0 .LBB207_775
; %bb.774:
	s_wait_xcnt 0x0
	v_cndmask_b32_e64 v1, 0, 1.0, s1
	s_mov_b32 s29, -1
	s_mov_b32 s2, 0
	s_delay_alu instid0(VALU_DEP_1) | instskip(NEXT) | instid1(VALU_DEP_1)
	v_bfe_u32 v4, v1, 16, 1
	v_add3_u32 v1, v1, v4, 0x7fff
	global_store_d16_hi_b16 v[2:3], v1, off
.LBB207_775:
	s_mov_b32 s30, 0
.LBB207_776:
	s_delay_alu instid0(SALU_CYCLE_1)
	s_and_b32 vcc_lo, exec_lo, s30
	s_cbranch_vccz .LBB207_779
; %bb.777:
	s_cmp_eq_u32 s28, 11
	s_mov_b32 s2, -1
	s_cbranch_scc0 .LBB207_779
; %bb.778:
	s_wait_xcnt 0x0
	v_cndmask_b32_e64 v1, 0, 1, s1
	s_mov_b32 s29, -1
	s_mov_b32 s2, 0
	global_store_b8 v[2:3], v1, off
.LBB207_779:
	s_mov_b32 s28, 0
.LBB207_780:
	s_delay_alu instid0(SALU_CYCLE_1)
	s_and_b32 vcc_lo, exec_lo, s28
	s_cbranch_vccz .LBB207_819
; %bb.781:
	s_and_b32 s17, 0xffff, s17
	s_mov_b32 s28, -1
	s_cmp_lt_i32 s17, 5
	s_cbranch_scc1 .LBB207_802
; %bb.782:
	s_cmp_lt_i32 s17, 8
	s_cbranch_scc1 .LBB207_792
; %bb.783:
	;; [unrolled: 3-line block ×3, first 2 shown]
	s_cmp_gt_i32 s17, 9
	s_cbranch_scc0 .LBB207_786
; %bb.785:
	s_wait_xcnt 0x0
	v_cndmask_b32_e64 v1, 0, 1, s1
	v_mov_b32_e32 v6, 0
	s_mov_b32 s28, 0
	s_delay_alu instid0(VALU_DEP_2) | instskip(NEXT) | instid1(VALU_DEP_2)
	v_cvt_f64_u32_e32 v[4:5], v1
	v_mov_b32_e32 v7, v6
	global_store_b128 v[2:3], v[4:7], off
.LBB207_786:
	s_and_not1_b32 vcc_lo, exec_lo, s28
	s_cbranch_vccnz .LBB207_788
; %bb.787:
	s_wait_xcnt 0x0
	v_cndmask_b32_e64 v4, 0, 1.0, s1
	v_mov_b32_e32 v5, 0
	global_store_b64 v[2:3], v[4:5], off
.LBB207_788:
	s_mov_b32 s28, 0
.LBB207_789:
	s_delay_alu instid0(SALU_CYCLE_1)
	s_and_not1_b32 vcc_lo, exec_lo, s28
	s_cbranch_vccnz .LBB207_791
; %bb.790:
	s_wait_xcnt 0x0
	v_cndmask_b32_e64 v1, 0, 1.0, s1
	s_delay_alu instid0(VALU_DEP_1) | instskip(NEXT) | instid1(VALU_DEP_1)
	v_cvt_f16_f32_e32 v1, v1
	v_and_b32_e32 v1, 0xffff, v1
	global_store_b32 v[2:3], v1, off
.LBB207_791:
	s_mov_b32 s28, 0
.LBB207_792:
	s_delay_alu instid0(SALU_CYCLE_1)
	s_and_not1_b32 vcc_lo, exec_lo, s28
	s_cbranch_vccnz .LBB207_801
; %bb.793:
	s_cmp_lt_i32 s17, 6
	s_mov_b32 s28, -1
	s_cbranch_scc1 .LBB207_799
; %bb.794:
	s_cmp_gt_i32 s17, 6
	s_cbranch_scc0 .LBB207_796
; %bb.795:
	s_wait_xcnt 0x0
	v_cndmask_b32_e64 v1, 0, 1, s1
	s_mov_b32 s28, 0
	s_delay_alu instid0(VALU_DEP_1)
	v_cvt_f64_u32_e32 v[4:5], v1
	global_store_b64 v[2:3], v[4:5], off
.LBB207_796:
	s_and_not1_b32 vcc_lo, exec_lo, s28
	s_cbranch_vccnz .LBB207_798
; %bb.797:
	s_wait_xcnt 0x0
	v_cndmask_b32_e64 v1, 0, 1.0, s1
	global_store_b32 v[2:3], v1, off
.LBB207_798:
	s_mov_b32 s28, 0
.LBB207_799:
	s_delay_alu instid0(SALU_CYCLE_1)
	s_and_not1_b32 vcc_lo, exec_lo, s28
	s_cbranch_vccnz .LBB207_801
; %bb.800:
	s_wait_xcnt 0x0
	v_cndmask_b32_e64 v1, 0, 1.0, s1
	s_delay_alu instid0(VALU_DEP_1)
	v_cvt_f16_f32_e32 v1, v1
	global_store_b16 v[2:3], v1, off
.LBB207_801:
	s_mov_b32 s28, 0
.LBB207_802:
	s_delay_alu instid0(SALU_CYCLE_1)
	s_and_not1_b32 vcc_lo, exec_lo, s28
	s_cbranch_vccnz .LBB207_818
; %bb.803:
	s_cmp_lt_i32 s17, 2
	s_mov_b32 s28, -1
	s_cbranch_scc1 .LBB207_813
; %bb.804:
	s_cmp_lt_i32 s17, 3
	s_cbranch_scc1 .LBB207_810
; %bb.805:
	s_cmp_gt_i32 s17, 3
	s_cbranch_scc0 .LBB207_807
; %bb.806:
	s_mov_b32 s28, 0
	s_wait_xcnt 0x0
	v_cndmask_b32_e64 v4, 0, 1, s1
	v_mov_b32_e32 v5, s28
	global_store_b64 v[2:3], v[4:5], off
.LBB207_807:
	s_and_not1_b32 vcc_lo, exec_lo, s28
	s_cbranch_vccnz .LBB207_809
; %bb.808:
	s_wait_xcnt 0x0
	v_cndmask_b32_e64 v1, 0, 1, s1
	global_store_b32 v[2:3], v1, off
.LBB207_809:
	s_mov_b32 s28, 0
.LBB207_810:
	s_delay_alu instid0(SALU_CYCLE_1)
	s_and_not1_b32 vcc_lo, exec_lo, s28
	s_cbranch_vccnz .LBB207_812
; %bb.811:
	s_wait_xcnt 0x0
	v_cndmask_b32_e64 v1, 0, 1, s1
	global_store_b16 v[2:3], v1, off
.LBB207_812:
	s_mov_b32 s28, 0
.LBB207_813:
	s_delay_alu instid0(SALU_CYCLE_1)
	s_and_not1_b32 vcc_lo, exec_lo, s28
	s_cbranch_vccnz .LBB207_818
; %bb.814:
	s_wait_xcnt 0x0
	v_cndmask_b32_e64 v1, 0, 1, s1
	s_cmp_gt_i32 s17, 0
	s_mov_b32 s1, -1
	s_cbranch_scc0 .LBB207_816
; %bb.815:
	s_mov_b32 s1, 0
	global_store_b8 v[2:3], v1, off
.LBB207_816:
	s_and_not1_b32 vcc_lo, exec_lo, s1
	s_cbranch_vccnz .LBB207_818
; %bb.817:
	global_store_b8 v[2:3], v1, off
.LBB207_818:
	s_mov_b32 s29, -1
.LBB207_819:
	s_delay_alu instid0(SALU_CYCLE_1)
	s_and_not1_b32 vcc_lo, exec_lo, s29
	s_cbranch_vccnz .LBB207_821
; %bb.820:
	v_add_nc_u32_e32 v0, 0x80, v0
	s_mov_b32 s17, -1
	s_branch .LBB207_823
.LBB207_821:
	s_mov_b32 s17, 0
.LBB207_822:
                                        ; implicit-def: $vgpr0
.LBB207_823:
	s_and_not1_b32 s1, s46, exec_lo
	s_and_b32 s2, s2, exec_lo
	s_and_not1_b32 s28, s45, exec_lo
	s_and_b32 s16, s16, exec_lo
	s_or_b32 s2, s1, s2
	s_or_b32 s1, s28, s16
	s_or_not1_b32 s29, s17, exec_lo
.LBB207_824:
	s_wait_xcnt 0x0
	s_or_b32 exec_lo, exec_lo, s48
	s_mov_b32 s16, 0
	s_mov_b32 s28, 0
	;; [unrolled: 1-line block ×3, first 2 shown]
                                        ; implicit-def: $vgpr4_vgpr5
                                        ; implicit-def: $vgpr2
                                        ; implicit-def: $vgpr3
	s_and_saveexec_b32 s30, s29
	s_cbranch_execz .LBB207_926
; %bb.825:
	s_mov_b32 s29, s1
	s_mov_b32 s31, exec_lo
                                        ; implicit-def: $vgpr4_vgpr5
                                        ; implicit-def: $vgpr2
                                        ; implicit-def: $vgpr3
	v_cmpx_gt_i32_e64 s39, v0
	s_cbranch_execz .LBB207_925
; %bb.826:
	s_and_not1_b32 vcc_lo, exec_lo, s35
	s_cbranch_vccnz .LBB207_832
; %bb.827:
	s_and_not1_b32 vcc_lo, exec_lo, s41
	s_cbranch_vccnz .LBB207_833
; %bb.828:
	s_add_co_i32 s40, s40, 1
	s_cmp_eq_u32 s33, 2
	s_cbranch_scc1 .LBB207_834
; %bb.829:
	v_dual_mov_b32 v2, 0 :: v_dual_mov_b32 v4, 0
	s_wait_loadcnt 0x0
	v_mov_b32_e32 v1, v0
	s_and_b32 s16, s40, 28
	s_mov_b64 s[28:29], s[20:21]
.LBB207_830:                            ; =>This Inner Loop Header: Depth=1
	s_clause 0x1
	s_load_b256 s[48:55], s[28:29], 0x4
	s_load_b128 s[64:67], s[28:29], 0x24
	s_load_b256 s[56:63], s[26:27], 0x0
	s_add_co_i32 s17, s17, 4
	s_wait_xcnt 0x0
	s_add_nc_u64 s[28:29], s[28:29], 48
	s_cmp_eq_u32 s16, s17
	s_add_nc_u64 s[26:27], s[26:27], 32
	s_wait_kmcnt 0x0
	v_mul_hi_u32 v3, s49, v1
	s_delay_alu instid0(VALU_DEP_1) | instskip(NEXT) | instid1(VALU_DEP_1)
	v_add_nc_u32_e32 v3, v1, v3
	v_lshrrev_b32_e32 v3, s50, v3
	s_delay_alu instid0(VALU_DEP_1) | instskip(NEXT) | instid1(VALU_DEP_1)
	v_mul_hi_u32 v5, s52, v3
	v_add_nc_u32_e32 v5, v3, v5
	s_delay_alu instid0(VALU_DEP_1) | instskip(NEXT) | instid1(VALU_DEP_1)
	v_lshrrev_b32_e32 v5, s53, v5
	v_mul_hi_u32 v6, s55, v5
	s_delay_alu instid0(VALU_DEP_1) | instskip(SKIP_1) | instid1(VALU_DEP_1)
	v_add_nc_u32_e32 v6, v5, v6
	v_mul_lo_u32 v7, v3, s48
	v_sub_nc_u32_e32 v1, v1, v7
	v_mul_lo_u32 v7, v5, s51
	s_delay_alu instid0(VALU_DEP_4) | instskip(NEXT) | instid1(VALU_DEP_3)
	v_lshrrev_b32_e32 v6, s64, v6
	v_mad_u32 v4, v1, s57, v4
	v_mad_u32 v1, v1, s56, v2
	s_delay_alu instid0(VALU_DEP_4) | instskip(NEXT) | instid1(VALU_DEP_4)
	v_sub_nc_u32_e32 v2, v3, v7
	v_mul_hi_u32 v8, s66, v6
	v_mul_lo_u32 v3, v6, s54
	s_delay_alu instid0(VALU_DEP_3) | instskip(SKIP_1) | instid1(VALU_DEP_3)
	v_mad_u32 v4, v2, s59, v4
	v_mad_u32 v2, v2, s58, v1
	v_dual_add_nc_u32 v7, v6, v8 :: v_dual_sub_nc_u32 v3, v5, v3
	s_delay_alu instid0(VALU_DEP_1) | instskip(NEXT) | instid1(VALU_DEP_2)
	v_lshrrev_b32_e32 v1, s67, v7
	v_mad_u32 v4, v3, s61, v4
	s_delay_alu instid0(VALU_DEP_4) | instskip(NEXT) | instid1(VALU_DEP_3)
	v_mad_u32 v2, v3, s60, v2
	v_mul_lo_u32 v5, v1, s65
	s_delay_alu instid0(VALU_DEP_1) | instskip(NEXT) | instid1(VALU_DEP_1)
	v_sub_nc_u32_e32 v3, v6, v5
	v_mad_u32 v4, v3, s63, v4
	s_delay_alu instid0(VALU_DEP_4)
	v_mad_u32 v2, v3, s62, v2
	s_cbranch_scc0 .LBB207_830
; %bb.831:
	s_delay_alu instid0(VALU_DEP_2)
	v_mov_b32_e32 v3, v4
	s_branch .LBB207_835
.LBB207_832:
	s_mov_b32 s16, -1
                                        ; implicit-def: $vgpr4
                                        ; implicit-def: $vgpr2
	s_branch .LBB207_840
.LBB207_833:
	v_dual_mov_b32 v4, 0 :: v_dual_mov_b32 v2, 0
	s_branch .LBB207_839
.LBB207_834:
	v_mov_b64_e32 v[2:3], 0
	s_wait_loadcnt 0x0
	v_mov_b32_e32 v1, v0
                                        ; implicit-def: $vgpr4
.LBB207_835:
	s_and_b32 s28, s40, 3
	s_mov_b32 s17, 0
	s_cmp_eq_u32 s28, 0
	s_cbranch_scc1 .LBB207_839
; %bb.836:
	s_lshl_b32 s26, s16, 3
	s_mov_b32 s27, s17
	s_mul_u64 s[40:41], s[16:17], 12
	s_add_nc_u64 s[26:27], s[20:21], s[26:27]
	s_delay_alu instid0(SALU_CYCLE_1)
	s_add_nc_u64 s[16:17], s[26:27], 0xc4
	s_add_nc_u64 s[26:27], s[20:21], s[40:41]
.LBB207_837:                            ; =>This Inner Loop Header: Depth=1
	s_load_b96 s[48:50], s[26:27], 0x4
	s_load_b64 s[40:41], s[16:17], 0x0
	s_add_co_i32 s28, s28, -1
	s_wait_xcnt 0x0
	s_add_nc_u64 s[26:27], s[26:27], 12
	s_cmp_lg_u32 s28, 0
	s_add_nc_u64 s[16:17], s[16:17], 8
	s_wait_kmcnt 0x0
	v_mul_hi_u32 v4, s49, v1
	s_delay_alu instid0(VALU_DEP_1) | instskip(NEXT) | instid1(VALU_DEP_1)
	v_add_nc_u32_e32 v4, v1, v4
	v_lshrrev_b32_e32 v4, s50, v4
	s_delay_alu instid0(VALU_DEP_1) | instskip(NEXT) | instid1(VALU_DEP_1)
	v_mul_lo_u32 v5, v4, s48
	v_sub_nc_u32_e32 v1, v1, v5
	s_delay_alu instid0(VALU_DEP_1)
	v_mad_u32 v3, v1, s41, v3
	v_mad_u32 v2, v1, s40, v2
	v_mov_b32_e32 v1, v4
	s_cbranch_scc1 .LBB207_837
; %bb.838:
	s_delay_alu instid0(VALU_DEP_3)
	v_mov_b32_e32 v4, v3
.LBB207_839:
	s_mov_b32 s16, 0
.LBB207_840:
	s_delay_alu instid0(SALU_CYCLE_1)
	s_and_not1_b32 vcc_lo, exec_lo, s16
	s_cbranch_vccnz .LBB207_843
; %bb.841:
	s_wait_loadcnt 0x0
	v_mov_b32_e32 v1, 0
	s_and_not1_b32 vcc_lo, exec_lo, s38
	s_delay_alu instid0(VALU_DEP_1) | instskip(NEXT) | instid1(VALU_DEP_1)
	v_mul_u64_e32 v[2:3], s[22:23], v[0:1]
	v_add_nc_u32_e32 v2, v0, v3
	s_delay_alu instid0(VALU_DEP_1) | instskip(NEXT) | instid1(VALU_DEP_1)
	v_lshrrev_b32_e32 v6, s10, v2
	v_mul_lo_u32 v2, v6, s8
	s_delay_alu instid0(VALU_DEP_1) | instskip(NEXT) | instid1(VALU_DEP_1)
	v_sub_nc_u32_e32 v0, v0, v2
	v_mul_lo_u32 v4, v0, s13
	v_mul_lo_u32 v2, v0, s12
	s_cbranch_vccnz .LBB207_843
; %bb.842:
	v_mov_b32_e32 v7, v1
	s_delay_alu instid0(VALU_DEP_1) | instskip(NEXT) | instid1(VALU_DEP_1)
	v_mul_u64_e32 v[0:1], s[24:25], v[6:7]
	v_add_nc_u32_e32 v0, v6, v1
	s_delay_alu instid0(VALU_DEP_1) | instskip(NEXT) | instid1(VALU_DEP_1)
	v_lshrrev_b32_e32 v0, s3, v0
	v_mul_lo_u32 v0, v0, s11
	s_delay_alu instid0(VALU_DEP_1) | instskip(NEXT) | instid1(VALU_DEP_1)
	v_sub_nc_u32_e32 v0, v6, v0
	v_mad_u32 v2, v0, s14, v2
	v_mad_u32 v4, v0, s15, v4
.LBB207_843:
	v_mov_b32_e32 v5, 0
	s_and_b32 s3, 0xffff, s37
	s_delay_alu instid0(SALU_CYCLE_1) | instskip(NEXT) | instid1(VALU_DEP_1)
	s_cmp_lt_i32 s3, 11
	v_add_nc_u64_e32 v[4:5], s[6:7], v[4:5]
	s_cbranch_scc1 .LBB207_850
; %bb.844:
	s_cmp_gt_i32 s3, 25
	s_mov_b32 s7, 0
	s_cbranch_scc0 .LBB207_851
; %bb.845:
	s_cmp_gt_i32 s3, 28
	s_cbranch_scc0 .LBB207_852
; %bb.846:
	s_cmp_gt_i32 s3, 43
	;; [unrolled: 3-line block ×3, first 2 shown]
	s_cbranch_scc0 .LBB207_856
; %bb.848:
	s_cmp_eq_u32 s3, 46
	s_mov_b32 s10, 0
	s_cbranch_scc0 .LBB207_859
; %bb.849:
	global_load_b32 v3, v[4:5], off
	s_mov_b32 s6, 0
	s_mov_b32 s8, -1
	s_branch .LBB207_861
.LBB207_850:
	s_mov_b32 s3, -1
	s_mov_b32 s8, 0
	s_mov_b32 s7, 0
	;; [unrolled: 1-line block ×3, first 2 shown]
                                        ; implicit-def: $vgpr3
	s_branch .LBB207_924
.LBB207_851:
	s_mov_b32 s10, -1
	s_mov_b32 s8, 0
	s_mov_b32 s6, s1
                                        ; implicit-def: $vgpr3
	s_branch .LBB207_890
.LBB207_852:
	s_mov_b32 s10, -1
	s_mov_b32 s8, 0
	s_mov_b32 s6, s1
                                        ; implicit-def: $vgpr3
	s_branch .LBB207_871
.LBB207_853:
	s_mov_b32 s10, -1
	s_mov_b32 s8, 0
	s_mov_b32 s6, s1
                                        ; implicit-def: $vgpr3
	s_branch .LBB207_866
.LBB207_854:
	s_and_not1_saveexec_b32 s31, s31
	s_cbranch_execz .LBB207_732
.LBB207_855:
	v_add_f32_e32 v1, 0x46000000, v4
	s_and_not1_b32 s30, s30, exec_lo
	s_delay_alu instid0(VALU_DEP_1) | instskip(NEXT) | instid1(VALU_DEP_1)
	v_and_b32_e32 v1, 0xff, v1
	v_cmp_ne_u32_e32 vcc_lo, 0, v1
	s_and_b32 s49, vcc_lo, exec_lo
	s_delay_alu instid0(SALU_CYCLE_1)
	s_or_b32 s30, s30, s49
	s_or_b32 exec_lo, exec_lo, s31
	v_mov_b32_e32 v5, 0
	s_and_saveexec_b32 s31, s30
	s_cbranch_execnz .LBB207_733
	s_branch .LBB207_734
.LBB207_856:
	s_mov_b32 s10, -1
	s_mov_b32 s8, 0
	s_mov_b32 s6, s1
	s_branch .LBB207_860
.LBB207_857:
	s_and_not1_saveexec_b32 s31, s31
	s_cbranch_execz .LBB207_745
.LBB207_858:
	v_add_f32_e32 v1, 0x42800000, v4
	s_and_not1_b32 s30, s30, exec_lo
	s_delay_alu instid0(VALU_DEP_1) | instskip(NEXT) | instid1(VALU_DEP_1)
	v_and_b32_e32 v1, 0xff, v1
	v_cmp_ne_u32_e32 vcc_lo, 0, v1
	s_and_b32 s49, vcc_lo, exec_lo
	s_delay_alu instid0(SALU_CYCLE_1)
	s_or_b32 s30, s30, s49
	s_or_b32 exec_lo, exec_lo, s31
	v_mov_b32_e32 v5, 0
	s_and_saveexec_b32 s31, s30
	s_cbranch_execnz .LBB207_746
	s_branch .LBB207_747
.LBB207_859:
	s_mov_b32 s6, -1
	s_mov_b32 s8, 0
.LBB207_860:
                                        ; implicit-def: $vgpr3
.LBB207_861:
	s_and_b32 vcc_lo, exec_lo, s10
	s_cbranch_vccz .LBB207_865
; %bb.862:
	s_cmp_eq_u32 s3, 44
	s_cbranch_scc0 .LBB207_864
; %bb.863:
	global_load_u8 v0, v[4:5], off
	s_mov_b32 s6, 0
	s_mov_b32 s8, -1
	s_wait_loadcnt 0x0
	v_lshlrev_b32_e32 v1, 23, v0
	v_cmp_ne_u32_e32 vcc_lo, 0xff, v0
	s_delay_alu instid0(VALU_DEP_2) | instskip(SKIP_1) | instid1(VALU_DEP_2)
	v_cndmask_b32_e32 v1, 0x7f800001, v1, vcc_lo
	v_cmp_ne_u32_e32 vcc_lo, 0, v0
	v_cndmask_b32_e32 v0, 0x400000, v1, vcc_lo
	s_delay_alu instid0(VALU_DEP_1) | instskip(NEXT) | instid1(VALU_DEP_1)
	v_add_nc_u32_e32 v1, 0x7fff, v0
	v_lshrrev_b32_e32 v1, 16, v1
	v_cmp_o_f32_e32 vcc_lo, v0, v0
	s_delay_alu instid0(VALU_DEP_2)
	v_cndmask_b32_e32 v3, 0x7fc0, v1, vcc_lo
	s_branch .LBB207_865
.LBB207_864:
	s_mov_b32 s6, -1
                                        ; implicit-def: $vgpr3
.LBB207_865:
	s_mov_b32 s10, 0
.LBB207_866:
	s_delay_alu instid0(SALU_CYCLE_1)
	s_and_b32 vcc_lo, exec_lo, s10
	s_cbranch_vccz .LBB207_870
; %bb.867:
	s_cmp_eq_u32 s3, 29
	s_cbranch_scc0 .LBB207_869
; %bb.868:
	s_wait_loadcnt 0x0
	global_load_b64 v[0:1], v[4:5], off
	s_mov_b32 s6, 0
	s_mov_b32 s8, -1
	s_mov_b32 s10, 0
	s_wait_loadcnt 0x0
	v_clz_i32_u32_e32 v3, v1
	s_delay_alu instid0(VALU_DEP_1) | instskip(NEXT) | instid1(VALU_DEP_1)
	v_min_u32_e32 v3, 32, v3
	v_lshlrev_b64_e32 v[0:1], v3, v[0:1]
	s_delay_alu instid0(VALU_DEP_1) | instskip(NEXT) | instid1(VALU_DEP_1)
	v_min_u32_e32 v0, 1, v0
	v_dual_sub_nc_u32 v1, 32, v3 :: v_dual_bitop2_b32 v0, v1, v0 bitop3:0x54
	s_delay_alu instid0(VALU_DEP_1) | instskip(NEXT) | instid1(VALU_DEP_1)
	v_cvt_f32_u32_e32 v0, v0
	v_ldexp_f32 v0, v0, v1
	s_delay_alu instid0(VALU_DEP_1) | instskip(NEXT) | instid1(VALU_DEP_1)
	v_bfe_u32 v1, v0, 16, 1
	v_add3_u32 v0, v0, v1, 0x7fff
	s_delay_alu instid0(VALU_DEP_1)
	v_lshrrev_b32_e32 v3, 16, v0
	s_branch .LBB207_871
.LBB207_869:
	s_mov_b32 s6, -1
                                        ; implicit-def: $vgpr3
.LBB207_870:
	s_mov_b32 s10, 0
.LBB207_871:
	s_delay_alu instid0(SALU_CYCLE_1)
	s_and_b32 vcc_lo, exec_lo, s10
	s_cbranch_vccz .LBB207_889
; %bb.872:
	s_cmp_lt_i32 s3, 27
	s_cbranch_scc1 .LBB207_875
; %bb.873:
	s_cmp_gt_i32 s3, 27
	s_cbranch_scc0 .LBB207_876
; %bb.874:
	global_load_b32 v0, v[4:5], off
	s_mov_b32 s8, 0
	s_wait_loadcnt 0x0
	v_cvt_f32_u32_e32 v0, v0
	s_delay_alu instid0(VALU_DEP_1) | instskip(NEXT) | instid1(VALU_DEP_1)
	v_bfe_u32 v1, v0, 16, 1
	v_add3_u32 v0, v0, v1, 0x7fff
	s_delay_alu instid0(VALU_DEP_1)
	v_lshrrev_b32_e32 v3, 16, v0
	s_branch .LBB207_877
.LBB207_875:
	s_mov_b32 s8, -1
                                        ; implicit-def: $vgpr3
	s_branch .LBB207_880
.LBB207_876:
	s_mov_b32 s8, -1
                                        ; implicit-def: $vgpr3
.LBB207_877:
	s_delay_alu instid0(SALU_CYCLE_1)
	s_and_not1_b32 vcc_lo, exec_lo, s8
	s_cbranch_vccnz .LBB207_879
; %bb.878:
	global_load_u16 v0, v[4:5], off
	s_wait_loadcnt 0x0
	v_cvt_f32_u32_e32 v0, v0
	s_delay_alu instid0(VALU_DEP_1) | instskip(NEXT) | instid1(VALU_DEP_1)
	v_bfe_u32 v1, v0, 16, 1
	v_add3_u32 v0, v0, v1, 0x7fff
	s_delay_alu instid0(VALU_DEP_1)
	v_lshrrev_b32_e32 v3, 16, v0
.LBB207_879:
	s_mov_b32 s8, 0
.LBB207_880:
	s_delay_alu instid0(SALU_CYCLE_1)
	s_and_not1_b32 vcc_lo, exec_lo, s8
	s_cbranch_vccnz .LBB207_888
; %bb.881:
	global_load_u8 v0, v[4:5], off
	s_mov_b32 s8, 0
	s_mov_b32 s10, exec_lo
	s_wait_loadcnt 0x0
	v_cmpx_lt_i16_e32 0x7f, v0
	s_xor_b32 s10, exec_lo, s10
	s_cbranch_execz .LBB207_902
; %bb.882:
	s_mov_b32 s8, -1
	s_mov_b32 s11, exec_lo
	v_cmpx_eq_u16_e32 0x80, v0
; %bb.883:
	s_xor_b32 s8, exec_lo, -1
; %bb.884:
	s_or_b32 exec_lo, exec_lo, s11
	s_delay_alu instid0(SALU_CYCLE_1)
	s_and_b32 s8, s8, exec_lo
	s_or_saveexec_b32 s10, s10
	v_mov_b32_e32 v1, 0x7f800001
	s_xor_b32 exec_lo, exec_lo, s10
	s_cbranch_execnz .LBB207_903
.LBB207_885:
	s_or_b32 exec_lo, exec_lo, s10
	s_and_saveexec_b32 s10, s8
	s_cbranch_execz .LBB207_887
.LBB207_886:
	v_and_b32_e32 v1, 0xffff, v0
	s_delay_alu instid0(VALU_DEP_1) | instskip(SKIP_1) | instid1(VALU_DEP_2)
	v_and_b32_e32 v3, 7, v1
	v_bfe_u32 v8, v1, 3, 4
	v_clz_i32_u32_e32 v6, v3
	s_delay_alu instid0(VALU_DEP_2) | instskip(NEXT) | instid1(VALU_DEP_2)
	v_cmp_eq_u32_e32 vcc_lo, 0, v8
	v_min_u32_e32 v6, 32, v6
	s_delay_alu instid0(VALU_DEP_1) | instskip(NEXT) | instid1(VALU_DEP_1)
	v_subrev_nc_u32_e32 v7, 28, v6
	v_dual_lshlrev_b32 v1, v7, v1 :: v_dual_sub_nc_u32 v6, 29, v6
	s_delay_alu instid0(VALU_DEP_1) | instskip(NEXT) | instid1(VALU_DEP_1)
	v_dual_lshlrev_b32 v0, 24, v0 :: v_dual_bitop2_b32 v1, 7, v1 bitop3:0x40
	v_dual_cndmask_b32 v6, v8, v6 :: v_dual_cndmask_b32 v1, v3, v1
	s_delay_alu instid0(VALU_DEP_2) | instskip(NEXT) | instid1(VALU_DEP_2)
	v_and_b32_e32 v0, 0x80000000, v0
	v_lshl_add_u32 v3, v6, 23, 0x3b800000
	s_delay_alu instid0(VALU_DEP_3) | instskip(NEXT) | instid1(VALU_DEP_1)
	v_lshlrev_b32_e32 v1, 20, v1
	v_or3_b32 v1, v0, v3, v1
.LBB207_887:
	s_or_b32 exec_lo, exec_lo, s10
	s_delay_alu instid0(VALU_DEP_1) | instskip(SKIP_1) | instid1(VALU_DEP_2)
	v_bfe_u32 v0, v1, 16, 1
	v_cmp_o_f32_e32 vcc_lo, v1, v1
	v_add3_u32 v0, v1, v0, 0x7fff
	s_delay_alu instid0(VALU_DEP_1) | instskip(NEXT) | instid1(VALU_DEP_1)
	v_lshrrev_b32_e32 v0, 16, v0
	v_cndmask_b32_e32 v3, 0x7fc0, v0, vcc_lo
.LBB207_888:
	s_mov_b32 s8, -1
.LBB207_889:
	s_mov_b32 s10, 0
.LBB207_890:
	s_delay_alu instid0(SALU_CYCLE_1)
	s_and_b32 vcc_lo, exec_lo, s10
	s_cbranch_vccz .LBB207_923
; %bb.891:
	s_cmp_gt_i32 s3, 22
	s_cbranch_scc0 .LBB207_901
; %bb.892:
	s_cmp_lt_i32 s3, 24
	s_cbranch_scc1 .LBB207_904
; %bb.893:
	s_cmp_gt_i32 s3, 24
	s_cbranch_scc0 .LBB207_905
; %bb.894:
	global_load_u8 v0, v[4:5], off
	s_mov_b32 s8, exec_lo
	s_wait_loadcnt 0x0
	v_cmpx_lt_i16_e32 0x7f, v0
	s_xor_b32 s8, exec_lo, s8
	s_cbranch_execz .LBB207_917
; %bb.895:
	s_mov_b32 s7, -1
	s_mov_b32 s10, exec_lo
	v_cmpx_eq_u16_e32 0x80, v0
; %bb.896:
	s_xor_b32 s7, exec_lo, -1
; %bb.897:
	s_or_b32 exec_lo, exec_lo, s10
	s_delay_alu instid0(SALU_CYCLE_1)
	s_and_b32 s7, s7, exec_lo
	s_or_saveexec_b32 s8, s8
	v_mov_b32_e32 v1, 0x7f800001
	s_xor_b32 exec_lo, exec_lo, s8
	s_cbranch_execnz .LBB207_918
.LBB207_898:
	s_or_b32 exec_lo, exec_lo, s8
	s_and_saveexec_b32 s8, s7
	s_cbranch_execz .LBB207_900
.LBB207_899:
	v_and_b32_e32 v1, 0xffff, v0
	s_delay_alu instid0(VALU_DEP_1) | instskip(SKIP_1) | instid1(VALU_DEP_2)
	v_and_b32_e32 v3, 3, v1
	v_bfe_u32 v8, v1, 2, 5
	v_clz_i32_u32_e32 v6, v3
	s_delay_alu instid0(VALU_DEP_2) | instskip(NEXT) | instid1(VALU_DEP_2)
	v_cmp_eq_u32_e32 vcc_lo, 0, v8
	v_min_u32_e32 v6, 32, v6
	s_delay_alu instid0(VALU_DEP_1) | instskip(NEXT) | instid1(VALU_DEP_1)
	v_subrev_nc_u32_e32 v7, 29, v6
	v_dual_lshlrev_b32 v1, v7, v1 :: v_dual_sub_nc_u32 v6, 30, v6
	s_delay_alu instid0(VALU_DEP_1) | instskip(NEXT) | instid1(VALU_DEP_1)
	v_dual_lshlrev_b32 v0, 24, v0 :: v_dual_bitop2_b32 v1, 3, v1 bitop3:0x40
	v_dual_cndmask_b32 v6, v8, v6 :: v_dual_cndmask_b32 v1, v3, v1
	s_delay_alu instid0(VALU_DEP_2) | instskip(NEXT) | instid1(VALU_DEP_2)
	v_and_b32_e32 v0, 0x80000000, v0
	v_lshl_add_u32 v3, v6, 23, 0x37800000
	s_delay_alu instid0(VALU_DEP_3) | instskip(NEXT) | instid1(VALU_DEP_1)
	v_lshlrev_b32_e32 v1, 21, v1
	v_or3_b32 v1, v0, v3, v1
.LBB207_900:
	s_or_b32 exec_lo, exec_lo, s8
	s_delay_alu instid0(VALU_DEP_1) | instskip(SKIP_2) | instid1(VALU_DEP_2)
	v_bfe_u32 v0, v1, 16, 1
	v_cmp_o_f32_e32 vcc_lo, v1, v1
	s_mov_b32 s7, 0
	v_add3_u32 v0, v1, v0, 0x7fff
	s_delay_alu instid0(VALU_DEP_1) | instskip(NEXT) | instid1(VALU_DEP_1)
	v_lshrrev_b32_e32 v0, 16, v0
	v_cndmask_b32_e32 v3, 0x7fc0, v0, vcc_lo
	s_branch .LBB207_906
.LBB207_901:
	s_mov_b32 s7, -1
                                        ; implicit-def: $vgpr3
	s_branch .LBB207_912
.LBB207_902:
	s_or_saveexec_b32 s10, s10
	v_mov_b32_e32 v1, 0x7f800001
	s_xor_b32 exec_lo, exec_lo, s10
	s_cbranch_execz .LBB207_885
.LBB207_903:
	v_cmp_ne_u16_e32 vcc_lo, 0, v0
	v_mov_b32_e32 v1, 0
	s_and_not1_b32 s8, s8, exec_lo
	s_and_b32 s11, vcc_lo, exec_lo
	s_delay_alu instid0(SALU_CYCLE_1)
	s_or_b32 s8, s8, s11
	s_or_b32 exec_lo, exec_lo, s10
	s_and_saveexec_b32 s10, s8
	s_cbranch_execnz .LBB207_886
	s_branch .LBB207_887
.LBB207_904:
	s_mov_b32 s7, -1
                                        ; implicit-def: $vgpr3
	s_branch .LBB207_909
.LBB207_905:
	s_mov_b32 s7, -1
                                        ; implicit-def: $vgpr3
.LBB207_906:
	s_delay_alu instid0(SALU_CYCLE_1)
	s_and_b32 vcc_lo, exec_lo, s7
	s_cbranch_vccz .LBB207_908
; %bb.907:
	global_load_u8 v0, v[4:5], off
	s_wait_loadcnt 0x0
	v_lshlrev_b32_e32 v0, 24, v0
	s_delay_alu instid0(VALU_DEP_1) | instskip(NEXT) | instid1(VALU_DEP_1)
	v_and_b32_e32 v1, 0x7f000000, v0
	v_clz_i32_u32_e32 v3, v1
	v_add_nc_u32_e32 v7, 0x1000000, v1
	v_cmp_ne_u32_e32 vcc_lo, 0, v1
	s_delay_alu instid0(VALU_DEP_3) | instskip(NEXT) | instid1(VALU_DEP_1)
	v_min_u32_e32 v3, 32, v3
	v_sub_nc_u32_e64 v3, v3, 4 clamp
	s_delay_alu instid0(VALU_DEP_1) | instskip(NEXT) | instid1(VALU_DEP_1)
	v_dual_lshlrev_b32 v6, v3, v1 :: v_dual_lshlrev_b32 v3, 23, v3
	v_lshrrev_b32_e32 v6, 4, v6
	s_delay_alu instid0(VALU_DEP_1) | instskip(SKIP_1) | instid1(VALU_DEP_2)
	v_sub_nc_u32_e32 v3, v6, v3
	v_ashrrev_i32_e32 v6, 8, v7
	v_add_nc_u32_e32 v3, 0x3c000000, v3
	s_delay_alu instid0(VALU_DEP_1) | instskip(NEXT) | instid1(VALU_DEP_1)
	v_and_or_b32 v3, 0x7f800000, v6, v3
	v_cndmask_b32_e32 v1, 0, v3, vcc_lo
	s_delay_alu instid0(VALU_DEP_1) | instskip(SKIP_1) | instid1(VALU_DEP_2)
	v_and_or_b32 v0, 0x80000000, v0, v1
	v_bfe_u32 v1, v1, 16, 1
	v_cmp_o_f32_e32 vcc_lo, v0, v0
	s_delay_alu instid0(VALU_DEP_2) | instskip(NEXT) | instid1(VALU_DEP_1)
	v_add3_u32 v1, v0, v1, 0x7fff
	v_lshrrev_b32_e32 v1, 16, v1
	s_delay_alu instid0(VALU_DEP_1)
	v_cndmask_b32_e32 v3, 0x7fc0, v1, vcc_lo
.LBB207_908:
	s_mov_b32 s7, 0
.LBB207_909:
	s_delay_alu instid0(SALU_CYCLE_1)
	s_and_not1_b32 vcc_lo, exec_lo, s7
	s_cbranch_vccnz .LBB207_911
; %bb.910:
	global_load_u8 v0, v[4:5], off
	s_wait_loadcnt 0x0
	v_lshlrev_b32_e32 v1, 25, v0
	v_lshlrev_b16 v0, 8, v0
	s_delay_alu instid0(VALU_DEP_1) | instskip(SKIP_1) | instid1(VALU_DEP_2)
	v_and_or_b32 v6, 0x7f00, v0, 0.5
	v_bfe_i32 v0, v0, 0, 16
	v_dual_add_f32 v6, -0.5, v6 :: v_dual_lshrrev_b32 v3, 4, v1
	v_cmp_gt_u32_e32 vcc_lo, 0x8000000, v1
	s_delay_alu instid0(VALU_DEP_2) | instskip(NEXT) | instid1(VALU_DEP_1)
	v_or_b32_e32 v3, 0x70000000, v3
	v_mul_f32_e32 v3, 0x7800000, v3
	s_delay_alu instid0(VALU_DEP_1) | instskip(NEXT) | instid1(VALU_DEP_1)
	v_cndmask_b32_e32 v1, v3, v6, vcc_lo
	v_and_or_b32 v0, 0x80000000, v0, v1
	v_bfe_u32 v1, v1, 16, 1
	s_delay_alu instid0(VALU_DEP_2) | instskip(NEXT) | instid1(VALU_DEP_2)
	v_cmp_o_f32_e32 vcc_lo, v0, v0
	v_add3_u32 v1, v0, v1, 0x7fff
	s_delay_alu instid0(VALU_DEP_1) | instskip(NEXT) | instid1(VALU_DEP_1)
	v_lshrrev_b32_e32 v1, 16, v1
	v_cndmask_b32_e32 v3, 0x7fc0, v1, vcc_lo
.LBB207_911:
	s_mov_b32 s7, 0
	s_mov_b32 s8, -1
.LBB207_912:
	s_and_not1_b32 vcc_lo, exec_lo, s7
	s_mov_b32 s7, 0
	s_cbranch_vccnz .LBB207_923
; %bb.913:
	s_cmp_gt_i32 s3, 14
	s_cbranch_scc0 .LBB207_916
; %bb.914:
	s_cmp_eq_u32 s3, 15
	s_cbranch_scc0 .LBB207_919
; %bb.915:
	s_wait_loadcnt 0x0
	global_load_u16 v3, v[4:5], off
	s_mov_b32 s6, 0
	s_mov_b32 s8, -1
	s_branch .LBB207_921
.LBB207_916:
	s_mov_b32 s7, -1
	s_branch .LBB207_920
.LBB207_917:
	s_or_saveexec_b32 s8, s8
	v_mov_b32_e32 v1, 0x7f800001
	s_xor_b32 exec_lo, exec_lo, s8
	s_cbranch_execz .LBB207_898
.LBB207_918:
	v_cmp_ne_u16_e32 vcc_lo, 0, v0
	v_mov_b32_e32 v1, 0
	s_and_not1_b32 s7, s7, exec_lo
	s_and_b32 s10, vcc_lo, exec_lo
	s_delay_alu instid0(SALU_CYCLE_1)
	s_or_b32 s7, s7, s10
	s_or_b32 exec_lo, exec_lo, s8
	s_and_saveexec_b32 s8, s7
	s_cbranch_execnz .LBB207_899
	s_branch .LBB207_900
.LBB207_919:
	s_mov_b32 s6, -1
.LBB207_920:
                                        ; implicit-def: $vgpr3
.LBB207_921:
	s_and_b32 vcc_lo, exec_lo, s7
	s_mov_b32 s7, 0
	s_cbranch_vccz .LBB207_923
; %bb.922:
	s_cmp_lg_u32 s3, 11
	s_mov_b32 s7, -1
	s_cselect_b32 s3, -1, 0
	s_and_not1_b32 s6, s6, exec_lo
	s_and_b32 s3, s3, exec_lo
	s_delay_alu instid0(SALU_CYCLE_1)
	s_or_b32 s6, s6, s3
.LBB207_923:
	s_mov_b32 s3, 0
.LBB207_924:
	s_delay_alu instid0(SALU_CYCLE_1)
	s_and_b32 s28, s3, exec_lo
	s_and_not1_b32 s3, s1, exec_lo
	s_and_b32 s6, s6, exec_lo
	s_and_b32 s17, s8, exec_lo
	;; [unrolled: 1-line block ×3, first 2 shown]
	s_or_b32 s29, s3, s6
.LBB207_925:
	s_wait_xcnt 0x0
	s_or_b32 exec_lo, exec_lo, s31
	s_delay_alu instid0(SALU_CYCLE_1)
	s_and_not1_b32 s1, s1, exec_lo
	s_and_b32 s3, s29, exec_lo
	s_and_b32 s17, s17, exec_lo
	;; [unrolled: 1-line block ×4, first 2 shown]
	s_or_b32 s1, s1, s3
.LBB207_926:
	s_or_b32 exec_lo, exec_lo, s30
	s_delay_alu instid0(SALU_CYCLE_1)
	s_and_not1_b32 s3, s46, exec_lo
	s_and_b32 s2, s2, exec_lo
	s_and_b32 s6, s1, exec_lo
	s_or_b32 s46, s3, s2
	s_and_not1_b32 s3, s45, exec_lo
	s_and_b32 s17, s17, exec_lo
	s_and_b32 s2, s28, exec_lo
	;; [unrolled: 1-line block ×3, first 2 shown]
	s_or_b32 s45, s3, s6
.LBB207_927:
	s_or_b32 exec_lo, exec_lo, s47
	s_delay_alu instid0(SALU_CYCLE_1)
	s_and_not1_b32 s3, s42, exec_lo
	s_and_b32 s6, s46, exec_lo
	s_and_b32 s16, s17, exec_lo
	s_or_b32 s42, s3, s6
	s_and_b32 s17, s2, exec_lo
	s_and_not1_b32 s2, s43, exec_lo
	s_and_b32 s3, s45, exec_lo
	s_and_b32 s23, s1, exec_lo
	s_or_b32 s43, s2, s3
	s_or_b32 exec_lo, exec_lo, s44
	s_mov_b32 s1, 0
	s_and_saveexec_b32 s2, s43
	s_cbranch_execz .LBB207_276
.LBB207_928:
	s_mov_b32 s1, exec_lo
	s_and_not1_b32 s23, s23, exec_lo
	s_trap 2
	s_or_b32 exec_lo, exec_lo, s2
	s_and_saveexec_b32 s2, s23
	s_delay_alu instid0(SALU_CYCLE_1)
	s_xor_b32 s2, exec_lo, s2
	s_cbranch_execnz .LBB207_277
.LBB207_929:
	s_or_b32 exec_lo, exec_lo, s2
	s_and_saveexec_b32 s2, s17
	s_cbranch_execz .LBB207_975
.LBB207_930:
	s_sext_i32_i16 s3, s37
	s_delay_alu instid0(SALU_CYCLE_1)
	s_cmp_lt_i32 s3, 5
	s_cbranch_scc1 .LBB207_935
; %bb.931:
	s_cmp_lt_i32 s3, 8
	s_cbranch_scc1 .LBB207_936
; %bb.932:
	;; [unrolled: 3-line block ×3, first 2 shown]
	s_cmp_gt_i32 s3, 9
	s_cbranch_scc0 .LBB207_938
; %bb.934:
	s_wait_loadcnt 0x0
	global_load_b64 v[0:1], v[4:5], off
	s_mov_b32 s3, 0
	s_wait_loadcnt 0x0
	v_cvt_f32_f64_e32 v0, v[0:1]
	s_delay_alu instid0(VALU_DEP_1) | instskip(SKIP_1) | instid1(VALU_DEP_2)
	v_bfe_u32 v1, v0, 16, 1
	v_cmp_o_f32_e32 vcc_lo, v0, v0
	v_add3_u32 v1, v0, v1, 0x7fff
	s_delay_alu instid0(VALU_DEP_1) | instskip(NEXT) | instid1(VALU_DEP_1)
	v_lshrrev_b32_e32 v1, 16, v1
	v_cndmask_b32_e32 v3, 0x7fc0, v1, vcc_lo
	s_branch .LBB207_939
.LBB207_935:
                                        ; implicit-def: $vgpr3
	s_branch .LBB207_956
.LBB207_936:
                                        ; implicit-def: $vgpr3
	s_branch .LBB207_945
.LBB207_937:
	s_mov_b32 s3, -1
                                        ; implicit-def: $vgpr3
	s_branch .LBB207_942
.LBB207_938:
	s_mov_b32 s3, -1
                                        ; implicit-def: $vgpr3
.LBB207_939:
	s_delay_alu instid0(SALU_CYCLE_1)
	s_and_not1_b32 vcc_lo, exec_lo, s3
	s_cbranch_vccnz .LBB207_941
; %bb.940:
	global_load_b32 v0, v[4:5], off
	s_wait_loadcnt 0x0
	v_bfe_u32 v1, v0, 16, 1
	v_cmp_o_f32_e32 vcc_lo, v0, v0
	s_delay_alu instid0(VALU_DEP_2) | instskip(NEXT) | instid1(VALU_DEP_1)
	v_add3_u32 v1, v0, v1, 0x7fff
	v_lshrrev_b32_e32 v1, 16, v1
	s_delay_alu instid0(VALU_DEP_1)
	v_cndmask_b32_e32 v3, 0x7fc0, v1, vcc_lo
.LBB207_941:
	s_mov_b32 s3, 0
.LBB207_942:
	s_delay_alu instid0(SALU_CYCLE_1)
	s_and_not1_b32 vcc_lo, exec_lo, s3
	s_cbranch_vccnz .LBB207_944
; %bb.943:
	global_load_b32 v0, v[4:5], off
	s_wait_loadcnt 0x0
	v_cvt_f32_f16_e32 v1, v0
	v_cmp_o_f16_e32 vcc_lo, v0, v0
	s_delay_alu instid0(VALU_DEP_2) | instskip(NEXT) | instid1(VALU_DEP_1)
	v_bfe_u32 v3, v1, 16, 1
	v_add3_u32 v1, v1, v3, 0x7fff
	s_delay_alu instid0(VALU_DEP_1) | instskip(NEXT) | instid1(VALU_DEP_1)
	v_lshrrev_b32_e32 v1, 16, v1
	v_cndmask_b32_e32 v3, 0x7fc0, v1, vcc_lo
.LBB207_944:
	s_cbranch_execnz .LBB207_955
.LBB207_945:
	s_sext_i32_i16 s3, s37
	s_delay_alu instid0(SALU_CYCLE_1)
	s_cmp_lt_i32 s3, 6
	s_cbranch_scc1 .LBB207_948
; %bb.946:
	s_cmp_gt_i32 s3, 6
	s_cbranch_scc0 .LBB207_949
; %bb.947:
	s_wait_loadcnt 0x0
	global_load_b64 v[0:1], v[4:5], off
	s_mov_b32 s3, 0
	s_wait_loadcnt 0x0
	v_cvt_f32_f64_e32 v0, v[0:1]
	s_delay_alu instid0(VALU_DEP_1) | instskip(SKIP_1) | instid1(VALU_DEP_2)
	v_bfe_u32 v1, v0, 16, 1
	v_cmp_o_f32_e32 vcc_lo, v0, v0
	v_add3_u32 v1, v0, v1, 0x7fff
	s_delay_alu instid0(VALU_DEP_1) | instskip(NEXT) | instid1(VALU_DEP_1)
	v_lshrrev_b32_e32 v1, 16, v1
	v_cndmask_b32_e32 v3, 0x7fc0, v1, vcc_lo
	s_branch .LBB207_950
.LBB207_948:
	s_mov_b32 s3, -1
                                        ; implicit-def: $vgpr3
	s_branch .LBB207_953
.LBB207_949:
	s_mov_b32 s3, -1
                                        ; implicit-def: $vgpr3
.LBB207_950:
	s_delay_alu instid0(SALU_CYCLE_1)
	s_and_not1_b32 vcc_lo, exec_lo, s3
	s_cbranch_vccnz .LBB207_952
; %bb.951:
	global_load_b32 v0, v[4:5], off
	s_wait_loadcnt 0x0
	v_bfe_u32 v1, v0, 16, 1
	v_cmp_o_f32_e32 vcc_lo, v0, v0
	s_delay_alu instid0(VALU_DEP_2) | instskip(NEXT) | instid1(VALU_DEP_1)
	v_add3_u32 v1, v0, v1, 0x7fff
	v_lshrrev_b32_e32 v1, 16, v1
	s_delay_alu instid0(VALU_DEP_1)
	v_cndmask_b32_e32 v3, 0x7fc0, v1, vcc_lo
.LBB207_952:
	s_mov_b32 s3, 0
.LBB207_953:
	s_delay_alu instid0(SALU_CYCLE_1)
	s_and_not1_b32 vcc_lo, exec_lo, s3
	s_cbranch_vccnz .LBB207_955
; %bb.954:
	global_load_u16 v0, v[4:5], off
	s_wait_loadcnt 0x0
	v_cvt_f32_f16_e32 v1, v0
	v_cmp_o_f16_e32 vcc_lo, v0, v0
	s_delay_alu instid0(VALU_DEP_2) | instskip(NEXT) | instid1(VALU_DEP_1)
	v_bfe_u32 v3, v1, 16, 1
	v_add3_u32 v1, v1, v3, 0x7fff
	s_delay_alu instid0(VALU_DEP_1) | instskip(NEXT) | instid1(VALU_DEP_1)
	v_lshrrev_b32_e32 v1, 16, v1
	v_cndmask_b32_e32 v3, 0x7fc0, v1, vcc_lo
.LBB207_955:
	s_cbranch_execnz .LBB207_974
.LBB207_956:
	s_sext_i32_i16 s3, s37
	s_delay_alu instid0(SALU_CYCLE_1)
	s_cmp_lt_i32 s3, 2
	s_cbranch_scc1 .LBB207_960
; %bb.957:
	s_cmp_lt_i32 s3, 3
	s_cbranch_scc1 .LBB207_961
; %bb.958:
	s_cmp_gt_i32 s3, 3
	s_cbranch_scc0 .LBB207_962
; %bb.959:
	s_wait_loadcnt 0x0
	global_load_b64 v[0:1], v[4:5], off
	s_mov_b32 s3, 0
	s_wait_loadcnt 0x0
	v_xor_b32_e32 v3, v0, v1
	v_cls_i32_e32 v6, v1
	s_delay_alu instid0(VALU_DEP_2) | instskip(NEXT) | instid1(VALU_DEP_1)
	v_ashrrev_i32_e32 v3, 31, v3
	v_add_nc_u32_e32 v3, 32, v3
	s_delay_alu instid0(VALU_DEP_1) | instskip(NEXT) | instid1(VALU_DEP_1)
	v_add_min_u32_e64 v3, v6, -1, v3
	v_lshlrev_b64_e32 v[0:1], v3, v[0:1]
	s_delay_alu instid0(VALU_DEP_1) | instskip(NEXT) | instid1(VALU_DEP_1)
	v_min_u32_e32 v0, 1, v0
	v_dual_sub_nc_u32 v1, 32, v3 :: v_dual_bitop2_b32 v0, v1, v0 bitop3:0x54
	s_delay_alu instid0(VALU_DEP_1) | instskip(NEXT) | instid1(VALU_DEP_1)
	v_cvt_f32_i32_e32 v0, v0
	v_ldexp_f32 v0, v0, v1
	s_delay_alu instid0(VALU_DEP_1) | instskip(NEXT) | instid1(VALU_DEP_1)
	v_bfe_u32 v1, v0, 16, 1
	v_add3_u32 v0, v0, v1, 0x7fff
	s_delay_alu instid0(VALU_DEP_1)
	v_lshrrev_b32_e32 v3, 16, v0
	s_branch .LBB207_963
.LBB207_960:
                                        ; implicit-def: $vgpr3
	s_branch .LBB207_969
.LBB207_961:
	s_mov_b32 s3, -1
                                        ; implicit-def: $vgpr3
	s_branch .LBB207_966
.LBB207_962:
	s_mov_b32 s3, -1
                                        ; implicit-def: $vgpr3
.LBB207_963:
	s_delay_alu instid0(SALU_CYCLE_1)
	s_and_not1_b32 vcc_lo, exec_lo, s3
	s_cbranch_vccnz .LBB207_965
; %bb.964:
	global_load_b32 v0, v[4:5], off
	s_wait_loadcnt 0x0
	v_cvt_f32_i32_e32 v0, v0
	s_delay_alu instid0(VALU_DEP_1) | instskip(NEXT) | instid1(VALU_DEP_1)
	v_bfe_u32 v1, v0, 16, 1
	v_add3_u32 v0, v0, v1, 0x7fff
	s_delay_alu instid0(VALU_DEP_1)
	v_lshrrev_b32_e32 v3, 16, v0
.LBB207_965:
	s_mov_b32 s3, 0
.LBB207_966:
	s_delay_alu instid0(SALU_CYCLE_1)
	s_and_not1_b32 vcc_lo, exec_lo, s3
	s_cbranch_vccnz .LBB207_968
; %bb.967:
	global_load_i16 v0, v[4:5], off
	s_wait_loadcnt 0x0
	v_cvt_f32_i32_e32 v0, v0
	s_delay_alu instid0(VALU_DEP_1) | instskip(NEXT) | instid1(VALU_DEP_1)
	v_bfe_u32 v1, v0, 16, 1
	v_add3_u32 v0, v0, v1, 0x7fff
	s_delay_alu instid0(VALU_DEP_1)
	v_lshrrev_b32_e32 v3, 16, v0
.LBB207_968:
	s_cbranch_execnz .LBB207_974
.LBB207_969:
	s_sext_i32_i16 s3, s37
	s_delay_alu instid0(SALU_CYCLE_1)
	s_cmp_gt_i32 s3, 0
	s_mov_b32 s3, 0
	s_cbranch_scc0 .LBB207_971
; %bb.970:
	global_load_i8 v0, v[4:5], off
	s_wait_loadcnt 0x0
	v_cvt_f32_i32_e32 v0, v0
	s_delay_alu instid0(VALU_DEP_1) | instskip(NEXT) | instid1(VALU_DEP_1)
	v_bfe_u32 v1, v0, 16, 1
	v_add3_u32 v0, v0, v1, 0x7fff
	s_delay_alu instid0(VALU_DEP_1)
	v_lshrrev_b32_e32 v3, 16, v0
	s_branch .LBB207_972
.LBB207_971:
	s_mov_b32 s3, -1
                                        ; implicit-def: $vgpr3
.LBB207_972:
	s_delay_alu instid0(SALU_CYCLE_1)
	s_and_not1_b32 vcc_lo, exec_lo, s3
	s_cbranch_vccnz .LBB207_974
; %bb.973:
	global_load_u8 v0, v[4:5], off
	s_wait_loadcnt 0x0
	v_cvt_f32_ubyte0_e32 v0, v0
	s_delay_alu instid0(VALU_DEP_1) | instskip(NEXT) | instid1(VALU_DEP_1)
	v_bfe_u32 v1, v0, 16, 1
	v_add3_u32 v0, v0, v1, 0x7fff
	s_delay_alu instid0(VALU_DEP_1)
	v_lshrrev_b32_e32 v3, 16, v0
.LBB207_974:
	s_or_b32 s16, s16, exec_lo
.LBB207_975:
	s_wait_xcnt 0x0
	s_or_b32 exec_lo, exec_lo, s2
	s_mov_b32 s8, 0
	s_mov_b32 s7, 0
                                        ; implicit-def: $sgpr2
                                        ; implicit-def: $sgpr3
                                        ; implicit-def: $vgpr0_vgpr1
	s_and_saveexec_b32 s6, s16
	s_cbranch_execz .LBB207_983
; %bb.976:
	s_wait_loadcnt 0x0
	v_dual_mov_b32 v3, 0 :: v_dual_lshlrev_b32 v0, 16, v3
	s_and_b32 s3, s18, 0xff
	s_delay_alu instid0(SALU_CYCLE_1) | instskip(NEXT) | instid1(VALU_DEP_1)
	s_cmp_lt_i32 s3, 11
	v_cmp_eq_f32_e32 vcc_lo, s9, v0
	v_cndmask_b32_e64 v1, 0, 1, vcc_lo
	v_cmp_neq_f32_e32 vcc_lo, s9, v0
	v_cndmask_b32_e64 v0, 0, 1, vcc_lo
	s_delay_alu instid0(VALU_DEP_1) | instskip(NEXT) | instid1(VALU_DEP_1)
	v_cndmask_b32_e64 v0, v0, v1, s0
	v_and_b32_e32 v4, 1, v0
	v_add_nc_u64_e32 v[0:1], s[4:5], v[2:3]
	s_delay_alu instid0(VALU_DEP_2)
	v_cmp_eq_u32_e64 s2, 1, v4
	s_cbranch_scc1 .LBB207_986
; %bb.977:
	s_and_b32 s4, 0xffff, s3
	s_mov_b32 s5, -1
	s_cmp_gt_i32 s4, 25
	s_mov_b32 s0, s42
	s_cbranch_scc0 .LBB207_1014
; %bb.978:
	s_cmp_gt_i32 s4, 28
	s_mov_b32 s0, s42
	s_cbranch_scc0 .LBB207_998
; %bb.979:
	s_cmp_gt_i32 s4, 43
	s_mov_b32 s0, s42
	s_cbranch_scc0 .LBB207_994
; %bb.980:
	s_cmp_gt_i32 s4, 45
	s_mov_b32 s0, s42
	s_cbranch_scc0 .LBB207_988
; %bb.981:
	s_cmp_eq_u32 s4, 46
	s_mov_b32 s0, -1
	s_cbranch_scc0 .LBB207_987
; %bb.982:
	v_cndmask_b32_e64 v2, 0, 1.0, s2
	s_mov_b32 s0, 0
	s_mov_b32 s5, 0
	s_delay_alu instid0(VALU_DEP_1) | instskip(NEXT) | instid1(VALU_DEP_1)
	v_bfe_u32 v3, v2, 16, 1
	v_add3_u32 v2, v2, v3, 0x7fff
	s_delay_alu instid0(VALU_DEP_1)
	v_lshrrev_b32_e32 v2, 16, v2
	global_store_b32 v[0:1], v2, off
	s_branch .LBB207_988
.LBB207_983:
	s_or_b32 exec_lo, exec_lo, s6
	s_and_saveexec_b32 s0, s42
	s_cbranch_execnz .LBB207_1056
.LBB207_984:
	s_or_b32 exec_lo, exec_lo, s0
	s_and_saveexec_b32 s0, s8
	s_delay_alu instid0(SALU_CYCLE_1)
	s_xor_b32 s0, exec_lo, s0
	s_cbranch_execz .LBB207_1057
.LBB207_985:
	v_cndmask_b32_e64 v2, 0, 1, s2
	s_wait_loadcnt 0x0
	global_store_b8 v[0:1], v2, off
	s_wait_xcnt 0x0
	s_or_b32 exec_lo, exec_lo, s0
	s_and_saveexec_b32 s0, s7
	s_delay_alu instid0(SALU_CYCLE_1)
	s_xor_b32 s0, exec_lo, s0
	s_cbranch_execz .LBB207_1095
	s_branch .LBB207_1058
.LBB207_986:
	s_mov_b32 s5, -1
	s_mov_b32 s0, s42
	s_branch .LBB207_1055
.LBB207_987:
	s_mov_b32 s5, 0
.LBB207_988:
	s_delay_alu instid0(SALU_CYCLE_1)
	s_and_b32 vcc_lo, exec_lo, s5
	s_cbranch_vccz .LBB207_993
; %bb.989:
	s_cmp_eq_u32 s4, 44
	s_mov_b32 s0, -1
	s_cbranch_scc0 .LBB207_993
; %bb.990:
	v_cndmask_b32_e64 v4, 0, 1.0, s2
	s_mov_b32 s5, exec_lo
	s_wait_xcnt 0x0
	s_delay_alu instid0(VALU_DEP_1) | instskip(NEXT) | instid1(VALU_DEP_1)
	v_dual_mov_b32 v3, 0xff :: v_dual_lshrrev_b32 v2, 23, v4
	v_cmpx_ne_u32_e32 0xff, v2
; %bb.991:
	v_and_b32_e32 v3, 0x400000, v4
	v_and_or_b32 v4, 0x3fffff, v4, v2
	s_delay_alu instid0(VALU_DEP_2) | instskip(NEXT) | instid1(VALU_DEP_2)
	v_cmp_ne_u32_e32 vcc_lo, 0, v3
	v_cmp_ne_u32_e64 s0, 0, v4
	s_and_b32 s0, vcc_lo, s0
	s_delay_alu instid0(SALU_CYCLE_1) | instskip(NEXT) | instid1(VALU_DEP_1)
	v_cndmask_b32_e64 v3, 0, 1, s0
	v_add_nc_u32_e32 v3, v2, v3
; %bb.992:
	s_or_b32 exec_lo, exec_lo, s5
	s_mov_b32 s0, 0
	global_store_b8 v[0:1], v3, off
.LBB207_993:
	s_mov_b32 s5, 0
.LBB207_994:
	s_delay_alu instid0(SALU_CYCLE_1)
	s_and_b32 vcc_lo, exec_lo, s5
	s_cbranch_vccz .LBB207_997
; %bb.995:
	s_cmp_eq_u32 s4, 29
	s_mov_b32 s0, -1
	s_cbranch_scc0 .LBB207_997
; %bb.996:
	s_mov_b32 s0, 0
	s_wait_xcnt 0x0
	v_cndmask_b32_e64 v2, 0, 1, s2
	v_mov_b32_e32 v3, s0
	s_mov_b32 s5, 0
	global_store_b64 v[0:1], v[2:3], off
	s_branch .LBB207_998
.LBB207_997:
	s_mov_b32 s5, 0
.LBB207_998:
	s_delay_alu instid0(SALU_CYCLE_1)
	s_and_b32 vcc_lo, exec_lo, s5
	s_cbranch_vccz .LBB207_1013
; %bb.999:
	s_cmp_lt_i32 s4, 27
	s_mov_b32 s5, -1
	s_cbranch_scc1 .LBB207_1005
; %bb.1000:
	s_cmp_gt_i32 s4, 27
	s_cbranch_scc0 .LBB207_1002
; %bb.1001:
	s_wait_xcnt 0x0
	v_cndmask_b32_e64 v2, 0, 1, s2
	s_mov_b32 s5, 0
	global_store_b32 v[0:1], v2, off
.LBB207_1002:
	s_and_not1_b32 vcc_lo, exec_lo, s5
	s_cbranch_vccnz .LBB207_1004
; %bb.1003:
	s_wait_xcnt 0x0
	v_cndmask_b32_e64 v2, 0, 1, s2
	global_store_b16 v[0:1], v2, off
.LBB207_1004:
	s_mov_b32 s5, 0
.LBB207_1005:
	s_delay_alu instid0(SALU_CYCLE_1)
	s_and_not1_b32 vcc_lo, exec_lo, s5
	s_cbranch_vccnz .LBB207_1013
; %bb.1006:
	s_wait_xcnt 0x0
	v_cndmask_b32_e64 v3, 0, 1.0, s2
	v_mov_b32_e32 v4, 0x80
	s_mov_b32 s5, exec_lo
	s_delay_alu instid0(VALU_DEP_2)
	v_cmpx_gt_u32_e32 0x43800000, v3
	s_cbranch_execz .LBB207_1012
; %bb.1007:
	s_mov_b32 s8, exec_lo
                                        ; implicit-def: $vgpr2
	v_cmpx_lt_u32_e32 0x3bffffff, v3
	s_xor_b32 s8, exec_lo, s8
	s_cbranch_execz .LBB207_1170
; %bb.1008:
	v_bfe_u32 v2, v3, 20, 1
	s_mov_b32 s7, exec_lo
	s_delay_alu instid0(VALU_DEP_1) | instskip(NEXT) | instid1(VALU_DEP_1)
	v_add3_u32 v2, v3, v2, 0x487ffff
                                        ; implicit-def: $vgpr3
	v_lshrrev_b32_e32 v2, 20, v2
	s_and_not1_saveexec_b32 s8, s8
	s_cbranch_execnz .LBB207_1171
.LBB207_1009:
	s_or_b32 exec_lo, exec_lo, s8
	v_mov_b32_e32 v4, 0
	s_and_saveexec_b32 s8, s7
.LBB207_1010:
	v_mov_b32_e32 v4, v2
.LBB207_1011:
	s_or_b32 exec_lo, exec_lo, s8
.LBB207_1012:
	s_delay_alu instid0(SALU_CYCLE_1)
	s_or_b32 exec_lo, exec_lo, s5
	global_store_b8 v[0:1], v4, off
.LBB207_1013:
	s_mov_b32 s5, 0
.LBB207_1014:
	s_delay_alu instid0(SALU_CYCLE_1)
	s_and_b32 vcc_lo, exec_lo, s5
	s_mov_b32 s5, 0
	s_cbranch_vccz .LBB207_1054
; %bb.1015:
	s_cmp_gt_i32 s4, 22
	s_mov_b32 s7, -1
	s_cbranch_scc0 .LBB207_1047
; %bb.1016:
	s_cmp_lt_i32 s4, 24
	s_cbranch_scc1 .LBB207_1036
; %bb.1017:
	s_cmp_gt_i32 s4, 24
	s_cbranch_scc0 .LBB207_1025
; %bb.1018:
	s_wait_xcnt 0x0
	v_cndmask_b32_e64 v3, 0, 1.0, s2
	v_mov_b32_e32 v4, 0x80
	s_mov_b32 s7, exec_lo
	s_delay_alu instid0(VALU_DEP_2)
	v_cmpx_gt_u32_e32 0x47800000, v3
	s_cbranch_execz .LBB207_1024
; %bb.1019:
	s_mov_b32 s8, 0
	s_mov_b32 s9, exec_lo
                                        ; implicit-def: $vgpr2
	v_cmpx_lt_u32_e32 0x37ffffff, v3
	s_xor_b32 s9, exec_lo, s9
	s_cbranch_execz .LBB207_1296
; %bb.1020:
	v_bfe_u32 v2, v3, 21, 1
	s_mov_b32 s8, exec_lo
	s_delay_alu instid0(VALU_DEP_1) | instskip(NEXT) | instid1(VALU_DEP_1)
	v_add3_u32 v2, v3, v2, 0x88fffff
                                        ; implicit-def: $vgpr3
	v_lshrrev_b32_e32 v2, 21, v2
	s_and_not1_saveexec_b32 s9, s9
	s_cbranch_execnz .LBB207_1297
.LBB207_1021:
	s_or_b32 exec_lo, exec_lo, s9
	v_mov_b32_e32 v4, 0
	s_and_saveexec_b32 s9, s8
.LBB207_1022:
	v_mov_b32_e32 v4, v2
.LBB207_1023:
	s_or_b32 exec_lo, exec_lo, s9
.LBB207_1024:
	s_delay_alu instid0(SALU_CYCLE_1)
	s_or_b32 exec_lo, exec_lo, s7
	s_mov_b32 s7, 0
	global_store_b8 v[0:1], v4, off
.LBB207_1025:
	s_and_b32 vcc_lo, exec_lo, s7
	s_cbranch_vccz .LBB207_1035
; %bb.1026:
	s_wait_xcnt 0x0
	v_cndmask_b32_e64 v3, 0, 1.0, s2
	s_mov_b32 s7, exec_lo
                                        ; implicit-def: $vgpr2
	s_delay_alu instid0(VALU_DEP_1)
	v_cmpx_gt_u32_e32 0x43f00000, v3
	s_xor_b32 s7, exec_lo, s7
	s_cbranch_execz .LBB207_1032
; %bb.1027:
	s_mov_b32 s8, exec_lo
                                        ; implicit-def: $vgpr2
	v_cmpx_lt_u32_e32 0x3c7fffff, v3
	s_xor_b32 s8, exec_lo, s8
; %bb.1028:
	v_bfe_u32 v2, v3, 20, 1
	s_delay_alu instid0(VALU_DEP_1) | instskip(NEXT) | instid1(VALU_DEP_1)
	v_add3_u32 v2, v3, v2, 0x407ffff
	v_and_b32_e32 v3, 0xff00000, v2
	v_lshrrev_b32_e32 v2, 20, v2
	s_delay_alu instid0(VALU_DEP_2) | instskip(NEXT) | instid1(VALU_DEP_2)
	v_cmp_ne_u32_e32 vcc_lo, 0x7f00000, v3
                                        ; implicit-def: $vgpr3
	v_cndmask_b32_e32 v2, 0x7e, v2, vcc_lo
; %bb.1029:
	s_and_not1_saveexec_b32 s8, s8
; %bb.1030:
	v_add_f32_e32 v2, 0x46800000, v3
; %bb.1031:
	s_or_b32 exec_lo, exec_lo, s8
                                        ; implicit-def: $vgpr3
.LBB207_1032:
	s_and_not1_saveexec_b32 s7, s7
; %bb.1033:
	v_mov_b32_e32 v2, 0x7f
	v_cmp_lt_u32_e32 vcc_lo, 0x7f800000, v3
	s_delay_alu instid0(VALU_DEP_2)
	v_cndmask_b32_e32 v2, 0x7e, v2, vcc_lo
; %bb.1034:
	s_or_b32 exec_lo, exec_lo, s7
	global_store_b8 v[0:1], v2, off
.LBB207_1035:
	s_mov_b32 s7, 0
.LBB207_1036:
	s_delay_alu instid0(SALU_CYCLE_1)
	s_and_not1_b32 vcc_lo, exec_lo, s7
	s_cbranch_vccnz .LBB207_1046
; %bb.1037:
	s_wait_xcnt 0x0
	v_cndmask_b32_e64 v3, 0, 1.0, s2
	s_mov_b32 s7, exec_lo
                                        ; implicit-def: $vgpr2
	s_delay_alu instid0(VALU_DEP_1)
	v_cmpx_gt_u32_e32 0x47800000, v3
	s_xor_b32 s7, exec_lo, s7
	s_cbranch_execz .LBB207_1043
; %bb.1038:
	s_mov_b32 s8, exec_lo
                                        ; implicit-def: $vgpr2
	v_cmpx_lt_u32_e32 0x387fffff, v3
	s_xor_b32 s8, exec_lo, s8
; %bb.1039:
	v_bfe_u32 v2, v3, 21, 1
	s_delay_alu instid0(VALU_DEP_1) | instskip(NEXT) | instid1(VALU_DEP_1)
	v_add3_u32 v2, v3, v2, 0x80fffff
                                        ; implicit-def: $vgpr3
	v_lshrrev_b32_e32 v2, 21, v2
; %bb.1040:
	s_and_not1_saveexec_b32 s8, s8
; %bb.1041:
	v_add_f32_e32 v2, 0x43000000, v3
; %bb.1042:
	s_or_b32 exec_lo, exec_lo, s8
                                        ; implicit-def: $vgpr3
.LBB207_1043:
	s_and_not1_saveexec_b32 s7, s7
; %bb.1044:
	v_mov_b32_e32 v2, 0x7f
	v_cmp_lt_u32_e32 vcc_lo, 0x7f800000, v3
	s_delay_alu instid0(VALU_DEP_2)
	v_cndmask_b32_e32 v2, 0x7c, v2, vcc_lo
; %bb.1045:
	s_or_b32 exec_lo, exec_lo, s7
	global_store_b8 v[0:1], v2, off
.LBB207_1046:
	s_mov_b32 s7, 0
.LBB207_1047:
	s_delay_alu instid0(SALU_CYCLE_1)
	s_and_not1_b32 vcc_lo, exec_lo, s7
	s_mov_b32 s8, 0
	s_cbranch_vccnz .LBB207_1055
; %bb.1048:
	s_cmp_gt_i32 s4, 14
	s_mov_b32 s7, -1
	s_cbranch_scc0 .LBB207_1052
; %bb.1049:
	s_cmp_eq_u32 s4, 15
	s_mov_b32 s0, -1
	s_cbranch_scc0 .LBB207_1051
; %bb.1050:
	s_wait_xcnt 0x0
	v_cndmask_b32_e64 v2, 0, 1.0, s2
	s_mov_b32 s0, 0
	s_delay_alu instid0(VALU_DEP_1) | instskip(NEXT) | instid1(VALU_DEP_1)
	v_bfe_u32 v3, v2, 16, 1
	v_add3_u32 v2, v2, v3, 0x7fff
	global_store_d16_hi_b16 v[0:1], v2, off
.LBB207_1051:
	s_mov_b32 s7, 0
.LBB207_1052:
	s_delay_alu instid0(SALU_CYCLE_1)
	s_and_b32 vcc_lo, exec_lo, s7
	s_cbranch_vccz .LBB207_1055
; %bb.1053:
	s_cmp_lg_u32 s4, 11
	s_mov_b32 s8, -1
	s_cselect_b32 s4, -1, 0
	s_and_not1_b32 s0, s0, exec_lo
	s_and_b32 s4, s4, exec_lo
	s_delay_alu instid0(SALU_CYCLE_1)
	s_or_b32 s0, s0, s4
	s_branch .LBB207_1055
.LBB207_1054:
	s_mov_b32 s8, 0
.LBB207_1055:
	s_and_not1_b32 s4, s42, exec_lo
	s_and_b32 s0, s0, exec_lo
	s_and_b32 s7, s5, exec_lo
	;; [unrolled: 1-line block ×3, first 2 shown]
	s_or_b32 s42, s4, s0
	s_wait_xcnt 0x0
	s_or_b32 exec_lo, exec_lo, s6
	s_and_saveexec_b32 s0, s42
	s_cbranch_execz .LBB207_984
.LBB207_1056:
	s_or_b32 s1, s1, exec_lo
	s_and_not1_b32 s8, s8, exec_lo
	s_trap 2
	s_or_b32 exec_lo, exec_lo, s0
	s_and_saveexec_b32 s0, s8
	s_delay_alu instid0(SALU_CYCLE_1)
	s_xor_b32 s0, exec_lo, s0
	s_cbranch_execnz .LBB207_985
.LBB207_1057:
	s_or_b32 exec_lo, exec_lo, s0
	s_and_saveexec_b32 s0, s7
	s_delay_alu instid0(SALU_CYCLE_1)
	s_xor_b32 s0, exec_lo, s0
	s_cbranch_execz .LBB207_1095
.LBB207_1058:
	s_sext_i32_i16 s5, s3
	s_mov_b32 s4, -1
	s_cmp_lt_i32 s5, 5
	s_cbranch_scc1 .LBB207_1079
; %bb.1059:
	s_cmp_lt_i32 s5, 8
	s_cbranch_scc1 .LBB207_1069
; %bb.1060:
	;; [unrolled: 3-line block ×3, first 2 shown]
	s_cmp_gt_i32 s5, 9
	s_cbranch_scc0 .LBB207_1063
; %bb.1062:
	v_cndmask_b32_e64 v2, 0, 1, s2
	v_mov_b32_e32 v4, 0
	s_mov_b32 s4, 0
	s_wait_loadcnt 0x0
	s_delay_alu instid0(VALU_DEP_2) | instskip(NEXT) | instid1(VALU_DEP_2)
	v_cvt_f64_u32_e32 v[2:3], v2
	v_mov_b32_e32 v5, v4
	global_store_b128 v[0:1], v[2:5], off
.LBB207_1063:
	s_and_not1_b32 vcc_lo, exec_lo, s4
	s_cbranch_vccnz .LBB207_1065
; %bb.1064:
	s_wait_xcnt 0x0
	v_cndmask_b32_e64 v2, 0, 1.0, s2
	s_wait_loadcnt 0x0
	v_mov_b32_e32 v3, 0
	global_store_b64 v[0:1], v[2:3], off
.LBB207_1065:
	s_mov_b32 s4, 0
.LBB207_1066:
	s_delay_alu instid0(SALU_CYCLE_1)
	s_and_not1_b32 vcc_lo, exec_lo, s4
	s_cbranch_vccnz .LBB207_1068
; %bb.1067:
	s_wait_xcnt 0x0
	v_cndmask_b32_e64 v2, 0, 1.0, s2
	s_delay_alu instid0(VALU_DEP_1) | instskip(NEXT) | instid1(VALU_DEP_1)
	v_cvt_f16_f32_e32 v2, v2
	v_and_b32_e32 v2, 0xffff, v2
	s_wait_loadcnt 0x0
	global_store_b32 v[0:1], v2, off
.LBB207_1068:
	s_mov_b32 s4, 0
.LBB207_1069:
	s_delay_alu instid0(SALU_CYCLE_1)
	s_and_not1_b32 vcc_lo, exec_lo, s4
	s_cbranch_vccnz .LBB207_1078
; %bb.1070:
	s_sext_i32_i16 s5, s3
	s_mov_b32 s4, -1
	s_cmp_lt_i32 s5, 6
	s_cbranch_scc1 .LBB207_1076
; %bb.1071:
	s_cmp_gt_i32 s5, 6
	s_cbranch_scc0 .LBB207_1073
; %bb.1072:
	s_wait_xcnt 0x0
	v_cndmask_b32_e64 v2, 0, 1, s2
	s_mov_b32 s4, 0
	s_wait_loadcnt 0x0
	s_delay_alu instid0(VALU_DEP_1)
	v_cvt_f64_u32_e32 v[2:3], v2
	global_store_b64 v[0:1], v[2:3], off
.LBB207_1073:
	s_and_not1_b32 vcc_lo, exec_lo, s4
	s_cbranch_vccnz .LBB207_1075
; %bb.1074:
	s_wait_xcnt 0x0
	v_cndmask_b32_e64 v2, 0, 1.0, s2
	s_wait_loadcnt 0x0
	global_store_b32 v[0:1], v2, off
.LBB207_1075:
	s_mov_b32 s4, 0
.LBB207_1076:
	s_delay_alu instid0(SALU_CYCLE_1)
	s_and_not1_b32 vcc_lo, exec_lo, s4
	s_cbranch_vccnz .LBB207_1078
; %bb.1077:
	s_wait_xcnt 0x0
	v_cndmask_b32_e64 v2, 0, 1.0, s2
	s_delay_alu instid0(VALU_DEP_1)
	v_cvt_f16_f32_e32 v2, v2
	s_wait_loadcnt 0x0
	global_store_b16 v[0:1], v2, off
.LBB207_1078:
	s_mov_b32 s4, 0
.LBB207_1079:
	s_delay_alu instid0(SALU_CYCLE_1)
	s_and_not1_b32 vcc_lo, exec_lo, s4
	s_cbranch_vccnz .LBB207_1095
; %bb.1080:
	s_sext_i32_i16 s5, s3
	s_mov_b32 s4, -1
	s_cmp_lt_i32 s5, 2
	s_cbranch_scc1 .LBB207_1090
; %bb.1081:
	s_cmp_lt_i32 s5, 3
	s_cbranch_scc1 .LBB207_1087
; %bb.1082:
	s_cmp_gt_i32 s5, 3
	s_cbranch_scc0 .LBB207_1084
; %bb.1083:
	s_mov_b32 s4, 0
	s_wait_xcnt 0x0
	v_cndmask_b32_e64 v2, 0, 1, s2
	s_wait_loadcnt 0x0
	v_mov_b32_e32 v3, s4
	global_store_b64 v[0:1], v[2:3], off
.LBB207_1084:
	s_and_not1_b32 vcc_lo, exec_lo, s4
	s_cbranch_vccnz .LBB207_1086
; %bb.1085:
	s_wait_xcnt 0x0
	v_cndmask_b32_e64 v2, 0, 1, s2
	s_wait_loadcnt 0x0
	global_store_b32 v[0:1], v2, off
.LBB207_1086:
	s_mov_b32 s4, 0
.LBB207_1087:
	s_delay_alu instid0(SALU_CYCLE_1)
	s_and_not1_b32 vcc_lo, exec_lo, s4
	s_cbranch_vccnz .LBB207_1089
; %bb.1088:
	s_wait_xcnt 0x0
	v_cndmask_b32_e64 v2, 0, 1, s2
	s_wait_loadcnt 0x0
	global_store_b16 v[0:1], v2, off
.LBB207_1089:
	s_mov_b32 s4, 0
.LBB207_1090:
	s_delay_alu instid0(SALU_CYCLE_1)
	s_and_not1_b32 vcc_lo, exec_lo, s4
	s_cbranch_vccnz .LBB207_1095
; %bb.1091:
	s_sext_i32_i16 s3, s3
	s_delay_alu instid0(SALU_CYCLE_1)
	s_cmp_gt_i32 s3, 0
	s_mov_b32 s3, -1
	s_cbranch_scc0 .LBB207_1093
; %bb.1092:
	s_wait_xcnt 0x0
	v_cndmask_b32_e64 v2, 0, 1, s2
	s_mov_b32 s3, 0
	s_wait_loadcnt 0x0
	global_store_b8 v[0:1], v2, off
.LBB207_1093:
	s_and_not1_b32 vcc_lo, exec_lo, s3
	s_cbranch_vccnz .LBB207_1095
; %bb.1094:
	s_wait_xcnt 0x0
	v_cndmask_b32_e64 v2, 0, 1, s2
	s_wait_loadcnt 0x0
	global_store_b8 v[0:1], v2, off
.LBB207_1095:
	s_wait_xcnt 0x0
	s_or_b32 exec_lo, exec_lo, s0
	s_delay_alu instid0(SALU_CYCLE_1)
	s_and_b32 s8, s1, exec_lo
                                        ; implicit-def: $vgpr9
                                        ; implicit-def: $vgpr0
.LBB207_1096:
	s_or_saveexec_b32 s9, s36
	s_mov_b32 s0, 0
                                        ; implicit-def: $sgpr1
                                        ; implicit-def: $vgpr2_vgpr3
                                        ; implicit-def: $sgpr6
	s_xor_b32 exec_lo, exec_lo, s9
	s_cbranch_execz .LBB207_2107
; %bb.1097:
	s_wait_loadcnt 0x0
	v_cndmask_b32_e64 v1, 0, 1, s35
	s_and_not1_b32 vcc_lo, exec_lo, s35
	s_cbranch_vccnz .LBB207_1103
; %bb.1098:
	s_cmp_lg_u32 s19, 0
	s_mov_b32 s6, 0
	s_cbranch_scc0 .LBB207_1104
; %bb.1099:
	s_min_u32 s1, s33, 15
	s_delay_alu instid0(SALU_CYCLE_1)
	s_add_co_i32 s1, s1, 1
	s_cmp_eq_u32 s33, 2
	s_cbranch_scc1 .LBB207_1105
; %bb.1100:
	v_dual_mov_b32 v6, 0 :: v_dual_mov_b32 v14, 0
	v_mov_b32_e32 v2, v0
	s_and_b32 s0, s1, 28
	s_add_nc_u64 s[2:3], s[20:21], 0xc4
	s_mov_b32 s7, 0
	s_mov_b64 s[4:5], s[20:21]
.LBB207_1101:                           ; =>This Inner Loop Header: Depth=1
	s_clause 0x1
	s_load_b256 s[24:31], s[4:5], 0x4
	s_load_b128 s[12:15], s[4:5], 0x24
	s_load_b256 s[36:43], s[2:3], 0x0
	s_add_co_i32 s7, s7, 4
	s_wait_xcnt 0x0
	s_add_nc_u64 s[4:5], s[4:5], 48
	s_cmp_lg_u32 s0, s7
	s_add_nc_u64 s[2:3], s[2:3], 32
	s_wait_kmcnt 0x0
	v_mul_hi_u32 v3, s25, v2
	s_delay_alu instid0(VALU_DEP_1) | instskip(NEXT) | instid1(VALU_DEP_1)
	v_add_nc_u32_e32 v3, v2, v3
	v_lshrrev_b32_e32 v3, s26, v3
	s_delay_alu instid0(VALU_DEP_1) | instskip(NEXT) | instid1(VALU_DEP_1)
	v_mul_hi_u32 v4, s28, v3
	v_add_nc_u32_e32 v4, v3, v4
	s_delay_alu instid0(VALU_DEP_1) | instskip(NEXT) | instid1(VALU_DEP_1)
	v_lshrrev_b32_e32 v4, s29, v4
	v_mul_hi_u32 v5, s31, v4
	s_delay_alu instid0(VALU_DEP_1) | instskip(SKIP_1) | instid1(VALU_DEP_1)
	v_add_nc_u32_e32 v5, v4, v5
	v_mul_lo_u32 v7, v3, s24
	v_sub_nc_u32_e32 v2, v2, v7
	v_mul_lo_u32 v7, v4, s27
	s_delay_alu instid0(VALU_DEP_4) | instskip(NEXT) | instid1(VALU_DEP_3)
	v_lshrrev_b32_e32 v5, s12, v5
	v_mad_u32 v10, v2, s37, v14
	v_mad_u32 v2, v2, s36, v6
	s_delay_alu instid0(VALU_DEP_4) | instskip(NEXT) | instid1(VALU_DEP_4)
	v_sub_nc_u32_e32 v3, v3, v7
	v_mul_hi_u32 v8, s14, v5
	v_mul_lo_u32 v6, v5, s30
	s_delay_alu instid0(VALU_DEP_1) | instskip(NEXT) | instid1(VALU_DEP_4)
	v_dual_add_nc_u32 v7, v5, v8 :: v_dual_sub_nc_u32 v4, v4, v6
	v_mad_u32 v8, v3, s39, v10
	v_mad_u32 v3, v3, s38, v2
	s_delay_alu instid0(VALU_DEP_3) | instskip(NEXT) | instid1(VALU_DEP_1)
	v_lshrrev_b32_e32 v2, s15, v7
	v_mul_lo_u32 v6, v2, s13
	s_delay_alu instid0(VALU_DEP_4) | instskip(NEXT) | instid1(VALU_DEP_4)
	v_mad_u32 v7, v4, s41, v8
	v_mad_u32 v3, v4, s40, v3
	s_delay_alu instid0(VALU_DEP_3) | instskip(NEXT) | instid1(VALU_DEP_1)
	v_sub_nc_u32_e32 v4, v5, v6
	v_mad_u32 v14, v4, s43, v7
	s_delay_alu instid0(VALU_DEP_3)
	v_mad_u32 v6, v4, s42, v3
	s_cbranch_scc1 .LBB207_1101
; %bb.1102:
	s_delay_alu instid0(VALU_DEP_2)
	v_mov_b32_e32 v7, v14
	s_and_b32 s4, s1, 3
	s_mov_b32 s1, 0
	s_cmp_eq_u32 s4, 0
	s_cbranch_scc0 .LBB207_1106
	s_branch .LBB207_1109
.LBB207_1103:
	s_mov_b32 s6, -1
                                        ; implicit-def: $vgpr14
                                        ; implicit-def: $vgpr6
	s_branch .LBB207_1109
.LBB207_1104:
	v_dual_mov_b32 v14, 0 :: v_dual_mov_b32 v6, 0
	s_branch .LBB207_1109
.LBB207_1105:
	v_mov_b64_e32 v[6:7], 0
	v_mov_b32_e32 v2, v0
                                        ; implicit-def: $vgpr14
	s_and_b32 s4, s1, 3
	s_mov_b32 s1, 0
	s_cmp_eq_u32 s4, 0
	s_cbranch_scc1 .LBB207_1109
.LBB207_1106:
	s_lshl_b32 s2, s0, 3
	s_mov_b32 s3, s1
	s_mul_u64 s[10:11], s[0:1], 12
	s_add_nc_u64 s[2:3], s[20:21], s[2:3]
	s_delay_alu instid0(SALU_CYCLE_1)
	s_add_nc_u64 s[0:1], s[2:3], 0xc4
	s_add_nc_u64 s[2:3], s[20:21], s[10:11]
.LBB207_1107:                           ; =>This Inner Loop Header: Depth=1
	s_load_b96 s[12:14], s[2:3], 0x4
	s_load_b64 s[10:11], s[0:1], 0x0
	s_add_co_i32 s4, s4, -1
	s_wait_xcnt 0x0
	s_add_nc_u64 s[2:3], s[2:3], 12
	s_cmp_lg_u32 s4, 0
	s_add_nc_u64 s[0:1], s[0:1], 8
	s_wait_kmcnt 0x0
	v_mul_hi_u32 v3, s13, v2
	s_delay_alu instid0(VALU_DEP_1) | instskip(NEXT) | instid1(VALU_DEP_1)
	v_add_nc_u32_e32 v3, v2, v3
	v_lshrrev_b32_e32 v3, s14, v3
	s_delay_alu instid0(VALU_DEP_1) | instskip(NEXT) | instid1(VALU_DEP_1)
	v_mul_lo_u32 v4, v3, s12
	v_sub_nc_u32_e32 v2, v2, v4
	s_delay_alu instid0(VALU_DEP_1)
	v_mad_u32 v7, v2, s11, v7
	v_mad_u32 v6, v2, s10, v6
	v_mov_b32_e32 v2, v3
	s_cbranch_scc1 .LBB207_1107
; %bb.1108:
	s_delay_alu instid0(VALU_DEP_3)
	v_mov_b32_e32 v14, v7
.LBB207_1109:
	s_and_not1_b32 vcc_lo, exec_lo, s6
	s_cbranch_vccnz .LBB207_1112
; %bb.1110:
	s_clause 0x1
	s_load_b96 s[0:2], s[20:21], 0x4
	s_load_b64 s[4:5], s[20:21], 0xc4
	s_cmp_lt_u32 s19, 2
	s_wait_kmcnt 0x0
	v_mul_hi_u32 v2, s1, v0
	s_delay_alu instid0(VALU_DEP_1) | instskip(NEXT) | instid1(VALU_DEP_1)
	v_add_nc_u32_e32 v2, v0, v2
	v_lshrrev_b32_e32 v2, s2, v2
	s_delay_alu instid0(VALU_DEP_1) | instskip(NEXT) | instid1(VALU_DEP_1)
	v_mul_lo_u32 v3, v2, s0
	v_sub_nc_u32_e32 v3, v0, v3
	s_delay_alu instid0(VALU_DEP_1)
	v_mul_lo_u32 v14, v3, s5
	v_mul_lo_u32 v6, v3, s4
	s_cbranch_scc1 .LBB207_1112
; %bb.1111:
	s_clause 0x1
	s_load_b96 s[0:2], s[20:21], 0x10
	s_load_b64 s[4:5], s[20:21], 0xcc
	s_wait_kmcnt 0x0
	v_mul_hi_u32 v3, s1, v2
	s_delay_alu instid0(VALU_DEP_1) | instskip(NEXT) | instid1(VALU_DEP_1)
	v_add_nc_u32_e32 v3, v2, v3
	v_lshrrev_b32_e32 v3, s2, v3
	s_delay_alu instid0(VALU_DEP_1) | instskip(NEXT) | instid1(VALU_DEP_1)
	v_mul_lo_u32 v3, v3, s0
	v_sub_nc_u32_e32 v2, v2, v3
	s_delay_alu instid0(VALU_DEP_1)
	v_mad_u32 v6, v2, s4, v6
	v_mad_u32 v14, v2, s5, v14
.LBB207_1112:
	v_cmp_ne_u32_e32 vcc_lo, 1, v1
	v_add_nc_u32_e32 v2, 0x80, v0
	s_cbranch_vccnz .LBB207_1118
; %bb.1113:
	s_cmp_lg_u32 s19, 0
	s_mov_b32 s6, 0
	s_cbranch_scc0 .LBB207_1119
; %bb.1114:
	s_min_u32 s1, s33, 15
	s_delay_alu instid0(SALU_CYCLE_1)
	s_add_co_i32 s1, s1, 1
	s_cmp_eq_u32 s33, 2
	s_cbranch_scc1 .LBB207_1120
; %bb.1115:
	v_dual_mov_b32 v4, 0 :: v_dual_mov_b32 v12, 0
	v_mov_b32_e32 v3, v2
	s_and_b32 s0, s1, 28
	s_add_nc_u64 s[2:3], s[20:21], 0xc4
	s_mov_b32 s7, 0
	s_mov_b64 s[4:5], s[20:21]
.LBB207_1116:                           ; =>This Inner Loop Header: Depth=1
	s_clause 0x1
	s_load_b256 s[24:31], s[4:5], 0x4
	s_load_b128 s[12:15], s[4:5], 0x24
	s_load_b256 s[36:43], s[2:3], 0x0
	s_add_co_i32 s7, s7, 4
	s_wait_xcnt 0x0
	s_add_nc_u64 s[4:5], s[4:5], 48
	s_cmp_lg_u32 s0, s7
	s_add_nc_u64 s[2:3], s[2:3], 32
	s_wait_kmcnt 0x0
	v_mul_hi_u32 v5, s25, v3
	s_delay_alu instid0(VALU_DEP_1) | instskip(NEXT) | instid1(VALU_DEP_1)
	v_add_nc_u32_e32 v5, v3, v5
	v_lshrrev_b32_e32 v5, s26, v5
	s_delay_alu instid0(VALU_DEP_1) | instskip(NEXT) | instid1(VALU_DEP_1)
	v_mul_hi_u32 v7, s28, v5
	v_add_nc_u32_e32 v7, v5, v7
	s_delay_alu instid0(VALU_DEP_1) | instskip(NEXT) | instid1(VALU_DEP_1)
	v_lshrrev_b32_e32 v7, s29, v7
	v_mul_hi_u32 v8, s31, v7
	s_delay_alu instid0(VALU_DEP_1) | instskip(SKIP_1) | instid1(VALU_DEP_1)
	v_add_nc_u32_e32 v8, v7, v8
	v_mul_lo_u32 v10, v5, s24
	v_sub_nc_u32_e32 v3, v3, v10
	v_mul_lo_u32 v10, v7, s27
	s_delay_alu instid0(VALU_DEP_4) | instskip(NEXT) | instid1(VALU_DEP_3)
	v_lshrrev_b32_e32 v8, s12, v8
	v_mad_u32 v12, v3, s37, v12
	v_mad_u32 v3, v3, s36, v4
	s_delay_alu instid0(VALU_DEP_4) | instskip(NEXT) | instid1(VALU_DEP_4)
	v_sub_nc_u32_e32 v4, v5, v10
	v_mul_hi_u32 v11, s14, v8
	v_mul_lo_u32 v5, v8, s30
	s_delay_alu instid0(VALU_DEP_1) | instskip(NEXT) | instid1(VALU_DEP_4)
	v_dual_add_nc_u32 v10, v8, v11 :: v_dual_sub_nc_u32 v5, v7, v5
	v_mad_u32 v11, v4, s39, v12
	v_mad_u32 v4, v4, s38, v3
	s_delay_alu instid0(VALU_DEP_3) | instskip(NEXT) | instid1(VALU_DEP_1)
	v_lshrrev_b32_e32 v3, s15, v10
	v_mul_lo_u32 v7, v3, s13
	s_delay_alu instid0(VALU_DEP_4) | instskip(NEXT) | instid1(VALU_DEP_4)
	v_mad_u32 v10, v5, s41, v11
	v_mad_u32 v4, v5, s40, v4
	s_delay_alu instid0(VALU_DEP_3) | instskip(NEXT) | instid1(VALU_DEP_1)
	v_sub_nc_u32_e32 v5, v8, v7
	v_mad_u32 v12, v5, s43, v10
	s_delay_alu instid0(VALU_DEP_3)
	v_mad_u32 v4, v5, s42, v4
	s_cbranch_scc1 .LBB207_1116
; %bb.1117:
	s_delay_alu instid0(VALU_DEP_2)
	v_mov_b32_e32 v5, v12
	s_and_b32 s4, s1, 3
	s_mov_b32 s1, 0
	s_cmp_eq_u32 s4, 0
	s_cbranch_scc0 .LBB207_1121
	s_branch .LBB207_1124
.LBB207_1118:
	s_mov_b32 s6, -1
                                        ; implicit-def: $vgpr12
                                        ; implicit-def: $vgpr4
	s_branch .LBB207_1124
.LBB207_1119:
	v_dual_mov_b32 v12, 0 :: v_dual_mov_b32 v4, 0
	s_branch .LBB207_1124
.LBB207_1120:
	v_mov_b64_e32 v[4:5], 0
	v_mov_b32_e32 v3, v2
	s_mov_b32 s0, 0
                                        ; implicit-def: $vgpr12
	s_and_b32 s4, s1, 3
	s_mov_b32 s1, 0
	s_cmp_eq_u32 s4, 0
	s_cbranch_scc1 .LBB207_1124
.LBB207_1121:
	s_lshl_b32 s2, s0, 3
	s_mov_b32 s3, s1
	s_mul_u64 s[10:11], s[0:1], 12
	s_add_nc_u64 s[2:3], s[20:21], s[2:3]
	s_delay_alu instid0(SALU_CYCLE_1)
	s_add_nc_u64 s[0:1], s[2:3], 0xc4
	s_add_nc_u64 s[2:3], s[20:21], s[10:11]
.LBB207_1122:                           ; =>This Inner Loop Header: Depth=1
	s_load_b96 s[12:14], s[2:3], 0x4
	s_load_b64 s[10:11], s[0:1], 0x0
	s_add_co_i32 s4, s4, -1
	s_wait_xcnt 0x0
	s_add_nc_u64 s[2:3], s[2:3], 12
	s_cmp_lg_u32 s4, 0
	s_add_nc_u64 s[0:1], s[0:1], 8
	s_wait_kmcnt 0x0
	v_mul_hi_u32 v7, s13, v3
	s_delay_alu instid0(VALU_DEP_1) | instskip(NEXT) | instid1(VALU_DEP_1)
	v_add_nc_u32_e32 v7, v3, v7
	v_lshrrev_b32_e32 v7, s14, v7
	s_delay_alu instid0(VALU_DEP_1) | instskip(NEXT) | instid1(VALU_DEP_1)
	v_mul_lo_u32 v8, v7, s12
	v_sub_nc_u32_e32 v3, v3, v8
	s_delay_alu instid0(VALU_DEP_1)
	v_mad_u32 v5, v3, s11, v5
	v_mad_u32 v4, v3, s10, v4
	v_mov_b32_e32 v3, v7
	s_cbranch_scc1 .LBB207_1122
; %bb.1123:
	s_delay_alu instid0(VALU_DEP_3)
	v_mov_b32_e32 v12, v5
.LBB207_1124:
	s_and_not1_b32 vcc_lo, exec_lo, s6
	s_cbranch_vccnz .LBB207_1127
; %bb.1125:
	s_clause 0x1
	s_load_b96 s[0:2], s[20:21], 0x4
	s_load_b64 s[4:5], s[20:21], 0xc4
	s_cmp_lt_u32 s19, 2
	s_wait_kmcnt 0x0
	v_mul_hi_u32 v3, s1, v2
	s_delay_alu instid0(VALU_DEP_1) | instskip(NEXT) | instid1(VALU_DEP_1)
	v_add_nc_u32_e32 v3, v2, v3
	v_lshrrev_b32_e32 v3, s2, v3
	s_delay_alu instid0(VALU_DEP_1) | instskip(NEXT) | instid1(VALU_DEP_1)
	v_mul_lo_u32 v4, v3, s0
	v_sub_nc_u32_e32 v2, v2, v4
	s_delay_alu instid0(VALU_DEP_1)
	v_mul_lo_u32 v12, v2, s5
	v_mul_lo_u32 v4, v2, s4
	s_cbranch_scc1 .LBB207_1127
; %bb.1126:
	s_clause 0x1
	s_load_b96 s[0:2], s[20:21], 0x10
	s_load_b64 s[4:5], s[20:21], 0xcc
	s_wait_kmcnt 0x0
	v_mul_hi_u32 v2, s1, v3
	s_delay_alu instid0(VALU_DEP_1) | instskip(NEXT) | instid1(VALU_DEP_1)
	v_add_nc_u32_e32 v2, v3, v2
	v_lshrrev_b32_e32 v2, s2, v2
	s_delay_alu instid0(VALU_DEP_1) | instskip(NEXT) | instid1(VALU_DEP_1)
	v_mul_lo_u32 v2, v2, s0
	v_sub_nc_u32_e32 v2, v3, v2
	s_delay_alu instid0(VALU_DEP_1)
	v_mad_u32 v4, v2, s4, v4
	v_mad_u32 v12, v2, s5, v12
.LBB207_1127:
	v_cmp_ne_u32_e32 vcc_lo, 1, v1
	v_add_nc_u32_e32 v0, 0x100, v0
	s_cbranch_vccnz .LBB207_1133
; %bb.1128:
	s_cmp_lg_u32 s19, 0
	s_mov_b32 s6, 0
	s_cbranch_scc0 .LBB207_1134
; %bb.1129:
	s_min_u32 s1, s33, 15
	s_delay_alu instid0(SALU_CYCLE_1)
	s_add_co_i32 s1, s1, 1
	s_cmp_eq_u32 s33, 2
	s_cbranch_scc1 .LBB207_1135
; %bb.1130:
	v_dual_mov_b32 v2, 0 :: v_dual_mov_b32 v10, 0
	v_mov_b32_e32 v5, v0
	s_and_b32 s0, s1, 28
	s_add_nc_u64 s[2:3], s[20:21], 0xc4
	s_mov_b32 s7, 0
	s_mov_b64 s[4:5], s[20:21]
.LBB207_1131:                           ; =>This Inner Loop Header: Depth=1
	s_clause 0x1
	s_load_b256 s[24:31], s[4:5], 0x4
	s_load_b128 s[12:15], s[4:5], 0x24
	s_load_b256 s[36:43], s[2:3], 0x0
	s_add_co_i32 s7, s7, 4
	s_wait_xcnt 0x0
	s_add_nc_u64 s[4:5], s[4:5], 48
	s_cmp_lg_u32 s0, s7
	s_add_nc_u64 s[2:3], s[2:3], 32
	s_wait_kmcnt 0x0
	v_mul_hi_u32 v3, s25, v5
	s_delay_alu instid0(VALU_DEP_1) | instskip(NEXT) | instid1(VALU_DEP_1)
	v_add_nc_u32_e32 v3, v5, v3
	v_lshrrev_b32_e32 v3, s26, v3
	s_delay_alu instid0(VALU_DEP_1) | instskip(NEXT) | instid1(VALU_DEP_1)
	v_mul_hi_u32 v7, s28, v3
	v_add_nc_u32_e32 v7, v3, v7
	s_delay_alu instid0(VALU_DEP_1) | instskip(NEXT) | instid1(VALU_DEP_1)
	v_lshrrev_b32_e32 v7, s29, v7
	v_mul_hi_u32 v8, s31, v7
	s_delay_alu instid0(VALU_DEP_1) | instskip(NEXT) | instid1(VALU_DEP_1)
	v_add_nc_u32_e32 v8, v7, v8
	v_lshrrev_b32_e32 v8, s12, v8
	v_mul_lo_u32 v11, v3, s24
	s_delay_alu instid0(VALU_DEP_2) | instskip(NEXT) | instid1(VALU_DEP_2)
	v_mul_hi_u32 v13, s14, v8
	v_sub_nc_u32_e32 v5, v5, v11
	s_delay_alu instid0(VALU_DEP_1) | instskip(SKIP_1) | instid1(VALU_DEP_4)
	v_mad_u32 v10, v5, s37, v10
	v_mad_u32 v2, v5, s36, v2
	v_add_nc_u32_e32 v5, v8, v13
	s_delay_alu instid0(VALU_DEP_1) | instskip(SKIP_1) | instid1(VALU_DEP_1)
	v_lshrrev_b32_e32 v5, s15, v5
	v_mul_lo_u32 v11, v7, s27
	v_sub_nc_u32_e32 v3, v3, v11
	v_mul_lo_u32 v11, v8, s30
	s_delay_alu instid0(VALU_DEP_2) | instskip(SKIP_1) | instid1(VALU_DEP_3)
	v_mad_u32 v10, v3, s39, v10
	v_mad_u32 v2, v3, s38, v2
	v_sub_nc_u32_e32 v3, v7, v11
	v_mul_lo_u32 v7, v5, s13
	s_delay_alu instid0(VALU_DEP_2) | instskip(NEXT) | instid1(VALU_DEP_4)
	v_mad_u32 v10, v3, s41, v10
	v_mad_u32 v2, v3, s40, v2
	s_delay_alu instid0(VALU_DEP_3) | instskip(NEXT) | instid1(VALU_DEP_1)
	v_sub_nc_u32_e32 v3, v8, v7
	v_mad_u32 v10, v3, s43, v10
	s_delay_alu instid0(VALU_DEP_3)
	v_mad_u32 v2, v3, s42, v2
	s_cbranch_scc1 .LBB207_1131
; %bb.1132:
	s_delay_alu instid0(VALU_DEP_2)
	v_mov_b32_e32 v3, v10
	s_and_b32 s4, s1, 3
	s_mov_b32 s1, 0
	s_cmp_eq_u32 s4, 0
	s_cbranch_scc0 .LBB207_1136
	s_branch .LBB207_1139
.LBB207_1133:
	s_mov_b32 s6, -1
                                        ; implicit-def: $vgpr10
                                        ; implicit-def: $vgpr2
	s_branch .LBB207_1139
.LBB207_1134:
	v_dual_mov_b32 v10, 0 :: v_dual_mov_b32 v2, 0
	s_branch .LBB207_1139
.LBB207_1135:
	v_mov_b64_e32 v[2:3], 0
	v_mov_b32_e32 v5, v0
	s_mov_b32 s0, 0
                                        ; implicit-def: $vgpr10
	s_and_b32 s4, s1, 3
	s_mov_b32 s1, 0
	s_cmp_eq_u32 s4, 0
	s_cbranch_scc1 .LBB207_1139
.LBB207_1136:
	s_lshl_b32 s2, s0, 3
	s_mov_b32 s3, s1
	s_mul_u64 s[10:11], s[0:1], 12
	s_add_nc_u64 s[2:3], s[20:21], s[2:3]
	s_delay_alu instid0(SALU_CYCLE_1)
	s_add_nc_u64 s[0:1], s[2:3], 0xc4
	s_add_nc_u64 s[2:3], s[20:21], s[10:11]
.LBB207_1137:                           ; =>This Inner Loop Header: Depth=1
	s_load_b96 s[12:14], s[2:3], 0x4
	s_load_b64 s[10:11], s[0:1], 0x0
	s_add_co_i32 s4, s4, -1
	s_wait_xcnt 0x0
	s_add_nc_u64 s[2:3], s[2:3], 12
	s_cmp_lg_u32 s4, 0
	s_add_nc_u64 s[0:1], s[0:1], 8
	s_wait_kmcnt 0x0
	v_mul_hi_u32 v7, s13, v5
	s_delay_alu instid0(VALU_DEP_1) | instskip(NEXT) | instid1(VALU_DEP_1)
	v_add_nc_u32_e32 v7, v5, v7
	v_lshrrev_b32_e32 v7, s14, v7
	s_delay_alu instid0(VALU_DEP_1) | instskip(NEXT) | instid1(VALU_DEP_1)
	v_mul_lo_u32 v8, v7, s12
	v_sub_nc_u32_e32 v5, v5, v8
	s_delay_alu instid0(VALU_DEP_1)
	v_mad_u32 v3, v5, s11, v3
	v_mad_u32 v2, v5, s10, v2
	v_mov_b32_e32 v5, v7
	s_cbranch_scc1 .LBB207_1137
; %bb.1138:
	s_delay_alu instid0(VALU_DEP_3)
	v_mov_b32_e32 v10, v3
.LBB207_1139:
	s_and_not1_b32 vcc_lo, exec_lo, s6
	s_cbranch_vccnz .LBB207_1142
; %bb.1140:
	s_clause 0x1
	s_load_b96 s[0:2], s[20:21], 0x4
	s_load_b64 s[4:5], s[20:21], 0xc4
	s_cmp_lt_u32 s19, 2
	s_wait_kmcnt 0x0
	v_mul_hi_u32 v2, s1, v0
	s_delay_alu instid0(VALU_DEP_1) | instskip(NEXT) | instid1(VALU_DEP_1)
	v_add_nc_u32_e32 v2, v0, v2
	v_lshrrev_b32_e32 v3, s2, v2
	s_delay_alu instid0(VALU_DEP_1) | instskip(NEXT) | instid1(VALU_DEP_1)
	v_mul_lo_u32 v2, v3, s0
	v_sub_nc_u32_e32 v0, v0, v2
	s_delay_alu instid0(VALU_DEP_1)
	v_mul_lo_u32 v10, v0, s5
	v_mul_lo_u32 v2, v0, s4
	s_cbranch_scc1 .LBB207_1142
; %bb.1141:
	s_clause 0x1
	s_load_b96 s[0:2], s[20:21], 0x10
	s_load_b64 s[4:5], s[20:21], 0xcc
	s_wait_kmcnt 0x0
	v_mul_hi_u32 v0, s1, v3
	s_delay_alu instid0(VALU_DEP_1) | instskip(NEXT) | instid1(VALU_DEP_1)
	v_add_nc_u32_e32 v0, v3, v0
	v_lshrrev_b32_e32 v0, s2, v0
	s_delay_alu instid0(VALU_DEP_1) | instskip(NEXT) | instid1(VALU_DEP_1)
	v_mul_lo_u32 v0, v0, s0
	v_sub_nc_u32_e32 v0, v3, v0
	s_delay_alu instid0(VALU_DEP_1)
	v_mad_u32 v2, v0, s4, v2
	v_mad_u32 v10, v0, s5, v10
.LBB207_1142:
	v_cmp_ne_u32_e32 vcc_lo, 1, v1
	s_cbranch_vccnz .LBB207_1148
; %bb.1143:
	s_cmp_lg_u32 s19, 0
	s_mov_b32 s6, 0
	s_cbranch_scc0 .LBB207_1149
; %bb.1144:
	s_min_u32 s1, s33, 15
	s_delay_alu instid0(SALU_CYCLE_1)
	s_add_co_i32 s1, s1, 1
	s_cmp_eq_u32 s33, 2
	s_cbranch_scc1 .LBB207_1150
; %bb.1145:
	v_dual_mov_b32 v0, 0 :: v_dual_mov_b32 v8, 0
	v_mov_b32_e32 v3, v9
	s_and_b32 s0, s1, 28
	s_add_nc_u64 s[2:3], s[20:21], 0xc4
	s_mov_b32 s7, 0
	s_mov_b64 s[4:5], s[20:21]
.LBB207_1146:                           ; =>This Inner Loop Header: Depth=1
	s_clause 0x1
	s_load_b256 s[24:31], s[4:5], 0x4
	s_load_b128 s[12:15], s[4:5], 0x24
	s_load_b256 s[36:43], s[2:3], 0x0
	s_add_co_i32 s7, s7, 4
	s_wait_xcnt 0x0
	s_add_nc_u64 s[4:5], s[4:5], 48
	s_cmp_lg_u32 s0, s7
	s_add_nc_u64 s[2:3], s[2:3], 32
	s_wait_kmcnt 0x0
	v_mul_hi_u32 v1, s25, v3
	s_delay_alu instid0(VALU_DEP_1) | instskip(NEXT) | instid1(VALU_DEP_1)
	v_add_nc_u32_e32 v1, v3, v1
	v_lshrrev_b32_e32 v1, s26, v1
	s_delay_alu instid0(VALU_DEP_1) | instskip(NEXT) | instid1(VALU_DEP_1)
	v_mul_lo_u32 v11, v1, s24
	v_sub_nc_u32_e32 v3, v3, v11
	v_mul_hi_u32 v5, s28, v1
	s_delay_alu instid0(VALU_DEP_2) | instskip(SKIP_1) | instid1(VALU_DEP_3)
	v_mad_u32 v8, v3, s37, v8
	v_mad_u32 v0, v3, s36, v0
	v_add_nc_u32_e32 v5, v1, v5
	s_delay_alu instid0(VALU_DEP_1) | instskip(NEXT) | instid1(VALU_DEP_1)
	v_lshrrev_b32_e32 v5, s29, v5
	v_mul_lo_u32 v11, v5, s27
	s_delay_alu instid0(VALU_DEP_1) | instskip(SKIP_1) | instid1(VALU_DEP_2)
	v_sub_nc_u32_e32 v1, v1, v11
	v_mul_hi_u32 v7, s31, v5
	v_mad_u32 v8, v1, s39, v8
	v_mad_u32 v0, v1, s38, v0
	s_delay_alu instid0(VALU_DEP_3) | instskip(NEXT) | instid1(VALU_DEP_1)
	v_add_nc_u32_e32 v7, v5, v7
	v_lshrrev_b32_e32 v7, s12, v7
	s_delay_alu instid0(VALU_DEP_1) | instskip(SKIP_1) | instid1(VALU_DEP_1)
	v_mul_hi_u32 v13, s14, v7
	v_mul_lo_u32 v11, v7, s30
	v_dual_add_nc_u32 v3, v7, v13 :: v_dual_sub_nc_u32 v1, v5, v11
	s_delay_alu instid0(VALU_DEP_1) | instskip(NEXT) | instid1(VALU_DEP_2)
	v_lshrrev_b32_e32 v3, s15, v3
	v_mad_u32 v8, v1, s41, v8
	v_mad_u32 v0, v1, s40, v0
	s_delay_alu instid0(VALU_DEP_3) | instskip(NEXT) | instid1(VALU_DEP_1)
	v_mul_lo_u32 v5, v3, s13
	v_sub_nc_u32_e32 v1, v7, v5
	s_delay_alu instid0(VALU_DEP_1) | instskip(NEXT) | instid1(VALU_DEP_4)
	v_mad_u32 v8, v1, s43, v8
	v_mad_u32 v0, v1, s42, v0
	s_cbranch_scc1 .LBB207_1146
; %bb.1147:
	s_delay_alu instid0(VALU_DEP_2)
	v_mov_b32_e32 v1, v8
	s_and_b32 s4, s1, 3
	s_mov_b32 s1, 0
	s_cmp_eq_u32 s4, 0
	s_cbranch_scc0 .LBB207_1151
	s_branch .LBB207_1154
.LBB207_1148:
	s_mov_b32 s6, -1
                                        ; implicit-def: $vgpr8
                                        ; implicit-def: $vgpr0
	s_branch .LBB207_1154
.LBB207_1149:
	v_dual_mov_b32 v8, 0 :: v_dual_mov_b32 v0, 0
	s_branch .LBB207_1154
.LBB207_1150:
	v_mov_b64_e32 v[0:1], 0
	v_mov_b32_e32 v3, v9
	s_mov_b32 s0, 0
                                        ; implicit-def: $vgpr8
	s_and_b32 s4, s1, 3
	s_mov_b32 s1, 0
	s_cmp_eq_u32 s4, 0
	s_cbranch_scc1 .LBB207_1154
.LBB207_1151:
	s_lshl_b32 s2, s0, 3
	s_mov_b32 s3, s1
	s_mul_u64 s[10:11], s[0:1], 12
	s_add_nc_u64 s[2:3], s[20:21], s[2:3]
	s_delay_alu instid0(SALU_CYCLE_1)
	s_add_nc_u64 s[0:1], s[2:3], 0xc4
	s_add_nc_u64 s[2:3], s[20:21], s[10:11]
.LBB207_1152:                           ; =>This Inner Loop Header: Depth=1
	s_load_b96 s[12:14], s[2:3], 0x4
	s_load_b64 s[10:11], s[0:1], 0x0
	s_add_co_i32 s4, s4, -1
	s_wait_xcnt 0x0
	s_add_nc_u64 s[2:3], s[2:3], 12
	s_cmp_lg_u32 s4, 0
	s_add_nc_u64 s[0:1], s[0:1], 8
	s_wait_kmcnt 0x0
	v_mul_hi_u32 v5, s13, v3
	s_delay_alu instid0(VALU_DEP_1) | instskip(NEXT) | instid1(VALU_DEP_1)
	v_add_nc_u32_e32 v5, v3, v5
	v_lshrrev_b32_e32 v5, s14, v5
	s_delay_alu instid0(VALU_DEP_1) | instskip(NEXT) | instid1(VALU_DEP_1)
	v_mul_lo_u32 v7, v5, s12
	v_sub_nc_u32_e32 v3, v3, v7
	s_delay_alu instid0(VALU_DEP_1)
	v_mad_u32 v1, v3, s11, v1
	v_mad_u32 v0, v3, s10, v0
	v_mov_b32_e32 v3, v5
	s_cbranch_scc1 .LBB207_1152
; %bb.1153:
	s_delay_alu instid0(VALU_DEP_3)
	v_mov_b32_e32 v8, v1
.LBB207_1154:
	s_and_not1_b32 vcc_lo, exec_lo, s6
	s_cbranch_vccnz .LBB207_1157
; %bb.1155:
	s_clause 0x1
	s_load_b96 s[0:2], s[20:21], 0x4
	s_load_b64 s[4:5], s[20:21], 0xc4
	s_cmp_lt_u32 s19, 2
	s_wait_kmcnt 0x0
	v_mul_hi_u32 v0, s1, v9
	s_delay_alu instid0(VALU_DEP_1) | instskip(NEXT) | instid1(VALU_DEP_1)
	v_add_nc_u32_e32 v0, v9, v0
	v_lshrrev_b32_e32 v1, s2, v0
	s_delay_alu instid0(VALU_DEP_1) | instskip(NEXT) | instid1(VALU_DEP_1)
	v_mul_lo_u32 v0, v1, s0
	v_sub_nc_u32_e32 v0, v9, v0
	s_delay_alu instid0(VALU_DEP_1)
	v_mul_lo_u32 v8, v0, s5
	v_mul_lo_u32 v0, v0, s4
	s_cbranch_scc1 .LBB207_1157
; %bb.1156:
	s_clause 0x1
	s_load_b96 s[0:2], s[20:21], 0x10
	s_load_b64 s[4:5], s[20:21], 0xcc
	s_wait_kmcnt 0x0
	v_mul_hi_u32 v3, s1, v1
	s_delay_alu instid0(VALU_DEP_1) | instskip(NEXT) | instid1(VALU_DEP_1)
	v_add_nc_u32_e32 v3, v1, v3
	v_lshrrev_b32_e32 v3, s2, v3
	s_delay_alu instid0(VALU_DEP_1) | instskip(NEXT) | instid1(VALU_DEP_1)
	v_mul_lo_u32 v3, v3, s0
	v_sub_nc_u32_e32 v1, v1, v3
	s_delay_alu instid0(VALU_DEP_1)
	v_mad_u32 v0, v1, s4, v0
	v_mad_u32 v8, v1, s5, v8
.LBB207_1157:
	v_mov_b32_e32 v15, 0
	s_load_b128 s[4:7], s[20:21], 0x148
	global_load_u8 v1, v15, s[20:21] offset:353
	s_wait_kmcnt 0x0
	v_add_nc_u64_e32 v[14:15], s[6:7], v[14:15]
	s_wait_loadcnt 0x0
	v_and_b32_e32 v3, 0xffff, v1
	v_readfirstlane_b32 s0, v1
	s_delay_alu instid0(VALU_DEP_2)
	v_cmp_gt_i32_e32 vcc_lo, 11, v3
	s_cbranch_vccnz .LBB207_1164
; %bb.1158:
	s_and_b32 s1, 0xffff, s0
	s_mov_b32 s10, 0
	s_cmp_gt_i32 s1, 25
	s_cbranch_scc0 .LBB207_1166
; %bb.1159:
	s_cmp_gt_i32 s1, 28
	s_cbranch_scc0 .LBB207_1167
; %bb.1160:
	;; [unrolled: 3-line block ×4, first 2 shown]
	s_cmp_eq_u32 s1, 46
	s_mov_b32 s3, 0
	s_cbranch_scc0 .LBB207_1172
; %bb.1163:
	global_load_b32 v1, v[14:15], off
	s_mov_b32 s2, 0
	s_mov_b32 s11, -1
	s_branch .LBB207_1174
.LBB207_1164:
	s_mov_b32 s11, 0
	s_mov_b32 s3, s8
                                        ; implicit-def: $vgpr1
	s_cbranch_execnz .LBB207_1237
.LBB207_1165:
	s_and_not1_b32 vcc_lo, exec_lo, s11
	s_cbranch_vccz .LBB207_1282
	s_branch .LBB207_2105
.LBB207_1166:
	s_mov_b32 s11, 0
	s_mov_b32 s2, 0
                                        ; implicit-def: $vgpr1
	s_cbranch_execnz .LBB207_1202
	s_branch .LBB207_1233
.LBB207_1167:
	s_mov_b32 s3, -1
	s_mov_b32 s11, 0
	s_mov_b32 s2, 0
                                        ; implicit-def: $vgpr1
	s_branch .LBB207_1183
.LBB207_1168:
	s_mov_b32 s11, 0
	s_mov_b32 s2, 0
                                        ; implicit-def: $vgpr1
	s_cbranch_execnz .LBB207_1179
	s_branch .LBB207_1182
.LBB207_1169:
	s_mov_b32 s3, -1
	s_mov_b32 s11, 0
	s_mov_b32 s2, 0
	s_branch .LBB207_1173
.LBB207_1170:
	s_and_not1_saveexec_b32 s8, s8
	s_cbranch_execz .LBB207_1009
.LBB207_1171:
	v_add_f32_e32 v2, 0x46000000, v3
	s_and_not1_b32 s7, s7, exec_lo
	s_delay_alu instid0(VALU_DEP_1) | instskip(NEXT) | instid1(VALU_DEP_1)
	v_and_b32_e32 v2, 0xff, v2
	v_cmp_ne_u32_e32 vcc_lo, 0, v2
	s_and_b32 s9, vcc_lo, exec_lo
	s_delay_alu instid0(SALU_CYCLE_1)
	s_or_b32 s7, s7, s9
	s_or_b32 exec_lo, exec_lo, s8
	v_mov_b32_e32 v4, 0
	s_and_saveexec_b32 s8, s7
	s_cbranch_execnz .LBB207_1010
	s_branch .LBB207_1011
.LBB207_1172:
	s_mov_b32 s2, -1
	s_mov_b32 s11, 0
.LBB207_1173:
                                        ; implicit-def: $vgpr1
.LBB207_1174:
	s_and_b32 vcc_lo, exec_lo, s3
	s_cbranch_vccz .LBB207_1177
; %bb.1175:
	s_cmp_eq_u32 s1, 44
	s_cbranch_scc0 .LBB207_1178
; %bb.1176:
	s_wait_loadcnt 0x0
	global_load_u8 v1, v[14:15], off
	s_mov_b32 s2, 0
	s_mov_b32 s11, -1
	s_wait_loadcnt 0x0
	v_lshlrev_b32_e32 v3, 23, v1
	v_cmp_ne_u32_e32 vcc_lo, 0xff, v1
	s_delay_alu instid0(VALU_DEP_2) | instskip(SKIP_1) | instid1(VALU_DEP_2)
	v_cndmask_b32_e32 v3, 0x7f800001, v3, vcc_lo
	v_cmp_ne_u32_e32 vcc_lo, 0, v1
	v_cndmask_b32_e32 v1, 0x400000, v3, vcc_lo
	s_delay_alu instid0(VALU_DEP_1) | instskip(SKIP_1) | instid1(VALU_DEP_2)
	v_add_nc_u32_e32 v3, 0x7fff, v1
	v_cmp_o_f32_e32 vcc_lo, v1, v1
	v_lshrrev_b32_e32 v3, 16, v3
	s_delay_alu instid0(VALU_DEP_1)
	v_cndmask_b32_e32 v1, 0x7fc0, v3, vcc_lo
.LBB207_1177:
	s_branch .LBB207_1182
.LBB207_1178:
	s_mov_b32 s2, -1
                                        ; implicit-def: $vgpr1
	s_branch .LBB207_1182
.LBB207_1179:
	s_cmp_eq_u32 s1, 29
	s_cbranch_scc0 .LBB207_1181
; %bb.1180:
	global_load_b64 v[16:17], v[14:15], off
	s_mov_b32 s2, 0
	s_mov_b32 s11, -1
	s_mov_b32 s3, 0
	s_wait_loadcnt 0x0
	v_clz_i32_u32_e32 v1, v17
	s_delay_alu instid0(VALU_DEP_1) | instskip(NEXT) | instid1(VALU_DEP_1)
	v_min_u32_e32 v1, 32, v1
	v_lshlrev_b64_e32 v[16:17], v1, v[16:17]
	v_sub_nc_u32_e32 v1, 32, v1
	s_delay_alu instid0(VALU_DEP_2) | instskip(NEXT) | instid1(VALU_DEP_1)
	v_min_u32_e32 v3, 1, v16
	v_or_b32_e32 v3, v17, v3
	s_delay_alu instid0(VALU_DEP_1) | instskip(NEXT) | instid1(VALU_DEP_1)
	v_cvt_f32_u32_e32 v3, v3
	v_ldexp_f32 v1, v3, v1
	s_delay_alu instid0(VALU_DEP_1) | instskip(NEXT) | instid1(VALU_DEP_1)
	v_bfe_u32 v3, v1, 16, 1
	v_add3_u32 v1, v1, v3, 0x7fff
	s_delay_alu instid0(VALU_DEP_1)
	v_lshrrev_b32_e32 v1, 16, v1
	s_branch .LBB207_1183
.LBB207_1181:
	s_mov_b32 s2, -1
                                        ; implicit-def: $vgpr1
.LBB207_1182:
	s_mov_b32 s3, 0
.LBB207_1183:
	s_delay_alu instid0(SALU_CYCLE_1)
	s_and_b32 vcc_lo, exec_lo, s3
	s_cbranch_vccz .LBB207_1201
; %bb.1184:
	s_cmp_lt_i32 s1, 27
	s_cbranch_scc1 .LBB207_1187
; %bb.1185:
	s_cmp_gt_i32 s1, 27
	s_cbranch_scc0 .LBB207_1188
; %bb.1186:
	s_wait_loadcnt 0x0
	global_load_b32 v1, v[14:15], off
	s_mov_b32 s3, 0
	s_wait_loadcnt 0x0
	v_cvt_f32_u32_e32 v1, v1
	s_delay_alu instid0(VALU_DEP_1) | instskip(NEXT) | instid1(VALU_DEP_1)
	v_bfe_u32 v3, v1, 16, 1
	v_add3_u32 v1, v1, v3, 0x7fff
	s_delay_alu instid0(VALU_DEP_1)
	v_lshrrev_b32_e32 v1, 16, v1
	s_branch .LBB207_1189
.LBB207_1187:
	s_mov_b32 s3, -1
                                        ; implicit-def: $vgpr1
	s_branch .LBB207_1192
.LBB207_1188:
	s_mov_b32 s3, -1
                                        ; implicit-def: $vgpr1
.LBB207_1189:
	s_delay_alu instid0(SALU_CYCLE_1)
	s_and_not1_b32 vcc_lo, exec_lo, s3
	s_cbranch_vccnz .LBB207_1191
; %bb.1190:
	s_wait_loadcnt 0x0
	global_load_u16 v1, v[14:15], off
	s_wait_loadcnt 0x0
	v_cvt_f32_u32_e32 v1, v1
	s_delay_alu instid0(VALU_DEP_1) | instskip(NEXT) | instid1(VALU_DEP_1)
	v_bfe_u32 v3, v1, 16, 1
	v_add3_u32 v1, v1, v3, 0x7fff
	s_delay_alu instid0(VALU_DEP_1)
	v_lshrrev_b32_e32 v1, 16, v1
.LBB207_1191:
	s_mov_b32 s3, 0
.LBB207_1192:
	s_delay_alu instid0(SALU_CYCLE_1)
	s_and_not1_b32 vcc_lo, exec_lo, s3
	s_cbranch_vccnz .LBB207_1200
; %bb.1193:
	s_wait_loadcnt 0x0
	global_load_u8 v1, v[14:15], off
	s_mov_b32 s3, 0
	s_mov_b32 s11, exec_lo
	s_wait_loadcnt 0x0
	v_cmpx_lt_i16_e32 0x7f, v1
	s_xor_b32 s11, exec_lo, s11
	s_cbranch_execz .LBB207_1213
; %bb.1194:
	s_mov_b32 s3, -1
	s_mov_b32 s12, exec_lo
	v_cmpx_eq_u16_e32 0x80, v1
; %bb.1195:
	s_xor_b32 s3, exec_lo, -1
; %bb.1196:
	s_or_b32 exec_lo, exec_lo, s12
	s_delay_alu instid0(SALU_CYCLE_1)
	s_and_b32 s3, s3, exec_lo
	s_or_saveexec_b32 s11, s11
	v_mov_b32_e32 v3, 0x7f800001
	s_xor_b32 exec_lo, exec_lo, s11
	s_cbranch_execnz .LBB207_1214
.LBB207_1197:
	s_or_b32 exec_lo, exec_lo, s11
	s_and_saveexec_b32 s11, s3
	s_cbranch_execz .LBB207_1199
.LBB207_1198:
	v_and_b32_e32 v3, 0xffff, v1
	s_delay_alu instid0(VALU_DEP_1) | instskip(SKIP_1) | instid1(VALU_DEP_2)
	v_dual_lshlrev_b32 v1, 24, v1 :: v_dual_bitop2_b32 v5, 7, v3 bitop3:0x40
	v_bfe_u32 v11, v3, 3, 4
	v_and_b32_e32 v1, 0x80000000, v1
	s_delay_alu instid0(VALU_DEP_3) | instskip(NEXT) | instid1(VALU_DEP_3)
	v_clz_i32_u32_e32 v7, v5
	v_cmp_eq_u32_e32 vcc_lo, 0, v11
	s_delay_alu instid0(VALU_DEP_2) | instskip(NEXT) | instid1(VALU_DEP_1)
	v_min_u32_e32 v7, 32, v7
	v_subrev_nc_u32_e32 v9, 28, v7
	v_sub_nc_u32_e32 v7, 29, v7
	s_delay_alu instid0(VALU_DEP_2) | instskip(NEXT) | instid1(VALU_DEP_2)
	v_lshlrev_b32_e32 v3, v9, v3
	v_cndmask_b32_e32 v7, v11, v7, vcc_lo
	s_delay_alu instid0(VALU_DEP_2) | instskip(NEXT) | instid1(VALU_DEP_1)
	v_and_b32_e32 v3, 7, v3
	v_cndmask_b32_e32 v3, v5, v3, vcc_lo
	s_delay_alu instid0(VALU_DEP_3) | instskip(NEXT) | instid1(VALU_DEP_2)
	v_lshl_add_u32 v5, v7, 23, 0x3b800000
	v_lshlrev_b32_e32 v3, 20, v3
	s_delay_alu instid0(VALU_DEP_1)
	v_or3_b32 v3, v1, v5, v3
.LBB207_1199:
	s_or_b32 exec_lo, exec_lo, s11
	s_delay_alu instid0(VALU_DEP_1) | instskip(SKIP_1) | instid1(VALU_DEP_2)
	v_bfe_u32 v1, v3, 16, 1
	v_cmp_o_f32_e32 vcc_lo, v3, v3
	v_add3_u32 v1, v3, v1, 0x7fff
	s_delay_alu instid0(VALU_DEP_1) | instskip(NEXT) | instid1(VALU_DEP_1)
	v_lshrrev_b32_e32 v1, 16, v1
	v_cndmask_b32_e32 v1, 0x7fc0, v1, vcc_lo
.LBB207_1200:
	s_mov_b32 s11, -1
.LBB207_1201:
	s_branch .LBB207_1233
.LBB207_1202:
	s_cmp_gt_i32 s1, 22
	s_cbranch_scc0 .LBB207_1212
; %bb.1203:
	s_cmp_lt_i32 s1, 24
	s_cbranch_scc1 .LBB207_1215
; %bb.1204:
	s_cmp_gt_i32 s1, 24
	s_cbranch_scc0 .LBB207_1216
; %bb.1205:
	s_wait_loadcnt 0x0
	global_load_u8 v1, v[14:15], off
	s_mov_b32 s3, 0
	s_mov_b32 s10, exec_lo
	s_wait_loadcnt 0x0
	v_cmpx_lt_i16_e32 0x7f, v1
	s_xor_b32 s10, exec_lo, s10
	s_cbranch_execz .LBB207_1227
; %bb.1206:
	s_mov_b32 s3, -1
	s_mov_b32 s11, exec_lo
	v_cmpx_eq_u16_e32 0x80, v1
; %bb.1207:
	s_xor_b32 s3, exec_lo, -1
; %bb.1208:
	s_or_b32 exec_lo, exec_lo, s11
	s_delay_alu instid0(SALU_CYCLE_1)
	s_and_b32 s3, s3, exec_lo
	s_or_saveexec_b32 s10, s10
	v_mov_b32_e32 v3, 0x7f800001
	s_xor_b32 exec_lo, exec_lo, s10
	s_cbranch_execnz .LBB207_1228
.LBB207_1209:
	s_or_b32 exec_lo, exec_lo, s10
	s_and_saveexec_b32 s10, s3
	s_cbranch_execz .LBB207_1211
.LBB207_1210:
	v_and_b32_e32 v3, 0xffff, v1
	s_delay_alu instid0(VALU_DEP_1) | instskip(SKIP_1) | instid1(VALU_DEP_2)
	v_dual_lshlrev_b32 v1, 24, v1 :: v_dual_bitop2_b32 v5, 3, v3 bitop3:0x40
	v_bfe_u32 v11, v3, 2, 5
	v_and_b32_e32 v1, 0x80000000, v1
	s_delay_alu instid0(VALU_DEP_3) | instskip(NEXT) | instid1(VALU_DEP_3)
	v_clz_i32_u32_e32 v7, v5
	v_cmp_eq_u32_e32 vcc_lo, 0, v11
	s_delay_alu instid0(VALU_DEP_2) | instskip(NEXT) | instid1(VALU_DEP_1)
	v_min_u32_e32 v7, 32, v7
	v_subrev_nc_u32_e32 v9, 29, v7
	v_sub_nc_u32_e32 v7, 30, v7
	s_delay_alu instid0(VALU_DEP_2) | instskip(NEXT) | instid1(VALU_DEP_2)
	v_lshlrev_b32_e32 v3, v9, v3
	v_cndmask_b32_e32 v7, v11, v7, vcc_lo
	s_delay_alu instid0(VALU_DEP_2) | instskip(NEXT) | instid1(VALU_DEP_1)
	v_and_b32_e32 v3, 3, v3
	v_cndmask_b32_e32 v3, v5, v3, vcc_lo
	s_delay_alu instid0(VALU_DEP_3) | instskip(NEXT) | instid1(VALU_DEP_2)
	v_lshl_add_u32 v5, v7, 23, 0x37800000
	v_lshlrev_b32_e32 v3, 21, v3
	s_delay_alu instid0(VALU_DEP_1)
	v_or3_b32 v3, v1, v5, v3
.LBB207_1211:
	s_or_b32 exec_lo, exec_lo, s10
	s_delay_alu instid0(VALU_DEP_1) | instskip(SKIP_2) | instid1(VALU_DEP_2)
	v_bfe_u32 v1, v3, 16, 1
	v_cmp_o_f32_e32 vcc_lo, v3, v3
	s_mov_b32 s3, 0
	v_add3_u32 v1, v3, v1, 0x7fff
	s_delay_alu instid0(VALU_DEP_1) | instskip(NEXT) | instid1(VALU_DEP_1)
	v_lshrrev_b32_e32 v1, 16, v1
	v_cndmask_b32_e32 v1, 0x7fc0, v1, vcc_lo
	s_branch .LBB207_1217
.LBB207_1212:
                                        ; implicit-def: $vgpr1
	s_mov_b32 s10, 0
	s_branch .LBB207_1223
.LBB207_1213:
	s_or_saveexec_b32 s11, s11
	v_mov_b32_e32 v3, 0x7f800001
	s_xor_b32 exec_lo, exec_lo, s11
	s_cbranch_execz .LBB207_1197
.LBB207_1214:
	v_cmp_ne_u16_e32 vcc_lo, 0, v1
	v_mov_b32_e32 v3, 0
	s_and_not1_b32 s3, s3, exec_lo
	s_and_b32 s12, vcc_lo, exec_lo
	s_delay_alu instid0(SALU_CYCLE_1)
	s_or_b32 s3, s3, s12
	s_or_b32 exec_lo, exec_lo, s11
	s_and_saveexec_b32 s11, s3
	s_cbranch_execnz .LBB207_1198
	s_branch .LBB207_1199
.LBB207_1215:
	s_mov_b32 s3, -1
                                        ; implicit-def: $vgpr1
	s_branch .LBB207_1220
.LBB207_1216:
	s_mov_b32 s3, -1
                                        ; implicit-def: $vgpr1
.LBB207_1217:
	s_delay_alu instid0(SALU_CYCLE_1)
	s_and_b32 vcc_lo, exec_lo, s3
	s_cbranch_vccz .LBB207_1219
; %bb.1218:
	s_wait_loadcnt 0x0
	global_load_u8 v1, v[14:15], off
	s_wait_loadcnt 0x0
	v_lshlrev_b32_e32 v1, 24, v1
	s_delay_alu instid0(VALU_DEP_1) | instskip(NEXT) | instid1(VALU_DEP_1)
	v_and_b32_e32 v3, 0x7f000000, v1
	v_clz_i32_u32_e32 v5, v3
	v_add_nc_u32_e32 v9, 0x1000000, v3
	v_cmp_ne_u32_e32 vcc_lo, 0, v3
	s_delay_alu instid0(VALU_DEP_3) | instskip(NEXT) | instid1(VALU_DEP_1)
	v_min_u32_e32 v5, 32, v5
	v_sub_nc_u32_e64 v5, v5, 4 clamp
	s_delay_alu instid0(VALU_DEP_1) | instskip(NEXT) | instid1(VALU_DEP_1)
	v_dual_lshlrev_b32 v7, v5, v3 :: v_dual_lshlrev_b32 v5, 23, v5
	v_lshrrev_b32_e32 v7, 4, v7
	s_delay_alu instid0(VALU_DEP_1) | instskip(SKIP_1) | instid1(VALU_DEP_2)
	v_sub_nc_u32_e32 v5, v7, v5
	v_ashrrev_i32_e32 v7, 8, v9
	v_add_nc_u32_e32 v5, 0x3c000000, v5
	s_delay_alu instid0(VALU_DEP_1) | instskip(NEXT) | instid1(VALU_DEP_1)
	v_and_or_b32 v5, 0x7f800000, v7, v5
	v_cndmask_b32_e32 v3, 0, v5, vcc_lo
	s_delay_alu instid0(VALU_DEP_1) | instskip(SKIP_1) | instid1(VALU_DEP_2)
	v_and_or_b32 v1, 0x80000000, v1, v3
	v_bfe_u32 v3, v3, 16, 1
	v_cmp_o_f32_e32 vcc_lo, v1, v1
	s_delay_alu instid0(VALU_DEP_2) | instskip(NEXT) | instid1(VALU_DEP_1)
	v_add3_u32 v3, v1, v3, 0x7fff
	v_lshrrev_b32_e32 v3, 16, v3
	s_delay_alu instid0(VALU_DEP_1)
	v_cndmask_b32_e32 v1, 0x7fc0, v3, vcc_lo
.LBB207_1219:
	s_mov_b32 s3, 0
.LBB207_1220:
	s_delay_alu instid0(SALU_CYCLE_1)
	s_and_not1_b32 vcc_lo, exec_lo, s3
	s_cbranch_vccnz .LBB207_1222
; %bb.1221:
	s_wait_loadcnt 0x0
	global_load_u8 v1, v[14:15], off
	s_wait_loadcnt 0x0
	v_lshlrev_b32_e32 v3, 25, v1
	v_lshlrev_b16 v1, 8, v1
	s_delay_alu instid0(VALU_DEP_1) | instskip(SKIP_1) | instid1(VALU_DEP_2)
	v_and_or_b32 v7, 0x7f00, v1, 0.5
	v_bfe_i32 v1, v1, 0, 16
	v_add_f32_e32 v7, -0.5, v7
	v_lshrrev_b32_e32 v5, 4, v3
	v_cmp_gt_u32_e32 vcc_lo, 0x8000000, v3
	s_delay_alu instid0(VALU_DEP_2) | instskip(NEXT) | instid1(VALU_DEP_1)
	v_or_b32_e32 v5, 0x70000000, v5
	v_mul_f32_e32 v5, 0x7800000, v5
	s_delay_alu instid0(VALU_DEP_1) | instskip(NEXT) | instid1(VALU_DEP_1)
	v_cndmask_b32_e32 v3, v5, v7, vcc_lo
	v_and_or_b32 v1, 0x80000000, v1, v3
	v_bfe_u32 v3, v3, 16, 1
	s_delay_alu instid0(VALU_DEP_2) | instskip(NEXT) | instid1(VALU_DEP_2)
	v_cmp_o_f32_e32 vcc_lo, v1, v1
	v_add3_u32 v3, v1, v3, 0x7fff
	s_delay_alu instid0(VALU_DEP_1) | instskip(NEXT) | instid1(VALU_DEP_1)
	v_lshrrev_b32_e32 v3, 16, v3
	v_cndmask_b32_e32 v1, 0x7fc0, v3, vcc_lo
.LBB207_1222:
	s_mov_b32 s11, -1
	s_mov_b32 s10, 0
	s_cbranch_execnz .LBB207_1233
.LBB207_1223:
	s_cmp_gt_i32 s1, 14
	s_cbranch_scc0 .LBB207_1226
; %bb.1224:
	s_cmp_eq_u32 s1, 15
	s_cbranch_scc0 .LBB207_1229
; %bb.1225:
	s_wait_loadcnt 0x0
	global_load_u16 v1, v[14:15], off
	s_mov_b32 s2, 0
	s_mov_b32 s11, -1
	s_branch .LBB207_1230
.LBB207_1226:
	s_mov_b32 s3, -1
                                        ; implicit-def: $vgpr1
	s_branch .LBB207_1231
.LBB207_1227:
	s_or_saveexec_b32 s10, s10
	v_mov_b32_e32 v3, 0x7f800001
	s_xor_b32 exec_lo, exec_lo, s10
	s_cbranch_execz .LBB207_1209
.LBB207_1228:
	v_cmp_ne_u16_e32 vcc_lo, 0, v1
	v_mov_b32_e32 v3, 0
	s_and_not1_b32 s3, s3, exec_lo
	s_and_b32 s11, vcc_lo, exec_lo
	s_delay_alu instid0(SALU_CYCLE_1)
	s_or_b32 s3, s3, s11
	s_or_b32 exec_lo, exec_lo, s10
	s_and_saveexec_b32 s10, s3
	s_cbranch_execnz .LBB207_1210
	s_branch .LBB207_1211
.LBB207_1229:
	s_mov_b32 s2, -1
                                        ; implicit-def: $vgpr1
.LBB207_1230:
	s_mov_b32 s3, 0
.LBB207_1231:
	s_delay_alu instid0(SALU_CYCLE_1)
	s_and_b32 vcc_lo, exec_lo, s3
	s_cbranch_vccz .LBB207_1233
; %bb.1232:
	s_cmp_lg_u32 s1, 11
	s_mov_b32 s10, -1
	s_cselect_b32 s2, -1, 0
.LBB207_1233:
	s_delay_alu instid0(SALU_CYCLE_1)
	s_and_b32 vcc_lo, exec_lo, s2
	s_mov_b32 s3, s8
	s_cbranch_vccnz .LBB207_1294
; %bb.1234:
	s_and_not1_b32 vcc_lo, exec_lo, s10
	s_cbranch_vccnz .LBB207_1236
.LBB207_1235:
	s_wait_loadcnt 0x0
	global_load_u8 v1, v[14:15], off
	s_mov_b32 s11, -1
	s_wait_loadcnt 0x0
	v_cmp_ne_u16_e32 vcc_lo, 0, v1
	v_cndmask_b32_e64 v1, 0, 1.0, vcc_lo
	s_delay_alu instid0(VALU_DEP_1)
	v_lshrrev_b32_e32 v1, 16, v1
.LBB207_1236:
	s_branch .LBB207_1165
.LBB207_1237:
	s_and_b32 s1, 0xffff, s0
	s_delay_alu instid0(SALU_CYCLE_1)
	s_cmp_lt_i32 s1, 5
	s_cbranch_scc1 .LBB207_1242
; %bb.1238:
	s_cmp_lt_i32 s1, 8
	s_cbranch_scc1 .LBB207_1243
; %bb.1239:
	;; [unrolled: 3-line block ×3, first 2 shown]
	s_cmp_gt_i32 s1, 9
	s_cbranch_scc0 .LBB207_1245
; %bb.1241:
	global_load_b64 v[16:17], v[14:15], off
	s_mov_b32 s2, 0
	s_wait_loadcnt 0x0
	v_cvt_f32_f64_e32 v1, v[16:17]
	s_delay_alu instid0(VALU_DEP_1) | instskip(SKIP_1) | instid1(VALU_DEP_2)
	v_bfe_u32 v3, v1, 16, 1
	v_cmp_o_f32_e32 vcc_lo, v1, v1
	v_add3_u32 v3, v1, v3, 0x7fff
	s_delay_alu instid0(VALU_DEP_1) | instskip(NEXT) | instid1(VALU_DEP_1)
	v_lshrrev_b32_e32 v3, 16, v3
	v_cndmask_b32_e32 v1, 0x7fc0, v3, vcc_lo
	s_branch .LBB207_1246
.LBB207_1242:
                                        ; implicit-def: $vgpr1
	s_branch .LBB207_1263
.LBB207_1243:
                                        ; implicit-def: $vgpr1
	s_branch .LBB207_1252
.LBB207_1244:
	s_mov_b32 s2, -1
                                        ; implicit-def: $vgpr1
	s_branch .LBB207_1249
.LBB207_1245:
	s_mov_b32 s2, -1
                                        ; implicit-def: $vgpr1
.LBB207_1246:
	s_delay_alu instid0(SALU_CYCLE_1)
	s_and_not1_b32 vcc_lo, exec_lo, s2
	s_cbranch_vccnz .LBB207_1248
; %bb.1247:
	s_wait_loadcnt 0x0
	global_load_b32 v1, v[14:15], off
	s_wait_loadcnt 0x0
	v_bfe_u32 v3, v1, 16, 1
	v_cmp_o_f32_e32 vcc_lo, v1, v1
	s_delay_alu instid0(VALU_DEP_2) | instskip(NEXT) | instid1(VALU_DEP_1)
	v_add3_u32 v3, v1, v3, 0x7fff
	v_lshrrev_b32_e32 v3, 16, v3
	s_delay_alu instid0(VALU_DEP_1)
	v_cndmask_b32_e32 v1, 0x7fc0, v3, vcc_lo
.LBB207_1248:
	s_mov_b32 s2, 0
.LBB207_1249:
	s_delay_alu instid0(SALU_CYCLE_1)
	s_and_not1_b32 vcc_lo, exec_lo, s2
	s_cbranch_vccnz .LBB207_1251
; %bb.1250:
	s_wait_loadcnt 0x0
	global_load_b32 v1, v[14:15], off
	s_wait_loadcnt 0x0
	v_cvt_f32_f16_e32 v3, v1
	v_cmp_o_f16_e32 vcc_lo, v1, v1
	s_delay_alu instid0(VALU_DEP_2) | instskip(NEXT) | instid1(VALU_DEP_1)
	v_bfe_u32 v5, v3, 16, 1
	v_add3_u32 v3, v3, v5, 0x7fff
	s_delay_alu instid0(VALU_DEP_1) | instskip(NEXT) | instid1(VALU_DEP_1)
	v_lshrrev_b32_e32 v3, 16, v3
	v_cndmask_b32_e32 v1, 0x7fc0, v3, vcc_lo
.LBB207_1251:
	s_cbranch_execnz .LBB207_1262
.LBB207_1252:
	s_cmp_lt_i32 s1, 6
	s_cbranch_scc1 .LBB207_1255
; %bb.1253:
	s_cmp_gt_i32 s1, 6
	s_cbranch_scc0 .LBB207_1256
; %bb.1254:
	global_load_b64 v[16:17], v[14:15], off
	s_mov_b32 s2, 0
	s_wait_loadcnt 0x0
	v_cvt_f32_f64_e32 v1, v[16:17]
	s_delay_alu instid0(VALU_DEP_1) | instskip(SKIP_1) | instid1(VALU_DEP_2)
	v_bfe_u32 v3, v1, 16, 1
	v_cmp_o_f32_e32 vcc_lo, v1, v1
	v_add3_u32 v3, v1, v3, 0x7fff
	s_delay_alu instid0(VALU_DEP_1) | instskip(NEXT) | instid1(VALU_DEP_1)
	v_lshrrev_b32_e32 v3, 16, v3
	v_cndmask_b32_e32 v1, 0x7fc0, v3, vcc_lo
	s_branch .LBB207_1257
.LBB207_1255:
	s_mov_b32 s2, -1
                                        ; implicit-def: $vgpr1
	s_branch .LBB207_1260
.LBB207_1256:
	s_mov_b32 s2, -1
                                        ; implicit-def: $vgpr1
.LBB207_1257:
	s_delay_alu instid0(SALU_CYCLE_1)
	s_and_not1_b32 vcc_lo, exec_lo, s2
	s_cbranch_vccnz .LBB207_1259
; %bb.1258:
	s_wait_loadcnt 0x0
	global_load_b32 v1, v[14:15], off
	s_wait_loadcnt 0x0
	v_bfe_u32 v3, v1, 16, 1
	v_cmp_o_f32_e32 vcc_lo, v1, v1
	s_delay_alu instid0(VALU_DEP_2) | instskip(NEXT) | instid1(VALU_DEP_1)
	v_add3_u32 v3, v1, v3, 0x7fff
	v_lshrrev_b32_e32 v3, 16, v3
	s_delay_alu instid0(VALU_DEP_1)
	v_cndmask_b32_e32 v1, 0x7fc0, v3, vcc_lo
.LBB207_1259:
	s_mov_b32 s2, 0
.LBB207_1260:
	s_delay_alu instid0(SALU_CYCLE_1)
	s_and_not1_b32 vcc_lo, exec_lo, s2
	s_cbranch_vccnz .LBB207_1262
; %bb.1261:
	s_wait_loadcnt 0x0
	global_load_u16 v1, v[14:15], off
	s_wait_loadcnt 0x0
	v_cvt_f32_f16_e32 v3, v1
	v_cmp_o_f16_e32 vcc_lo, v1, v1
	s_delay_alu instid0(VALU_DEP_2) | instskip(NEXT) | instid1(VALU_DEP_1)
	v_bfe_u32 v5, v3, 16, 1
	v_add3_u32 v3, v3, v5, 0x7fff
	s_delay_alu instid0(VALU_DEP_1) | instskip(NEXT) | instid1(VALU_DEP_1)
	v_lshrrev_b32_e32 v3, 16, v3
	v_cndmask_b32_e32 v1, 0x7fc0, v3, vcc_lo
.LBB207_1262:
	s_cbranch_execnz .LBB207_1281
.LBB207_1263:
	s_cmp_lt_i32 s1, 2
	s_cbranch_scc1 .LBB207_1267
; %bb.1264:
	s_cmp_lt_i32 s1, 3
	s_cbranch_scc1 .LBB207_1268
; %bb.1265:
	s_cmp_gt_i32 s1, 3
	s_cbranch_scc0 .LBB207_1269
; %bb.1266:
	global_load_b64 v[16:17], v[14:15], off
	s_mov_b32 s2, 0
	s_wait_loadcnt 0x0
	v_xor_b32_e32 v1, v16, v17
	v_cls_i32_e32 v3, v17
	s_delay_alu instid0(VALU_DEP_2) | instskip(NEXT) | instid1(VALU_DEP_1)
	v_ashrrev_i32_e32 v1, 31, v1
	v_add_nc_u32_e32 v1, 32, v1
	s_delay_alu instid0(VALU_DEP_1) | instskip(NEXT) | instid1(VALU_DEP_1)
	v_add_min_u32_e64 v1, v3, -1, v1
	v_lshlrev_b64_e32 v[16:17], v1, v[16:17]
	v_sub_nc_u32_e32 v1, 32, v1
	s_delay_alu instid0(VALU_DEP_2) | instskip(NEXT) | instid1(VALU_DEP_1)
	v_min_u32_e32 v3, 1, v16
	v_or_b32_e32 v3, v17, v3
	s_delay_alu instid0(VALU_DEP_1) | instskip(NEXT) | instid1(VALU_DEP_1)
	v_cvt_f32_i32_e32 v3, v3
	v_ldexp_f32 v1, v3, v1
	s_delay_alu instid0(VALU_DEP_1) | instskip(NEXT) | instid1(VALU_DEP_1)
	v_bfe_u32 v3, v1, 16, 1
	v_add3_u32 v1, v1, v3, 0x7fff
	s_delay_alu instid0(VALU_DEP_1)
	v_lshrrev_b32_e32 v1, 16, v1
	s_branch .LBB207_1270
.LBB207_1267:
                                        ; implicit-def: $vgpr1
	s_branch .LBB207_1276
.LBB207_1268:
	s_mov_b32 s2, -1
                                        ; implicit-def: $vgpr1
	s_branch .LBB207_1273
.LBB207_1269:
	s_mov_b32 s2, -1
                                        ; implicit-def: $vgpr1
.LBB207_1270:
	s_delay_alu instid0(SALU_CYCLE_1)
	s_and_not1_b32 vcc_lo, exec_lo, s2
	s_cbranch_vccnz .LBB207_1272
; %bb.1271:
	s_wait_loadcnt 0x0
	global_load_b32 v1, v[14:15], off
	s_wait_loadcnt 0x0
	v_cvt_f32_i32_e32 v1, v1
	s_delay_alu instid0(VALU_DEP_1) | instskip(NEXT) | instid1(VALU_DEP_1)
	v_bfe_u32 v3, v1, 16, 1
	v_add3_u32 v1, v1, v3, 0x7fff
	s_delay_alu instid0(VALU_DEP_1)
	v_lshrrev_b32_e32 v1, 16, v1
.LBB207_1272:
	s_mov_b32 s2, 0
.LBB207_1273:
	s_delay_alu instid0(SALU_CYCLE_1)
	s_and_not1_b32 vcc_lo, exec_lo, s2
	s_cbranch_vccnz .LBB207_1275
; %bb.1274:
	s_wait_loadcnt 0x0
	global_load_i16 v1, v[14:15], off
	s_wait_loadcnt 0x0
	v_cvt_f32_i32_e32 v1, v1
	s_delay_alu instid0(VALU_DEP_1) | instskip(NEXT) | instid1(VALU_DEP_1)
	v_bfe_u32 v3, v1, 16, 1
	v_add3_u32 v1, v1, v3, 0x7fff
	s_delay_alu instid0(VALU_DEP_1)
	v_lshrrev_b32_e32 v1, 16, v1
.LBB207_1275:
	s_cbranch_execnz .LBB207_1281
.LBB207_1276:
	s_cmp_gt_i32 s1, 0
	s_mov_b32 s1, 0
	s_cbranch_scc0 .LBB207_1278
; %bb.1277:
	s_wait_loadcnt 0x0
	global_load_i8 v1, v[14:15], off
	s_wait_loadcnt 0x0
	v_cvt_f32_i32_e32 v1, v1
	s_delay_alu instid0(VALU_DEP_1) | instskip(NEXT) | instid1(VALU_DEP_1)
	v_bfe_u32 v3, v1, 16, 1
	v_add3_u32 v1, v1, v3, 0x7fff
	s_delay_alu instid0(VALU_DEP_1)
	v_lshrrev_b32_e32 v1, 16, v1
	s_branch .LBB207_1279
.LBB207_1278:
	s_mov_b32 s1, -1
                                        ; implicit-def: $vgpr1
.LBB207_1279:
	s_delay_alu instid0(SALU_CYCLE_1)
	s_and_not1_b32 vcc_lo, exec_lo, s1
	s_cbranch_vccnz .LBB207_1281
; %bb.1280:
	s_wait_loadcnt 0x0
	global_load_u8 v1, v[14:15], off
	s_wait_loadcnt 0x0
	v_cvt_f32_ubyte0_e32 v1, v1
	s_delay_alu instid0(VALU_DEP_1) | instskip(NEXT) | instid1(VALU_DEP_1)
	v_bfe_u32 v3, v1, 16, 1
	v_add3_u32 v1, v1, v3, 0x7fff
	s_delay_alu instid0(VALU_DEP_1)
	v_lshrrev_b32_e32 v1, 16, v1
.LBB207_1281:
.LBB207_1282:
	v_mov_b32_e32 v13, 0
	s_and_b32 s0, 0xffff, s0
	s_delay_alu instid0(SALU_CYCLE_1) | instskip(NEXT) | instid1(VALU_DEP_1)
	s_cmp_lt_i32 s0, 11
	v_add_nc_u64_e32 v[12:13], s[6:7], v[12:13]
	s_cbranch_scc1 .LBB207_1289
; %bb.1283:
	s_cmp_gt_i32 s0, 25
	s_mov_b32 s2, 0
	s_cbranch_scc0 .LBB207_1291
; %bb.1284:
	s_cmp_gt_i32 s0, 28
	s_cbranch_scc0 .LBB207_1292
; %bb.1285:
	s_cmp_gt_i32 s0, 43
	;; [unrolled: 3-line block ×3, first 2 shown]
	s_cbranch_scc0 .LBB207_1295
; %bb.1287:
	s_cmp_eq_u32 s0, 46
	s_mov_b32 s11, 0
	s_cbranch_scc0 .LBB207_1298
; %bb.1288:
	global_load_b32 v3, v[12:13], off
	s_mov_b32 s1, 0
	s_mov_b32 s10, -1
	s_branch .LBB207_1300
.LBB207_1289:
	s_mov_b32 s10, 0
                                        ; implicit-def: $vgpr3
	s_cbranch_execnz .LBB207_1365
.LBB207_1290:
	s_and_not1_b32 vcc_lo, exec_lo, s10
	s_cbranch_vccnz .LBB207_2105
	s_branch .LBB207_1412
.LBB207_1291:
	s_mov_b32 s10, 0
	s_mov_b32 s1, 0
                                        ; implicit-def: $vgpr3
	s_cbranch_execnz .LBB207_1329
	s_branch .LBB207_1361
.LBB207_1292:
	s_mov_b32 s11, -1
	s_mov_b32 s10, 0
	s_mov_b32 s1, 0
                                        ; implicit-def: $vgpr3
	s_branch .LBB207_1310
.LBB207_1293:
	s_mov_b32 s11, -1
	s_mov_b32 s10, 0
	s_mov_b32 s1, 0
                                        ; implicit-def: $vgpr3
	s_branch .LBB207_1305
.LBB207_1294:
	s_or_b32 s3, s8, exec_lo
	s_trap 2
	s_cbranch_execz .LBB207_1235
	s_branch .LBB207_1236
.LBB207_1295:
	s_mov_b32 s11, -1
	s_mov_b32 s10, 0
	s_mov_b32 s1, 0
	s_branch .LBB207_1299
.LBB207_1296:
	s_and_not1_saveexec_b32 s9, s9
	s_cbranch_execz .LBB207_1021
.LBB207_1297:
	v_add_f32_e32 v2, 0x42800000, v3
	s_and_not1_b32 s8, s8, exec_lo
	s_delay_alu instid0(VALU_DEP_1) | instskip(NEXT) | instid1(VALU_DEP_1)
	v_and_b32_e32 v2, 0xff, v2
	v_cmp_ne_u32_e32 vcc_lo, 0, v2
	s_and_b32 s10, vcc_lo, exec_lo
	s_delay_alu instid0(SALU_CYCLE_1)
	s_or_b32 s8, s8, s10
	s_or_b32 exec_lo, exec_lo, s9
	v_mov_b32_e32 v4, 0
	s_and_saveexec_b32 s9, s8
	s_cbranch_execnz .LBB207_1022
	s_branch .LBB207_1023
.LBB207_1298:
	s_mov_b32 s1, -1
	s_mov_b32 s10, 0
.LBB207_1299:
                                        ; implicit-def: $vgpr3
.LBB207_1300:
	s_and_b32 vcc_lo, exec_lo, s11
	s_cbranch_vccz .LBB207_1304
; %bb.1301:
	s_cmp_eq_u32 s0, 44
	s_cbranch_scc0 .LBB207_1303
; %bb.1302:
	s_wait_loadcnt 0x0
	global_load_u8 v3, v[12:13], off
	s_mov_b32 s1, 0
	s_mov_b32 s10, -1
	s_wait_loadcnt 0x0
	v_lshlrev_b32_e32 v5, 23, v3
	v_cmp_ne_u32_e32 vcc_lo, 0xff, v3
	s_delay_alu instid0(VALU_DEP_2) | instskip(SKIP_1) | instid1(VALU_DEP_2)
	v_cndmask_b32_e32 v5, 0x7f800001, v5, vcc_lo
	v_cmp_ne_u32_e32 vcc_lo, 0, v3
	v_cndmask_b32_e32 v3, 0x400000, v5, vcc_lo
	s_delay_alu instid0(VALU_DEP_1) | instskip(SKIP_1) | instid1(VALU_DEP_2)
	v_add_nc_u32_e32 v5, 0x7fff, v3
	v_cmp_o_f32_e32 vcc_lo, v3, v3
	v_lshrrev_b32_e32 v5, 16, v5
	s_delay_alu instid0(VALU_DEP_1)
	v_cndmask_b32_e32 v3, 0x7fc0, v5, vcc_lo
	s_branch .LBB207_1304
.LBB207_1303:
	s_mov_b32 s1, -1
                                        ; implicit-def: $vgpr3
.LBB207_1304:
	s_mov_b32 s11, 0
.LBB207_1305:
	s_delay_alu instid0(SALU_CYCLE_1)
	s_and_b32 vcc_lo, exec_lo, s11
	s_cbranch_vccz .LBB207_1309
; %bb.1306:
	s_cmp_eq_u32 s0, 29
	s_cbranch_scc0 .LBB207_1308
; %bb.1307:
	global_load_b64 v[14:15], v[12:13], off
	s_mov_b32 s1, 0
	s_mov_b32 s10, -1
	s_mov_b32 s11, 0
	s_wait_loadcnt 0x0
	v_clz_i32_u32_e32 v3, v15
	s_delay_alu instid0(VALU_DEP_1) | instskip(NEXT) | instid1(VALU_DEP_1)
	v_min_u32_e32 v3, 32, v3
	v_lshlrev_b64_e32 v[14:15], v3, v[14:15]
	v_sub_nc_u32_e32 v3, 32, v3
	s_delay_alu instid0(VALU_DEP_2) | instskip(NEXT) | instid1(VALU_DEP_1)
	v_min_u32_e32 v5, 1, v14
	v_or_b32_e32 v5, v15, v5
	s_delay_alu instid0(VALU_DEP_1) | instskip(NEXT) | instid1(VALU_DEP_1)
	v_cvt_f32_u32_e32 v5, v5
	v_ldexp_f32 v3, v5, v3
	s_delay_alu instid0(VALU_DEP_1) | instskip(NEXT) | instid1(VALU_DEP_1)
	v_bfe_u32 v5, v3, 16, 1
	v_add3_u32 v3, v3, v5, 0x7fff
	s_delay_alu instid0(VALU_DEP_1)
	v_lshrrev_b32_e32 v3, 16, v3
	s_branch .LBB207_1310
.LBB207_1308:
	s_mov_b32 s1, -1
                                        ; implicit-def: $vgpr3
.LBB207_1309:
	s_mov_b32 s11, 0
.LBB207_1310:
	s_delay_alu instid0(SALU_CYCLE_1)
	s_and_b32 vcc_lo, exec_lo, s11
	s_cbranch_vccz .LBB207_1328
; %bb.1311:
	s_cmp_lt_i32 s0, 27
	s_cbranch_scc1 .LBB207_1314
; %bb.1312:
	s_cmp_gt_i32 s0, 27
	s_cbranch_scc0 .LBB207_1315
; %bb.1313:
	s_wait_loadcnt 0x0
	global_load_b32 v3, v[12:13], off
	s_mov_b32 s10, 0
	s_wait_loadcnt 0x0
	v_cvt_f32_u32_e32 v3, v3
	s_delay_alu instid0(VALU_DEP_1) | instskip(NEXT) | instid1(VALU_DEP_1)
	v_bfe_u32 v5, v3, 16, 1
	v_add3_u32 v3, v3, v5, 0x7fff
	s_delay_alu instid0(VALU_DEP_1)
	v_lshrrev_b32_e32 v3, 16, v3
	s_branch .LBB207_1316
.LBB207_1314:
	s_mov_b32 s10, -1
                                        ; implicit-def: $vgpr3
	s_branch .LBB207_1319
.LBB207_1315:
	s_mov_b32 s10, -1
                                        ; implicit-def: $vgpr3
.LBB207_1316:
	s_delay_alu instid0(SALU_CYCLE_1)
	s_and_not1_b32 vcc_lo, exec_lo, s10
	s_cbranch_vccnz .LBB207_1318
; %bb.1317:
	s_wait_loadcnt 0x0
	global_load_u16 v3, v[12:13], off
	s_wait_loadcnt 0x0
	v_cvt_f32_u32_e32 v3, v3
	s_delay_alu instid0(VALU_DEP_1) | instskip(NEXT) | instid1(VALU_DEP_1)
	v_bfe_u32 v5, v3, 16, 1
	v_add3_u32 v3, v3, v5, 0x7fff
	s_delay_alu instid0(VALU_DEP_1)
	v_lshrrev_b32_e32 v3, 16, v3
.LBB207_1318:
	s_mov_b32 s10, 0
.LBB207_1319:
	s_delay_alu instid0(SALU_CYCLE_1)
	s_and_not1_b32 vcc_lo, exec_lo, s10
	s_cbranch_vccnz .LBB207_1327
; %bb.1320:
	s_wait_loadcnt 0x0
	global_load_u8 v3, v[12:13], off
	s_mov_b32 s10, 0
	s_mov_b32 s11, exec_lo
	s_wait_loadcnt 0x0
	v_cmpx_lt_i16_e32 0x7f, v3
	s_xor_b32 s11, exec_lo, s11
	s_cbranch_execz .LBB207_1340
; %bb.1321:
	s_mov_b32 s10, -1
	s_mov_b32 s12, exec_lo
	v_cmpx_eq_u16_e32 0x80, v3
; %bb.1322:
	s_xor_b32 s10, exec_lo, -1
; %bb.1323:
	s_or_b32 exec_lo, exec_lo, s12
	s_delay_alu instid0(SALU_CYCLE_1)
	s_and_b32 s10, s10, exec_lo
	s_or_saveexec_b32 s11, s11
	v_mov_b32_e32 v5, 0x7f800001
	s_xor_b32 exec_lo, exec_lo, s11
	s_cbranch_execnz .LBB207_1341
.LBB207_1324:
	s_or_b32 exec_lo, exec_lo, s11
	s_and_saveexec_b32 s11, s10
	s_cbranch_execz .LBB207_1326
.LBB207_1325:
	v_and_b32_e32 v5, 0xffff, v3
	s_delay_alu instid0(VALU_DEP_1) | instskip(SKIP_1) | instid1(VALU_DEP_2)
	v_dual_lshlrev_b32 v3, 24, v3 :: v_dual_bitop2_b32 v7, 7, v5 bitop3:0x40
	v_bfe_u32 v14, v5, 3, 4
	v_and_b32_e32 v3, 0x80000000, v3
	s_delay_alu instid0(VALU_DEP_3) | instskip(NEXT) | instid1(VALU_DEP_3)
	v_clz_i32_u32_e32 v9, v7
	v_cmp_eq_u32_e32 vcc_lo, 0, v14
	s_delay_alu instid0(VALU_DEP_2) | instskip(NEXT) | instid1(VALU_DEP_1)
	v_min_u32_e32 v9, 32, v9
	v_subrev_nc_u32_e32 v11, 28, v9
	v_sub_nc_u32_e32 v9, 29, v9
	s_delay_alu instid0(VALU_DEP_2) | instskip(NEXT) | instid1(VALU_DEP_2)
	v_lshlrev_b32_e32 v5, v11, v5
	v_cndmask_b32_e32 v9, v14, v9, vcc_lo
	s_delay_alu instid0(VALU_DEP_2) | instskip(NEXT) | instid1(VALU_DEP_1)
	v_and_b32_e32 v5, 7, v5
	v_cndmask_b32_e32 v5, v7, v5, vcc_lo
	s_delay_alu instid0(VALU_DEP_3) | instskip(NEXT) | instid1(VALU_DEP_2)
	v_lshl_add_u32 v7, v9, 23, 0x3b800000
	v_lshlrev_b32_e32 v5, 20, v5
	s_delay_alu instid0(VALU_DEP_1)
	v_or3_b32 v5, v3, v7, v5
.LBB207_1326:
	s_or_b32 exec_lo, exec_lo, s11
	s_delay_alu instid0(VALU_DEP_1) | instskip(SKIP_1) | instid1(VALU_DEP_2)
	v_bfe_u32 v3, v5, 16, 1
	v_cmp_o_f32_e32 vcc_lo, v5, v5
	v_add3_u32 v3, v5, v3, 0x7fff
	s_delay_alu instid0(VALU_DEP_1) | instskip(NEXT) | instid1(VALU_DEP_1)
	v_lshrrev_b32_e32 v3, 16, v3
	v_cndmask_b32_e32 v3, 0x7fc0, v3, vcc_lo
.LBB207_1327:
	s_mov_b32 s10, -1
.LBB207_1328:
	s_branch .LBB207_1361
.LBB207_1329:
	s_cmp_gt_i32 s0, 22
	s_cbranch_scc0 .LBB207_1339
; %bb.1330:
	s_cmp_lt_i32 s0, 24
	s_cbranch_scc1 .LBB207_1342
; %bb.1331:
	s_cmp_gt_i32 s0, 24
	s_cbranch_scc0 .LBB207_1343
; %bb.1332:
	s_wait_loadcnt 0x0
	global_load_u8 v3, v[12:13], off
	s_mov_b32 s10, exec_lo
	s_wait_loadcnt 0x0
	v_cmpx_lt_i16_e32 0x7f, v3
	s_xor_b32 s10, exec_lo, s10
	s_cbranch_execz .LBB207_1355
; %bb.1333:
	s_mov_b32 s2, -1
	s_mov_b32 s11, exec_lo
	v_cmpx_eq_u16_e32 0x80, v3
; %bb.1334:
	s_xor_b32 s2, exec_lo, -1
; %bb.1335:
	s_or_b32 exec_lo, exec_lo, s11
	s_delay_alu instid0(SALU_CYCLE_1)
	s_and_b32 s2, s2, exec_lo
	s_or_saveexec_b32 s10, s10
	v_mov_b32_e32 v5, 0x7f800001
	s_xor_b32 exec_lo, exec_lo, s10
	s_cbranch_execnz .LBB207_1356
.LBB207_1336:
	s_or_b32 exec_lo, exec_lo, s10
	s_and_saveexec_b32 s10, s2
	s_cbranch_execz .LBB207_1338
.LBB207_1337:
	v_and_b32_e32 v5, 0xffff, v3
	s_delay_alu instid0(VALU_DEP_1) | instskip(SKIP_1) | instid1(VALU_DEP_2)
	v_dual_lshlrev_b32 v3, 24, v3 :: v_dual_bitop2_b32 v7, 3, v5 bitop3:0x40
	v_bfe_u32 v14, v5, 2, 5
	v_and_b32_e32 v3, 0x80000000, v3
	s_delay_alu instid0(VALU_DEP_3) | instskip(NEXT) | instid1(VALU_DEP_3)
	v_clz_i32_u32_e32 v9, v7
	v_cmp_eq_u32_e32 vcc_lo, 0, v14
	s_delay_alu instid0(VALU_DEP_2) | instskip(NEXT) | instid1(VALU_DEP_1)
	v_min_u32_e32 v9, 32, v9
	v_subrev_nc_u32_e32 v11, 29, v9
	v_sub_nc_u32_e32 v9, 30, v9
	s_delay_alu instid0(VALU_DEP_2) | instskip(NEXT) | instid1(VALU_DEP_2)
	v_lshlrev_b32_e32 v5, v11, v5
	v_cndmask_b32_e32 v9, v14, v9, vcc_lo
	s_delay_alu instid0(VALU_DEP_2) | instskip(NEXT) | instid1(VALU_DEP_1)
	v_and_b32_e32 v5, 3, v5
	v_cndmask_b32_e32 v5, v7, v5, vcc_lo
	s_delay_alu instid0(VALU_DEP_3) | instskip(NEXT) | instid1(VALU_DEP_2)
	v_lshl_add_u32 v7, v9, 23, 0x37800000
	v_lshlrev_b32_e32 v5, 21, v5
	s_delay_alu instid0(VALU_DEP_1)
	v_or3_b32 v5, v3, v7, v5
.LBB207_1338:
	s_or_b32 exec_lo, exec_lo, s10
	s_delay_alu instid0(VALU_DEP_1) | instskip(SKIP_2) | instid1(VALU_DEP_2)
	v_bfe_u32 v3, v5, 16, 1
	v_cmp_o_f32_e32 vcc_lo, v5, v5
	s_mov_b32 s2, 0
	v_add3_u32 v3, v5, v3, 0x7fff
	s_delay_alu instid0(VALU_DEP_1) | instskip(NEXT) | instid1(VALU_DEP_1)
	v_lshrrev_b32_e32 v3, 16, v3
	v_cndmask_b32_e32 v3, 0x7fc0, v3, vcc_lo
	s_branch .LBB207_1344
.LBB207_1339:
	s_mov_b32 s2, -1
                                        ; implicit-def: $vgpr3
	s_branch .LBB207_1350
.LBB207_1340:
	s_or_saveexec_b32 s11, s11
	v_mov_b32_e32 v5, 0x7f800001
	s_xor_b32 exec_lo, exec_lo, s11
	s_cbranch_execz .LBB207_1324
.LBB207_1341:
	v_cmp_ne_u16_e32 vcc_lo, 0, v3
	v_mov_b32_e32 v5, 0
	s_and_not1_b32 s10, s10, exec_lo
	s_and_b32 s12, vcc_lo, exec_lo
	s_delay_alu instid0(SALU_CYCLE_1)
	s_or_b32 s10, s10, s12
	s_or_b32 exec_lo, exec_lo, s11
	s_and_saveexec_b32 s11, s10
	s_cbranch_execnz .LBB207_1325
	s_branch .LBB207_1326
.LBB207_1342:
	s_mov_b32 s2, -1
                                        ; implicit-def: $vgpr3
	s_branch .LBB207_1347
.LBB207_1343:
	s_mov_b32 s2, -1
                                        ; implicit-def: $vgpr3
.LBB207_1344:
	s_delay_alu instid0(SALU_CYCLE_1)
	s_and_b32 vcc_lo, exec_lo, s2
	s_cbranch_vccz .LBB207_1346
; %bb.1345:
	s_wait_loadcnt 0x0
	global_load_u8 v3, v[12:13], off
	s_wait_loadcnt 0x0
	v_lshlrev_b32_e32 v3, 24, v3
	s_delay_alu instid0(VALU_DEP_1) | instskip(NEXT) | instid1(VALU_DEP_1)
	v_and_b32_e32 v5, 0x7f000000, v3
	v_clz_i32_u32_e32 v7, v5
	v_add_nc_u32_e32 v11, 0x1000000, v5
	v_cmp_ne_u32_e32 vcc_lo, 0, v5
	s_delay_alu instid0(VALU_DEP_3) | instskip(NEXT) | instid1(VALU_DEP_1)
	v_min_u32_e32 v7, 32, v7
	v_sub_nc_u32_e64 v7, v7, 4 clamp
	s_delay_alu instid0(VALU_DEP_1) | instskip(NEXT) | instid1(VALU_DEP_1)
	v_dual_lshlrev_b32 v9, v7, v5 :: v_dual_lshlrev_b32 v7, 23, v7
	v_lshrrev_b32_e32 v9, 4, v9
	s_delay_alu instid0(VALU_DEP_1) | instskip(SKIP_1) | instid1(VALU_DEP_2)
	v_sub_nc_u32_e32 v7, v9, v7
	v_ashrrev_i32_e32 v9, 8, v11
	v_add_nc_u32_e32 v7, 0x3c000000, v7
	s_delay_alu instid0(VALU_DEP_1) | instskip(NEXT) | instid1(VALU_DEP_1)
	v_and_or_b32 v7, 0x7f800000, v9, v7
	v_cndmask_b32_e32 v5, 0, v7, vcc_lo
	s_delay_alu instid0(VALU_DEP_1) | instskip(SKIP_1) | instid1(VALU_DEP_2)
	v_and_or_b32 v3, 0x80000000, v3, v5
	v_bfe_u32 v5, v5, 16, 1
	v_cmp_o_f32_e32 vcc_lo, v3, v3
	s_delay_alu instid0(VALU_DEP_2) | instskip(NEXT) | instid1(VALU_DEP_1)
	v_add3_u32 v5, v3, v5, 0x7fff
	v_lshrrev_b32_e32 v5, 16, v5
	s_delay_alu instid0(VALU_DEP_1)
	v_cndmask_b32_e32 v3, 0x7fc0, v5, vcc_lo
.LBB207_1346:
	s_mov_b32 s2, 0
.LBB207_1347:
	s_delay_alu instid0(SALU_CYCLE_1)
	s_and_not1_b32 vcc_lo, exec_lo, s2
	s_cbranch_vccnz .LBB207_1349
; %bb.1348:
	s_wait_loadcnt 0x0
	global_load_u8 v3, v[12:13], off
	s_wait_loadcnt 0x0
	v_lshlrev_b32_e32 v5, 25, v3
	v_lshlrev_b16 v3, 8, v3
	s_delay_alu instid0(VALU_DEP_1) | instskip(SKIP_1) | instid1(VALU_DEP_2)
	v_and_or_b32 v9, 0x7f00, v3, 0.5
	v_bfe_i32 v3, v3, 0, 16
	v_add_f32_e32 v9, -0.5, v9
	v_lshrrev_b32_e32 v7, 4, v5
	v_cmp_gt_u32_e32 vcc_lo, 0x8000000, v5
	s_delay_alu instid0(VALU_DEP_2) | instskip(NEXT) | instid1(VALU_DEP_1)
	v_or_b32_e32 v7, 0x70000000, v7
	v_mul_f32_e32 v7, 0x7800000, v7
	s_delay_alu instid0(VALU_DEP_1) | instskip(NEXT) | instid1(VALU_DEP_1)
	v_cndmask_b32_e32 v5, v7, v9, vcc_lo
	v_and_or_b32 v3, 0x80000000, v3, v5
	v_bfe_u32 v5, v5, 16, 1
	s_delay_alu instid0(VALU_DEP_2) | instskip(NEXT) | instid1(VALU_DEP_2)
	v_cmp_o_f32_e32 vcc_lo, v3, v3
	v_add3_u32 v5, v3, v5, 0x7fff
	s_delay_alu instid0(VALU_DEP_1) | instskip(NEXT) | instid1(VALU_DEP_1)
	v_lshrrev_b32_e32 v5, 16, v5
	v_cndmask_b32_e32 v3, 0x7fc0, v5, vcc_lo
.LBB207_1349:
	s_mov_b32 s2, 0
	s_mov_b32 s10, -1
.LBB207_1350:
	s_and_not1_b32 vcc_lo, exec_lo, s2
	s_mov_b32 s2, 0
	s_cbranch_vccnz .LBB207_1361
; %bb.1351:
	s_cmp_gt_i32 s0, 14
	s_cbranch_scc0 .LBB207_1354
; %bb.1352:
	s_cmp_eq_u32 s0, 15
	s_cbranch_scc0 .LBB207_1357
; %bb.1353:
	s_wait_loadcnt 0x0
	global_load_u16 v3, v[12:13], off
	s_mov_b32 s1, 0
	s_mov_b32 s10, -1
	s_branch .LBB207_1359
.LBB207_1354:
	s_mov_b32 s2, -1
	s_branch .LBB207_1358
.LBB207_1355:
	s_or_saveexec_b32 s10, s10
	v_mov_b32_e32 v5, 0x7f800001
	s_xor_b32 exec_lo, exec_lo, s10
	s_cbranch_execz .LBB207_1336
.LBB207_1356:
	v_cmp_ne_u16_e32 vcc_lo, 0, v3
	v_mov_b32_e32 v5, 0
	s_and_not1_b32 s2, s2, exec_lo
	s_and_b32 s11, vcc_lo, exec_lo
	s_delay_alu instid0(SALU_CYCLE_1)
	s_or_b32 s2, s2, s11
	s_or_b32 exec_lo, exec_lo, s10
	s_and_saveexec_b32 s10, s2
	s_cbranch_execnz .LBB207_1337
	s_branch .LBB207_1338
.LBB207_1357:
	s_mov_b32 s1, -1
.LBB207_1358:
                                        ; implicit-def: $vgpr3
.LBB207_1359:
	s_and_b32 vcc_lo, exec_lo, s2
	s_mov_b32 s2, 0
	s_cbranch_vccz .LBB207_1361
; %bb.1360:
	s_cmp_lg_u32 s0, 11
	s_mov_b32 s2, -1
	s_cselect_b32 s1, -1, 0
.LBB207_1361:
	s_delay_alu instid0(SALU_CYCLE_1)
	s_and_b32 vcc_lo, exec_lo, s1
	s_cbranch_vccnz .LBB207_1424
; %bb.1362:
	s_and_not1_b32 vcc_lo, exec_lo, s2
	s_cbranch_vccnz .LBB207_1364
.LBB207_1363:
	s_wait_loadcnt 0x0
	global_load_u8 v3, v[12:13], off
	s_mov_b32 s10, -1
	s_wait_loadcnt 0x0
	v_cmp_ne_u16_e32 vcc_lo, 0, v3
	v_cndmask_b32_e64 v3, 0, 1.0, vcc_lo
	s_delay_alu instid0(VALU_DEP_1)
	v_lshrrev_b32_e32 v3, 16, v3
.LBB207_1364:
	s_branch .LBB207_1290
.LBB207_1365:
	s_cmp_lt_i32 s0, 5
	s_cbranch_scc1 .LBB207_1370
; %bb.1366:
	s_cmp_lt_i32 s0, 8
	s_cbranch_scc1 .LBB207_1371
; %bb.1367:
	;; [unrolled: 3-line block ×3, first 2 shown]
	s_cmp_gt_i32 s0, 9
	s_cbranch_scc0 .LBB207_1373
; %bb.1369:
	global_load_b64 v[14:15], v[12:13], off
	s_mov_b32 s1, 0
	s_wait_loadcnt 0x0
	v_cvt_f32_f64_e32 v3, v[14:15]
	s_delay_alu instid0(VALU_DEP_1) | instskip(SKIP_1) | instid1(VALU_DEP_2)
	v_bfe_u32 v5, v3, 16, 1
	v_cmp_o_f32_e32 vcc_lo, v3, v3
	v_add3_u32 v5, v3, v5, 0x7fff
	s_delay_alu instid0(VALU_DEP_1) | instskip(NEXT) | instid1(VALU_DEP_1)
	v_lshrrev_b32_e32 v5, 16, v5
	v_cndmask_b32_e32 v3, 0x7fc0, v5, vcc_lo
	s_branch .LBB207_1374
.LBB207_1370:
                                        ; implicit-def: $vgpr3
	s_branch .LBB207_1392
.LBB207_1371:
	s_mov_b32 s1, -1
                                        ; implicit-def: $vgpr3
	s_branch .LBB207_1380
.LBB207_1372:
	s_mov_b32 s1, -1
                                        ; implicit-def: $vgpr3
	s_branch .LBB207_1377
.LBB207_1373:
	s_mov_b32 s1, -1
                                        ; implicit-def: $vgpr3
.LBB207_1374:
	s_delay_alu instid0(SALU_CYCLE_1)
	s_and_not1_b32 vcc_lo, exec_lo, s1
	s_cbranch_vccnz .LBB207_1376
; %bb.1375:
	s_wait_loadcnt 0x0
	global_load_b32 v3, v[12:13], off
	s_wait_loadcnt 0x0
	v_bfe_u32 v5, v3, 16, 1
	v_cmp_o_f32_e32 vcc_lo, v3, v3
	s_delay_alu instid0(VALU_DEP_2) | instskip(NEXT) | instid1(VALU_DEP_1)
	v_add3_u32 v5, v3, v5, 0x7fff
	v_lshrrev_b32_e32 v5, 16, v5
	s_delay_alu instid0(VALU_DEP_1)
	v_cndmask_b32_e32 v3, 0x7fc0, v5, vcc_lo
.LBB207_1376:
	s_mov_b32 s1, 0
.LBB207_1377:
	s_delay_alu instid0(SALU_CYCLE_1)
	s_and_not1_b32 vcc_lo, exec_lo, s1
	s_cbranch_vccnz .LBB207_1379
; %bb.1378:
	s_wait_loadcnt 0x0
	global_load_b32 v3, v[12:13], off
	s_wait_loadcnt 0x0
	v_cvt_f32_f16_e32 v5, v3
	v_cmp_o_f16_e32 vcc_lo, v3, v3
	s_delay_alu instid0(VALU_DEP_2) | instskip(NEXT) | instid1(VALU_DEP_1)
	v_bfe_u32 v7, v5, 16, 1
	v_add3_u32 v5, v5, v7, 0x7fff
	s_delay_alu instid0(VALU_DEP_1) | instskip(NEXT) | instid1(VALU_DEP_1)
	v_lshrrev_b32_e32 v5, 16, v5
	v_cndmask_b32_e32 v3, 0x7fc0, v5, vcc_lo
.LBB207_1379:
	s_mov_b32 s1, 0
.LBB207_1380:
	s_delay_alu instid0(SALU_CYCLE_1)
	s_and_not1_b32 vcc_lo, exec_lo, s1
	s_cbranch_vccnz .LBB207_1391
; %bb.1381:
	s_cmp_lt_i32 s0, 6
	s_cbranch_scc1 .LBB207_1384
; %bb.1382:
	s_cmp_gt_i32 s0, 6
	s_cbranch_scc0 .LBB207_1385
; %bb.1383:
	global_load_b64 v[14:15], v[12:13], off
	s_mov_b32 s1, 0
	s_wait_loadcnt 0x0
	v_cvt_f32_f64_e32 v3, v[14:15]
	s_delay_alu instid0(VALU_DEP_1) | instskip(SKIP_1) | instid1(VALU_DEP_2)
	v_bfe_u32 v5, v3, 16, 1
	v_cmp_o_f32_e32 vcc_lo, v3, v3
	v_add3_u32 v5, v3, v5, 0x7fff
	s_delay_alu instid0(VALU_DEP_1) | instskip(NEXT) | instid1(VALU_DEP_1)
	v_lshrrev_b32_e32 v5, 16, v5
	v_cndmask_b32_e32 v3, 0x7fc0, v5, vcc_lo
	s_branch .LBB207_1386
.LBB207_1384:
	s_mov_b32 s1, -1
                                        ; implicit-def: $vgpr3
	s_branch .LBB207_1389
.LBB207_1385:
	s_mov_b32 s1, -1
                                        ; implicit-def: $vgpr3
.LBB207_1386:
	s_delay_alu instid0(SALU_CYCLE_1)
	s_and_not1_b32 vcc_lo, exec_lo, s1
	s_cbranch_vccnz .LBB207_1388
; %bb.1387:
	s_wait_loadcnt 0x0
	global_load_b32 v3, v[12:13], off
	s_wait_loadcnt 0x0
	v_bfe_u32 v5, v3, 16, 1
	v_cmp_o_f32_e32 vcc_lo, v3, v3
	s_delay_alu instid0(VALU_DEP_2) | instskip(NEXT) | instid1(VALU_DEP_1)
	v_add3_u32 v5, v3, v5, 0x7fff
	v_lshrrev_b32_e32 v5, 16, v5
	s_delay_alu instid0(VALU_DEP_1)
	v_cndmask_b32_e32 v3, 0x7fc0, v5, vcc_lo
.LBB207_1388:
	s_mov_b32 s1, 0
.LBB207_1389:
	s_delay_alu instid0(SALU_CYCLE_1)
	s_and_not1_b32 vcc_lo, exec_lo, s1
	s_cbranch_vccnz .LBB207_1391
; %bb.1390:
	s_wait_loadcnt 0x0
	global_load_u16 v3, v[12:13], off
	s_wait_loadcnt 0x0
	v_cvt_f32_f16_e32 v5, v3
	v_cmp_o_f16_e32 vcc_lo, v3, v3
	s_delay_alu instid0(VALU_DEP_2) | instskip(NEXT) | instid1(VALU_DEP_1)
	v_bfe_u32 v7, v5, 16, 1
	v_add3_u32 v5, v5, v7, 0x7fff
	s_delay_alu instid0(VALU_DEP_1) | instskip(NEXT) | instid1(VALU_DEP_1)
	v_lshrrev_b32_e32 v5, 16, v5
	v_cndmask_b32_e32 v3, 0x7fc0, v5, vcc_lo
.LBB207_1391:
	s_cbranch_execnz .LBB207_1411
.LBB207_1392:
	s_cmp_lt_i32 s0, 2
	s_cbranch_scc1 .LBB207_1396
; %bb.1393:
	s_cmp_lt_i32 s0, 3
	s_cbranch_scc1 .LBB207_1397
; %bb.1394:
	s_cmp_gt_i32 s0, 3
	s_cbranch_scc0 .LBB207_1398
; %bb.1395:
	global_load_b64 v[14:15], v[12:13], off
	s_mov_b32 s1, 0
	s_wait_loadcnt 0x0
	v_xor_b32_e32 v3, v14, v15
	v_cls_i32_e32 v5, v15
	s_delay_alu instid0(VALU_DEP_2) | instskip(NEXT) | instid1(VALU_DEP_1)
	v_ashrrev_i32_e32 v3, 31, v3
	v_add_nc_u32_e32 v3, 32, v3
	s_delay_alu instid0(VALU_DEP_1) | instskip(NEXT) | instid1(VALU_DEP_1)
	v_add_min_u32_e64 v3, v5, -1, v3
	v_lshlrev_b64_e32 v[14:15], v3, v[14:15]
	v_sub_nc_u32_e32 v3, 32, v3
	s_delay_alu instid0(VALU_DEP_2) | instskip(NEXT) | instid1(VALU_DEP_1)
	v_min_u32_e32 v5, 1, v14
	v_or_b32_e32 v5, v15, v5
	s_delay_alu instid0(VALU_DEP_1) | instskip(NEXT) | instid1(VALU_DEP_1)
	v_cvt_f32_i32_e32 v5, v5
	v_ldexp_f32 v3, v5, v3
	s_delay_alu instid0(VALU_DEP_1) | instskip(NEXT) | instid1(VALU_DEP_1)
	v_bfe_u32 v5, v3, 16, 1
	v_add3_u32 v3, v3, v5, 0x7fff
	s_delay_alu instid0(VALU_DEP_1)
	v_lshrrev_b32_e32 v3, 16, v3
	s_branch .LBB207_1399
.LBB207_1396:
	s_mov_b32 s1, -1
                                        ; implicit-def: $vgpr3
	s_branch .LBB207_1405
.LBB207_1397:
	s_mov_b32 s1, -1
                                        ; implicit-def: $vgpr3
	s_branch .LBB207_1402
.LBB207_1398:
	s_mov_b32 s1, -1
                                        ; implicit-def: $vgpr3
.LBB207_1399:
	s_delay_alu instid0(SALU_CYCLE_1)
	s_and_not1_b32 vcc_lo, exec_lo, s1
	s_cbranch_vccnz .LBB207_1401
; %bb.1400:
	s_wait_loadcnt 0x0
	global_load_b32 v3, v[12:13], off
	s_wait_loadcnt 0x0
	v_cvt_f32_i32_e32 v3, v3
	s_delay_alu instid0(VALU_DEP_1) | instskip(NEXT) | instid1(VALU_DEP_1)
	v_bfe_u32 v5, v3, 16, 1
	v_add3_u32 v3, v3, v5, 0x7fff
	s_delay_alu instid0(VALU_DEP_1)
	v_lshrrev_b32_e32 v3, 16, v3
.LBB207_1401:
	s_mov_b32 s1, 0
.LBB207_1402:
	s_delay_alu instid0(SALU_CYCLE_1)
	s_and_not1_b32 vcc_lo, exec_lo, s1
	s_cbranch_vccnz .LBB207_1404
; %bb.1403:
	s_wait_loadcnt 0x0
	global_load_i16 v3, v[12:13], off
	s_wait_loadcnt 0x0
	v_cvt_f32_i32_e32 v3, v3
	s_delay_alu instid0(VALU_DEP_1) | instskip(NEXT) | instid1(VALU_DEP_1)
	v_bfe_u32 v5, v3, 16, 1
	v_add3_u32 v3, v3, v5, 0x7fff
	s_delay_alu instid0(VALU_DEP_1)
	v_lshrrev_b32_e32 v3, 16, v3
.LBB207_1404:
	s_mov_b32 s1, 0
.LBB207_1405:
	s_delay_alu instid0(SALU_CYCLE_1)
	s_and_not1_b32 vcc_lo, exec_lo, s1
	s_cbranch_vccnz .LBB207_1411
; %bb.1406:
	s_cmp_gt_i32 s0, 0
	s_mov_b32 s1, 0
	s_cbranch_scc0 .LBB207_1408
; %bb.1407:
	s_wait_loadcnt 0x0
	global_load_i8 v3, v[12:13], off
	s_wait_loadcnt 0x0
	v_cvt_f32_i32_e32 v3, v3
	s_delay_alu instid0(VALU_DEP_1) | instskip(NEXT) | instid1(VALU_DEP_1)
	v_bfe_u32 v5, v3, 16, 1
	v_add3_u32 v3, v3, v5, 0x7fff
	s_delay_alu instid0(VALU_DEP_1)
	v_lshrrev_b32_e32 v3, 16, v3
	s_branch .LBB207_1409
.LBB207_1408:
	s_mov_b32 s1, -1
                                        ; implicit-def: $vgpr3
.LBB207_1409:
	s_delay_alu instid0(SALU_CYCLE_1)
	s_and_not1_b32 vcc_lo, exec_lo, s1
	s_cbranch_vccnz .LBB207_1411
; %bb.1410:
	s_wait_loadcnt 0x0
	global_load_u8 v3, v[12:13], off
	s_wait_loadcnt 0x0
	v_cvt_f32_ubyte0_e32 v3, v3
	s_delay_alu instid0(VALU_DEP_1) | instskip(NEXT) | instid1(VALU_DEP_1)
	v_bfe_u32 v5, v3, 16, 1
	v_add3_u32 v3, v3, v5, 0x7fff
	s_delay_alu instid0(VALU_DEP_1)
	v_lshrrev_b32_e32 v3, 16, v3
.LBB207_1411:
.LBB207_1412:
	v_mov_b32_e32 v11, 0
	s_cmp_lt_i32 s0, 11
	s_delay_alu instid0(VALU_DEP_1)
	v_add_nc_u64_e32 v[10:11], s[6:7], v[10:11]
	s_cbranch_scc1 .LBB207_1419
; %bb.1413:
	s_cmp_gt_i32 s0, 25
	s_mov_b32 s2, 0
	s_cbranch_scc0 .LBB207_1421
; %bb.1414:
	s_cmp_gt_i32 s0, 28
	s_cbranch_scc0 .LBB207_1422
; %bb.1415:
	s_cmp_gt_i32 s0, 43
	;; [unrolled: 3-line block ×3, first 2 shown]
	s_cbranch_scc0 .LBB207_1425
; %bb.1417:
	s_cmp_eq_u32 s0, 46
	s_mov_b32 s11, 0
	s_cbranch_scc0 .LBB207_1426
; %bb.1418:
	global_load_b32 v12, v[10:11], off
	s_mov_b32 s1, 0
	s_mov_b32 s10, -1
	s_branch .LBB207_1428
.LBB207_1419:
	s_mov_b32 s10, 0
                                        ; implicit-def: $vgpr12
	s_cbranch_execnz .LBB207_1494
.LBB207_1420:
	s_and_not1_b32 vcc_lo, exec_lo, s10
	s_cbranch_vccnz .LBB207_2105
	s_branch .LBB207_1542
.LBB207_1421:
	s_mov_b32 s11, -1
	s_mov_b32 s10, 0
	s_mov_b32 s1, 0
                                        ; implicit-def: $vgpr12
	s_branch .LBB207_1457
.LBB207_1422:
	s_mov_b32 s11, -1
	s_mov_b32 s10, 0
	s_mov_b32 s1, 0
                                        ; implicit-def: $vgpr12
	s_branch .LBB207_1438
.LBB207_1423:
	s_mov_b32 s11, -1
	s_mov_b32 s10, 0
	s_mov_b32 s1, 0
                                        ; implicit-def: $vgpr12
	s_branch .LBB207_1433
.LBB207_1424:
	s_or_b32 s3, s3, exec_lo
	s_trap 2
	s_cbranch_execz .LBB207_1363
	s_branch .LBB207_1364
.LBB207_1425:
	s_mov_b32 s11, -1
	s_mov_b32 s10, 0
	s_mov_b32 s1, 0
	s_branch .LBB207_1427
.LBB207_1426:
	s_mov_b32 s1, -1
	s_mov_b32 s10, 0
.LBB207_1427:
                                        ; implicit-def: $vgpr12
.LBB207_1428:
	s_and_b32 vcc_lo, exec_lo, s11
	s_cbranch_vccz .LBB207_1432
; %bb.1429:
	s_cmp_eq_u32 s0, 44
	s_cbranch_scc0 .LBB207_1431
; %bb.1430:
	global_load_u8 v5, v[10:11], off
	s_mov_b32 s1, 0
	s_mov_b32 s10, -1
	s_wait_loadcnt 0x0
	v_lshlrev_b32_e32 v7, 23, v5
	v_cmp_ne_u32_e32 vcc_lo, 0xff, v5
	s_delay_alu instid0(VALU_DEP_2) | instskip(SKIP_1) | instid1(VALU_DEP_2)
	v_cndmask_b32_e32 v7, 0x7f800001, v7, vcc_lo
	v_cmp_ne_u32_e32 vcc_lo, 0, v5
	v_cndmask_b32_e32 v5, 0x400000, v7, vcc_lo
	s_delay_alu instid0(VALU_DEP_1) | instskip(SKIP_1) | instid1(VALU_DEP_2)
	v_add_nc_u32_e32 v7, 0x7fff, v5
	v_cmp_o_f32_e32 vcc_lo, v5, v5
	v_lshrrev_b32_e32 v7, 16, v7
	s_wait_xcnt 0x1
	s_delay_alu instid0(VALU_DEP_1)
	v_cndmask_b32_e32 v12, 0x7fc0, v7, vcc_lo
	s_branch .LBB207_1432
.LBB207_1431:
	s_mov_b32 s1, -1
                                        ; implicit-def: $vgpr12
.LBB207_1432:
	s_mov_b32 s11, 0
.LBB207_1433:
	s_delay_alu instid0(SALU_CYCLE_1)
	s_and_b32 vcc_lo, exec_lo, s11
	s_cbranch_vccz .LBB207_1437
; %bb.1434:
	s_cmp_eq_u32 s0, 29
	s_cbranch_scc0 .LBB207_1436
; %bb.1435:
	s_wait_loadcnt 0x0
	global_load_b64 v[12:13], v[10:11], off
	s_mov_b32 s1, 0
	s_mov_b32 s10, -1
	s_mov_b32 s11, 0
	s_wait_loadcnt 0x0
	v_clz_i32_u32_e32 v5, v13
	s_delay_alu instid0(VALU_DEP_1) | instskip(NEXT) | instid1(VALU_DEP_1)
	v_min_u32_e32 v5, 32, v5
	v_lshlrev_b64_e32 v[12:13], v5, v[12:13]
	v_sub_nc_u32_e32 v5, 32, v5
	s_delay_alu instid0(VALU_DEP_2) | instskip(NEXT) | instid1(VALU_DEP_1)
	v_min_u32_e32 v7, 1, v12
	v_or_b32_e32 v7, v13, v7
	s_delay_alu instid0(VALU_DEP_1) | instskip(NEXT) | instid1(VALU_DEP_1)
	v_cvt_f32_u32_e32 v7, v7
	v_ldexp_f32 v5, v7, v5
	s_delay_alu instid0(VALU_DEP_1) | instskip(NEXT) | instid1(VALU_DEP_1)
	v_bfe_u32 v7, v5, 16, 1
	v_add3_u32 v5, v5, v7, 0x7fff
	s_delay_alu instid0(VALU_DEP_1)
	v_lshrrev_b32_e32 v12, 16, v5
	s_branch .LBB207_1438
.LBB207_1436:
	s_mov_b32 s1, -1
                                        ; implicit-def: $vgpr12
.LBB207_1437:
	s_mov_b32 s11, 0
.LBB207_1438:
	s_delay_alu instid0(SALU_CYCLE_1)
	s_and_b32 vcc_lo, exec_lo, s11
	s_cbranch_vccz .LBB207_1456
; %bb.1439:
	s_cmp_lt_i32 s0, 27
	s_cbranch_scc1 .LBB207_1442
; %bb.1440:
	s_cmp_gt_i32 s0, 27
	s_cbranch_scc0 .LBB207_1443
; %bb.1441:
	global_load_b32 v5, v[10:11], off
	s_mov_b32 s10, 0
	s_wait_loadcnt 0x0
	v_cvt_f32_u32_e32 v5, v5
	s_delay_alu instid0(VALU_DEP_1) | instskip(NEXT) | instid1(VALU_DEP_1)
	v_bfe_u32 v7, v5, 16, 1
	v_add3_u32 v5, v5, v7, 0x7fff
	s_wait_xcnt 0x1
	s_delay_alu instid0(VALU_DEP_1)
	v_lshrrev_b32_e32 v12, 16, v5
	s_branch .LBB207_1444
.LBB207_1442:
	s_mov_b32 s10, -1
                                        ; implicit-def: $vgpr12
	s_branch .LBB207_1447
.LBB207_1443:
	s_mov_b32 s10, -1
                                        ; implicit-def: $vgpr12
.LBB207_1444:
	s_delay_alu instid0(SALU_CYCLE_1)
	s_and_not1_b32 vcc_lo, exec_lo, s10
	s_cbranch_vccnz .LBB207_1446
; %bb.1445:
	global_load_u16 v5, v[10:11], off
	s_wait_loadcnt 0x0
	v_cvt_f32_u32_e32 v5, v5
	s_delay_alu instid0(VALU_DEP_1) | instskip(NEXT) | instid1(VALU_DEP_1)
	v_bfe_u32 v7, v5, 16, 1
	v_add3_u32 v5, v5, v7, 0x7fff
	s_wait_xcnt 0x1
	s_delay_alu instid0(VALU_DEP_1)
	v_lshrrev_b32_e32 v12, 16, v5
.LBB207_1446:
	s_mov_b32 s10, 0
.LBB207_1447:
	s_delay_alu instid0(SALU_CYCLE_1)
	s_and_not1_b32 vcc_lo, exec_lo, s10
	s_cbranch_vccnz .LBB207_1455
; %bb.1448:
	global_load_u8 v5, v[10:11], off
	s_mov_b32 s10, 0
	s_mov_b32 s11, exec_lo
	s_wait_loadcnt 0x0
	v_cmpx_lt_i16_e32 0x7f, v5
	s_xor_b32 s11, exec_lo, s11
	s_cbranch_execz .LBB207_1469
; %bb.1449:
	s_mov_b32 s10, -1
	s_mov_b32 s12, exec_lo
	v_cmpx_eq_u16_e32 0x80, v5
; %bb.1450:
	s_xor_b32 s10, exec_lo, -1
; %bb.1451:
	s_or_b32 exec_lo, exec_lo, s12
	s_delay_alu instid0(SALU_CYCLE_1)
	s_and_b32 s10, s10, exec_lo
	s_or_saveexec_b32 s11, s11
	v_mov_b32_e32 v7, 0x7f800001
	s_xor_b32 exec_lo, exec_lo, s11
	s_cbranch_execnz .LBB207_1470
.LBB207_1452:
	s_or_b32 exec_lo, exec_lo, s11
	s_and_saveexec_b32 s11, s10
	s_cbranch_execz .LBB207_1454
.LBB207_1453:
	v_and_b32_e32 v7, 0xffff, v5
	s_delay_alu instid0(VALU_DEP_1) | instskip(SKIP_1) | instid1(VALU_DEP_2)
	v_and_b32_e32 v9, 7, v7
	v_bfe_u32 v14, v7, 3, 4
	v_clz_i32_u32_e32 v12, v9
	s_delay_alu instid0(VALU_DEP_2) | instskip(NEXT) | instid1(VALU_DEP_2)
	v_cmp_eq_u32_e32 vcc_lo, 0, v14
	v_min_u32_e32 v12, 32, v12
	s_delay_alu instid0(VALU_DEP_1) | instskip(NEXT) | instid1(VALU_DEP_1)
	v_subrev_nc_u32_e32 v13, 28, v12
	v_dual_lshlrev_b32 v7, v13, v7 :: v_dual_sub_nc_u32 v12, 29, v12
	s_delay_alu instid0(VALU_DEP_1) | instskip(NEXT) | instid1(VALU_DEP_1)
	v_dual_lshlrev_b32 v5, 24, v5 :: v_dual_bitop2_b32 v7, 7, v7 bitop3:0x40
	v_dual_cndmask_b32 v12, v14, v12 :: v_dual_cndmask_b32 v7, v9, v7
	s_delay_alu instid0(VALU_DEP_2) | instskip(NEXT) | instid1(VALU_DEP_2)
	v_and_b32_e32 v5, 0x80000000, v5
	v_lshl_add_u32 v9, v12, 23, 0x3b800000
	s_delay_alu instid0(VALU_DEP_3) | instskip(NEXT) | instid1(VALU_DEP_1)
	v_lshlrev_b32_e32 v7, 20, v7
	v_or3_b32 v7, v5, v9, v7
.LBB207_1454:
	s_or_b32 exec_lo, exec_lo, s11
	s_delay_alu instid0(VALU_DEP_1) | instskip(SKIP_1) | instid1(VALU_DEP_2)
	v_bfe_u32 v5, v7, 16, 1
	v_cmp_o_f32_e32 vcc_lo, v7, v7
	v_add3_u32 v5, v7, v5, 0x7fff
	s_delay_alu instid0(VALU_DEP_1) | instskip(NEXT) | instid1(VALU_DEP_1)
	v_lshrrev_b32_e32 v5, 16, v5
	v_cndmask_b32_e32 v12, 0x7fc0, v5, vcc_lo
.LBB207_1455:
	s_mov_b32 s10, -1
.LBB207_1456:
	s_mov_b32 s11, 0
.LBB207_1457:
	s_delay_alu instid0(SALU_CYCLE_1)
	s_and_b32 vcc_lo, exec_lo, s11
	s_cbranch_vccz .LBB207_1490
; %bb.1458:
	s_cmp_gt_i32 s0, 22
	s_cbranch_scc0 .LBB207_1468
; %bb.1459:
	s_cmp_lt_i32 s0, 24
	s_cbranch_scc1 .LBB207_1471
; %bb.1460:
	s_cmp_gt_i32 s0, 24
	s_cbranch_scc0 .LBB207_1472
; %bb.1461:
	global_load_u8 v5, v[10:11], off
	s_mov_b32 s10, exec_lo
	s_wait_loadcnt 0x0
	v_cmpx_lt_i16_e32 0x7f, v5
	s_xor_b32 s10, exec_lo, s10
	s_cbranch_execz .LBB207_1484
; %bb.1462:
	s_mov_b32 s2, -1
	s_mov_b32 s11, exec_lo
	v_cmpx_eq_u16_e32 0x80, v5
; %bb.1463:
	s_xor_b32 s2, exec_lo, -1
; %bb.1464:
	s_or_b32 exec_lo, exec_lo, s11
	s_delay_alu instid0(SALU_CYCLE_1)
	s_and_b32 s2, s2, exec_lo
	s_or_saveexec_b32 s10, s10
	v_mov_b32_e32 v7, 0x7f800001
	s_xor_b32 exec_lo, exec_lo, s10
	s_cbranch_execnz .LBB207_1485
.LBB207_1465:
	s_or_b32 exec_lo, exec_lo, s10
	s_and_saveexec_b32 s10, s2
	s_cbranch_execz .LBB207_1467
.LBB207_1466:
	v_and_b32_e32 v7, 0xffff, v5
	s_delay_alu instid0(VALU_DEP_1) | instskip(SKIP_1) | instid1(VALU_DEP_2)
	v_and_b32_e32 v9, 3, v7
	v_bfe_u32 v14, v7, 2, 5
	v_clz_i32_u32_e32 v12, v9
	s_delay_alu instid0(VALU_DEP_2) | instskip(NEXT) | instid1(VALU_DEP_2)
	v_cmp_eq_u32_e32 vcc_lo, 0, v14
	v_min_u32_e32 v12, 32, v12
	s_delay_alu instid0(VALU_DEP_1) | instskip(NEXT) | instid1(VALU_DEP_1)
	v_subrev_nc_u32_e32 v13, 29, v12
	v_dual_lshlrev_b32 v7, v13, v7 :: v_dual_sub_nc_u32 v12, 30, v12
	s_delay_alu instid0(VALU_DEP_1) | instskip(NEXT) | instid1(VALU_DEP_1)
	v_dual_lshlrev_b32 v5, 24, v5 :: v_dual_bitop2_b32 v7, 3, v7 bitop3:0x40
	v_dual_cndmask_b32 v12, v14, v12 :: v_dual_cndmask_b32 v7, v9, v7
	s_delay_alu instid0(VALU_DEP_2) | instskip(NEXT) | instid1(VALU_DEP_2)
	v_and_b32_e32 v5, 0x80000000, v5
	v_lshl_add_u32 v9, v12, 23, 0x37800000
	s_delay_alu instid0(VALU_DEP_3) | instskip(NEXT) | instid1(VALU_DEP_1)
	v_lshlrev_b32_e32 v7, 21, v7
	v_or3_b32 v7, v5, v9, v7
.LBB207_1467:
	s_or_b32 exec_lo, exec_lo, s10
	s_delay_alu instid0(VALU_DEP_1) | instskip(SKIP_2) | instid1(VALU_DEP_2)
	v_bfe_u32 v5, v7, 16, 1
	v_cmp_o_f32_e32 vcc_lo, v7, v7
	s_mov_b32 s2, 0
	v_add3_u32 v5, v7, v5, 0x7fff
	s_delay_alu instid0(VALU_DEP_1) | instskip(NEXT) | instid1(VALU_DEP_1)
	v_lshrrev_b32_e32 v5, 16, v5
	v_cndmask_b32_e32 v12, 0x7fc0, v5, vcc_lo
	s_branch .LBB207_1473
.LBB207_1468:
	s_mov_b32 s2, -1
                                        ; implicit-def: $vgpr12
	s_branch .LBB207_1479
.LBB207_1469:
	s_or_saveexec_b32 s11, s11
	v_mov_b32_e32 v7, 0x7f800001
	s_xor_b32 exec_lo, exec_lo, s11
	s_cbranch_execz .LBB207_1452
.LBB207_1470:
	v_cmp_ne_u16_e32 vcc_lo, 0, v5
	v_mov_b32_e32 v7, 0
	s_and_not1_b32 s10, s10, exec_lo
	s_and_b32 s12, vcc_lo, exec_lo
	s_delay_alu instid0(SALU_CYCLE_1)
	s_or_b32 s10, s10, s12
	s_or_b32 exec_lo, exec_lo, s11
	s_and_saveexec_b32 s11, s10
	s_cbranch_execnz .LBB207_1453
	s_branch .LBB207_1454
.LBB207_1471:
	s_mov_b32 s2, -1
                                        ; implicit-def: $vgpr12
	s_branch .LBB207_1476
.LBB207_1472:
	s_mov_b32 s2, -1
                                        ; implicit-def: $vgpr12
.LBB207_1473:
	s_delay_alu instid0(SALU_CYCLE_1)
	s_and_b32 vcc_lo, exec_lo, s2
	s_cbranch_vccz .LBB207_1475
; %bb.1474:
	global_load_u8 v5, v[10:11], off
	s_wait_loadcnt 0x0
	v_lshlrev_b32_e32 v5, 24, v5
	s_delay_alu instid0(VALU_DEP_1) | instskip(NEXT) | instid1(VALU_DEP_1)
	v_and_b32_e32 v7, 0x7f000000, v5
	v_clz_i32_u32_e32 v9, v7
	s_wait_xcnt 0x1
	v_add_nc_u32_e32 v13, 0x1000000, v7
	v_cmp_ne_u32_e32 vcc_lo, 0, v7
	s_delay_alu instid0(VALU_DEP_3) | instskip(NEXT) | instid1(VALU_DEP_1)
	v_min_u32_e32 v9, 32, v9
	v_sub_nc_u32_e64 v9, v9, 4 clamp
	s_delay_alu instid0(VALU_DEP_1) | instskip(NEXT) | instid1(VALU_DEP_1)
	v_dual_lshlrev_b32 v12, v9, v7 :: v_dual_lshlrev_b32 v9, 23, v9
	v_lshrrev_b32_e32 v12, 4, v12
	s_delay_alu instid0(VALU_DEP_1) | instskip(SKIP_1) | instid1(VALU_DEP_2)
	v_sub_nc_u32_e32 v9, v12, v9
	v_ashrrev_i32_e32 v12, 8, v13
	v_add_nc_u32_e32 v9, 0x3c000000, v9
	s_delay_alu instid0(VALU_DEP_1) | instskip(NEXT) | instid1(VALU_DEP_1)
	v_and_or_b32 v9, 0x7f800000, v12, v9
	v_cndmask_b32_e32 v7, 0, v9, vcc_lo
	s_delay_alu instid0(VALU_DEP_1) | instskip(SKIP_1) | instid1(VALU_DEP_2)
	v_and_or_b32 v5, 0x80000000, v5, v7
	v_bfe_u32 v7, v7, 16, 1
	v_cmp_o_f32_e32 vcc_lo, v5, v5
	s_delay_alu instid0(VALU_DEP_2) | instskip(NEXT) | instid1(VALU_DEP_1)
	v_add3_u32 v7, v5, v7, 0x7fff
	v_lshrrev_b32_e32 v7, 16, v7
	s_delay_alu instid0(VALU_DEP_1)
	v_cndmask_b32_e32 v12, 0x7fc0, v7, vcc_lo
.LBB207_1475:
	s_mov_b32 s2, 0
.LBB207_1476:
	s_delay_alu instid0(SALU_CYCLE_1)
	s_and_not1_b32 vcc_lo, exec_lo, s2
	s_cbranch_vccnz .LBB207_1478
; %bb.1477:
	global_load_u8 v5, v[10:11], off
	s_wait_loadcnt 0x0
	v_lshlrev_b32_e32 v7, 25, v5
	v_lshlrev_b16 v5, 8, v5
	s_wait_xcnt 0x1
	s_delay_alu instid0(VALU_DEP_1) | instskip(SKIP_1) | instid1(VALU_DEP_2)
	v_and_or_b32 v12, 0x7f00, v5, 0.5
	v_bfe_i32 v5, v5, 0, 16
	v_dual_add_f32 v12, -0.5, v12 :: v_dual_lshrrev_b32 v9, 4, v7
	v_cmp_gt_u32_e32 vcc_lo, 0x8000000, v7
	s_delay_alu instid0(VALU_DEP_2) | instskip(NEXT) | instid1(VALU_DEP_1)
	v_or_b32_e32 v9, 0x70000000, v9
	v_mul_f32_e32 v9, 0x7800000, v9
	s_delay_alu instid0(VALU_DEP_1) | instskip(NEXT) | instid1(VALU_DEP_1)
	v_cndmask_b32_e32 v7, v9, v12, vcc_lo
	v_and_or_b32 v5, 0x80000000, v5, v7
	v_bfe_u32 v7, v7, 16, 1
	s_delay_alu instid0(VALU_DEP_2) | instskip(NEXT) | instid1(VALU_DEP_2)
	v_cmp_o_f32_e32 vcc_lo, v5, v5
	v_add3_u32 v7, v5, v7, 0x7fff
	s_delay_alu instid0(VALU_DEP_1) | instskip(NEXT) | instid1(VALU_DEP_1)
	v_lshrrev_b32_e32 v7, 16, v7
	v_cndmask_b32_e32 v12, 0x7fc0, v7, vcc_lo
.LBB207_1478:
	s_mov_b32 s2, 0
	s_mov_b32 s10, -1
.LBB207_1479:
	s_and_not1_b32 vcc_lo, exec_lo, s2
	s_mov_b32 s2, 0
	s_cbranch_vccnz .LBB207_1490
; %bb.1480:
	s_cmp_gt_i32 s0, 14
	s_cbranch_scc0 .LBB207_1483
; %bb.1481:
	s_cmp_eq_u32 s0, 15
	s_cbranch_scc0 .LBB207_1486
; %bb.1482:
	s_wait_loadcnt 0x0
	global_load_u16 v12, v[10:11], off
	s_mov_b32 s1, 0
	s_mov_b32 s10, -1
	s_branch .LBB207_1488
.LBB207_1483:
	s_mov_b32 s2, -1
	s_branch .LBB207_1487
.LBB207_1484:
	s_or_saveexec_b32 s10, s10
	v_mov_b32_e32 v7, 0x7f800001
	s_xor_b32 exec_lo, exec_lo, s10
	s_cbranch_execz .LBB207_1465
.LBB207_1485:
	v_cmp_ne_u16_e32 vcc_lo, 0, v5
	v_mov_b32_e32 v7, 0
	s_and_not1_b32 s2, s2, exec_lo
	s_and_b32 s11, vcc_lo, exec_lo
	s_delay_alu instid0(SALU_CYCLE_1)
	s_or_b32 s2, s2, s11
	s_or_b32 exec_lo, exec_lo, s10
	s_and_saveexec_b32 s10, s2
	s_cbranch_execnz .LBB207_1466
	s_branch .LBB207_1467
.LBB207_1486:
	s_mov_b32 s1, -1
.LBB207_1487:
                                        ; implicit-def: $vgpr12
.LBB207_1488:
	s_and_b32 vcc_lo, exec_lo, s2
	s_mov_b32 s2, 0
	s_cbranch_vccz .LBB207_1490
; %bb.1489:
	s_cmp_lg_u32 s0, 11
	s_mov_b32 s2, -1
	s_cselect_b32 s1, -1, 0
.LBB207_1490:
	s_delay_alu instid0(SALU_CYCLE_1)
	s_and_b32 vcc_lo, exec_lo, s1
	s_cbranch_vccnz .LBB207_1553
; %bb.1491:
	s_and_not1_b32 vcc_lo, exec_lo, s2
	s_cbranch_vccnz .LBB207_1493
.LBB207_1492:
	global_load_u8 v5, v[10:11], off
	s_mov_b32 s10, -1
	s_wait_loadcnt 0x0
	v_cmp_ne_u16_e32 vcc_lo, 0, v5
	v_cndmask_b32_e64 v5, 0, 1.0, vcc_lo
	s_wait_xcnt 0x1
	s_delay_alu instid0(VALU_DEP_1)
	v_lshrrev_b32_e32 v12, 16, v5
.LBB207_1493:
	s_branch .LBB207_1420
.LBB207_1494:
	s_cmp_lt_i32 s0, 5
	s_cbranch_scc1 .LBB207_1499
; %bb.1495:
	s_cmp_lt_i32 s0, 8
	s_cbranch_scc1 .LBB207_1500
; %bb.1496:
	;; [unrolled: 3-line block ×3, first 2 shown]
	s_cmp_gt_i32 s0, 9
	s_cbranch_scc0 .LBB207_1502
; %bb.1498:
	s_wait_loadcnt 0x0
	global_load_b64 v[12:13], v[10:11], off
	s_mov_b32 s1, 0
	s_wait_loadcnt 0x0
	v_cvt_f32_f64_e32 v5, v[12:13]
	s_delay_alu instid0(VALU_DEP_1) | instskip(SKIP_1) | instid1(VALU_DEP_2)
	v_bfe_u32 v7, v5, 16, 1
	v_cmp_o_f32_e32 vcc_lo, v5, v5
	v_add3_u32 v7, v5, v7, 0x7fff
	s_delay_alu instid0(VALU_DEP_1) | instskip(NEXT) | instid1(VALU_DEP_1)
	v_lshrrev_b32_e32 v7, 16, v7
	v_cndmask_b32_e32 v12, 0x7fc0, v7, vcc_lo
	s_branch .LBB207_1503
.LBB207_1499:
	s_mov_b32 s1, -1
                                        ; implicit-def: $vgpr12
	s_branch .LBB207_1521
.LBB207_1500:
	s_mov_b32 s1, -1
                                        ; implicit-def: $vgpr12
	s_branch .LBB207_1509
.LBB207_1501:
	s_mov_b32 s1, -1
                                        ; implicit-def: $vgpr12
	s_branch .LBB207_1506
.LBB207_1502:
	s_mov_b32 s1, -1
                                        ; implicit-def: $vgpr12
.LBB207_1503:
	s_delay_alu instid0(SALU_CYCLE_1)
	s_and_not1_b32 vcc_lo, exec_lo, s1
	s_cbranch_vccnz .LBB207_1505
; %bb.1504:
	global_load_b32 v5, v[10:11], off
	s_wait_loadcnt 0x0
	v_bfe_u32 v7, v5, 16, 1
	v_cmp_o_f32_e32 vcc_lo, v5, v5
	s_delay_alu instid0(VALU_DEP_2) | instskip(NEXT) | instid1(VALU_DEP_1)
	v_add3_u32 v7, v5, v7, 0x7fff
	v_lshrrev_b32_e32 v7, 16, v7
	s_wait_xcnt 0x1
	s_delay_alu instid0(VALU_DEP_1)
	v_cndmask_b32_e32 v12, 0x7fc0, v7, vcc_lo
.LBB207_1505:
	s_mov_b32 s1, 0
.LBB207_1506:
	s_delay_alu instid0(SALU_CYCLE_1)
	s_and_not1_b32 vcc_lo, exec_lo, s1
	s_cbranch_vccnz .LBB207_1508
; %bb.1507:
	global_load_b32 v5, v[10:11], off
	s_wait_loadcnt 0x0
	v_cvt_f32_f16_e32 v7, v5
	v_cmp_o_f16_e32 vcc_lo, v5, v5
	s_delay_alu instid0(VALU_DEP_2) | instskip(NEXT) | instid1(VALU_DEP_1)
	v_bfe_u32 v9, v7, 16, 1
	v_add3_u32 v7, v7, v9, 0x7fff
	s_delay_alu instid0(VALU_DEP_1) | instskip(SKIP_1) | instid1(VALU_DEP_1)
	v_lshrrev_b32_e32 v7, 16, v7
	s_wait_xcnt 0x1
	v_cndmask_b32_e32 v12, 0x7fc0, v7, vcc_lo
.LBB207_1508:
	s_mov_b32 s1, 0
.LBB207_1509:
	s_delay_alu instid0(SALU_CYCLE_1)
	s_and_not1_b32 vcc_lo, exec_lo, s1
	s_cbranch_vccnz .LBB207_1520
; %bb.1510:
	s_cmp_lt_i32 s0, 6
	s_cbranch_scc1 .LBB207_1513
; %bb.1511:
	s_cmp_gt_i32 s0, 6
	s_cbranch_scc0 .LBB207_1514
; %bb.1512:
	s_wait_loadcnt 0x0
	global_load_b64 v[12:13], v[10:11], off
	s_mov_b32 s1, 0
	s_wait_loadcnt 0x0
	v_cvt_f32_f64_e32 v5, v[12:13]
	s_delay_alu instid0(VALU_DEP_1) | instskip(SKIP_1) | instid1(VALU_DEP_2)
	v_bfe_u32 v7, v5, 16, 1
	v_cmp_o_f32_e32 vcc_lo, v5, v5
	v_add3_u32 v7, v5, v7, 0x7fff
	s_delay_alu instid0(VALU_DEP_1) | instskip(NEXT) | instid1(VALU_DEP_1)
	v_lshrrev_b32_e32 v7, 16, v7
	v_cndmask_b32_e32 v12, 0x7fc0, v7, vcc_lo
	s_branch .LBB207_1515
.LBB207_1513:
	s_mov_b32 s1, -1
                                        ; implicit-def: $vgpr12
	s_branch .LBB207_1518
.LBB207_1514:
	s_mov_b32 s1, -1
                                        ; implicit-def: $vgpr12
.LBB207_1515:
	s_delay_alu instid0(SALU_CYCLE_1)
	s_and_not1_b32 vcc_lo, exec_lo, s1
	s_cbranch_vccnz .LBB207_1517
; %bb.1516:
	global_load_b32 v5, v[10:11], off
	s_wait_loadcnt 0x0
	v_bfe_u32 v7, v5, 16, 1
	v_cmp_o_f32_e32 vcc_lo, v5, v5
	s_delay_alu instid0(VALU_DEP_2) | instskip(NEXT) | instid1(VALU_DEP_1)
	v_add3_u32 v7, v5, v7, 0x7fff
	v_lshrrev_b32_e32 v7, 16, v7
	s_wait_xcnt 0x1
	s_delay_alu instid0(VALU_DEP_1)
	v_cndmask_b32_e32 v12, 0x7fc0, v7, vcc_lo
.LBB207_1517:
	s_mov_b32 s1, 0
.LBB207_1518:
	s_delay_alu instid0(SALU_CYCLE_1)
	s_and_not1_b32 vcc_lo, exec_lo, s1
	s_cbranch_vccnz .LBB207_1520
; %bb.1519:
	global_load_u16 v5, v[10:11], off
	s_wait_loadcnt 0x0
	v_cvt_f32_f16_e32 v7, v5
	v_cmp_o_f16_e32 vcc_lo, v5, v5
	s_delay_alu instid0(VALU_DEP_2) | instskip(NEXT) | instid1(VALU_DEP_1)
	v_bfe_u32 v9, v7, 16, 1
	v_add3_u32 v7, v7, v9, 0x7fff
	s_delay_alu instid0(VALU_DEP_1) | instskip(SKIP_1) | instid1(VALU_DEP_1)
	v_lshrrev_b32_e32 v7, 16, v7
	s_wait_xcnt 0x1
	v_cndmask_b32_e32 v12, 0x7fc0, v7, vcc_lo
.LBB207_1520:
	s_mov_b32 s1, 0
.LBB207_1521:
	s_delay_alu instid0(SALU_CYCLE_1)
	s_and_not1_b32 vcc_lo, exec_lo, s1
	s_cbranch_vccnz .LBB207_1541
; %bb.1522:
	s_cmp_lt_i32 s0, 2
	s_cbranch_scc1 .LBB207_1526
; %bb.1523:
	s_cmp_lt_i32 s0, 3
	s_cbranch_scc1 .LBB207_1527
; %bb.1524:
	s_cmp_gt_i32 s0, 3
	s_cbranch_scc0 .LBB207_1528
; %bb.1525:
	s_wait_loadcnt 0x0
	global_load_b64 v[12:13], v[10:11], off
	s_mov_b32 s1, 0
	s_wait_loadcnt 0x0
	v_xor_b32_e32 v5, v12, v13
	v_cls_i32_e32 v7, v13
	s_delay_alu instid0(VALU_DEP_2) | instskip(NEXT) | instid1(VALU_DEP_1)
	v_ashrrev_i32_e32 v5, 31, v5
	v_add_nc_u32_e32 v5, 32, v5
	s_delay_alu instid0(VALU_DEP_1) | instskip(NEXT) | instid1(VALU_DEP_1)
	v_add_min_u32_e64 v5, v7, -1, v5
	v_lshlrev_b64_e32 v[12:13], v5, v[12:13]
	v_sub_nc_u32_e32 v5, 32, v5
	s_delay_alu instid0(VALU_DEP_2) | instskip(NEXT) | instid1(VALU_DEP_1)
	v_min_u32_e32 v7, 1, v12
	v_or_b32_e32 v7, v13, v7
	s_delay_alu instid0(VALU_DEP_1) | instskip(NEXT) | instid1(VALU_DEP_1)
	v_cvt_f32_i32_e32 v7, v7
	v_ldexp_f32 v5, v7, v5
	s_delay_alu instid0(VALU_DEP_1) | instskip(NEXT) | instid1(VALU_DEP_1)
	v_bfe_u32 v7, v5, 16, 1
	v_add3_u32 v5, v5, v7, 0x7fff
	s_delay_alu instid0(VALU_DEP_1)
	v_lshrrev_b32_e32 v12, 16, v5
	s_branch .LBB207_1529
.LBB207_1526:
	s_mov_b32 s1, -1
                                        ; implicit-def: $vgpr12
	s_branch .LBB207_1535
.LBB207_1527:
	s_mov_b32 s1, -1
                                        ; implicit-def: $vgpr12
	s_branch .LBB207_1532
.LBB207_1528:
	s_mov_b32 s1, -1
                                        ; implicit-def: $vgpr12
.LBB207_1529:
	s_delay_alu instid0(SALU_CYCLE_1)
	s_and_not1_b32 vcc_lo, exec_lo, s1
	s_cbranch_vccnz .LBB207_1531
; %bb.1530:
	global_load_b32 v5, v[10:11], off
	s_wait_loadcnt 0x0
	v_cvt_f32_i32_e32 v5, v5
	s_delay_alu instid0(VALU_DEP_1) | instskip(NEXT) | instid1(VALU_DEP_1)
	v_bfe_u32 v7, v5, 16, 1
	v_add3_u32 v5, v5, v7, 0x7fff
	s_wait_xcnt 0x1
	s_delay_alu instid0(VALU_DEP_1)
	v_lshrrev_b32_e32 v12, 16, v5
.LBB207_1531:
	s_mov_b32 s1, 0
.LBB207_1532:
	s_delay_alu instid0(SALU_CYCLE_1)
	s_and_not1_b32 vcc_lo, exec_lo, s1
	s_cbranch_vccnz .LBB207_1534
; %bb.1533:
	global_load_i16 v5, v[10:11], off
	s_wait_loadcnt 0x0
	v_cvt_f32_i32_e32 v5, v5
	s_delay_alu instid0(VALU_DEP_1) | instskip(NEXT) | instid1(VALU_DEP_1)
	v_bfe_u32 v7, v5, 16, 1
	v_add3_u32 v5, v5, v7, 0x7fff
	s_wait_xcnt 0x1
	s_delay_alu instid0(VALU_DEP_1)
	v_lshrrev_b32_e32 v12, 16, v5
.LBB207_1534:
	s_mov_b32 s1, 0
.LBB207_1535:
	s_delay_alu instid0(SALU_CYCLE_1)
	s_and_not1_b32 vcc_lo, exec_lo, s1
	s_cbranch_vccnz .LBB207_1541
; %bb.1536:
	s_cmp_gt_i32 s0, 0
	s_mov_b32 s1, 0
	s_cbranch_scc0 .LBB207_1538
; %bb.1537:
	global_load_i8 v5, v[10:11], off
	s_wait_loadcnt 0x0
	v_cvt_f32_i32_e32 v5, v5
	s_delay_alu instid0(VALU_DEP_1) | instskip(NEXT) | instid1(VALU_DEP_1)
	v_bfe_u32 v7, v5, 16, 1
	v_add3_u32 v5, v5, v7, 0x7fff
	s_wait_xcnt 0x1
	s_delay_alu instid0(VALU_DEP_1)
	v_lshrrev_b32_e32 v12, 16, v5
	s_branch .LBB207_1539
.LBB207_1538:
	s_mov_b32 s1, -1
                                        ; implicit-def: $vgpr12
.LBB207_1539:
	s_delay_alu instid0(SALU_CYCLE_1)
	s_and_not1_b32 vcc_lo, exec_lo, s1
	s_cbranch_vccnz .LBB207_1541
; %bb.1540:
	global_load_u8 v5, v[10:11], off
	s_wait_loadcnt 0x0
	v_cvt_f32_ubyte0_e32 v5, v5
	s_delay_alu instid0(VALU_DEP_1) | instskip(NEXT) | instid1(VALU_DEP_1)
	v_bfe_u32 v7, v5, 16, 1
	v_add3_u32 v5, v5, v7, 0x7fff
	s_wait_xcnt 0x1
	s_delay_alu instid0(VALU_DEP_1)
	v_lshrrev_b32_e32 v12, 16, v5
.LBB207_1541:
.LBB207_1542:
	v_mov_b32_e32 v9, 0
	s_cmp_lt_i32 s0, 11
	s_delay_alu instid0(VALU_DEP_1)
	v_add_nc_u64_e32 v[8:9], s[6:7], v[8:9]
	s_cbranch_scc1 .LBB207_1549
; %bb.1543:
	s_cmp_gt_i32 s0, 25
	s_mov_b32 s2, 0
	s_cbranch_scc0 .LBB207_1550
; %bb.1544:
	s_cmp_gt_i32 s0, 28
	s_cbranch_scc0 .LBB207_1551
; %bb.1545:
	s_cmp_gt_i32 s0, 43
	;; [unrolled: 3-line block ×3, first 2 shown]
	s_cbranch_scc0 .LBB207_1554
; %bb.1547:
	s_cmp_eq_u32 s0, 46
	s_mov_b32 s7, 0
	s_cbranch_scc0 .LBB207_1555
; %bb.1548:
	global_load_b32 v10, v[8:9], off
	s_mov_b32 s1, 0
	s_mov_b32 s6, -1
	s_branch .LBB207_1557
.LBB207_1549:
	s_mov_b32 s1, -1
	s_mov_b32 s6, 0
                                        ; implicit-def: $vgpr10
	s_branch .LBB207_1623
.LBB207_1550:
	s_mov_b32 s7, -1
	s_mov_b32 s6, 0
	s_mov_b32 s1, 0
                                        ; implicit-def: $vgpr10
	s_branch .LBB207_1586
.LBB207_1551:
	s_mov_b32 s7, -1
	s_mov_b32 s6, 0
	s_mov_b32 s1, 0
                                        ; implicit-def: $vgpr10
	s_branch .LBB207_1567
.LBB207_1552:
	s_mov_b32 s7, -1
	s_mov_b32 s6, 0
	s_mov_b32 s1, 0
                                        ; implicit-def: $vgpr10
	s_branch .LBB207_1562
.LBB207_1553:
	s_or_b32 s3, s3, exec_lo
	s_trap 2
	s_cbranch_execz .LBB207_1492
	s_branch .LBB207_1493
.LBB207_1554:
	s_mov_b32 s7, -1
	s_mov_b32 s6, 0
	s_mov_b32 s1, 0
	s_branch .LBB207_1556
.LBB207_1555:
	s_mov_b32 s1, -1
	s_mov_b32 s6, 0
.LBB207_1556:
                                        ; implicit-def: $vgpr10
.LBB207_1557:
	s_and_b32 vcc_lo, exec_lo, s7
	s_cbranch_vccz .LBB207_1561
; %bb.1558:
	s_cmp_eq_u32 s0, 44
	s_cbranch_scc0 .LBB207_1560
; %bb.1559:
	global_load_u8 v5, v[8:9], off
	s_mov_b32 s1, 0
	s_mov_b32 s6, -1
	s_wait_loadcnt 0x0
	v_lshlrev_b32_e32 v7, 23, v5
	v_cmp_ne_u32_e32 vcc_lo, 0xff, v5
	s_delay_alu instid0(VALU_DEP_2) | instskip(SKIP_1) | instid1(VALU_DEP_2)
	v_cndmask_b32_e32 v7, 0x7f800001, v7, vcc_lo
	v_cmp_ne_u32_e32 vcc_lo, 0, v5
	v_cndmask_b32_e32 v5, 0x400000, v7, vcc_lo
	s_delay_alu instid0(VALU_DEP_1) | instskip(SKIP_1) | instid1(VALU_DEP_2)
	v_add_nc_u32_e32 v7, 0x7fff, v5
	v_cmp_o_f32_e32 vcc_lo, v5, v5
	v_lshrrev_b32_e32 v7, 16, v7
	s_wait_xcnt 0x1
	s_delay_alu instid0(VALU_DEP_1)
	v_cndmask_b32_e32 v10, 0x7fc0, v7, vcc_lo
	s_branch .LBB207_1561
.LBB207_1560:
	s_mov_b32 s1, -1
                                        ; implicit-def: $vgpr10
.LBB207_1561:
	s_mov_b32 s7, 0
.LBB207_1562:
	s_delay_alu instid0(SALU_CYCLE_1)
	s_and_b32 vcc_lo, exec_lo, s7
	s_cbranch_vccz .LBB207_1566
; %bb.1563:
	s_cmp_eq_u32 s0, 29
	s_cbranch_scc0 .LBB207_1565
; %bb.1564:
	s_wait_loadcnt 0x0
	global_load_b64 v[10:11], v[8:9], off
	s_mov_b32 s1, 0
	s_mov_b32 s6, -1
	s_mov_b32 s7, 0
	s_wait_loadcnt 0x0
	v_clz_i32_u32_e32 v5, v11
	s_delay_alu instid0(VALU_DEP_1) | instskip(NEXT) | instid1(VALU_DEP_1)
	v_min_u32_e32 v5, 32, v5
	v_lshlrev_b64_e32 v[10:11], v5, v[10:11]
	v_sub_nc_u32_e32 v5, 32, v5
	s_delay_alu instid0(VALU_DEP_2) | instskip(NEXT) | instid1(VALU_DEP_1)
	v_min_u32_e32 v7, 1, v10
	v_or_b32_e32 v7, v11, v7
	s_delay_alu instid0(VALU_DEP_1) | instskip(NEXT) | instid1(VALU_DEP_1)
	v_cvt_f32_u32_e32 v7, v7
	v_ldexp_f32 v5, v7, v5
	s_delay_alu instid0(VALU_DEP_1) | instskip(NEXT) | instid1(VALU_DEP_1)
	v_bfe_u32 v7, v5, 16, 1
	v_add3_u32 v5, v5, v7, 0x7fff
	s_delay_alu instid0(VALU_DEP_1)
	v_lshrrev_b32_e32 v10, 16, v5
	s_branch .LBB207_1567
.LBB207_1565:
	s_mov_b32 s1, -1
                                        ; implicit-def: $vgpr10
.LBB207_1566:
	s_mov_b32 s7, 0
.LBB207_1567:
	s_delay_alu instid0(SALU_CYCLE_1)
	s_and_b32 vcc_lo, exec_lo, s7
	s_cbranch_vccz .LBB207_1585
; %bb.1568:
	s_cmp_lt_i32 s0, 27
	s_cbranch_scc1 .LBB207_1571
; %bb.1569:
	s_cmp_gt_i32 s0, 27
	s_cbranch_scc0 .LBB207_1572
; %bb.1570:
	global_load_b32 v5, v[8:9], off
	s_mov_b32 s6, 0
	s_wait_loadcnt 0x0
	v_cvt_f32_u32_e32 v5, v5
	s_delay_alu instid0(VALU_DEP_1) | instskip(NEXT) | instid1(VALU_DEP_1)
	v_bfe_u32 v7, v5, 16, 1
	v_add3_u32 v5, v5, v7, 0x7fff
	s_wait_xcnt 0x1
	s_delay_alu instid0(VALU_DEP_1)
	v_lshrrev_b32_e32 v10, 16, v5
	s_branch .LBB207_1573
.LBB207_1571:
	s_mov_b32 s6, -1
                                        ; implicit-def: $vgpr10
	s_branch .LBB207_1576
.LBB207_1572:
	s_mov_b32 s6, -1
                                        ; implicit-def: $vgpr10
.LBB207_1573:
	s_delay_alu instid0(SALU_CYCLE_1)
	s_and_not1_b32 vcc_lo, exec_lo, s6
	s_cbranch_vccnz .LBB207_1575
; %bb.1574:
	global_load_u16 v5, v[8:9], off
	s_wait_loadcnt 0x0
	v_cvt_f32_u32_e32 v5, v5
	s_delay_alu instid0(VALU_DEP_1) | instskip(NEXT) | instid1(VALU_DEP_1)
	v_bfe_u32 v7, v5, 16, 1
	v_add3_u32 v5, v5, v7, 0x7fff
	s_wait_xcnt 0x1
	s_delay_alu instid0(VALU_DEP_1)
	v_lshrrev_b32_e32 v10, 16, v5
.LBB207_1575:
	s_mov_b32 s6, 0
.LBB207_1576:
	s_delay_alu instid0(SALU_CYCLE_1)
	s_and_not1_b32 vcc_lo, exec_lo, s6
	s_cbranch_vccnz .LBB207_1584
; %bb.1577:
	global_load_u8 v5, v[8:9], off
	s_mov_b32 s6, 0
	s_mov_b32 s7, exec_lo
	s_wait_loadcnt 0x0
	v_cmpx_lt_i16_e32 0x7f, v5
	s_xor_b32 s7, exec_lo, s7
	s_cbranch_execz .LBB207_1598
; %bb.1578:
	s_mov_b32 s6, -1
	s_mov_b32 s10, exec_lo
	v_cmpx_eq_u16_e32 0x80, v5
; %bb.1579:
	s_xor_b32 s6, exec_lo, -1
; %bb.1580:
	s_or_b32 exec_lo, exec_lo, s10
	s_delay_alu instid0(SALU_CYCLE_1)
	s_and_b32 s6, s6, exec_lo
	s_or_saveexec_b32 s7, s7
	v_mov_b32_e32 v7, 0x7f800001
	s_xor_b32 exec_lo, exec_lo, s7
	s_cbranch_execnz .LBB207_1599
.LBB207_1581:
	s_or_b32 exec_lo, exec_lo, s7
	s_and_saveexec_b32 s7, s6
	s_cbranch_execz .LBB207_1583
.LBB207_1582:
	v_and_b32_e32 v7, 0xffff, v5
	s_delay_alu instid0(VALU_DEP_1) | instskip(SKIP_1) | instid1(VALU_DEP_2)
	v_dual_lshlrev_b32 v5, 24, v5 :: v_dual_bitop2_b32 v10, 7, v7 bitop3:0x40
	v_bfe_u32 v14, v7, 3, 4
	v_and_b32_e32 v5, 0x80000000, v5
	s_delay_alu instid0(VALU_DEP_3) | instskip(NEXT) | instid1(VALU_DEP_3)
	v_clz_i32_u32_e32 v11, v10
	v_cmp_eq_u32_e32 vcc_lo, 0, v14
	s_delay_alu instid0(VALU_DEP_2) | instskip(NEXT) | instid1(VALU_DEP_1)
	v_min_u32_e32 v11, 32, v11
	v_subrev_nc_u32_e32 v13, 28, v11
	v_sub_nc_u32_e32 v11, 29, v11
	s_delay_alu instid0(VALU_DEP_2) | instskip(NEXT) | instid1(VALU_DEP_2)
	v_lshlrev_b32_e32 v7, v13, v7
	v_cndmask_b32_e32 v11, v14, v11, vcc_lo
	s_delay_alu instid0(VALU_DEP_2) | instskip(NEXT) | instid1(VALU_DEP_1)
	v_and_b32_e32 v7, 7, v7
	v_cndmask_b32_e32 v7, v10, v7, vcc_lo
	s_delay_alu instid0(VALU_DEP_3) | instskip(NEXT) | instid1(VALU_DEP_2)
	v_lshl_add_u32 v10, v11, 23, 0x3b800000
	v_lshlrev_b32_e32 v7, 20, v7
	s_delay_alu instid0(VALU_DEP_1)
	v_or3_b32 v7, v5, v10, v7
.LBB207_1583:
	s_or_b32 exec_lo, exec_lo, s7
	s_delay_alu instid0(VALU_DEP_1) | instskip(SKIP_1) | instid1(VALU_DEP_2)
	v_bfe_u32 v5, v7, 16, 1
	v_cmp_o_f32_e32 vcc_lo, v7, v7
	v_add3_u32 v5, v7, v5, 0x7fff
	s_delay_alu instid0(VALU_DEP_1) | instskip(NEXT) | instid1(VALU_DEP_1)
	v_lshrrev_b32_e32 v5, 16, v5
	v_cndmask_b32_e32 v10, 0x7fc0, v5, vcc_lo
.LBB207_1584:
	s_mov_b32 s6, -1
.LBB207_1585:
	s_mov_b32 s7, 0
.LBB207_1586:
	s_delay_alu instid0(SALU_CYCLE_1)
	s_and_b32 vcc_lo, exec_lo, s7
	s_cbranch_vccz .LBB207_1619
; %bb.1587:
	s_cmp_gt_i32 s0, 22
	s_cbranch_scc0 .LBB207_1597
; %bb.1588:
	s_cmp_lt_i32 s0, 24
	s_cbranch_scc1 .LBB207_1600
; %bb.1589:
	s_cmp_gt_i32 s0, 24
	s_cbranch_scc0 .LBB207_1601
; %bb.1590:
	global_load_u8 v5, v[8:9], off
	s_mov_b32 s6, exec_lo
	s_wait_loadcnt 0x0
	v_cmpx_lt_i16_e32 0x7f, v5
	s_xor_b32 s6, exec_lo, s6
	s_cbranch_execz .LBB207_1613
; %bb.1591:
	s_mov_b32 s2, -1
	s_mov_b32 s7, exec_lo
	v_cmpx_eq_u16_e32 0x80, v5
; %bb.1592:
	s_xor_b32 s2, exec_lo, -1
; %bb.1593:
	s_or_b32 exec_lo, exec_lo, s7
	s_delay_alu instid0(SALU_CYCLE_1)
	s_and_b32 s2, s2, exec_lo
	s_or_saveexec_b32 s6, s6
	v_mov_b32_e32 v7, 0x7f800001
	s_xor_b32 exec_lo, exec_lo, s6
	s_cbranch_execnz .LBB207_1614
.LBB207_1594:
	s_or_b32 exec_lo, exec_lo, s6
	s_and_saveexec_b32 s6, s2
	s_cbranch_execz .LBB207_1596
.LBB207_1595:
	v_and_b32_e32 v7, 0xffff, v5
	s_delay_alu instid0(VALU_DEP_1) | instskip(SKIP_1) | instid1(VALU_DEP_2)
	v_dual_lshlrev_b32 v5, 24, v5 :: v_dual_bitop2_b32 v10, 3, v7 bitop3:0x40
	v_bfe_u32 v14, v7, 2, 5
	v_and_b32_e32 v5, 0x80000000, v5
	s_delay_alu instid0(VALU_DEP_3) | instskip(NEXT) | instid1(VALU_DEP_3)
	v_clz_i32_u32_e32 v11, v10
	v_cmp_eq_u32_e32 vcc_lo, 0, v14
	s_delay_alu instid0(VALU_DEP_2) | instskip(NEXT) | instid1(VALU_DEP_1)
	v_min_u32_e32 v11, 32, v11
	v_subrev_nc_u32_e32 v13, 29, v11
	v_sub_nc_u32_e32 v11, 30, v11
	s_delay_alu instid0(VALU_DEP_2) | instskip(NEXT) | instid1(VALU_DEP_2)
	v_lshlrev_b32_e32 v7, v13, v7
	v_cndmask_b32_e32 v11, v14, v11, vcc_lo
	s_delay_alu instid0(VALU_DEP_2) | instskip(NEXT) | instid1(VALU_DEP_1)
	v_and_b32_e32 v7, 3, v7
	v_cndmask_b32_e32 v7, v10, v7, vcc_lo
	s_delay_alu instid0(VALU_DEP_3) | instskip(NEXT) | instid1(VALU_DEP_2)
	v_lshl_add_u32 v10, v11, 23, 0x37800000
	v_lshlrev_b32_e32 v7, 21, v7
	s_delay_alu instid0(VALU_DEP_1)
	v_or3_b32 v7, v5, v10, v7
.LBB207_1596:
	s_or_b32 exec_lo, exec_lo, s6
	s_delay_alu instid0(VALU_DEP_1) | instskip(SKIP_2) | instid1(VALU_DEP_2)
	v_bfe_u32 v5, v7, 16, 1
	v_cmp_o_f32_e32 vcc_lo, v7, v7
	s_mov_b32 s2, 0
	v_add3_u32 v5, v7, v5, 0x7fff
	s_delay_alu instid0(VALU_DEP_1) | instskip(NEXT) | instid1(VALU_DEP_1)
	v_lshrrev_b32_e32 v5, 16, v5
	v_cndmask_b32_e32 v10, 0x7fc0, v5, vcc_lo
	s_branch .LBB207_1602
.LBB207_1597:
	s_mov_b32 s2, -1
                                        ; implicit-def: $vgpr10
	s_branch .LBB207_1608
.LBB207_1598:
	s_or_saveexec_b32 s7, s7
	v_mov_b32_e32 v7, 0x7f800001
	s_xor_b32 exec_lo, exec_lo, s7
	s_cbranch_execz .LBB207_1581
.LBB207_1599:
	v_cmp_ne_u16_e32 vcc_lo, 0, v5
	v_mov_b32_e32 v7, 0
	s_and_not1_b32 s6, s6, exec_lo
	s_and_b32 s10, vcc_lo, exec_lo
	s_delay_alu instid0(SALU_CYCLE_1)
	s_or_b32 s6, s6, s10
	s_or_b32 exec_lo, exec_lo, s7
	s_and_saveexec_b32 s7, s6
	s_cbranch_execnz .LBB207_1582
	s_branch .LBB207_1583
.LBB207_1600:
	s_mov_b32 s2, -1
                                        ; implicit-def: $vgpr10
	s_branch .LBB207_1605
.LBB207_1601:
	s_mov_b32 s2, -1
                                        ; implicit-def: $vgpr10
.LBB207_1602:
	s_delay_alu instid0(SALU_CYCLE_1)
	s_and_b32 vcc_lo, exec_lo, s2
	s_cbranch_vccz .LBB207_1604
; %bb.1603:
	global_load_u8 v5, v[8:9], off
	s_wait_loadcnt 0x0
	v_lshlrev_b32_e32 v5, 24, v5
	s_delay_alu instid0(VALU_DEP_1) | instskip(SKIP_1) | instid1(VALU_DEP_1)
	v_and_b32_e32 v7, 0x7f000000, v5
	s_wait_xcnt 0x1
	v_clz_i32_u32_e32 v10, v7
	v_add_nc_u32_e32 v13, 0x1000000, v7
	v_cmp_ne_u32_e32 vcc_lo, 0, v7
	s_delay_alu instid0(VALU_DEP_3) | instskip(NEXT) | instid1(VALU_DEP_1)
	v_min_u32_e32 v10, 32, v10
	v_sub_nc_u32_e64 v10, v10, 4 clamp
	s_delay_alu instid0(VALU_DEP_1) | instskip(NEXT) | instid1(VALU_DEP_1)
	v_dual_lshlrev_b32 v11, v10, v7 :: v_dual_lshlrev_b32 v10, 23, v10
	v_lshrrev_b32_e32 v11, 4, v11
	s_delay_alu instid0(VALU_DEP_1) | instskip(NEXT) | instid1(VALU_DEP_1)
	v_dual_sub_nc_u32 v10, v11, v10 :: v_dual_ashrrev_i32 v11, 8, v13
	v_add_nc_u32_e32 v10, 0x3c000000, v10
	s_delay_alu instid0(VALU_DEP_1) | instskip(NEXT) | instid1(VALU_DEP_1)
	v_and_or_b32 v10, 0x7f800000, v11, v10
	v_cndmask_b32_e32 v7, 0, v10, vcc_lo
	s_delay_alu instid0(VALU_DEP_1) | instskip(SKIP_1) | instid1(VALU_DEP_2)
	v_and_or_b32 v5, 0x80000000, v5, v7
	v_bfe_u32 v7, v7, 16, 1
	v_cmp_o_f32_e32 vcc_lo, v5, v5
	s_delay_alu instid0(VALU_DEP_2) | instskip(NEXT) | instid1(VALU_DEP_1)
	v_add3_u32 v7, v5, v7, 0x7fff
	v_lshrrev_b32_e32 v7, 16, v7
	s_delay_alu instid0(VALU_DEP_1)
	v_cndmask_b32_e32 v10, 0x7fc0, v7, vcc_lo
.LBB207_1604:
	s_mov_b32 s2, 0
.LBB207_1605:
	s_delay_alu instid0(SALU_CYCLE_1)
	s_and_not1_b32 vcc_lo, exec_lo, s2
	s_cbranch_vccnz .LBB207_1607
; %bb.1606:
	global_load_u8 v5, v[8:9], off
	s_wait_loadcnt 0x0
	v_lshlrev_b32_e32 v7, 25, v5
	v_lshlrev_b16 v5, 8, v5
	s_wait_xcnt 0x1
	s_delay_alu instid0(VALU_DEP_1) | instskip(SKIP_1) | instid1(VALU_DEP_2)
	v_and_or_b32 v11, 0x7f00, v5, 0.5
	v_bfe_i32 v5, v5, 0, 16
	v_add_f32_e32 v11, -0.5, v11
	v_lshrrev_b32_e32 v10, 4, v7
	v_cmp_gt_u32_e32 vcc_lo, 0x8000000, v7
	s_delay_alu instid0(VALU_DEP_2) | instskip(NEXT) | instid1(VALU_DEP_1)
	v_or_b32_e32 v10, 0x70000000, v10
	v_mul_f32_e32 v10, 0x7800000, v10
	s_delay_alu instid0(VALU_DEP_1) | instskip(NEXT) | instid1(VALU_DEP_1)
	v_cndmask_b32_e32 v7, v10, v11, vcc_lo
	v_and_or_b32 v5, 0x80000000, v5, v7
	v_bfe_u32 v7, v7, 16, 1
	s_delay_alu instid0(VALU_DEP_2) | instskip(NEXT) | instid1(VALU_DEP_2)
	v_cmp_o_f32_e32 vcc_lo, v5, v5
	v_add3_u32 v7, v5, v7, 0x7fff
	s_delay_alu instid0(VALU_DEP_1) | instskip(NEXT) | instid1(VALU_DEP_1)
	v_lshrrev_b32_e32 v7, 16, v7
	v_cndmask_b32_e32 v10, 0x7fc0, v7, vcc_lo
.LBB207_1607:
	s_mov_b32 s2, 0
	s_mov_b32 s6, -1
.LBB207_1608:
	s_and_not1_b32 vcc_lo, exec_lo, s2
	s_mov_b32 s2, 0
	s_cbranch_vccnz .LBB207_1619
; %bb.1609:
	s_cmp_gt_i32 s0, 14
	s_cbranch_scc0 .LBB207_1612
; %bb.1610:
	s_cmp_eq_u32 s0, 15
	s_cbranch_scc0 .LBB207_1615
; %bb.1611:
	s_wait_loadcnt 0x0
	global_load_u16 v10, v[8:9], off
	s_mov_b32 s1, 0
	s_mov_b32 s6, -1
	s_branch .LBB207_1617
.LBB207_1612:
	s_mov_b32 s2, -1
	s_branch .LBB207_1616
.LBB207_1613:
	s_or_saveexec_b32 s6, s6
	v_mov_b32_e32 v7, 0x7f800001
	s_xor_b32 exec_lo, exec_lo, s6
	s_cbranch_execz .LBB207_1594
.LBB207_1614:
	v_cmp_ne_u16_e32 vcc_lo, 0, v5
	v_mov_b32_e32 v7, 0
	s_and_not1_b32 s2, s2, exec_lo
	s_and_b32 s7, vcc_lo, exec_lo
	s_delay_alu instid0(SALU_CYCLE_1)
	s_or_b32 s2, s2, s7
	s_or_b32 exec_lo, exec_lo, s6
	s_and_saveexec_b32 s6, s2
	s_cbranch_execnz .LBB207_1595
	s_branch .LBB207_1596
.LBB207_1615:
	s_mov_b32 s1, -1
.LBB207_1616:
                                        ; implicit-def: $vgpr10
.LBB207_1617:
	s_and_b32 vcc_lo, exec_lo, s2
	s_mov_b32 s2, 0
	s_cbranch_vccz .LBB207_1619
; %bb.1618:
	s_cmp_lg_u32 s0, 11
	s_mov_b32 s2, -1
	s_cselect_b32 s1, -1, 0
.LBB207_1619:
	s_delay_alu instid0(SALU_CYCLE_1)
	s_and_b32 vcc_lo, exec_lo, s1
	s_cbranch_vccnz .LBB207_2151
; %bb.1620:
	s_and_not1_b32 vcc_lo, exec_lo, s2
	s_cbranch_vccnz .LBB207_1622
.LBB207_1621:
	global_load_u8 v5, v[8:9], off
	s_mov_b32 s6, -1
	s_wait_loadcnt 0x0
	v_cmp_ne_u16_e32 vcc_lo, 0, v5
	v_cndmask_b32_e64 v5, 0, 1.0, vcc_lo
	s_wait_xcnt 0x1
	s_delay_alu instid0(VALU_DEP_1)
	v_lshrrev_b32_e32 v10, 16, v5
.LBB207_1622:
	s_mov_b32 s1, 0
.LBB207_1623:
	s_delay_alu instid0(SALU_CYCLE_1)
	s_and_b32 vcc_lo, exec_lo, s1
	s_cbranch_vccz .LBB207_1672
; %bb.1624:
	s_cmp_lt_i32 s0, 5
	s_cbranch_scc1 .LBB207_1629
; %bb.1625:
	s_cmp_lt_i32 s0, 8
	s_cbranch_scc1 .LBB207_1630
	;; [unrolled: 3-line block ×3, first 2 shown]
; %bb.1627:
	s_cmp_gt_i32 s0, 9
	s_cbranch_scc0 .LBB207_1632
; %bb.1628:
	s_wait_loadcnt 0x0
	global_load_b64 v[10:11], v[8:9], off
	s_mov_b32 s1, 0
	s_wait_loadcnt 0x0
	v_cvt_f32_f64_e32 v5, v[10:11]
	s_delay_alu instid0(VALU_DEP_1) | instskip(SKIP_1) | instid1(VALU_DEP_2)
	v_bfe_u32 v7, v5, 16, 1
	v_cmp_o_f32_e32 vcc_lo, v5, v5
	v_add3_u32 v7, v5, v7, 0x7fff
	s_delay_alu instid0(VALU_DEP_1) | instskip(NEXT) | instid1(VALU_DEP_1)
	v_lshrrev_b32_e32 v7, 16, v7
	v_cndmask_b32_e32 v10, 0x7fc0, v7, vcc_lo
	s_branch .LBB207_1633
.LBB207_1629:
	s_mov_b32 s1, -1
                                        ; implicit-def: $vgpr10
	s_branch .LBB207_1651
.LBB207_1630:
	s_mov_b32 s1, -1
                                        ; implicit-def: $vgpr10
	s_branch .LBB207_1639
.LBB207_1631:
	s_mov_b32 s1, -1
                                        ; implicit-def: $vgpr10
	s_branch .LBB207_1636
.LBB207_1632:
	s_mov_b32 s1, -1
                                        ; implicit-def: $vgpr10
.LBB207_1633:
	s_delay_alu instid0(SALU_CYCLE_1)
	s_and_not1_b32 vcc_lo, exec_lo, s1
	s_cbranch_vccnz .LBB207_1635
; %bb.1634:
	global_load_b32 v5, v[8:9], off
	s_wait_loadcnt 0x0
	v_bfe_u32 v7, v5, 16, 1
	v_cmp_o_f32_e32 vcc_lo, v5, v5
	s_delay_alu instid0(VALU_DEP_2) | instskip(NEXT) | instid1(VALU_DEP_1)
	v_add3_u32 v7, v5, v7, 0x7fff
	v_lshrrev_b32_e32 v7, 16, v7
	s_wait_xcnt 0x1
	s_delay_alu instid0(VALU_DEP_1)
	v_cndmask_b32_e32 v10, 0x7fc0, v7, vcc_lo
.LBB207_1635:
	s_mov_b32 s1, 0
.LBB207_1636:
	s_delay_alu instid0(SALU_CYCLE_1)
	s_and_not1_b32 vcc_lo, exec_lo, s1
	s_cbranch_vccnz .LBB207_1638
; %bb.1637:
	global_load_b32 v5, v[8:9], off
	s_wait_loadcnt 0x0
	v_cvt_f32_f16_e32 v7, v5
	v_cmp_o_f16_e32 vcc_lo, v5, v5
	s_wait_xcnt 0x1
	s_delay_alu instid0(VALU_DEP_2) | instskip(NEXT) | instid1(VALU_DEP_1)
	v_bfe_u32 v10, v7, 16, 1
	v_add3_u32 v7, v7, v10, 0x7fff
	s_delay_alu instid0(VALU_DEP_1) | instskip(NEXT) | instid1(VALU_DEP_1)
	v_lshrrev_b32_e32 v7, 16, v7
	v_cndmask_b32_e32 v10, 0x7fc0, v7, vcc_lo
.LBB207_1638:
	s_mov_b32 s1, 0
.LBB207_1639:
	s_delay_alu instid0(SALU_CYCLE_1)
	s_and_not1_b32 vcc_lo, exec_lo, s1
	s_cbranch_vccnz .LBB207_1650
; %bb.1640:
	s_cmp_lt_i32 s0, 6
	s_cbranch_scc1 .LBB207_1643
; %bb.1641:
	s_cmp_gt_i32 s0, 6
	s_cbranch_scc0 .LBB207_1644
; %bb.1642:
	s_wait_loadcnt 0x0
	global_load_b64 v[10:11], v[8:9], off
	s_mov_b32 s1, 0
	s_wait_loadcnt 0x0
	v_cvt_f32_f64_e32 v5, v[10:11]
	s_delay_alu instid0(VALU_DEP_1) | instskip(SKIP_1) | instid1(VALU_DEP_2)
	v_bfe_u32 v7, v5, 16, 1
	v_cmp_o_f32_e32 vcc_lo, v5, v5
	v_add3_u32 v7, v5, v7, 0x7fff
	s_delay_alu instid0(VALU_DEP_1) | instskip(NEXT) | instid1(VALU_DEP_1)
	v_lshrrev_b32_e32 v7, 16, v7
	v_cndmask_b32_e32 v10, 0x7fc0, v7, vcc_lo
	s_branch .LBB207_1645
.LBB207_1643:
	s_mov_b32 s1, -1
                                        ; implicit-def: $vgpr10
	s_branch .LBB207_1648
.LBB207_1644:
	s_mov_b32 s1, -1
                                        ; implicit-def: $vgpr10
.LBB207_1645:
	s_delay_alu instid0(SALU_CYCLE_1)
	s_and_not1_b32 vcc_lo, exec_lo, s1
	s_cbranch_vccnz .LBB207_1647
; %bb.1646:
	global_load_b32 v5, v[8:9], off
	s_wait_loadcnt 0x0
	v_bfe_u32 v7, v5, 16, 1
	v_cmp_o_f32_e32 vcc_lo, v5, v5
	s_delay_alu instid0(VALU_DEP_2) | instskip(NEXT) | instid1(VALU_DEP_1)
	v_add3_u32 v7, v5, v7, 0x7fff
	v_lshrrev_b32_e32 v7, 16, v7
	s_wait_xcnt 0x1
	s_delay_alu instid0(VALU_DEP_1)
	v_cndmask_b32_e32 v10, 0x7fc0, v7, vcc_lo
.LBB207_1647:
	s_mov_b32 s1, 0
.LBB207_1648:
	s_delay_alu instid0(SALU_CYCLE_1)
	s_and_not1_b32 vcc_lo, exec_lo, s1
	s_cbranch_vccnz .LBB207_1650
; %bb.1649:
	global_load_u16 v5, v[8:9], off
	s_wait_loadcnt 0x0
	v_cvt_f32_f16_e32 v7, v5
	v_cmp_o_f16_e32 vcc_lo, v5, v5
	s_wait_xcnt 0x1
	s_delay_alu instid0(VALU_DEP_2) | instskip(NEXT) | instid1(VALU_DEP_1)
	v_bfe_u32 v10, v7, 16, 1
	v_add3_u32 v7, v7, v10, 0x7fff
	s_delay_alu instid0(VALU_DEP_1) | instskip(NEXT) | instid1(VALU_DEP_1)
	v_lshrrev_b32_e32 v7, 16, v7
	v_cndmask_b32_e32 v10, 0x7fc0, v7, vcc_lo
.LBB207_1650:
	s_mov_b32 s1, 0
.LBB207_1651:
	s_delay_alu instid0(SALU_CYCLE_1)
	s_and_not1_b32 vcc_lo, exec_lo, s1
	s_cbranch_vccnz .LBB207_1671
; %bb.1652:
	s_cmp_lt_i32 s0, 2
	s_cbranch_scc1 .LBB207_1656
; %bb.1653:
	s_cmp_lt_i32 s0, 3
	s_cbranch_scc1 .LBB207_1657
; %bb.1654:
	s_cmp_gt_i32 s0, 3
	s_cbranch_scc0 .LBB207_1658
; %bb.1655:
	s_wait_loadcnt 0x0
	global_load_b64 v[10:11], v[8:9], off
	s_mov_b32 s1, 0
	s_wait_loadcnt 0x0
	v_xor_b32_e32 v5, v10, v11
	v_cls_i32_e32 v7, v11
	s_delay_alu instid0(VALU_DEP_2) | instskip(NEXT) | instid1(VALU_DEP_1)
	v_ashrrev_i32_e32 v5, 31, v5
	v_add_nc_u32_e32 v5, 32, v5
	s_delay_alu instid0(VALU_DEP_1) | instskip(NEXT) | instid1(VALU_DEP_1)
	v_add_min_u32_e64 v5, v7, -1, v5
	v_lshlrev_b64_e32 v[10:11], v5, v[10:11]
	v_sub_nc_u32_e32 v5, 32, v5
	s_delay_alu instid0(VALU_DEP_2) | instskip(NEXT) | instid1(VALU_DEP_1)
	v_min_u32_e32 v7, 1, v10
	v_or_b32_e32 v7, v11, v7
	s_delay_alu instid0(VALU_DEP_1) | instskip(NEXT) | instid1(VALU_DEP_1)
	v_cvt_f32_i32_e32 v7, v7
	v_ldexp_f32 v5, v7, v5
	s_delay_alu instid0(VALU_DEP_1) | instskip(NEXT) | instid1(VALU_DEP_1)
	v_bfe_u32 v7, v5, 16, 1
	v_add3_u32 v5, v5, v7, 0x7fff
	s_delay_alu instid0(VALU_DEP_1)
	v_lshrrev_b32_e32 v10, 16, v5
	s_branch .LBB207_1659
.LBB207_1656:
	s_mov_b32 s1, -1
                                        ; implicit-def: $vgpr10
	s_branch .LBB207_1665
.LBB207_1657:
	s_mov_b32 s1, -1
                                        ; implicit-def: $vgpr10
	s_branch .LBB207_1662
.LBB207_1658:
	s_mov_b32 s1, -1
                                        ; implicit-def: $vgpr10
.LBB207_1659:
	s_delay_alu instid0(SALU_CYCLE_1)
	s_and_not1_b32 vcc_lo, exec_lo, s1
	s_cbranch_vccnz .LBB207_1661
; %bb.1660:
	global_load_b32 v5, v[8:9], off
	s_wait_loadcnt 0x0
	v_cvt_f32_i32_e32 v5, v5
	s_delay_alu instid0(VALU_DEP_1) | instskip(NEXT) | instid1(VALU_DEP_1)
	v_bfe_u32 v7, v5, 16, 1
	v_add3_u32 v5, v5, v7, 0x7fff
	s_wait_xcnt 0x1
	s_delay_alu instid0(VALU_DEP_1)
	v_lshrrev_b32_e32 v10, 16, v5
.LBB207_1661:
	s_mov_b32 s1, 0
.LBB207_1662:
	s_delay_alu instid0(SALU_CYCLE_1)
	s_and_not1_b32 vcc_lo, exec_lo, s1
	s_cbranch_vccnz .LBB207_1664
; %bb.1663:
	global_load_i16 v5, v[8:9], off
	s_wait_loadcnt 0x0
	v_cvt_f32_i32_e32 v5, v5
	s_delay_alu instid0(VALU_DEP_1) | instskip(NEXT) | instid1(VALU_DEP_1)
	v_bfe_u32 v7, v5, 16, 1
	v_add3_u32 v5, v5, v7, 0x7fff
	s_wait_xcnt 0x1
	s_delay_alu instid0(VALU_DEP_1)
	v_lshrrev_b32_e32 v10, 16, v5
.LBB207_1664:
	s_mov_b32 s1, 0
.LBB207_1665:
	s_delay_alu instid0(SALU_CYCLE_1)
	s_and_not1_b32 vcc_lo, exec_lo, s1
	s_cbranch_vccnz .LBB207_1671
; %bb.1666:
	s_cmp_gt_i32 s0, 0
	s_mov_b32 s0, 0
	s_cbranch_scc0 .LBB207_1668
; %bb.1667:
	global_load_i8 v5, v[8:9], off
	s_wait_loadcnt 0x0
	v_cvt_f32_i32_e32 v5, v5
	s_delay_alu instid0(VALU_DEP_1) | instskip(NEXT) | instid1(VALU_DEP_1)
	v_bfe_u32 v7, v5, 16, 1
	v_add3_u32 v5, v5, v7, 0x7fff
	s_wait_xcnt 0x1
	s_delay_alu instid0(VALU_DEP_1)
	v_lshrrev_b32_e32 v10, 16, v5
	s_branch .LBB207_1669
.LBB207_1668:
	s_mov_b32 s0, -1
                                        ; implicit-def: $vgpr10
.LBB207_1669:
	s_delay_alu instid0(SALU_CYCLE_1)
	s_and_not1_b32 vcc_lo, exec_lo, s0
	s_cbranch_vccnz .LBB207_1671
; %bb.1670:
	global_load_u8 v5, v[8:9], off
	s_wait_loadcnt 0x0
	v_cvt_f32_ubyte0_e32 v5, v5
	s_delay_alu instid0(VALU_DEP_1) | instskip(NEXT) | instid1(VALU_DEP_1)
	v_bfe_u32 v7, v5, 16, 1
	v_add3_u32 v5, v5, v7, 0x7fff
	s_wait_xcnt 0x1
	s_delay_alu instid0(VALU_DEP_1)
	v_lshrrev_b32_e32 v10, 16, v5
.LBB207_1671:
	s_mov_b32 s6, -1
.LBB207_1672:
	s_delay_alu instid0(SALU_CYCLE_1)
	s_and_not1_b32 vcc_lo, exec_lo, s6
	s_cbranch_vccnz .LBB207_2105
; %bb.1673:
	s_load_b96 s[0:2], s[20:21], 0x158
	s_wait_loadcnt 0x0
	v_dual_lshlrev_b32 v1, 16, v1 :: v_dual_mov_b32 v7, 0
	s_mov_b32 s12, 0
	s_delay_alu instid0(VALU_DEP_1)
	v_add_nc_u64_e32 v[6:7], s[4:5], v[6:7]
	s_wait_kmcnt 0x0
	s_cmp_eq_u32 s0, 0
	s_cselect_b32 s0, -1, 0
	s_lshl_b32 s7, s1, 16
	s_and_b32 s6, s2, 0xff
	v_cmp_eq_f32_e32 vcc_lo, s7, v1
	s_cmp_lt_i32 s6, 11
	s_mov_b32 s2, -1
	v_cndmask_b32_e64 v5, 0, 1, vcc_lo
	v_cmp_neq_f32_e32 vcc_lo, s7, v1
	v_cndmask_b32_e64 v1, 0, 1, vcc_lo
	s_delay_alu instid0(VALU_DEP_1) | instskip(NEXT) | instid1(VALU_DEP_1)
	v_cndmask_b32_e64 v1, v1, v5, s0
	v_and_b32_e32 v1, 1, v1
	s_delay_alu instid0(VALU_DEP_1)
	v_cmp_eq_u32_e64 s1, 1, v1
	s_cbranch_scc1 .LBB207_1752
; %bb.1674:
	s_and_b32 s10, 0xffff, s6
	s_mov_b32 s13, -1
	s_mov_b32 s11, 0
	s_cmp_gt_i32 s10, 25
	s_mov_b32 s2, 0
	s_cbranch_scc0 .LBB207_1707
; %bb.1675:
	s_cmp_gt_i32 s10, 28
	s_cbranch_scc0 .LBB207_1690
; %bb.1676:
	s_cmp_gt_i32 s10, 43
	;; [unrolled: 3-line block ×3, first 2 shown]
	s_cbranch_scc0 .LBB207_1680
; %bb.1678:
	s_mov_b32 s2, -1
	s_mov_b32 s13, 0
	s_cmp_eq_u32 s10, 46
	s_cbranch_scc0 .LBB207_1680
; %bb.1679:
	v_cndmask_b32_e64 v1, 0, 1.0, s1
	s_mov_b32 s2, 0
	s_mov_b32 s12, -1
	s_delay_alu instid0(VALU_DEP_1) | instskip(NEXT) | instid1(VALU_DEP_1)
	v_bfe_u32 v5, v1, 16, 1
	v_add3_u32 v1, v1, v5, 0x7fff
	s_delay_alu instid0(VALU_DEP_1)
	v_lshrrev_b32_e32 v1, 16, v1
	global_store_b32 v[6:7], v1, off
.LBB207_1680:
	s_and_b32 vcc_lo, exec_lo, s13
	s_cbranch_vccz .LBB207_1685
; %bb.1681:
	s_cmp_eq_u32 s10, 44
	s_mov_b32 s2, -1
	s_cbranch_scc0 .LBB207_1685
; %bb.1682:
	v_cndmask_b32_e64 v8, 0, 1.0, s1
	v_mov_b32_e32 v5, 0xff
	s_mov_b32 s12, exec_lo
	s_wait_xcnt 0x0
	s_delay_alu instid0(VALU_DEP_2) | instskip(NEXT) | instid1(VALU_DEP_1)
	v_lshrrev_b32_e32 v1, 23, v8
	v_cmpx_ne_u32_e32 0xff, v1
; %bb.1683:
	v_and_b32_e32 v5, 0x400000, v8
	v_and_or_b32 v8, 0x3fffff, v8, v1
	s_delay_alu instid0(VALU_DEP_2) | instskip(NEXT) | instid1(VALU_DEP_2)
	v_cmp_ne_u32_e32 vcc_lo, 0, v5
	v_cmp_ne_u32_e64 s2, 0, v8
	s_and_b32 s2, vcc_lo, s2
	s_delay_alu instid0(SALU_CYCLE_1) | instskip(NEXT) | instid1(VALU_DEP_1)
	v_cndmask_b32_e64 v5, 0, 1, s2
	v_add_nc_u32_e32 v5, v1, v5
; %bb.1684:
	s_or_b32 exec_lo, exec_lo, s12
	s_mov_b32 s2, 0
	s_mov_b32 s12, -1
	global_store_b8 v[6:7], v5, off
.LBB207_1685:
	s_mov_b32 s13, 0
.LBB207_1686:
	s_delay_alu instid0(SALU_CYCLE_1)
	s_and_b32 vcc_lo, exec_lo, s13
	s_cbranch_vccz .LBB207_1689
; %bb.1687:
	s_cmp_eq_u32 s10, 29
	s_mov_b32 s2, -1
	s_cbranch_scc0 .LBB207_1689
; %bb.1688:
	s_mov_b32 s2, 0
	v_cndmask_b32_e64 v8, 0, 1, s1
	v_mov_b32_e32 v9, s2
	s_mov_b32 s12, -1
	global_store_b64 v[6:7], v[8:9], off
.LBB207_1689:
	s_mov_b32 s13, 0
.LBB207_1690:
	s_delay_alu instid0(SALU_CYCLE_1)
	s_and_b32 vcc_lo, exec_lo, s13
	s_cbranch_vccz .LBB207_1706
; %bb.1691:
	s_cmp_lt_i32 s10, 27
	s_mov_b32 s12, -1
	s_cbranch_scc1 .LBB207_1697
; %bb.1692:
	s_cmp_gt_i32 s10, 27
	s_cbranch_scc0 .LBB207_1694
; %bb.1693:
	s_wait_xcnt 0x0
	v_cndmask_b32_e64 v1, 0, 1, s1
	s_mov_b32 s12, 0
	global_store_b32 v[6:7], v1, off
.LBB207_1694:
	s_and_not1_b32 vcc_lo, exec_lo, s12
	s_cbranch_vccnz .LBB207_1696
; %bb.1695:
	s_wait_xcnt 0x0
	v_cndmask_b32_e64 v1, 0, 1, s1
	global_store_b16 v[6:7], v1, off
.LBB207_1696:
	s_mov_b32 s12, 0
.LBB207_1697:
	s_delay_alu instid0(SALU_CYCLE_1)
	s_and_not1_b32 vcc_lo, exec_lo, s12
	s_cbranch_vccnz .LBB207_1705
; %bb.1698:
	s_wait_xcnt 0x0
	v_cndmask_b32_e64 v5, 0, 1.0, s1
	v_mov_b32_e32 v8, 0x80
	s_mov_b32 s12, exec_lo
	s_delay_alu instid0(VALU_DEP_2)
	v_cmpx_gt_u32_e32 0x43800000, v5
	s_cbranch_execz .LBB207_1704
; %bb.1699:
	s_mov_b32 s13, 0
	s_mov_b32 s14, exec_lo
                                        ; implicit-def: $vgpr1
	v_cmpx_lt_u32_e32 0x3bffffff, v5
	s_xor_b32 s14, exec_lo, s14
	s_cbranch_execz .LBB207_2152
; %bb.1700:
	v_bfe_u32 v1, v5, 20, 1
	s_mov_b32 s13, exec_lo
	s_delay_alu instid0(VALU_DEP_1) | instskip(NEXT) | instid1(VALU_DEP_1)
	v_add3_u32 v1, v5, v1, 0x487ffff
                                        ; implicit-def: $vgpr5
	v_lshrrev_b32_e32 v1, 20, v1
	s_and_not1_saveexec_b32 s14, s14
	s_cbranch_execnz .LBB207_2153
.LBB207_1701:
	s_or_b32 exec_lo, exec_lo, s14
	v_mov_b32_e32 v8, 0
	s_and_saveexec_b32 s14, s13
.LBB207_1702:
	v_mov_b32_e32 v8, v1
.LBB207_1703:
	s_or_b32 exec_lo, exec_lo, s14
.LBB207_1704:
	s_delay_alu instid0(SALU_CYCLE_1)
	s_or_b32 exec_lo, exec_lo, s12
	global_store_b8 v[6:7], v8, off
.LBB207_1705:
	s_mov_b32 s12, -1
.LBB207_1706:
	s_mov_b32 s13, 0
.LBB207_1707:
	s_delay_alu instid0(SALU_CYCLE_1)
	s_and_b32 vcc_lo, exec_lo, s13
	s_cbranch_vccz .LBB207_1747
; %bb.1708:
	s_cmp_gt_i32 s10, 22
	s_mov_b32 s11, -1
	s_cbranch_scc0 .LBB207_1740
; %bb.1709:
	s_cmp_lt_i32 s10, 24
	s_cbranch_scc1 .LBB207_1729
; %bb.1710:
	s_cmp_gt_i32 s10, 24
	s_cbranch_scc0 .LBB207_1718
; %bb.1711:
	s_wait_xcnt 0x0
	v_cndmask_b32_e64 v5, 0, 1.0, s1
	v_mov_b32_e32 v8, 0x80
	s_mov_b32 s11, exec_lo
	s_delay_alu instid0(VALU_DEP_2)
	v_cmpx_gt_u32_e32 0x47800000, v5
	s_cbranch_execz .LBB207_1717
; %bb.1712:
	s_mov_b32 s12, 0
	s_mov_b32 s13, exec_lo
                                        ; implicit-def: $vgpr1
	v_cmpx_lt_u32_e32 0x37ffffff, v5
	s_xor_b32 s13, exec_lo, s13
	s_cbranch_execz .LBB207_2155
; %bb.1713:
	v_bfe_u32 v1, v5, 21, 1
	s_mov_b32 s12, exec_lo
	s_delay_alu instid0(VALU_DEP_1) | instskip(NEXT) | instid1(VALU_DEP_1)
	v_add3_u32 v1, v5, v1, 0x88fffff
                                        ; implicit-def: $vgpr5
	v_lshrrev_b32_e32 v1, 21, v1
	s_and_not1_saveexec_b32 s13, s13
	s_cbranch_execnz .LBB207_2156
.LBB207_1714:
	s_or_b32 exec_lo, exec_lo, s13
	v_mov_b32_e32 v8, 0
	s_and_saveexec_b32 s13, s12
.LBB207_1715:
	v_mov_b32_e32 v8, v1
.LBB207_1716:
	s_or_b32 exec_lo, exec_lo, s13
.LBB207_1717:
	s_delay_alu instid0(SALU_CYCLE_1)
	s_or_b32 exec_lo, exec_lo, s11
	s_mov_b32 s11, 0
	global_store_b8 v[6:7], v8, off
.LBB207_1718:
	s_and_b32 vcc_lo, exec_lo, s11
	s_cbranch_vccz .LBB207_1728
; %bb.1719:
	s_wait_xcnt 0x0
	v_cndmask_b32_e64 v5, 0, 1.0, s1
	s_mov_b32 s11, exec_lo
                                        ; implicit-def: $vgpr1
	s_delay_alu instid0(VALU_DEP_1)
	v_cmpx_gt_u32_e32 0x43f00000, v5
	s_xor_b32 s11, exec_lo, s11
	s_cbranch_execz .LBB207_1725
; %bb.1720:
	s_mov_b32 s12, exec_lo
                                        ; implicit-def: $vgpr1
	v_cmpx_lt_u32_e32 0x3c7fffff, v5
	s_xor_b32 s12, exec_lo, s12
; %bb.1721:
	v_bfe_u32 v1, v5, 20, 1
	s_delay_alu instid0(VALU_DEP_1) | instskip(NEXT) | instid1(VALU_DEP_1)
	v_add3_u32 v1, v5, v1, 0x407ffff
	v_and_b32_e32 v5, 0xff00000, v1
	v_lshrrev_b32_e32 v1, 20, v1
	s_delay_alu instid0(VALU_DEP_2) | instskip(NEXT) | instid1(VALU_DEP_2)
	v_cmp_ne_u32_e32 vcc_lo, 0x7f00000, v5
                                        ; implicit-def: $vgpr5
	v_cndmask_b32_e32 v1, 0x7e, v1, vcc_lo
; %bb.1722:
	s_and_not1_saveexec_b32 s12, s12
; %bb.1723:
	v_add_f32_e32 v1, 0x46800000, v5
; %bb.1724:
	s_or_b32 exec_lo, exec_lo, s12
                                        ; implicit-def: $vgpr5
.LBB207_1725:
	s_and_not1_saveexec_b32 s11, s11
; %bb.1726:
	v_mov_b32_e32 v1, 0x7f
	v_cmp_lt_u32_e32 vcc_lo, 0x7f800000, v5
	s_delay_alu instid0(VALU_DEP_2)
	v_cndmask_b32_e32 v1, 0x7e, v1, vcc_lo
; %bb.1727:
	s_or_b32 exec_lo, exec_lo, s11
	global_store_b8 v[6:7], v1, off
.LBB207_1728:
	s_mov_b32 s11, 0
.LBB207_1729:
	s_delay_alu instid0(SALU_CYCLE_1)
	s_and_not1_b32 vcc_lo, exec_lo, s11
	s_cbranch_vccnz .LBB207_1739
; %bb.1730:
	s_wait_xcnt 0x0
	v_cndmask_b32_e64 v5, 0, 1.0, s1
	s_mov_b32 s11, exec_lo
                                        ; implicit-def: $vgpr1
	s_delay_alu instid0(VALU_DEP_1)
	v_cmpx_gt_u32_e32 0x47800000, v5
	s_xor_b32 s11, exec_lo, s11
	s_cbranch_execz .LBB207_1736
; %bb.1731:
	s_mov_b32 s12, exec_lo
                                        ; implicit-def: $vgpr1
	v_cmpx_lt_u32_e32 0x387fffff, v5
	s_xor_b32 s12, exec_lo, s12
; %bb.1732:
	v_bfe_u32 v1, v5, 21, 1
	s_delay_alu instid0(VALU_DEP_1) | instskip(NEXT) | instid1(VALU_DEP_1)
	v_add3_u32 v1, v5, v1, 0x80fffff
                                        ; implicit-def: $vgpr5
	v_lshrrev_b32_e32 v1, 21, v1
; %bb.1733:
	s_and_not1_saveexec_b32 s12, s12
; %bb.1734:
	v_add_f32_e32 v1, 0x43000000, v5
; %bb.1735:
	s_or_b32 exec_lo, exec_lo, s12
                                        ; implicit-def: $vgpr5
.LBB207_1736:
	s_and_not1_saveexec_b32 s11, s11
; %bb.1737:
	v_mov_b32_e32 v1, 0x7f
	v_cmp_lt_u32_e32 vcc_lo, 0x7f800000, v5
	s_delay_alu instid0(VALU_DEP_2)
	v_cndmask_b32_e32 v1, 0x7c, v1, vcc_lo
; %bb.1738:
	s_or_b32 exec_lo, exec_lo, s11
	global_store_b8 v[6:7], v1, off
.LBB207_1739:
	s_mov_b32 s11, 0
	s_mov_b32 s12, -1
.LBB207_1740:
	s_and_not1_b32 vcc_lo, exec_lo, s11
	s_mov_b32 s11, 0
	s_cbranch_vccnz .LBB207_1747
; %bb.1741:
	s_cmp_gt_i32 s10, 14
	s_mov_b32 s11, -1
	s_cbranch_scc0 .LBB207_1745
; %bb.1742:
	s_cmp_eq_u32 s10, 15
	s_mov_b32 s2, -1
	s_cbranch_scc0 .LBB207_1744
; %bb.1743:
	s_wait_xcnt 0x0
	v_cndmask_b32_e64 v1, 0, 1.0, s1
	s_mov_b32 s2, 0
	s_mov_b32 s12, -1
	s_delay_alu instid0(VALU_DEP_1) | instskip(NEXT) | instid1(VALU_DEP_1)
	v_bfe_u32 v5, v1, 16, 1
	v_add3_u32 v1, v1, v5, 0x7fff
	global_store_d16_hi_b16 v[6:7], v1, off
.LBB207_1744:
	s_mov_b32 s11, 0
.LBB207_1745:
	s_delay_alu instid0(SALU_CYCLE_1)
	s_and_b32 vcc_lo, exec_lo, s11
	s_mov_b32 s11, 0
	s_cbranch_vccz .LBB207_1747
; %bb.1746:
	s_cmp_lg_u32 s10, 11
	s_mov_b32 s11, -1
	s_cselect_b32 s2, -1, 0
.LBB207_1747:
	s_delay_alu instid0(SALU_CYCLE_1)
	s_and_b32 vcc_lo, exec_lo, s2
	s_cbranch_vccnz .LBB207_2154
; %bb.1748:
	s_and_not1_b32 vcc_lo, exec_lo, s11
	s_cbranch_vccnz .LBB207_1750
.LBB207_1749:
	s_wait_xcnt 0x0
	v_cndmask_b32_e64 v1, 0, 1, s1
	s_mov_b32 s12, -1
	global_store_b8 v[6:7], v1, off
.LBB207_1750:
.LBB207_1751:
	s_and_not1_b32 vcc_lo, exec_lo, s12
	s_cbranch_vccnz .LBB207_2105
	s_branch .LBB207_1791
.LBB207_1752:
	s_and_b32 vcc_lo, exec_lo, s2
	s_cbranch_vccz .LBB207_1751
; %bb.1753:
	s_and_b32 s2, 0xffff, s6
	s_mov_b32 s10, -1
	s_cmp_lt_i32 s2, 5
	s_cbranch_scc1 .LBB207_1774
; %bb.1754:
	s_cmp_lt_i32 s2, 8
	s_cbranch_scc1 .LBB207_1764
; %bb.1755:
	;; [unrolled: 3-line block ×3, first 2 shown]
	s_cmp_gt_i32 s2, 9
	s_cbranch_scc0 .LBB207_1758
; %bb.1757:
	s_wait_xcnt 0x0
	v_cndmask_b32_e64 v1, 0, 1, s1
	v_mov_b32_e32 v16, 0
	s_mov_b32 s10, 0
	s_delay_alu instid0(VALU_DEP_2) | instskip(NEXT) | instid1(VALU_DEP_2)
	v_cvt_f64_u32_e32 v[14:15], v1
	v_mov_b32_e32 v17, v16
	global_store_b128 v[6:7], v[14:17], off
.LBB207_1758:
	s_and_not1_b32 vcc_lo, exec_lo, s10
	s_cbranch_vccnz .LBB207_1760
; %bb.1759:
	s_wait_xcnt 0x0
	v_cndmask_b32_e64 v8, 0, 1.0, s1
	v_mov_b32_e32 v9, 0
	global_store_b64 v[6:7], v[8:9], off
.LBB207_1760:
	s_mov_b32 s10, 0
.LBB207_1761:
	s_delay_alu instid0(SALU_CYCLE_1)
	s_and_not1_b32 vcc_lo, exec_lo, s10
	s_cbranch_vccnz .LBB207_1763
; %bb.1762:
	s_wait_xcnt 0x0
	v_cndmask_b32_e64 v1, 0, 1.0, s1
	s_delay_alu instid0(VALU_DEP_1) | instskip(NEXT) | instid1(VALU_DEP_1)
	v_cvt_f16_f32_e32 v1, v1
	v_and_b32_e32 v1, 0xffff, v1
	global_store_b32 v[6:7], v1, off
.LBB207_1763:
	s_mov_b32 s10, 0
.LBB207_1764:
	s_delay_alu instid0(SALU_CYCLE_1)
	s_and_not1_b32 vcc_lo, exec_lo, s10
	s_cbranch_vccnz .LBB207_1773
; %bb.1765:
	s_cmp_lt_i32 s2, 6
	s_mov_b32 s10, -1
	s_cbranch_scc1 .LBB207_1771
; %bb.1766:
	s_cmp_gt_i32 s2, 6
	s_cbranch_scc0 .LBB207_1768
; %bb.1767:
	s_wait_xcnt 0x0
	v_cndmask_b32_e64 v1, 0, 1, s1
	s_mov_b32 s10, 0
	s_delay_alu instid0(VALU_DEP_1)
	v_cvt_f64_u32_e32 v[8:9], v1
	global_store_b64 v[6:7], v[8:9], off
.LBB207_1768:
	s_and_not1_b32 vcc_lo, exec_lo, s10
	s_cbranch_vccnz .LBB207_1770
; %bb.1769:
	s_wait_xcnt 0x0
	v_cndmask_b32_e64 v1, 0, 1.0, s1
	global_store_b32 v[6:7], v1, off
.LBB207_1770:
	s_mov_b32 s10, 0
.LBB207_1771:
	s_delay_alu instid0(SALU_CYCLE_1)
	s_and_not1_b32 vcc_lo, exec_lo, s10
	s_cbranch_vccnz .LBB207_1773
; %bb.1772:
	s_wait_xcnt 0x0
	v_cndmask_b32_e64 v1, 0, 1.0, s1
	s_delay_alu instid0(VALU_DEP_1)
	v_cvt_f16_f32_e32 v1, v1
	global_store_b16 v[6:7], v1, off
.LBB207_1773:
	s_mov_b32 s10, 0
.LBB207_1774:
	s_delay_alu instid0(SALU_CYCLE_1)
	s_and_not1_b32 vcc_lo, exec_lo, s10
	s_cbranch_vccnz .LBB207_1790
; %bb.1775:
	s_cmp_lt_i32 s2, 2
	s_mov_b32 s10, -1
	s_cbranch_scc1 .LBB207_1785
; %bb.1776:
	s_cmp_lt_i32 s2, 3
	s_cbranch_scc1 .LBB207_1782
; %bb.1777:
	s_cmp_gt_i32 s2, 3
	s_cbranch_scc0 .LBB207_1779
; %bb.1778:
	s_mov_b32 s10, 0
	s_wait_xcnt 0x0
	v_cndmask_b32_e64 v8, 0, 1, s1
	v_mov_b32_e32 v9, s10
	global_store_b64 v[6:7], v[8:9], off
.LBB207_1779:
	s_and_not1_b32 vcc_lo, exec_lo, s10
	s_cbranch_vccnz .LBB207_1781
; %bb.1780:
	s_wait_xcnt 0x0
	v_cndmask_b32_e64 v1, 0, 1, s1
	global_store_b32 v[6:7], v1, off
.LBB207_1781:
	s_mov_b32 s10, 0
.LBB207_1782:
	s_delay_alu instid0(SALU_CYCLE_1)
	s_and_not1_b32 vcc_lo, exec_lo, s10
	s_cbranch_vccnz .LBB207_1784
; %bb.1783:
	s_wait_xcnt 0x0
	v_cndmask_b32_e64 v1, 0, 1, s1
	global_store_b16 v[6:7], v1, off
.LBB207_1784:
	s_mov_b32 s10, 0
.LBB207_1785:
	s_delay_alu instid0(SALU_CYCLE_1)
	s_and_not1_b32 vcc_lo, exec_lo, s10
	s_cbranch_vccnz .LBB207_1790
; %bb.1786:
	s_wait_xcnt 0x0
	v_cndmask_b32_e64 v1, 0, 1, s1
	s_cmp_gt_i32 s2, 0
	s_mov_b32 s1, -1
	s_cbranch_scc0 .LBB207_1788
; %bb.1787:
	s_mov_b32 s1, 0
	global_store_b8 v[6:7], v1, off
.LBB207_1788:
	s_and_not1_b32 vcc_lo, exec_lo, s1
	s_cbranch_vccnz .LBB207_1790
; %bb.1789:
	global_store_b8 v[6:7], v1, off
.LBB207_1790:
.LBB207_1791:
	s_wait_xcnt 0x0
	v_dual_lshlrev_b32 v1, 16, v3 :: v_dual_mov_b32 v5, 0
	s_and_b32 s10, 0xffff, s6
	s_delay_alu instid0(SALU_CYCLE_1) | instskip(NEXT) | instid1(VALU_DEP_1)
	s_cmp_lt_i32 s10, 11
	v_cmp_eq_f32_e32 vcc_lo, s7, v1
	s_delay_alu instid0(VALU_DEP_2) | instskip(SKIP_3) | instid1(VALU_DEP_1)
	v_add_nc_u64_e32 v[4:5], s[4:5], v[4:5]
	v_cndmask_b32_e64 v3, 0, 1, vcc_lo
	v_cmp_neq_f32_e32 vcc_lo, s7, v1
	v_cndmask_b32_e64 v1, 0, 1, vcc_lo
	v_cndmask_b32_e64 v1, v1, v3, s0
	s_delay_alu instid0(VALU_DEP_1) | instskip(NEXT) | instid1(VALU_DEP_1)
	v_and_b32_e32 v1, 1, v1
	v_cmp_eq_u32_e64 s1, 1, v1
	s_cbranch_scc1 .LBB207_1869
; %bb.1792:
	s_mov_b32 s13, -1
	s_mov_b32 s11, 0
	s_cmp_gt_i32 s10, 25
	s_mov_b32 s12, 0
	s_mov_b32 s2, 0
	s_cbranch_scc0 .LBB207_1825
; %bb.1793:
	s_cmp_gt_i32 s10, 28
	s_cbranch_scc0 .LBB207_1808
; %bb.1794:
	s_cmp_gt_i32 s10, 43
	;; [unrolled: 3-line block ×3, first 2 shown]
	s_cbranch_scc0 .LBB207_1798
; %bb.1796:
	s_mov_b32 s2, -1
	s_mov_b32 s13, 0
	s_cmp_eq_u32 s10, 46
	s_cbranch_scc0 .LBB207_1798
; %bb.1797:
	v_cndmask_b32_e64 v1, 0, 1.0, s1
	s_mov_b32 s2, 0
	s_mov_b32 s12, -1
	s_delay_alu instid0(VALU_DEP_1) | instskip(NEXT) | instid1(VALU_DEP_1)
	v_bfe_u32 v3, v1, 16, 1
	v_add3_u32 v1, v1, v3, 0x7fff
	s_delay_alu instid0(VALU_DEP_1)
	v_lshrrev_b32_e32 v1, 16, v1
	global_store_b32 v[4:5], v1, off
.LBB207_1798:
	s_and_b32 vcc_lo, exec_lo, s13
	s_cbranch_vccz .LBB207_1803
; %bb.1799:
	s_cmp_eq_u32 s10, 44
	s_mov_b32 s2, -1
	s_cbranch_scc0 .LBB207_1803
; %bb.1800:
	v_cndmask_b32_e64 v6, 0, 1.0, s1
	v_mov_b32_e32 v3, 0xff
	s_mov_b32 s12, exec_lo
	s_wait_xcnt 0x0
	s_delay_alu instid0(VALU_DEP_2) | instskip(NEXT) | instid1(VALU_DEP_1)
	v_lshrrev_b32_e32 v1, 23, v6
	v_cmpx_ne_u32_e32 0xff, v1
; %bb.1801:
	v_and_b32_e32 v3, 0x400000, v6
	v_and_or_b32 v6, 0x3fffff, v6, v1
	s_delay_alu instid0(VALU_DEP_2) | instskip(NEXT) | instid1(VALU_DEP_2)
	v_cmp_ne_u32_e32 vcc_lo, 0, v3
	v_cmp_ne_u32_e64 s2, 0, v6
	s_and_b32 s2, vcc_lo, s2
	s_delay_alu instid0(SALU_CYCLE_1) | instskip(NEXT) | instid1(VALU_DEP_1)
	v_cndmask_b32_e64 v3, 0, 1, s2
	v_add_nc_u32_e32 v3, v1, v3
; %bb.1802:
	s_or_b32 exec_lo, exec_lo, s12
	s_mov_b32 s2, 0
	s_mov_b32 s12, -1
	global_store_b8 v[4:5], v3, off
.LBB207_1803:
	s_mov_b32 s13, 0
.LBB207_1804:
	s_delay_alu instid0(SALU_CYCLE_1)
	s_and_b32 vcc_lo, exec_lo, s13
	s_cbranch_vccz .LBB207_1807
; %bb.1805:
	s_cmp_eq_u32 s10, 29
	s_mov_b32 s2, -1
	s_cbranch_scc0 .LBB207_1807
; %bb.1806:
	s_mov_b32 s2, 0
	v_cndmask_b32_e64 v6, 0, 1, s1
	v_mov_b32_e32 v7, s2
	s_mov_b32 s12, -1
	global_store_b64 v[4:5], v[6:7], off
.LBB207_1807:
	s_mov_b32 s13, 0
.LBB207_1808:
	s_delay_alu instid0(SALU_CYCLE_1)
	s_and_b32 vcc_lo, exec_lo, s13
	s_cbranch_vccz .LBB207_1824
; %bb.1809:
	s_cmp_lt_i32 s10, 27
	s_mov_b32 s12, -1
	s_cbranch_scc1 .LBB207_1815
; %bb.1810:
	s_cmp_gt_i32 s10, 27
	s_cbranch_scc0 .LBB207_1812
; %bb.1811:
	s_wait_xcnt 0x0
	v_cndmask_b32_e64 v1, 0, 1, s1
	s_mov_b32 s12, 0
	global_store_b32 v[4:5], v1, off
.LBB207_1812:
	s_and_not1_b32 vcc_lo, exec_lo, s12
	s_cbranch_vccnz .LBB207_1814
; %bb.1813:
	s_wait_xcnt 0x0
	v_cndmask_b32_e64 v1, 0, 1, s1
	global_store_b16 v[4:5], v1, off
.LBB207_1814:
	s_mov_b32 s12, 0
.LBB207_1815:
	s_delay_alu instid0(SALU_CYCLE_1)
	s_and_not1_b32 vcc_lo, exec_lo, s12
	s_cbranch_vccnz .LBB207_1823
; %bb.1816:
	s_wait_xcnt 0x0
	v_cndmask_b32_e64 v3, 0, 1.0, s1
	v_mov_b32_e32 v6, 0x80
	s_mov_b32 s12, exec_lo
	s_delay_alu instid0(VALU_DEP_2)
	v_cmpx_gt_u32_e32 0x43800000, v3
	s_cbranch_execz .LBB207_1822
; %bb.1817:
	s_mov_b32 s13, 0
	s_mov_b32 s14, exec_lo
                                        ; implicit-def: $vgpr1
	v_cmpx_lt_u32_e32 0x3bffffff, v3
	s_xor_b32 s14, exec_lo, s14
	s_cbranch_execz .LBB207_2157
; %bb.1818:
	v_bfe_u32 v1, v3, 20, 1
	s_mov_b32 s13, exec_lo
	s_delay_alu instid0(VALU_DEP_1) | instskip(NEXT) | instid1(VALU_DEP_1)
	v_add3_u32 v1, v3, v1, 0x487ffff
                                        ; implicit-def: $vgpr3
	v_lshrrev_b32_e32 v1, 20, v1
	s_and_not1_saveexec_b32 s14, s14
	s_cbranch_execnz .LBB207_2158
.LBB207_1819:
	s_or_b32 exec_lo, exec_lo, s14
	v_mov_b32_e32 v6, 0
	s_and_saveexec_b32 s14, s13
.LBB207_1820:
	v_mov_b32_e32 v6, v1
.LBB207_1821:
	s_or_b32 exec_lo, exec_lo, s14
.LBB207_1822:
	s_delay_alu instid0(SALU_CYCLE_1)
	s_or_b32 exec_lo, exec_lo, s12
	global_store_b8 v[4:5], v6, off
.LBB207_1823:
	s_mov_b32 s12, -1
.LBB207_1824:
	s_mov_b32 s13, 0
.LBB207_1825:
	s_delay_alu instid0(SALU_CYCLE_1)
	s_and_b32 vcc_lo, exec_lo, s13
	s_cbranch_vccz .LBB207_1865
; %bb.1826:
	s_cmp_gt_i32 s10, 22
	s_mov_b32 s11, -1
	s_cbranch_scc0 .LBB207_1858
; %bb.1827:
	s_cmp_lt_i32 s10, 24
	s_cbranch_scc1 .LBB207_1847
; %bb.1828:
	s_cmp_gt_i32 s10, 24
	s_cbranch_scc0 .LBB207_1836
; %bb.1829:
	s_wait_xcnt 0x0
	v_cndmask_b32_e64 v3, 0, 1.0, s1
	v_mov_b32_e32 v6, 0x80
	s_mov_b32 s11, exec_lo
	s_delay_alu instid0(VALU_DEP_2)
	v_cmpx_gt_u32_e32 0x47800000, v3
	s_cbranch_execz .LBB207_1835
; %bb.1830:
	s_mov_b32 s12, 0
	s_mov_b32 s13, exec_lo
                                        ; implicit-def: $vgpr1
	v_cmpx_lt_u32_e32 0x37ffffff, v3
	s_xor_b32 s13, exec_lo, s13
	s_cbranch_execz .LBB207_2160
; %bb.1831:
	v_bfe_u32 v1, v3, 21, 1
	s_mov_b32 s12, exec_lo
	s_delay_alu instid0(VALU_DEP_1) | instskip(NEXT) | instid1(VALU_DEP_1)
	v_add3_u32 v1, v3, v1, 0x88fffff
                                        ; implicit-def: $vgpr3
	v_lshrrev_b32_e32 v1, 21, v1
	s_and_not1_saveexec_b32 s13, s13
	s_cbranch_execnz .LBB207_2161
.LBB207_1832:
	s_or_b32 exec_lo, exec_lo, s13
	v_mov_b32_e32 v6, 0
	s_and_saveexec_b32 s13, s12
.LBB207_1833:
	v_mov_b32_e32 v6, v1
.LBB207_1834:
	s_or_b32 exec_lo, exec_lo, s13
.LBB207_1835:
	s_delay_alu instid0(SALU_CYCLE_1)
	s_or_b32 exec_lo, exec_lo, s11
	s_mov_b32 s11, 0
	global_store_b8 v[4:5], v6, off
.LBB207_1836:
	s_and_b32 vcc_lo, exec_lo, s11
	s_cbranch_vccz .LBB207_1846
; %bb.1837:
	s_wait_xcnt 0x0
	v_cndmask_b32_e64 v3, 0, 1.0, s1
	s_mov_b32 s11, exec_lo
                                        ; implicit-def: $vgpr1
	s_delay_alu instid0(VALU_DEP_1)
	v_cmpx_gt_u32_e32 0x43f00000, v3
	s_xor_b32 s11, exec_lo, s11
	s_cbranch_execz .LBB207_1843
; %bb.1838:
	s_mov_b32 s12, exec_lo
                                        ; implicit-def: $vgpr1
	v_cmpx_lt_u32_e32 0x3c7fffff, v3
	s_xor_b32 s12, exec_lo, s12
; %bb.1839:
	v_bfe_u32 v1, v3, 20, 1
	s_delay_alu instid0(VALU_DEP_1) | instskip(NEXT) | instid1(VALU_DEP_1)
	v_add3_u32 v1, v3, v1, 0x407ffff
	v_and_b32_e32 v3, 0xff00000, v1
	v_lshrrev_b32_e32 v1, 20, v1
	s_delay_alu instid0(VALU_DEP_2) | instskip(NEXT) | instid1(VALU_DEP_2)
	v_cmp_ne_u32_e32 vcc_lo, 0x7f00000, v3
                                        ; implicit-def: $vgpr3
	v_cndmask_b32_e32 v1, 0x7e, v1, vcc_lo
; %bb.1840:
	s_and_not1_saveexec_b32 s12, s12
; %bb.1841:
	v_add_f32_e32 v1, 0x46800000, v3
; %bb.1842:
	s_or_b32 exec_lo, exec_lo, s12
                                        ; implicit-def: $vgpr3
.LBB207_1843:
	s_and_not1_saveexec_b32 s11, s11
; %bb.1844:
	v_mov_b32_e32 v1, 0x7f
	v_cmp_lt_u32_e32 vcc_lo, 0x7f800000, v3
	s_delay_alu instid0(VALU_DEP_2)
	v_cndmask_b32_e32 v1, 0x7e, v1, vcc_lo
; %bb.1845:
	s_or_b32 exec_lo, exec_lo, s11
	global_store_b8 v[4:5], v1, off
.LBB207_1846:
	s_mov_b32 s11, 0
.LBB207_1847:
	s_delay_alu instid0(SALU_CYCLE_1)
	s_and_not1_b32 vcc_lo, exec_lo, s11
	s_cbranch_vccnz .LBB207_1857
; %bb.1848:
	s_wait_xcnt 0x0
	v_cndmask_b32_e64 v3, 0, 1.0, s1
	s_mov_b32 s11, exec_lo
                                        ; implicit-def: $vgpr1
	s_delay_alu instid0(VALU_DEP_1)
	v_cmpx_gt_u32_e32 0x47800000, v3
	s_xor_b32 s11, exec_lo, s11
	s_cbranch_execz .LBB207_1854
; %bb.1849:
	s_mov_b32 s12, exec_lo
                                        ; implicit-def: $vgpr1
	v_cmpx_lt_u32_e32 0x387fffff, v3
	s_xor_b32 s12, exec_lo, s12
; %bb.1850:
	v_bfe_u32 v1, v3, 21, 1
	s_delay_alu instid0(VALU_DEP_1) | instskip(NEXT) | instid1(VALU_DEP_1)
	v_add3_u32 v1, v3, v1, 0x80fffff
                                        ; implicit-def: $vgpr3
	v_lshrrev_b32_e32 v1, 21, v1
; %bb.1851:
	s_and_not1_saveexec_b32 s12, s12
; %bb.1852:
	v_add_f32_e32 v1, 0x43000000, v3
; %bb.1853:
	s_or_b32 exec_lo, exec_lo, s12
                                        ; implicit-def: $vgpr3
.LBB207_1854:
	s_and_not1_saveexec_b32 s11, s11
; %bb.1855:
	v_mov_b32_e32 v1, 0x7f
	v_cmp_lt_u32_e32 vcc_lo, 0x7f800000, v3
	s_delay_alu instid0(VALU_DEP_2)
	v_cndmask_b32_e32 v1, 0x7c, v1, vcc_lo
; %bb.1856:
	s_or_b32 exec_lo, exec_lo, s11
	global_store_b8 v[4:5], v1, off
.LBB207_1857:
	s_mov_b32 s11, 0
	s_mov_b32 s12, -1
.LBB207_1858:
	s_and_not1_b32 vcc_lo, exec_lo, s11
	s_mov_b32 s11, 0
	s_cbranch_vccnz .LBB207_1865
; %bb.1859:
	s_cmp_gt_i32 s10, 14
	s_mov_b32 s11, -1
	s_cbranch_scc0 .LBB207_1863
; %bb.1860:
	s_cmp_eq_u32 s10, 15
	s_mov_b32 s2, -1
	s_cbranch_scc0 .LBB207_1862
; %bb.1861:
	s_wait_xcnt 0x0
	v_cndmask_b32_e64 v1, 0, 1.0, s1
	s_mov_b32 s2, 0
	s_mov_b32 s12, -1
	s_delay_alu instid0(VALU_DEP_1) | instskip(NEXT) | instid1(VALU_DEP_1)
	v_bfe_u32 v3, v1, 16, 1
	v_add3_u32 v1, v1, v3, 0x7fff
	global_store_d16_hi_b16 v[4:5], v1, off
.LBB207_1862:
	s_mov_b32 s11, 0
.LBB207_1863:
	s_delay_alu instid0(SALU_CYCLE_1)
	s_and_b32 vcc_lo, exec_lo, s11
	s_mov_b32 s11, 0
	s_cbranch_vccz .LBB207_1865
; %bb.1864:
	s_cmp_lg_u32 s10, 11
	s_mov_b32 s11, -1
	s_cselect_b32 s2, -1, 0
.LBB207_1865:
	s_delay_alu instid0(SALU_CYCLE_1)
	s_and_b32 vcc_lo, exec_lo, s2
	s_cbranch_vccnz .LBB207_2159
; %bb.1866:
	s_and_not1_b32 vcc_lo, exec_lo, s11
	s_cbranch_vccnz .LBB207_1868
.LBB207_1867:
	s_wait_xcnt 0x0
	v_cndmask_b32_e64 v1, 0, 1, s1
	s_mov_b32 s12, -1
	global_store_b8 v[4:5], v1, off
.LBB207_1868:
	s_mov_b32 s2, 0
	s_branch .LBB207_1870
.LBB207_1869:
	s_mov_b32 s2, -1
	s_mov_b32 s12, 0
.LBB207_1870:
	s_and_b32 vcc_lo, exec_lo, s2
	s_cbranch_vccz .LBB207_1909
; %bb.1871:
	s_cmp_lt_i32 s10, 5
	s_mov_b32 s2, -1
	s_cbranch_scc1 .LBB207_1892
; %bb.1872:
	s_cmp_lt_i32 s10, 8
	s_cbranch_scc1 .LBB207_1882
; %bb.1873:
	s_cmp_lt_i32 s10, 9
	s_cbranch_scc1 .LBB207_1879
; %bb.1874:
	s_cmp_gt_i32 s10, 9
	s_cbranch_scc0 .LBB207_1876
; %bb.1875:
	s_wait_xcnt 0x0
	v_cndmask_b32_e64 v1, 0, 1, s1
	v_mov_b32_e32 v8, 0
	s_mov_b32 s2, 0
	s_delay_alu instid0(VALU_DEP_2) | instskip(NEXT) | instid1(VALU_DEP_2)
	v_cvt_f64_u32_e32 v[6:7], v1
	v_mov_b32_e32 v9, v8
	global_store_b128 v[4:5], v[6:9], off
.LBB207_1876:
	s_and_not1_b32 vcc_lo, exec_lo, s2
	s_cbranch_vccnz .LBB207_1878
; %bb.1877:
	s_wait_xcnt 0x0
	v_cndmask_b32_e64 v6, 0, 1.0, s1
	v_mov_b32_e32 v7, 0
	global_store_b64 v[4:5], v[6:7], off
.LBB207_1878:
	s_mov_b32 s2, 0
.LBB207_1879:
	s_delay_alu instid0(SALU_CYCLE_1)
	s_and_not1_b32 vcc_lo, exec_lo, s2
	s_cbranch_vccnz .LBB207_1881
; %bb.1880:
	s_wait_xcnt 0x0
	v_cndmask_b32_e64 v1, 0, 1.0, s1
	s_delay_alu instid0(VALU_DEP_1) | instskip(NEXT) | instid1(VALU_DEP_1)
	v_cvt_f16_f32_e32 v1, v1
	v_and_b32_e32 v1, 0xffff, v1
	global_store_b32 v[4:5], v1, off
.LBB207_1881:
	s_mov_b32 s2, 0
.LBB207_1882:
	s_delay_alu instid0(SALU_CYCLE_1)
	s_and_not1_b32 vcc_lo, exec_lo, s2
	s_cbranch_vccnz .LBB207_1891
; %bb.1883:
	s_cmp_lt_i32 s10, 6
	s_mov_b32 s2, -1
	s_cbranch_scc1 .LBB207_1889
; %bb.1884:
	s_cmp_gt_i32 s10, 6
	s_cbranch_scc0 .LBB207_1886
; %bb.1885:
	s_wait_xcnt 0x0
	v_cndmask_b32_e64 v1, 0, 1, s1
	s_mov_b32 s2, 0
	s_delay_alu instid0(VALU_DEP_1)
	v_cvt_f64_u32_e32 v[6:7], v1
	global_store_b64 v[4:5], v[6:7], off
.LBB207_1886:
	s_and_not1_b32 vcc_lo, exec_lo, s2
	s_cbranch_vccnz .LBB207_1888
; %bb.1887:
	s_wait_xcnt 0x0
	v_cndmask_b32_e64 v1, 0, 1.0, s1
	global_store_b32 v[4:5], v1, off
.LBB207_1888:
	s_mov_b32 s2, 0
.LBB207_1889:
	s_delay_alu instid0(SALU_CYCLE_1)
	s_and_not1_b32 vcc_lo, exec_lo, s2
	s_cbranch_vccnz .LBB207_1891
; %bb.1890:
	s_wait_xcnt 0x0
	v_cndmask_b32_e64 v1, 0, 1.0, s1
	s_delay_alu instid0(VALU_DEP_1)
	v_cvt_f16_f32_e32 v1, v1
	global_store_b16 v[4:5], v1, off
.LBB207_1891:
	s_mov_b32 s2, 0
.LBB207_1892:
	s_delay_alu instid0(SALU_CYCLE_1)
	s_and_not1_b32 vcc_lo, exec_lo, s2
	s_cbranch_vccnz .LBB207_1908
; %bb.1893:
	s_cmp_lt_i32 s10, 2
	s_mov_b32 s2, -1
	s_cbranch_scc1 .LBB207_1903
; %bb.1894:
	s_cmp_lt_i32 s10, 3
	s_cbranch_scc1 .LBB207_1900
; %bb.1895:
	s_cmp_gt_i32 s10, 3
	s_cbranch_scc0 .LBB207_1897
; %bb.1896:
	s_mov_b32 s2, 0
	s_wait_xcnt 0x0
	v_cndmask_b32_e64 v6, 0, 1, s1
	v_mov_b32_e32 v7, s2
	global_store_b64 v[4:5], v[6:7], off
.LBB207_1897:
	s_and_not1_b32 vcc_lo, exec_lo, s2
	s_cbranch_vccnz .LBB207_1899
; %bb.1898:
	s_wait_xcnt 0x0
	v_cndmask_b32_e64 v1, 0, 1, s1
	global_store_b32 v[4:5], v1, off
.LBB207_1899:
	s_mov_b32 s2, 0
.LBB207_1900:
	s_delay_alu instid0(SALU_CYCLE_1)
	s_and_not1_b32 vcc_lo, exec_lo, s2
	s_cbranch_vccnz .LBB207_1902
; %bb.1901:
	s_wait_xcnt 0x0
	v_cndmask_b32_e64 v1, 0, 1, s1
	global_store_b16 v[4:5], v1, off
.LBB207_1902:
	s_mov_b32 s2, 0
.LBB207_1903:
	s_delay_alu instid0(SALU_CYCLE_1)
	s_and_not1_b32 vcc_lo, exec_lo, s2
	s_cbranch_vccnz .LBB207_1908
; %bb.1904:
	s_wait_xcnt 0x0
	v_cndmask_b32_e64 v1, 0, 1, s1
	s_cmp_gt_i32 s10, 0
	s_mov_b32 s1, -1
	s_cbranch_scc0 .LBB207_1906
; %bb.1905:
	s_mov_b32 s1, 0
	global_store_b8 v[4:5], v1, off
.LBB207_1906:
	s_and_not1_b32 vcc_lo, exec_lo, s1
	s_cbranch_vccnz .LBB207_1908
; %bb.1907:
	global_store_b8 v[4:5], v1, off
.LBB207_1908:
	s_mov_b32 s12, -1
.LBB207_1909:
	s_delay_alu instid0(SALU_CYCLE_1)
	s_and_not1_b32 vcc_lo, exec_lo, s12
	s_cbranch_vccnz .LBB207_2105
; %bb.1910:
	s_wait_xcnt 0x0
	v_lshlrev_b32_e32 v1, 16, v12
	s_cmp_lt_i32 s10, 11
	s_delay_alu instid0(VALU_DEP_1) | instskip(SKIP_3) | instid1(VALU_DEP_1)
	v_cmp_eq_f32_e32 vcc_lo, s7, v1
	v_cndmask_b32_e64 v3, 0, 1, vcc_lo
	v_cmp_neq_f32_e32 vcc_lo, s7, v1
	v_cndmask_b32_e64 v1, 0, 1, vcc_lo
	v_dual_cndmask_b32 v1, v1, v3, s0 :: v_dual_mov_b32 v3, 0
	s_delay_alu instid0(VALU_DEP_1) | instskip(NEXT) | instid1(VALU_DEP_2)
	v_and_b32_e32 v1, 1, v1
	v_add_nc_u64_e32 v[2:3], s[4:5], v[2:3]
	s_delay_alu instid0(VALU_DEP_2)
	v_cmp_eq_u32_e64 s1, 1, v1
	s_cbranch_scc1 .LBB207_1988
; %bb.1911:
	s_mov_b32 s13, -1
	s_mov_b32 s11, 0
	s_cmp_gt_i32 s10, 25
	s_mov_b32 s12, 0
	s_mov_b32 s2, 0
	s_cbranch_scc0 .LBB207_1944
; %bb.1912:
	s_cmp_gt_i32 s10, 28
	s_cbranch_scc0 .LBB207_1927
; %bb.1913:
	s_cmp_gt_i32 s10, 43
	;; [unrolled: 3-line block ×3, first 2 shown]
	s_cbranch_scc0 .LBB207_1917
; %bb.1915:
	s_mov_b32 s2, -1
	s_mov_b32 s13, 0
	s_cmp_eq_u32 s10, 46
	s_cbranch_scc0 .LBB207_1917
; %bb.1916:
	v_cndmask_b32_e64 v1, 0, 1.0, s1
	s_mov_b32 s2, 0
	s_mov_b32 s12, -1
	s_delay_alu instid0(VALU_DEP_1) | instskip(NEXT) | instid1(VALU_DEP_1)
	v_bfe_u32 v4, v1, 16, 1
	v_add3_u32 v1, v1, v4, 0x7fff
	s_delay_alu instid0(VALU_DEP_1)
	v_lshrrev_b32_e32 v1, 16, v1
	global_store_b32 v[2:3], v1, off
.LBB207_1917:
	s_and_b32 vcc_lo, exec_lo, s13
	s_cbranch_vccz .LBB207_1922
; %bb.1918:
	s_cmp_eq_u32 s10, 44
	s_mov_b32 s2, -1
	s_cbranch_scc0 .LBB207_1922
; %bb.1919:
	v_cndmask_b32_e64 v5, 0, 1.0, s1
	s_mov_b32 s12, exec_lo
	s_wait_xcnt 0x0
	s_delay_alu instid0(VALU_DEP_1) | instskip(NEXT) | instid1(VALU_DEP_1)
	v_dual_mov_b32 v4, 0xff :: v_dual_lshrrev_b32 v1, 23, v5
	v_cmpx_ne_u32_e32 0xff, v1
; %bb.1920:
	v_and_b32_e32 v4, 0x400000, v5
	v_and_or_b32 v5, 0x3fffff, v5, v1
	s_delay_alu instid0(VALU_DEP_2) | instskip(NEXT) | instid1(VALU_DEP_2)
	v_cmp_ne_u32_e32 vcc_lo, 0, v4
	v_cmp_ne_u32_e64 s2, 0, v5
	s_and_b32 s2, vcc_lo, s2
	s_delay_alu instid0(SALU_CYCLE_1) | instskip(NEXT) | instid1(VALU_DEP_1)
	v_cndmask_b32_e64 v4, 0, 1, s2
	v_add_nc_u32_e32 v4, v1, v4
; %bb.1921:
	s_or_b32 exec_lo, exec_lo, s12
	s_mov_b32 s2, 0
	s_mov_b32 s12, -1
	global_store_b8 v[2:3], v4, off
.LBB207_1922:
	s_mov_b32 s13, 0
.LBB207_1923:
	s_delay_alu instid0(SALU_CYCLE_1)
	s_and_b32 vcc_lo, exec_lo, s13
	s_cbranch_vccz .LBB207_1926
; %bb.1924:
	s_cmp_eq_u32 s10, 29
	s_mov_b32 s2, -1
	s_cbranch_scc0 .LBB207_1926
; %bb.1925:
	s_mov_b32 s2, 0
	s_wait_xcnt 0x0
	v_cndmask_b32_e64 v4, 0, 1, s1
	v_mov_b32_e32 v5, s2
	s_mov_b32 s12, -1
	global_store_b64 v[2:3], v[4:5], off
.LBB207_1926:
	s_mov_b32 s13, 0
.LBB207_1927:
	s_delay_alu instid0(SALU_CYCLE_1)
	s_and_b32 vcc_lo, exec_lo, s13
	s_cbranch_vccz .LBB207_1943
; %bb.1928:
	s_cmp_lt_i32 s10, 27
	s_mov_b32 s12, -1
	s_cbranch_scc1 .LBB207_1934
; %bb.1929:
	s_cmp_gt_i32 s10, 27
	s_cbranch_scc0 .LBB207_1931
; %bb.1930:
	s_wait_xcnt 0x0
	v_cndmask_b32_e64 v1, 0, 1, s1
	s_mov_b32 s12, 0
	global_store_b32 v[2:3], v1, off
.LBB207_1931:
	s_and_not1_b32 vcc_lo, exec_lo, s12
	s_cbranch_vccnz .LBB207_1933
; %bb.1932:
	s_wait_xcnt 0x0
	v_cndmask_b32_e64 v1, 0, 1, s1
	global_store_b16 v[2:3], v1, off
.LBB207_1933:
	s_mov_b32 s12, 0
.LBB207_1934:
	s_delay_alu instid0(SALU_CYCLE_1)
	s_and_not1_b32 vcc_lo, exec_lo, s12
	s_cbranch_vccnz .LBB207_1942
; %bb.1935:
	s_wait_xcnt 0x0
	v_cndmask_b32_e64 v4, 0, 1.0, s1
	v_mov_b32_e32 v5, 0x80
	s_mov_b32 s12, exec_lo
	s_delay_alu instid0(VALU_DEP_2)
	v_cmpx_gt_u32_e32 0x43800000, v4
	s_cbranch_execz .LBB207_1941
; %bb.1936:
	s_mov_b32 s13, 0
	s_mov_b32 s14, exec_lo
                                        ; implicit-def: $vgpr1
	v_cmpx_lt_u32_e32 0x3bffffff, v4
	s_xor_b32 s14, exec_lo, s14
	s_cbranch_execz .LBB207_2162
; %bb.1937:
	v_bfe_u32 v1, v4, 20, 1
	s_mov_b32 s13, exec_lo
	s_delay_alu instid0(VALU_DEP_1) | instskip(NEXT) | instid1(VALU_DEP_1)
	v_add3_u32 v1, v4, v1, 0x487ffff
                                        ; implicit-def: $vgpr4
	v_lshrrev_b32_e32 v1, 20, v1
	s_and_not1_saveexec_b32 s14, s14
	s_cbranch_execnz .LBB207_2163
.LBB207_1938:
	s_or_b32 exec_lo, exec_lo, s14
	v_mov_b32_e32 v5, 0
	s_and_saveexec_b32 s14, s13
.LBB207_1939:
	v_mov_b32_e32 v5, v1
.LBB207_1940:
	s_or_b32 exec_lo, exec_lo, s14
.LBB207_1941:
	s_delay_alu instid0(SALU_CYCLE_1)
	s_or_b32 exec_lo, exec_lo, s12
	global_store_b8 v[2:3], v5, off
.LBB207_1942:
	s_mov_b32 s12, -1
.LBB207_1943:
	s_mov_b32 s13, 0
.LBB207_1944:
	s_delay_alu instid0(SALU_CYCLE_1)
	s_and_b32 vcc_lo, exec_lo, s13
	s_cbranch_vccz .LBB207_1984
; %bb.1945:
	s_cmp_gt_i32 s10, 22
	s_mov_b32 s11, -1
	s_cbranch_scc0 .LBB207_1977
; %bb.1946:
	s_cmp_lt_i32 s10, 24
	s_cbranch_scc1 .LBB207_1966
; %bb.1947:
	s_cmp_gt_i32 s10, 24
	s_cbranch_scc0 .LBB207_1955
; %bb.1948:
	s_wait_xcnt 0x0
	v_cndmask_b32_e64 v4, 0, 1.0, s1
	v_mov_b32_e32 v5, 0x80
	s_mov_b32 s11, exec_lo
	s_delay_alu instid0(VALU_DEP_2)
	v_cmpx_gt_u32_e32 0x47800000, v4
	s_cbranch_execz .LBB207_1954
; %bb.1949:
	s_mov_b32 s12, 0
	s_mov_b32 s13, exec_lo
                                        ; implicit-def: $vgpr1
	v_cmpx_lt_u32_e32 0x37ffffff, v4
	s_xor_b32 s13, exec_lo, s13
	s_cbranch_execz .LBB207_2165
; %bb.1950:
	v_bfe_u32 v1, v4, 21, 1
	s_mov_b32 s12, exec_lo
	s_delay_alu instid0(VALU_DEP_1) | instskip(NEXT) | instid1(VALU_DEP_1)
	v_add3_u32 v1, v4, v1, 0x88fffff
                                        ; implicit-def: $vgpr4
	v_lshrrev_b32_e32 v1, 21, v1
	s_and_not1_saveexec_b32 s13, s13
	s_cbranch_execnz .LBB207_2166
.LBB207_1951:
	s_or_b32 exec_lo, exec_lo, s13
	v_mov_b32_e32 v5, 0
	s_and_saveexec_b32 s13, s12
.LBB207_1952:
	v_mov_b32_e32 v5, v1
.LBB207_1953:
	s_or_b32 exec_lo, exec_lo, s13
.LBB207_1954:
	s_delay_alu instid0(SALU_CYCLE_1)
	s_or_b32 exec_lo, exec_lo, s11
	s_mov_b32 s11, 0
	global_store_b8 v[2:3], v5, off
.LBB207_1955:
	s_and_b32 vcc_lo, exec_lo, s11
	s_cbranch_vccz .LBB207_1965
; %bb.1956:
	s_wait_xcnt 0x0
	v_cndmask_b32_e64 v4, 0, 1.0, s1
	s_mov_b32 s11, exec_lo
                                        ; implicit-def: $vgpr1
	s_delay_alu instid0(VALU_DEP_1)
	v_cmpx_gt_u32_e32 0x43f00000, v4
	s_xor_b32 s11, exec_lo, s11
	s_cbranch_execz .LBB207_1962
; %bb.1957:
	s_mov_b32 s12, exec_lo
                                        ; implicit-def: $vgpr1
	v_cmpx_lt_u32_e32 0x3c7fffff, v4
	s_xor_b32 s12, exec_lo, s12
; %bb.1958:
	v_bfe_u32 v1, v4, 20, 1
	s_delay_alu instid0(VALU_DEP_1) | instskip(NEXT) | instid1(VALU_DEP_1)
	v_add3_u32 v1, v4, v1, 0x407ffff
	v_and_b32_e32 v4, 0xff00000, v1
	v_lshrrev_b32_e32 v1, 20, v1
	s_delay_alu instid0(VALU_DEP_2) | instskip(NEXT) | instid1(VALU_DEP_2)
	v_cmp_ne_u32_e32 vcc_lo, 0x7f00000, v4
                                        ; implicit-def: $vgpr4
	v_cndmask_b32_e32 v1, 0x7e, v1, vcc_lo
; %bb.1959:
	s_and_not1_saveexec_b32 s12, s12
; %bb.1960:
	v_add_f32_e32 v1, 0x46800000, v4
; %bb.1961:
	s_or_b32 exec_lo, exec_lo, s12
                                        ; implicit-def: $vgpr4
.LBB207_1962:
	s_and_not1_saveexec_b32 s11, s11
; %bb.1963:
	v_mov_b32_e32 v1, 0x7f
	v_cmp_lt_u32_e32 vcc_lo, 0x7f800000, v4
	s_delay_alu instid0(VALU_DEP_2)
	v_cndmask_b32_e32 v1, 0x7e, v1, vcc_lo
; %bb.1964:
	s_or_b32 exec_lo, exec_lo, s11
	global_store_b8 v[2:3], v1, off
.LBB207_1965:
	s_mov_b32 s11, 0
.LBB207_1966:
	s_delay_alu instid0(SALU_CYCLE_1)
	s_and_not1_b32 vcc_lo, exec_lo, s11
	s_cbranch_vccnz .LBB207_1976
; %bb.1967:
	s_wait_xcnt 0x0
	v_cndmask_b32_e64 v4, 0, 1.0, s1
	s_mov_b32 s11, exec_lo
                                        ; implicit-def: $vgpr1
	s_delay_alu instid0(VALU_DEP_1)
	v_cmpx_gt_u32_e32 0x47800000, v4
	s_xor_b32 s11, exec_lo, s11
	s_cbranch_execz .LBB207_1973
; %bb.1968:
	s_mov_b32 s12, exec_lo
                                        ; implicit-def: $vgpr1
	v_cmpx_lt_u32_e32 0x387fffff, v4
	s_xor_b32 s12, exec_lo, s12
; %bb.1969:
	v_bfe_u32 v1, v4, 21, 1
	s_delay_alu instid0(VALU_DEP_1) | instskip(NEXT) | instid1(VALU_DEP_1)
	v_add3_u32 v1, v4, v1, 0x80fffff
                                        ; implicit-def: $vgpr4
	v_lshrrev_b32_e32 v1, 21, v1
; %bb.1970:
	s_and_not1_saveexec_b32 s12, s12
; %bb.1971:
	v_add_f32_e32 v1, 0x43000000, v4
; %bb.1972:
	s_or_b32 exec_lo, exec_lo, s12
                                        ; implicit-def: $vgpr4
.LBB207_1973:
	s_and_not1_saveexec_b32 s11, s11
; %bb.1974:
	v_mov_b32_e32 v1, 0x7f
	v_cmp_lt_u32_e32 vcc_lo, 0x7f800000, v4
	s_delay_alu instid0(VALU_DEP_2)
	v_cndmask_b32_e32 v1, 0x7c, v1, vcc_lo
; %bb.1975:
	s_or_b32 exec_lo, exec_lo, s11
	global_store_b8 v[2:3], v1, off
.LBB207_1976:
	s_mov_b32 s11, 0
	s_mov_b32 s12, -1
.LBB207_1977:
	s_and_not1_b32 vcc_lo, exec_lo, s11
	s_mov_b32 s11, 0
	s_cbranch_vccnz .LBB207_1984
; %bb.1978:
	s_cmp_gt_i32 s10, 14
	s_mov_b32 s11, -1
	s_cbranch_scc0 .LBB207_1982
; %bb.1979:
	s_cmp_eq_u32 s10, 15
	s_mov_b32 s2, -1
	s_cbranch_scc0 .LBB207_1981
; %bb.1980:
	s_wait_xcnt 0x0
	v_cndmask_b32_e64 v1, 0, 1.0, s1
	s_mov_b32 s2, 0
	s_mov_b32 s12, -1
	s_delay_alu instid0(VALU_DEP_1) | instskip(NEXT) | instid1(VALU_DEP_1)
	v_bfe_u32 v4, v1, 16, 1
	v_add3_u32 v1, v1, v4, 0x7fff
	global_store_d16_hi_b16 v[2:3], v1, off
.LBB207_1981:
	s_mov_b32 s11, 0
.LBB207_1982:
	s_delay_alu instid0(SALU_CYCLE_1)
	s_and_b32 vcc_lo, exec_lo, s11
	s_mov_b32 s11, 0
	s_cbranch_vccz .LBB207_1984
; %bb.1983:
	s_cmp_lg_u32 s10, 11
	s_mov_b32 s11, -1
	s_cselect_b32 s2, -1, 0
.LBB207_1984:
	s_delay_alu instid0(SALU_CYCLE_1)
	s_and_b32 vcc_lo, exec_lo, s2
	s_cbranch_vccnz .LBB207_2164
; %bb.1985:
	s_and_not1_b32 vcc_lo, exec_lo, s11
	s_cbranch_vccnz .LBB207_1987
.LBB207_1986:
	s_wait_xcnt 0x0
	v_cndmask_b32_e64 v1, 0, 1, s1
	s_mov_b32 s12, -1
	global_store_b8 v[2:3], v1, off
.LBB207_1987:
	s_mov_b32 s2, 0
	s_branch .LBB207_1989
.LBB207_1988:
	s_mov_b32 s2, -1
	s_mov_b32 s12, 0
.LBB207_1989:
	s_and_b32 vcc_lo, exec_lo, s2
	s_cbranch_vccz .LBB207_2028
; %bb.1990:
	s_cmp_lt_i32 s10, 5
	s_mov_b32 s2, -1
	s_cbranch_scc1 .LBB207_2011
; %bb.1991:
	s_cmp_lt_i32 s10, 8
	s_cbranch_scc1 .LBB207_2001
; %bb.1992:
	s_cmp_lt_i32 s10, 9
	s_cbranch_scc1 .LBB207_1998
; %bb.1993:
	s_cmp_gt_i32 s10, 9
	s_cbranch_scc0 .LBB207_1995
; %bb.1994:
	s_wait_xcnt 0x0
	v_cndmask_b32_e64 v1, 0, 1, s1
	v_mov_b32_e32 v6, 0
	s_mov_b32 s2, 0
	s_delay_alu instid0(VALU_DEP_2) | instskip(NEXT) | instid1(VALU_DEP_2)
	v_cvt_f64_u32_e32 v[4:5], v1
	v_mov_b32_e32 v7, v6
	global_store_b128 v[2:3], v[4:7], off
.LBB207_1995:
	s_and_not1_b32 vcc_lo, exec_lo, s2
	s_cbranch_vccnz .LBB207_1997
; %bb.1996:
	s_wait_xcnt 0x0
	v_cndmask_b32_e64 v4, 0, 1.0, s1
	v_mov_b32_e32 v5, 0
	global_store_b64 v[2:3], v[4:5], off
.LBB207_1997:
	s_mov_b32 s2, 0
.LBB207_1998:
	s_delay_alu instid0(SALU_CYCLE_1)
	s_and_not1_b32 vcc_lo, exec_lo, s2
	s_cbranch_vccnz .LBB207_2000
; %bb.1999:
	s_wait_xcnt 0x0
	v_cndmask_b32_e64 v1, 0, 1.0, s1
	s_delay_alu instid0(VALU_DEP_1) | instskip(NEXT) | instid1(VALU_DEP_1)
	v_cvt_f16_f32_e32 v1, v1
	v_and_b32_e32 v1, 0xffff, v1
	global_store_b32 v[2:3], v1, off
.LBB207_2000:
	s_mov_b32 s2, 0
.LBB207_2001:
	s_delay_alu instid0(SALU_CYCLE_1)
	s_and_not1_b32 vcc_lo, exec_lo, s2
	s_cbranch_vccnz .LBB207_2010
; %bb.2002:
	s_cmp_lt_i32 s10, 6
	s_mov_b32 s2, -1
	s_cbranch_scc1 .LBB207_2008
; %bb.2003:
	s_cmp_gt_i32 s10, 6
	s_cbranch_scc0 .LBB207_2005
; %bb.2004:
	s_wait_xcnt 0x0
	v_cndmask_b32_e64 v1, 0, 1, s1
	s_mov_b32 s2, 0
	s_delay_alu instid0(VALU_DEP_1)
	v_cvt_f64_u32_e32 v[4:5], v1
	global_store_b64 v[2:3], v[4:5], off
.LBB207_2005:
	s_and_not1_b32 vcc_lo, exec_lo, s2
	s_cbranch_vccnz .LBB207_2007
; %bb.2006:
	s_wait_xcnt 0x0
	v_cndmask_b32_e64 v1, 0, 1.0, s1
	global_store_b32 v[2:3], v1, off
.LBB207_2007:
	s_mov_b32 s2, 0
.LBB207_2008:
	s_delay_alu instid0(SALU_CYCLE_1)
	s_and_not1_b32 vcc_lo, exec_lo, s2
	s_cbranch_vccnz .LBB207_2010
; %bb.2009:
	s_wait_xcnt 0x0
	v_cndmask_b32_e64 v1, 0, 1.0, s1
	s_delay_alu instid0(VALU_DEP_1)
	v_cvt_f16_f32_e32 v1, v1
	global_store_b16 v[2:3], v1, off
.LBB207_2010:
	s_mov_b32 s2, 0
.LBB207_2011:
	s_delay_alu instid0(SALU_CYCLE_1)
	s_and_not1_b32 vcc_lo, exec_lo, s2
	s_cbranch_vccnz .LBB207_2027
; %bb.2012:
	s_cmp_lt_i32 s10, 2
	s_mov_b32 s2, -1
	s_cbranch_scc1 .LBB207_2022
; %bb.2013:
	s_cmp_lt_i32 s10, 3
	s_cbranch_scc1 .LBB207_2019
; %bb.2014:
	s_cmp_gt_i32 s10, 3
	s_cbranch_scc0 .LBB207_2016
; %bb.2015:
	s_mov_b32 s2, 0
	s_wait_xcnt 0x0
	v_cndmask_b32_e64 v4, 0, 1, s1
	v_mov_b32_e32 v5, s2
	global_store_b64 v[2:3], v[4:5], off
.LBB207_2016:
	s_and_not1_b32 vcc_lo, exec_lo, s2
	s_cbranch_vccnz .LBB207_2018
; %bb.2017:
	s_wait_xcnt 0x0
	v_cndmask_b32_e64 v1, 0, 1, s1
	global_store_b32 v[2:3], v1, off
.LBB207_2018:
	s_mov_b32 s2, 0
.LBB207_2019:
	s_delay_alu instid0(SALU_CYCLE_1)
	s_and_not1_b32 vcc_lo, exec_lo, s2
	s_cbranch_vccnz .LBB207_2021
; %bb.2020:
	s_wait_xcnt 0x0
	v_cndmask_b32_e64 v1, 0, 1, s1
	global_store_b16 v[2:3], v1, off
.LBB207_2021:
	s_mov_b32 s2, 0
.LBB207_2022:
	s_delay_alu instid0(SALU_CYCLE_1)
	s_and_not1_b32 vcc_lo, exec_lo, s2
	s_cbranch_vccnz .LBB207_2027
; %bb.2023:
	s_cmp_gt_i32 s10, 0
	s_mov_b32 s2, -1
	s_cbranch_scc0 .LBB207_2025
; %bb.2024:
	s_wait_xcnt 0x0
	v_cndmask_b32_e64 v1, 0, 1, s1
	s_mov_b32 s2, 0
	global_store_b8 v[2:3], v1, off
.LBB207_2025:
	s_and_not1_b32 vcc_lo, exec_lo, s2
	s_cbranch_vccnz .LBB207_2027
; %bb.2026:
	s_wait_xcnt 0x0
	v_cndmask_b32_e64 v1, 0, 1, s1
	global_store_b8 v[2:3], v1, off
.LBB207_2027:
	s_mov_b32 s12, -1
.LBB207_2028:
	s_delay_alu instid0(SALU_CYCLE_1)
	s_and_not1_b32 vcc_lo, exec_lo, s12
	s_cbranch_vccnz .LBB207_2105
; %bb.2029:
	s_wait_xcnt 0x0
	v_lshlrev_b32_e32 v1, 16, v10
	s_cmp_lt_i32 s10, 11
	s_delay_alu instid0(VALU_DEP_1) | instskip(SKIP_3) | instid1(VALU_DEP_1)
	v_cmp_eq_f32_e32 vcc_lo, s7, v1
	v_cndmask_b32_e64 v2, 0, 1, vcc_lo
	v_cmp_neq_f32_e32 vcc_lo, s7, v1
	v_cndmask_b32_e64 v1, 0, 1, vcc_lo
	v_dual_cndmask_b32 v2, v1, v2, s0 :: v_dual_mov_b32 v1, 0
	s_delay_alu instid0(VALU_DEP_1) | instskip(NEXT) | instid1(VALU_DEP_2)
	v_and_b32_e32 v4, 1, v2
	v_add_nc_u64_e32 v[2:3], s[4:5], v[0:1]
	s_delay_alu instid0(VALU_DEP_2)
	v_cmp_eq_u32_e64 s1, 1, v4
	s_cbranch_scc1 .LBB207_2150
; %bb.2030:
	s_mov_b32 s4, -1
	s_mov_b32 s2, 0
	s_cmp_gt_i32 s10, 25
	s_mov_b32 s0, 0
	s_cbranch_scc0 .LBB207_2063
; %bb.2031:
	s_cmp_gt_i32 s10, 28
	s_cbranch_scc0 .LBB207_2047
; %bb.2032:
	s_cmp_gt_i32 s10, 43
	;; [unrolled: 3-line block ×3, first 2 shown]
	s_cbranch_scc0 .LBB207_2037
; %bb.2034:
	s_cmp_eq_u32 s10, 46
	s_mov_b32 s0, -1
	s_cbranch_scc0 .LBB207_2036
; %bb.2035:
	v_cndmask_b32_e64 v0, 0, 1.0, s1
	s_mov_b32 s0, 0
	s_delay_alu instid0(VALU_DEP_1) | instskip(NEXT) | instid1(VALU_DEP_1)
	v_bfe_u32 v1, v0, 16, 1
	v_add3_u32 v0, v0, v1, 0x7fff
	s_delay_alu instid0(VALU_DEP_1)
	v_lshrrev_b32_e32 v0, 16, v0
	global_store_b32 v[2:3], v0, off
.LBB207_2036:
	s_mov_b32 s4, 0
.LBB207_2037:
	s_delay_alu instid0(SALU_CYCLE_1)
	s_and_b32 vcc_lo, exec_lo, s4
	s_cbranch_vccz .LBB207_2042
; %bb.2038:
	s_cmp_eq_u32 s10, 44
	s_mov_b32 s0, -1
	s_cbranch_scc0 .LBB207_2042
; %bb.2039:
	v_cndmask_b32_e64 v4, 0, 1.0, s1
	s_mov_b32 s4, exec_lo
	s_wait_xcnt 0x0
	s_delay_alu instid0(VALU_DEP_1) | instskip(NEXT) | instid1(VALU_DEP_1)
	v_dual_mov_b32 v1, 0xff :: v_dual_lshrrev_b32 v0, 23, v4
	v_cmpx_ne_u32_e32 0xff, v0
; %bb.2040:
	v_and_b32_e32 v1, 0x400000, v4
	v_and_or_b32 v4, 0x3fffff, v4, v0
	s_delay_alu instid0(VALU_DEP_2) | instskip(NEXT) | instid1(VALU_DEP_2)
	v_cmp_ne_u32_e32 vcc_lo, 0, v1
	v_cmp_ne_u32_e64 s0, 0, v4
	s_and_b32 s0, vcc_lo, s0
	s_delay_alu instid0(SALU_CYCLE_1) | instskip(NEXT) | instid1(VALU_DEP_1)
	v_cndmask_b32_e64 v1, 0, 1, s0
	v_add_nc_u32_e32 v1, v0, v1
; %bb.2041:
	s_or_b32 exec_lo, exec_lo, s4
	s_mov_b32 s0, 0
	global_store_b8 v[2:3], v1, off
.LBB207_2042:
	s_mov_b32 s4, 0
.LBB207_2043:
	s_delay_alu instid0(SALU_CYCLE_1)
	s_and_b32 vcc_lo, exec_lo, s4
	s_cbranch_vccz .LBB207_2046
; %bb.2044:
	s_cmp_eq_u32 s10, 29
	s_mov_b32 s0, -1
	s_cbranch_scc0 .LBB207_2046
; %bb.2045:
	s_mov_b32 s0, 0
	s_wait_xcnt 0x0
	v_cndmask_b32_e64 v0, 0, 1, s1
	v_mov_b32_e32 v1, s0
	global_store_b64 v[2:3], v[0:1], off
.LBB207_2046:
	s_mov_b32 s4, 0
.LBB207_2047:
	s_delay_alu instid0(SALU_CYCLE_1)
	s_and_b32 vcc_lo, exec_lo, s4
	s_cbranch_vccz .LBB207_2062
; %bb.2048:
	s_cmp_lt_i32 s10, 27
	s_mov_b32 s4, -1
	s_cbranch_scc1 .LBB207_2054
; %bb.2049:
	s_cmp_gt_i32 s10, 27
	s_cbranch_scc0 .LBB207_2051
; %bb.2050:
	s_wait_xcnt 0x0
	v_cndmask_b32_e64 v0, 0, 1, s1
	s_mov_b32 s4, 0
	global_store_b32 v[2:3], v0, off
.LBB207_2051:
	s_and_not1_b32 vcc_lo, exec_lo, s4
	s_cbranch_vccnz .LBB207_2053
; %bb.2052:
	s_wait_xcnt 0x0
	v_cndmask_b32_e64 v0, 0, 1, s1
	global_store_b16 v[2:3], v0, off
.LBB207_2053:
	s_mov_b32 s4, 0
.LBB207_2054:
	s_delay_alu instid0(SALU_CYCLE_1)
	s_and_not1_b32 vcc_lo, exec_lo, s4
	s_cbranch_vccnz .LBB207_2062
; %bb.2055:
	s_wait_xcnt 0x0
	v_cndmask_b32_e64 v1, 0, 1.0, s1
	v_mov_b32_e32 v4, 0x80
	s_mov_b32 s4, exec_lo
	s_delay_alu instid0(VALU_DEP_2)
	v_cmpx_gt_u32_e32 0x43800000, v1
	s_cbranch_execz .LBB207_2061
; %bb.2056:
	s_mov_b32 s5, 0
	s_mov_b32 s7, exec_lo
                                        ; implicit-def: $vgpr0
	v_cmpx_lt_u32_e32 0x3bffffff, v1
	s_xor_b32 s7, exec_lo, s7
	s_cbranch_execz .LBB207_2167
; %bb.2057:
	v_bfe_u32 v0, v1, 20, 1
	s_mov_b32 s5, exec_lo
	s_delay_alu instid0(VALU_DEP_1) | instskip(NEXT) | instid1(VALU_DEP_1)
	v_add3_u32 v0, v1, v0, 0x487ffff
                                        ; implicit-def: $vgpr1
	v_lshrrev_b32_e32 v0, 20, v0
	s_and_not1_saveexec_b32 s7, s7
	s_cbranch_execnz .LBB207_2168
.LBB207_2058:
	s_or_b32 exec_lo, exec_lo, s7
	v_mov_b32_e32 v4, 0
	s_and_saveexec_b32 s7, s5
.LBB207_2059:
	v_mov_b32_e32 v4, v0
.LBB207_2060:
	s_or_b32 exec_lo, exec_lo, s7
.LBB207_2061:
	s_delay_alu instid0(SALU_CYCLE_1)
	s_or_b32 exec_lo, exec_lo, s4
	global_store_b8 v[2:3], v4, off
.LBB207_2062:
	s_mov_b32 s4, 0
.LBB207_2063:
	s_delay_alu instid0(SALU_CYCLE_1)
	s_and_b32 vcc_lo, exec_lo, s4
	s_cbranch_vccz .LBB207_2103
; %bb.2064:
	s_cmp_gt_i32 s10, 22
	s_mov_b32 s2, -1
	s_cbranch_scc0 .LBB207_2096
; %bb.2065:
	s_cmp_lt_i32 s10, 24
	s_cbranch_scc1 .LBB207_2085
; %bb.2066:
	s_cmp_gt_i32 s10, 24
	s_cbranch_scc0 .LBB207_2074
; %bb.2067:
	s_wait_xcnt 0x0
	v_cndmask_b32_e64 v1, 0, 1.0, s1
	v_mov_b32_e32 v4, 0x80
	s_mov_b32 s2, exec_lo
	s_delay_alu instid0(VALU_DEP_2)
	v_cmpx_gt_u32_e32 0x47800000, v1
	s_cbranch_execz .LBB207_2073
; %bb.2068:
	s_mov_b32 s4, 0
	s_mov_b32 s5, exec_lo
                                        ; implicit-def: $vgpr0
	v_cmpx_lt_u32_e32 0x37ffffff, v1
	s_xor_b32 s5, exec_lo, s5
	s_cbranch_execz .LBB207_2170
; %bb.2069:
	v_bfe_u32 v0, v1, 21, 1
	s_mov_b32 s4, exec_lo
	s_delay_alu instid0(VALU_DEP_1) | instskip(NEXT) | instid1(VALU_DEP_1)
	v_add3_u32 v0, v1, v0, 0x88fffff
                                        ; implicit-def: $vgpr1
	v_lshrrev_b32_e32 v0, 21, v0
	s_and_not1_saveexec_b32 s5, s5
	s_cbranch_execnz .LBB207_2171
.LBB207_2070:
	s_or_b32 exec_lo, exec_lo, s5
	v_mov_b32_e32 v4, 0
	s_and_saveexec_b32 s5, s4
.LBB207_2071:
	v_mov_b32_e32 v4, v0
.LBB207_2072:
	s_or_b32 exec_lo, exec_lo, s5
.LBB207_2073:
	s_delay_alu instid0(SALU_CYCLE_1)
	s_or_b32 exec_lo, exec_lo, s2
	s_mov_b32 s2, 0
	global_store_b8 v[2:3], v4, off
.LBB207_2074:
	s_and_b32 vcc_lo, exec_lo, s2
	s_cbranch_vccz .LBB207_2084
; %bb.2075:
	s_wait_xcnt 0x0
	v_cndmask_b32_e64 v1, 0, 1.0, s1
	s_mov_b32 s2, exec_lo
                                        ; implicit-def: $vgpr0
	s_delay_alu instid0(VALU_DEP_1)
	v_cmpx_gt_u32_e32 0x43f00000, v1
	s_xor_b32 s2, exec_lo, s2
	s_cbranch_execz .LBB207_2081
; %bb.2076:
	s_mov_b32 s4, exec_lo
                                        ; implicit-def: $vgpr0
	v_cmpx_lt_u32_e32 0x3c7fffff, v1
	s_xor_b32 s4, exec_lo, s4
; %bb.2077:
	v_bfe_u32 v0, v1, 20, 1
	s_delay_alu instid0(VALU_DEP_1) | instskip(NEXT) | instid1(VALU_DEP_1)
	v_add3_u32 v0, v1, v0, 0x407ffff
	v_and_b32_e32 v1, 0xff00000, v0
	v_lshrrev_b32_e32 v0, 20, v0
	s_delay_alu instid0(VALU_DEP_2) | instskip(NEXT) | instid1(VALU_DEP_2)
	v_cmp_ne_u32_e32 vcc_lo, 0x7f00000, v1
                                        ; implicit-def: $vgpr1
	v_cndmask_b32_e32 v0, 0x7e, v0, vcc_lo
; %bb.2078:
	s_and_not1_saveexec_b32 s4, s4
; %bb.2079:
	v_add_f32_e32 v0, 0x46800000, v1
; %bb.2080:
	s_or_b32 exec_lo, exec_lo, s4
                                        ; implicit-def: $vgpr1
.LBB207_2081:
	s_and_not1_saveexec_b32 s2, s2
; %bb.2082:
	v_mov_b32_e32 v0, 0x7f
	v_cmp_lt_u32_e32 vcc_lo, 0x7f800000, v1
	s_delay_alu instid0(VALU_DEP_2)
	v_cndmask_b32_e32 v0, 0x7e, v0, vcc_lo
; %bb.2083:
	s_or_b32 exec_lo, exec_lo, s2
	global_store_b8 v[2:3], v0, off
.LBB207_2084:
	s_mov_b32 s2, 0
.LBB207_2085:
	s_delay_alu instid0(SALU_CYCLE_1)
	s_and_not1_b32 vcc_lo, exec_lo, s2
	s_cbranch_vccnz .LBB207_2095
; %bb.2086:
	s_wait_xcnt 0x0
	v_cndmask_b32_e64 v1, 0, 1.0, s1
	s_mov_b32 s2, exec_lo
                                        ; implicit-def: $vgpr0
	s_delay_alu instid0(VALU_DEP_1)
	v_cmpx_gt_u32_e32 0x47800000, v1
	s_xor_b32 s2, exec_lo, s2
	s_cbranch_execz .LBB207_2092
; %bb.2087:
	s_mov_b32 s4, exec_lo
                                        ; implicit-def: $vgpr0
	v_cmpx_lt_u32_e32 0x387fffff, v1
	s_xor_b32 s4, exec_lo, s4
; %bb.2088:
	v_bfe_u32 v0, v1, 21, 1
	s_delay_alu instid0(VALU_DEP_1) | instskip(NEXT) | instid1(VALU_DEP_1)
	v_add3_u32 v0, v1, v0, 0x80fffff
                                        ; implicit-def: $vgpr1
	v_lshrrev_b32_e32 v0, 21, v0
; %bb.2089:
	s_and_not1_saveexec_b32 s4, s4
; %bb.2090:
	v_add_f32_e32 v0, 0x43000000, v1
; %bb.2091:
	s_or_b32 exec_lo, exec_lo, s4
                                        ; implicit-def: $vgpr1
.LBB207_2092:
	s_and_not1_saveexec_b32 s2, s2
; %bb.2093:
	v_mov_b32_e32 v0, 0x7f
	v_cmp_lt_u32_e32 vcc_lo, 0x7f800000, v1
	s_delay_alu instid0(VALU_DEP_2)
	v_cndmask_b32_e32 v0, 0x7c, v0, vcc_lo
; %bb.2094:
	s_or_b32 exec_lo, exec_lo, s2
	global_store_b8 v[2:3], v0, off
.LBB207_2095:
	s_mov_b32 s2, 0
.LBB207_2096:
	s_delay_alu instid0(SALU_CYCLE_1)
	s_and_not1_b32 vcc_lo, exec_lo, s2
	s_mov_b32 s2, 0
	s_cbranch_vccnz .LBB207_2103
; %bb.2097:
	s_cmp_gt_i32 s10, 14
	s_mov_b32 s2, -1
	s_cbranch_scc0 .LBB207_2101
; %bb.2098:
	s_cmp_eq_u32 s10, 15
	s_mov_b32 s0, -1
	s_cbranch_scc0 .LBB207_2100
; %bb.2099:
	s_wait_xcnt 0x0
	v_cndmask_b32_e64 v0, 0, 1.0, s1
	s_mov_b32 s0, 0
	s_delay_alu instid0(VALU_DEP_1) | instskip(NEXT) | instid1(VALU_DEP_1)
	v_bfe_u32 v1, v0, 16, 1
	v_add3_u32 v0, v0, v1, 0x7fff
	global_store_d16_hi_b16 v[2:3], v0, off
.LBB207_2100:
	s_mov_b32 s2, 0
.LBB207_2101:
	s_delay_alu instid0(SALU_CYCLE_1)
	s_and_b32 vcc_lo, exec_lo, s2
	s_mov_b32 s2, 0
	s_cbranch_vccz .LBB207_2103
; %bb.2102:
	s_cmp_lg_u32 s10, 11
	s_mov_b32 s2, -1
	s_cselect_b32 s0, -1, 0
.LBB207_2103:
	s_delay_alu instid0(SALU_CYCLE_1)
	s_and_b32 vcc_lo, exec_lo, s0
	s_cbranch_vccnz .LBB207_2169
.LBB207_2104:
	s_mov_b32 s0, 0
	s_branch .LBB207_2106
.LBB207_2105:
	s_mov_b32 s0, 0
	s_mov_b32 s2, 0
                                        ; implicit-def: $sgpr1
                                        ; implicit-def: $vgpr2_vgpr3
                                        ; implicit-def: $sgpr6
.LBB207_2106:
	s_and_not1_b32 s4, s8, exec_lo
	s_and_b32 s3, s3, exec_lo
	s_and_b32 s0, s0, exec_lo
	;; [unrolled: 1-line block ×3, first 2 shown]
	s_or_b32 s8, s4, s3
.LBB207_2107:
	s_wait_xcnt 0x0
	s_or_b32 exec_lo, exec_lo, s9
	s_and_saveexec_b32 s2, s8
	s_cbranch_execz .LBB207_2110
; %bb.2108:
	; divergent unreachable
	s_or_b32 exec_lo, exec_lo, s2
	s_and_saveexec_b32 s2, s34
	s_delay_alu instid0(SALU_CYCLE_1)
	s_xor_b32 s2, exec_lo, s2
	s_cbranch_execnz .LBB207_2111
.LBB207_2109:
	s_or_b32 exec_lo, exec_lo, s2
	s_and_saveexec_b32 s2, s0
	s_cbranch_execnz .LBB207_2112
	s_branch .LBB207_2149
.LBB207_2110:
	s_or_b32 exec_lo, exec_lo, s2
	s_and_saveexec_b32 s2, s34
	s_delay_alu instid0(SALU_CYCLE_1)
	s_xor_b32 s2, exec_lo, s2
	s_cbranch_execz .LBB207_2109
.LBB207_2111:
	v_cndmask_b32_e64 v0, 0, 1, s1
	s_wait_loadcnt 0x0
	global_store_b8 v[2:3], v0, off
	s_wait_xcnt 0x0
	s_or_b32 exec_lo, exec_lo, s2
	s_and_saveexec_b32 s2, s0
	s_cbranch_execz .LBB207_2149
.LBB207_2112:
	s_sext_i32_i16 s2, s6
	s_mov_b32 s0, -1
	s_cmp_lt_i32 s2, 5
	s_cbranch_scc1 .LBB207_2133
; %bb.2113:
	s_cmp_lt_i32 s2, 8
	s_cbranch_scc1 .LBB207_2123
; %bb.2114:
	;; [unrolled: 3-line block ×3, first 2 shown]
	s_cmp_gt_i32 s2, 9
	s_cbranch_scc0 .LBB207_2117
; %bb.2116:
	v_cndmask_b32_e64 v0, 0, 1, s1
	v_mov_b32_e32 v6, 0
	s_mov_b32 s0, 0
	s_delay_alu instid0(VALU_DEP_2) | instskip(NEXT) | instid1(VALU_DEP_2)
	v_cvt_f64_u32_e32 v[4:5], v0
	v_mov_b32_e32 v7, v6
	s_wait_loadcnt 0x0
	global_store_b128 v[2:3], v[4:7], off
.LBB207_2117:
	s_and_not1_b32 vcc_lo, exec_lo, s0
	s_cbranch_vccnz .LBB207_2119
; %bb.2118:
	v_cndmask_b32_e64 v0, 0, 1.0, s1
	s_wait_loadcnt 0x0
	v_mov_b32_e32 v1, 0
	global_store_b64 v[2:3], v[0:1], off
.LBB207_2119:
	s_mov_b32 s0, 0
.LBB207_2120:
	s_delay_alu instid0(SALU_CYCLE_1)
	s_and_not1_b32 vcc_lo, exec_lo, s0
	s_cbranch_vccnz .LBB207_2122
; %bb.2121:
	s_wait_xcnt 0x0
	v_cndmask_b32_e64 v0, 0, 1.0, s1
	s_delay_alu instid0(VALU_DEP_1) | instskip(NEXT) | instid1(VALU_DEP_1)
	v_cvt_f16_f32_e32 v0, v0
	v_and_b32_e32 v0, 0xffff, v0
	s_wait_loadcnt 0x0
	global_store_b32 v[2:3], v0, off
.LBB207_2122:
	s_mov_b32 s0, 0
.LBB207_2123:
	s_delay_alu instid0(SALU_CYCLE_1)
	s_and_not1_b32 vcc_lo, exec_lo, s0
	s_cbranch_vccnz .LBB207_2132
; %bb.2124:
	s_sext_i32_i16 s2, s6
	s_mov_b32 s0, -1
	s_cmp_lt_i32 s2, 6
	s_cbranch_scc1 .LBB207_2130
; %bb.2125:
	s_cmp_gt_i32 s2, 6
	s_cbranch_scc0 .LBB207_2127
; %bb.2126:
	s_wait_xcnt 0x0
	v_cndmask_b32_e64 v0, 0, 1, s1
	s_mov_b32 s0, 0
	s_wait_loadcnt 0x0
	s_delay_alu instid0(VALU_DEP_1)
	v_cvt_f64_u32_e32 v[0:1], v0
	global_store_b64 v[2:3], v[0:1], off
.LBB207_2127:
	s_and_not1_b32 vcc_lo, exec_lo, s0
	s_cbranch_vccnz .LBB207_2129
; %bb.2128:
	s_wait_xcnt 0x0
	v_cndmask_b32_e64 v0, 0, 1.0, s1
	s_wait_loadcnt 0x0
	global_store_b32 v[2:3], v0, off
.LBB207_2129:
	s_mov_b32 s0, 0
.LBB207_2130:
	s_delay_alu instid0(SALU_CYCLE_1)
	s_and_not1_b32 vcc_lo, exec_lo, s0
	s_cbranch_vccnz .LBB207_2132
; %bb.2131:
	s_wait_xcnt 0x0
	v_cndmask_b32_e64 v0, 0, 1.0, s1
	s_delay_alu instid0(VALU_DEP_1)
	v_cvt_f16_f32_e32 v0, v0
	s_wait_loadcnt 0x0
	global_store_b16 v[2:3], v0, off
.LBB207_2132:
	s_mov_b32 s0, 0
.LBB207_2133:
	s_delay_alu instid0(SALU_CYCLE_1)
	s_and_not1_b32 vcc_lo, exec_lo, s0
	s_cbranch_vccnz .LBB207_2149
; %bb.2134:
	s_sext_i32_i16 s2, s6
	s_mov_b32 s0, -1
	s_cmp_lt_i32 s2, 2
	s_cbranch_scc1 .LBB207_2144
; %bb.2135:
	s_cmp_lt_i32 s2, 3
	s_cbranch_scc1 .LBB207_2141
; %bb.2136:
	s_cmp_gt_i32 s2, 3
	s_cbranch_scc0 .LBB207_2138
; %bb.2137:
	s_mov_b32 s0, 0
	s_wait_xcnt 0x0
	v_cndmask_b32_e64 v0, 0, 1, s1
	s_wait_loadcnt 0x0
	v_mov_b32_e32 v1, s0
	global_store_b64 v[2:3], v[0:1], off
.LBB207_2138:
	s_and_not1_b32 vcc_lo, exec_lo, s0
	s_cbranch_vccnz .LBB207_2140
; %bb.2139:
	s_wait_xcnt 0x0
	v_cndmask_b32_e64 v0, 0, 1, s1
	s_wait_loadcnt 0x0
	global_store_b32 v[2:3], v0, off
.LBB207_2140:
	s_mov_b32 s0, 0
.LBB207_2141:
	s_delay_alu instid0(SALU_CYCLE_1)
	s_and_not1_b32 vcc_lo, exec_lo, s0
	s_cbranch_vccnz .LBB207_2143
; %bb.2142:
	s_wait_xcnt 0x0
	v_cndmask_b32_e64 v0, 0, 1, s1
	s_wait_loadcnt 0x0
	global_store_b16 v[2:3], v0, off
.LBB207_2143:
	s_mov_b32 s0, 0
.LBB207_2144:
	s_delay_alu instid0(SALU_CYCLE_1)
	s_and_not1_b32 vcc_lo, exec_lo, s0
	s_cbranch_vccnz .LBB207_2149
; %bb.2145:
	s_sext_i32_i16 s0, s6
	s_delay_alu instid0(SALU_CYCLE_1)
	s_cmp_gt_i32 s0, 0
	s_mov_b32 s0, -1
	s_cbranch_scc0 .LBB207_2147
; %bb.2146:
	s_wait_xcnt 0x0
	v_cndmask_b32_e64 v0, 0, 1, s1
	s_mov_b32 s0, 0
	s_wait_loadcnt 0x0
	global_store_b8 v[2:3], v0, off
.LBB207_2147:
	s_and_not1_b32 vcc_lo, exec_lo, s0
	s_cbranch_vccnz .LBB207_2149
; %bb.2148:
	s_wait_xcnt 0x0
	v_cndmask_b32_e64 v0, 0, 1, s1
	s_wait_loadcnt 0x0
	global_store_b8 v[2:3], v0, off
	s_endpgm
.LBB207_2149:
	s_endpgm
.LBB207_2150:
	s_mov_b32 s2, 0
	s_mov_b32 s0, -1
	s_branch .LBB207_2106
.LBB207_2151:
	s_or_b32 s3, s3, exec_lo
	s_trap 2
	s_cbranch_execz .LBB207_1621
	s_branch .LBB207_1622
.LBB207_2152:
	s_and_not1_saveexec_b32 s14, s14
	s_cbranch_execz .LBB207_1701
.LBB207_2153:
	v_add_f32_e32 v1, 0x46000000, v5
	s_and_not1_b32 s13, s13, exec_lo
	s_delay_alu instid0(VALU_DEP_1) | instskip(NEXT) | instid1(VALU_DEP_1)
	v_and_b32_e32 v1, 0xff, v1
	v_cmp_ne_u32_e32 vcc_lo, 0, v1
	s_and_b32 s15, vcc_lo, exec_lo
	s_delay_alu instid0(SALU_CYCLE_1)
	s_or_b32 s13, s13, s15
	s_or_b32 exec_lo, exec_lo, s14
	v_mov_b32_e32 v8, 0
	s_and_saveexec_b32 s14, s13
	s_cbranch_execnz .LBB207_1702
	s_branch .LBB207_1703
.LBB207_2154:
	s_or_b32 s3, s3, exec_lo
	s_trap 2
	s_cbranch_execz .LBB207_1749
	s_branch .LBB207_1750
.LBB207_2155:
	s_and_not1_saveexec_b32 s13, s13
	s_cbranch_execz .LBB207_1714
.LBB207_2156:
	v_add_f32_e32 v1, 0x42800000, v5
	s_and_not1_b32 s12, s12, exec_lo
	s_delay_alu instid0(VALU_DEP_1) | instskip(NEXT) | instid1(VALU_DEP_1)
	v_and_b32_e32 v1, 0xff, v1
	v_cmp_ne_u32_e32 vcc_lo, 0, v1
	s_and_b32 s14, vcc_lo, exec_lo
	s_delay_alu instid0(SALU_CYCLE_1)
	s_or_b32 s12, s12, s14
	s_or_b32 exec_lo, exec_lo, s13
	v_mov_b32_e32 v8, 0
	s_and_saveexec_b32 s13, s12
	s_cbranch_execnz .LBB207_1715
	s_branch .LBB207_1716
.LBB207_2157:
	s_and_not1_saveexec_b32 s14, s14
	s_cbranch_execz .LBB207_1819
.LBB207_2158:
	v_add_f32_e32 v1, 0x46000000, v3
	s_and_not1_b32 s13, s13, exec_lo
	s_delay_alu instid0(VALU_DEP_1) | instskip(NEXT) | instid1(VALU_DEP_1)
	v_and_b32_e32 v1, 0xff, v1
	v_cmp_ne_u32_e32 vcc_lo, 0, v1
	s_and_b32 s15, vcc_lo, exec_lo
	s_delay_alu instid0(SALU_CYCLE_1)
	s_or_b32 s13, s13, s15
	s_or_b32 exec_lo, exec_lo, s14
	v_mov_b32_e32 v6, 0
	s_and_saveexec_b32 s14, s13
	s_cbranch_execnz .LBB207_1820
	s_branch .LBB207_1821
.LBB207_2159:
	s_or_b32 s3, s3, exec_lo
	s_trap 2
	s_cbranch_execz .LBB207_1867
	s_branch .LBB207_1868
.LBB207_2160:
	s_and_not1_saveexec_b32 s13, s13
	s_cbranch_execz .LBB207_1832
.LBB207_2161:
	v_add_f32_e32 v1, 0x42800000, v3
	s_and_not1_b32 s12, s12, exec_lo
	s_delay_alu instid0(VALU_DEP_1) | instskip(NEXT) | instid1(VALU_DEP_1)
	v_and_b32_e32 v1, 0xff, v1
	v_cmp_ne_u32_e32 vcc_lo, 0, v1
	s_and_b32 s14, vcc_lo, exec_lo
	s_delay_alu instid0(SALU_CYCLE_1)
	s_or_b32 s12, s12, s14
	s_or_b32 exec_lo, exec_lo, s13
	v_mov_b32_e32 v6, 0
	s_and_saveexec_b32 s13, s12
	s_cbranch_execnz .LBB207_1833
	s_branch .LBB207_1834
.LBB207_2162:
	s_and_not1_saveexec_b32 s14, s14
	s_cbranch_execz .LBB207_1938
.LBB207_2163:
	v_add_f32_e32 v1, 0x46000000, v4
	s_and_not1_b32 s13, s13, exec_lo
	s_delay_alu instid0(VALU_DEP_1) | instskip(NEXT) | instid1(VALU_DEP_1)
	v_and_b32_e32 v1, 0xff, v1
	v_cmp_ne_u32_e32 vcc_lo, 0, v1
	s_and_b32 s15, vcc_lo, exec_lo
	s_delay_alu instid0(SALU_CYCLE_1)
	s_or_b32 s13, s13, s15
	s_or_b32 exec_lo, exec_lo, s14
	v_mov_b32_e32 v5, 0
	s_and_saveexec_b32 s14, s13
	s_cbranch_execnz .LBB207_1939
	s_branch .LBB207_1940
.LBB207_2164:
	s_or_b32 s3, s3, exec_lo
	s_trap 2
	s_cbranch_execz .LBB207_1986
	s_branch .LBB207_1987
.LBB207_2165:
	s_and_not1_saveexec_b32 s13, s13
	s_cbranch_execz .LBB207_1951
.LBB207_2166:
	v_add_f32_e32 v1, 0x42800000, v4
	s_and_not1_b32 s12, s12, exec_lo
	s_delay_alu instid0(VALU_DEP_1) | instskip(NEXT) | instid1(VALU_DEP_1)
	v_and_b32_e32 v1, 0xff, v1
	v_cmp_ne_u32_e32 vcc_lo, 0, v1
	s_and_b32 s14, vcc_lo, exec_lo
	s_delay_alu instid0(SALU_CYCLE_1)
	s_or_b32 s12, s12, s14
	s_or_b32 exec_lo, exec_lo, s13
	v_mov_b32_e32 v5, 0
	s_and_saveexec_b32 s13, s12
	s_cbranch_execnz .LBB207_1952
	s_branch .LBB207_1953
.LBB207_2167:
	s_and_not1_saveexec_b32 s7, s7
	s_cbranch_execz .LBB207_2058
.LBB207_2168:
	v_add_f32_e32 v0, 0x46000000, v1
	s_and_not1_b32 s5, s5, exec_lo
	s_delay_alu instid0(VALU_DEP_1) | instskip(NEXT) | instid1(VALU_DEP_1)
	v_and_b32_e32 v0, 0xff, v0
	v_cmp_ne_u32_e32 vcc_lo, 0, v0
	s_and_b32 s11, vcc_lo, exec_lo
	s_delay_alu instid0(SALU_CYCLE_1)
	s_or_b32 s5, s5, s11
	s_or_b32 exec_lo, exec_lo, s7
	v_mov_b32_e32 v4, 0
	s_and_saveexec_b32 s7, s5
	s_cbranch_execnz .LBB207_2059
	s_branch .LBB207_2060
.LBB207_2169:
	s_mov_b32 s2, 0
	s_or_b32 s3, s3, exec_lo
	s_trap 2
	s_branch .LBB207_2104
.LBB207_2170:
	s_and_not1_saveexec_b32 s5, s5
	s_cbranch_execz .LBB207_2070
.LBB207_2171:
	v_add_f32_e32 v0, 0x42800000, v1
	s_and_not1_b32 s4, s4, exec_lo
	s_delay_alu instid0(VALU_DEP_1) | instskip(NEXT) | instid1(VALU_DEP_1)
	v_and_b32_e32 v0, 0xff, v0
	v_cmp_ne_u32_e32 vcc_lo, 0, v0
	s_and_b32 s7, vcc_lo, exec_lo
	s_delay_alu instid0(SALU_CYCLE_1)
	s_or_b32 s4, s4, s7
	s_or_b32 exec_lo, exec_lo, s5
	v_mov_b32_e32 v4, 0
	s_and_saveexec_b32 s5, s4
	s_cbranch_execnz .LBB207_2071
	s_branch .LBB207_2072
	.section	.rodata,"a",@progbits
	.p2align	6, 0x0
	.amdhsa_kernel _ZN2at6native32elementwise_kernel_manual_unrollILi128ELi4EZNS0_15gpu_kernel_implINS0_13AUnaryFunctorIN3c108BFloat16ES5_bNS0_12_GLOBAL__N_116CompareEqFunctorIS5_EEEEEEvRNS_18TensorIteratorBaseERKT_EUlibE0_EEviT1_
		.amdhsa_group_segment_fixed_size 0
		.amdhsa_private_segment_fixed_size 0
		.amdhsa_kernarg_size 368
		.amdhsa_user_sgpr_count 2
		.amdhsa_user_sgpr_dispatch_ptr 0
		.amdhsa_user_sgpr_queue_ptr 0
		.amdhsa_user_sgpr_kernarg_segment_ptr 1
		.amdhsa_user_sgpr_dispatch_id 0
		.amdhsa_user_sgpr_kernarg_preload_length 0
		.amdhsa_user_sgpr_kernarg_preload_offset 0
		.amdhsa_user_sgpr_private_segment_size 0
		.amdhsa_wavefront_size32 1
		.amdhsa_uses_dynamic_stack 0
		.amdhsa_enable_private_segment 0
		.amdhsa_system_sgpr_workgroup_id_x 1
		.amdhsa_system_sgpr_workgroup_id_y 0
		.amdhsa_system_sgpr_workgroup_id_z 0
		.amdhsa_system_sgpr_workgroup_info 0
		.amdhsa_system_vgpr_workitem_id 0
		.amdhsa_next_free_vgpr 18
		.amdhsa_next_free_sgpr 72
		.amdhsa_named_barrier_count 0
		.amdhsa_reserve_vcc 1
		.amdhsa_float_round_mode_32 0
		.amdhsa_float_round_mode_16_64 0
		.amdhsa_float_denorm_mode_32 3
		.amdhsa_float_denorm_mode_16_64 3
		.amdhsa_fp16_overflow 0
		.amdhsa_memory_ordered 1
		.amdhsa_forward_progress 1
		.amdhsa_inst_pref_size 255
		.amdhsa_round_robin_scheduling 0
		.amdhsa_exception_fp_ieee_invalid_op 0
		.amdhsa_exception_fp_denorm_src 0
		.amdhsa_exception_fp_ieee_div_zero 0
		.amdhsa_exception_fp_ieee_overflow 0
		.amdhsa_exception_fp_ieee_underflow 0
		.amdhsa_exception_fp_ieee_inexact 0
		.amdhsa_exception_int_div_zero 0
	.end_amdhsa_kernel
	.section	.text._ZN2at6native32elementwise_kernel_manual_unrollILi128ELi4EZNS0_15gpu_kernel_implINS0_13AUnaryFunctorIN3c108BFloat16ES5_bNS0_12_GLOBAL__N_116CompareEqFunctorIS5_EEEEEEvRNS_18TensorIteratorBaseERKT_EUlibE0_EEviT1_,"axG",@progbits,_ZN2at6native32elementwise_kernel_manual_unrollILi128ELi4EZNS0_15gpu_kernel_implINS0_13AUnaryFunctorIN3c108BFloat16ES5_bNS0_12_GLOBAL__N_116CompareEqFunctorIS5_EEEEEEvRNS_18TensorIteratorBaseERKT_EUlibE0_EEviT1_,comdat
.Lfunc_end207:
	.size	_ZN2at6native32elementwise_kernel_manual_unrollILi128ELi4EZNS0_15gpu_kernel_implINS0_13AUnaryFunctorIN3c108BFloat16ES5_bNS0_12_GLOBAL__N_116CompareEqFunctorIS5_EEEEEEvRNS_18TensorIteratorBaseERKT_EUlibE0_EEviT1_, .Lfunc_end207-_ZN2at6native32elementwise_kernel_manual_unrollILi128ELi4EZNS0_15gpu_kernel_implINS0_13AUnaryFunctorIN3c108BFloat16ES5_bNS0_12_GLOBAL__N_116CompareEqFunctorIS5_EEEEEEvRNS_18TensorIteratorBaseERKT_EUlibE0_EEviT1_
                                        ; -- End function
	.set _ZN2at6native32elementwise_kernel_manual_unrollILi128ELi4EZNS0_15gpu_kernel_implINS0_13AUnaryFunctorIN3c108BFloat16ES5_bNS0_12_GLOBAL__N_116CompareEqFunctorIS5_EEEEEEvRNS_18TensorIteratorBaseERKT_EUlibE0_EEviT1_.num_vgpr, 18
	.set _ZN2at6native32elementwise_kernel_manual_unrollILi128ELi4EZNS0_15gpu_kernel_implINS0_13AUnaryFunctorIN3c108BFloat16ES5_bNS0_12_GLOBAL__N_116CompareEqFunctorIS5_EEEEEEvRNS_18TensorIteratorBaseERKT_EUlibE0_EEviT1_.num_agpr, 0
	.set _ZN2at6native32elementwise_kernel_manual_unrollILi128ELi4EZNS0_15gpu_kernel_implINS0_13AUnaryFunctorIN3c108BFloat16ES5_bNS0_12_GLOBAL__N_116CompareEqFunctorIS5_EEEEEEvRNS_18TensorIteratorBaseERKT_EUlibE0_EEviT1_.numbered_sgpr, 72
	.set _ZN2at6native32elementwise_kernel_manual_unrollILi128ELi4EZNS0_15gpu_kernel_implINS0_13AUnaryFunctorIN3c108BFloat16ES5_bNS0_12_GLOBAL__N_116CompareEqFunctorIS5_EEEEEEvRNS_18TensorIteratorBaseERKT_EUlibE0_EEviT1_.num_named_barrier, 0
	.set _ZN2at6native32elementwise_kernel_manual_unrollILi128ELi4EZNS0_15gpu_kernel_implINS0_13AUnaryFunctorIN3c108BFloat16ES5_bNS0_12_GLOBAL__N_116CompareEqFunctorIS5_EEEEEEvRNS_18TensorIteratorBaseERKT_EUlibE0_EEviT1_.private_seg_size, 0
	.set _ZN2at6native32elementwise_kernel_manual_unrollILi128ELi4EZNS0_15gpu_kernel_implINS0_13AUnaryFunctorIN3c108BFloat16ES5_bNS0_12_GLOBAL__N_116CompareEqFunctorIS5_EEEEEEvRNS_18TensorIteratorBaseERKT_EUlibE0_EEviT1_.uses_vcc, 1
	.set _ZN2at6native32elementwise_kernel_manual_unrollILi128ELi4EZNS0_15gpu_kernel_implINS0_13AUnaryFunctorIN3c108BFloat16ES5_bNS0_12_GLOBAL__N_116CompareEqFunctorIS5_EEEEEEvRNS_18TensorIteratorBaseERKT_EUlibE0_EEviT1_.uses_flat_scratch, 0
	.set _ZN2at6native32elementwise_kernel_manual_unrollILi128ELi4EZNS0_15gpu_kernel_implINS0_13AUnaryFunctorIN3c108BFloat16ES5_bNS0_12_GLOBAL__N_116CompareEqFunctorIS5_EEEEEEvRNS_18TensorIteratorBaseERKT_EUlibE0_EEviT1_.has_dyn_sized_stack, 0
	.set _ZN2at6native32elementwise_kernel_manual_unrollILi128ELi4EZNS0_15gpu_kernel_implINS0_13AUnaryFunctorIN3c108BFloat16ES5_bNS0_12_GLOBAL__N_116CompareEqFunctorIS5_EEEEEEvRNS_18TensorIteratorBaseERKT_EUlibE0_EEviT1_.has_recursion, 0
	.set _ZN2at6native32elementwise_kernel_manual_unrollILi128ELi4EZNS0_15gpu_kernel_implINS0_13AUnaryFunctorIN3c108BFloat16ES5_bNS0_12_GLOBAL__N_116CompareEqFunctorIS5_EEEEEEvRNS_18TensorIteratorBaseERKT_EUlibE0_EEviT1_.has_indirect_call, 0
	.section	.AMDGPU.csdata,"",@progbits
; Kernel info:
; codeLenInByte = 48068
; TotalNumSgprs: 74
; NumVgprs: 18
; ScratchSize: 0
; MemoryBound: 0
; FloatMode: 240
; IeeeMode: 1
; LDSByteSize: 0 bytes/workgroup (compile time only)
; SGPRBlocks: 0
; VGPRBlocks: 1
; NumSGPRsForWavesPerEU: 74
; NumVGPRsForWavesPerEU: 18
; NamedBarCnt: 0
; Occupancy: 16
; WaveLimiterHint : 1
; COMPUTE_PGM_RSRC2:SCRATCH_EN: 0
; COMPUTE_PGM_RSRC2:USER_SGPR: 2
; COMPUTE_PGM_RSRC2:TRAP_HANDLER: 0
; COMPUTE_PGM_RSRC2:TGID_X_EN: 1
; COMPUTE_PGM_RSRC2:TGID_Y_EN: 0
; COMPUTE_PGM_RSRC2:TGID_Z_EN: 0
; COMPUTE_PGM_RSRC2:TIDIG_COMP_CNT: 0
	.section	.text._ZN2at6native29vectorized_elementwise_kernelILi16ENS0_13BinaryFunctorIbbbNS0_12_GLOBAL__N_116CompareEqFunctorIbEEEESt5arrayIPcLm3EEEEviT0_T1_,"axG",@progbits,_ZN2at6native29vectorized_elementwise_kernelILi16ENS0_13BinaryFunctorIbbbNS0_12_GLOBAL__N_116CompareEqFunctorIbEEEESt5arrayIPcLm3EEEEviT0_T1_,comdat
	.globl	_ZN2at6native29vectorized_elementwise_kernelILi16ENS0_13BinaryFunctorIbbbNS0_12_GLOBAL__N_116CompareEqFunctorIbEEEESt5arrayIPcLm3EEEEviT0_T1_ ; -- Begin function _ZN2at6native29vectorized_elementwise_kernelILi16ENS0_13BinaryFunctorIbbbNS0_12_GLOBAL__N_116CompareEqFunctorIbEEEESt5arrayIPcLm3EEEEviT0_T1_
	.p2align	8
	.type	_ZN2at6native29vectorized_elementwise_kernelILi16ENS0_13BinaryFunctorIbbbNS0_12_GLOBAL__N_116CompareEqFunctorIbEEEESt5arrayIPcLm3EEEEviT0_T1_,@function
_ZN2at6native29vectorized_elementwise_kernelILi16ENS0_13BinaryFunctorIbbbNS0_12_GLOBAL__N_116CompareEqFunctorIbEEEESt5arrayIPcLm3EEEEviT0_T1_: ; @_ZN2at6native29vectorized_elementwise_kernelILi16ENS0_13BinaryFunctorIbbbNS0_12_GLOBAL__N_116CompareEqFunctorIbEEEESt5arrayIPcLm3EEEEviT0_T1_
; %bb.0:
	s_clause 0x2
	s_load_b64 s[26:27], s[0:1], 0x0
	s_load_b128 s[28:31], s[0:1], 0x8
	s_load_b64 s[36:37], s[0:1], 0x18
	s_wait_xcnt 0x0
	s_bfe_u32 s0, ttmp6, 0x4000c
	s_and_b32 s1, ttmp6, 15
	s_add_co_i32 s0, s0, 1
	s_getreg_b32 s2, hwreg(HW_REG_IB_STS2, 6, 4)
	s_mul_i32 s0, ttmp9, s0
	s_delay_alu instid0(SALU_CYCLE_1) | instskip(SKIP_2) | instid1(SALU_CYCLE_1)
	s_add_co_i32 s1, s1, s0
	s_cmp_eq_u32 s2, 0
	s_cselect_b32 s0, ttmp9, s1
	s_lshl_b32 s34, s0, 12
	s_mov_b32 s0, -1
	s_wait_kmcnt 0x0
	s_sub_co_i32 s33, s26, s34
	s_delay_alu instid0(SALU_CYCLE_1)
	s_cmp_gt_i32 s33, 0xfff
	s_cbranch_scc0 .LBB208_2
; %bb.1:
	s_ashr_i32 s35, s34, 31
	s_cmp_eq_u32 s27, 0
	s_add_nc_u64 s[0:1], s[30:31], s[34:35]
	s_cselect_b32 s38, -1, 0
	global_load_b128 v[2:5], v0, s[0:1] scale_offset
	s_wait_xcnt 0x0
	s_add_nc_u64 s[0:1], s[36:37], s[34:35]
	global_load_b128 v[6:9], v0, s[0:1] scale_offset
	s_wait_loadcnt 0x1
	v_and_b32_e32 v10, 0xff, v3
	v_lshrrev_b32_e32 v11, 24, v3
	v_lshrrev_b16 v12, 8, v2
	s_wait_loadcnt 0x0
	v_and_b32_e32 v22, 0xff, v7
	v_lshrrev_b32_e32 v23, 24, v7
	v_and_b32_e32 v13, 0xff, v2
	v_dual_lshrrev_b32 v14, 24, v2 :: v_dual_lshrrev_b32 v2, 16, v2
	v_lshrrev_b16 v24, 8, v6
	v_cmp_ne_u16_e64 s3, 0, v10
	v_cmp_ne_u16_e64 s9, 0, v22
	v_lshrrev_b16 v1, 8, v3
	v_lshrrev_b32_e32 v3, 16, v3
	v_and_b32_e32 v25, 0xff, v6
	v_lshrrev_b16 v21, 8, v7
	v_lshrrev_b32_e32 v7, 16, v7
	v_cmp_ne_u16_e64 s2, 0, v11
	v_cmp_ne_u16_e64 s8, 0, v23
	v_lshrrev_b16 v18, 8, v4
	v_and_b32_e32 v19, 0xff, v4
	v_dual_lshrrev_b32 v20, 24, v4 :: v_dual_lshrrev_b32 v4, 16, v4
	v_dual_lshrrev_b32 v26, 24, v6 :: v_dual_lshrrev_b32 v6, 16, v6
	v_and_b32_e32 v2, 0xff, v2
	v_cmp_ne_u16_e64 s1, 0, v12
	v_cmp_ne_u16_e64 s7, 0, v24
	v_lshrrev_b16 v15, 8, v5
	v_and_b32_e32 v16, 0xff, v5
	v_dual_lshrrev_b32 v17, 24, v5 :: v_dual_lshrrev_b32 v5, 16, v5
	v_lshrrev_b16 v27, 8, v9
	s_xor_b32 s3, s3, s9
	v_and_b32_e32 v3, 0xff, v3
	v_cmp_ne_u16_e64 s0, 0, v13
	v_cmp_ne_u16_e64 s6, 0, v25
	v_and_b32_e32 v28, 0xff, v9
	s_xor_b32 s8, s2, s8
	s_xor_b32 s3, s38, s3
	v_and_b32_e32 v4, 0xff, v4
	v_cmp_ne_u16_e32 vcc_lo, 0, v14
	v_cmp_ne_u16_e64 s5, 0, v26
	v_dual_lshrrev_b32 v29, 24, v9 :: v_dual_lshrrev_b32 v9, 16, v9
	v_cmp_ne_u16_e64 s23, 0, v2
	s_xor_b32 s7, s1, s7
	v_cndmask_b32_e64 v2, 0, 1, s3
	s_xor_b32 s3, s38, s8
	v_and_b32_e32 v5, 0xff, v5
	v_cmp_ne_u16_e64 s16, 0, v15
	v_cmp_ne_u16_e64 s22, 0, v27
	v_lshrrev_b16 v30, 8, v8
	v_and_b32_e32 v31, 0xff, v8
	v_dual_lshrrev_b32 v32, 24, v8 :: v_dual_lshrrev_b32 v8, 16, v8
	v_cmp_ne_u16_e64 s24, 0, v3
	s_xor_b32 s6, s0, s6
	v_cndmask_b32_e64 v3, 0, 1, s3
	s_xor_b32 s3, s38, s7
	v_cmp_ne_u16_e64 s4, 0, v1
	v_and_b32_e32 v6, 0xff, v6
	v_cmp_ne_u16_e64 s10, 0, v21
	v_cmp_ne_u16_e64 s15, 0, v16
	;; [unrolled: 1-line block ×3, first 2 shown]
	s_xor_b32 s5, vcc_lo, s5
	v_cmp_ne_u16_e32 vcc_lo, 0, v4
	v_cndmask_b32_e64 v4, 0, 1, s3
	s_xor_b32 s3, s38, s6
	v_and_b32_e32 v1, 0xff, v7
	v_and_b32_e32 v7, 0xff, v9
	v_cmp_ne_u16_e64 s14, 0, v17
	v_cmp_ne_u16_e64 s20, 0, v29
	;; [unrolled: 1-line block ×3, first 2 shown]
	s_xor_b32 s9, s16, s22
	v_cndmask_b32_e64 v5, 0, 1, s3
	s_xor_b32 s3, s38, s5
	v_and_b32_e32 v8, 0xff, v8
	v_cmp_ne_u16_e64 s13, 0, v18
	v_cmp_ne_u16_e64 s19, 0, v30
	;; [unrolled: 1-line block ×3, first 2 shown]
	s_xor_b32 s4, s4, s10
	s_xor_b32 s10, s15, s21
	v_cndmask_b32_e64 v6, 0, 1, s3
	s_xor_b32 s3, s38, s9
	v_cmp_ne_u16_e64 s12, 0, v19
	v_cmp_ne_u16_e64 s18, 0, v31
	;; [unrolled: 1-line block ×3, first 2 shown]
	s_xor_b32 s14, s14, s20
	v_cndmask_b32_e64 v7, 0, 1, s3
	s_xor_b32 s3, s38, s10
	v_cmp_ne_u16_e64 s11, 0, v20
	v_cmp_ne_u16_e64 s17, 0, v32
	;; [unrolled: 1-line block ×3, first 2 shown]
	s_xor_b32 s13, s13, s19
	v_cndmask_b32_e64 v8, 0, 1, s3
	s_xor_b32 s3, s38, s14
	s_xor_b32 s12, s12, s18
	v_cndmask_b32_e64 v9, 0, 1, s3
	s_xor_b32 s3, s38, s13
	v_cmp_ne_u16_e64 s26, 0, v1
	s_xor_b32 s11, s11, s17
	v_cndmask_b32_e64 v10, 0, 1, s3
	s_xor_b32 s3, s38, s12
	s_xor_b32 s4, s38, s4
	v_cndmask_b32_e64 v11, 0, 1, s3
	s_xor_b32 s3, s38, s11
	;; [unrolled: 3-line block ×3, first 2 shown]
	v_cndmask_b32_e64 v1, 0, 1, s4
	s_xor_b32 s4, s23, s25
	s_xor_b32 s1, vcc_lo, s1
	s_xor_b32 s2, s38, s3
	s_xor_b32 s0, s38, s0
	v_cndmask_b32_e64 v13, 0, 1, s2
	s_xor_b32 s2, s38, s4
	v_cndmask_b32_e64 v15, 0, 1, s0
	s_xor_b32 s0, s38, s1
	v_lshlrev_b16 v1, 8, v1
	v_lshlrev_b16 v3, 8, v3
	;; [unrolled: 1-line block ×4, first 2 shown]
	v_cndmask_b32_e64 v14, 0, 1, s2
	v_lshlrev_b16 v7, 8, v7
	v_lshlrev_b16 v9, 8, v9
	;; [unrolled: 1-line block ×4, first 2 shown]
	v_cndmask_b32_e64 v16, 0, 1, s0
	v_or_b32_e32 v1, v2, v1
	v_or_b32_e32 v2, v13, v3
	;; [unrolled: 1-line block ×8, first 2 shown]
	v_and_b32_e32 v5, 0xffff, v5
	v_and_b32_e32 v7, 0xffff, v7
	v_lshlrev_b32_e32 v8, 16, v8
	v_dual_lshlrev_b32 v4, 16, v4 :: v_dual_lshlrev_b32 v2, 16, v2
	v_and_b32_e32 v1, 0xffff, v1
	v_lshlrev_b32_e32 v6, 16, v6
	v_and_b32_e32 v9, 0xffff, v3
	s_add_nc_u64 s[2:3], s[28:29], s[34:35]
	s_mov_b32 s0, 0
	v_or_b32_e32 v3, v1, v2
	v_or_b32_e32 v5, v5, v6
	;; [unrolled: 1-line block ×4, first 2 shown]
	global_store_b128 v0, v[2:5], s[2:3] scale_offset
.LBB208_2:
	s_and_not1_b32 vcc_lo, exec_lo, s0
	s_cbranch_vccnz .LBB208_52
; %bb.3:
	v_cmp_gt_i32_e32 vcc_lo, s33, v0
	s_wait_xcnt 0x0
	v_dual_mov_b32 v3, v0 :: v_dual_bitop2_b32 v1, s34, v0 bitop3:0x54
	v_or_b32_e32 v2, 0x100, v0
	s_mov_b32 s5, 0
	s_mov_b32 s6, 0
	s_and_saveexec_b32 s2, vcc_lo
	s_cbranch_execz .LBB208_5
; %bb.4:
	s_clause 0x1
	global_load_u8 v3, v1, s[30:31]
	global_load_u8 v4, v1, s[36:37]
	s_wait_loadcnt 0x1
	v_cmp_ne_u16_e64 s0, 0, v3
	s_wait_loadcnt 0x0
	v_cmp_ne_u16_e64 s1, 0, v4
	v_or_b32_e32 v3, 0x100, v0
	s_xor_b32 s0, s0, s1
	s_delay_alu instid0(SALU_CYCLE_1)
	s_and_b32 s6, s0, exec_lo
.LBB208_5:
	s_wait_xcnt 0x0
	s_or_b32 exec_lo, exec_lo, s2
	s_delay_alu instid0(SALU_CYCLE_1)
	s_mov_b32 s2, exec_lo
	v_cmpx_gt_i32_e64 s33, v3
	s_cbranch_execz .LBB208_7
; %bb.6:
	v_add_nc_u32_e32 v4, s34, v3
	v_add_nc_u32_e32 v3, 0x100, v3
	s_clause 0x1
	global_load_u8 v5, v4, s[30:31]
	global_load_u8 v6, v4, s[36:37]
	s_wait_loadcnt 0x1
	v_cmp_ne_u16_e64 s0, 0, v5
	s_wait_loadcnt 0x0
	v_cmp_ne_u16_e64 s1, 0, v6
	s_xor_b32 s0, s0, s1
	s_delay_alu instid0(SALU_CYCLE_1)
	s_and_b32 s5, s0, exec_lo
.LBB208_7:
	s_wait_xcnt 0x0
	s_or_b32 exec_lo, exec_lo, s2
	s_mov_b32 s2, 0
	s_mov_b32 s3, 0
	s_mov_b32 s4, exec_lo
	v_cmpx_gt_i32_e64 s33, v3
	s_cbranch_execz .LBB208_9
; %bb.8:
	v_add_nc_u32_e32 v4, s34, v3
	v_add_nc_u32_e32 v3, 0x100, v3
	s_clause 0x1
	global_load_u8 v5, v4, s[30:31]
	global_load_u8 v6, v4, s[36:37]
	s_wait_loadcnt 0x1
	v_cmp_ne_u16_e64 s0, 0, v5
	s_wait_loadcnt 0x0
	v_cmp_ne_u16_e64 s1, 0, v6
	s_xor_b32 s0, s0, s1
	s_delay_alu instid0(SALU_CYCLE_1)
	s_and_b32 s3, s0, exec_lo
.LBB208_9:
	s_wait_xcnt 0x0
	s_or_b32 exec_lo, exec_lo, s4
	s_delay_alu instid0(SALU_CYCLE_1)
	s_mov_b32 s4, exec_lo
	v_cmpx_gt_i32_e64 s33, v3
	s_cbranch_execz .LBB208_11
; %bb.10:
	v_add_nc_u32_e32 v4, s34, v3
	v_add_nc_u32_e32 v3, 0x100, v3
	s_clause 0x1
	global_load_u8 v5, v4, s[30:31]
	global_load_u8 v6, v4, s[36:37]
	s_wait_loadcnt 0x1
	v_cmp_ne_u16_e64 s0, 0, v5
	s_wait_loadcnt 0x0
	v_cmp_ne_u16_e64 s1, 0, v6
	s_xor_b32 s0, s0, s1
	s_delay_alu instid0(SALU_CYCLE_1)
	s_and_b32 s2, s0, exec_lo
.LBB208_11:
	s_wait_xcnt 0x0
	s_or_b32 exec_lo, exec_lo, s4
	s_mov_b32 s7, 0
	s_mov_b32 s10, 0
	s_mov_b32 s4, exec_lo
	v_cmpx_gt_i32_e64 s33, v3
	s_cbranch_execz .LBB208_13
; %bb.12:
	v_add_nc_u32_e32 v4, s34, v3
	v_add_nc_u32_e32 v3, 0x100, v3
	s_clause 0x1
	global_load_u8 v5, v4, s[30:31]
	global_load_u8 v6, v4, s[36:37]
	s_wait_loadcnt 0x1
	v_cmp_ne_u16_e64 s0, 0, v5
	s_wait_loadcnt 0x0
	v_cmp_ne_u16_e64 s1, 0, v6
	s_xor_b32 s0, s0, s1
	s_delay_alu instid0(SALU_CYCLE_1)
	s_and_b32 s10, s0, exec_lo
.LBB208_13:
	;; [unrolled: 41-line block ×7, first 2 shown]
	s_wait_xcnt 0x0
	s_or_b32 exec_lo, exec_lo, s18
	s_delay_alu instid0(SALU_CYCLE_1)
	s_mov_b32 s18, exec_lo
	v_cmpx_gt_i32_e64 s33, v3
	s_cbranch_execz .LBB208_35
; %bb.34:
	v_add_nc_u32_e32 v3, s34, v3
	s_clause 0x1
	global_load_u8 v4, v3, s[30:31]
	global_load_u8 v5, v3, s[36:37]
	s_wait_loadcnt 0x1
	v_cmp_ne_u16_e64 s0, 0, v4
	s_wait_loadcnt 0x0
	v_cmp_ne_u16_e64 s1, 0, v5
	s_xor_b32 s0, s0, s1
	s_delay_alu instid0(SALU_CYCLE_1)
	s_and_b32 s14, s0, exec_lo
.LBB208_35:
	s_wait_xcnt 0x0
	s_or_b32 exec_lo, exec_lo, s18
	s_cmp_eq_u32 s27, 0
	v_or_b32_e32 v7, 0x400, v0
	s_cselect_b32 s1, -1, 0
	v_or_b32_e32 v5, 0x200, v0
	s_xor_b32 s0, s1, s6
	v_or_b32_e32 v8, 0x500, v0
	v_cndmask_b32_e64 v3, 0, 1, s0
	s_xor_b32 s0, s1, s5
	v_or_b32_e32 v9, 0x800, v0
	v_cndmask_b32_e64 v4, 0, 1, s0
	s_xor_b32 s0, s1, s10
	s_delay_alu instid0(SALU_CYCLE_1) | instskip(SKIP_1) | instid1(VALU_DEP_2)
	v_cndmask_b32_e64 v6, 0, 1, s0
	s_xor_b32 s0, s1, s7
	v_lshlrev_b16 v4, 8, v4
	v_cndmask_b32_e64 v10, 0, 1, s0
	s_xor_b32 s0, s1, s3
	v_bitop3_b16 v6, v6, 0, 0xff00 bitop3:0xf8
	v_cndmask_b32_e64 v11, 0, 1, s0
	v_cmp_gt_i32_e64 s0, s33, v2
	s_delay_alu instid0(VALU_DEP_3) | instskip(SKIP_1) | instid1(VALU_DEP_1)
	v_and_b32_e32 v6, 0xffff, v6
	v_cndmask_b32_e32 v3, 0, v3, vcc_lo
	v_or_b32_e32 v4, v3, v4
	s_delay_alu instid0(VALU_DEP_1) | instskip(NEXT) | instid1(VALU_DEP_1)
	v_and_b32_e32 v4, 0xffff, v4
	v_cndmask_b32_e64 v3, v3, v4, s0
	v_cmp_gt_i32_e64 s0, s33, v7
	v_lshlrev_b16 v4, 8, v10
	v_or_b32_e32 v7, 0xc00, v0
	s_delay_alu instid0(VALU_DEP_4) | instskip(NEXT) | instid1(VALU_DEP_4)
	v_lshl_or_b32 v10, v11, 16, v3
	v_cndmask_b32_e64 v6, 0, v6, s0
	s_xor_b32 s0, s1, s2
	s_delay_alu instid0(SALU_CYCLE_1) | instskip(SKIP_1) | instid1(VALU_DEP_3)
	v_cndmask_b32_e64 v11, 0, 1, s0
	v_cmp_gt_i32_e64 s0, s33, v5
	v_bitop3_b16 v4, v6, v4, 0xff bitop3:0xec
	s_delay_alu instid0(VALU_DEP_2) | instskip(SKIP_1) | instid1(VALU_DEP_2)
	v_cndmask_b32_e64 v3, v3, v10, s0
	s_xor_b32 s0, s1, s8
	v_and_b32_e32 v4, 0xffff, v4
	v_cndmask_b32_e64 v5, 0, 1, s0
	s_xor_b32 s0, s1, s16
	v_lshlrev_b16 v10, 8, v11
	v_cndmask_b32_e64 v12, 0, 1, s0
	v_cmp_gt_i32_e64 s0, s33, v8
	s_delay_alu instid0(VALU_DEP_1) | instskip(SKIP_1) | instid1(SALU_CYCLE_1)
	v_cndmask_b32_e64 v4, v6, v4, s0
	s_xor_b32 s0, s1, s15
	v_cndmask_b32_e64 v8, 0, 1, s0
	v_cmp_gt_i32_e64 s0, s33, v7
	v_lshrrev_b32_e32 v11, 16, v3
	s_delay_alu instid0(VALU_DEP_3) | instskip(NEXT) | instid1(VALU_DEP_3)
	v_lshlrev_b16 v8, 8, v8
	v_cndmask_b32_e64 v7, 0, v12, s0
	s_xor_b32 s0, s1, s11
	s_delay_alu instid0(VALU_DEP_3)
	v_bitop3_b16 v6, v11, v10, 0xff bitop3:0xec
	v_cndmask_b32_e64 v11, 0, 1, s0
	s_xor_b32 s0, s1, s9
	v_lshrrev_b32_e32 v10, 16, v4
	v_cndmask_b32_e64 v12, 0, 1, s0
	v_cmp_gt_i32_e64 s0, s33, v9
	v_lshlrev_b32_e32 v6, 16, v6
	v_bitop3_b16 v8, v7, v8, 0xff bitop3:0xec
	v_bitop3_b16 v5, v5, v10, 0xff00 bitop3:0xf8
	v_lshlrev_b16 v10, 8, v12
	v_cndmask_b32_e64 v9, 0, v11, s0
	v_or_b32_e32 v11, 0xd00, v0
	v_and_b32_e32 v8, 0xffff, v8
	v_lshlrev_b32_e32 v5, 16, v5
	v_or_b32_e32 v12, 0x600, v0
	v_and_or_b32 v6, 0xffff, v3, v6
	v_cmp_gt_i32_e64 s0, s33, v11
	v_or_b32_e32 v10, v9, v10
	v_and_or_b32 v5, 0xffff, v4, v5
	s_delay_alu instid0(VALU_DEP_3)
	v_cndmask_b32_e64 v7, v7, v8, s0
	s_xor_b32 s0, s1, s13
	v_or_b32_e32 v8, 0x900, v0
	v_cndmask_b32_e64 v11, 0, 1, s0
	s_xor_b32 s0, s1, s17
	v_and_b32_e32 v10, 0xffff, v10
	v_cndmask_b32_e64 v14, 0, 1, s0
	v_cmp_gt_i32_e64 s0, s33, v12
	v_lshrrev_b32_e32 v13, 16, v7
	v_or_b32_e32 v12, 0xa00, v0
	s_delay_alu instid0(VALU_DEP_3) | instskip(SKIP_1) | instid1(VALU_DEP_4)
	v_cndmask_b32_e64 v4, v4, v5, s0
	v_cmp_gt_i32_e64 s0, s33, v8
	v_bitop3_b16 v8, v14, v13, 0xff00 bitop3:0xf8
	v_or_b32_e32 v13, 0xe00, v0
	s_delay_alu instid0(VALU_DEP_3) | instskip(SKIP_1) | instid1(SALU_CYCLE_1)
	v_dual_cndmask_b32 v5, v9, v10, s0 :: v_dual_lshlrev_b32 v9, 16, v11
	s_xor_b32 s0, s1, s4
	v_cndmask_b32_e64 v10, 0, 1, s0
	v_cmp_gt_i32_e64 s0, s33, v12
	s_delay_alu instid0(VALU_DEP_3) | instskip(SKIP_1) | instid1(VALU_DEP_4)
	v_and_or_b32 v9, 0x1ff, v5, v9
	v_lshrrev_b32_e32 v11, 16, v4
	v_lshlrev_b16 v10, 8, v10
	s_delay_alu instid0(VALU_DEP_3) | instskip(SKIP_1) | instid1(VALU_DEP_2)
	v_dual_cndmask_b32 v9, v5, v9, s0 :: v_dual_lshlrev_b32 v8, 16, v8
	s_xor_b32 s0, s1, s12
	v_bitop3_b16 v10, v11, v10, 0xff bitop3:0xec
	v_cndmask_b32_e64 v5, 0, 1, s0
	v_cmp_gt_i32_e64 s0, s33, v13
	v_lshrrev_b32_e32 v11, 16, v9
	v_and_or_b32 v8, 0xffff, v7, v8
	v_or_b32_e32 v13, 0x300, v0
	v_lshlrev_b16 v5, 8, v5
	s_delay_alu instid0(VALU_DEP_3) | instskip(SKIP_1) | instid1(VALU_DEP_2)
	v_dual_lshlrev_b32 v10, 16, v10 :: v_dual_cndmask_b32 v7, v7, v8, s0
	s_xor_b32 s0, s1, s14
	v_bitop3_b16 v5, v11, v5, 0xff bitop3:0xec
	v_cndmask_b32_e64 v8, 0, 1, s0
	v_cmp_gt_i32_e64 s0, s33, v13
	v_lshrrev_b32_e32 v12, 16, v7
	v_and_or_b32 v10, 0xffff, v4, v10
	v_or_b32_e32 v11, 0xb00, v0
	v_lshlrev_b16 v8, 8, v8
	v_cndmask_b32_e64 v6, v3, v6, s0
	s_delay_alu instid0(VALU_DEP_2) | instskip(SKIP_3) | instid1(VALU_DEP_4)
	v_bitop3_b16 v8, v12, v8, 0xff bitop3:0xec
	v_lshlrev_b32_e32 v3, 16, v5
	v_or_b32_e32 v5, 0x700, v0
	v_or_b32_e32 v12, 0xf00, v0
	v_lshlrev_b32_e32 v8, 16, v8
	s_delay_alu instid0(VALU_DEP_4) | instskip(NEXT) | instid1(VALU_DEP_4)
	v_and_or_b32 v3, 0xffff, v9, v3
	v_cmp_gt_i32_e64 s0, s33, v5
	s_delay_alu instid0(VALU_DEP_3) | instskip(NEXT) | instid1(VALU_DEP_2)
	v_and_or_b32 v8, 0xffff, v7, v8
	v_cndmask_b32_e64 v5, v4, v10, s0
	v_cmp_gt_i32_e64 s0, s33, v11
	s_delay_alu instid0(VALU_DEP_1) | instskip(SKIP_1) | instid1(VALU_DEP_1)
	v_cndmask_b32_e64 v4, v9, v3, s0
	v_cmp_gt_i32_e64 s0, s33, v12
	v_cndmask_b32_e64 v3, v7, v8, s0
	s_and_saveexec_b32 s0, vcc_lo
	s_cbranch_execnz .LBB208_53
; %bb.36:
	s_or_b32 exec_lo, exec_lo, s0
	s_delay_alu instid0(SALU_CYCLE_1)
	s_mov_b32 s0, exec_lo
	v_cmpx_gt_i32_e64 s33, v0
	s_cbranch_execnz .LBB208_54
.LBB208_37:
	s_or_b32 exec_lo, exec_lo, s0
	s_delay_alu instid0(SALU_CYCLE_1)
	s_mov_b32 s0, exec_lo
	v_cmpx_gt_i32_e64 s33, v0
	s_cbranch_execnz .LBB208_55
.LBB208_38:
	s_or_b32 exec_lo, exec_lo, s0
	s_delay_alu instid0(SALU_CYCLE_1)
	s_mov_b32 s0, exec_lo
	v_cmpx_gt_i32_e64 s33, v0
	s_cbranch_execnz .LBB208_56
.LBB208_39:
	s_or_b32 exec_lo, exec_lo, s0
	s_delay_alu instid0(SALU_CYCLE_1)
	s_mov_b32 s0, exec_lo
	v_cmpx_gt_i32_e64 s33, v0
	s_cbranch_execnz .LBB208_57
.LBB208_40:
	s_or_b32 exec_lo, exec_lo, s0
	s_delay_alu instid0(SALU_CYCLE_1)
	s_mov_b32 s0, exec_lo
	v_cmpx_gt_i32_e64 s33, v0
	s_cbranch_execnz .LBB208_58
.LBB208_41:
	s_or_b32 exec_lo, exec_lo, s0
	s_delay_alu instid0(SALU_CYCLE_1)
	s_mov_b32 s0, exec_lo
	v_cmpx_gt_i32_e64 s33, v0
	s_cbranch_execnz .LBB208_59
.LBB208_42:
	s_or_b32 exec_lo, exec_lo, s0
	s_delay_alu instid0(SALU_CYCLE_1)
	s_mov_b32 s0, exec_lo
	v_cmpx_gt_i32_e64 s33, v0
	s_cbranch_execnz .LBB208_60
.LBB208_43:
	s_or_b32 exec_lo, exec_lo, s0
	s_delay_alu instid0(SALU_CYCLE_1)
	s_mov_b32 s0, exec_lo
	v_cmpx_gt_i32_e64 s33, v0
	s_cbranch_execnz .LBB208_61
.LBB208_44:
	s_or_b32 exec_lo, exec_lo, s0
	s_delay_alu instid0(SALU_CYCLE_1)
	s_mov_b32 s0, exec_lo
	v_cmpx_gt_i32_e64 s33, v0
	s_cbranch_execnz .LBB208_62
.LBB208_45:
	s_or_b32 exec_lo, exec_lo, s0
	s_delay_alu instid0(SALU_CYCLE_1)
	s_mov_b32 s0, exec_lo
	v_cmpx_gt_i32_e64 s33, v0
	s_cbranch_execnz .LBB208_63
.LBB208_46:
	s_or_b32 exec_lo, exec_lo, s0
	s_delay_alu instid0(SALU_CYCLE_1)
	s_mov_b32 s0, exec_lo
	v_cmpx_gt_i32_e64 s33, v0
	s_cbranch_execnz .LBB208_64
.LBB208_47:
	s_or_b32 exec_lo, exec_lo, s0
	s_delay_alu instid0(SALU_CYCLE_1)
	s_mov_b32 s0, exec_lo
	v_cmpx_gt_i32_e64 s33, v0
	s_cbranch_execnz .LBB208_65
.LBB208_48:
	s_or_b32 exec_lo, exec_lo, s0
	s_delay_alu instid0(SALU_CYCLE_1)
	s_mov_b32 s0, exec_lo
	v_cmpx_gt_i32_e64 s33, v0
	s_cbranch_execnz .LBB208_66
.LBB208_49:
	s_or_b32 exec_lo, exec_lo, s0
	s_delay_alu instid0(SALU_CYCLE_1)
	s_mov_b32 s0, exec_lo
	v_cmpx_gt_i32_e64 s33, v0
	s_cbranch_execnz .LBB208_67
.LBB208_50:
	s_or_b32 exec_lo, exec_lo, s0
	s_delay_alu instid0(SALU_CYCLE_1)
	s_mov_b32 s0, exec_lo
	v_cmpx_gt_i32_e64 s33, v0
	s_cbranch_execz .LBB208_52
.LBB208_51:
	v_dual_lshrrev_b32 v1, 24, v3 :: v_dual_add_nc_u32 v0, s34, v0
	global_store_b8 v0, v1, s[28:29]
.LBB208_52:
	s_endpgm
.LBB208_53:
	v_mov_b32_e32 v0, v2
	global_store_b8 v1, v6, s[28:29]
	s_wait_xcnt 0x0
	s_or_b32 exec_lo, exec_lo, s0
	s_delay_alu instid0(SALU_CYCLE_1)
	s_mov_b32 s0, exec_lo
	v_cmpx_gt_i32_e64 s33, v0
	s_cbranch_execz .LBB208_37
.LBB208_54:
	v_dual_lshrrev_b32 v1, 8, v6 :: v_dual_add_nc_u32 v2, s34, v0
	v_add_nc_u32_e32 v0, 0x100, v0
	global_store_b8 v2, v1, s[28:29]
	s_wait_xcnt 0x0
	s_or_b32 exec_lo, exec_lo, s0
	s_delay_alu instid0(SALU_CYCLE_1)
	s_mov_b32 s0, exec_lo
	v_cmpx_gt_i32_e64 s33, v0
	s_cbranch_execz .LBB208_38
.LBB208_55:
	v_add_nc_u32_e32 v1, s34, v0
	v_add_nc_u32_e32 v0, 0x100, v0
	global_store_d16_hi_b8 v1, v6, s[28:29]
	s_wait_xcnt 0x0
	s_or_b32 exec_lo, exec_lo, s0
	s_delay_alu instid0(SALU_CYCLE_1)
	s_mov_b32 s0, exec_lo
	v_cmpx_gt_i32_e64 s33, v0
	s_cbranch_execz .LBB208_39
.LBB208_56:
	v_dual_lshrrev_b32 v1, 24, v6 :: v_dual_add_nc_u32 v2, s34, v0
	v_add_nc_u32_e32 v0, 0x100, v0
	global_store_b8 v2, v1, s[28:29]
	s_wait_xcnt 0x0
	s_or_b32 exec_lo, exec_lo, s0
	s_delay_alu instid0(SALU_CYCLE_1)
	s_mov_b32 s0, exec_lo
	v_cmpx_gt_i32_e64 s33, v0
	s_cbranch_execz .LBB208_40
.LBB208_57:
	v_add_nc_u32_e32 v1, s34, v0
	v_add_nc_u32_e32 v0, 0x100, v0
	global_store_b8 v1, v5, s[28:29]
	s_wait_xcnt 0x0
	s_or_b32 exec_lo, exec_lo, s0
	s_delay_alu instid0(SALU_CYCLE_1)
	s_mov_b32 s0, exec_lo
	v_cmpx_gt_i32_e64 s33, v0
	s_cbranch_execz .LBB208_41
.LBB208_58:
	v_dual_lshrrev_b32 v1, 8, v5 :: v_dual_add_nc_u32 v2, s34, v0
	v_add_nc_u32_e32 v0, 0x100, v0
	global_store_b8 v2, v1, s[28:29]
	s_wait_xcnt 0x0
	s_or_b32 exec_lo, exec_lo, s0
	s_delay_alu instid0(SALU_CYCLE_1)
	s_mov_b32 s0, exec_lo
	v_cmpx_gt_i32_e64 s33, v0
	s_cbranch_execz .LBB208_42
.LBB208_59:
	v_add_nc_u32_e32 v1, s34, v0
	v_add_nc_u32_e32 v0, 0x100, v0
	global_store_d16_hi_b8 v1, v5, s[28:29]
	s_wait_xcnt 0x0
	s_or_b32 exec_lo, exec_lo, s0
	s_delay_alu instid0(SALU_CYCLE_1)
	s_mov_b32 s0, exec_lo
	v_cmpx_gt_i32_e64 s33, v0
	s_cbranch_execz .LBB208_43
.LBB208_60:
	v_dual_lshrrev_b32 v1, 24, v5 :: v_dual_add_nc_u32 v2, s34, v0
	v_add_nc_u32_e32 v0, 0x100, v0
	global_store_b8 v2, v1, s[28:29]
	s_wait_xcnt 0x0
	s_or_b32 exec_lo, exec_lo, s0
	s_delay_alu instid0(SALU_CYCLE_1)
	s_mov_b32 s0, exec_lo
	v_cmpx_gt_i32_e64 s33, v0
	s_cbranch_execz .LBB208_44
.LBB208_61:
	v_add_nc_u32_e32 v1, s34, v0
	v_add_nc_u32_e32 v0, 0x100, v0
	global_store_b8 v1, v4, s[28:29]
	s_wait_xcnt 0x0
	s_or_b32 exec_lo, exec_lo, s0
	s_delay_alu instid0(SALU_CYCLE_1)
	s_mov_b32 s0, exec_lo
	v_cmpx_gt_i32_e64 s33, v0
	s_cbranch_execz .LBB208_45
.LBB208_62:
	v_lshrrev_b32_e32 v1, 8, v4
	v_add_nc_u32_e32 v2, s34, v0
	v_add_nc_u32_e32 v0, 0x100, v0
	global_store_b8 v2, v1, s[28:29]
	s_wait_xcnt 0x0
	s_or_b32 exec_lo, exec_lo, s0
	s_delay_alu instid0(SALU_CYCLE_1)
	s_mov_b32 s0, exec_lo
	v_cmpx_gt_i32_e64 s33, v0
	s_cbranch_execz .LBB208_46
.LBB208_63:
	v_add_nc_u32_e32 v1, s34, v0
	v_add_nc_u32_e32 v0, 0x100, v0
	global_store_d16_hi_b8 v1, v4, s[28:29]
	s_wait_xcnt 0x0
	s_or_b32 exec_lo, exec_lo, s0
	s_delay_alu instid0(SALU_CYCLE_1)
	s_mov_b32 s0, exec_lo
	v_cmpx_gt_i32_e64 s33, v0
	s_cbranch_execz .LBB208_47
.LBB208_64:
	v_lshrrev_b32_e32 v1, 24, v4
	v_add_nc_u32_e32 v2, s34, v0
	v_add_nc_u32_e32 v0, 0x100, v0
	global_store_b8 v2, v1, s[28:29]
	s_wait_xcnt 0x0
	s_or_b32 exec_lo, exec_lo, s0
	s_delay_alu instid0(SALU_CYCLE_1)
	s_mov_b32 s0, exec_lo
	v_cmpx_gt_i32_e64 s33, v0
	s_cbranch_execz .LBB208_48
.LBB208_65:
	v_add_nc_u32_e32 v1, s34, v0
	v_add_nc_u32_e32 v0, 0x100, v0
	global_store_b8 v1, v3, s[28:29]
	s_wait_xcnt 0x0
	s_or_b32 exec_lo, exec_lo, s0
	s_delay_alu instid0(SALU_CYCLE_1)
	s_mov_b32 s0, exec_lo
	v_cmpx_gt_i32_e64 s33, v0
	s_cbranch_execz .LBB208_49
.LBB208_66:
	v_dual_lshrrev_b32 v1, 8, v3 :: v_dual_add_nc_u32 v2, s34, v0
	v_add_nc_u32_e32 v0, 0x100, v0
	global_store_b8 v2, v1, s[28:29]
	s_wait_xcnt 0x0
	s_or_b32 exec_lo, exec_lo, s0
	s_delay_alu instid0(SALU_CYCLE_1)
	s_mov_b32 s0, exec_lo
	v_cmpx_gt_i32_e64 s33, v0
	s_cbranch_execz .LBB208_50
.LBB208_67:
	v_add_nc_u32_e32 v1, s34, v0
	v_add_nc_u32_e32 v0, 0x100, v0
	global_store_d16_hi_b8 v1, v3, s[28:29]
	s_wait_xcnt 0x0
	s_or_b32 exec_lo, exec_lo, s0
	s_delay_alu instid0(SALU_CYCLE_1)
	s_mov_b32 s0, exec_lo
	v_cmpx_gt_i32_e64 s33, v0
	s_cbranch_execnz .LBB208_51
	s_branch .LBB208_52
	.section	.rodata,"a",@progbits
	.p2align	6, 0x0
	.amdhsa_kernel _ZN2at6native29vectorized_elementwise_kernelILi16ENS0_13BinaryFunctorIbbbNS0_12_GLOBAL__N_116CompareEqFunctorIbEEEESt5arrayIPcLm3EEEEviT0_T1_
		.amdhsa_group_segment_fixed_size 0
		.amdhsa_private_segment_fixed_size 0
		.amdhsa_kernarg_size 32
		.amdhsa_user_sgpr_count 2
		.amdhsa_user_sgpr_dispatch_ptr 0
		.amdhsa_user_sgpr_queue_ptr 0
		.amdhsa_user_sgpr_kernarg_segment_ptr 1
		.amdhsa_user_sgpr_dispatch_id 0
		.amdhsa_user_sgpr_kernarg_preload_length 0
		.amdhsa_user_sgpr_kernarg_preload_offset 0
		.amdhsa_user_sgpr_private_segment_size 0
		.amdhsa_wavefront_size32 1
		.amdhsa_uses_dynamic_stack 0
		.amdhsa_enable_private_segment 0
		.amdhsa_system_sgpr_workgroup_id_x 1
		.amdhsa_system_sgpr_workgroup_id_y 0
		.amdhsa_system_sgpr_workgroup_id_z 0
		.amdhsa_system_sgpr_workgroup_info 0
		.amdhsa_system_vgpr_workitem_id 0
		.amdhsa_next_free_vgpr 33
		.amdhsa_next_free_sgpr 39
		.amdhsa_named_barrier_count 0
		.amdhsa_reserve_vcc 1
		.amdhsa_float_round_mode_32 0
		.amdhsa_float_round_mode_16_64 0
		.amdhsa_float_denorm_mode_32 3
		.amdhsa_float_denorm_mode_16_64 3
		.amdhsa_fp16_overflow 0
		.amdhsa_memory_ordered 1
		.amdhsa_forward_progress 1
		.amdhsa_inst_pref_size 40
		.amdhsa_round_robin_scheduling 0
		.amdhsa_exception_fp_ieee_invalid_op 0
		.amdhsa_exception_fp_denorm_src 0
		.amdhsa_exception_fp_ieee_div_zero 0
		.amdhsa_exception_fp_ieee_overflow 0
		.amdhsa_exception_fp_ieee_underflow 0
		.amdhsa_exception_fp_ieee_inexact 0
		.amdhsa_exception_int_div_zero 0
	.end_amdhsa_kernel
	.section	.text._ZN2at6native29vectorized_elementwise_kernelILi16ENS0_13BinaryFunctorIbbbNS0_12_GLOBAL__N_116CompareEqFunctorIbEEEESt5arrayIPcLm3EEEEviT0_T1_,"axG",@progbits,_ZN2at6native29vectorized_elementwise_kernelILi16ENS0_13BinaryFunctorIbbbNS0_12_GLOBAL__N_116CompareEqFunctorIbEEEESt5arrayIPcLm3EEEEviT0_T1_,comdat
.Lfunc_end208:
	.size	_ZN2at6native29vectorized_elementwise_kernelILi16ENS0_13BinaryFunctorIbbbNS0_12_GLOBAL__N_116CompareEqFunctorIbEEEESt5arrayIPcLm3EEEEviT0_T1_, .Lfunc_end208-_ZN2at6native29vectorized_elementwise_kernelILi16ENS0_13BinaryFunctorIbbbNS0_12_GLOBAL__N_116CompareEqFunctorIbEEEESt5arrayIPcLm3EEEEviT0_T1_
                                        ; -- End function
	.set _ZN2at6native29vectorized_elementwise_kernelILi16ENS0_13BinaryFunctorIbbbNS0_12_GLOBAL__N_116CompareEqFunctorIbEEEESt5arrayIPcLm3EEEEviT0_T1_.num_vgpr, 33
	.set _ZN2at6native29vectorized_elementwise_kernelILi16ENS0_13BinaryFunctorIbbbNS0_12_GLOBAL__N_116CompareEqFunctorIbEEEESt5arrayIPcLm3EEEEviT0_T1_.num_agpr, 0
	.set _ZN2at6native29vectorized_elementwise_kernelILi16ENS0_13BinaryFunctorIbbbNS0_12_GLOBAL__N_116CompareEqFunctorIbEEEESt5arrayIPcLm3EEEEviT0_T1_.numbered_sgpr, 39
	.set _ZN2at6native29vectorized_elementwise_kernelILi16ENS0_13BinaryFunctorIbbbNS0_12_GLOBAL__N_116CompareEqFunctorIbEEEESt5arrayIPcLm3EEEEviT0_T1_.num_named_barrier, 0
	.set _ZN2at6native29vectorized_elementwise_kernelILi16ENS0_13BinaryFunctorIbbbNS0_12_GLOBAL__N_116CompareEqFunctorIbEEEESt5arrayIPcLm3EEEEviT0_T1_.private_seg_size, 0
	.set _ZN2at6native29vectorized_elementwise_kernelILi16ENS0_13BinaryFunctorIbbbNS0_12_GLOBAL__N_116CompareEqFunctorIbEEEESt5arrayIPcLm3EEEEviT0_T1_.uses_vcc, 1
	.set _ZN2at6native29vectorized_elementwise_kernelILi16ENS0_13BinaryFunctorIbbbNS0_12_GLOBAL__N_116CompareEqFunctorIbEEEESt5arrayIPcLm3EEEEviT0_T1_.uses_flat_scratch, 0
	.set _ZN2at6native29vectorized_elementwise_kernelILi16ENS0_13BinaryFunctorIbbbNS0_12_GLOBAL__N_116CompareEqFunctorIbEEEESt5arrayIPcLm3EEEEviT0_T1_.has_dyn_sized_stack, 0
	.set _ZN2at6native29vectorized_elementwise_kernelILi16ENS0_13BinaryFunctorIbbbNS0_12_GLOBAL__N_116CompareEqFunctorIbEEEESt5arrayIPcLm3EEEEviT0_T1_.has_recursion, 0
	.set _ZN2at6native29vectorized_elementwise_kernelILi16ENS0_13BinaryFunctorIbbbNS0_12_GLOBAL__N_116CompareEqFunctorIbEEEESt5arrayIPcLm3EEEEviT0_T1_.has_indirect_call, 0
	.section	.AMDGPU.csdata,"",@progbits
; Kernel info:
; codeLenInByte = 5056
; TotalNumSgprs: 41
; NumVgprs: 33
; ScratchSize: 0
; MemoryBound: 0
; FloatMode: 240
; IeeeMode: 1
; LDSByteSize: 0 bytes/workgroup (compile time only)
; SGPRBlocks: 0
; VGPRBlocks: 2
; NumSGPRsForWavesPerEU: 41
; NumVGPRsForWavesPerEU: 33
; NamedBarCnt: 0
; Occupancy: 16
; WaveLimiterHint : 0
; COMPUTE_PGM_RSRC2:SCRATCH_EN: 0
; COMPUTE_PGM_RSRC2:USER_SGPR: 2
; COMPUTE_PGM_RSRC2:TRAP_HANDLER: 0
; COMPUTE_PGM_RSRC2:TGID_X_EN: 1
; COMPUTE_PGM_RSRC2:TGID_Y_EN: 0
; COMPUTE_PGM_RSRC2:TGID_Z_EN: 0
; COMPUTE_PGM_RSRC2:TIDIG_COMP_CNT: 0
	.section	.text._ZN2at6native29vectorized_elementwise_kernelILi8ENS0_13BinaryFunctorIbbbNS0_12_GLOBAL__N_116CompareEqFunctorIbEEEESt5arrayIPcLm3EEEEviT0_T1_,"axG",@progbits,_ZN2at6native29vectorized_elementwise_kernelILi8ENS0_13BinaryFunctorIbbbNS0_12_GLOBAL__N_116CompareEqFunctorIbEEEESt5arrayIPcLm3EEEEviT0_T1_,comdat
	.globl	_ZN2at6native29vectorized_elementwise_kernelILi8ENS0_13BinaryFunctorIbbbNS0_12_GLOBAL__N_116CompareEqFunctorIbEEEESt5arrayIPcLm3EEEEviT0_T1_ ; -- Begin function _ZN2at6native29vectorized_elementwise_kernelILi8ENS0_13BinaryFunctorIbbbNS0_12_GLOBAL__N_116CompareEqFunctorIbEEEESt5arrayIPcLm3EEEEviT0_T1_
	.p2align	8
	.type	_ZN2at6native29vectorized_elementwise_kernelILi8ENS0_13BinaryFunctorIbbbNS0_12_GLOBAL__N_116CompareEqFunctorIbEEEESt5arrayIPcLm3EEEEviT0_T1_,@function
_ZN2at6native29vectorized_elementwise_kernelILi8ENS0_13BinaryFunctorIbbbNS0_12_GLOBAL__N_116CompareEqFunctorIbEEEESt5arrayIPcLm3EEEEviT0_T1_: ; @_ZN2at6native29vectorized_elementwise_kernelILi8ENS0_13BinaryFunctorIbbbNS0_12_GLOBAL__N_116CompareEqFunctorIbEEEESt5arrayIPcLm3EEEEviT0_T1_
; %bb.0:
	s_clause 0x2
	s_load_b64 s[30:31], s[0:1], 0x0
	s_load_b128 s[36:39], s[0:1], 0x8
	s_load_b64 s[40:41], s[0:1], 0x18
	s_wait_xcnt 0x0
	s_bfe_u32 s0, ttmp6, 0x4000c
	s_and_b32 s1, ttmp6, 15
	s_add_co_i32 s0, s0, 1
	s_getreg_b32 s2, hwreg(HW_REG_IB_STS2, 6, 4)
	s_mul_i32 s0, ttmp9, s0
	s_delay_alu instid0(SALU_CYCLE_1) | instskip(SKIP_2) | instid1(SALU_CYCLE_1)
	s_add_co_i32 s1, s1, s0
	s_cmp_eq_u32 s2, 0
	s_cselect_b32 s0, ttmp9, s1
	s_lshl_b32 s34, s0, 12
	s_mov_b32 s0, -1
	s_wait_kmcnt 0x0
	s_sub_co_i32 s33, s30, s34
	s_delay_alu instid0(SALU_CYCLE_1)
	s_cmp_gt_i32 s33, 0xfff
	s_cbranch_scc0 .LBB209_2
; %bb.1:
	s_ashr_i32 s35, s34, 31
	s_cmp_eq_u32 s31, 0
	s_add_nc_u64 s[0:1], s[38:39], s[34:35]
	s_cselect_b32 s42, -1, 0
	s_clause 0x1
	global_load_b64 v[2:3], v0, s[0:1] scale_offset
	global_load_b64 v[4:5], v0, s[0:1] offset:2048 scale_offset
	s_wait_xcnt 0x0
	s_add_nc_u64 s[0:1], s[40:41], s[34:35]
	s_clause 0x1
	global_load_b64 v[6:7], v0, s[0:1] scale_offset
	global_load_b64 v[8:9], v0, s[0:1] offset:2048 scale_offset
	s_wait_loadcnt 0x3
	s_wait_xcnt 0x0
	v_cmp_lt_u32_e64 s0, 0xffffff, v3
	s_wait_loadcnt 0x2
	v_cmp_lt_u32_e64 s1, 0xffffff, v4
	v_and_b32_e32 v1, 0xff, v2
	s_wait_loadcnt 0x1
	v_cmp_lt_u32_e64 s4, 0xffffff, v7
	s_wait_loadcnt 0x0
	v_cmp_lt_u32_e64 s5, 0xffffff, v8
	v_and_b32_e32 v10, 0xff00, v2
	v_and_b32_e32 v11, 0xff0000, v2
	;; [unrolled: 1-line block ×5, first 2 shown]
	v_cmp_lt_u32_e32 vcc_lo, 0xffffff, v2
	v_and_b32_e32 v2, 0xff, v4
	v_and_b32_e32 v3, 0xff00, v4
	;; [unrolled: 1-line block ×4, first 2 shown]
	v_cmp_lt_u32_e64 s2, 0xffffff, v5
	v_cmp_lt_u32_e64 s6, 0xffffff, v9
	v_and_b32_e32 v16, 0xff, v5
	v_and_b32_e32 v17, 0xff00, v5
	v_and_b32_e32 v18, 0xff0000, v5
	v_and_b32_e32 v5, 0xff00, v6
	s_xor_b32 s0, s0, s4
	v_and_b32_e32 v19, 0xff0000, v6
	s_xor_b32 s1, s1, s5
	s_xor_b32 s0, s42, s0
	v_cmp_ne_u32_e64 s7, 0, v1
	v_cmp_ne_u32_e64 s19, 0, v4
	v_and_b32_e32 v20, 0xff, v7
	v_cmp_ne_u32_e64 s13, 0, v2
	s_xor_b32 s2, s2, s6
	v_cndmask_b32_e64 v2, 0, 1, s0
	s_xor_b32 s0, s42, s1
	v_cmp_lt_u32_e64 s3, 0xffffff, v6
	v_cmp_ne_u32_e64 s8, 0, v10
	v_cmp_ne_u32_e64 s20, 0, v5
	v_and_b32_e32 v21, 0xff00, v7
	v_cmp_ne_u32_e64 s14, 0, v3
	v_cndmask_b32_e64 v3, 0, 1, s0
	s_xor_b32 s0, s42, s2
	v_cmp_ne_u32_e64 s9, 0, v11
	v_cmp_ne_u32_e64 s21, 0, v19
	v_and_b32_e32 v22, 0xff0000, v7
	v_cndmask_b32_e64 v4, 0, 1, s0
	s_xor_b32 s0, s7, s19
	v_and_b32_e32 v6, 0xff, v8
	v_cmp_ne_u32_e64 s10, 0, v12
	v_cmp_ne_u32_e64 s22, 0, v20
	s_xor_b32 s3, vcc_lo, s3
	s_xor_b32 s1, s8, s20
	s_xor_b32 s0, s42, s0
	v_and_b32_e32 v7, 0xff00, v8
	v_cmp_ne_u32_e64 s11, 0, v13
	v_cmp_ne_u32_e64 s23, 0, v21
	s_xor_b32 s3, s42, s3
	s_xor_b32 s2, s9, s21
	v_cndmask_b32_e64 v5, 0, 1, s0
	s_xor_b32 s0, s42, s1
	v_cmp_ne_u32_e64 s12, 0, v14
	v_cmp_ne_u32_e64 s24, 0, v22
	v_and_b32_e32 v23, 0xff0000, v8
	v_cmp_ne_u32_e64 s25, 0, v6
	v_cndmask_b32_e64 v1, 0, 1, s3
	s_xor_b32 s3, s10, s22
	v_cndmask_b32_e64 v6, 0, 1, s0
	s_xor_b32 s0, s42, s2
	v_and_b32_e32 v24, 0xff, v9
	v_cmp_ne_u32_e64 s26, 0, v7
	s_xor_b32 s4, s11, s23
	v_cndmask_b32_e64 v7, 0, 1, s0
	s_xor_b32 s0, s42, s3
	v_and_b32_e32 v25, 0xff00, v9
	s_xor_b32 s5, s12, s24
	v_cndmask_b32_e64 v8, 0, 1, s0
	s_xor_b32 s0, s42, s4
	v_cmp_ne_u32_e64 s15, 0, v15
	v_cmp_ne_u32_e64 s27, 0, v23
	v_and_b32_e32 v26, 0xff0000, v9
	s_xor_b32 s6, s13, s25
	v_cndmask_b32_e64 v9, 0, 1, s0
	s_xor_b32 s0, s42, s5
	v_cmp_ne_u32_e64 s16, 0, v16
	v_cmp_ne_u32_e64 s28, 0, v24
	s_xor_b32 s7, s14, s26
	v_cndmask_b32_e64 v10, 0, 1, s0
	s_xor_b32 s0, s42, s6
	v_cmp_ne_u32_e64 s17, 0, v17
	v_cmp_ne_u32_e64 s29, 0, v25
	s_xor_b32 s8, s15, s27
	v_cndmask_b32_e64 v11, 0, 1, s0
	s_xor_b32 s0, s42, s7
	s_xor_b32 s9, s16, s28
	v_cndmask_b32_e64 v12, 0, 1, s0
	s_xor_b32 s0, s42, s8
	v_cmp_ne_u32_e64 s18, 0, v18
	v_cmp_ne_u32_e64 s30, 0, v26
	s_xor_b32 s10, s17, s29
	v_cndmask_b32_e64 v13, 0, 1, s0
	s_xor_b32 s0, s42, s9
	v_lshlrev_b16 v3, 8, v3
	v_cndmask_b32_e64 v14, 0, 1, s0
	s_xor_b32 s0, s42, s10
	s_xor_b32 s11, s18, s30
	v_cndmask_b32_e64 v15, 0, 1, s0
	s_xor_b32 s0, s42, s11
	v_lshlrev_b16 v4, 8, v4
	v_cndmask_b32_e64 v16, 0, 1, s0
	v_lshlrev_b16 v2, 8, v2
	v_lshlrev_b16 v1, 8, v1
	;; [unrolled: 1-line block ×4, first 2 shown]
	v_or_b32_e32 v3, v13, v3
	v_lshlrev_b16 v9, 8, v9
	v_lshlrev_b16 v6, 8, v6
	v_or_b32_e32 v4, v16, v4
	v_or_b32_e32 v1, v7, v1
	;; [unrolled: 1-line block ×4, first 2 shown]
	v_dual_lshlrev_b32 v11, 16, v3 :: v_dual_bitop2_b32 v10, v11, v12 bitop3:0x54
	v_or_b32_e32 v3, v8, v9
	v_dual_lshlrev_b32 v4, 16, v4 :: v_dual_bitop2_b32 v5, v5, v6 bitop3:0x54
	v_dual_lshlrev_b32 v1, 16, v1 :: v_dual_lshlrev_b32 v2, 16, v2
	v_and_b32_e32 v6, 0xffff, v7
	s_delay_alu instid0(VALU_DEP_4) | instskip(NEXT) | instid1(VALU_DEP_4)
	v_and_b32_e32 v7, 0xffff, v3
	v_and_b32_e32 v8, 0xffff, v5
	v_and_b32_e32 v9, 0xffff, v10
	s_add_nc_u64 s[2:3], s[36:37], s[34:35]
	v_or_b32_e32 v3, v6, v4
	v_or_b32_e32 v5, v7, v2
	;; [unrolled: 1-line block ×4, first 2 shown]
	s_mov_b32 s0, 0
	s_clause 0x1
	global_store_b64 v0, v[4:5], s[2:3] scale_offset
	global_store_b64 v0, v[2:3], s[2:3] offset:2048 scale_offset
.LBB209_2:
	s_and_not1_b32 vcc_lo, exec_lo, s0
	s_cbranch_vccnz .LBB209_52
; %bb.3:
	v_cmp_gt_i32_e32 vcc_lo, s33, v0
	s_wait_xcnt 0x0
	v_dual_mov_b32 v3, v0 :: v_dual_bitop2_b32 v1, s34, v0 bitop3:0x54
	v_or_b32_e32 v2, 0x100, v0
	s_mov_b32 s5, 0
	s_mov_b32 s6, 0
	s_and_saveexec_b32 s2, vcc_lo
	s_cbranch_execz .LBB209_5
; %bb.4:
	s_clause 0x1
	global_load_u8 v3, v1, s[38:39]
	global_load_u8 v4, v1, s[40:41]
	s_wait_loadcnt 0x1
	v_cmp_ne_u16_e64 s0, 0, v3
	s_wait_loadcnt 0x0
	v_cmp_ne_u16_e64 s1, 0, v4
	v_or_b32_e32 v3, 0x100, v0
	s_xor_b32 s0, s0, s1
	s_delay_alu instid0(SALU_CYCLE_1)
	s_and_b32 s6, s0, exec_lo
.LBB209_5:
	s_wait_xcnt 0x0
	s_or_b32 exec_lo, exec_lo, s2
	s_delay_alu instid0(SALU_CYCLE_1)
	s_mov_b32 s2, exec_lo
	v_cmpx_gt_i32_e64 s33, v3
	s_cbranch_execz .LBB209_7
; %bb.6:
	v_add_nc_u32_e32 v4, s34, v3
	v_add_nc_u32_e32 v3, 0x100, v3
	s_clause 0x1
	global_load_u8 v5, v4, s[38:39]
	global_load_u8 v6, v4, s[40:41]
	s_wait_loadcnt 0x1
	v_cmp_ne_u16_e64 s0, 0, v5
	s_wait_loadcnt 0x0
	v_cmp_ne_u16_e64 s1, 0, v6
	s_xor_b32 s0, s0, s1
	s_delay_alu instid0(SALU_CYCLE_1)
	s_and_b32 s5, s0, exec_lo
.LBB209_7:
	s_wait_xcnt 0x0
	s_or_b32 exec_lo, exec_lo, s2
	s_mov_b32 s2, 0
	s_mov_b32 s3, 0
	s_mov_b32 s4, exec_lo
	v_cmpx_gt_i32_e64 s33, v3
	s_cbranch_execz .LBB209_9
; %bb.8:
	v_add_nc_u32_e32 v4, s34, v3
	v_add_nc_u32_e32 v3, 0x100, v3
	s_clause 0x1
	global_load_u8 v5, v4, s[38:39]
	global_load_u8 v6, v4, s[40:41]
	s_wait_loadcnt 0x1
	v_cmp_ne_u16_e64 s0, 0, v5
	s_wait_loadcnt 0x0
	v_cmp_ne_u16_e64 s1, 0, v6
	s_xor_b32 s0, s0, s1
	s_delay_alu instid0(SALU_CYCLE_1)
	s_and_b32 s3, s0, exec_lo
.LBB209_9:
	s_wait_xcnt 0x0
	s_or_b32 exec_lo, exec_lo, s4
	s_delay_alu instid0(SALU_CYCLE_1)
	s_mov_b32 s4, exec_lo
	v_cmpx_gt_i32_e64 s33, v3
	s_cbranch_execz .LBB209_11
; %bb.10:
	v_add_nc_u32_e32 v4, s34, v3
	v_add_nc_u32_e32 v3, 0x100, v3
	s_clause 0x1
	global_load_u8 v5, v4, s[38:39]
	global_load_u8 v6, v4, s[40:41]
	s_wait_loadcnt 0x1
	v_cmp_ne_u16_e64 s0, 0, v5
	s_wait_loadcnt 0x0
	v_cmp_ne_u16_e64 s1, 0, v6
	s_xor_b32 s0, s0, s1
	s_delay_alu instid0(SALU_CYCLE_1)
	s_and_b32 s2, s0, exec_lo
.LBB209_11:
	s_wait_xcnt 0x0
	s_or_b32 exec_lo, exec_lo, s4
	s_mov_b32 s7, 0
	s_mov_b32 s10, 0
	s_mov_b32 s4, exec_lo
	v_cmpx_gt_i32_e64 s33, v3
	s_cbranch_execz .LBB209_13
; %bb.12:
	v_add_nc_u32_e32 v4, s34, v3
	v_add_nc_u32_e32 v3, 0x100, v3
	s_clause 0x1
	global_load_u8 v5, v4, s[38:39]
	global_load_u8 v6, v4, s[40:41]
	s_wait_loadcnt 0x1
	v_cmp_ne_u16_e64 s0, 0, v5
	s_wait_loadcnt 0x0
	v_cmp_ne_u16_e64 s1, 0, v6
	s_xor_b32 s0, s0, s1
	s_delay_alu instid0(SALU_CYCLE_1)
	s_and_b32 s10, s0, exec_lo
.LBB209_13:
	;; [unrolled: 41-line block ×7, first 2 shown]
	s_wait_xcnt 0x0
	s_or_b32 exec_lo, exec_lo, s18
	s_delay_alu instid0(SALU_CYCLE_1)
	s_mov_b32 s18, exec_lo
	v_cmpx_gt_i32_e64 s33, v3
	s_cbranch_execz .LBB209_35
; %bb.34:
	v_add_nc_u32_e32 v3, s34, v3
	s_clause 0x1
	global_load_u8 v4, v3, s[38:39]
	global_load_u8 v5, v3, s[40:41]
	s_wait_loadcnt 0x1
	v_cmp_ne_u16_e64 s0, 0, v4
	s_wait_loadcnt 0x0
	v_cmp_ne_u16_e64 s1, 0, v5
	s_xor_b32 s0, s0, s1
	s_delay_alu instid0(SALU_CYCLE_1)
	s_and_b32 s14, s0, exec_lo
.LBB209_35:
	s_wait_xcnt 0x0
	s_or_b32 exec_lo, exec_lo, s18
	s_cmp_eq_u32 s31, 0
	v_or_b32_e32 v7, 0x400, v0
	s_cselect_b32 s1, -1, 0
	v_or_b32_e32 v5, 0x200, v0
	s_xor_b32 s0, s1, s6
	v_or_b32_e32 v8, 0x500, v0
	v_cndmask_b32_e64 v3, 0, 1, s0
	s_xor_b32 s0, s1, s5
	v_or_b32_e32 v9, 0x800, v0
	v_cndmask_b32_e64 v4, 0, 1, s0
	s_xor_b32 s0, s1, s10
	s_delay_alu instid0(SALU_CYCLE_1) | instskip(SKIP_1) | instid1(VALU_DEP_2)
	v_cndmask_b32_e64 v6, 0, 1, s0
	s_xor_b32 s0, s1, s7
	v_lshlrev_b16 v4, 8, v4
	v_cndmask_b32_e64 v10, 0, 1, s0
	s_xor_b32 s0, s1, s3
	v_bitop3_b16 v6, v6, 0, 0xff00 bitop3:0xf8
	v_cndmask_b32_e64 v11, 0, 1, s0
	v_cmp_gt_i32_e64 s0, s33, v2
	s_delay_alu instid0(VALU_DEP_3) | instskip(SKIP_1) | instid1(VALU_DEP_1)
	v_and_b32_e32 v6, 0xffff, v6
	v_cndmask_b32_e32 v3, 0, v3, vcc_lo
	v_or_b32_e32 v4, v3, v4
	s_delay_alu instid0(VALU_DEP_1) | instskip(NEXT) | instid1(VALU_DEP_1)
	v_and_b32_e32 v4, 0xffff, v4
	v_cndmask_b32_e64 v3, v3, v4, s0
	v_cmp_gt_i32_e64 s0, s33, v7
	v_lshlrev_b16 v4, 8, v10
	v_or_b32_e32 v7, 0xc00, v0
	s_delay_alu instid0(VALU_DEP_4) | instskip(NEXT) | instid1(VALU_DEP_4)
	v_lshl_or_b32 v10, v11, 16, v3
	v_cndmask_b32_e64 v6, 0, v6, s0
	s_xor_b32 s0, s1, s2
	s_delay_alu instid0(SALU_CYCLE_1) | instskip(SKIP_1) | instid1(VALU_DEP_3)
	v_cndmask_b32_e64 v11, 0, 1, s0
	v_cmp_gt_i32_e64 s0, s33, v5
	v_bitop3_b16 v4, v6, v4, 0xff bitop3:0xec
	s_delay_alu instid0(VALU_DEP_2) | instskip(SKIP_1) | instid1(VALU_DEP_2)
	v_cndmask_b32_e64 v3, v3, v10, s0
	s_xor_b32 s0, s1, s8
	v_and_b32_e32 v4, 0xffff, v4
	v_cndmask_b32_e64 v5, 0, 1, s0
	s_xor_b32 s0, s1, s16
	v_lshlrev_b16 v10, 8, v11
	v_cndmask_b32_e64 v12, 0, 1, s0
	v_cmp_gt_i32_e64 s0, s33, v8
	s_delay_alu instid0(VALU_DEP_1) | instskip(SKIP_1) | instid1(SALU_CYCLE_1)
	v_cndmask_b32_e64 v4, v6, v4, s0
	s_xor_b32 s0, s1, s15
	v_cndmask_b32_e64 v8, 0, 1, s0
	v_cmp_gt_i32_e64 s0, s33, v7
	v_lshrrev_b32_e32 v11, 16, v3
	s_delay_alu instid0(VALU_DEP_3) | instskip(NEXT) | instid1(VALU_DEP_3)
	v_lshlrev_b16 v8, 8, v8
	v_cndmask_b32_e64 v7, 0, v12, s0
	s_xor_b32 s0, s1, s11
	s_delay_alu instid0(VALU_DEP_3)
	v_bitop3_b16 v6, v11, v10, 0xff bitop3:0xec
	v_cndmask_b32_e64 v11, 0, 1, s0
	s_xor_b32 s0, s1, s9
	v_lshrrev_b32_e32 v10, 16, v4
	v_cndmask_b32_e64 v12, 0, 1, s0
	v_cmp_gt_i32_e64 s0, s33, v9
	v_lshlrev_b32_e32 v6, 16, v6
	v_bitop3_b16 v8, v7, v8, 0xff bitop3:0xec
	v_bitop3_b16 v5, v5, v10, 0xff00 bitop3:0xf8
	v_lshlrev_b16 v10, 8, v12
	v_cndmask_b32_e64 v9, 0, v11, s0
	v_or_b32_e32 v11, 0xd00, v0
	v_and_b32_e32 v8, 0xffff, v8
	v_lshlrev_b32_e32 v5, 16, v5
	v_or_b32_e32 v12, 0x600, v0
	v_and_or_b32 v6, 0xffff, v3, v6
	v_cmp_gt_i32_e64 s0, s33, v11
	v_or_b32_e32 v10, v9, v10
	v_and_or_b32 v5, 0xffff, v4, v5
	s_delay_alu instid0(VALU_DEP_3)
	v_cndmask_b32_e64 v7, v7, v8, s0
	s_xor_b32 s0, s1, s13
	v_or_b32_e32 v8, 0x900, v0
	v_cndmask_b32_e64 v11, 0, 1, s0
	s_xor_b32 s0, s1, s17
	v_and_b32_e32 v10, 0xffff, v10
	v_cndmask_b32_e64 v14, 0, 1, s0
	v_cmp_gt_i32_e64 s0, s33, v12
	v_lshrrev_b32_e32 v13, 16, v7
	v_or_b32_e32 v12, 0xa00, v0
	s_delay_alu instid0(VALU_DEP_3) | instskip(SKIP_1) | instid1(VALU_DEP_4)
	v_cndmask_b32_e64 v4, v4, v5, s0
	v_cmp_gt_i32_e64 s0, s33, v8
	v_bitop3_b16 v8, v14, v13, 0xff00 bitop3:0xf8
	v_or_b32_e32 v13, 0xe00, v0
	s_delay_alu instid0(VALU_DEP_3) | instskip(SKIP_1) | instid1(SALU_CYCLE_1)
	v_dual_cndmask_b32 v5, v9, v10, s0 :: v_dual_lshlrev_b32 v9, 16, v11
	s_xor_b32 s0, s1, s4
	v_cndmask_b32_e64 v10, 0, 1, s0
	v_cmp_gt_i32_e64 s0, s33, v12
	s_delay_alu instid0(VALU_DEP_3) | instskip(SKIP_1) | instid1(VALU_DEP_4)
	v_and_or_b32 v9, 0x1ff, v5, v9
	v_lshrrev_b32_e32 v11, 16, v4
	v_lshlrev_b16 v10, 8, v10
	s_delay_alu instid0(VALU_DEP_3) | instskip(SKIP_1) | instid1(VALU_DEP_2)
	v_dual_cndmask_b32 v9, v5, v9, s0 :: v_dual_lshlrev_b32 v8, 16, v8
	s_xor_b32 s0, s1, s12
	v_bitop3_b16 v10, v11, v10, 0xff bitop3:0xec
	v_cndmask_b32_e64 v5, 0, 1, s0
	v_cmp_gt_i32_e64 s0, s33, v13
	v_lshrrev_b32_e32 v11, 16, v9
	v_and_or_b32 v8, 0xffff, v7, v8
	v_or_b32_e32 v13, 0x300, v0
	v_lshlrev_b16 v5, 8, v5
	s_delay_alu instid0(VALU_DEP_3) | instskip(SKIP_1) | instid1(VALU_DEP_2)
	v_dual_lshlrev_b32 v10, 16, v10 :: v_dual_cndmask_b32 v7, v7, v8, s0
	s_xor_b32 s0, s1, s14
	v_bitop3_b16 v5, v11, v5, 0xff bitop3:0xec
	v_cndmask_b32_e64 v8, 0, 1, s0
	v_cmp_gt_i32_e64 s0, s33, v13
	v_lshrrev_b32_e32 v12, 16, v7
	v_and_or_b32 v10, 0xffff, v4, v10
	v_or_b32_e32 v11, 0xb00, v0
	v_lshlrev_b16 v8, 8, v8
	v_cndmask_b32_e64 v6, v3, v6, s0
	s_delay_alu instid0(VALU_DEP_2) | instskip(SKIP_3) | instid1(VALU_DEP_4)
	v_bitop3_b16 v8, v12, v8, 0xff bitop3:0xec
	v_lshlrev_b32_e32 v3, 16, v5
	v_or_b32_e32 v5, 0x700, v0
	v_or_b32_e32 v12, 0xf00, v0
	v_lshlrev_b32_e32 v8, 16, v8
	s_delay_alu instid0(VALU_DEP_4) | instskip(NEXT) | instid1(VALU_DEP_4)
	v_and_or_b32 v3, 0xffff, v9, v3
	v_cmp_gt_i32_e64 s0, s33, v5
	s_delay_alu instid0(VALU_DEP_3) | instskip(NEXT) | instid1(VALU_DEP_2)
	v_and_or_b32 v8, 0xffff, v7, v8
	v_cndmask_b32_e64 v5, v4, v10, s0
	v_cmp_gt_i32_e64 s0, s33, v11
	s_delay_alu instid0(VALU_DEP_1) | instskip(SKIP_1) | instid1(VALU_DEP_1)
	v_cndmask_b32_e64 v4, v9, v3, s0
	v_cmp_gt_i32_e64 s0, s33, v12
	v_cndmask_b32_e64 v3, v7, v8, s0
	s_and_saveexec_b32 s0, vcc_lo
	s_cbranch_execnz .LBB209_53
; %bb.36:
	s_or_b32 exec_lo, exec_lo, s0
	s_delay_alu instid0(SALU_CYCLE_1)
	s_mov_b32 s0, exec_lo
	v_cmpx_gt_i32_e64 s33, v0
	s_cbranch_execnz .LBB209_54
.LBB209_37:
	s_or_b32 exec_lo, exec_lo, s0
	s_delay_alu instid0(SALU_CYCLE_1)
	s_mov_b32 s0, exec_lo
	v_cmpx_gt_i32_e64 s33, v0
	s_cbranch_execnz .LBB209_55
.LBB209_38:
	s_or_b32 exec_lo, exec_lo, s0
	s_delay_alu instid0(SALU_CYCLE_1)
	s_mov_b32 s0, exec_lo
	v_cmpx_gt_i32_e64 s33, v0
	s_cbranch_execnz .LBB209_56
.LBB209_39:
	s_or_b32 exec_lo, exec_lo, s0
	s_delay_alu instid0(SALU_CYCLE_1)
	s_mov_b32 s0, exec_lo
	v_cmpx_gt_i32_e64 s33, v0
	s_cbranch_execnz .LBB209_57
.LBB209_40:
	s_or_b32 exec_lo, exec_lo, s0
	s_delay_alu instid0(SALU_CYCLE_1)
	s_mov_b32 s0, exec_lo
	v_cmpx_gt_i32_e64 s33, v0
	s_cbranch_execnz .LBB209_58
.LBB209_41:
	s_or_b32 exec_lo, exec_lo, s0
	s_delay_alu instid0(SALU_CYCLE_1)
	s_mov_b32 s0, exec_lo
	v_cmpx_gt_i32_e64 s33, v0
	s_cbranch_execnz .LBB209_59
.LBB209_42:
	s_or_b32 exec_lo, exec_lo, s0
	s_delay_alu instid0(SALU_CYCLE_1)
	s_mov_b32 s0, exec_lo
	v_cmpx_gt_i32_e64 s33, v0
	s_cbranch_execnz .LBB209_60
.LBB209_43:
	s_or_b32 exec_lo, exec_lo, s0
	s_delay_alu instid0(SALU_CYCLE_1)
	s_mov_b32 s0, exec_lo
	v_cmpx_gt_i32_e64 s33, v0
	s_cbranch_execnz .LBB209_61
.LBB209_44:
	s_or_b32 exec_lo, exec_lo, s0
	s_delay_alu instid0(SALU_CYCLE_1)
	s_mov_b32 s0, exec_lo
	v_cmpx_gt_i32_e64 s33, v0
	s_cbranch_execnz .LBB209_62
.LBB209_45:
	s_or_b32 exec_lo, exec_lo, s0
	s_delay_alu instid0(SALU_CYCLE_1)
	s_mov_b32 s0, exec_lo
	v_cmpx_gt_i32_e64 s33, v0
	s_cbranch_execnz .LBB209_63
.LBB209_46:
	s_or_b32 exec_lo, exec_lo, s0
	s_delay_alu instid0(SALU_CYCLE_1)
	s_mov_b32 s0, exec_lo
	v_cmpx_gt_i32_e64 s33, v0
	s_cbranch_execnz .LBB209_64
.LBB209_47:
	s_or_b32 exec_lo, exec_lo, s0
	s_delay_alu instid0(SALU_CYCLE_1)
	s_mov_b32 s0, exec_lo
	v_cmpx_gt_i32_e64 s33, v0
	s_cbranch_execnz .LBB209_65
.LBB209_48:
	s_or_b32 exec_lo, exec_lo, s0
	s_delay_alu instid0(SALU_CYCLE_1)
	s_mov_b32 s0, exec_lo
	v_cmpx_gt_i32_e64 s33, v0
	s_cbranch_execnz .LBB209_66
.LBB209_49:
	s_or_b32 exec_lo, exec_lo, s0
	s_delay_alu instid0(SALU_CYCLE_1)
	s_mov_b32 s0, exec_lo
	v_cmpx_gt_i32_e64 s33, v0
	s_cbranch_execnz .LBB209_67
.LBB209_50:
	s_or_b32 exec_lo, exec_lo, s0
	s_delay_alu instid0(SALU_CYCLE_1)
	s_mov_b32 s0, exec_lo
	v_cmpx_gt_i32_e64 s33, v0
	s_cbranch_execz .LBB209_52
.LBB209_51:
	v_dual_lshrrev_b32 v1, 24, v3 :: v_dual_add_nc_u32 v0, s34, v0
	global_store_b8 v0, v1, s[36:37]
.LBB209_52:
	s_endpgm
.LBB209_53:
	v_mov_b32_e32 v0, v2
	global_store_b8 v1, v6, s[36:37]
	s_wait_xcnt 0x0
	s_or_b32 exec_lo, exec_lo, s0
	s_delay_alu instid0(SALU_CYCLE_1)
	s_mov_b32 s0, exec_lo
	v_cmpx_gt_i32_e64 s33, v0
	s_cbranch_execz .LBB209_37
.LBB209_54:
	v_dual_lshrrev_b32 v1, 8, v6 :: v_dual_add_nc_u32 v2, s34, v0
	v_add_nc_u32_e32 v0, 0x100, v0
	global_store_b8 v2, v1, s[36:37]
	s_wait_xcnt 0x0
	s_or_b32 exec_lo, exec_lo, s0
	s_delay_alu instid0(SALU_CYCLE_1)
	s_mov_b32 s0, exec_lo
	v_cmpx_gt_i32_e64 s33, v0
	s_cbranch_execz .LBB209_38
.LBB209_55:
	v_add_nc_u32_e32 v1, s34, v0
	v_add_nc_u32_e32 v0, 0x100, v0
	global_store_d16_hi_b8 v1, v6, s[36:37]
	s_wait_xcnt 0x0
	s_or_b32 exec_lo, exec_lo, s0
	s_delay_alu instid0(SALU_CYCLE_1)
	s_mov_b32 s0, exec_lo
	v_cmpx_gt_i32_e64 s33, v0
	s_cbranch_execz .LBB209_39
.LBB209_56:
	v_dual_lshrrev_b32 v1, 24, v6 :: v_dual_add_nc_u32 v2, s34, v0
	v_add_nc_u32_e32 v0, 0x100, v0
	global_store_b8 v2, v1, s[36:37]
	s_wait_xcnt 0x0
	s_or_b32 exec_lo, exec_lo, s0
	s_delay_alu instid0(SALU_CYCLE_1)
	s_mov_b32 s0, exec_lo
	v_cmpx_gt_i32_e64 s33, v0
	s_cbranch_execz .LBB209_40
.LBB209_57:
	v_add_nc_u32_e32 v1, s34, v0
	v_add_nc_u32_e32 v0, 0x100, v0
	global_store_b8 v1, v5, s[36:37]
	s_wait_xcnt 0x0
	s_or_b32 exec_lo, exec_lo, s0
	s_delay_alu instid0(SALU_CYCLE_1)
	s_mov_b32 s0, exec_lo
	v_cmpx_gt_i32_e64 s33, v0
	s_cbranch_execz .LBB209_41
.LBB209_58:
	v_dual_lshrrev_b32 v1, 8, v5 :: v_dual_add_nc_u32 v2, s34, v0
	v_add_nc_u32_e32 v0, 0x100, v0
	global_store_b8 v2, v1, s[36:37]
	s_wait_xcnt 0x0
	s_or_b32 exec_lo, exec_lo, s0
	s_delay_alu instid0(SALU_CYCLE_1)
	s_mov_b32 s0, exec_lo
	v_cmpx_gt_i32_e64 s33, v0
	s_cbranch_execz .LBB209_42
.LBB209_59:
	v_add_nc_u32_e32 v1, s34, v0
	v_add_nc_u32_e32 v0, 0x100, v0
	global_store_d16_hi_b8 v1, v5, s[36:37]
	s_wait_xcnt 0x0
	s_or_b32 exec_lo, exec_lo, s0
	s_delay_alu instid0(SALU_CYCLE_1)
	s_mov_b32 s0, exec_lo
	v_cmpx_gt_i32_e64 s33, v0
	s_cbranch_execz .LBB209_43
.LBB209_60:
	v_dual_lshrrev_b32 v1, 24, v5 :: v_dual_add_nc_u32 v2, s34, v0
	v_add_nc_u32_e32 v0, 0x100, v0
	global_store_b8 v2, v1, s[36:37]
	s_wait_xcnt 0x0
	s_or_b32 exec_lo, exec_lo, s0
	s_delay_alu instid0(SALU_CYCLE_1)
	s_mov_b32 s0, exec_lo
	v_cmpx_gt_i32_e64 s33, v0
	s_cbranch_execz .LBB209_44
.LBB209_61:
	v_add_nc_u32_e32 v1, s34, v0
	v_add_nc_u32_e32 v0, 0x100, v0
	global_store_b8 v1, v4, s[36:37]
	s_wait_xcnt 0x0
	s_or_b32 exec_lo, exec_lo, s0
	s_delay_alu instid0(SALU_CYCLE_1)
	s_mov_b32 s0, exec_lo
	v_cmpx_gt_i32_e64 s33, v0
	s_cbranch_execz .LBB209_45
.LBB209_62:
	v_lshrrev_b32_e32 v1, 8, v4
	v_add_nc_u32_e32 v2, s34, v0
	v_add_nc_u32_e32 v0, 0x100, v0
	global_store_b8 v2, v1, s[36:37]
	s_wait_xcnt 0x0
	s_or_b32 exec_lo, exec_lo, s0
	s_delay_alu instid0(SALU_CYCLE_1)
	s_mov_b32 s0, exec_lo
	v_cmpx_gt_i32_e64 s33, v0
	s_cbranch_execz .LBB209_46
.LBB209_63:
	v_add_nc_u32_e32 v1, s34, v0
	v_add_nc_u32_e32 v0, 0x100, v0
	global_store_d16_hi_b8 v1, v4, s[36:37]
	s_wait_xcnt 0x0
	s_or_b32 exec_lo, exec_lo, s0
	s_delay_alu instid0(SALU_CYCLE_1)
	s_mov_b32 s0, exec_lo
	v_cmpx_gt_i32_e64 s33, v0
	s_cbranch_execz .LBB209_47
.LBB209_64:
	v_lshrrev_b32_e32 v1, 24, v4
	v_add_nc_u32_e32 v2, s34, v0
	v_add_nc_u32_e32 v0, 0x100, v0
	global_store_b8 v2, v1, s[36:37]
	s_wait_xcnt 0x0
	s_or_b32 exec_lo, exec_lo, s0
	s_delay_alu instid0(SALU_CYCLE_1)
	s_mov_b32 s0, exec_lo
	v_cmpx_gt_i32_e64 s33, v0
	s_cbranch_execz .LBB209_48
.LBB209_65:
	v_add_nc_u32_e32 v1, s34, v0
	v_add_nc_u32_e32 v0, 0x100, v0
	global_store_b8 v1, v3, s[36:37]
	s_wait_xcnt 0x0
	s_or_b32 exec_lo, exec_lo, s0
	s_delay_alu instid0(SALU_CYCLE_1)
	s_mov_b32 s0, exec_lo
	v_cmpx_gt_i32_e64 s33, v0
	s_cbranch_execz .LBB209_49
.LBB209_66:
	v_dual_lshrrev_b32 v1, 8, v3 :: v_dual_add_nc_u32 v2, s34, v0
	v_add_nc_u32_e32 v0, 0x100, v0
	global_store_b8 v2, v1, s[36:37]
	s_wait_xcnt 0x0
	s_or_b32 exec_lo, exec_lo, s0
	s_delay_alu instid0(SALU_CYCLE_1)
	s_mov_b32 s0, exec_lo
	v_cmpx_gt_i32_e64 s33, v0
	s_cbranch_execz .LBB209_50
.LBB209_67:
	v_add_nc_u32_e32 v1, s34, v0
	v_add_nc_u32_e32 v0, 0x100, v0
	global_store_d16_hi_b8 v1, v3, s[36:37]
	s_wait_xcnt 0x0
	s_or_b32 exec_lo, exec_lo, s0
	s_delay_alu instid0(SALU_CYCLE_1)
	s_mov_b32 s0, exec_lo
	v_cmpx_gt_i32_e64 s33, v0
	s_cbranch_execnz .LBB209_51
	s_branch .LBB209_52
	.section	.rodata,"a",@progbits
	.p2align	6, 0x0
	.amdhsa_kernel _ZN2at6native29vectorized_elementwise_kernelILi8ENS0_13BinaryFunctorIbbbNS0_12_GLOBAL__N_116CompareEqFunctorIbEEEESt5arrayIPcLm3EEEEviT0_T1_
		.amdhsa_group_segment_fixed_size 0
		.amdhsa_private_segment_fixed_size 0
		.amdhsa_kernarg_size 32
		.amdhsa_user_sgpr_count 2
		.amdhsa_user_sgpr_dispatch_ptr 0
		.amdhsa_user_sgpr_queue_ptr 0
		.amdhsa_user_sgpr_kernarg_segment_ptr 1
		.amdhsa_user_sgpr_dispatch_id 0
		.amdhsa_user_sgpr_kernarg_preload_length 0
		.amdhsa_user_sgpr_kernarg_preload_offset 0
		.amdhsa_user_sgpr_private_segment_size 0
		.amdhsa_wavefront_size32 1
		.amdhsa_uses_dynamic_stack 0
		.amdhsa_enable_private_segment 0
		.amdhsa_system_sgpr_workgroup_id_x 1
		.amdhsa_system_sgpr_workgroup_id_y 0
		.amdhsa_system_sgpr_workgroup_id_z 0
		.amdhsa_system_sgpr_workgroup_info 0
		.amdhsa_system_vgpr_workitem_id 0
		.amdhsa_next_free_vgpr 27
		.amdhsa_next_free_sgpr 43
		.amdhsa_named_barrier_count 0
		.amdhsa_reserve_vcc 1
		.amdhsa_float_round_mode_32 0
		.amdhsa_float_round_mode_16_64 0
		.amdhsa_float_denorm_mode_32 3
		.amdhsa_float_denorm_mode_16_64 3
		.amdhsa_fp16_overflow 0
		.amdhsa_memory_ordered 1
		.amdhsa_forward_progress 1
		.amdhsa_inst_pref_size 40
		.amdhsa_round_robin_scheduling 0
		.amdhsa_exception_fp_ieee_invalid_op 0
		.amdhsa_exception_fp_denorm_src 0
		.amdhsa_exception_fp_ieee_div_zero 0
		.amdhsa_exception_fp_ieee_overflow 0
		.amdhsa_exception_fp_ieee_underflow 0
		.amdhsa_exception_fp_ieee_inexact 0
		.amdhsa_exception_int_div_zero 0
	.end_amdhsa_kernel
	.section	.text._ZN2at6native29vectorized_elementwise_kernelILi8ENS0_13BinaryFunctorIbbbNS0_12_GLOBAL__N_116CompareEqFunctorIbEEEESt5arrayIPcLm3EEEEviT0_T1_,"axG",@progbits,_ZN2at6native29vectorized_elementwise_kernelILi8ENS0_13BinaryFunctorIbbbNS0_12_GLOBAL__N_116CompareEqFunctorIbEEEESt5arrayIPcLm3EEEEviT0_T1_,comdat
.Lfunc_end209:
	.size	_ZN2at6native29vectorized_elementwise_kernelILi8ENS0_13BinaryFunctorIbbbNS0_12_GLOBAL__N_116CompareEqFunctorIbEEEESt5arrayIPcLm3EEEEviT0_T1_, .Lfunc_end209-_ZN2at6native29vectorized_elementwise_kernelILi8ENS0_13BinaryFunctorIbbbNS0_12_GLOBAL__N_116CompareEqFunctorIbEEEESt5arrayIPcLm3EEEEviT0_T1_
                                        ; -- End function
	.set _ZN2at6native29vectorized_elementwise_kernelILi8ENS0_13BinaryFunctorIbbbNS0_12_GLOBAL__N_116CompareEqFunctorIbEEEESt5arrayIPcLm3EEEEviT0_T1_.num_vgpr, 27
	.set _ZN2at6native29vectorized_elementwise_kernelILi8ENS0_13BinaryFunctorIbbbNS0_12_GLOBAL__N_116CompareEqFunctorIbEEEESt5arrayIPcLm3EEEEviT0_T1_.num_agpr, 0
	.set _ZN2at6native29vectorized_elementwise_kernelILi8ENS0_13BinaryFunctorIbbbNS0_12_GLOBAL__N_116CompareEqFunctorIbEEEESt5arrayIPcLm3EEEEviT0_T1_.numbered_sgpr, 43
	.set _ZN2at6native29vectorized_elementwise_kernelILi8ENS0_13BinaryFunctorIbbbNS0_12_GLOBAL__N_116CompareEqFunctorIbEEEESt5arrayIPcLm3EEEEviT0_T1_.num_named_barrier, 0
	.set _ZN2at6native29vectorized_elementwise_kernelILi8ENS0_13BinaryFunctorIbbbNS0_12_GLOBAL__N_116CompareEqFunctorIbEEEESt5arrayIPcLm3EEEEviT0_T1_.private_seg_size, 0
	.set _ZN2at6native29vectorized_elementwise_kernelILi8ENS0_13BinaryFunctorIbbbNS0_12_GLOBAL__N_116CompareEqFunctorIbEEEESt5arrayIPcLm3EEEEviT0_T1_.uses_vcc, 1
	.set _ZN2at6native29vectorized_elementwise_kernelILi8ENS0_13BinaryFunctorIbbbNS0_12_GLOBAL__N_116CompareEqFunctorIbEEEESt5arrayIPcLm3EEEEviT0_T1_.uses_flat_scratch, 0
	.set _ZN2at6native29vectorized_elementwise_kernelILi8ENS0_13BinaryFunctorIbbbNS0_12_GLOBAL__N_116CompareEqFunctorIbEEEESt5arrayIPcLm3EEEEviT0_T1_.has_dyn_sized_stack, 0
	.set _ZN2at6native29vectorized_elementwise_kernelILi8ENS0_13BinaryFunctorIbbbNS0_12_GLOBAL__N_116CompareEqFunctorIbEEEESt5arrayIPcLm3EEEEviT0_T1_.has_recursion, 0
	.set _ZN2at6native29vectorized_elementwise_kernelILi8ENS0_13BinaryFunctorIbbbNS0_12_GLOBAL__N_116CompareEqFunctorIbEEEESt5arrayIPcLm3EEEEviT0_T1_.has_indirect_call, 0
	.section	.AMDGPU.csdata,"",@progbits
; Kernel info:
; codeLenInByte = 5076
; TotalNumSgprs: 45
; NumVgprs: 27
; ScratchSize: 0
; MemoryBound: 0
; FloatMode: 240
; IeeeMode: 1
; LDSByteSize: 0 bytes/workgroup (compile time only)
; SGPRBlocks: 0
; VGPRBlocks: 1
; NumSGPRsForWavesPerEU: 45
; NumVGPRsForWavesPerEU: 27
; NamedBarCnt: 0
; Occupancy: 16
; WaveLimiterHint : 1
; COMPUTE_PGM_RSRC2:SCRATCH_EN: 0
; COMPUTE_PGM_RSRC2:USER_SGPR: 2
; COMPUTE_PGM_RSRC2:TRAP_HANDLER: 0
; COMPUTE_PGM_RSRC2:TGID_X_EN: 1
; COMPUTE_PGM_RSRC2:TGID_Y_EN: 0
; COMPUTE_PGM_RSRC2:TGID_Z_EN: 0
; COMPUTE_PGM_RSRC2:TIDIG_COMP_CNT: 0
	.section	.text._ZN2at6native29vectorized_elementwise_kernelILi4ENS0_13BinaryFunctorIbbbNS0_12_GLOBAL__N_116CompareEqFunctorIbEEEESt5arrayIPcLm3EEEEviT0_T1_,"axG",@progbits,_ZN2at6native29vectorized_elementwise_kernelILi4ENS0_13BinaryFunctorIbbbNS0_12_GLOBAL__N_116CompareEqFunctorIbEEEESt5arrayIPcLm3EEEEviT0_T1_,comdat
	.globl	_ZN2at6native29vectorized_elementwise_kernelILi4ENS0_13BinaryFunctorIbbbNS0_12_GLOBAL__N_116CompareEqFunctorIbEEEESt5arrayIPcLm3EEEEviT0_T1_ ; -- Begin function _ZN2at6native29vectorized_elementwise_kernelILi4ENS0_13BinaryFunctorIbbbNS0_12_GLOBAL__N_116CompareEqFunctorIbEEEESt5arrayIPcLm3EEEEviT0_T1_
	.p2align	8
	.type	_ZN2at6native29vectorized_elementwise_kernelILi4ENS0_13BinaryFunctorIbbbNS0_12_GLOBAL__N_116CompareEqFunctorIbEEEESt5arrayIPcLm3EEEEviT0_T1_,@function
_ZN2at6native29vectorized_elementwise_kernelILi4ENS0_13BinaryFunctorIbbbNS0_12_GLOBAL__N_116CompareEqFunctorIbEEEESt5arrayIPcLm3EEEEviT0_T1_: ; @_ZN2at6native29vectorized_elementwise_kernelILi4ENS0_13BinaryFunctorIbbbNS0_12_GLOBAL__N_116CompareEqFunctorIbEEEESt5arrayIPcLm3EEEEviT0_T1_
; %bb.0:
	s_clause 0x2
	s_load_b64 s[30:31], s[0:1], 0x0
	s_load_b128 s[36:39], s[0:1], 0x8
	s_load_b64 s[40:41], s[0:1], 0x18
	s_wait_xcnt 0x0
	s_bfe_u32 s0, ttmp6, 0x4000c
	s_and_b32 s1, ttmp6, 15
	s_add_co_i32 s0, s0, 1
	s_getreg_b32 s2, hwreg(HW_REG_IB_STS2, 6, 4)
	s_mul_i32 s0, ttmp9, s0
	s_delay_alu instid0(SALU_CYCLE_1) | instskip(SKIP_2) | instid1(SALU_CYCLE_1)
	s_add_co_i32 s1, s1, s0
	s_cmp_eq_u32 s2, 0
	s_cselect_b32 s0, ttmp9, s1
	s_lshl_b32 s34, s0, 12
	s_mov_b32 s0, -1
	s_wait_kmcnt 0x0
	s_sub_co_i32 s33, s30, s34
	s_delay_alu instid0(SALU_CYCLE_1)
	s_cmp_gt_i32 s33, 0xfff
	s_cbranch_scc0 .LBB210_2
; %bb.1:
	s_ashr_i32 s35, s34, 31
	s_cmp_eq_u32 s31, 0
	s_add_nc_u64 s[0:1], s[38:39], s[34:35]
	s_cselect_b32 s42, -1, 0
	s_clause 0x3
	global_load_b32 v1, v0, s[0:1] scale_offset
	global_load_b32 v2, v0, s[0:1] offset:1024 scale_offset
	global_load_b32 v3, v0, s[0:1] offset:2048 scale_offset
	;; [unrolled: 1-line block ×3, first 2 shown]
	s_wait_xcnt 0x0
	s_add_nc_u64 s[0:1], s[40:41], s[34:35]
	s_clause 0x3
	global_load_b32 v5, v0, s[0:1] scale_offset
	global_load_b32 v6, v0, s[0:1] offset:1024 scale_offset
	global_load_b32 v7, v0, s[0:1] offset:2048 scale_offset
	;; [unrolled: 1-line block ×3, first 2 shown]
	s_wait_loadcnt 0x7
	v_and_b32_e32 v9, 0xff, v1
	s_wait_loadcnt 0x6
	s_wait_xcnt 0x0
	v_cmp_lt_u32_e64 s0, 0xffffff, v2
	s_wait_loadcnt 0x5
	v_cmp_lt_u32_e64 s1, 0xffffff, v3
	v_and_b32_e32 v10, 0xff00, v1
	s_wait_loadcnt 0x2
	v_cmp_lt_u32_e64 s4, 0xffffff, v6
	s_wait_loadcnt 0x1
	v_cmp_lt_u32_e64 s5, 0xffffff, v7
	v_and_b32_e32 v11, 0xff0000, v1
	v_cmp_lt_u32_e32 vcc_lo, 0xffffff, v1
	v_and_b32_e32 v1, 0xff, v2
	v_and_b32_e32 v12, 0xff00, v2
	;; [unrolled: 1-line block ×9, first 2 shown]
	v_cmp_lt_u32_e64 s2, 0xffffff, v4
	v_and_b32_e32 v4, 0xff, v5
	s_wait_loadcnt 0x0
	v_cmp_lt_u32_e64 s6, 0xffffff, v8
	v_and_b32_e32 v18, 0xff00, v5
	s_xor_b32 s0, s0, s4
	v_and_b32_e32 v19, 0xff0000, v5
	s_xor_b32 s1, s1, s5
	s_xor_b32 s0, s42, s0
	v_cmp_ne_u32_e64 s7, 0, v9
	v_cmp_ne_u32_e64 s19, 0, v4
	v_cmp_lt_u32_e64 s3, 0xffffff, v5
	v_and_b32_e32 v5, 0xff, v6
	v_cmp_ne_u32_e64 s13, 0, v2
	s_xor_b32 s2, s2, s6
	v_cndmask_b32_e64 v2, 0, 1, s0
	s_xor_b32 s0, s42, s1
	v_cmp_ne_u32_e64 s8, 0, v10
	v_cmp_ne_u32_e64 s20, 0, v18
	v_and_b32_e32 v20, 0xff00, v6
	v_cmp_ne_u32_e64 s16, 0, v3
	v_cndmask_b32_e64 v3, 0, 1, s0
	s_xor_b32 s0, s42, s2
	v_cmp_ne_u32_e64 s9, 0, v11
	v_cmp_ne_u32_e64 s21, 0, v19
	v_and_b32_e32 v21, 0xff0000, v6
	v_cndmask_b32_e64 v4, 0, 1, s0
	s_xor_b32 s0, s7, s19
	v_and_b32_e32 v6, 0xff, v7
	v_cmp_ne_u32_e64 s10, 0, v1
	v_cmp_ne_u32_e64 s22, 0, v5
	s_xor_b32 s3, vcc_lo, s3
	s_xor_b32 s1, s8, s20
	s_xor_b32 s0, s42, s0
	v_and_b32_e32 v22, 0xff00, v7
	v_and_b32_e32 v23, 0xff0000, v7
	;; [unrolled: 1-line block ×3, first 2 shown]
	v_cmp_ne_u32_e64 s11, 0, v12
	v_cmp_ne_u32_e64 s23, 0, v20
	s_xor_b32 s3, s42, s3
	s_xor_b32 s2, s9, s21
	v_cndmask_b32_e64 v5, 0, 1, s0
	s_xor_b32 s0, s42, s1
	v_cmp_ne_u32_e64 s12, 0, v13
	v_cmp_ne_u32_e64 s24, 0, v21
	;; [unrolled: 1-line block ×3, first 2 shown]
	v_cndmask_b32_e64 v1, 0, 1, s3
	s_xor_b32 s3, s10, s22
	v_cndmask_b32_e64 v6, 0, 1, s0
	s_xor_b32 s0, s42, s2
	v_cmp_ne_u32_e64 s28, 0, v7
	s_xor_b32 s4, s11, s23
	v_cndmask_b32_e64 v7, 0, 1, s0
	s_xor_b32 s0, s42, s3
	v_cmp_ne_u32_e64 s14, 0, v14
	v_cmp_ne_u32_e64 s26, 0, v22
	v_and_b32_e32 v24, 0xff00, v8
	v_and_b32_e32 v25, 0xff0000, v8
	s_xor_b32 s5, s12, s24
	v_cndmask_b32_e64 v8, 0, 1, s0
	s_xor_b32 s0, s42, s4
	v_cmp_ne_u32_e64 s15, 0, v15
	v_cmp_ne_u32_e64 s27, 0, v23
	s_xor_b32 s6, s13, s25
	v_cndmask_b32_e64 v9, 0, 1, s0
	s_xor_b32 s0, s42, s5
	s_xor_b32 s7, s14, s26
	v_cndmask_b32_e64 v10, 0, 1, s0
	s_xor_b32 s0, s42, s6
	v_cmp_ne_u32_e64 s17, 0, v16
	v_cmp_ne_u32_e64 s29, 0, v24
	s_xor_b32 s8, s15, s27
	v_cndmask_b32_e64 v11, 0, 1, s0
	s_xor_b32 s0, s42, s7
	;; [unrolled: 8-line block ×3, first 2 shown]
	v_lshlrev_b16 v1, 8, v1
	v_cndmask_b32_e64 v14, 0, 1, s0
	s_xor_b32 s0, s42, s10
	s_xor_b32 s11, s18, s30
	v_cndmask_b32_e64 v15, 0, 1, s0
	v_lshlrev_b16 v6, 8, v6
	s_xor_b32 s0, s42, s11
	v_lshlrev_b16 v2, 8, v2
	v_lshlrev_b16 v9, 8, v9
	;; [unrolled: 1-line block ×4, first 2 shown]
	v_cndmask_b32_e64 v16, 0, 1, s0
	v_lshlrev_b16 v4, 8, v4
	v_lshlrev_b16 v15, 8, v15
	v_or_b32_e32 v1, v7, v1
	v_or_b32_e32 v5, v5, v6
	;; [unrolled: 1-line block ×7, first 2 shown]
	v_dual_lshlrev_b32 v1, 16, v1 :: v_dual_bitop2_b32 v7, v14, v15 bitop3:0x54
	v_and_b32_e32 v5, 0xffff, v5
	v_lshlrev_b32_e32 v2, 16, v2
	v_and_b32_e32 v6, 0xffff, v6
	v_lshlrev_b32_e32 v3, 16, v3
	;; [unrolled: 2-line block ×3, first 2 shown]
	v_and_b32_e32 v7, 0xffff, v7
	v_or_b32_e32 v1, v5, v1
	v_or_b32_e32 v2, v6, v2
	;; [unrolled: 1-line block ×3, first 2 shown]
	s_add_nc_u64 s[2:3], s[36:37], s[34:35]
	v_or_b32_e32 v4, v7, v4
	s_mov_b32 s0, 0
	s_clause 0x3
	global_store_b32 v0, v1, s[2:3] scale_offset
	global_store_b32 v0, v2, s[2:3] offset:1024 scale_offset
	global_store_b32 v0, v3, s[2:3] offset:2048 scale_offset
	;; [unrolled: 1-line block ×3, first 2 shown]
.LBB210_2:
	s_and_not1_b32 vcc_lo, exec_lo, s0
	s_cbranch_vccnz .LBB210_52
; %bb.3:
	v_cmp_gt_i32_e32 vcc_lo, s33, v0
	s_wait_xcnt 0x1
	v_dual_mov_b32 v3, v0 :: v_dual_bitop2_b32 v1, s34, v0 bitop3:0x54
	v_or_b32_e32 v2, 0x100, v0
	s_mov_b32 s5, 0
	s_mov_b32 s6, 0
	s_wait_xcnt 0x0
	s_and_saveexec_b32 s2, vcc_lo
	s_cbranch_execz .LBB210_5
; %bb.4:
	s_clause 0x1
	global_load_u8 v3, v1, s[38:39]
	global_load_u8 v4, v1, s[40:41]
	s_wait_loadcnt 0x1
	v_cmp_ne_u16_e64 s0, 0, v3
	s_wait_loadcnt 0x0
	v_cmp_ne_u16_e64 s1, 0, v4
	v_or_b32_e32 v3, 0x100, v0
	s_xor_b32 s0, s0, s1
	s_delay_alu instid0(SALU_CYCLE_1)
	s_and_b32 s6, s0, exec_lo
.LBB210_5:
	s_wait_xcnt 0x0
	s_or_b32 exec_lo, exec_lo, s2
	s_delay_alu instid0(SALU_CYCLE_1)
	s_mov_b32 s2, exec_lo
	v_cmpx_gt_i32_e64 s33, v3
	s_cbranch_execz .LBB210_7
; %bb.6:
	v_add_nc_u32_e32 v4, s34, v3
	v_add_nc_u32_e32 v3, 0x100, v3
	s_clause 0x1
	global_load_u8 v5, v4, s[38:39]
	global_load_u8 v6, v4, s[40:41]
	s_wait_loadcnt 0x1
	v_cmp_ne_u16_e64 s0, 0, v5
	s_wait_loadcnt 0x0
	v_cmp_ne_u16_e64 s1, 0, v6
	s_xor_b32 s0, s0, s1
	s_delay_alu instid0(SALU_CYCLE_1)
	s_and_b32 s5, s0, exec_lo
.LBB210_7:
	s_wait_xcnt 0x0
	s_or_b32 exec_lo, exec_lo, s2
	s_mov_b32 s2, 0
	s_mov_b32 s3, 0
	s_mov_b32 s4, exec_lo
	v_cmpx_gt_i32_e64 s33, v3
	s_cbranch_execz .LBB210_9
; %bb.8:
	v_add_nc_u32_e32 v4, s34, v3
	v_add_nc_u32_e32 v3, 0x100, v3
	s_clause 0x1
	global_load_u8 v5, v4, s[38:39]
	global_load_u8 v6, v4, s[40:41]
	s_wait_loadcnt 0x1
	v_cmp_ne_u16_e64 s0, 0, v5
	s_wait_loadcnt 0x0
	v_cmp_ne_u16_e64 s1, 0, v6
	s_xor_b32 s0, s0, s1
	s_delay_alu instid0(SALU_CYCLE_1)
	s_and_b32 s3, s0, exec_lo
.LBB210_9:
	s_wait_xcnt 0x0
	s_or_b32 exec_lo, exec_lo, s4
	s_delay_alu instid0(SALU_CYCLE_1)
	s_mov_b32 s4, exec_lo
	v_cmpx_gt_i32_e64 s33, v3
	s_cbranch_execz .LBB210_11
; %bb.10:
	v_add_nc_u32_e32 v4, s34, v3
	v_add_nc_u32_e32 v3, 0x100, v3
	s_clause 0x1
	global_load_u8 v5, v4, s[38:39]
	global_load_u8 v6, v4, s[40:41]
	s_wait_loadcnt 0x1
	v_cmp_ne_u16_e64 s0, 0, v5
	s_wait_loadcnt 0x0
	v_cmp_ne_u16_e64 s1, 0, v6
	s_xor_b32 s0, s0, s1
	s_delay_alu instid0(SALU_CYCLE_1)
	s_and_b32 s2, s0, exec_lo
.LBB210_11:
	s_wait_xcnt 0x0
	s_or_b32 exec_lo, exec_lo, s4
	s_mov_b32 s7, 0
	s_mov_b32 s10, 0
	s_mov_b32 s4, exec_lo
	v_cmpx_gt_i32_e64 s33, v3
	s_cbranch_execz .LBB210_13
; %bb.12:
	v_add_nc_u32_e32 v4, s34, v3
	v_add_nc_u32_e32 v3, 0x100, v3
	s_clause 0x1
	global_load_u8 v5, v4, s[38:39]
	global_load_u8 v6, v4, s[40:41]
	s_wait_loadcnt 0x1
	v_cmp_ne_u16_e64 s0, 0, v5
	s_wait_loadcnt 0x0
	v_cmp_ne_u16_e64 s1, 0, v6
	s_xor_b32 s0, s0, s1
	s_delay_alu instid0(SALU_CYCLE_1)
	s_and_b32 s10, s0, exec_lo
.LBB210_13:
	;; [unrolled: 41-line block ×7, first 2 shown]
	s_wait_xcnt 0x0
	s_or_b32 exec_lo, exec_lo, s18
	s_delay_alu instid0(SALU_CYCLE_1)
	s_mov_b32 s18, exec_lo
	v_cmpx_gt_i32_e64 s33, v3
	s_cbranch_execz .LBB210_35
; %bb.34:
	v_add_nc_u32_e32 v3, s34, v3
	s_clause 0x1
	global_load_u8 v4, v3, s[38:39]
	global_load_u8 v5, v3, s[40:41]
	s_wait_loadcnt 0x1
	v_cmp_ne_u16_e64 s0, 0, v4
	s_wait_loadcnt 0x0
	v_cmp_ne_u16_e64 s1, 0, v5
	s_xor_b32 s0, s0, s1
	s_delay_alu instid0(SALU_CYCLE_1)
	s_and_b32 s14, s0, exec_lo
.LBB210_35:
	s_wait_xcnt 0x0
	s_or_b32 exec_lo, exec_lo, s18
	s_cmp_eq_u32 s31, 0
	v_or_b32_e32 v7, 0x400, v0
	s_cselect_b32 s1, -1, 0
	v_or_b32_e32 v5, 0x200, v0
	s_xor_b32 s0, s1, s6
	v_or_b32_e32 v8, 0x500, v0
	v_cndmask_b32_e64 v3, 0, 1, s0
	s_xor_b32 s0, s1, s5
	v_or_b32_e32 v9, 0x800, v0
	v_cndmask_b32_e64 v4, 0, 1, s0
	s_xor_b32 s0, s1, s10
	s_delay_alu instid0(SALU_CYCLE_1) | instskip(SKIP_1) | instid1(VALU_DEP_2)
	v_cndmask_b32_e64 v6, 0, 1, s0
	s_xor_b32 s0, s1, s7
	v_lshlrev_b16 v4, 8, v4
	v_cndmask_b32_e64 v10, 0, 1, s0
	s_xor_b32 s0, s1, s3
	v_bitop3_b16 v6, v6, 0, 0xff00 bitop3:0xf8
	v_cndmask_b32_e64 v11, 0, 1, s0
	v_cmp_gt_i32_e64 s0, s33, v2
	s_delay_alu instid0(VALU_DEP_3) | instskip(SKIP_1) | instid1(VALU_DEP_1)
	v_and_b32_e32 v6, 0xffff, v6
	v_cndmask_b32_e32 v3, 0, v3, vcc_lo
	v_or_b32_e32 v4, v3, v4
	s_delay_alu instid0(VALU_DEP_1) | instskip(NEXT) | instid1(VALU_DEP_1)
	v_and_b32_e32 v4, 0xffff, v4
	v_cndmask_b32_e64 v3, v3, v4, s0
	v_cmp_gt_i32_e64 s0, s33, v7
	v_lshlrev_b16 v4, 8, v10
	v_or_b32_e32 v7, 0xc00, v0
	s_delay_alu instid0(VALU_DEP_4) | instskip(NEXT) | instid1(VALU_DEP_4)
	v_lshl_or_b32 v10, v11, 16, v3
	v_cndmask_b32_e64 v6, 0, v6, s0
	s_xor_b32 s0, s1, s2
	s_delay_alu instid0(SALU_CYCLE_1) | instskip(SKIP_1) | instid1(VALU_DEP_3)
	v_cndmask_b32_e64 v11, 0, 1, s0
	v_cmp_gt_i32_e64 s0, s33, v5
	v_bitop3_b16 v4, v6, v4, 0xff bitop3:0xec
	s_delay_alu instid0(VALU_DEP_2) | instskip(SKIP_1) | instid1(VALU_DEP_2)
	v_cndmask_b32_e64 v3, v3, v10, s0
	s_xor_b32 s0, s1, s8
	v_and_b32_e32 v4, 0xffff, v4
	v_cndmask_b32_e64 v5, 0, 1, s0
	s_xor_b32 s0, s1, s16
	v_lshlrev_b16 v10, 8, v11
	v_cndmask_b32_e64 v12, 0, 1, s0
	v_cmp_gt_i32_e64 s0, s33, v8
	s_delay_alu instid0(VALU_DEP_1) | instskip(SKIP_1) | instid1(SALU_CYCLE_1)
	v_cndmask_b32_e64 v4, v6, v4, s0
	s_xor_b32 s0, s1, s15
	v_cndmask_b32_e64 v8, 0, 1, s0
	v_cmp_gt_i32_e64 s0, s33, v7
	v_lshrrev_b32_e32 v11, 16, v3
	s_delay_alu instid0(VALU_DEP_3) | instskip(NEXT) | instid1(VALU_DEP_3)
	v_lshlrev_b16 v8, 8, v8
	v_cndmask_b32_e64 v7, 0, v12, s0
	s_xor_b32 s0, s1, s11
	s_delay_alu instid0(VALU_DEP_3)
	v_bitop3_b16 v6, v11, v10, 0xff bitop3:0xec
	v_cndmask_b32_e64 v11, 0, 1, s0
	s_xor_b32 s0, s1, s9
	v_lshrrev_b32_e32 v10, 16, v4
	v_cndmask_b32_e64 v12, 0, 1, s0
	v_cmp_gt_i32_e64 s0, s33, v9
	v_lshlrev_b32_e32 v6, 16, v6
	v_bitop3_b16 v8, v7, v8, 0xff bitop3:0xec
	v_bitop3_b16 v5, v5, v10, 0xff00 bitop3:0xf8
	v_lshlrev_b16 v10, 8, v12
	v_cndmask_b32_e64 v9, 0, v11, s0
	v_or_b32_e32 v11, 0xd00, v0
	v_and_b32_e32 v8, 0xffff, v8
	v_lshlrev_b32_e32 v5, 16, v5
	v_or_b32_e32 v12, 0x600, v0
	v_and_or_b32 v6, 0xffff, v3, v6
	v_cmp_gt_i32_e64 s0, s33, v11
	v_or_b32_e32 v10, v9, v10
	v_and_or_b32 v5, 0xffff, v4, v5
	s_delay_alu instid0(VALU_DEP_3)
	v_cndmask_b32_e64 v7, v7, v8, s0
	s_xor_b32 s0, s1, s13
	v_or_b32_e32 v8, 0x900, v0
	v_cndmask_b32_e64 v11, 0, 1, s0
	s_xor_b32 s0, s1, s17
	v_and_b32_e32 v10, 0xffff, v10
	v_cndmask_b32_e64 v14, 0, 1, s0
	v_cmp_gt_i32_e64 s0, s33, v12
	v_lshrrev_b32_e32 v13, 16, v7
	v_or_b32_e32 v12, 0xa00, v0
	s_delay_alu instid0(VALU_DEP_3) | instskip(SKIP_1) | instid1(VALU_DEP_4)
	v_cndmask_b32_e64 v4, v4, v5, s0
	v_cmp_gt_i32_e64 s0, s33, v8
	v_bitop3_b16 v8, v14, v13, 0xff00 bitop3:0xf8
	v_or_b32_e32 v13, 0xe00, v0
	s_delay_alu instid0(VALU_DEP_3) | instskip(SKIP_1) | instid1(SALU_CYCLE_1)
	v_dual_cndmask_b32 v5, v9, v10, s0 :: v_dual_lshlrev_b32 v9, 16, v11
	s_xor_b32 s0, s1, s4
	v_cndmask_b32_e64 v10, 0, 1, s0
	v_cmp_gt_i32_e64 s0, s33, v12
	s_delay_alu instid0(VALU_DEP_3) | instskip(SKIP_1) | instid1(VALU_DEP_4)
	v_and_or_b32 v9, 0x1ff, v5, v9
	v_lshrrev_b32_e32 v11, 16, v4
	v_lshlrev_b16 v10, 8, v10
	s_delay_alu instid0(VALU_DEP_3) | instskip(SKIP_1) | instid1(VALU_DEP_2)
	v_dual_cndmask_b32 v9, v5, v9, s0 :: v_dual_lshlrev_b32 v8, 16, v8
	s_xor_b32 s0, s1, s12
	v_bitop3_b16 v10, v11, v10, 0xff bitop3:0xec
	v_cndmask_b32_e64 v5, 0, 1, s0
	v_cmp_gt_i32_e64 s0, s33, v13
	v_lshrrev_b32_e32 v11, 16, v9
	v_and_or_b32 v8, 0xffff, v7, v8
	v_or_b32_e32 v13, 0x300, v0
	v_lshlrev_b16 v5, 8, v5
	s_delay_alu instid0(VALU_DEP_3) | instskip(SKIP_1) | instid1(VALU_DEP_2)
	v_dual_lshlrev_b32 v10, 16, v10 :: v_dual_cndmask_b32 v7, v7, v8, s0
	s_xor_b32 s0, s1, s14
	v_bitop3_b16 v5, v11, v5, 0xff bitop3:0xec
	v_cndmask_b32_e64 v8, 0, 1, s0
	v_cmp_gt_i32_e64 s0, s33, v13
	v_lshrrev_b32_e32 v12, 16, v7
	v_and_or_b32 v10, 0xffff, v4, v10
	v_or_b32_e32 v11, 0xb00, v0
	v_lshlrev_b16 v8, 8, v8
	v_cndmask_b32_e64 v6, v3, v6, s0
	s_delay_alu instid0(VALU_DEP_2) | instskip(SKIP_3) | instid1(VALU_DEP_4)
	v_bitop3_b16 v8, v12, v8, 0xff bitop3:0xec
	v_lshlrev_b32_e32 v3, 16, v5
	v_or_b32_e32 v5, 0x700, v0
	v_or_b32_e32 v12, 0xf00, v0
	v_lshlrev_b32_e32 v8, 16, v8
	s_delay_alu instid0(VALU_DEP_4) | instskip(NEXT) | instid1(VALU_DEP_4)
	v_and_or_b32 v3, 0xffff, v9, v3
	v_cmp_gt_i32_e64 s0, s33, v5
	s_delay_alu instid0(VALU_DEP_3) | instskip(NEXT) | instid1(VALU_DEP_2)
	v_and_or_b32 v8, 0xffff, v7, v8
	v_cndmask_b32_e64 v5, v4, v10, s0
	v_cmp_gt_i32_e64 s0, s33, v11
	s_delay_alu instid0(VALU_DEP_1) | instskip(SKIP_1) | instid1(VALU_DEP_1)
	v_cndmask_b32_e64 v4, v9, v3, s0
	v_cmp_gt_i32_e64 s0, s33, v12
	v_cndmask_b32_e64 v3, v7, v8, s0
	s_and_saveexec_b32 s0, vcc_lo
	s_cbranch_execnz .LBB210_53
; %bb.36:
	s_or_b32 exec_lo, exec_lo, s0
	s_delay_alu instid0(SALU_CYCLE_1)
	s_mov_b32 s0, exec_lo
	v_cmpx_gt_i32_e64 s33, v0
	s_cbranch_execnz .LBB210_54
.LBB210_37:
	s_or_b32 exec_lo, exec_lo, s0
	s_delay_alu instid0(SALU_CYCLE_1)
	s_mov_b32 s0, exec_lo
	v_cmpx_gt_i32_e64 s33, v0
	s_cbranch_execnz .LBB210_55
.LBB210_38:
	s_or_b32 exec_lo, exec_lo, s0
	s_delay_alu instid0(SALU_CYCLE_1)
	s_mov_b32 s0, exec_lo
	v_cmpx_gt_i32_e64 s33, v0
	s_cbranch_execnz .LBB210_56
.LBB210_39:
	s_or_b32 exec_lo, exec_lo, s0
	s_delay_alu instid0(SALU_CYCLE_1)
	s_mov_b32 s0, exec_lo
	v_cmpx_gt_i32_e64 s33, v0
	s_cbranch_execnz .LBB210_57
.LBB210_40:
	s_or_b32 exec_lo, exec_lo, s0
	s_delay_alu instid0(SALU_CYCLE_1)
	s_mov_b32 s0, exec_lo
	v_cmpx_gt_i32_e64 s33, v0
	s_cbranch_execnz .LBB210_58
.LBB210_41:
	s_or_b32 exec_lo, exec_lo, s0
	s_delay_alu instid0(SALU_CYCLE_1)
	s_mov_b32 s0, exec_lo
	v_cmpx_gt_i32_e64 s33, v0
	s_cbranch_execnz .LBB210_59
.LBB210_42:
	s_or_b32 exec_lo, exec_lo, s0
	s_delay_alu instid0(SALU_CYCLE_1)
	s_mov_b32 s0, exec_lo
	v_cmpx_gt_i32_e64 s33, v0
	s_cbranch_execnz .LBB210_60
.LBB210_43:
	s_or_b32 exec_lo, exec_lo, s0
	s_delay_alu instid0(SALU_CYCLE_1)
	s_mov_b32 s0, exec_lo
	v_cmpx_gt_i32_e64 s33, v0
	s_cbranch_execnz .LBB210_61
.LBB210_44:
	s_or_b32 exec_lo, exec_lo, s0
	s_delay_alu instid0(SALU_CYCLE_1)
	s_mov_b32 s0, exec_lo
	v_cmpx_gt_i32_e64 s33, v0
	s_cbranch_execnz .LBB210_62
.LBB210_45:
	s_or_b32 exec_lo, exec_lo, s0
	s_delay_alu instid0(SALU_CYCLE_1)
	s_mov_b32 s0, exec_lo
	v_cmpx_gt_i32_e64 s33, v0
	s_cbranch_execnz .LBB210_63
.LBB210_46:
	s_or_b32 exec_lo, exec_lo, s0
	s_delay_alu instid0(SALU_CYCLE_1)
	s_mov_b32 s0, exec_lo
	v_cmpx_gt_i32_e64 s33, v0
	s_cbranch_execnz .LBB210_64
.LBB210_47:
	s_or_b32 exec_lo, exec_lo, s0
	s_delay_alu instid0(SALU_CYCLE_1)
	s_mov_b32 s0, exec_lo
	v_cmpx_gt_i32_e64 s33, v0
	s_cbranch_execnz .LBB210_65
.LBB210_48:
	s_or_b32 exec_lo, exec_lo, s0
	s_delay_alu instid0(SALU_CYCLE_1)
	s_mov_b32 s0, exec_lo
	v_cmpx_gt_i32_e64 s33, v0
	s_cbranch_execnz .LBB210_66
.LBB210_49:
	s_or_b32 exec_lo, exec_lo, s0
	s_delay_alu instid0(SALU_CYCLE_1)
	s_mov_b32 s0, exec_lo
	v_cmpx_gt_i32_e64 s33, v0
	s_cbranch_execnz .LBB210_67
.LBB210_50:
	s_or_b32 exec_lo, exec_lo, s0
	s_delay_alu instid0(SALU_CYCLE_1)
	s_mov_b32 s0, exec_lo
	v_cmpx_gt_i32_e64 s33, v0
	s_cbranch_execz .LBB210_52
.LBB210_51:
	v_dual_lshrrev_b32 v1, 24, v3 :: v_dual_add_nc_u32 v0, s34, v0
	global_store_b8 v0, v1, s[36:37]
.LBB210_52:
	s_endpgm
.LBB210_53:
	v_mov_b32_e32 v0, v2
	global_store_b8 v1, v6, s[36:37]
	s_wait_xcnt 0x0
	s_or_b32 exec_lo, exec_lo, s0
	s_delay_alu instid0(SALU_CYCLE_1)
	s_mov_b32 s0, exec_lo
	v_cmpx_gt_i32_e64 s33, v0
	s_cbranch_execz .LBB210_37
.LBB210_54:
	v_dual_lshrrev_b32 v1, 8, v6 :: v_dual_add_nc_u32 v2, s34, v0
	v_add_nc_u32_e32 v0, 0x100, v0
	global_store_b8 v2, v1, s[36:37]
	s_wait_xcnt 0x0
	s_or_b32 exec_lo, exec_lo, s0
	s_delay_alu instid0(SALU_CYCLE_1)
	s_mov_b32 s0, exec_lo
	v_cmpx_gt_i32_e64 s33, v0
	s_cbranch_execz .LBB210_38
.LBB210_55:
	v_add_nc_u32_e32 v1, s34, v0
	v_add_nc_u32_e32 v0, 0x100, v0
	global_store_d16_hi_b8 v1, v6, s[36:37]
	s_wait_xcnt 0x0
	s_or_b32 exec_lo, exec_lo, s0
	s_delay_alu instid0(SALU_CYCLE_1)
	s_mov_b32 s0, exec_lo
	v_cmpx_gt_i32_e64 s33, v0
	s_cbranch_execz .LBB210_39
.LBB210_56:
	v_dual_lshrrev_b32 v1, 24, v6 :: v_dual_add_nc_u32 v2, s34, v0
	v_add_nc_u32_e32 v0, 0x100, v0
	global_store_b8 v2, v1, s[36:37]
	s_wait_xcnt 0x0
	s_or_b32 exec_lo, exec_lo, s0
	s_delay_alu instid0(SALU_CYCLE_1)
	s_mov_b32 s0, exec_lo
	v_cmpx_gt_i32_e64 s33, v0
	s_cbranch_execz .LBB210_40
.LBB210_57:
	v_add_nc_u32_e32 v1, s34, v0
	v_add_nc_u32_e32 v0, 0x100, v0
	global_store_b8 v1, v5, s[36:37]
	s_wait_xcnt 0x0
	s_or_b32 exec_lo, exec_lo, s0
	s_delay_alu instid0(SALU_CYCLE_1)
	s_mov_b32 s0, exec_lo
	v_cmpx_gt_i32_e64 s33, v0
	s_cbranch_execz .LBB210_41
.LBB210_58:
	v_dual_lshrrev_b32 v1, 8, v5 :: v_dual_add_nc_u32 v2, s34, v0
	v_add_nc_u32_e32 v0, 0x100, v0
	global_store_b8 v2, v1, s[36:37]
	s_wait_xcnt 0x0
	s_or_b32 exec_lo, exec_lo, s0
	s_delay_alu instid0(SALU_CYCLE_1)
	s_mov_b32 s0, exec_lo
	v_cmpx_gt_i32_e64 s33, v0
	s_cbranch_execz .LBB210_42
.LBB210_59:
	v_add_nc_u32_e32 v1, s34, v0
	v_add_nc_u32_e32 v0, 0x100, v0
	global_store_d16_hi_b8 v1, v5, s[36:37]
	s_wait_xcnt 0x0
	s_or_b32 exec_lo, exec_lo, s0
	s_delay_alu instid0(SALU_CYCLE_1)
	s_mov_b32 s0, exec_lo
	v_cmpx_gt_i32_e64 s33, v0
	s_cbranch_execz .LBB210_43
.LBB210_60:
	v_dual_lshrrev_b32 v1, 24, v5 :: v_dual_add_nc_u32 v2, s34, v0
	v_add_nc_u32_e32 v0, 0x100, v0
	global_store_b8 v2, v1, s[36:37]
	s_wait_xcnt 0x0
	s_or_b32 exec_lo, exec_lo, s0
	s_delay_alu instid0(SALU_CYCLE_1)
	s_mov_b32 s0, exec_lo
	v_cmpx_gt_i32_e64 s33, v0
	s_cbranch_execz .LBB210_44
.LBB210_61:
	v_add_nc_u32_e32 v1, s34, v0
	v_add_nc_u32_e32 v0, 0x100, v0
	global_store_b8 v1, v4, s[36:37]
	s_wait_xcnt 0x0
	s_or_b32 exec_lo, exec_lo, s0
	s_delay_alu instid0(SALU_CYCLE_1)
	s_mov_b32 s0, exec_lo
	v_cmpx_gt_i32_e64 s33, v0
	s_cbranch_execz .LBB210_45
.LBB210_62:
	v_lshrrev_b32_e32 v1, 8, v4
	v_add_nc_u32_e32 v2, s34, v0
	v_add_nc_u32_e32 v0, 0x100, v0
	global_store_b8 v2, v1, s[36:37]
	s_wait_xcnt 0x0
	s_or_b32 exec_lo, exec_lo, s0
	s_delay_alu instid0(SALU_CYCLE_1)
	s_mov_b32 s0, exec_lo
	v_cmpx_gt_i32_e64 s33, v0
	s_cbranch_execz .LBB210_46
.LBB210_63:
	v_add_nc_u32_e32 v1, s34, v0
	v_add_nc_u32_e32 v0, 0x100, v0
	global_store_d16_hi_b8 v1, v4, s[36:37]
	s_wait_xcnt 0x0
	s_or_b32 exec_lo, exec_lo, s0
	s_delay_alu instid0(SALU_CYCLE_1)
	s_mov_b32 s0, exec_lo
	v_cmpx_gt_i32_e64 s33, v0
	s_cbranch_execz .LBB210_47
.LBB210_64:
	v_lshrrev_b32_e32 v1, 24, v4
	v_add_nc_u32_e32 v2, s34, v0
	v_add_nc_u32_e32 v0, 0x100, v0
	global_store_b8 v2, v1, s[36:37]
	s_wait_xcnt 0x0
	s_or_b32 exec_lo, exec_lo, s0
	s_delay_alu instid0(SALU_CYCLE_1)
	s_mov_b32 s0, exec_lo
	v_cmpx_gt_i32_e64 s33, v0
	s_cbranch_execz .LBB210_48
.LBB210_65:
	v_add_nc_u32_e32 v1, s34, v0
	v_add_nc_u32_e32 v0, 0x100, v0
	global_store_b8 v1, v3, s[36:37]
	s_wait_xcnt 0x0
	s_or_b32 exec_lo, exec_lo, s0
	s_delay_alu instid0(SALU_CYCLE_1)
	s_mov_b32 s0, exec_lo
	v_cmpx_gt_i32_e64 s33, v0
	s_cbranch_execz .LBB210_49
.LBB210_66:
	v_dual_lshrrev_b32 v1, 8, v3 :: v_dual_add_nc_u32 v2, s34, v0
	v_add_nc_u32_e32 v0, 0x100, v0
	global_store_b8 v2, v1, s[36:37]
	s_wait_xcnt 0x0
	s_or_b32 exec_lo, exec_lo, s0
	s_delay_alu instid0(SALU_CYCLE_1)
	s_mov_b32 s0, exec_lo
	v_cmpx_gt_i32_e64 s33, v0
	s_cbranch_execz .LBB210_50
.LBB210_67:
	v_add_nc_u32_e32 v1, s34, v0
	v_add_nc_u32_e32 v0, 0x100, v0
	global_store_d16_hi_b8 v1, v3, s[36:37]
	s_wait_xcnt 0x0
	s_or_b32 exec_lo, exec_lo, s0
	s_delay_alu instid0(SALU_CYCLE_1)
	s_mov_b32 s0, exec_lo
	v_cmpx_gt_i32_e64 s33, v0
	s_cbranch_execnz .LBB210_51
	s_branch .LBB210_52
	.section	.rodata,"a",@progbits
	.p2align	6, 0x0
	.amdhsa_kernel _ZN2at6native29vectorized_elementwise_kernelILi4ENS0_13BinaryFunctorIbbbNS0_12_GLOBAL__N_116CompareEqFunctorIbEEEESt5arrayIPcLm3EEEEviT0_T1_
		.amdhsa_group_segment_fixed_size 0
		.amdhsa_private_segment_fixed_size 0
		.amdhsa_kernarg_size 32
		.amdhsa_user_sgpr_count 2
		.amdhsa_user_sgpr_dispatch_ptr 0
		.amdhsa_user_sgpr_queue_ptr 0
		.amdhsa_user_sgpr_kernarg_segment_ptr 1
		.amdhsa_user_sgpr_dispatch_id 0
		.amdhsa_user_sgpr_kernarg_preload_length 0
		.amdhsa_user_sgpr_kernarg_preload_offset 0
		.amdhsa_user_sgpr_private_segment_size 0
		.amdhsa_wavefront_size32 1
		.amdhsa_uses_dynamic_stack 0
		.amdhsa_enable_private_segment 0
		.amdhsa_system_sgpr_workgroup_id_x 1
		.amdhsa_system_sgpr_workgroup_id_y 0
		.amdhsa_system_sgpr_workgroup_id_z 0
		.amdhsa_system_sgpr_workgroup_info 0
		.amdhsa_system_vgpr_workitem_id 0
		.amdhsa_next_free_vgpr 26
		.amdhsa_next_free_sgpr 43
		.amdhsa_named_barrier_count 0
		.amdhsa_reserve_vcc 1
		.amdhsa_float_round_mode_32 0
		.amdhsa_float_round_mode_16_64 0
		.amdhsa_float_denorm_mode_32 3
		.amdhsa_float_denorm_mode_16_64 3
		.amdhsa_fp16_overflow 0
		.amdhsa_memory_ordered 1
		.amdhsa_forward_progress 1
		.amdhsa_inst_pref_size 41
		.amdhsa_round_robin_scheduling 0
		.amdhsa_exception_fp_ieee_invalid_op 0
		.amdhsa_exception_fp_denorm_src 0
		.amdhsa_exception_fp_ieee_div_zero 0
		.amdhsa_exception_fp_ieee_overflow 0
		.amdhsa_exception_fp_ieee_underflow 0
		.amdhsa_exception_fp_ieee_inexact 0
		.amdhsa_exception_int_div_zero 0
	.end_amdhsa_kernel
	.section	.text._ZN2at6native29vectorized_elementwise_kernelILi4ENS0_13BinaryFunctorIbbbNS0_12_GLOBAL__N_116CompareEqFunctorIbEEEESt5arrayIPcLm3EEEEviT0_T1_,"axG",@progbits,_ZN2at6native29vectorized_elementwise_kernelILi4ENS0_13BinaryFunctorIbbbNS0_12_GLOBAL__N_116CompareEqFunctorIbEEEESt5arrayIPcLm3EEEEviT0_T1_,comdat
.Lfunc_end210:
	.size	_ZN2at6native29vectorized_elementwise_kernelILi4ENS0_13BinaryFunctorIbbbNS0_12_GLOBAL__N_116CompareEqFunctorIbEEEESt5arrayIPcLm3EEEEviT0_T1_, .Lfunc_end210-_ZN2at6native29vectorized_elementwise_kernelILi4ENS0_13BinaryFunctorIbbbNS0_12_GLOBAL__N_116CompareEqFunctorIbEEEESt5arrayIPcLm3EEEEviT0_T1_
                                        ; -- End function
	.set _ZN2at6native29vectorized_elementwise_kernelILi4ENS0_13BinaryFunctorIbbbNS0_12_GLOBAL__N_116CompareEqFunctorIbEEEESt5arrayIPcLm3EEEEviT0_T1_.num_vgpr, 26
	.set _ZN2at6native29vectorized_elementwise_kernelILi4ENS0_13BinaryFunctorIbbbNS0_12_GLOBAL__N_116CompareEqFunctorIbEEEESt5arrayIPcLm3EEEEviT0_T1_.num_agpr, 0
	.set _ZN2at6native29vectorized_elementwise_kernelILi4ENS0_13BinaryFunctorIbbbNS0_12_GLOBAL__N_116CompareEqFunctorIbEEEESt5arrayIPcLm3EEEEviT0_T1_.numbered_sgpr, 43
	.set _ZN2at6native29vectorized_elementwise_kernelILi4ENS0_13BinaryFunctorIbbbNS0_12_GLOBAL__N_116CompareEqFunctorIbEEEESt5arrayIPcLm3EEEEviT0_T1_.num_named_barrier, 0
	.set _ZN2at6native29vectorized_elementwise_kernelILi4ENS0_13BinaryFunctorIbbbNS0_12_GLOBAL__N_116CompareEqFunctorIbEEEESt5arrayIPcLm3EEEEviT0_T1_.private_seg_size, 0
	.set _ZN2at6native29vectorized_elementwise_kernelILi4ENS0_13BinaryFunctorIbbbNS0_12_GLOBAL__N_116CompareEqFunctorIbEEEESt5arrayIPcLm3EEEEviT0_T1_.uses_vcc, 1
	.set _ZN2at6native29vectorized_elementwise_kernelILi4ENS0_13BinaryFunctorIbbbNS0_12_GLOBAL__N_116CompareEqFunctorIbEEEESt5arrayIPcLm3EEEEviT0_T1_.uses_flat_scratch, 0
	.set _ZN2at6native29vectorized_elementwise_kernelILi4ENS0_13BinaryFunctorIbbbNS0_12_GLOBAL__N_116CompareEqFunctorIbEEEESt5arrayIPcLm3EEEEviT0_T1_.has_dyn_sized_stack, 0
	.set _ZN2at6native29vectorized_elementwise_kernelILi4ENS0_13BinaryFunctorIbbbNS0_12_GLOBAL__N_116CompareEqFunctorIbEEEESt5arrayIPcLm3EEEEviT0_T1_.has_recursion, 0
	.set _ZN2at6native29vectorized_elementwise_kernelILi4ENS0_13BinaryFunctorIbbbNS0_12_GLOBAL__N_116CompareEqFunctorIbEEEESt5arrayIPcLm3EEEEviT0_T1_.has_indirect_call, 0
	.section	.AMDGPU.csdata,"",@progbits
; Kernel info:
; codeLenInByte = 5148
; TotalNumSgprs: 45
; NumVgprs: 26
; ScratchSize: 0
; MemoryBound: 0
; FloatMode: 240
; IeeeMode: 1
; LDSByteSize: 0 bytes/workgroup (compile time only)
; SGPRBlocks: 0
; VGPRBlocks: 1
; NumSGPRsForWavesPerEU: 45
; NumVGPRsForWavesPerEU: 26
; NamedBarCnt: 0
; Occupancy: 16
; WaveLimiterHint : 1
; COMPUTE_PGM_RSRC2:SCRATCH_EN: 0
; COMPUTE_PGM_RSRC2:USER_SGPR: 2
; COMPUTE_PGM_RSRC2:TRAP_HANDLER: 0
; COMPUTE_PGM_RSRC2:TGID_X_EN: 1
; COMPUTE_PGM_RSRC2:TGID_Y_EN: 0
; COMPUTE_PGM_RSRC2:TGID_Z_EN: 0
; COMPUTE_PGM_RSRC2:TIDIG_COMP_CNT: 0
	.section	.text._ZN2at6native29vectorized_elementwise_kernelILi2ENS0_13BinaryFunctorIbbbNS0_12_GLOBAL__N_116CompareEqFunctorIbEEEESt5arrayIPcLm3EEEEviT0_T1_,"axG",@progbits,_ZN2at6native29vectorized_elementwise_kernelILi2ENS0_13BinaryFunctorIbbbNS0_12_GLOBAL__N_116CompareEqFunctorIbEEEESt5arrayIPcLm3EEEEviT0_T1_,comdat
	.globl	_ZN2at6native29vectorized_elementwise_kernelILi2ENS0_13BinaryFunctorIbbbNS0_12_GLOBAL__N_116CompareEqFunctorIbEEEESt5arrayIPcLm3EEEEviT0_T1_ ; -- Begin function _ZN2at6native29vectorized_elementwise_kernelILi2ENS0_13BinaryFunctorIbbbNS0_12_GLOBAL__N_116CompareEqFunctorIbEEEESt5arrayIPcLm3EEEEviT0_T1_
	.p2align	8
	.type	_ZN2at6native29vectorized_elementwise_kernelILi2ENS0_13BinaryFunctorIbbbNS0_12_GLOBAL__N_116CompareEqFunctorIbEEEESt5arrayIPcLm3EEEEviT0_T1_,@function
_ZN2at6native29vectorized_elementwise_kernelILi2ENS0_13BinaryFunctorIbbbNS0_12_GLOBAL__N_116CompareEqFunctorIbEEEESt5arrayIPcLm3EEEEviT0_T1_: ; @_ZN2at6native29vectorized_elementwise_kernelILi2ENS0_13BinaryFunctorIbbbNS0_12_GLOBAL__N_116CompareEqFunctorIbEEEESt5arrayIPcLm3EEEEviT0_T1_
; %bb.0:
	s_clause 0x2
	s_load_b64 s[30:31], s[0:1], 0x0
	s_load_b128 s[36:39], s[0:1], 0x8
	s_load_b64 s[40:41], s[0:1], 0x18
	s_wait_xcnt 0x0
	s_bfe_u32 s0, ttmp6, 0x4000c
	s_and_b32 s1, ttmp6, 15
	s_add_co_i32 s0, s0, 1
	s_getreg_b32 s2, hwreg(HW_REG_IB_STS2, 6, 4)
	s_mul_i32 s0, ttmp9, s0
	s_mov_b32 s44, -1
	s_add_co_i32 s1, s1, s0
	s_cmp_eq_u32 s2, 0
	s_cselect_b32 s0, ttmp9, s1
	s_delay_alu instid0(SALU_CYCLE_1) | instskip(SKIP_2) | instid1(SALU_CYCLE_1)
	s_lshl_b32 s34, s0, 12
	s_wait_kmcnt 0x0
	s_sub_co_i32 s33, s30, s34
	s_cmp_gt_i32 s33, 0xfff
	s_cbranch_scc0 .LBB211_2
; %bb.1:
	s_ashr_i32 s35, s34, 31
	s_cmp_eq_u32 s31, 0
	s_add_nc_u64 s[0:1], s[38:39], s[34:35]
	s_add_nc_u64 s[2:3], s[40:41], s[34:35]
	s_clause 0xf
	global_load_u16 v1, v0, s[0:1] scale_offset
	global_load_u16 v2, v0, s[0:1] offset:512 scale_offset
	global_load_u16 v3, v0, s[0:1] offset:1024 scale_offset
	;; [unrolled: 1-line block ×7, first 2 shown]
	global_load_u16 v9, v0, s[2:3] scale_offset
	global_load_u16 v10, v0, s[2:3] offset:512 scale_offset
	global_load_u16 v11, v0, s[2:3] offset:1024 scale_offset
	;; [unrolled: 1-line block ×7, first 2 shown]
	s_add_nc_u64 s[42:43], s[36:37], s[34:35]
	s_cselect_b32 s35, -1, 0
	s_mov_b32 s44, 0
	s_wait_loadcnt 0x8
	v_cmp_lt_u16_e64 s6, 0xff, v8
	v_and_b32_e32 v17, 0xff, v1
	v_cmp_lt_u16_e64 s0, 0xff, v2
	s_wait_loadcnt 0x6
	v_cmp_lt_u16_e64 s8, 0xff, v10
	v_cmp_lt_u16_e64 s1, 0xff, v3
	s_wait_loadcnt 0x5
	v_cmp_lt_u16_e64 s9, 0xff, v11
	v_cmp_lt_u16_e32 vcc_lo, 0xff, v1
	v_and_b32_e32 v1, 0xff, v2
	v_and_b32_e32 v2, 0xff, v3
	s_wait_xcnt 0x0
	v_cmp_lt_u16_e64 s2, 0xff, v4
	s_wait_loadcnt 0x4
	v_cmp_lt_u16_e64 s10, 0xff, v12
	s_xor_b32 s0, s0, s8
	v_and_b32_e32 v3, 0xff, v4
	v_cmp_lt_u16_e64 s3, 0xff, v5
	s_wait_loadcnt 0x3
	v_cmp_lt_u16_e64 s11, 0xff, v13
	s_xor_b32 s1, s1, s9
	s_xor_b32 s0, s35, s0
	v_and_b32_e32 v4, 0xff, v5
	v_cmp_lt_u16_e64 s4, 0xff, v6
	s_wait_loadcnt 0x2
	v_cmp_lt_u16_e64 s12, 0xff, v14
	v_cmp_ne_u16_e64 s17, 0, v2
	s_xor_b32 s2, s2, s10
	v_cndmask_b32_e64 v2, 0, 1, s0
	s_xor_b32 s0, s35, s1
	v_and_b32_e32 v5, 0xff, v6
	v_cmp_lt_u16_e64 s5, 0xff, v7
	s_wait_loadcnt 0x1
	v_cmp_lt_u16_e64 s13, 0xff, v15
	v_and_b32_e32 v6, 0xff, v7
	v_and_b32_e32 v7, 0xff, v8
	;; [unrolled: 1-line block ×3, first 2 shown]
	v_cmp_ne_u16_e64 s18, 0, v3
	s_xor_b32 s3, s3, s11
	v_cndmask_b32_e64 v3, 0, 1, s0
	s_xor_b32 s0, s35, s2
	s_wait_loadcnt 0x0
	v_cmp_lt_u16_e64 s14, 0xff, v16
	v_cmp_lt_u16_e64 s7, 0xff, v9
	v_and_b32_e32 v9, 0xff, v10
	v_cmp_ne_u16_e64 s19, 0, v4
	s_xor_b32 s4, s4, s12
	v_cndmask_b32_e64 v4, 0, 1, s0
	s_xor_b32 s0, s35, s3
	v_and_b32_e32 v10, 0xff, v11
	v_cmp_ne_u16_e64 s20, 0, v5
	s_xor_b32 s5, s5, s13
	v_cndmask_b32_e64 v5, 0, 1, s0
	s_xor_b32 s0, s35, s4
	v_cmp_ne_u16_e64 s15, 0, v17
	v_cmp_ne_u16_e64 s23, 0, v8
	v_and_b32_e32 v11, 0xff, v12
	v_cmp_ne_u16_e64 s21, 0, v6
	s_xor_b32 s6, s6, s14
	v_cndmask_b32_e64 v6, 0, 1, s0
	s_xor_b32 s0, s35, s5
	v_cmp_ne_u16_e64 s16, 0, v1
	v_cmp_ne_u16_e64 s24, 0, v9
	v_and_b32_e32 v12, 0xff, v13
	v_cmp_ne_u16_e64 s22, 0, v7
	v_cndmask_b32_e64 v7, 0, 1, s0
	s_xor_b32 s0, s35, s6
	v_cmp_ne_u16_e64 s25, 0, v10
	v_and_b32_e32 v13, 0xff, v14
	v_cndmask_b32_e64 v8, 0, 1, s0
	s_xor_b32 s0, s15, s23
	v_cmp_ne_u16_e64 s26, 0, v11
	v_and_b32_e32 v14, 0xff, v15
	s_xor_b32 s1, s16, s24
	s_xor_b32 s0, s35, s0
	v_cmp_ne_u16_e64 s27, 0, v12
	v_and_b32_e32 v15, 0xff, v16
	s_xor_b32 s7, vcc_lo, s7
	s_xor_b32 s2, s17, s25
	v_cndmask_b32_e64 v9, 0, 1, s0
	s_xor_b32 s0, s35, s1
	v_cmp_ne_u16_e64 s28, 0, v13
	s_xor_b32 s7, s35, s7
	s_xor_b32 s3, s18, s26
	v_cndmask_b32_e64 v10, 0, 1, s0
	s_xor_b32 s0, s35, s2
	v_cmp_ne_u16_e64 s29, 0, v14
	v_cndmask_b32_e64 v1, 0, 1, s7
	s_xor_b32 s4, s19, s27
	v_cndmask_b32_e64 v11, 0, 1, s0
	s_xor_b32 s0, s35, s3
	v_cmp_ne_u16_e64 s30, 0, v15
	s_xor_b32 s5, s20, s28
	v_cndmask_b32_e64 v12, 0, 1, s0
	s_xor_b32 s0, s35, s4
	s_xor_b32 s6, s21, s29
	v_cndmask_b32_e64 v13, 0, 1, s0
	s_xor_b32 s0, s35, s5
	v_lshlrev_b16 v1, 8, v1
	s_xor_b32 s7, s22, s30
	v_cndmask_b32_e64 v14, 0, 1, s0
	s_xor_b32 s0, s35, s6
	v_lshlrev_b16 v2, 8, v2
	v_lshlrev_b16 v3, 8, v3
	v_cndmask_b32_e64 v15, 0, 1, s0
	s_xor_b32 s0, s35, s7
	v_lshlrev_b16 v4, 8, v4
	v_lshlrev_b16 v5, 8, v5
	v_cndmask_b32_e64 v16, 0, 1, s0
	v_lshlrev_b16 v8, 8, v8
	v_lshlrev_b16 v7, 8, v7
	;; [unrolled: 1-line block ×3, first 2 shown]
	v_or_b32_e32 v1, v9, v1
	v_or_b32_e32 v2, v10, v2
	;; [unrolled: 1-line block ×8, first 2 shown]
	s_clause 0x7
	global_store_b16 v0, v1, s[42:43] scale_offset
	global_store_b16 v0, v2, s[42:43] offset:512 scale_offset
	global_store_b16 v0, v3, s[42:43] offset:1024 scale_offset
	;; [unrolled: 1-line block ×7, first 2 shown]
.LBB211_2:
	s_and_not1_b32 vcc_lo, exec_lo, s44
	s_cbranch_vccnz .LBB211_52
; %bb.3:
	v_cmp_gt_i32_e32 vcc_lo, s33, v0
	s_wait_xcnt 0x5
	v_dual_mov_b32 v3, v0 :: v_dual_bitop2_b32 v1, s34, v0 bitop3:0x54
	v_or_b32_e32 v2, 0x100, v0
	s_mov_b32 s5, 0
	s_mov_b32 s6, 0
	s_wait_xcnt 0x0
	s_and_saveexec_b32 s2, vcc_lo
	s_cbranch_execz .LBB211_5
; %bb.4:
	s_clause 0x1
	global_load_u8 v3, v1, s[38:39]
	global_load_u8 v4, v1, s[40:41]
	s_wait_loadcnt 0x1
	v_cmp_ne_u16_e64 s0, 0, v3
	s_wait_loadcnt 0x0
	v_cmp_ne_u16_e64 s1, 0, v4
	v_or_b32_e32 v3, 0x100, v0
	s_xor_b32 s0, s0, s1
	s_delay_alu instid0(SALU_CYCLE_1)
	s_and_b32 s6, s0, exec_lo
.LBB211_5:
	s_wait_xcnt 0x0
	s_or_b32 exec_lo, exec_lo, s2
	s_delay_alu instid0(SALU_CYCLE_1)
	s_mov_b32 s2, exec_lo
	v_cmpx_gt_i32_e64 s33, v3
	s_cbranch_execz .LBB211_7
; %bb.6:
	v_add_nc_u32_e32 v4, s34, v3
	v_add_nc_u32_e32 v3, 0x100, v3
	s_clause 0x1
	global_load_u8 v5, v4, s[38:39]
	global_load_u8 v6, v4, s[40:41]
	s_wait_loadcnt 0x1
	v_cmp_ne_u16_e64 s0, 0, v5
	s_wait_loadcnt 0x0
	v_cmp_ne_u16_e64 s1, 0, v6
	s_xor_b32 s0, s0, s1
	s_delay_alu instid0(SALU_CYCLE_1)
	s_and_b32 s5, s0, exec_lo
.LBB211_7:
	s_wait_xcnt 0x0
	s_or_b32 exec_lo, exec_lo, s2
	s_mov_b32 s2, 0
	s_mov_b32 s3, 0
	s_mov_b32 s4, exec_lo
	v_cmpx_gt_i32_e64 s33, v3
	s_cbranch_execz .LBB211_9
; %bb.8:
	v_add_nc_u32_e32 v4, s34, v3
	v_add_nc_u32_e32 v3, 0x100, v3
	s_clause 0x1
	global_load_u8 v5, v4, s[38:39]
	global_load_u8 v6, v4, s[40:41]
	s_wait_loadcnt 0x1
	v_cmp_ne_u16_e64 s0, 0, v5
	s_wait_loadcnt 0x0
	v_cmp_ne_u16_e64 s1, 0, v6
	s_xor_b32 s0, s0, s1
	s_delay_alu instid0(SALU_CYCLE_1)
	s_and_b32 s3, s0, exec_lo
.LBB211_9:
	s_wait_xcnt 0x0
	s_or_b32 exec_lo, exec_lo, s4
	s_delay_alu instid0(SALU_CYCLE_1)
	s_mov_b32 s4, exec_lo
	v_cmpx_gt_i32_e64 s33, v3
	s_cbranch_execz .LBB211_11
; %bb.10:
	v_add_nc_u32_e32 v4, s34, v3
	v_add_nc_u32_e32 v3, 0x100, v3
	s_clause 0x1
	global_load_u8 v5, v4, s[38:39]
	global_load_u8 v6, v4, s[40:41]
	s_wait_loadcnt 0x1
	v_cmp_ne_u16_e64 s0, 0, v5
	s_wait_loadcnt 0x0
	v_cmp_ne_u16_e64 s1, 0, v6
	s_xor_b32 s0, s0, s1
	s_delay_alu instid0(SALU_CYCLE_1)
	s_and_b32 s2, s0, exec_lo
.LBB211_11:
	s_wait_xcnt 0x0
	s_or_b32 exec_lo, exec_lo, s4
	s_mov_b32 s7, 0
	s_mov_b32 s10, 0
	s_mov_b32 s4, exec_lo
	v_cmpx_gt_i32_e64 s33, v3
	s_cbranch_execz .LBB211_13
; %bb.12:
	v_add_nc_u32_e32 v4, s34, v3
	v_add_nc_u32_e32 v3, 0x100, v3
	s_clause 0x1
	global_load_u8 v5, v4, s[38:39]
	global_load_u8 v6, v4, s[40:41]
	s_wait_loadcnt 0x1
	v_cmp_ne_u16_e64 s0, 0, v5
	s_wait_loadcnt 0x0
	v_cmp_ne_u16_e64 s1, 0, v6
	s_xor_b32 s0, s0, s1
	s_delay_alu instid0(SALU_CYCLE_1)
	s_and_b32 s10, s0, exec_lo
.LBB211_13:
	s_wait_xcnt 0x0
	s_or_b32 exec_lo, exec_lo, s4
	s_delay_alu instid0(SALU_CYCLE_1)
	s_mov_b32 s4, exec_lo
	v_cmpx_gt_i32_e64 s33, v3
	s_cbranch_execz .LBB211_15
; %bb.14:
	v_add_nc_u32_e32 v4, s34, v3
	v_add_nc_u32_e32 v3, 0x100, v3
	s_clause 0x1
	global_load_u8 v5, v4, s[38:39]
	global_load_u8 v6, v4, s[40:41]
	s_wait_loadcnt 0x1
	v_cmp_ne_u16_e64 s0, 0, v5
	s_wait_loadcnt 0x0
	v_cmp_ne_u16_e64 s1, 0, v6
	s_xor_b32 s0, s0, s1
	s_delay_alu instid0(SALU_CYCLE_1)
	s_and_b32 s7, s0, exec_lo
.LBB211_15:
	s_wait_xcnt 0x0
	s_or_b32 exec_lo, exec_lo, s4
	s_mov_b32 s4, 0
	s_mov_b32 s8, 0
	s_mov_b32 s9, exec_lo
	v_cmpx_gt_i32_e64 s33, v3
	s_cbranch_execz .LBB211_17
; %bb.16:
	v_add_nc_u32_e32 v4, s34, v3
	v_add_nc_u32_e32 v3, 0x100, v3
	s_clause 0x1
	global_load_u8 v5, v4, s[38:39]
	global_load_u8 v6, v4, s[40:41]
	s_wait_loadcnt 0x1
	v_cmp_ne_u16_e64 s0, 0, v5
	s_wait_loadcnt 0x0
	v_cmp_ne_u16_e64 s1, 0, v6
	s_xor_b32 s0, s0, s1
	s_delay_alu instid0(SALU_CYCLE_1)
	s_and_b32 s8, s0, exec_lo
.LBB211_17:
	s_wait_xcnt 0x0
	s_or_b32 exec_lo, exec_lo, s9
	s_delay_alu instid0(SALU_CYCLE_1)
	s_mov_b32 s9, exec_lo
	v_cmpx_gt_i32_e64 s33, v3
	s_cbranch_execz .LBB211_19
; %bb.18:
	v_add_nc_u32_e32 v4, s34, v3
	v_add_nc_u32_e32 v3, 0x100, v3
	s_clause 0x1
	global_load_u8 v5, v4, s[38:39]
	global_load_u8 v6, v4, s[40:41]
	s_wait_loadcnt 0x1
	v_cmp_ne_u16_e64 s0, 0, v5
	s_wait_loadcnt 0x0
	v_cmp_ne_u16_e64 s1, 0, v6
	s_xor_b32 s0, s0, s1
	s_delay_alu instid0(SALU_CYCLE_1)
	s_and_b32 s4, s0, exec_lo
.LBB211_19:
	s_wait_xcnt 0x0
	s_or_b32 exec_lo, exec_lo, s9
	s_mov_b32 s9, 0
	s_mov_b32 s11, 0
	s_mov_b32 s12, exec_lo
	v_cmpx_gt_i32_e64 s33, v3
	s_cbranch_execz .LBB211_21
; %bb.20:
	v_add_nc_u32_e32 v4, s34, v3
	v_add_nc_u32_e32 v3, 0x100, v3
	s_clause 0x1
	global_load_u8 v5, v4, s[38:39]
	global_load_u8 v6, v4, s[40:41]
	s_wait_loadcnt 0x1
	v_cmp_ne_u16_e64 s0, 0, v5
	s_wait_loadcnt 0x0
	v_cmp_ne_u16_e64 s1, 0, v6
	s_xor_b32 s0, s0, s1
	s_delay_alu instid0(SALU_CYCLE_1)
	s_and_b32 s11, s0, exec_lo
.LBB211_21:
	s_wait_xcnt 0x0
	s_or_b32 exec_lo, exec_lo, s12
	s_delay_alu instid0(SALU_CYCLE_1)
	s_mov_b32 s12, exec_lo
	v_cmpx_gt_i32_e64 s33, v3
	s_cbranch_execz .LBB211_23
; %bb.22:
	v_add_nc_u32_e32 v4, s34, v3
	v_add_nc_u32_e32 v3, 0x100, v3
	s_clause 0x1
	global_load_u8 v5, v4, s[38:39]
	global_load_u8 v6, v4, s[40:41]
	s_wait_loadcnt 0x1
	v_cmp_ne_u16_e64 s0, 0, v5
	s_wait_loadcnt 0x0
	v_cmp_ne_u16_e64 s1, 0, v6
	s_xor_b32 s0, s0, s1
	s_delay_alu instid0(SALU_CYCLE_1)
	s_and_b32 s9, s0, exec_lo
.LBB211_23:
	s_wait_xcnt 0x0
	s_or_b32 exec_lo, exec_lo, s12
	s_mov_b32 s12, 0
	s_mov_b32 s13, 0
	s_mov_b32 s14, exec_lo
	v_cmpx_gt_i32_e64 s33, v3
	s_cbranch_execz .LBB211_25
; %bb.24:
	v_add_nc_u32_e32 v4, s34, v3
	v_add_nc_u32_e32 v3, 0x100, v3
	s_clause 0x1
	global_load_u8 v5, v4, s[38:39]
	global_load_u8 v6, v4, s[40:41]
	s_wait_loadcnt 0x1
	v_cmp_ne_u16_e64 s0, 0, v5
	s_wait_loadcnt 0x0
	v_cmp_ne_u16_e64 s1, 0, v6
	s_xor_b32 s0, s0, s1
	s_delay_alu instid0(SALU_CYCLE_1)
	s_and_b32 s13, s0, exec_lo
.LBB211_25:
	s_wait_xcnt 0x0
	s_or_b32 exec_lo, exec_lo, s14
	s_delay_alu instid0(SALU_CYCLE_1)
	s_mov_b32 s14, exec_lo
	v_cmpx_gt_i32_e64 s33, v3
	s_cbranch_execz .LBB211_27
; %bb.26:
	v_add_nc_u32_e32 v4, s34, v3
	v_add_nc_u32_e32 v3, 0x100, v3
	s_clause 0x1
	global_load_u8 v5, v4, s[38:39]
	global_load_u8 v6, v4, s[40:41]
	s_wait_loadcnt 0x1
	v_cmp_ne_u16_e64 s0, 0, v5
	s_wait_loadcnt 0x0
	v_cmp_ne_u16_e64 s1, 0, v6
	s_xor_b32 s0, s0, s1
	s_delay_alu instid0(SALU_CYCLE_1)
	s_and_b32 s12, s0, exec_lo
.LBB211_27:
	s_wait_xcnt 0x0
	s_or_b32 exec_lo, exec_lo, s14
	s_mov_b32 s15, 0
	s_mov_b32 s16, 0
	s_mov_b32 s14, exec_lo
	v_cmpx_gt_i32_e64 s33, v3
	s_cbranch_execz .LBB211_29
; %bb.28:
	v_add_nc_u32_e32 v4, s34, v3
	v_add_nc_u32_e32 v3, 0x100, v3
	s_clause 0x1
	global_load_u8 v5, v4, s[38:39]
	global_load_u8 v6, v4, s[40:41]
	s_wait_loadcnt 0x1
	v_cmp_ne_u16_e64 s0, 0, v5
	s_wait_loadcnt 0x0
	v_cmp_ne_u16_e64 s1, 0, v6
	s_xor_b32 s0, s0, s1
	s_delay_alu instid0(SALU_CYCLE_1)
	s_and_b32 s16, s0, exec_lo
.LBB211_29:
	s_wait_xcnt 0x0
	s_or_b32 exec_lo, exec_lo, s14
	s_delay_alu instid0(SALU_CYCLE_1)
	s_mov_b32 s14, exec_lo
	v_cmpx_gt_i32_e64 s33, v3
	s_cbranch_execz .LBB211_31
; %bb.30:
	v_add_nc_u32_e32 v4, s34, v3
	v_add_nc_u32_e32 v3, 0x100, v3
	s_clause 0x1
	global_load_u8 v5, v4, s[38:39]
	global_load_u8 v6, v4, s[40:41]
	s_wait_loadcnt 0x1
	v_cmp_ne_u16_e64 s0, 0, v5
	s_wait_loadcnt 0x0
	v_cmp_ne_u16_e64 s1, 0, v6
	s_xor_b32 s0, s0, s1
	s_delay_alu instid0(SALU_CYCLE_1)
	s_and_b32 s15, s0, exec_lo
.LBB211_31:
	s_wait_xcnt 0x0
	s_or_b32 exec_lo, exec_lo, s14
	s_mov_b32 s14, 0
	s_mov_b32 s17, 0
	s_mov_b32 s18, exec_lo
	v_cmpx_gt_i32_e64 s33, v3
	s_cbranch_execz .LBB211_33
; %bb.32:
	v_add_nc_u32_e32 v4, s34, v3
	v_add_nc_u32_e32 v3, 0x100, v3
	s_clause 0x1
	global_load_u8 v5, v4, s[38:39]
	global_load_u8 v6, v4, s[40:41]
	s_wait_loadcnt 0x1
	v_cmp_ne_u16_e64 s0, 0, v5
	s_wait_loadcnt 0x0
	v_cmp_ne_u16_e64 s1, 0, v6
	s_xor_b32 s0, s0, s1
	s_delay_alu instid0(SALU_CYCLE_1)
	s_and_b32 s17, s0, exec_lo
.LBB211_33:
	s_wait_xcnt 0x0
	s_or_b32 exec_lo, exec_lo, s18
	s_delay_alu instid0(SALU_CYCLE_1)
	s_mov_b32 s18, exec_lo
	v_cmpx_gt_i32_e64 s33, v3
	s_cbranch_execz .LBB211_35
; %bb.34:
	v_add_nc_u32_e32 v3, s34, v3
	s_clause 0x1
	global_load_u8 v4, v3, s[38:39]
	global_load_u8 v5, v3, s[40:41]
	s_wait_loadcnt 0x1
	v_cmp_ne_u16_e64 s0, 0, v4
	s_wait_loadcnt 0x0
	v_cmp_ne_u16_e64 s1, 0, v5
	s_xor_b32 s0, s0, s1
	s_delay_alu instid0(SALU_CYCLE_1)
	s_and_b32 s14, s0, exec_lo
.LBB211_35:
	s_wait_xcnt 0x0
	s_or_b32 exec_lo, exec_lo, s18
	s_cmp_eq_u32 s31, 0
	v_or_b32_e32 v7, 0x400, v0
	s_cselect_b32 s1, -1, 0
	v_or_b32_e32 v5, 0x200, v0
	s_xor_b32 s0, s1, s6
	v_or_b32_e32 v8, 0x500, v0
	v_cndmask_b32_e64 v3, 0, 1, s0
	s_xor_b32 s0, s1, s5
	v_or_b32_e32 v9, 0x800, v0
	v_cndmask_b32_e64 v4, 0, 1, s0
	s_xor_b32 s0, s1, s10
	s_delay_alu instid0(SALU_CYCLE_1) | instskip(SKIP_1) | instid1(VALU_DEP_2)
	v_cndmask_b32_e64 v6, 0, 1, s0
	s_xor_b32 s0, s1, s7
	v_lshlrev_b16 v4, 8, v4
	v_cndmask_b32_e64 v10, 0, 1, s0
	s_xor_b32 s0, s1, s3
	v_bitop3_b16 v6, v6, 0, 0xff00 bitop3:0xf8
	v_cndmask_b32_e64 v11, 0, 1, s0
	v_cmp_gt_i32_e64 s0, s33, v2
	s_delay_alu instid0(VALU_DEP_3) | instskip(SKIP_1) | instid1(VALU_DEP_1)
	v_and_b32_e32 v6, 0xffff, v6
	v_cndmask_b32_e32 v3, 0, v3, vcc_lo
	v_or_b32_e32 v4, v3, v4
	s_delay_alu instid0(VALU_DEP_1) | instskip(NEXT) | instid1(VALU_DEP_1)
	v_and_b32_e32 v4, 0xffff, v4
	v_cndmask_b32_e64 v3, v3, v4, s0
	v_cmp_gt_i32_e64 s0, s33, v7
	v_lshlrev_b16 v4, 8, v10
	v_or_b32_e32 v7, 0xc00, v0
	s_delay_alu instid0(VALU_DEP_4) | instskip(NEXT) | instid1(VALU_DEP_4)
	v_lshl_or_b32 v10, v11, 16, v3
	v_cndmask_b32_e64 v6, 0, v6, s0
	s_xor_b32 s0, s1, s2
	s_delay_alu instid0(SALU_CYCLE_1) | instskip(SKIP_1) | instid1(VALU_DEP_3)
	v_cndmask_b32_e64 v11, 0, 1, s0
	v_cmp_gt_i32_e64 s0, s33, v5
	v_bitop3_b16 v4, v6, v4, 0xff bitop3:0xec
	s_delay_alu instid0(VALU_DEP_2) | instskip(SKIP_1) | instid1(VALU_DEP_2)
	v_cndmask_b32_e64 v3, v3, v10, s0
	s_xor_b32 s0, s1, s8
	v_and_b32_e32 v4, 0xffff, v4
	v_cndmask_b32_e64 v5, 0, 1, s0
	s_xor_b32 s0, s1, s16
	v_lshlrev_b16 v10, 8, v11
	v_cndmask_b32_e64 v12, 0, 1, s0
	v_cmp_gt_i32_e64 s0, s33, v8
	s_delay_alu instid0(VALU_DEP_1) | instskip(SKIP_1) | instid1(SALU_CYCLE_1)
	v_cndmask_b32_e64 v4, v6, v4, s0
	s_xor_b32 s0, s1, s15
	v_cndmask_b32_e64 v8, 0, 1, s0
	v_cmp_gt_i32_e64 s0, s33, v7
	v_lshrrev_b32_e32 v11, 16, v3
	s_delay_alu instid0(VALU_DEP_3) | instskip(NEXT) | instid1(VALU_DEP_3)
	v_lshlrev_b16 v8, 8, v8
	v_cndmask_b32_e64 v7, 0, v12, s0
	s_xor_b32 s0, s1, s11
	s_delay_alu instid0(VALU_DEP_3)
	v_bitop3_b16 v6, v11, v10, 0xff bitop3:0xec
	v_cndmask_b32_e64 v11, 0, 1, s0
	s_xor_b32 s0, s1, s9
	v_lshrrev_b32_e32 v10, 16, v4
	v_cndmask_b32_e64 v12, 0, 1, s0
	v_cmp_gt_i32_e64 s0, s33, v9
	v_lshlrev_b32_e32 v6, 16, v6
	v_bitop3_b16 v8, v7, v8, 0xff bitop3:0xec
	v_bitop3_b16 v5, v5, v10, 0xff00 bitop3:0xf8
	v_lshlrev_b16 v10, 8, v12
	v_cndmask_b32_e64 v9, 0, v11, s0
	v_or_b32_e32 v11, 0xd00, v0
	v_and_b32_e32 v8, 0xffff, v8
	v_lshlrev_b32_e32 v5, 16, v5
	v_or_b32_e32 v12, 0x600, v0
	v_and_or_b32 v6, 0xffff, v3, v6
	v_cmp_gt_i32_e64 s0, s33, v11
	v_or_b32_e32 v10, v9, v10
	v_and_or_b32 v5, 0xffff, v4, v5
	s_delay_alu instid0(VALU_DEP_3)
	v_cndmask_b32_e64 v7, v7, v8, s0
	s_xor_b32 s0, s1, s13
	v_or_b32_e32 v8, 0x900, v0
	v_cndmask_b32_e64 v11, 0, 1, s0
	s_xor_b32 s0, s1, s17
	v_and_b32_e32 v10, 0xffff, v10
	v_cndmask_b32_e64 v14, 0, 1, s0
	v_cmp_gt_i32_e64 s0, s33, v12
	v_lshrrev_b32_e32 v13, 16, v7
	v_or_b32_e32 v12, 0xa00, v0
	s_delay_alu instid0(VALU_DEP_3) | instskip(SKIP_1) | instid1(VALU_DEP_4)
	v_cndmask_b32_e64 v4, v4, v5, s0
	v_cmp_gt_i32_e64 s0, s33, v8
	v_bitop3_b16 v8, v14, v13, 0xff00 bitop3:0xf8
	v_or_b32_e32 v13, 0xe00, v0
	s_delay_alu instid0(VALU_DEP_3) | instskip(SKIP_1) | instid1(SALU_CYCLE_1)
	v_dual_cndmask_b32 v5, v9, v10, s0 :: v_dual_lshlrev_b32 v9, 16, v11
	s_xor_b32 s0, s1, s4
	v_cndmask_b32_e64 v10, 0, 1, s0
	v_cmp_gt_i32_e64 s0, s33, v12
	s_delay_alu instid0(VALU_DEP_3) | instskip(SKIP_1) | instid1(VALU_DEP_4)
	v_and_or_b32 v9, 0x1ff, v5, v9
	v_lshrrev_b32_e32 v11, 16, v4
	v_lshlrev_b16 v10, 8, v10
	s_delay_alu instid0(VALU_DEP_3) | instskip(SKIP_1) | instid1(VALU_DEP_2)
	v_dual_cndmask_b32 v9, v5, v9, s0 :: v_dual_lshlrev_b32 v8, 16, v8
	s_xor_b32 s0, s1, s12
	v_bitop3_b16 v10, v11, v10, 0xff bitop3:0xec
	v_cndmask_b32_e64 v5, 0, 1, s0
	v_cmp_gt_i32_e64 s0, s33, v13
	v_lshrrev_b32_e32 v11, 16, v9
	v_and_or_b32 v8, 0xffff, v7, v8
	v_or_b32_e32 v13, 0x300, v0
	v_lshlrev_b16 v5, 8, v5
	s_delay_alu instid0(VALU_DEP_3) | instskip(SKIP_1) | instid1(VALU_DEP_2)
	v_dual_lshlrev_b32 v10, 16, v10 :: v_dual_cndmask_b32 v7, v7, v8, s0
	s_xor_b32 s0, s1, s14
	v_bitop3_b16 v5, v11, v5, 0xff bitop3:0xec
	v_cndmask_b32_e64 v8, 0, 1, s0
	v_cmp_gt_i32_e64 s0, s33, v13
	v_lshrrev_b32_e32 v12, 16, v7
	v_and_or_b32 v10, 0xffff, v4, v10
	v_or_b32_e32 v11, 0xb00, v0
	v_lshlrev_b16 v8, 8, v8
	v_cndmask_b32_e64 v6, v3, v6, s0
	s_delay_alu instid0(VALU_DEP_2) | instskip(SKIP_3) | instid1(VALU_DEP_4)
	v_bitop3_b16 v8, v12, v8, 0xff bitop3:0xec
	v_lshlrev_b32_e32 v3, 16, v5
	v_or_b32_e32 v5, 0x700, v0
	v_or_b32_e32 v12, 0xf00, v0
	v_lshlrev_b32_e32 v8, 16, v8
	s_delay_alu instid0(VALU_DEP_4) | instskip(NEXT) | instid1(VALU_DEP_4)
	v_and_or_b32 v3, 0xffff, v9, v3
	v_cmp_gt_i32_e64 s0, s33, v5
	s_delay_alu instid0(VALU_DEP_3) | instskip(NEXT) | instid1(VALU_DEP_2)
	v_and_or_b32 v8, 0xffff, v7, v8
	v_cndmask_b32_e64 v5, v4, v10, s0
	v_cmp_gt_i32_e64 s0, s33, v11
	s_delay_alu instid0(VALU_DEP_1) | instskip(SKIP_1) | instid1(VALU_DEP_1)
	v_cndmask_b32_e64 v4, v9, v3, s0
	v_cmp_gt_i32_e64 s0, s33, v12
	v_cndmask_b32_e64 v3, v7, v8, s0
	s_and_saveexec_b32 s0, vcc_lo
	s_cbranch_execnz .LBB211_53
; %bb.36:
	s_or_b32 exec_lo, exec_lo, s0
	s_delay_alu instid0(SALU_CYCLE_1)
	s_mov_b32 s0, exec_lo
	v_cmpx_gt_i32_e64 s33, v0
	s_cbranch_execnz .LBB211_54
.LBB211_37:
	s_or_b32 exec_lo, exec_lo, s0
	s_delay_alu instid0(SALU_CYCLE_1)
	s_mov_b32 s0, exec_lo
	v_cmpx_gt_i32_e64 s33, v0
	s_cbranch_execnz .LBB211_55
.LBB211_38:
	s_or_b32 exec_lo, exec_lo, s0
	s_delay_alu instid0(SALU_CYCLE_1)
	s_mov_b32 s0, exec_lo
	v_cmpx_gt_i32_e64 s33, v0
	s_cbranch_execnz .LBB211_56
.LBB211_39:
	s_or_b32 exec_lo, exec_lo, s0
	s_delay_alu instid0(SALU_CYCLE_1)
	s_mov_b32 s0, exec_lo
	v_cmpx_gt_i32_e64 s33, v0
	s_cbranch_execnz .LBB211_57
.LBB211_40:
	s_or_b32 exec_lo, exec_lo, s0
	s_delay_alu instid0(SALU_CYCLE_1)
	s_mov_b32 s0, exec_lo
	v_cmpx_gt_i32_e64 s33, v0
	s_cbranch_execnz .LBB211_58
.LBB211_41:
	s_or_b32 exec_lo, exec_lo, s0
	s_delay_alu instid0(SALU_CYCLE_1)
	s_mov_b32 s0, exec_lo
	v_cmpx_gt_i32_e64 s33, v0
	s_cbranch_execnz .LBB211_59
.LBB211_42:
	s_or_b32 exec_lo, exec_lo, s0
	s_delay_alu instid0(SALU_CYCLE_1)
	s_mov_b32 s0, exec_lo
	v_cmpx_gt_i32_e64 s33, v0
	s_cbranch_execnz .LBB211_60
.LBB211_43:
	s_or_b32 exec_lo, exec_lo, s0
	s_delay_alu instid0(SALU_CYCLE_1)
	s_mov_b32 s0, exec_lo
	v_cmpx_gt_i32_e64 s33, v0
	s_cbranch_execnz .LBB211_61
.LBB211_44:
	s_or_b32 exec_lo, exec_lo, s0
	s_delay_alu instid0(SALU_CYCLE_1)
	s_mov_b32 s0, exec_lo
	v_cmpx_gt_i32_e64 s33, v0
	s_cbranch_execnz .LBB211_62
.LBB211_45:
	s_or_b32 exec_lo, exec_lo, s0
	s_delay_alu instid0(SALU_CYCLE_1)
	s_mov_b32 s0, exec_lo
	v_cmpx_gt_i32_e64 s33, v0
	s_cbranch_execnz .LBB211_63
.LBB211_46:
	s_or_b32 exec_lo, exec_lo, s0
	s_delay_alu instid0(SALU_CYCLE_1)
	s_mov_b32 s0, exec_lo
	v_cmpx_gt_i32_e64 s33, v0
	s_cbranch_execnz .LBB211_64
.LBB211_47:
	s_or_b32 exec_lo, exec_lo, s0
	s_delay_alu instid0(SALU_CYCLE_1)
	s_mov_b32 s0, exec_lo
	v_cmpx_gt_i32_e64 s33, v0
	s_cbranch_execnz .LBB211_65
.LBB211_48:
	s_or_b32 exec_lo, exec_lo, s0
	s_delay_alu instid0(SALU_CYCLE_1)
	s_mov_b32 s0, exec_lo
	v_cmpx_gt_i32_e64 s33, v0
	s_cbranch_execnz .LBB211_66
.LBB211_49:
	s_or_b32 exec_lo, exec_lo, s0
	s_delay_alu instid0(SALU_CYCLE_1)
	s_mov_b32 s0, exec_lo
	v_cmpx_gt_i32_e64 s33, v0
	s_cbranch_execnz .LBB211_67
.LBB211_50:
	s_or_b32 exec_lo, exec_lo, s0
	s_delay_alu instid0(SALU_CYCLE_1)
	s_mov_b32 s0, exec_lo
	v_cmpx_gt_i32_e64 s33, v0
	s_cbranch_execz .LBB211_52
.LBB211_51:
	v_dual_lshrrev_b32 v1, 24, v3 :: v_dual_add_nc_u32 v0, s34, v0
	global_store_b8 v0, v1, s[36:37]
.LBB211_52:
	s_endpgm
.LBB211_53:
	v_mov_b32_e32 v0, v2
	global_store_b8 v1, v6, s[36:37]
	s_wait_xcnt 0x0
	s_or_b32 exec_lo, exec_lo, s0
	s_delay_alu instid0(SALU_CYCLE_1)
	s_mov_b32 s0, exec_lo
	v_cmpx_gt_i32_e64 s33, v0
	s_cbranch_execz .LBB211_37
.LBB211_54:
	v_dual_lshrrev_b32 v1, 8, v6 :: v_dual_add_nc_u32 v2, s34, v0
	v_add_nc_u32_e32 v0, 0x100, v0
	global_store_b8 v2, v1, s[36:37]
	s_wait_xcnt 0x0
	s_or_b32 exec_lo, exec_lo, s0
	s_delay_alu instid0(SALU_CYCLE_1)
	s_mov_b32 s0, exec_lo
	v_cmpx_gt_i32_e64 s33, v0
	s_cbranch_execz .LBB211_38
.LBB211_55:
	v_add_nc_u32_e32 v1, s34, v0
	v_add_nc_u32_e32 v0, 0x100, v0
	global_store_d16_hi_b8 v1, v6, s[36:37]
	s_wait_xcnt 0x0
	s_or_b32 exec_lo, exec_lo, s0
	s_delay_alu instid0(SALU_CYCLE_1)
	s_mov_b32 s0, exec_lo
	v_cmpx_gt_i32_e64 s33, v0
	s_cbranch_execz .LBB211_39
.LBB211_56:
	v_dual_lshrrev_b32 v1, 24, v6 :: v_dual_add_nc_u32 v2, s34, v0
	v_add_nc_u32_e32 v0, 0x100, v0
	global_store_b8 v2, v1, s[36:37]
	s_wait_xcnt 0x0
	s_or_b32 exec_lo, exec_lo, s0
	s_delay_alu instid0(SALU_CYCLE_1)
	s_mov_b32 s0, exec_lo
	v_cmpx_gt_i32_e64 s33, v0
	s_cbranch_execz .LBB211_40
.LBB211_57:
	v_add_nc_u32_e32 v1, s34, v0
	v_add_nc_u32_e32 v0, 0x100, v0
	global_store_b8 v1, v5, s[36:37]
	s_wait_xcnt 0x0
	s_or_b32 exec_lo, exec_lo, s0
	s_delay_alu instid0(SALU_CYCLE_1)
	s_mov_b32 s0, exec_lo
	v_cmpx_gt_i32_e64 s33, v0
	s_cbranch_execz .LBB211_41
.LBB211_58:
	v_dual_lshrrev_b32 v1, 8, v5 :: v_dual_add_nc_u32 v2, s34, v0
	v_add_nc_u32_e32 v0, 0x100, v0
	global_store_b8 v2, v1, s[36:37]
	s_wait_xcnt 0x0
	s_or_b32 exec_lo, exec_lo, s0
	s_delay_alu instid0(SALU_CYCLE_1)
	s_mov_b32 s0, exec_lo
	v_cmpx_gt_i32_e64 s33, v0
	s_cbranch_execz .LBB211_42
.LBB211_59:
	v_add_nc_u32_e32 v1, s34, v0
	v_add_nc_u32_e32 v0, 0x100, v0
	global_store_d16_hi_b8 v1, v5, s[36:37]
	s_wait_xcnt 0x0
	s_or_b32 exec_lo, exec_lo, s0
	s_delay_alu instid0(SALU_CYCLE_1)
	s_mov_b32 s0, exec_lo
	v_cmpx_gt_i32_e64 s33, v0
	s_cbranch_execz .LBB211_43
.LBB211_60:
	v_dual_lshrrev_b32 v1, 24, v5 :: v_dual_add_nc_u32 v2, s34, v0
	v_add_nc_u32_e32 v0, 0x100, v0
	global_store_b8 v2, v1, s[36:37]
	s_wait_xcnt 0x0
	s_or_b32 exec_lo, exec_lo, s0
	s_delay_alu instid0(SALU_CYCLE_1)
	s_mov_b32 s0, exec_lo
	v_cmpx_gt_i32_e64 s33, v0
	s_cbranch_execz .LBB211_44
.LBB211_61:
	v_add_nc_u32_e32 v1, s34, v0
	v_add_nc_u32_e32 v0, 0x100, v0
	global_store_b8 v1, v4, s[36:37]
	s_wait_xcnt 0x0
	s_or_b32 exec_lo, exec_lo, s0
	s_delay_alu instid0(SALU_CYCLE_1)
	s_mov_b32 s0, exec_lo
	v_cmpx_gt_i32_e64 s33, v0
	s_cbranch_execz .LBB211_45
.LBB211_62:
	v_lshrrev_b32_e32 v1, 8, v4
	v_add_nc_u32_e32 v2, s34, v0
	v_add_nc_u32_e32 v0, 0x100, v0
	global_store_b8 v2, v1, s[36:37]
	s_wait_xcnt 0x0
	s_or_b32 exec_lo, exec_lo, s0
	s_delay_alu instid0(SALU_CYCLE_1)
	s_mov_b32 s0, exec_lo
	v_cmpx_gt_i32_e64 s33, v0
	s_cbranch_execz .LBB211_46
.LBB211_63:
	v_add_nc_u32_e32 v1, s34, v0
	v_add_nc_u32_e32 v0, 0x100, v0
	global_store_d16_hi_b8 v1, v4, s[36:37]
	s_wait_xcnt 0x0
	s_or_b32 exec_lo, exec_lo, s0
	s_delay_alu instid0(SALU_CYCLE_1)
	s_mov_b32 s0, exec_lo
	v_cmpx_gt_i32_e64 s33, v0
	s_cbranch_execz .LBB211_47
.LBB211_64:
	v_lshrrev_b32_e32 v1, 24, v4
	v_add_nc_u32_e32 v2, s34, v0
	v_add_nc_u32_e32 v0, 0x100, v0
	global_store_b8 v2, v1, s[36:37]
	s_wait_xcnt 0x0
	s_or_b32 exec_lo, exec_lo, s0
	s_delay_alu instid0(SALU_CYCLE_1)
	s_mov_b32 s0, exec_lo
	v_cmpx_gt_i32_e64 s33, v0
	s_cbranch_execz .LBB211_48
.LBB211_65:
	v_add_nc_u32_e32 v1, s34, v0
	v_add_nc_u32_e32 v0, 0x100, v0
	global_store_b8 v1, v3, s[36:37]
	s_wait_xcnt 0x0
	s_or_b32 exec_lo, exec_lo, s0
	s_delay_alu instid0(SALU_CYCLE_1)
	s_mov_b32 s0, exec_lo
	v_cmpx_gt_i32_e64 s33, v0
	s_cbranch_execz .LBB211_49
.LBB211_66:
	v_dual_lshrrev_b32 v1, 8, v3 :: v_dual_add_nc_u32 v2, s34, v0
	v_add_nc_u32_e32 v0, 0x100, v0
	global_store_b8 v2, v1, s[36:37]
	s_wait_xcnt 0x0
	s_or_b32 exec_lo, exec_lo, s0
	s_delay_alu instid0(SALU_CYCLE_1)
	s_mov_b32 s0, exec_lo
	v_cmpx_gt_i32_e64 s33, v0
	s_cbranch_execz .LBB211_50
.LBB211_67:
	v_add_nc_u32_e32 v1, s34, v0
	v_add_nc_u32_e32 v0, 0x100, v0
	global_store_d16_hi_b8 v1, v3, s[36:37]
	s_wait_xcnt 0x0
	s_or_b32 exec_lo, exec_lo, s0
	s_delay_alu instid0(SALU_CYCLE_1)
	s_mov_b32 s0, exec_lo
	v_cmpx_gt_i32_e64 s33, v0
	s_cbranch_execnz .LBB211_51
	s_branch .LBB211_52
	.section	.rodata,"a",@progbits
	.p2align	6, 0x0
	.amdhsa_kernel _ZN2at6native29vectorized_elementwise_kernelILi2ENS0_13BinaryFunctorIbbbNS0_12_GLOBAL__N_116CompareEqFunctorIbEEEESt5arrayIPcLm3EEEEviT0_T1_
		.amdhsa_group_segment_fixed_size 0
		.amdhsa_private_segment_fixed_size 0
		.amdhsa_kernarg_size 32
		.amdhsa_user_sgpr_count 2
		.amdhsa_user_sgpr_dispatch_ptr 0
		.amdhsa_user_sgpr_queue_ptr 0
		.amdhsa_user_sgpr_kernarg_segment_ptr 1
		.amdhsa_user_sgpr_dispatch_id 0
		.amdhsa_user_sgpr_kernarg_preload_length 0
		.amdhsa_user_sgpr_kernarg_preload_offset 0
		.amdhsa_user_sgpr_private_segment_size 0
		.amdhsa_wavefront_size32 1
		.amdhsa_uses_dynamic_stack 0
		.amdhsa_enable_private_segment 0
		.amdhsa_system_sgpr_workgroup_id_x 1
		.amdhsa_system_sgpr_workgroup_id_y 0
		.amdhsa_system_sgpr_workgroup_id_z 0
		.amdhsa_system_sgpr_workgroup_info 0
		.amdhsa_system_vgpr_workitem_id 0
		.amdhsa_next_free_vgpr 18
		.amdhsa_next_free_sgpr 45
		.amdhsa_named_barrier_count 0
		.amdhsa_reserve_vcc 1
		.amdhsa_float_round_mode_32 0
		.amdhsa_float_round_mode_16_64 0
		.amdhsa_float_denorm_mode_32 3
		.amdhsa_float_denorm_mode_16_64 3
		.amdhsa_fp16_overflow 0
		.amdhsa_memory_ordered 1
		.amdhsa_forward_progress 1
		.amdhsa_inst_pref_size 41
		.amdhsa_round_robin_scheduling 0
		.amdhsa_exception_fp_ieee_invalid_op 0
		.amdhsa_exception_fp_denorm_src 0
		.amdhsa_exception_fp_ieee_div_zero 0
		.amdhsa_exception_fp_ieee_overflow 0
		.amdhsa_exception_fp_ieee_underflow 0
		.amdhsa_exception_fp_ieee_inexact 0
		.amdhsa_exception_int_div_zero 0
	.end_amdhsa_kernel
	.section	.text._ZN2at6native29vectorized_elementwise_kernelILi2ENS0_13BinaryFunctorIbbbNS0_12_GLOBAL__N_116CompareEqFunctorIbEEEESt5arrayIPcLm3EEEEviT0_T1_,"axG",@progbits,_ZN2at6native29vectorized_elementwise_kernelILi2ENS0_13BinaryFunctorIbbbNS0_12_GLOBAL__N_116CompareEqFunctorIbEEEESt5arrayIPcLm3EEEEviT0_T1_,comdat
.Lfunc_end211:
	.size	_ZN2at6native29vectorized_elementwise_kernelILi2ENS0_13BinaryFunctorIbbbNS0_12_GLOBAL__N_116CompareEqFunctorIbEEEESt5arrayIPcLm3EEEEviT0_T1_, .Lfunc_end211-_ZN2at6native29vectorized_elementwise_kernelILi2ENS0_13BinaryFunctorIbbbNS0_12_GLOBAL__N_116CompareEqFunctorIbEEEESt5arrayIPcLm3EEEEviT0_T1_
                                        ; -- End function
	.set _ZN2at6native29vectorized_elementwise_kernelILi2ENS0_13BinaryFunctorIbbbNS0_12_GLOBAL__N_116CompareEqFunctorIbEEEESt5arrayIPcLm3EEEEviT0_T1_.num_vgpr, 18
	.set _ZN2at6native29vectorized_elementwise_kernelILi2ENS0_13BinaryFunctorIbbbNS0_12_GLOBAL__N_116CompareEqFunctorIbEEEESt5arrayIPcLm3EEEEviT0_T1_.num_agpr, 0
	.set _ZN2at6native29vectorized_elementwise_kernelILi2ENS0_13BinaryFunctorIbbbNS0_12_GLOBAL__N_116CompareEqFunctorIbEEEESt5arrayIPcLm3EEEEviT0_T1_.numbered_sgpr, 45
	.set _ZN2at6native29vectorized_elementwise_kernelILi2ENS0_13BinaryFunctorIbbbNS0_12_GLOBAL__N_116CompareEqFunctorIbEEEESt5arrayIPcLm3EEEEviT0_T1_.num_named_barrier, 0
	.set _ZN2at6native29vectorized_elementwise_kernelILi2ENS0_13BinaryFunctorIbbbNS0_12_GLOBAL__N_116CompareEqFunctorIbEEEESt5arrayIPcLm3EEEEviT0_T1_.private_seg_size, 0
	.set _ZN2at6native29vectorized_elementwise_kernelILi2ENS0_13BinaryFunctorIbbbNS0_12_GLOBAL__N_116CompareEqFunctorIbEEEESt5arrayIPcLm3EEEEviT0_T1_.uses_vcc, 1
	.set _ZN2at6native29vectorized_elementwise_kernelILi2ENS0_13BinaryFunctorIbbbNS0_12_GLOBAL__N_116CompareEqFunctorIbEEEESt5arrayIPcLm3EEEEviT0_T1_.uses_flat_scratch, 0
	.set _ZN2at6native29vectorized_elementwise_kernelILi2ENS0_13BinaryFunctorIbbbNS0_12_GLOBAL__N_116CompareEqFunctorIbEEEESt5arrayIPcLm3EEEEviT0_T1_.has_dyn_sized_stack, 0
	.set _ZN2at6native29vectorized_elementwise_kernelILi2ENS0_13BinaryFunctorIbbbNS0_12_GLOBAL__N_116CompareEqFunctorIbEEEESt5arrayIPcLm3EEEEviT0_T1_.has_recursion, 0
	.set _ZN2at6native29vectorized_elementwise_kernelILi2ENS0_13BinaryFunctorIbbbNS0_12_GLOBAL__N_116CompareEqFunctorIbEEEESt5arrayIPcLm3EEEEviT0_T1_.has_indirect_call, 0
	.section	.AMDGPU.csdata,"",@progbits
; Kernel info:
; codeLenInByte = 5188
; TotalNumSgprs: 47
; NumVgprs: 18
; ScratchSize: 0
; MemoryBound: 0
; FloatMode: 240
; IeeeMode: 1
; LDSByteSize: 0 bytes/workgroup (compile time only)
; SGPRBlocks: 0
; VGPRBlocks: 1
; NumSGPRsForWavesPerEU: 47
; NumVGPRsForWavesPerEU: 18
; NamedBarCnt: 0
; Occupancy: 16
; WaveLimiterHint : 1
; COMPUTE_PGM_RSRC2:SCRATCH_EN: 0
; COMPUTE_PGM_RSRC2:USER_SGPR: 2
; COMPUTE_PGM_RSRC2:TRAP_HANDLER: 0
; COMPUTE_PGM_RSRC2:TGID_X_EN: 1
; COMPUTE_PGM_RSRC2:TGID_Y_EN: 0
; COMPUTE_PGM_RSRC2:TGID_Z_EN: 0
; COMPUTE_PGM_RSRC2:TIDIG_COMP_CNT: 0
	.section	.text._ZN2at6native27unrolled_elementwise_kernelINS0_13BinaryFunctorIbbbNS0_12_GLOBAL__N_116CompareEqFunctorIbEEEESt5arrayIPcLm3EELi4E23TrivialOffsetCalculatorILi2EjESA_ILi1EjENS0_6memory15LoadWithoutCastENSD_16StoreWithoutCastEEEviT_T0_T2_T3_T4_T5_,"axG",@progbits,_ZN2at6native27unrolled_elementwise_kernelINS0_13BinaryFunctorIbbbNS0_12_GLOBAL__N_116CompareEqFunctorIbEEEESt5arrayIPcLm3EELi4E23TrivialOffsetCalculatorILi2EjESA_ILi1EjENS0_6memory15LoadWithoutCastENSD_16StoreWithoutCastEEEviT_T0_T2_T3_T4_T5_,comdat
	.globl	_ZN2at6native27unrolled_elementwise_kernelINS0_13BinaryFunctorIbbbNS0_12_GLOBAL__N_116CompareEqFunctorIbEEEESt5arrayIPcLm3EELi4E23TrivialOffsetCalculatorILi2EjESA_ILi1EjENS0_6memory15LoadWithoutCastENSD_16StoreWithoutCastEEEviT_T0_T2_T3_T4_T5_ ; -- Begin function _ZN2at6native27unrolled_elementwise_kernelINS0_13BinaryFunctorIbbbNS0_12_GLOBAL__N_116CompareEqFunctorIbEEEESt5arrayIPcLm3EELi4E23TrivialOffsetCalculatorILi2EjESA_ILi1EjENS0_6memory15LoadWithoutCastENSD_16StoreWithoutCastEEEviT_T0_T2_T3_T4_T5_
	.p2align	8
	.type	_ZN2at6native27unrolled_elementwise_kernelINS0_13BinaryFunctorIbbbNS0_12_GLOBAL__N_116CompareEqFunctorIbEEEESt5arrayIPcLm3EELi4E23TrivialOffsetCalculatorILi2EjESA_ILi1EjENS0_6memory15LoadWithoutCastENSD_16StoreWithoutCastEEEviT_T0_T2_T3_T4_T5_,@function
_ZN2at6native27unrolled_elementwise_kernelINS0_13BinaryFunctorIbbbNS0_12_GLOBAL__N_116CompareEqFunctorIbEEEESt5arrayIPcLm3EELi4E23TrivialOffsetCalculatorILi2EjESA_ILi1EjENS0_6memory15LoadWithoutCastENSD_16StoreWithoutCastEEEviT_T0_T2_T3_T4_T5_: ; @_ZN2at6native27unrolled_elementwise_kernelINS0_13BinaryFunctorIbbbNS0_12_GLOBAL__N_116CompareEqFunctorIbEEEESt5arrayIPcLm3EELi4E23TrivialOffsetCalculatorILi2EjESA_ILi1EjENS0_6memory15LoadWithoutCastENSD_16StoreWithoutCastEEEviT_T0_T2_T3_T4_T5_
; %bb.0:
	s_load_b64 s[2:3], s[0:1], 0x0
	s_bfe_u32 s10, ttmp6, 0x4000c
	s_clause 0x1
	s_load_b128 s[4:7], s[0:1], 0x8
	s_load_b64 s[8:9], s[0:1], 0x18
	s_add_co_i32 s10, s10, 1
	s_wait_xcnt 0x0
	s_and_b32 s0, ttmp6, 15
	s_mul_i32 s1, ttmp9, s10
	s_getreg_b32 s10, hwreg(HW_REG_IB_STS2, 6, 4)
	s_add_co_i32 s0, s0, s1
	s_cmp_eq_u32 s10, 0
	v_or_b32_e32 v1, 0x100, v0
	s_cselect_b32 s0, ttmp9, s0
	s_mov_b32 s11, 0
	s_lshl_b32 s10, s0, 10
	s_delay_alu instid0(SALU_CYCLE_1) | instskip(SKIP_3) | instid1(SALU_CYCLE_1)
	v_dual_mov_b32 v3, v0 :: v_dual_bitop2_b32 v2, s10, v0 bitop3:0x54
	s_mov_b32 s12, 0
	s_wait_kmcnt 0x0
	s_sub_co_i32 s2, s2, s10
	v_cmp_gt_i32_e32 vcc_lo, s2, v0
	s_and_saveexec_b32 s13, vcc_lo
	s_cbranch_execz .LBB212_2
; %bb.1:
	s_clause 0x1
	global_load_u8 v3, v2, s[6:7]
	global_load_u8 v4, v2, s[8:9]
	s_wait_loadcnt 0x1
	v_cmp_ne_u16_e64 s0, 0, v3
	s_wait_loadcnt 0x0
	v_cmp_ne_u16_e64 s1, 0, v4
	v_or_b32_e32 v3, 0x100, v0
	s_xor_b32 s0, s0, s1
	s_delay_alu instid0(SALU_CYCLE_1)
	s_and_b32 s12, s0, exec_lo
.LBB212_2:
	s_or_b32 exec_lo, exec_lo, s13
	s_delay_alu instid0(SALU_CYCLE_1)
	s_mov_b32 s13, exec_lo
	v_cmpx_gt_i32_e64 s2, v3
	s_cbranch_execz .LBB212_4
; %bb.3:
	v_add_nc_u32_e32 v4, s10, v3
	v_add_nc_u32_e32 v3, 0x100, v3
	s_clause 0x1
	global_load_u8 v5, v4, s[6:7]
	global_load_u8 v6, v4, s[8:9]
	s_wait_loadcnt 0x1
	v_cmp_ne_u16_e64 s0, 0, v5
	s_wait_loadcnt 0x0
	v_cmp_ne_u16_e64 s1, 0, v6
	s_xor_b32 s0, s0, s1
	s_delay_alu instid0(SALU_CYCLE_1)
	s_and_b32 s11, s0, exec_lo
.LBB212_4:
	s_or_b32 exec_lo, exec_lo, s13
	s_mov_b32 s13, 0
	s_mov_b32 s14, 0
	s_mov_b32 s15, exec_lo
	v_cmpx_gt_i32_e64 s2, v3
	s_cbranch_execz .LBB212_6
; %bb.5:
	v_add_nc_u32_e32 v4, s10, v3
	v_add_nc_u32_e32 v3, 0x100, v3
	s_clause 0x1
	global_load_u8 v5, v4, s[6:7]
	global_load_u8 v6, v4, s[8:9]
	s_wait_loadcnt 0x1
	v_cmp_ne_u16_e64 s0, 0, v5
	s_wait_loadcnt 0x0
	v_cmp_ne_u16_e64 s1, 0, v6
	s_xor_b32 s0, s0, s1
	s_delay_alu instid0(SALU_CYCLE_1)
	s_and_b32 s14, s0, exec_lo
.LBB212_6:
	s_or_b32 exec_lo, exec_lo, s15
	s_delay_alu instid0(SALU_CYCLE_1)
	s_mov_b32 s15, exec_lo
	v_cmpx_gt_i32_e64 s2, v3
	s_cbranch_execz .LBB212_8
; %bb.7:
	v_add_nc_u32_e32 v3, s10, v3
	s_clause 0x1
	global_load_u8 v4, v3, s[6:7]
	global_load_u8 v5, v3, s[8:9]
	s_wait_loadcnt 0x1
	v_cmp_ne_u16_e64 s0, 0, v4
	s_wait_loadcnt 0x0
	v_cmp_ne_u16_e64 s1, 0, v5
	s_xor_b32 s0, s0, s1
	s_delay_alu instid0(SALU_CYCLE_1)
	s_and_b32 s13, s0, exec_lo
.LBB212_8:
	s_or_b32 exec_lo, exec_lo, s15
	s_cmp_eq_u32 s3, 0
	s_cselect_b32 s1, -1, 0
	s_delay_alu instid0(SALU_CYCLE_1) | instskip(NEXT) | instid1(SALU_CYCLE_1)
	s_xor_b32 s0, s1, s12
	v_cndmask_b32_e64 v3, 0, 1, s0
	s_xor_b32 s0, s1, s11
	s_delay_alu instid0(SALU_CYCLE_1) | instskip(SKIP_1) | instid1(SALU_CYCLE_1)
	v_cndmask_b32_e64 v4, 0, 1, s0
	s_xor_b32 s0, s1, s14
	v_cndmask_b32_e64 v5, 0, 1, s0
	v_cndmask_b32_e32 v3, 0, v3, vcc_lo
	s_delay_alu instid0(VALU_DEP_3) | instskip(SKIP_1) | instid1(VALU_DEP_2)
	v_lshlrev_b16 v4, 8, v4
	v_cmp_gt_i32_e64 s0, s2, v1
	v_dual_lshlrev_b32 v5, 16, v5 :: v_dual_bitop2_b32 v4, v3, v4 bitop3:0x54
	s_delay_alu instid0(VALU_DEP_1) | instskip(NEXT) | instid1(VALU_DEP_1)
	v_and_b32_e32 v4, 0xffff, v4
	v_cndmask_b32_e64 v3, v3, v4, s0
	v_or_b32_e32 v4, 0x200, v0
	s_delay_alu instid0(VALU_DEP_2) | instskip(NEXT) | instid1(VALU_DEP_2)
	v_or_b32_e32 v5, v3, v5
	v_cmp_gt_i32_e64 s0, s2, v4
	s_delay_alu instid0(VALU_DEP_1) | instskip(SKIP_1) | instid1(SALU_CYCLE_1)
	v_cndmask_b32_e64 v3, v3, v5, s0
	s_xor_b32 s0, s1, s13
	v_cndmask_b32_e64 v4, 0, 1, s0
	s_delay_alu instid0(VALU_DEP_2) | instskip(NEXT) | instid1(VALU_DEP_2)
	v_lshrrev_b32_e32 v5, 16, v3
	v_lshlrev_b16 v4, 8, v4
	s_delay_alu instid0(VALU_DEP_1) | instskip(SKIP_1) | instid1(VALU_DEP_2)
	v_bitop3_b16 v4, v5, v4, 0xff bitop3:0xec
	v_or_b32_e32 v5, 0x300, v0
	v_lshlrev_b32_e32 v4, 16, v4
	s_delay_alu instid0(VALU_DEP_2) | instskip(NEXT) | instid1(VALU_DEP_2)
	v_cmp_gt_i32_e64 s0, s2, v5
	v_and_or_b32 v4, 0xffff, v3, v4
	s_delay_alu instid0(VALU_DEP_1)
	v_cndmask_b32_e64 v3, v3, v4, s0
	s_and_saveexec_b32 s0, vcc_lo
	s_cbranch_execnz .LBB212_13
; %bb.9:
	s_or_b32 exec_lo, exec_lo, s0
	s_delay_alu instid0(SALU_CYCLE_1)
	s_mov_b32 s0, exec_lo
	v_cmpx_gt_i32_e64 s2, v0
	s_cbranch_execnz .LBB212_14
.LBB212_10:
	s_or_b32 exec_lo, exec_lo, s0
	s_delay_alu instid0(SALU_CYCLE_1)
	s_mov_b32 s0, exec_lo
	v_cmpx_gt_i32_e64 s2, v0
	s_cbranch_execnz .LBB212_15
.LBB212_11:
	s_or_b32 exec_lo, exec_lo, s0
	s_delay_alu instid0(SALU_CYCLE_1)
	s_mov_b32 s0, exec_lo
	v_cmpx_gt_i32_e64 s2, v0
	s_cbranch_execnz .LBB212_16
.LBB212_12:
	s_endpgm
.LBB212_13:
	v_mov_b32_e32 v0, v1
	global_store_b8 v2, v3, s[4:5]
	s_wait_xcnt 0x0
	s_or_b32 exec_lo, exec_lo, s0
	s_delay_alu instid0(SALU_CYCLE_1)
	s_mov_b32 s0, exec_lo
	v_cmpx_gt_i32_e64 s2, v0
	s_cbranch_execz .LBB212_10
.LBB212_14:
	v_add_nc_u32_e32 v1, 0x100, v0
	v_dual_add_nc_u32 v2, s10, v0 :: v_dual_lshrrev_b32 v4, 8, v3
	s_delay_alu instid0(VALU_DEP_2) | instskip(SKIP_3) | instid1(SALU_CYCLE_1)
	v_mov_b32_e32 v0, v1
	global_store_b8 v2, v4, s[4:5]
	s_wait_xcnt 0x0
	s_or_b32 exec_lo, exec_lo, s0
	s_mov_b32 s0, exec_lo
	v_cmpx_gt_i32_e64 s2, v0
	s_cbranch_execz .LBB212_11
.LBB212_15:
	v_add_nc_u32_e32 v1, 0x100, v0
	s_delay_alu instid0(VALU_DEP_1) | instskip(SKIP_3) | instid1(SALU_CYCLE_1)
	v_dual_add_nc_u32 v2, s10, v0 :: v_dual_mov_b32 v0, v1
	global_store_d16_hi_b8 v2, v3, s[4:5]
	s_wait_xcnt 0x0
	s_or_b32 exec_lo, exec_lo, s0
	s_mov_b32 s0, exec_lo
	v_cmpx_gt_i32_e64 s2, v0
	s_cbranch_execz .LBB212_12
.LBB212_16:
	v_dual_add_nc_u32 v0, s10, v0 :: v_dual_lshrrev_b32 v1, 24, v3
	global_store_b8 v0, v1, s[4:5]
	s_endpgm
	.section	.rodata,"a",@progbits
	.p2align	6, 0x0
	.amdhsa_kernel _ZN2at6native27unrolled_elementwise_kernelINS0_13BinaryFunctorIbbbNS0_12_GLOBAL__N_116CompareEqFunctorIbEEEESt5arrayIPcLm3EELi4E23TrivialOffsetCalculatorILi2EjESA_ILi1EjENS0_6memory15LoadWithoutCastENSD_16StoreWithoutCastEEEviT_T0_T2_T3_T4_T5_
		.amdhsa_group_segment_fixed_size 0
		.amdhsa_private_segment_fixed_size 0
		.amdhsa_kernarg_size 36
		.amdhsa_user_sgpr_count 2
		.amdhsa_user_sgpr_dispatch_ptr 0
		.amdhsa_user_sgpr_queue_ptr 0
		.amdhsa_user_sgpr_kernarg_segment_ptr 1
		.amdhsa_user_sgpr_dispatch_id 0
		.amdhsa_user_sgpr_kernarg_preload_length 0
		.amdhsa_user_sgpr_kernarg_preload_offset 0
		.amdhsa_user_sgpr_private_segment_size 0
		.amdhsa_wavefront_size32 1
		.amdhsa_uses_dynamic_stack 0
		.amdhsa_enable_private_segment 0
		.amdhsa_system_sgpr_workgroup_id_x 1
		.amdhsa_system_sgpr_workgroup_id_y 0
		.amdhsa_system_sgpr_workgroup_id_z 0
		.amdhsa_system_sgpr_workgroup_info 0
		.amdhsa_system_vgpr_workitem_id 0
		.amdhsa_next_free_vgpr 7
		.amdhsa_next_free_sgpr 16
		.amdhsa_named_barrier_count 0
		.amdhsa_reserve_vcc 1
		.amdhsa_float_round_mode_32 0
		.amdhsa_float_round_mode_16_64 0
		.amdhsa_float_denorm_mode_32 3
		.amdhsa_float_denorm_mode_16_64 3
		.amdhsa_fp16_overflow 0
		.amdhsa_memory_ordered 1
		.amdhsa_forward_progress 1
		.amdhsa_inst_pref_size 8
		.amdhsa_round_robin_scheduling 0
		.amdhsa_exception_fp_ieee_invalid_op 0
		.amdhsa_exception_fp_denorm_src 0
		.amdhsa_exception_fp_ieee_div_zero 0
		.amdhsa_exception_fp_ieee_overflow 0
		.amdhsa_exception_fp_ieee_underflow 0
		.amdhsa_exception_fp_ieee_inexact 0
		.amdhsa_exception_int_div_zero 0
	.end_amdhsa_kernel
	.section	.text._ZN2at6native27unrolled_elementwise_kernelINS0_13BinaryFunctorIbbbNS0_12_GLOBAL__N_116CompareEqFunctorIbEEEESt5arrayIPcLm3EELi4E23TrivialOffsetCalculatorILi2EjESA_ILi1EjENS0_6memory15LoadWithoutCastENSD_16StoreWithoutCastEEEviT_T0_T2_T3_T4_T5_,"axG",@progbits,_ZN2at6native27unrolled_elementwise_kernelINS0_13BinaryFunctorIbbbNS0_12_GLOBAL__N_116CompareEqFunctorIbEEEESt5arrayIPcLm3EELi4E23TrivialOffsetCalculatorILi2EjESA_ILi1EjENS0_6memory15LoadWithoutCastENSD_16StoreWithoutCastEEEviT_T0_T2_T3_T4_T5_,comdat
.Lfunc_end212:
	.size	_ZN2at6native27unrolled_elementwise_kernelINS0_13BinaryFunctorIbbbNS0_12_GLOBAL__N_116CompareEqFunctorIbEEEESt5arrayIPcLm3EELi4E23TrivialOffsetCalculatorILi2EjESA_ILi1EjENS0_6memory15LoadWithoutCastENSD_16StoreWithoutCastEEEviT_T0_T2_T3_T4_T5_, .Lfunc_end212-_ZN2at6native27unrolled_elementwise_kernelINS0_13BinaryFunctorIbbbNS0_12_GLOBAL__N_116CompareEqFunctorIbEEEESt5arrayIPcLm3EELi4E23TrivialOffsetCalculatorILi2EjESA_ILi1EjENS0_6memory15LoadWithoutCastENSD_16StoreWithoutCastEEEviT_T0_T2_T3_T4_T5_
                                        ; -- End function
	.set _ZN2at6native27unrolled_elementwise_kernelINS0_13BinaryFunctorIbbbNS0_12_GLOBAL__N_116CompareEqFunctorIbEEEESt5arrayIPcLm3EELi4E23TrivialOffsetCalculatorILi2EjESA_ILi1EjENS0_6memory15LoadWithoutCastENSD_16StoreWithoutCastEEEviT_T0_T2_T3_T4_T5_.num_vgpr, 7
	.set _ZN2at6native27unrolled_elementwise_kernelINS0_13BinaryFunctorIbbbNS0_12_GLOBAL__N_116CompareEqFunctorIbEEEESt5arrayIPcLm3EELi4E23TrivialOffsetCalculatorILi2EjESA_ILi1EjENS0_6memory15LoadWithoutCastENSD_16StoreWithoutCastEEEviT_T0_T2_T3_T4_T5_.num_agpr, 0
	.set _ZN2at6native27unrolled_elementwise_kernelINS0_13BinaryFunctorIbbbNS0_12_GLOBAL__N_116CompareEqFunctorIbEEEESt5arrayIPcLm3EELi4E23TrivialOffsetCalculatorILi2EjESA_ILi1EjENS0_6memory15LoadWithoutCastENSD_16StoreWithoutCastEEEviT_T0_T2_T3_T4_T5_.numbered_sgpr, 16
	.set _ZN2at6native27unrolled_elementwise_kernelINS0_13BinaryFunctorIbbbNS0_12_GLOBAL__N_116CompareEqFunctorIbEEEESt5arrayIPcLm3EELi4E23TrivialOffsetCalculatorILi2EjESA_ILi1EjENS0_6memory15LoadWithoutCastENSD_16StoreWithoutCastEEEviT_T0_T2_T3_T4_T5_.num_named_barrier, 0
	.set _ZN2at6native27unrolled_elementwise_kernelINS0_13BinaryFunctorIbbbNS0_12_GLOBAL__N_116CompareEqFunctorIbEEEESt5arrayIPcLm3EELi4E23TrivialOffsetCalculatorILi2EjESA_ILi1EjENS0_6memory15LoadWithoutCastENSD_16StoreWithoutCastEEEviT_T0_T2_T3_T4_T5_.private_seg_size, 0
	.set _ZN2at6native27unrolled_elementwise_kernelINS0_13BinaryFunctorIbbbNS0_12_GLOBAL__N_116CompareEqFunctorIbEEEESt5arrayIPcLm3EELi4E23TrivialOffsetCalculatorILi2EjESA_ILi1EjENS0_6memory15LoadWithoutCastENSD_16StoreWithoutCastEEEviT_T0_T2_T3_T4_T5_.uses_vcc, 1
	.set _ZN2at6native27unrolled_elementwise_kernelINS0_13BinaryFunctorIbbbNS0_12_GLOBAL__N_116CompareEqFunctorIbEEEESt5arrayIPcLm3EELi4E23TrivialOffsetCalculatorILi2EjESA_ILi1EjENS0_6memory15LoadWithoutCastENSD_16StoreWithoutCastEEEviT_T0_T2_T3_T4_T5_.uses_flat_scratch, 0
	.set _ZN2at6native27unrolled_elementwise_kernelINS0_13BinaryFunctorIbbbNS0_12_GLOBAL__N_116CompareEqFunctorIbEEEESt5arrayIPcLm3EELi4E23TrivialOffsetCalculatorILi2EjESA_ILi1EjENS0_6memory15LoadWithoutCastENSD_16StoreWithoutCastEEEviT_T0_T2_T3_T4_T5_.has_dyn_sized_stack, 0
	.set _ZN2at6native27unrolled_elementwise_kernelINS0_13BinaryFunctorIbbbNS0_12_GLOBAL__N_116CompareEqFunctorIbEEEESt5arrayIPcLm3EELi4E23TrivialOffsetCalculatorILi2EjESA_ILi1EjENS0_6memory15LoadWithoutCastENSD_16StoreWithoutCastEEEviT_T0_T2_T3_T4_T5_.has_recursion, 0
	.set _ZN2at6native27unrolled_elementwise_kernelINS0_13BinaryFunctorIbbbNS0_12_GLOBAL__N_116CompareEqFunctorIbEEEESt5arrayIPcLm3EELi4E23TrivialOffsetCalculatorILi2EjESA_ILi1EjENS0_6memory15LoadWithoutCastENSD_16StoreWithoutCastEEEviT_T0_T2_T3_T4_T5_.has_indirect_call, 0
	.section	.AMDGPU.csdata,"",@progbits
; Kernel info:
; codeLenInByte = 1012
; TotalNumSgprs: 18
; NumVgprs: 7
; ScratchSize: 0
; MemoryBound: 0
; FloatMode: 240
; IeeeMode: 1
; LDSByteSize: 0 bytes/workgroup (compile time only)
; SGPRBlocks: 0
; VGPRBlocks: 0
; NumSGPRsForWavesPerEU: 18
; NumVGPRsForWavesPerEU: 7
; NamedBarCnt: 0
; Occupancy: 16
; WaveLimiterHint : 0
; COMPUTE_PGM_RSRC2:SCRATCH_EN: 0
; COMPUTE_PGM_RSRC2:USER_SGPR: 2
; COMPUTE_PGM_RSRC2:TRAP_HANDLER: 0
; COMPUTE_PGM_RSRC2:TGID_X_EN: 1
; COMPUTE_PGM_RSRC2:TGID_Y_EN: 0
; COMPUTE_PGM_RSRC2:TGID_Z_EN: 0
; COMPUTE_PGM_RSRC2:TIDIG_COMP_CNT: 0
	.section	.text._ZN2at6native32elementwise_kernel_manual_unrollILi128ELi8EZNS0_22gpu_kernel_impl_nocastINS0_13BinaryFunctorIbbbNS0_12_GLOBAL__N_116CompareEqFunctorIbEEEEEEvRNS_18TensorIteratorBaseERKT_EUlibE_EEviT1_,"axG",@progbits,_ZN2at6native32elementwise_kernel_manual_unrollILi128ELi8EZNS0_22gpu_kernel_impl_nocastINS0_13BinaryFunctorIbbbNS0_12_GLOBAL__N_116CompareEqFunctorIbEEEEEEvRNS_18TensorIteratorBaseERKT_EUlibE_EEviT1_,comdat
	.globl	_ZN2at6native32elementwise_kernel_manual_unrollILi128ELi8EZNS0_22gpu_kernel_impl_nocastINS0_13BinaryFunctorIbbbNS0_12_GLOBAL__N_116CompareEqFunctorIbEEEEEEvRNS_18TensorIteratorBaseERKT_EUlibE_EEviT1_ ; -- Begin function _ZN2at6native32elementwise_kernel_manual_unrollILi128ELi8EZNS0_22gpu_kernel_impl_nocastINS0_13BinaryFunctorIbbbNS0_12_GLOBAL__N_116CompareEqFunctorIbEEEEEEvRNS_18TensorIteratorBaseERKT_EUlibE_EEviT1_
	.p2align	8
	.type	_ZN2at6native32elementwise_kernel_manual_unrollILi128ELi8EZNS0_22gpu_kernel_impl_nocastINS0_13BinaryFunctorIbbbNS0_12_GLOBAL__N_116CompareEqFunctorIbEEEEEEvRNS_18TensorIteratorBaseERKT_EUlibE_EEviT1_,@function
_ZN2at6native32elementwise_kernel_manual_unrollILi128ELi8EZNS0_22gpu_kernel_impl_nocastINS0_13BinaryFunctorIbbbNS0_12_GLOBAL__N_116CompareEqFunctorIbEEEEEEvRNS_18TensorIteratorBaseERKT_EUlibE_EEviT1_: ; @_ZN2at6native32elementwise_kernel_manual_unrollILi128ELi8EZNS0_22gpu_kernel_impl_nocastINS0_13BinaryFunctorIbbbNS0_12_GLOBAL__N_116CompareEqFunctorIbEEEEEEvRNS_18TensorIteratorBaseERKT_EUlibE_EEviT1_
; %bb.0:
	s_clause 0x1
	s_load_b32 s26, s[0:1], 0x8
	s_load_b32 s33, s[0:1], 0x0
	s_bfe_u32 s2, ttmp6, 0x4000c
	s_and_b32 s3, ttmp6, 15
	s_add_co_i32 s2, s2, 1
	s_getreg_b32 s4, hwreg(HW_REG_IB_STS2, 6, 4)
	s_mul_i32 s2, ttmp9, s2
	s_add_nc_u64 s[20:21], s[0:1], 8
	s_add_co_i32 s3, s3, s2
	s_cmp_eq_u32 s4, 0
	s_wait_xcnt 0x0
	s_mov_b32 s0, exec_lo
	s_cselect_b32 s2, ttmp9, s3
	s_mov_b32 s3, 0
	v_lshl_or_b32 v0, s2, 10, v0
	s_delay_alu instid0(VALU_DEP_1) | instskip(SKIP_2) | instid1(SALU_CYCLE_1)
	v_or_b32_e32 v4, 0x380, v0
	s_wait_kmcnt 0x0
	s_add_co_i32 s27, s26, -1
	s_cmp_gt_u32 s27, 1
	s_cselect_b32 s28, -1, 0
	v_cmpx_le_i32_e64 s33, v4
	s_xor_b32 s29, exec_lo, s0
	s_cbranch_execz .LBB213_106
; %bb.1:
	s_clause 0x5
	s_load_b128 s[8:11], s[20:21], 0x4
	s_load_b64 s[0:1], s[20:21], 0x14
	s_load_b96 s[16:18], s[20:21], 0x198
	s_load_b128 s[12:15], s[20:21], 0xc4
	s_load_b64 s[22:23], s[20:21], 0xd4
	s_load_b128 s[4:7], s[20:21], 0x188
	s_cmp_lg_u32 s26, 0
	s_mov_b32 s25, s3
	s_cselect_b32 s34, -1, 0
	s_min_u32 s31, s27, 15
	s_cmp_gt_u32 s26, 1
	s_mov_b32 s35, exec_lo
	s_cselect_b32 s30, -1, 0
	s_wait_kmcnt 0x0
	s_mov_b32 s2, s9
	s_mov_b32 s24, s0
	s_cmp_eq_u32 s18, 0
	s_cselect_b32 s9, -1, 0
	v_cmpx_gt_i32_e64 s33, v0
	s_cbranch_execnz .LBB213_9
; %bb.2:
	s_or_b32 exec_lo, exec_lo, s35
	s_delay_alu instid0(SALU_CYCLE_1)
	s_mov_b32 s35, exec_lo
	v_cmpx_gt_i32_e64 s33, v0
	s_cbranch_execnz .LBB213_21
.LBB213_3:
	s_or_b32 exec_lo, exec_lo, s35
	s_delay_alu instid0(SALU_CYCLE_1)
	s_mov_b32 s35, exec_lo
	v_cmpx_gt_i32_e64 s33, v0
	s_cbranch_execnz .LBB213_33
.LBB213_4:
	s_or_b32 exec_lo, exec_lo, s35
	s_delay_alu instid0(SALU_CYCLE_1)
	s_mov_b32 s35, exec_lo
	v_cmpx_gt_i32_e64 s33, v0
	s_cbranch_execnz .LBB213_45
.LBB213_5:
	s_or_b32 exec_lo, exec_lo, s35
	s_delay_alu instid0(SALU_CYCLE_1)
	s_mov_b32 s35, exec_lo
	v_cmpx_gt_i32_e64 s33, v0
	s_cbranch_execnz .LBB213_57
.LBB213_6:
	s_or_b32 exec_lo, exec_lo, s35
	s_delay_alu instid0(SALU_CYCLE_1)
	s_mov_b32 s35, exec_lo
	v_cmpx_gt_i32_e64 s33, v0
	s_cbranch_execnz .LBB213_69
.LBB213_7:
	s_or_b32 exec_lo, exec_lo, s35
	s_delay_alu instid0(SALU_CYCLE_1)
	s_mov_b32 s35, exec_lo
	v_cmpx_gt_i32_e64 s33, v0
	s_cbranch_execnz .LBB213_81
.LBB213_8:
	s_or_b32 exec_lo, exec_lo, s35
	v_cmp_gt_i32_e32 vcc_lo, s33, v0
	s_and_saveexec_b32 s33, vcc_lo
	s_cbranch_execnz .LBB213_93
	s_branch .LBB213_105
.LBB213_9:
	s_and_not1_b32 vcc_lo, exec_lo, s28
	s_cbranch_vccnz .LBB213_15
; %bb.10:
	s_and_not1_b32 vcc_lo, exec_lo, s34
	s_cbranch_vccnz .LBB213_16
; %bb.11:
	v_dual_mov_b32 v4, 0 :: v_dual_mov_b32 v1, v0
	v_dual_mov_b32 v6, 0 :: v_dual_mov_b32 v5, 0
	s_add_co_i32 s0, s31, 1
	s_mov_b64 s[18:19], 0xffffffffffffffe8
	s_and_b32 s0, s0, 30
	s_add_nc_u64 s[18:19], s[20:21], s[18:19]
.LBB213_12:                             ; =>This Inner Loop Header: Depth=1
	s_clause 0x1
	s_load_b128 s[36:39], s[18:19], 0x1c
	s_load_b64 s[44:45], s[18:19], 0x2c
	s_add_co_i32 s0, s0, -2
	s_delay_alu instid0(SALU_CYCLE_1) | instskip(SKIP_2) | instid1(VALU_DEP_1)
	s_cmp_lg_u32 s0, 0
	s_wait_kmcnt 0x0
	v_mul_hi_u32 v2, s37, v1
	v_add_nc_u32_e32 v2, v1, v2
	s_delay_alu instid0(VALU_DEP_1) | instskip(NEXT) | instid1(VALU_DEP_1)
	v_lshrrev_b32_e32 v2, s38, v2
	v_mul_hi_u32 v3, s44, v2
	v_mul_lo_u32 v7, v2, s36
	s_clause 0x1
	s_load_b128 s[40:43], s[18:19], 0xdc
	s_load_b64 s[36:37], s[18:19], 0xec
	s_wait_xcnt 0x0
	s_add_nc_u64 s[18:19], s[18:19], 24
	s_delay_alu instid0(VALU_DEP_2) | instskip(NEXT) | instid1(VALU_DEP_2)
	v_add_nc_u32_e32 v3, v2, v3
	v_sub_nc_u32_e32 v7, v1, v7
	s_delay_alu instid0(VALU_DEP_2) | instskip(SKIP_1) | instid1(VALU_DEP_2)
	v_lshrrev_b32_e32 v1, s45, v3
	s_wait_kmcnt 0x0
	v_mad_u32 v4, v7, s40, v4
	s_delay_alu instid0(VALU_DEP_2) | instskip(SKIP_2) | instid1(VALU_DEP_3)
	v_mul_lo_u32 v3, v1, s39
	v_mad_u32 v5, v7, s42, v5
	v_mad_u32 v6, v7, s41, v6
	v_sub_nc_u32_e32 v2, v2, v3
	s_delay_alu instid0(VALU_DEP_1) | instskip(NEXT) | instid1(VALU_DEP_4)
	v_mad_u32 v4, v2, s43, v4
	v_mad_u32 v5, v2, s37, v5
	s_delay_alu instid0(VALU_DEP_4)
	v_mad_u32 v6, v2, s36, v6
	s_cbranch_scc1 .LBB213_12
; %bb.13:
	s_bitcmp1_b32 s31, 0
	s_cselect_b32 s0, -1, 0
	s_delay_alu instid0(SALU_CYCLE_1)
	s_and_b32 vcc_lo, exec_lo, s0
	s_cbranch_vccnz .LBB213_17
; %bb.14:
	s_clause 0x1
	s_load_b96 s[36:38], s[18:19], 0x1c
	s_load_b96 s[40:42], s[18:19], 0xdc
	s_wait_kmcnt 0x0
	v_mul_hi_u32 v2, s37, v1
	s_delay_alu instid0(VALU_DEP_1) | instskip(NEXT) | instid1(VALU_DEP_1)
	v_add_nc_u32_e32 v2, v1, v2
	v_lshrrev_b32_e32 v2, s38, v2
	s_delay_alu instid0(VALU_DEP_1) | instskip(NEXT) | instid1(VALU_DEP_1)
	v_mul_lo_u32 v2, v2, s36
	v_sub_nc_u32_e32 v1, v1, v2
	s_delay_alu instid0(VALU_DEP_1)
	v_mad_u32 v4, v1, s40, v4
	v_mad_u32 v6, v1, s41, v6
	;; [unrolled: 1-line block ×3, first 2 shown]
	s_cbranch_execz .LBB213_18
	s_branch .LBB213_20
.LBB213_15:
                                        ; implicit-def: $vgpr5
                                        ; implicit-def: $vgpr6
                                        ; implicit-def: $vgpr4
	s_branch .LBB213_18
.LBB213_16:
	v_dual_mov_b32 v5, 0 :: v_dual_mov_b32 v6, 0
	v_mov_b32_e32 v4, 0
.LBB213_17:
	s_cbranch_execnz .LBB213_20
.LBB213_18:
	v_mov_b32_e32 v1, 0
	s_and_not1_b32 vcc_lo, exec_lo, s30
	s_delay_alu instid0(VALU_DEP_1) | instskip(NEXT) | instid1(VALU_DEP_1)
	v_mul_u64_e32 v[2:3], s[2:3], v[0:1]
	v_add_nc_u32_e32 v2, v0, v3
	s_delay_alu instid0(VALU_DEP_1) | instskip(NEXT) | instid1(VALU_DEP_1)
	v_lshrrev_b32_e32 v2, s10, v2
	v_mul_lo_u32 v3, v2, s8
	s_delay_alu instid0(VALU_DEP_1) | instskip(NEXT) | instid1(VALU_DEP_1)
	v_sub_nc_u32_e32 v3, v0, v3
	v_mul_lo_u32 v4, v3, s12
	v_mul_lo_u32 v5, v3, s14
	;; [unrolled: 1-line block ×3, first 2 shown]
	s_cbranch_vccnz .LBB213_20
; %bb.19:
	v_mov_b32_e32 v3, v1
	s_delay_alu instid0(VALU_DEP_1) | instskip(NEXT) | instid1(VALU_DEP_1)
	v_mul_u64_e32 v[8:9], s[24:25], v[2:3]
	v_add_nc_u32_e32 v1, v2, v9
	s_delay_alu instid0(VALU_DEP_1) | instskip(NEXT) | instid1(VALU_DEP_1)
	v_lshrrev_b32_e32 v1, s1, v1
	v_mul_lo_u32 v1, v1, s11
	s_delay_alu instid0(VALU_DEP_1) | instskip(NEXT) | instid1(VALU_DEP_1)
	v_sub_nc_u32_e32 v1, v2, v1
	v_mad_u32 v4, v1, s15, v4
	v_mad_u32 v6, v1, s22, v6
	;; [unrolled: 1-line block ×3, first 2 shown]
.LBB213_20:
	global_load_u8 v1, v6, s[6:7]
	global_load_u8 v2, v5, s[16:17]
	v_add_nc_u32_e32 v0, 0x80, v0
	s_wait_loadcnt 0x1
	v_cmp_ne_u16_e32 vcc_lo, 0, v1
	s_wait_loadcnt 0x0
	v_cmp_ne_u16_e64 s0, 0, v2
	s_xor_b32 s0, vcc_lo, s0
	s_delay_alu instid0(SALU_CYCLE_1) | instskip(NEXT) | instid1(SALU_CYCLE_1)
	s_xor_b32 s0, s9, s0
	v_cndmask_b32_e64 v1, 0, 1, s0
	global_store_b8 v4, v1, s[4:5]
	s_wait_xcnt 0x0
	s_or_b32 exec_lo, exec_lo, s35
	s_delay_alu instid0(SALU_CYCLE_1)
	s_mov_b32 s35, exec_lo
	v_cmpx_gt_i32_e64 s33, v0
	s_cbranch_execz .LBB213_3
.LBB213_21:
	s_and_not1_b32 vcc_lo, exec_lo, s28
	s_cbranch_vccnz .LBB213_27
; %bb.22:
	s_and_not1_b32 vcc_lo, exec_lo, s34
	s_cbranch_vccnz .LBB213_28
; %bb.23:
	v_dual_mov_b32 v4, 0 :: v_dual_mov_b32 v1, v0
	v_dual_mov_b32 v6, 0 :: v_dual_mov_b32 v5, 0
	s_add_co_i32 s0, s31, 1
	s_mov_b64 s[18:19], 0xffffffffffffffe8
	s_and_b32 s0, s0, 30
	s_add_nc_u64 s[18:19], s[20:21], s[18:19]
.LBB213_24:                             ; =>This Inner Loop Header: Depth=1
	s_clause 0x1
	s_load_b128 s[36:39], s[18:19], 0x1c
	s_load_b64 s[44:45], s[18:19], 0x2c
	s_add_co_i32 s0, s0, -2
	s_delay_alu instid0(SALU_CYCLE_1) | instskip(SKIP_2) | instid1(VALU_DEP_1)
	s_cmp_eq_u32 s0, 0
	s_wait_kmcnt 0x0
	v_mul_hi_u32 v2, s37, v1
	v_add_nc_u32_e32 v2, v1, v2
	s_delay_alu instid0(VALU_DEP_1) | instskip(NEXT) | instid1(VALU_DEP_1)
	v_lshrrev_b32_e32 v2, s38, v2
	v_mul_hi_u32 v3, s44, v2
	v_mul_lo_u32 v7, v2, s36
	s_clause 0x1
	s_load_b128 s[40:43], s[18:19], 0xdc
	s_load_b64 s[36:37], s[18:19], 0xec
	s_wait_xcnt 0x0
	s_add_nc_u64 s[18:19], s[18:19], 24
	s_delay_alu instid0(VALU_DEP_2) | instskip(NEXT) | instid1(VALU_DEP_2)
	v_add_nc_u32_e32 v3, v2, v3
	v_sub_nc_u32_e32 v7, v1, v7
	s_delay_alu instid0(VALU_DEP_2) | instskip(SKIP_1) | instid1(VALU_DEP_2)
	v_lshrrev_b32_e32 v1, s45, v3
	s_wait_kmcnt 0x0
	v_mad_u32 v4, v7, s40, v4
	s_delay_alu instid0(VALU_DEP_2) | instskip(SKIP_2) | instid1(VALU_DEP_3)
	v_mul_lo_u32 v3, v1, s39
	v_mad_u32 v5, v7, s42, v5
	v_mad_u32 v6, v7, s41, v6
	v_sub_nc_u32_e32 v2, v2, v3
	s_delay_alu instid0(VALU_DEP_1) | instskip(NEXT) | instid1(VALU_DEP_4)
	v_mad_u32 v4, v2, s43, v4
	v_mad_u32 v5, v2, s37, v5
	s_delay_alu instid0(VALU_DEP_4)
	v_mad_u32 v6, v2, s36, v6
	s_cbranch_scc0 .LBB213_24
; %bb.25:
	s_bitcmp1_b32 s31, 0
	s_cselect_b32 s0, -1, 0
	s_delay_alu instid0(SALU_CYCLE_1)
	s_and_b32 vcc_lo, exec_lo, s0
	s_cbranch_vccnz .LBB213_29
; %bb.26:
	s_clause 0x1
	s_load_b96 s[36:38], s[18:19], 0x1c
	s_load_b96 s[40:42], s[18:19], 0xdc
	s_wait_kmcnt 0x0
	v_mul_hi_u32 v2, s37, v1
	s_delay_alu instid0(VALU_DEP_1) | instskip(NEXT) | instid1(VALU_DEP_1)
	v_add_nc_u32_e32 v2, v1, v2
	v_lshrrev_b32_e32 v2, s38, v2
	s_delay_alu instid0(VALU_DEP_1) | instskip(NEXT) | instid1(VALU_DEP_1)
	v_mul_lo_u32 v2, v2, s36
	v_sub_nc_u32_e32 v1, v1, v2
	s_delay_alu instid0(VALU_DEP_1)
	v_mad_u32 v4, v1, s40, v4
	v_mad_u32 v6, v1, s41, v6
	;; [unrolled: 1-line block ×3, first 2 shown]
	s_branch .LBB213_29
.LBB213_27:
                                        ; implicit-def: $vgpr5
                                        ; implicit-def: $vgpr6
                                        ; implicit-def: $vgpr4
	s_branch .LBB213_30
.LBB213_28:
	v_dual_mov_b32 v5, 0 :: v_dual_mov_b32 v6, 0
	v_mov_b32_e32 v4, 0
.LBB213_29:
	s_cbranch_execnz .LBB213_32
.LBB213_30:
	v_mov_b32_e32 v1, 0
	s_and_not1_b32 vcc_lo, exec_lo, s30
	s_delay_alu instid0(VALU_DEP_1) | instskip(NEXT) | instid1(VALU_DEP_1)
	v_mul_u64_e32 v[2:3], s[2:3], v[0:1]
	v_add_nc_u32_e32 v2, v0, v3
	s_delay_alu instid0(VALU_DEP_1) | instskip(NEXT) | instid1(VALU_DEP_1)
	v_lshrrev_b32_e32 v2, s10, v2
	v_mul_lo_u32 v3, v2, s8
	s_delay_alu instid0(VALU_DEP_1) | instskip(NEXT) | instid1(VALU_DEP_1)
	v_sub_nc_u32_e32 v3, v0, v3
	v_mul_lo_u32 v4, v3, s12
	v_mul_lo_u32 v5, v3, s14
	;; [unrolled: 1-line block ×3, first 2 shown]
	s_cbranch_vccnz .LBB213_32
; %bb.31:
	v_mov_b32_e32 v3, v1
	s_delay_alu instid0(VALU_DEP_1) | instskip(NEXT) | instid1(VALU_DEP_1)
	v_mul_u64_e32 v[8:9], s[24:25], v[2:3]
	v_add_nc_u32_e32 v1, v2, v9
	s_delay_alu instid0(VALU_DEP_1) | instskip(NEXT) | instid1(VALU_DEP_1)
	v_lshrrev_b32_e32 v1, s1, v1
	v_mul_lo_u32 v1, v1, s11
	s_delay_alu instid0(VALU_DEP_1) | instskip(NEXT) | instid1(VALU_DEP_1)
	v_sub_nc_u32_e32 v1, v2, v1
	v_mad_u32 v4, v1, s15, v4
	v_mad_u32 v6, v1, s22, v6
	v_mad_u32 v5, v1, s23, v5
.LBB213_32:
	global_load_u8 v1, v6, s[6:7]
	global_load_u8 v2, v5, s[16:17]
	v_add_nc_u32_e32 v0, 0x80, v0
	s_wait_loadcnt 0x1
	v_cmp_ne_u16_e32 vcc_lo, 0, v1
	s_wait_loadcnt 0x0
	v_cmp_ne_u16_e64 s0, 0, v2
	s_xor_b32 s0, vcc_lo, s0
	s_delay_alu instid0(SALU_CYCLE_1) | instskip(NEXT) | instid1(SALU_CYCLE_1)
	s_xor_b32 s0, s9, s0
	v_cndmask_b32_e64 v1, 0, 1, s0
	global_store_b8 v4, v1, s[4:5]
	s_wait_xcnt 0x0
	s_or_b32 exec_lo, exec_lo, s35
	s_delay_alu instid0(SALU_CYCLE_1)
	s_mov_b32 s35, exec_lo
	v_cmpx_gt_i32_e64 s33, v0
	s_cbranch_execz .LBB213_4
.LBB213_33:
	s_and_not1_b32 vcc_lo, exec_lo, s28
	s_cbranch_vccnz .LBB213_39
; %bb.34:
	s_and_not1_b32 vcc_lo, exec_lo, s34
	s_cbranch_vccnz .LBB213_40
; %bb.35:
	v_dual_mov_b32 v4, 0 :: v_dual_mov_b32 v1, v0
	v_dual_mov_b32 v6, 0 :: v_dual_mov_b32 v5, 0
	s_add_co_i32 s0, s31, 1
	s_mov_b64 s[18:19], 0xffffffffffffffe8
	s_and_b32 s0, s0, 30
	s_add_nc_u64 s[18:19], s[20:21], s[18:19]
.LBB213_36:                             ; =>This Inner Loop Header: Depth=1
	s_clause 0x1
	s_load_b128 s[36:39], s[18:19], 0x1c
	s_load_b64 s[44:45], s[18:19], 0x2c
	s_add_co_i32 s0, s0, -2
	s_delay_alu instid0(SALU_CYCLE_1) | instskip(SKIP_2) | instid1(VALU_DEP_1)
	s_cmp_eq_u32 s0, 0
	s_wait_kmcnt 0x0
	v_mul_hi_u32 v2, s37, v1
	v_add_nc_u32_e32 v2, v1, v2
	s_delay_alu instid0(VALU_DEP_1) | instskip(NEXT) | instid1(VALU_DEP_1)
	v_lshrrev_b32_e32 v2, s38, v2
	v_mul_hi_u32 v3, s44, v2
	v_mul_lo_u32 v7, v2, s36
	s_clause 0x1
	s_load_b128 s[40:43], s[18:19], 0xdc
	s_load_b64 s[36:37], s[18:19], 0xec
	s_wait_xcnt 0x0
	s_add_nc_u64 s[18:19], s[18:19], 24
	s_delay_alu instid0(VALU_DEP_2) | instskip(NEXT) | instid1(VALU_DEP_2)
	v_add_nc_u32_e32 v3, v2, v3
	v_sub_nc_u32_e32 v7, v1, v7
	s_delay_alu instid0(VALU_DEP_2) | instskip(SKIP_1) | instid1(VALU_DEP_2)
	v_lshrrev_b32_e32 v1, s45, v3
	s_wait_kmcnt 0x0
	v_mad_u32 v4, v7, s40, v4
	s_delay_alu instid0(VALU_DEP_2) | instskip(SKIP_2) | instid1(VALU_DEP_3)
	v_mul_lo_u32 v3, v1, s39
	v_mad_u32 v5, v7, s42, v5
	v_mad_u32 v6, v7, s41, v6
	v_sub_nc_u32_e32 v2, v2, v3
	s_delay_alu instid0(VALU_DEP_1) | instskip(NEXT) | instid1(VALU_DEP_4)
	v_mad_u32 v4, v2, s43, v4
	v_mad_u32 v5, v2, s37, v5
	s_delay_alu instid0(VALU_DEP_4)
	v_mad_u32 v6, v2, s36, v6
	s_cbranch_scc0 .LBB213_36
; %bb.37:
	s_bitcmp1_b32 s31, 0
	s_cselect_b32 s0, -1, 0
	s_delay_alu instid0(SALU_CYCLE_1)
	s_and_b32 vcc_lo, exec_lo, s0
	s_cbranch_vccnz .LBB213_41
; %bb.38:
	s_clause 0x1
	s_load_b96 s[36:38], s[18:19], 0x1c
	s_load_b96 s[40:42], s[18:19], 0xdc
	s_wait_kmcnt 0x0
	v_mul_hi_u32 v2, s37, v1
	s_delay_alu instid0(VALU_DEP_1) | instskip(NEXT) | instid1(VALU_DEP_1)
	v_add_nc_u32_e32 v2, v1, v2
	v_lshrrev_b32_e32 v2, s38, v2
	s_delay_alu instid0(VALU_DEP_1) | instskip(NEXT) | instid1(VALU_DEP_1)
	v_mul_lo_u32 v2, v2, s36
	v_sub_nc_u32_e32 v1, v1, v2
	s_delay_alu instid0(VALU_DEP_1)
	v_mad_u32 v4, v1, s40, v4
	v_mad_u32 v6, v1, s41, v6
	;; [unrolled: 1-line block ×3, first 2 shown]
	s_branch .LBB213_41
.LBB213_39:
                                        ; implicit-def: $vgpr5
                                        ; implicit-def: $vgpr6
                                        ; implicit-def: $vgpr4
	s_branch .LBB213_42
.LBB213_40:
	v_dual_mov_b32 v5, 0 :: v_dual_mov_b32 v6, 0
	v_mov_b32_e32 v4, 0
.LBB213_41:
	s_cbranch_execnz .LBB213_44
.LBB213_42:
	v_mov_b32_e32 v1, 0
	s_and_not1_b32 vcc_lo, exec_lo, s30
	s_delay_alu instid0(VALU_DEP_1) | instskip(NEXT) | instid1(VALU_DEP_1)
	v_mul_u64_e32 v[2:3], s[2:3], v[0:1]
	v_add_nc_u32_e32 v2, v0, v3
	s_delay_alu instid0(VALU_DEP_1) | instskip(NEXT) | instid1(VALU_DEP_1)
	v_lshrrev_b32_e32 v2, s10, v2
	v_mul_lo_u32 v3, v2, s8
	s_delay_alu instid0(VALU_DEP_1) | instskip(NEXT) | instid1(VALU_DEP_1)
	v_sub_nc_u32_e32 v3, v0, v3
	v_mul_lo_u32 v4, v3, s12
	v_mul_lo_u32 v5, v3, s14
	;; [unrolled: 1-line block ×3, first 2 shown]
	s_cbranch_vccnz .LBB213_44
; %bb.43:
	v_mov_b32_e32 v3, v1
	s_delay_alu instid0(VALU_DEP_1) | instskip(NEXT) | instid1(VALU_DEP_1)
	v_mul_u64_e32 v[8:9], s[24:25], v[2:3]
	v_add_nc_u32_e32 v1, v2, v9
	s_delay_alu instid0(VALU_DEP_1) | instskip(NEXT) | instid1(VALU_DEP_1)
	v_lshrrev_b32_e32 v1, s1, v1
	v_mul_lo_u32 v1, v1, s11
	s_delay_alu instid0(VALU_DEP_1) | instskip(NEXT) | instid1(VALU_DEP_1)
	v_sub_nc_u32_e32 v1, v2, v1
	v_mad_u32 v4, v1, s15, v4
	v_mad_u32 v6, v1, s22, v6
	;; [unrolled: 1-line block ×3, first 2 shown]
.LBB213_44:
	global_load_u8 v1, v6, s[6:7]
	global_load_u8 v2, v5, s[16:17]
	v_add_nc_u32_e32 v0, 0x80, v0
	s_wait_loadcnt 0x1
	v_cmp_ne_u16_e32 vcc_lo, 0, v1
	s_wait_loadcnt 0x0
	v_cmp_ne_u16_e64 s0, 0, v2
	s_xor_b32 s0, vcc_lo, s0
	s_delay_alu instid0(SALU_CYCLE_1) | instskip(NEXT) | instid1(SALU_CYCLE_1)
	s_xor_b32 s0, s9, s0
	v_cndmask_b32_e64 v1, 0, 1, s0
	global_store_b8 v4, v1, s[4:5]
	s_wait_xcnt 0x0
	s_or_b32 exec_lo, exec_lo, s35
	s_delay_alu instid0(SALU_CYCLE_1)
	s_mov_b32 s35, exec_lo
	v_cmpx_gt_i32_e64 s33, v0
	s_cbranch_execz .LBB213_5
.LBB213_45:
	s_and_not1_b32 vcc_lo, exec_lo, s28
	s_cbranch_vccnz .LBB213_51
; %bb.46:
	s_and_not1_b32 vcc_lo, exec_lo, s34
	s_cbranch_vccnz .LBB213_52
; %bb.47:
	v_dual_mov_b32 v4, 0 :: v_dual_mov_b32 v1, v0
	v_dual_mov_b32 v6, 0 :: v_dual_mov_b32 v5, 0
	s_add_co_i32 s0, s31, 1
	s_mov_b64 s[18:19], 0xffffffffffffffe8
	s_and_b32 s0, s0, 30
	s_add_nc_u64 s[18:19], s[20:21], s[18:19]
.LBB213_48:                             ; =>This Inner Loop Header: Depth=1
	s_clause 0x1
	s_load_b128 s[36:39], s[18:19], 0x1c
	s_load_b64 s[44:45], s[18:19], 0x2c
	s_add_co_i32 s0, s0, -2
	s_delay_alu instid0(SALU_CYCLE_1) | instskip(SKIP_2) | instid1(VALU_DEP_1)
	s_cmp_eq_u32 s0, 0
	s_wait_kmcnt 0x0
	v_mul_hi_u32 v2, s37, v1
	v_add_nc_u32_e32 v2, v1, v2
	s_delay_alu instid0(VALU_DEP_1) | instskip(NEXT) | instid1(VALU_DEP_1)
	v_lshrrev_b32_e32 v2, s38, v2
	v_mul_hi_u32 v3, s44, v2
	v_mul_lo_u32 v7, v2, s36
	s_clause 0x1
	s_load_b128 s[40:43], s[18:19], 0xdc
	s_load_b64 s[36:37], s[18:19], 0xec
	s_wait_xcnt 0x0
	s_add_nc_u64 s[18:19], s[18:19], 24
	s_delay_alu instid0(VALU_DEP_2) | instskip(NEXT) | instid1(VALU_DEP_2)
	v_add_nc_u32_e32 v3, v2, v3
	v_sub_nc_u32_e32 v7, v1, v7
	s_delay_alu instid0(VALU_DEP_2) | instskip(SKIP_1) | instid1(VALU_DEP_2)
	v_lshrrev_b32_e32 v1, s45, v3
	s_wait_kmcnt 0x0
	v_mad_u32 v4, v7, s40, v4
	s_delay_alu instid0(VALU_DEP_2) | instskip(SKIP_2) | instid1(VALU_DEP_3)
	v_mul_lo_u32 v3, v1, s39
	v_mad_u32 v5, v7, s42, v5
	v_mad_u32 v6, v7, s41, v6
	v_sub_nc_u32_e32 v2, v2, v3
	s_delay_alu instid0(VALU_DEP_1) | instskip(NEXT) | instid1(VALU_DEP_4)
	v_mad_u32 v4, v2, s43, v4
	v_mad_u32 v5, v2, s37, v5
	s_delay_alu instid0(VALU_DEP_4)
	v_mad_u32 v6, v2, s36, v6
	s_cbranch_scc0 .LBB213_48
; %bb.49:
	s_bitcmp1_b32 s31, 0
	s_cselect_b32 s0, -1, 0
	s_delay_alu instid0(SALU_CYCLE_1)
	s_and_b32 vcc_lo, exec_lo, s0
	s_cbranch_vccnz .LBB213_53
; %bb.50:
	s_clause 0x1
	s_load_b96 s[36:38], s[18:19], 0x1c
	s_load_b96 s[40:42], s[18:19], 0xdc
	s_wait_kmcnt 0x0
	v_mul_hi_u32 v2, s37, v1
	s_delay_alu instid0(VALU_DEP_1) | instskip(NEXT) | instid1(VALU_DEP_1)
	v_add_nc_u32_e32 v2, v1, v2
	v_lshrrev_b32_e32 v2, s38, v2
	s_delay_alu instid0(VALU_DEP_1) | instskip(NEXT) | instid1(VALU_DEP_1)
	v_mul_lo_u32 v2, v2, s36
	v_sub_nc_u32_e32 v1, v1, v2
	s_delay_alu instid0(VALU_DEP_1)
	v_mad_u32 v4, v1, s40, v4
	v_mad_u32 v6, v1, s41, v6
	v_mad_u32 v5, v1, s42, v5
	s_branch .LBB213_53
.LBB213_51:
                                        ; implicit-def: $vgpr5
                                        ; implicit-def: $vgpr6
                                        ; implicit-def: $vgpr4
	s_branch .LBB213_54
.LBB213_52:
	v_dual_mov_b32 v5, 0 :: v_dual_mov_b32 v6, 0
	v_mov_b32_e32 v4, 0
.LBB213_53:
	s_cbranch_execnz .LBB213_56
.LBB213_54:
	v_mov_b32_e32 v1, 0
	s_and_not1_b32 vcc_lo, exec_lo, s30
	s_delay_alu instid0(VALU_DEP_1) | instskip(NEXT) | instid1(VALU_DEP_1)
	v_mul_u64_e32 v[2:3], s[2:3], v[0:1]
	v_add_nc_u32_e32 v2, v0, v3
	s_delay_alu instid0(VALU_DEP_1) | instskip(NEXT) | instid1(VALU_DEP_1)
	v_lshrrev_b32_e32 v2, s10, v2
	v_mul_lo_u32 v3, v2, s8
	s_delay_alu instid0(VALU_DEP_1) | instskip(NEXT) | instid1(VALU_DEP_1)
	v_sub_nc_u32_e32 v3, v0, v3
	v_mul_lo_u32 v4, v3, s12
	v_mul_lo_u32 v5, v3, s14
	;; [unrolled: 1-line block ×3, first 2 shown]
	s_cbranch_vccnz .LBB213_56
; %bb.55:
	v_mov_b32_e32 v3, v1
	s_delay_alu instid0(VALU_DEP_1) | instskip(NEXT) | instid1(VALU_DEP_1)
	v_mul_u64_e32 v[8:9], s[24:25], v[2:3]
	v_add_nc_u32_e32 v1, v2, v9
	s_delay_alu instid0(VALU_DEP_1) | instskip(NEXT) | instid1(VALU_DEP_1)
	v_lshrrev_b32_e32 v1, s1, v1
	v_mul_lo_u32 v1, v1, s11
	s_delay_alu instid0(VALU_DEP_1) | instskip(NEXT) | instid1(VALU_DEP_1)
	v_sub_nc_u32_e32 v1, v2, v1
	v_mad_u32 v4, v1, s15, v4
	v_mad_u32 v6, v1, s22, v6
	;; [unrolled: 1-line block ×3, first 2 shown]
.LBB213_56:
	global_load_u8 v1, v6, s[6:7]
	global_load_u8 v2, v5, s[16:17]
	v_add_nc_u32_e32 v0, 0x80, v0
	s_wait_loadcnt 0x1
	v_cmp_ne_u16_e32 vcc_lo, 0, v1
	s_wait_loadcnt 0x0
	v_cmp_ne_u16_e64 s0, 0, v2
	s_xor_b32 s0, vcc_lo, s0
	s_delay_alu instid0(SALU_CYCLE_1) | instskip(NEXT) | instid1(SALU_CYCLE_1)
	s_xor_b32 s0, s9, s0
	v_cndmask_b32_e64 v1, 0, 1, s0
	global_store_b8 v4, v1, s[4:5]
	s_wait_xcnt 0x0
	s_or_b32 exec_lo, exec_lo, s35
	s_delay_alu instid0(SALU_CYCLE_1)
	s_mov_b32 s35, exec_lo
	v_cmpx_gt_i32_e64 s33, v0
	s_cbranch_execz .LBB213_6
.LBB213_57:
	s_and_not1_b32 vcc_lo, exec_lo, s28
	s_cbranch_vccnz .LBB213_63
; %bb.58:
	s_and_not1_b32 vcc_lo, exec_lo, s34
	s_cbranch_vccnz .LBB213_64
; %bb.59:
	v_dual_mov_b32 v4, 0 :: v_dual_mov_b32 v1, v0
	v_dual_mov_b32 v6, 0 :: v_dual_mov_b32 v5, 0
	s_add_co_i32 s0, s31, 1
	s_mov_b64 s[18:19], 0xffffffffffffffe8
	s_and_b32 s0, s0, 30
	s_add_nc_u64 s[18:19], s[20:21], s[18:19]
.LBB213_60:                             ; =>This Inner Loop Header: Depth=1
	s_clause 0x1
	s_load_b128 s[36:39], s[18:19], 0x1c
	s_load_b64 s[44:45], s[18:19], 0x2c
	s_add_co_i32 s0, s0, -2
	s_delay_alu instid0(SALU_CYCLE_1) | instskip(SKIP_2) | instid1(VALU_DEP_1)
	s_cmp_eq_u32 s0, 0
	s_wait_kmcnt 0x0
	v_mul_hi_u32 v2, s37, v1
	v_add_nc_u32_e32 v2, v1, v2
	s_delay_alu instid0(VALU_DEP_1) | instskip(NEXT) | instid1(VALU_DEP_1)
	v_lshrrev_b32_e32 v2, s38, v2
	v_mul_hi_u32 v3, s44, v2
	v_mul_lo_u32 v7, v2, s36
	s_clause 0x1
	s_load_b128 s[40:43], s[18:19], 0xdc
	s_load_b64 s[36:37], s[18:19], 0xec
	s_wait_xcnt 0x0
	s_add_nc_u64 s[18:19], s[18:19], 24
	s_delay_alu instid0(VALU_DEP_2) | instskip(NEXT) | instid1(VALU_DEP_2)
	v_add_nc_u32_e32 v3, v2, v3
	v_sub_nc_u32_e32 v7, v1, v7
	s_delay_alu instid0(VALU_DEP_2) | instskip(SKIP_1) | instid1(VALU_DEP_2)
	v_lshrrev_b32_e32 v1, s45, v3
	s_wait_kmcnt 0x0
	v_mad_u32 v4, v7, s40, v4
	s_delay_alu instid0(VALU_DEP_2) | instskip(SKIP_2) | instid1(VALU_DEP_3)
	v_mul_lo_u32 v3, v1, s39
	v_mad_u32 v5, v7, s42, v5
	v_mad_u32 v6, v7, s41, v6
	v_sub_nc_u32_e32 v2, v2, v3
	s_delay_alu instid0(VALU_DEP_1) | instskip(NEXT) | instid1(VALU_DEP_4)
	v_mad_u32 v4, v2, s43, v4
	v_mad_u32 v5, v2, s37, v5
	s_delay_alu instid0(VALU_DEP_4)
	v_mad_u32 v6, v2, s36, v6
	s_cbranch_scc0 .LBB213_60
; %bb.61:
	s_bitcmp1_b32 s31, 0
	s_cselect_b32 s0, -1, 0
	s_delay_alu instid0(SALU_CYCLE_1)
	s_and_b32 vcc_lo, exec_lo, s0
	s_cbranch_vccnz .LBB213_65
; %bb.62:
	s_clause 0x1
	s_load_b96 s[36:38], s[18:19], 0x1c
	s_load_b96 s[40:42], s[18:19], 0xdc
	s_wait_kmcnt 0x0
	v_mul_hi_u32 v2, s37, v1
	s_delay_alu instid0(VALU_DEP_1) | instskip(NEXT) | instid1(VALU_DEP_1)
	v_add_nc_u32_e32 v2, v1, v2
	v_lshrrev_b32_e32 v2, s38, v2
	s_delay_alu instid0(VALU_DEP_1) | instskip(NEXT) | instid1(VALU_DEP_1)
	v_mul_lo_u32 v2, v2, s36
	v_sub_nc_u32_e32 v1, v1, v2
	s_delay_alu instid0(VALU_DEP_1)
	v_mad_u32 v4, v1, s40, v4
	v_mad_u32 v6, v1, s41, v6
	;; [unrolled: 1-line block ×3, first 2 shown]
	s_branch .LBB213_65
.LBB213_63:
                                        ; implicit-def: $vgpr5
                                        ; implicit-def: $vgpr6
                                        ; implicit-def: $vgpr4
	s_branch .LBB213_66
.LBB213_64:
	v_dual_mov_b32 v5, 0 :: v_dual_mov_b32 v6, 0
	v_mov_b32_e32 v4, 0
.LBB213_65:
	s_cbranch_execnz .LBB213_68
.LBB213_66:
	v_mov_b32_e32 v1, 0
	s_and_not1_b32 vcc_lo, exec_lo, s30
	s_delay_alu instid0(VALU_DEP_1) | instskip(NEXT) | instid1(VALU_DEP_1)
	v_mul_u64_e32 v[2:3], s[2:3], v[0:1]
	v_add_nc_u32_e32 v2, v0, v3
	s_delay_alu instid0(VALU_DEP_1) | instskip(NEXT) | instid1(VALU_DEP_1)
	v_lshrrev_b32_e32 v2, s10, v2
	v_mul_lo_u32 v3, v2, s8
	s_delay_alu instid0(VALU_DEP_1) | instskip(NEXT) | instid1(VALU_DEP_1)
	v_sub_nc_u32_e32 v3, v0, v3
	v_mul_lo_u32 v4, v3, s12
	v_mul_lo_u32 v5, v3, s14
	;; [unrolled: 1-line block ×3, first 2 shown]
	s_cbranch_vccnz .LBB213_68
; %bb.67:
	v_mov_b32_e32 v3, v1
	s_delay_alu instid0(VALU_DEP_1) | instskip(NEXT) | instid1(VALU_DEP_1)
	v_mul_u64_e32 v[8:9], s[24:25], v[2:3]
	v_add_nc_u32_e32 v1, v2, v9
	s_delay_alu instid0(VALU_DEP_1) | instskip(NEXT) | instid1(VALU_DEP_1)
	v_lshrrev_b32_e32 v1, s1, v1
	v_mul_lo_u32 v1, v1, s11
	s_delay_alu instid0(VALU_DEP_1) | instskip(NEXT) | instid1(VALU_DEP_1)
	v_sub_nc_u32_e32 v1, v2, v1
	v_mad_u32 v4, v1, s15, v4
	v_mad_u32 v6, v1, s22, v6
	;; [unrolled: 1-line block ×3, first 2 shown]
.LBB213_68:
	global_load_u8 v1, v6, s[6:7]
	global_load_u8 v2, v5, s[16:17]
	v_add_nc_u32_e32 v0, 0x80, v0
	s_wait_loadcnt 0x1
	v_cmp_ne_u16_e32 vcc_lo, 0, v1
	s_wait_loadcnt 0x0
	v_cmp_ne_u16_e64 s0, 0, v2
	s_xor_b32 s0, vcc_lo, s0
	s_delay_alu instid0(SALU_CYCLE_1) | instskip(NEXT) | instid1(SALU_CYCLE_1)
	s_xor_b32 s0, s9, s0
	v_cndmask_b32_e64 v1, 0, 1, s0
	global_store_b8 v4, v1, s[4:5]
	s_wait_xcnt 0x0
	s_or_b32 exec_lo, exec_lo, s35
	s_delay_alu instid0(SALU_CYCLE_1)
	s_mov_b32 s35, exec_lo
	v_cmpx_gt_i32_e64 s33, v0
	s_cbranch_execz .LBB213_7
.LBB213_69:
	s_and_not1_b32 vcc_lo, exec_lo, s28
	s_cbranch_vccnz .LBB213_75
; %bb.70:
	s_and_not1_b32 vcc_lo, exec_lo, s34
	s_cbranch_vccnz .LBB213_76
; %bb.71:
	v_dual_mov_b32 v4, 0 :: v_dual_mov_b32 v1, v0
	v_dual_mov_b32 v6, 0 :: v_dual_mov_b32 v5, 0
	s_add_co_i32 s0, s31, 1
	s_mov_b64 s[18:19], 0xffffffffffffffe8
	s_and_b32 s0, s0, 30
	s_add_nc_u64 s[18:19], s[20:21], s[18:19]
.LBB213_72:                             ; =>This Inner Loop Header: Depth=1
	s_clause 0x1
	s_load_b128 s[36:39], s[18:19], 0x1c
	s_load_b64 s[44:45], s[18:19], 0x2c
	s_add_co_i32 s0, s0, -2
	s_delay_alu instid0(SALU_CYCLE_1) | instskip(SKIP_2) | instid1(VALU_DEP_1)
	s_cmp_eq_u32 s0, 0
	s_wait_kmcnt 0x0
	v_mul_hi_u32 v2, s37, v1
	v_add_nc_u32_e32 v2, v1, v2
	s_delay_alu instid0(VALU_DEP_1) | instskip(NEXT) | instid1(VALU_DEP_1)
	v_lshrrev_b32_e32 v2, s38, v2
	v_mul_hi_u32 v3, s44, v2
	v_mul_lo_u32 v7, v2, s36
	s_clause 0x1
	s_load_b128 s[40:43], s[18:19], 0xdc
	s_load_b64 s[36:37], s[18:19], 0xec
	s_wait_xcnt 0x0
	s_add_nc_u64 s[18:19], s[18:19], 24
	s_delay_alu instid0(VALU_DEP_2) | instskip(NEXT) | instid1(VALU_DEP_2)
	v_add_nc_u32_e32 v3, v2, v3
	v_sub_nc_u32_e32 v7, v1, v7
	s_delay_alu instid0(VALU_DEP_2) | instskip(SKIP_1) | instid1(VALU_DEP_2)
	v_lshrrev_b32_e32 v1, s45, v3
	s_wait_kmcnt 0x0
	v_mad_u32 v4, v7, s40, v4
	s_delay_alu instid0(VALU_DEP_2) | instskip(SKIP_2) | instid1(VALU_DEP_3)
	v_mul_lo_u32 v3, v1, s39
	v_mad_u32 v5, v7, s42, v5
	v_mad_u32 v6, v7, s41, v6
	v_sub_nc_u32_e32 v2, v2, v3
	s_delay_alu instid0(VALU_DEP_1) | instskip(NEXT) | instid1(VALU_DEP_4)
	v_mad_u32 v4, v2, s43, v4
	v_mad_u32 v5, v2, s37, v5
	s_delay_alu instid0(VALU_DEP_4)
	v_mad_u32 v6, v2, s36, v6
	s_cbranch_scc0 .LBB213_72
; %bb.73:
	s_bitcmp1_b32 s31, 0
	s_cselect_b32 s0, -1, 0
	s_delay_alu instid0(SALU_CYCLE_1)
	s_and_b32 vcc_lo, exec_lo, s0
	s_cbranch_vccnz .LBB213_77
; %bb.74:
	s_clause 0x1
	s_load_b96 s[36:38], s[18:19], 0x1c
	s_load_b96 s[40:42], s[18:19], 0xdc
	s_wait_kmcnt 0x0
	v_mul_hi_u32 v2, s37, v1
	s_delay_alu instid0(VALU_DEP_1) | instskip(NEXT) | instid1(VALU_DEP_1)
	v_add_nc_u32_e32 v2, v1, v2
	v_lshrrev_b32_e32 v2, s38, v2
	s_delay_alu instid0(VALU_DEP_1) | instskip(NEXT) | instid1(VALU_DEP_1)
	v_mul_lo_u32 v2, v2, s36
	v_sub_nc_u32_e32 v1, v1, v2
	s_delay_alu instid0(VALU_DEP_1)
	v_mad_u32 v4, v1, s40, v4
	v_mad_u32 v6, v1, s41, v6
	;; [unrolled: 1-line block ×3, first 2 shown]
	s_branch .LBB213_77
.LBB213_75:
                                        ; implicit-def: $vgpr5
                                        ; implicit-def: $vgpr6
                                        ; implicit-def: $vgpr4
	s_branch .LBB213_78
.LBB213_76:
	v_dual_mov_b32 v5, 0 :: v_dual_mov_b32 v6, 0
	v_mov_b32_e32 v4, 0
.LBB213_77:
	s_cbranch_execnz .LBB213_80
.LBB213_78:
	v_mov_b32_e32 v1, 0
	s_and_not1_b32 vcc_lo, exec_lo, s30
	s_delay_alu instid0(VALU_DEP_1) | instskip(NEXT) | instid1(VALU_DEP_1)
	v_mul_u64_e32 v[2:3], s[2:3], v[0:1]
	v_add_nc_u32_e32 v2, v0, v3
	s_delay_alu instid0(VALU_DEP_1) | instskip(NEXT) | instid1(VALU_DEP_1)
	v_lshrrev_b32_e32 v2, s10, v2
	v_mul_lo_u32 v3, v2, s8
	s_delay_alu instid0(VALU_DEP_1) | instskip(NEXT) | instid1(VALU_DEP_1)
	v_sub_nc_u32_e32 v3, v0, v3
	v_mul_lo_u32 v4, v3, s12
	v_mul_lo_u32 v5, v3, s14
	;; [unrolled: 1-line block ×3, first 2 shown]
	s_cbranch_vccnz .LBB213_80
; %bb.79:
	v_mov_b32_e32 v3, v1
	s_delay_alu instid0(VALU_DEP_1) | instskip(NEXT) | instid1(VALU_DEP_1)
	v_mul_u64_e32 v[8:9], s[24:25], v[2:3]
	v_add_nc_u32_e32 v1, v2, v9
	s_delay_alu instid0(VALU_DEP_1) | instskip(NEXT) | instid1(VALU_DEP_1)
	v_lshrrev_b32_e32 v1, s1, v1
	v_mul_lo_u32 v1, v1, s11
	s_delay_alu instid0(VALU_DEP_1) | instskip(NEXT) | instid1(VALU_DEP_1)
	v_sub_nc_u32_e32 v1, v2, v1
	v_mad_u32 v4, v1, s15, v4
	v_mad_u32 v6, v1, s22, v6
	;; [unrolled: 1-line block ×3, first 2 shown]
.LBB213_80:
	global_load_u8 v1, v6, s[6:7]
	global_load_u8 v2, v5, s[16:17]
	v_add_nc_u32_e32 v0, 0x80, v0
	s_wait_loadcnt 0x1
	v_cmp_ne_u16_e32 vcc_lo, 0, v1
	s_wait_loadcnt 0x0
	v_cmp_ne_u16_e64 s0, 0, v2
	s_xor_b32 s0, vcc_lo, s0
	s_delay_alu instid0(SALU_CYCLE_1) | instskip(NEXT) | instid1(SALU_CYCLE_1)
	s_xor_b32 s0, s9, s0
	v_cndmask_b32_e64 v1, 0, 1, s0
	global_store_b8 v4, v1, s[4:5]
	s_wait_xcnt 0x0
	s_or_b32 exec_lo, exec_lo, s35
	s_delay_alu instid0(SALU_CYCLE_1)
	s_mov_b32 s35, exec_lo
	v_cmpx_gt_i32_e64 s33, v0
	s_cbranch_execz .LBB213_8
.LBB213_81:
	s_and_not1_b32 vcc_lo, exec_lo, s28
	s_cbranch_vccnz .LBB213_87
; %bb.82:
	s_and_not1_b32 vcc_lo, exec_lo, s34
	s_cbranch_vccnz .LBB213_88
; %bb.83:
	v_dual_mov_b32 v4, 0 :: v_dual_mov_b32 v1, v0
	v_dual_mov_b32 v6, 0 :: v_dual_mov_b32 v5, 0
	s_add_co_i32 s0, s31, 1
	s_mov_b64 s[18:19], 0xffffffffffffffe8
	s_and_b32 s0, s0, 30
	s_add_nc_u64 s[18:19], s[20:21], s[18:19]
.LBB213_84:                             ; =>This Inner Loop Header: Depth=1
	s_clause 0x1
	s_load_b128 s[36:39], s[18:19], 0x1c
	s_load_b64 s[44:45], s[18:19], 0x2c
	s_add_co_i32 s0, s0, -2
	s_delay_alu instid0(SALU_CYCLE_1) | instskip(SKIP_2) | instid1(VALU_DEP_1)
	s_cmp_eq_u32 s0, 0
	s_wait_kmcnt 0x0
	v_mul_hi_u32 v2, s37, v1
	v_add_nc_u32_e32 v2, v1, v2
	s_delay_alu instid0(VALU_DEP_1) | instskip(NEXT) | instid1(VALU_DEP_1)
	v_lshrrev_b32_e32 v2, s38, v2
	v_mul_hi_u32 v3, s44, v2
	v_mul_lo_u32 v7, v2, s36
	s_clause 0x1
	s_load_b128 s[40:43], s[18:19], 0xdc
	s_load_b64 s[36:37], s[18:19], 0xec
	s_wait_xcnt 0x0
	s_add_nc_u64 s[18:19], s[18:19], 24
	s_delay_alu instid0(VALU_DEP_2) | instskip(NEXT) | instid1(VALU_DEP_2)
	v_add_nc_u32_e32 v3, v2, v3
	v_sub_nc_u32_e32 v7, v1, v7
	s_delay_alu instid0(VALU_DEP_2) | instskip(SKIP_1) | instid1(VALU_DEP_2)
	v_lshrrev_b32_e32 v1, s45, v3
	s_wait_kmcnt 0x0
	v_mad_u32 v4, v7, s40, v4
	s_delay_alu instid0(VALU_DEP_2) | instskip(SKIP_2) | instid1(VALU_DEP_3)
	v_mul_lo_u32 v3, v1, s39
	v_mad_u32 v5, v7, s42, v5
	v_mad_u32 v6, v7, s41, v6
	v_sub_nc_u32_e32 v2, v2, v3
	s_delay_alu instid0(VALU_DEP_1) | instskip(NEXT) | instid1(VALU_DEP_4)
	v_mad_u32 v4, v2, s43, v4
	v_mad_u32 v5, v2, s37, v5
	s_delay_alu instid0(VALU_DEP_4)
	v_mad_u32 v6, v2, s36, v6
	s_cbranch_scc0 .LBB213_84
; %bb.85:
	s_bitcmp1_b32 s31, 0
	s_cselect_b32 s0, -1, 0
	s_delay_alu instid0(SALU_CYCLE_1)
	s_and_b32 vcc_lo, exec_lo, s0
	s_cbranch_vccnz .LBB213_89
; %bb.86:
	s_clause 0x1
	s_load_b96 s[36:38], s[18:19], 0x1c
	s_load_b96 s[40:42], s[18:19], 0xdc
	s_wait_kmcnt 0x0
	v_mul_hi_u32 v2, s37, v1
	s_delay_alu instid0(VALU_DEP_1) | instskip(NEXT) | instid1(VALU_DEP_1)
	v_add_nc_u32_e32 v2, v1, v2
	v_lshrrev_b32_e32 v2, s38, v2
	s_delay_alu instid0(VALU_DEP_1) | instskip(NEXT) | instid1(VALU_DEP_1)
	v_mul_lo_u32 v2, v2, s36
	v_sub_nc_u32_e32 v1, v1, v2
	s_delay_alu instid0(VALU_DEP_1)
	v_mad_u32 v4, v1, s40, v4
	v_mad_u32 v6, v1, s41, v6
	;; [unrolled: 1-line block ×3, first 2 shown]
	s_branch .LBB213_89
.LBB213_87:
                                        ; implicit-def: $vgpr5
                                        ; implicit-def: $vgpr6
                                        ; implicit-def: $vgpr4
	s_branch .LBB213_90
.LBB213_88:
	v_dual_mov_b32 v5, 0 :: v_dual_mov_b32 v6, 0
	v_mov_b32_e32 v4, 0
.LBB213_89:
	s_cbranch_execnz .LBB213_92
.LBB213_90:
	v_mov_b32_e32 v1, 0
	s_and_not1_b32 vcc_lo, exec_lo, s30
	s_delay_alu instid0(VALU_DEP_1) | instskip(NEXT) | instid1(VALU_DEP_1)
	v_mul_u64_e32 v[2:3], s[2:3], v[0:1]
	v_add_nc_u32_e32 v2, v0, v3
	s_delay_alu instid0(VALU_DEP_1) | instskip(NEXT) | instid1(VALU_DEP_1)
	v_lshrrev_b32_e32 v2, s10, v2
	v_mul_lo_u32 v3, v2, s8
	s_delay_alu instid0(VALU_DEP_1) | instskip(NEXT) | instid1(VALU_DEP_1)
	v_sub_nc_u32_e32 v3, v0, v3
	v_mul_lo_u32 v4, v3, s12
	v_mul_lo_u32 v5, v3, s14
	;; [unrolled: 1-line block ×3, first 2 shown]
	s_cbranch_vccnz .LBB213_92
; %bb.91:
	v_mov_b32_e32 v3, v1
	s_delay_alu instid0(VALU_DEP_1) | instskip(NEXT) | instid1(VALU_DEP_1)
	v_mul_u64_e32 v[8:9], s[24:25], v[2:3]
	v_add_nc_u32_e32 v1, v2, v9
	s_delay_alu instid0(VALU_DEP_1) | instskip(NEXT) | instid1(VALU_DEP_1)
	v_lshrrev_b32_e32 v1, s1, v1
	v_mul_lo_u32 v1, v1, s11
	s_delay_alu instid0(VALU_DEP_1) | instskip(NEXT) | instid1(VALU_DEP_1)
	v_sub_nc_u32_e32 v1, v2, v1
	v_mad_u32 v4, v1, s15, v4
	v_mad_u32 v6, v1, s22, v6
	;; [unrolled: 1-line block ×3, first 2 shown]
.LBB213_92:
	global_load_u8 v1, v6, s[6:7]
	global_load_u8 v2, v5, s[16:17]
	v_add_nc_u32_e32 v0, 0x80, v0
	s_wait_loadcnt 0x1
	v_cmp_ne_u16_e32 vcc_lo, 0, v1
	s_wait_loadcnt 0x0
	v_cmp_ne_u16_e64 s0, 0, v2
	s_xor_b32 s0, vcc_lo, s0
	s_delay_alu instid0(SALU_CYCLE_1) | instskip(NEXT) | instid1(SALU_CYCLE_1)
	s_xor_b32 s0, s9, s0
	v_cndmask_b32_e64 v1, 0, 1, s0
	global_store_b8 v4, v1, s[4:5]
	s_wait_xcnt 0x0
	s_or_b32 exec_lo, exec_lo, s35
	v_cmp_gt_i32_e32 vcc_lo, s33, v0
	s_and_saveexec_b32 s33, vcc_lo
	s_cbranch_execz .LBB213_105
.LBB213_93:
	s_and_not1_b32 vcc_lo, exec_lo, s28
	s_cbranch_vccnz .LBB213_99
; %bb.94:
	s_and_not1_b32 vcc_lo, exec_lo, s34
	s_cbranch_vccnz .LBB213_100
; %bb.95:
	v_dual_mov_b32 v4, 0 :: v_dual_mov_b32 v1, v0
	v_dual_mov_b32 v6, 0 :: v_dual_mov_b32 v5, 0
	s_add_co_i32 s0, s31, 1
	s_mov_b64 s[18:19], 0xffffffffffffffe8
	s_and_b32 s0, s0, 30
	s_add_nc_u64 s[18:19], s[20:21], s[18:19]
.LBB213_96:                             ; =>This Inner Loop Header: Depth=1
	s_clause 0x1
	s_load_b128 s[36:39], s[18:19], 0x1c
	s_load_b64 s[34:35], s[18:19], 0x2c
	s_add_co_i32 s0, s0, -2
	s_delay_alu instid0(SALU_CYCLE_1) | instskip(SKIP_2) | instid1(VALU_DEP_1)
	s_cmp_eq_u32 s0, 0
	s_wait_kmcnt 0x0
	v_mul_hi_u32 v2, s37, v1
	v_add_nc_u32_e32 v2, v1, v2
	s_delay_alu instid0(VALU_DEP_1) | instskip(NEXT) | instid1(VALU_DEP_1)
	v_lshrrev_b32_e32 v2, s38, v2
	v_mul_hi_u32 v3, s34, v2
	v_mul_lo_u32 v7, v2, s36
	s_clause 0x1
	s_load_b128 s[40:43], s[18:19], 0xdc
	s_load_b64 s[36:37], s[18:19], 0xec
	s_wait_xcnt 0x0
	s_add_nc_u64 s[18:19], s[18:19], 24
	s_delay_alu instid0(VALU_DEP_2) | instskip(NEXT) | instid1(VALU_DEP_2)
	v_add_nc_u32_e32 v3, v2, v3
	v_sub_nc_u32_e32 v7, v1, v7
	s_delay_alu instid0(VALU_DEP_2) | instskip(SKIP_1) | instid1(VALU_DEP_2)
	v_lshrrev_b32_e32 v1, s35, v3
	s_wait_kmcnt 0x0
	v_mad_u32 v4, v7, s40, v4
	s_delay_alu instid0(VALU_DEP_2) | instskip(SKIP_2) | instid1(VALU_DEP_3)
	v_mul_lo_u32 v3, v1, s39
	v_mad_u32 v5, v7, s42, v5
	v_mad_u32 v6, v7, s41, v6
	v_sub_nc_u32_e32 v2, v2, v3
	s_delay_alu instid0(VALU_DEP_1) | instskip(NEXT) | instid1(VALU_DEP_4)
	v_mad_u32 v4, v2, s43, v4
	v_mad_u32 v5, v2, s37, v5
	s_delay_alu instid0(VALU_DEP_4)
	v_mad_u32 v6, v2, s36, v6
	s_cbranch_scc0 .LBB213_96
; %bb.97:
	s_bitcmp1_b32 s31, 0
	s_cselect_b32 s0, -1, 0
	s_delay_alu instid0(SALU_CYCLE_1)
	s_and_b32 vcc_lo, exec_lo, s0
	s_cbranch_vccnz .LBB213_101
; %bb.98:
	s_clause 0x1
	s_load_b96 s[36:38], s[18:19], 0x1c
	s_load_b96 s[40:42], s[18:19], 0xdc
	s_wait_kmcnt 0x0
	v_mul_hi_u32 v2, s37, v1
	s_delay_alu instid0(VALU_DEP_1) | instskip(NEXT) | instid1(VALU_DEP_1)
	v_add_nc_u32_e32 v2, v1, v2
	v_lshrrev_b32_e32 v2, s38, v2
	s_delay_alu instid0(VALU_DEP_1) | instskip(NEXT) | instid1(VALU_DEP_1)
	v_mul_lo_u32 v2, v2, s36
	v_sub_nc_u32_e32 v1, v1, v2
	s_delay_alu instid0(VALU_DEP_1)
	v_mad_u32 v4, v1, s40, v4
	v_mad_u32 v6, v1, s41, v6
	;; [unrolled: 1-line block ×3, first 2 shown]
	s_branch .LBB213_101
.LBB213_99:
                                        ; implicit-def: $vgpr5
                                        ; implicit-def: $vgpr6
                                        ; implicit-def: $vgpr4
	s_branch .LBB213_102
.LBB213_100:
	v_dual_mov_b32 v5, 0 :: v_dual_mov_b32 v6, 0
	v_mov_b32_e32 v4, 0
.LBB213_101:
	s_cbranch_execnz .LBB213_104
.LBB213_102:
	v_mov_b32_e32 v1, 0
	s_and_not1_b32 vcc_lo, exec_lo, s30
	s_delay_alu instid0(VALU_DEP_1) | instskip(NEXT) | instid1(VALU_DEP_1)
	v_mul_u64_e32 v[2:3], s[2:3], v[0:1]
	v_add_nc_u32_e32 v2, v0, v3
	s_delay_alu instid0(VALU_DEP_1) | instskip(NEXT) | instid1(VALU_DEP_1)
	v_lshrrev_b32_e32 v2, s10, v2
	v_mul_lo_u32 v3, v2, s8
	s_delay_alu instid0(VALU_DEP_1) | instskip(NEXT) | instid1(VALU_DEP_1)
	v_sub_nc_u32_e32 v0, v0, v3
	v_mul_lo_u32 v4, v0, s12
	v_mul_lo_u32 v5, v0, s14
	;; [unrolled: 1-line block ×3, first 2 shown]
	s_cbranch_vccnz .LBB213_104
; %bb.103:
	v_mov_b32_e32 v3, v1
	s_delay_alu instid0(VALU_DEP_1) | instskip(NEXT) | instid1(VALU_DEP_1)
	v_mul_u64_e32 v[0:1], s[24:25], v[2:3]
	v_add_nc_u32_e32 v0, v2, v1
	s_delay_alu instid0(VALU_DEP_1) | instskip(NEXT) | instid1(VALU_DEP_1)
	v_lshrrev_b32_e32 v0, s1, v0
	v_mul_lo_u32 v0, v0, s11
	s_delay_alu instid0(VALU_DEP_1) | instskip(NEXT) | instid1(VALU_DEP_1)
	v_sub_nc_u32_e32 v0, v2, v0
	v_mad_u32 v4, v0, s15, v4
	v_mad_u32 v6, v0, s22, v6
	;; [unrolled: 1-line block ×3, first 2 shown]
.LBB213_104:
	global_load_u8 v0, v6, s[6:7]
	global_load_u8 v1, v5, s[16:17]
	s_wait_loadcnt 0x1
	v_cmp_ne_u16_e32 vcc_lo, 0, v0
	s_wait_loadcnt 0x0
	v_cmp_ne_u16_e64 s0, 0, v1
	s_xor_b32 s0, vcc_lo, s0
	s_delay_alu instid0(SALU_CYCLE_1) | instskip(NEXT) | instid1(SALU_CYCLE_1)
	s_xor_b32 s0, s9, s0
	v_cndmask_b32_e64 v0, 0, 1, s0
	global_store_b8 v4, v0, s[4:5]
.LBB213_105:
	s_wait_xcnt 0x0
	s_or_b32 exec_lo, exec_lo, s33
                                        ; implicit-def: $vgpr4
                                        ; implicit-def: $vgpr0
.LBB213_106:
	s_and_not1_saveexec_b32 s0, s29
	s_cbranch_execz .LBB213_113
; %bb.107:
	v_cndmask_b32_e64 v8, 0, 1, s28
	s_and_not1_b32 vcc_lo, exec_lo, s28
	s_cbranch_vccnz .LBB213_114
; %bb.108:
	s_cmp_lg_u32 s26, 0
	s_mov_b32 s2, 0
	s_cbranch_scc0 .LBB213_118
; %bb.109:
	s_min_u32 s3, s27, 15
	v_dual_mov_b32 v1, 0 :: v_dual_mov_b32 v5, v0
	v_dual_mov_b32 v2, 0 :: v_dual_mov_b32 v3, 0
	s_add_co_i32 s4, s3, 1
	s_mov_b64 s[0:1], 0xffffffffffffffe8
	s_and_b32 s4, s4, 30
	s_add_nc_u64 s[0:1], s[20:21], s[0:1]
.LBB213_110:                            ; =>This Inner Loop Header: Depth=1
	s_clause 0x1
	s_load_b128 s[8:11], s[0:1], 0x1c
	s_load_b64 s[6:7], s[0:1], 0x2c
	s_add_co_i32 s4, s4, -2
	s_delay_alu instid0(SALU_CYCLE_1) | instskip(SKIP_2) | instid1(VALU_DEP_1)
	s_cmp_lg_u32 s4, 0
	s_wait_kmcnt 0x0
	v_mul_hi_u32 v6, s9, v5
	v_add_nc_u32_e32 v6, v5, v6
	s_delay_alu instid0(VALU_DEP_1) | instskip(NEXT) | instid1(VALU_DEP_1)
	v_lshrrev_b32_e32 v6, s10, v6
	v_mul_hi_u32 v7, s6, v6
	v_mul_lo_u32 v9, v6, s8
	s_clause 0x1
	s_load_b128 s[12:15], s[0:1], 0xdc
	s_load_b64 s[8:9], s[0:1], 0xec
	s_wait_xcnt 0x0
	s_add_nc_u64 s[0:1], s[0:1], 24
	s_delay_alu instid0(VALU_DEP_1) | instskip(NEXT) | instid1(VALU_DEP_1)
	v_dual_add_nc_u32 v7, v6, v7 :: v_dual_sub_nc_u32 v9, v5, v9
	v_lshrrev_b32_e32 v5, s7, v7
	s_wait_kmcnt 0x0
	s_delay_alu instid0(VALU_DEP_2) | instskip(NEXT) | instid1(VALU_DEP_2)
	v_mad_u32 v1, v9, s12, v1
	v_mul_lo_u32 v7, v5, s11
	v_mad_u32 v3, v9, s14, v3
	v_mad_u32 v2, v9, s13, v2
	s_delay_alu instid0(VALU_DEP_3) | instskip(NEXT) | instid1(VALU_DEP_1)
	v_sub_nc_u32_e32 v6, v6, v7
	v_mad_u32 v1, v6, s15, v1
	s_delay_alu instid0(VALU_DEP_4) | instskip(NEXT) | instid1(VALU_DEP_4)
	v_mad_u32 v3, v6, s9, v3
	v_mad_u32 v2, v6, s8, v2
	s_cbranch_scc1 .LBB213_110
; %bb.111:
	s_bitcmp1_b32 s3, 0
	s_cselect_b32 s3, -1, 0
	s_delay_alu instid0(SALU_CYCLE_1)
	s_and_b32 vcc_lo, exec_lo, s3
	s_cbranch_vccnz .LBB213_115
; %bb.112:
	s_clause 0x1
	s_load_b96 s[4:6], s[0:1], 0x1c
	s_load_b96 s[8:10], s[0:1], 0xdc
	s_wait_kmcnt 0x0
	v_mul_hi_u32 v6, s5, v5
	s_delay_alu instid0(VALU_DEP_1) | instskip(NEXT) | instid1(VALU_DEP_1)
	v_add_nc_u32_e32 v6, v5, v6
	v_lshrrev_b32_e32 v6, s6, v6
	s_delay_alu instid0(VALU_DEP_1) | instskip(NEXT) | instid1(VALU_DEP_1)
	v_mul_lo_u32 v6, v6, s4
	v_sub_nc_u32_e32 v5, v5, v6
	s_delay_alu instid0(VALU_DEP_1)
	v_mad_u32 v1, v5, s8, v1
	v_mad_u32 v2, v5, s9, v2
	;; [unrolled: 1-line block ×3, first 2 shown]
	s_and_not1_b32 vcc_lo, exec_lo, s2
	s_cbranch_vccz .LBB213_116
	s_branch .LBB213_119
.LBB213_113:
	s_endpgm
.LBB213_114:
	s_mov_b32 s2, -1
                                        ; implicit-def: $vgpr3
                                        ; implicit-def: $vgpr2
                                        ; implicit-def: $vgpr1
.LBB213_115:
	s_delay_alu instid0(SALU_CYCLE_1)
	s_and_not1_b32 vcc_lo, exec_lo, s2
	s_cbranch_vccnz .LBB213_119
.LBB213_116:
	s_clause 0x1
	s_load_b96 s[0:2], s[20:21], 0x4
	s_load_b96 s[4:6], s[20:21], 0xc4
	s_cmp_lt_u32 s26, 2
	s_wait_kmcnt 0x0
	v_mul_hi_u32 v1, s1, v0
	s_delay_alu instid0(VALU_DEP_1) | instskip(NEXT) | instid1(VALU_DEP_1)
	v_add_nc_u32_e32 v1, v0, v1
	v_lshrrev_b32_e32 v5, s2, v1
	s_delay_alu instid0(VALU_DEP_1) | instskip(NEXT) | instid1(VALU_DEP_1)
	v_mul_lo_u32 v1, v5, s0
	v_sub_nc_u32_e32 v2, v0, v1
	s_delay_alu instid0(VALU_DEP_1)
	v_mul_lo_u32 v1, v2, s4
	v_mul_lo_u32 v3, v2, s6
	;; [unrolled: 1-line block ×3, first 2 shown]
	s_cbranch_scc1 .LBB213_119
; %bb.117:
	s_clause 0x1
	s_load_b96 s[0:2], s[20:21], 0x10
	s_load_b96 s[4:6], s[20:21], 0xd0
	s_wait_kmcnt 0x0
	v_mul_hi_u32 v6, s1, v5
	s_delay_alu instid0(VALU_DEP_1) | instskip(NEXT) | instid1(VALU_DEP_1)
	v_add_nc_u32_e32 v6, v5, v6
	v_lshrrev_b32_e32 v6, s2, v6
	s_delay_alu instid0(VALU_DEP_1) | instskip(NEXT) | instid1(VALU_DEP_1)
	v_mul_lo_u32 v6, v6, s0
	v_sub_nc_u32_e32 v5, v5, v6
	s_delay_alu instid0(VALU_DEP_1)
	v_mad_u32 v1, v5, s4, v1
	v_mad_u32 v2, v5, s5, v2
	v_mad_u32 v3, v5, s6, v3
	s_branch .LBB213_119
.LBB213_118:
	v_dual_mov_b32 v3, 0 :: v_dual_mov_b32 v2, 0
	v_mov_b32_e32 v1, 0
	s_and_not1_b32 vcc_lo, exec_lo, s2
	s_cbranch_vccz .LBB213_116
.LBB213_119:
	v_cmp_ne_u32_e32 vcc_lo, 1, v8
	v_add_nc_u32_e32 v9, 0x80, v0
	s_cbranch_vccnz .LBB213_125
; %bb.120:
	s_cmp_lg_u32 s26, 0
	s_mov_b32 s2, 0
	s_cbranch_scc0 .LBB213_129
; %bb.121:
	s_min_u32 s3, s27, 15
	v_dual_mov_b32 v5, 0 :: v_dual_mov_b32 v10, v9
	v_dual_mov_b32 v7, 0 :: v_dual_mov_b32 v6, 0
	s_add_co_i32 s4, s3, 1
	s_mov_b64 s[0:1], 0xffffffffffffffe8
	s_and_b32 s4, s4, 30
	s_add_nc_u64 s[0:1], s[20:21], s[0:1]
.LBB213_122:                            ; =>This Inner Loop Header: Depth=1
	s_clause 0x1
	s_load_b128 s[8:11], s[0:1], 0x1c
	s_load_b64 s[6:7], s[0:1], 0x2c
	s_add_co_i32 s4, s4, -2
	s_delay_alu instid0(SALU_CYCLE_1) | instskip(SKIP_2) | instid1(VALU_DEP_1)
	s_cmp_lg_u32 s4, 0
	s_wait_kmcnt 0x0
	v_mul_hi_u32 v11, s9, v10
	v_add_nc_u32_e32 v11, v10, v11
	s_delay_alu instid0(VALU_DEP_1) | instskip(NEXT) | instid1(VALU_DEP_1)
	v_lshrrev_b32_e32 v11, s10, v11
	v_mul_hi_u32 v12, s6, v11
	v_mul_lo_u32 v13, v11, s8
	s_clause 0x1
	s_load_b128 s[12:15], s[0:1], 0xdc
	s_load_b64 s[8:9], s[0:1], 0xec
	s_wait_xcnt 0x0
	s_add_nc_u64 s[0:1], s[0:1], 24
	s_delay_alu instid0(VALU_DEP_1) | instskip(NEXT) | instid1(VALU_DEP_1)
	v_dual_add_nc_u32 v12, v11, v12 :: v_dual_sub_nc_u32 v13, v10, v13
	v_lshrrev_b32_e32 v10, s7, v12
	s_wait_kmcnt 0x0
	s_delay_alu instid0(VALU_DEP_2) | instskip(NEXT) | instid1(VALU_DEP_2)
	v_mad_u32 v5, v13, s12, v5
	v_mul_lo_u32 v12, v10, s11
	v_mad_u32 v6, v13, s14, v6
	v_mad_u32 v7, v13, s13, v7
	s_delay_alu instid0(VALU_DEP_3) | instskip(NEXT) | instid1(VALU_DEP_1)
	v_sub_nc_u32_e32 v11, v11, v12
	v_mad_u32 v5, v11, s15, v5
	s_delay_alu instid0(VALU_DEP_4) | instskip(NEXT) | instid1(VALU_DEP_4)
	v_mad_u32 v6, v11, s9, v6
	v_mad_u32 v7, v11, s8, v7
	s_cbranch_scc1 .LBB213_122
; %bb.123:
	s_bitcmp1_b32 s3, 0
	s_cselect_b32 s3, -1, 0
	s_delay_alu instid0(SALU_CYCLE_1)
	s_and_b32 vcc_lo, exec_lo, s3
	s_cbranch_vccnz .LBB213_126
; %bb.124:
	s_clause 0x1
	s_load_b96 s[4:6], s[0:1], 0x1c
	s_load_b96 s[8:10], s[0:1], 0xdc
	s_wait_kmcnt 0x0
	v_mul_hi_u32 v11, s5, v10
	s_delay_alu instid0(VALU_DEP_1) | instskip(NEXT) | instid1(VALU_DEP_1)
	v_add_nc_u32_e32 v11, v10, v11
	v_lshrrev_b32_e32 v11, s6, v11
	s_delay_alu instid0(VALU_DEP_1) | instskip(NEXT) | instid1(VALU_DEP_1)
	v_mul_lo_u32 v11, v11, s4
	v_sub_nc_u32_e32 v10, v10, v11
	s_delay_alu instid0(VALU_DEP_1)
	v_mad_u32 v5, v10, s8, v5
	v_mad_u32 v7, v10, s9, v7
	;; [unrolled: 1-line block ×3, first 2 shown]
	s_and_not1_b32 vcc_lo, exec_lo, s2
	s_cbranch_vccz .LBB213_127
	s_branch .LBB213_130
.LBB213_125:
	s_mov_b32 s2, -1
                                        ; implicit-def: $vgpr6
                                        ; implicit-def: $vgpr7
                                        ; implicit-def: $vgpr5
.LBB213_126:
	s_delay_alu instid0(SALU_CYCLE_1)
	s_and_not1_b32 vcc_lo, exec_lo, s2
	s_cbranch_vccnz .LBB213_130
.LBB213_127:
	s_clause 0x1
	s_load_b96 s[0:2], s[20:21], 0x4
	s_load_b96 s[4:6], s[20:21], 0xc4
	s_cmp_lt_u32 s26, 2
	s_wait_kmcnt 0x0
	v_mul_hi_u32 v5, s1, v9
	s_delay_alu instid0(VALU_DEP_1) | instskip(NEXT) | instid1(VALU_DEP_1)
	v_add_nc_u32_e32 v5, v9, v5
	v_lshrrev_b32_e32 v10, s2, v5
	s_delay_alu instid0(VALU_DEP_1) | instskip(NEXT) | instid1(VALU_DEP_1)
	v_mul_lo_u32 v5, v10, s0
	v_sub_nc_u32_e32 v7, v9, v5
	s_delay_alu instid0(VALU_DEP_1)
	v_mul_lo_u32 v5, v7, s4
	v_mul_lo_u32 v6, v7, s6
	;; [unrolled: 1-line block ×3, first 2 shown]
	s_cbranch_scc1 .LBB213_130
; %bb.128:
	s_clause 0x1
	s_load_b96 s[0:2], s[20:21], 0x10
	s_load_b96 s[4:6], s[20:21], 0xd0
	s_wait_kmcnt 0x0
	v_mul_hi_u32 v9, s1, v10
	s_delay_alu instid0(VALU_DEP_1) | instskip(NEXT) | instid1(VALU_DEP_1)
	v_add_nc_u32_e32 v9, v10, v9
	v_lshrrev_b32_e32 v9, s2, v9
	s_delay_alu instid0(VALU_DEP_1) | instskip(NEXT) | instid1(VALU_DEP_1)
	v_mul_lo_u32 v9, v9, s0
	v_sub_nc_u32_e32 v9, v10, v9
	s_delay_alu instid0(VALU_DEP_1)
	v_mad_u32 v5, v9, s4, v5
	v_mad_u32 v7, v9, s5, v7
	;; [unrolled: 1-line block ×3, first 2 shown]
	s_branch .LBB213_130
.LBB213_129:
	v_dual_mov_b32 v6, 0 :: v_dual_mov_b32 v7, 0
	v_mov_b32_e32 v5, 0
	s_and_not1_b32 vcc_lo, exec_lo, s2
	s_cbranch_vccz .LBB213_127
.LBB213_130:
	v_cmp_ne_u32_e32 vcc_lo, 1, v8
	v_add_nc_u32_e32 v12, 0x100, v0
	s_cbranch_vccnz .LBB213_136
; %bb.131:
	s_cmp_lg_u32 s26, 0
	s_mov_b32 s2, 0
	s_cbranch_scc0 .LBB213_140
; %bb.132:
	s_min_u32 s3, s27, 15
	v_dual_mov_b32 v9, 0 :: v_dual_mov_b32 v13, v12
	v_dual_mov_b32 v11, 0 :: v_dual_mov_b32 v10, 0
	s_add_co_i32 s4, s3, 1
	s_mov_b64 s[0:1], 0xffffffffffffffe8
	s_and_b32 s4, s4, 30
	s_add_nc_u64 s[0:1], s[20:21], s[0:1]
.LBB213_133:                            ; =>This Inner Loop Header: Depth=1
	s_clause 0x1
	s_load_b128 s[8:11], s[0:1], 0x1c
	s_load_b64 s[6:7], s[0:1], 0x2c
	s_add_co_i32 s4, s4, -2
	s_delay_alu instid0(SALU_CYCLE_1) | instskip(SKIP_2) | instid1(VALU_DEP_1)
	s_cmp_lg_u32 s4, 0
	s_wait_kmcnt 0x0
	v_mul_hi_u32 v14, s9, v13
	v_add_nc_u32_e32 v14, v13, v14
	s_delay_alu instid0(VALU_DEP_1) | instskip(NEXT) | instid1(VALU_DEP_1)
	v_lshrrev_b32_e32 v14, s10, v14
	v_mul_hi_u32 v15, s6, v14
	v_mul_lo_u32 v16, v14, s8
	s_clause 0x1
	s_load_b128 s[12:15], s[0:1], 0xdc
	s_load_b64 s[8:9], s[0:1], 0xec
	s_wait_xcnt 0x0
	s_add_nc_u64 s[0:1], s[0:1], 24
	s_delay_alu instid0(VALU_DEP_1) | instskip(NEXT) | instid1(VALU_DEP_1)
	v_dual_add_nc_u32 v15, v14, v15 :: v_dual_sub_nc_u32 v16, v13, v16
	v_lshrrev_b32_e32 v13, s7, v15
	s_wait_kmcnt 0x0
	s_delay_alu instid0(VALU_DEP_2) | instskip(NEXT) | instid1(VALU_DEP_2)
	v_mad_u32 v9, v16, s12, v9
	v_mul_lo_u32 v15, v13, s11
	v_mad_u32 v10, v16, s14, v10
	v_mad_u32 v11, v16, s13, v11
	s_delay_alu instid0(VALU_DEP_3) | instskip(NEXT) | instid1(VALU_DEP_1)
	v_sub_nc_u32_e32 v14, v14, v15
	v_mad_u32 v9, v14, s15, v9
	s_delay_alu instid0(VALU_DEP_4) | instskip(NEXT) | instid1(VALU_DEP_4)
	v_mad_u32 v10, v14, s9, v10
	v_mad_u32 v11, v14, s8, v11
	s_cbranch_scc1 .LBB213_133
; %bb.134:
	s_bitcmp1_b32 s3, 0
	s_cselect_b32 s3, -1, 0
	s_delay_alu instid0(SALU_CYCLE_1)
	s_and_b32 vcc_lo, exec_lo, s3
	s_cbranch_vccnz .LBB213_137
; %bb.135:
	s_clause 0x1
	s_load_b96 s[4:6], s[0:1], 0x1c
	s_load_b96 s[8:10], s[0:1], 0xdc
	s_wait_kmcnt 0x0
	v_mul_hi_u32 v14, s5, v13
	s_delay_alu instid0(VALU_DEP_1) | instskip(NEXT) | instid1(VALU_DEP_1)
	v_add_nc_u32_e32 v14, v13, v14
	v_lshrrev_b32_e32 v14, s6, v14
	s_delay_alu instid0(VALU_DEP_1) | instskip(NEXT) | instid1(VALU_DEP_1)
	v_mul_lo_u32 v14, v14, s4
	v_sub_nc_u32_e32 v13, v13, v14
	s_delay_alu instid0(VALU_DEP_1)
	v_mad_u32 v9, v13, s8, v9
	v_mad_u32 v11, v13, s9, v11
	;; [unrolled: 1-line block ×3, first 2 shown]
	s_and_not1_b32 vcc_lo, exec_lo, s2
	s_cbranch_vccz .LBB213_138
	s_branch .LBB213_141
.LBB213_136:
	s_mov_b32 s2, -1
                                        ; implicit-def: $vgpr10
                                        ; implicit-def: $vgpr11
                                        ; implicit-def: $vgpr9
.LBB213_137:
	s_delay_alu instid0(SALU_CYCLE_1)
	s_and_not1_b32 vcc_lo, exec_lo, s2
	s_cbranch_vccnz .LBB213_141
.LBB213_138:
	s_clause 0x1
	s_load_b96 s[0:2], s[20:21], 0x4
	s_load_b96 s[4:6], s[20:21], 0xc4
	s_cmp_lt_u32 s26, 2
	s_wait_kmcnt 0x0
	v_mul_hi_u32 v9, s1, v12
	s_delay_alu instid0(VALU_DEP_1) | instskip(NEXT) | instid1(VALU_DEP_1)
	v_add_nc_u32_e32 v9, v12, v9
	v_lshrrev_b32_e32 v13, s2, v9
	s_delay_alu instid0(VALU_DEP_1) | instskip(NEXT) | instid1(VALU_DEP_1)
	v_mul_lo_u32 v9, v13, s0
	v_sub_nc_u32_e32 v11, v12, v9
	s_delay_alu instid0(VALU_DEP_1)
	v_mul_lo_u32 v9, v11, s4
	v_mul_lo_u32 v10, v11, s6
	v_mul_lo_u32 v11, v11, s5
	s_cbranch_scc1 .LBB213_141
; %bb.139:
	s_clause 0x1
	s_load_b96 s[0:2], s[20:21], 0x10
	s_load_b96 s[4:6], s[20:21], 0xd0
	s_wait_kmcnt 0x0
	v_mul_hi_u32 v12, s1, v13
	s_delay_alu instid0(VALU_DEP_1) | instskip(NEXT) | instid1(VALU_DEP_1)
	v_add_nc_u32_e32 v12, v13, v12
	v_lshrrev_b32_e32 v12, s2, v12
	s_delay_alu instid0(VALU_DEP_1) | instskip(NEXT) | instid1(VALU_DEP_1)
	v_mul_lo_u32 v12, v12, s0
	v_sub_nc_u32_e32 v12, v13, v12
	s_delay_alu instid0(VALU_DEP_1)
	v_mad_u32 v9, v12, s4, v9
	v_mad_u32 v11, v12, s5, v11
	;; [unrolled: 1-line block ×3, first 2 shown]
	s_branch .LBB213_141
.LBB213_140:
	v_dual_mov_b32 v10, 0 :: v_dual_mov_b32 v11, 0
	v_mov_b32_e32 v9, 0
	s_and_not1_b32 vcc_lo, exec_lo, s2
	s_cbranch_vccz .LBB213_138
.LBB213_141:
	v_cmp_ne_u32_e32 vcc_lo, 1, v8
	v_add_nc_u32_e32 v15, 0x180, v0
	s_cbranch_vccnz .LBB213_147
; %bb.142:
	s_cmp_lg_u32 s26, 0
	s_mov_b32 s2, 0
	s_cbranch_scc0 .LBB213_151
; %bb.143:
	s_min_u32 s3, s27, 15
	v_dual_mov_b32 v12, 0 :: v_dual_mov_b32 v16, v15
	v_dual_mov_b32 v13, 0 :: v_dual_mov_b32 v14, 0
	s_add_co_i32 s4, s3, 1
	s_mov_b64 s[0:1], 0xffffffffffffffe8
	s_and_b32 s4, s4, 30
	s_add_nc_u64 s[0:1], s[20:21], s[0:1]
.LBB213_144:                            ; =>This Inner Loop Header: Depth=1
	s_clause 0x1
	s_load_b128 s[8:11], s[0:1], 0x1c
	s_load_b64 s[6:7], s[0:1], 0x2c
	s_add_co_i32 s4, s4, -2
	s_delay_alu instid0(SALU_CYCLE_1) | instskip(SKIP_2) | instid1(VALU_DEP_1)
	s_cmp_lg_u32 s4, 0
	s_wait_kmcnt 0x0
	v_mul_hi_u32 v17, s9, v16
	v_add_nc_u32_e32 v17, v16, v17
	s_delay_alu instid0(VALU_DEP_1) | instskip(NEXT) | instid1(VALU_DEP_1)
	v_lshrrev_b32_e32 v17, s10, v17
	v_mul_hi_u32 v18, s6, v17
	v_mul_lo_u32 v19, v17, s8
	s_clause 0x1
	s_load_b128 s[12:15], s[0:1], 0xdc
	s_load_b64 s[8:9], s[0:1], 0xec
	s_wait_xcnt 0x0
	s_add_nc_u64 s[0:1], s[0:1], 24
	s_delay_alu instid0(VALU_DEP_1) | instskip(NEXT) | instid1(VALU_DEP_1)
	v_dual_add_nc_u32 v18, v17, v18 :: v_dual_sub_nc_u32 v19, v16, v19
	v_lshrrev_b32_e32 v16, s7, v18
	s_wait_kmcnt 0x0
	s_delay_alu instid0(VALU_DEP_2) | instskip(NEXT) | instid1(VALU_DEP_2)
	v_mad_u32 v12, v19, s12, v12
	v_mul_lo_u32 v18, v16, s11
	v_mad_u32 v14, v19, s14, v14
	v_mad_u32 v13, v19, s13, v13
	s_delay_alu instid0(VALU_DEP_3) | instskip(NEXT) | instid1(VALU_DEP_1)
	v_sub_nc_u32_e32 v17, v17, v18
	v_mad_u32 v12, v17, s15, v12
	s_delay_alu instid0(VALU_DEP_4) | instskip(NEXT) | instid1(VALU_DEP_4)
	v_mad_u32 v14, v17, s9, v14
	v_mad_u32 v13, v17, s8, v13
	s_cbranch_scc1 .LBB213_144
; %bb.145:
	s_bitcmp1_b32 s3, 0
	s_cselect_b32 s3, -1, 0
	s_delay_alu instid0(SALU_CYCLE_1)
	s_and_b32 vcc_lo, exec_lo, s3
	s_cbranch_vccnz .LBB213_148
; %bb.146:
	s_clause 0x1
	s_load_b96 s[4:6], s[0:1], 0x1c
	s_load_b96 s[8:10], s[0:1], 0xdc
	s_wait_kmcnt 0x0
	v_mul_hi_u32 v17, s5, v16
	s_delay_alu instid0(VALU_DEP_1) | instskip(NEXT) | instid1(VALU_DEP_1)
	v_add_nc_u32_e32 v17, v16, v17
	v_lshrrev_b32_e32 v17, s6, v17
	s_delay_alu instid0(VALU_DEP_1) | instskip(NEXT) | instid1(VALU_DEP_1)
	v_mul_lo_u32 v17, v17, s4
	v_sub_nc_u32_e32 v16, v16, v17
	s_delay_alu instid0(VALU_DEP_1)
	v_mad_u32 v12, v16, s8, v12
	v_mad_u32 v13, v16, s9, v13
	;; [unrolled: 1-line block ×3, first 2 shown]
	s_and_not1_b32 vcc_lo, exec_lo, s2
	s_cbranch_vccz .LBB213_149
	s_branch .LBB213_152
.LBB213_147:
	s_mov_b32 s2, -1
                                        ; implicit-def: $vgpr14
                                        ; implicit-def: $vgpr13
                                        ; implicit-def: $vgpr12
.LBB213_148:
	s_delay_alu instid0(SALU_CYCLE_1)
	s_and_not1_b32 vcc_lo, exec_lo, s2
	s_cbranch_vccnz .LBB213_152
.LBB213_149:
	s_clause 0x1
	s_load_b96 s[0:2], s[20:21], 0x4
	s_load_b96 s[4:6], s[20:21], 0xc4
	s_cmp_lt_u32 s26, 2
	s_wait_kmcnt 0x0
	v_mul_hi_u32 v12, s1, v15
	s_delay_alu instid0(VALU_DEP_1) | instskip(NEXT) | instid1(VALU_DEP_1)
	v_add_nc_u32_e32 v12, v15, v12
	v_lshrrev_b32_e32 v16, s2, v12
	s_delay_alu instid0(VALU_DEP_1) | instskip(NEXT) | instid1(VALU_DEP_1)
	v_mul_lo_u32 v12, v16, s0
	v_sub_nc_u32_e32 v13, v15, v12
	s_delay_alu instid0(VALU_DEP_1)
	v_mul_lo_u32 v12, v13, s4
	v_mul_lo_u32 v14, v13, s6
	;; [unrolled: 1-line block ×3, first 2 shown]
	s_cbranch_scc1 .LBB213_152
; %bb.150:
	s_clause 0x1
	s_load_b96 s[0:2], s[20:21], 0x10
	s_load_b96 s[4:6], s[20:21], 0xd0
	s_wait_kmcnt 0x0
	v_mul_hi_u32 v15, s1, v16
	s_delay_alu instid0(VALU_DEP_1) | instskip(NEXT) | instid1(VALU_DEP_1)
	v_add_nc_u32_e32 v15, v16, v15
	v_lshrrev_b32_e32 v15, s2, v15
	s_delay_alu instid0(VALU_DEP_1) | instskip(NEXT) | instid1(VALU_DEP_1)
	v_mul_lo_u32 v15, v15, s0
	v_sub_nc_u32_e32 v15, v16, v15
	s_delay_alu instid0(VALU_DEP_1)
	v_mad_u32 v12, v15, s4, v12
	v_mad_u32 v13, v15, s5, v13
	;; [unrolled: 1-line block ×3, first 2 shown]
	s_branch .LBB213_152
.LBB213_151:
	v_dual_mov_b32 v14, 0 :: v_dual_mov_b32 v13, 0
	v_mov_b32_e32 v12, 0
	s_and_not1_b32 vcc_lo, exec_lo, s2
	s_cbranch_vccz .LBB213_149
.LBB213_152:
	v_cmp_ne_u32_e32 vcc_lo, 1, v8
	v_add_nc_u32_e32 v18, 0x200, v0
	s_cbranch_vccnz .LBB213_158
; %bb.153:
	s_cmp_lg_u32 s26, 0
	s_mov_b32 s2, 0
	s_cbranch_scc0 .LBB213_162
; %bb.154:
	s_min_u32 s3, s27, 15
	v_dual_mov_b32 v15, 0 :: v_dual_mov_b32 v19, v18
	v_dual_mov_b32 v16, 0 :: v_dual_mov_b32 v17, 0
	s_add_co_i32 s4, s3, 1
	s_mov_b64 s[0:1], 0xffffffffffffffe8
	s_and_b32 s4, s4, 30
	s_add_nc_u64 s[0:1], s[20:21], s[0:1]
.LBB213_155:                            ; =>This Inner Loop Header: Depth=1
	s_clause 0x1
	s_load_b128 s[8:11], s[0:1], 0x1c
	s_load_b64 s[6:7], s[0:1], 0x2c
	s_add_co_i32 s4, s4, -2
	s_delay_alu instid0(SALU_CYCLE_1) | instskip(SKIP_2) | instid1(VALU_DEP_1)
	s_cmp_lg_u32 s4, 0
	s_wait_kmcnt 0x0
	v_mul_hi_u32 v20, s9, v19
	v_add_nc_u32_e32 v20, v19, v20
	s_delay_alu instid0(VALU_DEP_1) | instskip(NEXT) | instid1(VALU_DEP_1)
	v_lshrrev_b32_e32 v20, s10, v20
	v_mul_hi_u32 v21, s6, v20
	v_mul_lo_u32 v22, v20, s8
	s_clause 0x1
	s_load_b128 s[12:15], s[0:1], 0xdc
	s_load_b64 s[8:9], s[0:1], 0xec
	s_wait_xcnt 0x0
	s_add_nc_u64 s[0:1], s[0:1], 24
	s_delay_alu instid0(VALU_DEP_1) | instskip(NEXT) | instid1(VALU_DEP_1)
	v_dual_add_nc_u32 v21, v20, v21 :: v_dual_sub_nc_u32 v22, v19, v22
	v_lshrrev_b32_e32 v19, s7, v21
	s_wait_kmcnt 0x0
	s_delay_alu instid0(VALU_DEP_2) | instskip(NEXT) | instid1(VALU_DEP_2)
	v_mad_u32 v15, v22, s12, v15
	v_mul_lo_u32 v21, v19, s11
	v_mad_u32 v17, v22, s14, v17
	v_mad_u32 v16, v22, s13, v16
	s_delay_alu instid0(VALU_DEP_3) | instskip(NEXT) | instid1(VALU_DEP_1)
	v_sub_nc_u32_e32 v20, v20, v21
	v_mad_u32 v15, v20, s15, v15
	s_delay_alu instid0(VALU_DEP_4) | instskip(NEXT) | instid1(VALU_DEP_4)
	v_mad_u32 v17, v20, s9, v17
	v_mad_u32 v16, v20, s8, v16
	s_cbranch_scc1 .LBB213_155
; %bb.156:
	s_bitcmp1_b32 s3, 0
	s_cselect_b32 s3, -1, 0
	s_delay_alu instid0(SALU_CYCLE_1)
	s_and_b32 vcc_lo, exec_lo, s3
	s_cbranch_vccnz .LBB213_159
; %bb.157:
	s_clause 0x1
	s_load_b96 s[4:6], s[0:1], 0x1c
	s_load_b96 s[8:10], s[0:1], 0xdc
	s_wait_kmcnt 0x0
	v_mul_hi_u32 v20, s5, v19
	s_delay_alu instid0(VALU_DEP_1) | instskip(NEXT) | instid1(VALU_DEP_1)
	v_add_nc_u32_e32 v20, v19, v20
	v_lshrrev_b32_e32 v20, s6, v20
	s_delay_alu instid0(VALU_DEP_1) | instskip(NEXT) | instid1(VALU_DEP_1)
	v_mul_lo_u32 v20, v20, s4
	v_sub_nc_u32_e32 v19, v19, v20
	s_delay_alu instid0(VALU_DEP_1)
	v_mad_u32 v15, v19, s8, v15
	v_mad_u32 v16, v19, s9, v16
	;; [unrolled: 1-line block ×3, first 2 shown]
	s_and_not1_b32 vcc_lo, exec_lo, s2
	s_cbranch_vccz .LBB213_160
	s_branch .LBB213_163
.LBB213_158:
	s_mov_b32 s2, -1
                                        ; implicit-def: $vgpr17
                                        ; implicit-def: $vgpr16
                                        ; implicit-def: $vgpr15
.LBB213_159:
	s_delay_alu instid0(SALU_CYCLE_1)
	s_and_not1_b32 vcc_lo, exec_lo, s2
	s_cbranch_vccnz .LBB213_163
.LBB213_160:
	s_clause 0x1
	s_load_b96 s[0:2], s[20:21], 0x4
	s_load_b96 s[4:6], s[20:21], 0xc4
	s_cmp_lt_u32 s26, 2
	s_wait_kmcnt 0x0
	v_mul_hi_u32 v15, s1, v18
	s_delay_alu instid0(VALU_DEP_1) | instskip(NEXT) | instid1(VALU_DEP_1)
	v_add_nc_u32_e32 v15, v18, v15
	v_lshrrev_b32_e32 v19, s2, v15
	s_delay_alu instid0(VALU_DEP_1) | instskip(NEXT) | instid1(VALU_DEP_1)
	v_mul_lo_u32 v15, v19, s0
	v_sub_nc_u32_e32 v16, v18, v15
	s_delay_alu instid0(VALU_DEP_1)
	v_mul_lo_u32 v15, v16, s4
	v_mul_lo_u32 v17, v16, s6
	;; [unrolled: 1-line block ×3, first 2 shown]
	s_cbranch_scc1 .LBB213_163
; %bb.161:
	s_clause 0x1
	s_load_b96 s[0:2], s[20:21], 0x10
	s_load_b96 s[4:6], s[20:21], 0xd0
	s_wait_kmcnt 0x0
	v_mul_hi_u32 v18, s1, v19
	s_delay_alu instid0(VALU_DEP_1) | instskip(NEXT) | instid1(VALU_DEP_1)
	v_add_nc_u32_e32 v18, v19, v18
	v_lshrrev_b32_e32 v18, s2, v18
	s_delay_alu instid0(VALU_DEP_1) | instskip(NEXT) | instid1(VALU_DEP_1)
	v_mul_lo_u32 v18, v18, s0
	v_sub_nc_u32_e32 v18, v19, v18
	s_delay_alu instid0(VALU_DEP_1)
	v_mad_u32 v15, v18, s4, v15
	v_mad_u32 v16, v18, s5, v16
	;; [unrolled: 1-line block ×3, first 2 shown]
	s_branch .LBB213_163
.LBB213_162:
	v_dual_mov_b32 v17, 0 :: v_dual_mov_b32 v16, 0
	v_mov_b32_e32 v15, 0
	s_and_not1_b32 vcc_lo, exec_lo, s2
	s_cbranch_vccz .LBB213_160
.LBB213_163:
	v_cmp_ne_u32_e32 vcc_lo, 1, v8
	v_add_nc_u32_e32 v21, 0x280, v0
	s_cbranch_vccnz .LBB213_169
; %bb.164:
	s_cmp_lg_u32 s26, 0
	s_mov_b32 s2, 0
	s_cbranch_scc0 .LBB213_173
; %bb.165:
	s_min_u32 s3, s27, 15
	v_dual_mov_b32 v18, 0 :: v_dual_mov_b32 v22, v21
	v_dual_mov_b32 v20, 0 :: v_dual_mov_b32 v19, 0
	s_add_co_i32 s4, s3, 1
	s_mov_b64 s[0:1], 0xffffffffffffffe8
	s_and_b32 s4, s4, 30
	s_add_nc_u64 s[0:1], s[20:21], s[0:1]
.LBB213_166:                            ; =>This Inner Loop Header: Depth=1
	s_clause 0x1
	s_load_b128 s[8:11], s[0:1], 0x1c
	s_load_b64 s[6:7], s[0:1], 0x2c
	s_add_co_i32 s4, s4, -2
	s_delay_alu instid0(SALU_CYCLE_1) | instskip(SKIP_2) | instid1(VALU_DEP_1)
	s_cmp_lg_u32 s4, 0
	s_wait_kmcnt 0x0
	v_mul_hi_u32 v23, s9, v22
	v_add_nc_u32_e32 v23, v22, v23
	s_delay_alu instid0(VALU_DEP_1) | instskip(NEXT) | instid1(VALU_DEP_1)
	v_lshrrev_b32_e32 v23, s10, v23
	v_mul_hi_u32 v24, s6, v23
	v_mul_lo_u32 v25, v23, s8
	s_clause 0x1
	s_load_b128 s[12:15], s[0:1], 0xdc
	s_load_b64 s[8:9], s[0:1], 0xec
	s_wait_xcnt 0x0
	s_add_nc_u64 s[0:1], s[0:1], 24
	s_delay_alu instid0(VALU_DEP_1) | instskip(NEXT) | instid1(VALU_DEP_1)
	v_dual_add_nc_u32 v24, v23, v24 :: v_dual_sub_nc_u32 v25, v22, v25
	v_lshrrev_b32_e32 v22, s7, v24
	s_wait_kmcnt 0x0
	s_delay_alu instid0(VALU_DEP_2) | instskip(NEXT) | instid1(VALU_DEP_2)
	v_mad_u32 v18, v25, s12, v18
	v_mul_lo_u32 v24, v22, s11
	v_mad_u32 v19, v25, s14, v19
	v_mad_u32 v20, v25, s13, v20
	s_delay_alu instid0(VALU_DEP_3) | instskip(NEXT) | instid1(VALU_DEP_1)
	v_sub_nc_u32_e32 v23, v23, v24
	v_mad_u32 v18, v23, s15, v18
	s_delay_alu instid0(VALU_DEP_4) | instskip(NEXT) | instid1(VALU_DEP_4)
	v_mad_u32 v19, v23, s9, v19
	v_mad_u32 v20, v23, s8, v20
	s_cbranch_scc1 .LBB213_166
; %bb.167:
	s_bitcmp1_b32 s3, 0
	s_cselect_b32 s3, -1, 0
	s_delay_alu instid0(SALU_CYCLE_1)
	s_and_b32 vcc_lo, exec_lo, s3
	s_cbranch_vccnz .LBB213_170
; %bb.168:
	s_clause 0x1
	s_load_b96 s[4:6], s[0:1], 0x1c
	s_load_b96 s[8:10], s[0:1], 0xdc
	s_wait_kmcnt 0x0
	v_mul_hi_u32 v23, s5, v22
	s_delay_alu instid0(VALU_DEP_1) | instskip(NEXT) | instid1(VALU_DEP_1)
	v_add_nc_u32_e32 v23, v22, v23
	v_lshrrev_b32_e32 v23, s6, v23
	s_delay_alu instid0(VALU_DEP_1) | instskip(NEXT) | instid1(VALU_DEP_1)
	v_mul_lo_u32 v23, v23, s4
	v_sub_nc_u32_e32 v22, v22, v23
	s_delay_alu instid0(VALU_DEP_1)
	v_mad_u32 v18, v22, s8, v18
	v_mad_u32 v20, v22, s9, v20
	;; [unrolled: 1-line block ×3, first 2 shown]
	s_and_not1_b32 vcc_lo, exec_lo, s2
	s_cbranch_vccz .LBB213_171
	s_branch .LBB213_174
.LBB213_169:
	s_mov_b32 s2, -1
                                        ; implicit-def: $vgpr19
                                        ; implicit-def: $vgpr20
                                        ; implicit-def: $vgpr18
.LBB213_170:
	s_delay_alu instid0(SALU_CYCLE_1)
	s_and_not1_b32 vcc_lo, exec_lo, s2
	s_cbranch_vccnz .LBB213_174
.LBB213_171:
	s_clause 0x1
	s_load_b96 s[0:2], s[20:21], 0x4
	s_load_b96 s[4:6], s[20:21], 0xc4
	s_cmp_lt_u32 s26, 2
	s_wait_kmcnt 0x0
	v_mul_hi_u32 v18, s1, v21
	s_delay_alu instid0(VALU_DEP_1) | instskip(NEXT) | instid1(VALU_DEP_1)
	v_add_nc_u32_e32 v18, v21, v18
	v_lshrrev_b32_e32 v22, s2, v18
	s_delay_alu instid0(VALU_DEP_1) | instskip(NEXT) | instid1(VALU_DEP_1)
	v_mul_lo_u32 v18, v22, s0
	v_sub_nc_u32_e32 v20, v21, v18
	s_delay_alu instid0(VALU_DEP_1)
	v_mul_lo_u32 v18, v20, s4
	v_mul_lo_u32 v19, v20, s6
	v_mul_lo_u32 v20, v20, s5
	s_cbranch_scc1 .LBB213_174
; %bb.172:
	s_clause 0x1
	s_load_b96 s[0:2], s[20:21], 0x10
	s_load_b96 s[4:6], s[20:21], 0xd0
	s_wait_kmcnt 0x0
	v_mul_hi_u32 v21, s1, v22
	s_delay_alu instid0(VALU_DEP_1) | instskip(NEXT) | instid1(VALU_DEP_1)
	v_add_nc_u32_e32 v21, v22, v21
	v_lshrrev_b32_e32 v21, s2, v21
	s_delay_alu instid0(VALU_DEP_1) | instskip(NEXT) | instid1(VALU_DEP_1)
	v_mul_lo_u32 v21, v21, s0
	v_sub_nc_u32_e32 v21, v22, v21
	s_delay_alu instid0(VALU_DEP_1)
	v_mad_u32 v18, v21, s4, v18
	v_mad_u32 v20, v21, s5, v20
	;; [unrolled: 1-line block ×3, first 2 shown]
	s_branch .LBB213_174
.LBB213_173:
	v_dual_mov_b32 v19, 0 :: v_dual_mov_b32 v20, 0
	v_mov_b32_e32 v18, 0
	s_and_not1_b32 vcc_lo, exec_lo, s2
	s_cbranch_vccz .LBB213_171
.LBB213_174:
	v_cmp_ne_u32_e32 vcc_lo, 1, v8
	v_add_nc_u32_e32 v23, 0x300, v0
	s_cbranch_vccnz .LBB213_180
; %bb.175:
	s_cmp_lg_u32 s26, 0
	s_mov_b32 s2, 0
	s_cbranch_scc0 .LBB213_184
; %bb.176:
	s_min_u32 s3, s27, 15
	v_dual_mov_b32 v0, 0 :: v_dual_mov_b32 v24, v23
	v_dual_mov_b32 v22, 0 :: v_dual_mov_b32 v21, 0
	s_add_co_i32 s4, s3, 1
	s_mov_b64 s[0:1], 0xffffffffffffffe8
	s_and_b32 s4, s4, 30
	s_add_nc_u64 s[0:1], s[20:21], s[0:1]
.LBB213_177:                            ; =>This Inner Loop Header: Depth=1
	s_clause 0x1
	s_load_b128 s[8:11], s[0:1], 0x1c
	s_load_b64 s[6:7], s[0:1], 0x2c
	s_add_co_i32 s4, s4, -2
	s_delay_alu instid0(SALU_CYCLE_1) | instskip(SKIP_2) | instid1(VALU_DEP_1)
	s_cmp_lg_u32 s4, 0
	s_wait_kmcnt 0x0
	v_mul_hi_u32 v25, s9, v24
	v_add_nc_u32_e32 v25, v24, v25
	s_delay_alu instid0(VALU_DEP_1) | instskip(NEXT) | instid1(VALU_DEP_1)
	v_lshrrev_b32_e32 v25, s10, v25
	v_mul_hi_u32 v26, s6, v25
	v_mul_lo_u32 v27, v25, s8
	s_clause 0x1
	s_load_b128 s[12:15], s[0:1], 0xdc
	s_load_b64 s[8:9], s[0:1], 0xec
	s_wait_xcnt 0x0
	s_add_nc_u64 s[0:1], s[0:1], 24
	s_delay_alu instid0(VALU_DEP_1) | instskip(NEXT) | instid1(VALU_DEP_1)
	v_dual_add_nc_u32 v26, v25, v26 :: v_dual_sub_nc_u32 v27, v24, v27
	v_lshrrev_b32_e32 v24, s7, v26
	s_wait_kmcnt 0x0
	s_delay_alu instid0(VALU_DEP_2) | instskip(NEXT) | instid1(VALU_DEP_2)
	v_mad_u32 v0, v27, s12, v0
	v_mul_lo_u32 v26, v24, s11
	v_mad_u32 v21, v27, s14, v21
	v_mad_u32 v22, v27, s13, v22
	s_delay_alu instid0(VALU_DEP_3) | instskip(NEXT) | instid1(VALU_DEP_1)
	v_sub_nc_u32_e32 v25, v25, v26
	v_mad_u32 v0, v25, s15, v0
	s_delay_alu instid0(VALU_DEP_4) | instskip(NEXT) | instid1(VALU_DEP_4)
	v_mad_u32 v21, v25, s9, v21
	v_mad_u32 v22, v25, s8, v22
	s_cbranch_scc1 .LBB213_177
; %bb.178:
	s_bitcmp1_b32 s3, 0
	s_cselect_b32 s3, -1, 0
	s_delay_alu instid0(SALU_CYCLE_1)
	s_and_b32 vcc_lo, exec_lo, s3
	s_cbranch_vccnz .LBB213_181
; %bb.179:
	s_clause 0x1
	s_load_b96 s[4:6], s[0:1], 0x1c
	s_load_b96 s[8:10], s[0:1], 0xdc
	s_wait_kmcnt 0x0
	v_mul_hi_u32 v25, s5, v24
	s_delay_alu instid0(VALU_DEP_1) | instskip(NEXT) | instid1(VALU_DEP_1)
	v_add_nc_u32_e32 v25, v24, v25
	v_lshrrev_b32_e32 v25, s6, v25
	s_delay_alu instid0(VALU_DEP_1) | instskip(NEXT) | instid1(VALU_DEP_1)
	v_mul_lo_u32 v25, v25, s4
	v_sub_nc_u32_e32 v24, v24, v25
	s_delay_alu instid0(VALU_DEP_1)
	v_mad_u32 v0, v24, s8, v0
	v_mad_u32 v22, v24, s9, v22
	;; [unrolled: 1-line block ×3, first 2 shown]
	s_and_not1_b32 vcc_lo, exec_lo, s2
	s_cbranch_vccz .LBB213_182
	s_branch .LBB213_185
.LBB213_180:
	s_mov_b32 s2, -1
                                        ; implicit-def: $vgpr21
                                        ; implicit-def: $vgpr22
                                        ; implicit-def: $vgpr0
.LBB213_181:
	s_delay_alu instid0(SALU_CYCLE_1)
	s_and_not1_b32 vcc_lo, exec_lo, s2
	s_cbranch_vccnz .LBB213_185
.LBB213_182:
	s_clause 0x1
	s_load_b96 s[0:2], s[20:21], 0x4
	s_load_b96 s[4:6], s[20:21], 0xc4
	s_cmp_lt_u32 s26, 2
	s_wait_kmcnt 0x0
	v_mul_hi_u32 v0, s1, v23
	s_delay_alu instid0(VALU_DEP_1) | instskip(NEXT) | instid1(VALU_DEP_1)
	v_add_nc_u32_e32 v0, v23, v0
	v_lshrrev_b32_e32 v24, s2, v0
	s_delay_alu instid0(VALU_DEP_1) | instskip(NEXT) | instid1(VALU_DEP_1)
	v_mul_lo_u32 v0, v24, s0
	v_sub_nc_u32_e32 v22, v23, v0
	s_delay_alu instid0(VALU_DEP_1)
	v_mul_lo_u32 v0, v22, s4
	v_mul_lo_u32 v21, v22, s6
	;; [unrolled: 1-line block ×3, first 2 shown]
	s_cbranch_scc1 .LBB213_185
; %bb.183:
	s_clause 0x1
	s_load_b96 s[0:2], s[20:21], 0x10
	s_load_b96 s[4:6], s[20:21], 0xd0
	s_wait_kmcnt 0x0
	v_mul_hi_u32 v23, s1, v24
	s_delay_alu instid0(VALU_DEP_1) | instskip(NEXT) | instid1(VALU_DEP_1)
	v_add_nc_u32_e32 v23, v24, v23
	v_lshrrev_b32_e32 v23, s2, v23
	s_delay_alu instid0(VALU_DEP_1) | instskip(NEXT) | instid1(VALU_DEP_1)
	v_mul_lo_u32 v23, v23, s0
	v_sub_nc_u32_e32 v23, v24, v23
	s_delay_alu instid0(VALU_DEP_1)
	v_mad_u32 v0, v23, s4, v0
	v_mad_u32 v22, v23, s5, v22
	;; [unrolled: 1-line block ×3, first 2 shown]
	s_branch .LBB213_185
.LBB213_184:
	v_dual_mov_b32 v21, 0 :: v_dual_mov_b32 v22, 0
	v_mov_b32_e32 v0, 0
	s_and_not1_b32 vcc_lo, exec_lo, s2
	s_cbranch_vccz .LBB213_182
.LBB213_185:
	v_cmp_ne_u32_e32 vcc_lo, 1, v8
	s_cbranch_vccnz .LBB213_191
; %bb.186:
	s_cmp_lg_u32 s26, 0
	s_mov_b32 s2, 0
	s_cbranch_scc0 .LBB213_195
; %bb.187:
	s_min_u32 s3, s27, 15
	v_dual_mov_b32 v8, 0 :: v_dual_mov_b32 v25, v4
	v_dual_mov_b32 v24, 0 :: v_dual_mov_b32 v23, 0
	s_add_co_i32 s4, s3, 1
	s_mov_b64 s[0:1], 0xffffffffffffffe8
	s_and_b32 s4, s4, 30
	s_add_nc_u64 s[0:1], s[20:21], s[0:1]
.LBB213_188:                            ; =>This Inner Loop Header: Depth=1
	s_clause 0x1
	s_load_b128 s[8:11], s[0:1], 0x1c
	s_load_b64 s[6:7], s[0:1], 0x2c
	s_add_co_i32 s4, s4, -2
	s_delay_alu instid0(SALU_CYCLE_1) | instskip(SKIP_2) | instid1(VALU_DEP_1)
	s_cmp_lg_u32 s4, 0
	s_wait_kmcnt 0x0
	v_mul_hi_u32 v26, s9, v25
	v_add_nc_u32_e32 v26, v25, v26
	s_delay_alu instid0(VALU_DEP_1) | instskip(NEXT) | instid1(VALU_DEP_1)
	v_lshrrev_b32_e32 v26, s10, v26
	v_mul_hi_u32 v27, s6, v26
	v_mul_lo_u32 v28, v26, s8
	s_clause 0x1
	s_load_b128 s[12:15], s[0:1], 0xdc
	s_load_b64 s[8:9], s[0:1], 0xec
	s_wait_xcnt 0x0
	s_add_nc_u64 s[0:1], s[0:1], 24
	s_delay_alu instid0(VALU_DEP_1) | instskip(NEXT) | instid1(VALU_DEP_1)
	v_dual_add_nc_u32 v27, v26, v27 :: v_dual_sub_nc_u32 v28, v25, v28
	v_lshrrev_b32_e32 v25, s7, v27
	s_wait_kmcnt 0x0
	s_delay_alu instid0(VALU_DEP_2) | instskip(NEXT) | instid1(VALU_DEP_2)
	v_mad_u32 v8, v28, s12, v8
	v_mul_lo_u32 v27, v25, s11
	v_mad_u32 v23, v28, s14, v23
	v_mad_u32 v24, v28, s13, v24
	s_delay_alu instid0(VALU_DEP_3) | instskip(NEXT) | instid1(VALU_DEP_1)
	v_sub_nc_u32_e32 v26, v26, v27
	v_mad_u32 v8, v26, s15, v8
	s_delay_alu instid0(VALU_DEP_4) | instskip(NEXT) | instid1(VALU_DEP_4)
	v_mad_u32 v23, v26, s9, v23
	v_mad_u32 v24, v26, s8, v24
	s_cbranch_scc1 .LBB213_188
; %bb.189:
	s_bitcmp1_b32 s3, 0
	s_cselect_b32 s3, -1, 0
	s_delay_alu instid0(SALU_CYCLE_1)
	s_and_b32 vcc_lo, exec_lo, s3
	s_cbranch_vccnz .LBB213_192
; %bb.190:
	s_clause 0x1
	s_load_b96 s[4:6], s[0:1], 0x1c
	s_load_b96 s[8:10], s[0:1], 0xdc
	s_wait_kmcnt 0x0
	v_mul_hi_u32 v26, s5, v25
	s_delay_alu instid0(VALU_DEP_1) | instskip(NEXT) | instid1(VALU_DEP_1)
	v_add_nc_u32_e32 v26, v25, v26
	v_lshrrev_b32_e32 v26, s6, v26
	s_delay_alu instid0(VALU_DEP_1) | instskip(NEXT) | instid1(VALU_DEP_1)
	v_mul_lo_u32 v26, v26, s4
	v_sub_nc_u32_e32 v25, v25, v26
	s_delay_alu instid0(VALU_DEP_1)
	v_mad_u32 v8, v25, s8, v8
	v_mad_u32 v24, v25, s9, v24
	;; [unrolled: 1-line block ×3, first 2 shown]
	s_and_not1_b32 vcc_lo, exec_lo, s2
	s_cbranch_vccz .LBB213_193
	s_branch .LBB213_196
.LBB213_191:
	s_mov_b32 s2, -1
                                        ; implicit-def: $vgpr23
                                        ; implicit-def: $vgpr24
                                        ; implicit-def: $vgpr8
.LBB213_192:
	s_delay_alu instid0(SALU_CYCLE_1)
	s_and_not1_b32 vcc_lo, exec_lo, s2
	s_cbranch_vccnz .LBB213_196
.LBB213_193:
	s_clause 0x1
	s_load_b96 s[0:2], s[20:21], 0x4
	s_load_b96 s[4:6], s[20:21], 0xc4
	s_cmp_lt_u32 s26, 2
	s_wait_kmcnt 0x0
	v_mul_hi_u32 v8, s1, v4
	s_delay_alu instid0(VALU_DEP_1) | instskip(NEXT) | instid1(VALU_DEP_1)
	v_add_nc_u32_e32 v8, v4, v8
	v_lshrrev_b32_e32 v25, s2, v8
	s_delay_alu instid0(VALU_DEP_1) | instskip(NEXT) | instid1(VALU_DEP_1)
	v_mul_lo_u32 v8, v25, s0
	v_sub_nc_u32_e32 v4, v4, v8
	s_delay_alu instid0(VALU_DEP_1)
	v_mul_lo_u32 v8, v4, s4
	v_mul_lo_u32 v23, v4, s6
	;; [unrolled: 1-line block ×3, first 2 shown]
	s_cbranch_scc1 .LBB213_196
; %bb.194:
	s_clause 0x1
	s_load_b96 s[0:2], s[20:21], 0x10
	s_load_b96 s[4:6], s[20:21], 0xd0
	s_wait_kmcnt 0x0
	v_mul_hi_u32 v4, s1, v25
	s_delay_alu instid0(VALU_DEP_1) | instskip(NEXT) | instid1(VALU_DEP_1)
	v_add_nc_u32_e32 v4, v25, v4
	v_lshrrev_b32_e32 v4, s2, v4
	s_delay_alu instid0(VALU_DEP_1) | instskip(NEXT) | instid1(VALU_DEP_1)
	v_mul_lo_u32 v4, v4, s0
	v_sub_nc_u32_e32 v4, v25, v4
	s_delay_alu instid0(VALU_DEP_1)
	v_mad_u32 v8, v4, s4, v8
	v_mad_u32 v24, v4, s5, v24
	;; [unrolled: 1-line block ×3, first 2 shown]
	s_branch .LBB213_196
.LBB213_195:
	v_dual_mov_b32 v23, 0 :: v_dual_mov_b32 v24, 0
	v_mov_b32_e32 v8, 0
	s_and_not1_b32 vcc_lo, exec_lo, s2
	s_cbranch_vccz .LBB213_193
.LBB213_196:
	s_clause 0x1
	s_load_b128 s[16:19], s[20:21], 0x188
	s_load_b96 s[0:2], s[20:21], 0x198
	s_wait_kmcnt 0x0
	global_load_u8 v4, v2, s[18:19]
	global_load_u8 v25, v3, s[0:1]
	global_load_u8 v26, v7, s[18:19]
	global_load_u8 v27, v6, s[0:1]
	global_load_u8 v28, v11, s[18:19]
	global_load_u8 v29, v10, s[0:1]
	global_load_u8 v30, v13, s[18:19]
	global_load_u8 v31, v14, s[0:1]
	global_load_u8 v32, v16, s[18:19]
	global_load_u8 v33, v17, s[0:1]
	global_load_u8 v34, v20, s[18:19]
	global_load_u8 v35, v19, s[0:1]
	global_load_u8 v36, v22, s[18:19]
	global_load_u8 v37, v21, s[0:1]
	global_load_u8 v38, v24, s[18:19]
                                        ; kill: killed $sgpr18_sgpr19
                                        ; kill: killed $vgpr14
                                        ; kill: killed $vgpr7
                                        ; kill: killed $vgpr20
                                        ; kill: killed $vgpr3
                                        ; kill: killed $vgpr17
                                        ; kill: killed $vgpr11
                                        ; kill: killed $vgpr22
                                        ; kill: killed $vgpr6
                                        ; kill: killed $vgpr19
                                        ; kill: killed $vgpr13
                                        ; kill: killed $vgpr24
                                        ; kill: killed $vgpr10
                                        ; kill: killed $vgpr2
                                        ; kill: killed $vgpr21
                                        ; kill: killed $vgpr16
	global_load_u8 v2, v23, s[0:1]
	s_cmp_eq_u32 s2, 0
	s_cselect_b32 s15, -1, 0
	s_wait_loadcnt 0xf
	v_cmp_ne_u16_e32 vcc_lo, 0, v4
	s_wait_loadcnt 0xe
	s_wait_xcnt 0x0
	v_cmp_ne_u16_e64 s0, 0, v25
	s_wait_loadcnt 0xd
	v_cmp_ne_u16_e64 s1, 0, v26
	s_wait_loadcnt 0xc
	v_cmp_ne_u16_e64 s2, 0, v27
	s_wait_loadcnt 0xb
	v_cmp_ne_u16_e64 s3, 0, v28
	s_wait_loadcnt 0xa
	v_cmp_ne_u16_e64 s4, 0, v29
	s_xor_b32 s0, vcc_lo, s0
	s_wait_loadcnt 0x9
	v_cmp_ne_u16_e64 s5, 0, v30
	s_wait_loadcnt 0x8
	v_cmp_ne_u16_e64 s6, 0, v31
	s_xor_b32 s1, s1, s2
	s_xor_b32 s0, s15, s0
	s_wait_loadcnt 0x7
	v_cmp_ne_u16_e64 s7, 0, v32
	s_wait_loadcnt 0x6
	v_cmp_ne_u16_e64 s8, 0, v33
	s_xor_b32 s2, s3, s4
	s_wait_loadcnt 0x5
	v_cmp_ne_u16_e64 s9, 0, v34
	s_wait_loadcnt 0x4
	v_cmp_ne_u16_e64 s10, 0, v35
	s_xor_b32 s3, s5, s6
	s_wait_loadcnt 0x3
	v_cmp_ne_u16_e64 s11, 0, v36
	s_wait_loadcnt 0x2
	v_cmp_ne_u16_e64 s12, 0, v37
	s_xor_b32 s4, s7, s8
	s_wait_loadcnt 0x1
	v_cmp_ne_u16_e64 s13, 0, v38
	s_xor_b32 s5, s9, s10
	s_xor_b32 s6, s11, s12
	s_wait_loadcnt 0x0
	v_cmp_ne_u16_e64 s14, 0, v2
	v_cndmask_b32_e64 v2, 0, 1, s0
	s_xor_b32 s0, s15, s1
	s_delay_alu instid0(SALU_CYCLE_1) | instskip(SKIP_4) | instid1(SALU_CYCLE_1)
	v_cndmask_b32_e64 v3, 0, 1, s0
	s_xor_b32 s0, s15, s2
	s_xor_b32 s7, s13, s14
	v_cndmask_b32_e64 v4, 0, 1, s0
	s_xor_b32 s0, s15, s3
	v_cndmask_b32_e64 v6, 0, 1, s0
	s_xor_b32 s0, s15, s4
	s_delay_alu instid0(SALU_CYCLE_1) | instskip(SKIP_1) | instid1(SALU_CYCLE_1)
	v_cndmask_b32_e64 v7, 0, 1, s0
	s_xor_b32 s0, s15, s5
	v_cndmask_b32_e64 v10, 0, 1, s0
	s_xor_b32 s0, s15, s6
	s_delay_alu instid0(SALU_CYCLE_1) | instskip(SKIP_1) | instid1(SALU_CYCLE_1)
	v_cndmask_b32_e64 v11, 0, 1, s0
	s_xor_b32 s0, s15, s7
	v_cndmask_b32_e64 v13, 0, 1, s0
	s_clause 0x7
	global_store_b8 v1, v2, s[16:17]
	global_store_b8 v5, v3, s[16:17]
	;; [unrolled: 1-line block ×8, first 2 shown]
	s_endpgm
	.section	.rodata,"a",@progbits
	.p2align	6, 0x0
	.amdhsa_kernel _ZN2at6native32elementwise_kernel_manual_unrollILi128ELi8EZNS0_22gpu_kernel_impl_nocastINS0_13BinaryFunctorIbbbNS0_12_GLOBAL__N_116CompareEqFunctorIbEEEEEEvRNS_18TensorIteratorBaseERKT_EUlibE_EEviT1_
		.amdhsa_group_segment_fixed_size 0
		.amdhsa_private_segment_fixed_size 0
		.amdhsa_kernarg_size 432
		.amdhsa_user_sgpr_count 2
		.amdhsa_user_sgpr_dispatch_ptr 0
		.amdhsa_user_sgpr_queue_ptr 0
		.amdhsa_user_sgpr_kernarg_segment_ptr 1
		.amdhsa_user_sgpr_dispatch_id 0
		.amdhsa_user_sgpr_kernarg_preload_length 0
		.amdhsa_user_sgpr_kernarg_preload_offset 0
		.amdhsa_user_sgpr_private_segment_size 0
		.amdhsa_wavefront_size32 1
		.amdhsa_uses_dynamic_stack 0
		.amdhsa_enable_private_segment 0
		.amdhsa_system_sgpr_workgroup_id_x 1
		.amdhsa_system_sgpr_workgroup_id_y 0
		.amdhsa_system_sgpr_workgroup_id_z 0
		.amdhsa_system_sgpr_workgroup_info 0
		.amdhsa_system_vgpr_workitem_id 0
		.amdhsa_next_free_vgpr 39
		.amdhsa_next_free_sgpr 46
		.amdhsa_named_barrier_count 0
		.amdhsa_reserve_vcc 1
		.amdhsa_float_round_mode_32 0
		.amdhsa_float_round_mode_16_64 0
		.amdhsa_float_denorm_mode_32 3
		.amdhsa_float_denorm_mode_16_64 3
		.amdhsa_fp16_overflow 0
		.amdhsa_memory_ordered 1
		.amdhsa_forward_progress 1
		.amdhsa_inst_pref_size 86
		.amdhsa_round_robin_scheduling 0
		.amdhsa_exception_fp_ieee_invalid_op 0
		.amdhsa_exception_fp_denorm_src 0
		.amdhsa_exception_fp_ieee_div_zero 0
		.amdhsa_exception_fp_ieee_overflow 0
		.amdhsa_exception_fp_ieee_underflow 0
		.amdhsa_exception_fp_ieee_inexact 0
		.amdhsa_exception_int_div_zero 0
	.end_amdhsa_kernel
	.section	.text._ZN2at6native32elementwise_kernel_manual_unrollILi128ELi8EZNS0_22gpu_kernel_impl_nocastINS0_13BinaryFunctorIbbbNS0_12_GLOBAL__N_116CompareEqFunctorIbEEEEEEvRNS_18TensorIteratorBaseERKT_EUlibE_EEviT1_,"axG",@progbits,_ZN2at6native32elementwise_kernel_manual_unrollILi128ELi8EZNS0_22gpu_kernel_impl_nocastINS0_13BinaryFunctorIbbbNS0_12_GLOBAL__N_116CompareEqFunctorIbEEEEEEvRNS_18TensorIteratorBaseERKT_EUlibE_EEviT1_,comdat
.Lfunc_end213:
	.size	_ZN2at6native32elementwise_kernel_manual_unrollILi128ELi8EZNS0_22gpu_kernel_impl_nocastINS0_13BinaryFunctorIbbbNS0_12_GLOBAL__N_116CompareEqFunctorIbEEEEEEvRNS_18TensorIteratorBaseERKT_EUlibE_EEviT1_, .Lfunc_end213-_ZN2at6native32elementwise_kernel_manual_unrollILi128ELi8EZNS0_22gpu_kernel_impl_nocastINS0_13BinaryFunctorIbbbNS0_12_GLOBAL__N_116CompareEqFunctorIbEEEEEEvRNS_18TensorIteratorBaseERKT_EUlibE_EEviT1_
                                        ; -- End function
	.set _ZN2at6native32elementwise_kernel_manual_unrollILi128ELi8EZNS0_22gpu_kernel_impl_nocastINS0_13BinaryFunctorIbbbNS0_12_GLOBAL__N_116CompareEqFunctorIbEEEEEEvRNS_18TensorIteratorBaseERKT_EUlibE_EEviT1_.num_vgpr, 39
	.set _ZN2at6native32elementwise_kernel_manual_unrollILi128ELi8EZNS0_22gpu_kernel_impl_nocastINS0_13BinaryFunctorIbbbNS0_12_GLOBAL__N_116CompareEqFunctorIbEEEEEEvRNS_18TensorIteratorBaseERKT_EUlibE_EEviT1_.num_agpr, 0
	.set _ZN2at6native32elementwise_kernel_manual_unrollILi128ELi8EZNS0_22gpu_kernel_impl_nocastINS0_13BinaryFunctorIbbbNS0_12_GLOBAL__N_116CompareEqFunctorIbEEEEEEvRNS_18TensorIteratorBaseERKT_EUlibE_EEviT1_.numbered_sgpr, 46
	.set _ZN2at6native32elementwise_kernel_manual_unrollILi128ELi8EZNS0_22gpu_kernel_impl_nocastINS0_13BinaryFunctorIbbbNS0_12_GLOBAL__N_116CompareEqFunctorIbEEEEEEvRNS_18TensorIteratorBaseERKT_EUlibE_EEviT1_.num_named_barrier, 0
	.set _ZN2at6native32elementwise_kernel_manual_unrollILi128ELi8EZNS0_22gpu_kernel_impl_nocastINS0_13BinaryFunctorIbbbNS0_12_GLOBAL__N_116CompareEqFunctorIbEEEEEEvRNS_18TensorIteratorBaseERKT_EUlibE_EEviT1_.private_seg_size, 0
	.set _ZN2at6native32elementwise_kernel_manual_unrollILi128ELi8EZNS0_22gpu_kernel_impl_nocastINS0_13BinaryFunctorIbbbNS0_12_GLOBAL__N_116CompareEqFunctorIbEEEEEEvRNS_18TensorIteratorBaseERKT_EUlibE_EEviT1_.uses_vcc, 1
	.set _ZN2at6native32elementwise_kernel_manual_unrollILi128ELi8EZNS0_22gpu_kernel_impl_nocastINS0_13BinaryFunctorIbbbNS0_12_GLOBAL__N_116CompareEqFunctorIbEEEEEEvRNS_18TensorIteratorBaseERKT_EUlibE_EEviT1_.uses_flat_scratch, 0
	.set _ZN2at6native32elementwise_kernel_manual_unrollILi128ELi8EZNS0_22gpu_kernel_impl_nocastINS0_13BinaryFunctorIbbbNS0_12_GLOBAL__N_116CompareEqFunctorIbEEEEEEvRNS_18TensorIteratorBaseERKT_EUlibE_EEviT1_.has_dyn_sized_stack, 0
	.set _ZN2at6native32elementwise_kernel_manual_unrollILi128ELi8EZNS0_22gpu_kernel_impl_nocastINS0_13BinaryFunctorIbbbNS0_12_GLOBAL__N_116CompareEqFunctorIbEEEEEEvRNS_18TensorIteratorBaseERKT_EUlibE_EEviT1_.has_recursion, 0
	.set _ZN2at6native32elementwise_kernel_manual_unrollILi128ELi8EZNS0_22gpu_kernel_impl_nocastINS0_13BinaryFunctorIbbbNS0_12_GLOBAL__N_116CompareEqFunctorIbEEEEEEvRNS_18TensorIteratorBaseERKT_EUlibE_EEviT1_.has_indirect_call, 0
	.section	.AMDGPU.csdata,"",@progbits
; Kernel info:
; codeLenInByte = 11008
; TotalNumSgprs: 48
; NumVgprs: 39
; ScratchSize: 0
; MemoryBound: 0
; FloatMode: 240
; IeeeMode: 1
; LDSByteSize: 0 bytes/workgroup (compile time only)
; SGPRBlocks: 0
; VGPRBlocks: 2
; NumSGPRsForWavesPerEU: 48
; NumVGPRsForWavesPerEU: 39
; NamedBarCnt: 0
; Occupancy: 16
; WaveLimiterHint : 1
; COMPUTE_PGM_RSRC2:SCRATCH_EN: 0
; COMPUTE_PGM_RSRC2:USER_SGPR: 2
; COMPUTE_PGM_RSRC2:TRAP_HANDLER: 0
; COMPUTE_PGM_RSRC2:TGID_X_EN: 1
; COMPUTE_PGM_RSRC2:TGID_Y_EN: 0
; COMPUTE_PGM_RSRC2:TGID_Z_EN: 0
; COMPUTE_PGM_RSRC2:TIDIG_COMP_CNT: 0
	.section	.text._ZN2at6native32elementwise_kernel_manual_unrollILi128ELi4EZNS0_15gpu_kernel_implINS0_13BinaryFunctorIbbbNS0_12_GLOBAL__N_116CompareEqFunctorIbEEEEEEvRNS_18TensorIteratorBaseERKT_EUlibE_EEviT1_,"axG",@progbits,_ZN2at6native32elementwise_kernel_manual_unrollILi128ELi4EZNS0_15gpu_kernel_implINS0_13BinaryFunctorIbbbNS0_12_GLOBAL__N_116CompareEqFunctorIbEEEEEEvRNS_18TensorIteratorBaseERKT_EUlibE_EEviT1_,comdat
	.globl	_ZN2at6native32elementwise_kernel_manual_unrollILi128ELi4EZNS0_15gpu_kernel_implINS0_13BinaryFunctorIbbbNS0_12_GLOBAL__N_116CompareEqFunctorIbEEEEEEvRNS_18TensorIteratorBaseERKT_EUlibE_EEviT1_ ; -- Begin function _ZN2at6native32elementwise_kernel_manual_unrollILi128ELi4EZNS0_15gpu_kernel_implINS0_13BinaryFunctorIbbbNS0_12_GLOBAL__N_116CompareEqFunctorIbEEEEEEvRNS_18TensorIteratorBaseERKT_EUlibE_EEviT1_
	.p2align	8
	.type	_ZN2at6native32elementwise_kernel_manual_unrollILi128ELi4EZNS0_15gpu_kernel_implINS0_13BinaryFunctorIbbbNS0_12_GLOBAL__N_116CompareEqFunctorIbEEEEEEvRNS_18TensorIteratorBaseERKT_EUlibE_EEviT1_,@function
_ZN2at6native32elementwise_kernel_manual_unrollILi128ELi4EZNS0_15gpu_kernel_implINS0_13BinaryFunctorIbbbNS0_12_GLOBAL__N_116CompareEqFunctorIbEEEEEEvRNS_18TensorIteratorBaseERKT_EUlibE_EEviT1_: ; @_ZN2at6native32elementwise_kernel_manual_unrollILi128ELi4EZNS0_15gpu_kernel_implINS0_13BinaryFunctorIbbbNS0_12_GLOBAL__N_116CompareEqFunctorIbEEEEEEvRNS_18TensorIteratorBaseERKT_EUlibE_EEviT1_
; %bb.0:
	s_load_b32 s12, s[0:1], 0x30
	s_bfe_u32 s2, ttmp6, 0x4000c
	s_clause 0x1
	s_load_b32 s17, s[0:1], 0x0
	s_load_b128 s[4:7], s[0:1], 0x8
	s_add_co_i32 s14, s2, 1
	s_clause 0x1
	s_load_b64 s[2:3], s[0:1], 0x18
	s_load_b128 s[8:11], s[0:1], 0x20
	s_and_b32 s13, ttmp6, 15
	s_wait_xcnt 0x0
	s_mul_i32 s0, ttmp9, s14
	s_getreg_b32 s15, hwreg(HW_REG_IB_STS2, 6, 4)
	s_add_co_i32 s13, s13, s0
	s_mov_b32 s16, 0
	s_wait_kmcnt 0x0
	s_lshr_b32 s14, s12, 8
	s_lshr_b32 s1, s12, 16
	s_cmp_eq_u32 s15, 0
	s_cselect_b32 s0, ttmp9, s13
	s_mov_b32 s13, 0
	v_lshl_or_b32 v6, s0, 9, v0
	s_mov_b32 s0, exec_lo
	s_delay_alu instid0(VALU_DEP_1) | instskip(NEXT) | instid1(VALU_DEP_1)
	v_or_b32_e32 v0, 0x180, v6
	v_cmpx_le_i32_e64 s17, v0
	s_xor_b32 s15, exec_lo, s0
	s_cbranch_execz .LBB214_1390
; %bb.1:
	s_cmp_eq_u32 s11, 0
	s_mov_b32 s22, 0
	s_cselect_b32 s16, -1, 0
	s_mov_b32 s24, -1
	s_mov_b32 s20, 0
	s_mov_b32 s19, 0
	;; [unrolled: 1-line block ×3, first 2 shown]
	s_mov_b32 s21, exec_lo
	v_cmpx_gt_i32_e64 s17, v6
	s_cbranch_execz .LBB214_343
; %bb.2:
	v_mul_lo_u32 v0, v6, s9
	s_and_b32 s0, s14, 0xff
	s_delay_alu instid0(SALU_CYCLE_1) | instskip(NEXT) | instid1(VALU_DEP_1)
	s_cmp_lt_i32 s0, 11
	v_ashrrev_i32_e32 v1, 31, v0
	s_delay_alu instid0(VALU_DEP_1)
	v_add_nc_u64_e32 v[0:1], s[6:7], v[0:1]
	s_cbranch_scc1 .LBB214_9
; %bb.3:
	s_and_b32 s19, 0xffff, s0
	s_delay_alu instid0(SALU_CYCLE_1)
	s_cmp_gt_i32 s19, 25
	s_cbranch_scc0 .LBB214_18
; %bb.4:
	s_cmp_gt_i32 s19, 28
	s_cbranch_scc0 .LBB214_20
; %bb.5:
	;; [unrolled: 3-line block ×4, first 2 shown]
	s_cmp_eq_u32 s19, 46
	s_mov_b32 s24, 0
	s_cbranch_scc0 .LBB214_25
; %bb.8:
	global_load_b32 v2, v[0:1], off
	s_mov_b32 s23, -1
	s_wait_loadcnt 0x0
	v_and_b32_e32 v2, 0x7fff7fff, v2
	s_delay_alu instid0(VALU_DEP_1)
	v_cmp_ne_u32_e64 s18, 0, v2
	s_branch .LBB214_27
.LBB214_9:
	s_mov_b32 s23, 0
                                        ; implicit-def: $sgpr18
	s_cbranch_execnz .LBB214_73
.LBB214_10:
	s_and_not1_b32 vcc_lo, exec_lo, s23
	s_cbranch_vccnz .LBB214_120
.LBB214_11:
	v_mul_lo_u32 v0, v6, s10
	s_and_b32 s0, s1, 0xff
	s_delay_alu instid0(SALU_CYCLE_1) | instskip(NEXT) | instid1(VALU_DEP_1)
	s_cmp_lt_i32 s0, 11
	v_ashrrev_i32_e32 v1, 31, v0
	s_delay_alu instid0(VALU_DEP_1)
	v_add_nc_u64_e32 v[0:1], s[2:3], v[0:1]
	s_cbranch_scc1 .LBB214_19
; %bb.12:
	s_and_b32 s20, 0xffff, s0
	s_delay_alu instid0(SALU_CYCLE_1)
	s_cmp_gt_i32 s20, 25
	s_cbranch_scc0 .LBB214_21
; %bb.13:
	s_cmp_gt_i32 s20, 28
	s_cbranch_scc0 .LBB214_23
; %bb.14:
	s_cmp_gt_i32 s20, 43
	s_cbranch_scc0 .LBB214_24
; %bb.15:
	s_cmp_gt_i32 s20, 45
	s_cbranch_scc0 .LBB214_121
; %bb.16:
	s_cmp_eq_u32 s20, 46
	s_mov_b32 s25, 0
	s_cbranch_scc0 .LBB214_122
; %bb.17:
	global_load_b32 v2, v[0:1], off
	s_mov_b32 s19, 0
	s_mov_b32 s24, -1
	s_wait_loadcnt 0x0
	v_and_b32_e32 v2, 0x7fff7fff, v2
	s_delay_alu instid0(VALU_DEP_1)
	v_cmp_ne_u32_e64 s23, 0, v2
	s_branch .LBB214_124
.LBB214_18:
	s_mov_b32 s23, 0
                                        ; implicit-def: $sgpr18
	s_and_b32 vcc_lo, exec_lo, s24
	s_cbranch_vccnz .LBB214_48
	s_branch .LBB214_72
.LBB214_19:
	s_mov_b32 s19, 0
	s_mov_b32 s24, 0
                                        ; implicit-def: $sgpr23
	s_cbranch_execnz .LBB214_171
	s_branch .LBB214_219
.LBB214_20:
	s_mov_b32 s23, 0
                                        ; implicit-def: $sgpr18
	s_branch .LBB214_35
.LBB214_21:
	s_mov_b32 s25, -1
	s_mov_b32 s19, 0
	s_mov_b32 s24, 0
                                        ; implicit-def: $sgpr23
	s_branch .LBB214_145
.LBB214_22:
	s_mov_b32 s23, 0
                                        ; implicit-def: $sgpr18
	s_branch .LBB214_30
.LBB214_23:
	s_mov_b32 s25, -1
	s_mov_b32 s19, 0
	s_mov_b32 s24, 0
                                        ; implicit-def: $sgpr23
	s_branch .LBB214_132
.LBB214_24:
	s_mov_b32 s25, -1
	s_mov_b32 s19, 0
	s_mov_b32 s24, 0
                                        ; implicit-def: $sgpr23
	s_branch .LBB214_127
.LBB214_25:
	s_mov_b32 s20, -1
.LBB214_26:
	s_mov_b32 s23, 0
                                        ; implicit-def: $sgpr18
.LBB214_27:
	s_and_b32 vcc_lo, exec_lo, s24
	s_cbranch_vccz .LBB214_29
; %bb.28:
	s_cmp_eq_u32 s19, 44
	s_mov_b32 s20, -1
	s_cselect_b32 s23, -1, 0
	s_or_b32 s18, s18, exec_lo
.LBB214_29:
	s_mov_b32 s24, 0
.LBB214_30:
	s_delay_alu instid0(SALU_CYCLE_1)
	s_and_b32 vcc_lo, exec_lo, s24
	s_cbranch_vccz .LBB214_34
; %bb.31:
	s_cmp_eq_u32 s19, 29
	s_cbranch_scc0 .LBB214_33
; %bb.32:
	global_load_b64 v[2:3], v[0:1], off
	s_mov_b32 s23, -1
	s_mov_b32 s20, 0
	s_mov_b32 s24, 0
	s_wait_loadcnt 0x0
	v_cmp_ne_u64_e64 s18, 0, v[2:3]
	s_branch .LBB214_35
.LBB214_33:
	s_mov_b32 s20, -1
                                        ; implicit-def: $sgpr18
.LBB214_34:
	s_mov_b32 s24, 0
.LBB214_35:
	s_delay_alu instid0(SALU_CYCLE_1)
	s_and_b32 vcc_lo, exec_lo, s24
	s_cbranch_vccz .LBB214_47
; %bb.36:
	s_cmp_lt_i32 s19, 27
	s_cbranch_scc1 .LBB214_39
; %bb.37:
	s_cmp_gt_i32 s19, 27
	s_cbranch_scc0 .LBB214_40
; %bb.38:
	global_load_b32 v2, v[0:1], off
	s_mov_b32 s23, 0
	s_wait_loadcnt 0x0
	v_cmp_ne_u32_e64 s18, 0, v2
	s_branch .LBB214_41
.LBB214_39:
	s_mov_b32 s23, -1
                                        ; implicit-def: $sgpr18
	s_branch .LBB214_44
.LBB214_40:
	s_mov_b32 s23, -1
                                        ; implicit-def: $sgpr18
.LBB214_41:
	s_delay_alu instid0(SALU_CYCLE_1)
	s_and_not1_b32 vcc_lo, exec_lo, s23
	s_cbranch_vccnz .LBB214_43
; %bb.42:
	global_load_u16 v2, v[0:1], off
	s_and_not1_b32 s18, s18, exec_lo
	s_wait_loadcnt 0x0
	v_cmp_ne_u16_e32 vcc_lo, 0, v2
	s_and_b32 s23, vcc_lo, exec_lo
	s_delay_alu instid0(SALU_CYCLE_1)
	s_or_b32 s18, s18, s23
.LBB214_43:
	s_mov_b32 s23, 0
.LBB214_44:
	s_delay_alu instid0(SALU_CYCLE_1)
	s_and_not1_b32 vcc_lo, exec_lo, s23
	s_cbranch_vccnz .LBB214_46
; %bb.45:
	global_load_u8 v2, v[0:1], off
	s_and_not1_b32 s18, s18, exec_lo
	s_wait_loadcnt 0x0
	v_cmp_ne_u16_e32 vcc_lo, 0, v2
	s_and_b32 s23, vcc_lo, exec_lo
	s_delay_alu instid0(SALU_CYCLE_1)
	s_or_b32 s18, s18, s23
.LBB214_46:
	s_mov_b32 s23, -1
.LBB214_47:
	s_branch .LBB214_72
.LBB214_48:
	s_cmp_gt_i32 s19, 22
	s_cbranch_scc0 .LBB214_52
; %bb.49:
	s_cmp_lt_i32 s19, 24
	s_cbranch_scc1 .LBB214_53
; %bb.50:
	s_cmp_gt_i32 s19, 24
	s_cbranch_scc0 .LBB214_54
; %bb.51:
	global_load_u8 v2, v[0:1], off
	s_mov_b32 s23, 0
	s_wait_loadcnt 0x0
	v_cmp_ne_u16_e64 s18, 0, v2
	s_branch .LBB214_55
.LBB214_52:
	s_mov_b32 s24, -1
                                        ; implicit-def: $sgpr18
	s_branch .LBB214_61
.LBB214_53:
	s_mov_b32 s23, -1
                                        ; implicit-def: $sgpr18
	s_branch .LBB214_58
.LBB214_54:
	s_mov_b32 s23, -1
                                        ; implicit-def: $sgpr18
.LBB214_55:
	s_delay_alu instid0(SALU_CYCLE_1)
	s_and_not1_b32 vcc_lo, exec_lo, s23
	s_cbranch_vccnz .LBB214_57
; %bb.56:
	global_load_u8 v2, v[0:1], off
	s_and_not1_b32 s18, s18, exec_lo
	s_wait_loadcnt 0x0
	v_and_b32_e32 v2, 0x7f, v2
	s_delay_alu instid0(VALU_DEP_1) | instskip(SKIP_1) | instid1(SALU_CYCLE_1)
	v_cmp_ne_u16_e32 vcc_lo, 0, v2
	s_and_b32 s23, vcc_lo, exec_lo
	s_or_b32 s18, s18, s23
.LBB214_57:
	s_mov_b32 s23, 0
.LBB214_58:
	s_delay_alu instid0(SALU_CYCLE_1)
	s_and_not1_b32 vcc_lo, exec_lo, s23
	s_cbranch_vccnz .LBB214_60
; %bb.59:
	global_load_u8 v2, v[0:1], off
	s_and_not1_b32 s18, s18, exec_lo
	s_wait_loadcnt 0x0
	v_dual_lshlrev_b32 v3, 25, v2 :: v_dual_lshlrev_b32 v2, 8, v2
	s_delay_alu instid0(VALU_DEP_1) | instskip(NEXT) | instid1(VALU_DEP_2)
	v_cmp_gt_u32_e32 vcc_lo, 0x8000000, v3
	v_and_or_b32 v2, 0x7f00, v2, 0.5
	s_delay_alu instid0(VALU_DEP_1) | instskip(NEXT) | instid1(VALU_DEP_1)
	v_dual_lshrrev_b32 v4, 4, v3 :: v_dual_add_f32 v2, -0.5, v2
	v_or_b32_e32 v4, 0x70000000, v4
	s_delay_alu instid0(VALU_DEP_1) | instskip(NEXT) | instid1(VALU_DEP_1)
	v_mul_f32_e32 v4, 0x7800000, v4
	v_cndmask_b32_e32 v2, v4, v2, vcc_lo
	s_delay_alu instid0(VALU_DEP_1) | instskip(SKIP_1) | instid1(SALU_CYCLE_1)
	v_cmp_neq_f32_e32 vcc_lo, 0, v2
	s_and_b32 s23, vcc_lo, exec_lo
	s_or_b32 s18, s18, s23
.LBB214_60:
	s_mov_b32 s24, 0
	s_mov_b32 s23, -1
.LBB214_61:
	s_and_not1_b32 vcc_lo, exec_lo, s24
	s_cbranch_vccnz .LBB214_72
; %bb.62:
	s_cmp_gt_i32 s19, 14
	s_cbranch_scc0 .LBB214_65
; %bb.63:
	s_cmp_eq_u32 s19, 15
	s_cbranch_scc0 .LBB214_66
; %bb.64:
	global_load_u16 v2, v[0:1], off
	s_mov_b32 s20, 0
	s_mov_b32 s23, -1
	s_wait_loadcnt 0x0
	v_and_b32_e32 v2, 0x7fff, v2
	s_delay_alu instid0(VALU_DEP_1)
	v_cmp_ne_u16_e64 s18, 0, v2
	s_branch .LBB214_67
.LBB214_65:
	s_mov_b32 s24, -1
                                        ; implicit-def: $sgpr18
	s_branch .LBB214_68
.LBB214_66:
	s_mov_b32 s20, -1
                                        ; implicit-def: $sgpr18
.LBB214_67:
	s_mov_b32 s24, 0
.LBB214_68:
	s_delay_alu instid0(SALU_CYCLE_1)
	s_and_b32 vcc_lo, exec_lo, s24
	s_cbranch_vccz .LBB214_72
; %bb.69:
	s_cmp_eq_u32 s19, 11
	s_cbranch_scc0 .LBB214_71
; %bb.70:
	global_load_u8 v2, v[0:1], off
	s_mov_b32 s20, 0
	s_mov_b32 s23, -1
	s_wait_loadcnt 0x0
	v_cmp_ne_u16_e64 s18, 0, v2
	s_branch .LBB214_72
.LBB214_71:
	s_mov_b32 s20, -1
                                        ; implicit-def: $sgpr18
.LBB214_72:
	s_branch .LBB214_10
.LBB214_73:
	s_and_b32 s19, 0xffff, s0
	s_delay_alu instid0(SALU_CYCLE_1)
	s_cmp_lt_i32 s19, 5
	s_cbranch_scc1 .LBB214_78
; %bb.74:
	s_cmp_lt_i32 s19, 8
	s_cbranch_scc1 .LBB214_79
; %bb.75:
	;; [unrolled: 3-line block ×3, first 2 shown]
	s_cmp_gt_i32 s19, 9
	s_cbranch_scc0 .LBB214_81
; %bb.77:
	global_load_b128 v[2:5], v[0:1], off
	s_wait_loadcnt 0x0
	v_cmp_neq_f64_e32 vcc_lo, 0, v[2:3]
	v_cmp_neq_f64_e64 s0, 0, v[4:5]
	s_or_b32 s18, vcc_lo, s0
	s_mov_b32 s0, 0
	s_branch .LBB214_82
.LBB214_78:
                                        ; implicit-def: $sgpr18
	s_branch .LBB214_100
.LBB214_79:
	s_mov_b32 s0, -1
                                        ; implicit-def: $sgpr18
	s_branch .LBB214_88
.LBB214_80:
	s_mov_b32 s0, -1
                                        ; implicit-def: $sgpr18
	s_branch .LBB214_85
.LBB214_81:
	s_mov_b32 s0, -1
                                        ; implicit-def: $sgpr18
.LBB214_82:
	s_delay_alu instid0(SALU_CYCLE_1)
	s_and_not1_b32 vcc_lo, exec_lo, s0
	s_cbranch_vccnz .LBB214_84
; %bb.83:
	global_load_b64 v[2:3], v[0:1], off
	s_and_not1_b32 s0, s18, exec_lo
	s_wait_loadcnt 0x0
	v_bitop3_b32 v2, v2, 0x7fffffff, v3 bitop3:0xc8
	s_delay_alu instid0(VALU_DEP_1) | instskip(SKIP_1) | instid1(SALU_CYCLE_1)
	v_cmp_ne_u32_e32 vcc_lo, 0, v2
	s_and_b32 s18, vcc_lo, exec_lo
	s_or_b32 s18, s0, s18
.LBB214_84:
	s_mov_b32 s0, 0
.LBB214_85:
	s_delay_alu instid0(SALU_CYCLE_1)
	s_and_not1_b32 vcc_lo, exec_lo, s0
	s_cbranch_vccnz .LBB214_87
; %bb.86:
	global_load_b32 v2, v[0:1], off
	s_and_not1_b32 s0, s18, exec_lo
	s_wait_loadcnt 0x0
	v_and_b32_e32 v2, 0x7fff7fff, v2
	s_delay_alu instid0(VALU_DEP_1) | instskip(SKIP_1) | instid1(SALU_CYCLE_1)
	v_cmp_ne_u32_e32 vcc_lo, 0, v2
	s_and_b32 s18, vcc_lo, exec_lo
	s_or_b32 s18, s0, s18
.LBB214_87:
	s_mov_b32 s0, 0
.LBB214_88:
	s_delay_alu instid0(SALU_CYCLE_1)
	s_and_not1_b32 vcc_lo, exec_lo, s0
	s_cbranch_vccnz .LBB214_99
; %bb.89:
	s_cmp_lt_i32 s19, 6
	s_cbranch_scc1 .LBB214_92
; %bb.90:
	s_cmp_gt_i32 s19, 6
	s_cbranch_scc0 .LBB214_93
; %bb.91:
	global_load_b64 v[2:3], v[0:1], off
	s_mov_b32 s0, 0
	s_wait_loadcnt 0x0
	v_cmp_neq_f64_e64 s18, 0, v[2:3]
	s_branch .LBB214_94
.LBB214_92:
	s_mov_b32 s0, -1
                                        ; implicit-def: $sgpr18
	s_branch .LBB214_97
.LBB214_93:
	s_mov_b32 s0, -1
                                        ; implicit-def: $sgpr18
.LBB214_94:
	s_delay_alu instid0(SALU_CYCLE_1)
	s_and_not1_b32 vcc_lo, exec_lo, s0
	s_cbranch_vccnz .LBB214_96
; %bb.95:
	global_load_b32 v2, v[0:1], off
	s_and_not1_b32 s0, s18, exec_lo
	s_wait_loadcnt 0x0
	v_cmp_neq_f32_e32 vcc_lo, 0, v2
	s_and_b32 s18, vcc_lo, exec_lo
	s_delay_alu instid0(SALU_CYCLE_1)
	s_or_b32 s18, s0, s18
.LBB214_96:
	s_mov_b32 s0, 0
.LBB214_97:
	s_delay_alu instid0(SALU_CYCLE_1)
	s_and_not1_b32 vcc_lo, exec_lo, s0
	s_cbranch_vccnz .LBB214_99
; %bb.98:
	global_load_u16 v2, v[0:1], off
	s_and_not1_b32 s0, s18, exec_lo
	s_wait_loadcnt 0x0
	v_and_b32_e32 v2, 0x7fff, v2
	s_delay_alu instid0(VALU_DEP_1) | instskip(SKIP_1) | instid1(SALU_CYCLE_1)
	v_cmp_ne_u16_e32 vcc_lo, 0, v2
	s_and_b32 s18, vcc_lo, exec_lo
	s_or_b32 s18, s0, s18
.LBB214_99:
	s_cbranch_execnz .LBB214_119
.LBB214_100:
	s_cmp_lt_i32 s19, 2
	s_cbranch_scc1 .LBB214_104
; %bb.101:
	s_cmp_lt_i32 s19, 3
	s_cbranch_scc1 .LBB214_105
; %bb.102:
	s_cmp_gt_i32 s19, 3
	s_cbranch_scc0 .LBB214_106
; %bb.103:
	global_load_b64 v[2:3], v[0:1], off
	s_mov_b32 s0, 0
	s_wait_loadcnt 0x0
	v_cmp_ne_u64_e64 s18, 0, v[2:3]
	s_branch .LBB214_107
.LBB214_104:
	s_mov_b32 s0, -1
                                        ; implicit-def: $sgpr18
	s_branch .LBB214_113
.LBB214_105:
	s_mov_b32 s0, -1
                                        ; implicit-def: $sgpr18
	s_branch .LBB214_110
.LBB214_106:
	s_mov_b32 s0, -1
                                        ; implicit-def: $sgpr18
.LBB214_107:
	s_delay_alu instid0(SALU_CYCLE_1)
	s_and_not1_b32 vcc_lo, exec_lo, s0
	s_cbranch_vccnz .LBB214_109
; %bb.108:
	global_load_b32 v2, v[0:1], off
	s_and_not1_b32 s0, s18, exec_lo
	s_wait_loadcnt 0x0
	v_cmp_ne_u32_e32 vcc_lo, 0, v2
	s_and_b32 s18, vcc_lo, exec_lo
	s_delay_alu instid0(SALU_CYCLE_1)
	s_or_b32 s18, s0, s18
.LBB214_109:
	s_mov_b32 s0, 0
.LBB214_110:
	s_delay_alu instid0(SALU_CYCLE_1)
	s_and_not1_b32 vcc_lo, exec_lo, s0
	s_cbranch_vccnz .LBB214_112
; %bb.111:
	global_load_u16 v2, v[0:1], off
	s_and_not1_b32 s0, s18, exec_lo
	s_wait_loadcnt 0x0
	v_cmp_ne_u16_e32 vcc_lo, 0, v2
	s_and_b32 s18, vcc_lo, exec_lo
	s_delay_alu instid0(SALU_CYCLE_1)
	s_or_b32 s18, s0, s18
.LBB214_112:
	s_mov_b32 s0, 0
.LBB214_113:
	s_delay_alu instid0(SALU_CYCLE_1)
	s_and_not1_b32 vcc_lo, exec_lo, s0
	s_cbranch_vccnz .LBB214_119
; %bb.114:
	s_cmp_gt_i32 s19, 0
	s_mov_b32 s0, 0
	s_cbranch_scc0 .LBB214_116
; %bb.115:
	global_load_u8 v2, v[0:1], off
	s_wait_loadcnt 0x0
	v_cmp_ne_u16_e64 s18, 0, v2
	s_branch .LBB214_117
.LBB214_116:
	s_mov_b32 s0, -1
                                        ; implicit-def: $sgpr18
.LBB214_117:
	s_delay_alu instid0(SALU_CYCLE_1)
	s_and_not1_b32 vcc_lo, exec_lo, s0
	s_cbranch_vccnz .LBB214_119
; %bb.118:
	global_load_u8 v0, v[0:1], off
	s_and_not1_b32 s0, s18, exec_lo
	s_wait_loadcnt 0x0
	v_cmp_ne_u16_e32 vcc_lo, 0, v0
	s_and_b32 s18, vcc_lo, exec_lo
	s_delay_alu instid0(SALU_CYCLE_1)
	s_or_b32 s18, s0, s18
.LBB214_119:
	s_branch .LBB214_11
.LBB214_120:
	s_mov_b32 s0, 0
	s_mov_b32 s19, 0
	;; [unrolled: 1-line block ×3, first 2 shown]
                                        ; implicit-def: $vgpr6
	s_branch .LBB214_342
.LBB214_121:
	s_mov_b32 s25, -1
	s_mov_b32 s19, 0
	s_branch .LBB214_123
.LBB214_122:
	s_mov_b32 s19, -1
.LBB214_123:
	s_mov_b32 s24, 0
                                        ; implicit-def: $sgpr23
.LBB214_124:
	s_and_b32 vcc_lo, exec_lo, s25
	s_cbranch_vccz .LBB214_126
; %bb.125:
	s_cmp_eq_u32 s20, 44
	s_mov_b32 s19, -1
	s_cselect_b32 s24, -1, 0
	s_or_b32 s23, s23, exec_lo
.LBB214_126:
	s_mov_b32 s25, 0
.LBB214_127:
	s_delay_alu instid0(SALU_CYCLE_1)
	s_and_b32 vcc_lo, exec_lo, s25
	s_cbranch_vccz .LBB214_131
; %bb.128:
	s_cmp_eq_u32 s20, 29
	s_cbranch_scc0 .LBB214_130
; %bb.129:
	global_load_b64 v[2:3], v[0:1], off
	s_mov_b32 s24, -1
	s_mov_b32 s19, 0
	s_mov_b32 s25, 0
	s_wait_loadcnt 0x0
	v_cmp_ne_u64_e64 s23, 0, v[2:3]
	s_branch .LBB214_132
.LBB214_130:
	s_mov_b32 s19, -1
                                        ; implicit-def: $sgpr23
.LBB214_131:
	s_mov_b32 s25, 0
.LBB214_132:
	s_delay_alu instid0(SALU_CYCLE_1)
	s_and_b32 vcc_lo, exec_lo, s25
	s_cbranch_vccz .LBB214_144
; %bb.133:
	s_cmp_lt_i32 s20, 27
	s_cbranch_scc1 .LBB214_136
; %bb.134:
	s_cmp_gt_i32 s20, 27
	s_cbranch_scc0 .LBB214_137
; %bb.135:
	global_load_b32 v2, v[0:1], off
	s_mov_b32 s24, 0
	s_wait_loadcnt 0x0
	v_cmp_ne_u32_e64 s23, 0, v2
	s_branch .LBB214_138
.LBB214_136:
	s_mov_b32 s24, -1
                                        ; implicit-def: $sgpr23
	s_branch .LBB214_141
.LBB214_137:
	s_mov_b32 s24, -1
                                        ; implicit-def: $sgpr23
.LBB214_138:
	s_delay_alu instid0(SALU_CYCLE_1)
	s_and_not1_b32 vcc_lo, exec_lo, s24
	s_cbranch_vccnz .LBB214_140
; %bb.139:
	global_load_u16 v2, v[0:1], off
	s_and_not1_b32 s23, s23, exec_lo
	s_wait_loadcnt 0x0
	v_cmp_ne_u16_e32 vcc_lo, 0, v2
	s_and_b32 s24, vcc_lo, exec_lo
	s_delay_alu instid0(SALU_CYCLE_1)
	s_or_b32 s23, s23, s24
.LBB214_140:
	s_mov_b32 s24, 0
.LBB214_141:
	s_delay_alu instid0(SALU_CYCLE_1)
	s_and_not1_b32 vcc_lo, exec_lo, s24
	s_cbranch_vccnz .LBB214_143
; %bb.142:
	global_load_u8 v2, v[0:1], off
	s_and_not1_b32 s23, s23, exec_lo
	s_wait_loadcnt 0x0
	v_cmp_ne_u16_e32 vcc_lo, 0, v2
	s_and_b32 s24, vcc_lo, exec_lo
	s_delay_alu instid0(SALU_CYCLE_1)
	s_or_b32 s23, s23, s24
.LBB214_143:
	s_mov_b32 s24, -1
.LBB214_144:
	s_mov_b32 s25, 0
.LBB214_145:
	s_delay_alu instid0(SALU_CYCLE_1)
	s_and_b32 vcc_lo, exec_lo, s25
	s_cbranch_vccz .LBB214_170
; %bb.146:
	s_cmp_gt_i32 s20, 22
	s_cbranch_scc0 .LBB214_150
; %bb.147:
	s_cmp_lt_i32 s20, 24
	s_cbranch_scc1 .LBB214_151
; %bb.148:
	s_cmp_gt_i32 s20, 24
	s_cbranch_scc0 .LBB214_152
; %bb.149:
	global_load_u8 v2, v[0:1], off
	s_mov_b32 s24, 0
	s_wait_loadcnt 0x0
	v_cmp_ne_u16_e64 s23, 0, v2
	s_branch .LBB214_153
.LBB214_150:
	s_mov_b32 s25, -1
                                        ; implicit-def: $sgpr23
	s_branch .LBB214_159
.LBB214_151:
	s_mov_b32 s24, -1
                                        ; implicit-def: $sgpr23
	s_branch .LBB214_156
.LBB214_152:
	s_mov_b32 s24, -1
                                        ; implicit-def: $sgpr23
.LBB214_153:
	s_delay_alu instid0(SALU_CYCLE_1)
	s_and_not1_b32 vcc_lo, exec_lo, s24
	s_cbranch_vccnz .LBB214_155
; %bb.154:
	global_load_u8 v2, v[0:1], off
	s_and_not1_b32 s23, s23, exec_lo
	s_wait_loadcnt 0x0
	v_and_b32_e32 v2, 0x7f, v2
	s_delay_alu instid0(VALU_DEP_1) | instskip(SKIP_1) | instid1(SALU_CYCLE_1)
	v_cmp_ne_u16_e32 vcc_lo, 0, v2
	s_and_b32 s24, vcc_lo, exec_lo
	s_or_b32 s23, s23, s24
.LBB214_155:
	s_mov_b32 s24, 0
.LBB214_156:
	s_delay_alu instid0(SALU_CYCLE_1)
	s_and_not1_b32 vcc_lo, exec_lo, s24
	s_cbranch_vccnz .LBB214_158
; %bb.157:
	global_load_u8 v2, v[0:1], off
	s_and_not1_b32 s23, s23, exec_lo
	s_wait_loadcnt 0x0
	v_dual_lshlrev_b32 v3, 25, v2 :: v_dual_lshlrev_b32 v2, 8, v2
	s_delay_alu instid0(VALU_DEP_1) | instskip(NEXT) | instid1(VALU_DEP_2)
	v_cmp_gt_u32_e32 vcc_lo, 0x8000000, v3
	v_and_or_b32 v2, 0x7f00, v2, 0.5
	s_delay_alu instid0(VALU_DEP_1) | instskip(NEXT) | instid1(VALU_DEP_1)
	v_dual_lshrrev_b32 v4, 4, v3 :: v_dual_add_f32 v2, -0.5, v2
	v_or_b32_e32 v4, 0x70000000, v4
	s_delay_alu instid0(VALU_DEP_1) | instskip(NEXT) | instid1(VALU_DEP_1)
	v_mul_f32_e32 v4, 0x7800000, v4
	v_cndmask_b32_e32 v2, v4, v2, vcc_lo
	s_delay_alu instid0(VALU_DEP_1) | instskip(SKIP_1) | instid1(SALU_CYCLE_1)
	v_cmp_neq_f32_e32 vcc_lo, 0, v2
	s_and_b32 s24, vcc_lo, exec_lo
	s_or_b32 s23, s23, s24
.LBB214_158:
	s_mov_b32 s25, 0
	s_mov_b32 s24, -1
.LBB214_159:
	s_and_not1_b32 vcc_lo, exec_lo, s25
	s_cbranch_vccnz .LBB214_170
; %bb.160:
	s_cmp_gt_i32 s20, 14
	s_cbranch_scc0 .LBB214_163
; %bb.161:
	s_cmp_eq_u32 s20, 15
	s_cbranch_scc0 .LBB214_164
; %bb.162:
	global_load_u16 v2, v[0:1], off
	s_mov_b32 s19, 0
	s_mov_b32 s24, -1
	s_wait_loadcnt 0x0
	v_and_b32_e32 v2, 0x7fff, v2
	s_delay_alu instid0(VALU_DEP_1)
	v_cmp_ne_u16_e64 s23, 0, v2
	s_branch .LBB214_165
.LBB214_163:
	s_mov_b32 s25, -1
                                        ; implicit-def: $sgpr23
	s_branch .LBB214_166
.LBB214_164:
	s_mov_b32 s19, -1
                                        ; implicit-def: $sgpr23
.LBB214_165:
	s_mov_b32 s25, 0
.LBB214_166:
	s_delay_alu instid0(SALU_CYCLE_1)
	s_and_b32 vcc_lo, exec_lo, s25
	s_cbranch_vccz .LBB214_170
; %bb.167:
	s_cmp_eq_u32 s20, 11
	s_cbranch_scc0 .LBB214_169
; %bb.168:
	global_load_u8 v2, v[0:1], off
	s_mov_b32 s19, 0
	s_mov_b32 s24, -1
	s_wait_loadcnt 0x0
	v_cmp_ne_u16_e64 s23, 0, v2
	s_branch .LBB214_170
.LBB214_169:
	s_mov_b32 s19, -1
                                        ; implicit-def: $sgpr23
.LBB214_170:
	s_branch .LBB214_219
.LBB214_171:
	s_and_b32 s20, 0xffff, s0
	s_delay_alu instid0(SALU_CYCLE_1)
	s_cmp_lt_i32 s20, 5
	s_cbranch_scc1 .LBB214_176
; %bb.172:
	s_cmp_lt_i32 s20, 8
	s_cbranch_scc1 .LBB214_177
; %bb.173:
	;; [unrolled: 3-line block ×3, first 2 shown]
	s_cmp_gt_i32 s20, 9
	s_cbranch_scc0 .LBB214_179
; %bb.175:
	global_load_b128 v[2:5], v[0:1], off
	s_wait_loadcnt 0x0
	v_cmp_neq_f64_e32 vcc_lo, 0, v[2:3]
	v_cmp_neq_f64_e64 s0, 0, v[4:5]
	s_or_b32 s23, vcc_lo, s0
	s_mov_b32 s0, 0
	s_branch .LBB214_180
.LBB214_176:
	s_mov_b32 s0, -1
                                        ; implicit-def: $sgpr23
	s_branch .LBB214_198
.LBB214_177:
	s_mov_b32 s0, -1
                                        ; implicit-def: $sgpr23
	s_branch .LBB214_186
.LBB214_178:
	s_mov_b32 s0, -1
                                        ; implicit-def: $sgpr23
	s_branch .LBB214_183
.LBB214_179:
	s_mov_b32 s0, -1
                                        ; implicit-def: $sgpr23
.LBB214_180:
	s_delay_alu instid0(SALU_CYCLE_1)
	s_and_not1_b32 vcc_lo, exec_lo, s0
	s_cbranch_vccnz .LBB214_182
; %bb.181:
	global_load_b64 v[2:3], v[0:1], off
	s_and_not1_b32 s0, s23, exec_lo
	s_wait_loadcnt 0x0
	v_bitop3_b32 v2, v2, 0x7fffffff, v3 bitop3:0xc8
	s_delay_alu instid0(VALU_DEP_1) | instskip(SKIP_1) | instid1(SALU_CYCLE_1)
	v_cmp_ne_u32_e32 vcc_lo, 0, v2
	s_and_b32 s23, vcc_lo, exec_lo
	s_or_b32 s23, s0, s23
.LBB214_182:
	s_mov_b32 s0, 0
.LBB214_183:
	s_delay_alu instid0(SALU_CYCLE_1)
	s_and_not1_b32 vcc_lo, exec_lo, s0
	s_cbranch_vccnz .LBB214_185
; %bb.184:
	global_load_b32 v2, v[0:1], off
	s_and_not1_b32 s0, s23, exec_lo
	s_wait_loadcnt 0x0
	v_and_b32_e32 v2, 0x7fff7fff, v2
	s_delay_alu instid0(VALU_DEP_1) | instskip(SKIP_1) | instid1(SALU_CYCLE_1)
	v_cmp_ne_u32_e32 vcc_lo, 0, v2
	s_and_b32 s23, vcc_lo, exec_lo
	s_or_b32 s23, s0, s23
.LBB214_185:
	s_mov_b32 s0, 0
.LBB214_186:
	s_delay_alu instid0(SALU_CYCLE_1)
	s_and_not1_b32 vcc_lo, exec_lo, s0
	s_cbranch_vccnz .LBB214_197
; %bb.187:
	s_cmp_lt_i32 s20, 6
	s_cbranch_scc1 .LBB214_190
; %bb.188:
	s_cmp_gt_i32 s20, 6
	s_cbranch_scc0 .LBB214_191
; %bb.189:
	global_load_b64 v[2:3], v[0:1], off
	s_mov_b32 s0, 0
	s_wait_loadcnt 0x0
	v_cmp_neq_f64_e64 s23, 0, v[2:3]
	s_branch .LBB214_192
.LBB214_190:
	s_mov_b32 s0, -1
                                        ; implicit-def: $sgpr23
	s_branch .LBB214_195
.LBB214_191:
	s_mov_b32 s0, -1
                                        ; implicit-def: $sgpr23
.LBB214_192:
	s_delay_alu instid0(SALU_CYCLE_1)
	s_and_not1_b32 vcc_lo, exec_lo, s0
	s_cbranch_vccnz .LBB214_194
; %bb.193:
	global_load_b32 v2, v[0:1], off
	s_and_not1_b32 s0, s23, exec_lo
	s_wait_loadcnt 0x0
	v_cmp_neq_f32_e32 vcc_lo, 0, v2
	s_and_b32 s23, vcc_lo, exec_lo
	s_delay_alu instid0(SALU_CYCLE_1)
	s_or_b32 s23, s0, s23
.LBB214_194:
	s_mov_b32 s0, 0
.LBB214_195:
	s_delay_alu instid0(SALU_CYCLE_1)
	s_and_not1_b32 vcc_lo, exec_lo, s0
	s_cbranch_vccnz .LBB214_197
; %bb.196:
	global_load_u16 v2, v[0:1], off
	s_and_not1_b32 s0, s23, exec_lo
	s_wait_loadcnt 0x0
	v_and_b32_e32 v2, 0x7fff, v2
	s_delay_alu instid0(VALU_DEP_1) | instskip(SKIP_1) | instid1(SALU_CYCLE_1)
	v_cmp_ne_u16_e32 vcc_lo, 0, v2
	s_and_b32 s23, vcc_lo, exec_lo
	s_or_b32 s23, s0, s23
.LBB214_197:
	s_mov_b32 s0, 0
.LBB214_198:
	s_delay_alu instid0(SALU_CYCLE_1)
	s_and_not1_b32 vcc_lo, exec_lo, s0
	s_cbranch_vccnz .LBB214_218
; %bb.199:
	s_cmp_lt_i32 s20, 2
	s_cbranch_scc1 .LBB214_203
; %bb.200:
	s_cmp_lt_i32 s20, 3
	s_cbranch_scc1 .LBB214_204
; %bb.201:
	s_cmp_gt_i32 s20, 3
	s_cbranch_scc0 .LBB214_205
; %bb.202:
	global_load_b64 v[2:3], v[0:1], off
	s_mov_b32 s0, 0
	s_wait_loadcnt 0x0
	v_cmp_ne_u64_e64 s23, 0, v[2:3]
	s_branch .LBB214_206
.LBB214_203:
	s_mov_b32 s0, -1
                                        ; implicit-def: $sgpr23
	s_branch .LBB214_212
.LBB214_204:
	s_mov_b32 s0, -1
                                        ; implicit-def: $sgpr23
	s_branch .LBB214_209
.LBB214_205:
	s_mov_b32 s0, -1
                                        ; implicit-def: $sgpr23
.LBB214_206:
	s_delay_alu instid0(SALU_CYCLE_1)
	s_and_not1_b32 vcc_lo, exec_lo, s0
	s_cbranch_vccnz .LBB214_208
; %bb.207:
	global_load_b32 v2, v[0:1], off
	s_and_not1_b32 s0, s23, exec_lo
	s_wait_loadcnt 0x0
	v_cmp_ne_u32_e32 vcc_lo, 0, v2
	s_and_b32 s23, vcc_lo, exec_lo
	s_delay_alu instid0(SALU_CYCLE_1)
	s_or_b32 s23, s0, s23
.LBB214_208:
	s_mov_b32 s0, 0
.LBB214_209:
	s_delay_alu instid0(SALU_CYCLE_1)
	s_and_not1_b32 vcc_lo, exec_lo, s0
	s_cbranch_vccnz .LBB214_211
; %bb.210:
	global_load_u16 v2, v[0:1], off
	s_and_not1_b32 s0, s23, exec_lo
	s_wait_loadcnt 0x0
	v_cmp_ne_u16_e32 vcc_lo, 0, v2
	s_and_b32 s23, vcc_lo, exec_lo
	s_delay_alu instid0(SALU_CYCLE_1)
	s_or_b32 s23, s0, s23
.LBB214_211:
	s_mov_b32 s0, 0
.LBB214_212:
	s_delay_alu instid0(SALU_CYCLE_1)
	s_and_not1_b32 vcc_lo, exec_lo, s0
	s_cbranch_vccnz .LBB214_218
; %bb.213:
	s_cmp_gt_i32 s20, 0
	s_mov_b32 s0, 0
	s_cbranch_scc0 .LBB214_215
; %bb.214:
	global_load_u8 v2, v[0:1], off
	s_wait_loadcnt 0x0
	v_cmp_ne_u16_e64 s23, 0, v2
	s_branch .LBB214_216
.LBB214_215:
	s_mov_b32 s0, -1
                                        ; implicit-def: $sgpr23
.LBB214_216:
	s_delay_alu instid0(SALU_CYCLE_1)
	s_and_not1_b32 vcc_lo, exec_lo, s0
	s_cbranch_vccnz .LBB214_218
; %bb.217:
	global_load_u8 v0, v[0:1], off
	s_and_not1_b32 s0, s23, exec_lo
	s_wait_loadcnt 0x0
	v_cmp_ne_u16_e32 vcc_lo, 0, v0
	s_and_b32 s20, vcc_lo, exec_lo
	s_delay_alu instid0(SALU_CYCLE_1)
	s_or_b32 s23, s0, s20
.LBB214_218:
	s_mov_b32 s24, -1
.LBB214_219:
	s_mov_b32 s20, 0
	s_and_not1_b32 vcc_lo, exec_lo, s24
	s_mov_b32 s0, 0
	s_mov_b32 s24, 0
	s_cbranch_vccnz .LBB214_342
; %bb.220:
	v_mul_lo_u32 v0, v6, s8
	s_delay_alu instid0(VALU_DEP_2) | instskip(SKIP_3) | instid1(VALU_DEP_1)
	s_xor_b32 s0, s18, s23
	s_and_b32 s19, s12, 0xff
	s_xor_b32 s18, s16, s0
	s_cmp_lt_i32 s19, 11
	v_ashrrev_i32_e32 v1, 31, v0
	s_delay_alu instid0(VALU_DEP_1)
	v_add_nc_u64_e32 v[0:1], s[4:5], v[0:1]
	s_cbranch_scc1 .LBB214_227
; %bb.221:
	s_and_b32 s23, 0xffff, s19
	s_delay_alu instid0(SALU_CYCLE_1)
	s_cmp_gt_i32 s23, 25
	s_cbranch_scc0 .LBB214_228
; %bb.222:
	s_cmp_gt_i32 s23, 28
	s_cbranch_scc0 .LBB214_229
; %bb.223:
	;; [unrolled: 3-line block ×4, first 2 shown]
	s_mov_b32 s25, 0
	s_mov_b32 s0, -1
	s_cmp_eq_u32 s23, 46
	s_cbranch_scc0 .LBB214_232
; %bb.226:
	v_cndmask_b32_e64 v2, 0, 1.0, s18
	s_mov_b32 s24, -1
	s_mov_b32 s0, 0
	s_delay_alu instid0(VALU_DEP_1) | instskip(NEXT) | instid1(VALU_DEP_1)
	v_bfe_u32 v3, v2, 16, 1
	v_add3_u32 v2, v2, v3, 0x7fff
	s_delay_alu instid0(VALU_DEP_1)
	v_lshrrev_b32_e32 v2, 16, v2
	global_store_b32 v[0:1], v2, off
	s_branch .LBB214_232
.LBB214_227:
	s_mov_b32 s23, -1
	s_mov_b32 s0, 0
	s_branch .LBB214_301
.LBB214_228:
	s_mov_b32 s25, -1
	s_mov_b32 s0, 0
	s_branch .LBB214_259
.LBB214_229:
	s_mov_b32 s25, -1
	s_mov_b32 s0, 0
	s_branch .LBB214_242
.LBB214_230:
	s_mov_b32 s25, -1
	s_mov_b32 s0, 0
	s_branch .LBB214_238
.LBB214_231:
	s_mov_b32 s25, -1
	s_mov_b32 s0, 0
.LBB214_232:
	s_and_b32 vcc_lo, exec_lo, s25
	s_cbranch_vccz .LBB214_237
; %bb.233:
	s_cmp_eq_u32 s23, 44
	s_mov_b32 s0, -1
	s_cbranch_scc0 .LBB214_237
; %bb.234:
	v_cndmask_b32_e64 v4, 0, 1.0, s18
	s_mov_b32 s24, exec_lo
	s_wait_xcnt 0x0
	s_delay_alu instid0(VALU_DEP_1) | instskip(NEXT) | instid1(VALU_DEP_1)
	v_dual_mov_b32 v3, 0xff :: v_dual_lshrrev_b32 v2, 23, v4
	v_cmpx_ne_u32_e32 0xff, v2
; %bb.235:
	v_and_b32_e32 v3, 0x400000, v4
	v_and_or_b32 v4, 0x3fffff, v4, v2
	s_delay_alu instid0(VALU_DEP_2) | instskip(NEXT) | instid1(VALU_DEP_2)
	v_cmp_ne_u32_e32 vcc_lo, 0, v3
	v_cmp_ne_u32_e64 s0, 0, v4
	s_and_b32 s0, vcc_lo, s0
	s_delay_alu instid0(SALU_CYCLE_1) | instskip(NEXT) | instid1(VALU_DEP_1)
	v_cndmask_b32_e64 v3, 0, 1, s0
	v_add_nc_u32_e32 v3, v2, v3
; %bb.236:
	s_or_b32 exec_lo, exec_lo, s24
	s_mov_b32 s24, -1
	s_mov_b32 s0, 0
	global_store_b8 v[0:1], v3, off
.LBB214_237:
	s_mov_b32 s25, 0
.LBB214_238:
	s_delay_alu instid0(SALU_CYCLE_1)
	s_and_b32 vcc_lo, exec_lo, s25
	s_cbranch_vccz .LBB214_241
; %bb.239:
	s_cmp_eq_u32 s23, 29
	s_mov_b32 s0, -1
	s_cbranch_scc0 .LBB214_241
; %bb.240:
	s_mov_b32 s0, 0
	s_wait_xcnt 0x0
	v_cndmask_b32_e64 v2, 0, 1, s18
	v_mov_b32_e32 v3, s0
	s_mov_b32 s24, -1
	s_mov_b32 s25, 0
	global_store_b64 v[0:1], v[2:3], off
	s_branch .LBB214_242
.LBB214_241:
	s_mov_b32 s25, 0
.LBB214_242:
	s_delay_alu instid0(SALU_CYCLE_1)
	s_and_b32 vcc_lo, exec_lo, s25
	s_cbranch_vccz .LBB214_258
; %bb.243:
	s_cmp_lt_i32 s23, 27
	s_mov_b32 s24, -1
	s_cbranch_scc1 .LBB214_249
; %bb.244:
	s_cmp_gt_i32 s23, 27
	s_cbranch_scc0 .LBB214_246
; %bb.245:
	s_wait_xcnt 0x0
	v_cndmask_b32_e64 v2, 0, 1, s18
	s_mov_b32 s24, 0
	global_store_b32 v[0:1], v2, off
.LBB214_246:
	s_and_not1_b32 vcc_lo, exec_lo, s24
	s_cbranch_vccnz .LBB214_248
; %bb.247:
	s_wait_xcnt 0x0
	v_cndmask_b32_e64 v2, 0, 1, s18
	global_store_b16 v[0:1], v2, off
.LBB214_248:
	s_mov_b32 s24, 0
.LBB214_249:
	s_delay_alu instid0(SALU_CYCLE_1)
	s_and_not1_b32 vcc_lo, exec_lo, s24
	s_cbranch_vccnz .LBB214_257
; %bb.250:
	s_wait_xcnt 0x0
	v_cndmask_b32_e64 v3, 0, 1.0, s18
	v_mov_b32_e32 v4, 0x80
	s_mov_b32 s24, exec_lo
	s_delay_alu instid0(VALU_DEP_2)
	v_cmpx_gt_u32_e32 0x43800000, v3
	s_cbranch_execz .LBB214_256
; %bb.251:
	s_mov_b32 s25, 0
	s_mov_b32 s26, exec_lo
                                        ; implicit-def: $vgpr2
	v_cmpx_lt_u32_e32 0x3bffffff, v3
	s_xor_b32 s26, exec_lo, s26
	s_cbranch_execnz .LBB214_471
; %bb.252:
	s_and_not1_saveexec_b32 s26, s26
	s_cbranch_execnz .LBB214_472
.LBB214_253:
	s_or_b32 exec_lo, exec_lo, s26
	v_mov_b32_e32 v4, 0
	s_and_saveexec_b32 s26, s25
.LBB214_254:
	v_mov_b32_e32 v4, v2
.LBB214_255:
	s_or_b32 exec_lo, exec_lo, s26
.LBB214_256:
	s_delay_alu instid0(SALU_CYCLE_1)
	s_or_b32 exec_lo, exec_lo, s24
	global_store_b8 v[0:1], v4, off
.LBB214_257:
	s_mov_b32 s24, -1
.LBB214_258:
	s_mov_b32 s25, 0
.LBB214_259:
	s_delay_alu instid0(SALU_CYCLE_1)
	s_and_b32 vcc_lo, exec_lo, s25
	s_cbranch_vccz .LBB214_300
; %bb.260:
	s_cmp_gt_i32 s23, 22
	s_mov_b32 s25, -1
	s_cbranch_scc0 .LBB214_292
; %bb.261:
	s_cmp_lt_i32 s23, 24
	s_mov_b32 s24, -1
	s_cbranch_scc1 .LBB214_281
; %bb.262:
	s_cmp_gt_i32 s23, 24
	s_cbranch_scc0 .LBB214_270
; %bb.263:
	s_wait_xcnt 0x0
	v_cndmask_b32_e64 v3, 0, 1.0, s18
	v_mov_b32_e32 v4, 0x80
	s_mov_b32 s24, exec_lo
	s_delay_alu instid0(VALU_DEP_2)
	v_cmpx_gt_u32_e32 0x47800000, v3
	s_cbranch_execz .LBB214_269
; %bb.264:
	s_mov_b32 s25, 0
	s_mov_b32 s26, exec_lo
                                        ; implicit-def: $vgpr2
	v_cmpx_lt_u32_e32 0x37ffffff, v3
	s_xor_b32 s26, exec_lo, s26
	s_cbranch_execnz .LBB214_821
; %bb.265:
	s_and_not1_saveexec_b32 s26, s26
	s_cbranch_execnz .LBB214_822
.LBB214_266:
	s_or_b32 exec_lo, exec_lo, s26
	v_mov_b32_e32 v4, 0
	s_and_saveexec_b32 s26, s25
.LBB214_267:
	v_mov_b32_e32 v4, v2
.LBB214_268:
	s_or_b32 exec_lo, exec_lo, s26
.LBB214_269:
	s_delay_alu instid0(SALU_CYCLE_1)
	s_or_b32 exec_lo, exec_lo, s24
	s_mov_b32 s24, 0
	global_store_b8 v[0:1], v4, off
.LBB214_270:
	s_and_b32 vcc_lo, exec_lo, s24
	s_cbranch_vccz .LBB214_280
; %bb.271:
	s_wait_xcnt 0x0
	v_cndmask_b32_e64 v3, 0, 1.0, s18
	s_mov_b32 s24, exec_lo
                                        ; implicit-def: $vgpr2
	s_delay_alu instid0(VALU_DEP_1)
	v_cmpx_gt_u32_e32 0x43f00000, v3
	s_xor_b32 s24, exec_lo, s24
	s_cbranch_execz .LBB214_277
; %bb.272:
	s_mov_b32 s25, exec_lo
                                        ; implicit-def: $vgpr2
	v_cmpx_lt_u32_e32 0x3c7fffff, v3
	s_xor_b32 s25, exec_lo, s25
; %bb.273:
	v_bfe_u32 v2, v3, 20, 1
	s_delay_alu instid0(VALU_DEP_1) | instskip(NEXT) | instid1(VALU_DEP_1)
	v_add3_u32 v2, v3, v2, 0x407ffff
	v_and_b32_e32 v3, 0xff00000, v2
	v_lshrrev_b32_e32 v2, 20, v2
	s_delay_alu instid0(VALU_DEP_2) | instskip(NEXT) | instid1(VALU_DEP_2)
	v_cmp_ne_u32_e32 vcc_lo, 0x7f00000, v3
                                        ; implicit-def: $vgpr3
	v_cndmask_b32_e32 v2, 0x7e, v2, vcc_lo
; %bb.274:
	s_and_not1_saveexec_b32 s25, s25
; %bb.275:
	v_add_f32_e32 v2, 0x46800000, v3
; %bb.276:
	s_or_b32 exec_lo, exec_lo, s25
                                        ; implicit-def: $vgpr3
.LBB214_277:
	s_and_not1_saveexec_b32 s24, s24
; %bb.278:
	v_mov_b32_e32 v2, 0x7f
	v_cmp_lt_u32_e32 vcc_lo, 0x7f800000, v3
	s_delay_alu instid0(VALU_DEP_2)
	v_cndmask_b32_e32 v2, 0x7e, v2, vcc_lo
; %bb.279:
	s_or_b32 exec_lo, exec_lo, s24
	global_store_b8 v[0:1], v2, off
.LBB214_280:
	s_mov_b32 s24, 0
.LBB214_281:
	s_delay_alu instid0(SALU_CYCLE_1)
	s_and_not1_b32 vcc_lo, exec_lo, s24
	s_cbranch_vccnz .LBB214_291
; %bb.282:
	s_wait_xcnt 0x0
	v_cndmask_b32_e64 v3, 0, 1.0, s18
	s_mov_b32 s24, exec_lo
                                        ; implicit-def: $vgpr2
	s_delay_alu instid0(VALU_DEP_1)
	v_cmpx_gt_u32_e32 0x47800000, v3
	s_xor_b32 s24, exec_lo, s24
	s_cbranch_execz .LBB214_288
; %bb.283:
	s_mov_b32 s25, exec_lo
                                        ; implicit-def: $vgpr2
	v_cmpx_lt_u32_e32 0x387fffff, v3
	s_xor_b32 s25, exec_lo, s25
; %bb.284:
	v_bfe_u32 v2, v3, 21, 1
	s_delay_alu instid0(VALU_DEP_1) | instskip(NEXT) | instid1(VALU_DEP_1)
	v_add3_u32 v2, v3, v2, 0x80fffff
                                        ; implicit-def: $vgpr3
	v_lshrrev_b32_e32 v2, 21, v2
; %bb.285:
	s_and_not1_saveexec_b32 s25, s25
; %bb.286:
	v_add_f32_e32 v2, 0x43000000, v3
; %bb.287:
	s_or_b32 exec_lo, exec_lo, s25
                                        ; implicit-def: $vgpr3
.LBB214_288:
	s_and_not1_saveexec_b32 s24, s24
; %bb.289:
	v_mov_b32_e32 v2, 0x7f
	v_cmp_lt_u32_e32 vcc_lo, 0x7f800000, v3
	s_delay_alu instid0(VALU_DEP_2)
	v_cndmask_b32_e32 v2, 0x7c, v2, vcc_lo
; %bb.290:
	s_or_b32 exec_lo, exec_lo, s24
	global_store_b8 v[0:1], v2, off
.LBB214_291:
	s_mov_b32 s25, 0
	s_mov_b32 s24, -1
.LBB214_292:
	s_and_not1_b32 vcc_lo, exec_lo, s25
	s_cbranch_vccnz .LBB214_300
; %bb.293:
	s_cmp_gt_i32 s23, 14
	s_mov_b32 s25, -1
	s_cbranch_scc0 .LBB214_297
; %bb.294:
	s_cmp_eq_u32 s23, 15
	s_mov_b32 s0, -1
	s_cbranch_scc0 .LBB214_296
; %bb.295:
	s_wait_xcnt 0x0
	v_cndmask_b32_e64 v2, 0, 1.0, s18
	s_mov_b32 s24, -1
	s_mov_b32 s0, 0
	s_delay_alu instid0(VALU_DEP_1) | instskip(NEXT) | instid1(VALU_DEP_1)
	v_bfe_u32 v3, v2, 16, 1
	v_add3_u32 v2, v2, v3, 0x7fff
	global_store_d16_hi_b16 v[0:1], v2, off
.LBB214_296:
	s_mov_b32 s25, 0
.LBB214_297:
	s_delay_alu instid0(SALU_CYCLE_1)
	s_and_b32 vcc_lo, exec_lo, s25
	s_cbranch_vccz .LBB214_300
; %bb.298:
	s_cmp_eq_u32 s23, 11
	s_mov_b32 s0, -1
	s_cbranch_scc0 .LBB214_300
; %bb.299:
	s_wait_xcnt 0x0
	v_cndmask_b32_e64 v2, 0, 1, s18
	s_mov_b32 s24, -1
	s_mov_b32 s0, 0
	global_store_b8 v[0:1], v2, off
.LBB214_300:
	s_mov_b32 s23, 0
.LBB214_301:
	s_delay_alu instid0(SALU_CYCLE_1)
	s_and_b32 vcc_lo, exec_lo, s23
	s_cbranch_vccz .LBB214_340
; %bb.302:
	s_and_b32 s19, 0xffff, s19
	s_mov_b32 s23, -1
	s_cmp_lt_i32 s19, 5
	s_cbranch_scc1 .LBB214_323
; %bb.303:
	s_cmp_lt_i32 s19, 8
	s_cbranch_scc1 .LBB214_313
; %bb.304:
	;; [unrolled: 3-line block ×3, first 2 shown]
	s_cmp_gt_i32 s19, 9
	s_cbranch_scc0 .LBB214_307
; %bb.306:
	s_wait_xcnt 0x0
	v_cndmask_b32_e64 v2, 0, 1, s18
	v_mov_b32_e32 v4, 0
	s_mov_b32 s23, 0
	s_delay_alu instid0(VALU_DEP_2) | instskip(NEXT) | instid1(VALU_DEP_2)
	v_cvt_f64_u32_e32 v[2:3], v2
	v_mov_b32_e32 v5, v4
	global_store_b128 v[0:1], v[2:5], off
.LBB214_307:
	s_and_not1_b32 vcc_lo, exec_lo, s23
	s_cbranch_vccnz .LBB214_309
; %bb.308:
	s_wait_xcnt 0x0
	v_cndmask_b32_e64 v2, 0, 1.0, s18
	v_mov_b32_e32 v3, 0
	global_store_b64 v[0:1], v[2:3], off
.LBB214_309:
	s_mov_b32 s23, 0
.LBB214_310:
	s_delay_alu instid0(SALU_CYCLE_1)
	s_and_not1_b32 vcc_lo, exec_lo, s23
	s_cbranch_vccnz .LBB214_312
; %bb.311:
	s_wait_xcnt 0x0
	v_cndmask_b32_e64 v2, 0, 1.0, s18
	s_delay_alu instid0(VALU_DEP_1) | instskip(NEXT) | instid1(VALU_DEP_1)
	v_cvt_f16_f32_e32 v2, v2
	v_and_b32_e32 v2, 0xffff, v2
	global_store_b32 v[0:1], v2, off
.LBB214_312:
	s_mov_b32 s23, 0
.LBB214_313:
	s_delay_alu instid0(SALU_CYCLE_1)
	s_and_not1_b32 vcc_lo, exec_lo, s23
	s_cbranch_vccnz .LBB214_322
; %bb.314:
	s_cmp_lt_i32 s19, 6
	s_mov_b32 s23, -1
	s_cbranch_scc1 .LBB214_320
; %bb.315:
	s_cmp_gt_i32 s19, 6
	s_cbranch_scc0 .LBB214_317
; %bb.316:
	s_wait_xcnt 0x0
	v_cndmask_b32_e64 v2, 0, 1, s18
	s_mov_b32 s23, 0
	s_delay_alu instid0(VALU_DEP_1)
	v_cvt_f64_u32_e32 v[2:3], v2
	global_store_b64 v[0:1], v[2:3], off
.LBB214_317:
	s_and_not1_b32 vcc_lo, exec_lo, s23
	s_cbranch_vccnz .LBB214_319
; %bb.318:
	s_wait_xcnt 0x0
	v_cndmask_b32_e64 v2, 0, 1.0, s18
	global_store_b32 v[0:1], v2, off
.LBB214_319:
	s_mov_b32 s23, 0
.LBB214_320:
	s_delay_alu instid0(SALU_CYCLE_1)
	s_and_not1_b32 vcc_lo, exec_lo, s23
	s_cbranch_vccnz .LBB214_322
; %bb.321:
	s_wait_xcnt 0x0
	v_cndmask_b32_e64 v2, 0, 1.0, s18
	s_delay_alu instid0(VALU_DEP_1)
	v_cvt_f16_f32_e32 v2, v2
	global_store_b16 v[0:1], v2, off
.LBB214_322:
	s_mov_b32 s23, 0
.LBB214_323:
	s_delay_alu instid0(SALU_CYCLE_1)
	s_and_not1_b32 vcc_lo, exec_lo, s23
	s_cbranch_vccnz .LBB214_339
; %bb.324:
	s_cmp_lt_i32 s19, 2
	s_mov_b32 s23, -1
	s_cbranch_scc1 .LBB214_334
; %bb.325:
	s_cmp_lt_i32 s19, 3
	s_cbranch_scc1 .LBB214_331
; %bb.326:
	s_cmp_gt_i32 s19, 3
	s_cbranch_scc0 .LBB214_328
; %bb.327:
	s_mov_b32 s23, 0
	s_wait_xcnt 0x0
	v_cndmask_b32_e64 v2, 0, 1, s18
	v_mov_b32_e32 v3, s23
	global_store_b64 v[0:1], v[2:3], off
.LBB214_328:
	s_and_not1_b32 vcc_lo, exec_lo, s23
	s_cbranch_vccnz .LBB214_330
; %bb.329:
	s_wait_xcnt 0x0
	v_cndmask_b32_e64 v2, 0, 1, s18
	global_store_b32 v[0:1], v2, off
.LBB214_330:
	s_mov_b32 s23, 0
.LBB214_331:
	s_delay_alu instid0(SALU_CYCLE_1)
	s_and_not1_b32 vcc_lo, exec_lo, s23
	s_cbranch_vccnz .LBB214_333
; %bb.332:
	s_wait_xcnt 0x0
	v_cndmask_b32_e64 v2, 0, 1, s18
	global_store_b16 v[0:1], v2, off
.LBB214_333:
	s_mov_b32 s23, 0
.LBB214_334:
	s_delay_alu instid0(SALU_CYCLE_1)
	s_and_not1_b32 vcc_lo, exec_lo, s23
	s_cbranch_vccnz .LBB214_339
; %bb.335:
	s_wait_xcnt 0x0
	v_cndmask_b32_e64 v2, 0, 1, s18
	s_cmp_gt_i32 s19, 0
	s_mov_b32 s18, -1
	s_cbranch_scc0 .LBB214_337
; %bb.336:
	s_mov_b32 s18, 0
	global_store_b8 v[0:1], v2, off
.LBB214_337:
	s_and_not1_b32 vcc_lo, exec_lo, s18
	s_cbranch_vccnz .LBB214_339
; %bb.338:
	global_store_b8 v[0:1], v2, off
.LBB214_339:
	s_mov_b32 s24, -1
.LBB214_340:
	s_mov_b32 s19, 0
	s_and_not1_b32 vcc_lo, exec_lo, s24
	s_mov_b32 s24, 0
	s_cbranch_vccnz .LBB214_342
; %bb.341:
	v_add_nc_u32_e32 v6, 0x80, v6
	s_mov_b32 s24, -1
.LBB214_342:
	s_and_b32 s18, s0, exec_lo
	s_and_b32 s19, s19, exec_lo
	;; [unrolled: 1-line block ×3, first 2 shown]
	s_or_not1_b32 s24, s24, exec_lo
.LBB214_343:
	s_wait_xcnt 0x0
	s_or_b32 exec_lo, exec_lo, s21
	s_mov_b32 s0, 0
	s_mov_b32 s23, 0
                                        ; implicit-def: $sgpr26
                                        ; implicit-def: $sgpr27
                                        ; implicit-def: $vgpr0_vgpr1
	s_and_saveexec_b32 s21, s24
	s_cbranch_execnz .LBB214_347
; %bb.344:
	s_or_b32 exec_lo, exec_lo, s21
	s_mov_b32 s17, 0
	s_and_saveexec_b32 s21, s20
	s_cbranch_execnz .LBB214_1112
.LBB214_345:
	s_or_b32 exec_lo, exec_lo, s21
	s_and_saveexec_b32 s20, s22
	s_delay_alu instid0(SALU_CYCLE_1)
	s_xor_b32 s20, exec_lo, s20
	s_cbranch_execnz .LBB214_1113
.LBB214_346:
	s_or_b32 exec_lo, exec_lo, s20
	s_and_saveexec_b32 s20, s0
	s_cbranch_execnz .LBB214_1114
	s_branch .LBB214_1159
.LBB214_347:
	s_mov_b32 s0, -1
	s_mov_b32 s22, s20
	s_mov_b32 s24, s19
	;; [unrolled: 1-line block ×3, first 2 shown]
	s_mov_b32 s25, exec_lo
	v_cmpx_gt_i32_e64 s17, v6
	s_cbranch_execz .LBB214_695
; %bb.348:
	v_mul_lo_u32 v0, v6, s9
	s_and_b32 s0, s14, 0xff
	s_delay_alu instid0(SALU_CYCLE_1) | instskip(NEXT) | instid1(VALU_DEP_1)
	s_cmp_lt_i32 s0, 11
	v_ashrrev_i32_e32 v1, 31, v0
	s_delay_alu instid0(VALU_DEP_1)
	v_add_nc_u64_e32 v[0:1], s[6:7], v[0:1]
	s_cbranch_scc1 .LBB214_355
; %bb.349:
	s_and_b32 s24, 0xffff, s0
	s_delay_alu instid0(SALU_CYCLE_1)
	s_cmp_gt_i32 s24, 25
	s_cbranch_scc0 .LBB214_364
; %bb.350:
	s_cmp_gt_i32 s24, 28
	s_cbranch_scc0 .LBB214_366
; %bb.351:
	;; [unrolled: 3-line block ×4, first 2 shown]
	s_cmp_eq_u32 s24, 46
	s_mov_b32 s27, 0
	s_cbranch_scc0 .LBB214_372
; %bb.354:
	global_load_b32 v2, v[0:1], off
	s_mov_b32 s22, 0
	s_mov_b32 s26, -1
	s_wait_loadcnt 0x0
	v_and_b32_e32 v2, 0x7fff7fff, v2
	s_delay_alu instid0(VALU_DEP_1)
	v_cmp_ne_u32_e64 s23, 0, v2
	s_branch .LBB214_374
.LBB214_355:
	s_mov_b32 s26, 0
	s_mov_b32 s22, s20
                                        ; implicit-def: $sgpr23
	s_cbranch_execnz .LBB214_421
.LBB214_356:
	s_and_not1_b32 vcc_lo, exec_lo, s26
	s_cbranch_vccnz .LBB214_469
.LBB214_357:
	s_wait_xcnt 0x0
	v_mul_lo_u32 v0, v6, s10
	s_and_b32 s0, s1, 0xff
	s_delay_alu instid0(SALU_CYCLE_1) | instskip(NEXT) | instid1(VALU_DEP_1)
	s_cmp_lt_i32 s0, 11
	v_ashrrev_i32_e32 v1, 31, v0
	s_delay_alu instid0(VALU_DEP_1)
	v_add_nc_u64_e32 v[0:1], s[2:3], v[0:1]
	s_cbranch_scc1 .LBB214_365
; %bb.358:
	s_and_b32 s22, 0xffff, s0
	s_delay_alu instid0(SALU_CYCLE_1)
	s_cmp_gt_i32 s22, 25
	s_cbranch_scc0 .LBB214_367
; %bb.359:
	s_cmp_gt_i32 s22, 28
	s_cbranch_scc0 .LBB214_369
; %bb.360:
	;; [unrolled: 3-line block ×4, first 2 shown]
	s_cmp_eq_u32 s22, 46
	s_mov_b32 s28, 0
	s_cbranch_scc0 .LBB214_473
; %bb.363:
	global_load_b32 v2, v[0:1], off
	s_mov_b32 s24, 0
	s_mov_b32 s27, -1
	s_wait_loadcnt 0x0
	v_and_b32_e32 v2, 0x7fff7fff, v2
	s_delay_alu instid0(VALU_DEP_1)
	v_cmp_ne_u32_e64 s26, 0, v2
	s_branch .LBB214_475
.LBB214_364:
	s_mov_b32 s27, -1
	s_mov_b32 s26, 0
	s_mov_b32 s22, s20
                                        ; implicit-def: $sgpr23
	s_branch .LBB214_395
.LBB214_365:
	s_mov_b32 s22, -1
	s_mov_b32 s27, 0
	s_mov_b32 s24, s19
                                        ; implicit-def: $sgpr26
	s_branch .LBB214_522
.LBB214_366:
	s_mov_b32 s27, -1
	s_mov_b32 s26, 0
	s_mov_b32 s22, s20
                                        ; implicit-def: $sgpr23
	s_branch .LBB214_382
.LBB214_367:
	s_mov_b32 s28, -1
	s_mov_b32 s27, 0
	s_mov_b32 s24, s19
                                        ; implicit-def: $sgpr26
	s_branch .LBB214_496
.LBB214_368:
	s_mov_b32 s27, -1
	s_mov_b32 s26, 0
	s_mov_b32 s22, s20
                                        ; implicit-def: $sgpr23
	s_branch .LBB214_377
.LBB214_369:
	s_mov_b32 s28, -1
	s_mov_b32 s27, 0
	s_mov_b32 s24, s19
                                        ; implicit-def: $sgpr26
	s_branch .LBB214_483
.LBB214_370:
	s_mov_b32 s27, -1
	s_mov_b32 s26, 0
	s_mov_b32 s22, s20
	s_branch .LBB214_373
.LBB214_371:
	s_mov_b32 s28, -1
	s_mov_b32 s27, 0
	s_mov_b32 s24, s19
                                        ; implicit-def: $sgpr26
	s_branch .LBB214_478
.LBB214_372:
	s_mov_b32 s22, -1
	s_mov_b32 s26, 0
.LBB214_373:
                                        ; implicit-def: $sgpr23
.LBB214_374:
	s_and_b32 vcc_lo, exec_lo, s27
	s_cbranch_vccz .LBB214_376
; %bb.375:
	s_cmp_eq_u32 s24, 44
	s_cselect_b32 s26, -1, 0
	s_or_b32 s23, s23, exec_lo
	s_or_b32 s22, s22, exec_lo
.LBB214_376:
	s_mov_b32 s27, 0
.LBB214_377:
	s_delay_alu instid0(SALU_CYCLE_1)
	s_and_b32 vcc_lo, exec_lo, s27
	s_cbranch_vccz .LBB214_381
; %bb.378:
	s_cmp_eq_u32 s24, 29
	s_cbranch_scc0 .LBB214_380
; %bb.379:
	global_load_b64 v[2:3], v[0:1], off
	s_mov_b32 s26, -1
	s_mov_b32 s22, 0
	s_mov_b32 s27, 0
	s_wait_loadcnt 0x0
	v_cmp_ne_u64_e64 s23, 0, v[2:3]
	s_branch .LBB214_382
.LBB214_380:
	s_mov_b32 s22, -1
                                        ; implicit-def: $sgpr23
.LBB214_381:
	s_mov_b32 s27, 0
.LBB214_382:
	s_delay_alu instid0(SALU_CYCLE_1)
	s_and_b32 vcc_lo, exec_lo, s27
	s_cbranch_vccz .LBB214_394
; %bb.383:
	s_cmp_lt_i32 s24, 27
	s_cbranch_scc1 .LBB214_386
; %bb.384:
	s_cmp_gt_i32 s24, 27
	s_cbranch_scc0 .LBB214_387
; %bb.385:
	global_load_b32 v2, v[0:1], off
	s_mov_b32 s26, 0
	s_wait_loadcnt 0x0
	v_cmp_ne_u32_e64 s23, 0, v2
	s_branch .LBB214_388
.LBB214_386:
	s_mov_b32 s26, -1
                                        ; implicit-def: $sgpr23
	s_branch .LBB214_391
.LBB214_387:
	s_mov_b32 s26, -1
                                        ; implicit-def: $sgpr23
.LBB214_388:
	s_delay_alu instid0(SALU_CYCLE_1)
	s_and_not1_b32 vcc_lo, exec_lo, s26
	s_cbranch_vccnz .LBB214_390
; %bb.389:
	global_load_u16 v2, v[0:1], off
	s_and_not1_b32 s23, s23, exec_lo
	s_wait_loadcnt 0x0
	v_cmp_ne_u16_e32 vcc_lo, 0, v2
	s_and_b32 s26, vcc_lo, exec_lo
	s_delay_alu instid0(SALU_CYCLE_1)
	s_or_b32 s23, s23, s26
.LBB214_390:
	s_mov_b32 s26, 0
.LBB214_391:
	s_delay_alu instid0(SALU_CYCLE_1)
	s_and_not1_b32 vcc_lo, exec_lo, s26
	s_cbranch_vccnz .LBB214_393
; %bb.392:
	global_load_u8 v2, v[0:1], off
	s_and_not1_b32 s23, s23, exec_lo
	s_wait_loadcnt 0x0
	v_cmp_ne_u16_e32 vcc_lo, 0, v2
	s_and_b32 s26, vcc_lo, exec_lo
	s_delay_alu instid0(SALU_CYCLE_1)
	s_or_b32 s23, s23, s26
.LBB214_393:
	s_mov_b32 s26, -1
.LBB214_394:
	s_mov_b32 s27, 0
.LBB214_395:
	s_delay_alu instid0(SALU_CYCLE_1)
	s_and_b32 vcc_lo, exec_lo, s27
	s_cbranch_vccz .LBB214_420
; %bb.396:
	s_cmp_gt_i32 s24, 22
	s_cbranch_scc0 .LBB214_400
; %bb.397:
	s_cmp_lt_i32 s24, 24
	s_cbranch_scc1 .LBB214_401
; %bb.398:
	s_cmp_gt_i32 s24, 24
	s_cbranch_scc0 .LBB214_402
; %bb.399:
	global_load_u8 v2, v[0:1], off
	s_mov_b32 s26, 0
	s_wait_loadcnt 0x0
	v_cmp_ne_u16_e64 s23, 0, v2
	s_branch .LBB214_403
.LBB214_400:
	s_mov_b32 s27, -1
                                        ; implicit-def: $sgpr23
	s_branch .LBB214_409
.LBB214_401:
	s_mov_b32 s26, -1
                                        ; implicit-def: $sgpr23
	s_branch .LBB214_406
.LBB214_402:
	s_mov_b32 s26, -1
                                        ; implicit-def: $sgpr23
.LBB214_403:
	s_delay_alu instid0(SALU_CYCLE_1)
	s_and_not1_b32 vcc_lo, exec_lo, s26
	s_cbranch_vccnz .LBB214_405
; %bb.404:
	global_load_u8 v2, v[0:1], off
	s_and_not1_b32 s23, s23, exec_lo
	s_wait_loadcnt 0x0
	v_and_b32_e32 v2, 0x7f, v2
	s_delay_alu instid0(VALU_DEP_1) | instskip(SKIP_1) | instid1(SALU_CYCLE_1)
	v_cmp_ne_u16_e32 vcc_lo, 0, v2
	s_and_b32 s26, vcc_lo, exec_lo
	s_or_b32 s23, s23, s26
.LBB214_405:
	s_mov_b32 s26, 0
.LBB214_406:
	s_delay_alu instid0(SALU_CYCLE_1)
	s_and_not1_b32 vcc_lo, exec_lo, s26
	s_cbranch_vccnz .LBB214_408
; %bb.407:
	global_load_u8 v2, v[0:1], off
	s_and_not1_b32 s23, s23, exec_lo
	s_wait_loadcnt 0x0
	v_dual_lshlrev_b32 v3, 25, v2 :: v_dual_lshlrev_b32 v2, 8, v2
	s_delay_alu instid0(VALU_DEP_1) | instskip(NEXT) | instid1(VALU_DEP_2)
	v_cmp_gt_u32_e32 vcc_lo, 0x8000000, v3
	v_and_or_b32 v2, 0x7f00, v2, 0.5
	s_delay_alu instid0(VALU_DEP_1) | instskip(NEXT) | instid1(VALU_DEP_1)
	v_dual_lshrrev_b32 v4, 4, v3 :: v_dual_add_f32 v2, -0.5, v2
	v_or_b32_e32 v4, 0x70000000, v4
	s_delay_alu instid0(VALU_DEP_1) | instskip(NEXT) | instid1(VALU_DEP_1)
	v_mul_f32_e32 v4, 0x7800000, v4
	v_cndmask_b32_e32 v2, v4, v2, vcc_lo
	s_delay_alu instid0(VALU_DEP_1) | instskip(SKIP_1) | instid1(SALU_CYCLE_1)
	v_cmp_neq_f32_e32 vcc_lo, 0, v2
	s_and_b32 s26, vcc_lo, exec_lo
	s_or_b32 s23, s23, s26
.LBB214_408:
	s_mov_b32 s27, 0
	s_mov_b32 s26, -1
.LBB214_409:
	s_and_not1_b32 vcc_lo, exec_lo, s27
	s_cbranch_vccnz .LBB214_420
; %bb.410:
	s_cmp_gt_i32 s24, 14
	s_cbranch_scc0 .LBB214_413
; %bb.411:
	s_cmp_eq_u32 s24, 15
	s_cbranch_scc0 .LBB214_414
; %bb.412:
	global_load_u16 v2, v[0:1], off
	s_mov_b32 s22, 0
	s_mov_b32 s26, -1
	s_wait_loadcnt 0x0
	v_and_b32_e32 v2, 0x7fff, v2
	s_delay_alu instid0(VALU_DEP_1)
	v_cmp_ne_u16_e64 s23, 0, v2
	s_branch .LBB214_415
.LBB214_413:
	s_mov_b32 s27, -1
                                        ; implicit-def: $sgpr23
	s_branch .LBB214_416
.LBB214_414:
	s_mov_b32 s22, -1
                                        ; implicit-def: $sgpr23
.LBB214_415:
	s_mov_b32 s27, 0
.LBB214_416:
	s_delay_alu instid0(SALU_CYCLE_1)
	s_and_b32 vcc_lo, exec_lo, s27
	s_cbranch_vccz .LBB214_420
; %bb.417:
	s_cmp_eq_u32 s24, 11
	s_cbranch_scc0 .LBB214_419
; %bb.418:
	global_load_u8 v2, v[0:1], off
	s_mov_b32 s22, 0
	s_mov_b32 s26, -1
	s_wait_loadcnt 0x0
	v_cmp_ne_u16_e64 s23, 0, v2
	s_branch .LBB214_420
.LBB214_419:
	s_mov_b32 s22, -1
                                        ; implicit-def: $sgpr23
.LBB214_420:
	s_branch .LBB214_356
.LBB214_421:
	s_and_b32 s24, 0xffff, s0
	s_delay_alu instid0(SALU_CYCLE_1)
	s_cmp_lt_i32 s24, 5
	s_cbranch_scc1 .LBB214_426
; %bb.422:
	s_cmp_lt_i32 s24, 8
	s_cbranch_scc1 .LBB214_427
; %bb.423:
	;; [unrolled: 3-line block ×3, first 2 shown]
	s_cmp_gt_i32 s24, 9
	s_cbranch_scc0 .LBB214_429
; %bb.425:
	global_load_b128 v[2:5], v[0:1], off
	s_wait_loadcnt 0x0
	v_cmp_neq_f64_e32 vcc_lo, 0, v[2:3]
	v_cmp_neq_f64_e64 s0, 0, v[4:5]
	s_or_b32 s23, vcc_lo, s0
	s_mov_b32 s0, 0
	s_branch .LBB214_430
.LBB214_426:
	s_mov_b32 s0, -1
                                        ; implicit-def: $sgpr23
	s_branch .LBB214_448
.LBB214_427:
	s_mov_b32 s0, -1
                                        ; implicit-def: $sgpr23
	s_branch .LBB214_436
.LBB214_428:
	s_mov_b32 s0, -1
                                        ; implicit-def: $sgpr23
	s_branch .LBB214_433
.LBB214_429:
	s_mov_b32 s0, -1
                                        ; implicit-def: $sgpr23
.LBB214_430:
	s_delay_alu instid0(SALU_CYCLE_1)
	s_and_not1_b32 vcc_lo, exec_lo, s0
	s_cbranch_vccnz .LBB214_432
; %bb.431:
	global_load_b64 v[2:3], v[0:1], off
	s_and_not1_b32 s0, s23, exec_lo
	s_wait_loadcnt 0x0
	v_bitop3_b32 v2, v2, 0x7fffffff, v3 bitop3:0xc8
	s_delay_alu instid0(VALU_DEP_1) | instskip(SKIP_1) | instid1(SALU_CYCLE_1)
	v_cmp_ne_u32_e32 vcc_lo, 0, v2
	s_and_b32 s23, vcc_lo, exec_lo
	s_or_b32 s23, s0, s23
.LBB214_432:
	s_mov_b32 s0, 0
.LBB214_433:
	s_delay_alu instid0(SALU_CYCLE_1)
	s_and_not1_b32 vcc_lo, exec_lo, s0
	s_cbranch_vccnz .LBB214_435
; %bb.434:
	global_load_b32 v2, v[0:1], off
	s_and_not1_b32 s0, s23, exec_lo
	s_wait_loadcnt 0x0
	v_and_b32_e32 v2, 0x7fff7fff, v2
	s_delay_alu instid0(VALU_DEP_1) | instskip(SKIP_1) | instid1(SALU_CYCLE_1)
	v_cmp_ne_u32_e32 vcc_lo, 0, v2
	s_and_b32 s23, vcc_lo, exec_lo
	s_or_b32 s23, s0, s23
.LBB214_435:
	s_mov_b32 s0, 0
.LBB214_436:
	s_delay_alu instid0(SALU_CYCLE_1)
	s_and_not1_b32 vcc_lo, exec_lo, s0
	s_cbranch_vccnz .LBB214_447
; %bb.437:
	s_cmp_lt_i32 s24, 6
	s_cbranch_scc1 .LBB214_440
; %bb.438:
	s_cmp_gt_i32 s24, 6
	s_cbranch_scc0 .LBB214_441
; %bb.439:
	global_load_b64 v[2:3], v[0:1], off
	s_mov_b32 s0, 0
	s_wait_loadcnt 0x0
	v_cmp_neq_f64_e64 s23, 0, v[2:3]
	s_branch .LBB214_442
.LBB214_440:
	s_mov_b32 s0, -1
                                        ; implicit-def: $sgpr23
	s_branch .LBB214_445
.LBB214_441:
	s_mov_b32 s0, -1
                                        ; implicit-def: $sgpr23
.LBB214_442:
	s_delay_alu instid0(SALU_CYCLE_1)
	s_and_not1_b32 vcc_lo, exec_lo, s0
	s_cbranch_vccnz .LBB214_444
; %bb.443:
	global_load_b32 v2, v[0:1], off
	s_and_not1_b32 s0, s23, exec_lo
	s_wait_loadcnt 0x0
	v_cmp_neq_f32_e32 vcc_lo, 0, v2
	s_and_b32 s23, vcc_lo, exec_lo
	s_delay_alu instid0(SALU_CYCLE_1)
	s_or_b32 s23, s0, s23
.LBB214_444:
	s_mov_b32 s0, 0
.LBB214_445:
	s_delay_alu instid0(SALU_CYCLE_1)
	s_and_not1_b32 vcc_lo, exec_lo, s0
	s_cbranch_vccnz .LBB214_447
; %bb.446:
	global_load_u16 v2, v[0:1], off
	s_and_not1_b32 s0, s23, exec_lo
	s_wait_loadcnt 0x0
	v_and_b32_e32 v2, 0x7fff, v2
	s_delay_alu instid0(VALU_DEP_1) | instskip(SKIP_1) | instid1(SALU_CYCLE_1)
	v_cmp_ne_u16_e32 vcc_lo, 0, v2
	s_and_b32 s23, vcc_lo, exec_lo
	s_or_b32 s23, s0, s23
.LBB214_447:
	s_mov_b32 s0, 0
.LBB214_448:
	s_delay_alu instid0(SALU_CYCLE_1)
	s_and_not1_b32 vcc_lo, exec_lo, s0
	s_cbranch_vccnz .LBB214_468
; %bb.449:
	s_cmp_lt_i32 s24, 2
	s_cbranch_scc1 .LBB214_453
; %bb.450:
	s_cmp_lt_i32 s24, 3
	s_cbranch_scc1 .LBB214_454
; %bb.451:
	s_cmp_gt_i32 s24, 3
	s_cbranch_scc0 .LBB214_455
; %bb.452:
	global_load_b64 v[2:3], v[0:1], off
	s_mov_b32 s0, 0
	s_wait_loadcnt 0x0
	v_cmp_ne_u64_e64 s23, 0, v[2:3]
	s_branch .LBB214_456
.LBB214_453:
	s_mov_b32 s0, -1
                                        ; implicit-def: $sgpr23
	s_branch .LBB214_462
.LBB214_454:
	s_mov_b32 s0, -1
                                        ; implicit-def: $sgpr23
	s_branch .LBB214_459
.LBB214_455:
	s_mov_b32 s0, -1
                                        ; implicit-def: $sgpr23
.LBB214_456:
	s_delay_alu instid0(SALU_CYCLE_1)
	s_and_not1_b32 vcc_lo, exec_lo, s0
	s_cbranch_vccnz .LBB214_458
; %bb.457:
	global_load_b32 v2, v[0:1], off
	s_and_not1_b32 s0, s23, exec_lo
	s_wait_loadcnt 0x0
	v_cmp_ne_u32_e32 vcc_lo, 0, v2
	s_and_b32 s23, vcc_lo, exec_lo
	s_delay_alu instid0(SALU_CYCLE_1)
	s_or_b32 s23, s0, s23
.LBB214_458:
	s_mov_b32 s0, 0
.LBB214_459:
	s_delay_alu instid0(SALU_CYCLE_1)
	s_and_not1_b32 vcc_lo, exec_lo, s0
	s_cbranch_vccnz .LBB214_461
; %bb.460:
	global_load_u16 v2, v[0:1], off
	s_and_not1_b32 s0, s23, exec_lo
	s_wait_loadcnt 0x0
	v_cmp_ne_u16_e32 vcc_lo, 0, v2
	s_and_b32 s23, vcc_lo, exec_lo
	s_delay_alu instid0(SALU_CYCLE_1)
	s_or_b32 s23, s0, s23
.LBB214_461:
	s_mov_b32 s0, 0
.LBB214_462:
	s_delay_alu instid0(SALU_CYCLE_1)
	s_and_not1_b32 vcc_lo, exec_lo, s0
	s_cbranch_vccnz .LBB214_468
; %bb.463:
	s_cmp_gt_i32 s24, 0
	s_mov_b32 s0, 0
	s_cbranch_scc0 .LBB214_465
; %bb.464:
	global_load_u8 v2, v[0:1], off
	s_wait_loadcnt 0x0
	v_cmp_ne_u16_e64 s23, 0, v2
	s_branch .LBB214_466
.LBB214_465:
	s_mov_b32 s0, -1
                                        ; implicit-def: $sgpr23
.LBB214_466:
	s_delay_alu instid0(SALU_CYCLE_1)
	s_and_not1_b32 vcc_lo, exec_lo, s0
	s_cbranch_vccnz .LBB214_468
; %bb.467:
	global_load_u8 v0, v[0:1], off
	s_and_not1_b32 s0, s23, exec_lo
	s_wait_loadcnt 0x0
	v_cmp_ne_u16_e32 vcc_lo, 0, v0
	s_and_b32 s23, vcc_lo, exec_lo
	s_delay_alu instid0(SALU_CYCLE_1)
	s_or_b32 s23, s0, s23
.LBB214_468:
	s_branch .LBB214_357
.LBB214_469:
	s_mov_b32 s27, 0
	s_mov_b32 s0, s18
	;; [unrolled: 1-line block ×3, first 2 shown]
                                        ; implicit-def: $vgpr6
	s_branch .LBB214_694
.LBB214_470:
	s_mov_b32 s28, -1
	s_mov_b32 s27, 0
	s_mov_b32 s24, s19
	s_branch .LBB214_474
.LBB214_471:
	v_bfe_u32 v2, v3, 20, 1
	s_mov_b32 s25, exec_lo
	s_delay_alu instid0(VALU_DEP_1) | instskip(NEXT) | instid1(VALU_DEP_1)
	v_add3_u32 v2, v3, v2, 0x487ffff
                                        ; implicit-def: $vgpr3
	v_lshrrev_b32_e32 v2, 20, v2
	s_and_not1_saveexec_b32 s26, s26
	s_cbranch_execz .LBB214_253
.LBB214_472:
	v_add_f32_e32 v2, 0x46000000, v3
	s_and_not1_b32 s25, s25, exec_lo
	s_delay_alu instid0(VALU_DEP_1) | instskip(NEXT) | instid1(VALU_DEP_1)
	v_and_b32_e32 v2, 0xff, v2
	v_cmp_ne_u32_e32 vcc_lo, 0, v2
	s_and_b32 s27, vcc_lo, exec_lo
	s_delay_alu instid0(SALU_CYCLE_1)
	s_or_b32 s25, s25, s27
	s_or_b32 exec_lo, exec_lo, s26
	v_mov_b32_e32 v4, 0
	s_and_saveexec_b32 s26, s25
	s_cbranch_execnz .LBB214_254
	s_branch .LBB214_255
.LBB214_473:
	s_mov_b32 s24, -1
	s_mov_b32 s27, 0
.LBB214_474:
                                        ; implicit-def: $sgpr26
.LBB214_475:
	s_and_b32 vcc_lo, exec_lo, s28
	s_cbranch_vccz .LBB214_477
; %bb.476:
	s_cmp_eq_u32 s22, 44
	s_cselect_b32 s27, -1, 0
	s_or_b32 s26, s26, exec_lo
	s_or_b32 s24, s24, exec_lo
.LBB214_477:
	s_mov_b32 s28, 0
.LBB214_478:
	s_delay_alu instid0(SALU_CYCLE_1)
	s_and_b32 vcc_lo, exec_lo, s28
	s_cbranch_vccz .LBB214_482
; %bb.479:
	s_cmp_eq_u32 s22, 29
	s_cbranch_scc0 .LBB214_481
; %bb.480:
	global_load_b64 v[2:3], v[0:1], off
	s_mov_b32 s27, -1
	s_mov_b32 s24, 0
	s_mov_b32 s28, 0
	s_wait_loadcnt 0x0
	v_cmp_ne_u64_e64 s26, 0, v[2:3]
	s_branch .LBB214_483
.LBB214_481:
	s_mov_b32 s24, -1
                                        ; implicit-def: $sgpr26
.LBB214_482:
	s_mov_b32 s28, 0
.LBB214_483:
	s_delay_alu instid0(SALU_CYCLE_1)
	s_and_b32 vcc_lo, exec_lo, s28
	s_cbranch_vccz .LBB214_495
; %bb.484:
	s_cmp_lt_i32 s22, 27
	s_cbranch_scc1 .LBB214_487
; %bb.485:
	s_cmp_gt_i32 s22, 27
	s_cbranch_scc0 .LBB214_488
; %bb.486:
	global_load_b32 v2, v[0:1], off
	s_mov_b32 s27, 0
	s_wait_loadcnt 0x0
	v_cmp_ne_u32_e64 s26, 0, v2
	s_branch .LBB214_489
.LBB214_487:
	s_mov_b32 s27, -1
                                        ; implicit-def: $sgpr26
	s_branch .LBB214_492
.LBB214_488:
	s_mov_b32 s27, -1
                                        ; implicit-def: $sgpr26
.LBB214_489:
	s_delay_alu instid0(SALU_CYCLE_1)
	s_and_not1_b32 vcc_lo, exec_lo, s27
	s_cbranch_vccnz .LBB214_491
; %bb.490:
	global_load_u16 v2, v[0:1], off
	s_and_not1_b32 s26, s26, exec_lo
	s_wait_loadcnt 0x0
	v_cmp_ne_u16_e32 vcc_lo, 0, v2
	s_and_b32 s27, vcc_lo, exec_lo
	s_delay_alu instid0(SALU_CYCLE_1)
	s_or_b32 s26, s26, s27
.LBB214_491:
	s_mov_b32 s27, 0
.LBB214_492:
	s_delay_alu instid0(SALU_CYCLE_1)
	s_and_not1_b32 vcc_lo, exec_lo, s27
	s_cbranch_vccnz .LBB214_494
; %bb.493:
	global_load_u8 v2, v[0:1], off
	s_and_not1_b32 s26, s26, exec_lo
	s_wait_loadcnt 0x0
	v_cmp_ne_u16_e32 vcc_lo, 0, v2
	s_and_b32 s27, vcc_lo, exec_lo
	s_delay_alu instid0(SALU_CYCLE_1)
	s_or_b32 s26, s26, s27
.LBB214_494:
	s_mov_b32 s27, -1
.LBB214_495:
	s_mov_b32 s28, 0
.LBB214_496:
	s_delay_alu instid0(SALU_CYCLE_1)
	s_and_b32 vcc_lo, exec_lo, s28
	s_cbranch_vccz .LBB214_521
; %bb.497:
	s_cmp_gt_i32 s22, 22
	s_cbranch_scc0 .LBB214_501
; %bb.498:
	s_cmp_lt_i32 s22, 24
	s_cbranch_scc1 .LBB214_502
; %bb.499:
	s_cmp_gt_i32 s22, 24
	s_cbranch_scc0 .LBB214_503
; %bb.500:
	global_load_u8 v2, v[0:1], off
	s_mov_b32 s27, 0
	s_wait_loadcnt 0x0
	v_cmp_ne_u16_e64 s26, 0, v2
	s_branch .LBB214_504
.LBB214_501:
	s_mov_b32 s28, -1
                                        ; implicit-def: $sgpr26
	s_branch .LBB214_510
.LBB214_502:
	s_mov_b32 s27, -1
                                        ; implicit-def: $sgpr26
	s_branch .LBB214_507
.LBB214_503:
	s_mov_b32 s27, -1
                                        ; implicit-def: $sgpr26
.LBB214_504:
	s_delay_alu instid0(SALU_CYCLE_1)
	s_and_not1_b32 vcc_lo, exec_lo, s27
	s_cbranch_vccnz .LBB214_506
; %bb.505:
	global_load_u8 v2, v[0:1], off
	s_and_not1_b32 s26, s26, exec_lo
	s_wait_loadcnt 0x0
	v_and_b32_e32 v2, 0x7f, v2
	s_delay_alu instid0(VALU_DEP_1) | instskip(SKIP_1) | instid1(SALU_CYCLE_1)
	v_cmp_ne_u16_e32 vcc_lo, 0, v2
	s_and_b32 s27, vcc_lo, exec_lo
	s_or_b32 s26, s26, s27
.LBB214_506:
	s_mov_b32 s27, 0
.LBB214_507:
	s_delay_alu instid0(SALU_CYCLE_1)
	s_and_not1_b32 vcc_lo, exec_lo, s27
	s_cbranch_vccnz .LBB214_509
; %bb.508:
	global_load_u8 v2, v[0:1], off
	s_and_not1_b32 s26, s26, exec_lo
	s_wait_loadcnt 0x0
	v_dual_lshlrev_b32 v3, 25, v2 :: v_dual_lshlrev_b32 v2, 8, v2
	s_delay_alu instid0(VALU_DEP_1) | instskip(NEXT) | instid1(VALU_DEP_2)
	v_cmp_gt_u32_e32 vcc_lo, 0x8000000, v3
	v_and_or_b32 v2, 0x7f00, v2, 0.5
	s_delay_alu instid0(VALU_DEP_1) | instskip(NEXT) | instid1(VALU_DEP_1)
	v_dual_lshrrev_b32 v4, 4, v3 :: v_dual_add_f32 v2, -0.5, v2
	v_or_b32_e32 v4, 0x70000000, v4
	s_delay_alu instid0(VALU_DEP_1) | instskip(NEXT) | instid1(VALU_DEP_1)
	v_mul_f32_e32 v4, 0x7800000, v4
	v_cndmask_b32_e32 v2, v4, v2, vcc_lo
	s_delay_alu instid0(VALU_DEP_1) | instskip(SKIP_1) | instid1(SALU_CYCLE_1)
	v_cmp_neq_f32_e32 vcc_lo, 0, v2
	s_and_b32 s27, vcc_lo, exec_lo
	s_or_b32 s26, s26, s27
.LBB214_509:
	s_mov_b32 s28, 0
	s_mov_b32 s27, -1
.LBB214_510:
	s_and_not1_b32 vcc_lo, exec_lo, s28
	s_cbranch_vccnz .LBB214_521
; %bb.511:
	s_cmp_gt_i32 s22, 14
	s_cbranch_scc0 .LBB214_514
; %bb.512:
	s_cmp_eq_u32 s22, 15
	s_cbranch_scc0 .LBB214_515
; %bb.513:
	global_load_u16 v2, v[0:1], off
	s_mov_b32 s24, 0
	s_mov_b32 s27, -1
	s_wait_loadcnt 0x0
	v_and_b32_e32 v2, 0x7fff, v2
	s_delay_alu instid0(VALU_DEP_1)
	v_cmp_ne_u16_e64 s26, 0, v2
	s_branch .LBB214_516
.LBB214_514:
	s_mov_b32 s28, -1
                                        ; implicit-def: $sgpr26
	s_branch .LBB214_517
.LBB214_515:
	s_mov_b32 s24, -1
                                        ; implicit-def: $sgpr26
.LBB214_516:
	s_mov_b32 s28, 0
.LBB214_517:
	s_delay_alu instid0(SALU_CYCLE_1)
	s_and_b32 vcc_lo, exec_lo, s28
	s_cbranch_vccz .LBB214_521
; %bb.518:
	s_cmp_eq_u32 s22, 11
	s_cbranch_scc0 .LBB214_520
; %bb.519:
	global_load_u8 v2, v[0:1], off
	s_mov_b32 s24, 0
	s_mov_b32 s27, -1
	s_wait_loadcnt 0x0
	v_cmp_ne_u16_e64 s26, 0, v2
	s_branch .LBB214_521
.LBB214_520:
	s_mov_b32 s24, -1
                                        ; implicit-def: $sgpr26
.LBB214_521:
	s_mov_b32 s22, 0
.LBB214_522:
	s_delay_alu instid0(SALU_CYCLE_1)
	s_and_b32 vcc_lo, exec_lo, s22
	s_cbranch_vccz .LBB214_571
; %bb.523:
	s_and_b32 s22, 0xffff, s0
	s_delay_alu instid0(SALU_CYCLE_1)
	s_cmp_lt_i32 s22, 5
	s_cbranch_scc1 .LBB214_528
; %bb.524:
	s_cmp_lt_i32 s22, 8
	s_cbranch_scc1 .LBB214_529
; %bb.525:
	;; [unrolled: 3-line block ×3, first 2 shown]
	s_cmp_gt_i32 s22, 9
	s_cbranch_scc0 .LBB214_531
; %bb.527:
	global_load_b128 v[2:5], v[0:1], off
	s_wait_loadcnt 0x0
	v_cmp_neq_f64_e32 vcc_lo, 0, v[2:3]
	v_cmp_neq_f64_e64 s0, 0, v[4:5]
	s_or_b32 s26, vcc_lo, s0
	s_mov_b32 s0, 0
	s_branch .LBB214_532
.LBB214_528:
	s_mov_b32 s0, -1
                                        ; implicit-def: $sgpr26
	s_branch .LBB214_550
.LBB214_529:
	s_mov_b32 s0, -1
                                        ; implicit-def: $sgpr26
	s_branch .LBB214_538
.LBB214_530:
	s_mov_b32 s0, -1
                                        ; implicit-def: $sgpr26
	s_branch .LBB214_535
.LBB214_531:
	s_mov_b32 s0, -1
                                        ; implicit-def: $sgpr26
.LBB214_532:
	s_delay_alu instid0(SALU_CYCLE_1)
	s_and_not1_b32 vcc_lo, exec_lo, s0
	s_cbranch_vccnz .LBB214_534
; %bb.533:
	global_load_b64 v[2:3], v[0:1], off
	s_and_not1_b32 s0, s26, exec_lo
	s_wait_loadcnt 0x0
	v_bitop3_b32 v2, v2, 0x7fffffff, v3 bitop3:0xc8
	s_delay_alu instid0(VALU_DEP_1) | instskip(SKIP_1) | instid1(SALU_CYCLE_1)
	v_cmp_ne_u32_e32 vcc_lo, 0, v2
	s_and_b32 s26, vcc_lo, exec_lo
	s_or_b32 s26, s0, s26
.LBB214_534:
	s_mov_b32 s0, 0
.LBB214_535:
	s_delay_alu instid0(SALU_CYCLE_1)
	s_and_not1_b32 vcc_lo, exec_lo, s0
	s_cbranch_vccnz .LBB214_537
; %bb.536:
	global_load_b32 v2, v[0:1], off
	s_and_not1_b32 s0, s26, exec_lo
	s_wait_loadcnt 0x0
	v_and_b32_e32 v2, 0x7fff7fff, v2
	s_delay_alu instid0(VALU_DEP_1) | instskip(SKIP_1) | instid1(SALU_CYCLE_1)
	v_cmp_ne_u32_e32 vcc_lo, 0, v2
	s_and_b32 s26, vcc_lo, exec_lo
	s_or_b32 s26, s0, s26
.LBB214_537:
	s_mov_b32 s0, 0
.LBB214_538:
	s_delay_alu instid0(SALU_CYCLE_1)
	s_and_not1_b32 vcc_lo, exec_lo, s0
	s_cbranch_vccnz .LBB214_549
; %bb.539:
	s_cmp_lt_i32 s22, 6
	s_cbranch_scc1 .LBB214_542
; %bb.540:
	s_cmp_gt_i32 s22, 6
	s_cbranch_scc0 .LBB214_543
; %bb.541:
	global_load_b64 v[2:3], v[0:1], off
	s_mov_b32 s0, 0
	s_wait_loadcnt 0x0
	v_cmp_neq_f64_e64 s26, 0, v[2:3]
	s_branch .LBB214_544
.LBB214_542:
	s_mov_b32 s0, -1
                                        ; implicit-def: $sgpr26
	s_branch .LBB214_547
.LBB214_543:
	s_mov_b32 s0, -1
                                        ; implicit-def: $sgpr26
.LBB214_544:
	s_delay_alu instid0(SALU_CYCLE_1)
	s_and_not1_b32 vcc_lo, exec_lo, s0
	s_cbranch_vccnz .LBB214_546
; %bb.545:
	global_load_b32 v2, v[0:1], off
	s_and_not1_b32 s0, s26, exec_lo
	s_wait_loadcnt 0x0
	v_cmp_neq_f32_e32 vcc_lo, 0, v2
	s_and_b32 s26, vcc_lo, exec_lo
	s_delay_alu instid0(SALU_CYCLE_1)
	s_or_b32 s26, s0, s26
.LBB214_546:
	s_mov_b32 s0, 0
.LBB214_547:
	s_delay_alu instid0(SALU_CYCLE_1)
	s_and_not1_b32 vcc_lo, exec_lo, s0
	s_cbranch_vccnz .LBB214_549
; %bb.548:
	global_load_u16 v2, v[0:1], off
	s_and_not1_b32 s0, s26, exec_lo
	s_wait_loadcnt 0x0
	v_and_b32_e32 v2, 0x7fff, v2
	s_delay_alu instid0(VALU_DEP_1) | instskip(SKIP_1) | instid1(SALU_CYCLE_1)
	v_cmp_ne_u16_e32 vcc_lo, 0, v2
	s_and_b32 s26, vcc_lo, exec_lo
	s_or_b32 s26, s0, s26
.LBB214_549:
	s_mov_b32 s0, 0
.LBB214_550:
	s_delay_alu instid0(SALU_CYCLE_1)
	s_and_not1_b32 vcc_lo, exec_lo, s0
	s_cbranch_vccnz .LBB214_570
; %bb.551:
	s_cmp_lt_i32 s22, 2
	s_cbranch_scc1 .LBB214_555
; %bb.552:
	s_cmp_lt_i32 s22, 3
	s_cbranch_scc1 .LBB214_556
; %bb.553:
	s_cmp_gt_i32 s22, 3
	s_cbranch_scc0 .LBB214_557
; %bb.554:
	global_load_b64 v[2:3], v[0:1], off
	s_mov_b32 s0, 0
	s_wait_loadcnt 0x0
	v_cmp_ne_u64_e64 s26, 0, v[2:3]
	s_branch .LBB214_558
.LBB214_555:
	s_mov_b32 s0, -1
                                        ; implicit-def: $sgpr26
	s_branch .LBB214_564
.LBB214_556:
	s_mov_b32 s0, -1
                                        ; implicit-def: $sgpr26
	s_branch .LBB214_561
.LBB214_557:
	s_mov_b32 s0, -1
                                        ; implicit-def: $sgpr26
.LBB214_558:
	s_delay_alu instid0(SALU_CYCLE_1)
	s_and_not1_b32 vcc_lo, exec_lo, s0
	s_cbranch_vccnz .LBB214_560
; %bb.559:
	global_load_b32 v2, v[0:1], off
	s_and_not1_b32 s0, s26, exec_lo
	s_wait_loadcnt 0x0
	v_cmp_ne_u32_e32 vcc_lo, 0, v2
	s_and_b32 s26, vcc_lo, exec_lo
	s_delay_alu instid0(SALU_CYCLE_1)
	s_or_b32 s26, s0, s26
.LBB214_560:
	s_mov_b32 s0, 0
.LBB214_561:
	s_delay_alu instid0(SALU_CYCLE_1)
	s_and_not1_b32 vcc_lo, exec_lo, s0
	s_cbranch_vccnz .LBB214_563
; %bb.562:
	global_load_u16 v2, v[0:1], off
	s_and_not1_b32 s0, s26, exec_lo
	s_wait_loadcnt 0x0
	v_cmp_ne_u16_e32 vcc_lo, 0, v2
	s_and_b32 s26, vcc_lo, exec_lo
	s_delay_alu instid0(SALU_CYCLE_1)
	s_or_b32 s26, s0, s26
.LBB214_563:
	s_mov_b32 s0, 0
.LBB214_564:
	s_delay_alu instid0(SALU_CYCLE_1)
	s_and_not1_b32 vcc_lo, exec_lo, s0
	s_cbranch_vccnz .LBB214_570
; %bb.565:
	s_cmp_gt_i32 s22, 0
	s_mov_b32 s0, 0
	s_cbranch_scc0 .LBB214_567
; %bb.566:
	global_load_u8 v2, v[0:1], off
	s_wait_loadcnt 0x0
	v_cmp_ne_u16_e64 s26, 0, v2
	s_branch .LBB214_568
.LBB214_567:
	s_mov_b32 s0, -1
                                        ; implicit-def: $sgpr26
.LBB214_568:
	s_delay_alu instid0(SALU_CYCLE_1)
	s_and_not1_b32 vcc_lo, exec_lo, s0
	s_cbranch_vccnz .LBB214_570
; %bb.569:
	global_load_u8 v0, v[0:1], off
	s_and_not1_b32 s0, s26, exec_lo
	s_wait_loadcnt 0x0
	v_cmp_ne_u16_e32 vcc_lo, 0, v0
	s_and_b32 s22, vcc_lo, exec_lo
	s_delay_alu instid0(SALU_CYCLE_1)
	s_or_b32 s26, s0, s22
.LBB214_570:
	s_mov_b32 s27, -1
.LBB214_571:
	s_mov_b32 s22, 0
	s_and_not1_b32 vcc_lo, exec_lo, s27
	s_mov_b32 s0, s18
	s_mov_b32 s27, 0
	s_cbranch_vccnz .LBB214_694
; %bb.572:
	s_wait_xcnt 0x0
	v_mul_lo_u32 v0, v6, s8
	s_delay_alu instid0(VALU_DEP_2) | instskip(SKIP_3) | instid1(VALU_DEP_1)
	s_xor_b32 s0, s23, s26
	s_and_b32 s24, s12, 0xff
	s_xor_b32 s23, s16, s0
	s_cmp_lt_i32 s24, 11
	v_ashrrev_i32_e32 v1, 31, v0
	s_delay_alu instid0(VALU_DEP_1)
	v_add_nc_u64_e32 v[0:1], s[4:5], v[0:1]
	s_cbranch_scc1 .LBB214_579
; %bb.573:
	s_and_b32 s26, 0xffff, s24
	s_delay_alu instid0(SALU_CYCLE_1)
	s_cmp_gt_i32 s26, 25
	s_cbranch_scc0 .LBB214_580
; %bb.574:
	s_cmp_gt_i32 s26, 28
	s_cbranch_scc0 .LBB214_581
; %bb.575:
	;; [unrolled: 3-line block ×4, first 2 shown]
	s_mov_b32 s28, 0
	s_mov_b32 s0, -1
	s_cmp_eq_u32 s26, 46
	s_cbranch_scc0 .LBB214_584
; %bb.578:
	v_cndmask_b32_e64 v2, 0, 1.0, s23
	s_mov_b32 s27, -1
	s_mov_b32 s0, 0
	s_delay_alu instid0(VALU_DEP_1) | instskip(NEXT) | instid1(VALU_DEP_1)
	v_bfe_u32 v3, v2, 16, 1
	v_add3_u32 v2, v2, v3, 0x7fff
	s_delay_alu instid0(VALU_DEP_1)
	v_lshrrev_b32_e32 v2, 16, v2
	global_store_b32 v[0:1], v2, off
	s_branch .LBB214_584
.LBB214_579:
	s_mov_b32 s26, -1
	s_mov_b32 s0, s18
	s_branch .LBB214_653
.LBB214_580:
	s_mov_b32 s28, -1
	s_mov_b32 s0, s18
	s_branch .LBB214_611
.LBB214_581:
	s_mov_b32 s28, -1
	s_mov_b32 s0, s18
	s_branch .LBB214_594
.LBB214_582:
	s_mov_b32 s28, -1
	s_mov_b32 s0, s18
	s_branch .LBB214_590
.LBB214_583:
	s_mov_b32 s28, -1
	s_mov_b32 s0, s18
.LBB214_584:
	s_and_b32 vcc_lo, exec_lo, s28
	s_cbranch_vccz .LBB214_589
; %bb.585:
	s_cmp_eq_u32 s26, 44
	s_mov_b32 s0, -1
	s_cbranch_scc0 .LBB214_589
; %bb.586:
	v_cndmask_b32_e64 v4, 0, 1.0, s23
	s_mov_b32 s27, exec_lo
	s_wait_xcnt 0x0
	s_delay_alu instid0(VALU_DEP_1) | instskip(NEXT) | instid1(VALU_DEP_1)
	v_dual_mov_b32 v3, 0xff :: v_dual_lshrrev_b32 v2, 23, v4
	v_cmpx_ne_u32_e32 0xff, v2
; %bb.587:
	v_and_b32_e32 v3, 0x400000, v4
	v_and_or_b32 v4, 0x3fffff, v4, v2
	s_delay_alu instid0(VALU_DEP_2) | instskip(NEXT) | instid1(VALU_DEP_2)
	v_cmp_ne_u32_e32 vcc_lo, 0, v3
	v_cmp_ne_u32_e64 s0, 0, v4
	s_and_b32 s0, vcc_lo, s0
	s_delay_alu instid0(SALU_CYCLE_1) | instskip(NEXT) | instid1(VALU_DEP_1)
	v_cndmask_b32_e64 v3, 0, 1, s0
	v_add_nc_u32_e32 v3, v2, v3
; %bb.588:
	s_or_b32 exec_lo, exec_lo, s27
	s_mov_b32 s27, -1
	s_mov_b32 s0, 0
	global_store_b8 v[0:1], v3, off
.LBB214_589:
	s_mov_b32 s28, 0
.LBB214_590:
	s_delay_alu instid0(SALU_CYCLE_1)
	s_and_b32 vcc_lo, exec_lo, s28
	s_cbranch_vccz .LBB214_593
; %bb.591:
	s_cmp_eq_u32 s26, 29
	s_mov_b32 s0, -1
	s_cbranch_scc0 .LBB214_593
; %bb.592:
	s_mov_b32 s0, 0
	s_wait_xcnt 0x0
	v_cndmask_b32_e64 v2, 0, 1, s23
	v_mov_b32_e32 v3, s0
	s_mov_b32 s27, -1
	s_mov_b32 s28, 0
	global_store_b64 v[0:1], v[2:3], off
	s_branch .LBB214_594
.LBB214_593:
	s_mov_b32 s28, 0
.LBB214_594:
	s_delay_alu instid0(SALU_CYCLE_1)
	s_and_b32 vcc_lo, exec_lo, s28
	s_cbranch_vccz .LBB214_610
; %bb.595:
	s_cmp_lt_i32 s26, 27
	s_mov_b32 s27, -1
	s_cbranch_scc1 .LBB214_601
; %bb.596:
	s_cmp_gt_i32 s26, 27
	s_cbranch_scc0 .LBB214_598
; %bb.597:
	s_wait_xcnt 0x0
	v_cndmask_b32_e64 v2, 0, 1, s23
	s_mov_b32 s27, 0
	global_store_b32 v[0:1], v2, off
.LBB214_598:
	s_and_not1_b32 vcc_lo, exec_lo, s27
	s_cbranch_vccnz .LBB214_600
; %bb.599:
	s_wait_xcnt 0x0
	v_cndmask_b32_e64 v2, 0, 1, s23
	global_store_b16 v[0:1], v2, off
.LBB214_600:
	s_mov_b32 s27, 0
.LBB214_601:
	s_delay_alu instid0(SALU_CYCLE_1)
	s_and_not1_b32 vcc_lo, exec_lo, s27
	s_cbranch_vccnz .LBB214_609
; %bb.602:
	s_wait_xcnt 0x0
	v_cndmask_b32_e64 v3, 0, 1.0, s23
	v_mov_b32_e32 v4, 0x80
	s_mov_b32 s27, exec_lo
	s_delay_alu instid0(VALU_DEP_2)
	v_cmpx_gt_u32_e32 0x43800000, v3
	s_cbranch_execz .LBB214_608
; %bb.603:
	s_mov_b32 s28, 0
	s_mov_b32 s29, exec_lo
                                        ; implicit-def: $vgpr2
	v_cmpx_lt_u32_e32 0x3bffffff, v3
	s_xor_b32 s29, exec_lo, s29
	s_cbranch_execnz .LBB214_823
; %bb.604:
	s_and_not1_saveexec_b32 s29, s29
	s_cbranch_execnz .LBB214_824
.LBB214_605:
	s_or_b32 exec_lo, exec_lo, s29
	v_mov_b32_e32 v4, 0
	s_and_saveexec_b32 s29, s28
.LBB214_606:
	v_mov_b32_e32 v4, v2
.LBB214_607:
	s_or_b32 exec_lo, exec_lo, s29
.LBB214_608:
	s_delay_alu instid0(SALU_CYCLE_1)
	s_or_b32 exec_lo, exec_lo, s27
	global_store_b8 v[0:1], v4, off
.LBB214_609:
	s_mov_b32 s27, -1
.LBB214_610:
	s_mov_b32 s28, 0
.LBB214_611:
	s_delay_alu instid0(SALU_CYCLE_1)
	s_and_b32 vcc_lo, exec_lo, s28
	s_cbranch_vccz .LBB214_652
; %bb.612:
	s_cmp_gt_i32 s26, 22
	s_mov_b32 s28, -1
	s_cbranch_scc0 .LBB214_644
; %bb.613:
	s_cmp_lt_i32 s26, 24
	s_mov_b32 s27, -1
	s_cbranch_scc1 .LBB214_633
; %bb.614:
	s_cmp_gt_i32 s26, 24
	s_cbranch_scc0 .LBB214_622
; %bb.615:
	s_wait_xcnt 0x0
	v_cndmask_b32_e64 v3, 0, 1.0, s23
	v_mov_b32_e32 v4, 0x80
	s_mov_b32 s27, exec_lo
	s_delay_alu instid0(VALU_DEP_2)
	v_cmpx_gt_u32_e32 0x47800000, v3
	s_cbranch_execz .LBB214_621
; %bb.616:
	s_mov_b32 s28, 0
	s_mov_b32 s29, exec_lo
                                        ; implicit-def: $vgpr2
	v_cmpx_lt_u32_e32 0x37ffffff, v3
	s_xor_b32 s29, exec_lo, s29
	s_cbranch_execnz .LBB214_1961
; %bb.617:
	s_and_not1_saveexec_b32 s29, s29
	s_cbranch_execnz .LBB214_1962
.LBB214_618:
	s_or_b32 exec_lo, exec_lo, s29
	v_mov_b32_e32 v4, 0
	s_and_saveexec_b32 s29, s28
.LBB214_619:
	v_mov_b32_e32 v4, v2
.LBB214_620:
	s_or_b32 exec_lo, exec_lo, s29
.LBB214_621:
	s_delay_alu instid0(SALU_CYCLE_1)
	s_or_b32 exec_lo, exec_lo, s27
	s_mov_b32 s27, 0
	global_store_b8 v[0:1], v4, off
.LBB214_622:
	s_and_b32 vcc_lo, exec_lo, s27
	s_cbranch_vccz .LBB214_632
; %bb.623:
	s_wait_xcnt 0x0
	v_cndmask_b32_e64 v3, 0, 1.0, s23
	s_mov_b32 s27, exec_lo
                                        ; implicit-def: $vgpr2
	s_delay_alu instid0(VALU_DEP_1)
	v_cmpx_gt_u32_e32 0x43f00000, v3
	s_xor_b32 s27, exec_lo, s27
	s_cbranch_execz .LBB214_629
; %bb.624:
	s_mov_b32 s28, exec_lo
                                        ; implicit-def: $vgpr2
	v_cmpx_lt_u32_e32 0x3c7fffff, v3
	s_xor_b32 s28, exec_lo, s28
; %bb.625:
	v_bfe_u32 v2, v3, 20, 1
	s_delay_alu instid0(VALU_DEP_1) | instskip(NEXT) | instid1(VALU_DEP_1)
	v_add3_u32 v2, v3, v2, 0x407ffff
	v_and_b32_e32 v3, 0xff00000, v2
	v_lshrrev_b32_e32 v2, 20, v2
	s_delay_alu instid0(VALU_DEP_2) | instskip(NEXT) | instid1(VALU_DEP_2)
	v_cmp_ne_u32_e32 vcc_lo, 0x7f00000, v3
                                        ; implicit-def: $vgpr3
	v_cndmask_b32_e32 v2, 0x7e, v2, vcc_lo
; %bb.626:
	s_and_not1_saveexec_b32 s28, s28
; %bb.627:
	v_add_f32_e32 v2, 0x46800000, v3
; %bb.628:
	s_or_b32 exec_lo, exec_lo, s28
                                        ; implicit-def: $vgpr3
.LBB214_629:
	s_and_not1_saveexec_b32 s27, s27
; %bb.630:
	v_mov_b32_e32 v2, 0x7f
	v_cmp_lt_u32_e32 vcc_lo, 0x7f800000, v3
	s_delay_alu instid0(VALU_DEP_2)
	v_cndmask_b32_e32 v2, 0x7e, v2, vcc_lo
; %bb.631:
	s_or_b32 exec_lo, exec_lo, s27
	global_store_b8 v[0:1], v2, off
.LBB214_632:
	s_mov_b32 s27, 0
.LBB214_633:
	s_delay_alu instid0(SALU_CYCLE_1)
	s_and_not1_b32 vcc_lo, exec_lo, s27
	s_cbranch_vccnz .LBB214_643
; %bb.634:
	s_wait_xcnt 0x0
	v_cndmask_b32_e64 v3, 0, 1.0, s23
	s_mov_b32 s27, exec_lo
                                        ; implicit-def: $vgpr2
	s_delay_alu instid0(VALU_DEP_1)
	v_cmpx_gt_u32_e32 0x47800000, v3
	s_xor_b32 s27, exec_lo, s27
	s_cbranch_execz .LBB214_640
; %bb.635:
	s_mov_b32 s28, exec_lo
                                        ; implicit-def: $vgpr2
	v_cmpx_lt_u32_e32 0x387fffff, v3
	s_xor_b32 s28, exec_lo, s28
; %bb.636:
	v_bfe_u32 v2, v3, 21, 1
	s_delay_alu instid0(VALU_DEP_1) | instskip(NEXT) | instid1(VALU_DEP_1)
	v_add3_u32 v2, v3, v2, 0x80fffff
                                        ; implicit-def: $vgpr3
	v_lshrrev_b32_e32 v2, 21, v2
; %bb.637:
	s_and_not1_saveexec_b32 s28, s28
; %bb.638:
	v_add_f32_e32 v2, 0x43000000, v3
; %bb.639:
	s_or_b32 exec_lo, exec_lo, s28
                                        ; implicit-def: $vgpr3
.LBB214_640:
	s_and_not1_saveexec_b32 s27, s27
; %bb.641:
	v_mov_b32_e32 v2, 0x7f
	v_cmp_lt_u32_e32 vcc_lo, 0x7f800000, v3
	s_delay_alu instid0(VALU_DEP_2)
	v_cndmask_b32_e32 v2, 0x7c, v2, vcc_lo
; %bb.642:
	s_or_b32 exec_lo, exec_lo, s27
	global_store_b8 v[0:1], v2, off
.LBB214_643:
	s_mov_b32 s28, 0
	s_mov_b32 s27, -1
.LBB214_644:
	s_and_not1_b32 vcc_lo, exec_lo, s28
	s_cbranch_vccnz .LBB214_652
; %bb.645:
	s_cmp_gt_i32 s26, 14
	s_mov_b32 s28, -1
	s_cbranch_scc0 .LBB214_649
; %bb.646:
	s_cmp_eq_u32 s26, 15
	s_mov_b32 s0, -1
	s_cbranch_scc0 .LBB214_648
; %bb.647:
	s_wait_xcnt 0x0
	v_cndmask_b32_e64 v2, 0, 1.0, s23
	s_mov_b32 s27, -1
	s_mov_b32 s0, 0
	s_delay_alu instid0(VALU_DEP_1) | instskip(NEXT) | instid1(VALU_DEP_1)
	v_bfe_u32 v3, v2, 16, 1
	v_add3_u32 v2, v2, v3, 0x7fff
	global_store_d16_hi_b16 v[0:1], v2, off
.LBB214_648:
	s_mov_b32 s28, 0
.LBB214_649:
	s_delay_alu instid0(SALU_CYCLE_1)
	s_and_b32 vcc_lo, exec_lo, s28
	s_cbranch_vccz .LBB214_652
; %bb.650:
	s_cmp_eq_u32 s26, 11
	s_mov_b32 s0, -1
	s_cbranch_scc0 .LBB214_652
; %bb.651:
	s_wait_xcnt 0x0
	v_cndmask_b32_e64 v2, 0, 1, s23
	s_mov_b32 s27, -1
	s_mov_b32 s0, 0
	global_store_b8 v[0:1], v2, off
.LBB214_652:
	s_mov_b32 s26, 0
.LBB214_653:
	s_delay_alu instid0(SALU_CYCLE_1)
	s_and_b32 vcc_lo, exec_lo, s26
	s_cbranch_vccz .LBB214_692
; %bb.654:
	s_and_b32 s24, 0xffff, s24
	s_mov_b32 s26, -1
	s_cmp_lt_i32 s24, 5
	s_cbranch_scc1 .LBB214_675
; %bb.655:
	s_cmp_lt_i32 s24, 8
	s_cbranch_scc1 .LBB214_665
; %bb.656:
	;; [unrolled: 3-line block ×3, first 2 shown]
	s_cmp_gt_i32 s24, 9
	s_cbranch_scc0 .LBB214_659
; %bb.658:
	s_wait_xcnt 0x0
	v_cndmask_b32_e64 v2, 0, 1, s23
	v_mov_b32_e32 v4, 0
	s_mov_b32 s26, 0
	s_delay_alu instid0(VALU_DEP_2) | instskip(NEXT) | instid1(VALU_DEP_2)
	v_cvt_f64_u32_e32 v[2:3], v2
	v_mov_b32_e32 v5, v4
	global_store_b128 v[0:1], v[2:5], off
.LBB214_659:
	s_and_not1_b32 vcc_lo, exec_lo, s26
	s_cbranch_vccnz .LBB214_661
; %bb.660:
	s_wait_xcnt 0x0
	v_cndmask_b32_e64 v2, 0, 1.0, s23
	v_mov_b32_e32 v3, 0
	global_store_b64 v[0:1], v[2:3], off
.LBB214_661:
	s_mov_b32 s26, 0
.LBB214_662:
	s_delay_alu instid0(SALU_CYCLE_1)
	s_and_not1_b32 vcc_lo, exec_lo, s26
	s_cbranch_vccnz .LBB214_664
; %bb.663:
	s_wait_xcnt 0x0
	v_cndmask_b32_e64 v2, 0, 1.0, s23
	s_delay_alu instid0(VALU_DEP_1) | instskip(NEXT) | instid1(VALU_DEP_1)
	v_cvt_f16_f32_e32 v2, v2
	v_and_b32_e32 v2, 0xffff, v2
	global_store_b32 v[0:1], v2, off
.LBB214_664:
	s_mov_b32 s26, 0
.LBB214_665:
	s_delay_alu instid0(SALU_CYCLE_1)
	s_and_not1_b32 vcc_lo, exec_lo, s26
	s_cbranch_vccnz .LBB214_674
; %bb.666:
	s_cmp_lt_i32 s24, 6
	s_mov_b32 s26, -1
	s_cbranch_scc1 .LBB214_672
; %bb.667:
	s_cmp_gt_i32 s24, 6
	s_cbranch_scc0 .LBB214_669
; %bb.668:
	s_wait_xcnt 0x0
	v_cndmask_b32_e64 v2, 0, 1, s23
	s_mov_b32 s26, 0
	s_delay_alu instid0(VALU_DEP_1)
	v_cvt_f64_u32_e32 v[2:3], v2
	global_store_b64 v[0:1], v[2:3], off
.LBB214_669:
	s_and_not1_b32 vcc_lo, exec_lo, s26
	s_cbranch_vccnz .LBB214_671
; %bb.670:
	s_wait_xcnt 0x0
	v_cndmask_b32_e64 v2, 0, 1.0, s23
	global_store_b32 v[0:1], v2, off
.LBB214_671:
	s_mov_b32 s26, 0
.LBB214_672:
	s_delay_alu instid0(SALU_CYCLE_1)
	s_and_not1_b32 vcc_lo, exec_lo, s26
	s_cbranch_vccnz .LBB214_674
; %bb.673:
	s_wait_xcnt 0x0
	v_cndmask_b32_e64 v2, 0, 1.0, s23
	s_delay_alu instid0(VALU_DEP_1)
	v_cvt_f16_f32_e32 v2, v2
	global_store_b16 v[0:1], v2, off
.LBB214_674:
	s_mov_b32 s26, 0
.LBB214_675:
	s_delay_alu instid0(SALU_CYCLE_1)
	s_and_not1_b32 vcc_lo, exec_lo, s26
	s_cbranch_vccnz .LBB214_691
; %bb.676:
	s_cmp_lt_i32 s24, 2
	s_mov_b32 s26, -1
	s_cbranch_scc1 .LBB214_686
; %bb.677:
	s_cmp_lt_i32 s24, 3
	s_cbranch_scc1 .LBB214_683
; %bb.678:
	s_cmp_gt_i32 s24, 3
	s_cbranch_scc0 .LBB214_680
; %bb.679:
	s_mov_b32 s26, 0
	s_wait_xcnt 0x0
	v_cndmask_b32_e64 v2, 0, 1, s23
	v_mov_b32_e32 v3, s26
	global_store_b64 v[0:1], v[2:3], off
.LBB214_680:
	s_and_not1_b32 vcc_lo, exec_lo, s26
	s_cbranch_vccnz .LBB214_682
; %bb.681:
	s_wait_xcnt 0x0
	v_cndmask_b32_e64 v2, 0, 1, s23
	global_store_b32 v[0:1], v2, off
.LBB214_682:
	s_mov_b32 s26, 0
.LBB214_683:
	s_delay_alu instid0(SALU_CYCLE_1)
	s_and_not1_b32 vcc_lo, exec_lo, s26
	s_cbranch_vccnz .LBB214_685
; %bb.684:
	s_wait_xcnt 0x0
	v_cndmask_b32_e64 v2, 0, 1, s23
	global_store_b16 v[0:1], v2, off
.LBB214_685:
	s_mov_b32 s26, 0
.LBB214_686:
	s_delay_alu instid0(SALU_CYCLE_1)
	s_and_not1_b32 vcc_lo, exec_lo, s26
	s_cbranch_vccnz .LBB214_691
; %bb.687:
	s_wait_xcnt 0x0
	v_cndmask_b32_e64 v2, 0, 1, s23
	s_cmp_gt_i32 s24, 0
	s_mov_b32 s23, -1
	s_cbranch_scc0 .LBB214_689
; %bb.688:
	s_mov_b32 s23, 0
	global_store_b8 v[0:1], v2, off
.LBB214_689:
	s_and_not1_b32 vcc_lo, exec_lo, s23
	s_cbranch_vccnz .LBB214_691
; %bb.690:
	global_store_b8 v[0:1], v2, off
.LBB214_691:
	s_mov_b32 s27, -1
.LBB214_692:
	s_mov_b32 s24, 0
	s_and_not1_b32 vcc_lo, exec_lo, s27
	s_mov_b32 s27, 0
	s_cbranch_vccnz .LBB214_694
; %bb.693:
	v_add_nc_u32_e32 v6, 0x80, v6
	s_mov_b32 s27, -1
.LBB214_694:
	s_and_not1_b32 s23, s18, exec_lo
	s_and_b32 s0, s0, exec_lo
	s_and_b32 s24, s24, exec_lo
	s_or_b32 s23, s23, s0
	s_and_not1_b32 s0, s19, exec_lo
	s_and_not1_b32 s26, s20, exec_lo
	s_and_b32 s22, s22, exec_lo
	s_or_b32 s24, s0, s24
	s_or_b32 s22, s26, s22
	s_or_not1_b32 s0, s27, exec_lo
.LBB214_695:
	s_wait_xcnt 0x0
	s_or_b32 exec_lo, exec_lo, s25
	s_mov_b32 s28, 0
	s_mov_b32 s29, 0
	;; [unrolled: 1-line block ×3, first 2 shown]
                                        ; implicit-def: $sgpr26
                                        ; implicit-def: $sgpr27
                                        ; implicit-def: $vgpr0_vgpr1
	s_and_saveexec_b32 s25, s0
	s_cbranch_execz .LBB214_1111
; %bb.696:
	s_mov_b32 s35, -1
	s_mov_b32 s0, s22
	s_mov_b32 s29, s24
	;; [unrolled: 1-line block ×3, first 2 shown]
	s_mov_b32 s26, exec_lo
	v_cmpx_gt_i32_e64 s17, v6
	s_cbranch_execz .LBB214_1047
; %bb.697:
	v_mul_lo_u32 v0, v6, s9
	s_and_b32 s0, s14, 0xff
	s_delay_alu instid0(SALU_CYCLE_1) | instskip(NEXT) | instid1(VALU_DEP_1)
	s_cmp_lt_i32 s0, 11
	v_ashrrev_i32_e32 v1, 31, v0
	s_delay_alu instid0(VALU_DEP_1)
	v_add_nc_u64_e32 v[0:1], s[6:7], v[0:1]
	s_cbranch_scc1 .LBB214_704
; %bb.698:
	s_and_b32 s29, 0xffff, s0
	s_delay_alu instid0(SALU_CYCLE_1)
	s_cmp_gt_i32 s29, 25
	s_cbranch_scc0 .LBB214_705
; %bb.699:
	s_cmp_gt_i32 s29, 28
	s_cbranch_scc0 .LBB214_706
; %bb.700:
	;; [unrolled: 3-line block ×4, first 2 shown]
	s_cmp_eq_u32 s29, 46
	s_mov_b32 s31, 0
	s_cbranch_scc0 .LBB214_709
; %bb.703:
	global_load_b32 v2, v[0:1], off
	s_mov_b32 s27, 0
	s_mov_b32 s30, -1
	s_wait_loadcnt 0x0
	v_and_b32_e32 v2, 0x7fff7fff, v2
	s_delay_alu instid0(VALU_DEP_1)
	v_cmp_ne_u32_e64 s28, 0, v2
	s_branch .LBB214_711
.LBB214_704:
	s_mov_b32 s29, -1
	s_mov_b32 s27, s22
                                        ; implicit-def: $sgpr28
	s_branch .LBB214_758
.LBB214_705:
	s_mov_b32 s31, -1
	s_mov_b32 s27, s22
                                        ; implicit-def: $sgpr28
	s_branch .LBB214_732
.LBB214_706:
	s_mov_b32 s31, -1
	s_mov_b32 s27, s22
                                        ; implicit-def: $sgpr28
	s_branch .LBB214_719
.LBB214_707:
	s_mov_b32 s31, -1
	s_mov_b32 s27, s22
                                        ; implicit-def: $sgpr28
	s_branch .LBB214_714
.LBB214_708:
	s_mov_b32 s31, -1
	s_mov_b32 s27, s22
	s_branch .LBB214_710
.LBB214_709:
	s_mov_b32 s27, -1
.LBB214_710:
                                        ; implicit-def: $sgpr28
.LBB214_711:
	s_and_b32 vcc_lo, exec_lo, s31
	s_cbranch_vccz .LBB214_713
; %bb.712:
	s_cmp_eq_u32 s29, 44
	s_cselect_b32 s30, -1, 0
	s_or_b32 s28, s28, exec_lo
	s_or_b32 s27, s27, exec_lo
.LBB214_713:
	s_mov_b32 s31, 0
.LBB214_714:
	s_delay_alu instid0(SALU_CYCLE_1)
	s_and_b32 vcc_lo, exec_lo, s31
	s_cbranch_vccz .LBB214_718
; %bb.715:
	s_cmp_eq_u32 s29, 29
	s_cbranch_scc0 .LBB214_717
; %bb.716:
	global_load_b64 v[2:3], v[0:1], off
	s_mov_b32 s30, -1
	s_mov_b32 s27, 0
	s_mov_b32 s31, 0
	s_wait_loadcnt 0x0
	v_cmp_ne_u64_e64 s28, 0, v[2:3]
	s_branch .LBB214_719
.LBB214_717:
	s_mov_b32 s27, -1
                                        ; implicit-def: $sgpr28
.LBB214_718:
	s_mov_b32 s31, 0
.LBB214_719:
	s_delay_alu instid0(SALU_CYCLE_1)
	s_and_b32 vcc_lo, exec_lo, s31
	s_cbranch_vccz .LBB214_731
; %bb.720:
	s_cmp_lt_i32 s29, 27
	s_cbranch_scc1 .LBB214_723
; %bb.721:
	s_cmp_gt_i32 s29, 27
	s_cbranch_scc0 .LBB214_724
; %bb.722:
	global_load_b32 v2, v[0:1], off
	s_mov_b32 s30, 0
	s_wait_loadcnt 0x0
	v_cmp_ne_u32_e64 s28, 0, v2
	s_branch .LBB214_725
.LBB214_723:
	s_mov_b32 s30, -1
                                        ; implicit-def: $sgpr28
	s_branch .LBB214_728
.LBB214_724:
	s_mov_b32 s30, -1
                                        ; implicit-def: $sgpr28
.LBB214_725:
	s_delay_alu instid0(SALU_CYCLE_1)
	s_and_not1_b32 vcc_lo, exec_lo, s30
	s_cbranch_vccnz .LBB214_727
; %bb.726:
	global_load_u16 v2, v[0:1], off
	s_and_not1_b32 s28, s28, exec_lo
	s_wait_loadcnt 0x0
	v_cmp_ne_u16_e32 vcc_lo, 0, v2
	s_and_b32 s30, vcc_lo, exec_lo
	s_delay_alu instid0(SALU_CYCLE_1)
	s_or_b32 s28, s28, s30
.LBB214_727:
	s_mov_b32 s30, 0
.LBB214_728:
	s_delay_alu instid0(SALU_CYCLE_1)
	s_and_not1_b32 vcc_lo, exec_lo, s30
	s_cbranch_vccnz .LBB214_730
; %bb.729:
	global_load_u8 v2, v[0:1], off
	s_and_not1_b32 s28, s28, exec_lo
	s_wait_loadcnt 0x0
	v_cmp_ne_u16_e32 vcc_lo, 0, v2
	s_and_b32 s30, vcc_lo, exec_lo
	s_delay_alu instid0(SALU_CYCLE_1)
	s_or_b32 s28, s28, s30
.LBB214_730:
	s_mov_b32 s30, -1
.LBB214_731:
	s_mov_b32 s31, 0
.LBB214_732:
	s_delay_alu instid0(SALU_CYCLE_1)
	s_and_b32 vcc_lo, exec_lo, s31
	s_cbranch_vccz .LBB214_757
; %bb.733:
	s_cmp_gt_i32 s29, 22
	s_cbranch_scc0 .LBB214_737
; %bb.734:
	s_cmp_lt_i32 s29, 24
	s_cbranch_scc1 .LBB214_738
; %bb.735:
	s_cmp_gt_i32 s29, 24
	s_cbranch_scc0 .LBB214_739
; %bb.736:
	global_load_u8 v2, v[0:1], off
	s_mov_b32 s30, 0
	s_wait_loadcnt 0x0
	v_cmp_ne_u16_e64 s28, 0, v2
	s_branch .LBB214_740
.LBB214_737:
	s_mov_b32 s31, -1
                                        ; implicit-def: $sgpr28
	s_branch .LBB214_746
.LBB214_738:
	s_mov_b32 s30, -1
                                        ; implicit-def: $sgpr28
	s_branch .LBB214_743
.LBB214_739:
	s_mov_b32 s30, -1
                                        ; implicit-def: $sgpr28
.LBB214_740:
	s_delay_alu instid0(SALU_CYCLE_1)
	s_and_not1_b32 vcc_lo, exec_lo, s30
	s_cbranch_vccnz .LBB214_742
; %bb.741:
	global_load_u8 v2, v[0:1], off
	s_and_not1_b32 s28, s28, exec_lo
	s_wait_loadcnt 0x0
	v_and_b32_e32 v2, 0x7f, v2
	s_delay_alu instid0(VALU_DEP_1) | instskip(SKIP_1) | instid1(SALU_CYCLE_1)
	v_cmp_ne_u16_e32 vcc_lo, 0, v2
	s_and_b32 s30, vcc_lo, exec_lo
	s_or_b32 s28, s28, s30
.LBB214_742:
	s_mov_b32 s30, 0
.LBB214_743:
	s_delay_alu instid0(SALU_CYCLE_1)
	s_and_not1_b32 vcc_lo, exec_lo, s30
	s_cbranch_vccnz .LBB214_745
; %bb.744:
	global_load_u8 v2, v[0:1], off
	s_and_not1_b32 s28, s28, exec_lo
	s_wait_loadcnt 0x0
	v_dual_lshlrev_b32 v3, 25, v2 :: v_dual_lshlrev_b32 v2, 8, v2
	s_delay_alu instid0(VALU_DEP_1) | instskip(NEXT) | instid1(VALU_DEP_2)
	v_cmp_gt_u32_e32 vcc_lo, 0x8000000, v3
	v_and_or_b32 v2, 0x7f00, v2, 0.5
	s_delay_alu instid0(VALU_DEP_1) | instskip(NEXT) | instid1(VALU_DEP_1)
	v_dual_lshrrev_b32 v4, 4, v3 :: v_dual_add_f32 v2, -0.5, v2
	v_or_b32_e32 v4, 0x70000000, v4
	s_delay_alu instid0(VALU_DEP_1) | instskip(NEXT) | instid1(VALU_DEP_1)
	v_mul_f32_e32 v4, 0x7800000, v4
	v_cndmask_b32_e32 v2, v4, v2, vcc_lo
	s_delay_alu instid0(VALU_DEP_1) | instskip(SKIP_1) | instid1(SALU_CYCLE_1)
	v_cmp_neq_f32_e32 vcc_lo, 0, v2
	s_and_b32 s30, vcc_lo, exec_lo
	s_or_b32 s28, s28, s30
.LBB214_745:
	s_mov_b32 s31, 0
	s_mov_b32 s30, -1
.LBB214_746:
	s_and_not1_b32 vcc_lo, exec_lo, s31
	s_cbranch_vccnz .LBB214_757
; %bb.747:
	s_cmp_gt_i32 s29, 14
	s_cbranch_scc0 .LBB214_750
; %bb.748:
	s_cmp_eq_u32 s29, 15
	s_cbranch_scc0 .LBB214_751
; %bb.749:
	global_load_u16 v2, v[0:1], off
	s_mov_b32 s27, 0
	s_mov_b32 s30, -1
	s_wait_loadcnt 0x0
	v_and_b32_e32 v2, 0x7fff, v2
	s_delay_alu instid0(VALU_DEP_1)
	v_cmp_ne_u16_e64 s28, 0, v2
	s_branch .LBB214_752
.LBB214_750:
	s_mov_b32 s31, -1
                                        ; implicit-def: $sgpr28
	s_branch .LBB214_753
.LBB214_751:
	s_mov_b32 s27, -1
                                        ; implicit-def: $sgpr28
.LBB214_752:
	s_mov_b32 s31, 0
.LBB214_753:
	s_delay_alu instid0(SALU_CYCLE_1)
	s_and_b32 vcc_lo, exec_lo, s31
	s_cbranch_vccz .LBB214_757
; %bb.754:
	s_cmp_eq_u32 s29, 11
	s_cbranch_scc0 .LBB214_756
; %bb.755:
	global_load_u8 v2, v[0:1], off
	s_mov_b32 s27, 0
	s_mov_b32 s30, -1
	s_wait_loadcnt 0x0
	v_cmp_ne_u16_e64 s28, 0, v2
	s_branch .LBB214_757
.LBB214_756:
	s_mov_b32 s27, -1
                                        ; implicit-def: $sgpr28
.LBB214_757:
	s_mov_b32 s29, 0
.LBB214_758:
	s_delay_alu instid0(SALU_CYCLE_1)
	s_and_b32 vcc_lo, exec_lo, s29
	s_cbranch_vccz .LBB214_807
; %bb.759:
	s_and_b32 s29, 0xffff, s0
	s_delay_alu instid0(SALU_CYCLE_1)
	s_cmp_lt_i32 s29, 5
	s_cbranch_scc1 .LBB214_764
; %bb.760:
	s_cmp_lt_i32 s29, 8
	s_cbranch_scc1 .LBB214_765
; %bb.761:
	;; [unrolled: 3-line block ×3, first 2 shown]
	s_cmp_gt_i32 s29, 9
	s_cbranch_scc0 .LBB214_767
; %bb.763:
	global_load_b128 v[2:5], v[0:1], off
	s_wait_loadcnt 0x0
	v_cmp_neq_f64_e32 vcc_lo, 0, v[2:3]
	v_cmp_neq_f64_e64 s0, 0, v[4:5]
	s_or_b32 s28, vcc_lo, s0
	s_mov_b32 s0, 0
	s_branch .LBB214_768
.LBB214_764:
	s_mov_b32 s0, -1
                                        ; implicit-def: $sgpr28
	s_branch .LBB214_786
.LBB214_765:
	s_mov_b32 s0, -1
                                        ; implicit-def: $sgpr28
	s_branch .LBB214_774
.LBB214_766:
	s_mov_b32 s0, -1
                                        ; implicit-def: $sgpr28
	s_branch .LBB214_771
.LBB214_767:
	s_mov_b32 s0, -1
                                        ; implicit-def: $sgpr28
.LBB214_768:
	s_delay_alu instid0(SALU_CYCLE_1)
	s_and_not1_b32 vcc_lo, exec_lo, s0
	s_cbranch_vccnz .LBB214_770
; %bb.769:
	global_load_b64 v[2:3], v[0:1], off
	s_and_not1_b32 s0, s28, exec_lo
	s_wait_loadcnt 0x0
	v_bitop3_b32 v2, v2, 0x7fffffff, v3 bitop3:0xc8
	s_delay_alu instid0(VALU_DEP_1) | instskip(SKIP_1) | instid1(SALU_CYCLE_1)
	v_cmp_ne_u32_e32 vcc_lo, 0, v2
	s_and_b32 s28, vcc_lo, exec_lo
	s_or_b32 s28, s0, s28
.LBB214_770:
	s_mov_b32 s0, 0
.LBB214_771:
	s_delay_alu instid0(SALU_CYCLE_1)
	s_and_not1_b32 vcc_lo, exec_lo, s0
	s_cbranch_vccnz .LBB214_773
; %bb.772:
	global_load_b32 v2, v[0:1], off
	s_and_not1_b32 s0, s28, exec_lo
	s_wait_loadcnt 0x0
	v_and_b32_e32 v2, 0x7fff7fff, v2
	s_delay_alu instid0(VALU_DEP_1) | instskip(SKIP_1) | instid1(SALU_CYCLE_1)
	v_cmp_ne_u32_e32 vcc_lo, 0, v2
	s_and_b32 s28, vcc_lo, exec_lo
	s_or_b32 s28, s0, s28
.LBB214_773:
	s_mov_b32 s0, 0
.LBB214_774:
	s_delay_alu instid0(SALU_CYCLE_1)
	s_and_not1_b32 vcc_lo, exec_lo, s0
	s_cbranch_vccnz .LBB214_785
; %bb.775:
	s_cmp_lt_i32 s29, 6
	s_cbranch_scc1 .LBB214_778
; %bb.776:
	s_cmp_gt_i32 s29, 6
	s_cbranch_scc0 .LBB214_779
; %bb.777:
	global_load_b64 v[2:3], v[0:1], off
	s_mov_b32 s0, 0
	s_wait_loadcnt 0x0
	v_cmp_neq_f64_e64 s28, 0, v[2:3]
	s_branch .LBB214_780
.LBB214_778:
	s_mov_b32 s0, -1
                                        ; implicit-def: $sgpr28
	s_branch .LBB214_783
.LBB214_779:
	s_mov_b32 s0, -1
                                        ; implicit-def: $sgpr28
.LBB214_780:
	s_delay_alu instid0(SALU_CYCLE_1)
	s_and_not1_b32 vcc_lo, exec_lo, s0
	s_cbranch_vccnz .LBB214_782
; %bb.781:
	global_load_b32 v2, v[0:1], off
	s_and_not1_b32 s0, s28, exec_lo
	s_wait_loadcnt 0x0
	v_cmp_neq_f32_e32 vcc_lo, 0, v2
	s_and_b32 s28, vcc_lo, exec_lo
	s_delay_alu instid0(SALU_CYCLE_1)
	s_or_b32 s28, s0, s28
.LBB214_782:
	s_mov_b32 s0, 0
.LBB214_783:
	s_delay_alu instid0(SALU_CYCLE_1)
	s_and_not1_b32 vcc_lo, exec_lo, s0
	s_cbranch_vccnz .LBB214_785
; %bb.784:
	global_load_u16 v2, v[0:1], off
	s_and_not1_b32 s0, s28, exec_lo
	s_wait_loadcnt 0x0
	v_and_b32_e32 v2, 0x7fff, v2
	s_delay_alu instid0(VALU_DEP_1) | instskip(SKIP_1) | instid1(SALU_CYCLE_1)
	v_cmp_ne_u16_e32 vcc_lo, 0, v2
	s_and_b32 s28, vcc_lo, exec_lo
	s_or_b32 s28, s0, s28
.LBB214_785:
	s_mov_b32 s0, 0
.LBB214_786:
	s_delay_alu instid0(SALU_CYCLE_1)
	s_and_not1_b32 vcc_lo, exec_lo, s0
	s_cbranch_vccnz .LBB214_806
; %bb.787:
	s_cmp_lt_i32 s29, 2
	s_cbranch_scc1 .LBB214_791
; %bb.788:
	s_cmp_lt_i32 s29, 3
	s_cbranch_scc1 .LBB214_792
; %bb.789:
	s_cmp_gt_i32 s29, 3
	s_cbranch_scc0 .LBB214_793
; %bb.790:
	global_load_b64 v[2:3], v[0:1], off
	s_mov_b32 s0, 0
	s_wait_loadcnt 0x0
	v_cmp_ne_u64_e64 s28, 0, v[2:3]
	s_branch .LBB214_794
.LBB214_791:
	s_mov_b32 s0, -1
                                        ; implicit-def: $sgpr28
	s_branch .LBB214_800
.LBB214_792:
	s_mov_b32 s0, -1
                                        ; implicit-def: $sgpr28
	s_branch .LBB214_797
.LBB214_793:
	s_mov_b32 s0, -1
                                        ; implicit-def: $sgpr28
.LBB214_794:
	s_delay_alu instid0(SALU_CYCLE_1)
	s_and_not1_b32 vcc_lo, exec_lo, s0
	s_cbranch_vccnz .LBB214_796
; %bb.795:
	global_load_b32 v2, v[0:1], off
	s_and_not1_b32 s0, s28, exec_lo
	s_wait_loadcnt 0x0
	v_cmp_ne_u32_e32 vcc_lo, 0, v2
	s_and_b32 s28, vcc_lo, exec_lo
	s_delay_alu instid0(SALU_CYCLE_1)
	s_or_b32 s28, s0, s28
.LBB214_796:
	s_mov_b32 s0, 0
.LBB214_797:
	s_delay_alu instid0(SALU_CYCLE_1)
	s_and_not1_b32 vcc_lo, exec_lo, s0
	s_cbranch_vccnz .LBB214_799
; %bb.798:
	global_load_u16 v2, v[0:1], off
	s_and_not1_b32 s0, s28, exec_lo
	s_wait_loadcnt 0x0
	v_cmp_ne_u16_e32 vcc_lo, 0, v2
	s_and_b32 s28, vcc_lo, exec_lo
	s_delay_alu instid0(SALU_CYCLE_1)
	s_or_b32 s28, s0, s28
.LBB214_799:
	s_mov_b32 s0, 0
.LBB214_800:
	s_delay_alu instid0(SALU_CYCLE_1)
	s_and_not1_b32 vcc_lo, exec_lo, s0
	s_cbranch_vccnz .LBB214_806
; %bb.801:
	s_cmp_gt_i32 s29, 0
	s_mov_b32 s0, 0
	s_cbranch_scc0 .LBB214_803
; %bb.802:
	global_load_u8 v2, v[0:1], off
	s_wait_loadcnt 0x0
	v_cmp_ne_u16_e64 s28, 0, v2
	s_branch .LBB214_804
.LBB214_803:
	s_mov_b32 s0, -1
                                        ; implicit-def: $sgpr28
.LBB214_804:
	s_delay_alu instid0(SALU_CYCLE_1)
	s_and_not1_b32 vcc_lo, exec_lo, s0
	s_cbranch_vccnz .LBB214_806
; %bb.805:
	global_load_u8 v0, v[0:1], off
	s_and_not1_b32 s0, s28, exec_lo
	s_wait_loadcnt 0x0
	v_cmp_ne_u16_e32 vcc_lo, 0, v0
	s_and_b32 s28, vcc_lo, exec_lo
	s_delay_alu instid0(SALU_CYCLE_1)
	s_or_b32 s28, s0, s28
.LBB214_806:
	s_mov_b32 s30, -1
.LBB214_807:
	s_delay_alu instid0(SALU_CYCLE_1)
	s_and_not1_b32 vcc_lo, exec_lo, s30
	s_cbranch_vccnz .LBB214_815
; %bb.808:
	s_wait_xcnt 0x0
	v_mul_lo_u32 v0, v6, s10
	s_and_b32 s0, s1, 0xff
	s_delay_alu instid0(SALU_CYCLE_1) | instskip(NEXT) | instid1(VALU_DEP_1)
	s_cmp_lt_i32 s0, 11
	v_ashrrev_i32_e32 v1, 31, v0
	s_delay_alu instid0(VALU_DEP_1)
	v_add_nc_u64_e32 v[0:1], s[2:3], v[0:1]
	s_cbranch_scc1 .LBB214_816
; %bb.809:
	s_and_b32 s27, 0xffff, s0
	s_delay_alu instid0(SALU_CYCLE_1)
	s_cmp_gt_i32 s27, 25
	s_cbranch_scc0 .LBB214_817
; %bb.810:
	s_cmp_gt_i32 s27, 28
	s_cbranch_scc0 .LBB214_818
; %bb.811:
	;; [unrolled: 3-line block ×4, first 2 shown]
	s_cmp_eq_u32 s27, 46
	s_mov_b32 s33, 0
	s_cbranch_scc0 .LBB214_825
; %bb.814:
	global_load_b32 v2, v[0:1], off
	s_mov_b32 s29, 0
	s_mov_b32 s31, -1
	s_wait_loadcnt 0x0
	v_and_b32_e32 v2, 0x7fff7fff, v2
	s_delay_alu instid0(VALU_DEP_1)
	v_cmp_ne_u32_e64 s30, 0, v2
	s_branch .LBB214_827
.LBB214_815:
	s_mov_b32 s31, 0
	s_mov_b32 s0, s23
	;; [unrolled: 1-line block ×3, first 2 shown]
                                        ; implicit-def: $vgpr6
	s_branch .LBB214_1046
.LBB214_816:
	s_mov_b32 s27, -1
	s_mov_b32 s31, 0
	s_mov_b32 s29, s24
                                        ; implicit-def: $sgpr30
	s_branch .LBB214_874
.LBB214_817:
	s_mov_b32 s33, -1
	s_mov_b32 s31, 0
	s_mov_b32 s29, s24
                                        ; implicit-def: $sgpr30
	s_branch .LBB214_848
.LBB214_818:
	s_mov_b32 s33, -1
	s_mov_b32 s31, 0
	s_mov_b32 s29, s24
                                        ; implicit-def: $sgpr30
	s_branch .LBB214_835
.LBB214_819:
	s_mov_b32 s33, -1
	s_mov_b32 s31, 0
	s_mov_b32 s29, s24
                                        ; implicit-def: $sgpr30
	s_branch .LBB214_830
.LBB214_820:
	s_mov_b32 s33, -1
	s_mov_b32 s31, 0
	s_mov_b32 s29, s24
	s_branch .LBB214_826
.LBB214_821:
	v_bfe_u32 v2, v3, 21, 1
	s_mov_b32 s25, exec_lo
	s_delay_alu instid0(VALU_DEP_1) | instskip(NEXT) | instid1(VALU_DEP_1)
	v_add3_u32 v2, v3, v2, 0x88fffff
                                        ; implicit-def: $vgpr3
	v_lshrrev_b32_e32 v2, 21, v2
	s_and_not1_saveexec_b32 s26, s26
	s_cbranch_execz .LBB214_266
.LBB214_822:
	v_add_f32_e32 v2, 0x42800000, v3
	s_and_not1_b32 s25, s25, exec_lo
	s_delay_alu instid0(VALU_DEP_1) | instskip(NEXT) | instid1(VALU_DEP_1)
	v_and_b32_e32 v2, 0xff, v2
	v_cmp_ne_u32_e32 vcc_lo, 0, v2
	s_and_b32 s27, vcc_lo, exec_lo
	s_delay_alu instid0(SALU_CYCLE_1)
	s_or_b32 s25, s25, s27
	s_or_b32 exec_lo, exec_lo, s26
	v_mov_b32_e32 v4, 0
	s_and_saveexec_b32 s26, s25
	s_cbranch_execnz .LBB214_267
	s_branch .LBB214_268
.LBB214_823:
	v_bfe_u32 v2, v3, 20, 1
	s_mov_b32 s28, exec_lo
	s_delay_alu instid0(VALU_DEP_1) | instskip(NEXT) | instid1(VALU_DEP_1)
	v_add3_u32 v2, v3, v2, 0x487ffff
                                        ; implicit-def: $vgpr3
	v_lshrrev_b32_e32 v2, 20, v2
	s_and_not1_saveexec_b32 s29, s29
	s_cbranch_execz .LBB214_605
.LBB214_824:
	v_add_f32_e32 v2, 0x46000000, v3
	s_and_not1_b32 s28, s28, exec_lo
	s_delay_alu instid0(VALU_DEP_1) | instskip(NEXT) | instid1(VALU_DEP_1)
	v_and_b32_e32 v2, 0xff, v2
	v_cmp_ne_u32_e32 vcc_lo, 0, v2
	s_and_b32 s30, vcc_lo, exec_lo
	s_delay_alu instid0(SALU_CYCLE_1)
	s_or_b32 s28, s28, s30
	s_or_b32 exec_lo, exec_lo, s29
	v_mov_b32_e32 v4, 0
	s_and_saveexec_b32 s29, s28
	s_cbranch_execnz .LBB214_606
	s_branch .LBB214_607
.LBB214_825:
	s_mov_b32 s29, -1
	s_mov_b32 s31, 0
.LBB214_826:
                                        ; implicit-def: $sgpr30
.LBB214_827:
	s_and_b32 vcc_lo, exec_lo, s33
	s_cbranch_vccz .LBB214_829
; %bb.828:
	s_cmp_eq_u32 s27, 44
	s_cselect_b32 s31, -1, 0
	s_or_b32 s30, s30, exec_lo
	s_or_b32 s29, s29, exec_lo
.LBB214_829:
	s_mov_b32 s33, 0
.LBB214_830:
	s_delay_alu instid0(SALU_CYCLE_1)
	s_and_b32 vcc_lo, exec_lo, s33
	s_cbranch_vccz .LBB214_834
; %bb.831:
	s_cmp_eq_u32 s27, 29
	s_cbranch_scc0 .LBB214_833
; %bb.832:
	global_load_b64 v[2:3], v[0:1], off
	s_mov_b32 s31, -1
	s_mov_b32 s29, 0
	s_mov_b32 s33, 0
	s_wait_loadcnt 0x0
	v_cmp_ne_u64_e64 s30, 0, v[2:3]
	s_branch .LBB214_835
.LBB214_833:
	s_mov_b32 s29, -1
                                        ; implicit-def: $sgpr30
.LBB214_834:
	s_mov_b32 s33, 0
.LBB214_835:
	s_delay_alu instid0(SALU_CYCLE_1)
	s_and_b32 vcc_lo, exec_lo, s33
	s_cbranch_vccz .LBB214_847
; %bb.836:
	s_cmp_lt_i32 s27, 27
	s_cbranch_scc1 .LBB214_839
; %bb.837:
	s_cmp_gt_i32 s27, 27
	s_cbranch_scc0 .LBB214_840
; %bb.838:
	global_load_b32 v2, v[0:1], off
	s_mov_b32 s31, 0
	s_wait_loadcnt 0x0
	v_cmp_ne_u32_e64 s30, 0, v2
	s_branch .LBB214_841
.LBB214_839:
	s_mov_b32 s31, -1
                                        ; implicit-def: $sgpr30
	s_branch .LBB214_844
.LBB214_840:
	s_mov_b32 s31, -1
                                        ; implicit-def: $sgpr30
.LBB214_841:
	s_delay_alu instid0(SALU_CYCLE_1)
	s_and_not1_b32 vcc_lo, exec_lo, s31
	s_cbranch_vccnz .LBB214_843
; %bb.842:
	global_load_u16 v2, v[0:1], off
	s_and_not1_b32 s30, s30, exec_lo
	s_wait_loadcnt 0x0
	v_cmp_ne_u16_e32 vcc_lo, 0, v2
	s_and_b32 s31, vcc_lo, exec_lo
	s_delay_alu instid0(SALU_CYCLE_1)
	s_or_b32 s30, s30, s31
.LBB214_843:
	s_mov_b32 s31, 0
.LBB214_844:
	s_delay_alu instid0(SALU_CYCLE_1)
	s_and_not1_b32 vcc_lo, exec_lo, s31
	s_cbranch_vccnz .LBB214_846
; %bb.845:
	global_load_u8 v2, v[0:1], off
	s_and_not1_b32 s30, s30, exec_lo
	s_wait_loadcnt 0x0
	v_cmp_ne_u16_e32 vcc_lo, 0, v2
	s_and_b32 s31, vcc_lo, exec_lo
	s_delay_alu instid0(SALU_CYCLE_1)
	s_or_b32 s30, s30, s31
.LBB214_846:
	s_mov_b32 s31, -1
.LBB214_847:
	s_mov_b32 s33, 0
.LBB214_848:
	s_delay_alu instid0(SALU_CYCLE_1)
	s_and_b32 vcc_lo, exec_lo, s33
	s_cbranch_vccz .LBB214_873
; %bb.849:
	s_cmp_gt_i32 s27, 22
	s_cbranch_scc0 .LBB214_853
; %bb.850:
	s_cmp_lt_i32 s27, 24
	s_cbranch_scc1 .LBB214_854
; %bb.851:
	s_cmp_gt_i32 s27, 24
	s_cbranch_scc0 .LBB214_855
; %bb.852:
	global_load_u8 v2, v[0:1], off
	s_mov_b32 s31, 0
	s_wait_loadcnt 0x0
	v_cmp_ne_u16_e64 s30, 0, v2
	s_branch .LBB214_856
.LBB214_853:
	s_mov_b32 s33, -1
                                        ; implicit-def: $sgpr30
	s_branch .LBB214_862
.LBB214_854:
	s_mov_b32 s31, -1
                                        ; implicit-def: $sgpr30
	s_branch .LBB214_859
.LBB214_855:
	s_mov_b32 s31, -1
                                        ; implicit-def: $sgpr30
.LBB214_856:
	s_delay_alu instid0(SALU_CYCLE_1)
	s_and_not1_b32 vcc_lo, exec_lo, s31
	s_cbranch_vccnz .LBB214_858
; %bb.857:
	global_load_u8 v2, v[0:1], off
	s_and_not1_b32 s30, s30, exec_lo
	s_wait_loadcnt 0x0
	v_and_b32_e32 v2, 0x7f, v2
	s_delay_alu instid0(VALU_DEP_1) | instskip(SKIP_1) | instid1(SALU_CYCLE_1)
	v_cmp_ne_u16_e32 vcc_lo, 0, v2
	s_and_b32 s31, vcc_lo, exec_lo
	s_or_b32 s30, s30, s31
.LBB214_858:
	s_mov_b32 s31, 0
.LBB214_859:
	s_delay_alu instid0(SALU_CYCLE_1)
	s_and_not1_b32 vcc_lo, exec_lo, s31
	s_cbranch_vccnz .LBB214_861
; %bb.860:
	global_load_u8 v2, v[0:1], off
	s_and_not1_b32 s30, s30, exec_lo
	s_wait_loadcnt 0x0
	v_dual_lshlrev_b32 v3, 25, v2 :: v_dual_lshlrev_b32 v2, 8, v2
	s_delay_alu instid0(VALU_DEP_1) | instskip(NEXT) | instid1(VALU_DEP_2)
	v_cmp_gt_u32_e32 vcc_lo, 0x8000000, v3
	v_and_or_b32 v2, 0x7f00, v2, 0.5
	s_delay_alu instid0(VALU_DEP_1) | instskip(NEXT) | instid1(VALU_DEP_1)
	v_dual_lshrrev_b32 v4, 4, v3 :: v_dual_add_f32 v2, -0.5, v2
	v_or_b32_e32 v4, 0x70000000, v4
	s_delay_alu instid0(VALU_DEP_1) | instskip(NEXT) | instid1(VALU_DEP_1)
	v_mul_f32_e32 v4, 0x7800000, v4
	v_cndmask_b32_e32 v2, v4, v2, vcc_lo
	s_delay_alu instid0(VALU_DEP_1) | instskip(SKIP_1) | instid1(SALU_CYCLE_1)
	v_cmp_neq_f32_e32 vcc_lo, 0, v2
	s_and_b32 s31, vcc_lo, exec_lo
	s_or_b32 s30, s30, s31
.LBB214_861:
	s_mov_b32 s33, 0
	s_mov_b32 s31, -1
.LBB214_862:
	s_and_not1_b32 vcc_lo, exec_lo, s33
	s_cbranch_vccnz .LBB214_873
; %bb.863:
	s_cmp_gt_i32 s27, 14
	s_cbranch_scc0 .LBB214_866
; %bb.864:
	s_cmp_eq_u32 s27, 15
	s_cbranch_scc0 .LBB214_867
; %bb.865:
	global_load_u16 v2, v[0:1], off
	s_mov_b32 s29, 0
	s_mov_b32 s31, -1
	s_wait_loadcnt 0x0
	v_and_b32_e32 v2, 0x7fff, v2
	s_delay_alu instid0(VALU_DEP_1)
	v_cmp_ne_u16_e64 s30, 0, v2
	s_branch .LBB214_868
.LBB214_866:
	s_mov_b32 s33, -1
                                        ; implicit-def: $sgpr30
	s_branch .LBB214_869
.LBB214_867:
	s_mov_b32 s29, -1
                                        ; implicit-def: $sgpr30
.LBB214_868:
	s_mov_b32 s33, 0
.LBB214_869:
	s_delay_alu instid0(SALU_CYCLE_1)
	s_and_b32 vcc_lo, exec_lo, s33
	s_cbranch_vccz .LBB214_873
; %bb.870:
	s_cmp_eq_u32 s27, 11
	s_cbranch_scc0 .LBB214_872
; %bb.871:
	global_load_u8 v2, v[0:1], off
	s_mov_b32 s29, 0
	s_mov_b32 s31, -1
	s_wait_loadcnt 0x0
	v_cmp_ne_u16_e64 s30, 0, v2
	s_branch .LBB214_873
.LBB214_872:
	s_mov_b32 s29, -1
                                        ; implicit-def: $sgpr30
.LBB214_873:
	s_mov_b32 s27, 0
.LBB214_874:
	s_delay_alu instid0(SALU_CYCLE_1)
	s_and_b32 vcc_lo, exec_lo, s27
	s_cbranch_vccz .LBB214_923
; %bb.875:
	s_and_b32 s27, 0xffff, s0
	s_delay_alu instid0(SALU_CYCLE_1)
	s_cmp_lt_i32 s27, 5
	s_cbranch_scc1 .LBB214_880
; %bb.876:
	s_cmp_lt_i32 s27, 8
	s_cbranch_scc1 .LBB214_881
; %bb.877:
	;; [unrolled: 3-line block ×3, first 2 shown]
	s_cmp_gt_i32 s27, 9
	s_cbranch_scc0 .LBB214_883
; %bb.879:
	global_load_b128 v[2:5], v[0:1], off
	s_wait_loadcnt 0x0
	v_cmp_neq_f64_e32 vcc_lo, 0, v[2:3]
	v_cmp_neq_f64_e64 s0, 0, v[4:5]
	s_or_b32 s30, vcc_lo, s0
	s_mov_b32 s0, 0
	s_branch .LBB214_884
.LBB214_880:
	s_mov_b32 s0, -1
                                        ; implicit-def: $sgpr30
	s_branch .LBB214_902
.LBB214_881:
	s_mov_b32 s0, -1
                                        ; implicit-def: $sgpr30
	s_branch .LBB214_890
.LBB214_882:
	s_mov_b32 s0, -1
                                        ; implicit-def: $sgpr30
	s_branch .LBB214_887
.LBB214_883:
	s_mov_b32 s0, -1
                                        ; implicit-def: $sgpr30
.LBB214_884:
	s_delay_alu instid0(SALU_CYCLE_1)
	s_and_not1_b32 vcc_lo, exec_lo, s0
	s_cbranch_vccnz .LBB214_886
; %bb.885:
	global_load_b64 v[2:3], v[0:1], off
	s_and_not1_b32 s0, s30, exec_lo
	s_wait_loadcnt 0x0
	v_bitop3_b32 v2, v2, 0x7fffffff, v3 bitop3:0xc8
	s_delay_alu instid0(VALU_DEP_1) | instskip(SKIP_1) | instid1(SALU_CYCLE_1)
	v_cmp_ne_u32_e32 vcc_lo, 0, v2
	s_and_b32 s30, vcc_lo, exec_lo
	s_or_b32 s30, s0, s30
.LBB214_886:
	s_mov_b32 s0, 0
.LBB214_887:
	s_delay_alu instid0(SALU_CYCLE_1)
	s_and_not1_b32 vcc_lo, exec_lo, s0
	s_cbranch_vccnz .LBB214_889
; %bb.888:
	global_load_b32 v2, v[0:1], off
	s_and_not1_b32 s0, s30, exec_lo
	s_wait_loadcnt 0x0
	v_and_b32_e32 v2, 0x7fff7fff, v2
	s_delay_alu instid0(VALU_DEP_1) | instskip(SKIP_1) | instid1(SALU_CYCLE_1)
	v_cmp_ne_u32_e32 vcc_lo, 0, v2
	s_and_b32 s30, vcc_lo, exec_lo
	s_or_b32 s30, s0, s30
.LBB214_889:
	s_mov_b32 s0, 0
.LBB214_890:
	s_delay_alu instid0(SALU_CYCLE_1)
	s_and_not1_b32 vcc_lo, exec_lo, s0
	s_cbranch_vccnz .LBB214_901
; %bb.891:
	s_cmp_lt_i32 s27, 6
	s_cbranch_scc1 .LBB214_894
; %bb.892:
	s_cmp_gt_i32 s27, 6
	s_cbranch_scc0 .LBB214_895
; %bb.893:
	global_load_b64 v[2:3], v[0:1], off
	s_mov_b32 s0, 0
	s_wait_loadcnt 0x0
	v_cmp_neq_f64_e64 s30, 0, v[2:3]
	s_branch .LBB214_896
.LBB214_894:
	s_mov_b32 s0, -1
                                        ; implicit-def: $sgpr30
	s_branch .LBB214_899
.LBB214_895:
	s_mov_b32 s0, -1
                                        ; implicit-def: $sgpr30
.LBB214_896:
	s_delay_alu instid0(SALU_CYCLE_1)
	s_and_not1_b32 vcc_lo, exec_lo, s0
	s_cbranch_vccnz .LBB214_898
; %bb.897:
	global_load_b32 v2, v[0:1], off
	s_and_not1_b32 s0, s30, exec_lo
	s_wait_loadcnt 0x0
	v_cmp_neq_f32_e32 vcc_lo, 0, v2
	s_and_b32 s30, vcc_lo, exec_lo
	s_delay_alu instid0(SALU_CYCLE_1)
	s_or_b32 s30, s0, s30
.LBB214_898:
	s_mov_b32 s0, 0
.LBB214_899:
	s_delay_alu instid0(SALU_CYCLE_1)
	s_and_not1_b32 vcc_lo, exec_lo, s0
	s_cbranch_vccnz .LBB214_901
; %bb.900:
	global_load_u16 v2, v[0:1], off
	s_and_not1_b32 s0, s30, exec_lo
	s_wait_loadcnt 0x0
	v_and_b32_e32 v2, 0x7fff, v2
	s_delay_alu instid0(VALU_DEP_1) | instskip(SKIP_1) | instid1(SALU_CYCLE_1)
	v_cmp_ne_u16_e32 vcc_lo, 0, v2
	s_and_b32 s30, vcc_lo, exec_lo
	s_or_b32 s30, s0, s30
.LBB214_901:
	s_mov_b32 s0, 0
.LBB214_902:
	s_delay_alu instid0(SALU_CYCLE_1)
	s_and_not1_b32 vcc_lo, exec_lo, s0
	s_cbranch_vccnz .LBB214_922
; %bb.903:
	s_cmp_lt_i32 s27, 2
	s_cbranch_scc1 .LBB214_907
; %bb.904:
	s_cmp_lt_i32 s27, 3
	s_cbranch_scc1 .LBB214_908
; %bb.905:
	s_cmp_gt_i32 s27, 3
	s_cbranch_scc0 .LBB214_909
; %bb.906:
	global_load_b64 v[2:3], v[0:1], off
	s_mov_b32 s0, 0
	s_wait_loadcnt 0x0
	v_cmp_ne_u64_e64 s30, 0, v[2:3]
	s_branch .LBB214_910
.LBB214_907:
	s_mov_b32 s0, -1
                                        ; implicit-def: $sgpr30
	s_branch .LBB214_916
.LBB214_908:
	s_mov_b32 s0, -1
                                        ; implicit-def: $sgpr30
	s_branch .LBB214_913
.LBB214_909:
	s_mov_b32 s0, -1
                                        ; implicit-def: $sgpr30
.LBB214_910:
	s_delay_alu instid0(SALU_CYCLE_1)
	s_and_not1_b32 vcc_lo, exec_lo, s0
	s_cbranch_vccnz .LBB214_912
; %bb.911:
	global_load_b32 v2, v[0:1], off
	s_and_not1_b32 s0, s30, exec_lo
	s_wait_loadcnt 0x0
	v_cmp_ne_u32_e32 vcc_lo, 0, v2
	s_and_b32 s30, vcc_lo, exec_lo
	s_delay_alu instid0(SALU_CYCLE_1)
	s_or_b32 s30, s0, s30
.LBB214_912:
	s_mov_b32 s0, 0
.LBB214_913:
	s_delay_alu instid0(SALU_CYCLE_1)
	s_and_not1_b32 vcc_lo, exec_lo, s0
	s_cbranch_vccnz .LBB214_915
; %bb.914:
	global_load_u16 v2, v[0:1], off
	s_and_not1_b32 s0, s30, exec_lo
	s_wait_loadcnt 0x0
	v_cmp_ne_u16_e32 vcc_lo, 0, v2
	s_and_b32 s30, vcc_lo, exec_lo
	s_delay_alu instid0(SALU_CYCLE_1)
	s_or_b32 s30, s0, s30
.LBB214_915:
	s_mov_b32 s0, 0
.LBB214_916:
	s_delay_alu instid0(SALU_CYCLE_1)
	s_and_not1_b32 vcc_lo, exec_lo, s0
	s_cbranch_vccnz .LBB214_922
; %bb.917:
	s_cmp_gt_i32 s27, 0
	s_mov_b32 s0, 0
	s_cbranch_scc0 .LBB214_919
; %bb.918:
	global_load_u8 v2, v[0:1], off
	s_wait_loadcnt 0x0
	v_cmp_ne_u16_e64 s30, 0, v2
	s_branch .LBB214_920
.LBB214_919:
	s_mov_b32 s0, -1
                                        ; implicit-def: $sgpr30
.LBB214_920:
	s_delay_alu instid0(SALU_CYCLE_1)
	s_and_not1_b32 vcc_lo, exec_lo, s0
	s_cbranch_vccnz .LBB214_922
; %bb.921:
	global_load_u8 v0, v[0:1], off
	s_and_not1_b32 s0, s30, exec_lo
	s_wait_loadcnt 0x0
	v_cmp_ne_u16_e32 vcc_lo, 0, v0
	s_and_b32 s27, vcc_lo, exec_lo
	s_delay_alu instid0(SALU_CYCLE_1)
	s_or_b32 s30, s0, s27
.LBB214_922:
	s_mov_b32 s31, -1
.LBB214_923:
	s_mov_b32 s27, 0
	s_and_not1_b32 vcc_lo, exec_lo, s31
	s_mov_b32 s0, s23
	s_mov_b32 s31, 0
	s_cbranch_vccnz .LBB214_1046
; %bb.924:
	s_wait_xcnt 0x0
	v_mul_lo_u32 v0, v6, s8
	s_delay_alu instid0(VALU_DEP_2) | instskip(SKIP_3) | instid1(VALU_DEP_1)
	s_xor_b32 s0, s28, s30
	s_and_b32 s29, s12, 0xff
	s_xor_b32 s28, s16, s0
	s_cmp_lt_i32 s29, 11
	v_ashrrev_i32_e32 v1, 31, v0
	s_delay_alu instid0(VALU_DEP_1)
	v_add_nc_u64_e32 v[0:1], s[4:5], v[0:1]
	s_cbranch_scc1 .LBB214_931
; %bb.925:
	s_and_b32 s30, 0xffff, s29
	s_delay_alu instid0(SALU_CYCLE_1)
	s_cmp_gt_i32 s30, 25
	s_cbranch_scc0 .LBB214_932
; %bb.926:
	s_cmp_gt_i32 s30, 28
	s_cbranch_scc0 .LBB214_933
; %bb.927:
	;; [unrolled: 3-line block ×4, first 2 shown]
	s_mov_b32 s33, 0
	s_mov_b32 s0, -1
	s_cmp_eq_u32 s30, 46
	s_cbranch_scc0 .LBB214_936
; %bb.930:
	v_cndmask_b32_e64 v2, 0, 1.0, s28
	s_mov_b32 s31, -1
	s_mov_b32 s0, 0
	s_delay_alu instid0(VALU_DEP_1) | instskip(NEXT) | instid1(VALU_DEP_1)
	v_bfe_u32 v3, v2, 16, 1
	v_add3_u32 v2, v2, v3, 0x7fff
	s_delay_alu instid0(VALU_DEP_1)
	v_lshrrev_b32_e32 v2, 16, v2
	global_store_b32 v[0:1], v2, off
	s_branch .LBB214_936
.LBB214_931:
	s_mov_b32 s30, -1
	s_mov_b32 s0, s23
	s_branch .LBB214_1005
.LBB214_932:
	s_mov_b32 s33, -1
	s_mov_b32 s0, s23
	s_branch .LBB214_963
.LBB214_933:
	s_mov_b32 s33, -1
	s_mov_b32 s0, s23
	s_branch .LBB214_946
.LBB214_934:
	s_mov_b32 s33, -1
	s_mov_b32 s0, s23
	s_branch .LBB214_942
.LBB214_935:
	s_mov_b32 s33, -1
	s_mov_b32 s0, s23
.LBB214_936:
	s_and_b32 vcc_lo, exec_lo, s33
	s_cbranch_vccz .LBB214_941
; %bb.937:
	s_cmp_eq_u32 s30, 44
	s_mov_b32 s0, -1
	s_cbranch_scc0 .LBB214_941
; %bb.938:
	v_cndmask_b32_e64 v4, 0, 1.0, s28
	s_mov_b32 s31, exec_lo
	s_wait_xcnt 0x0
	s_delay_alu instid0(VALU_DEP_1) | instskip(NEXT) | instid1(VALU_DEP_1)
	v_dual_mov_b32 v3, 0xff :: v_dual_lshrrev_b32 v2, 23, v4
	v_cmpx_ne_u32_e32 0xff, v2
; %bb.939:
	v_and_b32_e32 v3, 0x400000, v4
	v_and_or_b32 v4, 0x3fffff, v4, v2
	s_delay_alu instid0(VALU_DEP_2) | instskip(NEXT) | instid1(VALU_DEP_2)
	v_cmp_ne_u32_e32 vcc_lo, 0, v3
	v_cmp_ne_u32_e64 s0, 0, v4
	s_and_b32 s0, vcc_lo, s0
	s_delay_alu instid0(SALU_CYCLE_1) | instskip(NEXT) | instid1(VALU_DEP_1)
	v_cndmask_b32_e64 v3, 0, 1, s0
	v_add_nc_u32_e32 v3, v2, v3
; %bb.940:
	s_or_b32 exec_lo, exec_lo, s31
	s_mov_b32 s31, -1
	s_mov_b32 s0, 0
	global_store_b8 v[0:1], v3, off
.LBB214_941:
	s_mov_b32 s33, 0
.LBB214_942:
	s_delay_alu instid0(SALU_CYCLE_1)
	s_and_b32 vcc_lo, exec_lo, s33
	s_cbranch_vccz .LBB214_945
; %bb.943:
	s_cmp_eq_u32 s30, 29
	s_mov_b32 s0, -1
	s_cbranch_scc0 .LBB214_945
; %bb.944:
	s_mov_b32 s0, 0
	s_wait_xcnt 0x0
	v_cndmask_b32_e64 v2, 0, 1, s28
	v_mov_b32_e32 v3, s0
	s_mov_b32 s31, -1
	s_mov_b32 s33, 0
	global_store_b64 v[0:1], v[2:3], off
	s_branch .LBB214_946
.LBB214_945:
	s_mov_b32 s33, 0
.LBB214_946:
	s_delay_alu instid0(SALU_CYCLE_1)
	s_and_b32 vcc_lo, exec_lo, s33
	s_cbranch_vccz .LBB214_962
; %bb.947:
	s_cmp_lt_i32 s30, 27
	s_mov_b32 s31, -1
	s_cbranch_scc1 .LBB214_953
; %bb.948:
	s_cmp_gt_i32 s30, 27
	s_cbranch_scc0 .LBB214_950
; %bb.949:
	s_wait_xcnt 0x0
	v_cndmask_b32_e64 v2, 0, 1, s28
	s_mov_b32 s31, 0
	global_store_b32 v[0:1], v2, off
.LBB214_950:
	s_and_not1_b32 vcc_lo, exec_lo, s31
	s_cbranch_vccnz .LBB214_952
; %bb.951:
	s_wait_xcnt 0x0
	v_cndmask_b32_e64 v2, 0, 1, s28
	global_store_b16 v[0:1], v2, off
.LBB214_952:
	s_mov_b32 s31, 0
.LBB214_953:
	s_delay_alu instid0(SALU_CYCLE_1)
	s_and_not1_b32 vcc_lo, exec_lo, s31
	s_cbranch_vccnz .LBB214_961
; %bb.954:
	s_wait_xcnt 0x0
	v_cndmask_b32_e64 v3, 0, 1.0, s28
	v_mov_b32_e32 v4, 0x80
	s_mov_b32 s31, exec_lo
	s_delay_alu instid0(VALU_DEP_2)
	v_cmpx_gt_u32_e32 0x43800000, v3
	s_cbranch_execz .LBB214_960
; %bb.955:
	s_mov_b32 s33, 0
	s_mov_b32 s34, exec_lo
                                        ; implicit-def: $vgpr2
	v_cmpx_lt_u32_e32 0x3bffffff, v3
	s_xor_b32 s34, exec_lo, s34
	s_cbranch_execnz .LBB214_1963
; %bb.956:
	s_and_not1_saveexec_b32 s34, s34
	s_cbranch_execnz .LBB214_1964
.LBB214_957:
	s_or_b32 exec_lo, exec_lo, s34
	v_mov_b32_e32 v4, 0
	s_and_saveexec_b32 s34, s33
.LBB214_958:
	v_mov_b32_e32 v4, v2
.LBB214_959:
	s_or_b32 exec_lo, exec_lo, s34
.LBB214_960:
	s_delay_alu instid0(SALU_CYCLE_1)
	s_or_b32 exec_lo, exec_lo, s31
	global_store_b8 v[0:1], v4, off
.LBB214_961:
	s_mov_b32 s31, -1
.LBB214_962:
	s_mov_b32 s33, 0
.LBB214_963:
	s_delay_alu instid0(SALU_CYCLE_1)
	s_and_b32 vcc_lo, exec_lo, s33
	s_cbranch_vccz .LBB214_1004
; %bb.964:
	s_cmp_gt_i32 s30, 22
	s_mov_b32 s33, -1
	s_cbranch_scc0 .LBB214_996
; %bb.965:
	s_cmp_lt_i32 s30, 24
	s_mov_b32 s31, -1
	s_cbranch_scc1 .LBB214_985
; %bb.966:
	s_cmp_gt_i32 s30, 24
	s_cbranch_scc0 .LBB214_974
; %bb.967:
	s_wait_xcnt 0x0
	v_cndmask_b32_e64 v3, 0, 1.0, s28
	v_mov_b32_e32 v4, 0x80
	s_mov_b32 s31, exec_lo
	s_delay_alu instid0(VALU_DEP_2)
	v_cmpx_gt_u32_e32 0x47800000, v3
	s_cbranch_execz .LBB214_973
; %bb.968:
	s_mov_b32 s33, 0
	s_mov_b32 s34, exec_lo
                                        ; implicit-def: $vgpr2
	v_cmpx_lt_u32_e32 0x37ffffff, v3
	s_xor_b32 s34, exec_lo, s34
	s_cbranch_execnz .LBB214_2078
; %bb.969:
	s_and_not1_saveexec_b32 s34, s34
	s_cbranch_execnz .LBB214_2079
.LBB214_970:
	s_or_b32 exec_lo, exec_lo, s34
	v_mov_b32_e32 v4, 0
	s_and_saveexec_b32 s34, s33
.LBB214_971:
	v_mov_b32_e32 v4, v2
.LBB214_972:
	s_or_b32 exec_lo, exec_lo, s34
.LBB214_973:
	s_delay_alu instid0(SALU_CYCLE_1)
	s_or_b32 exec_lo, exec_lo, s31
	s_mov_b32 s31, 0
	global_store_b8 v[0:1], v4, off
.LBB214_974:
	s_and_b32 vcc_lo, exec_lo, s31
	s_cbranch_vccz .LBB214_984
; %bb.975:
	s_wait_xcnt 0x0
	v_cndmask_b32_e64 v3, 0, 1.0, s28
	s_mov_b32 s31, exec_lo
                                        ; implicit-def: $vgpr2
	s_delay_alu instid0(VALU_DEP_1)
	v_cmpx_gt_u32_e32 0x43f00000, v3
	s_xor_b32 s31, exec_lo, s31
	s_cbranch_execz .LBB214_981
; %bb.976:
	s_mov_b32 s33, exec_lo
                                        ; implicit-def: $vgpr2
	v_cmpx_lt_u32_e32 0x3c7fffff, v3
	s_xor_b32 s33, exec_lo, s33
; %bb.977:
	v_bfe_u32 v2, v3, 20, 1
	s_delay_alu instid0(VALU_DEP_1) | instskip(NEXT) | instid1(VALU_DEP_1)
	v_add3_u32 v2, v3, v2, 0x407ffff
	v_and_b32_e32 v3, 0xff00000, v2
	v_lshrrev_b32_e32 v2, 20, v2
	s_delay_alu instid0(VALU_DEP_2) | instskip(NEXT) | instid1(VALU_DEP_2)
	v_cmp_ne_u32_e32 vcc_lo, 0x7f00000, v3
                                        ; implicit-def: $vgpr3
	v_cndmask_b32_e32 v2, 0x7e, v2, vcc_lo
; %bb.978:
	s_and_not1_saveexec_b32 s33, s33
; %bb.979:
	v_add_f32_e32 v2, 0x46800000, v3
; %bb.980:
	s_or_b32 exec_lo, exec_lo, s33
                                        ; implicit-def: $vgpr3
.LBB214_981:
	s_and_not1_saveexec_b32 s31, s31
; %bb.982:
	v_mov_b32_e32 v2, 0x7f
	v_cmp_lt_u32_e32 vcc_lo, 0x7f800000, v3
	s_delay_alu instid0(VALU_DEP_2)
	v_cndmask_b32_e32 v2, 0x7e, v2, vcc_lo
; %bb.983:
	s_or_b32 exec_lo, exec_lo, s31
	global_store_b8 v[0:1], v2, off
.LBB214_984:
	s_mov_b32 s31, 0
.LBB214_985:
	s_delay_alu instid0(SALU_CYCLE_1)
	s_and_not1_b32 vcc_lo, exec_lo, s31
	s_cbranch_vccnz .LBB214_995
; %bb.986:
	s_wait_xcnt 0x0
	v_cndmask_b32_e64 v3, 0, 1.0, s28
	s_mov_b32 s31, exec_lo
                                        ; implicit-def: $vgpr2
	s_delay_alu instid0(VALU_DEP_1)
	v_cmpx_gt_u32_e32 0x47800000, v3
	s_xor_b32 s31, exec_lo, s31
	s_cbranch_execz .LBB214_992
; %bb.987:
	s_mov_b32 s33, exec_lo
                                        ; implicit-def: $vgpr2
	v_cmpx_lt_u32_e32 0x387fffff, v3
	s_xor_b32 s33, exec_lo, s33
; %bb.988:
	v_bfe_u32 v2, v3, 21, 1
	s_delay_alu instid0(VALU_DEP_1) | instskip(NEXT) | instid1(VALU_DEP_1)
	v_add3_u32 v2, v3, v2, 0x80fffff
                                        ; implicit-def: $vgpr3
	v_lshrrev_b32_e32 v2, 21, v2
; %bb.989:
	s_and_not1_saveexec_b32 s33, s33
; %bb.990:
	v_add_f32_e32 v2, 0x43000000, v3
; %bb.991:
	s_or_b32 exec_lo, exec_lo, s33
                                        ; implicit-def: $vgpr3
.LBB214_992:
	s_and_not1_saveexec_b32 s31, s31
; %bb.993:
	v_mov_b32_e32 v2, 0x7f
	v_cmp_lt_u32_e32 vcc_lo, 0x7f800000, v3
	s_delay_alu instid0(VALU_DEP_2)
	v_cndmask_b32_e32 v2, 0x7c, v2, vcc_lo
; %bb.994:
	s_or_b32 exec_lo, exec_lo, s31
	global_store_b8 v[0:1], v2, off
.LBB214_995:
	s_mov_b32 s33, 0
	s_mov_b32 s31, -1
.LBB214_996:
	s_and_not1_b32 vcc_lo, exec_lo, s33
	s_cbranch_vccnz .LBB214_1004
; %bb.997:
	s_cmp_gt_i32 s30, 14
	s_mov_b32 s33, -1
	s_cbranch_scc0 .LBB214_1001
; %bb.998:
	s_cmp_eq_u32 s30, 15
	s_mov_b32 s0, -1
	s_cbranch_scc0 .LBB214_1000
; %bb.999:
	s_wait_xcnt 0x0
	v_cndmask_b32_e64 v2, 0, 1.0, s28
	s_mov_b32 s31, -1
	s_mov_b32 s0, 0
	s_delay_alu instid0(VALU_DEP_1) | instskip(NEXT) | instid1(VALU_DEP_1)
	v_bfe_u32 v3, v2, 16, 1
	v_add3_u32 v2, v2, v3, 0x7fff
	global_store_d16_hi_b16 v[0:1], v2, off
.LBB214_1000:
	s_mov_b32 s33, 0
.LBB214_1001:
	s_delay_alu instid0(SALU_CYCLE_1)
	s_and_b32 vcc_lo, exec_lo, s33
	s_cbranch_vccz .LBB214_1004
; %bb.1002:
	s_cmp_eq_u32 s30, 11
	s_mov_b32 s0, -1
	s_cbranch_scc0 .LBB214_1004
; %bb.1003:
	s_wait_xcnt 0x0
	v_cndmask_b32_e64 v2, 0, 1, s28
	s_mov_b32 s31, -1
	s_mov_b32 s0, 0
	global_store_b8 v[0:1], v2, off
.LBB214_1004:
	s_mov_b32 s30, 0
.LBB214_1005:
	s_delay_alu instid0(SALU_CYCLE_1)
	s_and_b32 vcc_lo, exec_lo, s30
	s_cbranch_vccz .LBB214_1044
; %bb.1006:
	s_and_b32 s29, 0xffff, s29
	s_mov_b32 s30, -1
	s_cmp_lt_i32 s29, 5
	s_cbranch_scc1 .LBB214_1027
; %bb.1007:
	s_cmp_lt_i32 s29, 8
	s_cbranch_scc1 .LBB214_1017
; %bb.1008:
	;; [unrolled: 3-line block ×3, first 2 shown]
	s_cmp_gt_i32 s29, 9
	s_cbranch_scc0 .LBB214_1011
; %bb.1010:
	s_wait_xcnt 0x0
	v_cndmask_b32_e64 v2, 0, 1, s28
	v_mov_b32_e32 v4, 0
	s_mov_b32 s30, 0
	s_delay_alu instid0(VALU_DEP_2) | instskip(NEXT) | instid1(VALU_DEP_2)
	v_cvt_f64_u32_e32 v[2:3], v2
	v_mov_b32_e32 v5, v4
	global_store_b128 v[0:1], v[2:5], off
.LBB214_1011:
	s_and_not1_b32 vcc_lo, exec_lo, s30
	s_cbranch_vccnz .LBB214_1013
; %bb.1012:
	s_wait_xcnt 0x0
	v_cndmask_b32_e64 v2, 0, 1.0, s28
	v_mov_b32_e32 v3, 0
	global_store_b64 v[0:1], v[2:3], off
.LBB214_1013:
	s_mov_b32 s30, 0
.LBB214_1014:
	s_delay_alu instid0(SALU_CYCLE_1)
	s_and_not1_b32 vcc_lo, exec_lo, s30
	s_cbranch_vccnz .LBB214_1016
; %bb.1015:
	s_wait_xcnt 0x0
	v_cndmask_b32_e64 v2, 0, 1.0, s28
	s_delay_alu instid0(VALU_DEP_1) | instskip(NEXT) | instid1(VALU_DEP_1)
	v_cvt_f16_f32_e32 v2, v2
	v_and_b32_e32 v2, 0xffff, v2
	global_store_b32 v[0:1], v2, off
.LBB214_1016:
	s_mov_b32 s30, 0
.LBB214_1017:
	s_delay_alu instid0(SALU_CYCLE_1)
	s_and_not1_b32 vcc_lo, exec_lo, s30
	s_cbranch_vccnz .LBB214_1026
; %bb.1018:
	s_cmp_lt_i32 s29, 6
	s_mov_b32 s30, -1
	s_cbranch_scc1 .LBB214_1024
; %bb.1019:
	s_cmp_gt_i32 s29, 6
	s_cbranch_scc0 .LBB214_1021
; %bb.1020:
	s_wait_xcnt 0x0
	v_cndmask_b32_e64 v2, 0, 1, s28
	s_mov_b32 s30, 0
	s_delay_alu instid0(VALU_DEP_1)
	v_cvt_f64_u32_e32 v[2:3], v2
	global_store_b64 v[0:1], v[2:3], off
.LBB214_1021:
	s_and_not1_b32 vcc_lo, exec_lo, s30
	s_cbranch_vccnz .LBB214_1023
; %bb.1022:
	s_wait_xcnt 0x0
	v_cndmask_b32_e64 v2, 0, 1.0, s28
	global_store_b32 v[0:1], v2, off
.LBB214_1023:
	s_mov_b32 s30, 0
.LBB214_1024:
	s_delay_alu instid0(SALU_CYCLE_1)
	s_and_not1_b32 vcc_lo, exec_lo, s30
	s_cbranch_vccnz .LBB214_1026
; %bb.1025:
	s_wait_xcnt 0x0
	v_cndmask_b32_e64 v2, 0, 1.0, s28
	s_delay_alu instid0(VALU_DEP_1)
	v_cvt_f16_f32_e32 v2, v2
	global_store_b16 v[0:1], v2, off
.LBB214_1026:
	s_mov_b32 s30, 0
.LBB214_1027:
	s_delay_alu instid0(SALU_CYCLE_1)
	s_and_not1_b32 vcc_lo, exec_lo, s30
	s_cbranch_vccnz .LBB214_1043
; %bb.1028:
	s_cmp_lt_i32 s29, 2
	s_mov_b32 s30, -1
	s_cbranch_scc1 .LBB214_1038
; %bb.1029:
	s_cmp_lt_i32 s29, 3
	s_cbranch_scc1 .LBB214_1035
; %bb.1030:
	s_cmp_gt_i32 s29, 3
	s_cbranch_scc0 .LBB214_1032
; %bb.1031:
	s_mov_b32 s30, 0
	s_wait_xcnt 0x0
	v_cndmask_b32_e64 v2, 0, 1, s28
	v_mov_b32_e32 v3, s30
	global_store_b64 v[0:1], v[2:3], off
.LBB214_1032:
	s_and_not1_b32 vcc_lo, exec_lo, s30
	s_cbranch_vccnz .LBB214_1034
; %bb.1033:
	s_wait_xcnt 0x0
	v_cndmask_b32_e64 v2, 0, 1, s28
	global_store_b32 v[0:1], v2, off
.LBB214_1034:
	s_mov_b32 s30, 0
.LBB214_1035:
	s_delay_alu instid0(SALU_CYCLE_1)
	s_and_not1_b32 vcc_lo, exec_lo, s30
	s_cbranch_vccnz .LBB214_1037
; %bb.1036:
	s_wait_xcnt 0x0
	v_cndmask_b32_e64 v2, 0, 1, s28
	global_store_b16 v[0:1], v2, off
.LBB214_1037:
	s_mov_b32 s30, 0
.LBB214_1038:
	s_delay_alu instid0(SALU_CYCLE_1)
	s_and_not1_b32 vcc_lo, exec_lo, s30
	s_cbranch_vccnz .LBB214_1043
; %bb.1039:
	s_wait_xcnt 0x0
	v_cndmask_b32_e64 v2, 0, 1, s28
	s_cmp_gt_i32 s29, 0
	s_mov_b32 s28, -1
	s_cbranch_scc0 .LBB214_1041
; %bb.1040:
	s_mov_b32 s28, 0
	global_store_b8 v[0:1], v2, off
.LBB214_1041:
	s_and_not1_b32 vcc_lo, exec_lo, s28
	s_cbranch_vccnz .LBB214_1043
; %bb.1042:
	global_store_b8 v[0:1], v2, off
.LBB214_1043:
	s_mov_b32 s31, -1
.LBB214_1044:
	s_mov_b32 s29, 0
	s_and_not1_b32 vcc_lo, exec_lo, s31
	s_mov_b32 s31, 0
	s_cbranch_vccnz .LBB214_1046
; %bb.1045:
	v_add_nc_u32_e32 v6, 0x80, v6
	s_mov_b32 s31, -1
.LBB214_1046:
	s_and_not1_b32 s28, s23, exec_lo
	s_and_b32 s0, s0, exec_lo
	s_and_b32 s29, s29, exec_lo
	s_or_b32 s28, s28, s0
	s_and_not1_b32 s0, s24, exec_lo
	s_and_not1_b32 s30, s22, exec_lo
	s_and_b32 s27, s27, exec_lo
	s_or_b32 s29, s0, s29
	s_or_b32 s0, s30, s27
	s_or_not1_b32 s35, s31, exec_lo
.LBB214_1047:
	s_wait_xcnt 0x0
	s_or_b32 exec_lo, exec_lo, s26
	s_mov_b32 s31, 0
	s_mov_b32 s33, 0
	;; [unrolled: 1-line block ×3, first 2 shown]
                                        ; implicit-def: $sgpr26
                                        ; implicit-def: $sgpr27
                                        ; implicit-def: $vgpr0_vgpr1
	s_and_saveexec_b32 s30, s35
	s_cbranch_execz .LBB214_1110
; %bb.1048:
	v_cmp_gt_i32_e32 vcc_lo, s17, v6
	s_mov_b32 s35, s0
	s_mov_b32 s36, 0
                                        ; implicit-def: $sgpr26
                                        ; implicit-def: $sgpr27
                                        ; implicit-def: $vgpr0_vgpr1
	s_and_saveexec_b32 s17, vcc_lo
	s_cbranch_execz .LBB214_1109
; %bb.1049:
	v_mul_lo_u32 v0, v6, s9
	s_and_b32 s27, s14, 0xff
	s_delay_alu instid0(SALU_CYCLE_1) | instskip(NEXT) | instid1(VALU_DEP_1)
	s_cmp_lt_i32 s27, 11
	v_ashrrev_i32_e32 v1, 31, v0
	s_delay_alu instid0(VALU_DEP_1)
	v_add_nc_u64_e32 v[0:1], s[6:7], v[0:1]
	s_cbranch_scc1 .LBB214_1056
; %bb.1050:
	s_and_b32 s33, 0xffff, s27
	s_delay_alu instid0(SALU_CYCLE_1)
	s_cmp_gt_i32 s33, 25
	s_cbranch_scc0 .LBB214_1057
; %bb.1051:
	s_cmp_gt_i32 s33, 28
	s_cbranch_scc0 .LBB214_1058
; %bb.1052:
	;; [unrolled: 3-line block ×4, first 2 shown]
	s_cmp_eq_u32 s33, 46
	s_cbranch_scc0 .LBB214_1061
; %bb.1055:
	global_load_b32 v2, v[0:1], off
	s_mov_b32 s35, -1
	s_wait_loadcnt 0x0
	v_and_b32_e32 v2, 0x7fff7fff, v2
	s_delay_alu instid0(VALU_DEP_1)
	v_cmp_ne_u32_e64 s26, 0, v2
	s_branch .LBB214_1063
.LBB214_1056:
	s_mov_b32 s33, -1
	s_mov_b32 s35, 0
	s_mov_b32 s31, s0
                                        ; implicit-def: $sgpr26
	s_branch .LBB214_1108
.LBB214_1057:
	s_mov_b32 s36, -1
	s_mov_b32 s35, 0
	s_mov_b32 s31, s0
                                        ; implicit-def: $sgpr26
	s_branch .LBB214_1084
.LBB214_1058:
	s_mov_b32 s36, -1
	s_mov_b32 s35, 0
	s_mov_b32 s31, s0
                                        ; implicit-def: $sgpr26
	s_branch .LBB214_1071
.LBB214_1059:
	s_mov_b32 s36, -1
	s_mov_b32 s35, 0
	s_mov_b32 s31, s0
                                        ; implicit-def: $sgpr26
	s_branch .LBB214_1066
.LBB214_1060:
	s_mov_b32 s36, -1
	s_mov_b32 s35, 0
	s_mov_b32 s31, s0
	s_branch .LBB214_1062
.LBB214_1061:
	s_mov_b32 s31, -1
	s_mov_b32 s35, 0
.LBB214_1062:
                                        ; implicit-def: $sgpr26
.LBB214_1063:
	s_and_b32 vcc_lo, exec_lo, s36
	s_cbranch_vccz .LBB214_1065
; %bb.1064:
	s_cmp_lg_u32 s33, 44
	s_mov_b32 s35, -1
	s_cselect_b32 s36, -1, 0
	s_and_not1_b32 s31, s31, exec_lo
	s_and_b32 s36, s36, exec_lo
	s_or_b32 s26, s26, exec_lo
	s_or_b32 s31, s31, s36
.LBB214_1065:
	s_mov_b32 s36, 0
.LBB214_1066:
	s_delay_alu instid0(SALU_CYCLE_1)
	s_and_b32 vcc_lo, exec_lo, s36
	s_cbranch_vccz .LBB214_1070
; %bb.1067:
	s_cmp_eq_u32 s33, 29
	s_cbranch_scc0 .LBB214_1069
; %bb.1068:
	global_load_b64 v[2:3], v[0:1], off
	s_mov_b32 s31, 0
	s_mov_b32 s35, -1
	s_mov_b32 s36, 0
	s_wait_loadcnt 0x0
	v_cmp_ne_u64_e64 s26, 0, v[2:3]
	s_branch .LBB214_1071
.LBB214_1069:
	s_mov_b32 s31, -1
                                        ; implicit-def: $sgpr26
.LBB214_1070:
	s_mov_b32 s36, 0
.LBB214_1071:
	s_delay_alu instid0(SALU_CYCLE_1)
	s_and_b32 vcc_lo, exec_lo, s36
	s_cbranch_vccz .LBB214_1083
; %bb.1072:
	s_cmp_lt_i32 s33, 27
	s_cbranch_scc1 .LBB214_1075
; %bb.1073:
	s_cmp_gt_i32 s33, 27
	s_cbranch_scc0 .LBB214_1076
; %bb.1074:
	global_load_b32 v2, v[0:1], off
	s_mov_b32 s35, 0
	s_wait_loadcnt 0x0
	v_cmp_ne_u32_e64 s26, 0, v2
	s_branch .LBB214_1077
.LBB214_1075:
	s_mov_b32 s35, -1
                                        ; implicit-def: $sgpr26
	s_branch .LBB214_1080
.LBB214_1076:
	s_mov_b32 s35, -1
                                        ; implicit-def: $sgpr26
.LBB214_1077:
	s_delay_alu instid0(SALU_CYCLE_1)
	s_and_not1_b32 vcc_lo, exec_lo, s35
	s_cbranch_vccnz .LBB214_1079
; %bb.1078:
	global_load_u16 v2, v[0:1], off
	s_and_not1_b32 s26, s26, exec_lo
	s_wait_loadcnt 0x0
	v_cmp_ne_u16_e32 vcc_lo, 0, v2
	s_and_b32 s35, vcc_lo, exec_lo
	s_delay_alu instid0(SALU_CYCLE_1)
	s_or_b32 s26, s26, s35
.LBB214_1079:
	s_mov_b32 s35, 0
.LBB214_1080:
	s_delay_alu instid0(SALU_CYCLE_1)
	s_and_not1_b32 vcc_lo, exec_lo, s35
	s_cbranch_vccnz .LBB214_1082
; %bb.1081:
	global_load_u8 v2, v[0:1], off
	s_and_not1_b32 s26, s26, exec_lo
	s_wait_loadcnt 0x0
	v_cmp_ne_u16_e32 vcc_lo, 0, v2
	s_and_b32 s35, vcc_lo, exec_lo
	s_delay_alu instid0(SALU_CYCLE_1)
	s_or_b32 s26, s26, s35
.LBB214_1082:
	s_mov_b32 s35, -1
.LBB214_1083:
	s_mov_b32 s36, 0
.LBB214_1084:
	s_delay_alu instid0(SALU_CYCLE_1)
	s_and_b32 vcc_lo, exec_lo, s36
	s_cbranch_vccz .LBB214_1107
; %bb.1085:
	s_cmp_gt_i32 s33, 22
	s_cbranch_scc0 .LBB214_1089
; %bb.1086:
	s_cmp_lt_i32 s33, 24
	s_cbranch_scc1 .LBB214_1090
; %bb.1087:
	s_cmp_gt_i32 s33, 24
	s_cbranch_scc0 .LBB214_1091
; %bb.1088:
	global_load_u8 v2, v[0:1], off
	s_wait_loadcnt 0x0
	v_cmp_ne_u16_e64 s26, 0, v2
	s_branch .LBB214_1092
.LBB214_1089:
	s_mov_b32 s34, -1
                                        ; implicit-def: $sgpr26
	s_branch .LBB214_1098
.LBB214_1090:
	s_mov_b32 s34, -1
                                        ; implicit-def: $sgpr26
	s_branch .LBB214_1095
.LBB214_1091:
	s_mov_b32 s34, -1
                                        ; implicit-def: $sgpr26
.LBB214_1092:
	s_delay_alu instid0(SALU_CYCLE_1)
	s_and_not1_b32 vcc_lo, exec_lo, s34
	s_cbranch_vccnz .LBB214_1094
; %bb.1093:
	global_load_u8 v2, v[0:1], off
	s_and_not1_b32 s26, s26, exec_lo
	s_wait_loadcnt 0x0
	v_and_b32_e32 v2, 0x7f, v2
	s_delay_alu instid0(VALU_DEP_1) | instskip(SKIP_1) | instid1(SALU_CYCLE_1)
	v_cmp_ne_u16_e32 vcc_lo, 0, v2
	s_and_b32 s34, vcc_lo, exec_lo
	s_or_b32 s26, s26, s34
.LBB214_1094:
	s_mov_b32 s34, 0
.LBB214_1095:
	s_delay_alu instid0(SALU_CYCLE_1)
	s_and_not1_b32 vcc_lo, exec_lo, s34
	s_cbranch_vccnz .LBB214_1097
; %bb.1096:
	global_load_u8 v2, v[0:1], off
	s_and_not1_b32 s26, s26, exec_lo
	s_wait_loadcnt 0x0
	v_dual_lshlrev_b32 v3, 25, v2 :: v_dual_lshlrev_b32 v2, 8, v2
	s_delay_alu instid0(VALU_DEP_1) | instskip(NEXT) | instid1(VALU_DEP_2)
	v_cmp_gt_u32_e32 vcc_lo, 0x8000000, v3
	v_and_or_b32 v2, 0x7f00, v2, 0.5
	s_delay_alu instid0(VALU_DEP_1) | instskip(NEXT) | instid1(VALU_DEP_1)
	v_dual_lshrrev_b32 v4, 4, v3 :: v_dual_add_f32 v2, -0.5, v2
	v_or_b32_e32 v4, 0x70000000, v4
	s_delay_alu instid0(VALU_DEP_1) | instskip(NEXT) | instid1(VALU_DEP_1)
	v_mul_f32_e32 v4, 0x7800000, v4
	v_cndmask_b32_e32 v2, v4, v2, vcc_lo
	s_delay_alu instid0(VALU_DEP_1) | instskip(SKIP_1) | instid1(SALU_CYCLE_1)
	v_cmp_neq_f32_e32 vcc_lo, 0, v2
	s_and_b32 s34, vcc_lo, exec_lo
	s_or_b32 s26, s26, s34
.LBB214_1097:
	s_mov_b32 s34, 0
	s_mov_b32 s35, -1
.LBB214_1098:
	s_and_not1_b32 vcc_lo, exec_lo, s34
	s_mov_b32 s34, 0
	s_cbranch_vccnz .LBB214_1107
; %bb.1099:
	s_cmp_gt_i32 s33, 14
	s_cbranch_scc0 .LBB214_1102
; %bb.1100:
	s_cmp_eq_u32 s33, 15
	s_cbranch_scc0 .LBB214_1103
; %bb.1101:
	global_load_u16 v2, v[0:1], off
	s_mov_b32 s31, 0
	s_mov_b32 s35, -1
	s_wait_loadcnt 0x0
	v_and_b32_e32 v2, 0x7fff, v2
	s_delay_alu instid0(VALU_DEP_1)
	v_cmp_ne_u16_e64 s26, 0, v2
	s_branch .LBB214_1105
.LBB214_1102:
	s_mov_b32 s34, -1
	s_branch .LBB214_1104
.LBB214_1103:
	s_mov_b32 s31, -1
.LBB214_1104:
                                        ; implicit-def: $sgpr26
.LBB214_1105:
	s_and_b32 vcc_lo, exec_lo, s34
	s_mov_b32 s34, 0
	s_cbranch_vccz .LBB214_1107
; %bb.1106:
	s_cmp_lg_u32 s33, 11
	s_mov_b32 s34, -1
	s_cselect_b32 s33, -1, 0
	s_and_not1_b32 s31, s31, exec_lo
	s_and_b32 s33, s33, exec_lo
	s_delay_alu instid0(SALU_CYCLE_1)
	s_or_b32 s31, s31, s33
.LBB214_1107:
	s_mov_b32 s33, 0
.LBB214_1108:
	s_and_b32 s36, s35, exec_lo
	s_and_not1_b32 s35, s0, exec_lo
	s_and_b32 s37, s31, exec_lo
	s_and_b32 s33, s33, exec_lo
	;; [unrolled: 1-line block ×3, first 2 shown]
	s_or_b32 s35, s35, s37
.LBB214_1109:
	s_wait_xcnt 0x0
	s_or_b32 exec_lo, exec_lo, s17
	s_delay_alu instid0(SALU_CYCLE_1)
	s_and_not1_b32 s0, s0, exec_lo
	s_and_b32 s17, s35, exec_lo
	s_and_b32 s34, s36, exec_lo
	;; [unrolled: 1-line block ×4, first 2 shown]
	s_or_b32 s0, s0, s17
.LBB214_1110:
	s_or_b32 exec_lo, exec_lo, s30
	s_delay_alu instid0(SALU_CYCLE_1)
	s_and_not1_b32 s17, s23, exec_lo
	s_and_b32 s23, s28, exec_lo
	s_and_not1_b32 s24, s24, exec_lo
	s_and_b32 s28, s29, exec_lo
	s_or_b32 s23, s17, s23
	s_and_not1_b32 s17, s22, exec_lo
	s_and_b32 s0, s0, exec_lo
	s_or_b32 s24, s24, s28
	s_and_b32 s30, s34, exec_lo
	s_and_b32 s29, s33, exec_lo
	s_and_b32 s28, s31, exec_lo
	s_or_b32 s22, s17, s0
.LBB214_1111:
	s_or_b32 exec_lo, exec_lo, s25
	s_delay_alu instid0(SALU_CYCLE_1)
	s_and_not1_b32 s0, s18, exec_lo
	s_and_b32 s17, s23, exec_lo
	s_and_not1_b32 s19, s19, exec_lo
	s_and_b32 s23, s24, exec_lo
	s_or_b32 s18, s0, s17
	s_and_not1_b32 s17, s20, exec_lo
	s_and_b32 s20, s22, exec_lo
	s_or_b32 s19, s19, s23
	s_and_b32 s23, s30, exec_lo
	s_and_b32 s0, s29, exec_lo
	;; [unrolled: 1-line block ×3, first 2 shown]
	s_or_b32 s20, s17, s20
	s_or_b32 exec_lo, exec_lo, s21
	s_mov_b32 s17, 0
	s_and_saveexec_b32 s21, s20
	s_cbranch_execz .LBB214_345
.LBB214_1112:
	s_mov_b32 s17, exec_lo
	s_and_not1_b32 s23, s23, exec_lo
	s_and_not1_b32 s22, s22, exec_lo
	s_trap 2
	s_or_b32 exec_lo, exec_lo, s21
	s_and_saveexec_b32 s20, s22
	s_delay_alu instid0(SALU_CYCLE_1)
	s_xor_b32 s20, exec_lo, s20
	s_cbranch_execz .LBB214_346
.LBB214_1113:
	global_load_u8 v2, v[0:1], off
	s_and_not1_b32 s21, s26, exec_lo
	s_or_b32 s23, s23, exec_lo
	s_wait_loadcnt 0x0
	v_cmp_ne_u16_e32 vcc_lo, 0, v2
	s_and_b32 s22, vcc_lo, exec_lo
	s_delay_alu instid0(SALU_CYCLE_1)
	s_or_b32 s26, s21, s22
	s_wait_xcnt 0x0
	s_or_b32 exec_lo, exec_lo, s20
	s_and_saveexec_b32 s20, s0
	s_cbranch_execz .LBB214_1159
.LBB214_1114:
	s_sext_i32_i16 s0, s27
	s_delay_alu instid0(SALU_CYCLE_1)
	s_cmp_lt_i32 s0, 5
	s_cbranch_scc1 .LBB214_1119
; %bb.1115:
	s_cmp_lt_i32 s0, 8
	s_cbranch_scc1 .LBB214_1120
; %bb.1116:
	;; [unrolled: 3-line block ×3, first 2 shown]
	s_cmp_gt_i32 s0, 9
	s_cbranch_scc0 .LBB214_1122
; %bb.1118:
	global_load_b128 v[2:5], v[0:1], off
	s_mov_b32 s21, 0
	s_wait_loadcnt 0x0
	v_cmp_neq_f64_e32 vcc_lo, 0, v[2:3]
	v_cmp_neq_f64_e64 s0, 0, v[4:5]
	s_or_b32 s0, vcc_lo, s0
	s_branch .LBB214_1123
.LBB214_1119:
                                        ; implicit-def: $sgpr0
	s_branch .LBB214_1140
.LBB214_1120:
                                        ; implicit-def: $sgpr0
	s_branch .LBB214_1129
.LBB214_1121:
	s_mov_b32 s21, -1
                                        ; implicit-def: $sgpr0
	s_branch .LBB214_1126
.LBB214_1122:
	s_mov_b32 s21, -1
                                        ; implicit-def: $sgpr0
.LBB214_1123:
	s_delay_alu instid0(SALU_CYCLE_1)
	s_and_not1_b32 vcc_lo, exec_lo, s21
	s_cbranch_vccnz .LBB214_1125
; %bb.1124:
	global_load_b64 v[2:3], v[0:1], off
	s_and_not1_b32 s0, s0, exec_lo
	s_wait_loadcnt 0x0
	v_bitop3_b32 v2, v2, 0x7fffffff, v3 bitop3:0xc8
	s_delay_alu instid0(VALU_DEP_1) | instskip(SKIP_1) | instid1(SALU_CYCLE_1)
	v_cmp_ne_u32_e32 vcc_lo, 0, v2
	s_and_b32 s21, vcc_lo, exec_lo
	s_or_b32 s0, s0, s21
.LBB214_1125:
	s_mov_b32 s21, 0
.LBB214_1126:
	s_delay_alu instid0(SALU_CYCLE_1)
	s_and_not1_b32 vcc_lo, exec_lo, s21
	s_cbranch_vccnz .LBB214_1128
; %bb.1127:
	global_load_b32 v2, v[0:1], off
	s_and_not1_b32 s0, s0, exec_lo
	s_wait_loadcnt 0x0
	v_and_b32_e32 v2, 0x7fff7fff, v2
	s_delay_alu instid0(VALU_DEP_1) | instskip(SKIP_1) | instid1(SALU_CYCLE_1)
	v_cmp_ne_u32_e32 vcc_lo, 0, v2
	s_and_b32 s21, vcc_lo, exec_lo
	s_or_b32 s0, s0, s21
.LBB214_1128:
	s_cbranch_execnz .LBB214_1139
.LBB214_1129:
	s_sext_i32_i16 s0, s27
	s_delay_alu instid0(SALU_CYCLE_1)
	s_cmp_lt_i32 s0, 6
	s_cbranch_scc1 .LBB214_1132
; %bb.1130:
	s_cmp_gt_i32 s0, 6
	s_cbranch_scc0 .LBB214_1133
; %bb.1131:
	global_load_b64 v[2:3], v[0:1], off
	s_mov_b32 s21, 0
	s_wait_loadcnt 0x0
	v_cmp_neq_f64_e64 s0, 0, v[2:3]
	s_branch .LBB214_1134
.LBB214_1132:
	s_mov_b32 s21, -1
                                        ; implicit-def: $sgpr0
	s_branch .LBB214_1137
.LBB214_1133:
	s_mov_b32 s21, -1
                                        ; implicit-def: $sgpr0
.LBB214_1134:
	s_delay_alu instid0(SALU_CYCLE_1)
	s_and_not1_b32 vcc_lo, exec_lo, s21
	s_cbranch_vccnz .LBB214_1136
; %bb.1135:
	global_load_b32 v2, v[0:1], off
	s_and_not1_b32 s0, s0, exec_lo
	s_wait_loadcnt 0x0
	v_cmp_neq_f32_e32 vcc_lo, 0, v2
	s_and_b32 s21, vcc_lo, exec_lo
	s_delay_alu instid0(SALU_CYCLE_1)
	s_or_b32 s0, s0, s21
.LBB214_1136:
	s_mov_b32 s21, 0
.LBB214_1137:
	s_delay_alu instid0(SALU_CYCLE_1)
	s_and_not1_b32 vcc_lo, exec_lo, s21
	s_cbranch_vccnz .LBB214_1139
; %bb.1138:
	global_load_u16 v2, v[0:1], off
	s_and_not1_b32 s0, s0, exec_lo
	s_wait_loadcnt 0x0
	v_and_b32_e32 v2, 0x7fff, v2
	s_delay_alu instid0(VALU_DEP_1) | instskip(SKIP_1) | instid1(SALU_CYCLE_1)
	v_cmp_ne_u16_e32 vcc_lo, 0, v2
	s_and_b32 s21, vcc_lo, exec_lo
	s_or_b32 s0, s0, s21
.LBB214_1139:
	s_cbranch_execnz .LBB214_1158
.LBB214_1140:
	s_sext_i32_i16 s0, s27
	s_delay_alu instid0(SALU_CYCLE_1)
	s_cmp_lt_i32 s0, 2
	s_cbranch_scc1 .LBB214_1144
; %bb.1141:
	s_cmp_lt_i32 s0, 3
	s_cbranch_scc1 .LBB214_1145
; %bb.1142:
	s_cmp_gt_i32 s0, 3
	s_cbranch_scc0 .LBB214_1146
; %bb.1143:
	global_load_b64 v[2:3], v[0:1], off
	s_mov_b32 s21, 0
	s_wait_loadcnt 0x0
	v_cmp_ne_u64_e64 s0, 0, v[2:3]
	s_branch .LBB214_1147
.LBB214_1144:
                                        ; implicit-def: $sgpr0
	s_branch .LBB214_1153
.LBB214_1145:
	s_mov_b32 s21, -1
                                        ; implicit-def: $sgpr0
	s_branch .LBB214_1150
.LBB214_1146:
	s_mov_b32 s21, -1
                                        ; implicit-def: $sgpr0
.LBB214_1147:
	s_delay_alu instid0(SALU_CYCLE_1)
	s_and_not1_b32 vcc_lo, exec_lo, s21
	s_cbranch_vccnz .LBB214_1149
; %bb.1148:
	global_load_b32 v2, v[0:1], off
	s_and_not1_b32 s0, s0, exec_lo
	s_wait_loadcnt 0x0
	v_cmp_ne_u32_e32 vcc_lo, 0, v2
	s_and_b32 s21, vcc_lo, exec_lo
	s_delay_alu instid0(SALU_CYCLE_1)
	s_or_b32 s0, s0, s21
.LBB214_1149:
	s_mov_b32 s21, 0
.LBB214_1150:
	s_delay_alu instid0(SALU_CYCLE_1)
	s_and_not1_b32 vcc_lo, exec_lo, s21
	s_cbranch_vccnz .LBB214_1152
; %bb.1151:
	global_load_u16 v2, v[0:1], off
	s_and_not1_b32 s0, s0, exec_lo
	s_wait_loadcnt 0x0
	v_cmp_ne_u16_e32 vcc_lo, 0, v2
	s_and_b32 s21, vcc_lo, exec_lo
	s_delay_alu instid0(SALU_CYCLE_1)
	s_or_b32 s0, s0, s21
.LBB214_1152:
	s_cbranch_execnz .LBB214_1158
.LBB214_1153:
	s_sext_i32_i16 s0, s27
	s_mov_b32 s21, 0
	s_cmp_gt_i32 s0, 0
	s_cbranch_scc0 .LBB214_1155
; %bb.1154:
	global_load_u8 v2, v[0:1], off
	s_wait_loadcnt 0x0
	v_cmp_ne_u16_e64 s0, 0, v2
	s_branch .LBB214_1156
.LBB214_1155:
	s_mov_b32 s21, -1
                                        ; implicit-def: $sgpr0
.LBB214_1156:
	s_delay_alu instid0(SALU_CYCLE_1)
	s_and_not1_b32 vcc_lo, exec_lo, s21
	s_cbranch_vccnz .LBB214_1158
; %bb.1157:
	global_load_u8 v0, v[0:1], off
	s_and_not1_b32 s0, s0, exec_lo
	s_wait_loadcnt 0x0
	v_cmp_ne_u16_e32 vcc_lo, 0, v0
	s_and_b32 s21, vcc_lo, exec_lo
	s_delay_alu instid0(SALU_CYCLE_1)
	s_or_b32 s0, s0, s21
.LBB214_1158:
	s_and_not1_b32 s21, s26, exec_lo
	s_delay_alu instid0(VALU_DEP_1)
	s_and_b32 s0, s0, exec_lo
	s_or_b32 s23, s23, exec_lo
	s_or_b32 s26, s21, s0
.LBB214_1159:
	s_wait_xcnt 0x0
	s_or_b32 exec_lo, exec_lo, s20
	s_mov_b32 s22, 0
	s_mov_b32 s27, 0
	;; [unrolled: 1-line block ×3, first 2 shown]
                                        ; implicit-def: $sgpr21
                                        ; implicit-def: $sgpr20
                                        ; implicit-def: $vgpr0_vgpr1
	s_and_saveexec_b32 s0, s23
	s_cbranch_execnz .LBB214_1163
; %bb.1160:
	s_or_b32 exec_lo, exec_lo, s0
	s_and_saveexec_b32 s0, s19
	s_cbranch_execnz .LBB214_1222
.LBB214_1161:
	s_or_b32 exec_lo, exec_lo, s0
	s_and_saveexec_b32 s0, s22
	s_delay_alu instid0(SALU_CYCLE_1)
	s_xor_b32 s0, exec_lo, s0
	s_cbranch_execnz .LBB214_1223
.LBB214_1162:
	s_or_b32 exec_lo, exec_lo, s0
	s_and_saveexec_b32 s19, s27
	s_cbranch_execnz .LBB214_1224
	s_branch .LBB214_1269
.LBB214_1163:
	v_mul_lo_u32 v0, v6, s10
	s_and_b32 s20, s1, 0xff
	s_delay_alu instid0(SALU_CYCLE_1) | instskip(NEXT) | instid1(VALU_DEP_1)
	s_cmp_lt_i32 s20, 11
	v_ashrrev_i32_e32 v1, 31, v0
	s_delay_alu instid0(VALU_DEP_1)
	v_add_nc_u64_e32 v[0:1], s[2:3], v[0:1]
	s_cbranch_scc1 .LBB214_1170
; %bb.1164:
	s_and_b32 s23, 0xffff, s20
	s_mov_b32 s25, 0
	s_cmp_gt_i32 s23, 25
	s_cbranch_scc0 .LBB214_1171
; %bb.1165:
	s_cmp_gt_i32 s23, 28
	s_cbranch_scc0 .LBB214_1172
; %bb.1166:
	;; [unrolled: 3-line block ×4, first 2 shown]
	s_cmp_eq_u32 s23, 46
	s_cbranch_scc0 .LBB214_1175
; %bb.1169:
	global_load_b32 v2, v[0:1], off
	s_mov_b32 s24, -1
	s_wait_loadcnt 0x0
	v_and_b32_e32 v2, 0x7fff7fff, v2
	s_delay_alu instid0(VALU_DEP_1)
	v_cmp_ne_u32_e64 s21, 0, v2
	s_branch .LBB214_1177
.LBB214_1170:
	s_mov_b32 s23, -1
	s_mov_b32 s25, 0
	s_mov_b32 s22, s19
                                        ; implicit-def: $sgpr21
	s_branch .LBB214_1221
.LBB214_1171:
	s_mov_b32 s22, s19
                                        ; implicit-def: $sgpr21
	s_cbranch_execnz .LBB214_1198
	s_branch .LBB214_1220
.LBB214_1172:
	s_mov_b32 s27, -1
	s_mov_b32 s22, s19
                                        ; implicit-def: $sgpr21
	s_branch .LBB214_1185
.LBB214_1173:
	s_mov_b32 s27, -1
	s_mov_b32 s22, s19
                                        ; implicit-def: $sgpr21
	s_branch .LBB214_1180
.LBB214_1174:
	s_mov_b32 s27, -1
	s_mov_b32 s22, s19
	s_branch .LBB214_1176
.LBB214_1175:
	s_mov_b32 s22, -1
.LBB214_1176:
                                        ; implicit-def: $sgpr21
.LBB214_1177:
	s_and_b32 vcc_lo, exec_lo, s27
	s_cbranch_vccz .LBB214_1179
; %bb.1178:
	s_cmp_lg_u32 s23, 44
	s_mov_b32 s24, -1
	s_cselect_b32 s27, -1, 0
	s_and_not1_b32 s22, s22, exec_lo
	s_and_b32 s27, s27, exec_lo
	s_or_b32 s21, s21, exec_lo
	s_or_b32 s22, s22, s27
.LBB214_1179:
	s_mov_b32 s27, 0
.LBB214_1180:
	s_delay_alu instid0(SALU_CYCLE_1)
	s_and_b32 vcc_lo, exec_lo, s27
	s_cbranch_vccz .LBB214_1184
; %bb.1181:
	s_cmp_eq_u32 s23, 29
	s_cbranch_scc0 .LBB214_1183
; %bb.1182:
	global_load_b64 v[2:3], v[0:1], off
	s_mov_b32 s22, 0
	s_mov_b32 s24, -1
	s_mov_b32 s27, 0
	s_wait_loadcnt 0x0
	v_cmp_ne_u64_e64 s21, 0, v[2:3]
	s_branch .LBB214_1185
.LBB214_1183:
	s_mov_b32 s22, -1
                                        ; implicit-def: $sgpr21
.LBB214_1184:
	s_mov_b32 s27, 0
.LBB214_1185:
	s_delay_alu instid0(SALU_CYCLE_1)
	s_and_b32 vcc_lo, exec_lo, s27
	s_cbranch_vccz .LBB214_1197
; %bb.1186:
	s_cmp_lt_i32 s23, 27
	s_cbranch_scc1 .LBB214_1189
; %bb.1187:
	s_cmp_gt_i32 s23, 27
	s_cbranch_scc0 .LBB214_1190
; %bb.1188:
	global_load_b32 v2, v[0:1], off
	s_mov_b32 s24, 0
	s_wait_loadcnt 0x0
	v_cmp_ne_u32_e64 s21, 0, v2
	s_branch .LBB214_1191
.LBB214_1189:
	s_mov_b32 s24, -1
                                        ; implicit-def: $sgpr21
	s_branch .LBB214_1194
.LBB214_1190:
	s_mov_b32 s24, -1
                                        ; implicit-def: $sgpr21
.LBB214_1191:
	s_delay_alu instid0(SALU_CYCLE_1)
	s_and_not1_b32 vcc_lo, exec_lo, s24
	s_cbranch_vccnz .LBB214_1193
; %bb.1192:
	global_load_u16 v2, v[0:1], off
	s_and_not1_b32 s21, s21, exec_lo
	s_wait_loadcnt 0x0
	v_cmp_ne_u16_e32 vcc_lo, 0, v2
	s_and_b32 s24, vcc_lo, exec_lo
	s_delay_alu instid0(SALU_CYCLE_1)
	s_or_b32 s21, s21, s24
.LBB214_1193:
	s_mov_b32 s24, 0
.LBB214_1194:
	s_delay_alu instid0(SALU_CYCLE_1)
	s_and_not1_b32 vcc_lo, exec_lo, s24
	s_cbranch_vccnz .LBB214_1196
; %bb.1195:
	global_load_u8 v2, v[0:1], off
	s_and_not1_b32 s21, s21, exec_lo
	s_wait_loadcnt 0x0
	v_cmp_ne_u16_e32 vcc_lo, 0, v2
	s_and_b32 s24, vcc_lo, exec_lo
	s_delay_alu instid0(SALU_CYCLE_1)
	s_or_b32 s21, s21, s24
.LBB214_1196:
	s_mov_b32 s24, -1
.LBB214_1197:
	s_branch .LBB214_1220
.LBB214_1198:
	s_cmp_gt_i32 s23, 22
	s_cbranch_scc0 .LBB214_1202
; %bb.1199:
	s_cmp_lt_i32 s23, 24
	s_cbranch_scc1 .LBB214_1203
; %bb.1200:
	s_cmp_gt_i32 s23, 24
	s_cbranch_scc0 .LBB214_1204
; %bb.1201:
	global_load_u8 v2, v[0:1], off
	s_mov_b32 s24, 0
	s_wait_loadcnt 0x0
	v_cmp_ne_u16_e64 s21, 0, v2
	s_branch .LBB214_1205
.LBB214_1202:
	s_mov_b32 s25, -1
                                        ; implicit-def: $sgpr21
	s_branch .LBB214_1211
.LBB214_1203:
	s_mov_b32 s24, -1
                                        ; implicit-def: $sgpr21
	s_branch .LBB214_1208
.LBB214_1204:
	s_mov_b32 s24, -1
                                        ; implicit-def: $sgpr21
.LBB214_1205:
	s_delay_alu instid0(SALU_CYCLE_1)
	s_and_not1_b32 vcc_lo, exec_lo, s24
	s_cbranch_vccnz .LBB214_1207
; %bb.1206:
	global_load_u8 v2, v[0:1], off
	s_and_not1_b32 s21, s21, exec_lo
	s_wait_loadcnt 0x0
	v_and_b32_e32 v2, 0x7f, v2
	s_delay_alu instid0(VALU_DEP_1) | instskip(SKIP_1) | instid1(SALU_CYCLE_1)
	v_cmp_ne_u16_e32 vcc_lo, 0, v2
	s_and_b32 s24, vcc_lo, exec_lo
	s_or_b32 s21, s21, s24
.LBB214_1207:
	s_mov_b32 s24, 0
.LBB214_1208:
	s_delay_alu instid0(SALU_CYCLE_1)
	s_and_not1_b32 vcc_lo, exec_lo, s24
	s_cbranch_vccnz .LBB214_1210
; %bb.1209:
	global_load_u8 v2, v[0:1], off
	s_and_not1_b32 s21, s21, exec_lo
	s_wait_loadcnt 0x0
	v_dual_lshlrev_b32 v3, 25, v2 :: v_dual_lshlrev_b32 v2, 8, v2
	s_delay_alu instid0(VALU_DEP_1) | instskip(NEXT) | instid1(VALU_DEP_2)
	v_cmp_gt_u32_e32 vcc_lo, 0x8000000, v3
	v_and_or_b32 v2, 0x7f00, v2, 0.5
	s_delay_alu instid0(VALU_DEP_1) | instskip(NEXT) | instid1(VALU_DEP_1)
	v_dual_lshrrev_b32 v4, 4, v3 :: v_dual_add_f32 v2, -0.5, v2
	v_or_b32_e32 v4, 0x70000000, v4
	s_delay_alu instid0(VALU_DEP_1) | instskip(NEXT) | instid1(VALU_DEP_1)
	v_mul_f32_e32 v4, 0x7800000, v4
	v_cndmask_b32_e32 v2, v4, v2, vcc_lo
	s_delay_alu instid0(VALU_DEP_1) | instskip(SKIP_1) | instid1(SALU_CYCLE_1)
	v_cmp_neq_f32_e32 vcc_lo, 0, v2
	s_and_b32 s24, vcc_lo, exec_lo
	s_or_b32 s21, s21, s24
.LBB214_1210:
	s_mov_b32 s24, -1
.LBB214_1211:
	s_and_not1_b32 vcc_lo, exec_lo, s25
	s_mov_b32 s25, 0
	s_cbranch_vccnz .LBB214_1220
; %bb.1212:
	s_cmp_gt_i32 s23, 14
	s_cbranch_scc0 .LBB214_1215
; %bb.1213:
	s_cmp_eq_u32 s23, 15
	s_cbranch_scc0 .LBB214_1216
; %bb.1214:
	global_load_u16 v2, v[0:1], off
	s_mov_b32 s22, 0
	s_mov_b32 s24, -1
	s_wait_loadcnt 0x0
	v_and_b32_e32 v2, 0x7fff, v2
	s_delay_alu instid0(VALU_DEP_1)
	v_cmp_ne_u16_e64 s21, 0, v2
	s_branch .LBB214_1218
.LBB214_1215:
	s_mov_b32 s25, -1
	s_branch .LBB214_1217
.LBB214_1216:
	s_mov_b32 s22, -1
.LBB214_1217:
                                        ; implicit-def: $sgpr21
.LBB214_1218:
	s_and_b32 vcc_lo, exec_lo, s25
	s_mov_b32 s25, 0
	s_cbranch_vccz .LBB214_1220
; %bb.1219:
	s_cmp_lg_u32 s23, 11
	s_mov_b32 s25, -1
	s_cselect_b32 s23, -1, 0
	s_and_not1_b32 s22, s22, exec_lo
	s_and_b32 s23, s23, exec_lo
	s_delay_alu instid0(SALU_CYCLE_1)
	s_or_b32 s22, s22, s23
.LBB214_1220:
	s_mov_b32 s23, 0
.LBB214_1221:
	s_delay_alu instid0(SALU_CYCLE_1)
	s_and_b32 s27, s23, exec_lo
	s_and_not1_b32 s19, s19, exec_lo
	s_and_b32 s23, s22, exec_lo
	s_and_b32 s24, s24, exec_lo
	s_and_b32 s22, s25, exec_lo
	s_or_b32 s19, s19, s23
	s_wait_xcnt 0x0
	s_or_b32 exec_lo, exec_lo, s0
	s_and_saveexec_b32 s0, s19
	s_cbranch_execz .LBB214_1161
.LBB214_1222:
	s_or_b32 s17, s17, exec_lo
	s_and_not1_b32 s24, s24, exec_lo
	s_and_not1_b32 s22, s22, exec_lo
	s_trap 2
	s_or_b32 exec_lo, exec_lo, s0
	s_and_saveexec_b32 s0, s22
	s_delay_alu instid0(SALU_CYCLE_1)
	s_xor_b32 s0, exec_lo, s0
	s_cbranch_execz .LBB214_1162
.LBB214_1223:
	global_load_u8 v2, v[0:1], off
	s_and_not1_b32 s19, s21, exec_lo
	s_or_b32 s24, s24, exec_lo
	s_wait_loadcnt 0x0
	v_cmp_ne_u16_e32 vcc_lo, 0, v2
	s_and_b32 s21, vcc_lo, exec_lo
	s_delay_alu instid0(SALU_CYCLE_1)
	s_or_b32 s21, s19, s21
	s_wait_xcnt 0x0
	s_or_b32 exec_lo, exec_lo, s0
	s_and_saveexec_b32 s19, s27
	s_cbranch_execz .LBB214_1269
.LBB214_1224:
	s_sext_i32_i16 s0, s20
	s_delay_alu instid0(SALU_CYCLE_1)
	s_cmp_lt_i32 s0, 5
	s_cbranch_scc1 .LBB214_1229
; %bb.1225:
	s_cmp_lt_i32 s0, 8
	s_cbranch_scc1 .LBB214_1230
; %bb.1226:
	;; [unrolled: 3-line block ×3, first 2 shown]
	s_cmp_gt_i32 s0, 9
	s_cbranch_scc0 .LBB214_1232
; %bb.1228:
	global_load_b128 v[2:5], v[0:1], off
	s_mov_b32 s22, 0
	s_wait_loadcnt 0x0
	v_cmp_neq_f64_e32 vcc_lo, 0, v[2:3]
	v_cmp_neq_f64_e64 s0, 0, v[4:5]
	s_or_b32 s0, vcc_lo, s0
	s_branch .LBB214_1233
.LBB214_1229:
                                        ; implicit-def: $sgpr0
	s_branch .LBB214_1250
.LBB214_1230:
                                        ; implicit-def: $sgpr0
	s_branch .LBB214_1239
.LBB214_1231:
	s_mov_b32 s22, -1
                                        ; implicit-def: $sgpr0
	s_branch .LBB214_1236
.LBB214_1232:
	s_mov_b32 s22, -1
                                        ; implicit-def: $sgpr0
.LBB214_1233:
	s_delay_alu instid0(SALU_CYCLE_1)
	s_and_not1_b32 vcc_lo, exec_lo, s22
	s_cbranch_vccnz .LBB214_1235
; %bb.1234:
	global_load_b64 v[2:3], v[0:1], off
	s_and_not1_b32 s0, s0, exec_lo
	s_wait_loadcnt 0x0
	v_bitop3_b32 v2, v2, 0x7fffffff, v3 bitop3:0xc8
	s_delay_alu instid0(VALU_DEP_1) | instskip(SKIP_1) | instid1(SALU_CYCLE_1)
	v_cmp_ne_u32_e32 vcc_lo, 0, v2
	s_and_b32 s22, vcc_lo, exec_lo
	s_or_b32 s0, s0, s22
.LBB214_1235:
	s_mov_b32 s22, 0
.LBB214_1236:
	s_delay_alu instid0(SALU_CYCLE_1)
	s_and_not1_b32 vcc_lo, exec_lo, s22
	s_cbranch_vccnz .LBB214_1238
; %bb.1237:
	global_load_b32 v2, v[0:1], off
	s_and_not1_b32 s0, s0, exec_lo
	s_wait_loadcnt 0x0
	v_and_b32_e32 v2, 0x7fff7fff, v2
	s_delay_alu instid0(VALU_DEP_1) | instskip(SKIP_1) | instid1(SALU_CYCLE_1)
	v_cmp_ne_u32_e32 vcc_lo, 0, v2
	s_and_b32 s22, vcc_lo, exec_lo
	s_or_b32 s0, s0, s22
.LBB214_1238:
	s_cbranch_execnz .LBB214_1249
.LBB214_1239:
	s_sext_i32_i16 s0, s20
	s_delay_alu instid0(SALU_CYCLE_1)
	s_cmp_lt_i32 s0, 6
	s_cbranch_scc1 .LBB214_1242
; %bb.1240:
	s_cmp_gt_i32 s0, 6
	s_cbranch_scc0 .LBB214_1243
; %bb.1241:
	global_load_b64 v[2:3], v[0:1], off
	s_mov_b32 s22, 0
	s_wait_loadcnt 0x0
	v_cmp_neq_f64_e64 s0, 0, v[2:3]
	s_branch .LBB214_1244
.LBB214_1242:
	s_mov_b32 s22, -1
                                        ; implicit-def: $sgpr0
	s_branch .LBB214_1247
.LBB214_1243:
	s_mov_b32 s22, -1
                                        ; implicit-def: $sgpr0
.LBB214_1244:
	s_delay_alu instid0(SALU_CYCLE_1)
	s_and_not1_b32 vcc_lo, exec_lo, s22
	s_cbranch_vccnz .LBB214_1246
; %bb.1245:
	global_load_b32 v2, v[0:1], off
	s_and_not1_b32 s0, s0, exec_lo
	s_wait_loadcnt 0x0
	v_cmp_neq_f32_e32 vcc_lo, 0, v2
	s_and_b32 s22, vcc_lo, exec_lo
	s_delay_alu instid0(SALU_CYCLE_1)
	s_or_b32 s0, s0, s22
.LBB214_1246:
	s_mov_b32 s22, 0
.LBB214_1247:
	s_delay_alu instid0(SALU_CYCLE_1)
	s_and_not1_b32 vcc_lo, exec_lo, s22
	s_cbranch_vccnz .LBB214_1249
; %bb.1248:
	global_load_u16 v2, v[0:1], off
	s_and_not1_b32 s0, s0, exec_lo
	s_wait_loadcnt 0x0
	v_and_b32_e32 v2, 0x7fff, v2
	s_delay_alu instid0(VALU_DEP_1) | instskip(SKIP_1) | instid1(SALU_CYCLE_1)
	v_cmp_ne_u16_e32 vcc_lo, 0, v2
	s_and_b32 s22, vcc_lo, exec_lo
	s_or_b32 s0, s0, s22
.LBB214_1249:
	s_cbranch_execnz .LBB214_1268
.LBB214_1250:
	s_sext_i32_i16 s0, s20
	s_delay_alu instid0(SALU_CYCLE_1)
	s_cmp_lt_i32 s0, 2
	s_cbranch_scc1 .LBB214_1254
; %bb.1251:
	s_cmp_lt_i32 s0, 3
	s_cbranch_scc1 .LBB214_1255
; %bb.1252:
	s_cmp_gt_i32 s0, 3
	s_cbranch_scc0 .LBB214_1256
; %bb.1253:
	global_load_b64 v[2:3], v[0:1], off
	s_mov_b32 s22, 0
	s_wait_loadcnt 0x0
	v_cmp_ne_u64_e64 s0, 0, v[2:3]
	s_branch .LBB214_1257
.LBB214_1254:
                                        ; implicit-def: $sgpr0
	s_branch .LBB214_1263
.LBB214_1255:
	s_mov_b32 s22, -1
                                        ; implicit-def: $sgpr0
	s_branch .LBB214_1260
.LBB214_1256:
	s_mov_b32 s22, -1
                                        ; implicit-def: $sgpr0
.LBB214_1257:
	s_delay_alu instid0(SALU_CYCLE_1)
	s_and_not1_b32 vcc_lo, exec_lo, s22
	s_cbranch_vccnz .LBB214_1259
; %bb.1258:
	global_load_b32 v2, v[0:1], off
	s_and_not1_b32 s0, s0, exec_lo
	s_wait_loadcnt 0x0
	v_cmp_ne_u32_e32 vcc_lo, 0, v2
	s_and_b32 s22, vcc_lo, exec_lo
	s_delay_alu instid0(SALU_CYCLE_1)
	s_or_b32 s0, s0, s22
.LBB214_1259:
	s_mov_b32 s22, 0
.LBB214_1260:
	s_delay_alu instid0(SALU_CYCLE_1)
	s_and_not1_b32 vcc_lo, exec_lo, s22
	s_cbranch_vccnz .LBB214_1262
; %bb.1261:
	global_load_u16 v2, v[0:1], off
	s_and_not1_b32 s0, s0, exec_lo
	s_wait_loadcnt 0x0
	v_cmp_ne_u16_e32 vcc_lo, 0, v2
	s_and_b32 s22, vcc_lo, exec_lo
	s_delay_alu instid0(SALU_CYCLE_1)
	s_or_b32 s0, s0, s22
.LBB214_1262:
	s_cbranch_execnz .LBB214_1268
.LBB214_1263:
	s_sext_i32_i16 s0, s20
	s_mov_b32 s20, 0
	s_cmp_gt_i32 s0, 0
	s_cbranch_scc0 .LBB214_1265
; %bb.1264:
	global_load_u8 v2, v[0:1], off
	s_wait_loadcnt 0x0
	v_cmp_ne_u16_e64 s0, 0, v2
	s_branch .LBB214_1266
.LBB214_1265:
	s_mov_b32 s20, -1
                                        ; implicit-def: $sgpr0
.LBB214_1266:
	s_delay_alu instid0(SALU_CYCLE_1)
	s_and_not1_b32 vcc_lo, exec_lo, s20
	s_cbranch_vccnz .LBB214_1268
; %bb.1267:
	global_load_u8 v0, v[0:1], off
	s_and_not1_b32 s0, s0, exec_lo
	s_wait_loadcnt 0x0
	v_cmp_ne_u16_e32 vcc_lo, 0, v0
	s_and_b32 s20, vcc_lo, exec_lo
	s_delay_alu instid0(SALU_CYCLE_1)
	s_or_b32 s0, s0, s20
.LBB214_1268:
	s_and_not1_b32 s20, s21, exec_lo
	s_delay_alu instid0(VALU_DEP_1)
	s_and_b32 s0, s0, exec_lo
	s_or_b32 s24, s24, exec_lo
	s_or_b32 s21, s20, s0
.LBB214_1269:
	s_wait_xcnt 0x0
	s_or_b32 exec_lo, exec_lo, s19
	s_mov_b32 s0, 0
	s_mov_b32 s23, 0
                                        ; implicit-def: $sgpr19
                                        ; implicit-def: $sgpr20
                                        ; implicit-def: $vgpr0_vgpr1
	s_and_saveexec_b32 s22, s24
	s_cbranch_execnz .LBB214_1273
; %bb.1270:
	s_or_b32 exec_lo, exec_lo, s22
	s_and_saveexec_b32 s16, s18
	s_cbranch_execnz .LBB214_1350
.LBB214_1271:
	s_or_b32 exec_lo, exec_lo, s16
	s_and_saveexec_b32 s16, s0
	s_delay_alu instid0(SALU_CYCLE_1)
	s_xor_b32 s0, exec_lo, s16
	s_cbranch_execnz .LBB214_1351
.LBB214_1272:
	s_or_b32 exec_lo, exec_lo, s0
	s_and_saveexec_b32 s0, s23
	s_delay_alu instid0(SALU_CYCLE_1)
	s_xor_b32 s0, exec_lo, s0
	s_cbranch_execnz .LBB214_1352
	s_branch .LBB214_1389
.LBB214_1273:
	v_mul_lo_u32 v0, v6, s8
	s_xor_b32 s0, s26, s21
	s_and_b32 s20, s12, 0xff
	s_xor_b32 s19, s16, s0
	s_cmp_lt_i32 s20, 11
	s_delay_alu instid0(VALU_DEP_1) | instskip(NEXT) | instid1(VALU_DEP_1)
	v_ashrrev_i32_e32 v1, 31, v0
	v_add_nc_u64_e32 v[0:1], s[4:5], v[0:1]
	s_cbranch_scc1 .LBB214_1280
; %bb.1274:
	s_and_b32 s16, 0xffff, s20
	s_mov_b32 s21, -1
	s_cmp_gt_i32 s16, 25
	s_mov_b32 s0, s18
	s_cbranch_scc0 .LBB214_1308
; %bb.1275:
	s_cmp_gt_i32 s16, 28
	s_mov_b32 s0, s18
	s_cbranch_scc0 .LBB214_1292
; %bb.1276:
	;; [unrolled: 4-line block ×4, first 2 shown]
	s_cmp_eq_u32 s16, 46
	s_mov_b32 s0, -1
	s_cbranch_scc0 .LBB214_1281
; %bb.1279:
	v_cndmask_b32_e64 v2, 0, 1.0, s19
	s_mov_b32 s0, 0
	s_mov_b32 s21, 0
	s_delay_alu instid0(VALU_DEP_1) | instskip(NEXT) | instid1(VALU_DEP_1)
	v_bfe_u32 v3, v2, 16, 1
	v_add3_u32 v2, v2, v3, 0x7fff
	s_delay_alu instid0(VALU_DEP_1)
	v_lshrrev_b32_e32 v2, 16, v2
	global_store_b32 v[0:1], v2, off
	s_branch .LBB214_1282
.LBB214_1280:
	s_mov_b32 s24, 0
	s_mov_b32 s21, -1
	s_mov_b32 s0, s18
	s_branch .LBB214_1349
.LBB214_1281:
	s_mov_b32 s21, 0
.LBB214_1282:
	s_delay_alu instid0(SALU_CYCLE_1)
	s_and_b32 vcc_lo, exec_lo, s21
	s_cbranch_vccz .LBB214_1287
; %bb.1283:
	s_cmp_eq_u32 s16, 44
	s_mov_b32 s0, -1
	s_cbranch_scc0 .LBB214_1287
; %bb.1284:
	v_cndmask_b32_e64 v4, 0, 1.0, s19
	s_mov_b32 s21, exec_lo
	s_wait_xcnt 0x0
	s_delay_alu instid0(VALU_DEP_1) | instskip(NEXT) | instid1(VALU_DEP_1)
	v_dual_mov_b32 v3, 0xff :: v_dual_lshrrev_b32 v2, 23, v4
	v_cmpx_ne_u32_e32 0xff, v2
; %bb.1285:
	v_and_b32_e32 v3, 0x400000, v4
	v_and_or_b32 v4, 0x3fffff, v4, v2
	s_delay_alu instid0(VALU_DEP_2) | instskip(NEXT) | instid1(VALU_DEP_2)
	v_cmp_ne_u32_e32 vcc_lo, 0, v3
	v_cmp_ne_u32_e64 s0, 0, v4
	s_and_b32 s0, vcc_lo, s0
	s_delay_alu instid0(SALU_CYCLE_1) | instskip(NEXT) | instid1(VALU_DEP_1)
	v_cndmask_b32_e64 v3, 0, 1, s0
	v_add_nc_u32_e32 v3, v2, v3
; %bb.1286:
	s_or_b32 exec_lo, exec_lo, s21
	s_mov_b32 s0, 0
	global_store_b8 v[0:1], v3, off
.LBB214_1287:
	s_mov_b32 s21, 0
.LBB214_1288:
	s_delay_alu instid0(SALU_CYCLE_1)
	s_and_b32 vcc_lo, exec_lo, s21
	s_cbranch_vccz .LBB214_1291
; %bb.1289:
	s_cmp_eq_u32 s16, 29
	s_mov_b32 s0, -1
	s_cbranch_scc0 .LBB214_1291
; %bb.1290:
	s_mov_b32 s0, 0
	s_wait_xcnt 0x0
	v_cndmask_b32_e64 v2, 0, 1, s19
	v_mov_b32_e32 v3, s0
	s_mov_b32 s21, 0
	global_store_b64 v[0:1], v[2:3], off
	s_branch .LBB214_1292
.LBB214_1291:
	s_mov_b32 s21, 0
.LBB214_1292:
	s_delay_alu instid0(SALU_CYCLE_1)
	s_and_b32 vcc_lo, exec_lo, s21
	s_cbranch_vccz .LBB214_1307
; %bb.1293:
	s_cmp_lt_i32 s16, 27
	s_mov_b32 s21, -1
	s_cbranch_scc1 .LBB214_1299
; %bb.1294:
	s_wait_xcnt 0x0
	v_cndmask_b32_e64 v2, 0, 1, s19
	s_cmp_gt_i32 s16, 27
	s_cbranch_scc0 .LBB214_1296
; %bb.1295:
	s_mov_b32 s21, 0
	global_store_b32 v[0:1], v2, off
.LBB214_1296:
	s_and_not1_b32 vcc_lo, exec_lo, s21
	s_cbranch_vccnz .LBB214_1298
; %bb.1297:
	global_store_b16 v[0:1], v2, off
.LBB214_1298:
	s_mov_b32 s21, 0
.LBB214_1299:
	s_delay_alu instid0(SALU_CYCLE_1)
	s_and_not1_b32 vcc_lo, exec_lo, s21
	s_cbranch_vccnz .LBB214_1307
; %bb.1300:
	s_wait_xcnt 0x0
	v_cndmask_b32_e64 v3, 0, 1.0, s19
	v_mov_b32_e32 v4, 0x80
	s_mov_b32 s21, exec_lo
	s_delay_alu instid0(VALU_DEP_2)
	v_cmpx_gt_u32_e32 0x43800000, v3
	s_cbranch_execz .LBB214_1306
; %bb.1301:
	s_mov_b32 s24, exec_lo
                                        ; implicit-def: $vgpr2
	v_cmpx_lt_u32_e32 0x3bffffff, v3
	s_xor_b32 s24, exec_lo, s24
	s_cbranch_execnz .LBB214_1510
; %bb.1302:
	s_and_not1_saveexec_b32 s24, s24
	s_cbranch_execnz .LBB214_1511
.LBB214_1303:
	s_or_b32 exec_lo, exec_lo, s24
	v_mov_b32_e32 v4, 0
	s_and_saveexec_b32 s24, s23
.LBB214_1304:
	v_mov_b32_e32 v4, v2
.LBB214_1305:
	s_or_b32 exec_lo, exec_lo, s24
.LBB214_1306:
	s_delay_alu instid0(SALU_CYCLE_1)
	s_or_b32 exec_lo, exec_lo, s21
	global_store_b8 v[0:1], v4, off
.LBB214_1307:
	s_mov_b32 s21, 0
.LBB214_1308:
	s_delay_alu instid0(SALU_CYCLE_1)
	s_and_b32 vcc_lo, exec_lo, s21
	s_mov_b32 s21, 0
	s_cbranch_vccz .LBB214_1348
; %bb.1309:
	s_cmp_gt_i32 s16, 22
	s_mov_b32 s23, -1
	s_cbranch_scc0 .LBB214_1341
; %bb.1310:
	s_cmp_lt_i32 s16, 24
	s_cbranch_scc1 .LBB214_1330
; %bb.1311:
	s_cmp_gt_i32 s16, 24
	s_cbranch_scc0 .LBB214_1319
; %bb.1312:
	s_wait_xcnt 0x0
	v_cndmask_b32_e64 v3, 0, 1.0, s19
	v_mov_b32_e32 v4, 0x80
	s_mov_b32 s23, exec_lo
	s_delay_alu instid0(VALU_DEP_2)
	v_cmpx_gt_u32_e32 0x47800000, v3
	s_cbranch_execz .LBB214_1318
; %bb.1313:
	s_mov_b32 s24, 0
	s_mov_b32 s25, exec_lo
                                        ; implicit-def: $vgpr2
	v_cmpx_lt_u32_e32 0x37ffffff, v3
	s_xor_b32 s25, exec_lo, s25
	s_cbranch_execnz .LBB214_1622
; %bb.1314:
	s_and_not1_saveexec_b32 s25, s25
	s_cbranch_execnz .LBB214_1623
.LBB214_1315:
	s_or_b32 exec_lo, exec_lo, s25
	v_mov_b32_e32 v4, 0
	s_and_saveexec_b32 s25, s24
.LBB214_1316:
	v_mov_b32_e32 v4, v2
.LBB214_1317:
	s_or_b32 exec_lo, exec_lo, s25
.LBB214_1318:
	s_delay_alu instid0(SALU_CYCLE_1)
	s_or_b32 exec_lo, exec_lo, s23
	s_mov_b32 s23, 0
	global_store_b8 v[0:1], v4, off
.LBB214_1319:
	s_and_b32 vcc_lo, exec_lo, s23
	s_cbranch_vccz .LBB214_1329
; %bb.1320:
	s_wait_xcnt 0x0
	v_cndmask_b32_e64 v3, 0, 1.0, s19
	s_mov_b32 s23, exec_lo
                                        ; implicit-def: $vgpr2
	s_delay_alu instid0(VALU_DEP_1)
	v_cmpx_gt_u32_e32 0x43f00000, v3
	s_xor_b32 s23, exec_lo, s23
	s_cbranch_execz .LBB214_1326
; %bb.1321:
	s_mov_b32 s24, exec_lo
                                        ; implicit-def: $vgpr2
	v_cmpx_lt_u32_e32 0x3c7fffff, v3
	s_xor_b32 s24, exec_lo, s24
; %bb.1322:
	v_bfe_u32 v2, v3, 20, 1
	s_delay_alu instid0(VALU_DEP_1) | instskip(NEXT) | instid1(VALU_DEP_1)
	v_add3_u32 v2, v3, v2, 0x407ffff
	v_and_b32_e32 v3, 0xff00000, v2
	v_lshrrev_b32_e32 v2, 20, v2
	s_delay_alu instid0(VALU_DEP_2) | instskip(NEXT) | instid1(VALU_DEP_2)
	v_cmp_ne_u32_e32 vcc_lo, 0x7f00000, v3
                                        ; implicit-def: $vgpr3
	v_cndmask_b32_e32 v2, 0x7e, v2, vcc_lo
; %bb.1323:
	s_and_not1_saveexec_b32 s24, s24
; %bb.1324:
	v_add_f32_e32 v2, 0x46800000, v3
; %bb.1325:
	s_or_b32 exec_lo, exec_lo, s24
                                        ; implicit-def: $vgpr3
.LBB214_1326:
	s_and_not1_saveexec_b32 s23, s23
; %bb.1327:
	v_mov_b32_e32 v2, 0x7f
	v_cmp_lt_u32_e32 vcc_lo, 0x7f800000, v3
	s_delay_alu instid0(VALU_DEP_2)
	v_cndmask_b32_e32 v2, 0x7e, v2, vcc_lo
; %bb.1328:
	s_or_b32 exec_lo, exec_lo, s23
	global_store_b8 v[0:1], v2, off
.LBB214_1329:
	s_mov_b32 s23, 0
.LBB214_1330:
	s_delay_alu instid0(SALU_CYCLE_1)
	s_and_not1_b32 vcc_lo, exec_lo, s23
	s_cbranch_vccnz .LBB214_1340
; %bb.1331:
	s_wait_xcnt 0x0
	v_cndmask_b32_e64 v3, 0, 1.0, s19
	s_mov_b32 s23, exec_lo
                                        ; implicit-def: $vgpr2
	s_delay_alu instid0(VALU_DEP_1)
	v_cmpx_gt_u32_e32 0x47800000, v3
	s_xor_b32 s23, exec_lo, s23
	s_cbranch_execz .LBB214_1337
; %bb.1332:
	s_mov_b32 s24, exec_lo
                                        ; implicit-def: $vgpr2
	v_cmpx_lt_u32_e32 0x387fffff, v3
	s_xor_b32 s24, exec_lo, s24
; %bb.1333:
	v_bfe_u32 v2, v3, 21, 1
	s_delay_alu instid0(VALU_DEP_1) | instskip(NEXT) | instid1(VALU_DEP_1)
	v_add3_u32 v2, v3, v2, 0x80fffff
                                        ; implicit-def: $vgpr3
	v_lshrrev_b32_e32 v2, 21, v2
; %bb.1334:
	s_and_not1_saveexec_b32 s24, s24
; %bb.1335:
	v_add_f32_e32 v2, 0x43000000, v3
; %bb.1336:
	s_or_b32 exec_lo, exec_lo, s24
                                        ; implicit-def: $vgpr3
.LBB214_1337:
	s_and_not1_saveexec_b32 s23, s23
; %bb.1338:
	v_mov_b32_e32 v2, 0x7f
	v_cmp_lt_u32_e32 vcc_lo, 0x7f800000, v3
	s_delay_alu instid0(VALU_DEP_2)
	v_cndmask_b32_e32 v2, 0x7c, v2, vcc_lo
; %bb.1339:
	s_or_b32 exec_lo, exec_lo, s23
	global_store_b8 v[0:1], v2, off
.LBB214_1340:
	s_mov_b32 s23, 0
.LBB214_1341:
	s_delay_alu instid0(SALU_CYCLE_1)
	s_and_not1_b32 vcc_lo, exec_lo, s23
	s_mov_b32 s24, 0
	s_cbranch_vccnz .LBB214_1349
; %bb.1342:
	s_cmp_gt_i32 s16, 14
	s_mov_b32 s23, -1
	s_cbranch_scc0 .LBB214_1346
; %bb.1343:
	s_cmp_eq_u32 s16, 15
	s_mov_b32 s0, -1
	s_cbranch_scc0 .LBB214_1345
; %bb.1344:
	s_wait_xcnt 0x0
	v_cndmask_b32_e64 v2, 0, 1.0, s19
	s_mov_b32 s0, 0
	s_delay_alu instid0(VALU_DEP_1) | instskip(NEXT) | instid1(VALU_DEP_1)
	v_bfe_u32 v3, v2, 16, 1
	v_add3_u32 v2, v2, v3, 0x7fff
	global_store_d16_hi_b16 v[0:1], v2, off
.LBB214_1345:
	s_mov_b32 s23, 0
.LBB214_1346:
	s_delay_alu instid0(SALU_CYCLE_1)
	s_and_b32 vcc_lo, exec_lo, s23
	s_cbranch_vccz .LBB214_1349
; %bb.1347:
	s_cmp_lg_u32 s16, 11
	s_mov_b32 s24, -1
	s_cselect_b32 s16, -1, 0
	s_and_not1_b32 s0, s0, exec_lo
	s_and_b32 s16, s16, exec_lo
	s_delay_alu instid0(SALU_CYCLE_1)
	s_or_b32 s0, s0, s16
	s_branch .LBB214_1349
.LBB214_1348:
	s_mov_b32 s24, 0
.LBB214_1349:
	s_and_not1_b32 s16, s18, exec_lo
	s_and_b32 s18, s0, exec_lo
	s_and_b32 s23, s21, exec_lo
	;; [unrolled: 1-line block ×3, first 2 shown]
	s_or_b32 s18, s16, s18
	s_wait_xcnt 0x0
	s_or_b32 exec_lo, exec_lo, s22
	s_and_saveexec_b32 s16, s18
	s_cbranch_execz .LBB214_1271
.LBB214_1350:
	s_or_b32 s17, s17, exec_lo
	s_and_not1_b32 s0, s0, exec_lo
	s_trap 2
	s_or_b32 exec_lo, exec_lo, s16
	s_and_saveexec_b32 s16, s0
	s_delay_alu instid0(SALU_CYCLE_1)
	s_xor_b32 s0, exec_lo, s16
	s_cbranch_execz .LBB214_1272
.LBB214_1351:
	v_cndmask_b32_e64 v2, 0, 1, s19
	global_store_b8 v[0:1], v2, off
	s_wait_xcnt 0x0
	s_or_b32 exec_lo, exec_lo, s0
	s_and_saveexec_b32 s0, s23
	s_delay_alu instid0(SALU_CYCLE_1)
	s_xor_b32 s0, exec_lo, s0
	s_cbranch_execz .LBB214_1389
.LBB214_1352:
	s_sext_i32_i16 s18, s20
	s_mov_b32 s16, -1
	s_cmp_lt_i32 s18, 5
	s_cbranch_scc1 .LBB214_1373
; %bb.1353:
	s_cmp_lt_i32 s18, 8
	s_cbranch_scc1 .LBB214_1363
; %bb.1354:
	;; [unrolled: 3-line block ×3, first 2 shown]
	s_cmp_gt_i32 s18, 9
	s_cbranch_scc0 .LBB214_1357
; %bb.1356:
	v_cndmask_b32_e64 v2, 0, 1, s19
	v_mov_b32_e32 v4, 0
	s_mov_b32 s16, 0
	s_delay_alu instid0(VALU_DEP_2) | instskip(NEXT) | instid1(VALU_DEP_2)
	v_cvt_f64_u32_e32 v[2:3], v2
	v_mov_b32_e32 v5, v4
	global_store_b128 v[0:1], v[2:5], off
.LBB214_1357:
	s_and_not1_b32 vcc_lo, exec_lo, s16
	s_cbranch_vccnz .LBB214_1359
; %bb.1358:
	s_wait_xcnt 0x0
	v_cndmask_b32_e64 v2, 0, 1.0, s19
	v_mov_b32_e32 v3, 0
	global_store_b64 v[0:1], v[2:3], off
.LBB214_1359:
	s_mov_b32 s16, 0
.LBB214_1360:
	s_delay_alu instid0(SALU_CYCLE_1)
	s_and_not1_b32 vcc_lo, exec_lo, s16
	s_cbranch_vccnz .LBB214_1362
; %bb.1361:
	s_wait_xcnt 0x0
	v_cndmask_b32_e64 v2, 0, 1.0, s19
	s_delay_alu instid0(VALU_DEP_1) | instskip(NEXT) | instid1(VALU_DEP_1)
	v_cvt_f16_f32_e32 v2, v2
	v_and_b32_e32 v2, 0xffff, v2
	global_store_b32 v[0:1], v2, off
.LBB214_1362:
	s_mov_b32 s16, 0
.LBB214_1363:
	s_delay_alu instid0(SALU_CYCLE_1)
	s_and_not1_b32 vcc_lo, exec_lo, s16
	s_cbranch_vccnz .LBB214_1372
; %bb.1364:
	s_sext_i32_i16 s18, s20
	s_mov_b32 s16, -1
	s_cmp_lt_i32 s18, 6
	s_cbranch_scc1 .LBB214_1370
; %bb.1365:
	s_cmp_gt_i32 s18, 6
	s_cbranch_scc0 .LBB214_1367
; %bb.1366:
	s_wait_xcnt 0x0
	v_cndmask_b32_e64 v2, 0, 1, s19
	s_mov_b32 s16, 0
	s_delay_alu instid0(VALU_DEP_1)
	v_cvt_f64_u32_e32 v[2:3], v2
	global_store_b64 v[0:1], v[2:3], off
.LBB214_1367:
	s_and_not1_b32 vcc_lo, exec_lo, s16
	s_cbranch_vccnz .LBB214_1369
; %bb.1368:
	s_wait_xcnt 0x0
	v_cndmask_b32_e64 v2, 0, 1.0, s19
	global_store_b32 v[0:1], v2, off
.LBB214_1369:
	s_mov_b32 s16, 0
.LBB214_1370:
	s_delay_alu instid0(SALU_CYCLE_1)
	s_and_not1_b32 vcc_lo, exec_lo, s16
	s_cbranch_vccnz .LBB214_1372
; %bb.1371:
	s_wait_xcnt 0x0
	v_cndmask_b32_e64 v2, 0, 1.0, s19
	s_delay_alu instid0(VALU_DEP_1)
	v_cvt_f16_f32_e32 v2, v2
	global_store_b16 v[0:1], v2, off
.LBB214_1372:
	s_mov_b32 s16, 0
.LBB214_1373:
	s_delay_alu instid0(SALU_CYCLE_1)
	s_and_not1_b32 vcc_lo, exec_lo, s16
	s_cbranch_vccnz .LBB214_1389
; %bb.1374:
	s_sext_i32_i16 s18, s20
	s_mov_b32 s16, -1
	s_cmp_lt_i32 s18, 2
	s_cbranch_scc1 .LBB214_1384
; %bb.1375:
	s_cmp_lt_i32 s18, 3
	s_cbranch_scc1 .LBB214_1381
; %bb.1376:
	s_cmp_gt_i32 s18, 3
	s_cbranch_scc0 .LBB214_1378
; %bb.1377:
	s_mov_b32 s16, 0
	s_wait_xcnt 0x0
	v_cndmask_b32_e64 v2, 0, 1, s19
	v_mov_b32_e32 v3, s16
	global_store_b64 v[0:1], v[2:3], off
.LBB214_1378:
	s_and_not1_b32 vcc_lo, exec_lo, s16
	s_cbranch_vccnz .LBB214_1380
; %bb.1379:
	s_wait_xcnt 0x0
	v_cndmask_b32_e64 v2, 0, 1, s19
	global_store_b32 v[0:1], v2, off
.LBB214_1380:
	s_mov_b32 s16, 0
.LBB214_1381:
	s_delay_alu instid0(SALU_CYCLE_1)
	s_and_not1_b32 vcc_lo, exec_lo, s16
	s_cbranch_vccnz .LBB214_1383
; %bb.1382:
	s_wait_xcnt 0x0
	v_cndmask_b32_e64 v2, 0, 1, s19
	global_store_b16 v[0:1], v2, off
.LBB214_1383:
	s_mov_b32 s16, 0
.LBB214_1384:
	s_delay_alu instid0(SALU_CYCLE_1)
	s_and_not1_b32 vcc_lo, exec_lo, s16
	s_cbranch_vccnz .LBB214_1389
; %bb.1385:
	s_wait_xcnt 0x0
	v_cndmask_b32_e64 v2, 0, 1, s19
	s_sext_i32_i16 s16, s20
	s_delay_alu instid0(SALU_CYCLE_1)
	s_cmp_gt_i32 s16, 0
	s_mov_b32 s16, -1
	s_cbranch_scc0 .LBB214_1387
; %bb.1386:
	s_mov_b32 s16, 0
	global_store_b8 v[0:1], v2, off
.LBB214_1387:
	s_and_not1_b32 vcc_lo, exec_lo, s16
	s_cbranch_vccnz .LBB214_1389
; %bb.1388:
	global_store_b8 v[0:1], v2, off
.LBB214_1389:
	s_wait_xcnt 0x0
	s_or_b32 exec_lo, exec_lo, s0
	s_delay_alu instid0(SALU_CYCLE_1)
	s_and_b32 s16, s17, exec_lo
                                        ; implicit-def: $vgpr6
.LBB214_1390:
	s_or_saveexec_b32 s15, s15
	s_mov_b32 s0, 0
                                        ; implicit-def: $sgpr18
                                        ; implicit-def: $sgpr17
                                        ; implicit-def: $vgpr0_vgpr1
	s_xor_b32 exec_lo, exec_lo, s15
	s_cbranch_execz .LBB214_2727
; %bb.1391:
	v_mul_lo_u32 v0, s9, v6
	s_and_b32 s18, s14, 0xff
	s_delay_alu instid0(SALU_CYCLE_1) | instskip(NEXT) | instid1(VALU_DEP_1)
	s_cmp_lt_i32 s18, 11
	v_ashrrev_i32_e32 v1, 31, v0
	s_delay_alu instid0(VALU_DEP_1)
	v_add_nc_u64_e32 v[2:3], s[6:7], v[0:1]
	s_cbranch_scc1 .LBB214_1398
; %bb.1392:
	s_and_b32 s0, 0xffff, s18
	s_mov_b32 s19, 0
	s_cmp_gt_i32 s0, 25
	s_cbranch_scc0 .LBB214_1400
; %bb.1393:
	s_cmp_gt_i32 s0, 28
	s_cbranch_scc0 .LBB214_1401
; %bb.1394:
	;; [unrolled: 3-line block ×4, first 2 shown]
	s_cmp_eq_u32 s0, 46
	s_mov_b32 s20, 0
	s_cbranch_scc0 .LBB214_1404
; %bb.1397:
	global_load_b32 v1, v[2:3], off
	s_mov_b32 s17, -1
	s_wait_loadcnt 0x0
	v_and_b32_e32 v1, 0x7fff7fff, v1
	s_delay_alu instid0(VALU_DEP_1)
	v_cmp_ne_u32_e64 s14, 0, v1
	s_branch .LBB214_1406
.LBB214_1398:
	s_mov_b32 s17, 0
	s_mov_b32 s13, s16
                                        ; implicit-def: $sgpr14
	s_cbranch_execnz .LBB214_1451
.LBB214_1399:
	s_and_not1_b32 vcc_lo, exec_lo, s17
	s_cbranch_vccz .LBB214_1496
	s_branch .LBB214_2725
.LBB214_1400:
	s_mov_b32 s17, 0
                                        ; implicit-def: $sgpr14
	s_cbranch_execnz .LBB214_1426
	s_branch .LBB214_1447
.LBB214_1401:
	s_mov_b32 s20, -1
	s_mov_b32 s17, 0
                                        ; implicit-def: $sgpr14
	s_branch .LBB214_1413
.LBB214_1402:
	s_mov_b32 s17, 0
                                        ; implicit-def: $sgpr14
	s_cbranch_execnz .LBB214_1409
	s_branch .LBB214_1412
.LBB214_1403:
	s_mov_b32 s20, -1
	s_branch .LBB214_1405
.LBB214_1404:
	s_mov_b32 s13, -1
.LBB214_1405:
	s_mov_b32 s17, 0
                                        ; implicit-def: $sgpr14
.LBB214_1406:
	s_and_b32 vcc_lo, exec_lo, s20
	s_cbranch_vccz .LBB214_1408
; %bb.1407:
	s_cmp_lg_u32 s0, 44
	s_mov_b32 s17, -1
	s_cselect_b32 s13, -1, 0
	s_or_b32 s14, s14, exec_lo
.LBB214_1408:
	s_branch .LBB214_1412
.LBB214_1409:
	s_cmp_eq_u32 s0, 29
	s_cbranch_scc0 .LBB214_1411
; %bb.1410:
	global_load_b64 v[4:5], v[2:3], off
	s_mov_b32 s13, 0
	s_mov_b32 s17, -1
	s_mov_b32 s20, 0
	s_wait_loadcnt 0x0
	v_cmp_ne_u64_e64 s14, 0, v[4:5]
	s_branch .LBB214_1413
.LBB214_1411:
	s_mov_b32 s13, -1
                                        ; implicit-def: $sgpr14
.LBB214_1412:
	s_mov_b32 s20, 0
.LBB214_1413:
	s_delay_alu instid0(SALU_CYCLE_1)
	s_and_b32 vcc_lo, exec_lo, s20
	s_cbranch_vccz .LBB214_1425
; %bb.1414:
	s_cmp_lt_i32 s0, 27
	s_cbranch_scc1 .LBB214_1417
; %bb.1415:
	s_cmp_gt_i32 s0, 27
	s_cbranch_scc0 .LBB214_1418
; %bb.1416:
	global_load_b32 v1, v[2:3], off
	s_mov_b32 s17, 0
	s_wait_loadcnt 0x0
	v_cmp_ne_u32_e64 s14, 0, v1
	s_branch .LBB214_1419
.LBB214_1417:
	s_mov_b32 s17, -1
                                        ; implicit-def: $sgpr14
	s_branch .LBB214_1422
.LBB214_1418:
	s_mov_b32 s17, -1
                                        ; implicit-def: $sgpr14
.LBB214_1419:
	s_delay_alu instid0(SALU_CYCLE_1)
	s_and_not1_b32 vcc_lo, exec_lo, s17
	s_cbranch_vccnz .LBB214_1421
; %bb.1420:
	global_load_u16 v1, v[2:3], off
	s_and_not1_b32 s14, s14, exec_lo
	s_wait_loadcnt 0x0
	v_cmp_ne_u16_e32 vcc_lo, 0, v1
	s_and_b32 s17, vcc_lo, exec_lo
	s_delay_alu instid0(SALU_CYCLE_1)
	s_or_b32 s14, s14, s17
.LBB214_1421:
	s_mov_b32 s17, 0
.LBB214_1422:
	s_delay_alu instid0(SALU_CYCLE_1)
	s_and_not1_b32 vcc_lo, exec_lo, s17
	s_cbranch_vccnz .LBB214_1424
; %bb.1423:
	global_load_u8 v1, v[2:3], off
	s_and_not1_b32 s14, s14, exec_lo
	s_wait_loadcnt 0x0
	v_cmp_ne_u16_e32 vcc_lo, 0, v1
	s_and_b32 s17, vcc_lo, exec_lo
	s_delay_alu instid0(SALU_CYCLE_1)
	s_or_b32 s14, s14, s17
.LBB214_1424:
	s_mov_b32 s17, -1
.LBB214_1425:
	s_branch .LBB214_1447
.LBB214_1426:
	s_cmp_gt_i32 s0, 22
	s_cbranch_scc0 .LBB214_1430
; %bb.1427:
	s_cmp_lt_i32 s0, 24
	s_cbranch_scc1 .LBB214_1431
; %bb.1428:
	s_cmp_gt_i32 s0, 24
	s_cbranch_scc0 .LBB214_1432
; %bb.1429:
	global_load_u8 v1, v[2:3], off
	s_mov_b32 s17, 0
	s_wait_loadcnt 0x0
	v_cmp_ne_u16_e64 s14, 0, v1
	s_branch .LBB214_1433
.LBB214_1430:
                                        ; implicit-def: $sgpr14
	s_mov_b32 s19, 0
	s_branch .LBB214_1439
.LBB214_1431:
	s_mov_b32 s17, -1
                                        ; implicit-def: $sgpr14
	s_branch .LBB214_1436
.LBB214_1432:
	s_mov_b32 s17, -1
                                        ; implicit-def: $sgpr14
.LBB214_1433:
	s_delay_alu instid0(SALU_CYCLE_1)
	s_and_not1_b32 vcc_lo, exec_lo, s17
	s_cbranch_vccnz .LBB214_1435
; %bb.1434:
	global_load_u8 v1, v[2:3], off
	s_and_not1_b32 s14, s14, exec_lo
	s_wait_loadcnt 0x0
	v_and_b32_e32 v1, 0x7f, v1
	s_delay_alu instid0(VALU_DEP_1) | instskip(SKIP_1) | instid1(SALU_CYCLE_1)
	v_cmp_ne_u16_e32 vcc_lo, 0, v1
	s_and_b32 s17, vcc_lo, exec_lo
	s_or_b32 s14, s14, s17
.LBB214_1435:
	s_mov_b32 s17, 0
.LBB214_1436:
	s_delay_alu instid0(SALU_CYCLE_1)
	s_and_not1_b32 vcc_lo, exec_lo, s17
	s_cbranch_vccnz .LBB214_1438
; %bb.1437:
	global_load_u8 v1, v[2:3], off
	s_and_not1_b32 s14, s14, exec_lo
	s_wait_loadcnt 0x0
	v_dual_lshlrev_b32 v4, 25, v1 :: v_dual_lshlrev_b32 v1, 8, v1
	s_delay_alu instid0(VALU_DEP_1) | instskip(NEXT) | instid1(VALU_DEP_2)
	v_cmp_gt_u32_e32 vcc_lo, 0x8000000, v4
	v_and_or_b32 v1, 0x7f00, v1, 0.5
	s_delay_alu instid0(VALU_DEP_1) | instskip(NEXT) | instid1(VALU_DEP_1)
	v_dual_lshrrev_b32 v5, 4, v4 :: v_dual_add_f32 v1, -0.5, v1
	v_or_b32_e32 v5, 0x70000000, v5
	s_delay_alu instid0(VALU_DEP_1) | instskip(NEXT) | instid1(VALU_DEP_1)
	v_mul_f32_e32 v5, 0x7800000, v5
	v_cndmask_b32_e32 v1, v5, v1, vcc_lo
	s_delay_alu instid0(VALU_DEP_1) | instskip(SKIP_1) | instid1(SALU_CYCLE_1)
	v_cmp_neq_f32_e32 vcc_lo, 0, v1
	s_and_b32 s17, vcc_lo, exec_lo
	s_or_b32 s14, s14, s17
.LBB214_1438:
	s_mov_b32 s17, -1
	s_and_not1_b32 vcc_lo, exec_lo, s19
	s_mov_b32 s19, 0
	s_cbranch_vccnz .LBB214_1447
.LBB214_1439:
	s_cmp_gt_i32 s0, 14
	s_cbranch_scc0 .LBB214_1442
; %bb.1440:
	s_cmp_eq_u32 s0, 15
	s_cbranch_scc0 .LBB214_1443
; %bb.1441:
	global_load_u16 v1, v[2:3], off
	s_mov_b32 s13, 0
	s_mov_b32 s17, -1
	s_wait_loadcnt 0x0
	v_and_b32_e32 v1, 0x7fff, v1
	s_delay_alu instid0(VALU_DEP_1)
	v_cmp_ne_u16_e64 s14, 0, v1
	s_branch .LBB214_1445
.LBB214_1442:
	s_mov_b32 s19, -1
	s_branch .LBB214_1444
.LBB214_1443:
	s_mov_b32 s13, -1
.LBB214_1444:
                                        ; implicit-def: $sgpr14
.LBB214_1445:
	s_and_b32 vcc_lo, exec_lo, s19
	s_mov_b32 s19, 0
	s_cbranch_vccz .LBB214_1447
; %bb.1446:
	s_cmp_lg_u32 s0, 11
	s_mov_b32 s19, -1
	s_cselect_b32 s13, -1, 0
.LBB214_1447:
	s_delay_alu instid0(SALU_CYCLE_1)
	s_and_b32 vcc_lo, exec_lo, s13
	s_mov_b32 s13, s16
	s_cbranch_vccnz .LBB214_1508
; %bb.1448:
	s_and_not1_b32 vcc_lo, exec_lo, s19
	s_cbranch_vccnz .LBB214_1450
.LBB214_1449:
	global_load_u8 v1, v[2:3], off
	s_and_not1_b32 s0, s14, exec_lo
	s_mov_b32 s17, -1
	s_wait_loadcnt 0x0
	v_cmp_ne_u16_e32 vcc_lo, 0, v1
	s_and_b32 s14, vcc_lo, exec_lo
	s_delay_alu instid0(SALU_CYCLE_1)
	s_or_b32 s14, s0, s14
.LBB214_1450:
	s_branch .LBB214_1399
.LBB214_1451:
	s_and_b32 s17, 0xffff, s18
	s_delay_alu instid0(SALU_CYCLE_1)
	s_cmp_lt_i32 s17, 5
	s_cbranch_scc1 .LBB214_1456
; %bb.1452:
	s_cmp_lt_i32 s17, 8
	s_cbranch_scc1 .LBB214_1457
; %bb.1453:
	s_cmp_lt_i32 s17, 9
	s_cbranch_scc1 .LBB214_1458
; %bb.1454:
	s_cmp_gt_i32 s17, 9
	s_cbranch_scc0 .LBB214_1459
; %bb.1455:
	global_load_b128 v[8:11], v[2:3], off
	s_wait_loadcnt 0x0
	v_cmp_neq_f64_e32 vcc_lo, 0, v[8:9]
	v_cmp_neq_f64_e64 s0, 0, v[10:11]
	s_or_b32 s14, vcc_lo, s0
	s_mov_b32 s0, 0
	s_branch .LBB214_1460
.LBB214_1456:
                                        ; implicit-def: $sgpr14
	s_branch .LBB214_1477
.LBB214_1457:
                                        ; implicit-def: $sgpr14
	s_branch .LBB214_1466
.LBB214_1458:
	s_mov_b32 s0, -1
                                        ; implicit-def: $sgpr14
	s_branch .LBB214_1463
.LBB214_1459:
	s_mov_b32 s0, -1
                                        ; implicit-def: $sgpr14
.LBB214_1460:
	s_delay_alu instid0(SALU_CYCLE_1)
	s_and_not1_b32 vcc_lo, exec_lo, s0
	s_cbranch_vccnz .LBB214_1462
; %bb.1461:
	global_load_b64 v[4:5], v[2:3], off
	s_and_not1_b32 s0, s14, exec_lo
	s_wait_loadcnt 0x0
	v_bitop3_b32 v1, v4, 0x7fffffff, v5 bitop3:0xc8
	s_delay_alu instid0(VALU_DEP_1) | instskip(SKIP_1) | instid1(SALU_CYCLE_1)
	v_cmp_ne_u32_e32 vcc_lo, 0, v1
	s_and_b32 s14, vcc_lo, exec_lo
	s_or_b32 s14, s0, s14
.LBB214_1462:
	s_mov_b32 s0, 0
.LBB214_1463:
	s_delay_alu instid0(SALU_CYCLE_1)
	s_and_not1_b32 vcc_lo, exec_lo, s0
	s_cbranch_vccnz .LBB214_1465
; %bb.1464:
	global_load_b32 v1, v[2:3], off
	s_and_not1_b32 s0, s14, exec_lo
	s_wait_loadcnt 0x0
	v_and_b32_e32 v1, 0x7fff7fff, v1
	s_delay_alu instid0(VALU_DEP_1) | instskip(SKIP_1) | instid1(SALU_CYCLE_1)
	v_cmp_ne_u32_e32 vcc_lo, 0, v1
	s_and_b32 s14, vcc_lo, exec_lo
	s_or_b32 s14, s0, s14
.LBB214_1465:
	s_cbranch_execnz .LBB214_1476
.LBB214_1466:
	s_cmp_lt_i32 s17, 6
	s_cbranch_scc1 .LBB214_1469
; %bb.1467:
	s_cmp_gt_i32 s17, 6
	s_cbranch_scc0 .LBB214_1470
; %bb.1468:
	global_load_b64 v[4:5], v[2:3], off
	s_mov_b32 s0, 0
	s_wait_loadcnt 0x0
	v_cmp_neq_f64_e64 s14, 0, v[4:5]
	s_branch .LBB214_1471
.LBB214_1469:
	s_mov_b32 s0, -1
                                        ; implicit-def: $sgpr14
	s_branch .LBB214_1474
.LBB214_1470:
	s_mov_b32 s0, -1
                                        ; implicit-def: $sgpr14
.LBB214_1471:
	s_delay_alu instid0(SALU_CYCLE_1)
	s_and_not1_b32 vcc_lo, exec_lo, s0
	s_cbranch_vccnz .LBB214_1473
; %bb.1472:
	global_load_b32 v1, v[2:3], off
	s_and_not1_b32 s0, s14, exec_lo
	s_wait_loadcnt 0x0
	v_cmp_neq_f32_e32 vcc_lo, 0, v1
	s_and_b32 s14, vcc_lo, exec_lo
	s_delay_alu instid0(SALU_CYCLE_1)
	s_or_b32 s14, s0, s14
.LBB214_1473:
	s_mov_b32 s0, 0
.LBB214_1474:
	s_delay_alu instid0(SALU_CYCLE_1)
	s_and_not1_b32 vcc_lo, exec_lo, s0
	s_cbranch_vccnz .LBB214_1476
; %bb.1475:
	global_load_u16 v1, v[2:3], off
	s_and_not1_b32 s0, s14, exec_lo
	s_wait_loadcnt 0x0
	v_and_b32_e32 v1, 0x7fff, v1
	s_delay_alu instid0(VALU_DEP_1) | instskip(SKIP_1) | instid1(SALU_CYCLE_1)
	v_cmp_ne_u16_e32 vcc_lo, 0, v1
	s_and_b32 s14, vcc_lo, exec_lo
	s_or_b32 s14, s0, s14
.LBB214_1476:
	s_cbranch_execnz .LBB214_1495
.LBB214_1477:
	s_cmp_lt_i32 s17, 2
	s_cbranch_scc1 .LBB214_1481
; %bb.1478:
	s_cmp_lt_i32 s17, 3
	s_cbranch_scc1 .LBB214_1482
; %bb.1479:
	s_cmp_gt_i32 s17, 3
	s_cbranch_scc0 .LBB214_1483
; %bb.1480:
	global_load_b64 v[4:5], v[2:3], off
	s_mov_b32 s0, 0
	s_wait_loadcnt 0x0
	v_cmp_ne_u64_e64 s14, 0, v[4:5]
	s_branch .LBB214_1484
.LBB214_1481:
                                        ; implicit-def: $sgpr14
	s_branch .LBB214_1490
.LBB214_1482:
	s_mov_b32 s0, -1
                                        ; implicit-def: $sgpr14
	s_branch .LBB214_1487
.LBB214_1483:
	s_mov_b32 s0, -1
                                        ; implicit-def: $sgpr14
.LBB214_1484:
	s_delay_alu instid0(SALU_CYCLE_1)
	s_and_not1_b32 vcc_lo, exec_lo, s0
	s_cbranch_vccnz .LBB214_1486
; %bb.1485:
	global_load_b32 v1, v[2:3], off
	s_and_not1_b32 s0, s14, exec_lo
	s_wait_loadcnt 0x0
	v_cmp_ne_u32_e32 vcc_lo, 0, v1
	s_and_b32 s14, vcc_lo, exec_lo
	s_delay_alu instid0(SALU_CYCLE_1)
	s_or_b32 s14, s0, s14
.LBB214_1486:
	s_mov_b32 s0, 0
.LBB214_1487:
	s_delay_alu instid0(SALU_CYCLE_1)
	s_and_not1_b32 vcc_lo, exec_lo, s0
	s_cbranch_vccnz .LBB214_1489
; %bb.1488:
	global_load_u16 v1, v[2:3], off
	s_and_not1_b32 s0, s14, exec_lo
	s_wait_loadcnt 0x0
	v_cmp_ne_u16_e32 vcc_lo, 0, v1
	s_and_b32 s14, vcc_lo, exec_lo
	s_delay_alu instid0(SALU_CYCLE_1)
	s_or_b32 s14, s0, s14
.LBB214_1489:
	s_cbranch_execnz .LBB214_1495
.LBB214_1490:
	s_cmp_gt_i32 s17, 0
	s_mov_b32 s0, 0
	s_cbranch_scc0 .LBB214_1492
; %bb.1491:
	global_load_u8 v1, v[2:3], off
	s_wait_loadcnt 0x0
	v_cmp_ne_u16_e64 s14, 0, v1
	s_branch .LBB214_1493
.LBB214_1492:
	s_mov_b32 s0, -1
                                        ; implicit-def: $sgpr14
.LBB214_1493:
	s_delay_alu instid0(SALU_CYCLE_1)
	s_and_not1_b32 vcc_lo, exec_lo, s0
	s_cbranch_vccnz .LBB214_1495
; %bb.1494:
	global_load_u8 v1, v[2:3], off
	s_and_not1_b32 s0, s14, exec_lo
	s_wait_loadcnt 0x0
	v_cmp_ne_u16_e32 vcc_lo, 0, v1
	s_and_b32 s14, vcc_lo, exec_lo
	s_delay_alu instid0(SALU_CYCLE_1)
	s_or_b32 s14, s0, s14
.LBB214_1495:
.LBB214_1496:
	s_wait_xcnt 0x0
	v_mul_lo_u32 v2, s10, v6
	s_and_b32 s19, s1, 0xff
	s_delay_alu instid0(SALU_CYCLE_1) | instskip(NEXT) | instid1(VALU_DEP_1)
	s_cmp_lt_i32 s19, 11
	v_ashrrev_i32_e32 v3, 31, v2
	s_delay_alu instid0(VALU_DEP_1)
	v_add_nc_u64_e32 v[4:5], s[2:3], v[2:3]
	s_cbranch_scc1 .LBB214_1503
; %bb.1497:
	s_and_b32 s0, 0xffff, s19
	s_mov_b32 s21, 0
	s_cmp_gt_i32 s0, 25
	s_cbranch_scc0 .LBB214_1505
; %bb.1498:
	s_cmp_gt_i32 s0, 28
	s_cbranch_scc0 .LBB214_1506
; %bb.1499:
	;; [unrolled: 3-line block ×4, first 2 shown]
	s_cmp_eq_u32 s0, 46
	s_mov_b32 s22, 0
	s_cbranch_scc0 .LBB214_1512
; %bb.1502:
	global_load_b32 v1, v[4:5], off
	s_mov_b32 s1, 0
	s_mov_b32 s20, -1
	s_wait_loadcnt 0x0
	v_and_b32_e32 v1, 0x7fff7fff, v1
	s_delay_alu instid0(VALU_DEP_1)
	v_cmp_ne_u32_e64 s17, 0, v1
	s_branch .LBB214_1514
.LBB214_1503:
	s_mov_b32 s20, 0
                                        ; implicit-def: $sgpr17
	s_cbranch_execnz .LBB214_1561
.LBB214_1504:
	s_and_not1_b32 vcc_lo, exec_lo, s20
	s_cbranch_vccz .LBB214_1608
	s_branch .LBB214_2725
.LBB214_1505:
	s_mov_b32 s20, 0
	s_mov_b32 s1, 0
                                        ; implicit-def: $sgpr17
	s_cbranch_execnz .LBB214_1535
	s_branch .LBB214_1557
.LBB214_1506:
	s_mov_b32 s22, -1
	s_mov_b32 s20, 0
	s_mov_b32 s1, 0
                                        ; implicit-def: $sgpr17
	s_branch .LBB214_1522
.LBB214_1507:
	s_mov_b32 s22, -1
	s_mov_b32 s20, 0
	s_mov_b32 s1, 0
                                        ; implicit-def: $sgpr17
	s_branch .LBB214_1517
.LBB214_1508:
	s_mov_b32 s17, 0
	s_or_b32 s13, s16, exec_lo
	s_trap 2
	s_cbranch_execz .LBB214_1449
	s_branch .LBB214_1450
.LBB214_1509:
	s_mov_b32 s22, -1
	s_mov_b32 s20, 0
	s_mov_b32 s1, 0
	s_branch .LBB214_1513
.LBB214_1510:
	v_bfe_u32 v2, v3, 20, 1
	s_mov_b32 s23, exec_lo
	s_delay_alu instid0(VALU_DEP_1) | instskip(NEXT) | instid1(VALU_DEP_1)
	v_add3_u32 v2, v3, v2, 0x487ffff
                                        ; implicit-def: $vgpr3
	v_lshrrev_b32_e32 v2, 20, v2
	s_and_not1_saveexec_b32 s24, s24
	s_cbranch_execz .LBB214_1303
.LBB214_1511:
	v_add_f32_e32 v2, 0x46000000, v3
	s_and_not1_b32 s23, s23, exec_lo
	s_delay_alu instid0(VALU_DEP_1) | instskip(NEXT) | instid1(VALU_DEP_1)
	v_and_b32_e32 v2, 0xff, v2
	v_cmp_ne_u32_e32 vcc_lo, 0, v2
	s_and_b32 s25, vcc_lo, exec_lo
	s_delay_alu instid0(SALU_CYCLE_1)
	s_or_b32 s23, s23, s25
	s_or_b32 exec_lo, exec_lo, s24
	v_mov_b32_e32 v4, 0
	s_and_saveexec_b32 s24, s23
	s_cbranch_execnz .LBB214_1304
	s_branch .LBB214_1305
.LBB214_1512:
	s_mov_b32 s1, -1
	s_mov_b32 s20, 0
.LBB214_1513:
                                        ; implicit-def: $sgpr17
.LBB214_1514:
	s_and_b32 vcc_lo, exec_lo, s22
	s_cbranch_vccz .LBB214_1516
; %bb.1515:
	s_cmp_lg_u32 s0, 44
	s_mov_b32 s20, -1
	s_cselect_b32 s1, -1, 0
	s_or_b32 s17, s17, exec_lo
.LBB214_1516:
	s_mov_b32 s22, 0
.LBB214_1517:
	s_delay_alu instid0(SALU_CYCLE_1)
	s_and_b32 vcc_lo, exec_lo, s22
	s_cbranch_vccz .LBB214_1521
; %bb.1518:
	s_cmp_eq_u32 s0, 29
	s_cbranch_scc0 .LBB214_1520
; %bb.1519:
	global_load_b64 v[8:9], v[4:5], off
	s_mov_b32 s1, 0
	s_mov_b32 s20, -1
	s_mov_b32 s22, 0
	s_wait_loadcnt 0x0
	v_cmp_ne_u64_e64 s17, 0, v[8:9]
	s_branch .LBB214_1522
.LBB214_1520:
	s_mov_b32 s1, -1
                                        ; implicit-def: $sgpr17
.LBB214_1521:
	s_mov_b32 s22, 0
.LBB214_1522:
	s_delay_alu instid0(SALU_CYCLE_1)
	s_and_b32 vcc_lo, exec_lo, s22
	s_cbranch_vccz .LBB214_1534
; %bb.1523:
	s_cmp_lt_i32 s0, 27
	s_cbranch_scc1 .LBB214_1526
; %bb.1524:
	s_cmp_gt_i32 s0, 27
	s_cbranch_scc0 .LBB214_1527
; %bb.1525:
	global_load_b32 v1, v[4:5], off
	s_mov_b32 s20, 0
	s_wait_loadcnt 0x0
	v_cmp_ne_u32_e64 s17, 0, v1
	s_branch .LBB214_1528
.LBB214_1526:
	s_mov_b32 s20, -1
                                        ; implicit-def: $sgpr17
	s_branch .LBB214_1531
.LBB214_1527:
	s_mov_b32 s20, -1
                                        ; implicit-def: $sgpr17
.LBB214_1528:
	s_delay_alu instid0(SALU_CYCLE_1)
	s_and_not1_b32 vcc_lo, exec_lo, s20
	s_cbranch_vccnz .LBB214_1530
; %bb.1529:
	global_load_u16 v1, v[4:5], off
	s_and_not1_b32 s17, s17, exec_lo
	s_wait_loadcnt 0x0
	v_cmp_ne_u16_e32 vcc_lo, 0, v1
	s_and_b32 s20, vcc_lo, exec_lo
	s_delay_alu instid0(SALU_CYCLE_1)
	s_or_b32 s17, s17, s20
.LBB214_1530:
	s_mov_b32 s20, 0
.LBB214_1531:
	s_delay_alu instid0(SALU_CYCLE_1)
	s_and_not1_b32 vcc_lo, exec_lo, s20
	s_cbranch_vccnz .LBB214_1533
; %bb.1532:
	global_load_u8 v1, v[4:5], off
	s_and_not1_b32 s17, s17, exec_lo
	s_wait_loadcnt 0x0
	v_cmp_ne_u16_e32 vcc_lo, 0, v1
	s_and_b32 s20, vcc_lo, exec_lo
	s_delay_alu instid0(SALU_CYCLE_1)
	s_or_b32 s17, s17, s20
.LBB214_1533:
	s_mov_b32 s20, -1
.LBB214_1534:
	s_branch .LBB214_1557
.LBB214_1535:
	s_cmp_gt_i32 s0, 22
	s_cbranch_scc0 .LBB214_1539
; %bb.1536:
	s_cmp_lt_i32 s0, 24
	s_cbranch_scc1 .LBB214_1540
; %bb.1537:
	s_cmp_gt_i32 s0, 24
	s_cbranch_scc0 .LBB214_1541
; %bb.1538:
	global_load_u8 v1, v[4:5], off
	s_mov_b32 s20, 0
	s_wait_loadcnt 0x0
	v_cmp_ne_u16_e64 s17, 0, v1
	s_branch .LBB214_1542
.LBB214_1539:
	s_mov_b32 s21, -1
                                        ; implicit-def: $sgpr17
	s_branch .LBB214_1548
.LBB214_1540:
	s_mov_b32 s20, -1
                                        ; implicit-def: $sgpr17
	s_branch .LBB214_1545
.LBB214_1541:
	s_mov_b32 s20, -1
                                        ; implicit-def: $sgpr17
.LBB214_1542:
	s_delay_alu instid0(SALU_CYCLE_1)
	s_and_not1_b32 vcc_lo, exec_lo, s20
	s_cbranch_vccnz .LBB214_1544
; %bb.1543:
	global_load_u8 v1, v[4:5], off
	s_and_not1_b32 s17, s17, exec_lo
	s_wait_loadcnt 0x0
	v_and_b32_e32 v1, 0x7f, v1
	s_delay_alu instid0(VALU_DEP_1) | instskip(SKIP_1) | instid1(SALU_CYCLE_1)
	v_cmp_ne_u16_e32 vcc_lo, 0, v1
	s_and_b32 s20, vcc_lo, exec_lo
	s_or_b32 s17, s17, s20
.LBB214_1544:
	s_mov_b32 s20, 0
.LBB214_1545:
	s_delay_alu instid0(SALU_CYCLE_1)
	s_and_not1_b32 vcc_lo, exec_lo, s20
	s_cbranch_vccnz .LBB214_1547
; %bb.1546:
	global_load_u8 v1, v[4:5], off
	s_and_not1_b32 s17, s17, exec_lo
	s_wait_loadcnt 0x0
	v_dual_lshlrev_b32 v3, 25, v1 :: v_dual_lshlrev_b32 v1, 8, v1
	s_delay_alu instid0(VALU_DEP_1) | instskip(NEXT) | instid1(VALU_DEP_2)
	v_cmp_gt_u32_e32 vcc_lo, 0x8000000, v3
	v_and_or_b32 v1, 0x7f00, v1, 0.5
	s_delay_alu instid0(VALU_DEP_1) | instskip(NEXT) | instid1(VALU_DEP_1)
	v_dual_lshrrev_b32 v7, 4, v3 :: v_dual_add_f32 v1, -0.5, v1
	v_or_b32_e32 v7, 0x70000000, v7
	s_delay_alu instid0(VALU_DEP_1) | instskip(NEXT) | instid1(VALU_DEP_1)
	v_mul_f32_e32 v7, 0x7800000, v7
	v_cndmask_b32_e32 v1, v7, v1, vcc_lo
	s_delay_alu instid0(VALU_DEP_1) | instskip(SKIP_1) | instid1(SALU_CYCLE_1)
	v_cmp_neq_f32_e32 vcc_lo, 0, v1
	s_and_b32 s20, vcc_lo, exec_lo
	s_or_b32 s17, s17, s20
.LBB214_1547:
	s_mov_b32 s20, -1
.LBB214_1548:
	s_and_not1_b32 vcc_lo, exec_lo, s21
	s_mov_b32 s21, 0
	s_cbranch_vccnz .LBB214_1557
; %bb.1549:
	s_cmp_gt_i32 s0, 14
	s_cbranch_scc0 .LBB214_1552
; %bb.1550:
	s_cmp_eq_u32 s0, 15
	s_cbranch_scc0 .LBB214_1553
; %bb.1551:
	global_load_u16 v1, v[4:5], off
	s_mov_b32 s1, 0
	s_mov_b32 s20, -1
	s_wait_loadcnt 0x0
	v_and_b32_e32 v1, 0x7fff, v1
	s_delay_alu instid0(VALU_DEP_1)
	v_cmp_ne_u16_e64 s17, 0, v1
	s_branch .LBB214_1555
.LBB214_1552:
	s_mov_b32 s21, -1
	s_branch .LBB214_1554
.LBB214_1553:
	s_mov_b32 s1, -1
.LBB214_1554:
                                        ; implicit-def: $sgpr17
.LBB214_1555:
	s_and_b32 vcc_lo, exec_lo, s21
	s_mov_b32 s21, 0
	s_cbranch_vccz .LBB214_1557
; %bb.1556:
	s_cmp_lg_u32 s0, 11
	s_mov_b32 s21, -1
	s_cselect_b32 s1, -1, 0
.LBB214_1557:
	s_delay_alu instid0(SALU_CYCLE_1)
	s_and_b32 vcc_lo, exec_lo, s1
	s_cbranch_vccnz .LBB214_1620
; %bb.1558:
	s_and_not1_b32 vcc_lo, exec_lo, s21
	s_cbranch_vccnz .LBB214_1560
.LBB214_1559:
	global_load_u8 v1, v[4:5], off
	s_and_not1_b32 s0, s17, exec_lo
	s_mov_b32 s20, -1
	s_wait_loadcnt 0x0
	v_cmp_ne_u16_e32 vcc_lo, 0, v1
	s_and_b32 s1, vcc_lo, exec_lo
	s_delay_alu instid0(SALU_CYCLE_1)
	s_or_b32 s17, s0, s1
.LBB214_1560:
	s_branch .LBB214_1504
.LBB214_1561:
	s_and_b32 s1, 0xffff, s19
	s_delay_alu instid0(SALU_CYCLE_1)
	s_cmp_lt_i32 s1, 5
	s_cbranch_scc1 .LBB214_1566
; %bb.1562:
	s_cmp_lt_i32 s1, 8
	s_cbranch_scc1 .LBB214_1567
; %bb.1563:
	;; [unrolled: 3-line block ×3, first 2 shown]
	s_cmp_gt_i32 s1, 9
	s_cbranch_scc0 .LBB214_1569
; %bb.1565:
	global_load_b128 v[8:11], v[4:5], off
	s_wait_loadcnt 0x0
	v_cmp_neq_f64_e32 vcc_lo, 0, v[8:9]
	v_cmp_neq_f64_e64 s0, 0, v[10:11]
	s_or_b32 s17, vcc_lo, s0
	s_mov_b32 s0, 0
	s_branch .LBB214_1570
.LBB214_1566:
                                        ; implicit-def: $sgpr17
	s_branch .LBB214_1588
.LBB214_1567:
	s_mov_b32 s0, -1
                                        ; implicit-def: $sgpr17
	s_branch .LBB214_1576
.LBB214_1568:
	s_mov_b32 s0, -1
                                        ; implicit-def: $sgpr17
	s_branch .LBB214_1573
.LBB214_1569:
	s_mov_b32 s0, -1
                                        ; implicit-def: $sgpr17
.LBB214_1570:
	s_delay_alu instid0(SALU_CYCLE_1)
	s_and_not1_b32 vcc_lo, exec_lo, s0
	s_cbranch_vccnz .LBB214_1572
; %bb.1571:
	global_load_b64 v[8:9], v[4:5], off
	s_and_not1_b32 s0, s17, exec_lo
	s_wait_loadcnt 0x0
	v_bitop3_b32 v1, v8, 0x7fffffff, v9 bitop3:0xc8
	s_delay_alu instid0(VALU_DEP_1) | instskip(SKIP_1) | instid1(SALU_CYCLE_1)
	v_cmp_ne_u32_e32 vcc_lo, 0, v1
	s_and_b32 s17, vcc_lo, exec_lo
	s_or_b32 s17, s0, s17
.LBB214_1572:
	s_mov_b32 s0, 0
.LBB214_1573:
	s_delay_alu instid0(SALU_CYCLE_1)
	s_and_not1_b32 vcc_lo, exec_lo, s0
	s_cbranch_vccnz .LBB214_1575
; %bb.1574:
	global_load_b32 v1, v[4:5], off
	s_and_not1_b32 s0, s17, exec_lo
	s_wait_loadcnt 0x0
	v_and_b32_e32 v1, 0x7fff7fff, v1
	s_delay_alu instid0(VALU_DEP_1) | instskip(SKIP_1) | instid1(SALU_CYCLE_1)
	v_cmp_ne_u32_e32 vcc_lo, 0, v1
	s_and_b32 s17, vcc_lo, exec_lo
	s_or_b32 s17, s0, s17
.LBB214_1575:
	s_mov_b32 s0, 0
.LBB214_1576:
	s_delay_alu instid0(SALU_CYCLE_1)
	s_and_not1_b32 vcc_lo, exec_lo, s0
	s_cbranch_vccnz .LBB214_1587
; %bb.1577:
	s_cmp_lt_i32 s1, 6
	s_cbranch_scc1 .LBB214_1580
; %bb.1578:
	s_cmp_gt_i32 s1, 6
	s_cbranch_scc0 .LBB214_1581
; %bb.1579:
	global_load_b64 v[8:9], v[4:5], off
	s_mov_b32 s0, 0
	s_wait_loadcnt 0x0
	v_cmp_neq_f64_e64 s17, 0, v[8:9]
	s_branch .LBB214_1582
.LBB214_1580:
	s_mov_b32 s0, -1
                                        ; implicit-def: $sgpr17
	s_branch .LBB214_1585
.LBB214_1581:
	s_mov_b32 s0, -1
                                        ; implicit-def: $sgpr17
.LBB214_1582:
	s_delay_alu instid0(SALU_CYCLE_1)
	s_and_not1_b32 vcc_lo, exec_lo, s0
	s_cbranch_vccnz .LBB214_1584
; %bb.1583:
	global_load_b32 v1, v[4:5], off
	s_and_not1_b32 s0, s17, exec_lo
	s_wait_loadcnt 0x0
	v_cmp_neq_f32_e32 vcc_lo, 0, v1
	s_and_b32 s17, vcc_lo, exec_lo
	s_delay_alu instid0(SALU_CYCLE_1)
	s_or_b32 s17, s0, s17
.LBB214_1584:
	s_mov_b32 s0, 0
.LBB214_1585:
	s_delay_alu instid0(SALU_CYCLE_1)
	s_and_not1_b32 vcc_lo, exec_lo, s0
	s_cbranch_vccnz .LBB214_1587
; %bb.1586:
	global_load_u16 v1, v[4:5], off
	s_and_not1_b32 s0, s17, exec_lo
	s_wait_loadcnt 0x0
	v_and_b32_e32 v1, 0x7fff, v1
	s_delay_alu instid0(VALU_DEP_1) | instskip(SKIP_1) | instid1(SALU_CYCLE_1)
	v_cmp_ne_u16_e32 vcc_lo, 0, v1
	s_and_b32 s17, vcc_lo, exec_lo
	s_or_b32 s17, s0, s17
.LBB214_1587:
	s_cbranch_execnz .LBB214_1607
.LBB214_1588:
	s_cmp_lt_i32 s1, 2
	s_cbranch_scc1 .LBB214_1592
; %bb.1589:
	s_cmp_lt_i32 s1, 3
	s_cbranch_scc1 .LBB214_1593
; %bb.1590:
	s_cmp_gt_i32 s1, 3
	s_cbranch_scc0 .LBB214_1594
; %bb.1591:
	global_load_b64 v[8:9], v[4:5], off
	s_mov_b32 s0, 0
	s_wait_loadcnt 0x0
	v_cmp_ne_u64_e64 s17, 0, v[8:9]
	s_branch .LBB214_1595
.LBB214_1592:
	s_mov_b32 s0, -1
                                        ; implicit-def: $sgpr17
	s_branch .LBB214_1601
.LBB214_1593:
	s_mov_b32 s0, -1
                                        ; implicit-def: $sgpr17
	s_branch .LBB214_1598
.LBB214_1594:
	s_mov_b32 s0, -1
                                        ; implicit-def: $sgpr17
.LBB214_1595:
	s_delay_alu instid0(SALU_CYCLE_1)
	s_and_not1_b32 vcc_lo, exec_lo, s0
	s_cbranch_vccnz .LBB214_1597
; %bb.1596:
	global_load_b32 v1, v[4:5], off
	s_and_not1_b32 s0, s17, exec_lo
	s_wait_loadcnt 0x0
	v_cmp_ne_u32_e32 vcc_lo, 0, v1
	s_and_b32 s17, vcc_lo, exec_lo
	s_delay_alu instid0(SALU_CYCLE_1)
	s_or_b32 s17, s0, s17
.LBB214_1597:
	s_mov_b32 s0, 0
.LBB214_1598:
	s_delay_alu instid0(SALU_CYCLE_1)
	s_and_not1_b32 vcc_lo, exec_lo, s0
	s_cbranch_vccnz .LBB214_1600
; %bb.1599:
	global_load_u16 v1, v[4:5], off
	s_and_not1_b32 s0, s17, exec_lo
	s_wait_loadcnt 0x0
	v_cmp_ne_u16_e32 vcc_lo, 0, v1
	s_and_b32 s17, vcc_lo, exec_lo
	s_delay_alu instid0(SALU_CYCLE_1)
	s_or_b32 s17, s0, s17
.LBB214_1600:
	s_mov_b32 s0, 0
.LBB214_1601:
	s_delay_alu instid0(SALU_CYCLE_1)
	s_and_not1_b32 vcc_lo, exec_lo, s0
	s_cbranch_vccnz .LBB214_1607
; %bb.1602:
	s_cmp_gt_i32 s1, 0
	s_mov_b32 s0, 0
	s_cbranch_scc0 .LBB214_1604
; %bb.1603:
	global_load_u8 v1, v[4:5], off
	s_wait_loadcnt 0x0
	v_cmp_ne_u16_e64 s17, 0, v1
	s_branch .LBB214_1605
.LBB214_1604:
	s_mov_b32 s0, -1
                                        ; implicit-def: $sgpr17
.LBB214_1605:
	s_delay_alu instid0(SALU_CYCLE_1)
	s_and_not1_b32 vcc_lo, exec_lo, s0
	s_cbranch_vccnz .LBB214_1607
; %bb.1606:
	global_load_u8 v1, v[4:5], off
	s_and_not1_b32 s0, s17, exec_lo
	s_wait_loadcnt 0x0
	v_cmp_ne_u16_e32 vcc_lo, 0, v1
	s_and_b32 s1, vcc_lo, exec_lo
	s_delay_alu instid0(SALU_CYCLE_1)
	s_or_b32 s17, s0, s1
.LBB214_1607:
.LBB214_1608:
	s_lshl_b32 s21, s9, 7
	s_cmp_lt_i32 s18, 11
	v_add_nc_u32_e32 v0, s21, v0
	s_delay_alu instid0(VALU_DEP_1) | instskip(SKIP_1) | instid1(VALU_DEP_1)
	v_ashrrev_i32_e32 v1, 31, v0
	s_wait_xcnt 0x0
	v_add_nc_u64_e32 v[4:5], s[6:7], v[0:1]
	s_cbranch_scc1 .LBB214_1615
; %bb.1609:
	s_and_b32 s0, 0xffff, s18
	s_mov_b32 s22, 0
	s_cmp_gt_i32 s0, 25
	s_cbranch_scc0 .LBB214_1617
; %bb.1610:
	s_cmp_gt_i32 s0, 28
	s_cbranch_scc0 .LBB214_1618
; %bb.1611:
	;; [unrolled: 3-line block ×4, first 2 shown]
	s_cmp_eq_u32 s0, 46
	s_mov_b32 s23, 0
	s_cbranch_scc0 .LBB214_1624
; %bb.1614:
	global_load_b32 v1, v[4:5], off
	s_mov_b32 s9, 0
	s_mov_b32 s20, -1
	s_wait_loadcnt 0x0
	v_and_b32_e32 v1, 0x7fff7fff, v1
	s_delay_alu instid0(VALU_DEP_1)
	v_cmp_ne_u32_e64 s1, 0, v1
	s_branch .LBB214_1626
.LBB214_1615:
	s_mov_b32 s20, 0
                                        ; implicit-def: $sgpr1
	s_cbranch_execnz .LBB214_1674
.LBB214_1616:
	s_and_not1_b32 vcc_lo, exec_lo, s20
	s_cbranch_vccz .LBB214_1722
	s_branch .LBB214_2725
.LBB214_1617:
	s_mov_b32 s23, -1
	s_mov_b32 s20, 0
	s_mov_b32 s9, 0
                                        ; implicit-def: $sgpr1
	s_branch .LBB214_1647
.LBB214_1618:
	s_mov_b32 s23, -1
	s_mov_b32 s20, 0
	s_mov_b32 s9, 0
                                        ; implicit-def: $sgpr1
	s_branch .LBB214_1634
.LBB214_1619:
	s_mov_b32 s23, -1
	s_mov_b32 s20, 0
	s_mov_b32 s9, 0
                                        ; implicit-def: $sgpr1
	s_branch .LBB214_1629
.LBB214_1620:
	s_mov_b32 s20, 0
	s_or_b32 s13, s13, exec_lo
	s_trap 2
	s_cbranch_execz .LBB214_1559
	s_branch .LBB214_1560
.LBB214_1621:
	s_mov_b32 s23, -1
	s_mov_b32 s20, 0
	s_mov_b32 s9, 0
	s_branch .LBB214_1625
.LBB214_1622:
	v_bfe_u32 v2, v3, 21, 1
	s_mov_b32 s24, exec_lo
	s_delay_alu instid0(VALU_DEP_1) | instskip(NEXT) | instid1(VALU_DEP_1)
	v_add3_u32 v2, v3, v2, 0x88fffff
                                        ; implicit-def: $vgpr3
	v_lshrrev_b32_e32 v2, 21, v2
	s_and_not1_saveexec_b32 s25, s25
	s_cbranch_execz .LBB214_1315
.LBB214_1623:
	v_add_f32_e32 v2, 0x42800000, v3
	s_and_not1_b32 s24, s24, exec_lo
	s_delay_alu instid0(VALU_DEP_1) | instskip(NEXT) | instid1(VALU_DEP_1)
	v_and_b32_e32 v2, 0xff, v2
	v_cmp_ne_u32_e32 vcc_lo, 0, v2
	s_and_b32 s26, vcc_lo, exec_lo
	s_delay_alu instid0(SALU_CYCLE_1)
	s_or_b32 s24, s24, s26
	s_or_b32 exec_lo, exec_lo, s25
	v_mov_b32_e32 v4, 0
	s_and_saveexec_b32 s25, s24
	s_cbranch_execnz .LBB214_1316
	s_branch .LBB214_1317
.LBB214_1624:
	s_mov_b32 s9, -1
	s_mov_b32 s20, 0
.LBB214_1625:
                                        ; implicit-def: $sgpr1
.LBB214_1626:
	s_and_b32 vcc_lo, exec_lo, s23
	s_cbranch_vccz .LBB214_1628
; %bb.1627:
	s_cmp_lg_u32 s0, 44
	s_mov_b32 s20, -1
	s_cselect_b32 s9, -1, 0
	s_or_b32 s1, s1, exec_lo
.LBB214_1628:
	s_mov_b32 s23, 0
.LBB214_1629:
	s_delay_alu instid0(SALU_CYCLE_1)
	s_and_b32 vcc_lo, exec_lo, s23
	s_cbranch_vccz .LBB214_1633
; %bb.1630:
	s_cmp_eq_u32 s0, 29
	s_cbranch_scc0 .LBB214_1632
; %bb.1631:
	global_load_b64 v[8:9], v[4:5], off
	s_mov_b32 s9, 0
	s_mov_b32 s20, -1
	s_mov_b32 s23, 0
	s_wait_loadcnt 0x0
	v_cmp_ne_u64_e64 s1, 0, v[8:9]
	s_branch .LBB214_1634
.LBB214_1632:
	s_mov_b32 s9, -1
                                        ; implicit-def: $sgpr1
.LBB214_1633:
	s_mov_b32 s23, 0
.LBB214_1634:
	s_delay_alu instid0(SALU_CYCLE_1)
	s_and_b32 vcc_lo, exec_lo, s23
	s_cbranch_vccz .LBB214_1646
; %bb.1635:
	s_cmp_lt_i32 s0, 27
	s_cbranch_scc1 .LBB214_1638
; %bb.1636:
	s_cmp_gt_i32 s0, 27
	s_cbranch_scc0 .LBB214_1639
; %bb.1637:
	global_load_b32 v1, v[4:5], off
	s_mov_b32 s20, 0
	s_wait_loadcnt 0x0
	v_cmp_ne_u32_e64 s1, 0, v1
	s_branch .LBB214_1640
.LBB214_1638:
	s_mov_b32 s20, -1
                                        ; implicit-def: $sgpr1
	s_branch .LBB214_1643
.LBB214_1639:
	s_mov_b32 s20, -1
                                        ; implicit-def: $sgpr1
.LBB214_1640:
	s_delay_alu instid0(SALU_CYCLE_1)
	s_and_not1_b32 vcc_lo, exec_lo, s20
	s_cbranch_vccnz .LBB214_1642
; %bb.1641:
	global_load_u16 v1, v[4:5], off
	s_and_not1_b32 s1, s1, exec_lo
	s_wait_loadcnt 0x0
	v_cmp_ne_u16_e32 vcc_lo, 0, v1
	s_and_b32 s20, vcc_lo, exec_lo
	s_delay_alu instid0(SALU_CYCLE_1)
	s_or_b32 s1, s1, s20
.LBB214_1642:
	s_mov_b32 s20, 0
.LBB214_1643:
	s_delay_alu instid0(SALU_CYCLE_1)
	s_and_not1_b32 vcc_lo, exec_lo, s20
	s_cbranch_vccnz .LBB214_1645
; %bb.1644:
	global_load_u8 v1, v[4:5], off
	s_and_not1_b32 s1, s1, exec_lo
	s_wait_loadcnt 0x0
	v_cmp_ne_u16_e32 vcc_lo, 0, v1
	s_and_b32 s20, vcc_lo, exec_lo
	s_delay_alu instid0(SALU_CYCLE_1)
	s_or_b32 s1, s1, s20
.LBB214_1645:
	s_mov_b32 s20, -1
.LBB214_1646:
	s_mov_b32 s23, 0
.LBB214_1647:
	s_delay_alu instid0(SALU_CYCLE_1)
	s_and_b32 vcc_lo, exec_lo, s23
	s_cbranch_vccz .LBB214_1670
; %bb.1648:
	s_cmp_gt_i32 s0, 22
	s_cbranch_scc0 .LBB214_1652
; %bb.1649:
	s_cmp_lt_i32 s0, 24
	s_cbranch_scc1 .LBB214_1653
; %bb.1650:
	s_cmp_gt_i32 s0, 24
	s_cbranch_scc0 .LBB214_1654
; %bb.1651:
	global_load_u8 v1, v[4:5], off
	s_mov_b32 s20, 0
	s_wait_loadcnt 0x0
	v_cmp_ne_u16_e64 s1, 0, v1
	s_branch .LBB214_1655
.LBB214_1652:
	s_mov_b32 s22, -1
                                        ; implicit-def: $sgpr1
	s_branch .LBB214_1661
.LBB214_1653:
	s_mov_b32 s20, -1
                                        ; implicit-def: $sgpr1
	s_branch .LBB214_1658
.LBB214_1654:
	s_mov_b32 s20, -1
                                        ; implicit-def: $sgpr1
.LBB214_1655:
	s_delay_alu instid0(SALU_CYCLE_1)
	s_and_not1_b32 vcc_lo, exec_lo, s20
	s_cbranch_vccnz .LBB214_1657
; %bb.1656:
	global_load_u8 v1, v[4:5], off
	s_and_not1_b32 s1, s1, exec_lo
	s_wait_loadcnt 0x0
	v_and_b32_e32 v1, 0x7f, v1
	s_delay_alu instid0(VALU_DEP_1) | instskip(SKIP_1) | instid1(SALU_CYCLE_1)
	v_cmp_ne_u16_e32 vcc_lo, 0, v1
	s_and_b32 s20, vcc_lo, exec_lo
	s_or_b32 s1, s1, s20
.LBB214_1657:
	s_mov_b32 s20, 0
.LBB214_1658:
	s_delay_alu instid0(SALU_CYCLE_1)
	s_and_not1_b32 vcc_lo, exec_lo, s20
	s_cbranch_vccnz .LBB214_1660
; %bb.1659:
	global_load_u8 v1, v[4:5], off
	s_and_not1_b32 s1, s1, exec_lo
	s_wait_loadcnt 0x0
	v_dual_lshlrev_b32 v3, 25, v1 :: v_dual_lshlrev_b32 v1, 8, v1
	s_delay_alu instid0(VALU_DEP_1) | instskip(NEXT) | instid1(VALU_DEP_2)
	v_cmp_gt_u32_e32 vcc_lo, 0x8000000, v3
	v_and_or_b32 v1, 0x7f00, v1, 0.5
	s_delay_alu instid0(VALU_DEP_1) | instskip(NEXT) | instid1(VALU_DEP_1)
	v_dual_lshrrev_b32 v7, 4, v3 :: v_dual_add_f32 v1, -0.5, v1
	v_or_b32_e32 v7, 0x70000000, v7
	s_delay_alu instid0(VALU_DEP_1) | instskip(NEXT) | instid1(VALU_DEP_1)
	v_mul_f32_e32 v7, 0x7800000, v7
	v_cndmask_b32_e32 v1, v7, v1, vcc_lo
	s_delay_alu instid0(VALU_DEP_1) | instskip(SKIP_1) | instid1(SALU_CYCLE_1)
	v_cmp_neq_f32_e32 vcc_lo, 0, v1
	s_and_b32 s20, vcc_lo, exec_lo
	s_or_b32 s1, s1, s20
.LBB214_1660:
	s_mov_b32 s20, -1
.LBB214_1661:
	s_and_not1_b32 vcc_lo, exec_lo, s22
	s_mov_b32 s22, 0
	s_cbranch_vccnz .LBB214_1670
; %bb.1662:
	s_cmp_gt_i32 s0, 14
	s_cbranch_scc0 .LBB214_1665
; %bb.1663:
	s_cmp_eq_u32 s0, 15
	s_cbranch_scc0 .LBB214_1666
; %bb.1664:
	global_load_u16 v1, v[4:5], off
	s_mov_b32 s9, 0
	s_mov_b32 s20, -1
	s_wait_loadcnt 0x0
	v_and_b32_e32 v1, 0x7fff, v1
	s_delay_alu instid0(VALU_DEP_1)
	v_cmp_ne_u16_e64 s1, 0, v1
	s_branch .LBB214_1668
.LBB214_1665:
	s_mov_b32 s22, -1
	s_branch .LBB214_1667
.LBB214_1666:
	s_mov_b32 s9, -1
.LBB214_1667:
                                        ; implicit-def: $sgpr1
.LBB214_1668:
	s_and_b32 vcc_lo, exec_lo, s22
	s_mov_b32 s22, 0
	s_cbranch_vccz .LBB214_1670
; %bb.1669:
	s_cmp_lg_u32 s0, 11
	s_mov_b32 s22, -1
	s_cselect_b32 s9, -1, 0
.LBB214_1670:
	s_delay_alu instid0(SALU_CYCLE_1)
	s_and_b32 vcc_lo, exec_lo, s9
	s_cbranch_vccnz .LBB214_1733
; %bb.1671:
	s_and_not1_b32 vcc_lo, exec_lo, s22
	s_cbranch_vccnz .LBB214_1673
.LBB214_1672:
	global_load_u8 v1, v[4:5], off
	s_and_not1_b32 s0, s1, exec_lo
	s_mov_b32 s20, -1
	s_wait_loadcnt 0x0
	v_cmp_ne_u16_e32 vcc_lo, 0, v1
	s_and_b32 s1, vcc_lo, exec_lo
	s_delay_alu instid0(SALU_CYCLE_1)
	s_or_b32 s1, s0, s1
.LBB214_1673:
	s_branch .LBB214_1616
.LBB214_1674:
	s_and_b32 s9, 0xffff, s18
	s_delay_alu instid0(SALU_CYCLE_1)
	s_cmp_lt_i32 s9, 5
	s_cbranch_scc1 .LBB214_1679
; %bb.1675:
	s_cmp_lt_i32 s9, 8
	s_cbranch_scc1 .LBB214_1680
; %bb.1676:
	;; [unrolled: 3-line block ×3, first 2 shown]
	s_cmp_gt_i32 s9, 9
	s_cbranch_scc0 .LBB214_1682
; %bb.1678:
	global_load_b128 v[8:11], v[4:5], off
	s_wait_loadcnt 0x0
	v_cmp_neq_f64_e32 vcc_lo, 0, v[8:9]
	v_cmp_neq_f64_e64 s0, 0, v[10:11]
	s_or_b32 s1, vcc_lo, s0
	s_mov_b32 s0, 0
	s_branch .LBB214_1683
.LBB214_1679:
	s_mov_b32 s0, -1
                                        ; implicit-def: $sgpr1
	s_branch .LBB214_1701
.LBB214_1680:
	s_mov_b32 s0, -1
                                        ; implicit-def: $sgpr1
	s_branch .LBB214_1689
.LBB214_1681:
	s_mov_b32 s0, -1
                                        ; implicit-def: $sgpr1
	s_branch .LBB214_1686
.LBB214_1682:
	s_mov_b32 s0, -1
                                        ; implicit-def: $sgpr1
.LBB214_1683:
	s_delay_alu instid0(SALU_CYCLE_1)
	s_and_not1_b32 vcc_lo, exec_lo, s0
	s_cbranch_vccnz .LBB214_1685
; %bb.1684:
	global_load_b64 v[8:9], v[4:5], off
	s_and_not1_b32 s0, s1, exec_lo
	s_wait_loadcnt 0x0
	v_bitop3_b32 v1, v8, 0x7fffffff, v9 bitop3:0xc8
	s_delay_alu instid0(VALU_DEP_1) | instskip(SKIP_1) | instid1(SALU_CYCLE_1)
	v_cmp_ne_u32_e32 vcc_lo, 0, v1
	s_and_b32 s1, vcc_lo, exec_lo
	s_or_b32 s1, s0, s1
.LBB214_1685:
	s_mov_b32 s0, 0
.LBB214_1686:
	s_delay_alu instid0(SALU_CYCLE_1)
	s_and_not1_b32 vcc_lo, exec_lo, s0
	s_cbranch_vccnz .LBB214_1688
; %bb.1687:
	global_load_b32 v1, v[4:5], off
	s_and_not1_b32 s0, s1, exec_lo
	s_wait_loadcnt 0x0
	v_and_b32_e32 v1, 0x7fff7fff, v1
	s_delay_alu instid0(VALU_DEP_1) | instskip(SKIP_1) | instid1(SALU_CYCLE_1)
	v_cmp_ne_u32_e32 vcc_lo, 0, v1
	s_and_b32 s1, vcc_lo, exec_lo
	s_or_b32 s1, s0, s1
.LBB214_1688:
	s_mov_b32 s0, 0
.LBB214_1689:
	s_delay_alu instid0(SALU_CYCLE_1)
	s_and_not1_b32 vcc_lo, exec_lo, s0
	s_cbranch_vccnz .LBB214_1700
; %bb.1690:
	s_cmp_lt_i32 s9, 6
	s_cbranch_scc1 .LBB214_1693
; %bb.1691:
	s_cmp_gt_i32 s9, 6
	s_cbranch_scc0 .LBB214_1694
; %bb.1692:
	global_load_b64 v[8:9], v[4:5], off
	s_mov_b32 s0, 0
	s_wait_loadcnt 0x0
	v_cmp_neq_f64_e64 s1, 0, v[8:9]
	s_branch .LBB214_1695
.LBB214_1693:
	s_mov_b32 s0, -1
                                        ; implicit-def: $sgpr1
	s_branch .LBB214_1698
.LBB214_1694:
	s_mov_b32 s0, -1
                                        ; implicit-def: $sgpr1
.LBB214_1695:
	s_delay_alu instid0(SALU_CYCLE_1)
	s_and_not1_b32 vcc_lo, exec_lo, s0
	s_cbranch_vccnz .LBB214_1697
; %bb.1696:
	global_load_b32 v1, v[4:5], off
	s_and_not1_b32 s0, s1, exec_lo
	s_wait_loadcnt 0x0
	v_cmp_neq_f32_e32 vcc_lo, 0, v1
	s_and_b32 s1, vcc_lo, exec_lo
	s_delay_alu instid0(SALU_CYCLE_1)
	s_or_b32 s1, s0, s1
.LBB214_1697:
	s_mov_b32 s0, 0
.LBB214_1698:
	s_delay_alu instid0(SALU_CYCLE_1)
	s_and_not1_b32 vcc_lo, exec_lo, s0
	s_cbranch_vccnz .LBB214_1700
; %bb.1699:
	global_load_u16 v1, v[4:5], off
	s_and_not1_b32 s0, s1, exec_lo
	s_wait_loadcnt 0x0
	v_and_b32_e32 v1, 0x7fff, v1
	s_delay_alu instid0(VALU_DEP_1) | instskip(SKIP_1) | instid1(SALU_CYCLE_1)
	v_cmp_ne_u16_e32 vcc_lo, 0, v1
	s_and_b32 s1, vcc_lo, exec_lo
	s_or_b32 s1, s0, s1
.LBB214_1700:
	s_mov_b32 s0, 0
.LBB214_1701:
	s_delay_alu instid0(SALU_CYCLE_1)
	s_and_not1_b32 vcc_lo, exec_lo, s0
	s_cbranch_vccnz .LBB214_1721
; %bb.1702:
	s_cmp_lt_i32 s9, 2
	s_cbranch_scc1 .LBB214_1706
; %bb.1703:
	s_cmp_lt_i32 s9, 3
	s_cbranch_scc1 .LBB214_1707
; %bb.1704:
	s_cmp_gt_i32 s9, 3
	s_cbranch_scc0 .LBB214_1708
; %bb.1705:
	global_load_b64 v[8:9], v[4:5], off
	s_mov_b32 s0, 0
	s_wait_loadcnt 0x0
	v_cmp_ne_u64_e64 s1, 0, v[8:9]
	s_branch .LBB214_1709
.LBB214_1706:
	s_mov_b32 s0, -1
                                        ; implicit-def: $sgpr1
	s_branch .LBB214_1715
.LBB214_1707:
	s_mov_b32 s0, -1
                                        ; implicit-def: $sgpr1
	s_branch .LBB214_1712
.LBB214_1708:
	s_mov_b32 s0, -1
                                        ; implicit-def: $sgpr1
.LBB214_1709:
	s_delay_alu instid0(SALU_CYCLE_1)
	s_and_not1_b32 vcc_lo, exec_lo, s0
	s_cbranch_vccnz .LBB214_1711
; %bb.1710:
	global_load_b32 v1, v[4:5], off
	s_and_not1_b32 s0, s1, exec_lo
	s_wait_loadcnt 0x0
	v_cmp_ne_u32_e32 vcc_lo, 0, v1
	s_and_b32 s1, vcc_lo, exec_lo
	s_delay_alu instid0(SALU_CYCLE_1)
	s_or_b32 s1, s0, s1
.LBB214_1711:
	s_mov_b32 s0, 0
.LBB214_1712:
	s_delay_alu instid0(SALU_CYCLE_1)
	s_and_not1_b32 vcc_lo, exec_lo, s0
	s_cbranch_vccnz .LBB214_1714
; %bb.1713:
	global_load_u16 v1, v[4:5], off
	s_and_not1_b32 s0, s1, exec_lo
	s_wait_loadcnt 0x0
	v_cmp_ne_u16_e32 vcc_lo, 0, v1
	s_and_b32 s1, vcc_lo, exec_lo
	s_delay_alu instid0(SALU_CYCLE_1)
	s_or_b32 s1, s0, s1
.LBB214_1714:
	s_mov_b32 s0, 0
.LBB214_1715:
	s_delay_alu instid0(SALU_CYCLE_1)
	s_and_not1_b32 vcc_lo, exec_lo, s0
	s_cbranch_vccnz .LBB214_1721
; %bb.1716:
	s_cmp_gt_i32 s9, 0
	s_mov_b32 s0, 0
	s_cbranch_scc0 .LBB214_1718
; %bb.1717:
	global_load_u8 v1, v[4:5], off
	s_wait_loadcnt 0x0
	v_cmp_ne_u16_e64 s1, 0, v1
	s_branch .LBB214_1719
.LBB214_1718:
	s_mov_b32 s0, -1
                                        ; implicit-def: $sgpr1
.LBB214_1719:
	s_delay_alu instid0(SALU_CYCLE_1)
	s_and_not1_b32 vcc_lo, exec_lo, s0
	s_cbranch_vccnz .LBB214_1721
; %bb.1720:
	global_load_u8 v1, v[4:5], off
	s_and_not1_b32 s0, s1, exec_lo
	s_wait_loadcnt 0x0
	v_cmp_ne_u16_e32 vcc_lo, 0, v1
	s_and_b32 s1, vcc_lo, exec_lo
	s_delay_alu instid0(SALU_CYCLE_1)
	s_or_b32 s1, s0, s1
.LBB214_1721:
.LBB214_1722:
	s_lshl_b32 s22, s10, 7
	s_cmp_lt_i32 s19, 11
	v_add_nc_u32_e32 v2, s22, v2
	s_delay_alu instid0(VALU_DEP_1) | instskip(SKIP_1) | instid1(VALU_DEP_1)
	v_ashrrev_i32_e32 v3, 31, v2
	s_wait_xcnt 0x0
	v_add_nc_u64_e32 v[4:5], s[2:3], v[2:3]
	s_cbranch_scc1 .LBB214_1729
; %bb.1723:
	s_and_b32 s0, 0xffff, s19
	s_mov_b32 s23, 0
	s_cmp_gt_i32 s0, 25
	s_cbranch_scc0 .LBB214_1730
; %bb.1724:
	s_cmp_gt_i32 s0, 28
	s_cbranch_scc0 .LBB214_1731
; %bb.1725:
	s_cmp_gt_i32 s0, 43
	s_cbranch_scc0 .LBB214_1732
; %bb.1726:
	s_cmp_gt_i32 s0, 45
	s_cbranch_scc0 .LBB214_1734
; %bb.1727:
	s_cmp_eq_u32 s0, 46
	s_mov_b32 s24, 0
	s_cbranch_scc0 .LBB214_1735
; %bb.1728:
	global_load_b32 v1, v[4:5], off
	s_mov_b32 s9, 0
	s_mov_b32 s20, -1
	s_wait_loadcnt 0x0
	v_and_b32_e32 v1, 0x7fff7fff, v1
	s_delay_alu instid0(VALU_DEP_1)
	v_cmp_ne_u32_e64 s10, 0, v1
	s_branch .LBB214_1737
.LBB214_1729:
	s_mov_b32 s0, -1
	s_mov_b32 s20, 0
                                        ; implicit-def: $sgpr10
	s_branch .LBB214_1785
.LBB214_1730:
	s_mov_b32 s24, -1
	s_mov_b32 s20, 0
	s_mov_b32 s9, 0
                                        ; implicit-def: $sgpr10
	s_branch .LBB214_1758
.LBB214_1731:
	s_mov_b32 s24, -1
	s_mov_b32 s20, 0
	s_mov_b32 s9, 0
                                        ; implicit-def: $sgpr10
	s_branch .LBB214_1745
.LBB214_1732:
	s_mov_b32 s24, -1
	s_mov_b32 s20, 0
	s_mov_b32 s9, 0
                                        ; implicit-def: $sgpr10
	s_branch .LBB214_1740
.LBB214_1733:
	s_mov_b32 s20, 0
	s_or_b32 s13, s13, exec_lo
	s_trap 2
	s_cbranch_execz .LBB214_1672
	s_branch .LBB214_1673
.LBB214_1734:
	s_mov_b32 s24, -1
	s_mov_b32 s20, 0
	s_mov_b32 s9, 0
	s_branch .LBB214_1736
.LBB214_1735:
	s_mov_b32 s9, -1
	s_mov_b32 s20, 0
.LBB214_1736:
                                        ; implicit-def: $sgpr10
.LBB214_1737:
	s_and_b32 vcc_lo, exec_lo, s24
	s_cbranch_vccz .LBB214_1739
; %bb.1738:
	s_cmp_lg_u32 s0, 44
	s_mov_b32 s20, -1
	s_cselect_b32 s9, -1, 0
	s_or_b32 s10, s10, exec_lo
.LBB214_1739:
	s_mov_b32 s24, 0
.LBB214_1740:
	s_delay_alu instid0(SALU_CYCLE_1)
	s_and_b32 vcc_lo, exec_lo, s24
	s_cbranch_vccz .LBB214_1744
; %bb.1741:
	s_cmp_eq_u32 s0, 29
	s_cbranch_scc0 .LBB214_1743
; %bb.1742:
	global_load_b64 v[8:9], v[4:5], off
	s_mov_b32 s9, 0
	s_mov_b32 s20, -1
	s_mov_b32 s24, 0
	s_wait_loadcnt 0x0
	v_cmp_ne_u64_e64 s10, 0, v[8:9]
	s_branch .LBB214_1745
.LBB214_1743:
	s_mov_b32 s9, -1
                                        ; implicit-def: $sgpr10
.LBB214_1744:
	s_mov_b32 s24, 0
.LBB214_1745:
	s_delay_alu instid0(SALU_CYCLE_1)
	s_and_b32 vcc_lo, exec_lo, s24
	s_cbranch_vccz .LBB214_1757
; %bb.1746:
	s_cmp_lt_i32 s0, 27
	s_cbranch_scc1 .LBB214_1749
; %bb.1747:
	s_cmp_gt_i32 s0, 27
	s_cbranch_scc0 .LBB214_1750
; %bb.1748:
	global_load_b32 v1, v[4:5], off
	s_mov_b32 s20, 0
	s_wait_loadcnt 0x0
	v_cmp_ne_u32_e64 s10, 0, v1
	s_branch .LBB214_1751
.LBB214_1749:
	s_mov_b32 s20, -1
                                        ; implicit-def: $sgpr10
	s_branch .LBB214_1754
.LBB214_1750:
	s_mov_b32 s20, -1
                                        ; implicit-def: $sgpr10
.LBB214_1751:
	s_delay_alu instid0(SALU_CYCLE_1)
	s_and_not1_b32 vcc_lo, exec_lo, s20
	s_cbranch_vccnz .LBB214_1753
; %bb.1752:
	global_load_u16 v1, v[4:5], off
	s_and_not1_b32 s10, s10, exec_lo
	s_wait_loadcnt 0x0
	v_cmp_ne_u16_e32 vcc_lo, 0, v1
	s_and_b32 s20, vcc_lo, exec_lo
	s_delay_alu instid0(SALU_CYCLE_1)
	s_or_b32 s10, s10, s20
.LBB214_1753:
	s_mov_b32 s20, 0
.LBB214_1754:
	s_delay_alu instid0(SALU_CYCLE_1)
	s_and_not1_b32 vcc_lo, exec_lo, s20
	s_cbranch_vccnz .LBB214_1756
; %bb.1755:
	global_load_u8 v1, v[4:5], off
	s_and_not1_b32 s10, s10, exec_lo
	s_wait_loadcnt 0x0
	v_cmp_ne_u16_e32 vcc_lo, 0, v1
	s_and_b32 s20, vcc_lo, exec_lo
	s_delay_alu instid0(SALU_CYCLE_1)
	s_or_b32 s10, s10, s20
.LBB214_1756:
	s_mov_b32 s20, -1
.LBB214_1757:
	s_mov_b32 s24, 0
.LBB214_1758:
	s_delay_alu instid0(SALU_CYCLE_1)
	s_and_b32 vcc_lo, exec_lo, s24
	s_cbranch_vccz .LBB214_1781
; %bb.1759:
	s_cmp_gt_i32 s0, 22
	s_cbranch_scc0 .LBB214_1763
; %bb.1760:
	s_cmp_lt_i32 s0, 24
	s_cbranch_scc1 .LBB214_1764
; %bb.1761:
	s_cmp_gt_i32 s0, 24
	s_cbranch_scc0 .LBB214_1765
; %bb.1762:
	global_load_u8 v1, v[4:5], off
	s_mov_b32 s20, 0
	s_wait_loadcnt 0x0
	v_cmp_ne_u16_e64 s10, 0, v1
	s_branch .LBB214_1766
.LBB214_1763:
	s_mov_b32 s23, -1
                                        ; implicit-def: $sgpr10
	s_branch .LBB214_1772
.LBB214_1764:
	s_mov_b32 s20, -1
                                        ; implicit-def: $sgpr10
	s_branch .LBB214_1769
.LBB214_1765:
	s_mov_b32 s20, -1
                                        ; implicit-def: $sgpr10
.LBB214_1766:
	s_delay_alu instid0(SALU_CYCLE_1)
	s_and_not1_b32 vcc_lo, exec_lo, s20
	s_cbranch_vccnz .LBB214_1768
; %bb.1767:
	global_load_u8 v1, v[4:5], off
	s_and_not1_b32 s10, s10, exec_lo
	s_wait_loadcnt 0x0
	v_and_b32_e32 v1, 0x7f, v1
	s_delay_alu instid0(VALU_DEP_1) | instskip(SKIP_1) | instid1(SALU_CYCLE_1)
	v_cmp_ne_u16_e32 vcc_lo, 0, v1
	s_and_b32 s20, vcc_lo, exec_lo
	s_or_b32 s10, s10, s20
.LBB214_1768:
	s_mov_b32 s20, 0
.LBB214_1769:
	s_delay_alu instid0(SALU_CYCLE_1)
	s_and_not1_b32 vcc_lo, exec_lo, s20
	s_cbranch_vccnz .LBB214_1771
; %bb.1770:
	global_load_u8 v1, v[4:5], off
	s_and_not1_b32 s10, s10, exec_lo
	s_wait_loadcnt 0x0
	v_dual_lshlrev_b32 v3, 25, v1 :: v_dual_lshlrev_b32 v1, 8, v1
	s_delay_alu instid0(VALU_DEP_1) | instskip(NEXT) | instid1(VALU_DEP_2)
	v_cmp_gt_u32_e32 vcc_lo, 0x8000000, v3
	v_and_or_b32 v1, 0x7f00, v1, 0.5
	s_delay_alu instid0(VALU_DEP_1) | instskip(NEXT) | instid1(VALU_DEP_1)
	v_dual_lshrrev_b32 v7, 4, v3 :: v_dual_add_f32 v1, -0.5, v1
	v_or_b32_e32 v7, 0x70000000, v7
	s_delay_alu instid0(VALU_DEP_1) | instskip(NEXT) | instid1(VALU_DEP_1)
	v_mul_f32_e32 v7, 0x7800000, v7
	v_cndmask_b32_e32 v1, v7, v1, vcc_lo
	s_delay_alu instid0(VALU_DEP_1) | instskip(SKIP_1) | instid1(SALU_CYCLE_1)
	v_cmp_neq_f32_e32 vcc_lo, 0, v1
	s_and_b32 s20, vcc_lo, exec_lo
	s_or_b32 s10, s10, s20
.LBB214_1771:
	s_mov_b32 s20, -1
.LBB214_1772:
	s_and_not1_b32 vcc_lo, exec_lo, s23
	s_mov_b32 s23, 0
	s_cbranch_vccnz .LBB214_1781
; %bb.1773:
	s_cmp_gt_i32 s0, 14
	s_cbranch_scc0 .LBB214_1776
; %bb.1774:
	s_cmp_eq_u32 s0, 15
	s_cbranch_scc0 .LBB214_1777
; %bb.1775:
	global_load_u16 v1, v[4:5], off
	s_mov_b32 s9, 0
	s_mov_b32 s20, -1
	s_wait_loadcnt 0x0
	v_and_b32_e32 v1, 0x7fff, v1
	s_delay_alu instid0(VALU_DEP_1)
	v_cmp_ne_u16_e64 s10, 0, v1
	s_branch .LBB214_1779
.LBB214_1776:
	s_mov_b32 s23, -1
	s_branch .LBB214_1778
.LBB214_1777:
	s_mov_b32 s9, -1
.LBB214_1778:
                                        ; implicit-def: $sgpr10
.LBB214_1779:
	s_and_b32 vcc_lo, exec_lo, s23
	s_mov_b32 s23, 0
	s_cbranch_vccz .LBB214_1781
; %bb.1780:
	s_cmp_lg_u32 s0, 11
	s_mov_b32 s23, -1
	s_cselect_b32 s9, -1, 0
.LBB214_1781:
	s_delay_alu instid0(SALU_CYCLE_1)
	s_and_b32 vcc_lo, exec_lo, s9
	s_cbranch_vccnz .LBB214_1846
; %bb.1782:
	s_and_not1_b32 vcc_lo, exec_lo, s23
	s_cbranch_vccnz .LBB214_1784
.LBB214_1783:
	global_load_u8 v1, v[4:5], off
	s_and_not1_b32 s0, s10, exec_lo
	s_mov_b32 s20, -1
	s_wait_loadcnt 0x0
	v_cmp_ne_u16_e32 vcc_lo, 0, v1
	s_and_b32 s9, vcc_lo, exec_lo
	s_delay_alu instid0(SALU_CYCLE_1)
	s_or_b32 s10, s0, s9
.LBB214_1784:
	s_mov_b32 s0, 0
.LBB214_1785:
	s_delay_alu instid0(SALU_CYCLE_1)
	s_and_b32 vcc_lo, exec_lo, s0
	s_cbranch_vccz .LBB214_1834
; %bb.1786:
	s_and_b32 s9, 0xffff, s19
	s_delay_alu instid0(SALU_CYCLE_1)
	s_cmp_lt_i32 s9, 5
	s_cbranch_scc1 .LBB214_1791
; %bb.1787:
	s_cmp_lt_i32 s9, 8
	s_cbranch_scc1 .LBB214_1792
; %bb.1788:
	;; [unrolled: 3-line block ×3, first 2 shown]
	s_cmp_gt_i32 s9, 9
	s_cbranch_scc0 .LBB214_1794
; %bb.1790:
	global_load_b128 v[8:11], v[4:5], off
	s_wait_loadcnt 0x0
	v_cmp_neq_f64_e32 vcc_lo, 0, v[8:9]
	v_cmp_neq_f64_e64 s0, 0, v[10:11]
	s_or_b32 s10, vcc_lo, s0
	s_mov_b32 s0, 0
	s_branch .LBB214_1795
.LBB214_1791:
	s_mov_b32 s0, -1
                                        ; implicit-def: $sgpr10
	s_branch .LBB214_1813
.LBB214_1792:
	s_mov_b32 s0, -1
                                        ; implicit-def: $sgpr10
	s_branch .LBB214_1801
.LBB214_1793:
	s_mov_b32 s0, -1
                                        ; implicit-def: $sgpr10
	s_branch .LBB214_1798
.LBB214_1794:
	s_mov_b32 s0, -1
                                        ; implicit-def: $sgpr10
.LBB214_1795:
	s_delay_alu instid0(SALU_CYCLE_1)
	s_and_not1_b32 vcc_lo, exec_lo, s0
	s_cbranch_vccnz .LBB214_1797
; %bb.1796:
	global_load_b64 v[8:9], v[4:5], off
	s_and_not1_b32 s0, s10, exec_lo
	s_wait_loadcnt 0x0
	v_bitop3_b32 v1, v8, 0x7fffffff, v9 bitop3:0xc8
	s_delay_alu instid0(VALU_DEP_1) | instskip(SKIP_1) | instid1(SALU_CYCLE_1)
	v_cmp_ne_u32_e32 vcc_lo, 0, v1
	s_and_b32 s10, vcc_lo, exec_lo
	s_or_b32 s10, s0, s10
.LBB214_1797:
	s_mov_b32 s0, 0
.LBB214_1798:
	s_delay_alu instid0(SALU_CYCLE_1)
	s_and_not1_b32 vcc_lo, exec_lo, s0
	s_cbranch_vccnz .LBB214_1800
; %bb.1799:
	global_load_b32 v1, v[4:5], off
	s_and_not1_b32 s0, s10, exec_lo
	s_wait_loadcnt 0x0
	v_and_b32_e32 v1, 0x7fff7fff, v1
	s_delay_alu instid0(VALU_DEP_1) | instskip(SKIP_1) | instid1(SALU_CYCLE_1)
	v_cmp_ne_u32_e32 vcc_lo, 0, v1
	s_and_b32 s10, vcc_lo, exec_lo
	s_or_b32 s10, s0, s10
.LBB214_1800:
	s_mov_b32 s0, 0
.LBB214_1801:
	s_delay_alu instid0(SALU_CYCLE_1)
	s_and_not1_b32 vcc_lo, exec_lo, s0
	s_cbranch_vccnz .LBB214_1812
; %bb.1802:
	s_cmp_lt_i32 s9, 6
	s_cbranch_scc1 .LBB214_1805
; %bb.1803:
	s_cmp_gt_i32 s9, 6
	s_cbranch_scc0 .LBB214_1806
; %bb.1804:
	global_load_b64 v[8:9], v[4:5], off
	s_mov_b32 s0, 0
	s_wait_loadcnt 0x0
	v_cmp_neq_f64_e64 s10, 0, v[8:9]
	s_branch .LBB214_1807
.LBB214_1805:
	s_mov_b32 s0, -1
                                        ; implicit-def: $sgpr10
	s_branch .LBB214_1810
.LBB214_1806:
	s_mov_b32 s0, -1
                                        ; implicit-def: $sgpr10
.LBB214_1807:
	s_delay_alu instid0(SALU_CYCLE_1)
	s_and_not1_b32 vcc_lo, exec_lo, s0
	s_cbranch_vccnz .LBB214_1809
; %bb.1808:
	global_load_b32 v1, v[4:5], off
	s_and_not1_b32 s0, s10, exec_lo
	s_wait_loadcnt 0x0
	v_cmp_neq_f32_e32 vcc_lo, 0, v1
	s_and_b32 s10, vcc_lo, exec_lo
	s_delay_alu instid0(SALU_CYCLE_1)
	s_or_b32 s10, s0, s10
.LBB214_1809:
	s_mov_b32 s0, 0
.LBB214_1810:
	s_delay_alu instid0(SALU_CYCLE_1)
	s_and_not1_b32 vcc_lo, exec_lo, s0
	s_cbranch_vccnz .LBB214_1812
; %bb.1811:
	global_load_u16 v1, v[4:5], off
	s_and_not1_b32 s0, s10, exec_lo
	s_wait_loadcnt 0x0
	v_and_b32_e32 v1, 0x7fff, v1
	s_delay_alu instid0(VALU_DEP_1) | instskip(SKIP_1) | instid1(SALU_CYCLE_1)
	v_cmp_ne_u16_e32 vcc_lo, 0, v1
	s_and_b32 s10, vcc_lo, exec_lo
	s_or_b32 s10, s0, s10
.LBB214_1812:
	s_mov_b32 s0, 0
.LBB214_1813:
	s_delay_alu instid0(SALU_CYCLE_1)
	s_and_not1_b32 vcc_lo, exec_lo, s0
	s_cbranch_vccnz .LBB214_1833
; %bb.1814:
	s_cmp_lt_i32 s9, 2
	s_cbranch_scc1 .LBB214_1818
; %bb.1815:
	s_cmp_lt_i32 s9, 3
	s_cbranch_scc1 .LBB214_1819
; %bb.1816:
	s_cmp_gt_i32 s9, 3
	s_cbranch_scc0 .LBB214_1820
; %bb.1817:
	global_load_b64 v[8:9], v[4:5], off
	s_mov_b32 s0, 0
	s_wait_loadcnt 0x0
	v_cmp_ne_u64_e64 s10, 0, v[8:9]
	s_branch .LBB214_1821
.LBB214_1818:
	s_mov_b32 s0, -1
                                        ; implicit-def: $sgpr10
	s_branch .LBB214_1827
.LBB214_1819:
	s_mov_b32 s0, -1
                                        ; implicit-def: $sgpr10
	s_branch .LBB214_1824
.LBB214_1820:
	s_mov_b32 s0, -1
                                        ; implicit-def: $sgpr10
.LBB214_1821:
	s_delay_alu instid0(SALU_CYCLE_1)
	s_and_not1_b32 vcc_lo, exec_lo, s0
	s_cbranch_vccnz .LBB214_1823
; %bb.1822:
	global_load_b32 v1, v[4:5], off
	s_and_not1_b32 s0, s10, exec_lo
	s_wait_loadcnt 0x0
	v_cmp_ne_u32_e32 vcc_lo, 0, v1
	s_and_b32 s10, vcc_lo, exec_lo
	s_delay_alu instid0(SALU_CYCLE_1)
	s_or_b32 s10, s0, s10
.LBB214_1823:
	s_mov_b32 s0, 0
.LBB214_1824:
	s_delay_alu instid0(SALU_CYCLE_1)
	s_and_not1_b32 vcc_lo, exec_lo, s0
	s_cbranch_vccnz .LBB214_1826
; %bb.1825:
	global_load_u16 v1, v[4:5], off
	s_and_not1_b32 s0, s10, exec_lo
	s_wait_loadcnt 0x0
	v_cmp_ne_u16_e32 vcc_lo, 0, v1
	s_and_b32 s10, vcc_lo, exec_lo
	s_delay_alu instid0(SALU_CYCLE_1)
	s_or_b32 s10, s0, s10
.LBB214_1826:
	s_mov_b32 s0, 0
.LBB214_1827:
	s_delay_alu instid0(SALU_CYCLE_1)
	s_and_not1_b32 vcc_lo, exec_lo, s0
	s_cbranch_vccnz .LBB214_1833
; %bb.1828:
	s_cmp_gt_i32 s9, 0
	s_mov_b32 s0, 0
	s_cbranch_scc0 .LBB214_1830
; %bb.1829:
	global_load_u8 v1, v[4:5], off
	s_wait_loadcnt 0x0
	v_cmp_ne_u16_e64 s10, 0, v1
	s_branch .LBB214_1831
.LBB214_1830:
	s_mov_b32 s0, -1
                                        ; implicit-def: $sgpr10
.LBB214_1831:
	s_delay_alu instid0(SALU_CYCLE_1)
	s_and_not1_b32 vcc_lo, exec_lo, s0
	s_cbranch_vccnz .LBB214_1833
; %bb.1832:
	global_load_u8 v1, v[4:5], off
	s_and_not1_b32 s0, s10, exec_lo
	s_wait_loadcnt 0x0
	v_cmp_ne_u16_e32 vcc_lo, 0, v1
	s_and_b32 s9, vcc_lo, exec_lo
	s_delay_alu instid0(SALU_CYCLE_1)
	s_or_b32 s10, s0, s9
.LBB214_1833:
	s_mov_b32 s20, -1
.LBB214_1834:
	s_delay_alu instid0(SALU_CYCLE_1)
	s_and_not1_b32 vcc_lo, exec_lo, s20
	s_cbranch_vccnz .LBB214_2725
; %bb.1835:
	v_add_nc_u32_e32 v0, s21, v0
	s_cmp_lt_i32 s18, 11
	s_delay_alu instid0(VALU_DEP_1) | instskip(SKIP_1) | instid1(VALU_DEP_1)
	v_ashrrev_i32_e32 v1, 31, v0
	s_wait_xcnt 0x0
	v_add_nc_u64_e32 v[4:5], s[6:7], v[0:1]
	s_cbranch_scc1 .LBB214_1842
; %bb.1836:
	s_and_b32 s0, 0xffff, s18
	s_mov_b32 s24, 0
	s_cmp_gt_i32 s0, 25
	s_cbranch_scc0 .LBB214_1843
; %bb.1837:
	s_cmp_gt_i32 s0, 28
	s_cbranch_scc0 .LBB214_1844
; %bb.1838:
	;; [unrolled: 3-line block ×4, first 2 shown]
	s_cmp_eq_u32 s0, 46
	s_mov_b32 s25, 0
	s_cbranch_scc0 .LBB214_1848
; %bb.1841:
	global_load_b32 v1, v[4:5], off
	s_mov_b32 s20, 0
	s_mov_b32 s23, -1
	s_wait_loadcnt 0x0
	v_and_b32_e32 v1, 0x7fff7fff, v1
	s_delay_alu instid0(VALU_DEP_1)
	v_cmp_ne_u32_e64 s9, 0, v1
	s_branch .LBB214_1850
.LBB214_1842:
	s_mov_b32 s0, -1
	s_mov_b32 s23, 0
                                        ; implicit-def: $sgpr9
	s_branch .LBB214_1898
.LBB214_1843:
	s_mov_b32 s25, -1
	s_mov_b32 s23, 0
	s_mov_b32 s20, 0
                                        ; implicit-def: $sgpr9
	s_branch .LBB214_1871
.LBB214_1844:
	s_mov_b32 s25, -1
	s_mov_b32 s23, 0
	s_mov_b32 s20, 0
                                        ; implicit-def: $sgpr9
	s_branch .LBB214_1858
.LBB214_1845:
	s_mov_b32 s25, -1
	s_mov_b32 s23, 0
	s_mov_b32 s20, 0
                                        ; implicit-def: $sgpr9
	s_branch .LBB214_1853
.LBB214_1846:
	s_mov_b32 s20, 0
	s_or_b32 s13, s13, exec_lo
	s_trap 2
	s_cbranch_execz .LBB214_1783
	s_branch .LBB214_1784
.LBB214_1847:
	s_mov_b32 s25, -1
	s_mov_b32 s23, 0
	s_mov_b32 s20, 0
	s_branch .LBB214_1849
.LBB214_1848:
	s_mov_b32 s20, -1
	s_mov_b32 s23, 0
.LBB214_1849:
                                        ; implicit-def: $sgpr9
.LBB214_1850:
	s_and_b32 vcc_lo, exec_lo, s25
	s_cbranch_vccz .LBB214_1852
; %bb.1851:
	s_cmp_lg_u32 s0, 44
	s_mov_b32 s23, -1
	s_cselect_b32 s20, -1, 0
	s_or_b32 s9, s9, exec_lo
.LBB214_1852:
	s_mov_b32 s25, 0
.LBB214_1853:
	s_delay_alu instid0(SALU_CYCLE_1)
	s_and_b32 vcc_lo, exec_lo, s25
	s_cbranch_vccz .LBB214_1857
; %bb.1854:
	s_cmp_eq_u32 s0, 29
	s_cbranch_scc0 .LBB214_1856
; %bb.1855:
	global_load_b64 v[8:9], v[4:5], off
	s_mov_b32 s20, 0
	s_mov_b32 s23, -1
	s_mov_b32 s25, 0
	s_wait_loadcnt 0x0
	v_cmp_ne_u64_e64 s9, 0, v[8:9]
	s_branch .LBB214_1858
.LBB214_1856:
	s_mov_b32 s20, -1
                                        ; implicit-def: $sgpr9
.LBB214_1857:
	s_mov_b32 s25, 0
.LBB214_1858:
	s_delay_alu instid0(SALU_CYCLE_1)
	s_and_b32 vcc_lo, exec_lo, s25
	s_cbranch_vccz .LBB214_1870
; %bb.1859:
	s_cmp_lt_i32 s0, 27
	s_cbranch_scc1 .LBB214_1862
; %bb.1860:
	s_cmp_gt_i32 s0, 27
	s_cbranch_scc0 .LBB214_1863
; %bb.1861:
	global_load_b32 v1, v[4:5], off
	s_mov_b32 s23, 0
	s_wait_loadcnt 0x0
	v_cmp_ne_u32_e64 s9, 0, v1
	s_branch .LBB214_1864
.LBB214_1862:
	s_mov_b32 s23, -1
                                        ; implicit-def: $sgpr9
	s_branch .LBB214_1867
.LBB214_1863:
	s_mov_b32 s23, -1
                                        ; implicit-def: $sgpr9
.LBB214_1864:
	s_delay_alu instid0(SALU_CYCLE_1)
	s_and_not1_b32 vcc_lo, exec_lo, s23
	s_cbranch_vccnz .LBB214_1866
; %bb.1865:
	global_load_u16 v1, v[4:5], off
	s_and_not1_b32 s9, s9, exec_lo
	s_wait_loadcnt 0x0
	v_cmp_ne_u16_e32 vcc_lo, 0, v1
	s_and_b32 s23, vcc_lo, exec_lo
	s_delay_alu instid0(SALU_CYCLE_1)
	s_or_b32 s9, s9, s23
.LBB214_1866:
	s_mov_b32 s23, 0
.LBB214_1867:
	s_delay_alu instid0(SALU_CYCLE_1)
	s_and_not1_b32 vcc_lo, exec_lo, s23
	s_cbranch_vccnz .LBB214_1869
; %bb.1868:
	global_load_u8 v1, v[4:5], off
	s_and_not1_b32 s9, s9, exec_lo
	s_wait_loadcnt 0x0
	v_cmp_ne_u16_e32 vcc_lo, 0, v1
	s_and_b32 s23, vcc_lo, exec_lo
	s_delay_alu instid0(SALU_CYCLE_1)
	s_or_b32 s9, s9, s23
.LBB214_1869:
	s_mov_b32 s23, -1
.LBB214_1870:
	s_mov_b32 s25, 0
.LBB214_1871:
	s_delay_alu instid0(SALU_CYCLE_1)
	s_and_b32 vcc_lo, exec_lo, s25
	s_cbranch_vccz .LBB214_1894
; %bb.1872:
	s_cmp_gt_i32 s0, 22
	s_cbranch_scc0 .LBB214_1876
; %bb.1873:
	s_cmp_lt_i32 s0, 24
	s_cbranch_scc1 .LBB214_1877
; %bb.1874:
	s_cmp_gt_i32 s0, 24
	s_cbranch_scc0 .LBB214_1878
; %bb.1875:
	global_load_u8 v1, v[4:5], off
	s_mov_b32 s23, 0
	s_wait_loadcnt 0x0
	v_cmp_ne_u16_e64 s9, 0, v1
	s_branch .LBB214_1879
.LBB214_1876:
	s_mov_b32 s24, -1
                                        ; implicit-def: $sgpr9
	s_branch .LBB214_1885
.LBB214_1877:
	s_mov_b32 s23, -1
                                        ; implicit-def: $sgpr9
	s_branch .LBB214_1882
.LBB214_1878:
	s_mov_b32 s23, -1
                                        ; implicit-def: $sgpr9
.LBB214_1879:
	s_delay_alu instid0(SALU_CYCLE_1)
	s_and_not1_b32 vcc_lo, exec_lo, s23
	s_cbranch_vccnz .LBB214_1881
; %bb.1880:
	global_load_u8 v1, v[4:5], off
	s_and_not1_b32 s9, s9, exec_lo
	s_wait_loadcnt 0x0
	v_and_b32_e32 v1, 0x7f, v1
	s_delay_alu instid0(VALU_DEP_1) | instskip(SKIP_1) | instid1(SALU_CYCLE_1)
	v_cmp_ne_u16_e32 vcc_lo, 0, v1
	s_and_b32 s23, vcc_lo, exec_lo
	s_or_b32 s9, s9, s23
.LBB214_1881:
	s_mov_b32 s23, 0
.LBB214_1882:
	s_delay_alu instid0(SALU_CYCLE_1)
	s_and_not1_b32 vcc_lo, exec_lo, s23
	s_cbranch_vccnz .LBB214_1884
; %bb.1883:
	global_load_u8 v1, v[4:5], off
	s_and_not1_b32 s9, s9, exec_lo
	s_wait_loadcnt 0x0
	v_dual_lshlrev_b32 v3, 25, v1 :: v_dual_lshlrev_b32 v1, 8, v1
	s_delay_alu instid0(VALU_DEP_1) | instskip(NEXT) | instid1(VALU_DEP_2)
	v_cmp_gt_u32_e32 vcc_lo, 0x8000000, v3
	v_and_or_b32 v1, 0x7f00, v1, 0.5
	s_delay_alu instid0(VALU_DEP_1) | instskip(NEXT) | instid1(VALU_DEP_1)
	v_dual_lshrrev_b32 v7, 4, v3 :: v_dual_add_f32 v1, -0.5, v1
	v_or_b32_e32 v7, 0x70000000, v7
	s_delay_alu instid0(VALU_DEP_1) | instskip(NEXT) | instid1(VALU_DEP_1)
	v_mul_f32_e32 v7, 0x7800000, v7
	v_cndmask_b32_e32 v1, v7, v1, vcc_lo
	s_delay_alu instid0(VALU_DEP_1) | instskip(SKIP_1) | instid1(SALU_CYCLE_1)
	v_cmp_neq_f32_e32 vcc_lo, 0, v1
	s_and_b32 s23, vcc_lo, exec_lo
	s_or_b32 s9, s9, s23
.LBB214_1884:
	s_mov_b32 s23, -1
.LBB214_1885:
	s_and_not1_b32 vcc_lo, exec_lo, s24
	s_mov_b32 s24, 0
	s_cbranch_vccnz .LBB214_1894
; %bb.1886:
	s_cmp_gt_i32 s0, 14
	s_cbranch_scc0 .LBB214_1889
; %bb.1887:
	s_cmp_eq_u32 s0, 15
	s_cbranch_scc0 .LBB214_1890
; %bb.1888:
	global_load_u16 v1, v[4:5], off
	s_mov_b32 s20, 0
	s_mov_b32 s23, -1
	s_wait_loadcnt 0x0
	v_and_b32_e32 v1, 0x7fff, v1
	s_delay_alu instid0(VALU_DEP_1)
	v_cmp_ne_u16_e64 s9, 0, v1
	s_branch .LBB214_1892
.LBB214_1889:
	s_mov_b32 s24, -1
	s_branch .LBB214_1891
.LBB214_1890:
	s_mov_b32 s20, -1
.LBB214_1891:
                                        ; implicit-def: $sgpr9
.LBB214_1892:
	s_and_b32 vcc_lo, exec_lo, s24
	s_mov_b32 s24, 0
	s_cbranch_vccz .LBB214_1894
; %bb.1893:
	s_cmp_lg_u32 s0, 11
	s_mov_b32 s24, -1
	s_cselect_b32 s20, -1, 0
.LBB214_1894:
	s_delay_alu instid0(SALU_CYCLE_1)
	s_and_b32 vcc_lo, exec_lo, s20
	s_cbranch_vccnz .LBB214_1959
; %bb.1895:
	s_and_not1_b32 vcc_lo, exec_lo, s24
	s_cbranch_vccnz .LBB214_1897
.LBB214_1896:
	global_load_u8 v1, v[4:5], off
	s_and_not1_b32 s0, s9, exec_lo
	s_mov_b32 s23, -1
	s_wait_loadcnt 0x0
	v_cmp_ne_u16_e32 vcc_lo, 0, v1
	s_and_b32 s9, vcc_lo, exec_lo
	s_delay_alu instid0(SALU_CYCLE_1)
	s_or_b32 s9, s0, s9
.LBB214_1897:
	s_mov_b32 s0, 0
.LBB214_1898:
	s_delay_alu instid0(SALU_CYCLE_1)
	s_and_b32 vcc_lo, exec_lo, s0
	s_cbranch_vccz .LBB214_1947
; %bb.1899:
	s_and_b32 s20, 0xffff, s18
	s_delay_alu instid0(SALU_CYCLE_1)
	s_cmp_lt_i32 s20, 5
	s_cbranch_scc1 .LBB214_1904
; %bb.1900:
	s_cmp_lt_i32 s20, 8
	s_cbranch_scc1 .LBB214_1905
; %bb.1901:
	;; [unrolled: 3-line block ×3, first 2 shown]
	s_cmp_gt_i32 s20, 9
	s_cbranch_scc0 .LBB214_1907
; %bb.1903:
	global_load_b128 v[8:11], v[4:5], off
	s_wait_loadcnt 0x0
	v_cmp_neq_f64_e32 vcc_lo, 0, v[8:9]
	v_cmp_neq_f64_e64 s0, 0, v[10:11]
	s_or_b32 s9, vcc_lo, s0
	s_mov_b32 s0, 0
	s_branch .LBB214_1908
.LBB214_1904:
	s_mov_b32 s0, -1
                                        ; implicit-def: $sgpr9
	s_branch .LBB214_1926
.LBB214_1905:
	s_mov_b32 s0, -1
                                        ; implicit-def: $sgpr9
	s_branch .LBB214_1914
.LBB214_1906:
	s_mov_b32 s0, -1
                                        ; implicit-def: $sgpr9
	s_branch .LBB214_1911
.LBB214_1907:
	s_mov_b32 s0, -1
                                        ; implicit-def: $sgpr9
.LBB214_1908:
	s_delay_alu instid0(SALU_CYCLE_1)
	s_and_not1_b32 vcc_lo, exec_lo, s0
	s_cbranch_vccnz .LBB214_1910
; %bb.1909:
	global_load_b64 v[8:9], v[4:5], off
	s_and_not1_b32 s0, s9, exec_lo
	s_wait_loadcnt 0x0
	v_bitop3_b32 v1, v8, 0x7fffffff, v9 bitop3:0xc8
	s_delay_alu instid0(VALU_DEP_1) | instskip(SKIP_1) | instid1(SALU_CYCLE_1)
	v_cmp_ne_u32_e32 vcc_lo, 0, v1
	s_and_b32 s9, vcc_lo, exec_lo
	s_or_b32 s9, s0, s9
.LBB214_1910:
	s_mov_b32 s0, 0
.LBB214_1911:
	s_delay_alu instid0(SALU_CYCLE_1)
	s_and_not1_b32 vcc_lo, exec_lo, s0
	s_cbranch_vccnz .LBB214_1913
; %bb.1912:
	global_load_b32 v1, v[4:5], off
	s_and_not1_b32 s0, s9, exec_lo
	s_wait_loadcnt 0x0
	v_and_b32_e32 v1, 0x7fff7fff, v1
	s_delay_alu instid0(VALU_DEP_1) | instskip(SKIP_1) | instid1(SALU_CYCLE_1)
	v_cmp_ne_u32_e32 vcc_lo, 0, v1
	s_and_b32 s9, vcc_lo, exec_lo
	s_or_b32 s9, s0, s9
.LBB214_1913:
	s_mov_b32 s0, 0
.LBB214_1914:
	s_delay_alu instid0(SALU_CYCLE_1)
	s_and_not1_b32 vcc_lo, exec_lo, s0
	s_cbranch_vccnz .LBB214_1925
; %bb.1915:
	s_cmp_lt_i32 s20, 6
	s_cbranch_scc1 .LBB214_1918
; %bb.1916:
	s_cmp_gt_i32 s20, 6
	s_cbranch_scc0 .LBB214_1919
; %bb.1917:
	global_load_b64 v[8:9], v[4:5], off
	s_mov_b32 s0, 0
	s_wait_loadcnt 0x0
	v_cmp_neq_f64_e64 s9, 0, v[8:9]
	s_branch .LBB214_1920
.LBB214_1918:
	s_mov_b32 s0, -1
                                        ; implicit-def: $sgpr9
	s_branch .LBB214_1923
.LBB214_1919:
	s_mov_b32 s0, -1
                                        ; implicit-def: $sgpr9
.LBB214_1920:
	s_delay_alu instid0(SALU_CYCLE_1)
	s_and_not1_b32 vcc_lo, exec_lo, s0
	s_cbranch_vccnz .LBB214_1922
; %bb.1921:
	global_load_b32 v1, v[4:5], off
	s_and_not1_b32 s0, s9, exec_lo
	s_wait_loadcnt 0x0
	v_cmp_neq_f32_e32 vcc_lo, 0, v1
	s_and_b32 s9, vcc_lo, exec_lo
	s_delay_alu instid0(SALU_CYCLE_1)
	s_or_b32 s9, s0, s9
.LBB214_1922:
	s_mov_b32 s0, 0
.LBB214_1923:
	s_delay_alu instid0(SALU_CYCLE_1)
	s_and_not1_b32 vcc_lo, exec_lo, s0
	s_cbranch_vccnz .LBB214_1925
; %bb.1924:
	global_load_u16 v1, v[4:5], off
	s_and_not1_b32 s0, s9, exec_lo
	s_wait_loadcnt 0x0
	v_and_b32_e32 v1, 0x7fff, v1
	s_delay_alu instid0(VALU_DEP_1) | instskip(SKIP_1) | instid1(SALU_CYCLE_1)
	v_cmp_ne_u16_e32 vcc_lo, 0, v1
	s_and_b32 s9, vcc_lo, exec_lo
	s_or_b32 s9, s0, s9
.LBB214_1925:
	s_mov_b32 s0, 0
.LBB214_1926:
	s_delay_alu instid0(SALU_CYCLE_1)
	s_and_not1_b32 vcc_lo, exec_lo, s0
	s_cbranch_vccnz .LBB214_1946
; %bb.1927:
	s_cmp_lt_i32 s20, 2
	s_cbranch_scc1 .LBB214_1931
; %bb.1928:
	s_cmp_lt_i32 s20, 3
	s_cbranch_scc1 .LBB214_1932
; %bb.1929:
	s_cmp_gt_i32 s20, 3
	s_cbranch_scc0 .LBB214_1933
; %bb.1930:
	global_load_b64 v[8:9], v[4:5], off
	s_mov_b32 s0, 0
	s_wait_loadcnt 0x0
	v_cmp_ne_u64_e64 s9, 0, v[8:9]
	s_branch .LBB214_1934
.LBB214_1931:
	s_mov_b32 s0, -1
                                        ; implicit-def: $sgpr9
	s_branch .LBB214_1940
.LBB214_1932:
	s_mov_b32 s0, -1
                                        ; implicit-def: $sgpr9
	s_branch .LBB214_1937
.LBB214_1933:
	s_mov_b32 s0, -1
                                        ; implicit-def: $sgpr9
.LBB214_1934:
	s_delay_alu instid0(SALU_CYCLE_1)
	s_and_not1_b32 vcc_lo, exec_lo, s0
	s_cbranch_vccnz .LBB214_1936
; %bb.1935:
	global_load_b32 v1, v[4:5], off
	s_and_not1_b32 s0, s9, exec_lo
	s_wait_loadcnt 0x0
	v_cmp_ne_u32_e32 vcc_lo, 0, v1
	s_and_b32 s9, vcc_lo, exec_lo
	s_delay_alu instid0(SALU_CYCLE_1)
	s_or_b32 s9, s0, s9
.LBB214_1936:
	s_mov_b32 s0, 0
.LBB214_1937:
	s_delay_alu instid0(SALU_CYCLE_1)
	s_and_not1_b32 vcc_lo, exec_lo, s0
	s_cbranch_vccnz .LBB214_1939
; %bb.1938:
	global_load_u16 v1, v[4:5], off
	s_and_not1_b32 s0, s9, exec_lo
	s_wait_loadcnt 0x0
	v_cmp_ne_u16_e32 vcc_lo, 0, v1
	s_and_b32 s9, vcc_lo, exec_lo
	s_delay_alu instid0(SALU_CYCLE_1)
	s_or_b32 s9, s0, s9
.LBB214_1939:
	s_mov_b32 s0, 0
.LBB214_1940:
	s_delay_alu instid0(SALU_CYCLE_1)
	s_and_not1_b32 vcc_lo, exec_lo, s0
	s_cbranch_vccnz .LBB214_1946
; %bb.1941:
	s_cmp_gt_i32 s20, 0
	s_mov_b32 s0, 0
	s_cbranch_scc0 .LBB214_1943
; %bb.1942:
	global_load_u8 v1, v[4:5], off
	s_wait_loadcnt 0x0
	v_cmp_ne_u16_e64 s9, 0, v1
	s_branch .LBB214_1944
.LBB214_1943:
	s_mov_b32 s0, -1
                                        ; implicit-def: $sgpr9
.LBB214_1944:
	s_delay_alu instid0(SALU_CYCLE_1)
	s_and_not1_b32 vcc_lo, exec_lo, s0
	s_cbranch_vccnz .LBB214_1946
; %bb.1945:
	global_load_u8 v1, v[4:5], off
	s_and_not1_b32 s0, s9, exec_lo
	s_wait_loadcnt 0x0
	v_cmp_ne_u16_e32 vcc_lo, 0, v1
	s_and_b32 s9, vcc_lo, exec_lo
	s_delay_alu instid0(SALU_CYCLE_1)
	s_or_b32 s9, s0, s9
.LBB214_1946:
	s_mov_b32 s23, -1
.LBB214_1947:
	s_delay_alu instid0(SALU_CYCLE_1)
	s_and_not1_b32 vcc_lo, exec_lo, s23
	s_cbranch_vccnz .LBB214_2725
; %bb.1948:
	v_add_nc_u32_e32 v2, s22, v2
	s_cmp_lt_i32 s19, 11
	s_delay_alu instid0(VALU_DEP_1) | instskip(SKIP_1) | instid1(VALU_DEP_1)
	v_ashrrev_i32_e32 v3, 31, v2
	s_wait_xcnt 0x0
	v_add_nc_u64_e32 v[4:5], s[2:3], v[2:3]
	s_cbranch_scc1 .LBB214_1955
; %bb.1949:
	s_and_b32 s0, 0xffff, s19
	s_mov_b32 s25, 0
	s_cmp_gt_i32 s0, 25
	s_cbranch_scc0 .LBB214_1956
; %bb.1950:
	s_cmp_gt_i32 s0, 28
	s_cbranch_scc0 .LBB214_1957
; %bb.1951:
	;; [unrolled: 3-line block ×4, first 2 shown]
	s_cmp_eq_u32 s0, 46
	s_mov_b32 s26, 0
	s_cbranch_scc0 .LBB214_1965
; %bb.1954:
	global_load_b32 v1, v[4:5], off
	s_mov_b32 s23, 0
	s_mov_b32 s24, -1
	s_wait_loadcnt 0x0
	v_and_b32_e32 v1, 0x7fff7fff, v1
	s_delay_alu instid0(VALU_DEP_1)
	v_cmp_ne_u32_e64 s20, 0, v1
	s_branch .LBB214_1967
.LBB214_1955:
	s_mov_b32 s0, -1
	s_mov_b32 s24, 0
                                        ; implicit-def: $sgpr20
	s_branch .LBB214_2015
.LBB214_1956:
	s_mov_b32 s26, -1
	s_mov_b32 s24, 0
	s_mov_b32 s23, 0
                                        ; implicit-def: $sgpr20
	s_branch .LBB214_1988
.LBB214_1957:
	s_mov_b32 s26, -1
	s_mov_b32 s24, 0
	s_mov_b32 s23, 0
                                        ; implicit-def: $sgpr20
	s_branch .LBB214_1975
.LBB214_1958:
	s_mov_b32 s26, -1
	s_mov_b32 s24, 0
	s_mov_b32 s23, 0
                                        ; implicit-def: $sgpr20
	s_branch .LBB214_1970
.LBB214_1959:
	s_mov_b32 s23, 0
	s_or_b32 s13, s13, exec_lo
	s_trap 2
	s_cbranch_execz .LBB214_1896
	s_branch .LBB214_1897
.LBB214_1960:
	s_mov_b32 s26, -1
	s_mov_b32 s24, 0
	s_mov_b32 s23, 0
	s_branch .LBB214_1966
.LBB214_1961:
	v_bfe_u32 v2, v3, 21, 1
	s_mov_b32 s28, exec_lo
	s_delay_alu instid0(VALU_DEP_1) | instskip(NEXT) | instid1(VALU_DEP_1)
	v_add3_u32 v2, v3, v2, 0x88fffff
                                        ; implicit-def: $vgpr3
	v_lshrrev_b32_e32 v2, 21, v2
	s_and_not1_saveexec_b32 s29, s29
	s_cbranch_execz .LBB214_618
.LBB214_1962:
	v_add_f32_e32 v2, 0x42800000, v3
	s_and_not1_b32 s28, s28, exec_lo
	s_delay_alu instid0(VALU_DEP_1) | instskip(NEXT) | instid1(VALU_DEP_1)
	v_and_b32_e32 v2, 0xff, v2
	v_cmp_ne_u32_e32 vcc_lo, 0, v2
	s_and_b32 s30, vcc_lo, exec_lo
	s_delay_alu instid0(SALU_CYCLE_1)
	s_or_b32 s28, s28, s30
	s_or_b32 exec_lo, exec_lo, s29
	v_mov_b32_e32 v4, 0
	s_and_saveexec_b32 s29, s28
	s_cbranch_execnz .LBB214_619
	s_branch .LBB214_620
.LBB214_1963:
	v_bfe_u32 v2, v3, 20, 1
	s_mov_b32 s33, exec_lo
	s_delay_alu instid0(VALU_DEP_1) | instskip(NEXT) | instid1(VALU_DEP_1)
	v_add3_u32 v2, v3, v2, 0x487ffff
                                        ; implicit-def: $vgpr3
	v_lshrrev_b32_e32 v2, 20, v2
	s_and_not1_saveexec_b32 s34, s34
	s_cbranch_execz .LBB214_957
.LBB214_1964:
	v_add_f32_e32 v2, 0x46000000, v3
	s_and_not1_b32 s33, s33, exec_lo
	s_delay_alu instid0(VALU_DEP_1) | instskip(NEXT) | instid1(VALU_DEP_1)
	v_and_b32_e32 v2, 0xff, v2
	v_cmp_ne_u32_e32 vcc_lo, 0, v2
	s_and_b32 s35, vcc_lo, exec_lo
	s_delay_alu instid0(SALU_CYCLE_1)
	s_or_b32 s33, s33, s35
	s_or_b32 exec_lo, exec_lo, s34
	v_mov_b32_e32 v4, 0
	s_and_saveexec_b32 s34, s33
	s_cbranch_execnz .LBB214_958
	s_branch .LBB214_959
.LBB214_1965:
	s_mov_b32 s23, -1
	s_mov_b32 s24, 0
.LBB214_1966:
                                        ; implicit-def: $sgpr20
.LBB214_1967:
	s_and_b32 vcc_lo, exec_lo, s26
	s_cbranch_vccz .LBB214_1969
; %bb.1968:
	s_cmp_lg_u32 s0, 44
	s_mov_b32 s24, -1
	s_cselect_b32 s23, -1, 0
	s_or_b32 s20, s20, exec_lo
.LBB214_1969:
	s_mov_b32 s26, 0
.LBB214_1970:
	s_delay_alu instid0(SALU_CYCLE_1)
	s_and_b32 vcc_lo, exec_lo, s26
	s_cbranch_vccz .LBB214_1974
; %bb.1971:
	s_cmp_eq_u32 s0, 29
	s_cbranch_scc0 .LBB214_1973
; %bb.1972:
	global_load_b64 v[8:9], v[4:5], off
	s_mov_b32 s23, 0
	s_mov_b32 s24, -1
	s_mov_b32 s26, 0
	s_wait_loadcnt 0x0
	v_cmp_ne_u64_e64 s20, 0, v[8:9]
	s_branch .LBB214_1975
.LBB214_1973:
	s_mov_b32 s23, -1
                                        ; implicit-def: $sgpr20
.LBB214_1974:
	s_mov_b32 s26, 0
.LBB214_1975:
	s_delay_alu instid0(SALU_CYCLE_1)
	s_and_b32 vcc_lo, exec_lo, s26
	s_cbranch_vccz .LBB214_1987
; %bb.1976:
	s_cmp_lt_i32 s0, 27
	s_cbranch_scc1 .LBB214_1979
; %bb.1977:
	s_cmp_gt_i32 s0, 27
	s_cbranch_scc0 .LBB214_1980
; %bb.1978:
	global_load_b32 v1, v[4:5], off
	s_mov_b32 s24, 0
	s_wait_loadcnt 0x0
	v_cmp_ne_u32_e64 s20, 0, v1
	s_branch .LBB214_1981
.LBB214_1979:
	s_mov_b32 s24, -1
                                        ; implicit-def: $sgpr20
	s_branch .LBB214_1984
.LBB214_1980:
	s_mov_b32 s24, -1
                                        ; implicit-def: $sgpr20
.LBB214_1981:
	s_delay_alu instid0(SALU_CYCLE_1)
	s_and_not1_b32 vcc_lo, exec_lo, s24
	s_cbranch_vccnz .LBB214_1983
; %bb.1982:
	global_load_u16 v1, v[4:5], off
	s_and_not1_b32 s20, s20, exec_lo
	s_wait_loadcnt 0x0
	v_cmp_ne_u16_e32 vcc_lo, 0, v1
	s_and_b32 s24, vcc_lo, exec_lo
	s_delay_alu instid0(SALU_CYCLE_1)
	s_or_b32 s20, s20, s24
.LBB214_1983:
	s_mov_b32 s24, 0
.LBB214_1984:
	s_delay_alu instid0(SALU_CYCLE_1)
	s_and_not1_b32 vcc_lo, exec_lo, s24
	s_cbranch_vccnz .LBB214_1986
; %bb.1985:
	global_load_u8 v1, v[4:5], off
	s_and_not1_b32 s20, s20, exec_lo
	s_wait_loadcnt 0x0
	v_cmp_ne_u16_e32 vcc_lo, 0, v1
	s_and_b32 s24, vcc_lo, exec_lo
	s_delay_alu instid0(SALU_CYCLE_1)
	s_or_b32 s20, s20, s24
.LBB214_1986:
	s_mov_b32 s24, -1
.LBB214_1987:
	s_mov_b32 s26, 0
.LBB214_1988:
	s_delay_alu instid0(SALU_CYCLE_1)
	s_and_b32 vcc_lo, exec_lo, s26
	s_cbranch_vccz .LBB214_2011
; %bb.1989:
	s_cmp_gt_i32 s0, 22
	s_cbranch_scc0 .LBB214_1993
; %bb.1990:
	s_cmp_lt_i32 s0, 24
	s_cbranch_scc1 .LBB214_1994
; %bb.1991:
	s_cmp_gt_i32 s0, 24
	s_cbranch_scc0 .LBB214_1995
; %bb.1992:
	global_load_u8 v1, v[4:5], off
	s_mov_b32 s24, 0
	s_wait_loadcnt 0x0
	v_cmp_ne_u16_e64 s20, 0, v1
	s_branch .LBB214_1996
.LBB214_1993:
	s_mov_b32 s25, -1
                                        ; implicit-def: $sgpr20
	s_branch .LBB214_2002
.LBB214_1994:
	s_mov_b32 s24, -1
                                        ; implicit-def: $sgpr20
	s_branch .LBB214_1999
.LBB214_1995:
	s_mov_b32 s24, -1
                                        ; implicit-def: $sgpr20
.LBB214_1996:
	s_delay_alu instid0(SALU_CYCLE_1)
	s_and_not1_b32 vcc_lo, exec_lo, s24
	s_cbranch_vccnz .LBB214_1998
; %bb.1997:
	global_load_u8 v1, v[4:5], off
	s_and_not1_b32 s20, s20, exec_lo
	s_wait_loadcnt 0x0
	v_and_b32_e32 v1, 0x7f, v1
	s_delay_alu instid0(VALU_DEP_1) | instskip(SKIP_1) | instid1(SALU_CYCLE_1)
	v_cmp_ne_u16_e32 vcc_lo, 0, v1
	s_and_b32 s24, vcc_lo, exec_lo
	s_or_b32 s20, s20, s24
.LBB214_1998:
	s_mov_b32 s24, 0
.LBB214_1999:
	s_delay_alu instid0(SALU_CYCLE_1)
	s_and_not1_b32 vcc_lo, exec_lo, s24
	s_cbranch_vccnz .LBB214_2001
; %bb.2000:
	global_load_u8 v1, v[4:5], off
	s_and_not1_b32 s20, s20, exec_lo
	s_wait_loadcnt 0x0
	v_dual_lshlrev_b32 v3, 25, v1 :: v_dual_lshlrev_b32 v1, 8, v1
	s_delay_alu instid0(VALU_DEP_1) | instskip(NEXT) | instid1(VALU_DEP_2)
	v_cmp_gt_u32_e32 vcc_lo, 0x8000000, v3
	v_and_or_b32 v1, 0x7f00, v1, 0.5
	s_delay_alu instid0(VALU_DEP_1) | instskip(NEXT) | instid1(VALU_DEP_1)
	v_dual_lshrrev_b32 v7, 4, v3 :: v_dual_add_f32 v1, -0.5, v1
	v_or_b32_e32 v7, 0x70000000, v7
	s_delay_alu instid0(VALU_DEP_1) | instskip(NEXT) | instid1(VALU_DEP_1)
	v_mul_f32_e32 v7, 0x7800000, v7
	v_cndmask_b32_e32 v1, v7, v1, vcc_lo
	s_delay_alu instid0(VALU_DEP_1) | instskip(SKIP_1) | instid1(SALU_CYCLE_1)
	v_cmp_neq_f32_e32 vcc_lo, 0, v1
	s_and_b32 s24, vcc_lo, exec_lo
	s_or_b32 s20, s20, s24
.LBB214_2001:
	s_mov_b32 s24, -1
.LBB214_2002:
	s_and_not1_b32 vcc_lo, exec_lo, s25
	s_mov_b32 s25, 0
	s_cbranch_vccnz .LBB214_2011
; %bb.2003:
	s_cmp_gt_i32 s0, 14
	s_cbranch_scc0 .LBB214_2006
; %bb.2004:
	s_cmp_eq_u32 s0, 15
	s_cbranch_scc0 .LBB214_2007
; %bb.2005:
	global_load_u16 v1, v[4:5], off
	s_mov_b32 s23, 0
	s_mov_b32 s24, -1
	s_wait_loadcnt 0x0
	v_and_b32_e32 v1, 0x7fff, v1
	s_delay_alu instid0(VALU_DEP_1)
	v_cmp_ne_u16_e64 s20, 0, v1
	s_branch .LBB214_2009
.LBB214_2006:
	s_mov_b32 s25, -1
	s_branch .LBB214_2008
.LBB214_2007:
	s_mov_b32 s23, -1
.LBB214_2008:
                                        ; implicit-def: $sgpr20
.LBB214_2009:
	s_and_b32 vcc_lo, exec_lo, s25
	s_mov_b32 s25, 0
	s_cbranch_vccz .LBB214_2011
; %bb.2010:
	s_cmp_lg_u32 s0, 11
	s_mov_b32 s25, -1
	s_cselect_b32 s23, -1, 0
.LBB214_2011:
	s_delay_alu instid0(SALU_CYCLE_1)
	s_and_b32 vcc_lo, exec_lo, s23
	s_cbranch_vccnz .LBB214_2076
; %bb.2012:
	s_and_not1_b32 vcc_lo, exec_lo, s25
	s_cbranch_vccnz .LBB214_2014
.LBB214_2013:
	global_load_u8 v1, v[4:5], off
	s_and_not1_b32 s0, s20, exec_lo
	s_mov_b32 s24, -1
	s_wait_loadcnt 0x0
	v_cmp_ne_u16_e32 vcc_lo, 0, v1
	s_and_b32 s20, vcc_lo, exec_lo
	s_delay_alu instid0(SALU_CYCLE_1)
	s_or_b32 s20, s0, s20
.LBB214_2014:
	s_mov_b32 s0, 0
.LBB214_2015:
	s_delay_alu instid0(SALU_CYCLE_1)
	s_and_b32 vcc_lo, exec_lo, s0
	s_cbranch_vccz .LBB214_2064
; %bb.2016:
	s_and_b32 s23, 0xffff, s19
	s_delay_alu instid0(SALU_CYCLE_1)
	s_cmp_lt_i32 s23, 5
	s_cbranch_scc1 .LBB214_2021
; %bb.2017:
	s_cmp_lt_i32 s23, 8
	s_cbranch_scc1 .LBB214_2022
; %bb.2018:
	;; [unrolled: 3-line block ×3, first 2 shown]
	s_cmp_gt_i32 s23, 9
	s_cbranch_scc0 .LBB214_2024
; %bb.2020:
	global_load_b128 v[8:11], v[4:5], off
	s_wait_loadcnt 0x0
	v_cmp_neq_f64_e32 vcc_lo, 0, v[8:9]
	v_cmp_neq_f64_e64 s0, 0, v[10:11]
	s_or_b32 s20, vcc_lo, s0
	s_mov_b32 s0, 0
	s_branch .LBB214_2025
.LBB214_2021:
	s_mov_b32 s0, -1
                                        ; implicit-def: $sgpr20
	s_branch .LBB214_2043
.LBB214_2022:
	s_mov_b32 s0, -1
                                        ; implicit-def: $sgpr20
	s_branch .LBB214_2031
.LBB214_2023:
	s_mov_b32 s0, -1
                                        ; implicit-def: $sgpr20
	s_branch .LBB214_2028
.LBB214_2024:
	s_mov_b32 s0, -1
                                        ; implicit-def: $sgpr20
.LBB214_2025:
	s_delay_alu instid0(SALU_CYCLE_1)
	s_and_not1_b32 vcc_lo, exec_lo, s0
	s_cbranch_vccnz .LBB214_2027
; %bb.2026:
	global_load_b64 v[8:9], v[4:5], off
	s_and_not1_b32 s0, s20, exec_lo
	s_wait_loadcnt 0x0
	v_bitop3_b32 v1, v8, 0x7fffffff, v9 bitop3:0xc8
	s_delay_alu instid0(VALU_DEP_1) | instskip(SKIP_1) | instid1(SALU_CYCLE_1)
	v_cmp_ne_u32_e32 vcc_lo, 0, v1
	s_and_b32 s20, vcc_lo, exec_lo
	s_or_b32 s20, s0, s20
.LBB214_2027:
	s_mov_b32 s0, 0
.LBB214_2028:
	s_delay_alu instid0(SALU_CYCLE_1)
	s_and_not1_b32 vcc_lo, exec_lo, s0
	s_cbranch_vccnz .LBB214_2030
; %bb.2029:
	global_load_b32 v1, v[4:5], off
	s_and_not1_b32 s0, s20, exec_lo
	s_wait_loadcnt 0x0
	v_and_b32_e32 v1, 0x7fff7fff, v1
	s_delay_alu instid0(VALU_DEP_1) | instskip(SKIP_1) | instid1(SALU_CYCLE_1)
	v_cmp_ne_u32_e32 vcc_lo, 0, v1
	s_and_b32 s20, vcc_lo, exec_lo
	s_or_b32 s20, s0, s20
.LBB214_2030:
	s_mov_b32 s0, 0
.LBB214_2031:
	s_delay_alu instid0(SALU_CYCLE_1)
	s_and_not1_b32 vcc_lo, exec_lo, s0
	s_cbranch_vccnz .LBB214_2042
; %bb.2032:
	s_cmp_lt_i32 s23, 6
	s_cbranch_scc1 .LBB214_2035
; %bb.2033:
	s_cmp_gt_i32 s23, 6
	s_cbranch_scc0 .LBB214_2036
; %bb.2034:
	global_load_b64 v[8:9], v[4:5], off
	s_mov_b32 s0, 0
	s_wait_loadcnt 0x0
	v_cmp_neq_f64_e64 s20, 0, v[8:9]
	s_branch .LBB214_2037
.LBB214_2035:
	s_mov_b32 s0, -1
                                        ; implicit-def: $sgpr20
	s_branch .LBB214_2040
.LBB214_2036:
	s_mov_b32 s0, -1
                                        ; implicit-def: $sgpr20
.LBB214_2037:
	s_delay_alu instid0(SALU_CYCLE_1)
	s_and_not1_b32 vcc_lo, exec_lo, s0
	s_cbranch_vccnz .LBB214_2039
; %bb.2038:
	global_load_b32 v1, v[4:5], off
	s_and_not1_b32 s0, s20, exec_lo
	s_wait_loadcnt 0x0
	v_cmp_neq_f32_e32 vcc_lo, 0, v1
	s_and_b32 s20, vcc_lo, exec_lo
	s_delay_alu instid0(SALU_CYCLE_1)
	s_or_b32 s20, s0, s20
.LBB214_2039:
	s_mov_b32 s0, 0
.LBB214_2040:
	s_delay_alu instid0(SALU_CYCLE_1)
	s_and_not1_b32 vcc_lo, exec_lo, s0
	s_cbranch_vccnz .LBB214_2042
; %bb.2041:
	global_load_u16 v1, v[4:5], off
	s_and_not1_b32 s0, s20, exec_lo
	s_wait_loadcnt 0x0
	v_and_b32_e32 v1, 0x7fff, v1
	s_delay_alu instid0(VALU_DEP_1) | instskip(SKIP_1) | instid1(SALU_CYCLE_1)
	v_cmp_ne_u16_e32 vcc_lo, 0, v1
	s_and_b32 s20, vcc_lo, exec_lo
	s_or_b32 s20, s0, s20
.LBB214_2042:
	s_mov_b32 s0, 0
.LBB214_2043:
	s_delay_alu instid0(SALU_CYCLE_1)
	s_and_not1_b32 vcc_lo, exec_lo, s0
	s_cbranch_vccnz .LBB214_2063
; %bb.2044:
	s_cmp_lt_i32 s23, 2
	s_cbranch_scc1 .LBB214_2048
; %bb.2045:
	s_cmp_lt_i32 s23, 3
	s_cbranch_scc1 .LBB214_2049
; %bb.2046:
	s_cmp_gt_i32 s23, 3
	s_cbranch_scc0 .LBB214_2050
; %bb.2047:
	global_load_b64 v[8:9], v[4:5], off
	s_mov_b32 s0, 0
	s_wait_loadcnt 0x0
	v_cmp_ne_u64_e64 s20, 0, v[8:9]
	s_branch .LBB214_2051
.LBB214_2048:
	s_mov_b32 s0, -1
                                        ; implicit-def: $sgpr20
	s_branch .LBB214_2057
.LBB214_2049:
	s_mov_b32 s0, -1
                                        ; implicit-def: $sgpr20
	s_branch .LBB214_2054
.LBB214_2050:
	s_mov_b32 s0, -1
                                        ; implicit-def: $sgpr20
.LBB214_2051:
	s_delay_alu instid0(SALU_CYCLE_1)
	s_and_not1_b32 vcc_lo, exec_lo, s0
	s_cbranch_vccnz .LBB214_2053
; %bb.2052:
	global_load_b32 v1, v[4:5], off
	s_and_not1_b32 s0, s20, exec_lo
	s_wait_loadcnt 0x0
	v_cmp_ne_u32_e32 vcc_lo, 0, v1
	s_and_b32 s20, vcc_lo, exec_lo
	s_delay_alu instid0(SALU_CYCLE_1)
	s_or_b32 s20, s0, s20
.LBB214_2053:
	s_mov_b32 s0, 0
.LBB214_2054:
	s_delay_alu instid0(SALU_CYCLE_1)
	s_and_not1_b32 vcc_lo, exec_lo, s0
	s_cbranch_vccnz .LBB214_2056
; %bb.2055:
	global_load_u16 v1, v[4:5], off
	s_and_not1_b32 s0, s20, exec_lo
	s_wait_loadcnt 0x0
	v_cmp_ne_u16_e32 vcc_lo, 0, v1
	s_and_b32 s20, vcc_lo, exec_lo
	s_delay_alu instid0(SALU_CYCLE_1)
	s_or_b32 s20, s0, s20
.LBB214_2056:
	s_mov_b32 s0, 0
.LBB214_2057:
	s_delay_alu instid0(SALU_CYCLE_1)
	s_and_not1_b32 vcc_lo, exec_lo, s0
	s_cbranch_vccnz .LBB214_2063
; %bb.2058:
	s_cmp_gt_i32 s23, 0
	s_mov_b32 s0, 0
	s_cbranch_scc0 .LBB214_2060
; %bb.2059:
	global_load_u8 v1, v[4:5], off
	s_wait_loadcnt 0x0
	v_cmp_ne_u16_e64 s20, 0, v1
	s_branch .LBB214_2061
.LBB214_2060:
	s_mov_b32 s0, -1
                                        ; implicit-def: $sgpr20
.LBB214_2061:
	s_delay_alu instid0(SALU_CYCLE_1)
	s_and_not1_b32 vcc_lo, exec_lo, s0
	s_cbranch_vccnz .LBB214_2063
; %bb.2062:
	global_load_u8 v1, v[4:5], off
	s_and_not1_b32 s0, s20, exec_lo
	s_wait_loadcnt 0x0
	v_cmp_ne_u16_e32 vcc_lo, 0, v1
	s_and_b32 s20, vcc_lo, exec_lo
	s_delay_alu instid0(SALU_CYCLE_1)
	s_or_b32 s20, s0, s20
.LBB214_2063:
	s_mov_b32 s24, -1
.LBB214_2064:
	s_delay_alu instid0(SALU_CYCLE_1)
	s_and_not1_b32 vcc_lo, exec_lo, s24
	s_cbranch_vccnz .LBB214_2725
; %bb.2065:
	v_add_nc_u32_e32 v0, s21, v0
	s_cmp_lt_i32 s18, 11
	s_delay_alu instid0(VALU_DEP_1) | instskip(NEXT) | instid1(VALU_DEP_1)
	v_ashrrev_i32_e32 v1, 31, v0
	v_add_nc_u64_e32 v[0:1], s[6:7], v[0:1]
	s_cbranch_scc1 .LBB214_2072
; %bb.2066:
	s_and_b32 s0, 0xffff, s18
	s_mov_b32 s23, 0
	s_cmp_gt_i32 s0, 25
	s_cbranch_scc0 .LBB214_2073
; %bb.2067:
	s_cmp_gt_i32 s0, 28
	s_cbranch_scc0 .LBB214_2074
; %bb.2068:
	;; [unrolled: 3-line block ×4, first 2 shown]
	s_cmp_eq_u32 s0, 46
	s_mov_b32 s24, 0
	s_cbranch_scc0 .LBB214_2080
; %bb.2071:
	global_load_b32 v3, v[0:1], off
	s_mov_b32 s7, 0
	s_mov_b32 s21, -1
	s_wait_loadcnt 0x0
	v_and_b32_e32 v3, 0x7fff7fff, v3
	s_delay_alu instid0(VALU_DEP_1)
	v_cmp_ne_u32_e64 s6, 0, v3
	s_branch .LBB214_2082
.LBB214_2072:
	s_mov_b32 s0, -1
	s_mov_b32 s21, 0
                                        ; implicit-def: $sgpr6
	s_branch .LBB214_2130
.LBB214_2073:
	s_mov_b32 s24, -1
	s_mov_b32 s21, 0
	s_mov_b32 s7, 0
                                        ; implicit-def: $sgpr6
	s_branch .LBB214_2103
.LBB214_2074:
	s_mov_b32 s24, -1
	s_mov_b32 s21, 0
	s_mov_b32 s7, 0
                                        ; implicit-def: $sgpr6
	s_branch .LBB214_2090
.LBB214_2075:
	s_mov_b32 s24, -1
	s_mov_b32 s21, 0
	s_mov_b32 s7, 0
                                        ; implicit-def: $sgpr6
	s_branch .LBB214_2085
.LBB214_2076:
	s_mov_b32 s24, 0
	s_or_b32 s13, s13, exec_lo
	s_trap 2
	s_cbranch_execz .LBB214_2013
	s_branch .LBB214_2014
.LBB214_2077:
	s_mov_b32 s24, -1
	s_mov_b32 s21, 0
	s_mov_b32 s7, 0
	s_branch .LBB214_2081
.LBB214_2078:
	v_bfe_u32 v2, v3, 21, 1
	s_mov_b32 s33, exec_lo
	s_delay_alu instid0(VALU_DEP_1) | instskip(NEXT) | instid1(VALU_DEP_1)
	v_add3_u32 v2, v3, v2, 0x88fffff
                                        ; implicit-def: $vgpr3
	v_lshrrev_b32_e32 v2, 21, v2
	s_and_not1_saveexec_b32 s34, s34
	s_cbranch_execz .LBB214_970
.LBB214_2079:
	v_add_f32_e32 v2, 0x42800000, v3
	s_and_not1_b32 s33, s33, exec_lo
	s_delay_alu instid0(VALU_DEP_1) | instskip(NEXT) | instid1(VALU_DEP_1)
	v_and_b32_e32 v2, 0xff, v2
	v_cmp_ne_u32_e32 vcc_lo, 0, v2
	s_and_b32 s35, vcc_lo, exec_lo
	s_delay_alu instid0(SALU_CYCLE_1)
	s_or_b32 s33, s33, s35
	s_or_b32 exec_lo, exec_lo, s34
	v_mov_b32_e32 v4, 0
	s_and_saveexec_b32 s34, s33
	s_cbranch_execnz .LBB214_971
	s_branch .LBB214_972
.LBB214_2080:
	s_mov_b32 s7, -1
	s_mov_b32 s21, 0
.LBB214_2081:
                                        ; implicit-def: $sgpr6
.LBB214_2082:
	s_and_b32 vcc_lo, exec_lo, s24
	s_cbranch_vccz .LBB214_2084
; %bb.2083:
	s_cmp_lg_u32 s0, 44
	s_mov_b32 s21, -1
	s_cselect_b32 s7, -1, 0
	s_or_b32 s6, s6, exec_lo
.LBB214_2084:
	s_mov_b32 s24, 0
.LBB214_2085:
	s_delay_alu instid0(SALU_CYCLE_1)
	s_and_b32 vcc_lo, exec_lo, s24
	s_cbranch_vccz .LBB214_2089
; %bb.2086:
	s_cmp_eq_u32 s0, 29
	s_cbranch_scc0 .LBB214_2088
; %bb.2087:
	global_load_b64 v[4:5], v[0:1], off
	s_mov_b32 s7, 0
	s_mov_b32 s21, -1
	s_mov_b32 s24, 0
	s_wait_loadcnt 0x0
	v_cmp_ne_u64_e64 s6, 0, v[4:5]
	s_branch .LBB214_2090
.LBB214_2088:
	s_mov_b32 s7, -1
                                        ; implicit-def: $sgpr6
.LBB214_2089:
	s_mov_b32 s24, 0
.LBB214_2090:
	s_delay_alu instid0(SALU_CYCLE_1)
	s_and_b32 vcc_lo, exec_lo, s24
	s_cbranch_vccz .LBB214_2102
; %bb.2091:
	s_cmp_lt_i32 s0, 27
	s_cbranch_scc1 .LBB214_2094
; %bb.2092:
	s_cmp_gt_i32 s0, 27
	s_cbranch_scc0 .LBB214_2095
; %bb.2093:
	global_load_b32 v3, v[0:1], off
	s_mov_b32 s21, 0
	s_wait_loadcnt 0x0
	v_cmp_ne_u32_e64 s6, 0, v3
	s_branch .LBB214_2096
.LBB214_2094:
	s_mov_b32 s21, -1
                                        ; implicit-def: $sgpr6
	s_branch .LBB214_2099
.LBB214_2095:
	s_mov_b32 s21, -1
                                        ; implicit-def: $sgpr6
.LBB214_2096:
	s_delay_alu instid0(SALU_CYCLE_1)
	s_and_not1_b32 vcc_lo, exec_lo, s21
	s_cbranch_vccnz .LBB214_2098
; %bb.2097:
	global_load_u16 v3, v[0:1], off
	s_and_not1_b32 s6, s6, exec_lo
	s_wait_loadcnt 0x0
	v_cmp_ne_u16_e32 vcc_lo, 0, v3
	s_and_b32 s21, vcc_lo, exec_lo
	s_delay_alu instid0(SALU_CYCLE_1)
	s_or_b32 s6, s6, s21
.LBB214_2098:
	s_mov_b32 s21, 0
.LBB214_2099:
	s_delay_alu instid0(SALU_CYCLE_1)
	s_and_not1_b32 vcc_lo, exec_lo, s21
	s_cbranch_vccnz .LBB214_2101
; %bb.2100:
	global_load_u8 v3, v[0:1], off
	s_and_not1_b32 s6, s6, exec_lo
	s_wait_loadcnt 0x0
	v_cmp_ne_u16_e32 vcc_lo, 0, v3
	s_and_b32 s21, vcc_lo, exec_lo
	s_delay_alu instid0(SALU_CYCLE_1)
	s_or_b32 s6, s6, s21
.LBB214_2101:
	s_mov_b32 s21, -1
.LBB214_2102:
	s_mov_b32 s24, 0
.LBB214_2103:
	s_delay_alu instid0(SALU_CYCLE_1)
	s_and_b32 vcc_lo, exec_lo, s24
	s_cbranch_vccz .LBB214_2126
; %bb.2104:
	s_cmp_gt_i32 s0, 22
	s_cbranch_scc0 .LBB214_2108
; %bb.2105:
	s_cmp_lt_i32 s0, 24
	s_cbranch_scc1 .LBB214_2109
; %bb.2106:
	s_cmp_gt_i32 s0, 24
	s_cbranch_scc0 .LBB214_2110
; %bb.2107:
	global_load_u8 v3, v[0:1], off
	s_mov_b32 s21, 0
	s_wait_loadcnt 0x0
	v_cmp_ne_u16_e64 s6, 0, v3
	s_branch .LBB214_2111
.LBB214_2108:
	s_mov_b32 s23, -1
                                        ; implicit-def: $sgpr6
	s_branch .LBB214_2117
.LBB214_2109:
	s_mov_b32 s21, -1
                                        ; implicit-def: $sgpr6
	s_branch .LBB214_2114
.LBB214_2110:
	s_mov_b32 s21, -1
                                        ; implicit-def: $sgpr6
.LBB214_2111:
	s_delay_alu instid0(SALU_CYCLE_1)
	s_and_not1_b32 vcc_lo, exec_lo, s21
	s_cbranch_vccnz .LBB214_2113
; %bb.2112:
	global_load_u8 v3, v[0:1], off
	s_and_not1_b32 s6, s6, exec_lo
	s_wait_loadcnt 0x0
	v_and_b32_e32 v3, 0x7f, v3
	s_delay_alu instid0(VALU_DEP_1) | instskip(SKIP_1) | instid1(SALU_CYCLE_1)
	v_cmp_ne_u16_e32 vcc_lo, 0, v3
	s_and_b32 s21, vcc_lo, exec_lo
	s_or_b32 s6, s6, s21
.LBB214_2113:
	s_mov_b32 s21, 0
.LBB214_2114:
	s_delay_alu instid0(SALU_CYCLE_1)
	s_and_not1_b32 vcc_lo, exec_lo, s21
	s_cbranch_vccnz .LBB214_2116
; %bb.2115:
	global_load_u8 v3, v[0:1], off
	s_and_not1_b32 s6, s6, exec_lo
	s_wait_loadcnt 0x0
	s_wait_xcnt 0x1
	v_dual_lshlrev_b32 v4, 25, v3 :: v_dual_lshlrev_b32 v3, 8, v3
	s_delay_alu instid0(VALU_DEP_1) | instskip(NEXT) | instid1(VALU_DEP_2)
	v_cmp_gt_u32_e32 vcc_lo, 0x8000000, v4
	v_and_or_b32 v3, 0x7f00, v3, 0.5
	s_delay_alu instid0(VALU_DEP_1) | instskip(NEXT) | instid1(VALU_DEP_1)
	v_dual_lshrrev_b32 v5, 4, v4 :: v_dual_add_f32 v3, -0.5, v3
	v_or_b32_e32 v5, 0x70000000, v5
	s_delay_alu instid0(VALU_DEP_1) | instskip(NEXT) | instid1(VALU_DEP_1)
	v_mul_f32_e32 v5, 0x7800000, v5
	v_cndmask_b32_e32 v3, v5, v3, vcc_lo
	s_delay_alu instid0(VALU_DEP_1) | instskip(SKIP_1) | instid1(SALU_CYCLE_1)
	v_cmp_neq_f32_e32 vcc_lo, 0, v3
	s_and_b32 s21, vcc_lo, exec_lo
	s_or_b32 s6, s6, s21
.LBB214_2116:
	s_mov_b32 s21, -1
.LBB214_2117:
	s_and_not1_b32 vcc_lo, exec_lo, s23
	s_mov_b32 s23, 0
	s_cbranch_vccnz .LBB214_2126
; %bb.2118:
	s_cmp_gt_i32 s0, 14
	s_cbranch_scc0 .LBB214_2121
; %bb.2119:
	s_cmp_eq_u32 s0, 15
	s_cbranch_scc0 .LBB214_2122
; %bb.2120:
	global_load_u16 v3, v[0:1], off
	s_mov_b32 s7, 0
	s_mov_b32 s21, -1
	s_wait_loadcnt 0x0
	v_and_b32_e32 v3, 0x7fff, v3
	s_delay_alu instid0(VALU_DEP_1)
	v_cmp_ne_u16_e64 s6, 0, v3
	s_branch .LBB214_2124
.LBB214_2121:
	s_mov_b32 s23, -1
	s_branch .LBB214_2123
.LBB214_2122:
	s_mov_b32 s7, -1
.LBB214_2123:
                                        ; implicit-def: $sgpr6
.LBB214_2124:
	s_and_b32 vcc_lo, exec_lo, s23
	s_mov_b32 s23, 0
	s_cbranch_vccz .LBB214_2126
; %bb.2125:
	s_cmp_lg_u32 s0, 11
	s_mov_b32 s23, -1
	s_cselect_b32 s7, -1, 0
.LBB214_2126:
	s_delay_alu instid0(SALU_CYCLE_1)
	s_and_b32 vcc_lo, exec_lo, s7
	s_cbranch_vccnz .LBB214_2191
; %bb.2127:
	s_and_not1_b32 vcc_lo, exec_lo, s23
	s_cbranch_vccnz .LBB214_2129
.LBB214_2128:
	global_load_u8 v3, v[0:1], off
	s_and_not1_b32 s0, s6, exec_lo
	s_mov_b32 s21, -1
	s_wait_loadcnt 0x0
	v_cmp_ne_u16_e32 vcc_lo, 0, v3
	s_and_b32 s6, vcc_lo, exec_lo
	s_delay_alu instid0(SALU_CYCLE_1)
	s_or_b32 s6, s0, s6
.LBB214_2129:
	s_mov_b32 s0, 0
.LBB214_2130:
	s_delay_alu instid0(SALU_CYCLE_1)
	s_and_b32 vcc_lo, exec_lo, s0
	s_cbranch_vccz .LBB214_2179
; %bb.2131:
	s_and_b32 s7, 0xffff, s18
	s_delay_alu instid0(SALU_CYCLE_1)
	s_cmp_lt_i32 s7, 5
	s_cbranch_scc1 .LBB214_2136
; %bb.2132:
	s_cmp_lt_i32 s7, 8
	s_cbranch_scc1 .LBB214_2137
; %bb.2133:
	;; [unrolled: 3-line block ×3, first 2 shown]
	s_cmp_gt_i32 s7, 9
	s_cbranch_scc0 .LBB214_2139
; %bb.2135:
	global_load_b128 v[8:11], v[0:1], off
	s_wait_loadcnt 0x0
	v_cmp_neq_f64_e32 vcc_lo, 0, v[8:9]
	v_cmp_neq_f64_e64 s0, 0, v[10:11]
	s_or_b32 s6, vcc_lo, s0
	s_mov_b32 s0, 0
	s_branch .LBB214_2140
.LBB214_2136:
	s_mov_b32 s0, -1
                                        ; implicit-def: $sgpr6
	s_branch .LBB214_2158
.LBB214_2137:
	s_mov_b32 s0, -1
                                        ; implicit-def: $sgpr6
	s_branch .LBB214_2146
.LBB214_2138:
	s_mov_b32 s0, -1
                                        ; implicit-def: $sgpr6
	s_branch .LBB214_2143
.LBB214_2139:
	s_mov_b32 s0, -1
                                        ; implicit-def: $sgpr6
.LBB214_2140:
	s_delay_alu instid0(SALU_CYCLE_1)
	s_and_not1_b32 vcc_lo, exec_lo, s0
	s_cbranch_vccnz .LBB214_2142
; %bb.2141:
	global_load_b64 v[4:5], v[0:1], off
	s_and_not1_b32 s0, s6, exec_lo
	s_wait_loadcnt 0x0
	v_bitop3_b32 v3, v4, 0x7fffffff, v5 bitop3:0xc8
	s_delay_alu instid0(VALU_DEP_1) | instskip(SKIP_1) | instid1(SALU_CYCLE_1)
	v_cmp_ne_u32_e32 vcc_lo, 0, v3
	s_and_b32 s6, vcc_lo, exec_lo
	s_or_b32 s6, s0, s6
.LBB214_2142:
	s_mov_b32 s0, 0
.LBB214_2143:
	s_delay_alu instid0(SALU_CYCLE_1)
	s_and_not1_b32 vcc_lo, exec_lo, s0
	s_cbranch_vccnz .LBB214_2145
; %bb.2144:
	global_load_b32 v3, v[0:1], off
	s_and_not1_b32 s0, s6, exec_lo
	s_wait_loadcnt 0x0
	v_and_b32_e32 v3, 0x7fff7fff, v3
	s_delay_alu instid0(VALU_DEP_1) | instskip(SKIP_1) | instid1(SALU_CYCLE_1)
	v_cmp_ne_u32_e32 vcc_lo, 0, v3
	s_and_b32 s6, vcc_lo, exec_lo
	s_or_b32 s6, s0, s6
.LBB214_2145:
	s_mov_b32 s0, 0
.LBB214_2146:
	s_delay_alu instid0(SALU_CYCLE_1)
	s_and_not1_b32 vcc_lo, exec_lo, s0
	s_cbranch_vccnz .LBB214_2157
; %bb.2147:
	s_cmp_lt_i32 s7, 6
	s_cbranch_scc1 .LBB214_2150
; %bb.2148:
	s_cmp_gt_i32 s7, 6
	s_cbranch_scc0 .LBB214_2151
; %bb.2149:
	global_load_b64 v[4:5], v[0:1], off
	s_mov_b32 s0, 0
	s_wait_loadcnt 0x0
	v_cmp_neq_f64_e64 s6, 0, v[4:5]
	s_branch .LBB214_2152
.LBB214_2150:
	s_mov_b32 s0, -1
                                        ; implicit-def: $sgpr6
	s_branch .LBB214_2155
.LBB214_2151:
	s_mov_b32 s0, -1
                                        ; implicit-def: $sgpr6
.LBB214_2152:
	s_delay_alu instid0(SALU_CYCLE_1)
	s_and_not1_b32 vcc_lo, exec_lo, s0
	s_cbranch_vccnz .LBB214_2154
; %bb.2153:
	global_load_b32 v3, v[0:1], off
	s_and_not1_b32 s0, s6, exec_lo
	s_wait_loadcnt 0x0
	v_cmp_neq_f32_e32 vcc_lo, 0, v3
	s_and_b32 s6, vcc_lo, exec_lo
	s_delay_alu instid0(SALU_CYCLE_1)
	s_or_b32 s6, s0, s6
.LBB214_2154:
	s_mov_b32 s0, 0
.LBB214_2155:
	s_delay_alu instid0(SALU_CYCLE_1)
	s_and_not1_b32 vcc_lo, exec_lo, s0
	s_cbranch_vccnz .LBB214_2157
; %bb.2156:
	global_load_u16 v3, v[0:1], off
	s_and_not1_b32 s0, s6, exec_lo
	s_wait_loadcnt 0x0
	v_and_b32_e32 v3, 0x7fff, v3
	s_delay_alu instid0(VALU_DEP_1) | instskip(SKIP_1) | instid1(SALU_CYCLE_1)
	v_cmp_ne_u16_e32 vcc_lo, 0, v3
	s_and_b32 s6, vcc_lo, exec_lo
	s_or_b32 s6, s0, s6
.LBB214_2157:
	s_mov_b32 s0, 0
.LBB214_2158:
	s_delay_alu instid0(SALU_CYCLE_1)
	s_and_not1_b32 vcc_lo, exec_lo, s0
	s_cbranch_vccnz .LBB214_2178
; %bb.2159:
	s_cmp_lt_i32 s7, 2
	s_cbranch_scc1 .LBB214_2163
; %bb.2160:
	s_cmp_lt_i32 s7, 3
	s_cbranch_scc1 .LBB214_2164
; %bb.2161:
	s_cmp_gt_i32 s7, 3
	s_cbranch_scc0 .LBB214_2165
; %bb.2162:
	global_load_b64 v[4:5], v[0:1], off
	s_mov_b32 s0, 0
	s_wait_loadcnt 0x0
	v_cmp_ne_u64_e64 s6, 0, v[4:5]
	s_branch .LBB214_2166
.LBB214_2163:
	s_mov_b32 s0, -1
                                        ; implicit-def: $sgpr6
	s_branch .LBB214_2172
.LBB214_2164:
	s_mov_b32 s0, -1
                                        ; implicit-def: $sgpr6
	s_branch .LBB214_2169
.LBB214_2165:
	s_mov_b32 s0, -1
                                        ; implicit-def: $sgpr6
.LBB214_2166:
	s_delay_alu instid0(SALU_CYCLE_1)
	s_and_not1_b32 vcc_lo, exec_lo, s0
	s_cbranch_vccnz .LBB214_2168
; %bb.2167:
	global_load_b32 v3, v[0:1], off
	s_and_not1_b32 s0, s6, exec_lo
	s_wait_loadcnt 0x0
	v_cmp_ne_u32_e32 vcc_lo, 0, v3
	s_and_b32 s6, vcc_lo, exec_lo
	s_delay_alu instid0(SALU_CYCLE_1)
	s_or_b32 s6, s0, s6
.LBB214_2168:
	s_mov_b32 s0, 0
.LBB214_2169:
	s_delay_alu instid0(SALU_CYCLE_1)
	s_and_not1_b32 vcc_lo, exec_lo, s0
	s_cbranch_vccnz .LBB214_2171
; %bb.2170:
	global_load_u16 v3, v[0:1], off
	s_and_not1_b32 s0, s6, exec_lo
	s_wait_loadcnt 0x0
	v_cmp_ne_u16_e32 vcc_lo, 0, v3
	s_and_b32 s6, vcc_lo, exec_lo
	s_delay_alu instid0(SALU_CYCLE_1)
	s_or_b32 s6, s0, s6
.LBB214_2171:
	s_mov_b32 s0, 0
.LBB214_2172:
	s_delay_alu instid0(SALU_CYCLE_1)
	s_and_not1_b32 vcc_lo, exec_lo, s0
	s_cbranch_vccnz .LBB214_2178
; %bb.2173:
	s_cmp_gt_i32 s7, 0
	s_mov_b32 s0, 0
	s_cbranch_scc0 .LBB214_2175
; %bb.2174:
	global_load_u8 v3, v[0:1], off
	s_wait_loadcnt 0x0
	v_cmp_ne_u16_e64 s6, 0, v3
	s_branch .LBB214_2176
.LBB214_2175:
	s_mov_b32 s0, -1
                                        ; implicit-def: $sgpr6
.LBB214_2176:
	s_delay_alu instid0(SALU_CYCLE_1)
	s_and_not1_b32 vcc_lo, exec_lo, s0
	s_cbranch_vccnz .LBB214_2178
; %bb.2177:
	global_load_u8 v0, v[0:1], off
	s_and_not1_b32 s0, s6, exec_lo
	s_wait_loadcnt 0x0
	v_cmp_ne_u16_e32 vcc_lo, 0, v0
	s_and_b32 s6, vcc_lo, exec_lo
	s_delay_alu instid0(SALU_CYCLE_1)
	s_or_b32 s6, s0, s6
.LBB214_2178:
	s_mov_b32 s21, -1
.LBB214_2179:
	s_delay_alu instid0(SALU_CYCLE_1)
	s_and_not1_b32 vcc_lo, exec_lo, s21
	s_cbranch_vccnz .LBB214_2725
; %bb.2180:
	s_wait_xcnt 0x0
	v_add_nc_u32_e32 v0, s22, v2
	s_cmp_lt_i32 s19, 11
	s_delay_alu instid0(VALU_DEP_1) | instskip(NEXT) | instid1(VALU_DEP_1)
	v_ashrrev_i32_e32 v1, 31, v0
	v_add_nc_u64_e32 v[0:1], s[2:3], v[0:1]
	s_cbranch_scc1 .LBB214_2187
; %bb.2181:
	s_and_b32 s0, 0xffff, s19
	s_mov_b32 s18, 0
	s_cmp_gt_i32 s0, 25
	s_cbranch_scc0 .LBB214_2188
; %bb.2182:
	s_cmp_gt_i32 s0, 28
	s_cbranch_scc0 .LBB214_2189
; %bb.2183:
	s_cmp_gt_i32 s0, 43
	s_cbranch_scc0 .LBB214_2190
; %bb.2184:
	s_cmp_gt_i32 s0, 45
	s_cbranch_scc0 .LBB214_2192
; %bb.2185:
	s_cmp_eq_u32 s0, 46
	s_mov_b32 s21, 0
	s_cbranch_scc0 .LBB214_2193
; %bb.2186:
	global_load_b32 v2, v[0:1], off
	s_mov_b32 s3, 0
	s_mov_b32 s7, -1
	s_wait_loadcnt 0x0
	v_and_b32_e32 v2, 0x7fff7fff, v2
	s_delay_alu instid0(VALU_DEP_1)
	v_cmp_ne_u32_e64 s2, 0, v2
	s_branch .LBB214_2195
.LBB214_2187:
	s_mov_b32 s0, -1
	s_mov_b32 s7, 0
                                        ; implicit-def: $sgpr2
	s_branch .LBB214_2243
.LBB214_2188:
	s_mov_b32 s21, -1
	s_mov_b32 s7, 0
	s_mov_b32 s3, 0
                                        ; implicit-def: $sgpr2
	s_branch .LBB214_2216
.LBB214_2189:
	s_mov_b32 s21, -1
	s_mov_b32 s7, 0
	s_mov_b32 s3, 0
                                        ; implicit-def: $sgpr2
	s_branch .LBB214_2203
.LBB214_2190:
	s_mov_b32 s21, -1
	s_mov_b32 s7, 0
	s_mov_b32 s3, 0
                                        ; implicit-def: $sgpr2
	s_branch .LBB214_2198
.LBB214_2191:
	s_mov_b32 s21, 0
	s_or_b32 s13, s13, exec_lo
	s_trap 2
	s_cbranch_execz .LBB214_2128
	s_branch .LBB214_2129
.LBB214_2192:
	s_mov_b32 s21, -1
	s_mov_b32 s7, 0
	s_mov_b32 s3, 0
	s_branch .LBB214_2194
.LBB214_2193:
	s_mov_b32 s3, -1
	s_mov_b32 s7, 0
.LBB214_2194:
                                        ; implicit-def: $sgpr2
.LBB214_2195:
	s_and_b32 vcc_lo, exec_lo, s21
	s_cbranch_vccz .LBB214_2197
; %bb.2196:
	s_cmp_lg_u32 s0, 44
	s_mov_b32 s7, -1
	s_cselect_b32 s3, -1, 0
	s_or_b32 s2, s2, exec_lo
.LBB214_2197:
	s_mov_b32 s21, 0
.LBB214_2198:
	s_delay_alu instid0(SALU_CYCLE_1)
	s_and_b32 vcc_lo, exec_lo, s21
	s_cbranch_vccz .LBB214_2202
; %bb.2199:
	s_cmp_eq_u32 s0, 29
	s_cbranch_scc0 .LBB214_2201
; %bb.2200:
	global_load_b64 v[2:3], v[0:1], off
	s_mov_b32 s3, 0
	s_mov_b32 s7, -1
	s_mov_b32 s21, 0
	s_wait_loadcnt 0x0
	v_cmp_ne_u64_e64 s2, 0, v[2:3]
	s_branch .LBB214_2203
.LBB214_2201:
	s_mov_b32 s3, -1
                                        ; implicit-def: $sgpr2
.LBB214_2202:
	s_mov_b32 s21, 0
.LBB214_2203:
	s_delay_alu instid0(SALU_CYCLE_1)
	s_and_b32 vcc_lo, exec_lo, s21
	s_cbranch_vccz .LBB214_2215
; %bb.2204:
	s_cmp_lt_i32 s0, 27
	s_cbranch_scc1 .LBB214_2207
; %bb.2205:
	s_cmp_gt_i32 s0, 27
	s_cbranch_scc0 .LBB214_2208
; %bb.2206:
	global_load_b32 v2, v[0:1], off
	s_mov_b32 s7, 0
	s_wait_loadcnt 0x0
	v_cmp_ne_u32_e64 s2, 0, v2
	s_branch .LBB214_2209
.LBB214_2207:
	s_mov_b32 s7, -1
                                        ; implicit-def: $sgpr2
	s_branch .LBB214_2212
.LBB214_2208:
	s_mov_b32 s7, -1
                                        ; implicit-def: $sgpr2
.LBB214_2209:
	s_delay_alu instid0(SALU_CYCLE_1)
	s_and_not1_b32 vcc_lo, exec_lo, s7
	s_cbranch_vccnz .LBB214_2211
; %bb.2210:
	global_load_u16 v2, v[0:1], off
	s_and_not1_b32 s2, s2, exec_lo
	s_wait_loadcnt 0x0
	v_cmp_ne_u16_e32 vcc_lo, 0, v2
	s_and_b32 s7, vcc_lo, exec_lo
	s_delay_alu instid0(SALU_CYCLE_1)
	s_or_b32 s2, s2, s7
.LBB214_2211:
	s_mov_b32 s7, 0
.LBB214_2212:
	s_delay_alu instid0(SALU_CYCLE_1)
	s_and_not1_b32 vcc_lo, exec_lo, s7
	s_cbranch_vccnz .LBB214_2214
; %bb.2213:
	global_load_u8 v2, v[0:1], off
	s_and_not1_b32 s2, s2, exec_lo
	s_wait_loadcnt 0x0
	v_cmp_ne_u16_e32 vcc_lo, 0, v2
	s_and_b32 s7, vcc_lo, exec_lo
	s_delay_alu instid0(SALU_CYCLE_1)
	s_or_b32 s2, s2, s7
.LBB214_2214:
	s_mov_b32 s7, -1
.LBB214_2215:
	s_mov_b32 s21, 0
.LBB214_2216:
	s_delay_alu instid0(SALU_CYCLE_1)
	s_and_b32 vcc_lo, exec_lo, s21
	s_cbranch_vccz .LBB214_2239
; %bb.2217:
	s_cmp_gt_i32 s0, 22
	s_cbranch_scc0 .LBB214_2221
; %bb.2218:
	s_cmp_lt_i32 s0, 24
	s_cbranch_scc1 .LBB214_2222
; %bb.2219:
	s_cmp_gt_i32 s0, 24
	s_cbranch_scc0 .LBB214_2223
; %bb.2220:
	global_load_u8 v2, v[0:1], off
	s_mov_b32 s7, 0
	s_wait_loadcnt 0x0
	v_cmp_ne_u16_e64 s2, 0, v2
	s_branch .LBB214_2224
.LBB214_2221:
	s_mov_b32 s18, -1
                                        ; implicit-def: $sgpr2
	s_branch .LBB214_2230
.LBB214_2222:
	s_mov_b32 s7, -1
                                        ; implicit-def: $sgpr2
	s_branch .LBB214_2227
.LBB214_2223:
	s_mov_b32 s7, -1
                                        ; implicit-def: $sgpr2
.LBB214_2224:
	s_delay_alu instid0(SALU_CYCLE_1)
	s_and_not1_b32 vcc_lo, exec_lo, s7
	s_cbranch_vccnz .LBB214_2226
; %bb.2225:
	global_load_u8 v2, v[0:1], off
	s_and_not1_b32 s2, s2, exec_lo
	s_wait_loadcnt 0x0
	v_and_b32_e32 v2, 0x7f, v2
	s_delay_alu instid0(VALU_DEP_1) | instskip(SKIP_1) | instid1(SALU_CYCLE_1)
	v_cmp_ne_u16_e32 vcc_lo, 0, v2
	s_and_b32 s7, vcc_lo, exec_lo
	s_or_b32 s2, s2, s7
.LBB214_2226:
	s_mov_b32 s7, 0
.LBB214_2227:
	s_delay_alu instid0(SALU_CYCLE_1)
	s_and_not1_b32 vcc_lo, exec_lo, s7
	s_cbranch_vccnz .LBB214_2229
; %bb.2228:
	global_load_u8 v2, v[0:1], off
	s_and_not1_b32 s2, s2, exec_lo
	s_wait_loadcnt 0x0
	v_dual_lshlrev_b32 v3, 25, v2 :: v_dual_lshlrev_b32 v2, 8, v2
	s_delay_alu instid0(VALU_DEP_1) | instskip(NEXT) | instid1(VALU_DEP_2)
	v_cmp_gt_u32_e32 vcc_lo, 0x8000000, v3
	v_and_or_b32 v2, 0x7f00, v2, 0.5
	s_delay_alu instid0(VALU_DEP_1) | instskip(NEXT) | instid1(VALU_DEP_1)
	v_dual_lshrrev_b32 v4, 4, v3 :: v_dual_add_f32 v2, -0.5, v2
	v_or_b32_e32 v4, 0x70000000, v4
	s_delay_alu instid0(VALU_DEP_1) | instskip(NEXT) | instid1(VALU_DEP_1)
	v_mul_f32_e32 v4, 0x7800000, v4
	v_cndmask_b32_e32 v2, v4, v2, vcc_lo
	s_delay_alu instid0(VALU_DEP_1) | instskip(SKIP_1) | instid1(SALU_CYCLE_1)
	v_cmp_neq_f32_e32 vcc_lo, 0, v2
	s_and_b32 s7, vcc_lo, exec_lo
	s_or_b32 s2, s2, s7
.LBB214_2229:
	s_mov_b32 s7, -1
.LBB214_2230:
	s_and_not1_b32 vcc_lo, exec_lo, s18
	s_mov_b32 s18, 0
	s_cbranch_vccnz .LBB214_2239
; %bb.2231:
	s_cmp_gt_i32 s0, 14
	s_cbranch_scc0 .LBB214_2234
; %bb.2232:
	s_cmp_eq_u32 s0, 15
	s_cbranch_scc0 .LBB214_2235
; %bb.2233:
	global_load_u16 v2, v[0:1], off
	s_mov_b32 s3, 0
	s_mov_b32 s7, -1
	s_wait_loadcnt 0x0
	v_and_b32_e32 v2, 0x7fff, v2
	s_delay_alu instid0(VALU_DEP_1)
	v_cmp_ne_u16_e64 s2, 0, v2
	s_branch .LBB214_2237
.LBB214_2234:
	s_mov_b32 s18, -1
	s_branch .LBB214_2236
.LBB214_2235:
	s_mov_b32 s3, -1
.LBB214_2236:
                                        ; implicit-def: $sgpr2
.LBB214_2237:
	s_and_b32 vcc_lo, exec_lo, s18
	s_mov_b32 s18, 0
	s_cbranch_vccz .LBB214_2239
; %bb.2238:
	s_cmp_lg_u32 s0, 11
	s_mov_b32 s18, -1
	s_cselect_b32 s3, -1, 0
.LBB214_2239:
	s_delay_alu instid0(SALU_CYCLE_1)
	s_and_b32 vcc_lo, exec_lo, s3
	s_cbranch_vccnz .LBB214_2771
; %bb.2240:
	s_and_not1_b32 vcc_lo, exec_lo, s18
	s_cbranch_vccnz .LBB214_2242
.LBB214_2241:
	global_load_u8 v2, v[0:1], off
	s_and_not1_b32 s0, s2, exec_lo
	s_mov_b32 s7, -1
	s_wait_loadcnt 0x0
	v_cmp_ne_u16_e32 vcc_lo, 0, v2
	s_and_b32 s2, vcc_lo, exec_lo
	s_delay_alu instid0(SALU_CYCLE_1)
	s_or_b32 s2, s0, s2
.LBB214_2242:
	s_mov_b32 s0, 0
.LBB214_2243:
	s_delay_alu instid0(SALU_CYCLE_1)
	s_and_b32 vcc_lo, exec_lo, s0
	s_cbranch_vccz .LBB214_2292
; %bb.2244:
	s_and_b32 s3, 0xffff, s19
	s_delay_alu instid0(SALU_CYCLE_1)
	s_cmp_lt_i32 s3, 5
	s_cbranch_scc1 .LBB214_2249
; %bb.2245:
	s_cmp_lt_i32 s3, 8
	s_cbranch_scc1 .LBB214_2250
; %bb.2246:
	;; [unrolled: 3-line block ×3, first 2 shown]
	s_cmp_gt_i32 s3, 9
	s_cbranch_scc0 .LBB214_2252
; %bb.2248:
	global_load_b128 v[2:5], v[0:1], off
	s_wait_loadcnt 0x0
	v_cmp_neq_f64_e32 vcc_lo, 0, v[2:3]
	v_cmp_neq_f64_e64 s0, 0, v[4:5]
	s_or_b32 s2, vcc_lo, s0
	s_mov_b32 s0, 0
	s_branch .LBB214_2253
.LBB214_2249:
	s_mov_b32 s0, -1
                                        ; implicit-def: $sgpr2
	s_branch .LBB214_2271
.LBB214_2250:
	s_mov_b32 s0, -1
                                        ; implicit-def: $sgpr2
	s_branch .LBB214_2259
.LBB214_2251:
	s_mov_b32 s0, -1
                                        ; implicit-def: $sgpr2
	s_branch .LBB214_2256
.LBB214_2252:
	s_mov_b32 s0, -1
                                        ; implicit-def: $sgpr2
.LBB214_2253:
	s_delay_alu instid0(SALU_CYCLE_1)
	s_and_not1_b32 vcc_lo, exec_lo, s0
	s_cbranch_vccnz .LBB214_2255
; %bb.2254:
	global_load_b64 v[2:3], v[0:1], off
	s_and_not1_b32 s0, s2, exec_lo
	s_wait_loadcnt 0x0
	v_bitop3_b32 v2, v2, 0x7fffffff, v3 bitop3:0xc8
	s_delay_alu instid0(VALU_DEP_1) | instskip(SKIP_1) | instid1(SALU_CYCLE_1)
	v_cmp_ne_u32_e32 vcc_lo, 0, v2
	s_and_b32 s2, vcc_lo, exec_lo
	s_or_b32 s2, s0, s2
.LBB214_2255:
	s_mov_b32 s0, 0
.LBB214_2256:
	s_delay_alu instid0(SALU_CYCLE_1)
	s_and_not1_b32 vcc_lo, exec_lo, s0
	s_cbranch_vccnz .LBB214_2258
; %bb.2257:
	global_load_b32 v2, v[0:1], off
	s_and_not1_b32 s0, s2, exec_lo
	s_wait_loadcnt 0x0
	v_and_b32_e32 v2, 0x7fff7fff, v2
	s_delay_alu instid0(VALU_DEP_1) | instskip(SKIP_1) | instid1(SALU_CYCLE_1)
	v_cmp_ne_u32_e32 vcc_lo, 0, v2
	s_and_b32 s2, vcc_lo, exec_lo
	s_or_b32 s2, s0, s2
.LBB214_2258:
	s_mov_b32 s0, 0
.LBB214_2259:
	s_delay_alu instid0(SALU_CYCLE_1)
	s_and_not1_b32 vcc_lo, exec_lo, s0
	s_cbranch_vccnz .LBB214_2270
; %bb.2260:
	s_cmp_lt_i32 s3, 6
	s_cbranch_scc1 .LBB214_2263
; %bb.2261:
	s_cmp_gt_i32 s3, 6
	s_cbranch_scc0 .LBB214_2264
; %bb.2262:
	global_load_b64 v[2:3], v[0:1], off
	s_mov_b32 s0, 0
	s_wait_loadcnt 0x0
	v_cmp_neq_f64_e64 s2, 0, v[2:3]
	s_branch .LBB214_2265
.LBB214_2263:
	s_mov_b32 s0, -1
                                        ; implicit-def: $sgpr2
	s_branch .LBB214_2268
.LBB214_2264:
	s_mov_b32 s0, -1
                                        ; implicit-def: $sgpr2
.LBB214_2265:
	s_delay_alu instid0(SALU_CYCLE_1)
	s_and_not1_b32 vcc_lo, exec_lo, s0
	s_cbranch_vccnz .LBB214_2267
; %bb.2266:
	global_load_b32 v2, v[0:1], off
	s_and_not1_b32 s0, s2, exec_lo
	s_wait_loadcnt 0x0
	v_cmp_neq_f32_e32 vcc_lo, 0, v2
	s_and_b32 s2, vcc_lo, exec_lo
	s_delay_alu instid0(SALU_CYCLE_1)
	s_or_b32 s2, s0, s2
.LBB214_2267:
	s_mov_b32 s0, 0
.LBB214_2268:
	s_delay_alu instid0(SALU_CYCLE_1)
	s_and_not1_b32 vcc_lo, exec_lo, s0
	s_cbranch_vccnz .LBB214_2270
; %bb.2269:
	global_load_u16 v2, v[0:1], off
	s_and_not1_b32 s0, s2, exec_lo
	s_wait_loadcnt 0x0
	v_and_b32_e32 v2, 0x7fff, v2
	s_delay_alu instid0(VALU_DEP_1) | instskip(SKIP_1) | instid1(SALU_CYCLE_1)
	v_cmp_ne_u16_e32 vcc_lo, 0, v2
	s_and_b32 s2, vcc_lo, exec_lo
	s_or_b32 s2, s0, s2
.LBB214_2270:
	s_mov_b32 s0, 0
.LBB214_2271:
	s_delay_alu instid0(SALU_CYCLE_1)
	s_and_not1_b32 vcc_lo, exec_lo, s0
	s_cbranch_vccnz .LBB214_2291
; %bb.2272:
	s_cmp_lt_i32 s3, 2
	s_cbranch_scc1 .LBB214_2276
; %bb.2273:
	s_cmp_lt_i32 s3, 3
	s_cbranch_scc1 .LBB214_2277
; %bb.2274:
	s_cmp_gt_i32 s3, 3
	s_cbranch_scc0 .LBB214_2278
; %bb.2275:
	global_load_b64 v[2:3], v[0:1], off
	s_mov_b32 s0, 0
	s_wait_loadcnt 0x0
	v_cmp_ne_u64_e64 s2, 0, v[2:3]
	s_branch .LBB214_2279
.LBB214_2276:
	s_mov_b32 s0, -1
                                        ; implicit-def: $sgpr2
	s_branch .LBB214_2285
.LBB214_2277:
	s_mov_b32 s0, -1
                                        ; implicit-def: $sgpr2
	s_branch .LBB214_2282
.LBB214_2278:
	s_mov_b32 s0, -1
                                        ; implicit-def: $sgpr2
.LBB214_2279:
	s_delay_alu instid0(SALU_CYCLE_1)
	s_and_not1_b32 vcc_lo, exec_lo, s0
	s_cbranch_vccnz .LBB214_2281
; %bb.2280:
	global_load_b32 v2, v[0:1], off
	s_and_not1_b32 s0, s2, exec_lo
	s_wait_loadcnt 0x0
	v_cmp_ne_u32_e32 vcc_lo, 0, v2
	s_and_b32 s2, vcc_lo, exec_lo
	s_delay_alu instid0(SALU_CYCLE_1)
	s_or_b32 s2, s0, s2
.LBB214_2281:
	s_mov_b32 s0, 0
.LBB214_2282:
	s_delay_alu instid0(SALU_CYCLE_1)
	s_and_not1_b32 vcc_lo, exec_lo, s0
	s_cbranch_vccnz .LBB214_2284
; %bb.2283:
	global_load_u16 v2, v[0:1], off
	s_and_not1_b32 s0, s2, exec_lo
	s_wait_loadcnt 0x0
	v_cmp_ne_u16_e32 vcc_lo, 0, v2
	s_and_b32 s2, vcc_lo, exec_lo
	s_delay_alu instid0(SALU_CYCLE_1)
	s_or_b32 s2, s0, s2
.LBB214_2284:
	s_mov_b32 s0, 0
.LBB214_2285:
	s_delay_alu instid0(SALU_CYCLE_1)
	s_and_not1_b32 vcc_lo, exec_lo, s0
	s_cbranch_vccnz .LBB214_2291
; %bb.2286:
	s_cmp_gt_i32 s3, 0
	s_mov_b32 s0, 0
	s_cbranch_scc0 .LBB214_2288
; %bb.2287:
	global_load_u8 v2, v[0:1], off
	s_wait_loadcnt 0x0
	v_cmp_ne_u16_e64 s2, 0, v2
	s_branch .LBB214_2289
.LBB214_2288:
	s_mov_b32 s0, -1
                                        ; implicit-def: $sgpr2
.LBB214_2289:
	s_delay_alu instid0(SALU_CYCLE_1)
	s_and_not1_b32 vcc_lo, exec_lo, s0
	s_cbranch_vccnz .LBB214_2291
; %bb.2290:
	global_load_u8 v0, v[0:1], off
	s_and_not1_b32 s0, s2, exec_lo
	s_wait_loadcnt 0x0
	v_cmp_ne_u16_e32 vcc_lo, 0, v0
	s_and_b32 s2, vcc_lo, exec_lo
	s_delay_alu instid0(SALU_CYCLE_1)
	s_or_b32 s2, s0, s2
.LBB214_2291:
	s_mov_b32 s7, -1
.LBB214_2292:
	s_delay_alu instid0(SALU_CYCLE_1)
	s_and_not1_b32 vcc_lo, exec_lo, s7
	s_cbranch_vccnz .LBB214_2725
; %bb.2293:
	s_wait_xcnt 0x0
	v_mul_lo_u32 v0, s8, v6
	s_cmp_eq_u32 s11, 0
	s_mov_b32 s18, 0
	s_cselect_b32 s3, -1, 0
	s_xor_b32 s0, s14, s17
	s_and_b32 s17, s12, 0xff
	s_xor_b32 s7, s3, s0
	s_cmp_lt_i32 s17, 11
	s_mov_b32 s0, -1
	s_delay_alu instid0(VALU_DEP_1) | instskip(NEXT) | instid1(VALU_DEP_1)
	v_ashrrev_i32_e32 v1, 31, v0
	v_add_nc_u64_e32 v[2:3], s[4:5], v[0:1]
	s_cbranch_scc0 .LBB214_2296
; %bb.2294:
	s_and_b32 vcc_lo, exec_lo, s0
	s_cbranch_vccnz .LBB214_2373
.LBB214_2295:
	s_and_not1_b32 vcc_lo, exec_lo, s18
	s_cbranch_vccz .LBB214_2411
	s_branch .LBB214_2725
.LBB214_2296:
	s_and_b32 s11, 0xffff, s17
	s_mov_b32 s14, -1
	s_mov_b32 s12, 0
	s_cmp_gt_i32 s11, 25
	s_mov_b32 s0, 0
	s_cbranch_scc0 .LBB214_2329
; %bb.2297:
	s_cmp_gt_i32 s11, 28
	s_cbranch_scc0 .LBB214_2312
; %bb.2298:
	s_cmp_gt_i32 s11, 43
	;; [unrolled: 3-line block ×3, first 2 shown]
	s_cbranch_scc0 .LBB214_2302
; %bb.2300:
	s_mov_b32 s0, -1
	s_mov_b32 s14, 0
	s_cmp_eq_u32 s11, 46
	s_cbranch_scc0 .LBB214_2302
; %bb.2301:
	v_cndmask_b32_e64 v1, 0, 1.0, s7
	s_mov_b32 s0, 0
	s_mov_b32 s18, -1
	s_delay_alu instid0(VALU_DEP_1) | instskip(NEXT) | instid1(VALU_DEP_1)
	v_bfe_u32 v4, v1, 16, 1
	v_add3_u32 v1, v1, v4, 0x7fff
	s_delay_alu instid0(VALU_DEP_1)
	v_lshrrev_b32_e32 v1, 16, v1
	global_store_b32 v[2:3], v1, off
.LBB214_2302:
	s_and_b32 vcc_lo, exec_lo, s14
	s_cbranch_vccz .LBB214_2307
; %bb.2303:
	s_cmp_eq_u32 s11, 44
	s_mov_b32 s0, -1
	s_cbranch_scc0 .LBB214_2307
; %bb.2304:
	v_cndmask_b32_e64 v5, 0, 1.0, s7
	s_mov_b32 s14, exec_lo
	s_wait_xcnt 0x0
	s_delay_alu instid0(VALU_DEP_1) | instskip(NEXT) | instid1(VALU_DEP_1)
	v_dual_mov_b32 v4, 0xff :: v_dual_lshrrev_b32 v1, 23, v5
	v_cmpx_ne_u32_e32 0xff, v1
; %bb.2305:
	v_and_b32_e32 v4, 0x400000, v5
	v_and_or_b32 v5, 0x3fffff, v5, v1
	s_delay_alu instid0(VALU_DEP_2) | instskip(NEXT) | instid1(VALU_DEP_2)
	v_cmp_ne_u32_e32 vcc_lo, 0, v4
	v_cmp_ne_u32_e64 s0, 0, v5
	s_and_b32 s0, vcc_lo, s0
	s_delay_alu instid0(SALU_CYCLE_1) | instskip(NEXT) | instid1(VALU_DEP_1)
	v_cndmask_b32_e64 v4, 0, 1, s0
	v_add_nc_u32_e32 v4, v1, v4
; %bb.2306:
	s_or_b32 exec_lo, exec_lo, s14
	s_mov_b32 s0, 0
	s_mov_b32 s18, -1
	global_store_b8 v[2:3], v4, off
.LBB214_2307:
	s_mov_b32 s14, 0
.LBB214_2308:
	s_delay_alu instid0(SALU_CYCLE_1)
	s_and_b32 vcc_lo, exec_lo, s14
	s_cbranch_vccz .LBB214_2311
; %bb.2309:
	s_cmp_eq_u32 s11, 29
	s_mov_b32 s0, -1
	s_cbranch_scc0 .LBB214_2311
; %bb.2310:
	s_mov_b32 s0, 0
	s_wait_xcnt 0x0
	v_cndmask_b32_e64 v4, 0, 1, s7
	v_mov_b32_e32 v5, s0
	s_mov_b32 s18, -1
	global_store_b64 v[2:3], v[4:5], off
.LBB214_2311:
	s_mov_b32 s14, 0
.LBB214_2312:
	s_delay_alu instid0(SALU_CYCLE_1)
	s_and_b32 vcc_lo, exec_lo, s14
	s_cbranch_vccz .LBB214_2328
; %bb.2313:
	s_cmp_lt_i32 s11, 27
	s_mov_b32 s14, -1
	s_cbranch_scc1 .LBB214_2319
; %bb.2314:
	s_cmp_gt_i32 s11, 27
	s_cbranch_scc0 .LBB214_2316
; %bb.2315:
	s_wait_xcnt 0x0
	v_cndmask_b32_e64 v1, 0, 1, s7
	s_mov_b32 s14, 0
	global_store_b32 v[2:3], v1, off
.LBB214_2316:
	s_and_not1_b32 vcc_lo, exec_lo, s14
	s_cbranch_vccnz .LBB214_2318
; %bb.2317:
	s_wait_xcnt 0x0
	v_cndmask_b32_e64 v1, 0, 1, s7
	global_store_b16 v[2:3], v1, off
.LBB214_2318:
	s_mov_b32 s14, 0
.LBB214_2319:
	s_delay_alu instid0(SALU_CYCLE_1)
	s_and_not1_b32 vcc_lo, exec_lo, s14
	s_cbranch_vccnz .LBB214_2327
; %bb.2320:
	s_wait_xcnt 0x0
	v_cndmask_b32_e64 v4, 0, 1.0, s7
	v_mov_b32_e32 v5, 0x80
	s_mov_b32 s14, exec_lo
	s_delay_alu instid0(VALU_DEP_2)
	v_cmpx_gt_u32_e32 0x43800000, v4
	s_cbranch_execz .LBB214_2326
; %bb.2321:
	s_mov_b32 s18, 0
	s_mov_b32 s19, exec_lo
                                        ; implicit-def: $vgpr1
	v_cmpx_lt_u32_e32 0x3bffffff, v4
	s_xor_b32 s19, exec_lo, s19
	s_cbranch_execnz .LBB214_2773
; %bb.2322:
	s_and_not1_saveexec_b32 s19, s19
	s_cbranch_execnz .LBB214_2774
.LBB214_2323:
	s_or_b32 exec_lo, exec_lo, s19
	v_mov_b32_e32 v5, 0
	s_and_saveexec_b32 s19, s18
.LBB214_2324:
	v_mov_b32_e32 v5, v1
.LBB214_2325:
	s_or_b32 exec_lo, exec_lo, s19
.LBB214_2326:
	s_delay_alu instid0(SALU_CYCLE_1)
	s_or_b32 exec_lo, exec_lo, s14
	global_store_b8 v[2:3], v5, off
.LBB214_2327:
	s_mov_b32 s18, -1
.LBB214_2328:
	s_mov_b32 s14, 0
.LBB214_2329:
	s_delay_alu instid0(SALU_CYCLE_1)
	s_and_b32 vcc_lo, exec_lo, s14
	s_cbranch_vccz .LBB214_2369
; %bb.2330:
	s_cmp_gt_i32 s11, 22
	s_mov_b32 s12, -1
	s_cbranch_scc0 .LBB214_2362
; %bb.2331:
	s_cmp_lt_i32 s11, 24
	s_cbranch_scc1 .LBB214_2351
; %bb.2332:
	s_cmp_gt_i32 s11, 24
	s_cbranch_scc0 .LBB214_2340
; %bb.2333:
	s_wait_xcnt 0x0
	v_cndmask_b32_e64 v4, 0, 1.0, s7
	v_mov_b32_e32 v5, 0x80
	s_mov_b32 s12, exec_lo
	s_delay_alu instid0(VALU_DEP_2)
	v_cmpx_gt_u32_e32 0x47800000, v4
	s_cbranch_execz .LBB214_2339
; %bb.2334:
	s_mov_b32 s14, 0
	s_mov_b32 s18, exec_lo
                                        ; implicit-def: $vgpr1
	v_cmpx_lt_u32_e32 0x37ffffff, v4
	s_xor_b32 s18, exec_lo, s18
	s_cbranch_execnz .LBB214_2776
; %bb.2335:
	s_and_not1_saveexec_b32 s18, s18
	s_cbranch_execnz .LBB214_2777
.LBB214_2336:
	s_or_b32 exec_lo, exec_lo, s18
	v_mov_b32_e32 v5, 0
	s_and_saveexec_b32 s18, s14
.LBB214_2337:
	v_mov_b32_e32 v5, v1
.LBB214_2338:
	s_or_b32 exec_lo, exec_lo, s18
.LBB214_2339:
	s_delay_alu instid0(SALU_CYCLE_1)
	s_or_b32 exec_lo, exec_lo, s12
	s_mov_b32 s12, 0
	global_store_b8 v[2:3], v5, off
.LBB214_2340:
	s_and_b32 vcc_lo, exec_lo, s12
	s_cbranch_vccz .LBB214_2350
; %bb.2341:
	s_wait_xcnt 0x0
	v_cndmask_b32_e64 v4, 0, 1.0, s7
	s_mov_b32 s12, exec_lo
                                        ; implicit-def: $vgpr1
	s_delay_alu instid0(VALU_DEP_1)
	v_cmpx_gt_u32_e32 0x43f00000, v4
	s_xor_b32 s12, exec_lo, s12
	s_cbranch_execz .LBB214_2347
; %bb.2342:
	s_mov_b32 s14, exec_lo
                                        ; implicit-def: $vgpr1
	v_cmpx_lt_u32_e32 0x3c7fffff, v4
	s_xor_b32 s14, exec_lo, s14
; %bb.2343:
	v_bfe_u32 v1, v4, 20, 1
	s_delay_alu instid0(VALU_DEP_1) | instskip(NEXT) | instid1(VALU_DEP_1)
	v_add3_u32 v1, v4, v1, 0x407ffff
	v_and_b32_e32 v4, 0xff00000, v1
	v_lshrrev_b32_e32 v1, 20, v1
	s_delay_alu instid0(VALU_DEP_2) | instskip(NEXT) | instid1(VALU_DEP_2)
	v_cmp_ne_u32_e32 vcc_lo, 0x7f00000, v4
                                        ; implicit-def: $vgpr4
	v_cndmask_b32_e32 v1, 0x7e, v1, vcc_lo
; %bb.2344:
	s_and_not1_saveexec_b32 s14, s14
; %bb.2345:
	v_add_f32_e32 v1, 0x46800000, v4
; %bb.2346:
	s_or_b32 exec_lo, exec_lo, s14
                                        ; implicit-def: $vgpr4
.LBB214_2347:
	s_and_not1_saveexec_b32 s12, s12
; %bb.2348:
	v_mov_b32_e32 v1, 0x7f
	v_cmp_lt_u32_e32 vcc_lo, 0x7f800000, v4
	s_delay_alu instid0(VALU_DEP_2)
	v_cndmask_b32_e32 v1, 0x7e, v1, vcc_lo
; %bb.2349:
	s_or_b32 exec_lo, exec_lo, s12
	global_store_b8 v[2:3], v1, off
.LBB214_2350:
	s_mov_b32 s12, 0
.LBB214_2351:
	s_delay_alu instid0(SALU_CYCLE_1)
	s_and_not1_b32 vcc_lo, exec_lo, s12
	s_cbranch_vccnz .LBB214_2361
; %bb.2352:
	s_wait_xcnt 0x0
	v_cndmask_b32_e64 v4, 0, 1.0, s7
	s_mov_b32 s12, exec_lo
                                        ; implicit-def: $vgpr1
	s_delay_alu instid0(VALU_DEP_1)
	v_cmpx_gt_u32_e32 0x47800000, v4
	s_xor_b32 s12, exec_lo, s12
	s_cbranch_execz .LBB214_2358
; %bb.2353:
	s_mov_b32 s14, exec_lo
                                        ; implicit-def: $vgpr1
	v_cmpx_lt_u32_e32 0x387fffff, v4
	s_xor_b32 s14, exec_lo, s14
; %bb.2354:
	v_bfe_u32 v1, v4, 21, 1
	s_delay_alu instid0(VALU_DEP_1) | instskip(NEXT) | instid1(VALU_DEP_1)
	v_add3_u32 v1, v4, v1, 0x80fffff
                                        ; implicit-def: $vgpr4
	v_lshrrev_b32_e32 v1, 21, v1
; %bb.2355:
	s_and_not1_saveexec_b32 s14, s14
; %bb.2356:
	v_add_f32_e32 v1, 0x43000000, v4
; %bb.2357:
	s_or_b32 exec_lo, exec_lo, s14
                                        ; implicit-def: $vgpr4
.LBB214_2358:
	s_and_not1_saveexec_b32 s12, s12
; %bb.2359:
	v_mov_b32_e32 v1, 0x7f
	v_cmp_lt_u32_e32 vcc_lo, 0x7f800000, v4
	s_delay_alu instid0(VALU_DEP_2)
	v_cndmask_b32_e32 v1, 0x7c, v1, vcc_lo
; %bb.2360:
	s_or_b32 exec_lo, exec_lo, s12
	global_store_b8 v[2:3], v1, off
.LBB214_2361:
	s_mov_b32 s12, 0
	s_mov_b32 s18, -1
.LBB214_2362:
	s_and_not1_b32 vcc_lo, exec_lo, s12
	s_mov_b32 s12, 0
	s_cbranch_vccnz .LBB214_2369
; %bb.2363:
	s_cmp_gt_i32 s11, 14
	s_mov_b32 s12, -1
	s_cbranch_scc0 .LBB214_2367
; %bb.2364:
	s_cmp_eq_u32 s11, 15
	s_mov_b32 s0, -1
	s_cbranch_scc0 .LBB214_2366
; %bb.2365:
	s_wait_xcnt 0x0
	v_cndmask_b32_e64 v1, 0, 1.0, s7
	s_mov_b32 s0, 0
	s_mov_b32 s18, -1
	s_delay_alu instid0(VALU_DEP_1) | instskip(NEXT) | instid1(VALU_DEP_1)
	v_bfe_u32 v4, v1, 16, 1
	v_add3_u32 v1, v1, v4, 0x7fff
	global_store_d16_hi_b16 v[2:3], v1, off
.LBB214_2366:
	s_mov_b32 s12, 0
.LBB214_2367:
	s_delay_alu instid0(SALU_CYCLE_1)
	s_and_b32 vcc_lo, exec_lo, s12
	s_mov_b32 s12, 0
	s_cbranch_vccz .LBB214_2369
; %bb.2368:
	s_cmp_lg_u32 s11, 11
	s_mov_b32 s12, -1
	s_cselect_b32 s0, -1, 0
.LBB214_2369:
	s_delay_alu instid0(SALU_CYCLE_1)
	s_and_b32 vcc_lo, exec_lo, s0
	s_cbranch_vccnz .LBB214_2772
; %bb.2370:
	s_and_not1_b32 vcc_lo, exec_lo, s12
	s_cbranch_vccnz .LBB214_2372
.LBB214_2371:
	s_wait_xcnt 0x0
	v_cndmask_b32_e64 v1, 0, 1, s7
	s_mov_b32 s18, -1
	global_store_b8 v[2:3], v1, off
.LBB214_2372:
	s_branch .LBB214_2295
.LBB214_2373:
	s_and_b32 s0, 0xffff, s17
	s_mov_b32 s11, -1
	s_cmp_lt_i32 s0, 5
	s_cbranch_scc1 .LBB214_2394
; %bb.2374:
	s_cmp_lt_i32 s0, 8
	s_cbranch_scc1 .LBB214_2384
; %bb.2375:
	;; [unrolled: 3-line block ×3, first 2 shown]
	s_cmp_gt_i32 s0, 9
	s_cbranch_scc0 .LBB214_2378
; %bb.2377:
	s_wait_xcnt 0x0
	v_cndmask_b32_e64 v1, 0, 1, s7
	v_mov_b32_e32 v6, 0
	s_mov_b32 s11, 0
	s_delay_alu instid0(VALU_DEP_2) | instskip(NEXT) | instid1(VALU_DEP_2)
	v_cvt_f64_u32_e32 v[4:5], v1
	v_mov_b32_e32 v7, v6
	global_store_b128 v[2:3], v[4:7], off
.LBB214_2378:
	s_and_not1_b32 vcc_lo, exec_lo, s11
	s_cbranch_vccnz .LBB214_2380
; %bb.2379:
	s_wait_xcnt 0x0
	v_cndmask_b32_e64 v4, 0, 1.0, s7
	v_mov_b32_e32 v5, 0
	global_store_b64 v[2:3], v[4:5], off
.LBB214_2380:
	s_mov_b32 s11, 0
.LBB214_2381:
	s_delay_alu instid0(SALU_CYCLE_1)
	s_and_not1_b32 vcc_lo, exec_lo, s11
	s_cbranch_vccnz .LBB214_2383
; %bb.2382:
	s_wait_xcnt 0x0
	v_cndmask_b32_e64 v1, 0, 1.0, s7
	s_delay_alu instid0(VALU_DEP_1) | instskip(NEXT) | instid1(VALU_DEP_1)
	v_cvt_f16_f32_e32 v1, v1
	v_and_b32_e32 v1, 0xffff, v1
	global_store_b32 v[2:3], v1, off
.LBB214_2383:
	s_mov_b32 s11, 0
.LBB214_2384:
	s_delay_alu instid0(SALU_CYCLE_1)
	s_and_not1_b32 vcc_lo, exec_lo, s11
	s_cbranch_vccnz .LBB214_2393
; %bb.2385:
	s_cmp_lt_i32 s0, 6
	s_mov_b32 s11, -1
	s_cbranch_scc1 .LBB214_2391
; %bb.2386:
	s_cmp_gt_i32 s0, 6
	s_cbranch_scc0 .LBB214_2388
; %bb.2387:
	s_wait_xcnt 0x0
	v_cndmask_b32_e64 v1, 0, 1, s7
	s_mov_b32 s11, 0
	s_delay_alu instid0(VALU_DEP_1)
	v_cvt_f64_u32_e32 v[4:5], v1
	global_store_b64 v[2:3], v[4:5], off
.LBB214_2388:
	s_and_not1_b32 vcc_lo, exec_lo, s11
	s_cbranch_vccnz .LBB214_2390
; %bb.2389:
	s_wait_xcnt 0x0
	v_cndmask_b32_e64 v1, 0, 1.0, s7
	global_store_b32 v[2:3], v1, off
.LBB214_2390:
	s_mov_b32 s11, 0
.LBB214_2391:
	s_delay_alu instid0(SALU_CYCLE_1)
	s_and_not1_b32 vcc_lo, exec_lo, s11
	s_cbranch_vccnz .LBB214_2393
; %bb.2392:
	s_wait_xcnt 0x0
	v_cndmask_b32_e64 v1, 0, 1.0, s7
	s_delay_alu instid0(VALU_DEP_1)
	v_cvt_f16_f32_e32 v1, v1
	global_store_b16 v[2:3], v1, off
.LBB214_2393:
	s_mov_b32 s11, 0
.LBB214_2394:
	s_delay_alu instid0(SALU_CYCLE_1)
	s_and_not1_b32 vcc_lo, exec_lo, s11
	s_cbranch_vccnz .LBB214_2410
; %bb.2395:
	s_cmp_lt_i32 s0, 2
	s_mov_b32 s11, -1
	s_cbranch_scc1 .LBB214_2405
; %bb.2396:
	s_cmp_lt_i32 s0, 3
	s_cbranch_scc1 .LBB214_2402
; %bb.2397:
	s_cmp_gt_i32 s0, 3
	s_cbranch_scc0 .LBB214_2399
; %bb.2398:
	s_mov_b32 s11, 0
	s_wait_xcnt 0x0
	v_cndmask_b32_e64 v4, 0, 1, s7
	v_mov_b32_e32 v5, s11
	global_store_b64 v[2:3], v[4:5], off
.LBB214_2399:
	s_and_not1_b32 vcc_lo, exec_lo, s11
	s_cbranch_vccnz .LBB214_2401
; %bb.2400:
	s_wait_xcnt 0x0
	v_cndmask_b32_e64 v1, 0, 1, s7
	global_store_b32 v[2:3], v1, off
.LBB214_2401:
	s_mov_b32 s11, 0
.LBB214_2402:
	s_delay_alu instid0(SALU_CYCLE_1)
	s_and_not1_b32 vcc_lo, exec_lo, s11
	s_cbranch_vccnz .LBB214_2404
; %bb.2403:
	s_wait_xcnt 0x0
	v_cndmask_b32_e64 v1, 0, 1, s7
	global_store_b16 v[2:3], v1, off
.LBB214_2404:
	s_mov_b32 s11, 0
.LBB214_2405:
	s_delay_alu instid0(SALU_CYCLE_1)
	s_and_not1_b32 vcc_lo, exec_lo, s11
	s_cbranch_vccnz .LBB214_2410
; %bb.2406:
	s_wait_xcnt 0x0
	v_cndmask_b32_e64 v1, 0, 1, s7
	s_cmp_gt_i32 s0, 0
	s_mov_b32 s0, -1
	s_cbranch_scc0 .LBB214_2408
; %bb.2407:
	s_mov_b32 s0, 0
	global_store_b8 v[2:3], v1, off
.LBB214_2408:
	s_and_not1_b32 vcc_lo, exec_lo, s0
	s_cbranch_vccnz .LBB214_2410
; %bb.2409:
	global_store_b8 v[2:3], v1, off
.LBB214_2410:
.LBB214_2411:
	s_lshl_b32 s7, s8, 7
	s_xor_b32 s0, s1, s10
	v_add_nc_u32_e32 v0, s7, v0
	s_xor_b32 s1, s3, s0
	s_cmp_lt_i32 s17, 11
	s_wait_xcnt 0x0
	s_delay_alu instid0(VALU_DEP_1) | instskip(NEXT) | instid1(VALU_DEP_1)
	v_ashrrev_i32_e32 v1, 31, v0
	v_add_nc_u64_e32 v[2:3], s[4:5], v[0:1]
	s_cbranch_scc1 .LBB214_2489
; %bb.2412:
	s_and_b32 s8, 0xffff, s17
	s_mov_b32 s12, -1
	s_mov_b32 s10, 0
	s_cmp_gt_i32 s8, 25
	s_mov_b32 s11, 0
	s_mov_b32 s0, 0
	s_cbranch_scc0 .LBB214_2445
; %bb.2413:
	s_cmp_gt_i32 s8, 28
	s_cbranch_scc0 .LBB214_2428
; %bb.2414:
	s_cmp_gt_i32 s8, 43
	;; [unrolled: 3-line block ×3, first 2 shown]
	s_cbranch_scc0 .LBB214_2418
; %bb.2416:
	s_mov_b32 s0, -1
	s_mov_b32 s12, 0
	s_cmp_eq_u32 s8, 46
	s_cbranch_scc0 .LBB214_2418
; %bb.2417:
	v_cndmask_b32_e64 v1, 0, 1.0, s1
	s_mov_b32 s0, 0
	s_mov_b32 s11, -1
	s_delay_alu instid0(VALU_DEP_1) | instskip(NEXT) | instid1(VALU_DEP_1)
	v_bfe_u32 v4, v1, 16, 1
	v_add3_u32 v1, v1, v4, 0x7fff
	s_delay_alu instid0(VALU_DEP_1)
	v_lshrrev_b32_e32 v1, 16, v1
	global_store_b32 v[2:3], v1, off
.LBB214_2418:
	s_and_b32 vcc_lo, exec_lo, s12
	s_cbranch_vccz .LBB214_2423
; %bb.2419:
	s_cmp_eq_u32 s8, 44
	s_mov_b32 s0, -1
	s_cbranch_scc0 .LBB214_2423
; %bb.2420:
	v_cndmask_b32_e64 v5, 0, 1.0, s1
	s_mov_b32 s11, exec_lo
	s_wait_xcnt 0x0
	s_delay_alu instid0(VALU_DEP_1) | instskip(NEXT) | instid1(VALU_DEP_1)
	v_dual_mov_b32 v4, 0xff :: v_dual_lshrrev_b32 v1, 23, v5
	v_cmpx_ne_u32_e32 0xff, v1
; %bb.2421:
	v_and_b32_e32 v4, 0x400000, v5
	v_and_or_b32 v5, 0x3fffff, v5, v1
	s_delay_alu instid0(VALU_DEP_2) | instskip(NEXT) | instid1(VALU_DEP_2)
	v_cmp_ne_u32_e32 vcc_lo, 0, v4
	v_cmp_ne_u32_e64 s0, 0, v5
	s_and_b32 s0, vcc_lo, s0
	s_delay_alu instid0(SALU_CYCLE_1) | instskip(NEXT) | instid1(VALU_DEP_1)
	v_cndmask_b32_e64 v4, 0, 1, s0
	v_add_nc_u32_e32 v4, v1, v4
; %bb.2422:
	s_or_b32 exec_lo, exec_lo, s11
	s_mov_b32 s0, 0
	s_mov_b32 s11, -1
	global_store_b8 v[2:3], v4, off
.LBB214_2423:
	s_mov_b32 s12, 0
.LBB214_2424:
	s_delay_alu instid0(SALU_CYCLE_1)
	s_and_b32 vcc_lo, exec_lo, s12
	s_cbranch_vccz .LBB214_2427
; %bb.2425:
	s_cmp_eq_u32 s8, 29
	s_mov_b32 s0, -1
	s_cbranch_scc0 .LBB214_2427
; %bb.2426:
	s_mov_b32 s0, 0
	s_wait_xcnt 0x0
	v_cndmask_b32_e64 v4, 0, 1, s1
	v_mov_b32_e32 v5, s0
	s_mov_b32 s11, -1
	global_store_b64 v[2:3], v[4:5], off
.LBB214_2427:
	s_mov_b32 s12, 0
.LBB214_2428:
	s_delay_alu instid0(SALU_CYCLE_1)
	s_and_b32 vcc_lo, exec_lo, s12
	s_cbranch_vccz .LBB214_2444
; %bb.2429:
	s_cmp_lt_i32 s8, 27
	s_mov_b32 s11, -1
	s_cbranch_scc1 .LBB214_2435
; %bb.2430:
	s_cmp_gt_i32 s8, 27
	s_cbranch_scc0 .LBB214_2432
; %bb.2431:
	s_wait_xcnt 0x0
	v_cndmask_b32_e64 v1, 0, 1, s1
	s_mov_b32 s11, 0
	global_store_b32 v[2:3], v1, off
.LBB214_2432:
	s_and_not1_b32 vcc_lo, exec_lo, s11
	s_cbranch_vccnz .LBB214_2434
; %bb.2433:
	s_wait_xcnt 0x0
	v_cndmask_b32_e64 v1, 0, 1, s1
	global_store_b16 v[2:3], v1, off
.LBB214_2434:
	s_mov_b32 s11, 0
.LBB214_2435:
	s_delay_alu instid0(SALU_CYCLE_1)
	s_and_not1_b32 vcc_lo, exec_lo, s11
	s_cbranch_vccnz .LBB214_2443
; %bb.2436:
	s_wait_xcnt 0x0
	v_cndmask_b32_e64 v4, 0, 1.0, s1
	v_mov_b32_e32 v5, 0x80
	s_mov_b32 s11, exec_lo
	s_delay_alu instid0(VALU_DEP_2)
	v_cmpx_gt_u32_e32 0x43800000, v4
	s_cbranch_execz .LBB214_2442
; %bb.2437:
	s_mov_b32 s12, 0
	s_mov_b32 s14, exec_lo
                                        ; implicit-def: $vgpr1
	v_cmpx_lt_u32_e32 0x3bffffff, v4
	s_xor_b32 s14, exec_lo, s14
	s_cbranch_execnz .LBB214_2778
; %bb.2438:
	s_and_not1_saveexec_b32 s14, s14
	s_cbranch_execnz .LBB214_2779
.LBB214_2439:
	s_or_b32 exec_lo, exec_lo, s14
	v_mov_b32_e32 v5, 0
	s_and_saveexec_b32 s14, s12
.LBB214_2440:
	v_mov_b32_e32 v5, v1
.LBB214_2441:
	s_or_b32 exec_lo, exec_lo, s14
.LBB214_2442:
	s_delay_alu instid0(SALU_CYCLE_1)
	s_or_b32 exec_lo, exec_lo, s11
	global_store_b8 v[2:3], v5, off
.LBB214_2443:
	s_mov_b32 s11, -1
.LBB214_2444:
	s_mov_b32 s12, 0
.LBB214_2445:
	s_delay_alu instid0(SALU_CYCLE_1)
	s_and_b32 vcc_lo, exec_lo, s12
	s_cbranch_vccz .LBB214_2485
; %bb.2446:
	s_cmp_gt_i32 s8, 22
	s_mov_b32 s10, -1
	s_cbranch_scc0 .LBB214_2478
; %bb.2447:
	s_cmp_lt_i32 s8, 24
	s_cbranch_scc1 .LBB214_2467
; %bb.2448:
	s_cmp_gt_i32 s8, 24
	s_cbranch_scc0 .LBB214_2456
; %bb.2449:
	s_wait_xcnt 0x0
	v_cndmask_b32_e64 v4, 0, 1.0, s1
	v_mov_b32_e32 v5, 0x80
	s_mov_b32 s10, exec_lo
	s_delay_alu instid0(VALU_DEP_2)
	v_cmpx_gt_u32_e32 0x47800000, v4
	s_cbranch_execz .LBB214_2455
; %bb.2450:
	s_mov_b32 s11, 0
	s_mov_b32 s12, exec_lo
                                        ; implicit-def: $vgpr1
	v_cmpx_lt_u32_e32 0x37ffffff, v4
	s_xor_b32 s12, exec_lo, s12
	s_cbranch_execnz .LBB214_2781
; %bb.2451:
	s_and_not1_saveexec_b32 s12, s12
	s_cbranch_execnz .LBB214_2782
.LBB214_2452:
	s_or_b32 exec_lo, exec_lo, s12
	v_mov_b32_e32 v5, 0
	s_and_saveexec_b32 s12, s11
.LBB214_2453:
	v_mov_b32_e32 v5, v1
.LBB214_2454:
	s_or_b32 exec_lo, exec_lo, s12
.LBB214_2455:
	s_delay_alu instid0(SALU_CYCLE_1)
	s_or_b32 exec_lo, exec_lo, s10
	s_mov_b32 s10, 0
	global_store_b8 v[2:3], v5, off
.LBB214_2456:
	s_and_b32 vcc_lo, exec_lo, s10
	s_cbranch_vccz .LBB214_2466
; %bb.2457:
	s_wait_xcnt 0x0
	v_cndmask_b32_e64 v4, 0, 1.0, s1
	s_mov_b32 s10, exec_lo
                                        ; implicit-def: $vgpr1
	s_delay_alu instid0(VALU_DEP_1)
	v_cmpx_gt_u32_e32 0x43f00000, v4
	s_xor_b32 s10, exec_lo, s10
	s_cbranch_execz .LBB214_2463
; %bb.2458:
	s_mov_b32 s11, exec_lo
                                        ; implicit-def: $vgpr1
	v_cmpx_lt_u32_e32 0x3c7fffff, v4
	s_xor_b32 s11, exec_lo, s11
; %bb.2459:
	v_bfe_u32 v1, v4, 20, 1
	s_delay_alu instid0(VALU_DEP_1) | instskip(NEXT) | instid1(VALU_DEP_1)
	v_add3_u32 v1, v4, v1, 0x407ffff
	v_and_b32_e32 v4, 0xff00000, v1
	v_lshrrev_b32_e32 v1, 20, v1
	s_delay_alu instid0(VALU_DEP_2) | instskip(NEXT) | instid1(VALU_DEP_2)
	v_cmp_ne_u32_e32 vcc_lo, 0x7f00000, v4
                                        ; implicit-def: $vgpr4
	v_cndmask_b32_e32 v1, 0x7e, v1, vcc_lo
; %bb.2460:
	s_and_not1_saveexec_b32 s11, s11
; %bb.2461:
	v_add_f32_e32 v1, 0x46800000, v4
; %bb.2462:
	s_or_b32 exec_lo, exec_lo, s11
                                        ; implicit-def: $vgpr4
.LBB214_2463:
	s_and_not1_saveexec_b32 s10, s10
; %bb.2464:
	v_mov_b32_e32 v1, 0x7f
	v_cmp_lt_u32_e32 vcc_lo, 0x7f800000, v4
	s_delay_alu instid0(VALU_DEP_2)
	v_cndmask_b32_e32 v1, 0x7e, v1, vcc_lo
; %bb.2465:
	s_or_b32 exec_lo, exec_lo, s10
	global_store_b8 v[2:3], v1, off
.LBB214_2466:
	s_mov_b32 s10, 0
.LBB214_2467:
	s_delay_alu instid0(SALU_CYCLE_1)
	s_and_not1_b32 vcc_lo, exec_lo, s10
	s_cbranch_vccnz .LBB214_2477
; %bb.2468:
	s_wait_xcnt 0x0
	v_cndmask_b32_e64 v4, 0, 1.0, s1
	s_mov_b32 s10, exec_lo
                                        ; implicit-def: $vgpr1
	s_delay_alu instid0(VALU_DEP_1)
	v_cmpx_gt_u32_e32 0x47800000, v4
	s_xor_b32 s10, exec_lo, s10
	s_cbranch_execz .LBB214_2474
; %bb.2469:
	s_mov_b32 s11, exec_lo
                                        ; implicit-def: $vgpr1
	v_cmpx_lt_u32_e32 0x387fffff, v4
	s_xor_b32 s11, exec_lo, s11
; %bb.2470:
	v_bfe_u32 v1, v4, 21, 1
	s_delay_alu instid0(VALU_DEP_1) | instskip(NEXT) | instid1(VALU_DEP_1)
	v_add3_u32 v1, v4, v1, 0x80fffff
                                        ; implicit-def: $vgpr4
	v_lshrrev_b32_e32 v1, 21, v1
; %bb.2471:
	s_and_not1_saveexec_b32 s11, s11
; %bb.2472:
	v_add_f32_e32 v1, 0x43000000, v4
; %bb.2473:
	s_or_b32 exec_lo, exec_lo, s11
                                        ; implicit-def: $vgpr4
.LBB214_2474:
	s_and_not1_saveexec_b32 s10, s10
; %bb.2475:
	v_mov_b32_e32 v1, 0x7f
	v_cmp_lt_u32_e32 vcc_lo, 0x7f800000, v4
	s_delay_alu instid0(VALU_DEP_2)
	v_cndmask_b32_e32 v1, 0x7c, v1, vcc_lo
; %bb.2476:
	s_or_b32 exec_lo, exec_lo, s10
	global_store_b8 v[2:3], v1, off
.LBB214_2477:
	s_mov_b32 s10, 0
	s_mov_b32 s11, -1
.LBB214_2478:
	s_and_not1_b32 vcc_lo, exec_lo, s10
	s_mov_b32 s10, 0
	s_cbranch_vccnz .LBB214_2485
; %bb.2479:
	s_cmp_gt_i32 s8, 14
	s_mov_b32 s10, -1
	s_cbranch_scc0 .LBB214_2483
; %bb.2480:
	s_cmp_eq_u32 s8, 15
	s_mov_b32 s0, -1
	s_cbranch_scc0 .LBB214_2482
; %bb.2481:
	s_wait_xcnt 0x0
	v_cndmask_b32_e64 v1, 0, 1.0, s1
	s_mov_b32 s0, 0
	s_mov_b32 s11, -1
	s_delay_alu instid0(VALU_DEP_1) | instskip(NEXT) | instid1(VALU_DEP_1)
	v_bfe_u32 v4, v1, 16, 1
	v_add3_u32 v1, v1, v4, 0x7fff
	global_store_d16_hi_b16 v[2:3], v1, off
.LBB214_2482:
	s_mov_b32 s10, 0
.LBB214_2483:
	s_delay_alu instid0(SALU_CYCLE_1)
	s_and_b32 vcc_lo, exec_lo, s10
	s_mov_b32 s10, 0
	s_cbranch_vccz .LBB214_2485
; %bb.2484:
	s_cmp_lg_u32 s8, 11
	s_mov_b32 s10, -1
	s_cselect_b32 s0, -1, 0
.LBB214_2485:
	s_delay_alu instid0(SALU_CYCLE_1)
	s_and_b32 vcc_lo, exec_lo, s0
	s_cbranch_vccnz .LBB214_2775
; %bb.2486:
	s_and_not1_b32 vcc_lo, exec_lo, s10
	s_cbranch_vccnz .LBB214_2488
.LBB214_2487:
	s_wait_xcnt 0x0
	v_cndmask_b32_e64 v1, 0, 1, s1
	s_mov_b32 s11, -1
	global_store_b8 v[2:3], v1, off
.LBB214_2488:
	s_mov_b32 s0, 0
	s_branch .LBB214_2490
.LBB214_2489:
	s_mov_b32 s0, -1
	s_mov_b32 s11, 0
.LBB214_2490:
	s_and_b32 vcc_lo, exec_lo, s0
	s_cbranch_vccz .LBB214_2529
; %bb.2491:
	s_and_b32 s0, 0xffff, s17
	s_mov_b32 s8, -1
	s_cmp_lt_i32 s0, 5
	s_cbranch_scc1 .LBB214_2512
; %bb.2492:
	s_cmp_lt_i32 s0, 8
	s_cbranch_scc1 .LBB214_2502
; %bb.2493:
	;; [unrolled: 3-line block ×3, first 2 shown]
	s_cmp_gt_i32 s0, 9
	s_cbranch_scc0 .LBB214_2496
; %bb.2495:
	s_wait_xcnt 0x0
	v_cndmask_b32_e64 v1, 0, 1, s1
	v_mov_b32_e32 v6, 0
	s_mov_b32 s8, 0
	s_delay_alu instid0(VALU_DEP_2) | instskip(NEXT) | instid1(VALU_DEP_2)
	v_cvt_f64_u32_e32 v[4:5], v1
	v_mov_b32_e32 v7, v6
	global_store_b128 v[2:3], v[4:7], off
.LBB214_2496:
	s_and_not1_b32 vcc_lo, exec_lo, s8
	s_cbranch_vccnz .LBB214_2498
; %bb.2497:
	s_wait_xcnt 0x0
	v_cndmask_b32_e64 v4, 0, 1.0, s1
	v_mov_b32_e32 v5, 0
	global_store_b64 v[2:3], v[4:5], off
.LBB214_2498:
	s_mov_b32 s8, 0
.LBB214_2499:
	s_delay_alu instid0(SALU_CYCLE_1)
	s_and_not1_b32 vcc_lo, exec_lo, s8
	s_cbranch_vccnz .LBB214_2501
; %bb.2500:
	s_wait_xcnt 0x0
	v_cndmask_b32_e64 v1, 0, 1.0, s1
	s_delay_alu instid0(VALU_DEP_1) | instskip(NEXT) | instid1(VALU_DEP_1)
	v_cvt_f16_f32_e32 v1, v1
	v_and_b32_e32 v1, 0xffff, v1
	global_store_b32 v[2:3], v1, off
.LBB214_2501:
	s_mov_b32 s8, 0
.LBB214_2502:
	s_delay_alu instid0(SALU_CYCLE_1)
	s_and_not1_b32 vcc_lo, exec_lo, s8
	s_cbranch_vccnz .LBB214_2511
; %bb.2503:
	s_cmp_lt_i32 s0, 6
	s_mov_b32 s8, -1
	s_cbranch_scc1 .LBB214_2509
; %bb.2504:
	s_cmp_gt_i32 s0, 6
	s_cbranch_scc0 .LBB214_2506
; %bb.2505:
	s_wait_xcnt 0x0
	v_cndmask_b32_e64 v1, 0, 1, s1
	s_mov_b32 s8, 0
	s_delay_alu instid0(VALU_DEP_1)
	v_cvt_f64_u32_e32 v[4:5], v1
	global_store_b64 v[2:3], v[4:5], off
.LBB214_2506:
	s_and_not1_b32 vcc_lo, exec_lo, s8
	s_cbranch_vccnz .LBB214_2508
; %bb.2507:
	s_wait_xcnt 0x0
	v_cndmask_b32_e64 v1, 0, 1.0, s1
	global_store_b32 v[2:3], v1, off
.LBB214_2508:
	s_mov_b32 s8, 0
.LBB214_2509:
	s_delay_alu instid0(SALU_CYCLE_1)
	s_and_not1_b32 vcc_lo, exec_lo, s8
	s_cbranch_vccnz .LBB214_2511
; %bb.2510:
	s_wait_xcnt 0x0
	v_cndmask_b32_e64 v1, 0, 1.0, s1
	s_delay_alu instid0(VALU_DEP_1)
	v_cvt_f16_f32_e32 v1, v1
	global_store_b16 v[2:3], v1, off
.LBB214_2511:
	s_mov_b32 s8, 0
.LBB214_2512:
	s_delay_alu instid0(SALU_CYCLE_1)
	s_and_not1_b32 vcc_lo, exec_lo, s8
	s_cbranch_vccnz .LBB214_2528
; %bb.2513:
	s_cmp_lt_i32 s0, 2
	s_mov_b32 s8, -1
	s_cbranch_scc1 .LBB214_2523
; %bb.2514:
	s_cmp_lt_i32 s0, 3
	s_cbranch_scc1 .LBB214_2520
; %bb.2515:
	s_cmp_gt_i32 s0, 3
	s_cbranch_scc0 .LBB214_2517
; %bb.2516:
	s_mov_b32 s8, 0
	s_wait_xcnt 0x0
	v_cndmask_b32_e64 v4, 0, 1, s1
	v_mov_b32_e32 v5, s8
	global_store_b64 v[2:3], v[4:5], off
.LBB214_2517:
	s_and_not1_b32 vcc_lo, exec_lo, s8
	s_cbranch_vccnz .LBB214_2519
; %bb.2518:
	s_wait_xcnt 0x0
	v_cndmask_b32_e64 v1, 0, 1, s1
	global_store_b32 v[2:3], v1, off
.LBB214_2519:
	s_mov_b32 s8, 0
.LBB214_2520:
	s_delay_alu instid0(SALU_CYCLE_1)
	s_and_not1_b32 vcc_lo, exec_lo, s8
	s_cbranch_vccnz .LBB214_2522
; %bb.2521:
	s_wait_xcnt 0x0
	v_cndmask_b32_e64 v1, 0, 1, s1
	global_store_b16 v[2:3], v1, off
.LBB214_2522:
	s_mov_b32 s8, 0
.LBB214_2523:
	s_delay_alu instid0(SALU_CYCLE_1)
	s_and_not1_b32 vcc_lo, exec_lo, s8
	s_cbranch_vccnz .LBB214_2528
; %bb.2524:
	s_wait_xcnt 0x0
	v_cndmask_b32_e64 v1, 0, 1, s1
	s_cmp_gt_i32 s0, 0
	s_mov_b32 s0, -1
	s_cbranch_scc0 .LBB214_2526
; %bb.2525:
	s_mov_b32 s0, 0
	global_store_b8 v[2:3], v1, off
.LBB214_2526:
	s_and_not1_b32 vcc_lo, exec_lo, s0
	s_cbranch_vccnz .LBB214_2528
; %bb.2527:
	global_store_b8 v[2:3], v1, off
.LBB214_2528:
	s_mov_b32 s11, -1
.LBB214_2529:
	s_delay_alu instid0(SALU_CYCLE_1)
	s_and_not1_b32 vcc_lo, exec_lo, s11
	s_cbranch_vccnz .LBB214_2725
; %bb.2530:
	v_add_nc_u32_e32 v0, s7, v0
	s_xor_b32 s0, s9, s20
	s_delay_alu instid0(SALU_CYCLE_1) | instskip(SKIP_3) | instid1(VALU_DEP_1)
	s_xor_b32 s1, s3, s0
	s_cmp_lt_i32 s17, 11
	s_wait_xcnt 0x0
	v_ashrrev_i32_e32 v1, 31, v0
	v_add_nc_u64_e32 v[2:3], s[4:5], v[0:1]
	s_cbranch_scc1 .LBB214_2608
; %bb.2531:
	s_and_b32 s8, 0xffff, s17
	s_mov_b32 s11, -1
	s_mov_b32 s9, 0
	s_cmp_gt_i32 s8, 25
	s_mov_b32 s10, 0
	s_mov_b32 s0, 0
	s_cbranch_scc0 .LBB214_2564
; %bb.2532:
	s_cmp_gt_i32 s8, 28
	s_cbranch_scc0 .LBB214_2547
; %bb.2533:
	s_cmp_gt_i32 s8, 43
	;; [unrolled: 3-line block ×3, first 2 shown]
	s_cbranch_scc0 .LBB214_2537
; %bb.2535:
	s_mov_b32 s0, -1
	s_mov_b32 s11, 0
	s_cmp_eq_u32 s8, 46
	s_cbranch_scc0 .LBB214_2537
; %bb.2536:
	v_cndmask_b32_e64 v1, 0, 1.0, s1
	s_mov_b32 s0, 0
	s_mov_b32 s10, -1
	s_delay_alu instid0(VALU_DEP_1) | instskip(NEXT) | instid1(VALU_DEP_1)
	v_bfe_u32 v4, v1, 16, 1
	v_add3_u32 v1, v1, v4, 0x7fff
	s_delay_alu instid0(VALU_DEP_1)
	v_lshrrev_b32_e32 v1, 16, v1
	global_store_b32 v[2:3], v1, off
.LBB214_2537:
	s_and_b32 vcc_lo, exec_lo, s11
	s_cbranch_vccz .LBB214_2542
; %bb.2538:
	s_cmp_eq_u32 s8, 44
	s_mov_b32 s0, -1
	s_cbranch_scc0 .LBB214_2542
; %bb.2539:
	v_cndmask_b32_e64 v5, 0, 1.0, s1
	s_mov_b32 s10, exec_lo
	s_wait_xcnt 0x0
	s_delay_alu instid0(VALU_DEP_1) | instskip(NEXT) | instid1(VALU_DEP_1)
	v_dual_mov_b32 v4, 0xff :: v_dual_lshrrev_b32 v1, 23, v5
	v_cmpx_ne_u32_e32 0xff, v1
; %bb.2540:
	v_and_b32_e32 v4, 0x400000, v5
	v_and_or_b32 v5, 0x3fffff, v5, v1
	s_delay_alu instid0(VALU_DEP_2) | instskip(NEXT) | instid1(VALU_DEP_2)
	v_cmp_ne_u32_e32 vcc_lo, 0, v4
	v_cmp_ne_u32_e64 s0, 0, v5
	s_and_b32 s0, vcc_lo, s0
	s_delay_alu instid0(SALU_CYCLE_1) | instskip(NEXT) | instid1(VALU_DEP_1)
	v_cndmask_b32_e64 v4, 0, 1, s0
	v_add_nc_u32_e32 v4, v1, v4
; %bb.2541:
	s_or_b32 exec_lo, exec_lo, s10
	s_mov_b32 s0, 0
	s_mov_b32 s10, -1
	global_store_b8 v[2:3], v4, off
.LBB214_2542:
	s_mov_b32 s11, 0
.LBB214_2543:
	s_delay_alu instid0(SALU_CYCLE_1)
	s_and_b32 vcc_lo, exec_lo, s11
	s_cbranch_vccz .LBB214_2546
; %bb.2544:
	s_cmp_eq_u32 s8, 29
	s_mov_b32 s0, -1
	s_cbranch_scc0 .LBB214_2546
; %bb.2545:
	s_mov_b32 s0, 0
	s_wait_xcnt 0x0
	v_cndmask_b32_e64 v4, 0, 1, s1
	v_mov_b32_e32 v5, s0
	s_mov_b32 s10, -1
	global_store_b64 v[2:3], v[4:5], off
.LBB214_2546:
	s_mov_b32 s11, 0
.LBB214_2547:
	s_delay_alu instid0(SALU_CYCLE_1)
	s_and_b32 vcc_lo, exec_lo, s11
	s_cbranch_vccz .LBB214_2563
; %bb.2548:
	s_cmp_lt_i32 s8, 27
	s_mov_b32 s10, -1
	s_cbranch_scc1 .LBB214_2554
; %bb.2549:
	s_cmp_gt_i32 s8, 27
	s_cbranch_scc0 .LBB214_2551
; %bb.2550:
	s_wait_xcnt 0x0
	v_cndmask_b32_e64 v1, 0, 1, s1
	s_mov_b32 s10, 0
	global_store_b32 v[2:3], v1, off
.LBB214_2551:
	s_and_not1_b32 vcc_lo, exec_lo, s10
	s_cbranch_vccnz .LBB214_2553
; %bb.2552:
	s_wait_xcnt 0x0
	v_cndmask_b32_e64 v1, 0, 1, s1
	global_store_b16 v[2:3], v1, off
.LBB214_2553:
	s_mov_b32 s10, 0
.LBB214_2554:
	s_delay_alu instid0(SALU_CYCLE_1)
	s_and_not1_b32 vcc_lo, exec_lo, s10
	s_cbranch_vccnz .LBB214_2562
; %bb.2555:
	s_wait_xcnt 0x0
	v_cndmask_b32_e64 v4, 0, 1.0, s1
	v_mov_b32_e32 v5, 0x80
	s_mov_b32 s10, exec_lo
	s_delay_alu instid0(VALU_DEP_2)
	v_cmpx_gt_u32_e32 0x43800000, v4
	s_cbranch_execz .LBB214_2561
; %bb.2556:
	s_mov_b32 s11, 0
	s_mov_b32 s12, exec_lo
                                        ; implicit-def: $vgpr1
	v_cmpx_lt_u32_e32 0x3bffffff, v4
	s_xor_b32 s12, exec_lo, s12
	s_cbranch_execnz .LBB214_2783
; %bb.2557:
	s_and_not1_saveexec_b32 s12, s12
	s_cbranch_execnz .LBB214_2784
.LBB214_2558:
	s_or_b32 exec_lo, exec_lo, s12
	v_mov_b32_e32 v5, 0
	s_and_saveexec_b32 s12, s11
.LBB214_2559:
	v_mov_b32_e32 v5, v1
.LBB214_2560:
	s_or_b32 exec_lo, exec_lo, s12
.LBB214_2561:
	s_delay_alu instid0(SALU_CYCLE_1)
	s_or_b32 exec_lo, exec_lo, s10
	global_store_b8 v[2:3], v5, off
.LBB214_2562:
	s_mov_b32 s10, -1
.LBB214_2563:
	s_mov_b32 s11, 0
.LBB214_2564:
	s_delay_alu instid0(SALU_CYCLE_1)
	s_and_b32 vcc_lo, exec_lo, s11
	s_cbranch_vccz .LBB214_2604
; %bb.2565:
	s_cmp_gt_i32 s8, 22
	s_mov_b32 s9, -1
	s_cbranch_scc0 .LBB214_2597
; %bb.2566:
	s_cmp_lt_i32 s8, 24
	s_cbranch_scc1 .LBB214_2586
; %bb.2567:
	s_cmp_gt_i32 s8, 24
	s_cbranch_scc0 .LBB214_2575
; %bb.2568:
	s_wait_xcnt 0x0
	v_cndmask_b32_e64 v4, 0, 1.0, s1
	v_mov_b32_e32 v5, 0x80
	s_mov_b32 s9, exec_lo
	s_delay_alu instid0(VALU_DEP_2)
	v_cmpx_gt_u32_e32 0x47800000, v4
	s_cbranch_execz .LBB214_2574
; %bb.2569:
	s_mov_b32 s10, 0
	s_mov_b32 s11, exec_lo
                                        ; implicit-def: $vgpr1
	v_cmpx_lt_u32_e32 0x37ffffff, v4
	s_xor_b32 s11, exec_lo, s11
	s_cbranch_execnz .LBB214_2786
; %bb.2570:
	s_and_not1_saveexec_b32 s11, s11
	s_cbranch_execnz .LBB214_2787
.LBB214_2571:
	s_or_b32 exec_lo, exec_lo, s11
	v_mov_b32_e32 v5, 0
	s_and_saveexec_b32 s11, s10
.LBB214_2572:
	v_mov_b32_e32 v5, v1
.LBB214_2573:
	s_or_b32 exec_lo, exec_lo, s11
.LBB214_2574:
	s_delay_alu instid0(SALU_CYCLE_1)
	s_or_b32 exec_lo, exec_lo, s9
	s_mov_b32 s9, 0
	global_store_b8 v[2:3], v5, off
.LBB214_2575:
	s_and_b32 vcc_lo, exec_lo, s9
	s_cbranch_vccz .LBB214_2585
; %bb.2576:
	s_wait_xcnt 0x0
	v_cndmask_b32_e64 v4, 0, 1.0, s1
	s_mov_b32 s9, exec_lo
                                        ; implicit-def: $vgpr1
	s_delay_alu instid0(VALU_DEP_1)
	v_cmpx_gt_u32_e32 0x43f00000, v4
	s_xor_b32 s9, exec_lo, s9
	s_cbranch_execz .LBB214_2582
; %bb.2577:
	s_mov_b32 s10, exec_lo
                                        ; implicit-def: $vgpr1
	v_cmpx_lt_u32_e32 0x3c7fffff, v4
	s_xor_b32 s10, exec_lo, s10
; %bb.2578:
	v_bfe_u32 v1, v4, 20, 1
	s_delay_alu instid0(VALU_DEP_1) | instskip(NEXT) | instid1(VALU_DEP_1)
	v_add3_u32 v1, v4, v1, 0x407ffff
	v_and_b32_e32 v4, 0xff00000, v1
	v_lshrrev_b32_e32 v1, 20, v1
	s_delay_alu instid0(VALU_DEP_2) | instskip(NEXT) | instid1(VALU_DEP_2)
	v_cmp_ne_u32_e32 vcc_lo, 0x7f00000, v4
                                        ; implicit-def: $vgpr4
	v_cndmask_b32_e32 v1, 0x7e, v1, vcc_lo
; %bb.2579:
	s_and_not1_saveexec_b32 s10, s10
; %bb.2580:
	v_add_f32_e32 v1, 0x46800000, v4
; %bb.2581:
	s_or_b32 exec_lo, exec_lo, s10
                                        ; implicit-def: $vgpr4
.LBB214_2582:
	s_and_not1_saveexec_b32 s9, s9
; %bb.2583:
	v_mov_b32_e32 v1, 0x7f
	v_cmp_lt_u32_e32 vcc_lo, 0x7f800000, v4
	s_delay_alu instid0(VALU_DEP_2)
	v_cndmask_b32_e32 v1, 0x7e, v1, vcc_lo
; %bb.2584:
	s_or_b32 exec_lo, exec_lo, s9
	global_store_b8 v[2:3], v1, off
.LBB214_2585:
	s_mov_b32 s9, 0
.LBB214_2586:
	s_delay_alu instid0(SALU_CYCLE_1)
	s_and_not1_b32 vcc_lo, exec_lo, s9
	s_cbranch_vccnz .LBB214_2596
; %bb.2587:
	s_wait_xcnt 0x0
	v_cndmask_b32_e64 v4, 0, 1.0, s1
	s_mov_b32 s9, exec_lo
                                        ; implicit-def: $vgpr1
	s_delay_alu instid0(VALU_DEP_1)
	v_cmpx_gt_u32_e32 0x47800000, v4
	s_xor_b32 s9, exec_lo, s9
	s_cbranch_execz .LBB214_2593
; %bb.2588:
	s_mov_b32 s10, exec_lo
                                        ; implicit-def: $vgpr1
	v_cmpx_lt_u32_e32 0x387fffff, v4
	s_xor_b32 s10, exec_lo, s10
; %bb.2589:
	v_bfe_u32 v1, v4, 21, 1
	s_delay_alu instid0(VALU_DEP_1) | instskip(NEXT) | instid1(VALU_DEP_1)
	v_add3_u32 v1, v4, v1, 0x80fffff
                                        ; implicit-def: $vgpr4
	v_lshrrev_b32_e32 v1, 21, v1
; %bb.2590:
	s_and_not1_saveexec_b32 s10, s10
; %bb.2591:
	v_add_f32_e32 v1, 0x43000000, v4
; %bb.2592:
	s_or_b32 exec_lo, exec_lo, s10
                                        ; implicit-def: $vgpr4
.LBB214_2593:
	s_and_not1_saveexec_b32 s9, s9
; %bb.2594:
	v_mov_b32_e32 v1, 0x7f
	v_cmp_lt_u32_e32 vcc_lo, 0x7f800000, v4
	s_delay_alu instid0(VALU_DEP_2)
	v_cndmask_b32_e32 v1, 0x7c, v1, vcc_lo
; %bb.2595:
	s_or_b32 exec_lo, exec_lo, s9
	global_store_b8 v[2:3], v1, off
.LBB214_2596:
	s_mov_b32 s9, 0
	s_mov_b32 s10, -1
.LBB214_2597:
	s_and_not1_b32 vcc_lo, exec_lo, s9
	s_mov_b32 s9, 0
	s_cbranch_vccnz .LBB214_2604
; %bb.2598:
	s_cmp_gt_i32 s8, 14
	s_mov_b32 s9, -1
	s_cbranch_scc0 .LBB214_2602
; %bb.2599:
	s_cmp_eq_u32 s8, 15
	s_mov_b32 s0, -1
	s_cbranch_scc0 .LBB214_2601
; %bb.2600:
	s_wait_xcnt 0x0
	v_cndmask_b32_e64 v1, 0, 1.0, s1
	s_mov_b32 s0, 0
	s_mov_b32 s10, -1
	s_delay_alu instid0(VALU_DEP_1) | instskip(NEXT) | instid1(VALU_DEP_1)
	v_bfe_u32 v4, v1, 16, 1
	v_add3_u32 v1, v1, v4, 0x7fff
	global_store_d16_hi_b16 v[2:3], v1, off
.LBB214_2601:
	s_mov_b32 s9, 0
.LBB214_2602:
	s_delay_alu instid0(SALU_CYCLE_1)
	s_and_b32 vcc_lo, exec_lo, s9
	s_mov_b32 s9, 0
	s_cbranch_vccz .LBB214_2604
; %bb.2603:
	s_cmp_lg_u32 s8, 11
	s_mov_b32 s9, -1
	s_cselect_b32 s0, -1, 0
.LBB214_2604:
	s_delay_alu instid0(SALU_CYCLE_1)
	s_and_b32 vcc_lo, exec_lo, s0
	s_cbranch_vccnz .LBB214_2780
; %bb.2605:
	s_and_not1_b32 vcc_lo, exec_lo, s9
	s_cbranch_vccnz .LBB214_2607
.LBB214_2606:
	s_wait_xcnt 0x0
	v_cndmask_b32_e64 v1, 0, 1, s1
	s_mov_b32 s10, -1
	global_store_b8 v[2:3], v1, off
.LBB214_2607:
	s_mov_b32 s0, 0
	s_branch .LBB214_2609
.LBB214_2608:
	s_mov_b32 s0, -1
	s_mov_b32 s10, 0
.LBB214_2609:
	s_and_b32 vcc_lo, exec_lo, s0
	s_cbranch_vccz .LBB214_2648
; %bb.2610:
	s_and_b32 s0, 0xffff, s17
	s_mov_b32 s8, -1
	s_cmp_lt_i32 s0, 5
	s_cbranch_scc1 .LBB214_2631
; %bb.2611:
	s_cmp_lt_i32 s0, 8
	s_cbranch_scc1 .LBB214_2621
; %bb.2612:
	;; [unrolled: 3-line block ×3, first 2 shown]
	s_cmp_gt_i32 s0, 9
	s_cbranch_scc0 .LBB214_2615
; %bb.2614:
	s_wait_xcnt 0x0
	v_cndmask_b32_e64 v1, 0, 1, s1
	v_mov_b32_e32 v6, 0
	s_mov_b32 s8, 0
	s_delay_alu instid0(VALU_DEP_2) | instskip(NEXT) | instid1(VALU_DEP_2)
	v_cvt_f64_u32_e32 v[4:5], v1
	v_mov_b32_e32 v7, v6
	global_store_b128 v[2:3], v[4:7], off
.LBB214_2615:
	s_and_not1_b32 vcc_lo, exec_lo, s8
	s_cbranch_vccnz .LBB214_2617
; %bb.2616:
	s_wait_xcnt 0x0
	v_cndmask_b32_e64 v4, 0, 1.0, s1
	v_mov_b32_e32 v5, 0
	global_store_b64 v[2:3], v[4:5], off
.LBB214_2617:
	s_mov_b32 s8, 0
.LBB214_2618:
	s_delay_alu instid0(SALU_CYCLE_1)
	s_and_not1_b32 vcc_lo, exec_lo, s8
	s_cbranch_vccnz .LBB214_2620
; %bb.2619:
	s_wait_xcnt 0x0
	v_cndmask_b32_e64 v1, 0, 1.0, s1
	s_delay_alu instid0(VALU_DEP_1) | instskip(NEXT) | instid1(VALU_DEP_1)
	v_cvt_f16_f32_e32 v1, v1
	v_and_b32_e32 v1, 0xffff, v1
	global_store_b32 v[2:3], v1, off
.LBB214_2620:
	s_mov_b32 s8, 0
.LBB214_2621:
	s_delay_alu instid0(SALU_CYCLE_1)
	s_and_not1_b32 vcc_lo, exec_lo, s8
	s_cbranch_vccnz .LBB214_2630
; %bb.2622:
	s_cmp_lt_i32 s0, 6
	s_mov_b32 s8, -1
	s_cbranch_scc1 .LBB214_2628
; %bb.2623:
	s_cmp_gt_i32 s0, 6
	s_cbranch_scc0 .LBB214_2625
; %bb.2624:
	s_wait_xcnt 0x0
	v_cndmask_b32_e64 v1, 0, 1, s1
	s_mov_b32 s8, 0
	s_delay_alu instid0(VALU_DEP_1)
	v_cvt_f64_u32_e32 v[4:5], v1
	global_store_b64 v[2:3], v[4:5], off
.LBB214_2625:
	s_and_not1_b32 vcc_lo, exec_lo, s8
	s_cbranch_vccnz .LBB214_2627
; %bb.2626:
	s_wait_xcnt 0x0
	v_cndmask_b32_e64 v1, 0, 1.0, s1
	global_store_b32 v[2:3], v1, off
.LBB214_2627:
	s_mov_b32 s8, 0
.LBB214_2628:
	s_delay_alu instid0(SALU_CYCLE_1)
	s_and_not1_b32 vcc_lo, exec_lo, s8
	s_cbranch_vccnz .LBB214_2630
; %bb.2629:
	s_wait_xcnt 0x0
	v_cndmask_b32_e64 v1, 0, 1.0, s1
	s_delay_alu instid0(VALU_DEP_1)
	v_cvt_f16_f32_e32 v1, v1
	global_store_b16 v[2:3], v1, off
.LBB214_2630:
	s_mov_b32 s8, 0
.LBB214_2631:
	s_delay_alu instid0(SALU_CYCLE_1)
	s_and_not1_b32 vcc_lo, exec_lo, s8
	s_cbranch_vccnz .LBB214_2647
; %bb.2632:
	s_cmp_lt_i32 s0, 2
	s_mov_b32 s8, -1
	s_cbranch_scc1 .LBB214_2642
; %bb.2633:
	s_cmp_lt_i32 s0, 3
	s_cbranch_scc1 .LBB214_2639
; %bb.2634:
	s_cmp_gt_i32 s0, 3
	s_cbranch_scc0 .LBB214_2636
; %bb.2635:
	s_mov_b32 s8, 0
	s_wait_xcnt 0x0
	v_cndmask_b32_e64 v4, 0, 1, s1
	v_mov_b32_e32 v5, s8
	global_store_b64 v[2:3], v[4:5], off
.LBB214_2636:
	s_and_not1_b32 vcc_lo, exec_lo, s8
	s_cbranch_vccnz .LBB214_2638
; %bb.2637:
	s_wait_xcnt 0x0
	v_cndmask_b32_e64 v1, 0, 1, s1
	global_store_b32 v[2:3], v1, off
.LBB214_2638:
	s_mov_b32 s8, 0
.LBB214_2639:
	s_delay_alu instid0(SALU_CYCLE_1)
	s_and_not1_b32 vcc_lo, exec_lo, s8
	s_cbranch_vccnz .LBB214_2641
; %bb.2640:
	s_wait_xcnt 0x0
	v_cndmask_b32_e64 v1, 0, 1, s1
	global_store_b16 v[2:3], v1, off
.LBB214_2641:
	s_mov_b32 s8, 0
.LBB214_2642:
	s_delay_alu instid0(SALU_CYCLE_1)
	s_and_not1_b32 vcc_lo, exec_lo, s8
	s_cbranch_vccnz .LBB214_2647
; %bb.2643:
	s_wait_xcnt 0x0
	v_cndmask_b32_e64 v1, 0, 1, s1
	s_cmp_gt_i32 s0, 0
	s_mov_b32 s0, -1
	s_cbranch_scc0 .LBB214_2645
; %bb.2644:
	s_mov_b32 s0, 0
	global_store_b8 v[2:3], v1, off
.LBB214_2645:
	s_and_not1_b32 vcc_lo, exec_lo, s0
	s_cbranch_vccnz .LBB214_2647
; %bb.2646:
	global_store_b8 v[2:3], v1, off
.LBB214_2647:
	s_mov_b32 s10, -1
.LBB214_2648:
	s_delay_alu instid0(SALU_CYCLE_1)
	s_and_not1_b32 vcc_lo, exec_lo, s10
	s_cbranch_vccnz .LBB214_2725
; %bb.2649:
	v_add_nc_u32_e32 v0, s7, v0
	s_xor_b32 s0, s6, s2
	s_delay_alu instid0(SALU_CYCLE_1) | instskip(SKIP_3) | instid1(VALU_DEP_1)
	s_xor_b32 s18, s3, s0
	s_cmp_lt_i32 s17, 11
	s_wait_xcnt 0x0
	v_ashrrev_i32_e32 v1, 31, v0
	v_add_nc_u64_e32 v[0:1], s[4:5], v[0:1]
	s_cbranch_scc1 .LBB214_2770
; %bb.2650:
	s_and_b32 s1, 0xffff, s17
	s_mov_b32 s3, -1
	s_mov_b32 s2, 0
	s_cmp_gt_i32 s1, 25
	s_mov_b32 s0, 0
	s_cbranch_scc0 .LBB214_2683
; %bb.2651:
	s_cmp_gt_i32 s1, 28
	s_cbranch_scc0 .LBB214_2667
; %bb.2652:
	s_cmp_gt_i32 s1, 43
	;; [unrolled: 3-line block ×3, first 2 shown]
	s_cbranch_scc0 .LBB214_2657
; %bb.2654:
	s_cmp_eq_u32 s1, 46
	s_mov_b32 s0, -1
	s_cbranch_scc0 .LBB214_2656
; %bb.2655:
	v_cndmask_b32_e64 v2, 0, 1.0, s18
	s_mov_b32 s0, 0
	s_delay_alu instid0(VALU_DEP_1) | instskip(NEXT) | instid1(VALU_DEP_1)
	v_bfe_u32 v3, v2, 16, 1
	v_add3_u32 v2, v2, v3, 0x7fff
	s_delay_alu instid0(VALU_DEP_1)
	v_lshrrev_b32_e32 v2, 16, v2
	global_store_b32 v[0:1], v2, off
.LBB214_2656:
	s_mov_b32 s3, 0
.LBB214_2657:
	s_delay_alu instid0(SALU_CYCLE_1)
	s_and_b32 vcc_lo, exec_lo, s3
	s_cbranch_vccz .LBB214_2662
; %bb.2658:
	s_cmp_eq_u32 s1, 44
	s_mov_b32 s0, -1
	s_cbranch_scc0 .LBB214_2662
; %bb.2659:
	v_cndmask_b32_e64 v4, 0, 1.0, s18
	s_mov_b32 s3, exec_lo
	s_wait_xcnt 0x0
	s_delay_alu instid0(VALU_DEP_1) | instskip(NEXT) | instid1(VALU_DEP_1)
	v_dual_mov_b32 v3, 0xff :: v_dual_lshrrev_b32 v2, 23, v4
	v_cmpx_ne_u32_e32 0xff, v2
; %bb.2660:
	v_and_b32_e32 v3, 0x400000, v4
	v_and_or_b32 v4, 0x3fffff, v4, v2
	s_delay_alu instid0(VALU_DEP_2) | instskip(NEXT) | instid1(VALU_DEP_2)
	v_cmp_ne_u32_e32 vcc_lo, 0, v3
	v_cmp_ne_u32_e64 s0, 0, v4
	s_and_b32 s0, vcc_lo, s0
	s_delay_alu instid0(SALU_CYCLE_1) | instskip(NEXT) | instid1(VALU_DEP_1)
	v_cndmask_b32_e64 v3, 0, 1, s0
	v_add_nc_u32_e32 v3, v2, v3
; %bb.2661:
	s_or_b32 exec_lo, exec_lo, s3
	s_mov_b32 s0, 0
	global_store_b8 v[0:1], v3, off
.LBB214_2662:
	s_mov_b32 s3, 0
.LBB214_2663:
	s_delay_alu instid0(SALU_CYCLE_1)
	s_and_b32 vcc_lo, exec_lo, s3
	s_cbranch_vccz .LBB214_2666
; %bb.2664:
	s_cmp_eq_u32 s1, 29
	s_mov_b32 s0, -1
	s_cbranch_scc0 .LBB214_2666
; %bb.2665:
	s_mov_b32 s0, 0
	s_wait_xcnt 0x0
	v_cndmask_b32_e64 v2, 0, 1, s18
	v_mov_b32_e32 v3, s0
	global_store_b64 v[0:1], v[2:3], off
.LBB214_2666:
	s_mov_b32 s3, 0
.LBB214_2667:
	s_delay_alu instid0(SALU_CYCLE_1)
	s_and_b32 vcc_lo, exec_lo, s3
	s_cbranch_vccz .LBB214_2682
; %bb.2668:
	s_cmp_lt_i32 s1, 27
	s_mov_b32 s3, -1
	s_cbranch_scc1 .LBB214_2674
; %bb.2669:
	s_wait_xcnt 0x0
	v_cndmask_b32_e64 v2, 0, 1, s18
	s_cmp_gt_i32 s1, 27
	s_cbranch_scc0 .LBB214_2671
; %bb.2670:
	s_mov_b32 s3, 0
	global_store_b32 v[0:1], v2, off
.LBB214_2671:
	s_and_not1_b32 vcc_lo, exec_lo, s3
	s_cbranch_vccnz .LBB214_2673
; %bb.2672:
	global_store_b16 v[0:1], v2, off
.LBB214_2673:
	s_mov_b32 s3, 0
.LBB214_2674:
	s_delay_alu instid0(SALU_CYCLE_1)
	s_and_not1_b32 vcc_lo, exec_lo, s3
	s_cbranch_vccnz .LBB214_2682
; %bb.2675:
	s_wait_xcnt 0x0
	v_cndmask_b32_e64 v3, 0, 1.0, s18
	v_mov_b32_e32 v4, 0x80
	s_mov_b32 s3, exec_lo
	s_delay_alu instid0(VALU_DEP_2)
	v_cmpx_gt_u32_e32 0x43800000, v3
	s_cbranch_execz .LBB214_2681
; %bb.2676:
	s_mov_b32 s4, 0
	s_mov_b32 s5, exec_lo
                                        ; implicit-def: $vgpr2
	v_cmpx_lt_u32_e32 0x3bffffff, v3
	s_xor_b32 s5, exec_lo, s5
	s_cbranch_execnz .LBB214_2788
; %bb.2677:
	s_and_not1_saveexec_b32 s5, s5
	s_cbranch_execnz .LBB214_2789
.LBB214_2678:
	s_or_b32 exec_lo, exec_lo, s5
	v_mov_b32_e32 v4, 0
	s_and_saveexec_b32 s5, s4
.LBB214_2679:
	v_mov_b32_e32 v4, v2
.LBB214_2680:
	s_or_b32 exec_lo, exec_lo, s5
.LBB214_2681:
	s_delay_alu instid0(SALU_CYCLE_1)
	s_or_b32 exec_lo, exec_lo, s3
	global_store_b8 v[0:1], v4, off
.LBB214_2682:
	s_mov_b32 s3, 0
.LBB214_2683:
	s_delay_alu instid0(SALU_CYCLE_1)
	s_and_b32 vcc_lo, exec_lo, s3
	s_cbranch_vccz .LBB214_2723
; %bb.2684:
	s_cmp_gt_i32 s1, 22
	s_mov_b32 s2, -1
	s_cbranch_scc0 .LBB214_2716
; %bb.2685:
	s_cmp_lt_i32 s1, 24
	s_cbranch_scc1 .LBB214_2705
; %bb.2686:
	s_cmp_gt_i32 s1, 24
	s_cbranch_scc0 .LBB214_2694
; %bb.2687:
	s_wait_xcnt 0x0
	v_cndmask_b32_e64 v3, 0, 1.0, s18
	v_mov_b32_e32 v4, 0x80
	s_mov_b32 s2, exec_lo
	s_delay_alu instid0(VALU_DEP_2)
	v_cmpx_gt_u32_e32 0x47800000, v3
	s_cbranch_execz .LBB214_2693
; %bb.2688:
	s_mov_b32 s3, 0
	s_mov_b32 s4, exec_lo
                                        ; implicit-def: $vgpr2
	v_cmpx_lt_u32_e32 0x37ffffff, v3
	s_xor_b32 s4, exec_lo, s4
	s_cbranch_execnz .LBB214_2790
; %bb.2689:
	s_and_not1_saveexec_b32 s4, s4
	s_cbranch_execnz .LBB214_2791
.LBB214_2690:
	s_or_b32 exec_lo, exec_lo, s4
	v_mov_b32_e32 v4, 0
	s_and_saveexec_b32 s4, s3
.LBB214_2691:
	v_mov_b32_e32 v4, v2
.LBB214_2692:
	s_or_b32 exec_lo, exec_lo, s4
.LBB214_2693:
	s_delay_alu instid0(SALU_CYCLE_1)
	s_or_b32 exec_lo, exec_lo, s2
	s_mov_b32 s2, 0
	global_store_b8 v[0:1], v4, off
.LBB214_2694:
	s_and_b32 vcc_lo, exec_lo, s2
	s_cbranch_vccz .LBB214_2704
; %bb.2695:
	s_wait_xcnt 0x0
	v_cndmask_b32_e64 v3, 0, 1.0, s18
	s_mov_b32 s2, exec_lo
                                        ; implicit-def: $vgpr2
	s_delay_alu instid0(VALU_DEP_1)
	v_cmpx_gt_u32_e32 0x43f00000, v3
	s_xor_b32 s2, exec_lo, s2
	s_cbranch_execz .LBB214_2701
; %bb.2696:
	s_mov_b32 s3, exec_lo
                                        ; implicit-def: $vgpr2
	v_cmpx_lt_u32_e32 0x3c7fffff, v3
	s_xor_b32 s3, exec_lo, s3
; %bb.2697:
	v_bfe_u32 v2, v3, 20, 1
	s_delay_alu instid0(VALU_DEP_1) | instskip(NEXT) | instid1(VALU_DEP_1)
	v_add3_u32 v2, v3, v2, 0x407ffff
	v_and_b32_e32 v3, 0xff00000, v2
	v_lshrrev_b32_e32 v2, 20, v2
	s_delay_alu instid0(VALU_DEP_2) | instskip(NEXT) | instid1(VALU_DEP_2)
	v_cmp_ne_u32_e32 vcc_lo, 0x7f00000, v3
                                        ; implicit-def: $vgpr3
	v_cndmask_b32_e32 v2, 0x7e, v2, vcc_lo
; %bb.2698:
	s_and_not1_saveexec_b32 s3, s3
; %bb.2699:
	v_add_f32_e32 v2, 0x46800000, v3
; %bb.2700:
	s_or_b32 exec_lo, exec_lo, s3
                                        ; implicit-def: $vgpr3
.LBB214_2701:
	s_and_not1_saveexec_b32 s2, s2
; %bb.2702:
	v_mov_b32_e32 v2, 0x7f
	v_cmp_lt_u32_e32 vcc_lo, 0x7f800000, v3
	s_delay_alu instid0(VALU_DEP_2)
	v_cndmask_b32_e32 v2, 0x7e, v2, vcc_lo
; %bb.2703:
	s_or_b32 exec_lo, exec_lo, s2
	global_store_b8 v[0:1], v2, off
.LBB214_2704:
	s_mov_b32 s2, 0
.LBB214_2705:
	s_delay_alu instid0(SALU_CYCLE_1)
	s_and_not1_b32 vcc_lo, exec_lo, s2
	s_cbranch_vccnz .LBB214_2715
; %bb.2706:
	s_wait_xcnt 0x0
	v_cndmask_b32_e64 v3, 0, 1.0, s18
	s_mov_b32 s2, exec_lo
                                        ; implicit-def: $vgpr2
	s_delay_alu instid0(VALU_DEP_1)
	v_cmpx_gt_u32_e32 0x47800000, v3
	s_xor_b32 s2, exec_lo, s2
	s_cbranch_execz .LBB214_2712
; %bb.2707:
	s_mov_b32 s3, exec_lo
                                        ; implicit-def: $vgpr2
	v_cmpx_lt_u32_e32 0x387fffff, v3
	s_xor_b32 s3, exec_lo, s3
; %bb.2708:
	v_bfe_u32 v2, v3, 21, 1
	s_delay_alu instid0(VALU_DEP_1) | instskip(NEXT) | instid1(VALU_DEP_1)
	v_add3_u32 v2, v3, v2, 0x80fffff
                                        ; implicit-def: $vgpr3
	v_lshrrev_b32_e32 v2, 21, v2
; %bb.2709:
	s_and_not1_saveexec_b32 s3, s3
; %bb.2710:
	v_add_f32_e32 v2, 0x43000000, v3
; %bb.2711:
	s_or_b32 exec_lo, exec_lo, s3
                                        ; implicit-def: $vgpr3
.LBB214_2712:
	s_and_not1_saveexec_b32 s2, s2
; %bb.2713:
	v_mov_b32_e32 v2, 0x7f
	v_cmp_lt_u32_e32 vcc_lo, 0x7f800000, v3
	s_delay_alu instid0(VALU_DEP_2)
	v_cndmask_b32_e32 v2, 0x7c, v2, vcc_lo
; %bb.2714:
	s_or_b32 exec_lo, exec_lo, s2
	global_store_b8 v[0:1], v2, off
.LBB214_2715:
	s_mov_b32 s2, 0
.LBB214_2716:
	s_delay_alu instid0(SALU_CYCLE_1)
	s_and_not1_b32 vcc_lo, exec_lo, s2
	s_mov_b32 s2, 0
	s_cbranch_vccnz .LBB214_2723
; %bb.2717:
	s_cmp_gt_i32 s1, 14
	s_mov_b32 s2, -1
	s_cbranch_scc0 .LBB214_2721
; %bb.2718:
	s_cmp_eq_u32 s1, 15
	s_mov_b32 s0, -1
	s_cbranch_scc0 .LBB214_2720
; %bb.2719:
	s_wait_xcnt 0x0
	v_cndmask_b32_e64 v2, 0, 1.0, s18
	s_mov_b32 s0, 0
	s_delay_alu instid0(VALU_DEP_1) | instskip(NEXT) | instid1(VALU_DEP_1)
	v_bfe_u32 v3, v2, 16, 1
	v_add3_u32 v2, v2, v3, 0x7fff
	global_store_d16_hi_b16 v[0:1], v2, off
.LBB214_2720:
	s_mov_b32 s2, 0
.LBB214_2721:
	s_delay_alu instid0(SALU_CYCLE_1)
	s_and_b32 vcc_lo, exec_lo, s2
	s_mov_b32 s2, 0
	s_cbranch_vccz .LBB214_2723
; %bb.2722:
	s_cmp_lg_u32 s1, 11
	s_mov_b32 s2, -1
	s_cselect_b32 s0, -1, 0
.LBB214_2723:
	s_delay_alu instid0(SALU_CYCLE_1)
	s_and_b32 vcc_lo, exec_lo, s0
	s_cbranch_vccnz .LBB214_2785
.LBB214_2724:
	s_mov_b32 s0, 0
	s_branch .LBB214_2726
.LBB214_2725:
	s_mov_b32 s0, 0
	s_mov_b32 s2, 0
                                        ; implicit-def: $sgpr18
                                        ; implicit-def: $sgpr17
                                        ; implicit-def: $vgpr0_vgpr1
.LBB214_2726:
	s_and_not1_b32 s1, s16, exec_lo
	s_and_b32 s3, s13, exec_lo
	s_and_b32 s0, s0, exec_lo
	;; [unrolled: 1-line block ×3, first 2 shown]
	s_or_b32 s16, s1, s3
.LBB214_2727:
	s_wait_xcnt 0x0
	s_or_b32 exec_lo, exec_lo, s15
	s_and_saveexec_b32 s1, s16
	s_cbranch_execnz .LBB214_2731
; %bb.2728:
	s_or_b32 exec_lo, exec_lo, s1
	s_and_saveexec_b32 s1, s13
	s_delay_alu instid0(SALU_CYCLE_1)
	s_xor_b32 s1, exec_lo, s1
	s_cbranch_execnz .LBB214_2732
.LBB214_2729:
	s_or_b32 exec_lo, exec_lo, s1
	s_and_saveexec_b32 s1, s0
	s_cbranch_execnz .LBB214_2733
.LBB214_2730:
	s_endpgm
.LBB214_2731:
	; divergent unreachable
	s_or_b32 exec_lo, exec_lo, s1
	s_and_saveexec_b32 s1, s13
	s_delay_alu instid0(SALU_CYCLE_1)
	s_xor_b32 s1, exec_lo, s1
	s_cbranch_execz .LBB214_2729
.LBB214_2732:
	v_cndmask_b32_e64 v2, 0, 1, s18
	global_store_b8 v[0:1], v2, off
	s_wait_xcnt 0x0
	s_or_b32 exec_lo, exec_lo, s1
	s_and_saveexec_b32 s1, s0
	s_cbranch_execz .LBB214_2730
.LBB214_2733:
	s_sext_i32_i16 s1, s17
	s_mov_b32 s0, -1
	s_cmp_lt_i32 s1, 5
	s_cbranch_scc1 .LBB214_2754
; %bb.2734:
	s_cmp_lt_i32 s1, 8
	s_cbranch_scc1 .LBB214_2744
; %bb.2735:
	;; [unrolled: 3-line block ×3, first 2 shown]
	s_cmp_gt_i32 s1, 9
	s_cbranch_scc0 .LBB214_2738
; %bb.2737:
	v_cndmask_b32_e64 v2, 0, 1, s18
	v_mov_b32_e32 v4, 0
	s_mov_b32 s0, 0
	s_delay_alu instid0(VALU_DEP_2) | instskip(NEXT) | instid1(VALU_DEP_2)
	v_cvt_f64_u32_e32 v[2:3], v2
	v_mov_b32_e32 v5, v4
	global_store_b128 v[0:1], v[2:5], off
.LBB214_2738:
	s_and_not1_b32 vcc_lo, exec_lo, s0
	s_cbranch_vccnz .LBB214_2740
; %bb.2739:
	s_wait_xcnt 0x0
	v_cndmask_b32_e64 v2, 0, 1.0, s18
	v_mov_b32_e32 v3, 0
	global_store_b64 v[0:1], v[2:3], off
.LBB214_2740:
	s_mov_b32 s0, 0
.LBB214_2741:
	s_delay_alu instid0(SALU_CYCLE_1)
	s_and_not1_b32 vcc_lo, exec_lo, s0
	s_cbranch_vccnz .LBB214_2743
; %bb.2742:
	s_wait_xcnt 0x0
	v_cndmask_b32_e64 v2, 0, 1.0, s18
	s_delay_alu instid0(VALU_DEP_1) | instskip(NEXT) | instid1(VALU_DEP_1)
	v_cvt_f16_f32_e32 v2, v2
	v_and_b32_e32 v2, 0xffff, v2
	global_store_b32 v[0:1], v2, off
.LBB214_2743:
	s_mov_b32 s0, 0
.LBB214_2744:
	s_delay_alu instid0(SALU_CYCLE_1)
	s_and_not1_b32 vcc_lo, exec_lo, s0
	s_cbranch_vccnz .LBB214_2753
; %bb.2745:
	s_sext_i32_i16 s1, s17
	s_mov_b32 s0, -1
	s_cmp_lt_i32 s1, 6
	s_cbranch_scc1 .LBB214_2751
; %bb.2746:
	s_cmp_gt_i32 s1, 6
	s_cbranch_scc0 .LBB214_2748
; %bb.2747:
	s_wait_xcnt 0x0
	v_cndmask_b32_e64 v2, 0, 1, s18
	s_mov_b32 s0, 0
	s_delay_alu instid0(VALU_DEP_1)
	v_cvt_f64_u32_e32 v[2:3], v2
	global_store_b64 v[0:1], v[2:3], off
.LBB214_2748:
	s_and_not1_b32 vcc_lo, exec_lo, s0
	s_cbranch_vccnz .LBB214_2750
; %bb.2749:
	s_wait_xcnt 0x0
	v_cndmask_b32_e64 v2, 0, 1.0, s18
	global_store_b32 v[0:1], v2, off
.LBB214_2750:
	s_mov_b32 s0, 0
.LBB214_2751:
	s_delay_alu instid0(SALU_CYCLE_1)
	s_and_not1_b32 vcc_lo, exec_lo, s0
	s_cbranch_vccnz .LBB214_2753
; %bb.2752:
	s_wait_xcnt 0x0
	v_cndmask_b32_e64 v2, 0, 1.0, s18
	s_delay_alu instid0(VALU_DEP_1)
	v_cvt_f16_f32_e32 v2, v2
	global_store_b16 v[0:1], v2, off
.LBB214_2753:
	s_mov_b32 s0, 0
.LBB214_2754:
	s_delay_alu instid0(SALU_CYCLE_1)
	s_and_not1_b32 vcc_lo, exec_lo, s0
	s_cbranch_vccnz .LBB214_2730
; %bb.2755:
	s_sext_i32_i16 s1, s17
	s_mov_b32 s0, -1
	s_cmp_lt_i32 s1, 2
	s_cbranch_scc1 .LBB214_2765
; %bb.2756:
	s_cmp_lt_i32 s1, 3
	s_cbranch_scc1 .LBB214_2762
; %bb.2757:
	s_cmp_gt_i32 s1, 3
	s_cbranch_scc0 .LBB214_2759
; %bb.2758:
	s_mov_b32 s0, 0
	s_wait_xcnt 0x0
	v_cndmask_b32_e64 v2, 0, 1, s18
	v_mov_b32_e32 v3, s0
	global_store_b64 v[0:1], v[2:3], off
.LBB214_2759:
	s_and_not1_b32 vcc_lo, exec_lo, s0
	s_cbranch_vccnz .LBB214_2761
; %bb.2760:
	s_wait_xcnt 0x0
	v_cndmask_b32_e64 v2, 0, 1, s18
	global_store_b32 v[0:1], v2, off
.LBB214_2761:
	s_mov_b32 s0, 0
.LBB214_2762:
	s_delay_alu instid0(SALU_CYCLE_1)
	s_and_not1_b32 vcc_lo, exec_lo, s0
	s_cbranch_vccnz .LBB214_2764
; %bb.2763:
	s_wait_xcnt 0x0
	v_cndmask_b32_e64 v2, 0, 1, s18
	global_store_b16 v[0:1], v2, off
.LBB214_2764:
	s_mov_b32 s0, 0
.LBB214_2765:
	s_delay_alu instid0(SALU_CYCLE_1)
	s_and_not1_b32 vcc_lo, exec_lo, s0
	s_cbranch_vccnz .LBB214_2730
; %bb.2766:
	s_wait_xcnt 0x0
	v_cndmask_b32_e64 v2, 0, 1, s18
	s_sext_i32_i16 s0, s17
	s_delay_alu instid0(SALU_CYCLE_1)
	s_cmp_gt_i32 s0, 0
	s_mov_b32 s0, -1
	s_cbranch_scc0 .LBB214_2768
; %bb.2767:
	s_mov_b32 s0, 0
	global_store_b8 v[0:1], v2, off
.LBB214_2768:
	s_and_not1_b32 vcc_lo, exec_lo, s0
	s_cbranch_vccnz .LBB214_2730
; %bb.2769:
	global_store_b8 v[0:1], v2, off
	s_endpgm
.LBB214_2770:
	s_mov_b32 s2, 0
	s_mov_b32 s0, -1
	s_branch .LBB214_2726
.LBB214_2771:
	s_mov_b32 s7, 0
	s_or_b32 s13, s13, exec_lo
	s_trap 2
	s_cbranch_execz .LBB214_2241
	s_branch .LBB214_2242
.LBB214_2772:
	s_or_b32 s13, s13, exec_lo
	s_trap 2
	s_cbranch_execz .LBB214_2371
	s_branch .LBB214_2372
.LBB214_2773:
	v_bfe_u32 v1, v4, 20, 1
	s_mov_b32 s18, exec_lo
	s_delay_alu instid0(VALU_DEP_1) | instskip(NEXT) | instid1(VALU_DEP_1)
	v_add3_u32 v1, v4, v1, 0x487ffff
                                        ; implicit-def: $vgpr4
	v_lshrrev_b32_e32 v1, 20, v1
	s_and_not1_saveexec_b32 s19, s19
	s_cbranch_execz .LBB214_2323
.LBB214_2774:
	v_add_f32_e32 v1, 0x46000000, v4
	s_and_not1_b32 s18, s18, exec_lo
	s_delay_alu instid0(VALU_DEP_1) | instskip(NEXT) | instid1(VALU_DEP_1)
	v_and_b32_e32 v1, 0xff, v1
	v_cmp_ne_u32_e32 vcc_lo, 0, v1
	s_and_b32 s21, vcc_lo, exec_lo
	s_delay_alu instid0(SALU_CYCLE_1)
	s_or_b32 s18, s18, s21
	s_or_b32 exec_lo, exec_lo, s19
	v_mov_b32_e32 v5, 0
	s_and_saveexec_b32 s19, s18
	s_cbranch_execnz .LBB214_2324
	s_branch .LBB214_2325
.LBB214_2775:
	s_or_b32 s13, s13, exec_lo
	s_trap 2
	s_cbranch_execz .LBB214_2487
	s_branch .LBB214_2488
.LBB214_2776:
	v_bfe_u32 v1, v4, 21, 1
	s_mov_b32 s14, exec_lo
	s_delay_alu instid0(VALU_DEP_1) | instskip(NEXT) | instid1(VALU_DEP_1)
	v_add3_u32 v1, v4, v1, 0x88fffff
                                        ; implicit-def: $vgpr4
	v_lshrrev_b32_e32 v1, 21, v1
	s_and_not1_saveexec_b32 s18, s18
	s_cbranch_execz .LBB214_2336
.LBB214_2777:
	v_add_f32_e32 v1, 0x42800000, v4
	s_and_not1_b32 s14, s14, exec_lo
	s_delay_alu instid0(VALU_DEP_1) | instskip(NEXT) | instid1(VALU_DEP_1)
	v_and_b32_e32 v1, 0xff, v1
	v_cmp_ne_u32_e32 vcc_lo, 0, v1
	s_and_b32 s19, vcc_lo, exec_lo
	s_delay_alu instid0(SALU_CYCLE_1)
	s_or_b32 s14, s14, s19
	s_or_b32 exec_lo, exec_lo, s18
	v_mov_b32_e32 v5, 0
	s_and_saveexec_b32 s18, s14
	s_cbranch_execnz .LBB214_2337
	s_branch .LBB214_2338
.LBB214_2778:
	v_bfe_u32 v1, v4, 20, 1
	s_mov_b32 s12, exec_lo
	s_delay_alu instid0(VALU_DEP_1) | instskip(NEXT) | instid1(VALU_DEP_1)
	v_add3_u32 v1, v4, v1, 0x487ffff
                                        ; implicit-def: $vgpr4
	v_lshrrev_b32_e32 v1, 20, v1
	s_and_not1_saveexec_b32 s14, s14
	s_cbranch_execz .LBB214_2439
.LBB214_2779:
	v_add_f32_e32 v1, 0x46000000, v4
	s_and_not1_b32 s12, s12, exec_lo
	s_delay_alu instid0(VALU_DEP_1) | instskip(NEXT) | instid1(VALU_DEP_1)
	v_and_b32_e32 v1, 0xff, v1
	v_cmp_ne_u32_e32 vcc_lo, 0, v1
	s_and_b32 s18, vcc_lo, exec_lo
	s_delay_alu instid0(SALU_CYCLE_1)
	s_or_b32 s12, s12, s18
	s_or_b32 exec_lo, exec_lo, s14
	v_mov_b32_e32 v5, 0
	s_and_saveexec_b32 s14, s12
	s_cbranch_execnz .LBB214_2440
	s_branch .LBB214_2441
.LBB214_2780:
	s_or_b32 s13, s13, exec_lo
	s_trap 2
	s_cbranch_execz .LBB214_2606
	s_branch .LBB214_2607
.LBB214_2781:
	v_bfe_u32 v1, v4, 21, 1
	s_mov_b32 s11, exec_lo
	s_delay_alu instid0(VALU_DEP_1) | instskip(NEXT) | instid1(VALU_DEP_1)
	v_add3_u32 v1, v4, v1, 0x88fffff
                                        ; implicit-def: $vgpr4
	v_lshrrev_b32_e32 v1, 21, v1
	s_and_not1_saveexec_b32 s12, s12
	s_cbranch_execz .LBB214_2452
.LBB214_2782:
	v_add_f32_e32 v1, 0x42800000, v4
	s_and_not1_b32 s11, s11, exec_lo
	s_delay_alu instid0(VALU_DEP_1) | instskip(NEXT) | instid1(VALU_DEP_1)
	v_and_b32_e32 v1, 0xff, v1
	v_cmp_ne_u32_e32 vcc_lo, 0, v1
	s_and_b32 s14, vcc_lo, exec_lo
	s_delay_alu instid0(SALU_CYCLE_1)
	s_or_b32 s11, s11, s14
	s_or_b32 exec_lo, exec_lo, s12
	v_mov_b32_e32 v5, 0
	s_and_saveexec_b32 s12, s11
	s_cbranch_execnz .LBB214_2453
	s_branch .LBB214_2454
.LBB214_2783:
	v_bfe_u32 v1, v4, 20, 1
	s_mov_b32 s11, exec_lo
	s_delay_alu instid0(VALU_DEP_1) | instskip(NEXT) | instid1(VALU_DEP_1)
	v_add3_u32 v1, v4, v1, 0x487ffff
                                        ; implicit-def: $vgpr4
	v_lshrrev_b32_e32 v1, 20, v1
	s_and_not1_saveexec_b32 s12, s12
	s_cbranch_execz .LBB214_2558
.LBB214_2784:
	v_add_f32_e32 v1, 0x46000000, v4
	s_and_not1_b32 s11, s11, exec_lo
	s_delay_alu instid0(VALU_DEP_1) | instskip(NEXT) | instid1(VALU_DEP_1)
	v_and_b32_e32 v1, 0xff, v1
	v_cmp_ne_u32_e32 vcc_lo, 0, v1
	s_and_b32 s14, vcc_lo, exec_lo
	s_delay_alu instid0(SALU_CYCLE_1)
	s_or_b32 s11, s11, s14
	s_or_b32 exec_lo, exec_lo, s12
	v_mov_b32_e32 v5, 0
	s_and_saveexec_b32 s12, s11
	s_cbranch_execnz .LBB214_2559
	s_branch .LBB214_2560
.LBB214_2785:
	s_mov_b32 s2, 0
	s_or_b32 s13, s13, exec_lo
	s_trap 2
	s_branch .LBB214_2724
.LBB214_2786:
	v_bfe_u32 v1, v4, 21, 1
	s_mov_b32 s10, exec_lo
	s_delay_alu instid0(VALU_DEP_1) | instskip(NEXT) | instid1(VALU_DEP_1)
	v_add3_u32 v1, v4, v1, 0x88fffff
                                        ; implicit-def: $vgpr4
	v_lshrrev_b32_e32 v1, 21, v1
	s_and_not1_saveexec_b32 s11, s11
	s_cbranch_execz .LBB214_2571
.LBB214_2787:
	v_add_f32_e32 v1, 0x42800000, v4
	s_and_not1_b32 s10, s10, exec_lo
	s_delay_alu instid0(VALU_DEP_1) | instskip(NEXT) | instid1(VALU_DEP_1)
	v_and_b32_e32 v1, 0xff, v1
	v_cmp_ne_u32_e32 vcc_lo, 0, v1
	s_and_b32 s12, vcc_lo, exec_lo
	s_delay_alu instid0(SALU_CYCLE_1)
	s_or_b32 s10, s10, s12
	s_or_b32 exec_lo, exec_lo, s11
	v_mov_b32_e32 v5, 0
	s_and_saveexec_b32 s11, s10
	s_cbranch_execnz .LBB214_2572
	s_branch .LBB214_2573
.LBB214_2788:
	v_bfe_u32 v2, v3, 20, 1
	s_mov_b32 s4, exec_lo
	s_delay_alu instid0(VALU_DEP_1) | instskip(NEXT) | instid1(VALU_DEP_1)
	v_add3_u32 v2, v3, v2, 0x487ffff
                                        ; implicit-def: $vgpr3
	v_lshrrev_b32_e32 v2, 20, v2
	s_and_not1_saveexec_b32 s5, s5
	s_cbranch_execz .LBB214_2678
.LBB214_2789:
	v_add_f32_e32 v2, 0x46000000, v3
	s_and_not1_b32 s4, s4, exec_lo
	s_delay_alu instid0(VALU_DEP_1) | instskip(NEXT) | instid1(VALU_DEP_1)
	v_and_b32_e32 v2, 0xff, v2
	v_cmp_ne_u32_e32 vcc_lo, 0, v2
	s_and_b32 s6, vcc_lo, exec_lo
	s_delay_alu instid0(SALU_CYCLE_1)
	s_or_b32 s4, s4, s6
	s_or_b32 exec_lo, exec_lo, s5
	v_mov_b32_e32 v4, 0
	s_and_saveexec_b32 s5, s4
	s_cbranch_execnz .LBB214_2679
	s_branch .LBB214_2680
.LBB214_2790:
	v_bfe_u32 v2, v3, 21, 1
	s_mov_b32 s3, exec_lo
	s_delay_alu instid0(VALU_DEP_1) | instskip(NEXT) | instid1(VALU_DEP_1)
	v_add3_u32 v2, v3, v2, 0x88fffff
                                        ; implicit-def: $vgpr3
	v_lshrrev_b32_e32 v2, 21, v2
	s_and_not1_saveexec_b32 s4, s4
	s_cbranch_execz .LBB214_2690
.LBB214_2791:
	v_add_f32_e32 v2, 0x42800000, v3
	s_and_not1_b32 s3, s3, exec_lo
	s_delay_alu instid0(VALU_DEP_1) | instskip(NEXT) | instid1(VALU_DEP_1)
	v_and_b32_e32 v2, 0xff, v2
	v_cmp_ne_u32_e32 vcc_lo, 0, v2
	s_and_b32 s5, vcc_lo, exec_lo
	s_delay_alu instid0(SALU_CYCLE_1)
	s_or_b32 s3, s3, s5
	s_or_b32 exec_lo, exec_lo, s4
	v_mov_b32_e32 v4, 0
	s_and_saveexec_b32 s4, s3
	s_cbranch_execnz .LBB214_2691
	s_branch .LBB214_2692
	.section	.rodata,"a",@progbits
	.p2align	6, 0x0
	.amdhsa_kernel _ZN2at6native32elementwise_kernel_manual_unrollILi128ELi4EZNS0_15gpu_kernel_implINS0_13BinaryFunctorIbbbNS0_12_GLOBAL__N_116CompareEqFunctorIbEEEEEEvRNS_18TensorIteratorBaseERKT_EUlibE_EEviT1_
		.amdhsa_group_segment_fixed_size 0
		.amdhsa_private_segment_fixed_size 0
		.amdhsa_kernarg_size 56
		.amdhsa_user_sgpr_count 2
		.amdhsa_user_sgpr_dispatch_ptr 0
		.amdhsa_user_sgpr_queue_ptr 0
		.amdhsa_user_sgpr_kernarg_segment_ptr 1
		.amdhsa_user_sgpr_dispatch_id 0
		.amdhsa_user_sgpr_kernarg_preload_length 0
		.amdhsa_user_sgpr_kernarg_preload_offset 0
		.amdhsa_user_sgpr_private_segment_size 0
		.amdhsa_wavefront_size32 1
		.amdhsa_uses_dynamic_stack 0
		.amdhsa_enable_private_segment 0
		.amdhsa_system_sgpr_workgroup_id_x 1
		.amdhsa_system_sgpr_workgroup_id_y 0
		.amdhsa_system_sgpr_workgroup_id_z 0
		.amdhsa_system_sgpr_workgroup_info 0
		.amdhsa_system_vgpr_workitem_id 0
		.amdhsa_next_free_vgpr 12
		.amdhsa_next_free_sgpr 38
		.amdhsa_named_barrier_count 0
		.amdhsa_reserve_vcc 1
		.amdhsa_float_round_mode_32 0
		.amdhsa_float_round_mode_16_64 0
		.amdhsa_float_denorm_mode_32 3
		.amdhsa_float_denorm_mode_16_64 3
		.amdhsa_fp16_overflow 0
		.amdhsa_memory_ordered 1
		.amdhsa_forward_progress 1
		.amdhsa_inst_pref_size 255
		.amdhsa_round_robin_scheduling 0
		.amdhsa_exception_fp_ieee_invalid_op 0
		.amdhsa_exception_fp_denorm_src 0
		.amdhsa_exception_fp_ieee_div_zero 0
		.amdhsa_exception_fp_ieee_overflow 0
		.amdhsa_exception_fp_ieee_underflow 0
		.amdhsa_exception_fp_ieee_inexact 0
		.amdhsa_exception_int_div_zero 0
	.end_amdhsa_kernel
	.section	.text._ZN2at6native32elementwise_kernel_manual_unrollILi128ELi4EZNS0_15gpu_kernel_implINS0_13BinaryFunctorIbbbNS0_12_GLOBAL__N_116CompareEqFunctorIbEEEEEEvRNS_18TensorIteratorBaseERKT_EUlibE_EEviT1_,"axG",@progbits,_ZN2at6native32elementwise_kernel_manual_unrollILi128ELi4EZNS0_15gpu_kernel_implINS0_13BinaryFunctorIbbbNS0_12_GLOBAL__N_116CompareEqFunctorIbEEEEEEvRNS_18TensorIteratorBaseERKT_EUlibE_EEviT1_,comdat
.Lfunc_end214:
	.size	_ZN2at6native32elementwise_kernel_manual_unrollILi128ELi4EZNS0_15gpu_kernel_implINS0_13BinaryFunctorIbbbNS0_12_GLOBAL__N_116CompareEqFunctorIbEEEEEEvRNS_18TensorIteratorBaseERKT_EUlibE_EEviT1_, .Lfunc_end214-_ZN2at6native32elementwise_kernel_manual_unrollILi128ELi4EZNS0_15gpu_kernel_implINS0_13BinaryFunctorIbbbNS0_12_GLOBAL__N_116CompareEqFunctorIbEEEEEEvRNS_18TensorIteratorBaseERKT_EUlibE_EEviT1_
                                        ; -- End function
	.set _ZN2at6native32elementwise_kernel_manual_unrollILi128ELi4EZNS0_15gpu_kernel_implINS0_13BinaryFunctorIbbbNS0_12_GLOBAL__N_116CompareEqFunctorIbEEEEEEvRNS_18TensorIteratorBaseERKT_EUlibE_EEviT1_.num_vgpr, 12
	.set _ZN2at6native32elementwise_kernel_manual_unrollILi128ELi4EZNS0_15gpu_kernel_implINS0_13BinaryFunctorIbbbNS0_12_GLOBAL__N_116CompareEqFunctorIbEEEEEEvRNS_18TensorIteratorBaseERKT_EUlibE_EEviT1_.num_agpr, 0
	.set _ZN2at6native32elementwise_kernel_manual_unrollILi128ELi4EZNS0_15gpu_kernel_implINS0_13BinaryFunctorIbbbNS0_12_GLOBAL__N_116CompareEqFunctorIbEEEEEEvRNS_18TensorIteratorBaseERKT_EUlibE_EEviT1_.numbered_sgpr, 38
	.set _ZN2at6native32elementwise_kernel_manual_unrollILi128ELi4EZNS0_15gpu_kernel_implINS0_13BinaryFunctorIbbbNS0_12_GLOBAL__N_116CompareEqFunctorIbEEEEEEvRNS_18TensorIteratorBaseERKT_EUlibE_EEviT1_.num_named_barrier, 0
	.set _ZN2at6native32elementwise_kernel_manual_unrollILi128ELi4EZNS0_15gpu_kernel_implINS0_13BinaryFunctorIbbbNS0_12_GLOBAL__N_116CompareEqFunctorIbEEEEEEvRNS_18TensorIteratorBaseERKT_EUlibE_EEviT1_.private_seg_size, 0
	.set _ZN2at6native32elementwise_kernel_manual_unrollILi128ELi4EZNS0_15gpu_kernel_implINS0_13BinaryFunctorIbbbNS0_12_GLOBAL__N_116CompareEqFunctorIbEEEEEEvRNS_18TensorIteratorBaseERKT_EUlibE_EEviT1_.uses_vcc, 1
	.set _ZN2at6native32elementwise_kernel_manual_unrollILi128ELi4EZNS0_15gpu_kernel_implINS0_13BinaryFunctorIbbbNS0_12_GLOBAL__N_116CompareEqFunctorIbEEEEEEvRNS_18TensorIteratorBaseERKT_EUlibE_EEviT1_.uses_flat_scratch, 0
	.set _ZN2at6native32elementwise_kernel_manual_unrollILi128ELi4EZNS0_15gpu_kernel_implINS0_13BinaryFunctorIbbbNS0_12_GLOBAL__N_116CompareEqFunctorIbEEEEEEvRNS_18TensorIteratorBaseERKT_EUlibE_EEviT1_.has_dyn_sized_stack, 0
	.set _ZN2at6native32elementwise_kernel_manual_unrollILi128ELi4EZNS0_15gpu_kernel_implINS0_13BinaryFunctorIbbbNS0_12_GLOBAL__N_116CompareEqFunctorIbEEEEEEvRNS_18TensorIteratorBaseERKT_EUlibE_EEviT1_.has_recursion, 0
	.set _ZN2at6native32elementwise_kernel_manual_unrollILi128ELi4EZNS0_15gpu_kernel_implINS0_13BinaryFunctorIbbbNS0_12_GLOBAL__N_116CompareEqFunctorIbEEEEEEvRNS_18TensorIteratorBaseERKT_EUlibE_EEviT1_.has_indirect_call, 0
	.section	.AMDGPU.csdata,"",@progbits
; Kernel info:
; codeLenInByte = 44872
; TotalNumSgprs: 40
; NumVgprs: 12
; ScratchSize: 0
; MemoryBound: 1
; FloatMode: 240
; IeeeMode: 1
; LDSByteSize: 0 bytes/workgroup (compile time only)
; SGPRBlocks: 0
; VGPRBlocks: 0
; NumSGPRsForWavesPerEU: 40
; NumVGPRsForWavesPerEU: 12
; NamedBarCnt: 0
; Occupancy: 16
; WaveLimiterHint : 0
; COMPUTE_PGM_RSRC2:SCRATCH_EN: 0
; COMPUTE_PGM_RSRC2:USER_SGPR: 2
; COMPUTE_PGM_RSRC2:TRAP_HANDLER: 0
; COMPUTE_PGM_RSRC2:TGID_X_EN: 1
; COMPUTE_PGM_RSRC2:TGID_Y_EN: 0
; COMPUTE_PGM_RSRC2:TGID_Z_EN: 0
; COMPUTE_PGM_RSRC2:TIDIG_COMP_CNT: 0
	.section	.text._ZN2at6native32elementwise_kernel_manual_unrollILi128ELi4EZNS0_15gpu_kernel_implINS0_13BinaryFunctorIbbbNS0_12_GLOBAL__N_116CompareEqFunctorIbEEEEEEvRNS_18TensorIteratorBaseERKT_EUlibE0_EEviT1_,"axG",@progbits,_ZN2at6native32elementwise_kernel_manual_unrollILi128ELi4EZNS0_15gpu_kernel_implINS0_13BinaryFunctorIbbbNS0_12_GLOBAL__N_116CompareEqFunctorIbEEEEEEvRNS_18TensorIteratorBaseERKT_EUlibE0_EEviT1_,comdat
	.globl	_ZN2at6native32elementwise_kernel_manual_unrollILi128ELi4EZNS0_15gpu_kernel_implINS0_13BinaryFunctorIbbbNS0_12_GLOBAL__N_116CompareEqFunctorIbEEEEEEvRNS_18TensorIteratorBaseERKT_EUlibE0_EEviT1_ ; -- Begin function _ZN2at6native32elementwise_kernel_manual_unrollILi128ELi4EZNS0_15gpu_kernel_implINS0_13BinaryFunctorIbbbNS0_12_GLOBAL__N_116CompareEqFunctorIbEEEEEEvRNS_18TensorIteratorBaseERKT_EUlibE0_EEviT1_
	.p2align	8
	.type	_ZN2at6native32elementwise_kernel_manual_unrollILi128ELi4EZNS0_15gpu_kernel_implINS0_13BinaryFunctorIbbbNS0_12_GLOBAL__N_116CompareEqFunctorIbEEEEEEvRNS_18TensorIteratorBaseERKT_EUlibE0_EEviT1_,@function
_ZN2at6native32elementwise_kernel_manual_unrollILi128ELi4EZNS0_15gpu_kernel_implINS0_13BinaryFunctorIbbbNS0_12_GLOBAL__N_116CompareEqFunctorIbEEEEEEvRNS_18TensorIteratorBaseERKT_EUlibE0_EEviT1_: ; @_ZN2at6native32elementwise_kernel_manual_unrollILi128ELi4EZNS0_15gpu_kernel_implINS0_13BinaryFunctorIbbbNS0_12_GLOBAL__N_116CompareEqFunctorIbEEEEEEvRNS_18TensorIteratorBaseERKT_EUlibE0_EEviT1_
; %bb.0:
	s_clause 0x1
	s_load_b32 s28, s[0:1], 0x8
	s_load_b32 s37, s[0:1], 0x0
	s_bfe_u32 s2, ttmp6, 0x4000c
	s_and_b32 s3, ttmp6, 15
	s_add_co_i32 s2, s2, 1
	s_getreg_b32 s4, hwreg(HW_REG_IB_STS2, 6, 4)
	s_mul_i32 s2, ttmp9, s2
	s_mov_b32 s30, 0
	s_add_co_i32 s3, s3, s2
	s_cmp_eq_u32 s4, 0
	s_mov_b32 s43, -1
	s_cselect_b32 s2, ttmp9, s3
	s_mov_b32 s10, 0
	v_lshl_or_b32 v0, s2, 9, v0
	s_add_nc_u64 s[2:3], s[0:1], 8
	s_wait_xcnt 0x0
	s_mov_b32 s0, exec_lo
	s_delay_alu instid0(VALU_DEP_1) | instskip(SKIP_2) | instid1(SALU_CYCLE_1)
	v_or_b32_e32 v1, 0x180, v0
	s_wait_kmcnt 0x0
	s_add_co_i32 s29, s28, -1
	s_cmp_gt_u32 s29, 1
	s_cselect_b32 s31, -1, 0
	v_cmpx_le_i32_e64 s37, v1
	s_xor_b32 s33, exec_lo, s0
	s_cbranch_execz .LBB215_1437
; %bb.1:
	s_clause 0x4
	s_load_b128 s[12:15], s[2:3], 0x4
	s_load_b256 s[4:11], s[2:3], 0x188
	s_load_b64 s[0:1], s[2:3], 0x14
	s_load_b128 s[16:19], s[2:3], 0xc4
	s_load_b64 s[22:23], s[2:3], 0xd4
	s_cmp_lg_u32 s28, 0
	s_mov_b32 s21, 0
	s_cselect_b32 s38, -1, 0
	s_min_u32 s36, s29, 15
	s_cmp_gt_u32 s28, 1
	s_mov_b32 s25, s21
	s_cselect_b32 s35, -1, 0
	s_mov_b32 s41, s21
	s_mov_b32 s40, s21
	;; [unrolled: 1-line block ×3, first 2 shown]
	s_mov_b32 s42, exec_lo
	s_wait_kmcnt 0x0
	s_mov_b32 s20, s13
	s_lshr_b32 s34, s11, 8
	s_lshr_b32 s13, s11, 16
	s_cmp_eq_u32 s10, 0
	s_mov_b32 s24, s0
	s_cselect_b32 s10, -1, 0
	v_cmpx_gt_i32_e64 s37, v0
	s_cbranch_execz .LBB215_355
; %bb.2:
	s_and_not1_b32 vcc_lo, exec_lo, s31
	s_cbranch_vccnz .LBB215_8
; %bb.3:
	s_and_not1_b32 vcc_lo, exec_lo, s38
	s_cbranch_vccnz .LBB215_9
; %bb.4:
	v_dual_mov_b32 v2, 0 :: v_dual_mov_b32 v1, v0
	v_dual_mov_b32 v6, 0 :: v_dual_mov_b32 v4, 0
	s_add_co_i32 s0, s36, 1
	s_mov_b64 s[26:27], 0xffffffffffffffe8
	s_and_b32 s0, s0, 30
	s_add_nc_u64 s[26:27], s[2:3], s[26:27]
.LBB215_5:                              ; =>This Inner Loop Header: Depth=1
	s_clause 0x1
	s_load_b128 s[44:47], s[26:27], 0x1c
	s_load_b64 s[40:41], s[26:27], 0x2c
	s_add_co_i32 s0, s0, -2
	s_delay_alu instid0(SALU_CYCLE_1) | instskip(SKIP_2) | instid1(VALU_DEP_1)
	s_cmp_lg_u32 s0, 0
	s_wait_kmcnt 0x0
	v_mul_hi_u32 v3, s45, v1
	v_add_nc_u32_e32 v3, v1, v3
	s_delay_alu instid0(VALU_DEP_1) | instskip(NEXT) | instid1(VALU_DEP_1)
	v_lshrrev_b32_e32 v3, s46, v3
	v_mul_hi_u32 v5, s40, v3
	v_mul_lo_u32 v7, v3, s44
	s_clause 0x1
	s_load_b128 s[48:51], s[26:27], 0xdc
	s_load_b64 s[44:45], s[26:27], 0xec
	s_wait_xcnt 0x0
	s_add_nc_u64 s[26:27], s[26:27], 24
	s_delay_alu instid0(VALU_DEP_1) | instskip(NEXT) | instid1(VALU_DEP_1)
	v_dual_add_nc_u32 v5, v3, v5 :: v_dual_sub_nc_u32 v7, v1, v7
	v_lshrrev_b32_e32 v1, s41, v5
	s_wait_kmcnt 0x0
	s_delay_alu instid0(VALU_DEP_2) | instskip(NEXT) | instid1(VALU_DEP_2)
	v_mad_u32 v2, v7, s48, v2
	v_mul_lo_u32 v5, v1, s47
	v_mad_u32 v4, v7, s50, v4
	v_mad_u32 v6, v7, s49, v6
	s_delay_alu instid0(VALU_DEP_3) | instskip(NEXT) | instid1(VALU_DEP_1)
	v_sub_nc_u32_e32 v3, v3, v5
	v_mad_u32 v2, v3, s51, v2
	s_delay_alu instid0(VALU_DEP_4) | instskip(NEXT) | instid1(VALU_DEP_4)
	v_mad_u32 v4, v3, s45, v4
	v_mad_u32 v6, v3, s44, v6
	s_cbranch_scc1 .LBB215_5
; %bb.6:
	s_bitcmp1_b32 s36, 0
	s_cselect_b32 s0, -1, 0
	s_delay_alu instid0(SALU_CYCLE_1)
	s_and_b32 vcc_lo, exec_lo, s0
	s_cbranch_vccnz .LBB215_10
; %bb.7:
	s_clause 0x1
	s_load_b96 s[44:46], s[26:27], 0x1c
	s_load_b96 s[48:50], s[26:27], 0xdc
	s_wait_kmcnt 0x0
	v_mul_hi_u32 v3, s45, v1
	s_delay_alu instid0(VALU_DEP_1) | instskip(NEXT) | instid1(VALU_DEP_1)
	v_add_nc_u32_e32 v3, v1, v3
	v_lshrrev_b32_e32 v3, s46, v3
	s_delay_alu instid0(VALU_DEP_1) | instskip(NEXT) | instid1(VALU_DEP_1)
	v_mul_lo_u32 v3, v3, s44
	v_sub_nc_u32_e32 v1, v1, v3
	s_delay_alu instid0(VALU_DEP_1)
	v_mad_u32 v2, v1, s48, v2
	v_mad_u32 v6, v1, s49, v6
	;; [unrolled: 1-line block ×3, first 2 shown]
	s_cbranch_execz .LBB215_11
	s_branch .LBB215_13
.LBB215_8:
                                        ; implicit-def: $vgpr4
                                        ; implicit-def: $vgpr6
                                        ; implicit-def: $vgpr2
	s_branch .LBB215_11
.LBB215_9:
	v_dual_mov_b32 v4, 0 :: v_dual_mov_b32 v6, 0
	v_mov_b32_e32 v2, 0
.LBB215_10:
	s_cbranch_execnz .LBB215_13
.LBB215_11:
	v_mov_b32_e32 v1, 0
	s_and_not1_b32 vcc_lo, exec_lo, s35
	s_delay_alu instid0(VALU_DEP_1) | instskip(NEXT) | instid1(VALU_DEP_1)
	v_mul_u64_e32 v[2:3], s[20:21], v[0:1]
	v_add_nc_u32_e32 v2, v0, v3
	s_delay_alu instid0(VALU_DEP_1) | instskip(NEXT) | instid1(VALU_DEP_1)
	v_lshrrev_b32_e32 v8, s14, v2
	v_mul_lo_u32 v2, v8, s12
	s_delay_alu instid0(VALU_DEP_1) | instskip(NEXT) | instid1(VALU_DEP_1)
	v_sub_nc_u32_e32 v3, v0, v2
	v_mul_lo_u32 v2, v3, s16
	v_mul_lo_u32 v4, v3, s18
	v_mul_lo_u32 v6, v3, s17
	s_cbranch_vccnz .LBB215_13
; %bb.12:
	v_mov_b32_e32 v9, v1
	s_delay_alu instid0(VALU_DEP_1) | instskip(NEXT) | instid1(VALU_DEP_1)
	v_mul_u64_e32 v[10:11], s[24:25], v[8:9]
	v_add_nc_u32_e32 v1, v8, v11
	s_delay_alu instid0(VALU_DEP_1) | instskip(NEXT) | instid1(VALU_DEP_1)
	v_lshrrev_b32_e32 v1, s1, v1
	v_mul_lo_u32 v1, v1, s15
	s_delay_alu instid0(VALU_DEP_1) | instskip(NEXT) | instid1(VALU_DEP_1)
	v_sub_nc_u32_e32 v1, v8, v1
	v_mad_u32 v2, v1, s19, v2
	v_mad_u32 v6, v1, s22, v6
	;; [unrolled: 1-line block ×3, first 2 shown]
.LBB215_13:
	v_mov_b32_e32 v7, 0
	s_and_b32 s0, s34, 0xff
	s_delay_alu instid0(SALU_CYCLE_1) | instskip(NEXT) | instid1(VALU_DEP_1)
	s_cmp_lt_i32 s0, 11
	v_add_nc_u64_e32 v[6:7], s[6:7], v[6:7]
	s_cbranch_scc1 .LBB215_20
; %bb.14:
	s_and_b32 s39, 0xffff, s0
	s_delay_alu instid0(SALU_CYCLE_1)
	s_cmp_gt_i32 s39, 25
	s_cbranch_scc0 .LBB215_29
; %bb.15:
	s_cmp_gt_i32 s39, 28
	s_cbranch_scc0 .LBB215_31
; %bb.16:
	s_cmp_gt_i32 s39, 43
	s_cbranch_scc0 .LBB215_33
; %bb.17:
	s_cmp_gt_i32 s39, 45
	s_cbranch_scc0 .LBB215_35
; %bb.18:
	s_cmp_eq_u32 s39, 46
	s_mov_b32 s41, 0
	s_cbranch_scc0 .LBB215_37
; %bb.19:
	global_load_b32 v1, v[6:7], off
	s_mov_b32 s26, 0
	s_mov_b32 s40, -1
	s_wait_loadcnt 0x0
	v_and_b32_e32 v1, 0x7fff7fff, v1
	s_delay_alu instid0(VALU_DEP_1)
	v_cmp_ne_u32_e64 s27, 0, v1
	s_branch .LBB215_39
.LBB215_20:
	s_mov_b32 s26, 0
	s_mov_b32 s40, 0
                                        ; implicit-def: $sgpr27
	s_cbranch_execnz .LBB215_85
.LBB215_21:
	s_and_not1_b32 vcc_lo, exec_lo, s40
	s_cbranch_vccnz .LBB215_132
.LBB215_22:
	v_mov_b32_e32 v5, 0
	s_and_b32 s0, s13, 0xff
	s_delay_alu instid0(SALU_CYCLE_1) | instskip(NEXT) | instid1(VALU_DEP_1)
	s_cmp_lt_i32 s0, 11
	v_add_nc_u64_e32 v[4:5], s[8:9], v[4:5]
	s_cbranch_scc1 .LBB215_30
; %bb.23:
	s_and_b32 s26, 0xffff, s0
	s_delay_alu instid0(SALU_CYCLE_1)
	s_cmp_gt_i32 s26, 25
	s_cbranch_scc0 .LBB215_32
; %bb.24:
	s_cmp_gt_i32 s26, 28
	s_cbranch_scc0 .LBB215_34
; %bb.25:
	;; [unrolled: 3-line block ×4, first 2 shown]
	s_cmp_eq_u32 s26, 46
	s_mov_b32 s43, 0
	s_cbranch_scc0 .LBB215_134
; %bb.28:
	global_load_b32 v1, v[4:5], off
	s_mov_b32 s40, 0
	s_mov_b32 s41, -1
	s_wait_loadcnt 0x0
	v_and_b32_e32 v1, 0x7fff7fff, v1
	s_delay_alu instid0(VALU_DEP_1)
	v_cmp_ne_u32_e64 s39, 0, v1
	s_branch .LBB215_136
.LBB215_29:
	s_mov_b32 s26, 0
	s_mov_b32 s40, 0
                                        ; implicit-def: $sgpr27
	s_cbranch_execnz .LBB215_60
	s_branch .LBB215_84
.LBB215_30:
	s_mov_b32 s40, 0
	s_mov_b32 s41, 0
                                        ; implicit-def: $sgpr39
	s_cbranch_execnz .LBB215_183
	s_branch .LBB215_231
.LBB215_31:
	s_mov_b32 s41, -1
	s_mov_b32 s26, 0
	s_mov_b32 s40, 0
                                        ; implicit-def: $sgpr27
	s_branch .LBB215_47
.LBB215_32:
	s_mov_b32 s43, -1
	s_mov_b32 s40, 0
	s_mov_b32 s41, 0
                                        ; implicit-def: $sgpr39
	s_branch .LBB215_157
.LBB215_33:
	s_mov_b32 s41, -1
	s_mov_b32 s26, 0
	s_mov_b32 s40, 0
                                        ; implicit-def: $sgpr27
	s_branch .LBB215_42
.LBB215_34:
	s_mov_b32 s43, -1
	s_mov_b32 s40, 0
	s_mov_b32 s41, 0
                                        ; implicit-def: $sgpr39
	s_branch .LBB215_144
.LBB215_35:
	s_mov_b32 s41, -1
	s_mov_b32 s26, 0
	s_branch .LBB215_38
.LBB215_36:
	s_mov_b32 s43, -1
	s_mov_b32 s40, 0
	s_mov_b32 s41, 0
                                        ; implicit-def: $sgpr39
	s_branch .LBB215_139
.LBB215_37:
	s_mov_b32 s26, -1
.LBB215_38:
	s_mov_b32 s40, 0
                                        ; implicit-def: $sgpr27
.LBB215_39:
	s_and_b32 vcc_lo, exec_lo, s41
	s_cbranch_vccz .LBB215_41
; %bb.40:
	s_cmp_eq_u32 s39, 44
	s_mov_b32 s26, -1
	s_cselect_b32 s40, -1, 0
	s_or_b32 s27, s27, exec_lo
.LBB215_41:
	s_mov_b32 s41, 0
.LBB215_42:
	s_delay_alu instid0(SALU_CYCLE_1)
	s_and_b32 vcc_lo, exec_lo, s41
	s_cbranch_vccz .LBB215_46
; %bb.43:
	s_cmp_eq_u32 s39, 29
	s_cbranch_scc0 .LBB215_45
; %bb.44:
	global_load_b64 v[8:9], v[6:7], off
	s_mov_b32 s40, -1
	s_mov_b32 s26, 0
	s_mov_b32 s41, 0
	s_wait_loadcnt 0x0
	v_cmp_ne_u64_e64 s27, 0, v[8:9]
	s_branch .LBB215_47
.LBB215_45:
	s_mov_b32 s26, -1
                                        ; implicit-def: $sgpr27
.LBB215_46:
	s_mov_b32 s41, 0
.LBB215_47:
	s_delay_alu instid0(SALU_CYCLE_1)
	s_and_b32 vcc_lo, exec_lo, s41
	s_cbranch_vccz .LBB215_59
; %bb.48:
	s_cmp_lt_i32 s39, 27
	s_cbranch_scc1 .LBB215_51
; %bb.49:
	s_cmp_gt_i32 s39, 27
	s_cbranch_scc0 .LBB215_52
; %bb.50:
	global_load_b32 v1, v[6:7], off
	s_mov_b32 s40, 0
	s_wait_loadcnt 0x0
	v_cmp_ne_u32_e64 s27, 0, v1
	s_branch .LBB215_53
.LBB215_51:
	s_mov_b32 s40, -1
                                        ; implicit-def: $sgpr27
	s_branch .LBB215_56
.LBB215_52:
	s_mov_b32 s40, -1
                                        ; implicit-def: $sgpr27
.LBB215_53:
	s_delay_alu instid0(SALU_CYCLE_1)
	s_and_not1_b32 vcc_lo, exec_lo, s40
	s_cbranch_vccnz .LBB215_55
; %bb.54:
	global_load_u16 v1, v[6:7], off
	s_and_not1_b32 s27, s27, exec_lo
	s_wait_loadcnt 0x0
	v_cmp_ne_u16_e32 vcc_lo, 0, v1
	s_and_b32 s40, vcc_lo, exec_lo
	s_delay_alu instid0(SALU_CYCLE_1)
	s_or_b32 s27, s27, s40
.LBB215_55:
	s_mov_b32 s40, 0
.LBB215_56:
	s_delay_alu instid0(SALU_CYCLE_1)
	s_and_not1_b32 vcc_lo, exec_lo, s40
	s_cbranch_vccnz .LBB215_58
; %bb.57:
	global_load_u8 v1, v[6:7], off
	s_and_not1_b32 s27, s27, exec_lo
	s_wait_loadcnt 0x0
	v_cmp_ne_u16_e32 vcc_lo, 0, v1
	s_and_b32 s40, vcc_lo, exec_lo
	s_delay_alu instid0(SALU_CYCLE_1)
	s_or_b32 s27, s27, s40
.LBB215_58:
	s_mov_b32 s40, -1
.LBB215_59:
	s_branch .LBB215_84
.LBB215_60:
	s_cmp_gt_i32 s39, 22
	s_cbranch_scc0 .LBB215_64
; %bb.61:
	s_cmp_lt_i32 s39, 24
	s_cbranch_scc1 .LBB215_65
; %bb.62:
	s_cmp_gt_i32 s39, 24
	s_cbranch_scc0 .LBB215_66
; %bb.63:
	global_load_u8 v1, v[6:7], off
	s_mov_b32 s40, 0
	s_wait_loadcnt 0x0
	v_cmp_ne_u16_e64 s27, 0, v1
	s_branch .LBB215_67
.LBB215_64:
	s_mov_b32 s41, -1
                                        ; implicit-def: $sgpr27
	s_branch .LBB215_73
.LBB215_65:
	s_mov_b32 s40, -1
                                        ; implicit-def: $sgpr27
	s_branch .LBB215_70
.LBB215_66:
	s_mov_b32 s40, -1
                                        ; implicit-def: $sgpr27
.LBB215_67:
	s_delay_alu instid0(SALU_CYCLE_1)
	s_and_not1_b32 vcc_lo, exec_lo, s40
	s_cbranch_vccnz .LBB215_69
; %bb.68:
	global_load_u8 v1, v[6:7], off
	s_and_not1_b32 s27, s27, exec_lo
	s_wait_loadcnt 0x0
	v_and_b32_e32 v1, 0x7f, v1
	s_delay_alu instid0(VALU_DEP_1) | instskip(SKIP_1) | instid1(SALU_CYCLE_1)
	v_cmp_ne_u16_e32 vcc_lo, 0, v1
	s_and_b32 s40, vcc_lo, exec_lo
	s_or_b32 s27, s27, s40
.LBB215_69:
	s_mov_b32 s40, 0
.LBB215_70:
	s_delay_alu instid0(SALU_CYCLE_1)
	s_and_not1_b32 vcc_lo, exec_lo, s40
	s_cbranch_vccnz .LBB215_72
; %bb.71:
	global_load_u8 v1, v[6:7], off
	s_and_not1_b32 s27, s27, exec_lo
	s_wait_loadcnt 0x0
	v_dual_lshlrev_b32 v3, 25, v1 :: v_dual_lshlrev_b32 v1, 8, v1
	s_delay_alu instid0(VALU_DEP_1) | instskip(NEXT) | instid1(VALU_DEP_2)
	v_cmp_gt_u32_e32 vcc_lo, 0x8000000, v3
	v_and_or_b32 v1, 0x7f00, v1, 0.5
	s_delay_alu instid0(VALU_DEP_1) | instskip(NEXT) | instid1(VALU_DEP_1)
	v_dual_lshrrev_b32 v5, 4, v3 :: v_dual_add_f32 v1, -0.5, v1
	v_or_b32_e32 v5, 0x70000000, v5
	s_delay_alu instid0(VALU_DEP_1) | instskip(NEXT) | instid1(VALU_DEP_1)
	v_mul_f32_e32 v5, 0x7800000, v5
	v_cndmask_b32_e32 v1, v5, v1, vcc_lo
	s_delay_alu instid0(VALU_DEP_1) | instskip(SKIP_1) | instid1(SALU_CYCLE_1)
	v_cmp_neq_f32_e32 vcc_lo, 0, v1
	s_and_b32 s40, vcc_lo, exec_lo
	s_or_b32 s27, s27, s40
.LBB215_72:
	s_mov_b32 s41, 0
	s_mov_b32 s40, -1
.LBB215_73:
	s_and_not1_b32 vcc_lo, exec_lo, s41
	s_cbranch_vccnz .LBB215_84
; %bb.74:
	s_cmp_gt_i32 s39, 14
	s_cbranch_scc0 .LBB215_77
; %bb.75:
	s_cmp_eq_u32 s39, 15
	s_cbranch_scc0 .LBB215_78
; %bb.76:
	global_load_u16 v1, v[6:7], off
	s_mov_b32 s26, 0
	s_mov_b32 s40, -1
	s_wait_loadcnt 0x0
	v_and_b32_e32 v1, 0x7fff, v1
	s_delay_alu instid0(VALU_DEP_1)
	v_cmp_ne_u16_e64 s27, 0, v1
	s_branch .LBB215_79
.LBB215_77:
	s_mov_b32 s41, -1
                                        ; implicit-def: $sgpr27
	s_branch .LBB215_80
.LBB215_78:
	s_mov_b32 s26, -1
                                        ; implicit-def: $sgpr27
.LBB215_79:
	s_mov_b32 s41, 0
.LBB215_80:
	s_delay_alu instid0(SALU_CYCLE_1)
	s_and_b32 vcc_lo, exec_lo, s41
	s_cbranch_vccz .LBB215_84
; %bb.81:
	s_cmp_eq_u32 s39, 11
	s_cbranch_scc0 .LBB215_83
; %bb.82:
	global_load_u8 v1, v[6:7], off
	s_mov_b32 s26, 0
	s_mov_b32 s40, -1
	s_wait_loadcnt 0x0
	v_cmp_ne_u16_e64 s27, 0, v1
	s_branch .LBB215_84
.LBB215_83:
	s_mov_b32 s26, -1
                                        ; implicit-def: $sgpr27
.LBB215_84:
	s_branch .LBB215_21
.LBB215_85:
	s_and_b32 s39, 0xffff, s0
	s_delay_alu instid0(SALU_CYCLE_1)
	s_cmp_lt_i32 s39, 5
	s_cbranch_scc1 .LBB215_90
; %bb.86:
	s_cmp_lt_i32 s39, 8
	s_cbranch_scc1 .LBB215_91
; %bb.87:
	;; [unrolled: 3-line block ×3, first 2 shown]
	s_cmp_gt_i32 s39, 9
	s_cbranch_scc0 .LBB215_93
; %bb.89:
	global_load_b128 v[8:11], v[6:7], off
	s_wait_loadcnt 0x0
	v_cmp_neq_f64_e32 vcc_lo, 0, v[8:9]
	v_cmp_neq_f64_e64 s0, 0, v[10:11]
	s_or_b32 s27, vcc_lo, s0
	s_mov_b32 s0, 0
	s_branch .LBB215_94
.LBB215_90:
                                        ; implicit-def: $sgpr27
	s_branch .LBB215_112
.LBB215_91:
	s_mov_b32 s0, -1
                                        ; implicit-def: $sgpr27
	s_branch .LBB215_100
.LBB215_92:
	s_mov_b32 s0, -1
                                        ; implicit-def: $sgpr27
	s_branch .LBB215_97
.LBB215_93:
	s_mov_b32 s0, -1
                                        ; implicit-def: $sgpr27
.LBB215_94:
	s_delay_alu instid0(SALU_CYCLE_1)
	s_and_not1_b32 vcc_lo, exec_lo, s0
	s_cbranch_vccnz .LBB215_96
; %bb.95:
	global_load_b64 v[8:9], v[6:7], off
	s_and_not1_b32 s0, s27, exec_lo
	s_wait_loadcnt 0x0
	v_bitop3_b32 v1, v8, 0x7fffffff, v9 bitop3:0xc8
	s_delay_alu instid0(VALU_DEP_1) | instskip(SKIP_1) | instid1(SALU_CYCLE_1)
	v_cmp_ne_u32_e32 vcc_lo, 0, v1
	s_and_b32 s27, vcc_lo, exec_lo
	s_or_b32 s27, s0, s27
.LBB215_96:
	s_mov_b32 s0, 0
.LBB215_97:
	s_delay_alu instid0(SALU_CYCLE_1)
	s_and_not1_b32 vcc_lo, exec_lo, s0
	s_cbranch_vccnz .LBB215_99
; %bb.98:
	global_load_b32 v1, v[6:7], off
	s_and_not1_b32 s0, s27, exec_lo
	s_wait_loadcnt 0x0
	v_and_b32_e32 v1, 0x7fff7fff, v1
	s_delay_alu instid0(VALU_DEP_1) | instskip(SKIP_1) | instid1(SALU_CYCLE_1)
	v_cmp_ne_u32_e32 vcc_lo, 0, v1
	s_and_b32 s27, vcc_lo, exec_lo
	s_or_b32 s27, s0, s27
.LBB215_99:
	s_mov_b32 s0, 0
.LBB215_100:
	s_delay_alu instid0(SALU_CYCLE_1)
	s_and_not1_b32 vcc_lo, exec_lo, s0
	s_cbranch_vccnz .LBB215_111
; %bb.101:
	s_cmp_lt_i32 s39, 6
	s_cbranch_scc1 .LBB215_104
; %bb.102:
	s_cmp_gt_i32 s39, 6
	s_cbranch_scc0 .LBB215_105
; %bb.103:
	global_load_b64 v[8:9], v[6:7], off
	s_mov_b32 s0, 0
	s_wait_loadcnt 0x0
	v_cmp_neq_f64_e64 s27, 0, v[8:9]
	s_branch .LBB215_106
.LBB215_104:
	s_mov_b32 s0, -1
                                        ; implicit-def: $sgpr27
	s_branch .LBB215_109
.LBB215_105:
	s_mov_b32 s0, -1
                                        ; implicit-def: $sgpr27
.LBB215_106:
	s_delay_alu instid0(SALU_CYCLE_1)
	s_and_not1_b32 vcc_lo, exec_lo, s0
	s_cbranch_vccnz .LBB215_108
; %bb.107:
	global_load_b32 v1, v[6:7], off
	s_and_not1_b32 s0, s27, exec_lo
	s_wait_loadcnt 0x0
	v_cmp_neq_f32_e32 vcc_lo, 0, v1
	s_and_b32 s27, vcc_lo, exec_lo
	s_delay_alu instid0(SALU_CYCLE_1)
	s_or_b32 s27, s0, s27
.LBB215_108:
	s_mov_b32 s0, 0
.LBB215_109:
	s_delay_alu instid0(SALU_CYCLE_1)
	s_and_not1_b32 vcc_lo, exec_lo, s0
	s_cbranch_vccnz .LBB215_111
; %bb.110:
	global_load_u16 v1, v[6:7], off
	s_and_not1_b32 s0, s27, exec_lo
	s_wait_loadcnt 0x0
	v_and_b32_e32 v1, 0x7fff, v1
	s_delay_alu instid0(VALU_DEP_1) | instskip(SKIP_1) | instid1(SALU_CYCLE_1)
	v_cmp_ne_u16_e32 vcc_lo, 0, v1
	s_and_b32 s27, vcc_lo, exec_lo
	s_or_b32 s27, s0, s27
.LBB215_111:
	s_cbranch_execnz .LBB215_131
.LBB215_112:
	s_cmp_lt_i32 s39, 2
	s_cbranch_scc1 .LBB215_116
; %bb.113:
	s_cmp_lt_i32 s39, 3
	s_cbranch_scc1 .LBB215_117
; %bb.114:
	s_cmp_gt_i32 s39, 3
	s_cbranch_scc0 .LBB215_118
; %bb.115:
	global_load_b64 v[8:9], v[6:7], off
	s_mov_b32 s0, 0
	s_wait_loadcnt 0x0
	v_cmp_ne_u64_e64 s27, 0, v[8:9]
	s_branch .LBB215_119
.LBB215_116:
	s_mov_b32 s0, -1
                                        ; implicit-def: $sgpr27
	s_branch .LBB215_125
.LBB215_117:
	s_mov_b32 s0, -1
                                        ; implicit-def: $sgpr27
	s_branch .LBB215_122
.LBB215_118:
	s_mov_b32 s0, -1
                                        ; implicit-def: $sgpr27
.LBB215_119:
	s_delay_alu instid0(SALU_CYCLE_1)
	s_and_not1_b32 vcc_lo, exec_lo, s0
	s_cbranch_vccnz .LBB215_121
; %bb.120:
	global_load_b32 v1, v[6:7], off
	s_and_not1_b32 s0, s27, exec_lo
	s_wait_loadcnt 0x0
	v_cmp_ne_u32_e32 vcc_lo, 0, v1
	s_and_b32 s27, vcc_lo, exec_lo
	s_delay_alu instid0(SALU_CYCLE_1)
	s_or_b32 s27, s0, s27
.LBB215_121:
	s_mov_b32 s0, 0
.LBB215_122:
	s_delay_alu instid0(SALU_CYCLE_1)
	s_and_not1_b32 vcc_lo, exec_lo, s0
	s_cbranch_vccnz .LBB215_124
; %bb.123:
	global_load_u16 v1, v[6:7], off
	s_and_not1_b32 s0, s27, exec_lo
	s_wait_loadcnt 0x0
	v_cmp_ne_u16_e32 vcc_lo, 0, v1
	s_and_b32 s27, vcc_lo, exec_lo
	s_delay_alu instid0(SALU_CYCLE_1)
	s_or_b32 s27, s0, s27
.LBB215_124:
	s_mov_b32 s0, 0
.LBB215_125:
	s_delay_alu instid0(SALU_CYCLE_1)
	s_and_not1_b32 vcc_lo, exec_lo, s0
	s_cbranch_vccnz .LBB215_131
; %bb.126:
	s_cmp_gt_i32 s39, 0
	s_mov_b32 s0, 0
	s_cbranch_scc0 .LBB215_128
; %bb.127:
	global_load_u8 v1, v[6:7], off
	s_wait_loadcnt 0x0
	v_cmp_ne_u16_e64 s27, 0, v1
	s_branch .LBB215_129
.LBB215_128:
	s_mov_b32 s0, -1
                                        ; implicit-def: $sgpr27
.LBB215_129:
	s_delay_alu instid0(SALU_CYCLE_1)
	s_and_not1_b32 vcc_lo, exec_lo, s0
	s_cbranch_vccnz .LBB215_131
; %bb.130:
	global_load_u8 v1, v[6:7], off
	s_and_not1_b32 s0, s27, exec_lo
	s_wait_loadcnt 0x0
	v_cmp_ne_u16_e32 vcc_lo, 0, v1
	s_and_b32 s27, vcc_lo, exec_lo
	s_delay_alu instid0(SALU_CYCLE_1)
	s_or_b32 s27, s0, s27
.LBB215_131:
	s_branch .LBB215_22
.LBB215_132:
	s_mov_b32 s0, 0
	s_mov_b32 s40, 0
	;; [unrolled: 1-line block ×3, first 2 shown]
                                        ; implicit-def: $vgpr0
	s_branch .LBB215_354
.LBB215_133:
	s_mov_b32 s43, -1
	s_mov_b32 s40, 0
	s_branch .LBB215_135
.LBB215_134:
	s_mov_b32 s40, -1
.LBB215_135:
	s_mov_b32 s41, 0
                                        ; implicit-def: $sgpr39
.LBB215_136:
	s_and_b32 vcc_lo, exec_lo, s43
	s_cbranch_vccz .LBB215_138
; %bb.137:
	s_cmp_eq_u32 s26, 44
	s_mov_b32 s40, -1
	s_cselect_b32 s41, -1, 0
	s_or_b32 s39, s39, exec_lo
.LBB215_138:
	s_mov_b32 s43, 0
.LBB215_139:
	s_delay_alu instid0(SALU_CYCLE_1)
	s_and_b32 vcc_lo, exec_lo, s43
	s_cbranch_vccz .LBB215_143
; %bb.140:
	s_cmp_eq_u32 s26, 29
	s_cbranch_scc0 .LBB215_142
; %bb.141:
	global_load_b64 v[6:7], v[4:5], off
	s_mov_b32 s41, -1
	s_mov_b32 s40, 0
	s_mov_b32 s43, 0
	s_wait_loadcnt 0x0
	v_cmp_ne_u64_e64 s39, 0, v[6:7]
	s_branch .LBB215_144
.LBB215_142:
	s_mov_b32 s40, -1
                                        ; implicit-def: $sgpr39
.LBB215_143:
	s_mov_b32 s43, 0
.LBB215_144:
	s_delay_alu instid0(SALU_CYCLE_1)
	s_and_b32 vcc_lo, exec_lo, s43
	s_cbranch_vccz .LBB215_156
; %bb.145:
	s_cmp_lt_i32 s26, 27
	s_cbranch_scc1 .LBB215_148
; %bb.146:
	s_cmp_gt_i32 s26, 27
	s_cbranch_scc0 .LBB215_149
; %bb.147:
	global_load_b32 v1, v[4:5], off
	s_mov_b32 s41, 0
	s_wait_loadcnt 0x0
	v_cmp_ne_u32_e64 s39, 0, v1
	s_branch .LBB215_150
.LBB215_148:
	s_mov_b32 s41, -1
                                        ; implicit-def: $sgpr39
	s_branch .LBB215_153
.LBB215_149:
	s_mov_b32 s41, -1
                                        ; implicit-def: $sgpr39
.LBB215_150:
	s_delay_alu instid0(SALU_CYCLE_1)
	s_and_not1_b32 vcc_lo, exec_lo, s41
	s_cbranch_vccnz .LBB215_152
; %bb.151:
	global_load_u16 v1, v[4:5], off
	s_and_not1_b32 s39, s39, exec_lo
	s_wait_loadcnt 0x0
	v_cmp_ne_u16_e32 vcc_lo, 0, v1
	s_and_b32 s41, vcc_lo, exec_lo
	s_delay_alu instid0(SALU_CYCLE_1)
	s_or_b32 s39, s39, s41
.LBB215_152:
	s_mov_b32 s41, 0
.LBB215_153:
	s_delay_alu instid0(SALU_CYCLE_1)
	s_and_not1_b32 vcc_lo, exec_lo, s41
	s_cbranch_vccnz .LBB215_155
; %bb.154:
	global_load_u8 v1, v[4:5], off
	s_and_not1_b32 s39, s39, exec_lo
	s_wait_loadcnt 0x0
	v_cmp_ne_u16_e32 vcc_lo, 0, v1
	s_and_b32 s41, vcc_lo, exec_lo
	s_delay_alu instid0(SALU_CYCLE_1)
	s_or_b32 s39, s39, s41
.LBB215_155:
	s_mov_b32 s41, -1
.LBB215_156:
	s_mov_b32 s43, 0
.LBB215_157:
	s_delay_alu instid0(SALU_CYCLE_1)
	s_and_b32 vcc_lo, exec_lo, s43
	s_cbranch_vccz .LBB215_182
; %bb.158:
	s_cmp_gt_i32 s26, 22
	s_cbranch_scc0 .LBB215_162
; %bb.159:
	s_cmp_lt_i32 s26, 24
	s_cbranch_scc1 .LBB215_163
; %bb.160:
	s_cmp_gt_i32 s26, 24
	s_cbranch_scc0 .LBB215_164
; %bb.161:
	global_load_u8 v1, v[4:5], off
	s_mov_b32 s41, 0
	s_wait_loadcnt 0x0
	v_cmp_ne_u16_e64 s39, 0, v1
	s_branch .LBB215_165
.LBB215_162:
	s_mov_b32 s43, -1
                                        ; implicit-def: $sgpr39
	s_branch .LBB215_171
.LBB215_163:
	s_mov_b32 s41, -1
                                        ; implicit-def: $sgpr39
	s_branch .LBB215_168
.LBB215_164:
	s_mov_b32 s41, -1
                                        ; implicit-def: $sgpr39
.LBB215_165:
	s_delay_alu instid0(SALU_CYCLE_1)
	s_and_not1_b32 vcc_lo, exec_lo, s41
	s_cbranch_vccnz .LBB215_167
; %bb.166:
	global_load_u8 v1, v[4:5], off
	s_and_not1_b32 s39, s39, exec_lo
	s_wait_loadcnt 0x0
	v_and_b32_e32 v1, 0x7f, v1
	s_delay_alu instid0(VALU_DEP_1) | instskip(SKIP_1) | instid1(SALU_CYCLE_1)
	v_cmp_ne_u16_e32 vcc_lo, 0, v1
	s_and_b32 s41, vcc_lo, exec_lo
	s_or_b32 s39, s39, s41
.LBB215_167:
	s_mov_b32 s41, 0
.LBB215_168:
	s_delay_alu instid0(SALU_CYCLE_1)
	s_and_not1_b32 vcc_lo, exec_lo, s41
	s_cbranch_vccnz .LBB215_170
; %bb.169:
	global_load_u8 v1, v[4:5], off
	s_and_not1_b32 s39, s39, exec_lo
	s_wait_loadcnt 0x0
	v_dual_lshlrev_b32 v3, 25, v1 :: v_dual_lshlrev_b32 v1, 8, v1
	s_delay_alu instid0(VALU_DEP_1) | instskip(NEXT) | instid1(VALU_DEP_2)
	v_cmp_gt_u32_e32 vcc_lo, 0x8000000, v3
	v_and_or_b32 v1, 0x7f00, v1, 0.5
	s_delay_alu instid0(VALU_DEP_1) | instskip(NEXT) | instid1(VALU_DEP_1)
	v_dual_add_f32 v1, -0.5, v1 :: v_dual_lshrrev_b32 v6, 4, v3
	v_or_b32_e32 v6, 0x70000000, v6
	s_delay_alu instid0(VALU_DEP_1) | instskip(NEXT) | instid1(VALU_DEP_1)
	v_mul_f32_e32 v6, 0x7800000, v6
	v_cndmask_b32_e32 v1, v6, v1, vcc_lo
	s_delay_alu instid0(VALU_DEP_1) | instskip(SKIP_1) | instid1(SALU_CYCLE_1)
	v_cmp_neq_f32_e32 vcc_lo, 0, v1
	s_and_b32 s41, vcc_lo, exec_lo
	s_or_b32 s39, s39, s41
.LBB215_170:
	s_mov_b32 s43, 0
	s_mov_b32 s41, -1
.LBB215_171:
	s_and_not1_b32 vcc_lo, exec_lo, s43
	s_cbranch_vccnz .LBB215_182
; %bb.172:
	s_cmp_gt_i32 s26, 14
	s_cbranch_scc0 .LBB215_175
; %bb.173:
	s_cmp_eq_u32 s26, 15
	s_cbranch_scc0 .LBB215_176
; %bb.174:
	global_load_u16 v1, v[4:5], off
	s_mov_b32 s40, 0
	s_mov_b32 s41, -1
	s_wait_loadcnt 0x0
	v_and_b32_e32 v1, 0x7fff, v1
	s_delay_alu instid0(VALU_DEP_1)
	v_cmp_ne_u16_e64 s39, 0, v1
	s_branch .LBB215_177
.LBB215_175:
	s_mov_b32 s43, -1
                                        ; implicit-def: $sgpr39
	s_branch .LBB215_178
.LBB215_176:
	s_mov_b32 s40, -1
                                        ; implicit-def: $sgpr39
.LBB215_177:
	s_mov_b32 s43, 0
.LBB215_178:
	s_delay_alu instid0(SALU_CYCLE_1)
	s_and_b32 vcc_lo, exec_lo, s43
	s_cbranch_vccz .LBB215_182
; %bb.179:
	s_cmp_eq_u32 s26, 11
	s_cbranch_scc0 .LBB215_181
; %bb.180:
	global_load_u8 v1, v[4:5], off
	s_mov_b32 s40, 0
	s_mov_b32 s41, -1
	s_wait_loadcnt 0x0
	v_cmp_ne_u16_e64 s39, 0, v1
	s_branch .LBB215_182
.LBB215_181:
	s_mov_b32 s40, -1
                                        ; implicit-def: $sgpr39
.LBB215_182:
	s_branch .LBB215_231
.LBB215_183:
	s_and_b32 s26, 0xffff, s0
	s_delay_alu instid0(SALU_CYCLE_1)
	s_cmp_lt_i32 s26, 5
	s_cbranch_scc1 .LBB215_188
; %bb.184:
	s_cmp_lt_i32 s26, 8
	s_cbranch_scc1 .LBB215_189
; %bb.185:
	;; [unrolled: 3-line block ×3, first 2 shown]
	s_cmp_gt_i32 s26, 9
	s_cbranch_scc0 .LBB215_191
; %bb.187:
	global_load_b128 v[6:9], v[4:5], off
	s_wait_loadcnt 0x0
	v_cmp_neq_f64_e32 vcc_lo, 0, v[6:7]
	v_cmp_neq_f64_e64 s0, 0, v[8:9]
	s_or_b32 s39, vcc_lo, s0
	s_mov_b32 s0, 0
	s_branch .LBB215_192
.LBB215_188:
	s_mov_b32 s0, -1
                                        ; implicit-def: $sgpr39
	s_branch .LBB215_210
.LBB215_189:
	s_mov_b32 s0, -1
                                        ; implicit-def: $sgpr39
	s_branch .LBB215_198
.LBB215_190:
	s_mov_b32 s0, -1
                                        ; implicit-def: $sgpr39
	s_branch .LBB215_195
.LBB215_191:
	s_mov_b32 s0, -1
                                        ; implicit-def: $sgpr39
.LBB215_192:
	s_delay_alu instid0(SALU_CYCLE_1)
	s_and_not1_b32 vcc_lo, exec_lo, s0
	s_cbranch_vccnz .LBB215_194
; %bb.193:
	global_load_b64 v[6:7], v[4:5], off
	s_and_not1_b32 s0, s39, exec_lo
	s_wait_loadcnt 0x0
	v_bitop3_b32 v1, v6, 0x7fffffff, v7 bitop3:0xc8
	s_delay_alu instid0(VALU_DEP_1) | instskip(SKIP_1) | instid1(SALU_CYCLE_1)
	v_cmp_ne_u32_e32 vcc_lo, 0, v1
	s_and_b32 s39, vcc_lo, exec_lo
	s_or_b32 s39, s0, s39
.LBB215_194:
	s_mov_b32 s0, 0
.LBB215_195:
	s_delay_alu instid0(SALU_CYCLE_1)
	s_and_not1_b32 vcc_lo, exec_lo, s0
	s_cbranch_vccnz .LBB215_197
; %bb.196:
	global_load_b32 v1, v[4:5], off
	s_and_not1_b32 s0, s39, exec_lo
	s_wait_loadcnt 0x0
	v_and_b32_e32 v1, 0x7fff7fff, v1
	s_delay_alu instid0(VALU_DEP_1) | instskip(SKIP_1) | instid1(SALU_CYCLE_1)
	v_cmp_ne_u32_e32 vcc_lo, 0, v1
	s_and_b32 s39, vcc_lo, exec_lo
	s_or_b32 s39, s0, s39
.LBB215_197:
	s_mov_b32 s0, 0
.LBB215_198:
	s_delay_alu instid0(SALU_CYCLE_1)
	s_and_not1_b32 vcc_lo, exec_lo, s0
	s_cbranch_vccnz .LBB215_209
; %bb.199:
	s_cmp_lt_i32 s26, 6
	s_cbranch_scc1 .LBB215_202
; %bb.200:
	s_cmp_gt_i32 s26, 6
	s_cbranch_scc0 .LBB215_203
; %bb.201:
	global_load_b64 v[6:7], v[4:5], off
	s_mov_b32 s0, 0
	s_wait_loadcnt 0x0
	v_cmp_neq_f64_e64 s39, 0, v[6:7]
	s_branch .LBB215_204
.LBB215_202:
	s_mov_b32 s0, -1
                                        ; implicit-def: $sgpr39
	s_branch .LBB215_207
.LBB215_203:
	s_mov_b32 s0, -1
                                        ; implicit-def: $sgpr39
.LBB215_204:
	s_delay_alu instid0(SALU_CYCLE_1)
	s_and_not1_b32 vcc_lo, exec_lo, s0
	s_cbranch_vccnz .LBB215_206
; %bb.205:
	global_load_b32 v1, v[4:5], off
	s_and_not1_b32 s0, s39, exec_lo
	s_wait_loadcnt 0x0
	v_cmp_neq_f32_e32 vcc_lo, 0, v1
	s_and_b32 s39, vcc_lo, exec_lo
	s_delay_alu instid0(SALU_CYCLE_1)
	s_or_b32 s39, s0, s39
.LBB215_206:
	s_mov_b32 s0, 0
.LBB215_207:
	s_delay_alu instid0(SALU_CYCLE_1)
	s_and_not1_b32 vcc_lo, exec_lo, s0
	s_cbranch_vccnz .LBB215_209
; %bb.208:
	global_load_u16 v1, v[4:5], off
	s_and_not1_b32 s0, s39, exec_lo
	s_wait_loadcnt 0x0
	v_and_b32_e32 v1, 0x7fff, v1
	s_delay_alu instid0(VALU_DEP_1) | instskip(SKIP_1) | instid1(SALU_CYCLE_1)
	v_cmp_ne_u16_e32 vcc_lo, 0, v1
	s_and_b32 s39, vcc_lo, exec_lo
	s_or_b32 s39, s0, s39
.LBB215_209:
	s_mov_b32 s0, 0
.LBB215_210:
	s_delay_alu instid0(SALU_CYCLE_1)
	s_and_not1_b32 vcc_lo, exec_lo, s0
	s_cbranch_vccnz .LBB215_230
; %bb.211:
	s_cmp_lt_i32 s26, 2
	s_cbranch_scc1 .LBB215_215
; %bb.212:
	s_cmp_lt_i32 s26, 3
	s_cbranch_scc1 .LBB215_216
; %bb.213:
	s_cmp_gt_i32 s26, 3
	s_cbranch_scc0 .LBB215_217
; %bb.214:
	global_load_b64 v[6:7], v[4:5], off
	s_mov_b32 s0, 0
	s_wait_loadcnt 0x0
	v_cmp_ne_u64_e64 s39, 0, v[6:7]
	s_branch .LBB215_218
.LBB215_215:
	s_mov_b32 s0, -1
                                        ; implicit-def: $sgpr39
	s_branch .LBB215_224
.LBB215_216:
	s_mov_b32 s0, -1
                                        ; implicit-def: $sgpr39
	s_branch .LBB215_221
.LBB215_217:
	s_mov_b32 s0, -1
                                        ; implicit-def: $sgpr39
.LBB215_218:
	s_delay_alu instid0(SALU_CYCLE_1)
	s_and_not1_b32 vcc_lo, exec_lo, s0
	s_cbranch_vccnz .LBB215_220
; %bb.219:
	global_load_b32 v1, v[4:5], off
	s_and_not1_b32 s0, s39, exec_lo
	s_wait_loadcnt 0x0
	v_cmp_ne_u32_e32 vcc_lo, 0, v1
	s_and_b32 s39, vcc_lo, exec_lo
	s_delay_alu instid0(SALU_CYCLE_1)
	s_or_b32 s39, s0, s39
.LBB215_220:
	s_mov_b32 s0, 0
.LBB215_221:
	s_delay_alu instid0(SALU_CYCLE_1)
	s_and_not1_b32 vcc_lo, exec_lo, s0
	s_cbranch_vccnz .LBB215_223
; %bb.222:
	global_load_u16 v1, v[4:5], off
	s_and_not1_b32 s0, s39, exec_lo
	s_wait_loadcnt 0x0
	v_cmp_ne_u16_e32 vcc_lo, 0, v1
	s_and_b32 s39, vcc_lo, exec_lo
	s_delay_alu instid0(SALU_CYCLE_1)
	s_or_b32 s39, s0, s39
.LBB215_223:
	s_mov_b32 s0, 0
.LBB215_224:
	s_delay_alu instid0(SALU_CYCLE_1)
	s_and_not1_b32 vcc_lo, exec_lo, s0
	s_cbranch_vccnz .LBB215_230
; %bb.225:
	s_cmp_gt_i32 s26, 0
	s_mov_b32 s0, 0
	s_cbranch_scc0 .LBB215_227
; %bb.226:
	global_load_u8 v1, v[4:5], off
	s_wait_loadcnt 0x0
	v_cmp_ne_u16_e64 s39, 0, v1
	s_branch .LBB215_228
.LBB215_227:
	s_mov_b32 s0, -1
                                        ; implicit-def: $sgpr39
.LBB215_228:
	s_delay_alu instid0(SALU_CYCLE_1)
	s_and_not1_b32 vcc_lo, exec_lo, s0
	s_cbranch_vccnz .LBB215_230
; %bb.229:
	global_load_u8 v1, v[4:5], off
	s_and_not1_b32 s0, s39, exec_lo
	s_wait_loadcnt 0x0
	v_cmp_ne_u16_e32 vcc_lo, 0, v1
	s_and_b32 s26, vcc_lo, exec_lo
	s_delay_alu instid0(SALU_CYCLE_1)
	s_or_b32 s39, s0, s26
.LBB215_230:
	s_mov_b32 s41, -1
.LBB215_231:
	s_mov_b32 s26, 0
	s_and_not1_b32 vcc_lo, exec_lo, s41
	s_mov_b32 s0, 0
	s_mov_b32 s43, 0
	s_cbranch_vccnz .LBB215_354
; %bb.232:
	v_mov_b32_e32 v3, 0
	s_delay_alu instid0(VALU_DEP_2)
	s_xor_b32 s0, s27, s39
	s_and_b32 s39, s11, 0xff
	s_xor_b32 s27, s10, s0
	s_cmp_lt_i32 s39, 11
	v_add_nc_u64_e32 v[2:3], s[4:5], v[2:3]
	s_cbranch_scc1 .LBB215_239
; %bb.233:
	s_and_b32 s40, 0xffff, s39
	s_delay_alu instid0(SALU_CYCLE_1)
	s_cmp_gt_i32 s40, 25
	s_cbranch_scc0 .LBB215_240
; %bb.234:
	s_cmp_gt_i32 s40, 28
	s_cbranch_scc0 .LBB215_241
; %bb.235:
	;; [unrolled: 3-line block ×4, first 2 shown]
	s_mov_b32 s0, -1
	s_cmp_eq_u32 s40, 46
	s_mov_b32 s41, 0
	s_cbranch_scc0 .LBB215_244
; %bb.238:
	v_cndmask_b32_e64 v1, 0, 1.0, s27
	s_mov_b32 s41, -1
	s_mov_b32 s0, 0
	s_delay_alu instid0(VALU_DEP_1) | instskip(NEXT) | instid1(VALU_DEP_1)
	v_bfe_u32 v4, v1, 16, 1
	v_add3_u32 v1, v1, v4, 0x7fff
	s_delay_alu instid0(VALU_DEP_1)
	v_lshrrev_b32_e32 v1, 16, v1
	global_store_b32 v[2:3], v1, off
	s_branch .LBB215_244
.LBB215_239:
	s_mov_b32 s40, -1
	s_mov_b32 s0, 0
	s_mov_b32 s41, 0
	s_branch .LBB215_313
.LBB215_240:
	s_mov_b32 s43, -1
	s_mov_b32 s0, 0
	s_mov_b32 s41, 0
	s_branch .LBB215_271
.LBB215_241:
	s_mov_b32 s43, -1
	s_mov_b32 s0, 0
	s_mov_b32 s41, 0
	s_branch .LBB215_254
.LBB215_242:
	s_mov_b32 s43, -1
	s_mov_b32 s0, 0
	s_mov_b32 s41, 0
	s_branch .LBB215_250
.LBB215_243:
	s_mov_b32 s43, -1
	s_mov_b32 s0, 0
	s_mov_b32 s41, 0
.LBB215_244:
	s_and_b32 vcc_lo, exec_lo, s43
	s_cbranch_vccz .LBB215_249
; %bb.245:
	s_cmp_eq_u32 s40, 44
	s_mov_b32 s0, -1
	s_cbranch_scc0 .LBB215_249
; %bb.246:
	v_cndmask_b32_e64 v5, 0, 1.0, s27
	s_mov_b32 s41, exec_lo
	s_wait_xcnt 0x0
	s_delay_alu instid0(VALU_DEP_1) | instskip(NEXT) | instid1(VALU_DEP_1)
	v_dual_mov_b32 v4, 0xff :: v_dual_lshrrev_b32 v1, 23, v5
	v_cmpx_ne_u32_e32 0xff, v1
; %bb.247:
	v_and_b32_e32 v4, 0x400000, v5
	v_and_or_b32 v5, 0x3fffff, v5, v1
	s_delay_alu instid0(VALU_DEP_2) | instskip(NEXT) | instid1(VALU_DEP_2)
	v_cmp_ne_u32_e32 vcc_lo, 0, v4
	v_cmp_ne_u32_e64 s0, 0, v5
	s_and_b32 s0, vcc_lo, s0
	s_delay_alu instid0(SALU_CYCLE_1) | instskip(NEXT) | instid1(VALU_DEP_1)
	v_cndmask_b32_e64 v4, 0, 1, s0
	v_add_nc_u32_e32 v4, v1, v4
; %bb.248:
	s_or_b32 exec_lo, exec_lo, s41
	s_mov_b32 s41, -1
	s_mov_b32 s0, 0
	global_store_b8 v[2:3], v4, off
.LBB215_249:
	s_mov_b32 s43, 0
.LBB215_250:
	s_delay_alu instid0(SALU_CYCLE_1)
	s_and_b32 vcc_lo, exec_lo, s43
	s_cbranch_vccz .LBB215_253
; %bb.251:
	s_cmp_eq_u32 s40, 29
	s_mov_b32 s0, -1
	s_cbranch_scc0 .LBB215_253
; %bb.252:
	s_mov_b32 s0, 0
	s_wait_xcnt 0x0
	v_cndmask_b32_e64 v4, 0, 1, s27
	v_mov_b32_e32 v5, s0
	s_mov_b32 s41, -1
	s_mov_b32 s43, 0
	global_store_b64 v[2:3], v[4:5], off
	s_branch .LBB215_254
.LBB215_253:
	s_mov_b32 s43, 0
.LBB215_254:
	s_delay_alu instid0(SALU_CYCLE_1)
	s_and_b32 vcc_lo, exec_lo, s43
	s_cbranch_vccz .LBB215_270
; %bb.255:
	s_cmp_lt_i32 s40, 27
	s_mov_b32 s41, -1
	s_cbranch_scc1 .LBB215_261
; %bb.256:
	s_cmp_gt_i32 s40, 27
	s_cbranch_scc0 .LBB215_258
; %bb.257:
	s_wait_xcnt 0x0
	v_cndmask_b32_e64 v1, 0, 1, s27
	s_mov_b32 s41, 0
	global_store_b32 v[2:3], v1, off
.LBB215_258:
	s_and_not1_b32 vcc_lo, exec_lo, s41
	s_cbranch_vccnz .LBB215_260
; %bb.259:
	s_wait_xcnt 0x0
	v_cndmask_b32_e64 v1, 0, 1, s27
	global_store_b16 v[2:3], v1, off
.LBB215_260:
	s_mov_b32 s41, 0
.LBB215_261:
	s_delay_alu instid0(SALU_CYCLE_1)
	s_and_not1_b32 vcc_lo, exec_lo, s41
	s_cbranch_vccnz .LBB215_269
; %bb.262:
	s_wait_xcnt 0x0
	v_cndmask_b32_e64 v4, 0, 1.0, s27
	v_mov_b32_e32 v5, 0x80
	s_mov_b32 s41, exec_lo
	s_delay_alu instid0(VALU_DEP_2)
	v_cmpx_gt_u32_e32 0x43800000, v4
	s_cbranch_execz .LBB215_268
; %bb.263:
	s_mov_b32 s43, 0
	s_mov_b32 s44, exec_lo
                                        ; implicit-def: $vgpr1
	v_cmpx_lt_u32_e32 0x3bffffff, v4
	s_xor_b32 s44, exec_lo, s44
	s_cbranch_execnz .LBB215_494
; %bb.264:
	s_and_not1_saveexec_b32 s44, s44
	s_cbranch_execnz .LBB215_495
.LBB215_265:
	s_or_b32 exec_lo, exec_lo, s44
	v_mov_b32_e32 v5, 0
	s_and_saveexec_b32 s44, s43
.LBB215_266:
	v_mov_b32_e32 v5, v1
.LBB215_267:
	s_or_b32 exec_lo, exec_lo, s44
.LBB215_268:
	s_delay_alu instid0(SALU_CYCLE_1)
	s_or_b32 exec_lo, exec_lo, s41
	global_store_b8 v[2:3], v5, off
.LBB215_269:
	s_mov_b32 s41, -1
.LBB215_270:
	s_mov_b32 s43, 0
.LBB215_271:
	s_delay_alu instid0(SALU_CYCLE_1)
	s_and_b32 vcc_lo, exec_lo, s43
	s_cbranch_vccz .LBB215_312
; %bb.272:
	s_cmp_gt_i32 s40, 22
	s_mov_b32 s43, -1
	s_cbranch_scc0 .LBB215_304
; %bb.273:
	s_cmp_lt_i32 s40, 24
	s_mov_b32 s41, -1
	s_cbranch_scc1 .LBB215_293
; %bb.274:
	s_cmp_gt_i32 s40, 24
	s_cbranch_scc0 .LBB215_282
; %bb.275:
	s_wait_xcnt 0x0
	v_cndmask_b32_e64 v4, 0, 1.0, s27
	v_mov_b32_e32 v5, 0x80
	s_mov_b32 s41, exec_lo
	s_delay_alu instid0(VALU_DEP_2)
	v_cmpx_gt_u32_e32 0x47800000, v4
	s_cbranch_execz .LBB215_281
; %bb.276:
	s_mov_b32 s43, 0
	s_mov_b32 s44, exec_lo
                                        ; implicit-def: $vgpr1
	v_cmpx_lt_u32_e32 0x37ffffff, v4
	s_xor_b32 s44, exec_lo, s44
	s_cbranch_execnz .LBB215_856
; %bb.277:
	s_and_not1_saveexec_b32 s44, s44
	s_cbranch_execnz .LBB215_857
.LBB215_278:
	s_or_b32 exec_lo, exec_lo, s44
	v_mov_b32_e32 v5, 0
	s_and_saveexec_b32 s44, s43
.LBB215_279:
	v_mov_b32_e32 v5, v1
.LBB215_280:
	s_or_b32 exec_lo, exec_lo, s44
.LBB215_281:
	s_delay_alu instid0(SALU_CYCLE_1)
	s_or_b32 exec_lo, exec_lo, s41
	s_mov_b32 s41, 0
	global_store_b8 v[2:3], v5, off
.LBB215_282:
	s_and_b32 vcc_lo, exec_lo, s41
	s_cbranch_vccz .LBB215_292
; %bb.283:
	s_wait_xcnt 0x0
	v_cndmask_b32_e64 v4, 0, 1.0, s27
	s_mov_b32 s41, exec_lo
                                        ; implicit-def: $vgpr1
	s_delay_alu instid0(VALU_DEP_1)
	v_cmpx_gt_u32_e32 0x43f00000, v4
	s_xor_b32 s41, exec_lo, s41
	s_cbranch_execz .LBB215_289
; %bb.284:
	s_mov_b32 s43, exec_lo
                                        ; implicit-def: $vgpr1
	v_cmpx_lt_u32_e32 0x3c7fffff, v4
	s_xor_b32 s43, exec_lo, s43
; %bb.285:
	v_bfe_u32 v1, v4, 20, 1
	s_delay_alu instid0(VALU_DEP_1) | instskip(NEXT) | instid1(VALU_DEP_1)
	v_add3_u32 v1, v4, v1, 0x407ffff
	v_and_b32_e32 v4, 0xff00000, v1
	v_lshrrev_b32_e32 v1, 20, v1
	s_delay_alu instid0(VALU_DEP_2) | instskip(NEXT) | instid1(VALU_DEP_2)
	v_cmp_ne_u32_e32 vcc_lo, 0x7f00000, v4
                                        ; implicit-def: $vgpr4
	v_cndmask_b32_e32 v1, 0x7e, v1, vcc_lo
; %bb.286:
	s_and_not1_saveexec_b32 s43, s43
; %bb.287:
	v_add_f32_e32 v1, 0x46800000, v4
; %bb.288:
	s_or_b32 exec_lo, exec_lo, s43
                                        ; implicit-def: $vgpr4
.LBB215_289:
	s_and_not1_saveexec_b32 s41, s41
; %bb.290:
	v_mov_b32_e32 v1, 0x7f
	v_cmp_lt_u32_e32 vcc_lo, 0x7f800000, v4
	s_delay_alu instid0(VALU_DEP_2)
	v_cndmask_b32_e32 v1, 0x7e, v1, vcc_lo
; %bb.291:
	s_or_b32 exec_lo, exec_lo, s41
	global_store_b8 v[2:3], v1, off
.LBB215_292:
	s_mov_b32 s41, 0
.LBB215_293:
	s_delay_alu instid0(SALU_CYCLE_1)
	s_and_not1_b32 vcc_lo, exec_lo, s41
	s_cbranch_vccnz .LBB215_303
; %bb.294:
	s_wait_xcnt 0x0
	v_cndmask_b32_e64 v4, 0, 1.0, s27
	s_mov_b32 s41, exec_lo
                                        ; implicit-def: $vgpr1
	s_delay_alu instid0(VALU_DEP_1)
	v_cmpx_gt_u32_e32 0x47800000, v4
	s_xor_b32 s41, exec_lo, s41
	s_cbranch_execz .LBB215_300
; %bb.295:
	s_mov_b32 s43, exec_lo
                                        ; implicit-def: $vgpr1
	v_cmpx_lt_u32_e32 0x387fffff, v4
	s_xor_b32 s43, exec_lo, s43
; %bb.296:
	v_bfe_u32 v1, v4, 21, 1
	s_delay_alu instid0(VALU_DEP_1) | instskip(NEXT) | instid1(VALU_DEP_1)
	v_add3_u32 v1, v4, v1, 0x80fffff
                                        ; implicit-def: $vgpr4
	v_lshrrev_b32_e32 v1, 21, v1
; %bb.297:
	s_and_not1_saveexec_b32 s43, s43
; %bb.298:
	v_add_f32_e32 v1, 0x43000000, v4
; %bb.299:
	s_or_b32 exec_lo, exec_lo, s43
                                        ; implicit-def: $vgpr4
.LBB215_300:
	s_and_not1_saveexec_b32 s41, s41
; %bb.301:
	v_mov_b32_e32 v1, 0x7f
	v_cmp_lt_u32_e32 vcc_lo, 0x7f800000, v4
	s_delay_alu instid0(VALU_DEP_2)
	v_cndmask_b32_e32 v1, 0x7c, v1, vcc_lo
; %bb.302:
	s_or_b32 exec_lo, exec_lo, s41
	global_store_b8 v[2:3], v1, off
.LBB215_303:
	s_mov_b32 s43, 0
	s_mov_b32 s41, -1
.LBB215_304:
	s_and_not1_b32 vcc_lo, exec_lo, s43
	s_cbranch_vccnz .LBB215_312
; %bb.305:
	s_cmp_gt_i32 s40, 14
	s_mov_b32 s43, -1
	s_cbranch_scc0 .LBB215_309
; %bb.306:
	s_cmp_eq_u32 s40, 15
	s_mov_b32 s0, -1
	s_cbranch_scc0 .LBB215_308
; %bb.307:
	s_wait_xcnt 0x0
	v_cndmask_b32_e64 v1, 0, 1.0, s27
	s_mov_b32 s41, -1
	s_mov_b32 s0, 0
	s_delay_alu instid0(VALU_DEP_1) | instskip(NEXT) | instid1(VALU_DEP_1)
	v_bfe_u32 v4, v1, 16, 1
	v_add3_u32 v1, v1, v4, 0x7fff
	global_store_d16_hi_b16 v[2:3], v1, off
.LBB215_308:
	s_mov_b32 s43, 0
.LBB215_309:
	s_delay_alu instid0(SALU_CYCLE_1)
	s_and_b32 vcc_lo, exec_lo, s43
	s_cbranch_vccz .LBB215_312
; %bb.310:
	s_cmp_eq_u32 s40, 11
	s_mov_b32 s0, -1
	s_cbranch_scc0 .LBB215_312
; %bb.311:
	s_wait_xcnt 0x0
	v_cndmask_b32_e64 v1, 0, 1, s27
	s_mov_b32 s41, -1
	s_mov_b32 s0, 0
	global_store_b8 v[2:3], v1, off
.LBB215_312:
	s_mov_b32 s40, 0
.LBB215_313:
	s_delay_alu instid0(SALU_CYCLE_1)
	s_and_b32 vcc_lo, exec_lo, s40
	s_cbranch_vccz .LBB215_352
; %bb.314:
	s_and_b32 s39, 0xffff, s39
	s_mov_b32 s40, -1
	s_cmp_lt_i32 s39, 5
	s_cbranch_scc1 .LBB215_335
; %bb.315:
	s_cmp_lt_i32 s39, 8
	s_cbranch_scc1 .LBB215_325
; %bb.316:
	;; [unrolled: 3-line block ×3, first 2 shown]
	s_cmp_gt_i32 s39, 9
	s_cbranch_scc0 .LBB215_319
; %bb.318:
	s_wait_xcnt 0x0
	v_cndmask_b32_e64 v1, 0, 1, s27
	v_mov_b32_e32 v6, 0
	s_mov_b32 s40, 0
	s_delay_alu instid0(VALU_DEP_2) | instskip(NEXT) | instid1(VALU_DEP_2)
	v_cvt_f64_u32_e32 v[4:5], v1
	v_mov_b32_e32 v7, v6
	global_store_b128 v[2:3], v[4:7], off
.LBB215_319:
	s_and_not1_b32 vcc_lo, exec_lo, s40
	s_cbranch_vccnz .LBB215_321
; %bb.320:
	s_wait_xcnt 0x0
	v_cndmask_b32_e64 v4, 0, 1.0, s27
	v_mov_b32_e32 v5, 0
	global_store_b64 v[2:3], v[4:5], off
.LBB215_321:
	s_mov_b32 s40, 0
.LBB215_322:
	s_delay_alu instid0(SALU_CYCLE_1)
	s_and_not1_b32 vcc_lo, exec_lo, s40
	s_cbranch_vccnz .LBB215_324
; %bb.323:
	s_wait_xcnt 0x0
	v_cndmask_b32_e64 v1, 0, 1.0, s27
	s_delay_alu instid0(VALU_DEP_1) | instskip(NEXT) | instid1(VALU_DEP_1)
	v_cvt_f16_f32_e32 v1, v1
	v_and_b32_e32 v1, 0xffff, v1
	global_store_b32 v[2:3], v1, off
.LBB215_324:
	s_mov_b32 s40, 0
.LBB215_325:
	s_delay_alu instid0(SALU_CYCLE_1)
	s_and_not1_b32 vcc_lo, exec_lo, s40
	s_cbranch_vccnz .LBB215_334
; %bb.326:
	s_cmp_lt_i32 s39, 6
	s_mov_b32 s40, -1
	s_cbranch_scc1 .LBB215_332
; %bb.327:
	s_cmp_gt_i32 s39, 6
	s_cbranch_scc0 .LBB215_329
; %bb.328:
	s_wait_xcnt 0x0
	v_cndmask_b32_e64 v1, 0, 1, s27
	s_mov_b32 s40, 0
	s_delay_alu instid0(VALU_DEP_1)
	v_cvt_f64_u32_e32 v[4:5], v1
	global_store_b64 v[2:3], v[4:5], off
.LBB215_329:
	s_and_not1_b32 vcc_lo, exec_lo, s40
	s_cbranch_vccnz .LBB215_331
; %bb.330:
	s_wait_xcnt 0x0
	v_cndmask_b32_e64 v1, 0, 1.0, s27
	global_store_b32 v[2:3], v1, off
.LBB215_331:
	s_mov_b32 s40, 0
.LBB215_332:
	s_delay_alu instid0(SALU_CYCLE_1)
	s_and_not1_b32 vcc_lo, exec_lo, s40
	s_cbranch_vccnz .LBB215_334
; %bb.333:
	s_wait_xcnt 0x0
	v_cndmask_b32_e64 v1, 0, 1.0, s27
	s_delay_alu instid0(VALU_DEP_1)
	v_cvt_f16_f32_e32 v1, v1
	global_store_b16 v[2:3], v1, off
.LBB215_334:
	s_mov_b32 s40, 0
.LBB215_335:
	s_delay_alu instid0(SALU_CYCLE_1)
	s_and_not1_b32 vcc_lo, exec_lo, s40
	s_cbranch_vccnz .LBB215_351
; %bb.336:
	s_cmp_lt_i32 s39, 2
	s_mov_b32 s40, -1
	s_cbranch_scc1 .LBB215_346
; %bb.337:
	s_cmp_lt_i32 s39, 3
	s_cbranch_scc1 .LBB215_343
; %bb.338:
	s_cmp_gt_i32 s39, 3
	s_cbranch_scc0 .LBB215_340
; %bb.339:
	s_mov_b32 s40, 0
	s_wait_xcnt 0x0
	v_cndmask_b32_e64 v4, 0, 1, s27
	v_mov_b32_e32 v5, s40
	global_store_b64 v[2:3], v[4:5], off
.LBB215_340:
	s_and_not1_b32 vcc_lo, exec_lo, s40
	s_cbranch_vccnz .LBB215_342
; %bb.341:
	s_wait_xcnt 0x0
	v_cndmask_b32_e64 v1, 0, 1, s27
	global_store_b32 v[2:3], v1, off
.LBB215_342:
	s_mov_b32 s40, 0
.LBB215_343:
	s_delay_alu instid0(SALU_CYCLE_1)
	s_and_not1_b32 vcc_lo, exec_lo, s40
	s_cbranch_vccnz .LBB215_345
; %bb.344:
	s_wait_xcnt 0x0
	v_cndmask_b32_e64 v1, 0, 1, s27
	global_store_b16 v[2:3], v1, off
.LBB215_345:
	s_mov_b32 s40, 0
.LBB215_346:
	s_delay_alu instid0(SALU_CYCLE_1)
	s_and_not1_b32 vcc_lo, exec_lo, s40
	s_cbranch_vccnz .LBB215_351
; %bb.347:
	s_cmp_gt_i32 s39, 0
	s_mov_b32 s39, -1
	s_cbranch_scc0 .LBB215_349
; %bb.348:
	s_wait_xcnt 0x0
	v_cndmask_b32_e64 v1, 0, 1, s27
	s_mov_b32 s39, 0
	global_store_b8 v[2:3], v1, off
.LBB215_349:
	s_and_not1_b32 vcc_lo, exec_lo, s39
	s_cbranch_vccnz .LBB215_351
; %bb.350:
	s_wait_xcnt 0x0
	v_cndmask_b32_e64 v1, 0, 1, s27
	global_store_b8 v[2:3], v1, off
.LBB215_351:
	s_mov_b32 s41, -1
.LBB215_352:
	s_mov_b32 s40, 0
	s_and_not1_b32 vcc_lo, exec_lo, s41
	s_mov_b32 s43, 0
	s_cbranch_vccnz .LBB215_354
; %bb.353:
	v_add_nc_u32_e32 v0, 0x80, v0
	s_mov_b32 s43, -1
.LBB215_354:
	s_and_b32 s39, s0, exec_lo
	s_and_b32 s40, s40, exec_lo
	;; [unrolled: 1-line block ×3, first 2 shown]
	s_or_not1_b32 s43, s43, exec_lo
.LBB215_355:
	s_wait_xcnt 0x0
	s_or_b32 exec_lo, exec_lo, s42
	s_mov_b32 s0, 0
	s_mov_b32 s44, 0
                                        ; implicit-def: $sgpr26
                                        ; implicit-def: $sgpr27
                                        ; implicit-def: $vgpr6_vgpr7
                                        ; implicit-def: $vgpr4
                                        ; implicit-def: $vgpr2
	s_and_saveexec_b32 s42, s43
	s_cbranch_execnz .LBB215_359
; %bb.356:
	s_or_b32 exec_lo, exec_lo, s42
	s_mov_b32 s1, 0
	s_and_saveexec_b32 s6, s41
	s_cbranch_execnz .LBB215_1159
.LBB215_357:
	s_or_b32 exec_lo, exec_lo, s6
	s_and_saveexec_b32 s6, s21
	s_delay_alu instid0(SALU_CYCLE_1)
	s_xor_b32 s6, exec_lo, s6
	s_cbranch_execnz .LBB215_1160
.LBB215_358:
	s_or_b32 exec_lo, exec_lo, s6
	s_and_saveexec_b32 s6, s0
	s_cbranch_execnz .LBB215_1161
	s_branch .LBB215_1206
.LBB215_359:
	s_mov_b32 s0, -1
	s_mov_b32 s43, s41
	s_mov_b32 s45, s40
	;; [unrolled: 1-line block ×3, first 2 shown]
	s_mov_b32 s46, exec_lo
	v_cmpx_gt_i32_e64 s37, v0
	s_cbranch_execz .LBB215_718
; %bb.360:
	s_and_not1_b32 vcc_lo, exec_lo, s31
	s_cbranch_vccnz .LBB215_366
; %bb.361:
	s_and_not1_b32 vcc_lo, exec_lo, s38
	s_cbranch_vccnz .LBB215_367
; %bb.362:
	v_dual_mov_b32 v2, 0 :: v_dual_mov_b32 v1, v0
	v_dual_mov_b32 v6, 0 :: v_dual_mov_b32 v4, 0
	s_add_co_i32 s0, s36, 1
	s_mov_b64 s[26:27], 0xffffffffffffffe8
	s_and_b32 s0, s0, 30
	s_add_nc_u64 s[26:27], s[2:3], s[26:27]
.LBB215_363:                            ; =>This Inner Loop Header: Depth=1
	s_clause 0x1
	s_load_b128 s[48:51], s[26:27], 0x1c
	s_load_b64 s[44:45], s[26:27], 0x2c
	s_add_co_i32 s0, s0, -2
	s_delay_alu instid0(SALU_CYCLE_1) | instskip(SKIP_2) | instid1(VALU_DEP_1)
	s_cmp_eq_u32 s0, 0
	s_wait_kmcnt 0x0
	v_mul_hi_u32 v3, s49, v1
	v_add_nc_u32_e32 v3, v1, v3
	s_delay_alu instid0(VALU_DEP_1) | instskip(NEXT) | instid1(VALU_DEP_1)
	v_lshrrev_b32_e32 v3, s50, v3
	v_mul_hi_u32 v5, s44, v3
	v_mul_lo_u32 v7, v3, s48
	s_clause 0x1
	s_load_b128 s[52:55], s[26:27], 0xdc
	s_load_b64 s[48:49], s[26:27], 0xec
	s_wait_xcnt 0x0
	s_add_nc_u64 s[26:27], s[26:27], 24
	s_delay_alu instid0(VALU_DEP_1) | instskip(NEXT) | instid1(VALU_DEP_1)
	v_dual_add_nc_u32 v5, v3, v5 :: v_dual_sub_nc_u32 v7, v1, v7
	v_lshrrev_b32_e32 v1, s45, v5
	s_wait_kmcnt 0x0
	s_delay_alu instid0(VALU_DEP_2) | instskip(NEXT) | instid1(VALU_DEP_2)
	v_mad_u32 v2, v7, s52, v2
	v_mul_lo_u32 v5, v1, s51
	v_mad_u32 v4, v7, s54, v4
	v_mad_u32 v6, v7, s53, v6
	s_delay_alu instid0(VALU_DEP_3) | instskip(NEXT) | instid1(VALU_DEP_1)
	v_sub_nc_u32_e32 v3, v3, v5
	v_mad_u32 v2, v3, s55, v2
	s_delay_alu instid0(VALU_DEP_4) | instskip(NEXT) | instid1(VALU_DEP_4)
	v_mad_u32 v4, v3, s49, v4
	v_mad_u32 v6, v3, s48, v6
	s_cbranch_scc0 .LBB215_363
; %bb.364:
	s_bitcmp1_b32 s36, 0
	s_cselect_b32 s0, -1, 0
	s_delay_alu instid0(SALU_CYCLE_1)
	s_and_b32 vcc_lo, exec_lo, s0
	s_cbranch_vccnz .LBB215_368
; %bb.365:
	s_clause 0x1
	s_load_b96 s[48:50], s[26:27], 0x1c
	s_load_b96 s[52:54], s[26:27], 0xdc
	s_wait_kmcnt 0x0
	v_mul_hi_u32 v3, s49, v1
	s_delay_alu instid0(VALU_DEP_1) | instskip(NEXT) | instid1(VALU_DEP_1)
	v_add_nc_u32_e32 v3, v1, v3
	v_lshrrev_b32_e32 v3, s50, v3
	s_delay_alu instid0(VALU_DEP_1) | instskip(NEXT) | instid1(VALU_DEP_1)
	v_mul_lo_u32 v3, v3, s48
	v_sub_nc_u32_e32 v1, v1, v3
	s_delay_alu instid0(VALU_DEP_1)
	v_mad_u32 v2, v1, s52, v2
	v_mad_u32 v6, v1, s53, v6
	;; [unrolled: 1-line block ×3, first 2 shown]
	s_branch .LBB215_368
.LBB215_366:
                                        ; implicit-def: $vgpr4
                                        ; implicit-def: $vgpr6
                                        ; implicit-def: $vgpr2
	s_and_not1_b32 vcc_lo, exec_lo, s0
	s_cbranch_vccz .LBB215_369
	s_branch .LBB215_371
.LBB215_367:
	v_dual_mov_b32 v4, 0 :: v_dual_mov_b32 v6, 0
	v_mov_b32_e32 v2, 0
.LBB215_368:
	s_cbranch_execnz .LBB215_371
.LBB215_369:
	v_mov_b32_e32 v1, 0
	s_and_not1_b32 vcc_lo, exec_lo, s35
	s_delay_alu instid0(VALU_DEP_1) | instskip(NEXT) | instid1(VALU_DEP_1)
	v_mul_u64_e32 v[2:3], s[20:21], v[0:1]
	v_add_nc_u32_e32 v2, v0, v3
	s_delay_alu instid0(VALU_DEP_1) | instskip(NEXT) | instid1(VALU_DEP_1)
	v_lshrrev_b32_e32 v8, s14, v2
	v_mul_lo_u32 v2, v8, s12
	s_delay_alu instid0(VALU_DEP_1) | instskip(NEXT) | instid1(VALU_DEP_1)
	v_sub_nc_u32_e32 v3, v0, v2
	v_mul_lo_u32 v2, v3, s16
	v_mul_lo_u32 v4, v3, s18
	;; [unrolled: 1-line block ×3, first 2 shown]
	s_cbranch_vccnz .LBB215_371
; %bb.370:
	v_mov_b32_e32 v9, v1
	s_delay_alu instid0(VALU_DEP_1) | instskip(NEXT) | instid1(VALU_DEP_1)
	v_mul_u64_e32 v[10:11], s[24:25], v[8:9]
	v_add_nc_u32_e32 v1, v8, v11
	s_delay_alu instid0(VALU_DEP_1) | instskip(NEXT) | instid1(VALU_DEP_1)
	v_lshrrev_b32_e32 v1, s1, v1
	v_mul_lo_u32 v1, v1, s15
	s_delay_alu instid0(VALU_DEP_1) | instskip(NEXT) | instid1(VALU_DEP_1)
	v_sub_nc_u32_e32 v1, v8, v1
	v_mad_u32 v2, v1, s19, v2
	v_mad_u32 v6, v1, s22, v6
	;; [unrolled: 1-line block ×3, first 2 shown]
.LBB215_371:
	v_mov_b32_e32 v7, 0
	s_and_b32 s0, s34, 0xff
	s_delay_alu instid0(SALU_CYCLE_1) | instskip(NEXT) | instid1(VALU_DEP_1)
	s_cmp_lt_i32 s0, 11
	v_add_nc_u64_e32 v[6:7], s[6:7], v[6:7]
	s_cbranch_scc1 .LBB215_378
; %bb.372:
	s_and_b32 s43, 0xffff, s0
	s_delay_alu instid0(SALU_CYCLE_1)
	s_cmp_gt_i32 s43, 25
	s_cbranch_scc0 .LBB215_387
; %bb.373:
	s_cmp_gt_i32 s43, 28
	s_cbranch_scc0 .LBB215_389
; %bb.374:
	;; [unrolled: 3-line block ×4, first 2 shown]
	s_cmp_eq_u32 s43, 46
	s_mov_b32 s45, 0
	s_cbranch_scc0 .LBB215_395
; %bb.377:
	global_load_b32 v1, v[6:7], off
	s_mov_b32 s26, 0
	s_mov_b32 s44, -1
	s_wait_loadcnt 0x0
	v_and_b32_e32 v1, 0x7fff7fff, v1
	s_delay_alu instid0(VALU_DEP_1)
	v_cmp_ne_u32_e64 s27, 0, v1
	s_branch .LBB215_397
.LBB215_378:
	s_mov_b32 s44, 0
	s_mov_b32 s26, s41
                                        ; implicit-def: $sgpr27
	s_cbranch_execnz .LBB215_444
.LBB215_379:
	s_and_not1_b32 vcc_lo, exec_lo, s44
	s_cbranch_vccnz .LBB215_492
.LBB215_380:
	v_mov_b32_e32 v5, 0
	s_and_b32 s0, s13, 0xff
	s_delay_alu instid0(SALU_CYCLE_1) | instskip(NEXT) | instid1(VALU_DEP_1)
	s_cmp_lt_i32 s0, 11
	v_add_nc_u64_e32 v[4:5], s[8:9], v[4:5]
	s_cbranch_scc1 .LBB215_388
; %bb.381:
	s_and_b32 s26, 0xffff, s0
	s_delay_alu instid0(SALU_CYCLE_1)
	s_cmp_gt_i32 s26, 25
	s_cbranch_scc0 .LBB215_390
; %bb.382:
	s_cmp_gt_i32 s26, 28
	s_cbranch_scc0 .LBB215_392
; %bb.383:
	;; [unrolled: 3-line block ×4, first 2 shown]
	s_cmp_eq_u32 s26, 46
	s_mov_b32 s47, 0
	s_cbranch_scc0 .LBB215_496
; %bb.386:
	global_load_b32 v1, v[4:5], off
	s_mov_b32 s43, 0
	s_mov_b32 s45, -1
	s_wait_loadcnt 0x0
	v_and_b32_e32 v1, 0x7fff7fff, v1
	s_delay_alu instid0(VALU_DEP_1)
	v_cmp_ne_u32_e64 s44, 0, v1
	s_branch .LBB215_498
.LBB215_387:
	s_mov_b32 s45, -1
	s_mov_b32 s44, 0
	s_mov_b32 s26, s41
                                        ; implicit-def: $sgpr27
	s_branch .LBB215_418
.LBB215_388:
	s_mov_b32 s26, -1
	s_mov_b32 s45, 0
	s_mov_b32 s43, s40
                                        ; implicit-def: $sgpr44
	s_branch .LBB215_545
.LBB215_389:
	s_mov_b32 s45, -1
	s_mov_b32 s44, 0
	s_mov_b32 s26, s41
                                        ; implicit-def: $sgpr27
	s_branch .LBB215_405
.LBB215_390:
	s_mov_b32 s47, -1
	s_mov_b32 s45, 0
	s_mov_b32 s43, s40
                                        ; implicit-def: $sgpr44
	s_branch .LBB215_519
.LBB215_391:
	s_mov_b32 s45, -1
	s_mov_b32 s44, 0
	s_mov_b32 s26, s41
                                        ; implicit-def: $sgpr27
	s_branch .LBB215_400
.LBB215_392:
	s_mov_b32 s47, -1
	s_mov_b32 s45, 0
	s_mov_b32 s43, s40
                                        ; implicit-def: $sgpr44
	s_branch .LBB215_506
.LBB215_393:
	s_mov_b32 s45, -1
	s_mov_b32 s44, 0
	s_mov_b32 s26, s41
	s_branch .LBB215_396
.LBB215_394:
	s_mov_b32 s47, -1
	s_mov_b32 s45, 0
	s_mov_b32 s43, s40
                                        ; implicit-def: $sgpr44
	s_branch .LBB215_501
.LBB215_395:
	s_mov_b32 s26, -1
	s_mov_b32 s44, 0
.LBB215_396:
                                        ; implicit-def: $sgpr27
.LBB215_397:
	s_and_b32 vcc_lo, exec_lo, s45
	s_cbranch_vccz .LBB215_399
; %bb.398:
	s_cmp_eq_u32 s43, 44
	s_cselect_b32 s44, -1, 0
	s_or_b32 s27, s27, exec_lo
	s_or_b32 s26, s26, exec_lo
.LBB215_399:
	s_mov_b32 s45, 0
.LBB215_400:
	s_delay_alu instid0(SALU_CYCLE_1)
	s_and_b32 vcc_lo, exec_lo, s45
	s_cbranch_vccz .LBB215_404
; %bb.401:
	s_cmp_eq_u32 s43, 29
	s_cbranch_scc0 .LBB215_403
; %bb.402:
	global_load_b64 v[8:9], v[6:7], off
	s_mov_b32 s44, -1
	s_mov_b32 s26, 0
	s_mov_b32 s45, 0
	s_wait_loadcnt 0x0
	v_cmp_ne_u64_e64 s27, 0, v[8:9]
	s_branch .LBB215_405
.LBB215_403:
	s_mov_b32 s26, -1
                                        ; implicit-def: $sgpr27
.LBB215_404:
	s_mov_b32 s45, 0
.LBB215_405:
	s_delay_alu instid0(SALU_CYCLE_1)
	s_and_b32 vcc_lo, exec_lo, s45
	s_cbranch_vccz .LBB215_417
; %bb.406:
	s_cmp_lt_i32 s43, 27
	s_cbranch_scc1 .LBB215_409
; %bb.407:
	s_cmp_gt_i32 s43, 27
	s_cbranch_scc0 .LBB215_410
; %bb.408:
	global_load_b32 v1, v[6:7], off
	s_mov_b32 s44, 0
	s_wait_loadcnt 0x0
	v_cmp_ne_u32_e64 s27, 0, v1
	s_branch .LBB215_411
.LBB215_409:
	s_mov_b32 s44, -1
                                        ; implicit-def: $sgpr27
	s_branch .LBB215_414
.LBB215_410:
	s_mov_b32 s44, -1
                                        ; implicit-def: $sgpr27
.LBB215_411:
	s_delay_alu instid0(SALU_CYCLE_1)
	s_and_not1_b32 vcc_lo, exec_lo, s44
	s_cbranch_vccnz .LBB215_413
; %bb.412:
	global_load_u16 v1, v[6:7], off
	s_and_not1_b32 s27, s27, exec_lo
	s_wait_loadcnt 0x0
	v_cmp_ne_u16_e32 vcc_lo, 0, v1
	s_and_b32 s44, vcc_lo, exec_lo
	s_delay_alu instid0(SALU_CYCLE_1)
	s_or_b32 s27, s27, s44
.LBB215_413:
	s_mov_b32 s44, 0
.LBB215_414:
	s_delay_alu instid0(SALU_CYCLE_1)
	s_and_not1_b32 vcc_lo, exec_lo, s44
	s_cbranch_vccnz .LBB215_416
; %bb.415:
	global_load_u8 v1, v[6:7], off
	s_and_not1_b32 s27, s27, exec_lo
	s_wait_loadcnt 0x0
	v_cmp_ne_u16_e32 vcc_lo, 0, v1
	s_and_b32 s44, vcc_lo, exec_lo
	s_delay_alu instid0(SALU_CYCLE_1)
	s_or_b32 s27, s27, s44
.LBB215_416:
	s_mov_b32 s44, -1
.LBB215_417:
	s_mov_b32 s45, 0
.LBB215_418:
	s_delay_alu instid0(SALU_CYCLE_1)
	s_and_b32 vcc_lo, exec_lo, s45
	s_cbranch_vccz .LBB215_443
; %bb.419:
	s_cmp_gt_i32 s43, 22
	s_cbranch_scc0 .LBB215_423
; %bb.420:
	s_cmp_lt_i32 s43, 24
	s_cbranch_scc1 .LBB215_424
; %bb.421:
	s_cmp_gt_i32 s43, 24
	s_cbranch_scc0 .LBB215_425
; %bb.422:
	global_load_u8 v1, v[6:7], off
	s_mov_b32 s44, 0
	s_wait_loadcnt 0x0
	v_cmp_ne_u16_e64 s27, 0, v1
	s_branch .LBB215_426
.LBB215_423:
	s_mov_b32 s45, -1
                                        ; implicit-def: $sgpr27
	s_branch .LBB215_432
.LBB215_424:
	s_mov_b32 s44, -1
                                        ; implicit-def: $sgpr27
	s_branch .LBB215_429
.LBB215_425:
	s_mov_b32 s44, -1
                                        ; implicit-def: $sgpr27
.LBB215_426:
	s_delay_alu instid0(SALU_CYCLE_1)
	s_and_not1_b32 vcc_lo, exec_lo, s44
	s_cbranch_vccnz .LBB215_428
; %bb.427:
	global_load_u8 v1, v[6:7], off
	s_and_not1_b32 s27, s27, exec_lo
	s_wait_loadcnt 0x0
	v_and_b32_e32 v1, 0x7f, v1
	s_delay_alu instid0(VALU_DEP_1) | instskip(SKIP_1) | instid1(SALU_CYCLE_1)
	v_cmp_ne_u16_e32 vcc_lo, 0, v1
	s_and_b32 s44, vcc_lo, exec_lo
	s_or_b32 s27, s27, s44
.LBB215_428:
	s_mov_b32 s44, 0
.LBB215_429:
	s_delay_alu instid0(SALU_CYCLE_1)
	s_and_not1_b32 vcc_lo, exec_lo, s44
	s_cbranch_vccnz .LBB215_431
; %bb.430:
	global_load_u8 v1, v[6:7], off
	s_and_not1_b32 s27, s27, exec_lo
	s_wait_loadcnt 0x0
	v_dual_lshlrev_b32 v3, 25, v1 :: v_dual_lshlrev_b32 v1, 8, v1
	s_delay_alu instid0(VALU_DEP_1) | instskip(NEXT) | instid1(VALU_DEP_2)
	v_cmp_gt_u32_e32 vcc_lo, 0x8000000, v3
	v_and_or_b32 v1, 0x7f00, v1, 0.5
	s_delay_alu instid0(VALU_DEP_1) | instskip(NEXT) | instid1(VALU_DEP_1)
	v_dual_lshrrev_b32 v5, 4, v3 :: v_dual_add_f32 v1, -0.5, v1
	v_or_b32_e32 v5, 0x70000000, v5
	s_delay_alu instid0(VALU_DEP_1) | instskip(NEXT) | instid1(VALU_DEP_1)
	v_mul_f32_e32 v5, 0x7800000, v5
	v_cndmask_b32_e32 v1, v5, v1, vcc_lo
	s_delay_alu instid0(VALU_DEP_1) | instskip(SKIP_1) | instid1(SALU_CYCLE_1)
	v_cmp_neq_f32_e32 vcc_lo, 0, v1
	s_and_b32 s44, vcc_lo, exec_lo
	s_or_b32 s27, s27, s44
.LBB215_431:
	s_mov_b32 s45, 0
	s_mov_b32 s44, -1
.LBB215_432:
	s_and_not1_b32 vcc_lo, exec_lo, s45
	s_cbranch_vccnz .LBB215_443
; %bb.433:
	s_cmp_gt_i32 s43, 14
	s_cbranch_scc0 .LBB215_436
; %bb.434:
	s_cmp_eq_u32 s43, 15
	s_cbranch_scc0 .LBB215_437
; %bb.435:
	global_load_u16 v1, v[6:7], off
	s_mov_b32 s26, 0
	s_mov_b32 s44, -1
	s_wait_loadcnt 0x0
	v_and_b32_e32 v1, 0x7fff, v1
	s_delay_alu instid0(VALU_DEP_1)
	v_cmp_ne_u16_e64 s27, 0, v1
	s_branch .LBB215_438
.LBB215_436:
	s_mov_b32 s45, -1
                                        ; implicit-def: $sgpr27
	s_branch .LBB215_439
.LBB215_437:
	s_mov_b32 s26, -1
                                        ; implicit-def: $sgpr27
.LBB215_438:
	s_mov_b32 s45, 0
.LBB215_439:
	s_delay_alu instid0(SALU_CYCLE_1)
	s_and_b32 vcc_lo, exec_lo, s45
	s_cbranch_vccz .LBB215_443
; %bb.440:
	s_cmp_eq_u32 s43, 11
	s_cbranch_scc0 .LBB215_442
; %bb.441:
	global_load_u8 v1, v[6:7], off
	s_mov_b32 s26, 0
	s_mov_b32 s44, -1
	s_wait_loadcnt 0x0
	v_cmp_ne_u16_e64 s27, 0, v1
	s_branch .LBB215_443
.LBB215_442:
	s_mov_b32 s26, -1
                                        ; implicit-def: $sgpr27
.LBB215_443:
	s_branch .LBB215_379
.LBB215_444:
	s_and_b32 s43, 0xffff, s0
	s_delay_alu instid0(SALU_CYCLE_1)
	s_cmp_lt_i32 s43, 5
	s_cbranch_scc1 .LBB215_449
; %bb.445:
	s_cmp_lt_i32 s43, 8
	s_cbranch_scc1 .LBB215_450
; %bb.446:
	;; [unrolled: 3-line block ×3, first 2 shown]
	s_cmp_gt_i32 s43, 9
	s_cbranch_scc0 .LBB215_452
; %bb.448:
	global_load_b128 v[8:11], v[6:7], off
	s_wait_loadcnt 0x0
	v_cmp_neq_f64_e32 vcc_lo, 0, v[8:9]
	v_cmp_neq_f64_e64 s0, 0, v[10:11]
	s_or_b32 s27, vcc_lo, s0
	s_mov_b32 s0, 0
	s_branch .LBB215_453
.LBB215_449:
	s_mov_b32 s0, -1
                                        ; implicit-def: $sgpr27
	s_branch .LBB215_471
.LBB215_450:
	s_mov_b32 s0, -1
                                        ; implicit-def: $sgpr27
	s_branch .LBB215_459
.LBB215_451:
	s_mov_b32 s0, -1
                                        ; implicit-def: $sgpr27
	s_branch .LBB215_456
.LBB215_452:
	s_mov_b32 s0, -1
                                        ; implicit-def: $sgpr27
.LBB215_453:
	s_delay_alu instid0(SALU_CYCLE_1)
	s_and_not1_b32 vcc_lo, exec_lo, s0
	s_cbranch_vccnz .LBB215_455
; %bb.454:
	global_load_b64 v[8:9], v[6:7], off
	s_and_not1_b32 s0, s27, exec_lo
	s_wait_loadcnt 0x0
	v_bitop3_b32 v1, v8, 0x7fffffff, v9 bitop3:0xc8
	s_delay_alu instid0(VALU_DEP_1) | instskip(SKIP_1) | instid1(SALU_CYCLE_1)
	v_cmp_ne_u32_e32 vcc_lo, 0, v1
	s_and_b32 s27, vcc_lo, exec_lo
	s_or_b32 s27, s0, s27
.LBB215_455:
	s_mov_b32 s0, 0
.LBB215_456:
	s_delay_alu instid0(SALU_CYCLE_1)
	s_and_not1_b32 vcc_lo, exec_lo, s0
	s_cbranch_vccnz .LBB215_458
; %bb.457:
	global_load_b32 v1, v[6:7], off
	s_and_not1_b32 s0, s27, exec_lo
	s_wait_loadcnt 0x0
	v_and_b32_e32 v1, 0x7fff7fff, v1
	s_delay_alu instid0(VALU_DEP_1) | instskip(SKIP_1) | instid1(SALU_CYCLE_1)
	v_cmp_ne_u32_e32 vcc_lo, 0, v1
	s_and_b32 s27, vcc_lo, exec_lo
	s_or_b32 s27, s0, s27
.LBB215_458:
	s_mov_b32 s0, 0
.LBB215_459:
	s_delay_alu instid0(SALU_CYCLE_1)
	s_and_not1_b32 vcc_lo, exec_lo, s0
	s_cbranch_vccnz .LBB215_470
; %bb.460:
	s_cmp_lt_i32 s43, 6
	s_cbranch_scc1 .LBB215_463
; %bb.461:
	s_cmp_gt_i32 s43, 6
	s_cbranch_scc0 .LBB215_464
; %bb.462:
	global_load_b64 v[8:9], v[6:7], off
	s_mov_b32 s0, 0
	s_wait_loadcnt 0x0
	v_cmp_neq_f64_e64 s27, 0, v[8:9]
	s_branch .LBB215_465
.LBB215_463:
	s_mov_b32 s0, -1
                                        ; implicit-def: $sgpr27
	s_branch .LBB215_468
.LBB215_464:
	s_mov_b32 s0, -1
                                        ; implicit-def: $sgpr27
.LBB215_465:
	s_delay_alu instid0(SALU_CYCLE_1)
	s_and_not1_b32 vcc_lo, exec_lo, s0
	s_cbranch_vccnz .LBB215_467
; %bb.466:
	global_load_b32 v1, v[6:7], off
	s_and_not1_b32 s0, s27, exec_lo
	s_wait_loadcnt 0x0
	v_cmp_neq_f32_e32 vcc_lo, 0, v1
	s_and_b32 s27, vcc_lo, exec_lo
	s_delay_alu instid0(SALU_CYCLE_1)
	s_or_b32 s27, s0, s27
.LBB215_467:
	s_mov_b32 s0, 0
.LBB215_468:
	s_delay_alu instid0(SALU_CYCLE_1)
	s_and_not1_b32 vcc_lo, exec_lo, s0
	s_cbranch_vccnz .LBB215_470
; %bb.469:
	global_load_u16 v1, v[6:7], off
	s_and_not1_b32 s0, s27, exec_lo
	s_wait_loadcnt 0x0
	v_and_b32_e32 v1, 0x7fff, v1
	s_delay_alu instid0(VALU_DEP_1) | instskip(SKIP_1) | instid1(SALU_CYCLE_1)
	v_cmp_ne_u16_e32 vcc_lo, 0, v1
	s_and_b32 s27, vcc_lo, exec_lo
	s_or_b32 s27, s0, s27
.LBB215_470:
	s_mov_b32 s0, 0
.LBB215_471:
	s_delay_alu instid0(SALU_CYCLE_1)
	s_and_not1_b32 vcc_lo, exec_lo, s0
	s_cbranch_vccnz .LBB215_491
; %bb.472:
	s_cmp_lt_i32 s43, 2
	s_cbranch_scc1 .LBB215_476
; %bb.473:
	s_cmp_lt_i32 s43, 3
	s_cbranch_scc1 .LBB215_477
; %bb.474:
	s_cmp_gt_i32 s43, 3
	s_cbranch_scc0 .LBB215_478
; %bb.475:
	global_load_b64 v[8:9], v[6:7], off
	s_mov_b32 s0, 0
	s_wait_loadcnt 0x0
	v_cmp_ne_u64_e64 s27, 0, v[8:9]
	s_branch .LBB215_479
.LBB215_476:
	s_mov_b32 s0, -1
                                        ; implicit-def: $sgpr27
	s_branch .LBB215_485
.LBB215_477:
	s_mov_b32 s0, -1
                                        ; implicit-def: $sgpr27
	s_branch .LBB215_482
.LBB215_478:
	s_mov_b32 s0, -1
                                        ; implicit-def: $sgpr27
.LBB215_479:
	s_delay_alu instid0(SALU_CYCLE_1)
	s_and_not1_b32 vcc_lo, exec_lo, s0
	s_cbranch_vccnz .LBB215_481
; %bb.480:
	global_load_b32 v1, v[6:7], off
	s_and_not1_b32 s0, s27, exec_lo
	s_wait_loadcnt 0x0
	v_cmp_ne_u32_e32 vcc_lo, 0, v1
	s_and_b32 s27, vcc_lo, exec_lo
	s_delay_alu instid0(SALU_CYCLE_1)
	s_or_b32 s27, s0, s27
.LBB215_481:
	s_mov_b32 s0, 0
.LBB215_482:
	s_delay_alu instid0(SALU_CYCLE_1)
	s_and_not1_b32 vcc_lo, exec_lo, s0
	s_cbranch_vccnz .LBB215_484
; %bb.483:
	global_load_u16 v1, v[6:7], off
	s_and_not1_b32 s0, s27, exec_lo
	s_wait_loadcnt 0x0
	v_cmp_ne_u16_e32 vcc_lo, 0, v1
	s_and_b32 s27, vcc_lo, exec_lo
	s_delay_alu instid0(SALU_CYCLE_1)
	s_or_b32 s27, s0, s27
.LBB215_484:
	s_mov_b32 s0, 0
.LBB215_485:
	s_delay_alu instid0(SALU_CYCLE_1)
	s_and_not1_b32 vcc_lo, exec_lo, s0
	s_cbranch_vccnz .LBB215_491
; %bb.486:
	s_cmp_gt_i32 s43, 0
	s_mov_b32 s0, 0
	s_cbranch_scc0 .LBB215_488
; %bb.487:
	global_load_u8 v1, v[6:7], off
	s_wait_loadcnt 0x0
	v_cmp_ne_u16_e64 s27, 0, v1
	s_branch .LBB215_489
.LBB215_488:
	s_mov_b32 s0, -1
                                        ; implicit-def: $sgpr27
.LBB215_489:
	s_delay_alu instid0(SALU_CYCLE_1)
	s_and_not1_b32 vcc_lo, exec_lo, s0
	s_cbranch_vccnz .LBB215_491
; %bb.490:
	global_load_u8 v1, v[6:7], off
	s_and_not1_b32 s0, s27, exec_lo
	s_wait_loadcnt 0x0
	v_cmp_ne_u16_e32 vcc_lo, 0, v1
	s_and_b32 s27, vcc_lo, exec_lo
	s_delay_alu instid0(SALU_CYCLE_1)
	s_or_b32 s27, s0, s27
.LBB215_491:
	s_branch .LBB215_380
.LBB215_492:
	s_mov_b32 s47, 0
	s_mov_b32 s0, s39
	;; [unrolled: 1-line block ×3, first 2 shown]
                                        ; implicit-def: $vgpr0
	s_branch .LBB215_717
.LBB215_493:
	s_mov_b32 s47, -1
	s_mov_b32 s45, 0
	s_mov_b32 s43, s40
	s_branch .LBB215_497
.LBB215_494:
	v_bfe_u32 v1, v4, 20, 1
	s_mov_b32 s43, exec_lo
	s_delay_alu instid0(VALU_DEP_1) | instskip(NEXT) | instid1(VALU_DEP_1)
	v_add3_u32 v1, v4, v1, 0x487ffff
                                        ; implicit-def: $vgpr4
	v_lshrrev_b32_e32 v1, 20, v1
	s_and_not1_saveexec_b32 s44, s44
	s_cbranch_execz .LBB215_265
.LBB215_495:
	v_add_f32_e32 v1, 0x46000000, v4
	s_and_not1_b32 s43, s43, exec_lo
	s_delay_alu instid0(VALU_DEP_1) | instskip(NEXT) | instid1(VALU_DEP_1)
	v_and_b32_e32 v1, 0xff, v1
	v_cmp_ne_u32_e32 vcc_lo, 0, v1
	s_and_b32 s45, vcc_lo, exec_lo
	s_delay_alu instid0(SALU_CYCLE_1)
	s_or_b32 s43, s43, s45
	s_or_b32 exec_lo, exec_lo, s44
	v_mov_b32_e32 v5, 0
	s_and_saveexec_b32 s44, s43
	s_cbranch_execnz .LBB215_266
	s_branch .LBB215_267
.LBB215_496:
	s_mov_b32 s43, -1
	s_mov_b32 s45, 0
.LBB215_497:
                                        ; implicit-def: $sgpr44
.LBB215_498:
	s_and_b32 vcc_lo, exec_lo, s47
	s_cbranch_vccz .LBB215_500
; %bb.499:
	s_cmp_eq_u32 s26, 44
	s_cselect_b32 s45, -1, 0
	s_or_b32 s44, s44, exec_lo
	s_or_b32 s43, s43, exec_lo
.LBB215_500:
	s_mov_b32 s47, 0
.LBB215_501:
	s_delay_alu instid0(SALU_CYCLE_1)
	s_and_b32 vcc_lo, exec_lo, s47
	s_cbranch_vccz .LBB215_505
; %bb.502:
	s_cmp_eq_u32 s26, 29
	s_cbranch_scc0 .LBB215_504
; %bb.503:
	global_load_b64 v[6:7], v[4:5], off
	s_mov_b32 s45, -1
	s_mov_b32 s43, 0
	s_mov_b32 s47, 0
	s_wait_loadcnt 0x0
	v_cmp_ne_u64_e64 s44, 0, v[6:7]
	s_branch .LBB215_506
.LBB215_504:
	s_mov_b32 s43, -1
                                        ; implicit-def: $sgpr44
.LBB215_505:
	s_mov_b32 s47, 0
.LBB215_506:
	s_delay_alu instid0(SALU_CYCLE_1)
	s_and_b32 vcc_lo, exec_lo, s47
	s_cbranch_vccz .LBB215_518
; %bb.507:
	s_cmp_lt_i32 s26, 27
	s_cbranch_scc1 .LBB215_510
; %bb.508:
	s_cmp_gt_i32 s26, 27
	s_cbranch_scc0 .LBB215_511
; %bb.509:
	global_load_b32 v1, v[4:5], off
	s_mov_b32 s45, 0
	s_wait_loadcnt 0x0
	v_cmp_ne_u32_e64 s44, 0, v1
	s_branch .LBB215_512
.LBB215_510:
	s_mov_b32 s45, -1
                                        ; implicit-def: $sgpr44
	s_branch .LBB215_515
.LBB215_511:
	s_mov_b32 s45, -1
                                        ; implicit-def: $sgpr44
.LBB215_512:
	s_delay_alu instid0(SALU_CYCLE_1)
	s_and_not1_b32 vcc_lo, exec_lo, s45
	s_cbranch_vccnz .LBB215_514
; %bb.513:
	global_load_u16 v1, v[4:5], off
	s_and_not1_b32 s44, s44, exec_lo
	s_wait_loadcnt 0x0
	v_cmp_ne_u16_e32 vcc_lo, 0, v1
	s_and_b32 s45, vcc_lo, exec_lo
	s_delay_alu instid0(SALU_CYCLE_1)
	s_or_b32 s44, s44, s45
.LBB215_514:
	s_mov_b32 s45, 0
.LBB215_515:
	s_delay_alu instid0(SALU_CYCLE_1)
	s_and_not1_b32 vcc_lo, exec_lo, s45
	s_cbranch_vccnz .LBB215_517
; %bb.516:
	global_load_u8 v1, v[4:5], off
	s_and_not1_b32 s44, s44, exec_lo
	s_wait_loadcnt 0x0
	v_cmp_ne_u16_e32 vcc_lo, 0, v1
	s_and_b32 s45, vcc_lo, exec_lo
	s_delay_alu instid0(SALU_CYCLE_1)
	s_or_b32 s44, s44, s45
.LBB215_517:
	s_mov_b32 s45, -1
.LBB215_518:
	s_mov_b32 s47, 0
.LBB215_519:
	s_delay_alu instid0(SALU_CYCLE_1)
	s_and_b32 vcc_lo, exec_lo, s47
	s_cbranch_vccz .LBB215_544
; %bb.520:
	s_cmp_gt_i32 s26, 22
	s_cbranch_scc0 .LBB215_524
; %bb.521:
	s_cmp_lt_i32 s26, 24
	s_cbranch_scc1 .LBB215_525
; %bb.522:
	s_cmp_gt_i32 s26, 24
	s_cbranch_scc0 .LBB215_526
; %bb.523:
	global_load_u8 v1, v[4:5], off
	s_mov_b32 s45, 0
	s_wait_loadcnt 0x0
	v_cmp_ne_u16_e64 s44, 0, v1
	s_branch .LBB215_527
.LBB215_524:
	s_mov_b32 s47, -1
                                        ; implicit-def: $sgpr44
	s_branch .LBB215_533
.LBB215_525:
	s_mov_b32 s45, -1
                                        ; implicit-def: $sgpr44
	s_branch .LBB215_530
.LBB215_526:
	s_mov_b32 s45, -1
                                        ; implicit-def: $sgpr44
.LBB215_527:
	s_delay_alu instid0(SALU_CYCLE_1)
	s_and_not1_b32 vcc_lo, exec_lo, s45
	s_cbranch_vccnz .LBB215_529
; %bb.528:
	global_load_u8 v1, v[4:5], off
	s_and_not1_b32 s44, s44, exec_lo
	s_wait_loadcnt 0x0
	v_and_b32_e32 v1, 0x7f, v1
	s_delay_alu instid0(VALU_DEP_1) | instskip(SKIP_1) | instid1(SALU_CYCLE_1)
	v_cmp_ne_u16_e32 vcc_lo, 0, v1
	s_and_b32 s45, vcc_lo, exec_lo
	s_or_b32 s44, s44, s45
.LBB215_529:
	s_mov_b32 s45, 0
.LBB215_530:
	s_delay_alu instid0(SALU_CYCLE_1)
	s_and_not1_b32 vcc_lo, exec_lo, s45
	s_cbranch_vccnz .LBB215_532
; %bb.531:
	global_load_u8 v1, v[4:5], off
	s_and_not1_b32 s44, s44, exec_lo
	s_wait_loadcnt 0x0
	v_dual_lshlrev_b32 v3, 25, v1 :: v_dual_lshlrev_b32 v1, 8, v1
	s_delay_alu instid0(VALU_DEP_1) | instskip(NEXT) | instid1(VALU_DEP_2)
	v_cmp_gt_u32_e32 vcc_lo, 0x8000000, v3
	v_and_or_b32 v1, 0x7f00, v1, 0.5
	s_wait_xcnt 0x1
	s_delay_alu instid0(VALU_DEP_1) | instskip(NEXT) | instid1(VALU_DEP_1)
	v_dual_add_f32 v1, -0.5, v1 :: v_dual_lshrrev_b32 v6, 4, v3
	v_or_b32_e32 v6, 0x70000000, v6
	s_delay_alu instid0(VALU_DEP_1) | instskip(NEXT) | instid1(VALU_DEP_1)
	v_mul_f32_e32 v6, 0x7800000, v6
	v_cndmask_b32_e32 v1, v6, v1, vcc_lo
	s_delay_alu instid0(VALU_DEP_1) | instskip(SKIP_1) | instid1(SALU_CYCLE_1)
	v_cmp_neq_f32_e32 vcc_lo, 0, v1
	s_and_b32 s45, vcc_lo, exec_lo
	s_or_b32 s44, s44, s45
.LBB215_532:
	s_mov_b32 s47, 0
	s_mov_b32 s45, -1
.LBB215_533:
	s_and_not1_b32 vcc_lo, exec_lo, s47
	s_cbranch_vccnz .LBB215_544
; %bb.534:
	s_cmp_gt_i32 s26, 14
	s_cbranch_scc0 .LBB215_537
; %bb.535:
	s_cmp_eq_u32 s26, 15
	s_cbranch_scc0 .LBB215_538
; %bb.536:
	global_load_u16 v1, v[4:5], off
	s_mov_b32 s43, 0
	s_mov_b32 s45, -1
	s_wait_loadcnt 0x0
	v_and_b32_e32 v1, 0x7fff, v1
	s_delay_alu instid0(VALU_DEP_1)
	v_cmp_ne_u16_e64 s44, 0, v1
	s_branch .LBB215_539
.LBB215_537:
	s_mov_b32 s47, -1
                                        ; implicit-def: $sgpr44
	s_branch .LBB215_540
.LBB215_538:
	s_mov_b32 s43, -1
                                        ; implicit-def: $sgpr44
.LBB215_539:
	s_mov_b32 s47, 0
.LBB215_540:
	s_delay_alu instid0(SALU_CYCLE_1)
	s_and_b32 vcc_lo, exec_lo, s47
	s_cbranch_vccz .LBB215_544
; %bb.541:
	s_cmp_eq_u32 s26, 11
	s_cbranch_scc0 .LBB215_543
; %bb.542:
	global_load_u8 v1, v[4:5], off
	s_mov_b32 s43, 0
	s_mov_b32 s45, -1
	s_wait_loadcnt 0x0
	v_cmp_ne_u16_e64 s44, 0, v1
	s_branch .LBB215_544
.LBB215_543:
	s_mov_b32 s43, -1
                                        ; implicit-def: $sgpr44
.LBB215_544:
	s_mov_b32 s26, 0
.LBB215_545:
	s_delay_alu instid0(SALU_CYCLE_1)
	s_and_b32 vcc_lo, exec_lo, s26
	s_cbranch_vccz .LBB215_594
; %bb.546:
	s_and_b32 s26, 0xffff, s0
	s_delay_alu instid0(SALU_CYCLE_1)
	s_cmp_lt_i32 s26, 5
	s_cbranch_scc1 .LBB215_551
; %bb.547:
	s_cmp_lt_i32 s26, 8
	s_cbranch_scc1 .LBB215_552
; %bb.548:
	;; [unrolled: 3-line block ×3, first 2 shown]
	s_cmp_gt_i32 s26, 9
	s_cbranch_scc0 .LBB215_554
; %bb.550:
	global_load_b128 v[6:9], v[4:5], off
	s_wait_loadcnt 0x0
	v_cmp_neq_f64_e32 vcc_lo, 0, v[6:7]
	v_cmp_neq_f64_e64 s0, 0, v[8:9]
	s_or_b32 s44, vcc_lo, s0
	s_mov_b32 s0, 0
	s_branch .LBB215_555
.LBB215_551:
	s_mov_b32 s0, -1
                                        ; implicit-def: $sgpr44
	s_branch .LBB215_573
.LBB215_552:
	s_mov_b32 s0, -1
                                        ; implicit-def: $sgpr44
	s_branch .LBB215_561
.LBB215_553:
	s_mov_b32 s0, -1
                                        ; implicit-def: $sgpr44
	s_branch .LBB215_558
.LBB215_554:
	s_mov_b32 s0, -1
                                        ; implicit-def: $sgpr44
.LBB215_555:
	s_delay_alu instid0(SALU_CYCLE_1)
	s_and_not1_b32 vcc_lo, exec_lo, s0
	s_cbranch_vccnz .LBB215_557
; %bb.556:
	global_load_b64 v[6:7], v[4:5], off
	s_and_not1_b32 s0, s44, exec_lo
	s_wait_loadcnt 0x0
	v_bitop3_b32 v1, v6, 0x7fffffff, v7 bitop3:0xc8
	s_delay_alu instid0(VALU_DEP_1) | instskip(SKIP_1) | instid1(SALU_CYCLE_1)
	v_cmp_ne_u32_e32 vcc_lo, 0, v1
	s_and_b32 s44, vcc_lo, exec_lo
	s_or_b32 s44, s0, s44
.LBB215_557:
	s_mov_b32 s0, 0
.LBB215_558:
	s_delay_alu instid0(SALU_CYCLE_1)
	s_and_not1_b32 vcc_lo, exec_lo, s0
	s_cbranch_vccnz .LBB215_560
; %bb.559:
	global_load_b32 v1, v[4:5], off
	s_and_not1_b32 s0, s44, exec_lo
	s_wait_loadcnt 0x0
	v_and_b32_e32 v1, 0x7fff7fff, v1
	s_delay_alu instid0(VALU_DEP_1) | instskip(SKIP_1) | instid1(SALU_CYCLE_1)
	v_cmp_ne_u32_e32 vcc_lo, 0, v1
	s_and_b32 s44, vcc_lo, exec_lo
	s_or_b32 s44, s0, s44
.LBB215_560:
	s_mov_b32 s0, 0
.LBB215_561:
	s_delay_alu instid0(SALU_CYCLE_1)
	s_and_not1_b32 vcc_lo, exec_lo, s0
	s_cbranch_vccnz .LBB215_572
; %bb.562:
	s_cmp_lt_i32 s26, 6
	s_cbranch_scc1 .LBB215_565
; %bb.563:
	s_cmp_gt_i32 s26, 6
	s_cbranch_scc0 .LBB215_566
; %bb.564:
	global_load_b64 v[6:7], v[4:5], off
	s_mov_b32 s0, 0
	s_wait_loadcnt 0x0
	v_cmp_neq_f64_e64 s44, 0, v[6:7]
	s_branch .LBB215_567
.LBB215_565:
	s_mov_b32 s0, -1
                                        ; implicit-def: $sgpr44
	s_branch .LBB215_570
.LBB215_566:
	s_mov_b32 s0, -1
                                        ; implicit-def: $sgpr44
.LBB215_567:
	s_delay_alu instid0(SALU_CYCLE_1)
	s_and_not1_b32 vcc_lo, exec_lo, s0
	s_cbranch_vccnz .LBB215_569
; %bb.568:
	global_load_b32 v1, v[4:5], off
	s_and_not1_b32 s0, s44, exec_lo
	s_wait_loadcnt 0x0
	v_cmp_neq_f32_e32 vcc_lo, 0, v1
	s_and_b32 s44, vcc_lo, exec_lo
	s_delay_alu instid0(SALU_CYCLE_1)
	s_or_b32 s44, s0, s44
.LBB215_569:
	s_mov_b32 s0, 0
.LBB215_570:
	s_delay_alu instid0(SALU_CYCLE_1)
	s_and_not1_b32 vcc_lo, exec_lo, s0
	s_cbranch_vccnz .LBB215_572
; %bb.571:
	global_load_u16 v1, v[4:5], off
	s_and_not1_b32 s0, s44, exec_lo
	s_wait_loadcnt 0x0
	v_and_b32_e32 v1, 0x7fff, v1
	s_delay_alu instid0(VALU_DEP_1) | instskip(SKIP_1) | instid1(SALU_CYCLE_1)
	v_cmp_ne_u16_e32 vcc_lo, 0, v1
	s_and_b32 s44, vcc_lo, exec_lo
	s_or_b32 s44, s0, s44
.LBB215_572:
	s_mov_b32 s0, 0
.LBB215_573:
	s_delay_alu instid0(SALU_CYCLE_1)
	s_and_not1_b32 vcc_lo, exec_lo, s0
	s_cbranch_vccnz .LBB215_593
; %bb.574:
	s_cmp_lt_i32 s26, 2
	s_cbranch_scc1 .LBB215_578
; %bb.575:
	s_cmp_lt_i32 s26, 3
	s_cbranch_scc1 .LBB215_579
; %bb.576:
	s_cmp_gt_i32 s26, 3
	s_cbranch_scc0 .LBB215_580
; %bb.577:
	global_load_b64 v[6:7], v[4:5], off
	s_mov_b32 s0, 0
	s_wait_loadcnt 0x0
	v_cmp_ne_u64_e64 s44, 0, v[6:7]
	s_branch .LBB215_581
.LBB215_578:
	s_mov_b32 s0, -1
                                        ; implicit-def: $sgpr44
	s_branch .LBB215_587
.LBB215_579:
	s_mov_b32 s0, -1
                                        ; implicit-def: $sgpr44
	s_branch .LBB215_584
.LBB215_580:
	s_mov_b32 s0, -1
                                        ; implicit-def: $sgpr44
.LBB215_581:
	s_delay_alu instid0(SALU_CYCLE_1)
	s_and_not1_b32 vcc_lo, exec_lo, s0
	s_cbranch_vccnz .LBB215_583
; %bb.582:
	global_load_b32 v1, v[4:5], off
	s_and_not1_b32 s0, s44, exec_lo
	s_wait_loadcnt 0x0
	v_cmp_ne_u32_e32 vcc_lo, 0, v1
	s_and_b32 s44, vcc_lo, exec_lo
	s_delay_alu instid0(SALU_CYCLE_1)
	s_or_b32 s44, s0, s44
.LBB215_583:
	s_mov_b32 s0, 0
.LBB215_584:
	s_delay_alu instid0(SALU_CYCLE_1)
	s_and_not1_b32 vcc_lo, exec_lo, s0
	s_cbranch_vccnz .LBB215_586
; %bb.585:
	global_load_u16 v1, v[4:5], off
	s_and_not1_b32 s0, s44, exec_lo
	s_wait_loadcnt 0x0
	v_cmp_ne_u16_e32 vcc_lo, 0, v1
	s_and_b32 s44, vcc_lo, exec_lo
	s_delay_alu instid0(SALU_CYCLE_1)
	s_or_b32 s44, s0, s44
.LBB215_586:
	s_mov_b32 s0, 0
.LBB215_587:
	s_delay_alu instid0(SALU_CYCLE_1)
	s_and_not1_b32 vcc_lo, exec_lo, s0
	s_cbranch_vccnz .LBB215_593
; %bb.588:
	s_cmp_gt_i32 s26, 0
	s_mov_b32 s0, 0
	s_cbranch_scc0 .LBB215_590
; %bb.589:
	global_load_u8 v1, v[4:5], off
	s_wait_loadcnt 0x0
	v_cmp_ne_u16_e64 s44, 0, v1
	s_branch .LBB215_591
.LBB215_590:
	s_mov_b32 s0, -1
                                        ; implicit-def: $sgpr44
.LBB215_591:
	s_delay_alu instid0(SALU_CYCLE_1)
	s_and_not1_b32 vcc_lo, exec_lo, s0
	s_cbranch_vccnz .LBB215_593
; %bb.592:
	global_load_u8 v1, v[4:5], off
	s_and_not1_b32 s0, s44, exec_lo
	s_wait_loadcnt 0x0
	v_cmp_ne_u16_e32 vcc_lo, 0, v1
	s_and_b32 s26, vcc_lo, exec_lo
	s_delay_alu instid0(SALU_CYCLE_1)
	s_or_b32 s44, s0, s26
.LBB215_593:
	s_mov_b32 s45, -1
.LBB215_594:
	s_mov_b32 s26, 0
	s_and_not1_b32 vcc_lo, exec_lo, s45
	s_mov_b32 s0, s39
	s_mov_b32 s47, 0
	s_cbranch_vccnz .LBB215_717
; %bb.595:
	v_mov_b32_e32 v3, 0
	s_delay_alu instid0(VALU_DEP_2)
	s_xor_b32 s0, s27, s44
	s_and_b32 s43, s11, 0xff
	s_xor_b32 s27, s10, s0
	s_cmp_lt_i32 s43, 11
	v_add_nc_u64_e32 v[2:3], s[4:5], v[2:3]
	s_cbranch_scc1 .LBB215_602
; %bb.596:
	s_and_b32 s44, 0xffff, s43
	s_delay_alu instid0(SALU_CYCLE_1)
	s_cmp_gt_i32 s44, 25
	s_cbranch_scc0 .LBB215_603
; %bb.597:
	s_cmp_gt_i32 s44, 28
	s_cbranch_scc0 .LBB215_604
; %bb.598:
	;; [unrolled: 3-line block ×4, first 2 shown]
	s_mov_b32 s0, -1
	s_cmp_eq_u32 s44, 46
	s_mov_b32 s45, 0
	s_cbranch_scc0 .LBB215_607
; %bb.601:
	v_cndmask_b32_e64 v1, 0, 1.0, s27
	s_mov_b32 s45, -1
	s_mov_b32 s0, 0
	s_wait_xcnt 0x0
	s_delay_alu instid0(VALU_DEP_1) | instskip(NEXT) | instid1(VALU_DEP_1)
	v_bfe_u32 v4, v1, 16, 1
	v_add3_u32 v1, v1, v4, 0x7fff
	s_delay_alu instid0(VALU_DEP_1)
	v_lshrrev_b32_e32 v1, 16, v1
	global_store_b32 v[2:3], v1, off
	s_branch .LBB215_607
.LBB215_602:
	s_mov_b32 s44, -1
	s_mov_b32 s45, 0
	s_mov_b32 s0, s39
	s_branch .LBB215_676
.LBB215_603:
	s_mov_b32 s47, -1
	s_mov_b32 s45, 0
	s_mov_b32 s0, s39
	s_branch .LBB215_634
.LBB215_604:
	s_mov_b32 s47, -1
	s_mov_b32 s45, 0
	s_mov_b32 s0, s39
	s_branch .LBB215_617
.LBB215_605:
	s_mov_b32 s47, -1
	s_mov_b32 s45, 0
	s_mov_b32 s0, s39
	s_branch .LBB215_613
.LBB215_606:
	s_mov_b32 s47, -1
	s_mov_b32 s45, 0
	s_mov_b32 s0, s39
.LBB215_607:
	s_and_b32 vcc_lo, exec_lo, s47
	s_cbranch_vccz .LBB215_612
; %bb.608:
	s_cmp_eq_u32 s44, 44
	s_mov_b32 s0, -1
	s_cbranch_scc0 .LBB215_612
; %bb.609:
	s_wait_xcnt 0x0
	v_cndmask_b32_e64 v5, 0, 1.0, s27
	s_mov_b32 s45, exec_lo
	s_delay_alu instid0(VALU_DEP_1) | instskip(NEXT) | instid1(VALU_DEP_1)
	v_dual_mov_b32 v4, 0xff :: v_dual_lshrrev_b32 v1, 23, v5
	v_cmpx_ne_u32_e32 0xff, v1
; %bb.610:
	v_and_b32_e32 v4, 0x400000, v5
	v_and_or_b32 v5, 0x3fffff, v5, v1
	s_delay_alu instid0(VALU_DEP_2) | instskip(NEXT) | instid1(VALU_DEP_2)
	v_cmp_ne_u32_e32 vcc_lo, 0, v4
	v_cmp_ne_u32_e64 s0, 0, v5
	s_and_b32 s0, vcc_lo, s0
	s_delay_alu instid0(SALU_CYCLE_1) | instskip(NEXT) | instid1(VALU_DEP_1)
	v_cndmask_b32_e64 v4, 0, 1, s0
	v_add_nc_u32_e32 v4, v1, v4
; %bb.611:
	s_or_b32 exec_lo, exec_lo, s45
	s_mov_b32 s45, -1
	s_mov_b32 s0, 0
	global_store_b8 v[2:3], v4, off
.LBB215_612:
	s_mov_b32 s47, 0
.LBB215_613:
	s_delay_alu instid0(SALU_CYCLE_1)
	s_and_b32 vcc_lo, exec_lo, s47
	s_cbranch_vccz .LBB215_616
; %bb.614:
	s_cmp_eq_u32 s44, 29
	s_mov_b32 s0, -1
	s_cbranch_scc0 .LBB215_616
; %bb.615:
	s_mov_b32 s0, 0
	s_wait_xcnt 0x0
	v_cndmask_b32_e64 v4, 0, 1, s27
	v_mov_b32_e32 v5, s0
	s_mov_b32 s45, -1
	s_mov_b32 s47, 0
	global_store_b64 v[2:3], v[4:5], off
	s_branch .LBB215_617
.LBB215_616:
	s_mov_b32 s47, 0
.LBB215_617:
	s_delay_alu instid0(SALU_CYCLE_1)
	s_and_b32 vcc_lo, exec_lo, s47
	s_cbranch_vccz .LBB215_633
; %bb.618:
	s_cmp_lt_i32 s44, 27
	s_mov_b32 s45, -1
	s_cbranch_scc1 .LBB215_624
; %bb.619:
	s_cmp_gt_i32 s44, 27
	s_cbranch_scc0 .LBB215_621
; %bb.620:
	s_wait_xcnt 0x0
	v_cndmask_b32_e64 v1, 0, 1, s27
	s_mov_b32 s45, 0
	global_store_b32 v[2:3], v1, off
.LBB215_621:
	s_and_not1_b32 vcc_lo, exec_lo, s45
	s_cbranch_vccnz .LBB215_623
; %bb.622:
	s_wait_xcnt 0x0
	v_cndmask_b32_e64 v1, 0, 1, s27
	global_store_b16 v[2:3], v1, off
.LBB215_623:
	s_mov_b32 s45, 0
.LBB215_624:
	s_delay_alu instid0(SALU_CYCLE_1)
	s_and_not1_b32 vcc_lo, exec_lo, s45
	s_cbranch_vccnz .LBB215_632
; %bb.625:
	s_wait_xcnt 0x0
	v_cndmask_b32_e64 v4, 0, 1.0, s27
	v_mov_b32_e32 v5, 0x80
	s_mov_b32 s45, exec_lo
	s_delay_alu instid0(VALU_DEP_2)
	v_cmpx_gt_u32_e32 0x43800000, v4
	s_cbranch_execz .LBB215_631
; %bb.626:
	s_mov_b32 s47, 0
	s_mov_b32 s48, exec_lo
                                        ; implicit-def: $vgpr1
	v_cmpx_lt_u32_e32 0x3bffffff, v4
	s_xor_b32 s48, exec_lo, s48
	s_cbranch_execnz .LBB215_858
; %bb.627:
	s_and_not1_saveexec_b32 s48, s48
	s_cbranch_execnz .LBB215_859
.LBB215_628:
	s_or_b32 exec_lo, exec_lo, s48
	v_mov_b32_e32 v5, 0
	s_and_saveexec_b32 s48, s47
.LBB215_629:
	v_mov_b32_e32 v5, v1
.LBB215_630:
	s_or_b32 exec_lo, exec_lo, s48
.LBB215_631:
	s_delay_alu instid0(SALU_CYCLE_1)
	s_or_b32 exec_lo, exec_lo, s45
	global_store_b8 v[2:3], v5, off
.LBB215_632:
	s_mov_b32 s45, -1
.LBB215_633:
	s_mov_b32 s47, 0
.LBB215_634:
	s_delay_alu instid0(SALU_CYCLE_1)
	s_and_b32 vcc_lo, exec_lo, s47
	s_cbranch_vccz .LBB215_675
; %bb.635:
	s_cmp_gt_i32 s44, 22
	s_mov_b32 s47, -1
	s_cbranch_scc0 .LBB215_667
; %bb.636:
	s_cmp_lt_i32 s44, 24
	s_mov_b32 s45, -1
	s_cbranch_scc1 .LBB215_656
; %bb.637:
	s_cmp_gt_i32 s44, 24
	s_cbranch_scc0 .LBB215_645
; %bb.638:
	s_wait_xcnt 0x0
	v_cndmask_b32_e64 v4, 0, 1.0, s27
	v_mov_b32_e32 v5, 0x80
	s_mov_b32 s45, exec_lo
	s_delay_alu instid0(VALU_DEP_2)
	v_cmpx_gt_u32_e32 0x47800000, v4
	s_cbranch_execz .LBB215_644
; %bb.639:
	s_mov_b32 s47, 0
	s_mov_b32 s48, exec_lo
                                        ; implicit-def: $vgpr1
	v_cmpx_lt_u32_e32 0x37ffffff, v4
	s_xor_b32 s48, exec_lo, s48
	s_cbranch_execnz .LBB215_2052
; %bb.640:
	s_and_not1_saveexec_b32 s48, s48
	s_cbranch_execnz .LBB215_2053
.LBB215_641:
	s_or_b32 exec_lo, exec_lo, s48
	v_mov_b32_e32 v5, 0
	s_and_saveexec_b32 s48, s47
.LBB215_642:
	v_mov_b32_e32 v5, v1
.LBB215_643:
	s_or_b32 exec_lo, exec_lo, s48
.LBB215_644:
	s_delay_alu instid0(SALU_CYCLE_1)
	s_or_b32 exec_lo, exec_lo, s45
	s_mov_b32 s45, 0
	global_store_b8 v[2:3], v5, off
.LBB215_645:
	s_and_b32 vcc_lo, exec_lo, s45
	s_cbranch_vccz .LBB215_655
; %bb.646:
	s_wait_xcnt 0x0
	v_cndmask_b32_e64 v4, 0, 1.0, s27
	s_mov_b32 s45, exec_lo
                                        ; implicit-def: $vgpr1
	s_delay_alu instid0(VALU_DEP_1)
	v_cmpx_gt_u32_e32 0x43f00000, v4
	s_xor_b32 s45, exec_lo, s45
	s_cbranch_execz .LBB215_652
; %bb.647:
	s_mov_b32 s47, exec_lo
                                        ; implicit-def: $vgpr1
	v_cmpx_lt_u32_e32 0x3c7fffff, v4
	s_xor_b32 s47, exec_lo, s47
; %bb.648:
	v_bfe_u32 v1, v4, 20, 1
	s_delay_alu instid0(VALU_DEP_1) | instskip(NEXT) | instid1(VALU_DEP_1)
	v_add3_u32 v1, v4, v1, 0x407ffff
	v_and_b32_e32 v4, 0xff00000, v1
	v_lshrrev_b32_e32 v1, 20, v1
	s_delay_alu instid0(VALU_DEP_2) | instskip(NEXT) | instid1(VALU_DEP_2)
	v_cmp_ne_u32_e32 vcc_lo, 0x7f00000, v4
                                        ; implicit-def: $vgpr4
	v_cndmask_b32_e32 v1, 0x7e, v1, vcc_lo
; %bb.649:
	s_and_not1_saveexec_b32 s47, s47
; %bb.650:
	v_add_f32_e32 v1, 0x46800000, v4
; %bb.651:
	s_or_b32 exec_lo, exec_lo, s47
                                        ; implicit-def: $vgpr4
.LBB215_652:
	s_and_not1_saveexec_b32 s45, s45
; %bb.653:
	v_mov_b32_e32 v1, 0x7f
	v_cmp_lt_u32_e32 vcc_lo, 0x7f800000, v4
	s_delay_alu instid0(VALU_DEP_2)
	v_cndmask_b32_e32 v1, 0x7e, v1, vcc_lo
; %bb.654:
	s_or_b32 exec_lo, exec_lo, s45
	global_store_b8 v[2:3], v1, off
.LBB215_655:
	s_mov_b32 s45, 0
.LBB215_656:
	s_delay_alu instid0(SALU_CYCLE_1)
	s_and_not1_b32 vcc_lo, exec_lo, s45
	s_cbranch_vccnz .LBB215_666
; %bb.657:
	s_wait_xcnt 0x0
	v_cndmask_b32_e64 v4, 0, 1.0, s27
	s_mov_b32 s45, exec_lo
                                        ; implicit-def: $vgpr1
	s_delay_alu instid0(VALU_DEP_1)
	v_cmpx_gt_u32_e32 0x47800000, v4
	s_xor_b32 s45, exec_lo, s45
	s_cbranch_execz .LBB215_663
; %bb.658:
	s_mov_b32 s47, exec_lo
                                        ; implicit-def: $vgpr1
	v_cmpx_lt_u32_e32 0x387fffff, v4
	s_xor_b32 s47, exec_lo, s47
; %bb.659:
	v_bfe_u32 v1, v4, 21, 1
	s_delay_alu instid0(VALU_DEP_1) | instskip(NEXT) | instid1(VALU_DEP_1)
	v_add3_u32 v1, v4, v1, 0x80fffff
                                        ; implicit-def: $vgpr4
	v_lshrrev_b32_e32 v1, 21, v1
; %bb.660:
	s_and_not1_saveexec_b32 s47, s47
; %bb.661:
	v_add_f32_e32 v1, 0x43000000, v4
; %bb.662:
	s_or_b32 exec_lo, exec_lo, s47
                                        ; implicit-def: $vgpr4
.LBB215_663:
	s_and_not1_saveexec_b32 s45, s45
; %bb.664:
	v_mov_b32_e32 v1, 0x7f
	v_cmp_lt_u32_e32 vcc_lo, 0x7f800000, v4
	s_delay_alu instid0(VALU_DEP_2)
	v_cndmask_b32_e32 v1, 0x7c, v1, vcc_lo
; %bb.665:
	s_or_b32 exec_lo, exec_lo, s45
	global_store_b8 v[2:3], v1, off
.LBB215_666:
	s_mov_b32 s47, 0
	s_mov_b32 s45, -1
.LBB215_667:
	s_and_not1_b32 vcc_lo, exec_lo, s47
	s_cbranch_vccnz .LBB215_675
; %bb.668:
	s_cmp_gt_i32 s44, 14
	s_mov_b32 s47, -1
	s_cbranch_scc0 .LBB215_672
; %bb.669:
	s_cmp_eq_u32 s44, 15
	s_mov_b32 s0, -1
	s_cbranch_scc0 .LBB215_671
; %bb.670:
	s_wait_xcnt 0x0
	v_cndmask_b32_e64 v1, 0, 1.0, s27
	s_mov_b32 s45, -1
	s_mov_b32 s0, 0
	s_delay_alu instid0(VALU_DEP_1) | instskip(NEXT) | instid1(VALU_DEP_1)
	v_bfe_u32 v4, v1, 16, 1
	v_add3_u32 v1, v1, v4, 0x7fff
	global_store_d16_hi_b16 v[2:3], v1, off
.LBB215_671:
	s_mov_b32 s47, 0
.LBB215_672:
	s_delay_alu instid0(SALU_CYCLE_1)
	s_and_b32 vcc_lo, exec_lo, s47
	s_cbranch_vccz .LBB215_675
; %bb.673:
	s_cmp_eq_u32 s44, 11
	s_mov_b32 s0, -1
	s_cbranch_scc0 .LBB215_675
; %bb.674:
	s_wait_xcnt 0x0
	v_cndmask_b32_e64 v1, 0, 1, s27
	s_mov_b32 s45, -1
	s_mov_b32 s0, 0
	global_store_b8 v[2:3], v1, off
.LBB215_675:
	s_mov_b32 s44, 0
.LBB215_676:
	s_delay_alu instid0(SALU_CYCLE_1)
	s_and_b32 vcc_lo, exec_lo, s44
	s_cbranch_vccz .LBB215_715
; %bb.677:
	s_and_b32 s43, 0xffff, s43
	s_mov_b32 s44, -1
	s_cmp_lt_i32 s43, 5
	s_cbranch_scc1 .LBB215_698
; %bb.678:
	s_cmp_lt_i32 s43, 8
	s_cbranch_scc1 .LBB215_688
; %bb.679:
	;; [unrolled: 3-line block ×3, first 2 shown]
	s_cmp_gt_i32 s43, 9
	s_cbranch_scc0 .LBB215_682
; %bb.681:
	s_wait_xcnt 0x0
	v_cndmask_b32_e64 v1, 0, 1, s27
	v_mov_b32_e32 v6, 0
	s_mov_b32 s44, 0
	s_delay_alu instid0(VALU_DEP_2) | instskip(NEXT) | instid1(VALU_DEP_2)
	v_cvt_f64_u32_e32 v[4:5], v1
	v_mov_b32_e32 v7, v6
	global_store_b128 v[2:3], v[4:7], off
.LBB215_682:
	s_and_not1_b32 vcc_lo, exec_lo, s44
	s_cbranch_vccnz .LBB215_684
; %bb.683:
	s_wait_xcnt 0x0
	v_cndmask_b32_e64 v4, 0, 1.0, s27
	v_mov_b32_e32 v5, 0
	global_store_b64 v[2:3], v[4:5], off
.LBB215_684:
	s_mov_b32 s44, 0
.LBB215_685:
	s_delay_alu instid0(SALU_CYCLE_1)
	s_and_not1_b32 vcc_lo, exec_lo, s44
	s_cbranch_vccnz .LBB215_687
; %bb.686:
	s_wait_xcnt 0x0
	v_cndmask_b32_e64 v1, 0, 1.0, s27
	s_delay_alu instid0(VALU_DEP_1) | instskip(NEXT) | instid1(VALU_DEP_1)
	v_cvt_f16_f32_e32 v1, v1
	v_and_b32_e32 v1, 0xffff, v1
	global_store_b32 v[2:3], v1, off
.LBB215_687:
	s_mov_b32 s44, 0
.LBB215_688:
	s_delay_alu instid0(SALU_CYCLE_1)
	s_and_not1_b32 vcc_lo, exec_lo, s44
	s_cbranch_vccnz .LBB215_697
; %bb.689:
	s_cmp_lt_i32 s43, 6
	s_mov_b32 s44, -1
	s_cbranch_scc1 .LBB215_695
; %bb.690:
	s_cmp_gt_i32 s43, 6
	s_cbranch_scc0 .LBB215_692
; %bb.691:
	s_wait_xcnt 0x0
	v_cndmask_b32_e64 v1, 0, 1, s27
	s_mov_b32 s44, 0
	s_delay_alu instid0(VALU_DEP_1)
	v_cvt_f64_u32_e32 v[4:5], v1
	global_store_b64 v[2:3], v[4:5], off
.LBB215_692:
	s_and_not1_b32 vcc_lo, exec_lo, s44
	s_cbranch_vccnz .LBB215_694
; %bb.693:
	s_wait_xcnt 0x0
	v_cndmask_b32_e64 v1, 0, 1.0, s27
	global_store_b32 v[2:3], v1, off
.LBB215_694:
	s_mov_b32 s44, 0
.LBB215_695:
	s_delay_alu instid0(SALU_CYCLE_1)
	s_and_not1_b32 vcc_lo, exec_lo, s44
	s_cbranch_vccnz .LBB215_697
; %bb.696:
	s_wait_xcnt 0x0
	v_cndmask_b32_e64 v1, 0, 1.0, s27
	s_delay_alu instid0(VALU_DEP_1)
	v_cvt_f16_f32_e32 v1, v1
	global_store_b16 v[2:3], v1, off
.LBB215_697:
	s_mov_b32 s44, 0
.LBB215_698:
	s_delay_alu instid0(SALU_CYCLE_1)
	s_and_not1_b32 vcc_lo, exec_lo, s44
	s_cbranch_vccnz .LBB215_714
; %bb.699:
	s_cmp_lt_i32 s43, 2
	s_mov_b32 s44, -1
	s_cbranch_scc1 .LBB215_709
; %bb.700:
	s_cmp_lt_i32 s43, 3
	s_cbranch_scc1 .LBB215_706
; %bb.701:
	s_cmp_gt_i32 s43, 3
	s_cbranch_scc0 .LBB215_703
; %bb.702:
	s_mov_b32 s44, 0
	s_wait_xcnt 0x0
	v_cndmask_b32_e64 v4, 0, 1, s27
	v_mov_b32_e32 v5, s44
	global_store_b64 v[2:3], v[4:5], off
.LBB215_703:
	s_and_not1_b32 vcc_lo, exec_lo, s44
	s_cbranch_vccnz .LBB215_705
; %bb.704:
	s_wait_xcnt 0x0
	v_cndmask_b32_e64 v1, 0, 1, s27
	global_store_b32 v[2:3], v1, off
.LBB215_705:
	s_mov_b32 s44, 0
.LBB215_706:
	s_delay_alu instid0(SALU_CYCLE_1)
	s_and_not1_b32 vcc_lo, exec_lo, s44
	s_cbranch_vccnz .LBB215_708
; %bb.707:
	s_wait_xcnt 0x0
	v_cndmask_b32_e64 v1, 0, 1, s27
	global_store_b16 v[2:3], v1, off
.LBB215_708:
	s_mov_b32 s44, 0
.LBB215_709:
	s_delay_alu instid0(SALU_CYCLE_1)
	s_and_not1_b32 vcc_lo, exec_lo, s44
	s_cbranch_vccnz .LBB215_714
; %bb.710:
	s_wait_xcnt 0x0
	v_cndmask_b32_e64 v1, 0, 1, s27
	s_cmp_gt_i32 s43, 0
	s_mov_b32 s27, -1
	s_cbranch_scc0 .LBB215_712
; %bb.711:
	s_mov_b32 s27, 0
	global_store_b8 v[2:3], v1, off
.LBB215_712:
	s_and_not1_b32 vcc_lo, exec_lo, s27
	s_cbranch_vccnz .LBB215_714
; %bb.713:
	global_store_b8 v[2:3], v1, off
.LBB215_714:
	s_mov_b32 s45, -1
.LBB215_715:
	s_mov_b32 s43, 0
	s_and_not1_b32 vcc_lo, exec_lo, s45
	s_mov_b32 s47, 0
	s_cbranch_vccnz .LBB215_717
; %bb.716:
	v_add_nc_u32_e32 v0, 0x80, v0
	s_mov_b32 s47, -1
.LBB215_717:
	s_and_not1_b32 s27, s39, exec_lo
	s_and_b32 s0, s0, exec_lo
	s_and_b32 s26, s26, exec_lo
	s_or_b32 s44, s27, s0
	s_and_not1_b32 s0, s40, exec_lo
	s_and_b32 s27, s43, exec_lo
	s_and_not1_b32 s43, s41, exec_lo
	s_or_b32 s45, s0, s27
	s_or_b32 s43, s43, s26
	s_or_not1_b32 s0, s47, exec_lo
.LBB215_718:
	s_wait_xcnt 0x0
	s_or_b32 exec_lo, exec_lo, s46
	s_mov_b32 s47, 0
	s_mov_b32 s48, 0
	;; [unrolled: 1-line block ×3, first 2 shown]
                                        ; implicit-def: $sgpr26
                                        ; implicit-def: $sgpr27
                                        ; implicit-def: $vgpr6_vgpr7
                                        ; implicit-def: $vgpr4
                                        ; implicit-def: $vgpr2
	s_and_saveexec_b32 s46, s0
	s_cbranch_execz .LBB215_1158
; %bb.719:
	s_mov_b32 s53, -1
	s_mov_b32 s0, s43
	s_mov_b32 s49, s45
	;; [unrolled: 1-line block ×3, first 2 shown]
	s_mov_b32 s47, exec_lo
	v_cmpx_gt_i32_e64 s37, v0
	s_cbranch_execz .LBB215_1082
; %bb.720:
	s_and_not1_b32 vcc_lo, exec_lo, s31
	s_cbranch_vccnz .LBB215_726
; %bb.721:
	s_and_not1_b32 vcc_lo, exec_lo, s38
	s_cbranch_vccnz .LBB215_727
; %bb.722:
	v_dual_mov_b32 v2, 0 :: v_dual_mov_b32 v1, v0
	v_dual_mov_b32 v6, 0 :: v_dual_mov_b32 v4, 0
	s_add_co_i32 s0, s36, 1
	s_mov_b64 s[26:27], 0xffffffffffffffe8
	s_and_b32 s0, s0, 30
	s_add_nc_u64 s[26:27], s[2:3], s[26:27]
.LBB215_723:                            ; =>This Inner Loop Header: Depth=1
	s_clause 0x1
	s_load_b128 s[48:51], s[26:27], 0x1c
	s_load_b64 s[56:57], s[26:27], 0x2c
	s_add_co_i32 s0, s0, -2
	s_delay_alu instid0(SALU_CYCLE_1) | instskip(SKIP_2) | instid1(VALU_DEP_1)
	s_cmp_eq_u32 s0, 0
	s_wait_kmcnt 0x0
	v_mul_hi_u32 v3, s49, v1
	v_add_nc_u32_e32 v3, v1, v3
	s_delay_alu instid0(VALU_DEP_1) | instskip(NEXT) | instid1(VALU_DEP_1)
	v_lshrrev_b32_e32 v3, s50, v3
	v_mul_hi_u32 v5, s56, v3
	v_mul_lo_u32 v7, v3, s48
	s_clause 0x1
	s_load_b128 s[52:55], s[26:27], 0xdc
	s_load_b64 s[48:49], s[26:27], 0xec
	s_wait_xcnt 0x0
	s_add_nc_u64 s[26:27], s[26:27], 24
	s_delay_alu instid0(VALU_DEP_1) | instskip(NEXT) | instid1(VALU_DEP_1)
	v_dual_add_nc_u32 v5, v3, v5 :: v_dual_sub_nc_u32 v7, v1, v7
	v_lshrrev_b32_e32 v1, s57, v5
	s_wait_kmcnt 0x0
	s_delay_alu instid0(VALU_DEP_2) | instskip(NEXT) | instid1(VALU_DEP_2)
	v_mad_u32 v2, v7, s52, v2
	v_mul_lo_u32 v5, v1, s51
	v_mad_u32 v4, v7, s54, v4
	v_mad_u32 v6, v7, s53, v6
	s_delay_alu instid0(VALU_DEP_3) | instskip(NEXT) | instid1(VALU_DEP_1)
	v_sub_nc_u32_e32 v3, v3, v5
	v_mad_u32 v2, v3, s55, v2
	s_delay_alu instid0(VALU_DEP_4) | instskip(NEXT) | instid1(VALU_DEP_4)
	v_mad_u32 v4, v3, s49, v4
	v_mad_u32 v6, v3, s48, v6
	s_cbranch_scc0 .LBB215_723
; %bb.724:
	s_bitcmp1_b32 s36, 0
	s_cselect_b32 s0, -1, 0
	s_delay_alu instid0(SALU_CYCLE_1)
	s_and_b32 vcc_lo, exec_lo, s0
	s_cbranch_vccnz .LBB215_728
; %bb.725:
	s_clause 0x1
	s_load_b96 s[48:50], s[26:27], 0x1c
	s_load_b96 s[52:54], s[26:27], 0xdc
	s_wait_kmcnt 0x0
	v_mul_hi_u32 v3, s49, v1
	s_delay_alu instid0(VALU_DEP_1) | instskip(NEXT) | instid1(VALU_DEP_1)
	v_add_nc_u32_e32 v3, v1, v3
	v_lshrrev_b32_e32 v3, s50, v3
	s_delay_alu instid0(VALU_DEP_1) | instskip(NEXT) | instid1(VALU_DEP_1)
	v_mul_lo_u32 v3, v3, s48
	v_sub_nc_u32_e32 v1, v1, v3
	s_delay_alu instid0(VALU_DEP_1)
	v_mad_u32 v2, v1, s52, v2
	v_mad_u32 v6, v1, s53, v6
	;; [unrolled: 1-line block ×3, first 2 shown]
	s_branch .LBB215_728
.LBB215_726:
	s_mov_b32 s0, -1
                                        ; implicit-def: $vgpr4
                                        ; implicit-def: $vgpr6
                                        ; implicit-def: $vgpr2
	s_branch .LBB215_729
.LBB215_727:
	v_dual_mov_b32 v4, 0 :: v_dual_mov_b32 v6, 0
	v_mov_b32_e32 v2, 0
.LBB215_728:
	s_mov_b32 s0, 0
.LBB215_729:
	s_delay_alu instid0(SALU_CYCLE_1)
	s_and_not1_b32 vcc_lo, exec_lo, s0
	s_cbranch_vccnz .LBB215_732
; %bb.730:
	v_mov_b32_e32 v1, 0
	s_and_not1_b32 vcc_lo, exec_lo, s35
	s_delay_alu instid0(VALU_DEP_1) | instskip(NEXT) | instid1(VALU_DEP_1)
	v_mul_u64_e32 v[2:3], s[20:21], v[0:1]
	v_add_nc_u32_e32 v2, v0, v3
	s_delay_alu instid0(VALU_DEP_1) | instskip(NEXT) | instid1(VALU_DEP_1)
	v_lshrrev_b32_e32 v8, s14, v2
	v_mul_lo_u32 v2, v8, s12
	s_delay_alu instid0(VALU_DEP_1) | instskip(NEXT) | instid1(VALU_DEP_1)
	v_sub_nc_u32_e32 v3, v0, v2
	v_mul_lo_u32 v2, v3, s16
	v_mul_lo_u32 v4, v3, s18
	;; [unrolled: 1-line block ×3, first 2 shown]
	s_cbranch_vccnz .LBB215_732
; %bb.731:
	v_mov_b32_e32 v9, v1
	s_delay_alu instid0(VALU_DEP_1) | instskip(NEXT) | instid1(VALU_DEP_1)
	v_mul_u64_e32 v[10:11], s[24:25], v[8:9]
	v_add_nc_u32_e32 v1, v8, v11
	s_delay_alu instid0(VALU_DEP_1) | instskip(NEXT) | instid1(VALU_DEP_1)
	v_lshrrev_b32_e32 v1, s1, v1
	v_mul_lo_u32 v1, v1, s15
	s_delay_alu instid0(VALU_DEP_1) | instskip(NEXT) | instid1(VALU_DEP_1)
	v_sub_nc_u32_e32 v1, v8, v1
	v_mad_u32 v2, v1, s19, v2
	v_mad_u32 v6, v1, s22, v6
	;; [unrolled: 1-line block ×3, first 2 shown]
.LBB215_732:
	v_mov_b32_e32 v7, 0
	s_and_b32 s0, s34, 0xff
	s_delay_alu instid0(SALU_CYCLE_1) | instskip(NEXT) | instid1(VALU_DEP_1)
	s_cmp_lt_i32 s0, 11
	v_add_nc_u64_e32 v[6:7], s[6:7], v[6:7]
	s_cbranch_scc1 .LBB215_739
; %bb.733:
	s_and_b32 s48, 0xffff, s0
	s_delay_alu instid0(SALU_CYCLE_1)
	s_cmp_gt_i32 s48, 25
	s_cbranch_scc0 .LBB215_740
; %bb.734:
	s_cmp_gt_i32 s48, 28
	s_cbranch_scc0 .LBB215_741
; %bb.735:
	;; [unrolled: 3-line block ×4, first 2 shown]
	s_cmp_eq_u32 s48, 46
	s_mov_b32 s50, 0
	s_cbranch_scc0 .LBB215_744
; %bb.738:
	global_load_b32 v1, v[6:7], off
	s_mov_b32 s26, 0
	s_mov_b32 s49, -1
	s_wait_loadcnt 0x0
	v_and_b32_e32 v1, 0x7fff7fff, v1
	s_delay_alu instid0(VALU_DEP_1)
	v_cmp_ne_u32_e64 s27, 0, v1
	s_branch .LBB215_746
.LBB215_739:
	s_mov_b32 s48, -1
	s_mov_b32 s49, 0
	s_mov_b32 s26, s43
                                        ; implicit-def: $sgpr27
	s_branch .LBB215_793
.LBB215_740:
	s_mov_b32 s50, -1
	s_mov_b32 s49, 0
	s_mov_b32 s26, s43
                                        ; implicit-def: $sgpr27
	s_branch .LBB215_767
.LBB215_741:
	s_mov_b32 s50, -1
	s_mov_b32 s49, 0
	s_mov_b32 s26, s43
                                        ; implicit-def: $sgpr27
	s_branch .LBB215_754
.LBB215_742:
	s_mov_b32 s50, -1
	s_mov_b32 s49, 0
	s_mov_b32 s26, s43
                                        ; implicit-def: $sgpr27
	s_branch .LBB215_749
.LBB215_743:
	s_mov_b32 s50, -1
	s_mov_b32 s49, 0
	s_mov_b32 s26, s43
	s_branch .LBB215_745
.LBB215_744:
	s_mov_b32 s26, -1
	s_mov_b32 s49, 0
.LBB215_745:
                                        ; implicit-def: $sgpr27
.LBB215_746:
	s_and_b32 vcc_lo, exec_lo, s50
	s_cbranch_vccz .LBB215_748
; %bb.747:
	s_cmp_eq_u32 s48, 44
	s_cselect_b32 s49, -1, 0
	s_or_b32 s27, s27, exec_lo
	s_or_b32 s26, s26, exec_lo
.LBB215_748:
	s_mov_b32 s50, 0
.LBB215_749:
	s_delay_alu instid0(SALU_CYCLE_1)
	s_and_b32 vcc_lo, exec_lo, s50
	s_cbranch_vccz .LBB215_753
; %bb.750:
	s_cmp_eq_u32 s48, 29
	s_cbranch_scc0 .LBB215_752
; %bb.751:
	global_load_b64 v[8:9], v[6:7], off
	s_mov_b32 s49, -1
	s_mov_b32 s26, 0
	s_mov_b32 s50, 0
	s_wait_loadcnt 0x0
	v_cmp_ne_u64_e64 s27, 0, v[8:9]
	s_branch .LBB215_754
.LBB215_752:
	s_mov_b32 s26, -1
                                        ; implicit-def: $sgpr27
.LBB215_753:
	s_mov_b32 s50, 0
.LBB215_754:
	s_delay_alu instid0(SALU_CYCLE_1)
	s_and_b32 vcc_lo, exec_lo, s50
	s_cbranch_vccz .LBB215_766
; %bb.755:
	s_cmp_lt_i32 s48, 27
	s_cbranch_scc1 .LBB215_758
; %bb.756:
	s_cmp_gt_i32 s48, 27
	s_cbranch_scc0 .LBB215_759
; %bb.757:
	global_load_b32 v1, v[6:7], off
	s_mov_b32 s49, 0
	s_wait_loadcnt 0x0
	v_cmp_ne_u32_e64 s27, 0, v1
	s_branch .LBB215_760
.LBB215_758:
	s_mov_b32 s49, -1
                                        ; implicit-def: $sgpr27
	s_branch .LBB215_763
.LBB215_759:
	s_mov_b32 s49, -1
                                        ; implicit-def: $sgpr27
.LBB215_760:
	s_delay_alu instid0(SALU_CYCLE_1)
	s_and_not1_b32 vcc_lo, exec_lo, s49
	s_cbranch_vccnz .LBB215_762
; %bb.761:
	global_load_u16 v1, v[6:7], off
	s_and_not1_b32 s27, s27, exec_lo
	s_wait_loadcnt 0x0
	v_cmp_ne_u16_e32 vcc_lo, 0, v1
	s_and_b32 s49, vcc_lo, exec_lo
	s_delay_alu instid0(SALU_CYCLE_1)
	s_or_b32 s27, s27, s49
.LBB215_762:
	s_mov_b32 s49, 0
.LBB215_763:
	s_delay_alu instid0(SALU_CYCLE_1)
	s_and_not1_b32 vcc_lo, exec_lo, s49
	s_cbranch_vccnz .LBB215_765
; %bb.764:
	global_load_u8 v1, v[6:7], off
	s_and_not1_b32 s27, s27, exec_lo
	s_wait_loadcnt 0x0
	v_cmp_ne_u16_e32 vcc_lo, 0, v1
	s_and_b32 s49, vcc_lo, exec_lo
	s_delay_alu instid0(SALU_CYCLE_1)
	s_or_b32 s27, s27, s49
.LBB215_765:
	s_mov_b32 s49, -1
.LBB215_766:
	s_mov_b32 s50, 0
.LBB215_767:
	s_delay_alu instid0(SALU_CYCLE_1)
	s_and_b32 vcc_lo, exec_lo, s50
	s_cbranch_vccz .LBB215_792
; %bb.768:
	s_cmp_gt_i32 s48, 22
	s_cbranch_scc0 .LBB215_772
; %bb.769:
	s_cmp_lt_i32 s48, 24
	s_cbranch_scc1 .LBB215_773
; %bb.770:
	s_cmp_gt_i32 s48, 24
	s_cbranch_scc0 .LBB215_774
; %bb.771:
	global_load_u8 v1, v[6:7], off
	s_mov_b32 s49, 0
	s_wait_loadcnt 0x0
	v_cmp_ne_u16_e64 s27, 0, v1
	s_branch .LBB215_775
.LBB215_772:
	s_mov_b32 s50, -1
                                        ; implicit-def: $sgpr27
	s_branch .LBB215_781
.LBB215_773:
	s_mov_b32 s49, -1
                                        ; implicit-def: $sgpr27
	s_branch .LBB215_778
.LBB215_774:
	s_mov_b32 s49, -1
                                        ; implicit-def: $sgpr27
.LBB215_775:
	s_delay_alu instid0(SALU_CYCLE_1)
	s_and_not1_b32 vcc_lo, exec_lo, s49
	s_cbranch_vccnz .LBB215_777
; %bb.776:
	global_load_u8 v1, v[6:7], off
	s_and_not1_b32 s27, s27, exec_lo
	s_wait_loadcnt 0x0
	v_and_b32_e32 v1, 0x7f, v1
	s_delay_alu instid0(VALU_DEP_1) | instskip(SKIP_1) | instid1(SALU_CYCLE_1)
	v_cmp_ne_u16_e32 vcc_lo, 0, v1
	s_and_b32 s49, vcc_lo, exec_lo
	s_or_b32 s27, s27, s49
.LBB215_777:
	s_mov_b32 s49, 0
.LBB215_778:
	s_delay_alu instid0(SALU_CYCLE_1)
	s_and_not1_b32 vcc_lo, exec_lo, s49
	s_cbranch_vccnz .LBB215_780
; %bb.779:
	global_load_u8 v1, v[6:7], off
	s_and_not1_b32 s27, s27, exec_lo
	s_wait_loadcnt 0x0
	v_dual_lshlrev_b32 v3, 25, v1 :: v_dual_lshlrev_b32 v1, 8, v1
	s_delay_alu instid0(VALU_DEP_1) | instskip(NEXT) | instid1(VALU_DEP_2)
	v_cmp_gt_u32_e32 vcc_lo, 0x8000000, v3
	v_and_or_b32 v1, 0x7f00, v1, 0.5
	s_delay_alu instid0(VALU_DEP_1) | instskip(NEXT) | instid1(VALU_DEP_1)
	v_dual_lshrrev_b32 v5, 4, v3 :: v_dual_add_f32 v1, -0.5, v1
	v_or_b32_e32 v5, 0x70000000, v5
	s_delay_alu instid0(VALU_DEP_1) | instskip(NEXT) | instid1(VALU_DEP_1)
	v_mul_f32_e32 v5, 0x7800000, v5
	v_cndmask_b32_e32 v1, v5, v1, vcc_lo
	s_delay_alu instid0(VALU_DEP_1) | instskip(SKIP_1) | instid1(SALU_CYCLE_1)
	v_cmp_neq_f32_e32 vcc_lo, 0, v1
	s_and_b32 s49, vcc_lo, exec_lo
	s_or_b32 s27, s27, s49
.LBB215_780:
	s_mov_b32 s50, 0
	s_mov_b32 s49, -1
.LBB215_781:
	s_and_not1_b32 vcc_lo, exec_lo, s50
	s_cbranch_vccnz .LBB215_792
; %bb.782:
	s_cmp_gt_i32 s48, 14
	s_cbranch_scc0 .LBB215_785
; %bb.783:
	s_cmp_eq_u32 s48, 15
	s_cbranch_scc0 .LBB215_786
; %bb.784:
	global_load_u16 v1, v[6:7], off
	s_mov_b32 s26, 0
	s_mov_b32 s49, -1
	s_wait_loadcnt 0x0
	v_and_b32_e32 v1, 0x7fff, v1
	s_delay_alu instid0(VALU_DEP_1)
	v_cmp_ne_u16_e64 s27, 0, v1
	s_branch .LBB215_787
.LBB215_785:
	s_mov_b32 s50, -1
                                        ; implicit-def: $sgpr27
	s_branch .LBB215_788
.LBB215_786:
	s_mov_b32 s26, -1
                                        ; implicit-def: $sgpr27
.LBB215_787:
	s_mov_b32 s50, 0
.LBB215_788:
	s_delay_alu instid0(SALU_CYCLE_1)
	s_and_b32 vcc_lo, exec_lo, s50
	s_cbranch_vccz .LBB215_792
; %bb.789:
	s_cmp_eq_u32 s48, 11
	s_cbranch_scc0 .LBB215_791
; %bb.790:
	global_load_u8 v1, v[6:7], off
	s_mov_b32 s26, 0
	s_mov_b32 s49, -1
	s_wait_loadcnt 0x0
	v_cmp_ne_u16_e64 s27, 0, v1
	s_branch .LBB215_792
.LBB215_791:
	s_mov_b32 s26, -1
                                        ; implicit-def: $sgpr27
.LBB215_792:
	s_mov_b32 s48, 0
.LBB215_793:
	s_delay_alu instid0(SALU_CYCLE_1)
	s_and_b32 vcc_lo, exec_lo, s48
	s_cbranch_vccz .LBB215_842
; %bb.794:
	s_and_b32 s48, 0xffff, s0
	s_delay_alu instid0(SALU_CYCLE_1)
	s_cmp_lt_i32 s48, 5
	s_cbranch_scc1 .LBB215_799
; %bb.795:
	s_cmp_lt_i32 s48, 8
	s_cbranch_scc1 .LBB215_800
; %bb.796:
	;; [unrolled: 3-line block ×3, first 2 shown]
	s_cmp_gt_i32 s48, 9
	s_cbranch_scc0 .LBB215_802
; %bb.798:
	global_load_b128 v[8:11], v[6:7], off
	s_wait_loadcnt 0x0
	v_cmp_neq_f64_e32 vcc_lo, 0, v[8:9]
	v_cmp_neq_f64_e64 s0, 0, v[10:11]
	s_or_b32 s27, vcc_lo, s0
	s_mov_b32 s0, 0
	s_branch .LBB215_803
.LBB215_799:
	s_mov_b32 s0, -1
                                        ; implicit-def: $sgpr27
	s_branch .LBB215_821
.LBB215_800:
	s_mov_b32 s0, -1
                                        ; implicit-def: $sgpr27
	s_branch .LBB215_809
.LBB215_801:
	s_mov_b32 s0, -1
                                        ; implicit-def: $sgpr27
	s_branch .LBB215_806
.LBB215_802:
	s_mov_b32 s0, -1
                                        ; implicit-def: $sgpr27
.LBB215_803:
	s_delay_alu instid0(SALU_CYCLE_1)
	s_and_not1_b32 vcc_lo, exec_lo, s0
	s_cbranch_vccnz .LBB215_805
; %bb.804:
	global_load_b64 v[8:9], v[6:7], off
	s_and_not1_b32 s0, s27, exec_lo
	s_wait_loadcnt 0x0
	v_bitop3_b32 v1, v8, 0x7fffffff, v9 bitop3:0xc8
	s_delay_alu instid0(VALU_DEP_1) | instskip(SKIP_1) | instid1(SALU_CYCLE_1)
	v_cmp_ne_u32_e32 vcc_lo, 0, v1
	s_and_b32 s27, vcc_lo, exec_lo
	s_or_b32 s27, s0, s27
.LBB215_805:
	s_mov_b32 s0, 0
.LBB215_806:
	s_delay_alu instid0(SALU_CYCLE_1)
	s_and_not1_b32 vcc_lo, exec_lo, s0
	s_cbranch_vccnz .LBB215_808
; %bb.807:
	global_load_b32 v1, v[6:7], off
	s_and_not1_b32 s0, s27, exec_lo
	s_wait_loadcnt 0x0
	v_and_b32_e32 v1, 0x7fff7fff, v1
	s_delay_alu instid0(VALU_DEP_1) | instskip(SKIP_1) | instid1(SALU_CYCLE_1)
	v_cmp_ne_u32_e32 vcc_lo, 0, v1
	s_and_b32 s27, vcc_lo, exec_lo
	s_or_b32 s27, s0, s27
.LBB215_808:
	s_mov_b32 s0, 0
.LBB215_809:
	s_delay_alu instid0(SALU_CYCLE_1)
	s_and_not1_b32 vcc_lo, exec_lo, s0
	s_cbranch_vccnz .LBB215_820
; %bb.810:
	s_cmp_lt_i32 s48, 6
	s_cbranch_scc1 .LBB215_813
; %bb.811:
	s_cmp_gt_i32 s48, 6
	s_cbranch_scc0 .LBB215_814
; %bb.812:
	global_load_b64 v[8:9], v[6:7], off
	s_mov_b32 s0, 0
	s_wait_loadcnt 0x0
	v_cmp_neq_f64_e64 s27, 0, v[8:9]
	s_branch .LBB215_815
.LBB215_813:
	s_mov_b32 s0, -1
                                        ; implicit-def: $sgpr27
	s_branch .LBB215_818
.LBB215_814:
	s_mov_b32 s0, -1
                                        ; implicit-def: $sgpr27
.LBB215_815:
	s_delay_alu instid0(SALU_CYCLE_1)
	s_and_not1_b32 vcc_lo, exec_lo, s0
	s_cbranch_vccnz .LBB215_817
; %bb.816:
	global_load_b32 v1, v[6:7], off
	s_and_not1_b32 s0, s27, exec_lo
	s_wait_loadcnt 0x0
	v_cmp_neq_f32_e32 vcc_lo, 0, v1
	s_and_b32 s27, vcc_lo, exec_lo
	s_delay_alu instid0(SALU_CYCLE_1)
	s_or_b32 s27, s0, s27
.LBB215_817:
	s_mov_b32 s0, 0
.LBB215_818:
	s_delay_alu instid0(SALU_CYCLE_1)
	s_and_not1_b32 vcc_lo, exec_lo, s0
	s_cbranch_vccnz .LBB215_820
; %bb.819:
	global_load_u16 v1, v[6:7], off
	s_and_not1_b32 s0, s27, exec_lo
	s_wait_loadcnt 0x0
	v_and_b32_e32 v1, 0x7fff, v1
	s_delay_alu instid0(VALU_DEP_1) | instskip(SKIP_1) | instid1(SALU_CYCLE_1)
	v_cmp_ne_u16_e32 vcc_lo, 0, v1
	s_and_b32 s27, vcc_lo, exec_lo
	s_or_b32 s27, s0, s27
.LBB215_820:
	s_mov_b32 s0, 0
.LBB215_821:
	s_delay_alu instid0(SALU_CYCLE_1)
	s_and_not1_b32 vcc_lo, exec_lo, s0
	s_cbranch_vccnz .LBB215_841
; %bb.822:
	s_cmp_lt_i32 s48, 2
	s_cbranch_scc1 .LBB215_826
; %bb.823:
	s_cmp_lt_i32 s48, 3
	s_cbranch_scc1 .LBB215_827
; %bb.824:
	s_cmp_gt_i32 s48, 3
	s_cbranch_scc0 .LBB215_828
; %bb.825:
	global_load_b64 v[8:9], v[6:7], off
	s_mov_b32 s0, 0
	s_wait_loadcnt 0x0
	v_cmp_ne_u64_e64 s27, 0, v[8:9]
	s_branch .LBB215_829
.LBB215_826:
	s_mov_b32 s0, -1
                                        ; implicit-def: $sgpr27
	s_branch .LBB215_835
.LBB215_827:
	s_mov_b32 s0, -1
                                        ; implicit-def: $sgpr27
	s_branch .LBB215_832
.LBB215_828:
	s_mov_b32 s0, -1
                                        ; implicit-def: $sgpr27
.LBB215_829:
	s_delay_alu instid0(SALU_CYCLE_1)
	s_and_not1_b32 vcc_lo, exec_lo, s0
	s_cbranch_vccnz .LBB215_831
; %bb.830:
	global_load_b32 v1, v[6:7], off
	s_and_not1_b32 s0, s27, exec_lo
	s_wait_loadcnt 0x0
	v_cmp_ne_u32_e32 vcc_lo, 0, v1
	s_and_b32 s27, vcc_lo, exec_lo
	s_delay_alu instid0(SALU_CYCLE_1)
	s_or_b32 s27, s0, s27
.LBB215_831:
	s_mov_b32 s0, 0
.LBB215_832:
	s_delay_alu instid0(SALU_CYCLE_1)
	s_and_not1_b32 vcc_lo, exec_lo, s0
	s_cbranch_vccnz .LBB215_834
; %bb.833:
	global_load_u16 v1, v[6:7], off
	s_and_not1_b32 s0, s27, exec_lo
	s_wait_loadcnt 0x0
	v_cmp_ne_u16_e32 vcc_lo, 0, v1
	s_and_b32 s27, vcc_lo, exec_lo
	s_delay_alu instid0(SALU_CYCLE_1)
	s_or_b32 s27, s0, s27
.LBB215_834:
	s_mov_b32 s0, 0
.LBB215_835:
	s_delay_alu instid0(SALU_CYCLE_1)
	s_and_not1_b32 vcc_lo, exec_lo, s0
	s_cbranch_vccnz .LBB215_841
; %bb.836:
	s_cmp_gt_i32 s48, 0
	s_mov_b32 s0, 0
	s_cbranch_scc0 .LBB215_838
; %bb.837:
	global_load_u8 v1, v[6:7], off
	s_wait_loadcnt 0x0
	v_cmp_ne_u16_e64 s27, 0, v1
	s_branch .LBB215_839
.LBB215_838:
	s_mov_b32 s0, -1
                                        ; implicit-def: $sgpr27
.LBB215_839:
	s_delay_alu instid0(SALU_CYCLE_1)
	s_and_not1_b32 vcc_lo, exec_lo, s0
	s_cbranch_vccnz .LBB215_841
; %bb.840:
	global_load_u8 v1, v[6:7], off
	s_and_not1_b32 s0, s27, exec_lo
	s_wait_loadcnt 0x0
	v_cmp_ne_u16_e32 vcc_lo, 0, v1
	s_and_b32 s27, vcc_lo, exec_lo
	s_delay_alu instid0(SALU_CYCLE_1)
	s_or_b32 s27, s0, s27
.LBB215_841:
	s_mov_b32 s49, -1
.LBB215_842:
	s_delay_alu instid0(SALU_CYCLE_1)
	s_and_not1_b32 vcc_lo, exec_lo, s49
	s_cbranch_vccnz .LBB215_850
; %bb.843:
	v_mov_b32_e32 v5, 0
	s_and_b32 s0, s13, 0xff
	s_delay_alu instid0(SALU_CYCLE_1) | instskip(NEXT) | instid1(VALU_DEP_1)
	s_cmp_lt_i32 s0, 11
	v_add_nc_u64_e32 v[4:5], s[8:9], v[4:5]
	s_cbranch_scc1 .LBB215_851
; %bb.844:
	s_and_b32 s26, 0xffff, s0
	s_delay_alu instid0(SALU_CYCLE_1)
	s_cmp_gt_i32 s26, 25
	s_cbranch_scc0 .LBB215_852
; %bb.845:
	s_cmp_gt_i32 s26, 28
	s_cbranch_scc0 .LBB215_853
; %bb.846:
	;; [unrolled: 3-line block ×4, first 2 shown]
	s_cmp_eq_u32 s26, 46
	s_mov_b32 s51, 0
	s_cbranch_scc0 .LBB215_860
; %bb.849:
	global_load_b32 v1, v[4:5], off
	s_mov_b32 s49, 0
	s_mov_b32 s50, -1
	s_wait_loadcnt 0x0
	v_and_b32_e32 v1, 0x7fff7fff, v1
	s_delay_alu instid0(VALU_DEP_1)
	v_cmp_ne_u32_e64 s48, 0, v1
	s_branch .LBB215_862
.LBB215_850:
	s_mov_b32 s50, 0
	s_mov_b32 s0, s44
	;; [unrolled: 1-line block ×3, first 2 shown]
                                        ; implicit-def: $vgpr0
	s_branch .LBB215_1081
.LBB215_851:
	s_mov_b32 s26, -1
	s_mov_b32 s50, 0
	s_mov_b32 s49, s45
                                        ; implicit-def: $sgpr48
	s_branch .LBB215_909
.LBB215_852:
	s_mov_b32 s51, -1
	s_mov_b32 s50, 0
	s_mov_b32 s49, s45
                                        ; implicit-def: $sgpr48
	s_branch .LBB215_883
.LBB215_853:
	s_mov_b32 s51, -1
	s_mov_b32 s50, 0
	s_mov_b32 s49, s45
                                        ; implicit-def: $sgpr48
	s_branch .LBB215_870
.LBB215_854:
	s_mov_b32 s51, -1
	s_mov_b32 s50, 0
	s_mov_b32 s49, s45
                                        ; implicit-def: $sgpr48
	s_branch .LBB215_865
.LBB215_855:
	s_mov_b32 s51, -1
	s_mov_b32 s50, 0
	s_mov_b32 s49, s45
	s_branch .LBB215_861
.LBB215_856:
	v_bfe_u32 v1, v4, 21, 1
	s_mov_b32 s43, exec_lo
	s_delay_alu instid0(VALU_DEP_1) | instskip(NEXT) | instid1(VALU_DEP_1)
	v_add3_u32 v1, v4, v1, 0x88fffff
                                        ; implicit-def: $vgpr4
	v_lshrrev_b32_e32 v1, 21, v1
	s_and_not1_saveexec_b32 s44, s44
	s_cbranch_execz .LBB215_278
.LBB215_857:
	v_add_f32_e32 v1, 0x42800000, v4
	s_and_not1_b32 s43, s43, exec_lo
	s_delay_alu instid0(VALU_DEP_1) | instskip(NEXT) | instid1(VALU_DEP_1)
	v_and_b32_e32 v1, 0xff, v1
	v_cmp_ne_u32_e32 vcc_lo, 0, v1
	s_and_b32 s45, vcc_lo, exec_lo
	s_delay_alu instid0(SALU_CYCLE_1)
	s_or_b32 s43, s43, s45
	s_or_b32 exec_lo, exec_lo, s44
	v_mov_b32_e32 v5, 0
	s_and_saveexec_b32 s44, s43
	s_cbranch_execnz .LBB215_279
	s_branch .LBB215_280
.LBB215_858:
	v_bfe_u32 v1, v4, 20, 1
	s_mov_b32 s47, exec_lo
	s_delay_alu instid0(VALU_DEP_1) | instskip(NEXT) | instid1(VALU_DEP_1)
	v_add3_u32 v1, v4, v1, 0x487ffff
                                        ; implicit-def: $vgpr4
	v_lshrrev_b32_e32 v1, 20, v1
	s_and_not1_saveexec_b32 s48, s48
	s_cbranch_execz .LBB215_628
.LBB215_859:
	v_add_f32_e32 v1, 0x46000000, v4
	s_and_not1_b32 s47, s47, exec_lo
	s_delay_alu instid0(VALU_DEP_1) | instskip(NEXT) | instid1(VALU_DEP_1)
	v_and_b32_e32 v1, 0xff, v1
	v_cmp_ne_u32_e32 vcc_lo, 0, v1
	s_and_b32 s49, vcc_lo, exec_lo
	s_delay_alu instid0(SALU_CYCLE_1)
	s_or_b32 s47, s47, s49
	s_or_b32 exec_lo, exec_lo, s48
	v_mov_b32_e32 v5, 0
	s_and_saveexec_b32 s48, s47
	s_cbranch_execnz .LBB215_629
	s_branch .LBB215_630
.LBB215_860:
	s_mov_b32 s49, -1
	s_mov_b32 s50, 0
.LBB215_861:
                                        ; implicit-def: $sgpr48
.LBB215_862:
	s_and_b32 vcc_lo, exec_lo, s51
	s_cbranch_vccz .LBB215_864
; %bb.863:
	s_cmp_eq_u32 s26, 44
	s_cselect_b32 s50, -1, 0
	s_or_b32 s48, s48, exec_lo
	s_or_b32 s49, s49, exec_lo
.LBB215_864:
	s_mov_b32 s51, 0
.LBB215_865:
	s_delay_alu instid0(SALU_CYCLE_1)
	s_and_b32 vcc_lo, exec_lo, s51
	s_cbranch_vccz .LBB215_869
; %bb.866:
	s_cmp_eq_u32 s26, 29
	s_cbranch_scc0 .LBB215_868
; %bb.867:
	global_load_b64 v[6:7], v[4:5], off
	s_mov_b32 s50, -1
	s_mov_b32 s49, 0
	s_mov_b32 s51, 0
	s_wait_loadcnt 0x0
	v_cmp_ne_u64_e64 s48, 0, v[6:7]
	s_branch .LBB215_870
.LBB215_868:
	s_mov_b32 s49, -1
                                        ; implicit-def: $sgpr48
.LBB215_869:
	s_mov_b32 s51, 0
.LBB215_870:
	s_delay_alu instid0(SALU_CYCLE_1)
	s_and_b32 vcc_lo, exec_lo, s51
	s_cbranch_vccz .LBB215_882
; %bb.871:
	s_cmp_lt_i32 s26, 27
	s_cbranch_scc1 .LBB215_874
; %bb.872:
	s_cmp_gt_i32 s26, 27
	s_cbranch_scc0 .LBB215_875
; %bb.873:
	global_load_b32 v1, v[4:5], off
	s_mov_b32 s50, 0
	s_wait_loadcnt 0x0
	v_cmp_ne_u32_e64 s48, 0, v1
	s_branch .LBB215_876
.LBB215_874:
	s_mov_b32 s50, -1
                                        ; implicit-def: $sgpr48
	s_branch .LBB215_879
.LBB215_875:
	s_mov_b32 s50, -1
                                        ; implicit-def: $sgpr48
.LBB215_876:
	s_delay_alu instid0(SALU_CYCLE_1)
	s_and_not1_b32 vcc_lo, exec_lo, s50
	s_cbranch_vccnz .LBB215_878
; %bb.877:
	global_load_u16 v1, v[4:5], off
	s_and_not1_b32 s48, s48, exec_lo
	s_wait_loadcnt 0x0
	v_cmp_ne_u16_e32 vcc_lo, 0, v1
	s_and_b32 s50, vcc_lo, exec_lo
	s_delay_alu instid0(SALU_CYCLE_1)
	s_or_b32 s48, s48, s50
.LBB215_878:
	s_mov_b32 s50, 0
.LBB215_879:
	s_delay_alu instid0(SALU_CYCLE_1)
	s_and_not1_b32 vcc_lo, exec_lo, s50
	s_cbranch_vccnz .LBB215_881
; %bb.880:
	global_load_u8 v1, v[4:5], off
	s_and_not1_b32 s48, s48, exec_lo
	s_wait_loadcnt 0x0
	v_cmp_ne_u16_e32 vcc_lo, 0, v1
	s_and_b32 s50, vcc_lo, exec_lo
	s_delay_alu instid0(SALU_CYCLE_1)
	s_or_b32 s48, s48, s50
.LBB215_881:
	s_mov_b32 s50, -1
.LBB215_882:
	s_mov_b32 s51, 0
.LBB215_883:
	s_delay_alu instid0(SALU_CYCLE_1)
	s_and_b32 vcc_lo, exec_lo, s51
	s_cbranch_vccz .LBB215_908
; %bb.884:
	s_cmp_gt_i32 s26, 22
	s_cbranch_scc0 .LBB215_888
; %bb.885:
	s_cmp_lt_i32 s26, 24
	s_cbranch_scc1 .LBB215_889
; %bb.886:
	s_cmp_gt_i32 s26, 24
	s_cbranch_scc0 .LBB215_890
; %bb.887:
	global_load_u8 v1, v[4:5], off
	s_mov_b32 s50, 0
	s_wait_loadcnt 0x0
	v_cmp_ne_u16_e64 s48, 0, v1
	s_branch .LBB215_891
.LBB215_888:
	s_mov_b32 s51, -1
                                        ; implicit-def: $sgpr48
	s_branch .LBB215_897
.LBB215_889:
	s_mov_b32 s50, -1
                                        ; implicit-def: $sgpr48
	s_branch .LBB215_894
.LBB215_890:
	s_mov_b32 s50, -1
                                        ; implicit-def: $sgpr48
.LBB215_891:
	s_delay_alu instid0(SALU_CYCLE_1)
	s_and_not1_b32 vcc_lo, exec_lo, s50
	s_cbranch_vccnz .LBB215_893
; %bb.892:
	global_load_u8 v1, v[4:5], off
	s_and_not1_b32 s48, s48, exec_lo
	s_wait_loadcnt 0x0
	v_and_b32_e32 v1, 0x7f, v1
	s_delay_alu instid0(VALU_DEP_1) | instskip(SKIP_1) | instid1(SALU_CYCLE_1)
	v_cmp_ne_u16_e32 vcc_lo, 0, v1
	s_and_b32 s50, vcc_lo, exec_lo
	s_or_b32 s48, s48, s50
.LBB215_893:
	s_mov_b32 s50, 0
.LBB215_894:
	s_delay_alu instid0(SALU_CYCLE_1)
	s_and_not1_b32 vcc_lo, exec_lo, s50
	s_cbranch_vccnz .LBB215_896
; %bb.895:
	global_load_u8 v1, v[4:5], off
	s_and_not1_b32 s48, s48, exec_lo
	s_wait_loadcnt 0x0
	v_dual_lshlrev_b32 v3, 25, v1 :: v_dual_lshlrev_b32 v1, 8, v1
	s_delay_alu instid0(VALU_DEP_1) | instskip(NEXT) | instid1(VALU_DEP_2)
	v_cmp_gt_u32_e32 vcc_lo, 0x8000000, v3
	v_and_or_b32 v1, 0x7f00, v1, 0.5
	s_wait_xcnt 0x1
	s_delay_alu instid0(VALU_DEP_1) | instskip(NEXT) | instid1(VALU_DEP_1)
	v_dual_add_f32 v1, -0.5, v1 :: v_dual_lshrrev_b32 v6, 4, v3
	v_or_b32_e32 v6, 0x70000000, v6
	s_delay_alu instid0(VALU_DEP_1) | instskip(NEXT) | instid1(VALU_DEP_1)
	v_mul_f32_e32 v6, 0x7800000, v6
	v_cndmask_b32_e32 v1, v6, v1, vcc_lo
	s_delay_alu instid0(VALU_DEP_1) | instskip(SKIP_1) | instid1(SALU_CYCLE_1)
	v_cmp_neq_f32_e32 vcc_lo, 0, v1
	s_and_b32 s50, vcc_lo, exec_lo
	s_or_b32 s48, s48, s50
.LBB215_896:
	s_mov_b32 s51, 0
	s_mov_b32 s50, -1
.LBB215_897:
	s_and_not1_b32 vcc_lo, exec_lo, s51
	s_cbranch_vccnz .LBB215_908
; %bb.898:
	s_cmp_gt_i32 s26, 14
	s_cbranch_scc0 .LBB215_901
; %bb.899:
	s_cmp_eq_u32 s26, 15
	s_cbranch_scc0 .LBB215_902
; %bb.900:
	global_load_u16 v1, v[4:5], off
	s_mov_b32 s49, 0
	s_mov_b32 s50, -1
	s_wait_loadcnt 0x0
	v_and_b32_e32 v1, 0x7fff, v1
	s_delay_alu instid0(VALU_DEP_1)
	v_cmp_ne_u16_e64 s48, 0, v1
	s_branch .LBB215_903
.LBB215_901:
	s_mov_b32 s51, -1
                                        ; implicit-def: $sgpr48
	s_branch .LBB215_904
.LBB215_902:
	s_mov_b32 s49, -1
                                        ; implicit-def: $sgpr48
.LBB215_903:
	s_mov_b32 s51, 0
.LBB215_904:
	s_delay_alu instid0(SALU_CYCLE_1)
	s_and_b32 vcc_lo, exec_lo, s51
	s_cbranch_vccz .LBB215_908
; %bb.905:
	s_cmp_eq_u32 s26, 11
	s_cbranch_scc0 .LBB215_907
; %bb.906:
	global_load_u8 v1, v[4:5], off
	s_mov_b32 s49, 0
	s_mov_b32 s50, -1
	s_wait_loadcnt 0x0
	v_cmp_ne_u16_e64 s48, 0, v1
	s_branch .LBB215_908
.LBB215_907:
	s_mov_b32 s49, -1
                                        ; implicit-def: $sgpr48
.LBB215_908:
	s_mov_b32 s26, 0
.LBB215_909:
	s_delay_alu instid0(SALU_CYCLE_1)
	s_and_b32 vcc_lo, exec_lo, s26
	s_cbranch_vccz .LBB215_958
; %bb.910:
	s_and_b32 s26, 0xffff, s0
	s_delay_alu instid0(SALU_CYCLE_1)
	s_cmp_lt_i32 s26, 5
	s_cbranch_scc1 .LBB215_915
; %bb.911:
	s_cmp_lt_i32 s26, 8
	s_cbranch_scc1 .LBB215_916
; %bb.912:
	;; [unrolled: 3-line block ×3, first 2 shown]
	s_cmp_gt_i32 s26, 9
	s_cbranch_scc0 .LBB215_918
; %bb.914:
	global_load_b128 v[6:9], v[4:5], off
	s_wait_loadcnt 0x0
	v_cmp_neq_f64_e32 vcc_lo, 0, v[6:7]
	v_cmp_neq_f64_e64 s0, 0, v[8:9]
	s_or_b32 s48, vcc_lo, s0
	s_mov_b32 s0, 0
	s_branch .LBB215_919
.LBB215_915:
	s_mov_b32 s0, -1
                                        ; implicit-def: $sgpr48
	s_branch .LBB215_937
.LBB215_916:
	s_mov_b32 s0, -1
                                        ; implicit-def: $sgpr48
	s_branch .LBB215_925
.LBB215_917:
	s_mov_b32 s0, -1
                                        ; implicit-def: $sgpr48
	s_branch .LBB215_922
.LBB215_918:
	s_mov_b32 s0, -1
                                        ; implicit-def: $sgpr48
.LBB215_919:
	s_delay_alu instid0(SALU_CYCLE_1)
	s_and_not1_b32 vcc_lo, exec_lo, s0
	s_cbranch_vccnz .LBB215_921
; %bb.920:
	global_load_b64 v[6:7], v[4:5], off
	s_and_not1_b32 s0, s48, exec_lo
	s_wait_loadcnt 0x0
	v_bitop3_b32 v1, v6, 0x7fffffff, v7 bitop3:0xc8
	s_delay_alu instid0(VALU_DEP_1) | instskip(SKIP_1) | instid1(SALU_CYCLE_1)
	v_cmp_ne_u32_e32 vcc_lo, 0, v1
	s_and_b32 s48, vcc_lo, exec_lo
	s_or_b32 s48, s0, s48
.LBB215_921:
	s_mov_b32 s0, 0
.LBB215_922:
	s_delay_alu instid0(SALU_CYCLE_1)
	s_and_not1_b32 vcc_lo, exec_lo, s0
	s_cbranch_vccnz .LBB215_924
; %bb.923:
	global_load_b32 v1, v[4:5], off
	s_and_not1_b32 s0, s48, exec_lo
	s_wait_loadcnt 0x0
	v_and_b32_e32 v1, 0x7fff7fff, v1
	s_delay_alu instid0(VALU_DEP_1) | instskip(SKIP_1) | instid1(SALU_CYCLE_1)
	v_cmp_ne_u32_e32 vcc_lo, 0, v1
	s_and_b32 s48, vcc_lo, exec_lo
	s_or_b32 s48, s0, s48
.LBB215_924:
	s_mov_b32 s0, 0
.LBB215_925:
	s_delay_alu instid0(SALU_CYCLE_1)
	s_and_not1_b32 vcc_lo, exec_lo, s0
	s_cbranch_vccnz .LBB215_936
; %bb.926:
	s_cmp_lt_i32 s26, 6
	s_cbranch_scc1 .LBB215_929
; %bb.927:
	s_cmp_gt_i32 s26, 6
	s_cbranch_scc0 .LBB215_930
; %bb.928:
	global_load_b64 v[6:7], v[4:5], off
	s_mov_b32 s0, 0
	s_wait_loadcnt 0x0
	v_cmp_neq_f64_e64 s48, 0, v[6:7]
	s_branch .LBB215_931
.LBB215_929:
	s_mov_b32 s0, -1
                                        ; implicit-def: $sgpr48
	s_branch .LBB215_934
.LBB215_930:
	s_mov_b32 s0, -1
                                        ; implicit-def: $sgpr48
.LBB215_931:
	s_delay_alu instid0(SALU_CYCLE_1)
	s_and_not1_b32 vcc_lo, exec_lo, s0
	s_cbranch_vccnz .LBB215_933
; %bb.932:
	global_load_b32 v1, v[4:5], off
	s_and_not1_b32 s0, s48, exec_lo
	s_wait_loadcnt 0x0
	v_cmp_neq_f32_e32 vcc_lo, 0, v1
	s_and_b32 s48, vcc_lo, exec_lo
	s_delay_alu instid0(SALU_CYCLE_1)
	s_or_b32 s48, s0, s48
.LBB215_933:
	s_mov_b32 s0, 0
.LBB215_934:
	s_delay_alu instid0(SALU_CYCLE_1)
	s_and_not1_b32 vcc_lo, exec_lo, s0
	s_cbranch_vccnz .LBB215_936
; %bb.935:
	global_load_u16 v1, v[4:5], off
	s_and_not1_b32 s0, s48, exec_lo
	s_wait_loadcnt 0x0
	v_and_b32_e32 v1, 0x7fff, v1
	s_delay_alu instid0(VALU_DEP_1) | instskip(SKIP_1) | instid1(SALU_CYCLE_1)
	v_cmp_ne_u16_e32 vcc_lo, 0, v1
	s_and_b32 s48, vcc_lo, exec_lo
	s_or_b32 s48, s0, s48
.LBB215_936:
	s_mov_b32 s0, 0
.LBB215_937:
	s_delay_alu instid0(SALU_CYCLE_1)
	s_and_not1_b32 vcc_lo, exec_lo, s0
	s_cbranch_vccnz .LBB215_957
; %bb.938:
	s_cmp_lt_i32 s26, 2
	s_cbranch_scc1 .LBB215_942
; %bb.939:
	s_cmp_lt_i32 s26, 3
	s_cbranch_scc1 .LBB215_943
; %bb.940:
	s_cmp_gt_i32 s26, 3
	s_cbranch_scc0 .LBB215_944
; %bb.941:
	global_load_b64 v[6:7], v[4:5], off
	s_mov_b32 s0, 0
	s_wait_loadcnt 0x0
	v_cmp_ne_u64_e64 s48, 0, v[6:7]
	s_branch .LBB215_945
.LBB215_942:
	s_mov_b32 s0, -1
                                        ; implicit-def: $sgpr48
	s_branch .LBB215_951
.LBB215_943:
	s_mov_b32 s0, -1
                                        ; implicit-def: $sgpr48
	s_branch .LBB215_948
.LBB215_944:
	s_mov_b32 s0, -1
                                        ; implicit-def: $sgpr48
.LBB215_945:
	s_delay_alu instid0(SALU_CYCLE_1)
	s_and_not1_b32 vcc_lo, exec_lo, s0
	s_cbranch_vccnz .LBB215_947
; %bb.946:
	global_load_b32 v1, v[4:5], off
	s_and_not1_b32 s0, s48, exec_lo
	s_wait_loadcnt 0x0
	v_cmp_ne_u32_e32 vcc_lo, 0, v1
	s_and_b32 s48, vcc_lo, exec_lo
	s_delay_alu instid0(SALU_CYCLE_1)
	s_or_b32 s48, s0, s48
.LBB215_947:
	s_mov_b32 s0, 0
.LBB215_948:
	s_delay_alu instid0(SALU_CYCLE_1)
	s_and_not1_b32 vcc_lo, exec_lo, s0
	s_cbranch_vccnz .LBB215_950
; %bb.949:
	global_load_u16 v1, v[4:5], off
	s_and_not1_b32 s0, s48, exec_lo
	s_wait_loadcnt 0x0
	v_cmp_ne_u16_e32 vcc_lo, 0, v1
	s_and_b32 s48, vcc_lo, exec_lo
	s_delay_alu instid0(SALU_CYCLE_1)
	s_or_b32 s48, s0, s48
.LBB215_950:
	s_mov_b32 s0, 0
.LBB215_951:
	s_delay_alu instid0(SALU_CYCLE_1)
	s_and_not1_b32 vcc_lo, exec_lo, s0
	s_cbranch_vccnz .LBB215_957
; %bb.952:
	s_cmp_gt_i32 s26, 0
	s_mov_b32 s0, 0
	s_cbranch_scc0 .LBB215_954
; %bb.953:
	global_load_u8 v1, v[4:5], off
	s_wait_loadcnt 0x0
	v_cmp_ne_u16_e64 s48, 0, v1
	s_branch .LBB215_955
.LBB215_954:
	s_mov_b32 s0, -1
                                        ; implicit-def: $sgpr48
.LBB215_955:
	s_delay_alu instid0(SALU_CYCLE_1)
	s_and_not1_b32 vcc_lo, exec_lo, s0
	s_cbranch_vccnz .LBB215_957
; %bb.956:
	global_load_u8 v1, v[4:5], off
	s_and_not1_b32 s0, s48, exec_lo
	s_wait_loadcnt 0x0
	v_cmp_ne_u16_e32 vcc_lo, 0, v1
	s_and_b32 s26, vcc_lo, exec_lo
	s_delay_alu instid0(SALU_CYCLE_1)
	s_or_b32 s48, s0, s26
.LBB215_957:
	s_mov_b32 s50, -1
.LBB215_958:
	s_mov_b32 s26, 0
	s_and_not1_b32 vcc_lo, exec_lo, s50
	s_mov_b32 s0, s44
	s_mov_b32 s50, 0
	s_cbranch_vccnz .LBB215_1081
; %bb.959:
	v_mov_b32_e32 v3, 0
	s_delay_alu instid0(VALU_DEP_2)
	s_xor_b32 s0, s27, s48
	s_and_b32 s48, s11, 0xff
	s_xor_b32 s27, s10, s0
	s_cmp_lt_i32 s48, 11
	v_add_nc_u64_e32 v[2:3], s[4:5], v[2:3]
	s_cbranch_scc1 .LBB215_966
; %bb.960:
	s_and_b32 s49, 0xffff, s48
	s_delay_alu instid0(SALU_CYCLE_1)
	s_cmp_gt_i32 s49, 25
	s_cbranch_scc0 .LBB215_967
; %bb.961:
	s_cmp_gt_i32 s49, 28
	s_cbranch_scc0 .LBB215_968
; %bb.962:
	;; [unrolled: 3-line block ×4, first 2 shown]
	s_mov_b32 s51, 0
	s_mov_b32 s0, -1
	s_cmp_eq_u32 s49, 46
	s_cbranch_scc0 .LBB215_971
; %bb.965:
	v_cndmask_b32_e64 v1, 0, 1.0, s27
	s_mov_b32 s50, -1
	s_mov_b32 s0, 0
	s_wait_xcnt 0x0
	s_delay_alu instid0(VALU_DEP_1) | instskip(NEXT) | instid1(VALU_DEP_1)
	v_bfe_u32 v4, v1, 16, 1
	v_add3_u32 v1, v1, v4, 0x7fff
	s_delay_alu instid0(VALU_DEP_1)
	v_lshrrev_b32_e32 v1, 16, v1
	global_store_b32 v[2:3], v1, off
	s_branch .LBB215_971
.LBB215_966:
	s_mov_b32 s49, -1
	s_mov_b32 s0, s44
	s_branch .LBB215_1040
.LBB215_967:
	s_mov_b32 s51, -1
	s_mov_b32 s0, s44
	s_branch .LBB215_998
.LBB215_968:
	s_mov_b32 s51, -1
	s_mov_b32 s0, s44
	s_branch .LBB215_981
.LBB215_969:
	s_mov_b32 s51, -1
	s_mov_b32 s0, s44
	s_branch .LBB215_977
.LBB215_970:
	s_mov_b32 s51, -1
	s_mov_b32 s0, s44
.LBB215_971:
	s_and_b32 vcc_lo, exec_lo, s51
	s_cbranch_vccz .LBB215_976
; %bb.972:
	s_cmp_eq_u32 s49, 44
	s_mov_b32 s0, -1
	s_cbranch_scc0 .LBB215_976
; %bb.973:
	s_wait_xcnt 0x0
	v_cndmask_b32_e64 v5, 0, 1.0, s27
	s_mov_b32 s50, exec_lo
	s_delay_alu instid0(VALU_DEP_1) | instskip(NEXT) | instid1(VALU_DEP_1)
	v_dual_mov_b32 v4, 0xff :: v_dual_lshrrev_b32 v1, 23, v5
	v_cmpx_ne_u32_e32 0xff, v1
; %bb.974:
	v_and_b32_e32 v4, 0x400000, v5
	v_and_or_b32 v5, 0x3fffff, v5, v1
	s_delay_alu instid0(VALU_DEP_2) | instskip(NEXT) | instid1(VALU_DEP_2)
	v_cmp_ne_u32_e32 vcc_lo, 0, v4
	v_cmp_ne_u32_e64 s0, 0, v5
	s_and_b32 s0, vcc_lo, s0
	s_delay_alu instid0(SALU_CYCLE_1) | instskip(NEXT) | instid1(VALU_DEP_1)
	v_cndmask_b32_e64 v4, 0, 1, s0
	v_add_nc_u32_e32 v4, v1, v4
; %bb.975:
	s_or_b32 exec_lo, exec_lo, s50
	s_mov_b32 s50, -1
	s_mov_b32 s0, 0
	global_store_b8 v[2:3], v4, off
.LBB215_976:
	s_mov_b32 s51, 0
.LBB215_977:
	s_delay_alu instid0(SALU_CYCLE_1)
	s_and_b32 vcc_lo, exec_lo, s51
	s_cbranch_vccz .LBB215_980
; %bb.978:
	s_cmp_eq_u32 s49, 29
	s_mov_b32 s0, -1
	s_cbranch_scc0 .LBB215_980
; %bb.979:
	s_mov_b32 s0, 0
	s_wait_xcnt 0x0
	v_cndmask_b32_e64 v4, 0, 1, s27
	v_mov_b32_e32 v5, s0
	s_mov_b32 s50, -1
	s_mov_b32 s51, 0
	global_store_b64 v[2:3], v[4:5], off
	s_branch .LBB215_981
.LBB215_980:
	s_mov_b32 s51, 0
.LBB215_981:
	s_delay_alu instid0(SALU_CYCLE_1)
	s_and_b32 vcc_lo, exec_lo, s51
	s_cbranch_vccz .LBB215_997
; %bb.982:
	s_cmp_lt_i32 s49, 27
	s_mov_b32 s50, -1
	s_cbranch_scc1 .LBB215_988
; %bb.983:
	s_cmp_gt_i32 s49, 27
	s_cbranch_scc0 .LBB215_985
; %bb.984:
	s_wait_xcnt 0x0
	v_cndmask_b32_e64 v1, 0, 1, s27
	s_mov_b32 s50, 0
	global_store_b32 v[2:3], v1, off
.LBB215_985:
	s_and_not1_b32 vcc_lo, exec_lo, s50
	s_cbranch_vccnz .LBB215_987
; %bb.986:
	s_wait_xcnt 0x0
	v_cndmask_b32_e64 v1, 0, 1, s27
	global_store_b16 v[2:3], v1, off
.LBB215_987:
	s_mov_b32 s50, 0
.LBB215_988:
	s_delay_alu instid0(SALU_CYCLE_1)
	s_and_not1_b32 vcc_lo, exec_lo, s50
	s_cbranch_vccnz .LBB215_996
; %bb.989:
	s_wait_xcnt 0x0
	v_cndmask_b32_e64 v4, 0, 1.0, s27
	v_mov_b32_e32 v5, 0x80
	s_mov_b32 s50, exec_lo
	s_delay_alu instid0(VALU_DEP_2)
	v_cmpx_gt_u32_e32 0x43800000, v4
	s_cbranch_execz .LBB215_995
; %bb.990:
	s_mov_b32 s51, 0
	s_mov_b32 s52, exec_lo
                                        ; implicit-def: $vgpr1
	v_cmpx_lt_u32_e32 0x3bffffff, v4
	s_xor_b32 s52, exec_lo, s52
	s_cbranch_execnz .LBB215_2054
; %bb.991:
	s_and_not1_saveexec_b32 s52, s52
	s_cbranch_execnz .LBB215_2055
.LBB215_992:
	s_or_b32 exec_lo, exec_lo, s52
	v_mov_b32_e32 v5, 0
	s_and_saveexec_b32 s52, s51
.LBB215_993:
	v_mov_b32_e32 v5, v1
.LBB215_994:
	s_or_b32 exec_lo, exec_lo, s52
.LBB215_995:
	s_delay_alu instid0(SALU_CYCLE_1)
	s_or_b32 exec_lo, exec_lo, s50
	global_store_b8 v[2:3], v5, off
.LBB215_996:
	s_mov_b32 s50, -1
.LBB215_997:
	s_mov_b32 s51, 0
.LBB215_998:
	s_delay_alu instid0(SALU_CYCLE_1)
	s_and_b32 vcc_lo, exec_lo, s51
	s_cbranch_vccz .LBB215_1039
; %bb.999:
	s_cmp_gt_i32 s49, 22
	s_mov_b32 s51, -1
	s_cbranch_scc0 .LBB215_1031
; %bb.1000:
	s_cmp_lt_i32 s49, 24
	s_mov_b32 s50, -1
	s_cbranch_scc1 .LBB215_1020
; %bb.1001:
	s_cmp_gt_i32 s49, 24
	s_cbranch_scc0 .LBB215_1009
; %bb.1002:
	s_wait_xcnt 0x0
	v_cndmask_b32_e64 v4, 0, 1.0, s27
	v_mov_b32_e32 v5, 0x80
	s_mov_b32 s50, exec_lo
	s_delay_alu instid0(VALU_DEP_2)
	v_cmpx_gt_u32_e32 0x47800000, v4
	s_cbranch_execz .LBB215_1008
; %bb.1003:
	s_mov_b32 s51, 0
	s_mov_b32 s52, exec_lo
                                        ; implicit-def: $vgpr1
	v_cmpx_lt_u32_e32 0x37ffffff, v4
	s_xor_b32 s52, exec_lo, s52
	s_cbranch_execnz .LBB215_2169
; %bb.1004:
	s_and_not1_saveexec_b32 s52, s52
	s_cbranch_execnz .LBB215_2170
.LBB215_1005:
	s_or_b32 exec_lo, exec_lo, s52
	v_mov_b32_e32 v5, 0
	s_and_saveexec_b32 s52, s51
.LBB215_1006:
	v_mov_b32_e32 v5, v1
.LBB215_1007:
	s_or_b32 exec_lo, exec_lo, s52
.LBB215_1008:
	s_delay_alu instid0(SALU_CYCLE_1)
	s_or_b32 exec_lo, exec_lo, s50
	s_mov_b32 s50, 0
	global_store_b8 v[2:3], v5, off
.LBB215_1009:
	s_and_b32 vcc_lo, exec_lo, s50
	s_cbranch_vccz .LBB215_1019
; %bb.1010:
	s_wait_xcnt 0x0
	v_cndmask_b32_e64 v4, 0, 1.0, s27
	s_mov_b32 s50, exec_lo
                                        ; implicit-def: $vgpr1
	s_delay_alu instid0(VALU_DEP_1)
	v_cmpx_gt_u32_e32 0x43f00000, v4
	s_xor_b32 s50, exec_lo, s50
	s_cbranch_execz .LBB215_1016
; %bb.1011:
	s_mov_b32 s51, exec_lo
                                        ; implicit-def: $vgpr1
	v_cmpx_lt_u32_e32 0x3c7fffff, v4
	s_xor_b32 s51, exec_lo, s51
; %bb.1012:
	v_bfe_u32 v1, v4, 20, 1
	s_delay_alu instid0(VALU_DEP_1) | instskip(NEXT) | instid1(VALU_DEP_1)
	v_add3_u32 v1, v4, v1, 0x407ffff
	v_and_b32_e32 v4, 0xff00000, v1
	v_lshrrev_b32_e32 v1, 20, v1
	s_delay_alu instid0(VALU_DEP_2) | instskip(NEXT) | instid1(VALU_DEP_2)
	v_cmp_ne_u32_e32 vcc_lo, 0x7f00000, v4
                                        ; implicit-def: $vgpr4
	v_cndmask_b32_e32 v1, 0x7e, v1, vcc_lo
; %bb.1013:
	s_and_not1_saveexec_b32 s51, s51
; %bb.1014:
	v_add_f32_e32 v1, 0x46800000, v4
; %bb.1015:
	s_or_b32 exec_lo, exec_lo, s51
                                        ; implicit-def: $vgpr4
.LBB215_1016:
	s_and_not1_saveexec_b32 s50, s50
; %bb.1017:
	v_mov_b32_e32 v1, 0x7f
	v_cmp_lt_u32_e32 vcc_lo, 0x7f800000, v4
	s_delay_alu instid0(VALU_DEP_2)
	v_cndmask_b32_e32 v1, 0x7e, v1, vcc_lo
; %bb.1018:
	s_or_b32 exec_lo, exec_lo, s50
	global_store_b8 v[2:3], v1, off
.LBB215_1019:
	s_mov_b32 s50, 0
.LBB215_1020:
	s_delay_alu instid0(SALU_CYCLE_1)
	s_and_not1_b32 vcc_lo, exec_lo, s50
	s_cbranch_vccnz .LBB215_1030
; %bb.1021:
	s_wait_xcnt 0x0
	v_cndmask_b32_e64 v4, 0, 1.0, s27
	s_mov_b32 s50, exec_lo
                                        ; implicit-def: $vgpr1
	s_delay_alu instid0(VALU_DEP_1)
	v_cmpx_gt_u32_e32 0x47800000, v4
	s_xor_b32 s50, exec_lo, s50
	s_cbranch_execz .LBB215_1027
; %bb.1022:
	s_mov_b32 s51, exec_lo
                                        ; implicit-def: $vgpr1
	v_cmpx_lt_u32_e32 0x387fffff, v4
	s_xor_b32 s51, exec_lo, s51
; %bb.1023:
	v_bfe_u32 v1, v4, 21, 1
	s_delay_alu instid0(VALU_DEP_1) | instskip(NEXT) | instid1(VALU_DEP_1)
	v_add3_u32 v1, v4, v1, 0x80fffff
                                        ; implicit-def: $vgpr4
	v_lshrrev_b32_e32 v1, 21, v1
; %bb.1024:
	s_and_not1_saveexec_b32 s51, s51
; %bb.1025:
	v_add_f32_e32 v1, 0x43000000, v4
; %bb.1026:
	s_or_b32 exec_lo, exec_lo, s51
                                        ; implicit-def: $vgpr4
.LBB215_1027:
	s_and_not1_saveexec_b32 s50, s50
; %bb.1028:
	v_mov_b32_e32 v1, 0x7f
	v_cmp_lt_u32_e32 vcc_lo, 0x7f800000, v4
	s_delay_alu instid0(VALU_DEP_2)
	v_cndmask_b32_e32 v1, 0x7c, v1, vcc_lo
; %bb.1029:
	s_or_b32 exec_lo, exec_lo, s50
	global_store_b8 v[2:3], v1, off
.LBB215_1030:
	s_mov_b32 s51, 0
	s_mov_b32 s50, -1
.LBB215_1031:
	s_and_not1_b32 vcc_lo, exec_lo, s51
	s_cbranch_vccnz .LBB215_1039
; %bb.1032:
	s_cmp_gt_i32 s49, 14
	s_mov_b32 s51, -1
	s_cbranch_scc0 .LBB215_1036
; %bb.1033:
	s_cmp_eq_u32 s49, 15
	s_mov_b32 s0, -1
	s_cbranch_scc0 .LBB215_1035
; %bb.1034:
	s_wait_xcnt 0x0
	v_cndmask_b32_e64 v1, 0, 1.0, s27
	s_mov_b32 s50, -1
	s_mov_b32 s0, 0
	s_delay_alu instid0(VALU_DEP_1) | instskip(NEXT) | instid1(VALU_DEP_1)
	v_bfe_u32 v4, v1, 16, 1
	v_add3_u32 v1, v1, v4, 0x7fff
	global_store_d16_hi_b16 v[2:3], v1, off
.LBB215_1035:
	s_mov_b32 s51, 0
.LBB215_1036:
	s_delay_alu instid0(SALU_CYCLE_1)
	s_and_b32 vcc_lo, exec_lo, s51
	s_cbranch_vccz .LBB215_1039
; %bb.1037:
	s_cmp_eq_u32 s49, 11
	s_mov_b32 s0, -1
	s_cbranch_scc0 .LBB215_1039
; %bb.1038:
	s_wait_xcnt 0x0
	v_cndmask_b32_e64 v1, 0, 1, s27
	s_mov_b32 s50, -1
	s_mov_b32 s0, 0
	global_store_b8 v[2:3], v1, off
.LBB215_1039:
	s_mov_b32 s49, 0
.LBB215_1040:
	s_delay_alu instid0(SALU_CYCLE_1)
	s_and_b32 vcc_lo, exec_lo, s49
	s_cbranch_vccz .LBB215_1079
; %bb.1041:
	s_and_b32 s48, 0xffff, s48
	s_mov_b32 s49, -1
	s_cmp_lt_i32 s48, 5
	s_cbranch_scc1 .LBB215_1062
; %bb.1042:
	s_cmp_lt_i32 s48, 8
	s_cbranch_scc1 .LBB215_1052
; %bb.1043:
	;; [unrolled: 3-line block ×3, first 2 shown]
	s_cmp_gt_i32 s48, 9
	s_cbranch_scc0 .LBB215_1046
; %bb.1045:
	s_wait_xcnt 0x0
	v_cndmask_b32_e64 v1, 0, 1, s27
	v_mov_b32_e32 v6, 0
	s_mov_b32 s49, 0
	s_delay_alu instid0(VALU_DEP_2) | instskip(NEXT) | instid1(VALU_DEP_2)
	v_cvt_f64_u32_e32 v[4:5], v1
	v_mov_b32_e32 v7, v6
	global_store_b128 v[2:3], v[4:7], off
.LBB215_1046:
	s_and_not1_b32 vcc_lo, exec_lo, s49
	s_cbranch_vccnz .LBB215_1048
; %bb.1047:
	s_wait_xcnt 0x0
	v_cndmask_b32_e64 v4, 0, 1.0, s27
	v_mov_b32_e32 v5, 0
	global_store_b64 v[2:3], v[4:5], off
.LBB215_1048:
	s_mov_b32 s49, 0
.LBB215_1049:
	s_delay_alu instid0(SALU_CYCLE_1)
	s_and_not1_b32 vcc_lo, exec_lo, s49
	s_cbranch_vccnz .LBB215_1051
; %bb.1050:
	s_wait_xcnt 0x0
	v_cndmask_b32_e64 v1, 0, 1.0, s27
	s_delay_alu instid0(VALU_DEP_1) | instskip(NEXT) | instid1(VALU_DEP_1)
	v_cvt_f16_f32_e32 v1, v1
	v_and_b32_e32 v1, 0xffff, v1
	global_store_b32 v[2:3], v1, off
.LBB215_1051:
	s_mov_b32 s49, 0
.LBB215_1052:
	s_delay_alu instid0(SALU_CYCLE_1)
	s_and_not1_b32 vcc_lo, exec_lo, s49
	s_cbranch_vccnz .LBB215_1061
; %bb.1053:
	s_cmp_lt_i32 s48, 6
	s_mov_b32 s49, -1
	s_cbranch_scc1 .LBB215_1059
; %bb.1054:
	s_cmp_gt_i32 s48, 6
	s_cbranch_scc0 .LBB215_1056
; %bb.1055:
	s_wait_xcnt 0x0
	v_cndmask_b32_e64 v1, 0, 1, s27
	s_mov_b32 s49, 0
	s_delay_alu instid0(VALU_DEP_1)
	v_cvt_f64_u32_e32 v[4:5], v1
	global_store_b64 v[2:3], v[4:5], off
.LBB215_1056:
	s_and_not1_b32 vcc_lo, exec_lo, s49
	s_cbranch_vccnz .LBB215_1058
; %bb.1057:
	s_wait_xcnt 0x0
	v_cndmask_b32_e64 v1, 0, 1.0, s27
	global_store_b32 v[2:3], v1, off
.LBB215_1058:
	s_mov_b32 s49, 0
.LBB215_1059:
	s_delay_alu instid0(SALU_CYCLE_1)
	s_and_not1_b32 vcc_lo, exec_lo, s49
	s_cbranch_vccnz .LBB215_1061
; %bb.1060:
	s_wait_xcnt 0x0
	v_cndmask_b32_e64 v1, 0, 1.0, s27
	s_delay_alu instid0(VALU_DEP_1)
	v_cvt_f16_f32_e32 v1, v1
	global_store_b16 v[2:3], v1, off
.LBB215_1061:
	s_mov_b32 s49, 0
.LBB215_1062:
	s_delay_alu instid0(SALU_CYCLE_1)
	s_and_not1_b32 vcc_lo, exec_lo, s49
	s_cbranch_vccnz .LBB215_1078
; %bb.1063:
	s_cmp_lt_i32 s48, 2
	s_mov_b32 s49, -1
	s_cbranch_scc1 .LBB215_1073
; %bb.1064:
	s_cmp_lt_i32 s48, 3
	s_cbranch_scc1 .LBB215_1070
; %bb.1065:
	s_cmp_gt_i32 s48, 3
	s_cbranch_scc0 .LBB215_1067
; %bb.1066:
	s_mov_b32 s49, 0
	s_wait_xcnt 0x0
	v_cndmask_b32_e64 v4, 0, 1, s27
	v_mov_b32_e32 v5, s49
	global_store_b64 v[2:3], v[4:5], off
.LBB215_1067:
	s_and_not1_b32 vcc_lo, exec_lo, s49
	s_cbranch_vccnz .LBB215_1069
; %bb.1068:
	s_wait_xcnt 0x0
	v_cndmask_b32_e64 v1, 0, 1, s27
	global_store_b32 v[2:3], v1, off
.LBB215_1069:
	s_mov_b32 s49, 0
.LBB215_1070:
	s_delay_alu instid0(SALU_CYCLE_1)
	s_and_not1_b32 vcc_lo, exec_lo, s49
	s_cbranch_vccnz .LBB215_1072
; %bb.1071:
	s_wait_xcnt 0x0
	v_cndmask_b32_e64 v1, 0, 1, s27
	global_store_b16 v[2:3], v1, off
.LBB215_1072:
	s_mov_b32 s49, 0
.LBB215_1073:
	s_delay_alu instid0(SALU_CYCLE_1)
	s_and_not1_b32 vcc_lo, exec_lo, s49
	s_cbranch_vccnz .LBB215_1078
; %bb.1074:
	s_wait_xcnt 0x0
	v_cndmask_b32_e64 v1, 0, 1, s27
	s_cmp_gt_i32 s48, 0
	s_mov_b32 s27, -1
	s_cbranch_scc0 .LBB215_1076
; %bb.1075:
	s_mov_b32 s27, 0
	global_store_b8 v[2:3], v1, off
.LBB215_1076:
	s_and_not1_b32 vcc_lo, exec_lo, s27
	s_cbranch_vccnz .LBB215_1078
; %bb.1077:
	global_store_b8 v[2:3], v1, off
.LBB215_1078:
	s_mov_b32 s50, -1
.LBB215_1079:
	s_mov_b32 s49, 0
	s_and_not1_b32 vcc_lo, exec_lo, s50
	s_mov_b32 s50, 0
	s_cbranch_vccnz .LBB215_1081
; %bb.1080:
	v_add_nc_u32_e32 v0, 0x80, v0
	s_mov_b32 s50, -1
.LBB215_1081:
	s_and_not1_b32 s27, s44, exec_lo
	s_and_b32 s0, s0, exec_lo
	s_and_not1_b32 s51, s43, exec_lo
	s_or_b32 s48, s27, s0
	s_and_not1_b32 s0, s45, exec_lo
	s_and_b32 s27, s49, exec_lo
	s_and_b32 s26, s26, exec_lo
	s_or_b32 s49, s0, s27
	s_or_b32 s0, s51, s26
	s_or_not1_b32 s53, s50, exec_lo
.LBB215_1082:
	s_wait_xcnt 0x0
	s_or_b32 exec_lo, exec_lo, s47
	s_mov_b32 s50, 0
	s_mov_b32 s51, 0
	;; [unrolled: 1-line block ×3, first 2 shown]
                                        ; implicit-def: $sgpr26
                                        ; implicit-def: $sgpr27
                                        ; implicit-def: $vgpr6_vgpr7
                                        ; implicit-def: $vgpr4
                                        ; implicit-def: $vgpr2
	s_and_saveexec_b32 s47, s53
	s_cbranch_execz .LBB215_1157
; %bb.1083:
	v_cmp_gt_i32_e32 vcc_lo, s37, v0
	s_mov_b32 s53, s0
                                        ; implicit-def: $sgpr26
                                        ; implicit-def: $sgpr27
                                        ; implicit-def: $vgpr6_vgpr7
                                        ; implicit-def: $vgpr4
                                        ; implicit-def: $vgpr2
	s_and_saveexec_b32 s37, vcc_lo
	s_cbranch_execz .LBB215_1156
; %bb.1084:
	s_and_not1_b32 vcc_lo, exec_lo, s31
	s_cbranch_vccnz .LBB215_1090
; %bb.1085:
	s_and_not1_b32 vcc_lo, exec_lo, s38
	s_cbranch_vccnz .LBB215_1091
; %bb.1086:
	v_dual_mov_b32 v2, 0 :: v_dual_mov_b32 v1, v0
	v_dual_mov_b32 v6, 0 :: v_dual_mov_b32 v4, 0
	s_add_co_i32 s38, s36, 1
	s_mov_b64 s[26:27], 0xffffffffffffffe8
	s_and_b32 s38, s38, 30
	s_add_nc_u64 s[26:27], s[2:3], s[26:27]
.LBB215_1087:                           ; =>This Inner Loop Header: Depth=1
	s_clause 0x1
	s_load_b128 s[52:55], s[26:27], 0x1c
	s_load_b64 s[50:51], s[26:27], 0x2c
	s_add_co_i32 s38, s38, -2
	s_delay_alu instid0(SALU_CYCLE_1) | instskip(SKIP_2) | instid1(VALU_DEP_1)
	s_cmp_eq_u32 s38, 0
	s_wait_kmcnt 0x0
	v_mul_hi_u32 v3, s53, v1
	v_add_nc_u32_e32 v3, v1, v3
	s_delay_alu instid0(VALU_DEP_1) | instskip(NEXT) | instid1(VALU_DEP_1)
	v_lshrrev_b32_e32 v3, s54, v3
	v_mul_hi_u32 v5, s50, v3
	v_mul_lo_u32 v7, v3, s52
	s_clause 0x1
	s_load_b128 s[56:59], s[26:27], 0xdc
	s_load_b64 s[52:53], s[26:27], 0xec
	s_wait_xcnt 0x0
	s_add_nc_u64 s[26:27], s[26:27], 24
	s_delay_alu instid0(VALU_DEP_1) | instskip(NEXT) | instid1(VALU_DEP_1)
	v_dual_add_nc_u32 v5, v3, v5 :: v_dual_sub_nc_u32 v7, v1, v7
	v_lshrrev_b32_e32 v1, s51, v5
	s_wait_kmcnt 0x0
	s_delay_alu instid0(VALU_DEP_2) | instskip(NEXT) | instid1(VALU_DEP_2)
	v_mad_u32 v2, v7, s56, v2
	v_mul_lo_u32 v5, v1, s55
	v_mad_u32 v4, v7, s58, v4
	v_mad_u32 v6, v7, s57, v6
	s_delay_alu instid0(VALU_DEP_3) | instskip(NEXT) | instid1(VALU_DEP_1)
	v_sub_nc_u32_e32 v3, v3, v5
	v_mad_u32 v2, v3, s59, v2
	s_delay_alu instid0(VALU_DEP_4) | instskip(NEXT) | instid1(VALU_DEP_4)
	v_mad_u32 v4, v3, s53, v4
	v_mad_u32 v6, v3, s52, v6
	s_cbranch_scc0 .LBB215_1087
; %bb.1088:
	s_bitcmp1_b32 s36, 0
	s_cselect_b32 s36, -1, 0
	s_delay_alu instid0(SALU_CYCLE_1)
	s_and_b32 vcc_lo, exec_lo, s36
	s_cbranch_vccnz .LBB215_1092
; %bb.1089:
	s_clause 0x1
	s_load_b96 s[52:54], s[26:27], 0x1c
	s_load_b96 s[56:58], s[26:27], 0xdc
	s_wait_kmcnt 0x0
	v_mul_hi_u32 v3, s53, v1
	s_delay_alu instid0(VALU_DEP_1) | instskip(NEXT) | instid1(VALU_DEP_1)
	v_add_nc_u32_e32 v3, v1, v3
	v_lshrrev_b32_e32 v3, s54, v3
	s_delay_alu instid0(VALU_DEP_1) | instskip(NEXT) | instid1(VALU_DEP_1)
	v_mul_lo_u32 v3, v3, s52
	v_sub_nc_u32_e32 v1, v1, v3
	s_delay_alu instid0(VALU_DEP_1)
	v_mad_u32 v2, v1, s56, v2
	v_mad_u32 v6, v1, s57, v6
	;; [unrolled: 1-line block ×3, first 2 shown]
	s_branch .LBB215_1092
.LBB215_1090:
	s_mov_b32 s26, -1
                                        ; implicit-def: $vgpr4
                                        ; implicit-def: $vgpr6
                                        ; implicit-def: $vgpr2
	s_branch .LBB215_1093
.LBB215_1091:
	v_dual_mov_b32 v4, 0 :: v_dual_mov_b32 v6, 0
	v_mov_b32_e32 v2, 0
.LBB215_1092:
	s_mov_b32 s26, 0
.LBB215_1093:
	s_delay_alu instid0(SALU_CYCLE_1)
	s_and_not1_b32 vcc_lo, exec_lo, s26
	s_cbranch_vccnz .LBB215_1096
; %bb.1094:
	v_mov_b32_e32 v1, 0
	s_and_not1_b32 vcc_lo, exec_lo, s35
	s_delay_alu instid0(VALU_DEP_1) | instskip(NEXT) | instid1(VALU_DEP_1)
	v_mul_u64_e32 v[2:3], s[20:21], v[0:1]
	v_add_nc_u32_e32 v2, v0, v3
	s_delay_alu instid0(VALU_DEP_1) | instskip(NEXT) | instid1(VALU_DEP_1)
	v_lshrrev_b32_e32 v8, s14, v2
	v_mul_lo_u32 v2, v8, s12
	s_delay_alu instid0(VALU_DEP_1) | instskip(NEXT) | instid1(VALU_DEP_1)
	v_sub_nc_u32_e32 v0, v0, v2
	v_mul_lo_u32 v2, v0, s16
	v_mul_lo_u32 v4, v0, s18
	v_mul_lo_u32 v6, v0, s17
	s_cbranch_vccnz .LBB215_1096
; %bb.1095:
	v_mov_b32_e32 v9, v1
	s_delay_alu instid0(VALU_DEP_1) | instskip(NEXT) | instid1(VALU_DEP_1)
	v_mul_u64_e32 v[0:1], s[24:25], v[8:9]
	v_add_nc_u32_e32 v0, v8, v1
	s_delay_alu instid0(VALU_DEP_1) | instskip(NEXT) | instid1(VALU_DEP_1)
	v_lshrrev_b32_e32 v0, s1, v0
	v_mul_lo_u32 v0, v0, s15
	s_delay_alu instid0(VALU_DEP_1) | instskip(NEXT) | instid1(VALU_DEP_1)
	v_sub_nc_u32_e32 v0, v8, v0
	v_mad_u32 v2, v0, s19, v2
	v_mad_u32 v6, v0, s22, v6
	;; [unrolled: 1-line block ×3, first 2 shown]
.LBB215_1096:
	v_mov_b32_e32 v7, 0
	s_and_b32 s27, s34, 0xff
	s_delay_alu instid0(SALU_CYCLE_1) | instskip(NEXT) | instid1(VALU_DEP_1)
	s_cmp_lt_i32 s27, 11
	v_add_nc_u64_e32 v[6:7], s[6:7], v[6:7]
	s_cbranch_scc1 .LBB215_1103
; %bb.1097:
	s_and_b32 s6, 0xffff, s27
	s_mov_b32 s7, 0
	s_cmp_gt_i32 s6, 25
	s_cbranch_scc0 .LBB215_1104
; %bb.1098:
	s_cmp_gt_i32 s6, 28
	s_cbranch_scc0 .LBB215_1105
; %bb.1099:
	;; [unrolled: 3-line block ×4, first 2 shown]
	s_cmp_eq_u32 s6, 46
	s_mov_b32 s14, 0
	s_cbranch_scc0 .LBB215_1108
; %bb.1102:
	global_load_b32 v0, v[6:7], off
	s_mov_b32 s1, 0
	s_mov_b32 s12, -1
	s_wait_loadcnt 0x0
	v_and_b32_e32 v0, 0x7fff7fff, v0
	s_delay_alu instid0(VALU_DEP_1)
	v_cmp_ne_u32_e64 s26, 0, v0
	s_branch .LBB215_1110
.LBB215_1103:
	s_mov_b32 s6, -1
	s_mov_b32 s12, 0
	s_mov_b32 s7, 0
	;; [unrolled: 1-line block ×3, first 2 shown]
                                        ; implicit-def: $sgpr26
	s_branch .LBB215_1155
.LBB215_1104:
	s_mov_b32 s14, -1
	s_mov_b32 s12, 0
	s_mov_b32 s1, s0
                                        ; implicit-def: $sgpr26
	s_branch .LBB215_1131
.LBB215_1105:
	s_mov_b32 s14, -1
	s_mov_b32 s12, 0
	s_mov_b32 s1, s0
                                        ; implicit-def: $sgpr26
	s_branch .LBB215_1118
.LBB215_1106:
	s_mov_b32 s14, -1
	s_mov_b32 s12, 0
	s_mov_b32 s1, s0
                                        ; implicit-def: $sgpr26
	s_branch .LBB215_1113
.LBB215_1107:
	s_mov_b32 s14, -1
	s_mov_b32 s12, 0
	s_mov_b32 s1, s0
	s_branch .LBB215_1109
.LBB215_1108:
	s_mov_b32 s1, -1
	s_mov_b32 s12, 0
.LBB215_1109:
                                        ; implicit-def: $sgpr26
.LBB215_1110:
	s_and_b32 vcc_lo, exec_lo, s14
	s_cbranch_vccz .LBB215_1112
; %bb.1111:
	s_cmp_lg_u32 s6, 44
	s_mov_b32 s12, -1
	s_cselect_b32 s14, -1, 0
	s_and_not1_b32 s1, s1, exec_lo
	s_and_b32 s14, s14, exec_lo
	s_or_b32 s26, s26, exec_lo
	s_or_b32 s1, s1, s14
.LBB215_1112:
	s_mov_b32 s14, 0
.LBB215_1113:
	s_delay_alu instid0(SALU_CYCLE_1)
	s_and_b32 vcc_lo, exec_lo, s14
	s_cbranch_vccz .LBB215_1117
; %bb.1114:
	s_cmp_eq_u32 s6, 29
	s_cbranch_scc0 .LBB215_1116
; %bb.1115:
	global_load_b64 v[0:1], v[6:7], off
	s_mov_b32 s1, 0
	s_mov_b32 s12, -1
	s_mov_b32 s14, 0
	s_wait_loadcnt 0x0
	v_cmp_ne_u64_e64 s26, 0, v[0:1]
	s_branch .LBB215_1118
.LBB215_1116:
	s_mov_b32 s1, -1
                                        ; implicit-def: $sgpr26
.LBB215_1117:
	s_mov_b32 s14, 0
.LBB215_1118:
	s_delay_alu instid0(SALU_CYCLE_1)
	s_and_b32 vcc_lo, exec_lo, s14
	s_cbranch_vccz .LBB215_1130
; %bb.1119:
	s_cmp_lt_i32 s6, 27
	s_cbranch_scc1 .LBB215_1122
; %bb.1120:
	s_cmp_gt_i32 s6, 27
	s_cbranch_scc0 .LBB215_1123
; %bb.1121:
	global_load_b32 v0, v[6:7], off
	s_mov_b32 s12, 0
	s_wait_loadcnt 0x0
	v_cmp_ne_u32_e64 s26, 0, v0
	s_branch .LBB215_1124
.LBB215_1122:
	s_mov_b32 s12, -1
                                        ; implicit-def: $sgpr26
	s_branch .LBB215_1127
.LBB215_1123:
	s_mov_b32 s12, -1
                                        ; implicit-def: $sgpr26
.LBB215_1124:
	s_delay_alu instid0(SALU_CYCLE_1)
	s_and_not1_b32 vcc_lo, exec_lo, s12
	s_cbranch_vccnz .LBB215_1126
; %bb.1125:
	global_load_u16 v0, v[6:7], off
	s_and_not1_b32 s12, s26, exec_lo
	s_wait_loadcnt 0x0
	v_cmp_ne_u16_e32 vcc_lo, 0, v0
	s_and_b32 s14, vcc_lo, exec_lo
	s_delay_alu instid0(SALU_CYCLE_1)
	s_or_b32 s26, s12, s14
.LBB215_1126:
	s_mov_b32 s12, 0
.LBB215_1127:
	s_delay_alu instid0(SALU_CYCLE_1)
	s_and_not1_b32 vcc_lo, exec_lo, s12
	s_cbranch_vccnz .LBB215_1129
; %bb.1128:
	global_load_u8 v0, v[6:7], off
	s_and_not1_b32 s12, s26, exec_lo
	s_wait_loadcnt 0x0
	v_cmp_ne_u16_e32 vcc_lo, 0, v0
	s_and_b32 s14, vcc_lo, exec_lo
	s_delay_alu instid0(SALU_CYCLE_1)
	s_or_b32 s26, s12, s14
.LBB215_1129:
	s_mov_b32 s12, -1
.LBB215_1130:
	s_mov_b32 s14, 0
.LBB215_1131:
	s_delay_alu instid0(SALU_CYCLE_1)
	s_and_b32 vcc_lo, exec_lo, s14
	s_cbranch_vccz .LBB215_1154
; %bb.1132:
	s_cmp_gt_i32 s6, 22
	s_cbranch_scc0 .LBB215_1136
; %bb.1133:
	s_cmp_lt_i32 s6, 24
	s_cbranch_scc1 .LBB215_1137
; %bb.1134:
	s_cmp_gt_i32 s6, 24
	s_cbranch_scc0 .LBB215_1138
; %bb.1135:
	global_load_u8 v0, v[6:7], off
	s_wait_loadcnt 0x0
	v_cmp_ne_u16_e64 s26, 0, v0
	s_branch .LBB215_1139
.LBB215_1136:
	s_mov_b32 s7, -1
                                        ; implicit-def: $sgpr26
	s_branch .LBB215_1145
.LBB215_1137:
	s_mov_b32 s7, -1
                                        ; implicit-def: $sgpr26
	s_branch .LBB215_1142
.LBB215_1138:
	s_mov_b32 s7, -1
                                        ; implicit-def: $sgpr26
.LBB215_1139:
	s_delay_alu instid0(SALU_CYCLE_1)
	s_and_not1_b32 vcc_lo, exec_lo, s7
	s_cbranch_vccnz .LBB215_1141
; %bb.1140:
	global_load_u8 v0, v[6:7], off
	s_and_not1_b32 s7, s26, exec_lo
	s_wait_loadcnt 0x0
	v_and_b32_e32 v0, 0x7f, v0
	s_delay_alu instid0(VALU_DEP_1) | instskip(SKIP_1) | instid1(SALU_CYCLE_1)
	v_cmp_ne_u16_e32 vcc_lo, 0, v0
	s_and_b32 s12, vcc_lo, exec_lo
	s_or_b32 s26, s7, s12
.LBB215_1141:
	s_mov_b32 s7, 0
.LBB215_1142:
	s_delay_alu instid0(SALU_CYCLE_1)
	s_and_not1_b32 vcc_lo, exec_lo, s7
	s_cbranch_vccnz .LBB215_1144
; %bb.1143:
	global_load_u8 v0, v[6:7], off
	s_and_not1_b32 s7, s26, exec_lo
	s_wait_loadcnt 0x0
	v_dual_lshlrev_b32 v1, 25, v0 :: v_dual_lshlrev_b32 v0, 8, v0
	s_delay_alu instid0(VALU_DEP_1) | instskip(NEXT) | instid1(VALU_DEP_2)
	v_cmp_gt_u32_e32 vcc_lo, 0x8000000, v1
	v_and_or_b32 v0, 0x7f00, v0, 0.5
	s_delay_alu instid0(VALU_DEP_1) | instskip(NEXT) | instid1(VALU_DEP_1)
	v_dual_add_f32 v0, -0.5, v0 :: v_dual_lshrrev_b32 v3, 4, v1
	v_or_b32_e32 v3, 0x70000000, v3
	s_delay_alu instid0(VALU_DEP_1) | instskip(NEXT) | instid1(VALU_DEP_1)
	v_mul_f32_e32 v3, 0x7800000, v3
	v_cndmask_b32_e32 v0, v3, v0, vcc_lo
	s_delay_alu instid0(VALU_DEP_1) | instskip(SKIP_1) | instid1(SALU_CYCLE_1)
	v_cmp_neq_f32_e32 vcc_lo, 0, v0
	s_and_b32 s12, vcc_lo, exec_lo
	s_or_b32 s26, s7, s12
.LBB215_1144:
	s_mov_b32 s7, 0
	s_mov_b32 s12, -1
.LBB215_1145:
	s_and_not1_b32 vcc_lo, exec_lo, s7
	s_mov_b32 s7, 0
	s_cbranch_vccnz .LBB215_1154
; %bb.1146:
	s_cmp_gt_i32 s6, 14
	s_cbranch_scc0 .LBB215_1149
; %bb.1147:
	s_cmp_eq_u32 s6, 15
	s_cbranch_scc0 .LBB215_1150
; %bb.1148:
	global_load_u16 v0, v[6:7], off
	s_mov_b32 s1, 0
	s_mov_b32 s12, -1
	s_wait_loadcnt 0x0
	v_and_b32_e32 v0, 0x7fff, v0
	s_delay_alu instid0(VALU_DEP_1)
	v_cmp_ne_u16_e64 s26, 0, v0
	s_branch .LBB215_1152
.LBB215_1149:
	s_mov_b32 s7, -1
	s_branch .LBB215_1151
.LBB215_1150:
	s_mov_b32 s1, -1
.LBB215_1151:
                                        ; implicit-def: $sgpr26
.LBB215_1152:
	s_and_b32 vcc_lo, exec_lo, s7
	s_mov_b32 s7, 0
	s_cbranch_vccz .LBB215_1154
; %bb.1153:
	s_cmp_lg_u32 s6, 11
	s_mov_b32 s7, -1
	s_cselect_b32 s6, -1, 0
	s_and_not1_b32 s1, s1, exec_lo
	s_and_b32 s6, s6, exec_lo
	s_delay_alu instid0(SALU_CYCLE_1)
	s_or_b32 s1, s1, s6
.LBB215_1154:
	s_mov_b32 s6, 0
.LBB215_1155:
	s_delay_alu instid0(SALU_CYCLE_1)
	s_and_b32 s51, s6, exec_lo
	s_and_not1_b32 s6, s0, exec_lo
	s_and_b32 s1, s1, exec_lo
	s_and_b32 s52, s12, exec_lo
	;; [unrolled: 1-line block ×3, first 2 shown]
	s_or_b32 s53, s6, s1
.LBB215_1156:
	s_wait_xcnt 0x0
	s_or_b32 exec_lo, exec_lo, s37
	s_delay_alu instid0(SALU_CYCLE_1)
	s_and_not1_b32 s0, s0, exec_lo
	s_and_b32 s1, s53, exec_lo
	s_and_b32 s52, s52, exec_lo
	;; [unrolled: 1-line block ×4, first 2 shown]
	s_or_b32 s0, s0, s1
.LBB215_1157:
	s_or_b32 exec_lo, exec_lo, s47
	s_delay_alu instid0(SALU_CYCLE_1)
	s_and_not1_b32 s1, s44, exec_lo
	s_and_b32 s6, s48, exec_lo
	s_and_not1_b32 s7, s45, exec_lo
	s_and_b32 s12, s49, exec_lo
	s_or_b32 s44, s1, s6
	s_and_not1_b32 s1, s43, exec_lo
	s_and_b32 s0, s0, exec_lo
	s_or_b32 s45, s7, s12
	s_and_b32 s49, s52, exec_lo
	s_and_b32 s48, s51, exec_lo
	;; [unrolled: 1-line block ×3, first 2 shown]
	s_or_b32 s43, s1, s0
.LBB215_1158:
	s_or_b32 exec_lo, exec_lo, s46
	s_delay_alu instid0(SALU_CYCLE_1)
	s_and_not1_b32 s0, s39, exec_lo
	s_and_b32 s1, s44, exec_lo
	s_and_not1_b32 s6, s40, exec_lo
	s_and_b32 s7, s45, exec_lo
	s_or_b32 s39, s0, s1
	s_or_b32 s40, s6, s7
	s_and_not1_b32 s1, s41, exec_lo
	s_and_b32 s6, s43, exec_lo
	s_and_b32 s44, s49, exec_lo
	s_and_b32 s0, s48, exec_lo
	s_and_b32 s21, s47, exec_lo
	s_or_b32 s41, s1, s6
	s_or_b32 exec_lo, exec_lo, s42
	s_mov_b32 s1, 0
	s_and_saveexec_b32 s6, s41
	s_cbranch_execz .LBB215_357
.LBB215_1159:
	s_mov_b32 s1, exec_lo
	s_and_not1_b32 s44, s44, exec_lo
	s_and_not1_b32 s21, s21, exec_lo
	s_trap 2
	s_or_b32 exec_lo, exec_lo, s6
	s_and_saveexec_b32 s6, s21
	s_delay_alu instid0(SALU_CYCLE_1)
	s_xor_b32 s6, exec_lo, s6
	s_cbranch_execz .LBB215_358
.LBB215_1160:
	global_load_u8 v0, v[6:7], off
	s_and_not1_b32 s7, s26, exec_lo
	s_or_b32 s44, s44, exec_lo
	s_wait_loadcnt 0x0
	v_cmp_ne_u16_e32 vcc_lo, 0, v0
	s_and_b32 s12, vcc_lo, exec_lo
	s_delay_alu instid0(SALU_CYCLE_1)
	s_or_b32 s26, s7, s12
	s_wait_xcnt 0x0
	s_or_b32 exec_lo, exec_lo, s6
	s_and_saveexec_b32 s6, s0
	s_cbranch_execz .LBB215_1206
.LBB215_1161:
	s_sext_i32_i16 s0, s27
	s_delay_alu instid0(SALU_CYCLE_1)
	s_cmp_lt_i32 s0, 5
	s_cbranch_scc1 .LBB215_1166
; %bb.1162:
	s_cmp_lt_i32 s0, 8
	s_cbranch_scc1 .LBB215_1167
; %bb.1163:
	;; [unrolled: 3-line block ×3, first 2 shown]
	s_cmp_gt_i32 s0, 9
	s_cbranch_scc0 .LBB215_1169
; %bb.1165:
	global_load_b128 v[8:11], v[6:7], off
	s_mov_b32 s7, 0
	s_wait_loadcnt 0x0
	v_cmp_neq_f64_e32 vcc_lo, 0, v[8:9]
	v_cmp_neq_f64_e64 s0, 0, v[10:11]
	s_or_b32 s0, vcc_lo, s0
	s_branch .LBB215_1170
.LBB215_1166:
                                        ; implicit-def: $sgpr0
	s_branch .LBB215_1187
.LBB215_1167:
                                        ; implicit-def: $sgpr0
	s_branch .LBB215_1176
.LBB215_1168:
	s_mov_b32 s7, -1
                                        ; implicit-def: $sgpr0
	s_branch .LBB215_1173
.LBB215_1169:
	s_mov_b32 s7, -1
                                        ; implicit-def: $sgpr0
.LBB215_1170:
	s_delay_alu instid0(SALU_CYCLE_1)
	s_and_not1_b32 vcc_lo, exec_lo, s7
	s_cbranch_vccnz .LBB215_1172
; %bb.1171:
	global_load_b64 v[0:1], v[6:7], off
	s_and_not1_b32 s0, s0, exec_lo
	s_wait_loadcnt 0x0
	v_bitop3_b32 v0, v0, 0x7fffffff, v1 bitop3:0xc8
	s_delay_alu instid0(VALU_DEP_1) | instskip(SKIP_1) | instid1(SALU_CYCLE_1)
	v_cmp_ne_u32_e32 vcc_lo, 0, v0
	s_and_b32 s7, vcc_lo, exec_lo
	s_or_b32 s0, s0, s7
.LBB215_1172:
	s_mov_b32 s7, 0
.LBB215_1173:
	s_delay_alu instid0(SALU_CYCLE_1)
	s_and_not1_b32 vcc_lo, exec_lo, s7
	s_cbranch_vccnz .LBB215_1175
; %bb.1174:
	global_load_b32 v0, v[6:7], off
	s_and_not1_b32 s0, s0, exec_lo
	s_wait_loadcnt 0x0
	v_and_b32_e32 v0, 0x7fff7fff, v0
	s_delay_alu instid0(VALU_DEP_1) | instskip(SKIP_1) | instid1(SALU_CYCLE_1)
	v_cmp_ne_u32_e32 vcc_lo, 0, v0
	s_and_b32 s7, vcc_lo, exec_lo
	s_or_b32 s0, s0, s7
.LBB215_1175:
	s_cbranch_execnz .LBB215_1186
.LBB215_1176:
	s_sext_i32_i16 s0, s27
	s_delay_alu instid0(SALU_CYCLE_1)
	s_cmp_lt_i32 s0, 6
	s_cbranch_scc1 .LBB215_1179
; %bb.1177:
	s_cmp_gt_i32 s0, 6
	s_cbranch_scc0 .LBB215_1180
; %bb.1178:
	global_load_b64 v[0:1], v[6:7], off
	s_mov_b32 s7, 0
	s_wait_loadcnt 0x0
	v_cmp_neq_f64_e64 s0, 0, v[0:1]
	s_branch .LBB215_1181
.LBB215_1179:
	s_mov_b32 s7, -1
                                        ; implicit-def: $sgpr0
	s_branch .LBB215_1184
.LBB215_1180:
	s_mov_b32 s7, -1
                                        ; implicit-def: $sgpr0
.LBB215_1181:
	s_delay_alu instid0(SALU_CYCLE_1)
	s_and_not1_b32 vcc_lo, exec_lo, s7
	s_cbranch_vccnz .LBB215_1183
; %bb.1182:
	global_load_b32 v0, v[6:7], off
	s_and_not1_b32 s0, s0, exec_lo
	s_wait_loadcnt 0x0
	v_cmp_neq_f32_e32 vcc_lo, 0, v0
	s_and_b32 s7, vcc_lo, exec_lo
	s_delay_alu instid0(SALU_CYCLE_1)
	s_or_b32 s0, s0, s7
.LBB215_1183:
	s_mov_b32 s7, 0
.LBB215_1184:
	s_delay_alu instid0(SALU_CYCLE_1)
	s_and_not1_b32 vcc_lo, exec_lo, s7
	s_cbranch_vccnz .LBB215_1186
; %bb.1185:
	global_load_u16 v0, v[6:7], off
	s_and_not1_b32 s0, s0, exec_lo
	s_wait_loadcnt 0x0
	v_and_b32_e32 v0, 0x7fff, v0
	s_delay_alu instid0(VALU_DEP_1) | instskip(SKIP_1) | instid1(SALU_CYCLE_1)
	v_cmp_ne_u16_e32 vcc_lo, 0, v0
	s_and_b32 s7, vcc_lo, exec_lo
	s_or_b32 s0, s0, s7
.LBB215_1186:
	s_cbranch_execnz .LBB215_1205
.LBB215_1187:
	s_sext_i32_i16 s0, s27
	s_delay_alu instid0(SALU_CYCLE_1)
	s_cmp_lt_i32 s0, 2
	s_cbranch_scc1 .LBB215_1191
; %bb.1188:
	s_cmp_lt_i32 s0, 3
	s_cbranch_scc1 .LBB215_1192
; %bb.1189:
	s_cmp_gt_i32 s0, 3
	s_cbranch_scc0 .LBB215_1193
; %bb.1190:
	global_load_b64 v[0:1], v[6:7], off
	s_mov_b32 s7, 0
	s_wait_loadcnt 0x0
	v_cmp_ne_u64_e64 s0, 0, v[0:1]
	s_branch .LBB215_1194
.LBB215_1191:
                                        ; implicit-def: $sgpr0
	s_branch .LBB215_1200
.LBB215_1192:
	s_mov_b32 s7, -1
                                        ; implicit-def: $sgpr0
	s_branch .LBB215_1197
.LBB215_1193:
	s_mov_b32 s7, -1
                                        ; implicit-def: $sgpr0
.LBB215_1194:
	s_delay_alu instid0(SALU_CYCLE_1)
	s_and_not1_b32 vcc_lo, exec_lo, s7
	s_cbranch_vccnz .LBB215_1196
; %bb.1195:
	global_load_b32 v0, v[6:7], off
	s_and_not1_b32 s0, s0, exec_lo
	s_wait_loadcnt 0x0
	v_cmp_ne_u32_e32 vcc_lo, 0, v0
	s_and_b32 s7, vcc_lo, exec_lo
	s_delay_alu instid0(SALU_CYCLE_1)
	s_or_b32 s0, s0, s7
.LBB215_1196:
	s_mov_b32 s7, 0
.LBB215_1197:
	s_delay_alu instid0(SALU_CYCLE_1)
	s_and_not1_b32 vcc_lo, exec_lo, s7
	s_cbranch_vccnz .LBB215_1199
; %bb.1198:
	global_load_u16 v0, v[6:7], off
	s_and_not1_b32 s0, s0, exec_lo
	s_wait_loadcnt 0x0
	v_cmp_ne_u16_e32 vcc_lo, 0, v0
	s_and_b32 s7, vcc_lo, exec_lo
	s_delay_alu instid0(SALU_CYCLE_1)
	s_or_b32 s0, s0, s7
.LBB215_1199:
	s_cbranch_execnz .LBB215_1205
.LBB215_1200:
	s_sext_i32_i16 s0, s27
	s_mov_b32 s7, 0
	s_cmp_gt_i32 s0, 0
	s_cbranch_scc0 .LBB215_1202
; %bb.1201:
	global_load_u8 v0, v[6:7], off
	s_wait_loadcnt 0x0
	v_cmp_ne_u16_e64 s0, 0, v0
	s_branch .LBB215_1203
.LBB215_1202:
	s_mov_b32 s7, -1
                                        ; implicit-def: $sgpr0
.LBB215_1203:
	s_delay_alu instid0(SALU_CYCLE_1)
	s_and_not1_b32 vcc_lo, exec_lo, s7
	s_cbranch_vccnz .LBB215_1205
; %bb.1204:
	global_load_u8 v0, v[6:7], off
	s_and_not1_b32 s0, s0, exec_lo
	s_wait_loadcnt 0x0
	v_cmp_ne_u16_e32 vcc_lo, 0, v0
	s_and_b32 s7, vcc_lo, exec_lo
	s_delay_alu instid0(SALU_CYCLE_1)
	s_or_b32 s0, s0, s7
.LBB215_1205:
	s_and_not1_b32 s7, s26, exec_lo
	s_delay_alu instid0(VALU_DEP_1)
	s_and_b32 s0, s0, exec_lo
	s_or_b32 s44, s44, exec_lo
	s_or_b32 s26, s7, s0
.LBB215_1206:
	s_wait_xcnt 0x0
	s_or_b32 exec_lo, exec_lo, s6
	s_mov_b32 s7, 0
	s_mov_b32 s15, 0
	;; [unrolled: 1-line block ×3, first 2 shown]
                                        ; implicit-def: $sgpr12
                                        ; implicit-def: $sgpr6
                                        ; implicit-def: $vgpr0_vgpr1
	s_and_saveexec_b32 s0, s44
	s_cbranch_execnz .LBB215_1210
; %bb.1207:
	s_or_b32 exec_lo, exec_lo, s0
	s_and_saveexec_b32 s0, s40
	s_cbranch_execnz .LBB215_1269
.LBB215_1208:
	s_or_b32 exec_lo, exec_lo, s0
	s_and_saveexec_b32 s0, s7
	s_delay_alu instid0(SALU_CYCLE_1)
	s_xor_b32 s0, exec_lo, s0
	s_cbranch_execnz .LBB215_1270
.LBB215_1209:
	s_or_b32 exec_lo, exec_lo, s0
	s_and_saveexec_b32 s7, s15
	s_cbranch_execnz .LBB215_1271
	s_branch .LBB215_1316
.LBB215_1210:
	v_mov_b32_e32 v5, 0
	s_and_b32 s6, s13, 0xff
	s_delay_alu instid0(SALU_CYCLE_1) | instskip(NEXT) | instid1(VALU_DEP_1)
	s_cmp_lt_i32 s6, 11
	v_add_nc_u64_e32 v[0:1], s[8:9], v[4:5]
	s_cbranch_scc1 .LBB215_1217
; %bb.1211:
	s_and_b32 s8, 0xffff, s6
	s_mov_b32 s9, 0
	s_cmp_gt_i32 s8, 25
	s_cbranch_scc0 .LBB215_1218
; %bb.1212:
	s_cmp_gt_i32 s8, 28
	s_cbranch_scc0 .LBB215_1219
; %bb.1213:
	;; [unrolled: 3-line block ×4, first 2 shown]
	s_cmp_eq_u32 s8, 46
	s_cbranch_scc0 .LBB215_1222
; %bb.1216:
	global_load_b32 v3, v[0:1], off
	s_mov_b32 s13, -1
	s_wait_loadcnt 0x0
	v_and_b32_e32 v3, 0x7fff7fff, v3
	s_delay_alu instid0(VALU_DEP_1)
	v_cmp_ne_u32_e64 s12, 0, v3
	s_branch .LBB215_1224
.LBB215_1217:
	s_mov_b32 s8, -1
	s_mov_b32 s13, 0
	s_mov_b32 s9, 0
	;; [unrolled: 1-line block ×3, first 2 shown]
                                        ; implicit-def: $sgpr12
	s_branch .LBB215_1268
.LBB215_1218:
	s_mov_b32 s13, 0
	s_mov_b32 s7, s40
                                        ; implicit-def: $sgpr12
	s_cbranch_execnz .LBB215_1245
	s_branch .LBB215_1267
.LBB215_1219:
	s_mov_b32 s14, -1
	s_mov_b32 s13, 0
	s_mov_b32 s7, s40
                                        ; implicit-def: $sgpr12
	s_branch .LBB215_1232
.LBB215_1220:
	s_mov_b32 s14, -1
	s_mov_b32 s13, 0
	s_mov_b32 s7, s40
                                        ; implicit-def: $sgpr12
	s_branch .LBB215_1227
.LBB215_1221:
	s_mov_b32 s14, -1
	s_mov_b32 s13, 0
	s_mov_b32 s7, s40
	s_branch .LBB215_1223
.LBB215_1222:
	s_mov_b32 s7, -1
	s_mov_b32 s13, 0
.LBB215_1223:
                                        ; implicit-def: $sgpr12
.LBB215_1224:
	s_and_b32 vcc_lo, exec_lo, s14
	s_cbranch_vccz .LBB215_1226
; %bb.1225:
	s_cmp_lg_u32 s8, 44
	s_mov_b32 s13, -1
	s_cselect_b32 s14, -1, 0
	s_and_not1_b32 s7, s7, exec_lo
	s_and_b32 s14, s14, exec_lo
	s_or_b32 s12, s12, exec_lo
	s_or_b32 s7, s7, s14
.LBB215_1226:
	s_mov_b32 s14, 0
.LBB215_1227:
	s_delay_alu instid0(SALU_CYCLE_1)
	s_and_b32 vcc_lo, exec_lo, s14
	s_cbranch_vccz .LBB215_1231
; %bb.1228:
	s_cmp_eq_u32 s8, 29
	s_cbranch_scc0 .LBB215_1230
; %bb.1229:
	global_load_b64 v[4:5], v[0:1], off
	s_mov_b32 s7, 0
	s_mov_b32 s13, -1
	s_mov_b32 s14, 0
	s_wait_loadcnt 0x0
	v_cmp_ne_u64_e64 s12, 0, v[4:5]
	s_branch .LBB215_1232
.LBB215_1230:
	s_mov_b32 s7, -1
                                        ; implicit-def: $sgpr12
.LBB215_1231:
	s_mov_b32 s14, 0
.LBB215_1232:
	s_delay_alu instid0(SALU_CYCLE_1)
	s_and_b32 vcc_lo, exec_lo, s14
	s_cbranch_vccz .LBB215_1244
; %bb.1233:
	s_cmp_lt_i32 s8, 27
	s_cbranch_scc1 .LBB215_1236
; %bb.1234:
	s_cmp_gt_i32 s8, 27
	s_cbranch_scc0 .LBB215_1237
; %bb.1235:
	global_load_b32 v3, v[0:1], off
	s_mov_b32 s13, 0
	s_wait_loadcnt 0x0
	v_cmp_ne_u32_e64 s12, 0, v3
	s_branch .LBB215_1238
.LBB215_1236:
	s_mov_b32 s13, -1
                                        ; implicit-def: $sgpr12
	s_branch .LBB215_1241
.LBB215_1237:
	s_mov_b32 s13, -1
                                        ; implicit-def: $sgpr12
.LBB215_1238:
	s_delay_alu instid0(SALU_CYCLE_1)
	s_and_not1_b32 vcc_lo, exec_lo, s13
	s_cbranch_vccnz .LBB215_1240
; %bb.1239:
	global_load_u16 v3, v[0:1], off
	s_and_not1_b32 s12, s12, exec_lo
	s_wait_loadcnt 0x0
	v_cmp_ne_u16_e32 vcc_lo, 0, v3
	s_and_b32 s13, vcc_lo, exec_lo
	s_delay_alu instid0(SALU_CYCLE_1)
	s_or_b32 s12, s12, s13
.LBB215_1240:
	s_mov_b32 s13, 0
.LBB215_1241:
	s_delay_alu instid0(SALU_CYCLE_1)
	s_and_not1_b32 vcc_lo, exec_lo, s13
	s_cbranch_vccnz .LBB215_1243
; %bb.1242:
	global_load_u8 v3, v[0:1], off
	s_and_not1_b32 s12, s12, exec_lo
	s_wait_loadcnt 0x0
	v_cmp_ne_u16_e32 vcc_lo, 0, v3
	s_and_b32 s13, vcc_lo, exec_lo
	s_delay_alu instid0(SALU_CYCLE_1)
	s_or_b32 s12, s12, s13
.LBB215_1243:
	s_mov_b32 s13, -1
.LBB215_1244:
	s_branch .LBB215_1267
.LBB215_1245:
	s_cmp_gt_i32 s8, 22
	s_cbranch_scc0 .LBB215_1249
; %bb.1246:
	s_cmp_lt_i32 s8, 24
	s_cbranch_scc1 .LBB215_1250
; %bb.1247:
	s_cmp_gt_i32 s8, 24
	s_cbranch_scc0 .LBB215_1251
; %bb.1248:
	global_load_u8 v3, v[0:1], off
	s_wait_loadcnt 0x0
	v_cmp_ne_u16_e64 s12, 0, v3
	s_branch .LBB215_1252
.LBB215_1249:
	s_mov_b32 s9, -1
                                        ; implicit-def: $sgpr12
	s_branch .LBB215_1258
.LBB215_1250:
	s_mov_b32 s9, -1
                                        ; implicit-def: $sgpr12
	s_branch .LBB215_1255
.LBB215_1251:
	s_mov_b32 s9, -1
                                        ; implicit-def: $sgpr12
.LBB215_1252:
	s_delay_alu instid0(SALU_CYCLE_1)
	s_and_not1_b32 vcc_lo, exec_lo, s9
	s_cbranch_vccnz .LBB215_1254
; %bb.1253:
	global_load_u8 v3, v[0:1], off
	s_and_not1_b32 s9, s12, exec_lo
	s_wait_loadcnt 0x0
	v_and_b32_e32 v3, 0x7f, v3
	s_delay_alu instid0(VALU_DEP_1) | instskip(SKIP_1) | instid1(SALU_CYCLE_1)
	v_cmp_ne_u16_e32 vcc_lo, 0, v3
	s_and_b32 s12, vcc_lo, exec_lo
	s_or_b32 s12, s9, s12
.LBB215_1254:
	s_mov_b32 s9, 0
.LBB215_1255:
	s_delay_alu instid0(SALU_CYCLE_1)
	s_and_not1_b32 vcc_lo, exec_lo, s9
	s_cbranch_vccnz .LBB215_1257
; %bb.1256:
	global_load_u8 v3, v[0:1], off
	s_and_not1_b32 s9, s12, exec_lo
	s_wait_loadcnt 0x0
	v_dual_lshlrev_b32 v4, 25, v3 :: v_dual_lshlrev_b32 v3, 8, v3
	s_delay_alu instid0(VALU_DEP_1) | instskip(NEXT) | instid1(VALU_DEP_2)
	v_cmp_gt_u32_e32 vcc_lo, 0x8000000, v4
	v_and_or_b32 v3, 0x7f00, v3, 0.5
	s_delay_alu instid0(VALU_DEP_1) | instskip(NEXT) | instid1(VALU_DEP_1)
	v_dual_lshrrev_b32 v5, 4, v4 :: v_dual_add_f32 v3, -0.5, v3
	v_or_b32_e32 v5, 0x70000000, v5
	s_delay_alu instid0(VALU_DEP_1) | instskip(NEXT) | instid1(VALU_DEP_1)
	v_mul_f32_e32 v5, 0x7800000, v5
	v_cndmask_b32_e32 v3, v5, v3, vcc_lo
	s_delay_alu instid0(VALU_DEP_1) | instskip(SKIP_1) | instid1(SALU_CYCLE_1)
	v_cmp_neq_f32_e32 vcc_lo, 0, v3
	s_and_b32 s12, vcc_lo, exec_lo
	s_or_b32 s12, s9, s12
.LBB215_1257:
	s_mov_b32 s9, 0
	s_mov_b32 s13, -1
.LBB215_1258:
	s_and_not1_b32 vcc_lo, exec_lo, s9
	s_mov_b32 s9, 0
	s_cbranch_vccnz .LBB215_1267
; %bb.1259:
	s_cmp_gt_i32 s8, 14
	s_cbranch_scc0 .LBB215_1262
; %bb.1260:
	s_cmp_eq_u32 s8, 15
	s_cbranch_scc0 .LBB215_1263
; %bb.1261:
	global_load_u16 v3, v[0:1], off
	s_mov_b32 s7, 0
	s_mov_b32 s13, -1
	s_wait_loadcnt 0x0
	v_and_b32_e32 v3, 0x7fff, v3
	s_delay_alu instid0(VALU_DEP_1)
	v_cmp_ne_u16_e64 s12, 0, v3
	s_branch .LBB215_1265
.LBB215_1262:
	s_mov_b32 s9, -1
	s_branch .LBB215_1264
.LBB215_1263:
	s_mov_b32 s7, -1
.LBB215_1264:
                                        ; implicit-def: $sgpr12
.LBB215_1265:
	s_and_b32 vcc_lo, exec_lo, s9
	s_mov_b32 s9, 0
	s_cbranch_vccz .LBB215_1267
; %bb.1266:
	s_cmp_lg_u32 s8, 11
	s_mov_b32 s9, -1
	s_cselect_b32 s8, -1, 0
	s_and_not1_b32 s7, s7, exec_lo
	s_and_b32 s8, s8, exec_lo
	s_delay_alu instid0(SALU_CYCLE_1)
	s_or_b32 s7, s7, s8
.LBB215_1267:
	s_mov_b32 s8, 0
.LBB215_1268:
	s_and_b32 s14, s13, exec_lo
	s_and_b32 s15, s8, exec_lo
	s_and_not1_b32 s8, s40, exec_lo
	s_and_b32 s13, s7, exec_lo
	s_and_b32 s7, s9, exec_lo
	s_or_b32 s40, s8, s13
	s_wait_xcnt 0x0
	s_or_b32 exec_lo, exec_lo, s0
	s_and_saveexec_b32 s0, s40
	s_cbranch_execz .LBB215_1208
.LBB215_1269:
	s_or_b32 s1, s1, exec_lo
	s_and_not1_b32 s14, s14, exec_lo
	s_and_not1_b32 s7, s7, exec_lo
	s_trap 2
	s_or_b32 exec_lo, exec_lo, s0
	s_and_saveexec_b32 s0, s7
	s_delay_alu instid0(SALU_CYCLE_1)
	s_xor_b32 s0, exec_lo, s0
	s_cbranch_execz .LBB215_1209
.LBB215_1270:
	global_load_u8 v3, v[0:1], off
	s_and_not1_b32 s7, s12, exec_lo
	s_or_b32 s14, s14, exec_lo
	s_wait_loadcnt 0x0
	v_cmp_ne_u16_e32 vcc_lo, 0, v3
	s_and_b32 s8, vcc_lo, exec_lo
	s_delay_alu instid0(SALU_CYCLE_1)
	s_or_b32 s12, s7, s8
	s_wait_xcnt 0x0
	s_or_b32 exec_lo, exec_lo, s0
	s_and_saveexec_b32 s7, s15
	s_cbranch_execz .LBB215_1316
.LBB215_1271:
	s_sext_i32_i16 s0, s6
	s_delay_alu instid0(SALU_CYCLE_1)
	s_cmp_lt_i32 s0, 5
	s_cbranch_scc1 .LBB215_1276
; %bb.1272:
	s_cmp_lt_i32 s0, 8
	s_cbranch_scc1 .LBB215_1277
; %bb.1273:
	;; [unrolled: 3-line block ×3, first 2 shown]
	s_cmp_gt_i32 s0, 9
	s_cbranch_scc0 .LBB215_1279
; %bb.1275:
	global_load_b128 v[4:7], v[0:1], off
	s_mov_b32 s8, 0
	s_wait_loadcnt 0x0
	v_cmp_neq_f64_e32 vcc_lo, 0, v[4:5]
	v_cmp_neq_f64_e64 s0, 0, v[6:7]
	s_or_b32 s0, vcc_lo, s0
	s_branch .LBB215_1280
.LBB215_1276:
                                        ; implicit-def: $sgpr0
	s_branch .LBB215_1297
.LBB215_1277:
                                        ; implicit-def: $sgpr0
	s_branch .LBB215_1286
.LBB215_1278:
	s_mov_b32 s8, -1
                                        ; implicit-def: $sgpr0
	s_branch .LBB215_1283
.LBB215_1279:
	s_mov_b32 s8, -1
                                        ; implicit-def: $sgpr0
.LBB215_1280:
	s_delay_alu instid0(SALU_CYCLE_1)
	s_and_not1_b32 vcc_lo, exec_lo, s8
	s_cbranch_vccnz .LBB215_1282
; %bb.1281:
	global_load_b64 v[4:5], v[0:1], off
	s_and_not1_b32 s0, s0, exec_lo
	s_wait_loadcnt 0x0
	v_bitop3_b32 v3, v4, 0x7fffffff, v5 bitop3:0xc8
	s_delay_alu instid0(VALU_DEP_1) | instskip(SKIP_1) | instid1(SALU_CYCLE_1)
	v_cmp_ne_u32_e32 vcc_lo, 0, v3
	s_and_b32 s8, vcc_lo, exec_lo
	s_or_b32 s0, s0, s8
.LBB215_1282:
	s_mov_b32 s8, 0
.LBB215_1283:
	s_delay_alu instid0(SALU_CYCLE_1)
	s_and_not1_b32 vcc_lo, exec_lo, s8
	s_cbranch_vccnz .LBB215_1285
; %bb.1284:
	global_load_b32 v3, v[0:1], off
	s_and_not1_b32 s0, s0, exec_lo
	s_wait_loadcnt 0x0
	v_and_b32_e32 v3, 0x7fff7fff, v3
	s_delay_alu instid0(VALU_DEP_1) | instskip(SKIP_1) | instid1(SALU_CYCLE_1)
	v_cmp_ne_u32_e32 vcc_lo, 0, v3
	s_and_b32 s8, vcc_lo, exec_lo
	s_or_b32 s0, s0, s8
.LBB215_1285:
	s_cbranch_execnz .LBB215_1296
.LBB215_1286:
	s_sext_i32_i16 s0, s6
	s_delay_alu instid0(SALU_CYCLE_1)
	s_cmp_lt_i32 s0, 6
	s_cbranch_scc1 .LBB215_1289
; %bb.1287:
	s_cmp_gt_i32 s0, 6
	s_cbranch_scc0 .LBB215_1290
; %bb.1288:
	global_load_b64 v[4:5], v[0:1], off
	s_mov_b32 s8, 0
	s_wait_loadcnt 0x0
	v_cmp_neq_f64_e64 s0, 0, v[4:5]
	s_branch .LBB215_1291
.LBB215_1289:
	s_mov_b32 s8, -1
                                        ; implicit-def: $sgpr0
	s_branch .LBB215_1294
.LBB215_1290:
	s_mov_b32 s8, -1
                                        ; implicit-def: $sgpr0
.LBB215_1291:
	s_delay_alu instid0(SALU_CYCLE_1)
	s_and_not1_b32 vcc_lo, exec_lo, s8
	s_cbranch_vccnz .LBB215_1293
; %bb.1292:
	global_load_b32 v3, v[0:1], off
	s_and_not1_b32 s0, s0, exec_lo
	s_wait_loadcnt 0x0
	v_cmp_neq_f32_e32 vcc_lo, 0, v3
	s_and_b32 s8, vcc_lo, exec_lo
	s_delay_alu instid0(SALU_CYCLE_1)
	s_or_b32 s0, s0, s8
.LBB215_1293:
	s_mov_b32 s8, 0
.LBB215_1294:
	s_delay_alu instid0(SALU_CYCLE_1)
	s_and_not1_b32 vcc_lo, exec_lo, s8
	s_cbranch_vccnz .LBB215_1296
; %bb.1295:
	global_load_u16 v3, v[0:1], off
	s_and_not1_b32 s0, s0, exec_lo
	s_wait_loadcnt 0x0
	v_and_b32_e32 v3, 0x7fff, v3
	s_delay_alu instid0(VALU_DEP_1) | instskip(SKIP_1) | instid1(SALU_CYCLE_1)
	v_cmp_ne_u16_e32 vcc_lo, 0, v3
	s_and_b32 s8, vcc_lo, exec_lo
	s_or_b32 s0, s0, s8
.LBB215_1296:
	s_cbranch_execnz .LBB215_1315
.LBB215_1297:
	s_sext_i32_i16 s0, s6
	s_delay_alu instid0(SALU_CYCLE_1)
	s_cmp_lt_i32 s0, 2
	s_cbranch_scc1 .LBB215_1301
; %bb.1298:
	s_cmp_lt_i32 s0, 3
	s_cbranch_scc1 .LBB215_1302
; %bb.1299:
	s_cmp_gt_i32 s0, 3
	s_cbranch_scc0 .LBB215_1303
; %bb.1300:
	global_load_b64 v[4:5], v[0:1], off
	s_mov_b32 s8, 0
	s_wait_loadcnt 0x0
	v_cmp_ne_u64_e64 s0, 0, v[4:5]
	s_branch .LBB215_1304
.LBB215_1301:
                                        ; implicit-def: $sgpr0
	s_branch .LBB215_1310
.LBB215_1302:
	s_mov_b32 s8, -1
                                        ; implicit-def: $sgpr0
	s_branch .LBB215_1307
.LBB215_1303:
	s_mov_b32 s8, -1
                                        ; implicit-def: $sgpr0
.LBB215_1304:
	s_delay_alu instid0(SALU_CYCLE_1)
	s_and_not1_b32 vcc_lo, exec_lo, s8
	s_cbranch_vccnz .LBB215_1306
; %bb.1305:
	global_load_b32 v3, v[0:1], off
	s_and_not1_b32 s0, s0, exec_lo
	s_wait_loadcnt 0x0
	v_cmp_ne_u32_e32 vcc_lo, 0, v3
	s_and_b32 s8, vcc_lo, exec_lo
	s_delay_alu instid0(SALU_CYCLE_1)
	s_or_b32 s0, s0, s8
.LBB215_1306:
	s_mov_b32 s8, 0
.LBB215_1307:
	s_delay_alu instid0(SALU_CYCLE_1)
	s_and_not1_b32 vcc_lo, exec_lo, s8
	s_cbranch_vccnz .LBB215_1309
; %bb.1308:
	global_load_u16 v3, v[0:1], off
	s_and_not1_b32 s0, s0, exec_lo
	s_wait_loadcnt 0x0
	v_cmp_ne_u16_e32 vcc_lo, 0, v3
	s_and_b32 s8, vcc_lo, exec_lo
	s_delay_alu instid0(SALU_CYCLE_1)
	s_or_b32 s0, s0, s8
.LBB215_1309:
	s_cbranch_execnz .LBB215_1315
.LBB215_1310:
	s_sext_i32_i16 s0, s6
	s_mov_b32 s6, 0
	s_cmp_gt_i32 s0, 0
	s_cbranch_scc0 .LBB215_1312
; %bb.1311:
	global_load_u8 v3, v[0:1], off
	s_wait_loadcnt 0x0
	v_cmp_ne_u16_e64 s0, 0, v3
	s_branch .LBB215_1313
.LBB215_1312:
	s_mov_b32 s6, -1
                                        ; implicit-def: $sgpr0
.LBB215_1313:
	s_delay_alu instid0(SALU_CYCLE_1)
	s_and_not1_b32 vcc_lo, exec_lo, s6
	s_cbranch_vccnz .LBB215_1315
; %bb.1314:
	global_load_u8 v0, v[0:1], off
	s_and_not1_b32 s0, s0, exec_lo
	s_wait_loadcnt 0x0
	v_cmp_ne_u16_e32 vcc_lo, 0, v0
	s_and_b32 s6, vcc_lo, exec_lo
	s_delay_alu instid0(SALU_CYCLE_1)
	s_or_b32 s0, s0, s6
.LBB215_1315:
	s_and_not1_b32 s6, s12, exec_lo
	s_delay_alu instid0(VALU_DEP_1)
	s_and_b32 s0, s0, exec_lo
	s_or_b32 s14, s14, exec_lo
	s_or_b32 s12, s6, s0
.LBB215_1316:
	s_wait_xcnt 0x0
	s_or_b32 exec_lo, exec_lo, s7
	s_mov_b32 s0, 0
	s_mov_b32 s9, 0
                                        ; implicit-def: $sgpr6
                                        ; implicit-def: $sgpr7
                                        ; implicit-def: $vgpr0_vgpr1
	s_and_saveexec_b32 s8, s14
	s_cbranch_execnz .LBB215_1320
; %bb.1317:
	s_or_b32 exec_lo, exec_lo, s8
	s_and_saveexec_b32 s4, s39
	s_cbranch_execnz .LBB215_1397
.LBB215_1318:
	s_or_b32 exec_lo, exec_lo, s4
	s_and_saveexec_b32 s4, s0
	s_delay_alu instid0(SALU_CYCLE_1)
	s_xor_b32 s0, exec_lo, s4
	s_cbranch_execnz .LBB215_1398
.LBB215_1319:
	s_or_b32 exec_lo, exec_lo, s0
	s_and_saveexec_b32 s0, s9
	s_delay_alu instid0(SALU_CYCLE_1)
	s_xor_b32 s0, exec_lo, s0
	s_cbranch_execnz .LBB215_1399
	s_branch .LBB215_1436
.LBB215_1320:
	v_mov_b32_e32 v3, 0
	s_xor_b32 s0, s26, s12
	s_and_b32 s7, s11, 0xff
	s_xor_b32 s6, s10, s0
	s_cmp_lt_i32 s7, 11
	v_add_nc_u64_e32 v[0:1], s[4:5], v[2:3]
	s_cbranch_scc1 .LBB215_1327
; %bb.1321:
	s_and_b32 s4, 0xffff, s7
	s_mov_b32 s5, -1
	s_cmp_gt_i32 s4, 25
	s_mov_b32 s0, s39
	s_cbranch_scc0 .LBB215_1355
; %bb.1322:
	s_cmp_gt_i32 s4, 28
	s_mov_b32 s0, s39
	s_cbranch_scc0 .LBB215_1339
; %bb.1323:
	;; [unrolled: 4-line block ×4, first 2 shown]
	s_cmp_eq_u32 s4, 46
	s_mov_b32 s0, -1
	s_cbranch_scc0 .LBB215_1328
; %bb.1326:
	v_cndmask_b32_e64 v2, 0, 1.0, s6
	s_mov_b32 s0, 0
	s_mov_b32 s5, 0
	s_delay_alu instid0(VALU_DEP_1) | instskip(NEXT) | instid1(VALU_DEP_1)
	v_bfe_u32 v3, v2, 16, 1
	v_add3_u32 v2, v2, v3, 0x7fff
	s_delay_alu instid0(VALU_DEP_1)
	v_lshrrev_b32_e32 v2, 16, v2
	global_store_b32 v[0:1], v2, off
	s_branch .LBB215_1329
.LBB215_1327:
	s_mov_b32 s10, 0
	s_mov_b32 s5, -1
	s_mov_b32 s0, s39
	s_branch .LBB215_1396
.LBB215_1328:
	s_mov_b32 s5, 0
.LBB215_1329:
	s_delay_alu instid0(SALU_CYCLE_1)
	s_and_b32 vcc_lo, exec_lo, s5
	s_cbranch_vccz .LBB215_1334
; %bb.1330:
	s_cmp_eq_u32 s4, 44
	s_mov_b32 s0, -1
	s_cbranch_scc0 .LBB215_1334
; %bb.1331:
	v_cndmask_b32_e64 v4, 0, 1.0, s6
	s_mov_b32 s5, exec_lo
	s_wait_xcnt 0x0
	s_delay_alu instid0(VALU_DEP_1) | instskip(NEXT) | instid1(VALU_DEP_1)
	v_dual_mov_b32 v3, 0xff :: v_dual_lshrrev_b32 v2, 23, v4
	v_cmpx_ne_u32_e32 0xff, v2
; %bb.1332:
	v_and_b32_e32 v3, 0x400000, v4
	v_and_or_b32 v4, 0x3fffff, v4, v2
	s_delay_alu instid0(VALU_DEP_2) | instskip(NEXT) | instid1(VALU_DEP_2)
	v_cmp_ne_u32_e32 vcc_lo, 0, v3
	v_cmp_ne_u32_e64 s0, 0, v4
	s_and_b32 s0, vcc_lo, s0
	s_delay_alu instid0(SALU_CYCLE_1) | instskip(NEXT) | instid1(VALU_DEP_1)
	v_cndmask_b32_e64 v3, 0, 1, s0
	v_add_nc_u32_e32 v3, v2, v3
; %bb.1333:
	s_or_b32 exec_lo, exec_lo, s5
	s_mov_b32 s0, 0
	global_store_b8 v[0:1], v3, off
.LBB215_1334:
	s_mov_b32 s5, 0
.LBB215_1335:
	s_delay_alu instid0(SALU_CYCLE_1)
	s_and_b32 vcc_lo, exec_lo, s5
	s_cbranch_vccz .LBB215_1338
; %bb.1336:
	s_cmp_eq_u32 s4, 29
	s_mov_b32 s0, -1
	s_cbranch_scc0 .LBB215_1338
; %bb.1337:
	s_mov_b32 s0, 0
	s_wait_xcnt 0x0
	v_cndmask_b32_e64 v2, 0, 1, s6
	v_mov_b32_e32 v3, s0
	s_mov_b32 s5, 0
	global_store_b64 v[0:1], v[2:3], off
	s_branch .LBB215_1339
.LBB215_1338:
	s_mov_b32 s5, 0
.LBB215_1339:
	s_delay_alu instid0(SALU_CYCLE_1)
	s_and_b32 vcc_lo, exec_lo, s5
	s_cbranch_vccz .LBB215_1354
; %bb.1340:
	s_cmp_lt_i32 s4, 27
	s_mov_b32 s5, -1
	s_cbranch_scc1 .LBB215_1346
; %bb.1341:
	s_cmp_gt_i32 s4, 27
	s_cbranch_scc0 .LBB215_1343
; %bb.1342:
	s_wait_xcnt 0x0
	v_cndmask_b32_e64 v2, 0, 1, s6
	s_mov_b32 s5, 0
	global_store_b32 v[0:1], v2, off
.LBB215_1343:
	s_and_not1_b32 vcc_lo, exec_lo, s5
	s_cbranch_vccnz .LBB215_1345
; %bb.1344:
	s_wait_xcnt 0x0
	v_cndmask_b32_e64 v2, 0, 1, s6
	global_store_b16 v[0:1], v2, off
.LBB215_1345:
	s_mov_b32 s5, 0
.LBB215_1346:
	s_delay_alu instid0(SALU_CYCLE_1)
	s_and_not1_b32 vcc_lo, exec_lo, s5
	s_cbranch_vccnz .LBB215_1354
; %bb.1347:
	s_wait_xcnt 0x0
	v_cndmask_b32_e64 v3, 0, 1.0, s6
	v_mov_b32_e32 v4, 0x80
	s_mov_b32 s5, exec_lo
	s_delay_alu instid0(VALU_DEP_2)
	v_cmpx_gt_u32_e32 0x43800000, v3
	s_cbranch_execz .LBB215_1353
; %bb.1348:
	s_mov_b32 s10, exec_lo
                                        ; implicit-def: $vgpr2
	v_cmpx_lt_u32_e32 0x3bffffff, v3
	s_xor_b32 s10, exec_lo, s10
	s_cbranch_execnz .LBB215_1601
; %bb.1349:
	s_and_not1_saveexec_b32 s10, s10
	s_cbranch_execnz .LBB215_1602
.LBB215_1350:
	s_or_b32 exec_lo, exec_lo, s10
	v_mov_b32_e32 v4, 0
	s_and_saveexec_b32 s10, s9
.LBB215_1351:
	v_mov_b32_e32 v4, v2
.LBB215_1352:
	s_or_b32 exec_lo, exec_lo, s10
.LBB215_1353:
	s_delay_alu instid0(SALU_CYCLE_1)
	s_or_b32 exec_lo, exec_lo, s5
	global_store_b8 v[0:1], v4, off
.LBB215_1354:
	s_mov_b32 s5, 0
.LBB215_1355:
	s_delay_alu instid0(SALU_CYCLE_1)
	s_and_b32 vcc_lo, exec_lo, s5
	s_mov_b32 s5, 0
	s_cbranch_vccz .LBB215_1395
; %bb.1356:
	s_cmp_gt_i32 s4, 22
	s_mov_b32 s9, -1
	s_cbranch_scc0 .LBB215_1388
; %bb.1357:
	s_cmp_lt_i32 s4, 24
	s_cbranch_scc1 .LBB215_1377
; %bb.1358:
	s_cmp_gt_i32 s4, 24
	s_cbranch_scc0 .LBB215_1366
; %bb.1359:
	s_wait_xcnt 0x0
	v_cndmask_b32_e64 v3, 0, 1.0, s6
	v_mov_b32_e32 v4, 0x80
	s_mov_b32 s9, exec_lo
	s_delay_alu instid0(VALU_DEP_2)
	v_cmpx_gt_u32_e32 0x47800000, v3
	s_cbranch_execz .LBB215_1365
; %bb.1360:
	s_mov_b32 s10, 0
	s_mov_b32 s11, exec_lo
                                        ; implicit-def: $vgpr2
	v_cmpx_lt_u32_e32 0x37ffffff, v3
	s_xor_b32 s11, exec_lo, s11
	s_cbranch_execnz .LBB215_1713
; %bb.1361:
	s_and_not1_saveexec_b32 s11, s11
	s_cbranch_execnz .LBB215_1714
.LBB215_1362:
	s_or_b32 exec_lo, exec_lo, s11
	v_mov_b32_e32 v4, 0
	s_and_saveexec_b32 s11, s10
.LBB215_1363:
	v_mov_b32_e32 v4, v2
.LBB215_1364:
	s_or_b32 exec_lo, exec_lo, s11
.LBB215_1365:
	s_delay_alu instid0(SALU_CYCLE_1)
	s_or_b32 exec_lo, exec_lo, s9
	s_mov_b32 s9, 0
	global_store_b8 v[0:1], v4, off
.LBB215_1366:
	s_and_b32 vcc_lo, exec_lo, s9
	s_cbranch_vccz .LBB215_1376
; %bb.1367:
	s_wait_xcnt 0x0
	v_cndmask_b32_e64 v3, 0, 1.0, s6
	s_mov_b32 s9, exec_lo
                                        ; implicit-def: $vgpr2
	s_delay_alu instid0(VALU_DEP_1)
	v_cmpx_gt_u32_e32 0x43f00000, v3
	s_xor_b32 s9, exec_lo, s9
	s_cbranch_execz .LBB215_1373
; %bb.1368:
	s_mov_b32 s10, exec_lo
                                        ; implicit-def: $vgpr2
	v_cmpx_lt_u32_e32 0x3c7fffff, v3
	s_xor_b32 s10, exec_lo, s10
; %bb.1369:
	v_bfe_u32 v2, v3, 20, 1
	s_delay_alu instid0(VALU_DEP_1) | instskip(NEXT) | instid1(VALU_DEP_1)
	v_add3_u32 v2, v3, v2, 0x407ffff
	v_and_b32_e32 v3, 0xff00000, v2
	v_lshrrev_b32_e32 v2, 20, v2
	s_delay_alu instid0(VALU_DEP_2) | instskip(NEXT) | instid1(VALU_DEP_2)
	v_cmp_ne_u32_e32 vcc_lo, 0x7f00000, v3
                                        ; implicit-def: $vgpr3
	v_cndmask_b32_e32 v2, 0x7e, v2, vcc_lo
; %bb.1370:
	s_and_not1_saveexec_b32 s10, s10
; %bb.1371:
	v_add_f32_e32 v2, 0x46800000, v3
; %bb.1372:
	s_or_b32 exec_lo, exec_lo, s10
                                        ; implicit-def: $vgpr3
.LBB215_1373:
	s_and_not1_saveexec_b32 s9, s9
; %bb.1374:
	v_mov_b32_e32 v2, 0x7f
	v_cmp_lt_u32_e32 vcc_lo, 0x7f800000, v3
	s_delay_alu instid0(VALU_DEP_2)
	v_cndmask_b32_e32 v2, 0x7e, v2, vcc_lo
; %bb.1375:
	s_or_b32 exec_lo, exec_lo, s9
	global_store_b8 v[0:1], v2, off
.LBB215_1376:
	s_mov_b32 s9, 0
.LBB215_1377:
	s_delay_alu instid0(SALU_CYCLE_1)
	s_and_not1_b32 vcc_lo, exec_lo, s9
	s_cbranch_vccnz .LBB215_1387
; %bb.1378:
	s_wait_xcnt 0x0
	v_cndmask_b32_e64 v3, 0, 1.0, s6
	s_mov_b32 s9, exec_lo
                                        ; implicit-def: $vgpr2
	s_delay_alu instid0(VALU_DEP_1)
	v_cmpx_gt_u32_e32 0x47800000, v3
	s_xor_b32 s9, exec_lo, s9
	s_cbranch_execz .LBB215_1384
; %bb.1379:
	s_mov_b32 s10, exec_lo
                                        ; implicit-def: $vgpr2
	v_cmpx_lt_u32_e32 0x387fffff, v3
	s_xor_b32 s10, exec_lo, s10
; %bb.1380:
	v_bfe_u32 v2, v3, 21, 1
	s_delay_alu instid0(VALU_DEP_1) | instskip(NEXT) | instid1(VALU_DEP_1)
	v_add3_u32 v2, v3, v2, 0x80fffff
                                        ; implicit-def: $vgpr3
	v_lshrrev_b32_e32 v2, 21, v2
; %bb.1381:
	s_and_not1_saveexec_b32 s10, s10
; %bb.1382:
	v_add_f32_e32 v2, 0x43000000, v3
; %bb.1383:
	s_or_b32 exec_lo, exec_lo, s10
                                        ; implicit-def: $vgpr3
.LBB215_1384:
	s_and_not1_saveexec_b32 s9, s9
; %bb.1385:
	v_mov_b32_e32 v2, 0x7f
	v_cmp_lt_u32_e32 vcc_lo, 0x7f800000, v3
	s_delay_alu instid0(VALU_DEP_2)
	v_cndmask_b32_e32 v2, 0x7c, v2, vcc_lo
; %bb.1386:
	s_or_b32 exec_lo, exec_lo, s9
	global_store_b8 v[0:1], v2, off
.LBB215_1387:
	s_mov_b32 s9, 0
.LBB215_1388:
	s_delay_alu instid0(SALU_CYCLE_1)
	s_and_not1_b32 vcc_lo, exec_lo, s9
	s_mov_b32 s10, 0
	s_cbranch_vccnz .LBB215_1396
; %bb.1389:
	s_cmp_gt_i32 s4, 14
	s_mov_b32 s9, -1
	s_cbranch_scc0 .LBB215_1393
; %bb.1390:
	s_cmp_eq_u32 s4, 15
	s_mov_b32 s0, -1
	s_cbranch_scc0 .LBB215_1392
; %bb.1391:
	s_wait_xcnt 0x0
	v_cndmask_b32_e64 v2, 0, 1.0, s6
	s_mov_b32 s0, 0
	s_delay_alu instid0(VALU_DEP_1) | instskip(NEXT) | instid1(VALU_DEP_1)
	v_bfe_u32 v3, v2, 16, 1
	v_add3_u32 v2, v2, v3, 0x7fff
	global_store_d16_hi_b16 v[0:1], v2, off
.LBB215_1392:
	s_mov_b32 s9, 0
.LBB215_1393:
	s_delay_alu instid0(SALU_CYCLE_1)
	s_and_b32 vcc_lo, exec_lo, s9
	s_cbranch_vccz .LBB215_1396
; %bb.1394:
	s_cmp_lg_u32 s4, 11
	s_mov_b32 s10, -1
	s_cselect_b32 s4, -1, 0
	s_and_not1_b32 s0, s0, exec_lo
	s_and_b32 s4, s4, exec_lo
	s_delay_alu instid0(SALU_CYCLE_1)
	s_or_b32 s0, s0, s4
	s_branch .LBB215_1396
.LBB215_1395:
	s_mov_b32 s10, 0
.LBB215_1396:
	s_and_b32 s9, s5, exec_lo
	s_and_not1_b32 s4, s39, exec_lo
	s_and_b32 s5, s0, exec_lo
	s_and_b32 s0, s10, exec_lo
	s_or_b32 s39, s4, s5
	s_wait_xcnt 0x0
	s_or_b32 exec_lo, exec_lo, s8
	s_and_saveexec_b32 s4, s39
	s_cbranch_execz .LBB215_1318
.LBB215_1397:
	s_or_b32 s1, s1, exec_lo
	s_and_not1_b32 s0, s0, exec_lo
	s_trap 2
	s_or_b32 exec_lo, exec_lo, s4
	s_and_saveexec_b32 s4, s0
	s_delay_alu instid0(SALU_CYCLE_1)
	s_xor_b32 s0, exec_lo, s4
	s_cbranch_execz .LBB215_1319
.LBB215_1398:
	v_cndmask_b32_e64 v2, 0, 1, s6
	global_store_b8 v[0:1], v2, off
	s_wait_xcnt 0x0
	s_or_b32 exec_lo, exec_lo, s0
	s_and_saveexec_b32 s0, s9
	s_delay_alu instid0(SALU_CYCLE_1)
	s_xor_b32 s0, exec_lo, s0
	s_cbranch_execz .LBB215_1436
.LBB215_1399:
	s_sext_i32_i16 s5, s7
	s_mov_b32 s4, -1
	s_cmp_lt_i32 s5, 5
	s_cbranch_scc1 .LBB215_1420
; %bb.1400:
	s_cmp_lt_i32 s5, 8
	s_cbranch_scc1 .LBB215_1410
; %bb.1401:
	;; [unrolled: 3-line block ×3, first 2 shown]
	s_cmp_gt_i32 s5, 9
	s_cbranch_scc0 .LBB215_1404
; %bb.1403:
	v_cndmask_b32_e64 v2, 0, 1, s6
	v_mov_b32_e32 v4, 0
	s_mov_b32 s4, 0
	s_delay_alu instid0(VALU_DEP_2) | instskip(NEXT) | instid1(VALU_DEP_2)
	v_cvt_f64_u32_e32 v[2:3], v2
	v_mov_b32_e32 v5, v4
	global_store_b128 v[0:1], v[2:5], off
.LBB215_1404:
	s_and_not1_b32 vcc_lo, exec_lo, s4
	s_cbranch_vccnz .LBB215_1406
; %bb.1405:
	s_wait_xcnt 0x0
	v_cndmask_b32_e64 v2, 0, 1.0, s6
	v_mov_b32_e32 v3, 0
	global_store_b64 v[0:1], v[2:3], off
.LBB215_1406:
	s_mov_b32 s4, 0
.LBB215_1407:
	s_delay_alu instid0(SALU_CYCLE_1)
	s_and_not1_b32 vcc_lo, exec_lo, s4
	s_cbranch_vccnz .LBB215_1409
; %bb.1408:
	s_wait_xcnt 0x0
	v_cndmask_b32_e64 v2, 0, 1.0, s6
	s_delay_alu instid0(VALU_DEP_1) | instskip(NEXT) | instid1(VALU_DEP_1)
	v_cvt_f16_f32_e32 v2, v2
	v_and_b32_e32 v2, 0xffff, v2
	global_store_b32 v[0:1], v2, off
.LBB215_1409:
	s_mov_b32 s4, 0
.LBB215_1410:
	s_delay_alu instid0(SALU_CYCLE_1)
	s_and_not1_b32 vcc_lo, exec_lo, s4
	s_cbranch_vccnz .LBB215_1419
; %bb.1411:
	s_sext_i32_i16 s5, s7
	s_mov_b32 s4, -1
	s_cmp_lt_i32 s5, 6
	s_cbranch_scc1 .LBB215_1417
; %bb.1412:
	s_cmp_gt_i32 s5, 6
	s_cbranch_scc0 .LBB215_1414
; %bb.1413:
	s_wait_xcnt 0x0
	v_cndmask_b32_e64 v2, 0, 1, s6
	s_mov_b32 s4, 0
	s_delay_alu instid0(VALU_DEP_1)
	v_cvt_f64_u32_e32 v[2:3], v2
	global_store_b64 v[0:1], v[2:3], off
.LBB215_1414:
	s_and_not1_b32 vcc_lo, exec_lo, s4
	s_cbranch_vccnz .LBB215_1416
; %bb.1415:
	s_wait_xcnt 0x0
	v_cndmask_b32_e64 v2, 0, 1.0, s6
	global_store_b32 v[0:1], v2, off
.LBB215_1416:
	s_mov_b32 s4, 0
.LBB215_1417:
	s_delay_alu instid0(SALU_CYCLE_1)
	s_and_not1_b32 vcc_lo, exec_lo, s4
	s_cbranch_vccnz .LBB215_1419
; %bb.1418:
	s_wait_xcnt 0x0
	v_cndmask_b32_e64 v2, 0, 1.0, s6
	s_delay_alu instid0(VALU_DEP_1)
	v_cvt_f16_f32_e32 v2, v2
	global_store_b16 v[0:1], v2, off
.LBB215_1419:
	s_mov_b32 s4, 0
.LBB215_1420:
	s_delay_alu instid0(SALU_CYCLE_1)
	s_and_not1_b32 vcc_lo, exec_lo, s4
	s_cbranch_vccnz .LBB215_1436
; %bb.1421:
	s_sext_i32_i16 s5, s7
	s_mov_b32 s4, -1
	s_cmp_lt_i32 s5, 2
	s_cbranch_scc1 .LBB215_1431
; %bb.1422:
	s_cmp_lt_i32 s5, 3
	s_cbranch_scc1 .LBB215_1428
; %bb.1423:
	s_cmp_gt_i32 s5, 3
	s_cbranch_scc0 .LBB215_1425
; %bb.1424:
	s_mov_b32 s4, 0
	s_wait_xcnt 0x0
	v_cndmask_b32_e64 v2, 0, 1, s6
	v_mov_b32_e32 v3, s4
	global_store_b64 v[0:1], v[2:3], off
.LBB215_1425:
	s_and_not1_b32 vcc_lo, exec_lo, s4
	s_cbranch_vccnz .LBB215_1427
; %bb.1426:
	s_wait_xcnt 0x0
	v_cndmask_b32_e64 v2, 0, 1, s6
	global_store_b32 v[0:1], v2, off
.LBB215_1427:
	s_mov_b32 s4, 0
.LBB215_1428:
	s_delay_alu instid0(SALU_CYCLE_1)
	s_and_not1_b32 vcc_lo, exec_lo, s4
	s_cbranch_vccnz .LBB215_1430
; %bb.1429:
	s_wait_xcnt 0x0
	v_cndmask_b32_e64 v2, 0, 1, s6
	global_store_b16 v[0:1], v2, off
.LBB215_1430:
	s_mov_b32 s4, 0
.LBB215_1431:
	s_delay_alu instid0(SALU_CYCLE_1)
	s_and_not1_b32 vcc_lo, exec_lo, s4
	s_cbranch_vccnz .LBB215_1436
; %bb.1432:
	s_wait_xcnt 0x0
	v_cndmask_b32_e64 v2, 0, 1, s6
	s_sext_i32_i16 s4, s7
	s_delay_alu instid0(SALU_CYCLE_1)
	s_cmp_gt_i32 s4, 0
	s_mov_b32 s4, -1
	s_cbranch_scc0 .LBB215_1434
; %bb.1433:
	s_mov_b32 s4, 0
	global_store_b8 v[0:1], v2, off
.LBB215_1434:
	s_and_not1_b32 vcc_lo, exec_lo, s4
	s_cbranch_vccnz .LBB215_1436
; %bb.1435:
	global_store_b8 v[0:1], v2, off
.LBB215_1436:
	s_wait_xcnt 0x0
	s_or_b32 exec_lo, exec_lo, s0
	s_delay_alu instid0(SALU_CYCLE_1)
	s_and_b32 s10, s1, exec_lo
                                        ; implicit-def: $vgpr1
                                        ; implicit-def: $vgpr0
.LBB215_1437:
	s_or_saveexec_b32 s11, s33
	s_mov_b32 s0, 0
                                        ; implicit-def: $sgpr4
                                        ; implicit-def: $vgpr2_vgpr3
                                        ; implicit-def: $sgpr7
	s_xor_b32 exec_lo, exec_lo, s11
	s_cbranch_execz .LBB215_2818
; %bb.1438:
	v_cndmask_b32_e64 v3, 0, 1, s31
	s_and_not1_b32 vcc_lo, exec_lo, s31
	s_cbranch_vccnz .LBB215_1444
; %bb.1439:
	s_cmp_lg_u32 s28, 0
	s_mov_b32 s4, 0
	s_cbranch_scc0 .LBB215_1448
; %bb.1440:
	s_min_u32 s5, s29, 15
	v_dual_mov_b32 v6, 0 :: v_dual_mov_b32 v2, v0
	v_dual_mov_b32 v22, 0 :: v_dual_mov_b32 v20, 0
	s_add_co_i32 s6, s5, 1
	s_mov_b64 s[0:1], 0xffffffffffffffe8
	s_and_b32 s6, s6, 30
	s_add_nc_u64 s[0:1], s[2:3], s[0:1]
.LBB215_1441:                           ; =>This Inner Loop Header: Depth=1
	s_clause 0x1
	s_load_b128 s[12:15], s[0:1], 0x1c
	s_load_b64 s[8:9], s[0:1], 0x2c
	s_add_co_i32 s6, s6, -2
	s_delay_alu instid0(SALU_CYCLE_1) | instskip(SKIP_2) | instid1(VALU_DEP_1)
	s_cmp_lg_u32 s6, 0
	s_wait_kmcnt 0x0
	v_mul_hi_u32 v4, s13, v2
	v_add_nc_u32_e32 v4, v2, v4
	s_delay_alu instid0(VALU_DEP_1) | instskip(NEXT) | instid1(VALU_DEP_1)
	v_lshrrev_b32_e32 v4, s14, v4
	v_mul_hi_u32 v5, s8, v4
	v_mul_lo_u32 v7, v4, s12
	s_clause 0x1
	s_load_b128 s[16:19], s[0:1], 0xdc
	s_load_b64 s[12:13], s[0:1], 0xec
	s_wait_xcnt 0x0
	s_add_nc_u64 s[0:1], s[0:1], 24
	s_delay_alu instid0(VALU_DEP_1) | instskip(NEXT) | instid1(VALU_DEP_1)
	v_dual_add_nc_u32 v5, v4, v5 :: v_dual_sub_nc_u32 v7, v2, v7
	v_lshrrev_b32_e32 v2, s9, v5
	s_wait_kmcnt 0x0
	s_delay_alu instid0(VALU_DEP_2) | instskip(NEXT) | instid1(VALU_DEP_2)
	v_mad_u32 v6, v7, s16, v6
	v_mul_lo_u32 v5, v2, s15
	v_mad_u32 v8, v7, s18, v20
	v_mad_u32 v7, v7, s17, v22
	s_delay_alu instid0(VALU_DEP_3) | instskip(NEXT) | instid1(VALU_DEP_1)
	v_sub_nc_u32_e32 v4, v4, v5
	v_mad_u32 v6, v4, s19, v6
	s_delay_alu instid0(VALU_DEP_4) | instskip(NEXT) | instid1(VALU_DEP_4)
	v_mad_u32 v20, v4, s13, v8
	v_mad_u32 v22, v4, s12, v7
	s_cbranch_scc1 .LBB215_1441
; %bb.1442:
	s_bitcmp1_b32 s5, 0
	s_cselect_b32 s5, -1, 0
	s_delay_alu instid0(SALU_CYCLE_1)
	s_and_b32 vcc_lo, exec_lo, s5
	s_cbranch_vccnz .LBB215_1445
; %bb.1443:
	s_clause 0x1
	s_load_b96 s[12:14], s[0:1], 0x1c
	s_load_b96 s[16:18], s[0:1], 0xdc
	s_wait_kmcnt 0x0
	v_mul_hi_u32 v4, s13, v2
	s_delay_alu instid0(VALU_DEP_1) | instskip(NEXT) | instid1(VALU_DEP_1)
	v_add_nc_u32_e32 v4, v2, v4
	v_lshrrev_b32_e32 v4, s14, v4
	s_delay_alu instid0(VALU_DEP_1) | instskip(NEXT) | instid1(VALU_DEP_1)
	v_mul_lo_u32 v4, v4, s12
	v_sub_nc_u32_e32 v2, v2, v4
	s_delay_alu instid0(VALU_DEP_1)
	v_mad_u32 v6, v2, s16, v6
	v_mad_u32 v22, v2, s17, v22
	;; [unrolled: 1-line block ×3, first 2 shown]
	s_and_not1_b32 vcc_lo, exec_lo, s4
	s_cbranch_vccz .LBB215_1446
	s_branch .LBB215_1449
.LBB215_1444:
	s_mov_b32 s4, -1
                                        ; implicit-def: $vgpr20
                                        ; implicit-def: $vgpr22
                                        ; implicit-def: $vgpr6
.LBB215_1445:
	s_delay_alu instid0(SALU_CYCLE_1)
	s_and_not1_b32 vcc_lo, exec_lo, s4
	s_cbranch_vccnz .LBB215_1449
.LBB215_1446:
	s_clause 0x1
	s_load_b96 s[4:6], s[2:3], 0x4
	s_load_b96 s[12:14], s[2:3], 0xc4
	s_cmp_lt_u32 s28, 2
	s_wait_kmcnt 0x0
	v_mul_hi_u32 v2, s5, v0
	s_delay_alu instid0(VALU_DEP_1) | instskip(NEXT) | instid1(VALU_DEP_1)
	v_add_nc_u32_e32 v2, v0, v2
	v_lshrrev_b32_e32 v2, s6, v2
	s_delay_alu instid0(VALU_DEP_1) | instskip(NEXT) | instid1(VALU_DEP_1)
	v_mul_lo_u32 v4, v2, s4
	v_sub_nc_u32_e32 v4, v0, v4
	s_delay_alu instid0(VALU_DEP_1)
	v_mul_lo_u32 v6, v4, s12
	v_mul_lo_u32 v20, v4, s14
	v_mul_lo_u32 v22, v4, s13
	s_cbranch_scc1 .LBB215_1449
; %bb.1447:
	s_clause 0x1
	s_load_b96 s[4:6], s[2:3], 0x10
	s_load_b96 s[12:14], s[2:3], 0xd0
	s_wait_kmcnt 0x0
	v_mul_hi_u32 v4, s5, v2
	s_delay_alu instid0(VALU_DEP_1) | instskip(NEXT) | instid1(VALU_DEP_1)
	v_add_nc_u32_e32 v4, v2, v4
	v_lshrrev_b32_e32 v4, s6, v4
	s_delay_alu instid0(VALU_DEP_1) | instskip(NEXT) | instid1(VALU_DEP_1)
	v_mul_lo_u32 v4, v4, s4
	v_sub_nc_u32_e32 v2, v2, v4
	s_delay_alu instid0(VALU_DEP_1)
	v_mad_u32 v6, v2, s12, v6
	v_mad_u32 v22, v2, s13, v22
	;; [unrolled: 1-line block ×3, first 2 shown]
	s_branch .LBB215_1449
.LBB215_1448:
	v_dual_mov_b32 v20, 0 :: v_dual_mov_b32 v22, 0
	v_mov_b32_e32 v6, 0
	s_and_not1_b32 vcc_lo, exec_lo, s4
	s_cbranch_vccz .LBB215_1446
.LBB215_1449:
	v_cmp_ne_u32_e32 vcc_lo, 1, v3
	v_add_nc_u32_e32 v2, 0x80, v0
	s_cbranch_vccnz .LBB215_1455
; %bb.1450:
	s_cmp_lg_u32 s28, 0
	s_mov_b32 s4, 0
	s_cbranch_scc0 .LBB215_1459
; %bb.1451:
	s_min_u32 s5, s29, 15
	v_dual_mov_b32 v4, 0 :: v_dual_mov_b32 v5, v2
	v_dual_mov_b32 v18, 0 :: v_dual_mov_b32 v16, 0
	s_add_co_i32 s6, s5, 1
	s_mov_b64 s[0:1], 0xffffffffffffffe8
	s_and_b32 s6, s6, 30
	s_add_nc_u64 s[0:1], s[2:3], s[0:1]
.LBB215_1452:                           ; =>This Inner Loop Header: Depth=1
	s_clause 0x1
	s_load_b128 s[12:15], s[0:1], 0x1c
	s_load_b64 s[8:9], s[0:1], 0x2c
	s_add_co_i32 s6, s6, -2
	s_delay_alu instid0(SALU_CYCLE_1) | instskip(SKIP_2) | instid1(VALU_DEP_1)
	s_cmp_lg_u32 s6, 0
	s_wait_kmcnt 0x0
	v_mul_hi_u32 v7, s13, v5
	v_add_nc_u32_e32 v7, v5, v7
	s_delay_alu instid0(VALU_DEP_1) | instskip(NEXT) | instid1(VALU_DEP_1)
	v_lshrrev_b32_e32 v7, s14, v7
	v_mul_hi_u32 v8, s8, v7
	v_mul_lo_u32 v9, v7, s12
	s_clause 0x1
	s_load_b128 s[16:19], s[0:1], 0xdc
	s_load_b64 s[12:13], s[0:1], 0xec
	s_wait_xcnt 0x0
	s_add_nc_u64 s[0:1], s[0:1], 24
	s_delay_alu instid0(VALU_DEP_1) | instskip(NEXT) | instid1(VALU_DEP_1)
	v_dual_add_nc_u32 v8, v7, v8 :: v_dual_sub_nc_u32 v9, v5, v9
	v_lshrrev_b32_e32 v5, s9, v8
	s_wait_kmcnt 0x0
	s_delay_alu instid0(VALU_DEP_2) | instskip(NEXT) | instid1(VALU_DEP_2)
	v_mad_u32 v4, v9, s16, v4
	v_mul_lo_u32 v8, v5, s15
	v_mad_u32 v10, v9, s18, v16
	v_mad_u32 v9, v9, s17, v18
	s_delay_alu instid0(VALU_DEP_3) | instskip(NEXT) | instid1(VALU_DEP_1)
	v_sub_nc_u32_e32 v7, v7, v8
	v_mad_u32 v4, v7, s19, v4
	s_delay_alu instid0(VALU_DEP_4) | instskip(NEXT) | instid1(VALU_DEP_4)
	v_mad_u32 v16, v7, s13, v10
	v_mad_u32 v18, v7, s12, v9
	s_cbranch_scc1 .LBB215_1452
; %bb.1453:
	s_bitcmp1_b32 s5, 0
	s_cselect_b32 s5, -1, 0
	s_delay_alu instid0(SALU_CYCLE_1)
	s_and_b32 vcc_lo, exec_lo, s5
	s_cbranch_vccnz .LBB215_1456
; %bb.1454:
	s_clause 0x1
	s_load_b96 s[12:14], s[0:1], 0x1c
	s_load_b96 s[16:18], s[0:1], 0xdc
	s_wait_kmcnt 0x0
	v_mul_hi_u32 v7, s13, v5
	s_delay_alu instid0(VALU_DEP_1) | instskip(NEXT) | instid1(VALU_DEP_1)
	v_add_nc_u32_e32 v7, v5, v7
	v_lshrrev_b32_e32 v7, s14, v7
	s_delay_alu instid0(VALU_DEP_1) | instskip(NEXT) | instid1(VALU_DEP_1)
	v_mul_lo_u32 v7, v7, s12
	v_sub_nc_u32_e32 v5, v5, v7
	s_delay_alu instid0(VALU_DEP_1)
	v_mad_u32 v4, v5, s16, v4
	v_mad_u32 v18, v5, s17, v18
	;; [unrolled: 1-line block ×3, first 2 shown]
	s_and_not1_b32 vcc_lo, exec_lo, s4
	s_cbranch_vccz .LBB215_1457
	s_branch .LBB215_1460
.LBB215_1455:
	s_mov_b32 s4, -1
                                        ; implicit-def: $vgpr16
                                        ; implicit-def: $vgpr18
                                        ; implicit-def: $vgpr4
.LBB215_1456:
	s_delay_alu instid0(SALU_CYCLE_1)
	s_and_not1_b32 vcc_lo, exec_lo, s4
	s_cbranch_vccnz .LBB215_1460
.LBB215_1457:
	s_clause 0x1
	s_load_b96 s[4:6], s[2:3], 0x4
	s_load_b96 s[12:14], s[2:3], 0xc4
	s_cmp_lt_u32 s28, 2
	s_wait_kmcnt 0x0
	v_mul_hi_u32 v4, s5, v2
	s_delay_alu instid0(VALU_DEP_1) | instskip(NEXT) | instid1(VALU_DEP_1)
	v_add_nc_u32_e32 v4, v2, v4
	v_lshrrev_b32_e32 v5, s6, v4
	s_delay_alu instid0(VALU_DEP_1) | instskip(NEXT) | instid1(VALU_DEP_1)
	v_mul_lo_u32 v4, v5, s4
	v_sub_nc_u32_e32 v2, v2, v4
	s_delay_alu instid0(VALU_DEP_1)
	v_mul_lo_u32 v4, v2, s12
	v_mul_lo_u32 v16, v2, s14
	;; [unrolled: 1-line block ×3, first 2 shown]
	s_cbranch_scc1 .LBB215_1460
; %bb.1458:
	s_clause 0x1
	s_load_b96 s[4:6], s[2:3], 0x10
	s_load_b96 s[12:14], s[2:3], 0xd0
	s_wait_kmcnt 0x0
	v_mul_hi_u32 v2, s5, v5
	s_delay_alu instid0(VALU_DEP_1) | instskip(NEXT) | instid1(VALU_DEP_1)
	v_add_nc_u32_e32 v2, v5, v2
	v_lshrrev_b32_e32 v2, s6, v2
	s_delay_alu instid0(VALU_DEP_1) | instskip(NEXT) | instid1(VALU_DEP_1)
	v_mul_lo_u32 v2, v2, s4
	v_sub_nc_u32_e32 v2, v5, v2
	s_delay_alu instid0(VALU_DEP_1)
	v_mad_u32 v4, v2, s12, v4
	v_mad_u32 v18, v2, s13, v18
	;; [unrolled: 1-line block ×3, first 2 shown]
	s_branch .LBB215_1460
.LBB215_1459:
	v_dual_mov_b32 v16, 0 :: v_dual_mov_b32 v18, 0
	v_mov_b32_e32 v4, 0
	s_and_not1_b32 vcc_lo, exec_lo, s4
	s_cbranch_vccz .LBB215_1457
.LBB215_1460:
	v_cmp_ne_u32_e32 vcc_lo, 1, v3
	v_add_nc_u32_e32 v0, 0x100, v0
	s_cbranch_vccnz .LBB215_1466
; %bb.1461:
	s_cmp_lg_u32 s28, 0
	s_mov_b32 s4, 0
	s_cbranch_scc0 .LBB215_1470
; %bb.1462:
	s_min_u32 s5, s29, 15
	v_dual_mov_b32 v2, 0 :: v_dual_mov_b32 v5, v0
	v_dual_mov_b32 v14, 0 :: v_dual_mov_b32 v12, 0
	s_add_co_i32 s6, s5, 1
	s_mov_b64 s[0:1], 0xffffffffffffffe8
	s_and_b32 s6, s6, 30
	s_add_nc_u64 s[0:1], s[2:3], s[0:1]
.LBB215_1463:                           ; =>This Inner Loop Header: Depth=1
	s_clause 0x1
	s_load_b128 s[12:15], s[0:1], 0x1c
	s_load_b64 s[8:9], s[0:1], 0x2c
	s_add_co_i32 s6, s6, -2
	s_delay_alu instid0(SALU_CYCLE_1) | instskip(SKIP_2) | instid1(VALU_DEP_1)
	s_cmp_lg_u32 s6, 0
	s_wait_kmcnt 0x0
	v_mul_hi_u32 v7, s13, v5
	v_add_nc_u32_e32 v7, v5, v7
	s_delay_alu instid0(VALU_DEP_1) | instskip(NEXT) | instid1(VALU_DEP_1)
	v_lshrrev_b32_e32 v7, s14, v7
	v_mul_hi_u32 v8, s8, v7
	v_mul_lo_u32 v9, v7, s12
	s_clause 0x1
	s_load_b128 s[16:19], s[0:1], 0xdc
	s_load_b64 s[12:13], s[0:1], 0xec
	s_wait_xcnt 0x0
	s_add_nc_u64 s[0:1], s[0:1], 24
	s_delay_alu instid0(VALU_DEP_1) | instskip(NEXT) | instid1(VALU_DEP_1)
	v_dual_add_nc_u32 v8, v7, v8 :: v_dual_sub_nc_u32 v9, v5, v9
	v_lshrrev_b32_e32 v5, s9, v8
	s_wait_kmcnt 0x0
	s_delay_alu instid0(VALU_DEP_2) | instskip(NEXT) | instid1(VALU_DEP_2)
	v_mad_u32 v2, v9, s16, v2
	v_mul_lo_u32 v8, v5, s15
	v_mad_u32 v10, v9, s18, v12
	v_mad_u32 v9, v9, s17, v14
	s_delay_alu instid0(VALU_DEP_3) | instskip(NEXT) | instid1(VALU_DEP_1)
	v_sub_nc_u32_e32 v7, v7, v8
	v_mad_u32 v2, v7, s19, v2
	s_delay_alu instid0(VALU_DEP_4) | instskip(NEXT) | instid1(VALU_DEP_4)
	v_mad_u32 v12, v7, s13, v10
	v_mad_u32 v14, v7, s12, v9
	s_cbranch_scc1 .LBB215_1463
; %bb.1464:
	s_bitcmp1_b32 s5, 0
	s_cselect_b32 s5, -1, 0
	s_delay_alu instid0(SALU_CYCLE_1)
	s_and_b32 vcc_lo, exec_lo, s5
	s_cbranch_vccnz .LBB215_1467
; %bb.1465:
	s_clause 0x1
	s_load_b96 s[12:14], s[0:1], 0x1c
	s_load_b96 s[16:18], s[0:1], 0xdc
	s_wait_kmcnt 0x0
	v_mul_hi_u32 v7, s13, v5
	s_delay_alu instid0(VALU_DEP_1) | instskip(NEXT) | instid1(VALU_DEP_1)
	v_add_nc_u32_e32 v7, v5, v7
	v_lshrrev_b32_e32 v7, s14, v7
	s_delay_alu instid0(VALU_DEP_1) | instskip(NEXT) | instid1(VALU_DEP_1)
	v_mul_lo_u32 v7, v7, s12
	v_sub_nc_u32_e32 v5, v5, v7
	s_delay_alu instid0(VALU_DEP_1)
	v_mad_u32 v2, v5, s16, v2
	v_mad_u32 v14, v5, s17, v14
	v_mad_u32 v12, v5, s18, v12
	s_and_not1_b32 vcc_lo, exec_lo, s4
	s_cbranch_vccz .LBB215_1468
	s_branch .LBB215_1471
.LBB215_1466:
	s_mov_b32 s4, -1
                                        ; implicit-def: $vgpr12
                                        ; implicit-def: $vgpr14
                                        ; implicit-def: $vgpr2
.LBB215_1467:
	s_delay_alu instid0(SALU_CYCLE_1)
	s_and_not1_b32 vcc_lo, exec_lo, s4
	s_cbranch_vccnz .LBB215_1471
.LBB215_1468:
	s_clause 0x1
	s_load_b96 s[4:6], s[2:3], 0x4
	s_load_b96 s[12:14], s[2:3], 0xc4
	s_cmp_lt_u32 s28, 2
	s_wait_kmcnt 0x0
	v_mul_hi_u32 v2, s5, v0
	s_delay_alu instid0(VALU_DEP_1) | instskip(NEXT) | instid1(VALU_DEP_1)
	v_add_nc_u32_e32 v2, v0, v2
	v_lshrrev_b32_e32 v5, s6, v2
	s_delay_alu instid0(VALU_DEP_1) | instskip(NEXT) | instid1(VALU_DEP_1)
	v_mul_lo_u32 v2, v5, s4
	v_sub_nc_u32_e32 v0, v0, v2
	s_delay_alu instid0(VALU_DEP_1)
	v_mul_lo_u32 v2, v0, s12
	v_mul_lo_u32 v12, v0, s14
	;; [unrolled: 1-line block ×3, first 2 shown]
	s_cbranch_scc1 .LBB215_1471
; %bb.1469:
	s_clause 0x1
	s_load_b96 s[4:6], s[2:3], 0x10
	s_load_b96 s[12:14], s[2:3], 0xd0
	s_wait_kmcnt 0x0
	v_mul_hi_u32 v0, s5, v5
	s_delay_alu instid0(VALU_DEP_1) | instskip(NEXT) | instid1(VALU_DEP_1)
	v_add_nc_u32_e32 v0, v5, v0
	v_lshrrev_b32_e32 v0, s6, v0
	s_delay_alu instid0(VALU_DEP_1) | instskip(NEXT) | instid1(VALU_DEP_1)
	v_mul_lo_u32 v0, v0, s4
	v_sub_nc_u32_e32 v0, v5, v0
	s_delay_alu instid0(VALU_DEP_1)
	v_mad_u32 v2, v0, s12, v2
	v_mad_u32 v14, v0, s13, v14
	;; [unrolled: 1-line block ×3, first 2 shown]
	s_branch .LBB215_1471
.LBB215_1470:
	v_dual_mov_b32 v12, 0 :: v_dual_mov_b32 v14, 0
	v_mov_b32_e32 v2, 0
	s_and_not1_b32 vcc_lo, exec_lo, s4
	s_cbranch_vccz .LBB215_1468
.LBB215_1471:
	v_cmp_ne_u32_e32 vcc_lo, 1, v3
	s_cbranch_vccnz .LBB215_1477
; %bb.1472:
	s_cmp_lg_u32 s28, 0
	s_mov_b32 s4, 0
	s_cbranch_scc0 .LBB215_1481
; %bb.1473:
	s_min_u32 s5, s29, 15
	v_dual_mov_b32 v0, 0 :: v_dual_mov_b32 v3, v1
	v_dual_mov_b32 v10, 0 :: v_dual_mov_b32 v8, 0
	s_add_co_i32 s6, s5, 1
	s_mov_b64 s[0:1], 0xffffffffffffffe8
	s_and_b32 s6, s6, 30
	s_add_nc_u64 s[0:1], s[2:3], s[0:1]
.LBB215_1474:                           ; =>This Inner Loop Header: Depth=1
	s_clause 0x1
	s_load_b128 s[12:15], s[0:1], 0x1c
	s_load_b64 s[8:9], s[0:1], 0x2c
	s_add_co_i32 s6, s6, -2
	s_delay_alu instid0(SALU_CYCLE_1) | instskip(SKIP_2) | instid1(VALU_DEP_1)
	s_cmp_lg_u32 s6, 0
	s_wait_kmcnt 0x0
	v_mul_hi_u32 v5, s13, v3
	v_add_nc_u32_e32 v5, v3, v5
	s_delay_alu instid0(VALU_DEP_1) | instskip(NEXT) | instid1(VALU_DEP_1)
	v_lshrrev_b32_e32 v5, s14, v5
	v_mul_hi_u32 v7, s8, v5
	v_mul_lo_u32 v9, v5, s12
	s_clause 0x1
	s_load_b128 s[16:19], s[0:1], 0xdc
	s_load_b64 s[12:13], s[0:1], 0xec
	s_wait_xcnt 0x0
	s_add_nc_u64 s[0:1], s[0:1], 24
	s_delay_alu instid0(VALU_DEP_1) | instskip(NEXT) | instid1(VALU_DEP_1)
	v_dual_add_nc_u32 v7, v5, v7 :: v_dual_sub_nc_u32 v9, v3, v9
	v_lshrrev_b32_e32 v3, s9, v7
	s_wait_kmcnt 0x0
	s_delay_alu instid0(VALU_DEP_2) | instskip(NEXT) | instid1(VALU_DEP_2)
	v_mad_u32 v0, v9, s16, v0
	v_mul_lo_u32 v7, v3, s15
	v_mad_u32 v8, v9, s18, v8
	v_mad_u32 v9, v9, s17, v10
	s_delay_alu instid0(VALU_DEP_3) | instskip(NEXT) | instid1(VALU_DEP_1)
	v_sub_nc_u32_e32 v5, v5, v7
	v_mad_u32 v0, v5, s19, v0
	s_delay_alu instid0(VALU_DEP_4) | instskip(NEXT) | instid1(VALU_DEP_4)
	v_mad_u32 v8, v5, s13, v8
	v_mad_u32 v10, v5, s12, v9
	s_cbranch_scc1 .LBB215_1474
; %bb.1475:
	s_bitcmp1_b32 s5, 0
	s_cselect_b32 s5, -1, 0
	s_delay_alu instid0(SALU_CYCLE_1)
	s_and_b32 vcc_lo, exec_lo, s5
	s_cbranch_vccnz .LBB215_1478
; %bb.1476:
	s_clause 0x1
	s_load_b96 s[12:14], s[0:1], 0x1c
	s_load_b96 s[16:18], s[0:1], 0xdc
	s_wait_kmcnt 0x0
	v_mul_hi_u32 v5, s13, v3
	s_delay_alu instid0(VALU_DEP_1) | instskip(NEXT) | instid1(VALU_DEP_1)
	v_add_nc_u32_e32 v5, v3, v5
	v_lshrrev_b32_e32 v5, s14, v5
	s_delay_alu instid0(VALU_DEP_1) | instskip(NEXT) | instid1(VALU_DEP_1)
	v_mul_lo_u32 v5, v5, s12
	v_sub_nc_u32_e32 v3, v3, v5
	s_delay_alu instid0(VALU_DEP_1)
	v_mad_u32 v0, v3, s16, v0
	v_mad_u32 v10, v3, s17, v10
	;; [unrolled: 1-line block ×3, first 2 shown]
	s_and_not1_b32 vcc_lo, exec_lo, s4
	s_cbranch_vccz .LBB215_1479
	s_branch .LBB215_1482
.LBB215_1477:
	s_mov_b32 s4, -1
                                        ; implicit-def: $vgpr8
                                        ; implicit-def: $vgpr10
                                        ; implicit-def: $vgpr0
.LBB215_1478:
	s_delay_alu instid0(SALU_CYCLE_1)
	s_and_not1_b32 vcc_lo, exec_lo, s4
	s_cbranch_vccnz .LBB215_1482
.LBB215_1479:
	s_clause 0x1
	s_load_b96 s[4:6], s[2:3], 0x4
	s_load_b96 s[12:14], s[2:3], 0xc4
	s_cmp_lt_u32 s28, 2
	s_wait_kmcnt 0x0
	v_mul_hi_u32 v0, s5, v1
	s_delay_alu instid0(VALU_DEP_1) | instskip(NEXT) | instid1(VALU_DEP_1)
	v_add_nc_u32_e32 v0, v1, v0
	v_lshrrev_b32_e32 v3, s6, v0
	s_delay_alu instid0(VALU_DEP_1) | instskip(NEXT) | instid1(VALU_DEP_1)
	v_mul_lo_u32 v0, v3, s4
	v_sub_nc_u32_e32 v1, v1, v0
	s_delay_alu instid0(VALU_DEP_1)
	v_mul_lo_u32 v0, v1, s12
	v_mul_lo_u32 v8, v1, s14
	;; [unrolled: 1-line block ×3, first 2 shown]
	s_cbranch_scc1 .LBB215_1482
; %bb.1480:
	s_clause 0x1
	s_load_b96 s[4:6], s[2:3], 0x10
	s_load_b96 s[12:14], s[2:3], 0xd0
	s_wait_kmcnt 0x0
	v_mul_hi_u32 v1, s5, v3
	s_delay_alu instid0(VALU_DEP_1) | instskip(NEXT) | instid1(VALU_DEP_1)
	v_add_nc_u32_e32 v1, v3, v1
	v_lshrrev_b32_e32 v1, s6, v1
	s_delay_alu instid0(VALU_DEP_1) | instskip(NEXT) | instid1(VALU_DEP_1)
	v_mul_lo_u32 v1, v1, s4
	v_sub_nc_u32_e32 v1, v3, v1
	s_delay_alu instid0(VALU_DEP_1)
	v_mad_u32 v0, v1, s12, v0
	v_mad_u32 v10, v1, s13, v10
	v_mad_u32 v8, v1, s14, v8
	s_branch .LBB215_1482
.LBB215_1481:
	v_dual_mov_b32 v8, 0 :: v_dual_mov_b32 v10, 0
	v_mov_b32_e32 v0, 0
	s_and_not1_b32 vcc_lo, exec_lo, s4
	s_cbranch_vccz .LBB215_1479
.LBB215_1482:
	v_mov_b32_e32 v23, 0
	s_load_b128 s[4:7], s[2:3], 0x188
	global_load_u8 v1, v23, s[2:3] offset:421
	s_wait_kmcnt 0x0
	v_add_nc_u64_e32 v[22:23], s[6:7], v[22:23]
	s_wait_loadcnt 0x0
	v_and_b32_e32 v3, 0xffff, v1
	v_readfirstlane_b32 s13, v1
	s_delay_alu instid0(VALU_DEP_2)
	v_cmp_gt_i32_e32 vcc_lo, 11, v3
	s_cbranch_vccnz .LBB215_1489
; %bb.1483:
	s_and_b32 s0, 0xffff, s13
	s_mov_b32 s9, 0
	s_cmp_gt_i32 s0, 25
	s_cbranch_scc0 .LBB215_1491
; %bb.1484:
	s_cmp_gt_i32 s0, 28
	s_cbranch_scc0 .LBB215_1492
; %bb.1485:
	;; [unrolled: 3-line block ×4, first 2 shown]
	s_cmp_eq_u32 s0, 46
	s_mov_b32 s14, 0
	s_cbranch_scc0 .LBB215_1495
; %bb.1488:
	global_load_b32 v1, v[22:23], off
	s_mov_b32 s1, 0
	s_mov_b32 s8, -1
	s_wait_loadcnt 0x0
	v_and_b32_e32 v1, 0x7fff7fff, v1
	s_delay_alu instid0(VALU_DEP_1)
	v_cmp_ne_u32_e64 s12, 0, v1
	s_branch .LBB215_1497
.LBB215_1489:
	s_mov_b32 s8, 0
	s_mov_b32 s1, s10
                                        ; implicit-def: $sgpr12
	s_cbranch_execnz .LBB215_1542
.LBB215_1490:
	s_and_not1_b32 vcc_lo, exec_lo, s8
	s_cbranch_vccz .LBB215_1587
	s_branch .LBB215_2816
.LBB215_1491:
	s_mov_b32 s8, 0
	s_mov_b32 s1, 0
                                        ; implicit-def: $sgpr12
	s_cbranch_execnz .LBB215_1517
	s_branch .LBB215_1538
.LBB215_1492:
	s_mov_b32 s14, -1
	s_mov_b32 s8, 0
	s_mov_b32 s1, 0
                                        ; implicit-def: $sgpr12
	s_branch .LBB215_1504
.LBB215_1493:
	s_mov_b32 s8, 0
	s_mov_b32 s1, 0
                                        ; implicit-def: $sgpr12
	s_cbranch_execnz .LBB215_1500
	s_branch .LBB215_1503
.LBB215_1494:
	s_mov_b32 s14, -1
	s_mov_b32 s8, 0
	s_mov_b32 s1, 0
	s_branch .LBB215_1496
.LBB215_1495:
	s_mov_b32 s1, -1
	s_mov_b32 s8, 0
.LBB215_1496:
                                        ; implicit-def: $sgpr12
.LBB215_1497:
	s_and_b32 vcc_lo, exec_lo, s14
	s_cbranch_vccz .LBB215_1499
; %bb.1498:
	s_cmp_lg_u32 s0, 44
	s_mov_b32 s8, -1
	s_cselect_b32 s1, -1, 0
	s_or_b32 s12, s12, exec_lo
.LBB215_1499:
	s_branch .LBB215_1503
.LBB215_1500:
	s_cmp_eq_u32 s0, 29
	s_cbranch_scc0 .LBB215_1502
; %bb.1501:
	global_load_b64 v[24:25], v[22:23], off
	s_mov_b32 s1, 0
	s_mov_b32 s8, -1
	s_mov_b32 s14, 0
	s_wait_loadcnt 0x0
	v_cmp_ne_u64_e64 s12, 0, v[24:25]
	s_branch .LBB215_1504
.LBB215_1502:
	s_mov_b32 s1, -1
                                        ; implicit-def: $sgpr12
.LBB215_1503:
	s_mov_b32 s14, 0
.LBB215_1504:
	s_delay_alu instid0(SALU_CYCLE_1)
	s_and_b32 vcc_lo, exec_lo, s14
	s_cbranch_vccz .LBB215_1516
; %bb.1505:
	s_cmp_lt_i32 s0, 27
	s_cbranch_scc1 .LBB215_1508
; %bb.1506:
	s_cmp_gt_i32 s0, 27
	s_cbranch_scc0 .LBB215_1509
; %bb.1507:
	global_load_b32 v1, v[22:23], off
	s_mov_b32 s8, 0
	s_wait_loadcnt 0x0
	v_cmp_ne_u32_e64 s12, 0, v1
	s_branch .LBB215_1510
.LBB215_1508:
	s_mov_b32 s8, -1
                                        ; implicit-def: $sgpr12
	s_branch .LBB215_1513
.LBB215_1509:
	s_mov_b32 s8, -1
                                        ; implicit-def: $sgpr12
.LBB215_1510:
	s_delay_alu instid0(SALU_CYCLE_1)
	s_and_not1_b32 vcc_lo, exec_lo, s8
	s_cbranch_vccnz .LBB215_1512
; %bb.1511:
	global_load_u16 v1, v[22:23], off
	s_and_not1_b32 s8, s12, exec_lo
	s_wait_loadcnt 0x0
	v_cmp_ne_u16_e32 vcc_lo, 0, v1
	s_and_b32 s12, vcc_lo, exec_lo
	s_delay_alu instid0(SALU_CYCLE_1)
	s_or_b32 s12, s8, s12
.LBB215_1512:
	s_mov_b32 s8, 0
.LBB215_1513:
	s_delay_alu instid0(SALU_CYCLE_1)
	s_and_not1_b32 vcc_lo, exec_lo, s8
	s_cbranch_vccnz .LBB215_1515
; %bb.1514:
	global_load_u8 v1, v[22:23], off
	s_and_not1_b32 s8, s12, exec_lo
	s_wait_loadcnt 0x0
	v_cmp_ne_u16_e32 vcc_lo, 0, v1
	s_and_b32 s12, vcc_lo, exec_lo
	s_delay_alu instid0(SALU_CYCLE_1)
	s_or_b32 s12, s8, s12
.LBB215_1515:
	s_mov_b32 s8, -1
.LBB215_1516:
	s_branch .LBB215_1538
.LBB215_1517:
	s_cmp_gt_i32 s0, 22
	s_cbranch_scc0 .LBB215_1521
; %bb.1518:
	s_cmp_lt_i32 s0, 24
	s_cbranch_scc1 .LBB215_1522
; %bb.1519:
	s_cmp_gt_i32 s0, 24
	s_cbranch_scc0 .LBB215_1523
; %bb.1520:
	global_load_u8 v1, v[22:23], off
	s_mov_b32 s8, 0
	s_wait_loadcnt 0x0
	v_cmp_ne_u16_e64 s12, 0, v1
	s_branch .LBB215_1524
.LBB215_1521:
                                        ; implicit-def: $sgpr12
	s_mov_b32 s9, 0
	s_branch .LBB215_1530
.LBB215_1522:
	s_mov_b32 s8, -1
                                        ; implicit-def: $sgpr12
	s_branch .LBB215_1527
.LBB215_1523:
	s_mov_b32 s8, -1
                                        ; implicit-def: $sgpr12
.LBB215_1524:
	s_delay_alu instid0(SALU_CYCLE_1)
	s_and_not1_b32 vcc_lo, exec_lo, s8
	s_cbranch_vccnz .LBB215_1526
; %bb.1525:
	global_load_u8 v1, v[22:23], off
	s_and_not1_b32 s8, s12, exec_lo
	s_wait_loadcnt 0x0
	v_and_b32_e32 v1, 0x7f, v1
	s_delay_alu instid0(VALU_DEP_1) | instskip(SKIP_1) | instid1(SALU_CYCLE_1)
	v_cmp_ne_u16_e32 vcc_lo, 0, v1
	s_and_b32 s9, vcc_lo, exec_lo
	s_or_b32 s12, s8, s9
.LBB215_1526:
	s_mov_b32 s8, 0
.LBB215_1527:
	s_delay_alu instid0(SALU_CYCLE_1)
	s_and_not1_b32 vcc_lo, exec_lo, s8
	s_cbranch_vccnz .LBB215_1529
; %bb.1528:
	global_load_u8 v1, v[22:23], off
	s_and_not1_b32 s8, s12, exec_lo
	s_wait_loadcnt 0x0
	v_dual_lshlrev_b32 v3, 25, v1 :: v_dual_lshlrev_b32 v1, 8, v1
	s_delay_alu instid0(VALU_DEP_1) | instskip(NEXT) | instid1(VALU_DEP_2)
	v_cmp_gt_u32_e32 vcc_lo, 0x8000000, v3
	v_and_or_b32 v1, 0x7f00, v1, 0.5
	s_delay_alu instid0(VALU_DEP_1) | instskip(NEXT) | instid1(VALU_DEP_1)
	v_dual_lshrrev_b32 v5, 4, v3 :: v_dual_add_f32 v1, -0.5, v1
	v_or_b32_e32 v5, 0x70000000, v5
	s_delay_alu instid0(VALU_DEP_1) | instskip(NEXT) | instid1(VALU_DEP_1)
	v_mul_f32_e32 v5, 0x7800000, v5
	v_cndmask_b32_e32 v1, v5, v1, vcc_lo
	s_delay_alu instid0(VALU_DEP_1) | instskip(SKIP_1) | instid1(SALU_CYCLE_1)
	v_cmp_neq_f32_e32 vcc_lo, 0, v1
	s_and_b32 s9, vcc_lo, exec_lo
	s_or_b32 s12, s8, s9
.LBB215_1529:
	s_mov_b32 s8, -1
	s_mov_b32 s9, 0
	s_cbranch_execnz .LBB215_1538
.LBB215_1530:
	s_cmp_gt_i32 s0, 14
	s_cbranch_scc0 .LBB215_1533
; %bb.1531:
	s_cmp_eq_u32 s0, 15
	s_cbranch_scc0 .LBB215_1534
; %bb.1532:
	global_load_u16 v1, v[22:23], off
	s_mov_b32 s1, 0
	s_mov_b32 s8, -1
	s_wait_loadcnt 0x0
	v_and_b32_e32 v1, 0x7fff, v1
	s_delay_alu instid0(VALU_DEP_1)
	v_cmp_ne_u16_e64 s12, 0, v1
	s_branch .LBB215_1536
.LBB215_1533:
	s_mov_b32 s9, -1
	s_branch .LBB215_1535
.LBB215_1534:
	s_mov_b32 s1, -1
.LBB215_1535:
                                        ; implicit-def: $sgpr12
.LBB215_1536:
	s_and_b32 vcc_lo, exec_lo, s9
	s_mov_b32 s9, 0
	s_cbranch_vccz .LBB215_1538
; %bb.1537:
	s_cmp_lg_u32 s0, 11
	s_mov_b32 s9, -1
	s_cselect_b32 s1, -1, 0
.LBB215_1538:
	s_delay_alu instid0(SALU_CYCLE_1)
	s_and_b32 vcc_lo, exec_lo, s1
	s_mov_b32 s1, s10
	s_cbranch_vccnz .LBB215_1599
; %bb.1539:
	s_and_not1_b32 vcc_lo, exec_lo, s9
	s_cbranch_vccnz .LBB215_1541
.LBB215_1540:
	global_load_u8 v1, v[22:23], off
	s_and_not1_b32 s0, s12, exec_lo
	s_mov_b32 s8, -1
	s_wait_loadcnt 0x0
	v_cmp_ne_u16_e32 vcc_lo, 0, v1
	s_and_b32 s9, vcc_lo, exec_lo
	s_delay_alu instid0(SALU_CYCLE_1)
	s_or_b32 s12, s0, s9
.LBB215_1541:
	s_branch .LBB215_1490
.LBB215_1542:
	s_and_b32 s8, 0xffff, s13
	s_delay_alu instid0(SALU_CYCLE_1)
	s_cmp_lt_i32 s8, 5
	s_cbranch_scc1 .LBB215_1547
; %bb.1543:
	s_cmp_lt_i32 s8, 8
	s_cbranch_scc1 .LBB215_1548
; %bb.1544:
	;; [unrolled: 3-line block ×3, first 2 shown]
	s_cmp_gt_i32 s8, 9
	s_cbranch_scc0 .LBB215_1550
; %bb.1546:
	global_load_b128 v[24:27], v[22:23], off
	s_wait_loadcnt 0x0
	v_cmp_neq_f64_e32 vcc_lo, 0, v[24:25]
	v_cmp_neq_f64_e64 s0, 0, v[26:27]
	s_or_b32 s12, vcc_lo, s0
	s_mov_b32 s0, 0
	s_branch .LBB215_1551
.LBB215_1547:
                                        ; implicit-def: $sgpr12
	s_branch .LBB215_1568
.LBB215_1548:
                                        ; implicit-def: $sgpr12
	s_branch .LBB215_1557
.LBB215_1549:
	s_mov_b32 s0, -1
                                        ; implicit-def: $sgpr12
	s_branch .LBB215_1554
.LBB215_1550:
	s_mov_b32 s0, -1
                                        ; implicit-def: $sgpr12
.LBB215_1551:
	s_delay_alu instid0(SALU_CYCLE_1)
	s_and_not1_b32 vcc_lo, exec_lo, s0
	s_cbranch_vccnz .LBB215_1553
; %bb.1552:
	global_load_b64 v[24:25], v[22:23], off
	s_and_not1_b32 s0, s12, exec_lo
	s_wait_loadcnt 0x0
	v_bitop3_b32 v1, v24, 0x7fffffff, v25 bitop3:0xc8
	s_delay_alu instid0(VALU_DEP_1) | instskip(SKIP_1) | instid1(SALU_CYCLE_1)
	v_cmp_ne_u32_e32 vcc_lo, 0, v1
	s_and_b32 s9, vcc_lo, exec_lo
	s_or_b32 s12, s0, s9
.LBB215_1553:
	s_mov_b32 s0, 0
.LBB215_1554:
	s_delay_alu instid0(SALU_CYCLE_1)
	s_and_not1_b32 vcc_lo, exec_lo, s0
	s_cbranch_vccnz .LBB215_1556
; %bb.1555:
	global_load_b32 v1, v[22:23], off
	s_and_not1_b32 s0, s12, exec_lo
	s_wait_loadcnt 0x0
	v_and_b32_e32 v1, 0x7fff7fff, v1
	s_delay_alu instid0(VALU_DEP_1) | instskip(SKIP_1) | instid1(SALU_CYCLE_1)
	v_cmp_ne_u32_e32 vcc_lo, 0, v1
	s_and_b32 s9, vcc_lo, exec_lo
	s_or_b32 s12, s0, s9
.LBB215_1556:
	s_cbranch_execnz .LBB215_1567
.LBB215_1557:
	s_cmp_lt_i32 s8, 6
	s_cbranch_scc1 .LBB215_1560
; %bb.1558:
	s_cmp_gt_i32 s8, 6
	s_cbranch_scc0 .LBB215_1561
; %bb.1559:
	global_load_b64 v[24:25], v[22:23], off
	s_mov_b32 s0, 0
	s_wait_loadcnt 0x0
	v_cmp_neq_f64_e64 s12, 0, v[24:25]
	s_branch .LBB215_1562
.LBB215_1560:
	s_mov_b32 s0, -1
                                        ; implicit-def: $sgpr12
	s_branch .LBB215_1565
.LBB215_1561:
	s_mov_b32 s0, -1
                                        ; implicit-def: $sgpr12
.LBB215_1562:
	s_delay_alu instid0(SALU_CYCLE_1)
	s_and_not1_b32 vcc_lo, exec_lo, s0
	s_cbranch_vccnz .LBB215_1564
; %bb.1563:
	global_load_b32 v1, v[22:23], off
	s_and_not1_b32 s0, s12, exec_lo
	s_wait_loadcnt 0x0
	v_cmp_neq_f32_e32 vcc_lo, 0, v1
	s_and_b32 s9, vcc_lo, exec_lo
	s_delay_alu instid0(SALU_CYCLE_1)
	s_or_b32 s12, s0, s9
.LBB215_1564:
	s_mov_b32 s0, 0
.LBB215_1565:
	s_delay_alu instid0(SALU_CYCLE_1)
	s_and_not1_b32 vcc_lo, exec_lo, s0
	s_cbranch_vccnz .LBB215_1567
; %bb.1566:
	global_load_u16 v1, v[22:23], off
	s_and_not1_b32 s0, s12, exec_lo
	s_wait_loadcnt 0x0
	v_and_b32_e32 v1, 0x7fff, v1
	s_delay_alu instid0(VALU_DEP_1) | instskip(SKIP_1) | instid1(SALU_CYCLE_1)
	v_cmp_ne_u16_e32 vcc_lo, 0, v1
	s_and_b32 s9, vcc_lo, exec_lo
	s_or_b32 s12, s0, s9
.LBB215_1567:
	s_cbranch_execnz .LBB215_1586
.LBB215_1568:
	s_cmp_lt_i32 s8, 2
	s_cbranch_scc1 .LBB215_1572
; %bb.1569:
	s_cmp_lt_i32 s8, 3
	s_cbranch_scc1 .LBB215_1573
; %bb.1570:
	s_cmp_gt_i32 s8, 3
	s_cbranch_scc0 .LBB215_1574
; %bb.1571:
	global_load_b64 v[24:25], v[22:23], off
	s_mov_b32 s0, 0
	s_wait_loadcnt 0x0
	v_cmp_ne_u64_e64 s12, 0, v[24:25]
	s_branch .LBB215_1575
.LBB215_1572:
                                        ; implicit-def: $sgpr12
	s_branch .LBB215_1581
.LBB215_1573:
	s_mov_b32 s0, -1
                                        ; implicit-def: $sgpr12
	s_branch .LBB215_1578
.LBB215_1574:
	s_mov_b32 s0, -1
                                        ; implicit-def: $sgpr12
.LBB215_1575:
	s_delay_alu instid0(SALU_CYCLE_1)
	s_and_not1_b32 vcc_lo, exec_lo, s0
	s_cbranch_vccnz .LBB215_1577
; %bb.1576:
	global_load_b32 v1, v[22:23], off
	s_and_not1_b32 s0, s12, exec_lo
	s_wait_loadcnt 0x0
	v_cmp_ne_u32_e32 vcc_lo, 0, v1
	s_and_b32 s9, vcc_lo, exec_lo
	s_delay_alu instid0(SALU_CYCLE_1)
	s_or_b32 s12, s0, s9
.LBB215_1577:
	s_mov_b32 s0, 0
.LBB215_1578:
	s_delay_alu instid0(SALU_CYCLE_1)
	s_and_not1_b32 vcc_lo, exec_lo, s0
	s_cbranch_vccnz .LBB215_1580
; %bb.1579:
	global_load_u16 v1, v[22:23], off
	s_and_not1_b32 s0, s12, exec_lo
	s_wait_loadcnt 0x0
	v_cmp_ne_u16_e32 vcc_lo, 0, v1
	s_and_b32 s9, vcc_lo, exec_lo
	s_delay_alu instid0(SALU_CYCLE_1)
	s_or_b32 s12, s0, s9
.LBB215_1580:
	s_cbranch_execnz .LBB215_1586
.LBB215_1581:
	s_cmp_gt_i32 s8, 0
	s_mov_b32 s0, 0
	s_cbranch_scc0 .LBB215_1583
; %bb.1582:
	global_load_u8 v1, v[22:23], off
	s_wait_loadcnt 0x0
	v_cmp_ne_u16_e64 s12, 0, v1
	s_branch .LBB215_1584
.LBB215_1583:
	s_mov_b32 s0, -1
                                        ; implicit-def: $sgpr12
.LBB215_1584:
	s_delay_alu instid0(SALU_CYCLE_1)
	s_and_not1_b32 vcc_lo, exec_lo, s0
	s_cbranch_vccnz .LBB215_1586
; %bb.1585:
	global_load_u8 v1, v[22:23], off
	s_and_not1_b32 s0, s12, exec_lo
	s_wait_loadcnt 0x0
	v_cmp_ne_u16_e32 vcc_lo, 0, v1
	s_and_b32 s8, vcc_lo, exec_lo
	s_delay_alu instid0(SALU_CYCLE_1)
	s_or_b32 s12, s0, s8
.LBB215_1586:
.LBB215_1587:
	v_mov_b32_e32 v21, 0
	s_load_b64 s[8:9], s[2:3], 0x198
	global_load_u8 v1, v21, s[2:3] offset:422
	s_wait_kmcnt 0x0
	v_add_nc_u64_e32 v[20:21], s[8:9], v[20:21]
	s_wait_loadcnt 0x0
	v_and_b32_e32 v3, 0xffff, v1
	v_readfirstlane_b32 s15, v1
	s_delay_alu instid0(VALU_DEP_2)
	v_cmp_gt_i32_e32 vcc_lo, 11, v3
	s_cbranch_vccnz .LBB215_1594
; %bb.1588:
	s_and_b32 s0, 0xffff, s15
	s_mov_b32 s18, 0
	s_cmp_gt_i32 s0, 25
	s_cbranch_scc0 .LBB215_1596
; %bb.1589:
	s_cmp_gt_i32 s0, 28
	s_cbranch_scc0 .LBB215_1597
; %bb.1590:
	;; [unrolled: 3-line block ×4, first 2 shown]
	s_cmp_eq_u32 s0, 46
	s_mov_b32 s19, 0
	s_cbranch_scc0 .LBB215_1603
; %bb.1593:
	global_load_b32 v1, v[20:21], off
	s_mov_b32 s16, 0
	s_mov_b32 s17, -1
	s_wait_loadcnt 0x0
	v_and_b32_e32 v1, 0x7fff7fff, v1
	s_delay_alu instid0(VALU_DEP_1)
	v_cmp_ne_u32_e64 s14, 0, v1
	s_branch .LBB215_1605
.LBB215_1594:
	s_mov_b32 s17, 0
                                        ; implicit-def: $sgpr14
	s_cbranch_execnz .LBB215_1652
.LBB215_1595:
	s_and_not1_b32 vcc_lo, exec_lo, s17
	s_cbranch_vccz .LBB215_1699
	s_branch .LBB215_2816
.LBB215_1596:
	s_mov_b32 s17, 0
	s_mov_b32 s16, 0
                                        ; implicit-def: $sgpr14
	s_cbranch_execnz .LBB215_1626
	s_branch .LBB215_1648
.LBB215_1597:
	s_mov_b32 s19, -1
	s_mov_b32 s17, 0
	s_mov_b32 s16, 0
                                        ; implicit-def: $sgpr14
	s_branch .LBB215_1613
.LBB215_1598:
	s_mov_b32 s19, -1
	s_mov_b32 s17, 0
	s_mov_b32 s16, 0
                                        ; implicit-def: $sgpr14
	s_branch .LBB215_1608
.LBB215_1599:
	s_mov_b32 s8, 0
	s_or_b32 s1, s10, exec_lo
	s_trap 2
	s_cbranch_execz .LBB215_1540
	s_branch .LBB215_1541
.LBB215_1600:
	s_mov_b32 s19, -1
	s_mov_b32 s17, 0
	s_mov_b32 s16, 0
	s_branch .LBB215_1604
.LBB215_1601:
	v_bfe_u32 v2, v3, 20, 1
	s_mov_b32 s9, exec_lo
	s_delay_alu instid0(VALU_DEP_1) | instskip(NEXT) | instid1(VALU_DEP_1)
	v_add3_u32 v2, v3, v2, 0x487ffff
                                        ; implicit-def: $vgpr3
	v_lshrrev_b32_e32 v2, 20, v2
	s_and_not1_saveexec_b32 s10, s10
	s_cbranch_execz .LBB215_1350
.LBB215_1602:
	v_add_f32_e32 v2, 0x46000000, v3
	s_and_not1_b32 s9, s9, exec_lo
	s_delay_alu instid0(VALU_DEP_1) | instskip(NEXT) | instid1(VALU_DEP_1)
	v_and_b32_e32 v2, 0xff, v2
	v_cmp_ne_u32_e32 vcc_lo, 0, v2
	s_and_b32 s11, vcc_lo, exec_lo
	s_delay_alu instid0(SALU_CYCLE_1)
	s_or_b32 s9, s9, s11
	s_or_b32 exec_lo, exec_lo, s10
	v_mov_b32_e32 v4, 0
	s_and_saveexec_b32 s10, s9
	s_cbranch_execnz .LBB215_1351
	s_branch .LBB215_1352
.LBB215_1603:
	s_mov_b32 s16, -1
	s_mov_b32 s17, 0
.LBB215_1604:
                                        ; implicit-def: $sgpr14
.LBB215_1605:
	s_and_b32 vcc_lo, exec_lo, s19
	s_cbranch_vccz .LBB215_1607
; %bb.1606:
	s_cmp_lg_u32 s0, 44
	s_mov_b32 s17, -1
	s_cselect_b32 s16, -1, 0
	s_or_b32 s14, s14, exec_lo
.LBB215_1607:
	s_mov_b32 s19, 0
.LBB215_1608:
	s_delay_alu instid0(SALU_CYCLE_1)
	s_and_b32 vcc_lo, exec_lo, s19
	s_cbranch_vccz .LBB215_1612
; %bb.1609:
	s_cmp_eq_u32 s0, 29
	s_cbranch_scc0 .LBB215_1611
; %bb.1610:
	global_load_b64 v[22:23], v[20:21], off
	s_mov_b32 s16, 0
	s_mov_b32 s17, -1
	s_mov_b32 s19, 0
	s_wait_loadcnt 0x0
	v_cmp_ne_u64_e64 s14, 0, v[22:23]
	s_branch .LBB215_1613
.LBB215_1611:
	s_mov_b32 s16, -1
                                        ; implicit-def: $sgpr14
.LBB215_1612:
	s_mov_b32 s19, 0
.LBB215_1613:
	s_delay_alu instid0(SALU_CYCLE_1)
	s_and_b32 vcc_lo, exec_lo, s19
	s_cbranch_vccz .LBB215_1625
; %bb.1614:
	s_cmp_lt_i32 s0, 27
	s_cbranch_scc1 .LBB215_1617
; %bb.1615:
	s_cmp_gt_i32 s0, 27
	s_cbranch_scc0 .LBB215_1618
; %bb.1616:
	global_load_b32 v1, v[20:21], off
	s_mov_b32 s17, 0
	s_wait_loadcnt 0x0
	v_cmp_ne_u32_e64 s14, 0, v1
	s_branch .LBB215_1619
.LBB215_1617:
	s_mov_b32 s17, -1
                                        ; implicit-def: $sgpr14
	s_branch .LBB215_1622
.LBB215_1618:
	s_mov_b32 s17, -1
                                        ; implicit-def: $sgpr14
.LBB215_1619:
	s_delay_alu instid0(SALU_CYCLE_1)
	s_and_not1_b32 vcc_lo, exec_lo, s17
	s_cbranch_vccnz .LBB215_1621
; %bb.1620:
	global_load_u16 v1, v[20:21], off
	s_and_not1_b32 s14, s14, exec_lo
	s_wait_loadcnt 0x0
	v_cmp_ne_u16_e32 vcc_lo, 0, v1
	s_and_b32 s17, vcc_lo, exec_lo
	s_delay_alu instid0(SALU_CYCLE_1)
	s_or_b32 s14, s14, s17
.LBB215_1621:
	s_mov_b32 s17, 0
.LBB215_1622:
	s_delay_alu instid0(SALU_CYCLE_1)
	s_and_not1_b32 vcc_lo, exec_lo, s17
	s_cbranch_vccnz .LBB215_1624
; %bb.1623:
	global_load_u8 v1, v[20:21], off
	s_and_not1_b32 s14, s14, exec_lo
	s_wait_loadcnt 0x0
	v_cmp_ne_u16_e32 vcc_lo, 0, v1
	s_and_b32 s17, vcc_lo, exec_lo
	s_delay_alu instid0(SALU_CYCLE_1)
	s_or_b32 s14, s14, s17
.LBB215_1624:
	s_mov_b32 s17, -1
.LBB215_1625:
	s_branch .LBB215_1648
.LBB215_1626:
	s_cmp_gt_i32 s0, 22
	s_cbranch_scc0 .LBB215_1630
; %bb.1627:
	s_cmp_lt_i32 s0, 24
	s_cbranch_scc1 .LBB215_1631
; %bb.1628:
	s_cmp_gt_i32 s0, 24
	s_cbranch_scc0 .LBB215_1632
; %bb.1629:
	global_load_u8 v1, v[20:21], off
	s_mov_b32 s17, 0
	s_wait_loadcnt 0x0
	v_cmp_ne_u16_e64 s14, 0, v1
	s_branch .LBB215_1633
.LBB215_1630:
	s_mov_b32 s18, -1
                                        ; implicit-def: $sgpr14
	s_branch .LBB215_1639
.LBB215_1631:
	s_mov_b32 s17, -1
                                        ; implicit-def: $sgpr14
	s_branch .LBB215_1636
.LBB215_1632:
	s_mov_b32 s17, -1
                                        ; implicit-def: $sgpr14
.LBB215_1633:
	s_delay_alu instid0(SALU_CYCLE_1)
	s_and_not1_b32 vcc_lo, exec_lo, s17
	s_cbranch_vccnz .LBB215_1635
; %bb.1634:
	global_load_u8 v1, v[20:21], off
	s_and_not1_b32 s14, s14, exec_lo
	s_wait_loadcnt 0x0
	v_and_b32_e32 v1, 0x7f, v1
	s_delay_alu instid0(VALU_DEP_1) | instskip(SKIP_1) | instid1(SALU_CYCLE_1)
	v_cmp_ne_u16_e32 vcc_lo, 0, v1
	s_and_b32 s17, vcc_lo, exec_lo
	s_or_b32 s14, s14, s17
.LBB215_1635:
	s_mov_b32 s17, 0
.LBB215_1636:
	s_delay_alu instid0(SALU_CYCLE_1)
	s_and_not1_b32 vcc_lo, exec_lo, s17
	s_cbranch_vccnz .LBB215_1638
; %bb.1637:
	global_load_u8 v1, v[20:21], off
	s_and_not1_b32 s14, s14, exec_lo
	s_wait_loadcnt 0x0
	v_dual_lshlrev_b32 v3, 25, v1 :: v_dual_lshlrev_b32 v1, 8, v1
	s_delay_alu instid0(VALU_DEP_1) | instskip(NEXT) | instid1(VALU_DEP_2)
	v_cmp_gt_u32_e32 vcc_lo, 0x8000000, v3
	v_and_or_b32 v1, 0x7f00, v1, 0.5
	s_delay_alu instid0(VALU_DEP_1) | instskip(NEXT) | instid1(VALU_DEP_1)
	v_dual_lshrrev_b32 v5, 4, v3 :: v_dual_add_f32 v1, -0.5, v1
	v_or_b32_e32 v5, 0x70000000, v5
	s_delay_alu instid0(VALU_DEP_1) | instskip(NEXT) | instid1(VALU_DEP_1)
	v_mul_f32_e32 v5, 0x7800000, v5
	v_cndmask_b32_e32 v1, v5, v1, vcc_lo
	s_delay_alu instid0(VALU_DEP_1) | instskip(SKIP_1) | instid1(SALU_CYCLE_1)
	v_cmp_neq_f32_e32 vcc_lo, 0, v1
	s_and_b32 s17, vcc_lo, exec_lo
	s_or_b32 s14, s14, s17
.LBB215_1638:
	s_mov_b32 s17, -1
.LBB215_1639:
	s_and_not1_b32 vcc_lo, exec_lo, s18
	s_mov_b32 s18, 0
	s_cbranch_vccnz .LBB215_1648
; %bb.1640:
	s_cmp_gt_i32 s0, 14
	s_cbranch_scc0 .LBB215_1643
; %bb.1641:
	s_cmp_eq_u32 s0, 15
	s_cbranch_scc0 .LBB215_1644
; %bb.1642:
	global_load_u16 v1, v[20:21], off
	s_mov_b32 s16, 0
	s_mov_b32 s17, -1
	s_wait_loadcnt 0x0
	v_and_b32_e32 v1, 0x7fff, v1
	s_delay_alu instid0(VALU_DEP_1)
	v_cmp_ne_u16_e64 s14, 0, v1
	s_branch .LBB215_1646
.LBB215_1643:
	s_mov_b32 s18, -1
	s_branch .LBB215_1645
.LBB215_1644:
	s_mov_b32 s16, -1
.LBB215_1645:
                                        ; implicit-def: $sgpr14
.LBB215_1646:
	s_and_b32 vcc_lo, exec_lo, s18
	s_mov_b32 s18, 0
	s_cbranch_vccz .LBB215_1648
; %bb.1647:
	s_cmp_lg_u32 s0, 11
	s_mov_b32 s18, -1
	s_cselect_b32 s16, -1, 0
.LBB215_1648:
	s_delay_alu instid0(SALU_CYCLE_1)
	s_and_b32 vcc_lo, exec_lo, s16
	s_cbranch_vccnz .LBB215_1711
; %bb.1649:
	s_and_not1_b32 vcc_lo, exec_lo, s18
	s_cbranch_vccnz .LBB215_1651
.LBB215_1650:
	global_load_u8 v1, v[20:21], off
	s_and_not1_b32 s0, s14, exec_lo
	s_mov_b32 s17, -1
	s_wait_loadcnt 0x0
	v_cmp_ne_u16_e32 vcc_lo, 0, v1
	s_and_b32 s14, vcc_lo, exec_lo
	s_delay_alu instid0(SALU_CYCLE_1)
	s_or_b32 s14, s0, s14
.LBB215_1651:
	s_branch .LBB215_1595
.LBB215_1652:
	s_and_b32 s16, 0xffff, s15
	s_delay_alu instid0(SALU_CYCLE_1)
	s_cmp_lt_i32 s16, 5
	s_cbranch_scc1 .LBB215_1657
; %bb.1653:
	s_cmp_lt_i32 s16, 8
	s_cbranch_scc1 .LBB215_1658
; %bb.1654:
	;; [unrolled: 3-line block ×3, first 2 shown]
	s_cmp_gt_i32 s16, 9
	s_cbranch_scc0 .LBB215_1660
; %bb.1656:
	global_load_b128 v[22:25], v[20:21], off
	s_wait_loadcnt 0x0
	v_cmp_neq_f64_e32 vcc_lo, 0, v[22:23]
	v_cmp_neq_f64_e64 s0, 0, v[24:25]
	s_or_b32 s14, vcc_lo, s0
	s_mov_b32 s0, 0
	s_branch .LBB215_1661
.LBB215_1657:
                                        ; implicit-def: $sgpr14
	s_branch .LBB215_1679
.LBB215_1658:
	s_mov_b32 s0, -1
                                        ; implicit-def: $sgpr14
	s_branch .LBB215_1667
.LBB215_1659:
	s_mov_b32 s0, -1
                                        ; implicit-def: $sgpr14
	s_branch .LBB215_1664
.LBB215_1660:
	s_mov_b32 s0, -1
                                        ; implicit-def: $sgpr14
.LBB215_1661:
	s_delay_alu instid0(SALU_CYCLE_1)
	s_and_not1_b32 vcc_lo, exec_lo, s0
	s_cbranch_vccnz .LBB215_1663
; %bb.1662:
	global_load_b64 v[22:23], v[20:21], off
	s_and_not1_b32 s0, s14, exec_lo
	s_wait_loadcnt 0x0
	v_bitop3_b32 v1, v22, 0x7fffffff, v23 bitop3:0xc8
	s_delay_alu instid0(VALU_DEP_1) | instskip(SKIP_1) | instid1(SALU_CYCLE_1)
	v_cmp_ne_u32_e32 vcc_lo, 0, v1
	s_and_b32 s14, vcc_lo, exec_lo
	s_or_b32 s14, s0, s14
.LBB215_1663:
	s_mov_b32 s0, 0
.LBB215_1664:
	s_delay_alu instid0(SALU_CYCLE_1)
	s_and_not1_b32 vcc_lo, exec_lo, s0
	s_cbranch_vccnz .LBB215_1666
; %bb.1665:
	global_load_b32 v1, v[20:21], off
	s_and_not1_b32 s0, s14, exec_lo
	s_wait_loadcnt 0x0
	v_and_b32_e32 v1, 0x7fff7fff, v1
	s_delay_alu instid0(VALU_DEP_1) | instskip(SKIP_1) | instid1(SALU_CYCLE_1)
	v_cmp_ne_u32_e32 vcc_lo, 0, v1
	s_and_b32 s14, vcc_lo, exec_lo
	s_or_b32 s14, s0, s14
.LBB215_1666:
	s_mov_b32 s0, 0
.LBB215_1667:
	s_delay_alu instid0(SALU_CYCLE_1)
	s_and_not1_b32 vcc_lo, exec_lo, s0
	s_cbranch_vccnz .LBB215_1678
; %bb.1668:
	s_cmp_lt_i32 s16, 6
	s_cbranch_scc1 .LBB215_1671
; %bb.1669:
	s_cmp_gt_i32 s16, 6
	s_cbranch_scc0 .LBB215_1672
; %bb.1670:
	global_load_b64 v[22:23], v[20:21], off
	s_mov_b32 s0, 0
	s_wait_loadcnt 0x0
	v_cmp_neq_f64_e64 s14, 0, v[22:23]
	s_branch .LBB215_1673
.LBB215_1671:
	s_mov_b32 s0, -1
                                        ; implicit-def: $sgpr14
	s_branch .LBB215_1676
.LBB215_1672:
	s_mov_b32 s0, -1
                                        ; implicit-def: $sgpr14
.LBB215_1673:
	s_delay_alu instid0(SALU_CYCLE_1)
	s_and_not1_b32 vcc_lo, exec_lo, s0
	s_cbranch_vccnz .LBB215_1675
; %bb.1674:
	global_load_b32 v1, v[20:21], off
	s_and_not1_b32 s0, s14, exec_lo
	s_wait_loadcnt 0x0
	v_cmp_neq_f32_e32 vcc_lo, 0, v1
	s_and_b32 s14, vcc_lo, exec_lo
	s_delay_alu instid0(SALU_CYCLE_1)
	s_or_b32 s14, s0, s14
.LBB215_1675:
	s_mov_b32 s0, 0
.LBB215_1676:
	s_delay_alu instid0(SALU_CYCLE_1)
	s_and_not1_b32 vcc_lo, exec_lo, s0
	s_cbranch_vccnz .LBB215_1678
; %bb.1677:
	global_load_u16 v1, v[20:21], off
	s_and_not1_b32 s0, s14, exec_lo
	s_wait_loadcnt 0x0
	v_and_b32_e32 v1, 0x7fff, v1
	s_delay_alu instid0(VALU_DEP_1) | instskip(SKIP_1) | instid1(SALU_CYCLE_1)
	v_cmp_ne_u16_e32 vcc_lo, 0, v1
	s_and_b32 s14, vcc_lo, exec_lo
	s_or_b32 s14, s0, s14
.LBB215_1678:
	s_cbranch_execnz .LBB215_1698
.LBB215_1679:
	s_cmp_lt_i32 s16, 2
	s_cbranch_scc1 .LBB215_1683
; %bb.1680:
	s_cmp_lt_i32 s16, 3
	s_cbranch_scc1 .LBB215_1684
; %bb.1681:
	s_cmp_gt_i32 s16, 3
	s_cbranch_scc0 .LBB215_1685
; %bb.1682:
	global_load_b64 v[22:23], v[20:21], off
	s_mov_b32 s0, 0
	s_wait_loadcnt 0x0
	v_cmp_ne_u64_e64 s14, 0, v[22:23]
	s_branch .LBB215_1686
.LBB215_1683:
	s_mov_b32 s0, -1
                                        ; implicit-def: $sgpr14
	s_branch .LBB215_1692
.LBB215_1684:
	s_mov_b32 s0, -1
                                        ; implicit-def: $sgpr14
	s_branch .LBB215_1689
.LBB215_1685:
	s_mov_b32 s0, -1
                                        ; implicit-def: $sgpr14
.LBB215_1686:
	s_delay_alu instid0(SALU_CYCLE_1)
	s_and_not1_b32 vcc_lo, exec_lo, s0
	s_cbranch_vccnz .LBB215_1688
; %bb.1687:
	global_load_b32 v1, v[20:21], off
	s_and_not1_b32 s0, s14, exec_lo
	s_wait_loadcnt 0x0
	v_cmp_ne_u32_e32 vcc_lo, 0, v1
	s_and_b32 s14, vcc_lo, exec_lo
	s_delay_alu instid0(SALU_CYCLE_1)
	s_or_b32 s14, s0, s14
.LBB215_1688:
	s_mov_b32 s0, 0
.LBB215_1689:
	s_delay_alu instid0(SALU_CYCLE_1)
	s_and_not1_b32 vcc_lo, exec_lo, s0
	s_cbranch_vccnz .LBB215_1691
; %bb.1690:
	global_load_u16 v1, v[20:21], off
	s_and_not1_b32 s0, s14, exec_lo
	s_wait_loadcnt 0x0
	v_cmp_ne_u16_e32 vcc_lo, 0, v1
	s_and_b32 s14, vcc_lo, exec_lo
	s_delay_alu instid0(SALU_CYCLE_1)
	s_or_b32 s14, s0, s14
.LBB215_1691:
	s_mov_b32 s0, 0
.LBB215_1692:
	s_delay_alu instid0(SALU_CYCLE_1)
	s_and_not1_b32 vcc_lo, exec_lo, s0
	s_cbranch_vccnz .LBB215_1698
; %bb.1693:
	s_cmp_gt_i32 s16, 0
	s_mov_b32 s0, 0
	s_cbranch_scc0 .LBB215_1695
; %bb.1694:
	global_load_u8 v1, v[20:21], off
	s_wait_loadcnt 0x0
	v_cmp_ne_u16_e64 s14, 0, v1
	s_branch .LBB215_1696
.LBB215_1695:
	s_mov_b32 s0, -1
                                        ; implicit-def: $sgpr14
.LBB215_1696:
	s_delay_alu instid0(SALU_CYCLE_1)
	s_and_not1_b32 vcc_lo, exec_lo, s0
	s_cbranch_vccnz .LBB215_1698
; %bb.1697:
	global_load_u8 v1, v[20:21], off
	s_and_not1_b32 s0, s14, exec_lo
	s_wait_loadcnt 0x0
	v_cmp_ne_u16_e32 vcc_lo, 0, v1
	s_and_b32 s14, vcc_lo, exec_lo
	s_delay_alu instid0(SALU_CYCLE_1)
	s_or_b32 s14, s0, s14
.LBB215_1698:
.LBB215_1699:
	v_mov_b32_e32 v19, 0
	s_and_b32 s18, 0xffff, s13
	s_delay_alu instid0(SALU_CYCLE_1) | instskip(NEXT) | instid1(VALU_DEP_1)
	s_cmp_lt_i32 s18, 11
	v_add_nc_u64_e32 v[18:19], s[6:7], v[18:19]
	s_cbranch_scc1 .LBB215_1706
; %bb.1700:
	s_cmp_gt_i32 s18, 25
	s_mov_b32 s17, 0
	s_cbranch_scc0 .LBB215_1708
; %bb.1701:
	s_cmp_gt_i32 s18, 28
	s_cbranch_scc0 .LBB215_1709
; %bb.1702:
	s_cmp_gt_i32 s18, 43
	;; [unrolled: 3-line block ×3, first 2 shown]
	s_cbranch_scc0 .LBB215_1712
; %bb.1704:
	s_cmp_eq_u32 s18, 46
	s_mov_b32 s19, 0
	s_cbranch_scc0 .LBB215_1715
; %bb.1705:
	global_load_b32 v1, v[18:19], off
	s_mov_b32 s0, 0
	s_mov_b32 s16, -1
	s_wait_loadcnt 0x0
	v_and_b32_e32 v1, 0x7fff7fff, v1
	s_delay_alu instid0(VALU_DEP_1)
	v_cmp_ne_u32_e64 s13, 0, v1
	s_branch .LBB215_1717
.LBB215_1706:
	s_mov_b32 s16, 0
                                        ; implicit-def: $sgpr13
	s_cbranch_execnz .LBB215_1765
.LBB215_1707:
	s_and_not1_b32 vcc_lo, exec_lo, s16
	s_cbranch_vccz .LBB215_1813
	s_branch .LBB215_2816
.LBB215_1708:
	s_mov_b32 s19, -1
	s_mov_b32 s16, 0
	s_mov_b32 s0, 0
                                        ; implicit-def: $sgpr13
	s_branch .LBB215_1738
.LBB215_1709:
	s_mov_b32 s19, -1
	s_mov_b32 s16, 0
	s_mov_b32 s0, 0
                                        ; implicit-def: $sgpr13
	s_branch .LBB215_1725
.LBB215_1710:
	s_mov_b32 s19, -1
	s_mov_b32 s16, 0
	s_mov_b32 s0, 0
                                        ; implicit-def: $sgpr13
	s_branch .LBB215_1720
.LBB215_1711:
	s_mov_b32 s17, 0
	s_or_b32 s1, s1, exec_lo
	s_trap 2
	s_cbranch_execz .LBB215_1650
	s_branch .LBB215_1651
.LBB215_1712:
	s_mov_b32 s19, -1
	s_mov_b32 s16, 0
	s_mov_b32 s0, 0
	s_branch .LBB215_1716
.LBB215_1713:
	v_bfe_u32 v2, v3, 21, 1
	s_mov_b32 s10, exec_lo
	s_delay_alu instid0(VALU_DEP_1) | instskip(NEXT) | instid1(VALU_DEP_1)
	v_add3_u32 v2, v3, v2, 0x88fffff
                                        ; implicit-def: $vgpr3
	v_lshrrev_b32_e32 v2, 21, v2
	s_and_not1_saveexec_b32 s11, s11
	s_cbranch_execz .LBB215_1362
.LBB215_1714:
	v_add_f32_e32 v2, 0x42800000, v3
	s_and_not1_b32 s10, s10, exec_lo
	s_delay_alu instid0(VALU_DEP_1) | instskip(NEXT) | instid1(VALU_DEP_1)
	v_and_b32_e32 v2, 0xff, v2
	v_cmp_ne_u32_e32 vcc_lo, 0, v2
	s_and_b32 s12, vcc_lo, exec_lo
	s_delay_alu instid0(SALU_CYCLE_1)
	s_or_b32 s10, s10, s12
	s_or_b32 exec_lo, exec_lo, s11
	v_mov_b32_e32 v4, 0
	s_and_saveexec_b32 s11, s10
	s_cbranch_execnz .LBB215_1363
	s_branch .LBB215_1364
.LBB215_1715:
	s_mov_b32 s0, -1
	s_mov_b32 s16, 0
.LBB215_1716:
                                        ; implicit-def: $sgpr13
.LBB215_1717:
	s_and_b32 vcc_lo, exec_lo, s19
	s_cbranch_vccz .LBB215_1719
; %bb.1718:
	s_cmp_lg_u32 s18, 44
	s_mov_b32 s16, -1
	s_cselect_b32 s0, -1, 0
	s_or_b32 s13, s13, exec_lo
.LBB215_1719:
	s_mov_b32 s19, 0
.LBB215_1720:
	s_delay_alu instid0(SALU_CYCLE_1)
	s_and_b32 vcc_lo, exec_lo, s19
	s_cbranch_vccz .LBB215_1724
; %bb.1721:
	s_cmp_eq_u32 s18, 29
	s_cbranch_scc0 .LBB215_1723
; %bb.1722:
	global_load_b64 v[20:21], v[18:19], off
	s_mov_b32 s0, 0
	s_mov_b32 s16, -1
	s_mov_b32 s19, 0
	s_wait_loadcnt 0x0
	v_cmp_ne_u64_e64 s13, 0, v[20:21]
	s_branch .LBB215_1725
.LBB215_1723:
	s_mov_b32 s0, -1
                                        ; implicit-def: $sgpr13
.LBB215_1724:
	s_mov_b32 s19, 0
.LBB215_1725:
	s_delay_alu instid0(SALU_CYCLE_1)
	s_and_b32 vcc_lo, exec_lo, s19
	s_cbranch_vccz .LBB215_1737
; %bb.1726:
	s_cmp_lt_i32 s18, 27
	s_cbranch_scc1 .LBB215_1729
; %bb.1727:
	s_cmp_gt_i32 s18, 27
	s_cbranch_scc0 .LBB215_1730
; %bb.1728:
	global_load_b32 v1, v[18:19], off
	s_mov_b32 s16, 0
	s_wait_loadcnt 0x0
	v_cmp_ne_u32_e64 s13, 0, v1
	s_branch .LBB215_1731
.LBB215_1729:
	s_mov_b32 s16, -1
                                        ; implicit-def: $sgpr13
	s_branch .LBB215_1734
.LBB215_1730:
	s_mov_b32 s16, -1
                                        ; implicit-def: $sgpr13
.LBB215_1731:
	s_delay_alu instid0(SALU_CYCLE_1)
	s_and_not1_b32 vcc_lo, exec_lo, s16
	s_cbranch_vccnz .LBB215_1733
; %bb.1732:
	global_load_u16 v1, v[18:19], off
	s_and_not1_b32 s13, s13, exec_lo
	s_wait_loadcnt 0x0
	v_cmp_ne_u16_e32 vcc_lo, 0, v1
	s_and_b32 s16, vcc_lo, exec_lo
	s_delay_alu instid0(SALU_CYCLE_1)
	s_or_b32 s13, s13, s16
.LBB215_1733:
	s_mov_b32 s16, 0
.LBB215_1734:
	s_delay_alu instid0(SALU_CYCLE_1)
	s_and_not1_b32 vcc_lo, exec_lo, s16
	s_cbranch_vccnz .LBB215_1736
; %bb.1735:
	global_load_u8 v1, v[18:19], off
	s_and_not1_b32 s13, s13, exec_lo
	s_wait_loadcnt 0x0
	v_cmp_ne_u16_e32 vcc_lo, 0, v1
	s_and_b32 s16, vcc_lo, exec_lo
	s_delay_alu instid0(SALU_CYCLE_1)
	s_or_b32 s13, s13, s16
.LBB215_1736:
	s_mov_b32 s16, -1
.LBB215_1737:
	s_mov_b32 s19, 0
.LBB215_1738:
	s_delay_alu instid0(SALU_CYCLE_1)
	s_and_b32 vcc_lo, exec_lo, s19
	s_cbranch_vccz .LBB215_1761
; %bb.1739:
	s_cmp_gt_i32 s18, 22
	s_cbranch_scc0 .LBB215_1743
; %bb.1740:
	s_cmp_lt_i32 s18, 24
	s_cbranch_scc1 .LBB215_1744
; %bb.1741:
	s_cmp_gt_i32 s18, 24
	s_cbranch_scc0 .LBB215_1745
; %bb.1742:
	global_load_u8 v1, v[18:19], off
	s_mov_b32 s16, 0
	s_wait_loadcnt 0x0
	v_cmp_ne_u16_e64 s13, 0, v1
	s_branch .LBB215_1746
.LBB215_1743:
	s_mov_b32 s17, -1
                                        ; implicit-def: $sgpr13
	s_branch .LBB215_1752
.LBB215_1744:
	s_mov_b32 s16, -1
                                        ; implicit-def: $sgpr13
	s_branch .LBB215_1749
.LBB215_1745:
	s_mov_b32 s16, -1
                                        ; implicit-def: $sgpr13
.LBB215_1746:
	s_delay_alu instid0(SALU_CYCLE_1)
	s_and_not1_b32 vcc_lo, exec_lo, s16
	s_cbranch_vccnz .LBB215_1748
; %bb.1747:
	global_load_u8 v1, v[18:19], off
	s_and_not1_b32 s13, s13, exec_lo
	s_wait_loadcnt 0x0
	v_and_b32_e32 v1, 0x7f, v1
	s_delay_alu instid0(VALU_DEP_1) | instskip(SKIP_1) | instid1(SALU_CYCLE_1)
	v_cmp_ne_u16_e32 vcc_lo, 0, v1
	s_and_b32 s16, vcc_lo, exec_lo
	s_or_b32 s13, s13, s16
.LBB215_1748:
	s_mov_b32 s16, 0
.LBB215_1749:
	s_delay_alu instid0(SALU_CYCLE_1)
	s_and_not1_b32 vcc_lo, exec_lo, s16
	s_cbranch_vccnz .LBB215_1751
; %bb.1750:
	global_load_u8 v1, v[18:19], off
	s_and_not1_b32 s13, s13, exec_lo
	s_wait_loadcnt 0x0
	v_dual_lshlrev_b32 v3, 25, v1 :: v_dual_lshlrev_b32 v1, 8, v1
	s_delay_alu instid0(VALU_DEP_1) | instskip(NEXT) | instid1(VALU_DEP_2)
	v_cmp_gt_u32_e32 vcc_lo, 0x8000000, v3
	v_and_or_b32 v1, 0x7f00, v1, 0.5
	s_delay_alu instid0(VALU_DEP_1) | instskip(NEXT) | instid1(VALU_DEP_1)
	v_dual_lshrrev_b32 v5, 4, v3 :: v_dual_add_f32 v1, -0.5, v1
	v_or_b32_e32 v5, 0x70000000, v5
	s_delay_alu instid0(VALU_DEP_1) | instskip(NEXT) | instid1(VALU_DEP_1)
	v_mul_f32_e32 v5, 0x7800000, v5
	v_cndmask_b32_e32 v1, v5, v1, vcc_lo
	s_delay_alu instid0(VALU_DEP_1) | instskip(SKIP_1) | instid1(SALU_CYCLE_1)
	v_cmp_neq_f32_e32 vcc_lo, 0, v1
	s_and_b32 s16, vcc_lo, exec_lo
	s_or_b32 s13, s13, s16
.LBB215_1751:
	s_mov_b32 s16, -1
.LBB215_1752:
	s_and_not1_b32 vcc_lo, exec_lo, s17
	s_mov_b32 s17, 0
	s_cbranch_vccnz .LBB215_1761
; %bb.1753:
	s_cmp_gt_i32 s18, 14
	s_cbranch_scc0 .LBB215_1756
; %bb.1754:
	s_cmp_eq_u32 s18, 15
	s_cbranch_scc0 .LBB215_1757
; %bb.1755:
	global_load_u16 v1, v[18:19], off
	s_mov_b32 s0, 0
	s_mov_b32 s16, -1
	s_wait_loadcnt 0x0
	v_and_b32_e32 v1, 0x7fff, v1
	s_delay_alu instid0(VALU_DEP_1)
	v_cmp_ne_u16_e64 s13, 0, v1
	s_branch .LBB215_1759
.LBB215_1756:
	s_mov_b32 s17, -1
	s_branch .LBB215_1758
.LBB215_1757:
	s_mov_b32 s0, -1
.LBB215_1758:
                                        ; implicit-def: $sgpr13
.LBB215_1759:
	s_and_b32 vcc_lo, exec_lo, s17
	s_mov_b32 s17, 0
	s_cbranch_vccz .LBB215_1761
; %bb.1760:
	s_cmp_lg_u32 s18, 11
	s_mov_b32 s17, -1
	s_cselect_b32 s0, -1, 0
.LBB215_1761:
	s_delay_alu instid0(SALU_CYCLE_1)
	s_and_b32 vcc_lo, exec_lo, s0
	s_cbranch_vccnz .LBB215_1824
; %bb.1762:
	s_and_not1_b32 vcc_lo, exec_lo, s17
	s_cbranch_vccnz .LBB215_1764
.LBB215_1763:
	global_load_u8 v1, v[18:19], off
	s_and_not1_b32 s0, s13, exec_lo
	s_mov_b32 s16, -1
	s_wait_loadcnt 0x0
	v_cmp_ne_u16_e32 vcc_lo, 0, v1
	s_and_b32 s13, vcc_lo, exec_lo
	s_delay_alu instid0(SALU_CYCLE_1)
	s_or_b32 s13, s0, s13
.LBB215_1764:
	s_branch .LBB215_1707
.LBB215_1765:
	s_cmp_lt_i32 s18, 5
	s_cbranch_scc1 .LBB215_1770
; %bb.1766:
	s_cmp_lt_i32 s18, 8
	s_cbranch_scc1 .LBB215_1771
; %bb.1767:
	;; [unrolled: 3-line block ×3, first 2 shown]
	s_cmp_gt_i32 s18, 9
	s_cbranch_scc0 .LBB215_1773
; %bb.1769:
	global_load_b128 v[20:23], v[18:19], off
	s_wait_loadcnt 0x0
	v_cmp_neq_f64_e32 vcc_lo, 0, v[20:21]
	v_cmp_neq_f64_e64 s0, 0, v[22:23]
	s_or_b32 s13, vcc_lo, s0
	s_mov_b32 s0, 0
	s_branch .LBB215_1774
.LBB215_1770:
	s_mov_b32 s0, -1
                                        ; implicit-def: $sgpr13
	s_branch .LBB215_1792
.LBB215_1771:
	s_mov_b32 s0, -1
                                        ; implicit-def: $sgpr13
	s_branch .LBB215_1780
.LBB215_1772:
	s_mov_b32 s0, -1
                                        ; implicit-def: $sgpr13
	s_branch .LBB215_1777
.LBB215_1773:
	s_mov_b32 s0, -1
                                        ; implicit-def: $sgpr13
.LBB215_1774:
	s_delay_alu instid0(SALU_CYCLE_1)
	s_and_not1_b32 vcc_lo, exec_lo, s0
	s_cbranch_vccnz .LBB215_1776
; %bb.1775:
	global_load_b64 v[20:21], v[18:19], off
	s_and_not1_b32 s0, s13, exec_lo
	s_wait_loadcnt 0x0
	v_bitop3_b32 v1, v20, 0x7fffffff, v21 bitop3:0xc8
	s_delay_alu instid0(VALU_DEP_1) | instskip(SKIP_1) | instid1(SALU_CYCLE_1)
	v_cmp_ne_u32_e32 vcc_lo, 0, v1
	s_and_b32 s13, vcc_lo, exec_lo
	s_or_b32 s13, s0, s13
.LBB215_1776:
	s_mov_b32 s0, 0
.LBB215_1777:
	s_delay_alu instid0(SALU_CYCLE_1)
	s_and_not1_b32 vcc_lo, exec_lo, s0
	s_cbranch_vccnz .LBB215_1779
; %bb.1778:
	global_load_b32 v1, v[18:19], off
	s_and_not1_b32 s0, s13, exec_lo
	s_wait_loadcnt 0x0
	v_and_b32_e32 v1, 0x7fff7fff, v1
	s_delay_alu instid0(VALU_DEP_1) | instskip(SKIP_1) | instid1(SALU_CYCLE_1)
	v_cmp_ne_u32_e32 vcc_lo, 0, v1
	s_and_b32 s13, vcc_lo, exec_lo
	s_or_b32 s13, s0, s13
.LBB215_1779:
	s_mov_b32 s0, 0
.LBB215_1780:
	s_delay_alu instid0(SALU_CYCLE_1)
	s_and_not1_b32 vcc_lo, exec_lo, s0
	s_cbranch_vccnz .LBB215_1791
; %bb.1781:
	s_cmp_lt_i32 s18, 6
	s_cbranch_scc1 .LBB215_1784
; %bb.1782:
	s_cmp_gt_i32 s18, 6
	s_cbranch_scc0 .LBB215_1785
; %bb.1783:
	global_load_b64 v[20:21], v[18:19], off
	s_mov_b32 s0, 0
	s_wait_loadcnt 0x0
	v_cmp_neq_f64_e64 s13, 0, v[20:21]
	s_branch .LBB215_1786
.LBB215_1784:
	s_mov_b32 s0, -1
                                        ; implicit-def: $sgpr13
	s_branch .LBB215_1789
.LBB215_1785:
	s_mov_b32 s0, -1
                                        ; implicit-def: $sgpr13
.LBB215_1786:
	s_delay_alu instid0(SALU_CYCLE_1)
	s_and_not1_b32 vcc_lo, exec_lo, s0
	s_cbranch_vccnz .LBB215_1788
; %bb.1787:
	global_load_b32 v1, v[18:19], off
	s_and_not1_b32 s0, s13, exec_lo
	s_wait_loadcnt 0x0
	v_cmp_neq_f32_e32 vcc_lo, 0, v1
	s_and_b32 s13, vcc_lo, exec_lo
	s_delay_alu instid0(SALU_CYCLE_1)
	s_or_b32 s13, s0, s13
.LBB215_1788:
	s_mov_b32 s0, 0
.LBB215_1789:
	s_delay_alu instid0(SALU_CYCLE_1)
	s_and_not1_b32 vcc_lo, exec_lo, s0
	s_cbranch_vccnz .LBB215_1791
; %bb.1790:
	global_load_u16 v1, v[18:19], off
	s_and_not1_b32 s0, s13, exec_lo
	s_wait_loadcnt 0x0
	v_and_b32_e32 v1, 0x7fff, v1
	s_delay_alu instid0(VALU_DEP_1) | instskip(SKIP_1) | instid1(SALU_CYCLE_1)
	v_cmp_ne_u16_e32 vcc_lo, 0, v1
	s_and_b32 s13, vcc_lo, exec_lo
	s_or_b32 s13, s0, s13
.LBB215_1791:
	s_mov_b32 s0, 0
.LBB215_1792:
	s_delay_alu instid0(SALU_CYCLE_1)
	s_and_not1_b32 vcc_lo, exec_lo, s0
	s_cbranch_vccnz .LBB215_1812
; %bb.1793:
	s_cmp_lt_i32 s18, 2
	s_cbranch_scc1 .LBB215_1797
; %bb.1794:
	s_cmp_lt_i32 s18, 3
	s_cbranch_scc1 .LBB215_1798
; %bb.1795:
	s_cmp_gt_i32 s18, 3
	s_cbranch_scc0 .LBB215_1799
; %bb.1796:
	global_load_b64 v[20:21], v[18:19], off
	s_mov_b32 s0, 0
	s_wait_loadcnt 0x0
	v_cmp_ne_u64_e64 s13, 0, v[20:21]
	s_branch .LBB215_1800
.LBB215_1797:
	s_mov_b32 s0, -1
                                        ; implicit-def: $sgpr13
	s_branch .LBB215_1806
.LBB215_1798:
	s_mov_b32 s0, -1
                                        ; implicit-def: $sgpr13
	s_branch .LBB215_1803
.LBB215_1799:
	s_mov_b32 s0, -1
                                        ; implicit-def: $sgpr13
.LBB215_1800:
	s_delay_alu instid0(SALU_CYCLE_1)
	s_and_not1_b32 vcc_lo, exec_lo, s0
	s_cbranch_vccnz .LBB215_1802
; %bb.1801:
	global_load_b32 v1, v[18:19], off
	s_and_not1_b32 s0, s13, exec_lo
	s_wait_loadcnt 0x0
	v_cmp_ne_u32_e32 vcc_lo, 0, v1
	s_and_b32 s13, vcc_lo, exec_lo
	s_delay_alu instid0(SALU_CYCLE_1)
	s_or_b32 s13, s0, s13
.LBB215_1802:
	s_mov_b32 s0, 0
.LBB215_1803:
	s_delay_alu instid0(SALU_CYCLE_1)
	s_and_not1_b32 vcc_lo, exec_lo, s0
	s_cbranch_vccnz .LBB215_1805
; %bb.1804:
	global_load_u16 v1, v[18:19], off
	s_and_not1_b32 s0, s13, exec_lo
	s_wait_loadcnt 0x0
	v_cmp_ne_u16_e32 vcc_lo, 0, v1
	s_and_b32 s13, vcc_lo, exec_lo
	s_delay_alu instid0(SALU_CYCLE_1)
	s_or_b32 s13, s0, s13
.LBB215_1805:
	s_mov_b32 s0, 0
.LBB215_1806:
	s_delay_alu instid0(SALU_CYCLE_1)
	s_and_not1_b32 vcc_lo, exec_lo, s0
	s_cbranch_vccnz .LBB215_1812
; %bb.1807:
	s_cmp_gt_i32 s18, 0
	s_mov_b32 s0, 0
	s_cbranch_scc0 .LBB215_1809
; %bb.1808:
	global_load_u8 v1, v[18:19], off
	s_wait_loadcnt 0x0
	v_cmp_ne_u16_e64 s13, 0, v1
	s_branch .LBB215_1810
.LBB215_1809:
	s_mov_b32 s0, -1
                                        ; implicit-def: $sgpr13
.LBB215_1810:
	s_delay_alu instid0(SALU_CYCLE_1)
	s_and_not1_b32 vcc_lo, exec_lo, s0
	s_cbranch_vccnz .LBB215_1812
; %bb.1811:
	global_load_u8 v1, v[18:19], off
	s_and_not1_b32 s0, s13, exec_lo
	s_wait_loadcnt 0x0
	v_cmp_ne_u16_e32 vcc_lo, 0, v1
	s_and_b32 s13, vcc_lo, exec_lo
	s_delay_alu instid0(SALU_CYCLE_1)
	s_or_b32 s13, s0, s13
.LBB215_1812:
.LBB215_1813:
	v_mov_b32_e32 v17, 0
	s_and_b32 s19, 0xffff, s15
	s_delay_alu instid0(SALU_CYCLE_1) | instskip(NEXT) | instid1(VALU_DEP_1)
	s_cmp_lt_i32 s19, 11
	v_add_nc_u64_e32 v[16:17], s[8:9], v[16:17]
	s_cbranch_scc1 .LBB215_1820
; %bb.1814:
	s_cmp_gt_i32 s19, 25
	s_mov_b32 s17, 0
	s_cbranch_scc0 .LBB215_1821
; %bb.1815:
	s_cmp_gt_i32 s19, 28
	s_cbranch_scc0 .LBB215_1822
; %bb.1816:
	s_cmp_gt_i32 s19, 43
	;; [unrolled: 3-line block ×3, first 2 shown]
	s_cbranch_scc0 .LBB215_1825
; %bb.1818:
	s_cmp_eq_u32 s19, 46
	s_mov_b32 s20, 0
	s_cbranch_scc0 .LBB215_1826
; %bb.1819:
	global_load_b32 v1, v[16:17], off
	s_mov_b32 s0, 0
	s_mov_b32 s15, -1
	s_wait_loadcnt 0x0
	v_and_b32_e32 v1, 0x7fff7fff, v1
	s_delay_alu instid0(VALU_DEP_1)
	v_cmp_ne_u32_e64 s16, 0, v1
	s_branch .LBB215_1828
.LBB215_1820:
	s_mov_b32 s0, -1
	s_mov_b32 s15, 0
                                        ; implicit-def: $sgpr16
	s_branch .LBB215_1876
.LBB215_1821:
	s_mov_b32 s20, -1
	s_mov_b32 s15, 0
	s_mov_b32 s0, 0
                                        ; implicit-def: $sgpr16
	s_branch .LBB215_1849
.LBB215_1822:
	s_mov_b32 s20, -1
	s_mov_b32 s15, 0
	s_mov_b32 s0, 0
                                        ; implicit-def: $sgpr16
	s_branch .LBB215_1836
.LBB215_1823:
	s_mov_b32 s20, -1
	s_mov_b32 s15, 0
	s_mov_b32 s0, 0
                                        ; implicit-def: $sgpr16
	s_branch .LBB215_1831
.LBB215_1824:
	s_mov_b32 s16, 0
	s_or_b32 s1, s1, exec_lo
	s_trap 2
	s_cbranch_execz .LBB215_1763
	s_branch .LBB215_1764
.LBB215_1825:
	s_mov_b32 s20, -1
	s_mov_b32 s15, 0
	s_mov_b32 s0, 0
	s_branch .LBB215_1827
.LBB215_1826:
	s_mov_b32 s0, -1
	s_mov_b32 s15, 0
.LBB215_1827:
                                        ; implicit-def: $sgpr16
.LBB215_1828:
	s_and_b32 vcc_lo, exec_lo, s20
	s_cbranch_vccz .LBB215_1830
; %bb.1829:
	s_cmp_lg_u32 s19, 44
	s_mov_b32 s15, -1
	s_cselect_b32 s0, -1, 0
	s_or_b32 s16, s16, exec_lo
.LBB215_1830:
	s_mov_b32 s20, 0
.LBB215_1831:
	s_delay_alu instid0(SALU_CYCLE_1)
	s_and_b32 vcc_lo, exec_lo, s20
	s_cbranch_vccz .LBB215_1835
; %bb.1832:
	s_cmp_eq_u32 s19, 29
	s_cbranch_scc0 .LBB215_1834
; %bb.1833:
	global_load_b64 v[18:19], v[16:17], off
	s_mov_b32 s0, 0
	s_mov_b32 s15, -1
	s_mov_b32 s20, 0
	s_wait_loadcnt 0x0
	v_cmp_ne_u64_e64 s16, 0, v[18:19]
	s_branch .LBB215_1836
.LBB215_1834:
	s_mov_b32 s0, -1
                                        ; implicit-def: $sgpr16
.LBB215_1835:
	s_mov_b32 s20, 0
.LBB215_1836:
	s_delay_alu instid0(SALU_CYCLE_1)
	s_and_b32 vcc_lo, exec_lo, s20
	s_cbranch_vccz .LBB215_1848
; %bb.1837:
	s_cmp_lt_i32 s19, 27
	s_cbranch_scc1 .LBB215_1840
; %bb.1838:
	s_cmp_gt_i32 s19, 27
	s_cbranch_scc0 .LBB215_1841
; %bb.1839:
	global_load_b32 v1, v[16:17], off
	s_mov_b32 s15, 0
	s_wait_loadcnt 0x0
	v_cmp_ne_u32_e64 s16, 0, v1
	s_branch .LBB215_1842
.LBB215_1840:
	s_mov_b32 s15, -1
                                        ; implicit-def: $sgpr16
	s_branch .LBB215_1845
.LBB215_1841:
	s_mov_b32 s15, -1
                                        ; implicit-def: $sgpr16
.LBB215_1842:
	s_delay_alu instid0(SALU_CYCLE_1)
	s_and_not1_b32 vcc_lo, exec_lo, s15
	s_cbranch_vccnz .LBB215_1844
; %bb.1843:
	global_load_u16 v1, v[16:17], off
	s_and_not1_b32 s15, s16, exec_lo
	s_wait_loadcnt 0x0
	v_cmp_ne_u16_e32 vcc_lo, 0, v1
	s_and_b32 s16, vcc_lo, exec_lo
	s_delay_alu instid0(SALU_CYCLE_1)
	s_or_b32 s16, s15, s16
.LBB215_1844:
	s_mov_b32 s15, 0
.LBB215_1845:
	s_delay_alu instid0(SALU_CYCLE_1)
	s_and_not1_b32 vcc_lo, exec_lo, s15
	s_cbranch_vccnz .LBB215_1847
; %bb.1846:
	global_load_u8 v1, v[16:17], off
	s_and_not1_b32 s15, s16, exec_lo
	s_wait_loadcnt 0x0
	v_cmp_ne_u16_e32 vcc_lo, 0, v1
	s_and_b32 s16, vcc_lo, exec_lo
	s_delay_alu instid0(SALU_CYCLE_1)
	s_or_b32 s16, s15, s16
.LBB215_1847:
	s_mov_b32 s15, -1
.LBB215_1848:
	s_mov_b32 s20, 0
.LBB215_1849:
	s_delay_alu instid0(SALU_CYCLE_1)
	s_and_b32 vcc_lo, exec_lo, s20
	s_cbranch_vccz .LBB215_1872
; %bb.1850:
	s_cmp_gt_i32 s19, 22
	s_cbranch_scc0 .LBB215_1854
; %bb.1851:
	s_cmp_lt_i32 s19, 24
	s_cbranch_scc1 .LBB215_1855
; %bb.1852:
	s_cmp_gt_i32 s19, 24
	s_cbranch_scc0 .LBB215_1856
; %bb.1853:
	global_load_u8 v1, v[16:17], off
	s_mov_b32 s15, 0
	s_wait_loadcnt 0x0
	v_cmp_ne_u16_e64 s16, 0, v1
	s_branch .LBB215_1857
.LBB215_1854:
	s_mov_b32 s17, -1
                                        ; implicit-def: $sgpr16
	s_branch .LBB215_1863
.LBB215_1855:
	s_mov_b32 s15, -1
                                        ; implicit-def: $sgpr16
	s_branch .LBB215_1860
.LBB215_1856:
	s_mov_b32 s15, -1
                                        ; implicit-def: $sgpr16
.LBB215_1857:
	s_delay_alu instid0(SALU_CYCLE_1)
	s_and_not1_b32 vcc_lo, exec_lo, s15
	s_cbranch_vccnz .LBB215_1859
; %bb.1858:
	global_load_u8 v1, v[16:17], off
	s_and_not1_b32 s15, s16, exec_lo
	s_wait_loadcnt 0x0
	v_and_b32_e32 v1, 0x7f, v1
	s_delay_alu instid0(VALU_DEP_1) | instskip(SKIP_1) | instid1(SALU_CYCLE_1)
	v_cmp_ne_u16_e32 vcc_lo, 0, v1
	s_and_b32 s16, vcc_lo, exec_lo
	s_or_b32 s16, s15, s16
.LBB215_1859:
	s_mov_b32 s15, 0
.LBB215_1860:
	s_delay_alu instid0(SALU_CYCLE_1)
	s_and_not1_b32 vcc_lo, exec_lo, s15
	s_cbranch_vccnz .LBB215_1862
; %bb.1861:
	global_load_u8 v1, v[16:17], off
	s_and_not1_b32 s15, s16, exec_lo
	s_wait_loadcnt 0x0
	v_dual_lshlrev_b32 v3, 25, v1 :: v_dual_lshlrev_b32 v1, 8, v1
	s_delay_alu instid0(VALU_DEP_1) | instskip(NEXT) | instid1(VALU_DEP_2)
	v_cmp_gt_u32_e32 vcc_lo, 0x8000000, v3
	v_and_or_b32 v1, 0x7f00, v1, 0.5
	s_delay_alu instid0(VALU_DEP_1) | instskip(NEXT) | instid1(VALU_DEP_1)
	v_dual_lshrrev_b32 v5, 4, v3 :: v_dual_add_f32 v1, -0.5, v1
	v_or_b32_e32 v5, 0x70000000, v5
	s_delay_alu instid0(VALU_DEP_1) | instskip(NEXT) | instid1(VALU_DEP_1)
	v_mul_f32_e32 v5, 0x7800000, v5
	v_cndmask_b32_e32 v1, v5, v1, vcc_lo
	s_delay_alu instid0(VALU_DEP_1) | instskip(SKIP_1) | instid1(SALU_CYCLE_1)
	v_cmp_neq_f32_e32 vcc_lo, 0, v1
	s_and_b32 s16, vcc_lo, exec_lo
	s_or_b32 s16, s15, s16
.LBB215_1862:
	s_mov_b32 s15, -1
.LBB215_1863:
	s_and_not1_b32 vcc_lo, exec_lo, s17
	s_mov_b32 s17, 0
	s_cbranch_vccnz .LBB215_1872
; %bb.1864:
	s_cmp_gt_i32 s19, 14
	s_cbranch_scc0 .LBB215_1867
; %bb.1865:
	s_cmp_eq_u32 s19, 15
	s_cbranch_scc0 .LBB215_1868
; %bb.1866:
	global_load_u16 v1, v[16:17], off
	s_mov_b32 s0, 0
	s_mov_b32 s15, -1
	s_wait_loadcnt 0x0
	v_and_b32_e32 v1, 0x7fff, v1
	s_delay_alu instid0(VALU_DEP_1)
	v_cmp_ne_u16_e64 s16, 0, v1
	s_branch .LBB215_1870
.LBB215_1867:
	s_mov_b32 s17, -1
	s_branch .LBB215_1869
.LBB215_1868:
	s_mov_b32 s0, -1
.LBB215_1869:
                                        ; implicit-def: $sgpr16
.LBB215_1870:
	s_and_b32 vcc_lo, exec_lo, s17
	s_mov_b32 s17, 0
	s_cbranch_vccz .LBB215_1872
; %bb.1871:
	s_cmp_lg_u32 s19, 11
	s_mov_b32 s17, -1
	s_cselect_b32 s0, -1, 0
.LBB215_1872:
	s_delay_alu instid0(SALU_CYCLE_1)
	s_and_b32 vcc_lo, exec_lo, s0
	s_cbranch_vccnz .LBB215_1937
; %bb.1873:
	s_and_not1_b32 vcc_lo, exec_lo, s17
	s_cbranch_vccnz .LBB215_1875
.LBB215_1874:
	global_load_u8 v1, v[16:17], off
	s_and_not1_b32 s0, s16, exec_lo
	s_mov_b32 s15, -1
	s_wait_loadcnt 0x0
	v_cmp_ne_u16_e32 vcc_lo, 0, v1
	s_and_b32 s16, vcc_lo, exec_lo
	s_delay_alu instid0(SALU_CYCLE_1)
	s_or_b32 s16, s0, s16
.LBB215_1875:
	s_mov_b32 s0, 0
.LBB215_1876:
	s_delay_alu instid0(SALU_CYCLE_1)
	s_and_b32 vcc_lo, exec_lo, s0
	s_cbranch_vccz .LBB215_1925
; %bb.1877:
	s_cmp_lt_i32 s19, 5
	s_cbranch_scc1 .LBB215_1882
; %bb.1878:
	s_cmp_lt_i32 s19, 8
	s_cbranch_scc1 .LBB215_1883
	;; [unrolled: 3-line block ×3, first 2 shown]
; %bb.1880:
	s_cmp_gt_i32 s19, 9
	s_cbranch_scc0 .LBB215_1885
; %bb.1881:
	global_load_b128 v[18:21], v[16:17], off
	s_wait_loadcnt 0x0
	v_cmp_neq_f64_e32 vcc_lo, 0, v[18:19]
	v_cmp_neq_f64_e64 s0, 0, v[20:21]
	s_or_b32 s16, vcc_lo, s0
	s_mov_b32 s0, 0
	s_branch .LBB215_1886
.LBB215_1882:
	s_mov_b32 s0, -1
                                        ; implicit-def: $sgpr16
	s_branch .LBB215_1904
.LBB215_1883:
	s_mov_b32 s0, -1
                                        ; implicit-def: $sgpr16
	s_branch .LBB215_1892
.LBB215_1884:
	s_mov_b32 s0, -1
                                        ; implicit-def: $sgpr16
	s_branch .LBB215_1889
.LBB215_1885:
	s_mov_b32 s0, -1
                                        ; implicit-def: $sgpr16
.LBB215_1886:
	s_delay_alu instid0(SALU_CYCLE_1)
	s_and_not1_b32 vcc_lo, exec_lo, s0
	s_cbranch_vccnz .LBB215_1888
; %bb.1887:
	global_load_b64 v[18:19], v[16:17], off
	s_and_not1_b32 s0, s16, exec_lo
	s_wait_loadcnt 0x0
	v_bitop3_b32 v1, v18, 0x7fffffff, v19 bitop3:0xc8
	s_delay_alu instid0(VALU_DEP_1) | instskip(SKIP_1) | instid1(SALU_CYCLE_1)
	v_cmp_ne_u32_e32 vcc_lo, 0, v1
	s_and_b32 s15, vcc_lo, exec_lo
	s_or_b32 s16, s0, s15
.LBB215_1888:
	s_mov_b32 s0, 0
.LBB215_1889:
	s_delay_alu instid0(SALU_CYCLE_1)
	s_and_not1_b32 vcc_lo, exec_lo, s0
	s_cbranch_vccnz .LBB215_1891
; %bb.1890:
	global_load_b32 v1, v[16:17], off
	s_and_not1_b32 s0, s16, exec_lo
	s_wait_loadcnt 0x0
	v_and_b32_e32 v1, 0x7fff7fff, v1
	s_delay_alu instid0(VALU_DEP_1) | instskip(SKIP_1) | instid1(SALU_CYCLE_1)
	v_cmp_ne_u32_e32 vcc_lo, 0, v1
	s_and_b32 s15, vcc_lo, exec_lo
	s_or_b32 s16, s0, s15
.LBB215_1891:
	s_mov_b32 s0, 0
.LBB215_1892:
	s_delay_alu instid0(SALU_CYCLE_1)
	s_and_not1_b32 vcc_lo, exec_lo, s0
	s_cbranch_vccnz .LBB215_1903
; %bb.1893:
	s_cmp_lt_i32 s19, 6
	s_cbranch_scc1 .LBB215_1896
; %bb.1894:
	s_cmp_gt_i32 s19, 6
	s_cbranch_scc0 .LBB215_1897
; %bb.1895:
	global_load_b64 v[18:19], v[16:17], off
	s_mov_b32 s0, 0
	s_wait_loadcnt 0x0
	v_cmp_neq_f64_e64 s16, 0, v[18:19]
	s_branch .LBB215_1898
.LBB215_1896:
	s_mov_b32 s0, -1
                                        ; implicit-def: $sgpr16
	s_branch .LBB215_1901
.LBB215_1897:
	s_mov_b32 s0, -1
                                        ; implicit-def: $sgpr16
.LBB215_1898:
	s_delay_alu instid0(SALU_CYCLE_1)
	s_and_not1_b32 vcc_lo, exec_lo, s0
	s_cbranch_vccnz .LBB215_1900
; %bb.1899:
	global_load_b32 v1, v[16:17], off
	s_and_not1_b32 s0, s16, exec_lo
	s_wait_loadcnt 0x0
	v_cmp_neq_f32_e32 vcc_lo, 0, v1
	s_and_b32 s15, vcc_lo, exec_lo
	s_delay_alu instid0(SALU_CYCLE_1)
	s_or_b32 s16, s0, s15
.LBB215_1900:
	s_mov_b32 s0, 0
.LBB215_1901:
	s_delay_alu instid0(SALU_CYCLE_1)
	s_and_not1_b32 vcc_lo, exec_lo, s0
	s_cbranch_vccnz .LBB215_1903
; %bb.1902:
	global_load_u16 v1, v[16:17], off
	s_and_not1_b32 s0, s16, exec_lo
	s_wait_loadcnt 0x0
	v_and_b32_e32 v1, 0x7fff, v1
	s_delay_alu instid0(VALU_DEP_1) | instskip(SKIP_1) | instid1(SALU_CYCLE_1)
	v_cmp_ne_u16_e32 vcc_lo, 0, v1
	s_and_b32 s15, vcc_lo, exec_lo
	s_or_b32 s16, s0, s15
.LBB215_1903:
	s_mov_b32 s0, 0
.LBB215_1904:
	s_delay_alu instid0(SALU_CYCLE_1)
	s_and_not1_b32 vcc_lo, exec_lo, s0
	s_cbranch_vccnz .LBB215_1924
; %bb.1905:
	s_cmp_lt_i32 s19, 2
	s_cbranch_scc1 .LBB215_1909
; %bb.1906:
	s_cmp_lt_i32 s19, 3
	s_cbranch_scc1 .LBB215_1910
; %bb.1907:
	s_cmp_gt_i32 s19, 3
	s_cbranch_scc0 .LBB215_1911
; %bb.1908:
	global_load_b64 v[18:19], v[16:17], off
	s_mov_b32 s0, 0
	s_wait_loadcnt 0x0
	v_cmp_ne_u64_e64 s16, 0, v[18:19]
	s_branch .LBB215_1912
.LBB215_1909:
	s_mov_b32 s0, -1
                                        ; implicit-def: $sgpr16
	s_branch .LBB215_1918
.LBB215_1910:
	s_mov_b32 s0, -1
                                        ; implicit-def: $sgpr16
	s_branch .LBB215_1915
.LBB215_1911:
	s_mov_b32 s0, -1
                                        ; implicit-def: $sgpr16
.LBB215_1912:
	s_delay_alu instid0(SALU_CYCLE_1)
	s_and_not1_b32 vcc_lo, exec_lo, s0
	s_cbranch_vccnz .LBB215_1914
; %bb.1913:
	global_load_b32 v1, v[16:17], off
	s_and_not1_b32 s0, s16, exec_lo
	s_wait_loadcnt 0x0
	v_cmp_ne_u32_e32 vcc_lo, 0, v1
	s_and_b32 s15, vcc_lo, exec_lo
	s_delay_alu instid0(SALU_CYCLE_1)
	s_or_b32 s16, s0, s15
.LBB215_1914:
	s_mov_b32 s0, 0
.LBB215_1915:
	s_delay_alu instid0(SALU_CYCLE_1)
	s_and_not1_b32 vcc_lo, exec_lo, s0
	s_cbranch_vccnz .LBB215_1917
; %bb.1916:
	global_load_u16 v1, v[16:17], off
	s_and_not1_b32 s0, s16, exec_lo
	s_wait_loadcnt 0x0
	v_cmp_ne_u16_e32 vcc_lo, 0, v1
	s_and_b32 s15, vcc_lo, exec_lo
	s_delay_alu instid0(SALU_CYCLE_1)
	s_or_b32 s16, s0, s15
.LBB215_1917:
	s_mov_b32 s0, 0
.LBB215_1918:
	s_delay_alu instid0(SALU_CYCLE_1)
	s_and_not1_b32 vcc_lo, exec_lo, s0
	s_cbranch_vccnz .LBB215_1924
; %bb.1919:
	s_cmp_gt_i32 s19, 0
	s_mov_b32 s0, 0
	s_cbranch_scc0 .LBB215_1921
; %bb.1920:
	global_load_u8 v1, v[16:17], off
	s_wait_loadcnt 0x0
	v_cmp_ne_u16_e64 s16, 0, v1
	s_branch .LBB215_1922
.LBB215_1921:
	s_mov_b32 s0, -1
                                        ; implicit-def: $sgpr16
.LBB215_1922:
	s_delay_alu instid0(SALU_CYCLE_1)
	s_and_not1_b32 vcc_lo, exec_lo, s0
	s_cbranch_vccnz .LBB215_1924
; %bb.1923:
	global_load_u8 v1, v[16:17], off
	s_and_not1_b32 s0, s16, exec_lo
	s_wait_loadcnt 0x0
	v_cmp_ne_u16_e32 vcc_lo, 0, v1
	s_and_b32 s15, vcc_lo, exec_lo
	s_delay_alu instid0(SALU_CYCLE_1)
	s_or_b32 s16, s0, s15
.LBB215_1924:
	s_mov_b32 s15, -1
.LBB215_1925:
	s_delay_alu instid0(SALU_CYCLE_1)
	s_and_not1_b32 vcc_lo, exec_lo, s15
	s_cbranch_vccnz .LBB215_2816
; %bb.1926:
	v_mov_b32_e32 v15, 0
	s_cmp_lt_i32 s18, 11
	s_delay_alu instid0(VALU_DEP_1)
	v_add_nc_u64_e32 v[14:15], s[6:7], v[14:15]
	s_cbranch_scc1 .LBB215_1933
; %bb.1927:
	s_cmp_gt_i32 s18, 25
	s_mov_b32 s20, 0
	s_cbranch_scc0 .LBB215_1934
; %bb.1928:
	s_cmp_gt_i32 s18, 28
	s_cbranch_scc0 .LBB215_1935
; %bb.1929:
	s_cmp_gt_i32 s18, 43
	s_cbranch_scc0 .LBB215_1936
; %bb.1930:
	s_cmp_gt_i32 s18, 45
	s_cbranch_scc0 .LBB215_1938
; %bb.1931:
	s_cmp_eq_u32 s18, 46
	s_mov_b32 s21, 0
	s_cbranch_scc0 .LBB215_1939
; %bb.1932:
	global_load_b32 v1, v[14:15], off
	s_mov_b32 s0, 0
	s_mov_b32 s17, -1
	s_wait_loadcnt 0x0
	v_and_b32_e32 v1, 0x7fff7fff, v1
	s_delay_alu instid0(VALU_DEP_1)
	v_cmp_ne_u32_e64 s15, 0, v1
	s_branch .LBB215_1941
.LBB215_1933:
	s_mov_b32 s0, -1
	s_mov_b32 s17, 0
                                        ; implicit-def: $sgpr15
	s_branch .LBB215_1989
.LBB215_1934:
	s_mov_b32 s21, -1
	s_mov_b32 s17, 0
	s_mov_b32 s0, 0
                                        ; implicit-def: $sgpr15
	s_branch .LBB215_1962
.LBB215_1935:
	s_mov_b32 s21, -1
	s_mov_b32 s17, 0
	s_mov_b32 s0, 0
                                        ; implicit-def: $sgpr15
	s_branch .LBB215_1949
.LBB215_1936:
	s_mov_b32 s21, -1
	s_mov_b32 s17, 0
	s_mov_b32 s0, 0
                                        ; implicit-def: $sgpr15
	s_branch .LBB215_1944
.LBB215_1937:
	s_mov_b32 s15, 0
	s_or_b32 s1, s1, exec_lo
	s_trap 2
	s_cbranch_execz .LBB215_1874
	s_branch .LBB215_1875
.LBB215_1938:
	s_mov_b32 s21, -1
	s_mov_b32 s17, 0
	s_mov_b32 s0, 0
	s_branch .LBB215_1940
.LBB215_1939:
	s_mov_b32 s0, -1
	s_mov_b32 s17, 0
.LBB215_1940:
                                        ; implicit-def: $sgpr15
.LBB215_1941:
	s_and_b32 vcc_lo, exec_lo, s21
	s_cbranch_vccz .LBB215_1943
; %bb.1942:
	s_cmp_lg_u32 s18, 44
	s_mov_b32 s17, -1
	s_cselect_b32 s0, -1, 0
	s_or_b32 s15, s15, exec_lo
.LBB215_1943:
	s_mov_b32 s21, 0
.LBB215_1944:
	s_delay_alu instid0(SALU_CYCLE_1)
	s_and_b32 vcc_lo, exec_lo, s21
	s_cbranch_vccz .LBB215_1948
; %bb.1945:
	s_cmp_eq_u32 s18, 29
	s_cbranch_scc0 .LBB215_1947
; %bb.1946:
	global_load_b64 v[16:17], v[14:15], off
	s_mov_b32 s0, 0
	s_mov_b32 s17, -1
	s_mov_b32 s21, 0
	s_wait_loadcnt 0x0
	v_cmp_ne_u64_e64 s15, 0, v[16:17]
	s_branch .LBB215_1949
.LBB215_1947:
	s_mov_b32 s0, -1
                                        ; implicit-def: $sgpr15
.LBB215_1948:
	s_mov_b32 s21, 0
.LBB215_1949:
	s_delay_alu instid0(SALU_CYCLE_1)
	s_and_b32 vcc_lo, exec_lo, s21
	s_cbranch_vccz .LBB215_1961
; %bb.1950:
	s_cmp_lt_i32 s18, 27
	s_cbranch_scc1 .LBB215_1953
; %bb.1951:
	s_cmp_gt_i32 s18, 27
	s_cbranch_scc0 .LBB215_1954
; %bb.1952:
	global_load_b32 v1, v[14:15], off
	s_mov_b32 s17, 0
	s_wait_loadcnt 0x0
	v_cmp_ne_u32_e64 s15, 0, v1
	s_branch .LBB215_1955
.LBB215_1953:
	s_mov_b32 s17, -1
                                        ; implicit-def: $sgpr15
	s_branch .LBB215_1958
.LBB215_1954:
	s_mov_b32 s17, -1
                                        ; implicit-def: $sgpr15
.LBB215_1955:
	s_delay_alu instid0(SALU_CYCLE_1)
	s_and_not1_b32 vcc_lo, exec_lo, s17
	s_cbranch_vccnz .LBB215_1957
; %bb.1956:
	global_load_u16 v1, v[14:15], off
	s_and_not1_b32 s15, s15, exec_lo
	s_wait_loadcnt 0x0
	v_cmp_ne_u16_e32 vcc_lo, 0, v1
	s_and_b32 s17, vcc_lo, exec_lo
	s_delay_alu instid0(SALU_CYCLE_1)
	s_or_b32 s15, s15, s17
.LBB215_1957:
	s_mov_b32 s17, 0
.LBB215_1958:
	s_delay_alu instid0(SALU_CYCLE_1)
	s_and_not1_b32 vcc_lo, exec_lo, s17
	s_cbranch_vccnz .LBB215_1960
; %bb.1959:
	global_load_u8 v1, v[14:15], off
	s_and_not1_b32 s15, s15, exec_lo
	s_wait_loadcnt 0x0
	v_cmp_ne_u16_e32 vcc_lo, 0, v1
	s_and_b32 s17, vcc_lo, exec_lo
	s_delay_alu instid0(SALU_CYCLE_1)
	s_or_b32 s15, s15, s17
.LBB215_1960:
	s_mov_b32 s17, -1
.LBB215_1961:
	s_mov_b32 s21, 0
.LBB215_1962:
	s_delay_alu instid0(SALU_CYCLE_1)
	s_and_b32 vcc_lo, exec_lo, s21
	s_cbranch_vccz .LBB215_1985
; %bb.1963:
	s_cmp_gt_i32 s18, 22
	s_cbranch_scc0 .LBB215_1967
; %bb.1964:
	s_cmp_lt_i32 s18, 24
	s_cbranch_scc1 .LBB215_1968
; %bb.1965:
	s_cmp_gt_i32 s18, 24
	s_cbranch_scc0 .LBB215_1969
; %bb.1966:
	global_load_u8 v1, v[14:15], off
	s_mov_b32 s17, 0
	s_wait_loadcnt 0x0
	v_cmp_ne_u16_e64 s15, 0, v1
	s_branch .LBB215_1970
.LBB215_1967:
	s_mov_b32 s20, -1
                                        ; implicit-def: $sgpr15
	s_branch .LBB215_1976
.LBB215_1968:
	s_mov_b32 s17, -1
                                        ; implicit-def: $sgpr15
	s_branch .LBB215_1973
.LBB215_1969:
	s_mov_b32 s17, -1
                                        ; implicit-def: $sgpr15
.LBB215_1970:
	s_delay_alu instid0(SALU_CYCLE_1)
	s_and_not1_b32 vcc_lo, exec_lo, s17
	s_cbranch_vccnz .LBB215_1972
; %bb.1971:
	global_load_u8 v1, v[14:15], off
	s_and_not1_b32 s15, s15, exec_lo
	s_wait_loadcnt 0x0
	v_and_b32_e32 v1, 0x7f, v1
	s_delay_alu instid0(VALU_DEP_1) | instskip(SKIP_1) | instid1(SALU_CYCLE_1)
	v_cmp_ne_u16_e32 vcc_lo, 0, v1
	s_and_b32 s17, vcc_lo, exec_lo
	s_or_b32 s15, s15, s17
.LBB215_1972:
	s_mov_b32 s17, 0
.LBB215_1973:
	s_delay_alu instid0(SALU_CYCLE_1)
	s_and_not1_b32 vcc_lo, exec_lo, s17
	s_cbranch_vccnz .LBB215_1975
; %bb.1974:
	global_load_u8 v1, v[14:15], off
	s_and_not1_b32 s15, s15, exec_lo
	s_wait_loadcnt 0x0
	v_dual_lshlrev_b32 v3, 25, v1 :: v_dual_lshlrev_b32 v1, 8, v1
	s_delay_alu instid0(VALU_DEP_1) | instskip(NEXT) | instid1(VALU_DEP_2)
	v_cmp_gt_u32_e32 vcc_lo, 0x8000000, v3
	v_and_or_b32 v1, 0x7f00, v1, 0.5
	s_delay_alu instid0(VALU_DEP_1) | instskip(NEXT) | instid1(VALU_DEP_1)
	v_dual_lshrrev_b32 v5, 4, v3 :: v_dual_add_f32 v1, -0.5, v1
	v_or_b32_e32 v5, 0x70000000, v5
	s_delay_alu instid0(VALU_DEP_1) | instskip(NEXT) | instid1(VALU_DEP_1)
	v_mul_f32_e32 v5, 0x7800000, v5
	v_cndmask_b32_e32 v1, v5, v1, vcc_lo
	s_delay_alu instid0(VALU_DEP_1) | instskip(SKIP_1) | instid1(SALU_CYCLE_1)
	v_cmp_neq_f32_e32 vcc_lo, 0, v1
	s_and_b32 s17, vcc_lo, exec_lo
	s_or_b32 s15, s15, s17
.LBB215_1975:
	s_mov_b32 s17, -1
.LBB215_1976:
	s_and_not1_b32 vcc_lo, exec_lo, s20
	s_mov_b32 s20, 0
	s_cbranch_vccnz .LBB215_1985
; %bb.1977:
	s_cmp_gt_i32 s18, 14
	s_cbranch_scc0 .LBB215_1980
; %bb.1978:
	s_cmp_eq_u32 s18, 15
	s_cbranch_scc0 .LBB215_1981
; %bb.1979:
	global_load_u16 v1, v[14:15], off
	s_mov_b32 s0, 0
	s_mov_b32 s17, -1
	s_wait_loadcnt 0x0
	v_and_b32_e32 v1, 0x7fff, v1
	s_delay_alu instid0(VALU_DEP_1)
	v_cmp_ne_u16_e64 s15, 0, v1
	s_branch .LBB215_1983
.LBB215_1980:
	s_mov_b32 s20, -1
	s_branch .LBB215_1982
.LBB215_1981:
	s_mov_b32 s0, -1
.LBB215_1982:
                                        ; implicit-def: $sgpr15
.LBB215_1983:
	s_and_b32 vcc_lo, exec_lo, s20
	s_mov_b32 s20, 0
	s_cbranch_vccz .LBB215_1985
; %bb.1984:
	s_cmp_lg_u32 s18, 11
	s_mov_b32 s20, -1
	s_cselect_b32 s0, -1, 0
.LBB215_1985:
	s_delay_alu instid0(SALU_CYCLE_1)
	s_and_b32 vcc_lo, exec_lo, s0
	s_cbranch_vccnz .LBB215_2050
; %bb.1986:
	s_and_not1_b32 vcc_lo, exec_lo, s20
	s_cbranch_vccnz .LBB215_1988
.LBB215_1987:
	global_load_u8 v1, v[14:15], off
	s_and_not1_b32 s0, s15, exec_lo
	s_mov_b32 s17, -1
	s_wait_loadcnt 0x0
	v_cmp_ne_u16_e32 vcc_lo, 0, v1
	s_and_b32 s15, vcc_lo, exec_lo
	s_delay_alu instid0(SALU_CYCLE_1)
	s_or_b32 s15, s0, s15
.LBB215_1988:
	s_mov_b32 s0, 0
.LBB215_1989:
	s_delay_alu instid0(SALU_CYCLE_1)
	s_and_b32 vcc_lo, exec_lo, s0
	s_cbranch_vccz .LBB215_2038
; %bb.1990:
	s_cmp_lt_i32 s18, 5
	s_cbranch_scc1 .LBB215_1995
; %bb.1991:
	s_cmp_lt_i32 s18, 8
	s_cbranch_scc1 .LBB215_1996
	;; [unrolled: 3-line block ×3, first 2 shown]
; %bb.1993:
	s_cmp_gt_i32 s18, 9
	s_cbranch_scc0 .LBB215_1998
; %bb.1994:
	global_load_b128 v[16:19], v[14:15], off
	s_wait_loadcnt 0x0
	v_cmp_neq_f64_e32 vcc_lo, 0, v[16:17]
	v_cmp_neq_f64_e64 s0, 0, v[18:19]
	s_or_b32 s15, vcc_lo, s0
	s_mov_b32 s0, 0
	s_branch .LBB215_1999
.LBB215_1995:
	s_mov_b32 s0, -1
                                        ; implicit-def: $sgpr15
	s_branch .LBB215_2017
.LBB215_1996:
	s_mov_b32 s0, -1
                                        ; implicit-def: $sgpr15
	s_branch .LBB215_2005
.LBB215_1997:
	s_mov_b32 s0, -1
                                        ; implicit-def: $sgpr15
	s_branch .LBB215_2002
.LBB215_1998:
	s_mov_b32 s0, -1
                                        ; implicit-def: $sgpr15
.LBB215_1999:
	s_delay_alu instid0(SALU_CYCLE_1)
	s_and_not1_b32 vcc_lo, exec_lo, s0
	s_cbranch_vccnz .LBB215_2001
; %bb.2000:
	global_load_b64 v[16:17], v[14:15], off
	s_and_not1_b32 s0, s15, exec_lo
	s_wait_loadcnt 0x0
	v_bitop3_b32 v1, v16, 0x7fffffff, v17 bitop3:0xc8
	s_delay_alu instid0(VALU_DEP_1) | instskip(SKIP_1) | instid1(SALU_CYCLE_1)
	v_cmp_ne_u32_e32 vcc_lo, 0, v1
	s_and_b32 s15, vcc_lo, exec_lo
	s_or_b32 s15, s0, s15
.LBB215_2001:
	s_mov_b32 s0, 0
.LBB215_2002:
	s_delay_alu instid0(SALU_CYCLE_1)
	s_and_not1_b32 vcc_lo, exec_lo, s0
	s_cbranch_vccnz .LBB215_2004
; %bb.2003:
	global_load_b32 v1, v[14:15], off
	s_and_not1_b32 s0, s15, exec_lo
	s_wait_loadcnt 0x0
	v_and_b32_e32 v1, 0x7fff7fff, v1
	s_delay_alu instid0(VALU_DEP_1) | instskip(SKIP_1) | instid1(SALU_CYCLE_1)
	v_cmp_ne_u32_e32 vcc_lo, 0, v1
	s_and_b32 s15, vcc_lo, exec_lo
	s_or_b32 s15, s0, s15
.LBB215_2004:
	s_mov_b32 s0, 0
.LBB215_2005:
	s_delay_alu instid0(SALU_CYCLE_1)
	s_and_not1_b32 vcc_lo, exec_lo, s0
	s_cbranch_vccnz .LBB215_2016
; %bb.2006:
	s_cmp_lt_i32 s18, 6
	s_cbranch_scc1 .LBB215_2009
; %bb.2007:
	s_cmp_gt_i32 s18, 6
	s_cbranch_scc0 .LBB215_2010
; %bb.2008:
	global_load_b64 v[16:17], v[14:15], off
	s_mov_b32 s0, 0
	s_wait_loadcnt 0x0
	v_cmp_neq_f64_e64 s15, 0, v[16:17]
	s_branch .LBB215_2011
.LBB215_2009:
	s_mov_b32 s0, -1
                                        ; implicit-def: $sgpr15
	s_branch .LBB215_2014
.LBB215_2010:
	s_mov_b32 s0, -1
                                        ; implicit-def: $sgpr15
.LBB215_2011:
	s_delay_alu instid0(SALU_CYCLE_1)
	s_and_not1_b32 vcc_lo, exec_lo, s0
	s_cbranch_vccnz .LBB215_2013
; %bb.2012:
	global_load_b32 v1, v[14:15], off
	s_and_not1_b32 s0, s15, exec_lo
	s_wait_loadcnt 0x0
	v_cmp_neq_f32_e32 vcc_lo, 0, v1
	s_and_b32 s15, vcc_lo, exec_lo
	s_delay_alu instid0(SALU_CYCLE_1)
	s_or_b32 s15, s0, s15
.LBB215_2013:
	s_mov_b32 s0, 0
.LBB215_2014:
	s_delay_alu instid0(SALU_CYCLE_1)
	s_and_not1_b32 vcc_lo, exec_lo, s0
	s_cbranch_vccnz .LBB215_2016
; %bb.2015:
	global_load_u16 v1, v[14:15], off
	s_and_not1_b32 s0, s15, exec_lo
	s_wait_loadcnt 0x0
	v_and_b32_e32 v1, 0x7fff, v1
	s_delay_alu instid0(VALU_DEP_1) | instskip(SKIP_1) | instid1(SALU_CYCLE_1)
	v_cmp_ne_u16_e32 vcc_lo, 0, v1
	s_and_b32 s15, vcc_lo, exec_lo
	s_or_b32 s15, s0, s15
.LBB215_2016:
	s_mov_b32 s0, 0
.LBB215_2017:
	s_delay_alu instid0(SALU_CYCLE_1)
	s_and_not1_b32 vcc_lo, exec_lo, s0
	s_cbranch_vccnz .LBB215_2037
; %bb.2018:
	s_cmp_lt_i32 s18, 2
	s_cbranch_scc1 .LBB215_2022
; %bb.2019:
	s_cmp_lt_i32 s18, 3
	s_cbranch_scc1 .LBB215_2023
; %bb.2020:
	s_cmp_gt_i32 s18, 3
	s_cbranch_scc0 .LBB215_2024
; %bb.2021:
	global_load_b64 v[16:17], v[14:15], off
	s_mov_b32 s0, 0
	s_wait_loadcnt 0x0
	v_cmp_ne_u64_e64 s15, 0, v[16:17]
	s_branch .LBB215_2025
.LBB215_2022:
	s_mov_b32 s0, -1
                                        ; implicit-def: $sgpr15
	s_branch .LBB215_2031
.LBB215_2023:
	s_mov_b32 s0, -1
                                        ; implicit-def: $sgpr15
	s_branch .LBB215_2028
.LBB215_2024:
	s_mov_b32 s0, -1
                                        ; implicit-def: $sgpr15
.LBB215_2025:
	s_delay_alu instid0(SALU_CYCLE_1)
	s_and_not1_b32 vcc_lo, exec_lo, s0
	s_cbranch_vccnz .LBB215_2027
; %bb.2026:
	global_load_b32 v1, v[14:15], off
	s_and_not1_b32 s0, s15, exec_lo
	s_wait_loadcnt 0x0
	v_cmp_ne_u32_e32 vcc_lo, 0, v1
	s_and_b32 s15, vcc_lo, exec_lo
	s_delay_alu instid0(SALU_CYCLE_1)
	s_or_b32 s15, s0, s15
.LBB215_2027:
	s_mov_b32 s0, 0
.LBB215_2028:
	s_delay_alu instid0(SALU_CYCLE_1)
	s_and_not1_b32 vcc_lo, exec_lo, s0
	s_cbranch_vccnz .LBB215_2030
; %bb.2029:
	global_load_u16 v1, v[14:15], off
	s_and_not1_b32 s0, s15, exec_lo
	s_wait_loadcnt 0x0
	v_cmp_ne_u16_e32 vcc_lo, 0, v1
	s_and_b32 s15, vcc_lo, exec_lo
	s_delay_alu instid0(SALU_CYCLE_1)
	s_or_b32 s15, s0, s15
.LBB215_2030:
	s_mov_b32 s0, 0
.LBB215_2031:
	s_delay_alu instid0(SALU_CYCLE_1)
	s_and_not1_b32 vcc_lo, exec_lo, s0
	s_cbranch_vccnz .LBB215_2037
; %bb.2032:
	s_cmp_gt_i32 s18, 0
	s_mov_b32 s0, 0
	s_cbranch_scc0 .LBB215_2034
; %bb.2033:
	global_load_u8 v1, v[14:15], off
	s_wait_loadcnt 0x0
	v_cmp_ne_u16_e64 s15, 0, v1
	s_branch .LBB215_2035
.LBB215_2034:
	s_mov_b32 s0, -1
                                        ; implicit-def: $sgpr15
.LBB215_2035:
	s_delay_alu instid0(SALU_CYCLE_1)
	s_and_not1_b32 vcc_lo, exec_lo, s0
	s_cbranch_vccnz .LBB215_2037
; %bb.2036:
	global_load_u8 v1, v[14:15], off
	s_and_not1_b32 s0, s15, exec_lo
	s_wait_loadcnt 0x0
	v_cmp_ne_u16_e32 vcc_lo, 0, v1
	s_and_b32 s15, vcc_lo, exec_lo
	s_delay_alu instid0(SALU_CYCLE_1)
	s_or_b32 s15, s0, s15
.LBB215_2037:
	s_mov_b32 s17, -1
.LBB215_2038:
	s_delay_alu instid0(SALU_CYCLE_1)
	s_and_not1_b32 vcc_lo, exec_lo, s17
	s_cbranch_vccnz .LBB215_2816
; %bb.2039:
	v_mov_b32_e32 v13, 0
	s_cmp_lt_i32 s19, 11
	s_delay_alu instid0(VALU_DEP_1)
	v_add_nc_u64_e32 v[12:13], s[8:9], v[12:13]
	s_cbranch_scc1 .LBB215_2046
; %bb.2040:
	s_cmp_gt_i32 s19, 25
	s_mov_b32 s21, 0
	s_cbranch_scc0 .LBB215_2047
; %bb.2041:
	s_cmp_gt_i32 s19, 28
	s_cbranch_scc0 .LBB215_2048
; %bb.2042:
	s_cmp_gt_i32 s19, 43
	s_cbranch_scc0 .LBB215_2049
; %bb.2043:
	s_cmp_gt_i32 s19, 45
	s_cbranch_scc0 .LBB215_2051
; %bb.2044:
	s_cmp_eq_u32 s19, 46
	s_mov_b32 s22, 0
	s_cbranch_scc0 .LBB215_2056
; %bb.2045:
	global_load_b32 v1, v[12:13], off
	s_mov_b32 s0, 0
	s_mov_b32 s20, -1
	s_wait_loadcnt 0x0
	v_and_b32_e32 v1, 0x7fff7fff, v1
	s_delay_alu instid0(VALU_DEP_1)
	v_cmp_ne_u32_e64 s17, 0, v1
	s_branch .LBB215_2058
.LBB215_2046:
	s_mov_b32 s0, -1
	s_mov_b32 s20, 0
                                        ; implicit-def: $sgpr17
	s_branch .LBB215_2106
.LBB215_2047:
	s_mov_b32 s22, -1
	s_mov_b32 s20, 0
	s_mov_b32 s0, 0
                                        ; implicit-def: $sgpr17
	s_branch .LBB215_2079
.LBB215_2048:
	s_mov_b32 s22, -1
	s_mov_b32 s20, 0
	s_mov_b32 s0, 0
                                        ; implicit-def: $sgpr17
	s_branch .LBB215_2066
.LBB215_2049:
	s_mov_b32 s22, -1
	s_mov_b32 s20, 0
	s_mov_b32 s0, 0
                                        ; implicit-def: $sgpr17
	s_branch .LBB215_2061
.LBB215_2050:
	s_mov_b32 s17, 0
	s_or_b32 s1, s1, exec_lo
	s_trap 2
	s_cbranch_execz .LBB215_1987
	s_branch .LBB215_1988
.LBB215_2051:
	s_mov_b32 s22, -1
	s_mov_b32 s20, 0
	s_mov_b32 s0, 0
	s_branch .LBB215_2057
.LBB215_2052:
	v_bfe_u32 v1, v4, 21, 1
	s_mov_b32 s47, exec_lo
	s_delay_alu instid0(VALU_DEP_1) | instskip(NEXT) | instid1(VALU_DEP_1)
	v_add3_u32 v1, v4, v1, 0x88fffff
                                        ; implicit-def: $vgpr4
	v_lshrrev_b32_e32 v1, 21, v1
	s_and_not1_saveexec_b32 s48, s48
	s_cbranch_execz .LBB215_641
.LBB215_2053:
	v_add_f32_e32 v1, 0x42800000, v4
	s_and_not1_b32 s47, s47, exec_lo
	s_delay_alu instid0(VALU_DEP_1) | instskip(NEXT) | instid1(VALU_DEP_1)
	v_and_b32_e32 v1, 0xff, v1
	v_cmp_ne_u32_e32 vcc_lo, 0, v1
	s_and_b32 s49, vcc_lo, exec_lo
	s_delay_alu instid0(SALU_CYCLE_1)
	s_or_b32 s47, s47, s49
	s_or_b32 exec_lo, exec_lo, s48
	v_mov_b32_e32 v5, 0
	s_and_saveexec_b32 s48, s47
	s_cbranch_execnz .LBB215_642
	s_branch .LBB215_643
.LBB215_2054:
	v_bfe_u32 v1, v4, 20, 1
	s_mov_b32 s51, exec_lo
	s_delay_alu instid0(VALU_DEP_1) | instskip(NEXT) | instid1(VALU_DEP_1)
	v_add3_u32 v1, v4, v1, 0x487ffff
                                        ; implicit-def: $vgpr4
	v_lshrrev_b32_e32 v1, 20, v1
	s_and_not1_saveexec_b32 s52, s52
	s_cbranch_execz .LBB215_992
.LBB215_2055:
	v_add_f32_e32 v1, 0x46000000, v4
	s_and_not1_b32 s51, s51, exec_lo
	s_delay_alu instid0(VALU_DEP_1) | instskip(NEXT) | instid1(VALU_DEP_1)
	v_and_b32_e32 v1, 0xff, v1
	v_cmp_ne_u32_e32 vcc_lo, 0, v1
	s_and_b32 s53, vcc_lo, exec_lo
	s_delay_alu instid0(SALU_CYCLE_1)
	s_or_b32 s51, s51, s53
	s_or_b32 exec_lo, exec_lo, s52
	v_mov_b32_e32 v5, 0
	s_and_saveexec_b32 s52, s51
	s_cbranch_execnz .LBB215_993
	s_branch .LBB215_994
.LBB215_2056:
	s_mov_b32 s0, -1
	s_mov_b32 s20, 0
.LBB215_2057:
                                        ; implicit-def: $sgpr17
.LBB215_2058:
	s_and_b32 vcc_lo, exec_lo, s22
	s_cbranch_vccz .LBB215_2060
; %bb.2059:
	s_cmp_lg_u32 s19, 44
	s_mov_b32 s20, -1
	s_cselect_b32 s0, -1, 0
	s_or_b32 s17, s17, exec_lo
.LBB215_2060:
	s_mov_b32 s22, 0
.LBB215_2061:
	s_delay_alu instid0(SALU_CYCLE_1)
	s_and_b32 vcc_lo, exec_lo, s22
	s_cbranch_vccz .LBB215_2065
; %bb.2062:
	s_cmp_eq_u32 s19, 29
	s_cbranch_scc0 .LBB215_2064
; %bb.2063:
	global_load_b64 v[14:15], v[12:13], off
	s_mov_b32 s0, 0
	s_mov_b32 s20, -1
	s_mov_b32 s22, 0
	s_wait_loadcnt 0x0
	v_cmp_ne_u64_e64 s17, 0, v[14:15]
	s_branch .LBB215_2066
.LBB215_2064:
	s_mov_b32 s0, -1
                                        ; implicit-def: $sgpr17
.LBB215_2065:
	s_mov_b32 s22, 0
.LBB215_2066:
	s_delay_alu instid0(SALU_CYCLE_1)
	s_and_b32 vcc_lo, exec_lo, s22
	s_cbranch_vccz .LBB215_2078
; %bb.2067:
	s_cmp_lt_i32 s19, 27
	s_cbranch_scc1 .LBB215_2070
; %bb.2068:
	s_cmp_gt_i32 s19, 27
	s_cbranch_scc0 .LBB215_2071
; %bb.2069:
	global_load_b32 v1, v[12:13], off
	s_mov_b32 s20, 0
	s_wait_loadcnt 0x0
	v_cmp_ne_u32_e64 s17, 0, v1
	s_branch .LBB215_2072
.LBB215_2070:
	s_mov_b32 s20, -1
                                        ; implicit-def: $sgpr17
	s_branch .LBB215_2075
.LBB215_2071:
	s_mov_b32 s20, -1
                                        ; implicit-def: $sgpr17
.LBB215_2072:
	s_delay_alu instid0(SALU_CYCLE_1)
	s_and_not1_b32 vcc_lo, exec_lo, s20
	s_cbranch_vccnz .LBB215_2074
; %bb.2073:
	global_load_u16 v1, v[12:13], off
	s_and_not1_b32 s17, s17, exec_lo
	s_wait_loadcnt 0x0
	v_cmp_ne_u16_e32 vcc_lo, 0, v1
	s_and_b32 s20, vcc_lo, exec_lo
	s_delay_alu instid0(SALU_CYCLE_1)
	s_or_b32 s17, s17, s20
.LBB215_2074:
	s_mov_b32 s20, 0
.LBB215_2075:
	s_delay_alu instid0(SALU_CYCLE_1)
	s_and_not1_b32 vcc_lo, exec_lo, s20
	s_cbranch_vccnz .LBB215_2077
; %bb.2076:
	global_load_u8 v1, v[12:13], off
	s_and_not1_b32 s17, s17, exec_lo
	s_wait_loadcnt 0x0
	v_cmp_ne_u16_e32 vcc_lo, 0, v1
	s_and_b32 s20, vcc_lo, exec_lo
	s_delay_alu instid0(SALU_CYCLE_1)
	s_or_b32 s17, s17, s20
.LBB215_2077:
	s_mov_b32 s20, -1
.LBB215_2078:
	s_mov_b32 s22, 0
.LBB215_2079:
	s_delay_alu instid0(SALU_CYCLE_1)
	s_and_b32 vcc_lo, exec_lo, s22
	s_cbranch_vccz .LBB215_2102
; %bb.2080:
	s_cmp_gt_i32 s19, 22
	s_cbranch_scc0 .LBB215_2084
; %bb.2081:
	s_cmp_lt_i32 s19, 24
	s_cbranch_scc1 .LBB215_2085
; %bb.2082:
	s_cmp_gt_i32 s19, 24
	s_cbranch_scc0 .LBB215_2086
; %bb.2083:
	global_load_u8 v1, v[12:13], off
	s_mov_b32 s20, 0
	s_wait_loadcnt 0x0
	v_cmp_ne_u16_e64 s17, 0, v1
	s_branch .LBB215_2087
.LBB215_2084:
	s_mov_b32 s21, -1
                                        ; implicit-def: $sgpr17
	s_branch .LBB215_2093
.LBB215_2085:
	s_mov_b32 s20, -1
                                        ; implicit-def: $sgpr17
	s_branch .LBB215_2090
.LBB215_2086:
	s_mov_b32 s20, -1
                                        ; implicit-def: $sgpr17
.LBB215_2087:
	s_delay_alu instid0(SALU_CYCLE_1)
	s_and_not1_b32 vcc_lo, exec_lo, s20
	s_cbranch_vccnz .LBB215_2089
; %bb.2088:
	global_load_u8 v1, v[12:13], off
	s_and_not1_b32 s17, s17, exec_lo
	s_wait_loadcnt 0x0
	v_and_b32_e32 v1, 0x7f, v1
	s_delay_alu instid0(VALU_DEP_1) | instskip(SKIP_1) | instid1(SALU_CYCLE_1)
	v_cmp_ne_u16_e32 vcc_lo, 0, v1
	s_and_b32 s20, vcc_lo, exec_lo
	s_or_b32 s17, s17, s20
.LBB215_2089:
	s_mov_b32 s20, 0
.LBB215_2090:
	s_delay_alu instid0(SALU_CYCLE_1)
	s_and_not1_b32 vcc_lo, exec_lo, s20
	s_cbranch_vccnz .LBB215_2092
; %bb.2091:
	global_load_u8 v1, v[12:13], off
	s_and_not1_b32 s17, s17, exec_lo
	s_wait_loadcnt 0x0
	v_dual_lshlrev_b32 v3, 25, v1 :: v_dual_lshlrev_b32 v1, 8, v1
	s_delay_alu instid0(VALU_DEP_1) | instskip(NEXT) | instid1(VALU_DEP_2)
	v_cmp_gt_u32_e32 vcc_lo, 0x8000000, v3
	v_and_or_b32 v1, 0x7f00, v1, 0.5
	s_delay_alu instid0(VALU_DEP_1) | instskip(NEXT) | instid1(VALU_DEP_1)
	v_dual_lshrrev_b32 v5, 4, v3 :: v_dual_add_f32 v1, -0.5, v1
	v_or_b32_e32 v5, 0x70000000, v5
	s_delay_alu instid0(VALU_DEP_1) | instskip(NEXT) | instid1(VALU_DEP_1)
	v_mul_f32_e32 v5, 0x7800000, v5
	v_cndmask_b32_e32 v1, v5, v1, vcc_lo
	s_delay_alu instid0(VALU_DEP_1) | instskip(SKIP_1) | instid1(SALU_CYCLE_1)
	v_cmp_neq_f32_e32 vcc_lo, 0, v1
	s_and_b32 s20, vcc_lo, exec_lo
	s_or_b32 s17, s17, s20
.LBB215_2092:
	s_mov_b32 s20, -1
.LBB215_2093:
	s_and_not1_b32 vcc_lo, exec_lo, s21
	s_mov_b32 s21, 0
	s_cbranch_vccnz .LBB215_2102
; %bb.2094:
	s_cmp_gt_i32 s19, 14
	s_cbranch_scc0 .LBB215_2097
; %bb.2095:
	s_cmp_eq_u32 s19, 15
	s_cbranch_scc0 .LBB215_2098
; %bb.2096:
	global_load_u16 v1, v[12:13], off
	s_mov_b32 s0, 0
	s_mov_b32 s20, -1
	s_wait_loadcnt 0x0
	v_and_b32_e32 v1, 0x7fff, v1
	s_delay_alu instid0(VALU_DEP_1)
	v_cmp_ne_u16_e64 s17, 0, v1
	s_branch .LBB215_2100
.LBB215_2097:
	s_mov_b32 s21, -1
	s_branch .LBB215_2099
.LBB215_2098:
	s_mov_b32 s0, -1
.LBB215_2099:
                                        ; implicit-def: $sgpr17
.LBB215_2100:
	s_and_b32 vcc_lo, exec_lo, s21
	s_mov_b32 s21, 0
	s_cbranch_vccz .LBB215_2102
; %bb.2101:
	s_cmp_lg_u32 s19, 11
	s_mov_b32 s21, -1
	s_cselect_b32 s0, -1, 0
.LBB215_2102:
	s_delay_alu instid0(SALU_CYCLE_1)
	s_and_b32 vcc_lo, exec_lo, s0
	s_cbranch_vccnz .LBB215_2167
; %bb.2103:
	s_and_not1_b32 vcc_lo, exec_lo, s21
	s_cbranch_vccnz .LBB215_2105
.LBB215_2104:
	global_load_u8 v1, v[12:13], off
	s_and_not1_b32 s0, s17, exec_lo
	s_mov_b32 s20, -1
	s_wait_loadcnt 0x0
	v_cmp_ne_u16_e32 vcc_lo, 0, v1
	s_and_b32 s17, vcc_lo, exec_lo
	s_delay_alu instid0(SALU_CYCLE_1)
	s_or_b32 s17, s0, s17
.LBB215_2105:
	s_mov_b32 s0, 0
.LBB215_2106:
	s_delay_alu instid0(SALU_CYCLE_1)
	s_and_b32 vcc_lo, exec_lo, s0
	s_cbranch_vccz .LBB215_2155
; %bb.2107:
	s_cmp_lt_i32 s19, 5
	s_cbranch_scc1 .LBB215_2112
; %bb.2108:
	s_cmp_lt_i32 s19, 8
	s_cbranch_scc1 .LBB215_2113
	;; [unrolled: 3-line block ×3, first 2 shown]
; %bb.2110:
	s_cmp_gt_i32 s19, 9
	s_cbranch_scc0 .LBB215_2115
; %bb.2111:
	global_load_b128 v[14:17], v[12:13], off
	s_wait_loadcnt 0x0
	v_cmp_neq_f64_e32 vcc_lo, 0, v[14:15]
	v_cmp_neq_f64_e64 s0, 0, v[16:17]
	s_or_b32 s17, vcc_lo, s0
	s_mov_b32 s0, 0
	s_branch .LBB215_2116
.LBB215_2112:
	s_mov_b32 s0, -1
                                        ; implicit-def: $sgpr17
	s_branch .LBB215_2134
.LBB215_2113:
	s_mov_b32 s0, -1
                                        ; implicit-def: $sgpr17
	s_branch .LBB215_2122
.LBB215_2114:
	s_mov_b32 s0, -1
                                        ; implicit-def: $sgpr17
	s_branch .LBB215_2119
.LBB215_2115:
	s_mov_b32 s0, -1
                                        ; implicit-def: $sgpr17
.LBB215_2116:
	s_delay_alu instid0(SALU_CYCLE_1)
	s_and_not1_b32 vcc_lo, exec_lo, s0
	s_cbranch_vccnz .LBB215_2118
; %bb.2117:
	global_load_b64 v[14:15], v[12:13], off
	s_and_not1_b32 s0, s17, exec_lo
	s_wait_loadcnt 0x0
	v_bitop3_b32 v1, v14, 0x7fffffff, v15 bitop3:0xc8
	s_delay_alu instid0(VALU_DEP_1) | instskip(SKIP_1) | instid1(SALU_CYCLE_1)
	v_cmp_ne_u32_e32 vcc_lo, 0, v1
	s_and_b32 s17, vcc_lo, exec_lo
	s_or_b32 s17, s0, s17
.LBB215_2118:
	s_mov_b32 s0, 0
.LBB215_2119:
	s_delay_alu instid0(SALU_CYCLE_1)
	s_and_not1_b32 vcc_lo, exec_lo, s0
	s_cbranch_vccnz .LBB215_2121
; %bb.2120:
	global_load_b32 v1, v[12:13], off
	s_and_not1_b32 s0, s17, exec_lo
	s_wait_loadcnt 0x0
	v_and_b32_e32 v1, 0x7fff7fff, v1
	s_delay_alu instid0(VALU_DEP_1) | instskip(SKIP_1) | instid1(SALU_CYCLE_1)
	v_cmp_ne_u32_e32 vcc_lo, 0, v1
	s_and_b32 s17, vcc_lo, exec_lo
	s_or_b32 s17, s0, s17
.LBB215_2121:
	s_mov_b32 s0, 0
.LBB215_2122:
	s_delay_alu instid0(SALU_CYCLE_1)
	s_and_not1_b32 vcc_lo, exec_lo, s0
	s_cbranch_vccnz .LBB215_2133
; %bb.2123:
	s_cmp_lt_i32 s19, 6
	s_cbranch_scc1 .LBB215_2126
; %bb.2124:
	s_cmp_gt_i32 s19, 6
	s_cbranch_scc0 .LBB215_2127
; %bb.2125:
	global_load_b64 v[14:15], v[12:13], off
	s_mov_b32 s0, 0
	s_wait_loadcnt 0x0
	v_cmp_neq_f64_e64 s17, 0, v[14:15]
	s_branch .LBB215_2128
.LBB215_2126:
	s_mov_b32 s0, -1
                                        ; implicit-def: $sgpr17
	s_branch .LBB215_2131
.LBB215_2127:
	s_mov_b32 s0, -1
                                        ; implicit-def: $sgpr17
.LBB215_2128:
	s_delay_alu instid0(SALU_CYCLE_1)
	s_and_not1_b32 vcc_lo, exec_lo, s0
	s_cbranch_vccnz .LBB215_2130
; %bb.2129:
	global_load_b32 v1, v[12:13], off
	s_and_not1_b32 s0, s17, exec_lo
	s_wait_loadcnt 0x0
	v_cmp_neq_f32_e32 vcc_lo, 0, v1
	s_and_b32 s17, vcc_lo, exec_lo
	s_delay_alu instid0(SALU_CYCLE_1)
	s_or_b32 s17, s0, s17
.LBB215_2130:
	s_mov_b32 s0, 0
.LBB215_2131:
	s_delay_alu instid0(SALU_CYCLE_1)
	s_and_not1_b32 vcc_lo, exec_lo, s0
	s_cbranch_vccnz .LBB215_2133
; %bb.2132:
	global_load_u16 v1, v[12:13], off
	s_and_not1_b32 s0, s17, exec_lo
	s_wait_loadcnt 0x0
	v_and_b32_e32 v1, 0x7fff, v1
	s_delay_alu instid0(VALU_DEP_1) | instskip(SKIP_1) | instid1(SALU_CYCLE_1)
	v_cmp_ne_u16_e32 vcc_lo, 0, v1
	s_and_b32 s17, vcc_lo, exec_lo
	s_or_b32 s17, s0, s17
.LBB215_2133:
	s_mov_b32 s0, 0
.LBB215_2134:
	s_delay_alu instid0(SALU_CYCLE_1)
	s_and_not1_b32 vcc_lo, exec_lo, s0
	s_cbranch_vccnz .LBB215_2154
; %bb.2135:
	s_cmp_lt_i32 s19, 2
	s_cbranch_scc1 .LBB215_2139
; %bb.2136:
	s_cmp_lt_i32 s19, 3
	s_cbranch_scc1 .LBB215_2140
; %bb.2137:
	s_cmp_gt_i32 s19, 3
	s_cbranch_scc0 .LBB215_2141
; %bb.2138:
	global_load_b64 v[14:15], v[12:13], off
	s_mov_b32 s0, 0
	s_wait_loadcnt 0x0
	v_cmp_ne_u64_e64 s17, 0, v[14:15]
	s_branch .LBB215_2142
.LBB215_2139:
	s_mov_b32 s0, -1
                                        ; implicit-def: $sgpr17
	s_branch .LBB215_2148
.LBB215_2140:
	s_mov_b32 s0, -1
                                        ; implicit-def: $sgpr17
	s_branch .LBB215_2145
.LBB215_2141:
	s_mov_b32 s0, -1
                                        ; implicit-def: $sgpr17
.LBB215_2142:
	s_delay_alu instid0(SALU_CYCLE_1)
	s_and_not1_b32 vcc_lo, exec_lo, s0
	s_cbranch_vccnz .LBB215_2144
; %bb.2143:
	global_load_b32 v1, v[12:13], off
	s_and_not1_b32 s0, s17, exec_lo
	s_wait_loadcnt 0x0
	v_cmp_ne_u32_e32 vcc_lo, 0, v1
	s_and_b32 s17, vcc_lo, exec_lo
	s_delay_alu instid0(SALU_CYCLE_1)
	s_or_b32 s17, s0, s17
.LBB215_2144:
	s_mov_b32 s0, 0
.LBB215_2145:
	s_delay_alu instid0(SALU_CYCLE_1)
	s_and_not1_b32 vcc_lo, exec_lo, s0
	s_cbranch_vccnz .LBB215_2147
; %bb.2146:
	global_load_u16 v1, v[12:13], off
	s_and_not1_b32 s0, s17, exec_lo
	s_wait_loadcnt 0x0
	v_cmp_ne_u16_e32 vcc_lo, 0, v1
	s_and_b32 s17, vcc_lo, exec_lo
	s_delay_alu instid0(SALU_CYCLE_1)
	s_or_b32 s17, s0, s17
.LBB215_2147:
	s_mov_b32 s0, 0
.LBB215_2148:
	s_delay_alu instid0(SALU_CYCLE_1)
	s_and_not1_b32 vcc_lo, exec_lo, s0
	s_cbranch_vccnz .LBB215_2154
; %bb.2149:
	s_cmp_gt_i32 s19, 0
	s_mov_b32 s0, 0
	s_cbranch_scc0 .LBB215_2151
; %bb.2150:
	global_load_u8 v1, v[12:13], off
	s_wait_loadcnt 0x0
	v_cmp_ne_u16_e64 s17, 0, v1
	s_branch .LBB215_2152
.LBB215_2151:
	s_mov_b32 s0, -1
                                        ; implicit-def: $sgpr17
.LBB215_2152:
	s_delay_alu instid0(SALU_CYCLE_1)
	s_and_not1_b32 vcc_lo, exec_lo, s0
	s_cbranch_vccnz .LBB215_2154
; %bb.2153:
	global_load_u8 v1, v[12:13], off
	s_and_not1_b32 s0, s17, exec_lo
	s_wait_loadcnt 0x0
	v_cmp_ne_u16_e32 vcc_lo, 0, v1
	s_and_b32 s17, vcc_lo, exec_lo
	s_delay_alu instid0(SALU_CYCLE_1)
	s_or_b32 s17, s0, s17
.LBB215_2154:
	s_mov_b32 s20, -1
.LBB215_2155:
	s_delay_alu instid0(SALU_CYCLE_1)
	s_and_not1_b32 vcc_lo, exec_lo, s20
	s_cbranch_vccnz .LBB215_2816
; %bb.2156:
	v_mov_b32_e32 v11, 0
	s_cmp_lt_i32 s18, 11
	s_delay_alu instid0(VALU_DEP_1)
	v_add_nc_u64_e32 v[10:11], s[6:7], v[10:11]
	s_cbranch_scc1 .LBB215_2163
; %bb.2157:
	s_cmp_gt_i32 s18, 25
	s_mov_b32 s20, 0
	s_cbranch_scc0 .LBB215_2164
; %bb.2158:
	s_cmp_gt_i32 s18, 28
	s_cbranch_scc0 .LBB215_2165
; %bb.2159:
	s_cmp_gt_i32 s18, 43
	;; [unrolled: 3-line block ×3, first 2 shown]
	s_cbranch_scc0 .LBB215_2168
; %bb.2161:
	s_cmp_eq_u32 s18, 46
	s_mov_b32 s21, 0
	s_cbranch_scc0 .LBB215_2171
; %bb.2162:
	global_load_b32 v1, v[10:11], off
	s_mov_b32 s0, 0
	s_mov_b32 s7, -1
	s_wait_loadcnt 0x0
	v_and_b32_e32 v1, 0x7fff7fff, v1
	s_delay_alu instid0(VALU_DEP_1)
	v_cmp_ne_u32_e64 s6, 0, v1
	s_branch .LBB215_2173
.LBB215_2163:
	s_mov_b32 s0, -1
	s_mov_b32 s7, 0
                                        ; implicit-def: $sgpr6
	s_branch .LBB215_2221
.LBB215_2164:
	s_mov_b32 s21, -1
	s_mov_b32 s7, 0
	s_mov_b32 s0, 0
                                        ; implicit-def: $sgpr6
	s_branch .LBB215_2194
.LBB215_2165:
	s_mov_b32 s21, -1
	s_mov_b32 s7, 0
	s_mov_b32 s0, 0
                                        ; implicit-def: $sgpr6
	s_branch .LBB215_2181
.LBB215_2166:
	s_mov_b32 s21, -1
	s_mov_b32 s7, 0
	s_mov_b32 s0, 0
                                        ; implicit-def: $sgpr6
	s_branch .LBB215_2176
.LBB215_2167:
	s_mov_b32 s20, 0
	s_or_b32 s1, s1, exec_lo
	s_trap 2
	s_cbranch_execz .LBB215_2104
	s_branch .LBB215_2105
.LBB215_2168:
	s_mov_b32 s21, -1
	s_mov_b32 s7, 0
	s_mov_b32 s0, 0
	s_branch .LBB215_2172
.LBB215_2169:
	v_bfe_u32 v1, v4, 21, 1
	s_mov_b32 s51, exec_lo
	s_delay_alu instid0(VALU_DEP_1) | instskip(NEXT) | instid1(VALU_DEP_1)
	v_add3_u32 v1, v4, v1, 0x88fffff
                                        ; implicit-def: $vgpr4
	v_lshrrev_b32_e32 v1, 21, v1
	s_and_not1_saveexec_b32 s52, s52
	s_cbranch_execz .LBB215_1005
.LBB215_2170:
	v_add_f32_e32 v1, 0x42800000, v4
	s_and_not1_b32 s51, s51, exec_lo
	s_delay_alu instid0(VALU_DEP_1) | instskip(NEXT) | instid1(VALU_DEP_1)
	v_and_b32_e32 v1, 0xff, v1
	v_cmp_ne_u32_e32 vcc_lo, 0, v1
	s_and_b32 s53, vcc_lo, exec_lo
	s_delay_alu instid0(SALU_CYCLE_1)
	s_or_b32 s51, s51, s53
	s_or_b32 exec_lo, exec_lo, s52
	v_mov_b32_e32 v5, 0
	s_and_saveexec_b32 s52, s51
	s_cbranch_execnz .LBB215_1006
	s_branch .LBB215_1007
.LBB215_2171:
	s_mov_b32 s0, -1
	s_mov_b32 s7, 0
.LBB215_2172:
                                        ; implicit-def: $sgpr6
.LBB215_2173:
	s_and_b32 vcc_lo, exec_lo, s21
	s_cbranch_vccz .LBB215_2175
; %bb.2174:
	s_cmp_lg_u32 s18, 44
	s_mov_b32 s7, -1
	s_cselect_b32 s0, -1, 0
	s_or_b32 s6, s6, exec_lo
.LBB215_2175:
	s_mov_b32 s21, 0
.LBB215_2176:
	s_delay_alu instid0(SALU_CYCLE_1)
	s_and_b32 vcc_lo, exec_lo, s21
	s_cbranch_vccz .LBB215_2180
; %bb.2177:
	s_cmp_eq_u32 s18, 29
	s_cbranch_scc0 .LBB215_2179
; %bb.2178:
	global_load_b64 v[12:13], v[10:11], off
	s_mov_b32 s0, 0
	s_mov_b32 s7, -1
	s_mov_b32 s21, 0
	s_wait_loadcnt 0x0
	v_cmp_ne_u64_e64 s6, 0, v[12:13]
	s_branch .LBB215_2181
.LBB215_2179:
	s_mov_b32 s0, -1
                                        ; implicit-def: $sgpr6
.LBB215_2180:
	s_mov_b32 s21, 0
.LBB215_2181:
	s_delay_alu instid0(SALU_CYCLE_1)
	s_and_b32 vcc_lo, exec_lo, s21
	s_cbranch_vccz .LBB215_2193
; %bb.2182:
	s_cmp_lt_i32 s18, 27
	s_cbranch_scc1 .LBB215_2185
; %bb.2183:
	s_cmp_gt_i32 s18, 27
	s_cbranch_scc0 .LBB215_2186
; %bb.2184:
	global_load_b32 v1, v[10:11], off
	s_mov_b32 s7, 0
	s_wait_loadcnt 0x0
	v_cmp_ne_u32_e64 s6, 0, v1
	s_branch .LBB215_2187
.LBB215_2185:
	s_mov_b32 s7, -1
                                        ; implicit-def: $sgpr6
	s_branch .LBB215_2190
.LBB215_2186:
	s_mov_b32 s7, -1
                                        ; implicit-def: $sgpr6
.LBB215_2187:
	s_delay_alu instid0(SALU_CYCLE_1)
	s_and_not1_b32 vcc_lo, exec_lo, s7
	s_cbranch_vccnz .LBB215_2189
; %bb.2188:
	global_load_u16 v1, v[10:11], off
	s_and_not1_b32 s6, s6, exec_lo
	s_wait_loadcnt 0x0
	v_cmp_ne_u16_e32 vcc_lo, 0, v1
	s_and_b32 s7, vcc_lo, exec_lo
	s_delay_alu instid0(SALU_CYCLE_1)
	s_or_b32 s6, s6, s7
.LBB215_2189:
	s_mov_b32 s7, 0
.LBB215_2190:
	s_delay_alu instid0(SALU_CYCLE_1)
	s_and_not1_b32 vcc_lo, exec_lo, s7
	s_cbranch_vccnz .LBB215_2192
; %bb.2191:
	global_load_u8 v1, v[10:11], off
	s_and_not1_b32 s6, s6, exec_lo
	s_wait_loadcnt 0x0
	v_cmp_ne_u16_e32 vcc_lo, 0, v1
	s_and_b32 s7, vcc_lo, exec_lo
	s_delay_alu instid0(SALU_CYCLE_1)
	s_or_b32 s6, s6, s7
.LBB215_2192:
	s_mov_b32 s7, -1
.LBB215_2193:
	s_mov_b32 s21, 0
.LBB215_2194:
	s_delay_alu instid0(SALU_CYCLE_1)
	s_and_b32 vcc_lo, exec_lo, s21
	s_cbranch_vccz .LBB215_2217
; %bb.2195:
	s_cmp_gt_i32 s18, 22
	s_cbranch_scc0 .LBB215_2199
; %bb.2196:
	s_cmp_lt_i32 s18, 24
	s_cbranch_scc1 .LBB215_2200
; %bb.2197:
	s_cmp_gt_i32 s18, 24
	s_cbranch_scc0 .LBB215_2201
; %bb.2198:
	global_load_u8 v1, v[10:11], off
	s_mov_b32 s7, 0
	s_wait_loadcnt 0x0
	v_cmp_ne_u16_e64 s6, 0, v1
	s_branch .LBB215_2202
.LBB215_2199:
	s_mov_b32 s20, -1
                                        ; implicit-def: $sgpr6
	s_branch .LBB215_2208
.LBB215_2200:
	s_mov_b32 s7, -1
                                        ; implicit-def: $sgpr6
	s_branch .LBB215_2205
.LBB215_2201:
	s_mov_b32 s7, -1
                                        ; implicit-def: $sgpr6
.LBB215_2202:
	s_delay_alu instid0(SALU_CYCLE_1)
	s_and_not1_b32 vcc_lo, exec_lo, s7
	s_cbranch_vccnz .LBB215_2204
; %bb.2203:
	global_load_u8 v1, v[10:11], off
	s_and_not1_b32 s6, s6, exec_lo
	s_wait_loadcnt 0x0
	v_and_b32_e32 v1, 0x7f, v1
	s_delay_alu instid0(VALU_DEP_1) | instskip(SKIP_1) | instid1(SALU_CYCLE_1)
	v_cmp_ne_u16_e32 vcc_lo, 0, v1
	s_and_b32 s7, vcc_lo, exec_lo
	s_or_b32 s6, s6, s7
.LBB215_2204:
	s_mov_b32 s7, 0
.LBB215_2205:
	s_delay_alu instid0(SALU_CYCLE_1)
	s_and_not1_b32 vcc_lo, exec_lo, s7
	s_cbranch_vccnz .LBB215_2207
; %bb.2206:
	global_load_u8 v1, v[10:11], off
	s_and_not1_b32 s6, s6, exec_lo
	s_wait_loadcnt 0x0
	v_dual_lshlrev_b32 v3, 25, v1 :: v_dual_lshlrev_b32 v1, 8, v1
	s_delay_alu instid0(VALU_DEP_1) | instskip(NEXT) | instid1(VALU_DEP_2)
	v_cmp_gt_u32_e32 vcc_lo, 0x8000000, v3
	v_and_or_b32 v1, 0x7f00, v1, 0.5
	s_delay_alu instid0(VALU_DEP_1) | instskip(NEXT) | instid1(VALU_DEP_1)
	v_dual_lshrrev_b32 v5, 4, v3 :: v_dual_add_f32 v1, -0.5, v1
	v_or_b32_e32 v5, 0x70000000, v5
	s_delay_alu instid0(VALU_DEP_1) | instskip(NEXT) | instid1(VALU_DEP_1)
	v_mul_f32_e32 v5, 0x7800000, v5
	v_cndmask_b32_e32 v1, v5, v1, vcc_lo
	s_delay_alu instid0(VALU_DEP_1) | instskip(SKIP_1) | instid1(SALU_CYCLE_1)
	v_cmp_neq_f32_e32 vcc_lo, 0, v1
	s_and_b32 s7, vcc_lo, exec_lo
	s_or_b32 s6, s6, s7
.LBB215_2207:
	s_mov_b32 s7, -1
.LBB215_2208:
	s_and_not1_b32 vcc_lo, exec_lo, s20
	s_mov_b32 s20, 0
	s_cbranch_vccnz .LBB215_2217
; %bb.2209:
	s_cmp_gt_i32 s18, 14
	s_cbranch_scc0 .LBB215_2212
; %bb.2210:
	s_cmp_eq_u32 s18, 15
	s_cbranch_scc0 .LBB215_2213
; %bb.2211:
	global_load_u16 v1, v[10:11], off
	s_mov_b32 s0, 0
	s_mov_b32 s7, -1
	s_wait_loadcnt 0x0
	v_and_b32_e32 v1, 0x7fff, v1
	s_delay_alu instid0(VALU_DEP_1)
	v_cmp_ne_u16_e64 s6, 0, v1
	s_branch .LBB215_2215
.LBB215_2212:
	s_mov_b32 s20, -1
	s_branch .LBB215_2214
.LBB215_2213:
	s_mov_b32 s0, -1
.LBB215_2214:
                                        ; implicit-def: $sgpr6
.LBB215_2215:
	s_and_b32 vcc_lo, exec_lo, s20
	s_mov_b32 s20, 0
	s_cbranch_vccz .LBB215_2217
; %bb.2216:
	s_cmp_lg_u32 s18, 11
	s_mov_b32 s20, -1
	s_cselect_b32 s0, -1, 0
.LBB215_2217:
	s_delay_alu instid0(SALU_CYCLE_1)
	s_and_b32 vcc_lo, exec_lo, s0
	s_cbranch_vccnz .LBB215_2282
; %bb.2218:
	s_and_not1_b32 vcc_lo, exec_lo, s20
	s_cbranch_vccnz .LBB215_2220
.LBB215_2219:
	global_load_u8 v1, v[10:11], off
	s_and_not1_b32 s0, s6, exec_lo
	s_mov_b32 s7, -1
	s_wait_loadcnt 0x0
	v_cmp_ne_u16_e32 vcc_lo, 0, v1
	s_and_b32 s6, vcc_lo, exec_lo
	s_delay_alu instid0(SALU_CYCLE_1)
	s_or_b32 s6, s0, s6
.LBB215_2220:
	s_mov_b32 s0, 0
.LBB215_2221:
	s_delay_alu instid0(SALU_CYCLE_1)
	s_and_b32 vcc_lo, exec_lo, s0
	s_cbranch_vccz .LBB215_2270
; %bb.2222:
	s_cmp_lt_i32 s18, 5
	s_cbranch_scc1 .LBB215_2227
; %bb.2223:
	s_cmp_lt_i32 s18, 8
	s_cbranch_scc1 .LBB215_2228
	;; [unrolled: 3-line block ×3, first 2 shown]
; %bb.2225:
	s_cmp_gt_i32 s18, 9
	s_cbranch_scc0 .LBB215_2230
; %bb.2226:
	global_load_b128 v[12:15], v[10:11], off
	s_wait_loadcnt 0x0
	v_cmp_neq_f64_e32 vcc_lo, 0, v[12:13]
	v_cmp_neq_f64_e64 s0, 0, v[14:15]
	s_or_b32 s6, vcc_lo, s0
	s_mov_b32 s0, 0
	s_branch .LBB215_2231
.LBB215_2227:
	s_mov_b32 s0, -1
                                        ; implicit-def: $sgpr6
	s_branch .LBB215_2249
.LBB215_2228:
	s_mov_b32 s0, -1
                                        ; implicit-def: $sgpr6
	s_branch .LBB215_2237
.LBB215_2229:
	s_mov_b32 s0, -1
                                        ; implicit-def: $sgpr6
	s_branch .LBB215_2234
.LBB215_2230:
	s_mov_b32 s0, -1
                                        ; implicit-def: $sgpr6
.LBB215_2231:
	s_delay_alu instid0(SALU_CYCLE_1)
	s_and_not1_b32 vcc_lo, exec_lo, s0
	s_cbranch_vccnz .LBB215_2233
; %bb.2232:
	global_load_b64 v[12:13], v[10:11], off
	s_and_not1_b32 s0, s6, exec_lo
	s_wait_loadcnt 0x0
	v_bitop3_b32 v1, v12, 0x7fffffff, v13 bitop3:0xc8
	s_delay_alu instid0(VALU_DEP_1) | instskip(SKIP_1) | instid1(SALU_CYCLE_1)
	v_cmp_ne_u32_e32 vcc_lo, 0, v1
	s_and_b32 s6, vcc_lo, exec_lo
	s_or_b32 s6, s0, s6
.LBB215_2233:
	s_mov_b32 s0, 0
.LBB215_2234:
	s_delay_alu instid0(SALU_CYCLE_1)
	s_and_not1_b32 vcc_lo, exec_lo, s0
	s_cbranch_vccnz .LBB215_2236
; %bb.2235:
	global_load_b32 v1, v[10:11], off
	s_and_not1_b32 s0, s6, exec_lo
	s_wait_loadcnt 0x0
	v_and_b32_e32 v1, 0x7fff7fff, v1
	s_delay_alu instid0(VALU_DEP_1) | instskip(SKIP_1) | instid1(SALU_CYCLE_1)
	v_cmp_ne_u32_e32 vcc_lo, 0, v1
	s_and_b32 s6, vcc_lo, exec_lo
	s_or_b32 s6, s0, s6
.LBB215_2236:
	s_mov_b32 s0, 0
.LBB215_2237:
	s_delay_alu instid0(SALU_CYCLE_1)
	s_and_not1_b32 vcc_lo, exec_lo, s0
	s_cbranch_vccnz .LBB215_2248
; %bb.2238:
	s_cmp_lt_i32 s18, 6
	s_cbranch_scc1 .LBB215_2241
; %bb.2239:
	s_cmp_gt_i32 s18, 6
	s_cbranch_scc0 .LBB215_2242
; %bb.2240:
	global_load_b64 v[12:13], v[10:11], off
	s_mov_b32 s0, 0
	s_wait_loadcnt 0x0
	v_cmp_neq_f64_e64 s6, 0, v[12:13]
	s_branch .LBB215_2243
.LBB215_2241:
	s_mov_b32 s0, -1
                                        ; implicit-def: $sgpr6
	s_branch .LBB215_2246
.LBB215_2242:
	s_mov_b32 s0, -1
                                        ; implicit-def: $sgpr6
.LBB215_2243:
	s_delay_alu instid0(SALU_CYCLE_1)
	s_and_not1_b32 vcc_lo, exec_lo, s0
	s_cbranch_vccnz .LBB215_2245
; %bb.2244:
	global_load_b32 v1, v[10:11], off
	s_and_not1_b32 s0, s6, exec_lo
	s_wait_loadcnt 0x0
	v_cmp_neq_f32_e32 vcc_lo, 0, v1
	s_and_b32 s6, vcc_lo, exec_lo
	s_delay_alu instid0(SALU_CYCLE_1)
	s_or_b32 s6, s0, s6
.LBB215_2245:
	s_mov_b32 s0, 0
.LBB215_2246:
	s_delay_alu instid0(SALU_CYCLE_1)
	s_and_not1_b32 vcc_lo, exec_lo, s0
	s_cbranch_vccnz .LBB215_2248
; %bb.2247:
	global_load_u16 v1, v[10:11], off
	s_and_not1_b32 s0, s6, exec_lo
	s_wait_loadcnt 0x0
	v_and_b32_e32 v1, 0x7fff, v1
	s_delay_alu instid0(VALU_DEP_1) | instskip(SKIP_1) | instid1(SALU_CYCLE_1)
	v_cmp_ne_u16_e32 vcc_lo, 0, v1
	s_and_b32 s6, vcc_lo, exec_lo
	s_or_b32 s6, s0, s6
.LBB215_2248:
	s_mov_b32 s0, 0
.LBB215_2249:
	s_delay_alu instid0(SALU_CYCLE_1)
	s_and_not1_b32 vcc_lo, exec_lo, s0
	s_cbranch_vccnz .LBB215_2269
; %bb.2250:
	s_cmp_lt_i32 s18, 2
	s_cbranch_scc1 .LBB215_2254
; %bb.2251:
	s_cmp_lt_i32 s18, 3
	s_cbranch_scc1 .LBB215_2255
; %bb.2252:
	s_cmp_gt_i32 s18, 3
	s_cbranch_scc0 .LBB215_2256
; %bb.2253:
	global_load_b64 v[12:13], v[10:11], off
	s_mov_b32 s0, 0
	s_wait_loadcnt 0x0
	v_cmp_ne_u64_e64 s6, 0, v[12:13]
	s_branch .LBB215_2257
.LBB215_2254:
	s_mov_b32 s0, -1
                                        ; implicit-def: $sgpr6
	s_branch .LBB215_2263
.LBB215_2255:
	s_mov_b32 s0, -1
                                        ; implicit-def: $sgpr6
	s_branch .LBB215_2260
.LBB215_2256:
	s_mov_b32 s0, -1
                                        ; implicit-def: $sgpr6
.LBB215_2257:
	s_delay_alu instid0(SALU_CYCLE_1)
	s_and_not1_b32 vcc_lo, exec_lo, s0
	s_cbranch_vccnz .LBB215_2259
; %bb.2258:
	global_load_b32 v1, v[10:11], off
	s_and_not1_b32 s0, s6, exec_lo
	s_wait_loadcnt 0x0
	v_cmp_ne_u32_e32 vcc_lo, 0, v1
	s_and_b32 s6, vcc_lo, exec_lo
	s_delay_alu instid0(SALU_CYCLE_1)
	s_or_b32 s6, s0, s6
.LBB215_2259:
	s_mov_b32 s0, 0
.LBB215_2260:
	s_delay_alu instid0(SALU_CYCLE_1)
	s_and_not1_b32 vcc_lo, exec_lo, s0
	s_cbranch_vccnz .LBB215_2262
; %bb.2261:
	global_load_u16 v1, v[10:11], off
	s_and_not1_b32 s0, s6, exec_lo
	s_wait_loadcnt 0x0
	v_cmp_ne_u16_e32 vcc_lo, 0, v1
	s_and_b32 s6, vcc_lo, exec_lo
	s_delay_alu instid0(SALU_CYCLE_1)
	s_or_b32 s6, s0, s6
.LBB215_2262:
	s_mov_b32 s0, 0
.LBB215_2263:
	s_delay_alu instid0(SALU_CYCLE_1)
	s_and_not1_b32 vcc_lo, exec_lo, s0
	s_cbranch_vccnz .LBB215_2269
; %bb.2264:
	s_cmp_gt_i32 s18, 0
	s_mov_b32 s0, 0
	s_cbranch_scc0 .LBB215_2266
; %bb.2265:
	global_load_u8 v1, v[10:11], off
	s_wait_loadcnt 0x0
	v_cmp_ne_u16_e64 s6, 0, v1
	s_branch .LBB215_2267
.LBB215_2266:
	s_mov_b32 s0, -1
                                        ; implicit-def: $sgpr6
.LBB215_2267:
	s_delay_alu instid0(SALU_CYCLE_1)
	s_and_not1_b32 vcc_lo, exec_lo, s0
	s_cbranch_vccnz .LBB215_2269
; %bb.2268:
	global_load_u8 v1, v[10:11], off
	s_and_not1_b32 s0, s6, exec_lo
	s_wait_loadcnt 0x0
	v_cmp_ne_u16_e32 vcc_lo, 0, v1
	s_and_b32 s6, vcc_lo, exec_lo
	s_delay_alu instid0(SALU_CYCLE_1)
	s_or_b32 s6, s0, s6
.LBB215_2269:
	s_mov_b32 s7, -1
.LBB215_2270:
	s_delay_alu instid0(SALU_CYCLE_1)
	s_and_not1_b32 vcc_lo, exec_lo, s7
	s_cbranch_vccnz .LBB215_2816
; %bb.2271:
	v_mov_b32_e32 v9, 0
	s_cmp_lt_i32 s19, 11
	s_delay_alu instid0(VALU_DEP_1)
	v_add_nc_u64_e32 v[8:9], s[8:9], v[8:9]
	s_cbranch_scc1 .LBB215_2278
; %bb.2272:
	s_cmp_gt_i32 s19, 25
	s_mov_b32 s9, 0
	s_cbranch_scc0 .LBB215_2279
; %bb.2273:
	s_cmp_gt_i32 s19, 28
	s_cbranch_scc0 .LBB215_2280
; %bb.2274:
	s_cmp_gt_i32 s19, 43
	;; [unrolled: 3-line block ×3, first 2 shown]
	s_cbranch_scc0 .LBB215_2283
; %bb.2276:
	s_cmp_eq_u32 s19, 46
	s_mov_b32 s18, 0
	s_cbranch_scc0 .LBB215_2284
; %bb.2277:
	global_load_b32 v1, v[8:9], off
	s_mov_b32 s0, 0
	s_mov_b32 s7, -1
	s_wait_loadcnt 0x0
	v_and_b32_e32 v1, 0x7fff7fff, v1
	s_delay_alu instid0(VALU_DEP_1)
	v_cmp_ne_u32_e64 s8, 0, v1
	s_branch .LBB215_2286
.LBB215_2278:
	s_mov_b32 s0, -1
	s_mov_b32 s7, 0
                                        ; implicit-def: $sgpr8
	s_branch .LBB215_2334
.LBB215_2279:
	s_mov_b32 s18, -1
	s_mov_b32 s7, 0
	s_mov_b32 s0, 0
                                        ; implicit-def: $sgpr8
	s_branch .LBB215_2307
.LBB215_2280:
	s_mov_b32 s18, -1
	s_mov_b32 s7, 0
	s_mov_b32 s0, 0
                                        ; implicit-def: $sgpr8
	s_branch .LBB215_2294
.LBB215_2281:
	s_mov_b32 s18, -1
	s_mov_b32 s7, 0
	s_mov_b32 s0, 0
                                        ; implicit-def: $sgpr8
	s_branch .LBB215_2289
.LBB215_2282:
	s_mov_b32 s7, 0
	s_or_b32 s1, s1, exec_lo
	s_trap 2
	s_cbranch_execz .LBB215_2219
	s_branch .LBB215_2220
.LBB215_2283:
	s_mov_b32 s18, -1
	s_mov_b32 s7, 0
	s_mov_b32 s0, 0
	s_branch .LBB215_2285
.LBB215_2284:
	s_mov_b32 s0, -1
	s_mov_b32 s7, 0
.LBB215_2285:
                                        ; implicit-def: $sgpr8
.LBB215_2286:
	s_and_b32 vcc_lo, exec_lo, s18
	s_cbranch_vccz .LBB215_2288
; %bb.2287:
	s_cmp_lg_u32 s19, 44
	s_mov_b32 s7, -1
	s_cselect_b32 s0, -1, 0
	s_or_b32 s8, s8, exec_lo
.LBB215_2288:
	s_mov_b32 s18, 0
.LBB215_2289:
	s_delay_alu instid0(SALU_CYCLE_1)
	s_and_b32 vcc_lo, exec_lo, s18
	s_cbranch_vccz .LBB215_2293
; %bb.2290:
	s_cmp_eq_u32 s19, 29
	s_cbranch_scc0 .LBB215_2292
; %bb.2291:
	global_load_b64 v[10:11], v[8:9], off
	s_mov_b32 s0, 0
	s_mov_b32 s7, -1
	s_mov_b32 s18, 0
	s_wait_loadcnt 0x0
	v_cmp_ne_u64_e64 s8, 0, v[10:11]
	s_branch .LBB215_2294
.LBB215_2292:
	s_mov_b32 s0, -1
                                        ; implicit-def: $sgpr8
.LBB215_2293:
	s_mov_b32 s18, 0
.LBB215_2294:
	s_delay_alu instid0(SALU_CYCLE_1)
	s_and_b32 vcc_lo, exec_lo, s18
	s_cbranch_vccz .LBB215_2306
; %bb.2295:
	s_cmp_lt_i32 s19, 27
	s_cbranch_scc1 .LBB215_2298
; %bb.2296:
	s_cmp_gt_i32 s19, 27
	s_cbranch_scc0 .LBB215_2299
; %bb.2297:
	global_load_b32 v1, v[8:9], off
	s_mov_b32 s7, 0
	s_wait_loadcnt 0x0
	v_cmp_ne_u32_e64 s8, 0, v1
	s_branch .LBB215_2300
.LBB215_2298:
	s_mov_b32 s7, -1
                                        ; implicit-def: $sgpr8
	s_branch .LBB215_2303
.LBB215_2299:
	s_mov_b32 s7, -1
                                        ; implicit-def: $sgpr8
.LBB215_2300:
	s_delay_alu instid0(SALU_CYCLE_1)
	s_and_not1_b32 vcc_lo, exec_lo, s7
	s_cbranch_vccnz .LBB215_2302
; %bb.2301:
	global_load_u16 v1, v[8:9], off
	s_and_not1_b32 s7, s8, exec_lo
	s_wait_loadcnt 0x0
	v_cmp_ne_u16_e32 vcc_lo, 0, v1
	s_and_b32 s8, vcc_lo, exec_lo
	s_delay_alu instid0(SALU_CYCLE_1)
	s_or_b32 s8, s7, s8
.LBB215_2302:
	s_mov_b32 s7, 0
.LBB215_2303:
	s_delay_alu instid0(SALU_CYCLE_1)
	s_and_not1_b32 vcc_lo, exec_lo, s7
	s_cbranch_vccnz .LBB215_2305
; %bb.2304:
	global_load_u8 v1, v[8:9], off
	s_and_not1_b32 s7, s8, exec_lo
	s_wait_loadcnt 0x0
	v_cmp_ne_u16_e32 vcc_lo, 0, v1
	s_and_b32 s8, vcc_lo, exec_lo
	s_delay_alu instid0(SALU_CYCLE_1)
	s_or_b32 s8, s7, s8
.LBB215_2305:
	s_mov_b32 s7, -1
.LBB215_2306:
	s_mov_b32 s18, 0
.LBB215_2307:
	s_delay_alu instid0(SALU_CYCLE_1)
	s_and_b32 vcc_lo, exec_lo, s18
	s_cbranch_vccz .LBB215_2330
; %bb.2308:
	s_cmp_gt_i32 s19, 22
	s_cbranch_scc0 .LBB215_2312
; %bb.2309:
	s_cmp_lt_i32 s19, 24
	s_cbranch_scc1 .LBB215_2313
; %bb.2310:
	s_cmp_gt_i32 s19, 24
	s_cbranch_scc0 .LBB215_2314
; %bb.2311:
	global_load_u8 v1, v[8:9], off
	s_mov_b32 s7, 0
	s_wait_loadcnt 0x0
	v_cmp_ne_u16_e64 s8, 0, v1
	s_branch .LBB215_2315
.LBB215_2312:
	s_mov_b32 s9, -1
                                        ; implicit-def: $sgpr8
	s_branch .LBB215_2321
.LBB215_2313:
	s_mov_b32 s7, -1
                                        ; implicit-def: $sgpr8
	s_branch .LBB215_2318
.LBB215_2314:
	s_mov_b32 s7, -1
                                        ; implicit-def: $sgpr8
.LBB215_2315:
	s_delay_alu instid0(SALU_CYCLE_1)
	s_and_not1_b32 vcc_lo, exec_lo, s7
	s_cbranch_vccnz .LBB215_2317
; %bb.2316:
	global_load_u8 v1, v[8:9], off
	s_and_not1_b32 s7, s8, exec_lo
	s_wait_loadcnt 0x0
	v_and_b32_e32 v1, 0x7f, v1
	s_delay_alu instid0(VALU_DEP_1) | instskip(SKIP_1) | instid1(SALU_CYCLE_1)
	v_cmp_ne_u16_e32 vcc_lo, 0, v1
	s_and_b32 s8, vcc_lo, exec_lo
	s_or_b32 s8, s7, s8
.LBB215_2317:
	s_mov_b32 s7, 0
.LBB215_2318:
	s_delay_alu instid0(SALU_CYCLE_1)
	s_and_not1_b32 vcc_lo, exec_lo, s7
	s_cbranch_vccnz .LBB215_2320
; %bb.2319:
	global_load_u8 v1, v[8:9], off
	s_and_not1_b32 s7, s8, exec_lo
	s_wait_loadcnt 0x0
	v_dual_lshlrev_b32 v3, 25, v1 :: v_dual_lshlrev_b32 v1, 8, v1
	s_delay_alu instid0(VALU_DEP_1) | instskip(NEXT) | instid1(VALU_DEP_2)
	v_cmp_gt_u32_e32 vcc_lo, 0x8000000, v3
	v_and_or_b32 v1, 0x7f00, v1, 0.5
	s_delay_alu instid0(VALU_DEP_1) | instskip(NEXT) | instid1(VALU_DEP_1)
	v_dual_lshrrev_b32 v5, 4, v3 :: v_dual_add_f32 v1, -0.5, v1
	v_or_b32_e32 v5, 0x70000000, v5
	s_delay_alu instid0(VALU_DEP_1) | instskip(NEXT) | instid1(VALU_DEP_1)
	v_mul_f32_e32 v5, 0x7800000, v5
	v_cndmask_b32_e32 v1, v5, v1, vcc_lo
	s_delay_alu instid0(VALU_DEP_1) | instskip(SKIP_1) | instid1(SALU_CYCLE_1)
	v_cmp_neq_f32_e32 vcc_lo, 0, v1
	s_and_b32 s8, vcc_lo, exec_lo
	s_or_b32 s8, s7, s8
.LBB215_2320:
	s_mov_b32 s7, -1
.LBB215_2321:
	s_and_not1_b32 vcc_lo, exec_lo, s9
	s_mov_b32 s9, 0
	s_cbranch_vccnz .LBB215_2330
; %bb.2322:
	s_cmp_gt_i32 s19, 14
	s_cbranch_scc0 .LBB215_2325
; %bb.2323:
	s_cmp_eq_u32 s19, 15
	s_cbranch_scc0 .LBB215_2326
; %bb.2324:
	global_load_u16 v1, v[8:9], off
	s_mov_b32 s0, 0
	s_mov_b32 s7, -1
	s_wait_loadcnt 0x0
	v_and_b32_e32 v1, 0x7fff, v1
	s_delay_alu instid0(VALU_DEP_1)
	v_cmp_ne_u16_e64 s8, 0, v1
	s_branch .LBB215_2328
.LBB215_2325:
	s_mov_b32 s9, -1
	s_branch .LBB215_2327
.LBB215_2326:
	s_mov_b32 s0, -1
.LBB215_2327:
                                        ; implicit-def: $sgpr8
.LBB215_2328:
	s_and_b32 vcc_lo, exec_lo, s9
	s_mov_b32 s9, 0
	s_cbranch_vccz .LBB215_2330
; %bb.2329:
	s_cmp_lg_u32 s19, 11
	s_mov_b32 s9, -1
	s_cselect_b32 s0, -1, 0
.LBB215_2330:
	s_delay_alu instid0(SALU_CYCLE_1)
	s_and_b32 vcc_lo, exec_lo, s0
	s_cbranch_vccnz .LBB215_2862
; %bb.2331:
	s_and_not1_b32 vcc_lo, exec_lo, s9
	s_cbranch_vccnz .LBB215_2333
.LBB215_2332:
	global_load_u8 v1, v[8:9], off
	s_and_not1_b32 s0, s8, exec_lo
	s_mov_b32 s7, -1
	s_wait_loadcnt 0x0
	v_cmp_ne_u16_e32 vcc_lo, 0, v1
	s_and_b32 s8, vcc_lo, exec_lo
	s_delay_alu instid0(SALU_CYCLE_1)
	s_or_b32 s8, s0, s8
.LBB215_2333:
	s_mov_b32 s0, 0
.LBB215_2334:
	s_delay_alu instid0(SALU_CYCLE_1)
	s_and_b32 vcc_lo, exec_lo, s0
	s_cbranch_vccz .LBB215_2383
; %bb.2335:
	s_cmp_lt_i32 s19, 5
	s_cbranch_scc1 .LBB215_2340
; %bb.2336:
	s_cmp_lt_i32 s19, 8
	s_cbranch_scc1 .LBB215_2341
	;; [unrolled: 3-line block ×3, first 2 shown]
; %bb.2338:
	s_cmp_gt_i32 s19, 9
	s_cbranch_scc0 .LBB215_2343
; %bb.2339:
	global_load_b128 v[10:13], v[8:9], off
	s_wait_loadcnt 0x0
	v_cmp_neq_f64_e32 vcc_lo, 0, v[10:11]
	v_cmp_neq_f64_e64 s0, 0, v[12:13]
	s_or_b32 s8, vcc_lo, s0
	s_mov_b32 s0, 0
	s_branch .LBB215_2344
.LBB215_2340:
	s_mov_b32 s0, -1
                                        ; implicit-def: $sgpr8
	s_branch .LBB215_2362
.LBB215_2341:
	s_mov_b32 s0, -1
                                        ; implicit-def: $sgpr8
	s_branch .LBB215_2350
.LBB215_2342:
	s_mov_b32 s0, -1
                                        ; implicit-def: $sgpr8
	s_branch .LBB215_2347
.LBB215_2343:
	s_mov_b32 s0, -1
                                        ; implicit-def: $sgpr8
.LBB215_2344:
	s_delay_alu instid0(SALU_CYCLE_1)
	s_and_not1_b32 vcc_lo, exec_lo, s0
	s_cbranch_vccnz .LBB215_2346
; %bb.2345:
	global_load_b64 v[10:11], v[8:9], off
	s_and_not1_b32 s0, s8, exec_lo
	s_wait_loadcnt 0x0
	v_bitop3_b32 v1, v10, 0x7fffffff, v11 bitop3:0xc8
	s_delay_alu instid0(VALU_DEP_1) | instskip(SKIP_1) | instid1(SALU_CYCLE_1)
	v_cmp_ne_u32_e32 vcc_lo, 0, v1
	s_and_b32 s7, vcc_lo, exec_lo
	s_or_b32 s8, s0, s7
.LBB215_2346:
	s_mov_b32 s0, 0
.LBB215_2347:
	s_delay_alu instid0(SALU_CYCLE_1)
	s_and_not1_b32 vcc_lo, exec_lo, s0
	s_cbranch_vccnz .LBB215_2349
; %bb.2348:
	global_load_b32 v1, v[8:9], off
	s_and_not1_b32 s0, s8, exec_lo
	s_wait_loadcnt 0x0
	v_and_b32_e32 v1, 0x7fff7fff, v1
	s_delay_alu instid0(VALU_DEP_1) | instskip(SKIP_1) | instid1(SALU_CYCLE_1)
	v_cmp_ne_u32_e32 vcc_lo, 0, v1
	s_and_b32 s7, vcc_lo, exec_lo
	s_or_b32 s8, s0, s7
.LBB215_2349:
	s_mov_b32 s0, 0
.LBB215_2350:
	s_delay_alu instid0(SALU_CYCLE_1)
	s_and_not1_b32 vcc_lo, exec_lo, s0
	s_cbranch_vccnz .LBB215_2361
; %bb.2351:
	s_cmp_lt_i32 s19, 6
	s_cbranch_scc1 .LBB215_2354
; %bb.2352:
	s_cmp_gt_i32 s19, 6
	s_cbranch_scc0 .LBB215_2355
; %bb.2353:
	global_load_b64 v[10:11], v[8:9], off
	s_mov_b32 s0, 0
	s_wait_loadcnt 0x0
	v_cmp_neq_f64_e64 s8, 0, v[10:11]
	s_branch .LBB215_2356
.LBB215_2354:
	s_mov_b32 s0, -1
                                        ; implicit-def: $sgpr8
	s_branch .LBB215_2359
.LBB215_2355:
	s_mov_b32 s0, -1
                                        ; implicit-def: $sgpr8
.LBB215_2356:
	s_delay_alu instid0(SALU_CYCLE_1)
	s_and_not1_b32 vcc_lo, exec_lo, s0
	s_cbranch_vccnz .LBB215_2358
; %bb.2357:
	global_load_b32 v1, v[8:9], off
	s_and_not1_b32 s0, s8, exec_lo
	s_wait_loadcnt 0x0
	v_cmp_neq_f32_e32 vcc_lo, 0, v1
	s_and_b32 s7, vcc_lo, exec_lo
	s_delay_alu instid0(SALU_CYCLE_1)
	s_or_b32 s8, s0, s7
.LBB215_2358:
	s_mov_b32 s0, 0
.LBB215_2359:
	s_delay_alu instid0(SALU_CYCLE_1)
	s_and_not1_b32 vcc_lo, exec_lo, s0
	s_cbranch_vccnz .LBB215_2361
; %bb.2360:
	global_load_u16 v1, v[8:9], off
	s_and_not1_b32 s0, s8, exec_lo
	s_wait_loadcnt 0x0
	v_and_b32_e32 v1, 0x7fff, v1
	s_delay_alu instid0(VALU_DEP_1) | instskip(SKIP_1) | instid1(SALU_CYCLE_1)
	v_cmp_ne_u16_e32 vcc_lo, 0, v1
	s_and_b32 s7, vcc_lo, exec_lo
	s_or_b32 s8, s0, s7
.LBB215_2361:
	s_mov_b32 s0, 0
.LBB215_2362:
	s_delay_alu instid0(SALU_CYCLE_1)
	s_and_not1_b32 vcc_lo, exec_lo, s0
	s_cbranch_vccnz .LBB215_2382
; %bb.2363:
	s_cmp_lt_i32 s19, 2
	s_cbranch_scc1 .LBB215_2367
; %bb.2364:
	s_cmp_lt_i32 s19, 3
	s_cbranch_scc1 .LBB215_2368
; %bb.2365:
	s_cmp_gt_i32 s19, 3
	s_cbranch_scc0 .LBB215_2369
; %bb.2366:
	global_load_b64 v[10:11], v[8:9], off
	s_mov_b32 s0, 0
	s_wait_loadcnt 0x0
	v_cmp_ne_u64_e64 s8, 0, v[10:11]
	s_branch .LBB215_2370
.LBB215_2367:
	s_mov_b32 s0, -1
                                        ; implicit-def: $sgpr8
	s_branch .LBB215_2376
.LBB215_2368:
	s_mov_b32 s0, -1
                                        ; implicit-def: $sgpr8
	s_branch .LBB215_2373
.LBB215_2369:
	s_mov_b32 s0, -1
                                        ; implicit-def: $sgpr8
.LBB215_2370:
	s_delay_alu instid0(SALU_CYCLE_1)
	s_and_not1_b32 vcc_lo, exec_lo, s0
	s_cbranch_vccnz .LBB215_2372
; %bb.2371:
	global_load_b32 v1, v[8:9], off
	s_and_not1_b32 s0, s8, exec_lo
	s_wait_loadcnt 0x0
	v_cmp_ne_u32_e32 vcc_lo, 0, v1
	s_and_b32 s7, vcc_lo, exec_lo
	s_delay_alu instid0(SALU_CYCLE_1)
	s_or_b32 s8, s0, s7
.LBB215_2372:
	s_mov_b32 s0, 0
.LBB215_2373:
	s_delay_alu instid0(SALU_CYCLE_1)
	s_and_not1_b32 vcc_lo, exec_lo, s0
	s_cbranch_vccnz .LBB215_2375
; %bb.2374:
	global_load_u16 v1, v[8:9], off
	s_and_not1_b32 s0, s8, exec_lo
	s_wait_loadcnt 0x0
	v_cmp_ne_u16_e32 vcc_lo, 0, v1
	s_and_b32 s7, vcc_lo, exec_lo
	s_delay_alu instid0(SALU_CYCLE_1)
	s_or_b32 s8, s0, s7
.LBB215_2375:
	s_mov_b32 s0, 0
.LBB215_2376:
	s_delay_alu instid0(SALU_CYCLE_1)
	s_and_not1_b32 vcc_lo, exec_lo, s0
	s_cbranch_vccnz .LBB215_2382
; %bb.2377:
	s_cmp_gt_i32 s19, 0
	s_mov_b32 s0, 0
	s_cbranch_scc0 .LBB215_2379
; %bb.2378:
	global_load_u8 v1, v[8:9], off
	s_wait_loadcnt 0x0
	v_cmp_ne_u16_e64 s8, 0, v1
	s_branch .LBB215_2380
.LBB215_2379:
	s_mov_b32 s0, -1
                                        ; implicit-def: $sgpr8
.LBB215_2380:
	s_delay_alu instid0(SALU_CYCLE_1)
	s_and_not1_b32 vcc_lo, exec_lo, s0
	s_cbranch_vccnz .LBB215_2382
; %bb.2381:
	global_load_u8 v1, v[8:9], off
	s_and_not1_b32 s0, s8, exec_lo
	s_wait_loadcnt 0x0
	v_cmp_ne_u16_e32 vcc_lo, 0, v1
	s_and_b32 s7, vcc_lo, exec_lo
	s_delay_alu instid0(SALU_CYCLE_1)
	s_or_b32 s8, s0, s7
.LBB215_2382:
	s_mov_b32 s7, -1
.LBB215_2383:
	s_delay_alu instid0(SALU_CYCLE_1)
	s_and_not1_b32 vcc_lo, exec_lo, s7
	s_cbranch_vccnz .LBB215_2816
; %bb.2384:
	s_load_b64 s[2:3], s[2:3], 0x1a0
	v_mov_b32_e32 v7, 0
	s_mov_b32 s18, 0
	s_delay_alu instid0(VALU_DEP_1)
	v_add_nc_u64_e32 v[6:7], s[4:5], v[6:7]
	s_wait_kmcnt 0x0
	s_cmp_eq_u32 s2, 0
	s_cselect_b32 s2, -1, 0
	s_xor_b32 s0, s12, s14
	s_and_b32 s7, s3, 0xff
	s_xor_b32 s3, s2, s0
	s_cmp_lt_i32 s7, 11
	s_mov_b32 s0, -1
	s_cbranch_scc0 .LBB215_2387
; %bb.2385:
	s_and_b32 vcc_lo, exec_lo, s0
	s_cbranch_vccnz .LBB215_2464
.LBB215_2386:
	s_and_not1_b32 vcc_lo, exec_lo, s18
	s_cbranch_vccz .LBB215_2502
	s_branch .LBB215_2816
.LBB215_2387:
	s_and_b32 s9, 0xffff, s7
	s_mov_b32 s14, -1
	s_mov_b32 s12, 0
	s_cmp_gt_i32 s9, 25
	s_mov_b32 s0, 0
	s_cbranch_scc0 .LBB215_2420
; %bb.2388:
	s_cmp_gt_i32 s9, 28
	s_cbranch_scc0 .LBB215_2403
; %bb.2389:
	s_cmp_gt_i32 s9, 43
	;; [unrolled: 3-line block ×3, first 2 shown]
	s_cbranch_scc0 .LBB215_2393
; %bb.2391:
	s_mov_b32 s0, -1
	s_mov_b32 s14, 0
	s_cmp_eq_u32 s9, 46
	s_cbranch_scc0 .LBB215_2393
; %bb.2392:
	v_cndmask_b32_e64 v1, 0, 1.0, s3
	s_mov_b32 s0, 0
	s_mov_b32 s18, -1
	s_delay_alu instid0(VALU_DEP_1) | instskip(NEXT) | instid1(VALU_DEP_1)
	v_bfe_u32 v3, v1, 16, 1
	v_add3_u32 v1, v1, v3, 0x7fff
	s_delay_alu instid0(VALU_DEP_1)
	v_lshrrev_b32_e32 v1, 16, v1
	global_store_b32 v[6:7], v1, off
.LBB215_2393:
	s_and_b32 vcc_lo, exec_lo, s14
	s_cbranch_vccz .LBB215_2398
; %bb.2394:
	s_cmp_eq_u32 s9, 44
	s_mov_b32 s0, -1
	s_cbranch_scc0 .LBB215_2398
; %bb.2395:
	v_cndmask_b32_e64 v5, 0, 1.0, s3
	v_mov_b32_e32 v3, 0xff
	s_mov_b32 s14, exec_lo
	s_wait_xcnt 0x0
	s_delay_alu instid0(VALU_DEP_2) | instskip(NEXT) | instid1(VALU_DEP_1)
	v_lshrrev_b32_e32 v1, 23, v5
	v_cmpx_ne_u32_e32 0xff, v1
; %bb.2396:
	v_and_b32_e32 v3, 0x400000, v5
	v_and_or_b32 v5, 0x3fffff, v5, v1
	s_delay_alu instid0(VALU_DEP_2) | instskip(NEXT) | instid1(VALU_DEP_2)
	v_cmp_ne_u32_e32 vcc_lo, 0, v3
	v_cmp_ne_u32_e64 s0, 0, v5
	s_and_b32 s0, vcc_lo, s0
	s_delay_alu instid0(SALU_CYCLE_1) | instskip(NEXT) | instid1(VALU_DEP_1)
	v_cndmask_b32_e64 v3, 0, 1, s0
	v_add_nc_u32_e32 v3, v1, v3
; %bb.2397:
	s_or_b32 exec_lo, exec_lo, s14
	s_mov_b32 s0, 0
	s_mov_b32 s18, -1
	global_store_b8 v[6:7], v3, off
.LBB215_2398:
	s_mov_b32 s14, 0
.LBB215_2399:
	s_delay_alu instid0(SALU_CYCLE_1)
	s_and_b32 vcc_lo, exec_lo, s14
	s_cbranch_vccz .LBB215_2402
; %bb.2400:
	s_cmp_eq_u32 s9, 29
	s_mov_b32 s0, -1
	s_cbranch_scc0 .LBB215_2402
; %bb.2401:
	s_mov_b32 s0, 0
	v_cndmask_b32_e64 v8, 0, 1, s3
	v_mov_b32_e32 v9, s0
	s_mov_b32 s18, -1
	global_store_b64 v[6:7], v[8:9], off
.LBB215_2402:
	s_mov_b32 s14, 0
.LBB215_2403:
	s_delay_alu instid0(SALU_CYCLE_1)
	s_and_b32 vcc_lo, exec_lo, s14
	s_cbranch_vccz .LBB215_2419
; %bb.2404:
	s_cmp_lt_i32 s9, 27
	s_mov_b32 s14, -1
	s_cbranch_scc1 .LBB215_2410
; %bb.2405:
	s_cmp_gt_i32 s9, 27
	s_cbranch_scc0 .LBB215_2407
; %bb.2406:
	s_wait_xcnt 0x0
	v_cndmask_b32_e64 v1, 0, 1, s3
	s_mov_b32 s14, 0
	global_store_b32 v[6:7], v1, off
.LBB215_2407:
	s_and_not1_b32 vcc_lo, exec_lo, s14
	s_cbranch_vccnz .LBB215_2409
; %bb.2408:
	s_wait_xcnt 0x0
	v_cndmask_b32_e64 v1, 0, 1, s3
	global_store_b16 v[6:7], v1, off
.LBB215_2409:
	s_mov_b32 s14, 0
.LBB215_2410:
	s_delay_alu instid0(SALU_CYCLE_1)
	s_and_not1_b32 vcc_lo, exec_lo, s14
	s_cbranch_vccnz .LBB215_2418
; %bb.2411:
	s_wait_xcnt 0x0
	v_cndmask_b32_e64 v3, 0, 1.0, s3
	v_mov_b32_e32 v5, 0x80
	s_mov_b32 s14, exec_lo
	s_delay_alu instid0(VALU_DEP_2)
	v_cmpx_gt_u32_e32 0x43800000, v3
	s_cbranch_execz .LBB215_2417
; %bb.2412:
	s_mov_b32 s18, 0
	s_mov_b32 s19, exec_lo
                                        ; implicit-def: $vgpr1
	v_cmpx_lt_u32_e32 0x3bffffff, v3
	s_xor_b32 s19, exec_lo, s19
	s_cbranch_execnz .LBB215_2864
; %bb.2413:
	s_and_not1_saveexec_b32 s19, s19
	s_cbranch_execnz .LBB215_2865
.LBB215_2414:
	s_or_b32 exec_lo, exec_lo, s19
	v_mov_b32_e32 v5, 0
	s_and_saveexec_b32 s19, s18
.LBB215_2415:
	v_mov_b32_e32 v5, v1
.LBB215_2416:
	s_or_b32 exec_lo, exec_lo, s19
.LBB215_2417:
	s_delay_alu instid0(SALU_CYCLE_1)
	s_or_b32 exec_lo, exec_lo, s14
	global_store_b8 v[6:7], v5, off
.LBB215_2418:
	s_mov_b32 s18, -1
.LBB215_2419:
	s_mov_b32 s14, 0
.LBB215_2420:
	s_delay_alu instid0(SALU_CYCLE_1)
	s_and_b32 vcc_lo, exec_lo, s14
	s_cbranch_vccz .LBB215_2460
; %bb.2421:
	s_cmp_gt_i32 s9, 22
	s_mov_b32 s12, -1
	s_cbranch_scc0 .LBB215_2453
; %bb.2422:
	s_cmp_lt_i32 s9, 24
	s_cbranch_scc1 .LBB215_2442
; %bb.2423:
	s_cmp_gt_i32 s9, 24
	s_cbranch_scc0 .LBB215_2431
; %bb.2424:
	s_wait_xcnt 0x0
	v_cndmask_b32_e64 v3, 0, 1.0, s3
	v_mov_b32_e32 v5, 0x80
	s_mov_b32 s12, exec_lo
	s_delay_alu instid0(VALU_DEP_2)
	v_cmpx_gt_u32_e32 0x47800000, v3
	s_cbranch_execz .LBB215_2430
; %bb.2425:
	s_mov_b32 s14, 0
	s_mov_b32 s18, exec_lo
                                        ; implicit-def: $vgpr1
	v_cmpx_lt_u32_e32 0x37ffffff, v3
	s_xor_b32 s18, exec_lo, s18
	s_cbranch_execnz .LBB215_2867
; %bb.2426:
	s_and_not1_saveexec_b32 s18, s18
	s_cbranch_execnz .LBB215_2868
.LBB215_2427:
	s_or_b32 exec_lo, exec_lo, s18
	v_mov_b32_e32 v5, 0
	s_and_saveexec_b32 s18, s14
.LBB215_2428:
	v_mov_b32_e32 v5, v1
.LBB215_2429:
	s_or_b32 exec_lo, exec_lo, s18
.LBB215_2430:
	s_delay_alu instid0(SALU_CYCLE_1)
	s_or_b32 exec_lo, exec_lo, s12
	s_mov_b32 s12, 0
	global_store_b8 v[6:7], v5, off
.LBB215_2431:
	s_and_b32 vcc_lo, exec_lo, s12
	s_cbranch_vccz .LBB215_2441
; %bb.2432:
	s_wait_xcnt 0x0
	v_cndmask_b32_e64 v3, 0, 1.0, s3
	s_mov_b32 s12, exec_lo
                                        ; implicit-def: $vgpr1
	s_delay_alu instid0(VALU_DEP_1)
	v_cmpx_gt_u32_e32 0x43f00000, v3
	s_xor_b32 s12, exec_lo, s12
	s_cbranch_execz .LBB215_2438
; %bb.2433:
	s_mov_b32 s14, exec_lo
                                        ; implicit-def: $vgpr1
	v_cmpx_lt_u32_e32 0x3c7fffff, v3
	s_xor_b32 s14, exec_lo, s14
; %bb.2434:
	v_bfe_u32 v1, v3, 20, 1
	s_delay_alu instid0(VALU_DEP_1) | instskip(NEXT) | instid1(VALU_DEP_1)
	v_add3_u32 v1, v3, v1, 0x407ffff
	v_and_b32_e32 v3, 0xff00000, v1
	v_lshrrev_b32_e32 v1, 20, v1
	s_delay_alu instid0(VALU_DEP_2) | instskip(NEXT) | instid1(VALU_DEP_2)
	v_cmp_ne_u32_e32 vcc_lo, 0x7f00000, v3
                                        ; implicit-def: $vgpr3
	v_cndmask_b32_e32 v1, 0x7e, v1, vcc_lo
; %bb.2435:
	s_and_not1_saveexec_b32 s14, s14
; %bb.2436:
	v_add_f32_e32 v1, 0x46800000, v3
; %bb.2437:
	s_or_b32 exec_lo, exec_lo, s14
                                        ; implicit-def: $vgpr3
.LBB215_2438:
	s_and_not1_saveexec_b32 s12, s12
; %bb.2439:
	v_mov_b32_e32 v1, 0x7f
	v_cmp_lt_u32_e32 vcc_lo, 0x7f800000, v3
	s_delay_alu instid0(VALU_DEP_2)
	v_cndmask_b32_e32 v1, 0x7e, v1, vcc_lo
; %bb.2440:
	s_or_b32 exec_lo, exec_lo, s12
	global_store_b8 v[6:7], v1, off
.LBB215_2441:
	s_mov_b32 s12, 0
.LBB215_2442:
	s_delay_alu instid0(SALU_CYCLE_1)
	s_and_not1_b32 vcc_lo, exec_lo, s12
	s_cbranch_vccnz .LBB215_2452
; %bb.2443:
	s_wait_xcnt 0x0
	v_cndmask_b32_e64 v3, 0, 1.0, s3
	s_mov_b32 s12, exec_lo
                                        ; implicit-def: $vgpr1
	s_delay_alu instid0(VALU_DEP_1)
	v_cmpx_gt_u32_e32 0x47800000, v3
	s_xor_b32 s12, exec_lo, s12
	s_cbranch_execz .LBB215_2449
; %bb.2444:
	s_mov_b32 s14, exec_lo
                                        ; implicit-def: $vgpr1
	v_cmpx_lt_u32_e32 0x387fffff, v3
	s_xor_b32 s14, exec_lo, s14
; %bb.2445:
	v_bfe_u32 v1, v3, 21, 1
	s_delay_alu instid0(VALU_DEP_1) | instskip(NEXT) | instid1(VALU_DEP_1)
	v_add3_u32 v1, v3, v1, 0x80fffff
                                        ; implicit-def: $vgpr3
	v_lshrrev_b32_e32 v1, 21, v1
; %bb.2446:
	s_and_not1_saveexec_b32 s14, s14
; %bb.2447:
	v_add_f32_e32 v1, 0x43000000, v3
; %bb.2448:
	s_or_b32 exec_lo, exec_lo, s14
                                        ; implicit-def: $vgpr3
.LBB215_2449:
	s_and_not1_saveexec_b32 s12, s12
; %bb.2450:
	v_mov_b32_e32 v1, 0x7f
	v_cmp_lt_u32_e32 vcc_lo, 0x7f800000, v3
	s_delay_alu instid0(VALU_DEP_2)
	v_cndmask_b32_e32 v1, 0x7c, v1, vcc_lo
; %bb.2451:
	s_or_b32 exec_lo, exec_lo, s12
	global_store_b8 v[6:7], v1, off
.LBB215_2452:
	s_mov_b32 s12, 0
	s_mov_b32 s18, -1
.LBB215_2453:
	s_and_not1_b32 vcc_lo, exec_lo, s12
	s_mov_b32 s12, 0
	s_cbranch_vccnz .LBB215_2460
; %bb.2454:
	s_cmp_gt_i32 s9, 14
	s_mov_b32 s12, -1
	s_cbranch_scc0 .LBB215_2458
; %bb.2455:
	s_cmp_eq_u32 s9, 15
	s_mov_b32 s0, -1
	s_cbranch_scc0 .LBB215_2457
; %bb.2456:
	s_wait_xcnt 0x0
	v_cndmask_b32_e64 v1, 0, 1.0, s3
	s_mov_b32 s0, 0
	s_mov_b32 s18, -1
	s_delay_alu instid0(VALU_DEP_1) | instskip(NEXT) | instid1(VALU_DEP_1)
	v_bfe_u32 v3, v1, 16, 1
	v_add3_u32 v1, v1, v3, 0x7fff
	global_store_d16_hi_b16 v[6:7], v1, off
.LBB215_2457:
	s_mov_b32 s12, 0
.LBB215_2458:
	s_delay_alu instid0(SALU_CYCLE_1)
	s_and_b32 vcc_lo, exec_lo, s12
	s_mov_b32 s12, 0
	s_cbranch_vccz .LBB215_2460
; %bb.2459:
	s_cmp_lg_u32 s9, 11
	s_mov_b32 s12, -1
	s_cselect_b32 s0, -1, 0
.LBB215_2460:
	s_delay_alu instid0(SALU_CYCLE_1)
	s_and_b32 vcc_lo, exec_lo, s0
	s_cbranch_vccnz .LBB215_2863
; %bb.2461:
	s_and_not1_b32 vcc_lo, exec_lo, s12
	s_cbranch_vccnz .LBB215_2463
.LBB215_2462:
	s_wait_xcnt 0x0
	v_cndmask_b32_e64 v1, 0, 1, s3
	s_mov_b32 s18, -1
	global_store_b8 v[6:7], v1, off
.LBB215_2463:
	s_branch .LBB215_2386
.LBB215_2464:
	s_and_b32 s0, 0xffff, s7
	s_mov_b32 s9, -1
	s_cmp_lt_i32 s0, 5
	s_cbranch_scc1 .LBB215_2485
; %bb.2465:
	s_cmp_lt_i32 s0, 8
	s_cbranch_scc1 .LBB215_2475
; %bb.2466:
	;; [unrolled: 3-line block ×3, first 2 shown]
	s_cmp_gt_i32 s0, 9
	s_cbranch_scc0 .LBB215_2469
; %bb.2468:
	s_wait_xcnt 0x0
	v_cndmask_b32_e64 v1, 0, 1, s3
	v_mov_b32_e32 v10, 0
	s_mov_b32 s9, 0
	s_delay_alu instid0(VALU_DEP_2) | instskip(NEXT) | instid1(VALU_DEP_2)
	v_cvt_f64_u32_e32 v[8:9], v1
	v_mov_b32_e32 v11, v10
	global_store_b128 v[6:7], v[8:11], off
.LBB215_2469:
	s_and_not1_b32 vcc_lo, exec_lo, s9
	s_cbranch_vccnz .LBB215_2471
; %bb.2470:
	s_wait_xcnt 0x0
	v_cndmask_b32_e64 v8, 0, 1.0, s3
	v_mov_b32_e32 v9, 0
	global_store_b64 v[6:7], v[8:9], off
.LBB215_2471:
	s_mov_b32 s9, 0
.LBB215_2472:
	s_delay_alu instid0(SALU_CYCLE_1)
	s_and_not1_b32 vcc_lo, exec_lo, s9
	s_cbranch_vccnz .LBB215_2474
; %bb.2473:
	s_wait_xcnt 0x0
	v_cndmask_b32_e64 v1, 0, 1.0, s3
	s_delay_alu instid0(VALU_DEP_1) | instskip(NEXT) | instid1(VALU_DEP_1)
	v_cvt_f16_f32_e32 v1, v1
	v_and_b32_e32 v1, 0xffff, v1
	global_store_b32 v[6:7], v1, off
.LBB215_2474:
	s_mov_b32 s9, 0
.LBB215_2475:
	s_delay_alu instid0(SALU_CYCLE_1)
	s_and_not1_b32 vcc_lo, exec_lo, s9
	s_cbranch_vccnz .LBB215_2484
; %bb.2476:
	s_cmp_lt_i32 s0, 6
	s_mov_b32 s9, -1
	s_cbranch_scc1 .LBB215_2482
; %bb.2477:
	s_cmp_gt_i32 s0, 6
	s_cbranch_scc0 .LBB215_2479
; %bb.2478:
	s_wait_xcnt 0x0
	v_cndmask_b32_e64 v1, 0, 1, s3
	s_mov_b32 s9, 0
	s_delay_alu instid0(VALU_DEP_1)
	v_cvt_f64_u32_e32 v[8:9], v1
	global_store_b64 v[6:7], v[8:9], off
.LBB215_2479:
	s_and_not1_b32 vcc_lo, exec_lo, s9
	s_cbranch_vccnz .LBB215_2481
; %bb.2480:
	s_wait_xcnt 0x0
	v_cndmask_b32_e64 v1, 0, 1.0, s3
	global_store_b32 v[6:7], v1, off
.LBB215_2481:
	s_mov_b32 s9, 0
.LBB215_2482:
	s_delay_alu instid0(SALU_CYCLE_1)
	s_and_not1_b32 vcc_lo, exec_lo, s9
	s_cbranch_vccnz .LBB215_2484
; %bb.2483:
	s_wait_xcnt 0x0
	v_cndmask_b32_e64 v1, 0, 1.0, s3
	s_delay_alu instid0(VALU_DEP_1)
	v_cvt_f16_f32_e32 v1, v1
	global_store_b16 v[6:7], v1, off
.LBB215_2484:
	s_mov_b32 s9, 0
.LBB215_2485:
	s_delay_alu instid0(SALU_CYCLE_1)
	s_and_not1_b32 vcc_lo, exec_lo, s9
	s_cbranch_vccnz .LBB215_2501
; %bb.2486:
	s_cmp_lt_i32 s0, 2
	s_mov_b32 s9, -1
	s_cbranch_scc1 .LBB215_2496
; %bb.2487:
	s_cmp_lt_i32 s0, 3
	s_cbranch_scc1 .LBB215_2493
; %bb.2488:
	s_cmp_gt_i32 s0, 3
	s_cbranch_scc0 .LBB215_2490
; %bb.2489:
	s_mov_b32 s9, 0
	s_wait_xcnt 0x0
	v_cndmask_b32_e64 v8, 0, 1, s3
	v_mov_b32_e32 v9, s9
	global_store_b64 v[6:7], v[8:9], off
.LBB215_2490:
	s_and_not1_b32 vcc_lo, exec_lo, s9
	s_cbranch_vccnz .LBB215_2492
; %bb.2491:
	s_wait_xcnt 0x0
	v_cndmask_b32_e64 v1, 0, 1, s3
	global_store_b32 v[6:7], v1, off
.LBB215_2492:
	s_mov_b32 s9, 0
.LBB215_2493:
	s_delay_alu instid0(SALU_CYCLE_1)
	s_and_not1_b32 vcc_lo, exec_lo, s9
	s_cbranch_vccnz .LBB215_2495
; %bb.2494:
	s_wait_xcnt 0x0
	v_cndmask_b32_e64 v1, 0, 1, s3
	global_store_b16 v[6:7], v1, off
.LBB215_2495:
	s_mov_b32 s9, 0
.LBB215_2496:
	s_delay_alu instid0(SALU_CYCLE_1)
	s_and_not1_b32 vcc_lo, exec_lo, s9
	s_cbranch_vccnz .LBB215_2501
; %bb.2497:
	s_wait_xcnt 0x0
	v_cndmask_b32_e64 v1, 0, 1, s3
	s_cmp_gt_i32 s0, 0
	s_mov_b32 s0, -1
	s_cbranch_scc0 .LBB215_2499
; %bb.2498:
	s_mov_b32 s0, 0
	global_store_b8 v[6:7], v1, off
.LBB215_2499:
	s_and_not1_b32 vcc_lo, exec_lo, s0
	s_cbranch_vccnz .LBB215_2501
; %bb.2500:
	global_store_b8 v[6:7], v1, off
.LBB215_2501:
.LBB215_2502:
	s_wait_xcnt 0x0
	v_mov_b32_e32 v5, 0
	s_xor_b32 s0, s13, s16
	s_and_b32 s3, 0xffff, s7
	s_xor_b32 s9, s2, s0
	s_cmp_lt_i32 s3, 11
	v_add_nc_u64_e32 v[4:5], s[4:5], v[4:5]
	s_cbranch_scc1 .LBB215_2580
; %bb.2503:
	s_mov_b32 s14, -1
	s_mov_b32 s12, 0
	s_cmp_gt_i32 s3, 25
	s_mov_b32 s13, 0
	s_mov_b32 s0, 0
	s_cbranch_scc0 .LBB215_2536
; %bb.2504:
	s_cmp_gt_i32 s3, 28
	s_cbranch_scc0 .LBB215_2519
; %bb.2505:
	s_cmp_gt_i32 s3, 43
	s_cbranch_scc0 .LBB215_2515
; %bb.2506:
	s_cmp_gt_i32 s3, 45
	s_cbranch_scc0 .LBB215_2509
; %bb.2507:
	s_mov_b32 s0, -1
	s_mov_b32 s14, 0
	s_cmp_eq_u32 s3, 46
	s_cbranch_scc0 .LBB215_2509
; %bb.2508:
	v_cndmask_b32_e64 v1, 0, 1.0, s9
	s_mov_b32 s0, 0
	s_mov_b32 s13, -1
	s_delay_alu instid0(VALU_DEP_1) | instskip(NEXT) | instid1(VALU_DEP_1)
	v_bfe_u32 v3, v1, 16, 1
	v_add3_u32 v1, v1, v3, 0x7fff
	s_delay_alu instid0(VALU_DEP_1)
	v_lshrrev_b32_e32 v1, 16, v1
	global_store_b32 v[4:5], v1, off
.LBB215_2509:
	s_and_b32 vcc_lo, exec_lo, s14
	s_cbranch_vccz .LBB215_2514
; %bb.2510:
	s_cmp_eq_u32 s3, 44
	s_mov_b32 s0, -1
	s_cbranch_scc0 .LBB215_2514
; %bb.2511:
	v_cndmask_b32_e64 v6, 0, 1.0, s9
	v_mov_b32_e32 v3, 0xff
	s_mov_b32 s13, exec_lo
	s_wait_xcnt 0x0
	s_delay_alu instid0(VALU_DEP_2) | instskip(NEXT) | instid1(VALU_DEP_1)
	v_lshrrev_b32_e32 v1, 23, v6
	v_cmpx_ne_u32_e32 0xff, v1
; %bb.2512:
	v_and_b32_e32 v3, 0x400000, v6
	v_and_or_b32 v6, 0x3fffff, v6, v1
	s_delay_alu instid0(VALU_DEP_2) | instskip(NEXT) | instid1(VALU_DEP_2)
	v_cmp_ne_u32_e32 vcc_lo, 0, v3
	v_cmp_ne_u32_e64 s0, 0, v6
	s_and_b32 s0, vcc_lo, s0
	s_delay_alu instid0(SALU_CYCLE_1) | instskip(NEXT) | instid1(VALU_DEP_1)
	v_cndmask_b32_e64 v3, 0, 1, s0
	v_add_nc_u32_e32 v3, v1, v3
; %bb.2513:
	s_or_b32 exec_lo, exec_lo, s13
	s_mov_b32 s0, 0
	s_mov_b32 s13, -1
	global_store_b8 v[4:5], v3, off
.LBB215_2514:
	s_mov_b32 s14, 0
.LBB215_2515:
	s_delay_alu instid0(SALU_CYCLE_1)
	s_and_b32 vcc_lo, exec_lo, s14
	s_cbranch_vccz .LBB215_2518
; %bb.2516:
	s_cmp_eq_u32 s3, 29
	s_mov_b32 s0, -1
	s_cbranch_scc0 .LBB215_2518
; %bb.2517:
	s_mov_b32 s0, 0
	v_cndmask_b32_e64 v6, 0, 1, s9
	v_mov_b32_e32 v7, s0
	s_mov_b32 s13, -1
	global_store_b64 v[4:5], v[6:7], off
.LBB215_2518:
	s_mov_b32 s14, 0
.LBB215_2519:
	s_delay_alu instid0(SALU_CYCLE_1)
	s_and_b32 vcc_lo, exec_lo, s14
	s_cbranch_vccz .LBB215_2535
; %bb.2520:
	s_cmp_lt_i32 s3, 27
	s_mov_b32 s13, -1
	s_cbranch_scc1 .LBB215_2526
; %bb.2521:
	s_cmp_gt_i32 s3, 27
	s_cbranch_scc0 .LBB215_2523
; %bb.2522:
	s_wait_xcnt 0x0
	v_cndmask_b32_e64 v1, 0, 1, s9
	s_mov_b32 s13, 0
	global_store_b32 v[4:5], v1, off
.LBB215_2523:
	s_and_not1_b32 vcc_lo, exec_lo, s13
	s_cbranch_vccnz .LBB215_2525
; %bb.2524:
	s_wait_xcnt 0x0
	v_cndmask_b32_e64 v1, 0, 1, s9
	global_store_b16 v[4:5], v1, off
.LBB215_2525:
	s_mov_b32 s13, 0
.LBB215_2526:
	s_delay_alu instid0(SALU_CYCLE_1)
	s_and_not1_b32 vcc_lo, exec_lo, s13
	s_cbranch_vccnz .LBB215_2534
; %bb.2527:
	s_wait_xcnt 0x0
	v_cndmask_b32_e64 v3, 0, 1.0, s9
	v_mov_b32_e32 v6, 0x80
	s_mov_b32 s13, exec_lo
	s_delay_alu instid0(VALU_DEP_2)
	v_cmpx_gt_u32_e32 0x43800000, v3
	s_cbranch_execz .LBB215_2533
; %bb.2528:
	s_mov_b32 s14, 0
	s_mov_b32 s16, exec_lo
                                        ; implicit-def: $vgpr1
	v_cmpx_lt_u32_e32 0x3bffffff, v3
	s_xor_b32 s16, exec_lo, s16
	s_cbranch_execnz .LBB215_2869
; %bb.2529:
	s_and_not1_saveexec_b32 s16, s16
	s_cbranch_execnz .LBB215_2870
.LBB215_2530:
	s_or_b32 exec_lo, exec_lo, s16
	v_mov_b32_e32 v6, 0
	s_and_saveexec_b32 s16, s14
.LBB215_2531:
	v_mov_b32_e32 v6, v1
.LBB215_2532:
	s_or_b32 exec_lo, exec_lo, s16
.LBB215_2533:
	s_delay_alu instid0(SALU_CYCLE_1)
	s_or_b32 exec_lo, exec_lo, s13
	global_store_b8 v[4:5], v6, off
.LBB215_2534:
	s_mov_b32 s13, -1
.LBB215_2535:
	s_mov_b32 s14, 0
.LBB215_2536:
	s_delay_alu instid0(SALU_CYCLE_1)
	s_and_b32 vcc_lo, exec_lo, s14
	s_cbranch_vccz .LBB215_2576
; %bb.2537:
	s_cmp_gt_i32 s3, 22
	s_mov_b32 s12, -1
	s_cbranch_scc0 .LBB215_2569
; %bb.2538:
	s_cmp_lt_i32 s3, 24
	s_cbranch_scc1 .LBB215_2558
; %bb.2539:
	s_cmp_gt_i32 s3, 24
	s_cbranch_scc0 .LBB215_2547
; %bb.2540:
	s_wait_xcnt 0x0
	v_cndmask_b32_e64 v3, 0, 1.0, s9
	v_mov_b32_e32 v6, 0x80
	s_mov_b32 s12, exec_lo
	s_delay_alu instid0(VALU_DEP_2)
	v_cmpx_gt_u32_e32 0x47800000, v3
	s_cbranch_execz .LBB215_2546
; %bb.2541:
	s_mov_b32 s13, 0
	s_mov_b32 s14, exec_lo
                                        ; implicit-def: $vgpr1
	v_cmpx_lt_u32_e32 0x37ffffff, v3
	s_xor_b32 s14, exec_lo, s14
	s_cbranch_execnz .LBB215_2872
; %bb.2542:
	s_and_not1_saveexec_b32 s14, s14
	s_cbranch_execnz .LBB215_2873
.LBB215_2543:
	s_or_b32 exec_lo, exec_lo, s14
	v_mov_b32_e32 v6, 0
	s_and_saveexec_b32 s14, s13
.LBB215_2544:
	v_mov_b32_e32 v6, v1
.LBB215_2545:
	s_or_b32 exec_lo, exec_lo, s14
.LBB215_2546:
	s_delay_alu instid0(SALU_CYCLE_1)
	s_or_b32 exec_lo, exec_lo, s12
	s_mov_b32 s12, 0
	global_store_b8 v[4:5], v6, off
.LBB215_2547:
	s_and_b32 vcc_lo, exec_lo, s12
	s_cbranch_vccz .LBB215_2557
; %bb.2548:
	s_wait_xcnt 0x0
	v_cndmask_b32_e64 v3, 0, 1.0, s9
	s_mov_b32 s12, exec_lo
                                        ; implicit-def: $vgpr1
	s_delay_alu instid0(VALU_DEP_1)
	v_cmpx_gt_u32_e32 0x43f00000, v3
	s_xor_b32 s12, exec_lo, s12
	s_cbranch_execz .LBB215_2554
; %bb.2549:
	s_mov_b32 s13, exec_lo
                                        ; implicit-def: $vgpr1
	v_cmpx_lt_u32_e32 0x3c7fffff, v3
	s_xor_b32 s13, exec_lo, s13
; %bb.2550:
	v_bfe_u32 v1, v3, 20, 1
	s_delay_alu instid0(VALU_DEP_1) | instskip(NEXT) | instid1(VALU_DEP_1)
	v_add3_u32 v1, v3, v1, 0x407ffff
	v_and_b32_e32 v3, 0xff00000, v1
	v_lshrrev_b32_e32 v1, 20, v1
	s_delay_alu instid0(VALU_DEP_2) | instskip(NEXT) | instid1(VALU_DEP_2)
	v_cmp_ne_u32_e32 vcc_lo, 0x7f00000, v3
                                        ; implicit-def: $vgpr3
	v_cndmask_b32_e32 v1, 0x7e, v1, vcc_lo
; %bb.2551:
	s_and_not1_saveexec_b32 s13, s13
; %bb.2552:
	v_add_f32_e32 v1, 0x46800000, v3
; %bb.2553:
	s_or_b32 exec_lo, exec_lo, s13
                                        ; implicit-def: $vgpr3
.LBB215_2554:
	s_and_not1_saveexec_b32 s12, s12
; %bb.2555:
	v_mov_b32_e32 v1, 0x7f
	v_cmp_lt_u32_e32 vcc_lo, 0x7f800000, v3
	s_delay_alu instid0(VALU_DEP_2)
	v_cndmask_b32_e32 v1, 0x7e, v1, vcc_lo
; %bb.2556:
	s_or_b32 exec_lo, exec_lo, s12
	global_store_b8 v[4:5], v1, off
.LBB215_2557:
	s_mov_b32 s12, 0
.LBB215_2558:
	s_delay_alu instid0(SALU_CYCLE_1)
	s_and_not1_b32 vcc_lo, exec_lo, s12
	s_cbranch_vccnz .LBB215_2568
; %bb.2559:
	s_wait_xcnt 0x0
	v_cndmask_b32_e64 v3, 0, 1.0, s9
	s_mov_b32 s12, exec_lo
                                        ; implicit-def: $vgpr1
	s_delay_alu instid0(VALU_DEP_1)
	v_cmpx_gt_u32_e32 0x47800000, v3
	s_xor_b32 s12, exec_lo, s12
	s_cbranch_execz .LBB215_2565
; %bb.2560:
	s_mov_b32 s13, exec_lo
                                        ; implicit-def: $vgpr1
	v_cmpx_lt_u32_e32 0x387fffff, v3
	s_xor_b32 s13, exec_lo, s13
; %bb.2561:
	v_bfe_u32 v1, v3, 21, 1
	s_delay_alu instid0(VALU_DEP_1) | instskip(NEXT) | instid1(VALU_DEP_1)
	v_add3_u32 v1, v3, v1, 0x80fffff
                                        ; implicit-def: $vgpr3
	v_lshrrev_b32_e32 v1, 21, v1
; %bb.2562:
	s_and_not1_saveexec_b32 s13, s13
; %bb.2563:
	v_add_f32_e32 v1, 0x43000000, v3
; %bb.2564:
	s_or_b32 exec_lo, exec_lo, s13
                                        ; implicit-def: $vgpr3
.LBB215_2565:
	s_and_not1_saveexec_b32 s12, s12
; %bb.2566:
	v_mov_b32_e32 v1, 0x7f
	v_cmp_lt_u32_e32 vcc_lo, 0x7f800000, v3
	s_delay_alu instid0(VALU_DEP_2)
	v_cndmask_b32_e32 v1, 0x7c, v1, vcc_lo
; %bb.2567:
	s_or_b32 exec_lo, exec_lo, s12
	global_store_b8 v[4:5], v1, off
.LBB215_2568:
	s_mov_b32 s12, 0
	s_mov_b32 s13, -1
.LBB215_2569:
	s_and_not1_b32 vcc_lo, exec_lo, s12
	s_mov_b32 s12, 0
	s_cbranch_vccnz .LBB215_2576
; %bb.2570:
	s_cmp_gt_i32 s3, 14
	s_mov_b32 s12, -1
	s_cbranch_scc0 .LBB215_2574
; %bb.2571:
	s_cmp_eq_u32 s3, 15
	s_mov_b32 s0, -1
	s_cbranch_scc0 .LBB215_2573
; %bb.2572:
	s_wait_xcnt 0x0
	v_cndmask_b32_e64 v1, 0, 1.0, s9
	s_mov_b32 s0, 0
	s_mov_b32 s13, -1
	s_delay_alu instid0(VALU_DEP_1) | instskip(NEXT) | instid1(VALU_DEP_1)
	v_bfe_u32 v3, v1, 16, 1
	v_add3_u32 v1, v1, v3, 0x7fff
	global_store_d16_hi_b16 v[4:5], v1, off
.LBB215_2573:
	s_mov_b32 s12, 0
.LBB215_2574:
	s_delay_alu instid0(SALU_CYCLE_1)
	s_and_b32 vcc_lo, exec_lo, s12
	s_mov_b32 s12, 0
	s_cbranch_vccz .LBB215_2576
; %bb.2575:
	s_cmp_lg_u32 s3, 11
	s_mov_b32 s12, -1
	s_cselect_b32 s0, -1, 0
.LBB215_2576:
	s_delay_alu instid0(SALU_CYCLE_1)
	s_and_b32 vcc_lo, exec_lo, s0
	s_cbranch_vccnz .LBB215_2866
; %bb.2577:
	s_and_not1_b32 vcc_lo, exec_lo, s12
	s_cbranch_vccnz .LBB215_2579
.LBB215_2578:
	s_wait_xcnt 0x0
	v_cndmask_b32_e64 v1, 0, 1, s9
	s_mov_b32 s13, -1
	global_store_b8 v[4:5], v1, off
.LBB215_2579:
	s_mov_b32 s0, 0
	s_branch .LBB215_2581
.LBB215_2580:
	s_mov_b32 s0, -1
	s_mov_b32 s13, 0
.LBB215_2581:
	s_and_b32 vcc_lo, exec_lo, s0
	s_cbranch_vccz .LBB215_2620
; %bb.2582:
	s_cmp_lt_i32 s3, 5
	s_mov_b32 s0, -1
	s_cbranch_scc1 .LBB215_2603
; %bb.2583:
	s_cmp_lt_i32 s3, 8
	s_cbranch_scc1 .LBB215_2593
; %bb.2584:
	s_cmp_lt_i32 s3, 9
	s_cbranch_scc1 .LBB215_2590
; %bb.2585:
	s_cmp_gt_i32 s3, 9
	s_cbranch_scc0 .LBB215_2587
; %bb.2586:
	s_wait_xcnt 0x0
	v_cndmask_b32_e64 v1, 0, 1, s9
	v_mov_b32_e32 v8, 0
	s_mov_b32 s0, 0
	s_delay_alu instid0(VALU_DEP_2) | instskip(NEXT) | instid1(VALU_DEP_2)
	v_cvt_f64_u32_e32 v[6:7], v1
	v_mov_b32_e32 v9, v8
	global_store_b128 v[4:5], v[6:9], off
.LBB215_2587:
	s_and_not1_b32 vcc_lo, exec_lo, s0
	s_cbranch_vccnz .LBB215_2589
; %bb.2588:
	s_wait_xcnt 0x0
	v_cndmask_b32_e64 v6, 0, 1.0, s9
	v_mov_b32_e32 v7, 0
	global_store_b64 v[4:5], v[6:7], off
.LBB215_2589:
	s_mov_b32 s0, 0
.LBB215_2590:
	s_delay_alu instid0(SALU_CYCLE_1)
	s_and_not1_b32 vcc_lo, exec_lo, s0
	s_cbranch_vccnz .LBB215_2592
; %bb.2591:
	s_wait_xcnt 0x0
	v_cndmask_b32_e64 v1, 0, 1.0, s9
	s_delay_alu instid0(VALU_DEP_1) | instskip(NEXT) | instid1(VALU_DEP_1)
	v_cvt_f16_f32_e32 v1, v1
	v_and_b32_e32 v1, 0xffff, v1
	global_store_b32 v[4:5], v1, off
.LBB215_2592:
	s_mov_b32 s0, 0
.LBB215_2593:
	s_delay_alu instid0(SALU_CYCLE_1)
	s_and_not1_b32 vcc_lo, exec_lo, s0
	s_cbranch_vccnz .LBB215_2602
; %bb.2594:
	s_cmp_lt_i32 s3, 6
	s_mov_b32 s0, -1
	s_cbranch_scc1 .LBB215_2600
; %bb.2595:
	s_cmp_gt_i32 s3, 6
	s_cbranch_scc0 .LBB215_2597
; %bb.2596:
	s_wait_xcnt 0x0
	v_cndmask_b32_e64 v1, 0, 1, s9
	s_mov_b32 s0, 0
	s_delay_alu instid0(VALU_DEP_1)
	v_cvt_f64_u32_e32 v[6:7], v1
	global_store_b64 v[4:5], v[6:7], off
.LBB215_2597:
	s_and_not1_b32 vcc_lo, exec_lo, s0
	s_cbranch_vccnz .LBB215_2599
; %bb.2598:
	s_wait_xcnt 0x0
	v_cndmask_b32_e64 v1, 0, 1.0, s9
	global_store_b32 v[4:5], v1, off
.LBB215_2599:
	s_mov_b32 s0, 0
.LBB215_2600:
	s_delay_alu instid0(SALU_CYCLE_1)
	s_and_not1_b32 vcc_lo, exec_lo, s0
	s_cbranch_vccnz .LBB215_2602
; %bb.2601:
	s_wait_xcnt 0x0
	v_cndmask_b32_e64 v1, 0, 1.0, s9
	s_delay_alu instid0(VALU_DEP_1)
	v_cvt_f16_f32_e32 v1, v1
	global_store_b16 v[4:5], v1, off
.LBB215_2602:
	s_mov_b32 s0, 0
.LBB215_2603:
	s_delay_alu instid0(SALU_CYCLE_1)
	s_and_not1_b32 vcc_lo, exec_lo, s0
	s_cbranch_vccnz .LBB215_2619
; %bb.2604:
	s_cmp_lt_i32 s3, 2
	s_mov_b32 s0, -1
	s_cbranch_scc1 .LBB215_2614
; %bb.2605:
	s_cmp_lt_i32 s3, 3
	s_cbranch_scc1 .LBB215_2611
; %bb.2606:
	s_cmp_gt_i32 s3, 3
	s_cbranch_scc0 .LBB215_2608
; %bb.2607:
	s_mov_b32 s0, 0
	s_wait_xcnt 0x0
	v_cndmask_b32_e64 v6, 0, 1, s9
	v_mov_b32_e32 v7, s0
	global_store_b64 v[4:5], v[6:7], off
.LBB215_2608:
	s_and_not1_b32 vcc_lo, exec_lo, s0
	s_cbranch_vccnz .LBB215_2610
; %bb.2609:
	s_wait_xcnt 0x0
	v_cndmask_b32_e64 v1, 0, 1, s9
	global_store_b32 v[4:5], v1, off
.LBB215_2610:
	s_mov_b32 s0, 0
.LBB215_2611:
	s_delay_alu instid0(SALU_CYCLE_1)
	s_and_not1_b32 vcc_lo, exec_lo, s0
	s_cbranch_vccnz .LBB215_2613
; %bb.2612:
	s_wait_xcnt 0x0
	v_cndmask_b32_e64 v1, 0, 1, s9
	global_store_b16 v[4:5], v1, off
.LBB215_2613:
	s_mov_b32 s0, 0
.LBB215_2614:
	s_delay_alu instid0(SALU_CYCLE_1)
	s_and_not1_b32 vcc_lo, exec_lo, s0
	s_cbranch_vccnz .LBB215_2619
; %bb.2615:
	s_wait_xcnt 0x0
	v_cndmask_b32_e64 v1, 0, 1, s9
	s_cmp_gt_i32 s3, 0
	s_mov_b32 s0, -1
	s_cbranch_scc0 .LBB215_2617
; %bb.2616:
	s_mov_b32 s0, 0
	global_store_b8 v[4:5], v1, off
.LBB215_2617:
	s_and_not1_b32 vcc_lo, exec_lo, s0
	s_cbranch_vccnz .LBB215_2619
; %bb.2618:
	global_store_b8 v[4:5], v1, off
.LBB215_2619:
	s_mov_b32 s13, -1
.LBB215_2620:
	s_delay_alu instid0(SALU_CYCLE_1)
	s_and_not1_b32 vcc_lo, exec_lo, s13
	s_cbranch_vccnz .LBB215_2816
; %bb.2621:
	s_wait_xcnt 0x0
	v_mov_b32_e32 v3, 0
	s_xor_b32 s0, s15, s17
	s_delay_alu instid0(SALU_CYCLE_1) | instskip(SKIP_1) | instid1(VALU_DEP_1)
	s_xor_b32 s9, s2, s0
	s_cmp_lt_i32 s3, 11
	v_add_nc_u64_e32 v[2:3], s[4:5], v[2:3]
	s_cbranch_scc1 .LBB215_2699
; %bb.2622:
	s_mov_b32 s14, -1
	s_mov_b32 s12, 0
	s_cmp_gt_i32 s3, 25
	s_mov_b32 s13, 0
	s_mov_b32 s0, 0
	s_cbranch_scc0 .LBB215_2655
; %bb.2623:
	s_cmp_gt_i32 s3, 28
	s_cbranch_scc0 .LBB215_2638
; %bb.2624:
	s_cmp_gt_i32 s3, 43
	s_cbranch_scc0 .LBB215_2634
; %bb.2625:
	s_cmp_gt_i32 s3, 45
	s_cbranch_scc0 .LBB215_2628
; %bb.2626:
	s_mov_b32 s0, -1
	s_mov_b32 s14, 0
	s_cmp_eq_u32 s3, 46
	s_cbranch_scc0 .LBB215_2628
; %bb.2627:
	v_cndmask_b32_e64 v1, 0, 1.0, s9
	s_mov_b32 s0, 0
	s_mov_b32 s13, -1
	s_delay_alu instid0(VALU_DEP_1) | instskip(NEXT) | instid1(VALU_DEP_1)
	v_bfe_u32 v4, v1, 16, 1
	v_add3_u32 v1, v1, v4, 0x7fff
	s_delay_alu instid0(VALU_DEP_1)
	v_lshrrev_b32_e32 v1, 16, v1
	global_store_b32 v[2:3], v1, off
.LBB215_2628:
	s_and_b32 vcc_lo, exec_lo, s14
	s_cbranch_vccz .LBB215_2633
; %bb.2629:
	s_cmp_eq_u32 s3, 44
	s_mov_b32 s0, -1
	s_cbranch_scc0 .LBB215_2633
; %bb.2630:
	v_cndmask_b32_e64 v5, 0, 1.0, s9
	s_mov_b32 s13, exec_lo
	s_wait_xcnt 0x0
	s_delay_alu instid0(VALU_DEP_1) | instskip(NEXT) | instid1(VALU_DEP_1)
	v_dual_mov_b32 v4, 0xff :: v_dual_lshrrev_b32 v1, 23, v5
	v_cmpx_ne_u32_e32 0xff, v1
; %bb.2631:
	v_and_b32_e32 v4, 0x400000, v5
	v_and_or_b32 v5, 0x3fffff, v5, v1
	s_delay_alu instid0(VALU_DEP_2) | instskip(NEXT) | instid1(VALU_DEP_2)
	v_cmp_ne_u32_e32 vcc_lo, 0, v4
	v_cmp_ne_u32_e64 s0, 0, v5
	s_and_b32 s0, vcc_lo, s0
	s_delay_alu instid0(SALU_CYCLE_1) | instskip(NEXT) | instid1(VALU_DEP_1)
	v_cndmask_b32_e64 v4, 0, 1, s0
	v_add_nc_u32_e32 v4, v1, v4
; %bb.2632:
	s_or_b32 exec_lo, exec_lo, s13
	s_mov_b32 s0, 0
	s_mov_b32 s13, -1
	global_store_b8 v[2:3], v4, off
.LBB215_2633:
	s_mov_b32 s14, 0
.LBB215_2634:
	s_delay_alu instid0(SALU_CYCLE_1)
	s_and_b32 vcc_lo, exec_lo, s14
	s_cbranch_vccz .LBB215_2637
; %bb.2635:
	s_cmp_eq_u32 s3, 29
	s_mov_b32 s0, -1
	s_cbranch_scc0 .LBB215_2637
; %bb.2636:
	s_mov_b32 s0, 0
	s_wait_xcnt 0x0
	v_cndmask_b32_e64 v4, 0, 1, s9
	v_mov_b32_e32 v5, s0
	s_mov_b32 s13, -1
	global_store_b64 v[2:3], v[4:5], off
.LBB215_2637:
	s_mov_b32 s14, 0
.LBB215_2638:
	s_delay_alu instid0(SALU_CYCLE_1)
	s_and_b32 vcc_lo, exec_lo, s14
	s_cbranch_vccz .LBB215_2654
; %bb.2639:
	s_cmp_lt_i32 s3, 27
	s_mov_b32 s13, -1
	s_cbranch_scc1 .LBB215_2645
; %bb.2640:
	s_cmp_gt_i32 s3, 27
	s_cbranch_scc0 .LBB215_2642
; %bb.2641:
	s_wait_xcnt 0x0
	v_cndmask_b32_e64 v1, 0, 1, s9
	s_mov_b32 s13, 0
	global_store_b32 v[2:3], v1, off
.LBB215_2642:
	s_and_not1_b32 vcc_lo, exec_lo, s13
	s_cbranch_vccnz .LBB215_2644
; %bb.2643:
	s_wait_xcnt 0x0
	v_cndmask_b32_e64 v1, 0, 1, s9
	global_store_b16 v[2:3], v1, off
.LBB215_2644:
	s_mov_b32 s13, 0
.LBB215_2645:
	s_delay_alu instid0(SALU_CYCLE_1)
	s_and_not1_b32 vcc_lo, exec_lo, s13
	s_cbranch_vccnz .LBB215_2653
; %bb.2646:
	s_wait_xcnt 0x0
	v_cndmask_b32_e64 v4, 0, 1.0, s9
	v_mov_b32_e32 v5, 0x80
	s_mov_b32 s13, exec_lo
	s_delay_alu instid0(VALU_DEP_2)
	v_cmpx_gt_u32_e32 0x43800000, v4
	s_cbranch_execz .LBB215_2652
; %bb.2647:
	s_mov_b32 s14, 0
	s_mov_b32 s15, exec_lo
                                        ; implicit-def: $vgpr1
	v_cmpx_lt_u32_e32 0x3bffffff, v4
	s_xor_b32 s15, exec_lo, s15
	s_cbranch_execnz .LBB215_2874
; %bb.2648:
	s_and_not1_saveexec_b32 s15, s15
	s_cbranch_execnz .LBB215_2875
.LBB215_2649:
	s_or_b32 exec_lo, exec_lo, s15
	v_mov_b32_e32 v5, 0
	s_and_saveexec_b32 s15, s14
.LBB215_2650:
	v_mov_b32_e32 v5, v1
.LBB215_2651:
	s_or_b32 exec_lo, exec_lo, s15
.LBB215_2652:
	s_delay_alu instid0(SALU_CYCLE_1)
	s_or_b32 exec_lo, exec_lo, s13
	global_store_b8 v[2:3], v5, off
.LBB215_2653:
	s_mov_b32 s13, -1
.LBB215_2654:
	s_mov_b32 s14, 0
.LBB215_2655:
	s_delay_alu instid0(SALU_CYCLE_1)
	s_and_b32 vcc_lo, exec_lo, s14
	s_cbranch_vccz .LBB215_2695
; %bb.2656:
	s_cmp_gt_i32 s3, 22
	s_mov_b32 s12, -1
	s_cbranch_scc0 .LBB215_2688
; %bb.2657:
	s_cmp_lt_i32 s3, 24
	s_cbranch_scc1 .LBB215_2677
; %bb.2658:
	s_cmp_gt_i32 s3, 24
	s_cbranch_scc0 .LBB215_2666
; %bb.2659:
	s_wait_xcnt 0x0
	v_cndmask_b32_e64 v4, 0, 1.0, s9
	v_mov_b32_e32 v5, 0x80
	s_mov_b32 s12, exec_lo
	s_delay_alu instid0(VALU_DEP_2)
	v_cmpx_gt_u32_e32 0x47800000, v4
	s_cbranch_execz .LBB215_2665
; %bb.2660:
	s_mov_b32 s13, 0
	s_mov_b32 s14, exec_lo
                                        ; implicit-def: $vgpr1
	v_cmpx_lt_u32_e32 0x37ffffff, v4
	s_xor_b32 s14, exec_lo, s14
	s_cbranch_execnz .LBB215_2877
; %bb.2661:
	s_and_not1_saveexec_b32 s14, s14
	s_cbranch_execnz .LBB215_2878
.LBB215_2662:
	s_or_b32 exec_lo, exec_lo, s14
	v_mov_b32_e32 v5, 0
	s_and_saveexec_b32 s14, s13
.LBB215_2663:
	v_mov_b32_e32 v5, v1
.LBB215_2664:
	s_or_b32 exec_lo, exec_lo, s14
.LBB215_2665:
	s_delay_alu instid0(SALU_CYCLE_1)
	s_or_b32 exec_lo, exec_lo, s12
	s_mov_b32 s12, 0
	global_store_b8 v[2:3], v5, off
.LBB215_2666:
	s_and_b32 vcc_lo, exec_lo, s12
	s_cbranch_vccz .LBB215_2676
; %bb.2667:
	s_wait_xcnt 0x0
	v_cndmask_b32_e64 v4, 0, 1.0, s9
	s_mov_b32 s12, exec_lo
                                        ; implicit-def: $vgpr1
	s_delay_alu instid0(VALU_DEP_1)
	v_cmpx_gt_u32_e32 0x43f00000, v4
	s_xor_b32 s12, exec_lo, s12
	s_cbranch_execz .LBB215_2673
; %bb.2668:
	s_mov_b32 s13, exec_lo
                                        ; implicit-def: $vgpr1
	v_cmpx_lt_u32_e32 0x3c7fffff, v4
	s_xor_b32 s13, exec_lo, s13
; %bb.2669:
	v_bfe_u32 v1, v4, 20, 1
	s_delay_alu instid0(VALU_DEP_1) | instskip(NEXT) | instid1(VALU_DEP_1)
	v_add3_u32 v1, v4, v1, 0x407ffff
	v_and_b32_e32 v4, 0xff00000, v1
	v_lshrrev_b32_e32 v1, 20, v1
	s_delay_alu instid0(VALU_DEP_2) | instskip(NEXT) | instid1(VALU_DEP_2)
	v_cmp_ne_u32_e32 vcc_lo, 0x7f00000, v4
                                        ; implicit-def: $vgpr4
	v_cndmask_b32_e32 v1, 0x7e, v1, vcc_lo
; %bb.2670:
	s_and_not1_saveexec_b32 s13, s13
; %bb.2671:
	v_add_f32_e32 v1, 0x46800000, v4
; %bb.2672:
	s_or_b32 exec_lo, exec_lo, s13
                                        ; implicit-def: $vgpr4
.LBB215_2673:
	s_and_not1_saveexec_b32 s12, s12
; %bb.2674:
	v_mov_b32_e32 v1, 0x7f
	v_cmp_lt_u32_e32 vcc_lo, 0x7f800000, v4
	s_delay_alu instid0(VALU_DEP_2)
	v_cndmask_b32_e32 v1, 0x7e, v1, vcc_lo
; %bb.2675:
	s_or_b32 exec_lo, exec_lo, s12
	global_store_b8 v[2:3], v1, off
.LBB215_2676:
	s_mov_b32 s12, 0
.LBB215_2677:
	s_delay_alu instid0(SALU_CYCLE_1)
	s_and_not1_b32 vcc_lo, exec_lo, s12
	s_cbranch_vccnz .LBB215_2687
; %bb.2678:
	s_wait_xcnt 0x0
	v_cndmask_b32_e64 v4, 0, 1.0, s9
	s_mov_b32 s12, exec_lo
                                        ; implicit-def: $vgpr1
	s_delay_alu instid0(VALU_DEP_1)
	v_cmpx_gt_u32_e32 0x47800000, v4
	s_xor_b32 s12, exec_lo, s12
	s_cbranch_execz .LBB215_2684
; %bb.2679:
	s_mov_b32 s13, exec_lo
                                        ; implicit-def: $vgpr1
	v_cmpx_lt_u32_e32 0x387fffff, v4
	s_xor_b32 s13, exec_lo, s13
; %bb.2680:
	v_bfe_u32 v1, v4, 21, 1
	s_delay_alu instid0(VALU_DEP_1) | instskip(NEXT) | instid1(VALU_DEP_1)
	v_add3_u32 v1, v4, v1, 0x80fffff
                                        ; implicit-def: $vgpr4
	v_lshrrev_b32_e32 v1, 21, v1
; %bb.2681:
	s_and_not1_saveexec_b32 s13, s13
; %bb.2682:
	v_add_f32_e32 v1, 0x43000000, v4
; %bb.2683:
	s_or_b32 exec_lo, exec_lo, s13
                                        ; implicit-def: $vgpr4
.LBB215_2684:
	s_and_not1_saveexec_b32 s12, s12
; %bb.2685:
	v_mov_b32_e32 v1, 0x7f
	v_cmp_lt_u32_e32 vcc_lo, 0x7f800000, v4
	s_delay_alu instid0(VALU_DEP_2)
	v_cndmask_b32_e32 v1, 0x7c, v1, vcc_lo
; %bb.2686:
	s_or_b32 exec_lo, exec_lo, s12
	global_store_b8 v[2:3], v1, off
.LBB215_2687:
	s_mov_b32 s12, 0
	s_mov_b32 s13, -1
.LBB215_2688:
	s_and_not1_b32 vcc_lo, exec_lo, s12
	s_mov_b32 s12, 0
	s_cbranch_vccnz .LBB215_2695
; %bb.2689:
	s_cmp_gt_i32 s3, 14
	s_mov_b32 s12, -1
	s_cbranch_scc0 .LBB215_2693
; %bb.2690:
	s_cmp_eq_u32 s3, 15
	s_mov_b32 s0, -1
	s_cbranch_scc0 .LBB215_2692
; %bb.2691:
	s_wait_xcnt 0x0
	v_cndmask_b32_e64 v1, 0, 1.0, s9
	s_mov_b32 s0, 0
	s_mov_b32 s13, -1
	s_delay_alu instid0(VALU_DEP_1) | instskip(NEXT) | instid1(VALU_DEP_1)
	v_bfe_u32 v4, v1, 16, 1
	v_add3_u32 v1, v1, v4, 0x7fff
	global_store_d16_hi_b16 v[2:3], v1, off
.LBB215_2692:
	s_mov_b32 s12, 0
.LBB215_2693:
	s_delay_alu instid0(SALU_CYCLE_1)
	s_and_b32 vcc_lo, exec_lo, s12
	s_mov_b32 s12, 0
	s_cbranch_vccz .LBB215_2695
; %bb.2694:
	s_cmp_lg_u32 s3, 11
	s_mov_b32 s12, -1
	s_cselect_b32 s0, -1, 0
.LBB215_2695:
	s_delay_alu instid0(SALU_CYCLE_1)
	s_and_b32 vcc_lo, exec_lo, s0
	s_cbranch_vccnz .LBB215_2871
; %bb.2696:
	s_and_not1_b32 vcc_lo, exec_lo, s12
	s_cbranch_vccnz .LBB215_2698
.LBB215_2697:
	s_wait_xcnt 0x0
	v_cndmask_b32_e64 v1, 0, 1, s9
	s_mov_b32 s13, -1
	global_store_b8 v[2:3], v1, off
.LBB215_2698:
	s_mov_b32 s0, 0
	s_branch .LBB215_2700
.LBB215_2699:
	s_mov_b32 s0, -1
	s_mov_b32 s13, 0
.LBB215_2700:
	s_and_b32 vcc_lo, exec_lo, s0
	s_cbranch_vccz .LBB215_2739
; %bb.2701:
	s_cmp_lt_i32 s3, 5
	s_mov_b32 s0, -1
	s_cbranch_scc1 .LBB215_2722
; %bb.2702:
	s_cmp_lt_i32 s3, 8
	s_cbranch_scc1 .LBB215_2712
; %bb.2703:
	s_cmp_lt_i32 s3, 9
	s_cbranch_scc1 .LBB215_2709
; %bb.2704:
	s_cmp_gt_i32 s3, 9
	s_cbranch_scc0 .LBB215_2706
; %bb.2705:
	s_wait_xcnt 0x0
	v_cndmask_b32_e64 v1, 0, 1, s9
	v_mov_b32_e32 v6, 0
	s_mov_b32 s0, 0
	s_delay_alu instid0(VALU_DEP_2) | instskip(NEXT) | instid1(VALU_DEP_2)
	v_cvt_f64_u32_e32 v[4:5], v1
	v_mov_b32_e32 v7, v6
	global_store_b128 v[2:3], v[4:7], off
.LBB215_2706:
	s_and_not1_b32 vcc_lo, exec_lo, s0
	s_cbranch_vccnz .LBB215_2708
; %bb.2707:
	s_wait_xcnt 0x0
	v_cndmask_b32_e64 v4, 0, 1.0, s9
	v_mov_b32_e32 v5, 0
	global_store_b64 v[2:3], v[4:5], off
.LBB215_2708:
	s_mov_b32 s0, 0
.LBB215_2709:
	s_delay_alu instid0(SALU_CYCLE_1)
	s_and_not1_b32 vcc_lo, exec_lo, s0
	s_cbranch_vccnz .LBB215_2711
; %bb.2710:
	s_wait_xcnt 0x0
	v_cndmask_b32_e64 v1, 0, 1.0, s9
	s_delay_alu instid0(VALU_DEP_1) | instskip(NEXT) | instid1(VALU_DEP_1)
	v_cvt_f16_f32_e32 v1, v1
	v_and_b32_e32 v1, 0xffff, v1
	global_store_b32 v[2:3], v1, off
.LBB215_2711:
	s_mov_b32 s0, 0
.LBB215_2712:
	s_delay_alu instid0(SALU_CYCLE_1)
	s_and_not1_b32 vcc_lo, exec_lo, s0
	s_cbranch_vccnz .LBB215_2721
; %bb.2713:
	s_cmp_lt_i32 s3, 6
	s_mov_b32 s0, -1
	s_cbranch_scc1 .LBB215_2719
; %bb.2714:
	s_cmp_gt_i32 s3, 6
	s_cbranch_scc0 .LBB215_2716
; %bb.2715:
	s_wait_xcnt 0x0
	v_cndmask_b32_e64 v1, 0, 1, s9
	s_mov_b32 s0, 0
	s_delay_alu instid0(VALU_DEP_1)
	v_cvt_f64_u32_e32 v[4:5], v1
	global_store_b64 v[2:3], v[4:5], off
.LBB215_2716:
	s_and_not1_b32 vcc_lo, exec_lo, s0
	s_cbranch_vccnz .LBB215_2718
; %bb.2717:
	s_wait_xcnt 0x0
	v_cndmask_b32_e64 v1, 0, 1.0, s9
	global_store_b32 v[2:3], v1, off
.LBB215_2718:
	s_mov_b32 s0, 0
.LBB215_2719:
	s_delay_alu instid0(SALU_CYCLE_1)
	s_and_not1_b32 vcc_lo, exec_lo, s0
	s_cbranch_vccnz .LBB215_2721
; %bb.2720:
	s_wait_xcnt 0x0
	v_cndmask_b32_e64 v1, 0, 1.0, s9
	s_delay_alu instid0(VALU_DEP_1)
	v_cvt_f16_f32_e32 v1, v1
	global_store_b16 v[2:3], v1, off
.LBB215_2721:
	s_mov_b32 s0, 0
.LBB215_2722:
	s_delay_alu instid0(SALU_CYCLE_1)
	s_and_not1_b32 vcc_lo, exec_lo, s0
	s_cbranch_vccnz .LBB215_2738
; %bb.2723:
	s_cmp_lt_i32 s3, 2
	s_mov_b32 s0, -1
	s_cbranch_scc1 .LBB215_2733
; %bb.2724:
	s_cmp_lt_i32 s3, 3
	s_cbranch_scc1 .LBB215_2730
; %bb.2725:
	s_cmp_gt_i32 s3, 3
	s_cbranch_scc0 .LBB215_2727
; %bb.2726:
	s_mov_b32 s0, 0
	s_wait_xcnt 0x0
	v_cndmask_b32_e64 v4, 0, 1, s9
	v_mov_b32_e32 v5, s0
	global_store_b64 v[2:3], v[4:5], off
.LBB215_2727:
	s_and_not1_b32 vcc_lo, exec_lo, s0
	s_cbranch_vccnz .LBB215_2729
; %bb.2728:
	s_wait_xcnt 0x0
	v_cndmask_b32_e64 v1, 0, 1, s9
	global_store_b32 v[2:3], v1, off
.LBB215_2729:
	s_mov_b32 s0, 0
.LBB215_2730:
	s_delay_alu instid0(SALU_CYCLE_1)
	s_and_not1_b32 vcc_lo, exec_lo, s0
	s_cbranch_vccnz .LBB215_2732
; %bb.2731:
	s_wait_xcnt 0x0
	v_cndmask_b32_e64 v1, 0, 1, s9
	global_store_b16 v[2:3], v1, off
.LBB215_2732:
	s_mov_b32 s0, 0
.LBB215_2733:
	s_delay_alu instid0(SALU_CYCLE_1)
	s_and_not1_b32 vcc_lo, exec_lo, s0
	s_cbranch_vccnz .LBB215_2738
; %bb.2734:
	s_cmp_gt_i32 s3, 0
	s_mov_b32 s0, -1
	s_cbranch_scc0 .LBB215_2736
; %bb.2735:
	s_wait_xcnt 0x0
	v_cndmask_b32_e64 v1, 0, 1, s9
	s_mov_b32 s0, 0
	global_store_b8 v[2:3], v1, off
.LBB215_2736:
	s_and_not1_b32 vcc_lo, exec_lo, s0
	s_cbranch_vccnz .LBB215_2738
; %bb.2737:
	s_wait_xcnt 0x0
	v_cndmask_b32_e64 v1, 0, 1, s9
	global_store_b8 v[2:3], v1, off
.LBB215_2738:
	s_mov_b32 s13, -1
.LBB215_2739:
	s_delay_alu instid0(SALU_CYCLE_1)
	s_and_not1_b32 vcc_lo, exec_lo, s13
	s_cbranch_vccnz .LBB215_2816
; %bb.2740:
	s_wait_xcnt 0x0
	v_mov_b32_e32 v1, 0
	s_xor_b32 s0, s6, s8
	s_delay_alu instid0(VALU_DEP_1)
	v_add_nc_u64_e32 v[2:3], s[4:5], v[0:1]
	s_xor_b32 s4, s2, s0
	s_cmp_lt_i32 s3, 11
	s_cbranch_scc1 .LBB215_2861
; %bb.2741:
	s_mov_b32 s5, -1
	s_mov_b32 s2, 0
	s_cmp_gt_i32 s3, 25
	s_mov_b32 s0, 0
	s_cbranch_scc0 .LBB215_2774
; %bb.2742:
	s_cmp_gt_i32 s3, 28
	s_cbranch_scc0 .LBB215_2758
; %bb.2743:
	s_cmp_gt_i32 s3, 43
	;; [unrolled: 3-line block ×3, first 2 shown]
	s_cbranch_scc0 .LBB215_2748
; %bb.2745:
	s_cmp_eq_u32 s3, 46
	s_mov_b32 s0, -1
	s_cbranch_scc0 .LBB215_2747
; %bb.2746:
	v_cndmask_b32_e64 v0, 0, 1.0, s4
	s_mov_b32 s0, 0
	s_delay_alu instid0(VALU_DEP_1) | instskip(NEXT) | instid1(VALU_DEP_1)
	v_bfe_u32 v1, v0, 16, 1
	v_add3_u32 v0, v0, v1, 0x7fff
	s_delay_alu instid0(VALU_DEP_1)
	v_lshrrev_b32_e32 v0, 16, v0
	global_store_b32 v[2:3], v0, off
.LBB215_2747:
	s_mov_b32 s5, 0
.LBB215_2748:
	s_delay_alu instid0(SALU_CYCLE_1)
	s_and_b32 vcc_lo, exec_lo, s5
	s_cbranch_vccz .LBB215_2753
; %bb.2749:
	s_cmp_eq_u32 s3, 44
	s_mov_b32 s0, -1
	s_cbranch_scc0 .LBB215_2753
; %bb.2750:
	v_cndmask_b32_e64 v4, 0, 1.0, s4
	s_mov_b32 s5, exec_lo
	s_wait_xcnt 0x0
	s_delay_alu instid0(VALU_DEP_1) | instskip(NEXT) | instid1(VALU_DEP_1)
	v_dual_mov_b32 v1, 0xff :: v_dual_lshrrev_b32 v0, 23, v4
	v_cmpx_ne_u32_e32 0xff, v0
; %bb.2751:
	v_and_b32_e32 v1, 0x400000, v4
	v_and_or_b32 v4, 0x3fffff, v4, v0
	s_delay_alu instid0(VALU_DEP_2) | instskip(NEXT) | instid1(VALU_DEP_2)
	v_cmp_ne_u32_e32 vcc_lo, 0, v1
	v_cmp_ne_u32_e64 s0, 0, v4
	s_and_b32 s0, vcc_lo, s0
	s_delay_alu instid0(SALU_CYCLE_1) | instskip(NEXT) | instid1(VALU_DEP_1)
	v_cndmask_b32_e64 v1, 0, 1, s0
	v_add_nc_u32_e32 v1, v0, v1
; %bb.2752:
	s_or_b32 exec_lo, exec_lo, s5
	s_mov_b32 s0, 0
	global_store_b8 v[2:3], v1, off
.LBB215_2753:
	s_mov_b32 s5, 0
.LBB215_2754:
	s_delay_alu instid0(SALU_CYCLE_1)
	s_and_b32 vcc_lo, exec_lo, s5
	s_cbranch_vccz .LBB215_2757
; %bb.2755:
	s_cmp_eq_u32 s3, 29
	s_mov_b32 s0, -1
	s_cbranch_scc0 .LBB215_2757
; %bb.2756:
	s_mov_b32 s0, 0
	s_wait_xcnt 0x0
	v_cndmask_b32_e64 v0, 0, 1, s4
	v_mov_b32_e32 v1, s0
	global_store_b64 v[2:3], v[0:1], off
.LBB215_2757:
	s_mov_b32 s5, 0
.LBB215_2758:
	s_delay_alu instid0(SALU_CYCLE_1)
	s_and_b32 vcc_lo, exec_lo, s5
	s_cbranch_vccz .LBB215_2773
; %bb.2759:
	s_cmp_lt_i32 s3, 27
	s_mov_b32 s5, -1
	s_cbranch_scc1 .LBB215_2765
; %bb.2760:
	s_wait_xcnt 0x0
	v_cndmask_b32_e64 v0, 0, 1, s4
	s_cmp_gt_i32 s3, 27
	s_cbranch_scc0 .LBB215_2762
; %bb.2761:
	s_mov_b32 s5, 0
	global_store_b32 v[2:3], v0, off
.LBB215_2762:
	s_and_not1_b32 vcc_lo, exec_lo, s5
	s_cbranch_vccnz .LBB215_2764
; %bb.2763:
	global_store_b16 v[2:3], v0, off
.LBB215_2764:
	s_mov_b32 s5, 0
.LBB215_2765:
	s_delay_alu instid0(SALU_CYCLE_1)
	s_and_not1_b32 vcc_lo, exec_lo, s5
	s_cbranch_vccnz .LBB215_2773
; %bb.2766:
	s_wait_xcnt 0x0
	v_cndmask_b32_e64 v1, 0, 1.0, s4
	v_mov_b32_e32 v4, 0x80
	s_mov_b32 s5, exec_lo
	s_delay_alu instid0(VALU_DEP_2)
	v_cmpx_gt_u32_e32 0x43800000, v1
	s_cbranch_execz .LBB215_2772
; %bb.2767:
	s_mov_b32 s6, 0
	s_mov_b32 s8, exec_lo
                                        ; implicit-def: $vgpr0
	v_cmpx_lt_u32_e32 0x3bffffff, v1
	s_xor_b32 s8, exec_lo, s8
	s_cbranch_execnz .LBB215_2879
; %bb.2768:
	s_and_not1_saveexec_b32 s8, s8
	s_cbranch_execnz .LBB215_2880
.LBB215_2769:
	s_or_b32 exec_lo, exec_lo, s8
	v_mov_b32_e32 v4, 0
	s_and_saveexec_b32 s8, s6
.LBB215_2770:
	v_mov_b32_e32 v4, v0
.LBB215_2771:
	s_or_b32 exec_lo, exec_lo, s8
.LBB215_2772:
	s_delay_alu instid0(SALU_CYCLE_1)
	s_or_b32 exec_lo, exec_lo, s5
	global_store_b8 v[2:3], v4, off
.LBB215_2773:
	s_mov_b32 s5, 0
.LBB215_2774:
	s_delay_alu instid0(SALU_CYCLE_1)
	s_and_b32 vcc_lo, exec_lo, s5
	s_cbranch_vccz .LBB215_2814
; %bb.2775:
	s_cmp_gt_i32 s3, 22
	s_mov_b32 s2, -1
	s_cbranch_scc0 .LBB215_2807
; %bb.2776:
	s_cmp_lt_i32 s3, 24
	s_cbranch_scc1 .LBB215_2796
; %bb.2777:
	s_cmp_gt_i32 s3, 24
	s_cbranch_scc0 .LBB215_2785
; %bb.2778:
	s_wait_xcnt 0x0
	v_cndmask_b32_e64 v1, 0, 1.0, s4
	v_mov_b32_e32 v4, 0x80
	s_mov_b32 s2, exec_lo
	s_delay_alu instid0(VALU_DEP_2)
	v_cmpx_gt_u32_e32 0x47800000, v1
	s_cbranch_execz .LBB215_2784
; %bb.2779:
	s_mov_b32 s5, 0
	s_mov_b32 s6, exec_lo
                                        ; implicit-def: $vgpr0
	v_cmpx_lt_u32_e32 0x37ffffff, v1
	s_xor_b32 s6, exec_lo, s6
	s_cbranch_execnz .LBB215_2881
; %bb.2780:
	s_and_not1_saveexec_b32 s6, s6
	s_cbranch_execnz .LBB215_2882
.LBB215_2781:
	s_or_b32 exec_lo, exec_lo, s6
	v_mov_b32_e32 v4, 0
	s_and_saveexec_b32 s6, s5
.LBB215_2782:
	v_mov_b32_e32 v4, v0
.LBB215_2783:
	s_or_b32 exec_lo, exec_lo, s6
.LBB215_2784:
	s_delay_alu instid0(SALU_CYCLE_1)
	s_or_b32 exec_lo, exec_lo, s2
	s_mov_b32 s2, 0
	global_store_b8 v[2:3], v4, off
.LBB215_2785:
	s_and_b32 vcc_lo, exec_lo, s2
	s_cbranch_vccz .LBB215_2795
; %bb.2786:
	s_wait_xcnt 0x0
	v_cndmask_b32_e64 v1, 0, 1.0, s4
	s_mov_b32 s2, exec_lo
                                        ; implicit-def: $vgpr0
	s_delay_alu instid0(VALU_DEP_1)
	v_cmpx_gt_u32_e32 0x43f00000, v1
	s_xor_b32 s2, exec_lo, s2
	s_cbranch_execz .LBB215_2792
; %bb.2787:
	s_mov_b32 s5, exec_lo
                                        ; implicit-def: $vgpr0
	v_cmpx_lt_u32_e32 0x3c7fffff, v1
	s_xor_b32 s5, exec_lo, s5
; %bb.2788:
	v_bfe_u32 v0, v1, 20, 1
	s_delay_alu instid0(VALU_DEP_1) | instskip(NEXT) | instid1(VALU_DEP_1)
	v_add3_u32 v0, v1, v0, 0x407ffff
	v_and_b32_e32 v1, 0xff00000, v0
	v_lshrrev_b32_e32 v0, 20, v0
	s_delay_alu instid0(VALU_DEP_2) | instskip(NEXT) | instid1(VALU_DEP_2)
	v_cmp_ne_u32_e32 vcc_lo, 0x7f00000, v1
                                        ; implicit-def: $vgpr1
	v_cndmask_b32_e32 v0, 0x7e, v0, vcc_lo
; %bb.2789:
	s_and_not1_saveexec_b32 s5, s5
; %bb.2790:
	v_add_f32_e32 v0, 0x46800000, v1
; %bb.2791:
	s_or_b32 exec_lo, exec_lo, s5
                                        ; implicit-def: $vgpr1
.LBB215_2792:
	s_and_not1_saveexec_b32 s2, s2
; %bb.2793:
	v_mov_b32_e32 v0, 0x7f
	v_cmp_lt_u32_e32 vcc_lo, 0x7f800000, v1
	s_delay_alu instid0(VALU_DEP_2)
	v_cndmask_b32_e32 v0, 0x7e, v0, vcc_lo
; %bb.2794:
	s_or_b32 exec_lo, exec_lo, s2
	global_store_b8 v[2:3], v0, off
.LBB215_2795:
	s_mov_b32 s2, 0
.LBB215_2796:
	s_delay_alu instid0(SALU_CYCLE_1)
	s_and_not1_b32 vcc_lo, exec_lo, s2
	s_cbranch_vccnz .LBB215_2806
; %bb.2797:
	s_wait_xcnt 0x0
	v_cndmask_b32_e64 v1, 0, 1.0, s4
	s_mov_b32 s2, exec_lo
                                        ; implicit-def: $vgpr0
	s_delay_alu instid0(VALU_DEP_1)
	v_cmpx_gt_u32_e32 0x47800000, v1
	s_xor_b32 s2, exec_lo, s2
	s_cbranch_execz .LBB215_2803
; %bb.2798:
	s_mov_b32 s5, exec_lo
                                        ; implicit-def: $vgpr0
	v_cmpx_lt_u32_e32 0x387fffff, v1
	s_xor_b32 s5, exec_lo, s5
; %bb.2799:
	v_bfe_u32 v0, v1, 21, 1
	s_delay_alu instid0(VALU_DEP_1) | instskip(NEXT) | instid1(VALU_DEP_1)
	v_add3_u32 v0, v1, v0, 0x80fffff
                                        ; implicit-def: $vgpr1
	v_lshrrev_b32_e32 v0, 21, v0
; %bb.2800:
	s_and_not1_saveexec_b32 s5, s5
; %bb.2801:
	v_add_f32_e32 v0, 0x43000000, v1
; %bb.2802:
	s_or_b32 exec_lo, exec_lo, s5
                                        ; implicit-def: $vgpr1
.LBB215_2803:
	s_and_not1_saveexec_b32 s2, s2
; %bb.2804:
	v_mov_b32_e32 v0, 0x7f
	v_cmp_lt_u32_e32 vcc_lo, 0x7f800000, v1
	s_delay_alu instid0(VALU_DEP_2)
	v_cndmask_b32_e32 v0, 0x7c, v0, vcc_lo
; %bb.2805:
	s_or_b32 exec_lo, exec_lo, s2
	global_store_b8 v[2:3], v0, off
.LBB215_2806:
	s_mov_b32 s2, 0
.LBB215_2807:
	s_delay_alu instid0(SALU_CYCLE_1)
	s_and_not1_b32 vcc_lo, exec_lo, s2
	s_mov_b32 s2, 0
	s_cbranch_vccnz .LBB215_2814
; %bb.2808:
	s_cmp_gt_i32 s3, 14
	s_mov_b32 s2, -1
	s_cbranch_scc0 .LBB215_2812
; %bb.2809:
	s_cmp_eq_u32 s3, 15
	s_mov_b32 s0, -1
	s_cbranch_scc0 .LBB215_2811
; %bb.2810:
	s_wait_xcnt 0x0
	v_cndmask_b32_e64 v0, 0, 1.0, s4
	s_mov_b32 s0, 0
	s_delay_alu instid0(VALU_DEP_1) | instskip(NEXT) | instid1(VALU_DEP_1)
	v_bfe_u32 v1, v0, 16, 1
	v_add3_u32 v0, v0, v1, 0x7fff
	global_store_d16_hi_b16 v[2:3], v0, off
.LBB215_2811:
	s_mov_b32 s2, 0
.LBB215_2812:
	s_delay_alu instid0(SALU_CYCLE_1)
	s_and_b32 vcc_lo, exec_lo, s2
	s_mov_b32 s2, 0
	s_cbranch_vccz .LBB215_2814
; %bb.2813:
	s_cmp_lg_u32 s3, 11
	s_mov_b32 s2, -1
	s_cselect_b32 s0, -1, 0
.LBB215_2814:
	s_delay_alu instid0(SALU_CYCLE_1)
	s_and_b32 vcc_lo, exec_lo, s0
	s_cbranch_vccnz .LBB215_2876
.LBB215_2815:
	s_mov_b32 s0, 0
	s_branch .LBB215_2817
.LBB215_2816:
	s_mov_b32 s0, 0
	s_mov_b32 s2, 0
                                        ; implicit-def: $sgpr4
                                        ; implicit-def: $vgpr2_vgpr3
                                        ; implicit-def: $sgpr7
.LBB215_2817:
	s_and_not1_b32 s3, s10, exec_lo
	s_and_b32 s1, s1, exec_lo
	s_and_b32 s0, s0, exec_lo
	;; [unrolled: 1-line block ×3, first 2 shown]
	s_or_b32 s10, s3, s1
.LBB215_2818:
	s_wait_xcnt 0x0
	s_or_b32 exec_lo, exec_lo, s11
	s_and_saveexec_b32 s1, s10
	s_cbranch_execnz .LBB215_2822
; %bb.2819:
	s_or_b32 exec_lo, exec_lo, s1
	s_and_saveexec_b32 s1, s30
	s_delay_alu instid0(SALU_CYCLE_1)
	s_xor_b32 s1, exec_lo, s1
	s_cbranch_execnz .LBB215_2823
.LBB215_2820:
	s_or_b32 exec_lo, exec_lo, s1
	s_and_saveexec_b32 s1, s0
	s_cbranch_execnz .LBB215_2824
.LBB215_2821:
	s_endpgm
.LBB215_2822:
	; divergent unreachable
	s_or_b32 exec_lo, exec_lo, s1
	s_and_saveexec_b32 s1, s30
	s_delay_alu instid0(SALU_CYCLE_1)
	s_xor_b32 s1, exec_lo, s1
	s_cbranch_execz .LBB215_2820
.LBB215_2823:
	v_cndmask_b32_e64 v0, 0, 1, s4
	global_store_b8 v[2:3], v0, off
	s_wait_xcnt 0x0
	s_or_b32 exec_lo, exec_lo, s1
	s_and_saveexec_b32 s1, s0
	s_cbranch_execz .LBB215_2821
.LBB215_2824:
	s_sext_i32_i16 s1, s7
	s_mov_b32 s0, -1
	s_cmp_lt_i32 s1, 5
	s_cbranch_scc1 .LBB215_2845
; %bb.2825:
	s_cmp_lt_i32 s1, 8
	s_cbranch_scc1 .LBB215_2835
; %bb.2826:
	;; [unrolled: 3-line block ×3, first 2 shown]
	s_cmp_gt_i32 s1, 9
	s_cbranch_scc0 .LBB215_2829
; %bb.2828:
	v_cndmask_b32_e64 v0, 0, 1, s4
	v_mov_b32_e32 v6, 0
	s_mov_b32 s0, 0
	s_delay_alu instid0(VALU_DEP_2) | instskip(NEXT) | instid1(VALU_DEP_2)
	v_cvt_f64_u32_e32 v[4:5], v0
	v_mov_b32_e32 v7, v6
	global_store_b128 v[2:3], v[4:7], off
.LBB215_2829:
	s_and_not1_b32 vcc_lo, exec_lo, s0
	s_cbranch_vccnz .LBB215_2831
; %bb.2830:
	v_cndmask_b32_e64 v0, 0, 1.0, s4
	v_mov_b32_e32 v1, 0
	global_store_b64 v[2:3], v[0:1], off
.LBB215_2831:
	s_mov_b32 s0, 0
.LBB215_2832:
	s_delay_alu instid0(SALU_CYCLE_1)
	s_and_not1_b32 vcc_lo, exec_lo, s0
	s_cbranch_vccnz .LBB215_2834
; %bb.2833:
	s_wait_xcnt 0x0
	v_cndmask_b32_e64 v0, 0, 1.0, s4
	s_delay_alu instid0(VALU_DEP_1) | instskip(NEXT) | instid1(VALU_DEP_1)
	v_cvt_f16_f32_e32 v0, v0
	v_and_b32_e32 v0, 0xffff, v0
	global_store_b32 v[2:3], v0, off
.LBB215_2834:
	s_mov_b32 s0, 0
.LBB215_2835:
	s_delay_alu instid0(SALU_CYCLE_1)
	s_and_not1_b32 vcc_lo, exec_lo, s0
	s_cbranch_vccnz .LBB215_2844
; %bb.2836:
	s_sext_i32_i16 s1, s7
	s_mov_b32 s0, -1
	s_cmp_lt_i32 s1, 6
	s_cbranch_scc1 .LBB215_2842
; %bb.2837:
	s_cmp_gt_i32 s1, 6
	s_cbranch_scc0 .LBB215_2839
; %bb.2838:
	s_wait_xcnt 0x0
	v_cndmask_b32_e64 v0, 0, 1, s4
	s_mov_b32 s0, 0
	s_delay_alu instid0(VALU_DEP_1)
	v_cvt_f64_u32_e32 v[0:1], v0
	global_store_b64 v[2:3], v[0:1], off
.LBB215_2839:
	s_and_not1_b32 vcc_lo, exec_lo, s0
	s_cbranch_vccnz .LBB215_2841
; %bb.2840:
	s_wait_xcnt 0x0
	v_cndmask_b32_e64 v0, 0, 1.0, s4
	global_store_b32 v[2:3], v0, off
.LBB215_2841:
	s_mov_b32 s0, 0
.LBB215_2842:
	s_delay_alu instid0(SALU_CYCLE_1)
	s_and_not1_b32 vcc_lo, exec_lo, s0
	s_cbranch_vccnz .LBB215_2844
; %bb.2843:
	s_wait_xcnt 0x0
	v_cndmask_b32_e64 v0, 0, 1.0, s4
	s_delay_alu instid0(VALU_DEP_1)
	v_cvt_f16_f32_e32 v0, v0
	global_store_b16 v[2:3], v0, off
.LBB215_2844:
	s_mov_b32 s0, 0
.LBB215_2845:
	s_delay_alu instid0(SALU_CYCLE_1)
	s_and_not1_b32 vcc_lo, exec_lo, s0
	s_cbranch_vccnz .LBB215_2821
; %bb.2846:
	s_sext_i32_i16 s1, s7
	s_mov_b32 s0, -1
	s_cmp_lt_i32 s1, 2
	s_cbranch_scc1 .LBB215_2856
; %bb.2847:
	s_cmp_lt_i32 s1, 3
	s_cbranch_scc1 .LBB215_2853
; %bb.2848:
	s_cmp_gt_i32 s1, 3
	s_cbranch_scc0 .LBB215_2850
; %bb.2849:
	s_mov_b32 s0, 0
	s_wait_xcnt 0x0
	v_cndmask_b32_e64 v0, 0, 1, s4
	v_mov_b32_e32 v1, s0
	global_store_b64 v[2:3], v[0:1], off
.LBB215_2850:
	s_and_not1_b32 vcc_lo, exec_lo, s0
	s_cbranch_vccnz .LBB215_2852
; %bb.2851:
	s_wait_xcnt 0x0
	v_cndmask_b32_e64 v0, 0, 1, s4
	global_store_b32 v[2:3], v0, off
.LBB215_2852:
	s_mov_b32 s0, 0
.LBB215_2853:
	s_delay_alu instid0(SALU_CYCLE_1)
	s_and_not1_b32 vcc_lo, exec_lo, s0
	s_cbranch_vccnz .LBB215_2855
; %bb.2854:
	s_wait_xcnt 0x0
	v_cndmask_b32_e64 v0, 0, 1, s4
	global_store_b16 v[2:3], v0, off
.LBB215_2855:
	s_mov_b32 s0, 0
.LBB215_2856:
	s_delay_alu instid0(SALU_CYCLE_1)
	s_and_not1_b32 vcc_lo, exec_lo, s0
	s_cbranch_vccnz .LBB215_2821
; %bb.2857:
	s_sext_i32_i16 s0, s7
	s_delay_alu instid0(SALU_CYCLE_1)
	s_cmp_gt_i32 s0, 0
	s_mov_b32 s0, -1
	s_cbranch_scc0 .LBB215_2859
; %bb.2858:
	s_wait_xcnt 0x0
	v_cndmask_b32_e64 v0, 0, 1, s4
	s_mov_b32 s0, 0
	global_store_b8 v[2:3], v0, off
.LBB215_2859:
	s_and_not1_b32 vcc_lo, exec_lo, s0
	s_cbranch_vccnz .LBB215_2821
; %bb.2860:
	s_wait_xcnt 0x0
	v_cndmask_b32_e64 v0, 0, 1, s4
	global_store_b8 v[2:3], v0, off
	s_endpgm
.LBB215_2861:
	s_mov_b32 s2, 0
	s_mov_b32 s0, -1
	s_branch .LBB215_2817
.LBB215_2862:
	s_mov_b32 s7, 0
	s_or_b32 s1, s1, exec_lo
	s_trap 2
	s_cbranch_execz .LBB215_2332
	s_branch .LBB215_2333
.LBB215_2863:
	s_or_b32 s1, s1, exec_lo
	s_trap 2
	s_cbranch_execz .LBB215_2462
	s_branch .LBB215_2463
.LBB215_2864:
	v_bfe_u32 v1, v3, 20, 1
	s_mov_b32 s18, exec_lo
	s_delay_alu instid0(VALU_DEP_1) | instskip(NEXT) | instid1(VALU_DEP_1)
	v_add3_u32 v1, v3, v1, 0x487ffff
                                        ; implicit-def: $vgpr3
	v_lshrrev_b32_e32 v1, 20, v1
	s_and_not1_saveexec_b32 s19, s19
	s_cbranch_execz .LBB215_2414
.LBB215_2865:
	v_add_f32_e32 v1, 0x46000000, v3
	s_and_not1_b32 s18, s18, exec_lo
	s_delay_alu instid0(VALU_DEP_1) | instskip(NEXT) | instid1(VALU_DEP_1)
	v_and_b32_e32 v1, 0xff, v1
	v_cmp_ne_u32_e32 vcc_lo, 0, v1
	s_and_b32 s20, vcc_lo, exec_lo
	s_delay_alu instid0(SALU_CYCLE_1)
	s_or_b32 s18, s18, s20
	s_or_b32 exec_lo, exec_lo, s19
	v_mov_b32_e32 v5, 0
	s_and_saveexec_b32 s19, s18
	s_cbranch_execnz .LBB215_2415
	s_branch .LBB215_2416
.LBB215_2866:
	s_or_b32 s1, s1, exec_lo
	s_trap 2
	s_cbranch_execz .LBB215_2578
	s_branch .LBB215_2579
.LBB215_2867:
	v_bfe_u32 v1, v3, 21, 1
	s_mov_b32 s14, exec_lo
	s_delay_alu instid0(VALU_DEP_1) | instskip(NEXT) | instid1(VALU_DEP_1)
	v_add3_u32 v1, v3, v1, 0x88fffff
                                        ; implicit-def: $vgpr3
	v_lshrrev_b32_e32 v1, 21, v1
	s_and_not1_saveexec_b32 s18, s18
	s_cbranch_execz .LBB215_2427
.LBB215_2868:
	v_add_f32_e32 v1, 0x42800000, v3
	s_and_not1_b32 s14, s14, exec_lo
	s_delay_alu instid0(VALU_DEP_1) | instskip(NEXT) | instid1(VALU_DEP_1)
	v_and_b32_e32 v1, 0xff, v1
	v_cmp_ne_u32_e32 vcc_lo, 0, v1
	s_and_b32 s19, vcc_lo, exec_lo
	s_delay_alu instid0(SALU_CYCLE_1)
	s_or_b32 s14, s14, s19
	s_or_b32 exec_lo, exec_lo, s18
	v_mov_b32_e32 v5, 0
	s_and_saveexec_b32 s18, s14
	s_cbranch_execnz .LBB215_2428
	s_branch .LBB215_2429
.LBB215_2869:
	v_bfe_u32 v1, v3, 20, 1
	s_mov_b32 s14, exec_lo
	s_delay_alu instid0(VALU_DEP_1) | instskip(NEXT) | instid1(VALU_DEP_1)
	v_add3_u32 v1, v3, v1, 0x487ffff
                                        ; implicit-def: $vgpr3
	v_lshrrev_b32_e32 v1, 20, v1
	s_and_not1_saveexec_b32 s16, s16
	s_cbranch_execz .LBB215_2530
.LBB215_2870:
	v_add_f32_e32 v1, 0x46000000, v3
	s_and_not1_b32 s14, s14, exec_lo
	s_delay_alu instid0(VALU_DEP_1) | instskip(NEXT) | instid1(VALU_DEP_1)
	v_and_b32_e32 v1, 0xff, v1
	v_cmp_ne_u32_e32 vcc_lo, 0, v1
	s_and_b32 s18, vcc_lo, exec_lo
	s_delay_alu instid0(SALU_CYCLE_1)
	s_or_b32 s14, s14, s18
	s_or_b32 exec_lo, exec_lo, s16
	v_mov_b32_e32 v6, 0
	s_and_saveexec_b32 s16, s14
	s_cbranch_execnz .LBB215_2531
	s_branch .LBB215_2532
.LBB215_2871:
	s_or_b32 s1, s1, exec_lo
	s_trap 2
	s_cbranch_execz .LBB215_2697
	s_branch .LBB215_2698
.LBB215_2872:
	v_bfe_u32 v1, v3, 21, 1
	s_mov_b32 s13, exec_lo
	s_delay_alu instid0(VALU_DEP_1) | instskip(NEXT) | instid1(VALU_DEP_1)
	v_add3_u32 v1, v3, v1, 0x88fffff
                                        ; implicit-def: $vgpr3
	v_lshrrev_b32_e32 v1, 21, v1
	s_and_not1_saveexec_b32 s14, s14
	s_cbranch_execz .LBB215_2543
.LBB215_2873:
	v_add_f32_e32 v1, 0x42800000, v3
	s_and_not1_b32 s13, s13, exec_lo
	s_delay_alu instid0(VALU_DEP_1) | instskip(NEXT) | instid1(VALU_DEP_1)
	v_and_b32_e32 v1, 0xff, v1
	v_cmp_ne_u32_e32 vcc_lo, 0, v1
	s_and_b32 s16, vcc_lo, exec_lo
	s_delay_alu instid0(SALU_CYCLE_1)
	s_or_b32 s13, s13, s16
	s_or_b32 exec_lo, exec_lo, s14
	v_mov_b32_e32 v6, 0
	s_and_saveexec_b32 s14, s13
	s_cbranch_execnz .LBB215_2544
	s_branch .LBB215_2545
.LBB215_2874:
	v_bfe_u32 v1, v4, 20, 1
	s_mov_b32 s14, exec_lo
	s_delay_alu instid0(VALU_DEP_1) | instskip(NEXT) | instid1(VALU_DEP_1)
	v_add3_u32 v1, v4, v1, 0x487ffff
                                        ; implicit-def: $vgpr4
	v_lshrrev_b32_e32 v1, 20, v1
	s_and_not1_saveexec_b32 s15, s15
	s_cbranch_execz .LBB215_2649
.LBB215_2875:
	v_add_f32_e32 v1, 0x46000000, v4
	s_and_not1_b32 s14, s14, exec_lo
	s_delay_alu instid0(VALU_DEP_1) | instskip(NEXT) | instid1(VALU_DEP_1)
	v_and_b32_e32 v1, 0xff, v1
	v_cmp_ne_u32_e32 vcc_lo, 0, v1
	s_and_b32 s16, vcc_lo, exec_lo
	s_delay_alu instid0(SALU_CYCLE_1)
	s_or_b32 s14, s14, s16
	s_or_b32 exec_lo, exec_lo, s15
	v_mov_b32_e32 v5, 0
	s_and_saveexec_b32 s15, s14
	s_cbranch_execnz .LBB215_2650
	s_branch .LBB215_2651
.LBB215_2876:
	s_mov_b32 s2, 0
	s_or_b32 s1, s1, exec_lo
	s_trap 2
	s_branch .LBB215_2815
.LBB215_2877:
	v_bfe_u32 v1, v4, 21, 1
	s_mov_b32 s13, exec_lo
	s_delay_alu instid0(VALU_DEP_1) | instskip(NEXT) | instid1(VALU_DEP_1)
	v_add3_u32 v1, v4, v1, 0x88fffff
                                        ; implicit-def: $vgpr4
	v_lshrrev_b32_e32 v1, 21, v1
	s_and_not1_saveexec_b32 s14, s14
	s_cbranch_execz .LBB215_2662
.LBB215_2878:
	v_add_f32_e32 v1, 0x42800000, v4
	s_and_not1_b32 s13, s13, exec_lo
	s_delay_alu instid0(VALU_DEP_1) | instskip(NEXT) | instid1(VALU_DEP_1)
	v_and_b32_e32 v1, 0xff, v1
	v_cmp_ne_u32_e32 vcc_lo, 0, v1
	s_and_b32 s15, vcc_lo, exec_lo
	s_delay_alu instid0(SALU_CYCLE_1)
	s_or_b32 s13, s13, s15
	s_or_b32 exec_lo, exec_lo, s14
	v_mov_b32_e32 v5, 0
	s_and_saveexec_b32 s14, s13
	s_cbranch_execnz .LBB215_2663
	s_branch .LBB215_2664
.LBB215_2879:
	v_bfe_u32 v0, v1, 20, 1
	s_mov_b32 s6, exec_lo
	s_delay_alu instid0(VALU_DEP_1) | instskip(NEXT) | instid1(VALU_DEP_1)
	v_add3_u32 v0, v1, v0, 0x487ffff
                                        ; implicit-def: $vgpr1
	v_lshrrev_b32_e32 v0, 20, v0
	s_and_not1_saveexec_b32 s8, s8
	s_cbranch_execz .LBB215_2769
.LBB215_2880:
	v_add_f32_e32 v0, 0x46000000, v1
	s_and_not1_b32 s6, s6, exec_lo
	s_delay_alu instid0(VALU_DEP_1) | instskip(NEXT) | instid1(VALU_DEP_1)
	v_and_b32_e32 v0, 0xff, v0
	v_cmp_ne_u32_e32 vcc_lo, 0, v0
	s_and_b32 s9, vcc_lo, exec_lo
	s_delay_alu instid0(SALU_CYCLE_1)
	s_or_b32 s6, s6, s9
	s_or_b32 exec_lo, exec_lo, s8
	v_mov_b32_e32 v4, 0
	s_and_saveexec_b32 s8, s6
	s_cbranch_execnz .LBB215_2770
	s_branch .LBB215_2771
.LBB215_2881:
	v_bfe_u32 v0, v1, 21, 1
	s_mov_b32 s5, exec_lo
	s_delay_alu instid0(VALU_DEP_1) | instskip(NEXT) | instid1(VALU_DEP_1)
	v_add3_u32 v0, v1, v0, 0x88fffff
                                        ; implicit-def: $vgpr1
	v_lshrrev_b32_e32 v0, 21, v0
	s_and_not1_saveexec_b32 s6, s6
	s_cbranch_execz .LBB215_2781
.LBB215_2882:
	v_add_f32_e32 v0, 0x42800000, v1
	s_and_not1_b32 s5, s5, exec_lo
	s_delay_alu instid0(VALU_DEP_1) | instskip(NEXT) | instid1(VALU_DEP_1)
	v_and_b32_e32 v0, 0xff, v0
	v_cmp_ne_u32_e32 vcc_lo, 0, v0
	s_and_b32 s8, vcc_lo, exec_lo
	s_delay_alu instid0(SALU_CYCLE_1)
	s_or_b32 s5, s5, s8
	s_or_b32 exec_lo, exec_lo, s6
	v_mov_b32_e32 v4, 0
	s_and_saveexec_b32 s6, s5
	s_cbranch_execnz .LBB215_2782
	s_branch .LBB215_2783
	.section	.rodata,"a",@progbits
	.p2align	6, 0x0
	.amdhsa_kernel _ZN2at6native32elementwise_kernel_manual_unrollILi128ELi4EZNS0_15gpu_kernel_implINS0_13BinaryFunctorIbbbNS0_12_GLOBAL__N_116CompareEqFunctorIbEEEEEEvRNS_18TensorIteratorBaseERKT_EUlibE0_EEviT1_
		.amdhsa_group_segment_fixed_size 0
		.amdhsa_private_segment_fixed_size 0
		.amdhsa_kernarg_size 432
		.amdhsa_user_sgpr_count 2
		.amdhsa_user_sgpr_dispatch_ptr 0
		.amdhsa_user_sgpr_queue_ptr 0
		.amdhsa_user_sgpr_kernarg_segment_ptr 1
		.amdhsa_user_sgpr_dispatch_id 0
		.amdhsa_user_sgpr_kernarg_preload_length 0
		.amdhsa_user_sgpr_kernarg_preload_offset 0
		.amdhsa_user_sgpr_private_segment_size 0
		.amdhsa_wavefront_size32 1
		.amdhsa_uses_dynamic_stack 0
		.amdhsa_enable_private_segment 0
		.amdhsa_system_sgpr_workgroup_id_x 1
		.amdhsa_system_sgpr_workgroup_id_y 0
		.amdhsa_system_sgpr_workgroup_id_z 0
		.amdhsa_system_sgpr_workgroup_info 0
		.amdhsa_system_vgpr_workitem_id 0
		.amdhsa_next_free_vgpr 28
		.amdhsa_next_free_sgpr 60
		.amdhsa_named_barrier_count 0
		.amdhsa_reserve_vcc 1
		.amdhsa_float_round_mode_32 0
		.amdhsa_float_round_mode_16_64 0
		.amdhsa_float_denorm_mode_32 3
		.amdhsa_float_denorm_mode_16_64 3
		.amdhsa_fp16_overflow 0
		.amdhsa_memory_ordered 1
		.amdhsa_forward_progress 1
		.amdhsa_inst_pref_size 255
		.amdhsa_round_robin_scheduling 0
		.amdhsa_exception_fp_ieee_invalid_op 0
		.amdhsa_exception_fp_denorm_src 0
		.amdhsa_exception_fp_ieee_div_zero 0
		.amdhsa_exception_fp_ieee_overflow 0
		.amdhsa_exception_fp_ieee_underflow 0
		.amdhsa_exception_fp_ieee_inexact 0
		.amdhsa_exception_int_div_zero 0
	.end_amdhsa_kernel
	.section	.text._ZN2at6native32elementwise_kernel_manual_unrollILi128ELi4EZNS0_15gpu_kernel_implINS0_13BinaryFunctorIbbbNS0_12_GLOBAL__N_116CompareEqFunctorIbEEEEEEvRNS_18TensorIteratorBaseERKT_EUlibE0_EEviT1_,"axG",@progbits,_ZN2at6native32elementwise_kernel_manual_unrollILi128ELi4EZNS0_15gpu_kernel_implINS0_13BinaryFunctorIbbbNS0_12_GLOBAL__N_116CompareEqFunctorIbEEEEEEvRNS_18TensorIteratorBaseERKT_EUlibE0_EEviT1_,comdat
.Lfunc_end215:
	.size	_ZN2at6native32elementwise_kernel_manual_unrollILi128ELi4EZNS0_15gpu_kernel_implINS0_13BinaryFunctorIbbbNS0_12_GLOBAL__N_116CompareEqFunctorIbEEEEEEvRNS_18TensorIteratorBaseERKT_EUlibE0_EEviT1_, .Lfunc_end215-_ZN2at6native32elementwise_kernel_manual_unrollILi128ELi4EZNS0_15gpu_kernel_implINS0_13BinaryFunctorIbbbNS0_12_GLOBAL__N_116CompareEqFunctorIbEEEEEEvRNS_18TensorIteratorBaseERKT_EUlibE0_EEviT1_
                                        ; -- End function
	.set _ZN2at6native32elementwise_kernel_manual_unrollILi128ELi4EZNS0_15gpu_kernel_implINS0_13BinaryFunctorIbbbNS0_12_GLOBAL__N_116CompareEqFunctorIbEEEEEEvRNS_18TensorIteratorBaseERKT_EUlibE0_EEviT1_.num_vgpr, 28
	.set _ZN2at6native32elementwise_kernel_manual_unrollILi128ELi4EZNS0_15gpu_kernel_implINS0_13BinaryFunctorIbbbNS0_12_GLOBAL__N_116CompareEqFunctorIbEEEEEEvRNS_18TensorIteratorBaseERKT_EUlibE0_EEviT1_.num_agpr, 0
	.set _ZN2at6native32elementwise_kernel_manual_unrollILi128ELi4EZNS0_15gpu_kernel_implINS0_13BinaryFunctorIbbbNS0_12_GLOBAL__N_116CompareEqFunctorIbEEEEEEvRNS_18TensorIteratorBaseERKT_EUlibE0_EEviT1_.numbered_sgpr, 60
	.set _ZN2at6native32elementwise_kernel_manual_unrollILi128ELi4EZNS0_15gpu_kernel_implINS0_13BinaryFunctorIbbbNS0_12_GLOBAL__N_116CompareEqFunctorIbEEEEEEvRNS_18TensorIteratorBaseERKT_EUlibE0_EEviT1_.num_named_barrier, 0
	.set _ZN2at6native32elementwise_kernel_manual_unrollILi128ELi4EZNS0_15gpu_kernel_implINS0_13BinaryFunctorIbbbNS0_12_GLOBAL__N_116CompareEqFunctorIbEEEEEEvRNS_18TensorIteratorBaseERKT_EUlibE0_EEviT1_.private_seg_size, 0
	.set _ZN2at6native32elementwise_kernel_manual_unrollILi128ELi4EZNS0_15gpu_kernel_implINS0_13BinaryFunctorIbbbNS0_12_GLOBAL__N_116CompareEqFunctorIbEEEEEEvRNS_18TensorIteratorBaseERKT_EUlibE0_EEviT1_.uses_vcc, 1
	.set _ZN2at6native32elementwise_kernel_manual_unrollILi128ELi4EZNS0_15gpu_kernel_implINS0_13BinaryFunctorIbbbNS0_12_GLOBAL__N_116CompareEqFunctorIbEEEEEEvRNS_18TensorIteratorBaseERKT_EUlibE0_EEviT1_.uses_flat_scratch, 0
	.set _ZN2at6native32elementwise_kernel_manual_unrollILi128ELi4EZNS0_15gpu_kernel_implINS0_13BinaryFunctorIbbbNS0_12_GLOBAL__N_116CompareEqFunctorIbEEEEEEvRNS_18TensorIteratorBaseERKT_EUlibE0_EEviT1_.has_dyn_sized_stack, 0
	.set _ZN2at6native32elementwise_kernel_manual_unrollILi128ELi4EZNS0_15gpu_kernel_implINS0_13BinaryFunctorIbbbNS0_12_GLOBAL__N_116CompareEqFunctorIbEEEEEEvRNS_18TensorIteratorBaseERKT_EUlibE0_EEviT1_.has_recursion, 0
	.set _ZN2at6native32elementwise_kernel_manual_unrollILi128ELi4EZNS0_15gpu_kernel_implINS0_13BinaryFunctorIbbbNS0_12_GLOBAL__N_116CompareEqFunctorIbEEEEEEvRNS_18TensorIteratorBaseERKT_EUlibE0_EEviT1_.has_indirect_call, 0
	.section	.AMDGPU.csdata,"",@progbits
; Kernel info:
; codeLenInByte = 49424
; TotalNumSgprs: 62
; NumVgprs: 28
; ScratchSize: 0
; MemoryBound: 1
; FloatMode: 240
; IeeeMode: 1
; LDSByteSize: 0 bytes/workgroup (compile time only)
; SGPRBlocks: 0
; VGPRBlocks: 1
; NumSGPRsForWavesPerEU: 62
; NumVGPRsForWavesPerEU: 28
; NamedBarCnt: 0
; Occupancy: 16
; WaveLimiterHint : 1
; COMPUTE_PGM_RSRC2:SCRATCH_EN: 0
; COMPUTE_PGM_RSRC2:USER_SGPR: 2
; COMPUTE_PGM_RSRC2:TRAP_HANDLER: 0
; COMPUTE_PGM_RSRC2:TGID_X_EN: 1
; COMPUTE_PGM_RSRC2:TGID_Y_EN: 0
; COMPUTE_PGM_RSRC2:TGID_Z_EN: 0
; COMPUTE_PGM_RSRC2:TIDIG_COMP_CNT: 0
	.section	.text._ZN2at6native29vectorized_elementwise_kernelILi16ENS0_13AUnaryFunctorIbbbNS0_12_GLOBAL__N_116CompareEqFunctorIbEEEESt5arrayIPcLm2EEEEviT0_T1_,"axG",@progbits,_ZN2at6native29vectorized_elementwise_kernelILi16ENS0_13AUnaryFunctorIbbbNS0_12_GLOBAL__N_116CompareEqFunctorIbEEEESt5arrayIPcLm2EEEEviT0_T1_,comdat
	.globl	_ZN2at6native29vectorized_elementwise_kernelILi16ENS0_13AUnaryFunctorIbbbNS0_12_GLOBAL__N_116CompareEqFunctorIbEEEESt5arrayIPcLm2EEEEviT0_T1_ ; -- Begin function _ZN2at6native29vectorized_elementwise_kernelILi16ENS0_13AUnaryFunctorIbbbNS0_12_GLOBAL__N_116CompareEqFunctorIbEEEESt5arrayIPcLm2EEEEviT0_T1_
	.p2align	8
	.type	_ZN2at6native29vectorized_elementwise_kernelILi16ENS0_13AUnaryFunctorIbbbNS0_12_GLOBAL__N_116CompareEqFunctorIbEEEESt5arrayIPcLm2EEEEviT0_T1_,@function
_ZN2at6native29vectorized_elementwise_kernelILi16ENS0_13AUnaryFunctorIbbbNS0_12_GLOBAL__N_116CompareEqFunctorIbEEEESt5arrayIPcLm2EEEEviT0_T1_: ; @_ZN2at6native29vectorized_elementwise_kernelILi16ENS0_13AUnaryFunctorIbbbNS0_12_GLOBAL__N_116CompareEqFunctorIbEEEESt5arrayIPcLm2EEEEviT0_T1_
; %bb.0:
	s_clause 0x1
	s_load_b96 s[20:22], s[0:1], 0x0
	s_load_b128 s[16:19], s[0:1], 0x10
	s_wait_xcnt 0x0
	s_bfe_u32 s0, ttmp6, 0x4000c
	s_and_b32 s1, ttmp6, 15
	s_add_co_i32 s0, s0, 1
	s_getreg_b32 s2, hwreg(HW_REG_IB_STS2, 6, 4)
	s_mul_i32 s0, ttmp9, s0
	s_delay_alu instid0(SALU_CYCLE_1) | instskip(SKIP_2) | instid1(SALU_CYCLE_1)
	s_add_co_i32 s1, s1, s0
	s_cmp_eq_u32 s2, 0
	s_cselect_b32 s0, ttmp9, s1
	s_lshl_b32 s24, s0, 12
	s_mov_b32 s0, -1
	s_wait_kmcnt 0x0
	s_sub_co_i32 s15, s20, s24
	s_delay_alu instid0(SALU_CYCLE_1)
	s_cmp_gt_i32 s15, 0xfff
	s_cbranch_scc0 .LBB216_2
; %bb.1:
	s_bitcmp1_b32 s22, 0
	s_cselect_b32 s20, -1, 0
	s_ashr_i32 s25, s24, 31
	s_cmp_eq_u32 s21, 0
	s_add_nc_u64 s[0:1], s[18:19], s[24:25]
	s_cselect_b32 s23, -1, 0
	global_load_b128 v[2:5], v0, s[0:1] scale_offset
	s_wait_loadcnt 0x0
	v_and_b32_e32 v1, 0xff, v2
	v_dual_lshrrev_b32 v6, 8, v2 :: v_dual_lshrrev_b32 v7, 16, v2
	v_dual_lshrrev_b32 v2, 24, v2 :: v_dual_lshrrev_b32 v9, 8, v3
	v_and_b32_e32 v8, 0xff, v3
	v_dual_lshrrev_b32 v10, 16, v3 :: v_dual_lshrrev_b32 v3, 24, v3
	s_delay_alu instid0(VALU_DEP_3) | instskip(SKIP_1) | instid1(VALU_DEP_4)
	v_cmp_ne_u16_e64 s0, 0, v2
	v_and_b32_e32 v11, 0xff, v4
	v_cmp_ne_u16_e64 s1, 0, v8
	v_dual_lshrrev_b32 v12, 8, v4 :: v_dual_lshrrev_b32 v13, 16, v4
	v_dual_lshrrev_b32 v4, 24, v4 :: v_dual_lshrrev_b32 v15, 8, v5
	v_cmp_ne_u16_e64 s2, 0, v3
	v_and_b32_e32 v14, 0xff, v5
	s_xor_b32 s0, s0, s20
	v_cmp_ne_u16_e64 s3, 0, v11
	v_dual_lshrrev_b32 v16, 16, v5 :: v_dual_lshrrev_b32 v5, 24, v5
	s_xor_b32 s1, s1, s20
	s_xor_b32 s0, s23, s0
	v_cmp_ne_u16_e64 s4, 0, v4
	s_xor_b32 s2, s2, s20
	v_cndmask_b32_e64 v2, 0, 1, s0
	s_xor_b32 s0, s23, s1
	v_cmp_ne_u16_e64 s5, 0, v14
	v_and_b32_e32 v6, 0xff, v6
	s_xor_b32 s3, s3, s20
	v_cndmask_b32_e64 v3, 0, 1, s0
	s_xor_b32 s0, s23, s2
	v_cmp_ne_u16_e64 s6, 0, v5
	v_and_b32_e32 v7, 0xff, v7
	s_xor_b32 s4, s4, s20
	v_cndmask_b32_e64 v4, 0, 1, s0
	s_xor_b32 s0, s23, s3
	v_and_b32_e32 v9, 0xff, v9
	s_xor_b32 s5, s5, s20
	v_cndmask_b32_e64 v5, 0, 1, s0
	s_xor_b32 s0, s23, s4
	v_cmp_ne_u16_e64 s7, 0, v6
	v_and_b32_e32 v10, 0xff, v10
	s_xor_b32 s6, s6, s20
	v_cndmask_b32_e64 v6, 0, 1, s0
	s_xor_b32 s0, s23, s5
	v_cmp_ne_u16_e64 s8, 0, v7
	v_and_b32_e32 v12, 0xff, v12
	v_cndmask_b32_e64 v7, 0, 1, s0
	s_xor_b32 s0, s23, s6
	v_cmp_ne_u16_e64 s9, 0, v9
	v_and_b32_e32 v13, 0xff, v13
	;; [unrolled: 4-line block ×3, first 2 shown]
	s_xor_b32 s1, s8, s20
	s_xor_b32 s0, s23, s0
	v_cmp_ne_u16_e64 s11, 0, v12
	s_xor_b32 s2, s9, s20
	v_cndmask_b32_e64 v9, 0, 1, s0
	s_xor_b32 s0, s23, s1
	v_cmp_ne_u16_e64 s12, 0, v13
	s_xor_b32 s3, s10, s20
	v_cndmask_b32_e64 v10, 0, 1, s0
	s_xor_b32 s0, s23, s2
	v_and_b32_e32 v16, 0xff, v16
	v_cmp_ne_u16_e64 s13, 0, v15
	s_xor_b32 s4, s11, s20
	v_cndmask_b32_e64 v11, 0, 1, s0
	s_xor_b32 s0, s23, s3
	s_xor_b32 s5, s12, s20
	v_cndmask_b32_e64 v12, 0, 1, s0
	s_xor_b32 s0, s23, s4
	v_cmp_ne_u16_e32 vcc_lo, 0, v1
	v_cmp_ne_u16_e64 s14, 0, v16
	s_xor_b32 s6, s13, s20
	v_cndmask_b32_e64 v13, 0, 1, s0
	s_xor_b32 s0, s23, s5
	s_xor_b32 s26, vcc_lo, s20
	v_cndmask_b32_e64 v14, 0, 1, s0
	s_xor_b32 s0, s23, s6
	s_xor_b32 s7, s14, s20
	v_cndmask_b32_e64 v15, 0, 1, s0
	s_xor_b32 s26, s23, s26
	s_xor_b32 s0, s23, s7
	v_cndmask_b32_e64 v1, 0, 1, s26
	v_cndmask_b32_e64 v16, 0, 1, s0
	v_lshlrev_b16 v8, 8, v8
	v_lshlrev_b16 v6, 8, v6
	;; [unrolled: 1-line block ×8, first 2 shown]
	v_or_b32_e32 v6, v14, v6
	v_or_b32_e32 v8, v16, v8
	v_or_b32_e32 v2, v10, v2
	v_or_b32_e32 v4, v12, v4
	v_or_b32_e32 v7, v7, v15
	v_or_b32_e32 v5, v5, v13
	v_or_b32_e32 v3, v3, v11
	v_dual_lshlrev_b32 v6, 16, v6 :: v_dual_bitop2_b32 v1, v1, v9 bitop3:0x54
	v_dual_lshlrev_b32 v8, 16, v8 :: v_dual_lshlrev_b32 v2, 16, v2
	v_lshlrev_b32_e32 v10, 16, v4
	v_and_b32_e32 v4, 0xffff, v7
	v_and_b32_e32 v7, 0xffff, v5
	;; [unrolled: 1-line block ×4, first 2 shown]
	s_add_nc_u64 s[2:3], s[16:17], s[24:25]
	v_or_b32_e32 v5, v4, v8
	v_or_b32_e32 v4, v7, v6
	;; [unrolled: 1-line block ×4, first 2 shown]
	s_mov_b32 s0, 0
	global_store_b128 v0, v[2:5], s[2:3] scale_offset
.LBB216_2:
	s_and_not1_b32 vcc_lo, exec_lo, s0
	s_cbranch_vccnz .LBB216_52
; %bb.3:
	v_cmp_gt_i32_e32 vcc_lo, s15, v0
	s_wait_xcnt 0x0
	v_dual_mov_b32 v4, 0 :: v_dual_bitop2_b32 v1, s24, v0 bitop3:0x54
	v_or_b32_e32 v2, 0x100, v0
	v_dual_mov_b32 v9, 0 :: v_dual_mov_b32 v17, v0
	s_and_saveexec_b32 s1, vcc_lo
	s_cbranch_execz .LBB216_5
; %bb.4:
	global_load_u8 v3, v1, s[18:19]
	v_or_b32_e32 v17, 0x100, v0
	s_wait_loadcnt 0x0
	v_cmp_ne_u16_e64 s0, 0, v3
	s_delay_alu instid0(VALU_DEP_1)
	v_cndmask_b32_e64 v9, 0, 1, s0
.LBB216_5:
	s_wait_xcnt 0x0
	s_or_b32 exec_lo, exec_lo, s1
	s_delay_alu instid0(SALU_CYCLE_1)
	s_mov_b32 s1, exec_lo
	v_cmpx_gt_i32_e64 s15, v17
	s_cbranch_execz .LBB216_7
; %bb.6:
	v_add_nc_u32_e32 v3, s24, v17
	v_add_nc_u32_e32 v17, 0x100, v17
	global_load_u8 v3, v3, s[18:19]
	s_wait_loadcnt 0x0
	v_cmp_ne_u16_e64 s0, 0, v3
	s_delay_alu instid0(VALU_DEP_1)
	v_cndmask_b32_e64 v4, 0, 1, s0
.LBB216_7:
	s_wait_xcnt 0x0
	s_or_b32 exec_lo, exec_lo, s1
	v_dual_mov_b32 v3, 0 :: v_dual_mov_b32 v5, 0
	s_mov_b32 s1, exec_lo
	v_cmpx_gt_i32_e64 s15, v17
	s_cbranch_execz .LBB216_9
; %bb.8:
	v_add_nc_u32_e32 v5, s24, v17
	v_add_nc_u32_e32 v17, 0x100, v17
	global_load_u8 v5, v5, s[18:19]
	s_wait_loadcnt 0x0
	v_cmp_ne_u16_e64 s0, 0, v5
	s_wait_xcnt 0x0
	s_delay_alu instid0(VALU_DEP_1)
	v_cndmask_b32_e64 v5, 0, 1, s0
.LBB216_9:
	s_or_b32 exec_lo, exec_lo, s1
	s_delay_alu instid0(SALU_CYCLE_1)
	s_mov_b32 s1, exec_lo
	v_cmpx_gt_i32_e64 s15, v17
	s_cbranch_execz .LBB216_11
; %bb.10:
	v_add_nc_u32_e32 v3, s24, v17
	v_add_nc_u32_e32 v17, 0x100, v17
	global_load_u8 v3, v3, s[18:19]
	s_wait_loadcnt 0x0
	v_cmp_ne_u16_e64 s0, 0, v3
	s_wait_xcnt 0x0
	s_delay_alu instid0(VALU_DEP_1)
	v_cndmask_b32_e64 v3, 0, 1, s0
.LBB216_11:
	s_or_b32 exec_lo, exec_lo, s1
	v_dual_mov_b32 v11, 0 :: v_dual_mov_b32 v15, 0
	s_mov_b32 s1, exec_lo
	v_cmpx_gt_i32_e64 s15, v17
	s_cbranch_execz .LBB216_13
; %bb.12:
	v_add_nc_u32_e32 v6, s24, v17
	v_add_nc_u32_e32 v17, 0x100, v17
	global_load_u8 v6, v6, s[18:19]
	s_wait_loadcnt 0x0
	v_cmp_ne_u16_e64 s0, 0, v6
	s_delay_alu instid0(VALU_DEP_1)
	v_cndmask_b32_e64 v15, 0, 1, s0
.LBB216_13:
	s_wait_xcnt 0x0
	s_or_b32 exec_lo, exec_lo, s1
	s_delay_alu instid0(SALU_CYCLE_1)
	s_mov_b32 s1, exec_lo
	v_cmpx_gt_i32_e64 s15, v17
	s_cbranch_execz .LBB216_15
; %bb.14:
	v_add_nc_u32_e32 v6, s24, v17
	v_add_nc_u32_e32 v17, 0x100, v17
	global_load_u8 v6, v6, s[18:19]
	s_wait_loadcnt 0x0
	v_cmp_ne_u16_e64 s0, 0, v6
	s_delay_alu instid0(VALU_DEP_1)
	v_cndmask_b32_e64 v11, 0, 1, s0
.LBB216_15:
	s_wait_xcnt 0x0
	s_or_b32 exec_lo, exec_lo, s1
	v_dual_mov_b32 v10, 0 :: v_dual_mov_b32 v13, 0
	s_mov_b32 s1, exec_lo
	v_cmpx_gt_i32_e64 s15, v17
	s_cbranch_execz .LBB216_17
; %bb.16:
	v_add_nc_u32_e32 v6, s24, v17
	v_add_nc_u32_e32 v17, 0x100, v17
	global_load_u8 v6, v6, s[18:19]
	s_wait_loadcnt 0x0
	v_cmp_ne_u16_e64 s0, 0, v6
	s_delay_alu instid0(VALU_DEP_1)
	v_cndmask_b32_e64 v13, 0, 1, s0
.LBB216_17:
	s_wait_xcnt 0x0
	s_or_b32 exec_lo, exec_lo, s1
	s_delay_alu instid0(SALU_CYCLE_1)
	s_mov_b32 s1, exec_lo
	v_cmpx_gt_i32_e64 s15, v17
	s_cbranch_execz .LBB216_19
; %bb.18:
	v_add_nc_u32_e32 v6, s24, v17
	v_add_nc_u32_e32 v17, 0x100, v17
	global_load_u8 v6, v6, s[18:19]
	s_wait_loadcnt 0x0
	v_cmp_ne_u16_e64 s0, 0, v6
	s_delay_alu instid0(VALU_DEP_1)
	v_cndmask_b32_e64 v10, 0, 1, s0
.LBB216_19:
	s_wait_xcnt 0x0
	s_or_b32 exec_lo, exec_lo, s1
	v_dual_mov_b32 v6, 0 :: v_dual_mov_b32 v12, 0
	s_mov_b32 s1, exec_lo
	v_cmpx_gt_i32_e64 s15, v17
	s_cbranch_execz .LBB216_21
; %bb.20:
	v_add_nc_u32_e32 v7, s24, v17
	v_add_nc_u32_e32 v17, 0x100, v17
	global_load_u8 v7, v7, s[18:19]
	s_wait_loadcnt 0x0
	v_cmp_ne_u16_e64 s0, 0, v7
	s_delay_alu instid0(VALU_DEP_1)
	v_cndmask_b32_e64 v12, 0, 1, s0
.LBB216_21:
	s_wait_xcnt 0x0
	s_or_b32 exec_lo, exec_lo, s1
	s_delay_alu instid0(SALU_CYCLE_1)
	s_mov_b32 s1, exec_lo
	v_cmpx_gt_i32_e64 s15, v17
	s_cbranch_execz .LBB216_23
; %bb.22:
	v_add_nc_u32_e32 v6, s24, v17
	v_add_nc_u32_e32 v17, 0x100, v17
	global_load_u8 v6, v6, s[18:19]
	s_wait_loadcnt 0x0
	v_cmp_ne_u16_e64 s0, 0, v6
	s_wait_xcnt 0x0
	s_delay_alu instid0(VALU_DEP_1)
	v_cndmask_b32_e64 v6, 0, 1, s0
.LBB216_23:
	s_or_b32 exec_lo, exec_lo, s1
	v_dual_mov_b32 v7, 0 :: v_dual_mov_b32 v8, 0
	s_mov_b32 s1, exec_lo
	v_cmpx_gt_i32_e64 s15, v17
	s_cbranch_execz .LBB216_25
; %bb.24:
	v_add_nc_u32_e32 v8, s24, v17
	v_add_nc_u32_e32 v17, 0x100, v17
	global_load_u8 v8, v8, s[18:19]
	s_wait_loadcnt 0x0
	v_cmp_ne_u16_e64 s0, 0, v8
	s_wait_xcnt 0x0
	s_delay_alu instid0(VALU_DEP_1)
	v_cndmask_b32_e64 v8, 0, 1, s0
.LBB216_25:
	s_or_b32 exec_lo, exec_lo, s1
	s_delay_alu instid0(SALU_CYCLE_1)
	s_mov_b32 s1, exec_lo
	v_cmpx_gt_i32_e64 s15, v17
	s_cbranch_execz .LBB216_27
; %bb.26:
	v_add_nc_u32_e32 v7, s24, v17
	v_add_nc_u32_e32 v17, 0x100, v17
	global_load_u8 v7, v7, s[18:19]
	s_wait_loadcnt 0x0
	v_cmp_ne_u16_e64 s0, 0, v7
	s_wait_xcnt 0x0
	s_delay_alu instid0(VALU_DEP_1)
	v_cndmask_b32_e64 v7, 0, 1, s0
.LBB216_27:
	s_or_b32 exec_lo, exec_lo, s1
	v_dual_mov_b32 v16, 0 :: v_dual_mov_b32 v18, 0
	s_mov_b32 s1, exec_lo
	v_cmpx_gt_i32_e64 s15, v17
	s_cbranch_execz .LBB216_29
; %bb.28:
	v_add_nc_u32_e32 v14, s24, v17
	v_add_nc_u32_e32 v17, 0x100, v17
	global_load_u8 v14, v14, s[18:19]
	s_wait_loadcnt 0x0
	v_cmp_ne_u16_e64 s0, 0, v14
	s_delay_alu instid0(VALU_DEP_1)
	v_cndmask_b32_e64 v18, 0, 1, s0
.LBB216_29:
	s_wait_xcnt 0x0
	s_or_b32 exec_lo, exec_lo, s1
	s_delay_alu instid0(SALU_CYCLE_1)
	s_mov_b32 s1, exec_lo
	v_cmpx_gt_i32_e64 s15, v17
	s_cbranch_execz .LBB216_31
; %bb.30:
	v_add_nc_u32_e32 v14, s24, v17
	v_add_nc_u32_e32 v17, 0x100, v17
	global_load_u8 v14, v14, s[18:19]
	s_wait_loadcnt 0x0
	v_cmp_ne_u16_e64 s0, 0, v14
	s_delay_alu instid0(VALU_DEP_1)
	v_cndmask_b32_e64 v16, 0, 1, s0
.LBB216_31:
	s_wait_xcnt 0x0
	s_or_b32 exec_lo, exec_lo, s1
	v_dual_mov_b32 v14, 0 :: v_dual_mov_b32 v19, 0
	s_mov_b32 s1, exec_lo
	v_cmpx_gt_i32_e64 s15, v17
	s_cbranch_execz .LBB216_33
; %bb.32:
	v_add_nc_u32_e32 v19, s24, v17
	v_add_nc_u32_e32 v17, 0x100, v17
	global_load_u8 v19, v19, s[18:19]
	s_wait_loadcnt 0x0
	v_cmp_ne_u16_e64 s0, 0, v19
	s_wait_xcnt 0x0
	s_delay_alu instid0(VALU_DEP_1)
	v_cndmask_b32_e64 v19, 0, 1, s0
.LBB216_33:
	s_or_b32 exec_lo, exec_lo, s1
	s_delay_alu instid0(SALU_CYCLE_1)
	s_mov_b32 s1, exec_lo
	v_cmpx_gt_i32_e64 s15, v17
	s_cbranch_execz .LBB216_35
; %bb.34:
	v_add_nc_u32_e32 v14, s24, v17
	global_load_u8 v14, v14, s[18:19]
	s_wait_loadcnt 0x0
	v_cmp_ne_u16_e64 s0, 0, v14
	s_wait_xcnt 0x0
	s_delay_alu instid0(VALU_DEP_1)
	v_cndmask_b32_e64 v14, 0, 1, s0
.LBB216_35:
	s_or_b32 exec_lo, exec_lo, s1
	v_xor_b32_e32 v9, s22, v9
	v_xor_b32_e32 v15, s22, v15
	;; [unrolled: 1-line block ×3, first 2 shown]
	s_cmp_eq_u32 s21, 0
	v_xor_b32_e32 v11, s22, v11
	v_and_b32_e32 v9, 1, v9
	v_and_b32_e32 v15, 1, v15
	;; [unrolled: 1-line block ×3, first 2 shown]
	s_cselect_b32 s3, -1, 0
	v_or_b32_e32 v17, 0x400, v0
	v_cmp_eq_u32_e64 s0, 1, v9
	v_cmp_eq_u32_e64 s1, 1, v15
	;; [unrolled: 1-line block ×3, first 2 shown]
	v_and_b32_e32 v9, 1, v11
	v_xor_b32_e32 v5, s22, v5
	s_xor_b32 s0, s3, s0
	v_xor_b32_e32 v13, s22, v13
	v_cndmask_b32_e64 v4, 0, 1, s0
	s_xor_b32 s0, s3, s1
	v_and_b32_e32 v5, 1, v5
	v_cndmask_b32_e64 v11, 0, 1, s0
	s_xor_b32 s0, s3, s2
	v_cndmask_b32_e32 v4, 0, v4, vcc_lo
	v_cndmask_b32_e64 v15, 0, 1, s0
	v_cmp_eq_u32_e64 s0, 1, v9
	v_bitop3_b16 v9, v11, 0, 0xff00 bitop3:0xf8
	v_cmp_gt_i32_e64 s1, s15, v2
	v_xor_b32_e32 v3, s22, v3
	v_lshlrev_b16 v11, 8, v15
	s_xor_b32 s0, s3, s0
	v_and_b32_e32 v9, 0xffff, v9
	v_cndmask_b32_e64 v15, 0, 1, s0
	v_cmp_gt_i32_e64 s0, s15, v17
	v_or_b32_e32 v11, v4, v11
	v_or_b32_e32 v17, 0x500, v0
	v_and_b32_e32 v3, 1, v3
	v_lshlrev_b16 v15, 8, v15
	v_cndmask_b32_e64 v9, 0, v9, s0
	v_cmp_eq_u32_e64 s0, 1, v5
	v_and_b32_e32 v11, 0xffff, v11
	v_xor_b32_e32 v6, s22, v6
	v_xor_b32_e32 v7, s22, v7
	v_bitop3_b16 v15, v9, v15, 0xff bitop3:0xec
	s_xor_b32 s0, s3, s0
	v_dual_cndmask_b32 v4, v4, v11, s1 :: v_dual_bitop2_b32 v11, 1, v13 bitop3:0x40
	v_cndmask_b32_e64 v13, 0, 1, s0
	s_delay_alu instid0(VALU_DEP_3) | instskip(SKIP_3) | instid1(VALU_DEP_3)
	v_and_b32_e32 v5, 0xffff, v15
	v_cmp_gt_i32_e64 s0, s15, v17
	v_and_b32_e32 v6, 1, v6
	v_or_b32_e32 v17, 0xd00, v0
	v_dual_cndmask_b32 v5, v9, v5, s0 :: v_dual_bitop2_b32 v7, 1, v7 bitop3:0x40
	v_cmp_eq_u32_e64 s0, 1, v11
	v_or_b32_e32 v9, 0x200, v0
	v_lshl_or_b32 v11, v13, 16, v4
	v_cmp_eq_u32_e64 s2, 1, v6
	v_lshrrev_b32_e32 v13, 16, v5
	s_xor_b32 s0, s3, s0
	v_cmp_gt_i32_e64 s1, s15, v9
	v_cndmask_b32_e64 v15, 0, 1, s0
	v_cmp_eq_u32_e64 s0, 1, v3
	v_xor_b32_e32 v9, s22, v10
	v_or_b32_e32 v6, 0xc00, v0
	v_cndmask_b32_e64 v3, v4, v11, s1
	v_bitop3_b16 v4, v15, v13, 0xff00 bitop3:0xf8
	v_or_b32_e32 v13, 0x600, v0
	s_xor_b32 s0, s3, s0
	v_and_b32_e32 v9, 1, v9
	v_cndmask_b32_e64 v10, 0, 1, s0
	v_lshlrev_b32_e32 v4, 16, v4
	v_cmp_gt_i32_e64 s1, s15, v13
	v_lshrrev_b32_e32 v11, 16, v3
	v_cmp_eq_u32_e64 s0, 1, v9
	v_lshlrev_b16 v10, 8, v10
	v_and_or_b32 v4, 0xffff, v5, v4
	v_xor_b32_e32 v13, s22, v16
	s_xor_b32 s0, s3, s0
	s_delay_alu instid0(VALU_DEP_3) | instskip(NEXT) | instid1(VALU_DEP_3)
	v_bitop3_b16 v9, v11, v10, 0xff bitop3:0xec
	v_cndmask_b32_e64 v4, v5, v4, s1
	v_xor_b32_e32 v5, s22, v12
	v_xor_b32_e32 v12, s22, v18
	v_cndmask_b32_e64 v10, 0, 1, s0
	v_and_b32_e32 v13, 1, v13
	v_lshlrev_b32_e32 v9, 16, v9
	v_and_b32_e32 v5, 1, v5
	v_and_b32_e32 v12, 1, v12
	v_lshrrev_b32_e32 v11, 16, v4
	v_lshlrev_b16 v10, 8, v10
	v_and_or_b32 v9, 0xffff, v3, v9
	v_cmp_eq_u32_e64 s0, 1, v5
	v_cmp_eq_u32_e64 s1, 1, v12
	v_or_b32_e32 v5, 0x800, v0
	v_xor_b32_e32 v8, s22, v8
	s_xor_b32 s0, s3, s0
	s_xor_b32 s1, s3, s1
	v_cndmask_b32_e64 v12, 0, 1, s0
	v_cmp_eq_u32_e64 s0, 1, v13
	v_cndmask_b32_e64 v13, 0, 1, s1
	v_and_b32_e32 v8, 1, v8
	v_cmp_gt_i32_e64 s1, s15, v17
	s_xor_b32 s0, s3, s0
	s_delay_alu instid0(SALU_CYCLE_1) | instskip(SKIP_1) | instid1(SALU_CYCLE_1)
	v_cndmask_b32_e64 v15, 0, 1, s0
	s_xor_b32 s0, s3, s2
	v_cndmask_b32_e64 v16, 0, 1, s0
	v_cmp_gt_i32_e64 s0, s15, v6
	s_delay_alu instid0(VALU_DEP_1) | instskip(SKIP_3) | instid1(VALU_DEP_3)
	v_cndmask_b32_e64 v6, 0, v13, s0
	v_lshlrev_b16 v13, 8, v15
	v_cmp_gt_i32_e64 s0, s15, v5
	v_or_b32_e32 v15, 0x900, v0
	v_bitop3_b16 v13, v6, v13, 0xff bitop3:0xec
	s_delay_alu instid0(VALU_DEP_3) | instskip(SKIP_4) | instid1(VALU_DEP_4)
	v_cndmask_b32_e64 v5, 0, v12, s0
	v_lshlrev_b16 v12, 8, v16
	v_xor_b32_e32 v16, s22, v19
	v_cmp_eq_u32_e64 s0, 1, v8
	v_and_b32_e32 v13, 0xffff, v13
	v_or_b32_e32 v12, v5, v12
	s_delay_alu instid0(VALU_DEP_4) | instskip(SKIP_1) | instid1(VALU_DEP_3)
	v_and_b32_e32 v16, 1, v16
	s_xor_b32 s0, s3, s0
	v_cndmask_b32_e64 v6, v6, v13, s1
	s_delay_alu instid0(VALU_DEP_3) | instskip(NEXT) | instid1(VALU_DEP_3)
	v_and_b32_e32 v8, 0xffff, v12
	v_cmp_eq_u32_e64 s1, 1, v16
	v_cndmask_b32_e64 v12, 0, 1, s0
	s_delay_alu instid0(VALU_DEP_4) | instskip(SKIP_1) | instid1(SALU_CYCLE_1)
	v_lshrrev_b32_e32 v13, 16, v6
	s_xor_b32 s0, s3, s1
	v_cndmask_b32_e64 v16, 0, 1, s0
	v_cmp_gt_i32_e64 s0, s15, v15
	s_delay_alu instid0(VALU_DEP_1) | instskip(SKIP_1) | instid1(VALU_DEP_4)
	v_cndmask_b32_e64 v5, v5, v8, s0
	v_lshlrev_b32_e32 v8, 16, v12
	v_bitop3_b16 v12, v16, v13, 0xff00 bitop3:0xf8
	v_xor_b32_e32 v13, s22, v14
	v_or_b32_e32 v14, 0xa00, v0
	v_cmp_eq_u32_e64 s0, 1, v7
	v_and_or_b32 v8, 0x1ff, v5, v8
	s_delay_alu instid0(VALU_DEP_4) | instskip(NEXT) | instid1(VALU_DEP_4)
	v_dual_lshlrev_b32 v7, 16, v12 :: v_dual_bitop2_b32 v12, 1, v13 bitop3:0x40
	v_cmp_gt_i32_e64 s1, s15, v14
	s_xor_b32 s0, s3, s0
	v_or_b32_e32 v13, 0x300, v0
	v_and_or_b32 v7, 0xffff, v6, v7
	v_cndmask_b32_e64 v8, v5, v8, s1
	v_or_b32_e32 v5, 0xe00, v0
	v_cmp_eq_u32_e64 s1, 1, v12
	v_cndmask_b32_e64 v12, 0, 1, s0
	s_delay_alu instid0(VALU_DEP_3) | instskip(NEXT) | instid1(VALU_DEP_1)
	v_cmp_gt_i32_e64 s0, s15, v5
	v_cndmask_b32_e64 v7, v6, v7, s0
	s_delay_alu instid0(VALU_DEP_4)
	s_xor_b32 s0, s3, s1
	v_bitop3_b16 v6, v11, v10, 0xff bitop3:0xec
	v_cndmask_b32_e64 v5, 0, 1, s0
	v_lshrrev_b32_e32 v10, 16, v8
	v_lshlrev_b16 v11, 8, v12
	v_lshrrev_b32_e32 v12, 16, v7
	v_cmp_gt_i32_e64 s0, s15, v13
	v_lshlrev_b16 v5, 8, v5
	s_delay_alu instid0(VALU_DEP_4) | instskip(NEXT) | instid1(VALU_DEP_3)
	v_bitop3_b16 v10, v10, v11, 0xff bitop3:0xec
	v_dual_lshlrev_b32 v11, 16, v6 :: v_dual_cndmask_b32 v6, v3, v9, s0
	s_delay_alu instid0(VALU_DEP_3) | instskip(SKIP_1) | instid1(VALU_DEP_4)
	v_bitop3_b16 v5, v12, v5, 0xff bitop3:0xec
	v_or_b32_e32 v9, 0x700, v0
	v_lshlrev_b32_e32 v3, 16, v10
	s_delay_alu instid0(VALU_DEP_4)
	v_and_or_b32 v10, 0xffff, v4, v11
	v_or_b32_e32 v11, 0xb00, v0
	v_lshlrev_b32_e32 v5, 16, v5
	v_cmp_gt_i32_e64 s0, s15, v9
	v_and_or_b32 v3, 0xffff, v8, v3
	v_or_b32_e32 v12, 0xf00, v0
	s_delay_alu instid0(VALU_DEP_4) | instskip(NEXT) | instid1(VALU_DEP_4)
	v_and_or_b32 v13, 0xffff, v7, v5
	v_cndmask_b32_e64 v5, v4, v10, s0
	v_cmp_gt_i32_e64 s0, s15, v11
	s_delay_alu instid0(VALU_DEP_1) | instskip(SKIP_1) | instid1(VALU_DEP_1)
	v_cndmask_b32_e64 v4, v8, v3, s0
	v_cmp_gt_i32_e64 s0, s15, v12
	v_cndmask_b32_e64 v3, v7, v13, s0
	s_and_saveexec_b32 s0, vcc_lo
	s_cbranch_execnz .LBB216_53
; %bb.36:
	s_or_b32 exec_lo, exec_lo, s0
	s_delay_alu instid0(SALU_CYCLE_1)
	s_mov_b32 s0, exec_lo
	v_cmpx_gt_i32_e64 s15, v0
	s_cbranch_execnz .LBB216_54
.LBB216_37:
	s_or_b32 exec_lo, exec_lo, s0
	s_delay_alu instid0(SALU_CYCLE_1)
	s_mov_b32 s0, exec_lo
	v_cmpx_gt_i32_e64 s15, v0
	s_cbranch_execnz .LBB216_55
.LBB216_38:
	s_or_b32 exec_lo, exec_lo, s0
	s_delay_alu instid0(SALU_CYCLE_1)
	s_mov_b32 s0, exec_lo
	v_cmpx_gt_i32_e64 s15, v0
	s_cbranch_execnz .LBB216_56
.LBB216_39:
	s_or_b32 exec_lo, exec_lo, s0
	s_delay_alu instid0(SALU_CYCLE_1)
	s_mov_b32 s0, exec_lo
	v_cmpx_gt_i32_e64 s15, v0
	s_cbranch_execnz .LBB216_57
.LBB216_40:
	s_or_b32 exec_lo, exec_lo, s0
	s_delay_alu instid0(SALU_CYCLE_1)
	s_mov_b32 s0, exec_lo
	v_cmpx_gt_i32_e64 s15, v0
	s_cbranch_execnz .LBB216_58
.LBB216_41:
	s_or_b32 exec_lo, exec_lo, s0
	s_delay_alu instid0(SALU_CYCLE_1)
	s_mov_b32 s0, exec_lo
	v_cmpx_gt_i32_e64 s15, v0
	s_cbranch_execnz .LBB216_59
.LBB216_42:
	s_or_b32 exec_lo, exec_lo, s0
	s_delay_alu instid0(SALU_CYCLE_1)
	s_mov_b32 s0, exec_lo
	v_cmpx_gt_i32_e64 s15, v0
	s_cbranch_execnz .LBB216_60
.LBB216_43:
	s_or_b32 exec_lo, exec_lo, s0
	s_delay_alu instid0(SALU_CYCLE_1)
	s_mov_b32 s0, exec_lo
	v_cmpx_gt_i32_e64 s15, v0
	s_cbranch_execnz .LBB216_61
.LBB216_44:
	s_or_b32 exec_lo, exec_lo, s0
	s_delay_alu instid0(SALU_CYCLE_1)
	s_mov_b32 s0, exec_lo
	v_cmpx_gt_i32_e64 s15, v0
	s_cbranch_execnz .LBB216_62
.LBB216_45:
	s_or_b32 exec_lo, exec_lo, s0
	s_delay_alu instid0(SALU_CYCLE_1)
	s_mov_b32 s0, exec_lo
	v_cmpx_gt_i32_e64 s15, v0
	s_cbranch_execnz .LBB216_63
.LBB216_46:
	s_or_b32 exec_lo, exec_lo, s0
	s_delay_alu instid0(SALU_CYCLE_1)
	s_mov_b32 s0, exec_lo
	v_cmpx_gt_i32_e64 s15, v0
	s_cbranch_execnz .LBB216_64
.LBB216_47:
	s_or_b32 exec_lo, exec_lo, s0
	s_delay_alu instid0(SALU_CYCLE_1)
	s_mov_b32 s0, exec_lo
	v_cmpx_gt_i32_e64 s15, v0
	s_cbranch_execnz .LBB216_65
.LBB216_48:
	s_or_b32 exec_lo, exec_lo, s0
	s_delay_alu instid0(SALU_CYCLE_1)
	s_mov_b32 s0, exec_lo
	v_cmpx_gt_i32_e64 s15, v0
	s_cbranch_execnz .LBB216_66
.LBB216_49:
	s_or_b32 exec_lo, exec_lo, s0
	s_delay_alu instid0(SALU_CYCLE_1)
	s_mov_b32 s0, exec_lo
	v_cmpx_gt_i32_e64 s15, v0
	s_cbranch_execnz .LBB216_67
.LBB216_50:
	s_or_b32 exec_lo, exec_lo, s0
	s_delay_alu instid0(SALU_CYCLE_1)
	s_mov_b32 s0, exec_lo
	v_cmpx_gt_i32_e64 s15, v0
	s_cbranch_execz .LBB216_52
.LBB216_51:
	v_dual_lshrrev_b32 v1, 24, v3 :: v_dual_add_nc_u32 v0, s24, v0
	global_store_b8 v0, v1, s[16:17]
.LBB216_52:
	s_endpgm
.LBB216_53:
	v_mov_b32_e32 v0, v2
	global_store_b8 v1, v6, s[16:17]
	s_wait_xcnt 0x0
	s_or_b32 exec_lo, exec_lo, s0
	s_delay_alu instid0(SALU_CYCLE_1)
	s_mov_b32 s0, exec_lo
	v_cmpx_gt_i32_e64 s15, v0
	s_cbranch_execz .LBB216_37
.LBB216_54:
	v_dual_lshrrev_b32 v1, 8, v6 :: v_dual_add_nc_u32 v2, s24, v0
	v_add_nc_u32_e32 v0, 0x100, v0
	global_store_b8 v2, v1, s[16:17]
	s_wait_xcnt 0x0
	s_or_b32 exec_lo, exec_lo, s0
	s_delay_alu instid0(SALU_CYCLE_1)
	s_mov_b32 s0, exec_lo
	v_cmpx_gt_i32_e64 s15, v0
	s_cbranch_execz .LBB216_38
.LBB216_55:
	v_add_nc_u32_e32 v1, s24, v0
	v_add_nc_u32_e32 v0, 0x100, v0
	global_store_d16_hi_b8 v1, v6, s[16:17]
	s_wait_xcnt 0x0
	s_or_b32 exec_lo, exec_lo, s0
	s_delay_alu instid0(SALU_CYCLE_1)
	s_mov_b32 s0, exec_lo
	v_cmpx_gt_i32_e64 s15, v0
	s_cbranch_execz .LBB216_39
.LBB216_56:
	v_dual_lshrrev_b32 v1, 24, v6 :: v_dual_add_nc_u32 v2, s24, v0
	v_add_nc_u32_e32 v0, 0x100, v0
	global_store_b8 v2, v1, s[16:17]
	s_wait_xcnt 0x0
	s_or_b32 exec_lo, exec_lo, s0
	s_delay_alu instid0(SALU_CYCLE_1)
	s_mov_b32 s0, exec_lo
	v_cmpx_gt_i32_e64 s15, v0
	s_cbranch_execz .LBB216_40
.LBB216_57:
	v_add_nc_u32_e32 v1, s24, v0
	v_add_nc_u32_e32 v0, 0x100, v0
	global_store_b8 v1, v5, s[16:17]
	s_wait_xcnt 0x0
	s_or_b32 exec_lo, exec_lo, s0
	s_delay_alu instid0(SALU_CYCLE_1)
	s_mov_b32 s0, exec_lo
	v_cmpx_gt_i32_e64 s15, v0
	s_cbranch_execz .LBB216_41
.LBB216_58:
	v_dual_lshrrev_b32 v1, 8, v5 :: v_dual_add_nc_u32 v2, s24, v0
	v_add_nc_u32_e32 v0, 0x100, v0
	global_store_b8 v2, v1, s[16:17]
	s_wait_xcnt 0x0
	s_or_b32 exec_lo, exec_lo, s0
	s_delay_alu instid0(SALU_CYCLE_1)
	s_mov_b32 s0, exec_lo
	v_cmpx_gt_i32_e64 s15, v0
	s_cbranch_execz .LBB216_42
.LBB216_59:
	v_add_nc_u32_e32 v1, s24, v0
	v_add_nc_u32_e32 v0, 0x100, v0
	global_store_d16_hi_b8 v1, v5, s[16:17]
	s_wait_xcnt 0x0
	s_or_b32 exec_lo, exec_lo, s0
	s_delay_alu instid0(SALU_CYCLE_1)
	s_mov_b32 s0, exec_lo
	v_cmpx_gt_i32_e64 s15, v0
	s_cbranch_execz .LBB216_43
.LBB216_60:
	v_dual_lshrrev_b32 v1, 24, v5 :: v_dual_add_nc_u32 v2, s24, v0
	v_add_nc_u32_e32 v0, 0x100, v0
	global_store_b8 v2, v1, s[16:17]
	s_wait_xcnt 0x0
	s_or_b32 exec_lo, exec_lo, s0
	s_delay_alu instid0(SALU_CYCLE_1)
	s_mov_b32 s0, exec_lo
	v_cmpx_gt_i32_e64 s15, v0
	s_cbranch_execz .LBB216_44
.LBB216_61:
	v_add_nc_u32_e32 v1, s24, v0
	v_add_nc_u32_e32 v0, 0x100, v0
	global_store_b8 v1, v4, s[16:17]
	s_wait_xcnt 0x0
	s_or_b32 exec_lo, exec_lo, s0
	s_delay_alu instid0(SALU_CYCLE_1)
	s_mov_b32 s0, exec_lo
	v_cmpx_gt_i32_e64 s15, v0
	s_cbranch_execz .LBB216_45
.LBB216_62:
	v_lshrrev_b32_e32 v1, 8, v4
	v_add_nc_u32_e32 v2, s24, v0
	v_add_nc_u32_e32 v0, 0x100, v0
	global_store_b8 v2, v1, s[16:17]
	s_wait_xcnt 0x0
	s_or_b32 exec_lo, exec_lo, s0
	s_delay_alu instid0(SALU_CYCLE_1)
	s_mov_b32 s0, exec_lo
	v_cmpx_gt_i32_e64 s15, v0
	s_cbranch_execz .LBB216_46
.LBB216_63:
	v_add_nc_u32_e32 v1, s24, v0
	v_add_nc_u32_e32 v0, 0x100, v0
	global_store_d16_hi_b8 v1, v4, s[16:17]
	s_wait_xcnt 0x0
	s_or_b32 exec_lo, exec_lo, s0
	s_delay_alu instid0(SALU_CYCLE_1)
	s_mov_b32 s0, exec_lo
	v_cmpx_gt_i32_e64 s15, v0
	s_cbranch_execz .LBB216_47
.LBB216_64:
	v_lshrrev_b32_e32 v1, 24, v4
	v_add_nc_u32_e32 v2, s24, v0
	v_add_nc_u32_e32 v0, 0x100, v0
	global_store_b8 v2, v1, s[16:17]
	s_wait_xcnt 0x0
	s_or_b32 exec_lo, exec_lo, s0
	s_delay_alu instid0(SALU_CYCLE_1)
	s_mov_b32 s0, exec_lo
	v_cmpx_gt_i32_e64 s15, v0
	s_cbranch_execz .LBB216_48
.LBB216_65:
	v_add_nc_u32_e32 v1, s24, v0
	v_add_nc_u32_e32 v0, 0x100, v0
	global_store_b8 v1, v3, s[16:17]
	s_wait_xcnt 0x0
	s_or_b32 exec_lo, exec_lo, s0
	s_delay_alu instid0(SALU_CYCLE_1)
	s_mov_b32 s0, exec_lo
	v_cmpx_gt_i32_e64 s15, v0
	s_cbranch_execz .LBB216_49
.LBB216_66:
	v_dual_lshrrev_b32 v1, 8, v3 :: v_dual_add_nc_u32 v2, s24, v0
	v_add_nc_u32_e32 v0, 0x100, v0
	global_store_b8 v2, v1, s[16:17]
	s_wait_xcnt 0x0
	s_or_b32 exec_lo, exec_lo, s0
	s_delay_alu instid0(SALU_CYCLE_1)
	s_mov_b32 s0, exec_lo
	v_cmpx_gt_i32_e64 s15, v0
	s_cbranch_execz .LBB216_50
.LBB216_67:
	v_add_nc_u32_e32 v1, s24, v0
	v_add_nc_u32_e32 v0, 0x100, v0
	global_store_d16_hi_b8 v1, v3, s[16:17]
	s_wait_xcnt 0x0
	s_or_b32 exec_lo, exec_lo, s0
	s_delay_alu instid0(SALU_CYCLE_1)
	s_mov_b32 s0, exec_lo
	v_cmpx_gt_i32_e64 s15, v0
	s_cbranch_execnz .LBB216_51
	s_branch .LBB216_52
	.section	.rodata,"a",@progbits
	.p2align	6, 0x0
	.amdhsa_kernel _ZN2at6native29vectorized_elementwise_kernelILi16ENS0_13AUnaryFunctorIbbbNS0_12_GLOBAL__N_116CompareEqFunctorIbEEEESt5arrayIPcLm2EEEEviT0_T1_
		.amdhsa_group_segment_fixed_size 0
		.amdhsa_private_segment_fixed_size 0
		.amdhsa_kernarg_size 32
		.amdhsa_user_sgpr_count 2
		.amdhsa_user_sgpr_dispatch_ptr 0
		.amdhsa_user_sgpr_queue_ptr 0
		.amdhsa_user_sgpr_kernarg_segment_ptr 1
		.amdhsa_user_sgpr_dispatch_id 0
		.amdhsa_user_sgpr_kernarg_preload_length 0
		.amdhsa_user_sgpr_kernarg_preload_offset 0
		.amdhsa_user_sgpr_private_segment_size 0
		.amdhsa_wavefront_size32 1
		.amdhsa_uses_dynamic_stack 0
		.amdhsa_enable_private_segment 0
		.amdhsa_system_sgpr_workgroup_id_x 1
		.amdhsa_system_sgpr_workgroup_id_y 0
		.amdhsa_system_sgpr_workgroup_id_z 0
		.amdhsa_system_sgpr_workgroup_info 0
		.amdhsa_system_vgpr_workitem_id 0
		.amdhsa_next_free_vgpr 20
		.amdhsa_next_free_sgpr 27
		.amdhsa_named_barrier_count 0
		.amdhsa_reserve_vcc 1
		.amdhsa_float_round_mode_32 0
		.amdhsa_float_round_mode_16_64 0
		.amdhsa_float_denorm_mode_32 3
		.amdhsa_float_denorm_mode_16_64 3
		.amdhsa_fp16_overflow 0
		.amdhsa_memory_ordered 1
		.amdhsa_forward_progress 1
		.amdhsa_inst_pref_size 37
		.amdhsa_round_robin_scheduling 0
		.amdhsa_exception_fp_ieee_invalid_op 0
		.amdhsa_exception_fp_denorm_src 0
		.amdhsa_exception_fp_ieee_div_zero 0
		.amdhsa_exception_fp_ieee_overflow 0
		.amdhsa_exception_fp_ieee_underflow 0
		.amdhsa_exception_fp_ieee_inexact 0
		.amdhsa_exception_int_div_zero 0
	.end_amdhsa_kernel
	.section	.text._ZN2at6native29vectorized_elementwise_kernelILi16ENS0_13AUnaryFunctorIbbbNS0_12_GLOBAL__N_116CompareEqFunctorIbEEEESt5arrayIPcLm2EEEEviT0_T1_,"axG",@progbits,_ZN2at6native29vectorized_elementwise_kernelILi16ENS0_13AUnaryFunctorIbbbNS0_12_GLOBAL__N_116CompareEqFunctorIbEEEESt5arrayIPcLm2EEEEviT0_T1_,comdat
.Lfunc_end216:
	.size	_ZN2at6native29vectorized_elementwise_kernelILi16ENS0_13AUnaryFunctorIbbbNS0_12_GLOBAL__N_116CompareEqFunctorIbEEEESt5arrayIPcLm2EEEEviT0_T1_, .Lfunc_end216-_ZN2at6native29vectorized_elementwise_kernelILi16ENS0_13AUnaryFunctorIbbbNS0_12_GLOBAL__N_116CompareEqFunctorIbEEEESt5arrayIPcLm2EEEEviT0_T1_
                                        ; -- End function
	.set _ZN2at6native29vectorized_elementwise_kernelILi16ENS0_13AUnaryFunctorIbbbNS0_12_GLOBAL__N_116CompareEqFunctorIbEEEESt5arrayIPcLm2EEEEviT0_T1_.num_vgpr, 20
	.set _ZN2at6native29vectorized_elementwise_kernelILi16ENS0_13AUnaryFunctorIbbbNS0_12_GLOBAL__N_116CompareEqFunctorIbEEEESt5arrayIPcLm2EEEEviT0_T1_.num_agpr, 0
	.set _ZN2at6native29vectorized_elementwise_kernelILi16ENS0_13AUnaryFunctorIbbbNS0_12_GLOBAL__N_116CompareEqFunctorIbEEEESt5arrayIPcLm2EEEEviT0_T1_.numbered_sgpr, 27
	.set _ZN2at6native29vectorized_elementwise_kernelILi16ENS0_13AUnaryFunctorIbbbNS0_12_GLOBAL__N_116CompareEqFunctorIbEEEESt5arrayIPcLm2EEEEviT0_T1_.num_named_barrier, 0
	.set _ZN2at6native29vectorized_elementwise_kernelILi16ENS0_13AUnaryFunctorIbbbNS0_12_GLOBAL__N_116CompareEqFunctorIbEEEESt5arrayIPcLm2EEEEviT0_T1_.private_seg_size, 0
	.set _ZN2at6native29vectorized_elementwise_kernelILi16ENS0_13AUnaryFunctorIbbbNS0_12_GLOBAL__N_116CompareEqFunctorIbEEEESt5arrayIPcLm2EEEEviT0_T1_.uses_vcc, 1
	.set _ZN2at6native29vectorized_elementwise_kernelILi16ENS0_13AUnaryFunctorIbbbNS0_12_GLOBAL__N_116CompareEqFunctorIbEEEESt5arrayIPcLm2EEEEviT0_T1_.uses_flat_scratch, 0
	.set _ZN2at6native29vectorized_elementwise_kernelILi16ENS0_13AUnaryFunctorIbbbNS0_12_GLOBAL__N_116CompareEqFunctorIbEEEESt5arrayIPcLm2EEEEviT0_T1_.has_dyn_sized_stack, 0
	.set _ZN2at6native29vectorized_elementwise_kernelILi16ENS0_13AUnaryFunctorIbbbNS0_12_GLOBAL__N_116CompareEqFunctorIbEEEESt5arrayIPcLm2EEEEviT0_T1_.has_recursion, 0
	.set _ZN2at6native29vectorized_elementwise_kernelILi16ENS0_13AUnaryFunctorIbbbNS0_12_GLOBAL__N_116CompareEqFunctorIbEEEESt5arrayIPcLm2EEEEviT0_T1_.has_indirect_call, 0
	.section	.AMDGPU.csdata,"",@progbits
; Kernel info:
; codeLenInByte = 4628
; TotalNumSgprs: 29
; NumVgprs: 20
; ScratchSize: 0
; MemoryBound: 0
; FloatMode: 240
; IeeeMode: 1
; LDSByteSize: 0 bytes/workgroup (compile time only)
; SGPRBlocks: 0
; VGPRBlocks: 1
; NumSGPRsForWavesPerEU: 29
; NumVGPRsForWavesPerEU: 20
; NamedBarCnt: 0
; Occupancy: 16
; WaveLimiterHint : 0
; COMPUTE_PGM_RSRC2:SCRATCH_EN: 0
; COMPUTE_PGM_RSRC2:USER_SGPR: 2
; COMPUTE_PGM_RSRC2:TRAP_HANDLER: 0
; COMPUTE_PGM_RSRC2:TGID_X_EN: 1
; COMPUTE_PGM_RSRC2:TGID_Y_EN: 0
; COMPUTE_PGM_RSRC2:TGID_Z_EN: 0
; COMPUTE_PGM_RSRC2:TIDIG_COMP_CNT: 0
	.section	.text._ZN2at6native29vectorized_elementwise_kernelILi8ENS0_13AUnaryFunctorIbbbNS0_12_GLOBAL__N_116CompareEqFunctorIbEEEESt5arrayIPcLm2EEEEviT0_T1_,"axG",@progbits,_ZN2at6native29vectorized_elementwise_kernelILi8ENS0_13AUnaryFunctorIbbbNS0_12_GLOBAL__N_116CompareEqFunctorIbEEEESt5arrayIPcLm2EEEEviT0_T1_,comdat
	.globl	_ZN2at6native29vectorized_elementwise_kernelILi8ENS0_13AUnaryFunctorIbbbNS0_12_GLOBAL__N_116CompareEqFunctorIbEEEESt5arrayIPcLm2EEEEviT0_T1_ ; -- Begin function _ZN2at6native29vectorized_elementwise_kernelILi8ENS0_13AUnaryFunctorIbbbNS0_12_GLOBAL__N_116CompareEqFunctorIbEEEESt5arrayIPcLm2EEEEviT0_T1_
	.p2align	8
	.type	_ZN2at6native29vectorized_elementwise_kernelILi8ENS0_13AUnaryFunctorIbbbNS0_12_GLOBAL__N_116CompareEqFunctorIbEEEESt5arrayIPcLm2EEEEviT0_T1_,@function
_ZN2at6native29vectorized_elementwise_kernelILi8ENS0_13AUnaryFunctorIbbbNS0_12_GLOBAL__N_116CompareEqFunctorIbEEEESt5arrayIPcLm2EEEEviT0_T1_: ; @_ZN2at6native29vectorized_elementwise_kernelILi8ENS0_13AUnaryFunctorIbbbNS0_12_GLOBAL__N_116CompareEqFunctorIbEEEESt5arrayIPcLm2EEEEviT0_T1_
; %bb.0:
	s_clause 0x1
	s_load_b96 s[20:22], s[0:1], 0x0
	s_load_b128 s[16:19], s[0:1], 0x10
	s_wait_xcnt 0x0
	s_bfe_u32 s0, ttmp6, 0x4000c
	s_and_b32 s1, ttmp6, 15
	s_add_co_i32 s0, s0, 1
	s_getreg_b32 s2, hwreg(HW_REG_IB_STS2, 6, 4)
	s_mul_i32 s0, ttmp9, s0
	s_delay_alu instid0(SALU_CYCLE_1) | instskip(SKIP_2) | instid1(SALU_CYCLE_1)
	s_add_co_i32 s1, s1, s0
	s_cmp_eq_u32 s2, 0
	s_cselect_b32 s0, ttmp9, s1
	s_lshl_b32 s24, s0, 12
	s_mov_b32 s0, -1
	s_wait_kmcnt 0x0
	s_sub_co_i32 s15, s20, s24
	s_delay_alu instid0(SALU_CYCLE_1)
	s_cmp_gt_i32 s15, 0xfff
	s_cbranch_scc0 .LBB217_2
; %bb.1:
	s_bitcmp1_b32 s22, 0
	s_cselect_b32 s20, -1, 0
	s_ashr_i32 s25, s24, 31
	s_cmp_eq_u32 s21, 0
	s_add_nc_u64 s[0:1], s[18:19], s[24:25]
	s_clause 0x1
	global_load_b64 v[2:3], v0, s[0:1] scale_offset
	global_load_b64 v[4:5], v0, s[0:1] offset:2048 scale_offset
	s_cselect_b32 s23, -1, 0
	s_wait_loadcnt 0x1
	s_wait_xcnt 0x0
	v_cmp_lt_u32_e64 s0, 0xffffff, v3
	s_wait_loadcnt 0x0
	v_cmp_lt_u32_e64 s1, 0xffffff, v4
	v_and_b32_e32 v1, 0xff, v2
	v_and_b32_e32 v6, 0xff00, v2
	;; [unrolled: 1-line block ×3, first 2 shown]
	v_cmp_lt_u32_e32 vcc_lo, 0xffffff, v2
	v_and_b32_e32 v2, 0xff, v4
	v_cmp_lt_u32_e64 s2, 0xffffff, v5
	s_xor_b32 s0, s0, s20
	v_and_b32_e32 v8, 0xff, v3
	v_and_b32_e32 v9, 0xff00, v3
	;; [unrolled: 1-line block ×4, first 2 shown]
	s_xor_b32 s1, s1, s20
	s_xor_b32 s0, s23, s0
	v_cmp_ne_u32_e64 s3, 0, v1
	v_cmp_ne_u32_e64 s9, 0, v2
	s_xor_b32 s2, s2, s20
	v_cndmask_b32_e64 v2, 0, 1, s0
	s_xor_b32 s0, s23, s1
	v_cmp_ne_u32_e64 s4, 0, v6
	v_cmp_ne_u32_e64 s10, 0, v3
	v_cndmask_b32_e64 v3, 0, 1, s0
	s_xor_b32 s0, s23, s2
	v_cmp_ne_u32_e64 s5, 0, v7
	v_and_b32_e32 v11, 0xff0000, v4
	v_cndmask_b32_e64 v4, 0, 1, s0
	s_xor_b32 s0, s3, s20
	v_cmp_ne_u32_e64 s6, 0, v8
	s_xor_b32 s1, s4, s20
	s_xor_b32 s0, s23, s0
	v_cmp_ne_u32_e64 s7, 0, v9
	v_and_b32_e32 v12, 0xff, v5
	v_and_b32_e32 v13, 0xff00, v5
	;; [unrolled: 1-line block ×3, first 2 shown]
	s_xor_b32 s2, s5, s20
	v_cndmask_b32_e64 v5, 0, 1, s0
	s_xor_b32 s0, s23, s1
	v_cmp_ne_u32_e64 s8, 0, v10
	s_xor_b32 s3, s6, s20
	v_cndmask_b32_e64 v6, 0, 1, s0
	s_xor_b32 s0, s23, s2
	s_xor_b32 s4, s7, s20
	v_cndmask_b32_e64 v7, 0, 1, s0
	s_xor_b32 s0, s23, s3
	;; [unrolled: 3-line block ×3, first 2 shown]
	v_cmp_ne_u32_e64 s11, 0, v11
	s_xor_b32 s6, s9, s20
	v_cndmask_b32_e64 v9, 0, 1, s0
	s_xor_b32 s0, s23, s5
	v_cmp_ne_u32_e64 s12, 0, v12
	s_xor_b32 s7, s10, s20
	v_cndmask_b32_e64 v10, 0, 1, s0
	s_xor_b32 s0, s23, s6
	;; [unrolled: 4-line block ×3, first 2 shown]
	s_xor_b32 s9, s12, s20
	v_cndmask_b32_e64 v12, 0, 1, s0
	s_xor_b32 s0, s23, s8
	v_cmp_ne_u32_e64 s14, 0, v14
	s_xor_b32 s26, vcc_lo, s20
	s_xor_b32 s10, s13, s20
	v_cndmask_b32_e64 v13, 0, 1, s0
	s_xor_b32 s0, s23, s9
	s_xor_b32 s26, s23, s26
	v_cndmask_b32_e64 v14, 0, 1, s0
	s_xor_b32 s0, s23, s10
	v_cndmask_b32_e64 v1, 0, 1, s26
	v_cndmask_b32_e64 v15, 0, 1, s0
	v_lshlrev_b16 v3, 8, v3
	s_xor_b32 s11, s14, s20
	v_lshlrev_b16 v4, 8, v4
	s_xor_b32 s0, s23, s11
	v_lshlrev_b16 v2, 8, v2
	v_cndmask_b32_e64 v16, 0, 1, s0
	v_lshlrev_b16 v1, 8, v1
	v_lshlrev_b16 v15, 8, v15
	;; [unrolled: 1-line block ×3, first 2 shown]
	v_or_b32_e32 v3, v13, v3
	v_lshlrev_b16 v9, 8, v9
	v_lshlrev_b16 v6, 8, v6
	v_or_b32_e32 v4, v16, v4
	v_or_b32_e32 v1, v7, v1
	;; [unrolled: 1-line block ×4, first 2 shown]
	v_dual_lshlrev_b32 v11, 16, v3 :: v_dual_bitop2_b32 v10, v11, v12 bitop3:0x54
	v_or_b32_e32 v3, v8, v9
	v_dual_lshlrev_b32 v4, 16, v4 :: v_dual_bitop2_b32 v5, v5, v6 bitop3:0x54
	v_dual_lshlrev_b32 v1, 16, v1 :: v_dual_lshlrev_b32 v2, 16, v2
	v_and_b32_e32 v6, 0xffff, v7
	s_delay_alu instid0(VALU_DEP_4) | instskip(NEXT) | instid1(VALU_DEP_4)
	v_and_b32_e32 v7, 0xffff, v3
	v_and_b32_e32 v8, 0xffff, v5
	;; [unrolled: 1-line block ×3, first 2 shown]
	s_add_nc_u64 s[2:3], s[16:17], s[24:25]
	v_or_b32_e32 v3, v6, v4
	v_or_b32_e32 v5, v7, v2
	v_or_b32_e32 v4, v8, v1
	v_or_b32_e32 v2, v9, v11
	s_mov_b32 s0, 0
	s_clause 0x1
	global_store_b64 v0, v[4:5], s[2:3] scale_offset
	global_store_b64 v0, v[2:3], s[2:3] offset:2048 scale_offset
.LBB217_2:
	s_and_not1_b32 vcc_lo, exec_lo, s0
	s_cbranch_vccnz .LBB217_52
; %bb.3:
	v_cmp_gt_i32_e32 vcc_lo, s15, v0
	s_wait_xcnt 0x1
	v_dual_mov_b32 v4, 0 :: v_dual_bitop2_b32 v1, s24, v0 bitop3:0x54
	s_wait_xcnt 0x0
	v_or_b32_e32 v2, 0x100, v0
	v_dual_mov_b32 v9, 0 :: v_dual_mov_b32 v17, v0
	s_and_saveexec_b32 s1, vcc_lo
	s_cbranch_execz .LBB217_5
; %bb.4:
	global_load_u8 v3, v1, s[18:19]
	v_or_b32_e32 v17, 0x100, v0
	s_wait_loadcnt 0x0
	v_cmp_ne_u16_e64 s0, 0, v3
	s_delay_alu instid0(VALU_DEP_1)
	v_cndmask_b32_e64 v9, 0, 1, s0
.LBB217_5:
	s_wait_xcnt 0x0
	s_or_b32 exec_lo, exec_lo, s1
	s_delay_alu instid0(SALU_CYCLE_1)
	s_mov_b32 s1, exec_lo
	v_cmpx_gt_i32_e64 s15, v17
	s_cbranch_execz .LBB217_7
; %bb.6:
	v_add_nc_u32_e32 v3, s24, v17
	v_add_nc_u32_e32 v17, 0x100, v17
	global_load_u8 v3, v3, s[18:19]
	s_wait_loadcnt 0x0
	v_cmp_ne_u16_e64 s0, 0, v3
	s_delay_alu instid0(VALU_DEP_1)
	v_cndmask_b32_e64 v4, 0, 1, s0
.LBB217_7:
	s_wait_xcnt 0x0
	s_or_b32 exec_lo, exec_lo, s1
	v_dual_mov_b32 v3, 0 :: v_dual_mov_b32 v5, 0
	s_mov_b32 s1, exec_lo
	v_cmpx_gt_i32_e64 s15, v17
	s_cbranch_execz .LBB217_9
; %bb.8:
	v_add_nc_u32_e32 v5, s24, v17
	v_add_nc_u32_e32 v17, 0x100, v17
	global_load_u8 v5, v5, s[18:19]
	s_wait_loadcnt 0x0
	v_cmp_ne_u16_e64 s0, 0, v5
	s_wait_xcnt 0x0
	s_delay_alu instid0(VALU_DEP_1)
	v_cndmask_b32_e64 v5, 0, 1, s0
.LBB217_9:
	s_or_b32 exec_lo, exec_lo, s1
	s_delay_alu instid0(SALU_CYCLE_1)
	s_mov_b32 s1, exec_lo
	v_cmpx_gt_i32_e64 s15, v17
	s_cbranch_execz .LBB217_11
; %bb.10:
	v_add_nc_u32_e32 v3, s24, v17
	v_add_nc_u32_e32 v17, 0x100, v17
	global_load_u8 v3, v3, s[18:19]
	s_wait_loadcnt 0x0
	v_cmp_ne_u16_e64 s0, 0, v3
	s_wait_xcnt 0x0
	s_delay_alu instid0(VALU_DEP_1)
	v_cndmask_b32_e64 v3, 0, 1, s0
.LBB217_11:
	s_or_b32 exec_lo, exec_lo, s1
	v_dual_mov_b32 v11, 0 :: v_dual_mov_b32 v15, 0
	s_mov_b32 s1, exec_lo
	v_cmpx_gt_i32_e64 s15, v17
	s_cbranch_execz .LBB217_13
; %bb.12:
	v_add_nc_u32_e32 v6, s24, v17
	v_add_nc_u32_e32 v17, 0x100, v17
	global_load_u8 v6, v6, s[18:19]
	s_wait_loadcnt 0x0
	v_cmp_ne_u16_e64 s0, 0, v6
	s_delay_alu instid0(VALU_DEP_1)
	v_cndmask_b32_e64 v15, 0, 1, s0
.LBB217_13:
	s_wait_xcnt 0x0
	s_or_b32 exec_lo, exec_lo, s1
	s_delay_alu instid0(SALU_CYCLE_1)
	s_mov_b32 s1, exec_lo
	v_cmpx_gt_i32_e64 s15, v17
	s_cbranch_execz .LBB217_15
; %bb.14:
	v_add_nc_u32_e32 v6, s24, v17
	v_add_nc_u32_e32 v17, 0x100, v17
	global_load_u8 v6, v6, s[18:19]
	s_wait_loadcnt 0x0
	v_cmp_ne_u16_e64 s0, 0, v6
	s_delay_alu instid0(VALU_DEP_1)
	v_cndmask_b32_e64 v11, 0, 1, s0
.LBB217_15:
	s_wait_xcnt 0x0
	s_or_b32 exec_lo, exec_lo, s1
	v_dual_mov_b32 v10, 0 :: v_dual_mov_b32 v13, 0
	s_mov_b32 s1, exec_lo
	v_cmpx_gt_i32_e64 s15, v17
	s_cbranch_execz .LBB217_17
; %bb.16:
	v_add_nc_u32_e32 v6, s24, v17
	v_add_nc_u32_e32 v17, 0x100, v17
	global_load_u8 v6, v6, s[18:19]
	s_wait_loadcnt 0x0
	v_cmp_ne_u16_e64 s0, 0, v6
	s_delay_alu instid0(VALU_DEP_1)
	v_cndmask_b32_e64 v13, 0, 1, s0
.LBB217_17:
	s_wait_xcnt 0x0
	s_or_b32 exec_lo, exec_lo, s1
	s_delay_alu instid0(SALU_CYCLE_1)
	s_mov_b32 s1, exec_lo
	v_cmpx_gt_i32_e64 s15, v17
	s_cbranch_execz .LBB217_19
; %bb.18:
	v_add_nc_u32_e32 v6, s24, v17
	v_add_nc_u32_e32 v17, 0x100, v17
	global_load_u8 v6, v6, s[18:19]
	s_wait_loadcnt 0x0
	v_cmp_ne_u16_e64 s0, 0, v6
	s_delay_alu instid0(VALU_DEP_1)
	v_cndmask_b32_e64 v10, 0, 1, s0
.LBB217_19:
	s_wait_xcnt 0x0
	s_or_b32 exec_lo, exec_lo, s1
	v_dual_mov_b32 v6, 0 :: v_dual_mov_b32 v12, 0
	s_mov_b32 s1, exec_lo
	v_cmpx_gt_i32_e64 s15, v17
	s_cbranch_execz .LBB217_21
; %bb.20:
	v_add_nc_u32_e32 v7, s24, v17
	v_add_nc_u32_e32 v17, 0x100, v17
	global_load_u8 v7, v7, s[18:19]
	s_wait_loadcnt 0x0
	v_cmp_ne_u16_e64 s0, 0, v7
	s_delay_alu instid0(VALU_DEP_1)
	v_cndmask_b32_e64 v12, 0, 1, s0
.LBB217_21:
	s_wait_xcnt 0x0
	s_or_b32 exec_lo, exec_lo, s1
	s_delay_alu instid0(SALU_CYCLE_1)
	s_mov_b32 s1, exec_lo
	v_cmpx_gt_i32_e64 s15, v17
	s_cbranch_execz .LBB217_23
; %bb.22:
	v_add_nc_u32_e32 v6, s24, v17
	v_add_nc_u32_e32 v17, 0x100, v17
	global_load_u8 v6, v6, s[18:19]
	s_wait_loadcnt 0x0
	v_cmp_ne_u16_e64 s0, 0, v6
	s_wait_xcnt 0x0
	s_delay_alu instid0(VALU_DEP_1)
	v_cndmask_b32_e64 v6, 0, 1, s0
.LBB217_23:
	s_or_b32 exec_lo, exec_lo, s1
	v_dual_mov_b32 v7, 0 :: v_dual_mov_b32 v8, 0
	s_mov_b32 s1, exec_lo
	v_cmpx_gt_i32_e64 s15, v17
	s_cbranch_execz .LBB217_25
; %bb.24:
	v_add_nc_u32_e32 v8, s24, v17
	v_add_nc_u32_e32 v17, 0x100, v17
	global_load_u8 v8, v8, s[18:19]
	s_wait_loadcnt 0x0
	v_cmp_ne_u16_e64 s0, 0, v8
	s_wait_xcnt 0x0
	s_delay_alu instid0(VALU_DEP_1)
	v_cndmask_b32_e64 v8, 0, 1, s0
.LBB217_25:
	s_or_b32 exec_lo, exec_lo, s1
	s_delay_alu instid0(SALU_CYCLE_1)
	s_mov_b32 s1, exec_lo
	v_cmpx_gt_i32_e64 s15, v17
	s_cbranch_execz .LBB217_27
; %bb.26:
	v_add_nc_u32_e32 v7, s24, v17
	v_add_nc_u32_e32 v17, 0x100, v17
	global_load_u8 v7, v7, s[18:19]
	s_wait_loadcnt 0x0
	v_cmp_ne_u16_e64 s0, 0, v7
	s_wait_xcnt 0x0
	s_delay_alu instid0(VALU_DEP_1)
	v_cndmask_b32_e64 v7, 0, 1, s0
.LBB217_27:
	s_or_b32 exec_lo, exec_lo, s1
	v_dual_mov_b32 v16, 0 :: v_dual_mov_b32 v18, 0
	s_mov_b32 s1, exec_lo
	v_cmpx_gt_i32_e64 s15, v17
	s_cbranch_execz .LBB217_29
; %bb.28:
	v_add_nc_u32_e32 v14, s24, v17
	v_add_nc_u32_e32 v17, 0x100, v17
	global_load_u8 v14, v14, s[18:19]
	s_wait_loadcnt 0x0
	v_cmp_ne_u16_e64 s0, 0, v14
	s_delay_alu instid0(VALU_DEP_1)
	v_cndmask_b32_e64 v18, 0, 1, s0
.LBB217_29:
	s_wait_xcnt 0x0
	s_or_b32 exec_lo, exec_lo, s1
	s_delay_alu instid0(SALU_CYCLE_1)
	s_mov_b32 s1, exec_lo
	v_cmpx_gt_i32_e64 s15, v17
	s_cbranch_execz .LBB217_31
; %bb.30:
	v_add_nc_u32_e32 v14, s24, v17
	v_add_nc_u32_e32 v17, 0x100, v17
	global_load_u8 v14, v14, s[18:19]
	s_wait_loadcnt 0x0
	v_cmp_ne_u16_e64 s0, 0, v14
	s_delay_alu instid0(VALU_DEP_1)
	v_cndmask_b32_e64 v16, 0, 1, s0
.LBB217_31:
	s_wait_xcnt 0x0
	s_or_b32 exec_lo, exec_lo, s1
	v_dual_mov_b32 v14, 0 :: v_dual_mov_b32 v19, 0
	s_mov_b32 s1, exec_lo
	v_cmpx_gt_i32_e64 s15, v17
	s_cbranch_execz .LBB217_33
; %bb.32:
	v_add_nc_u32_e32 v19, s24, v17
	v_add_nc_u32_e32 v17, 0x100, v17
	global_load_u8 v19, v19, s[18:19]
	s_wait_loadcnt 0x0
	v_cmp_ne_u16_e64 s0, 0, v19
	s_wait_xcnt 0x0
	s_delay_alu instid0(VALU_DEP_1)
	v_cndmask_b32_e64 v19, 0, 1, s0
.LBB217_33:
	s_or_b32 exec_lo, exec_lo, s1
	s_delay_alu instid0(SALU_CYCLE_1)
	s_mov_b32 s1, exec_lo
	v_cmpx_gt_i32_e64 s15, v17
	s_cbranch_execz .LBB217_35
; %bb.34:
	v_add_nc_u32_e32 v14, s24, v17
	global_load_u8 v14, v14, s[18:19]
	s_wait_loadcnt 0x0
	v_cmp_ne_u16_e64 s0, 0, v14
	s_wait_xcnt 0x0
	s_delay_alu instid0(VALU_DEP_1)
	v_cndmask_b32_e64 v14, 0, 1, s0
.LBB217_35:
	s_or_b32 exec_lo, exec_lo, s1
	v_xor_b32_e32 v9, s22, v9
	v_xor_b32_e32 v15, s22, v15
	;; [unrolled: 1-line block ×3, first 2 shown]
	s_cmp_eq_u32 s21, 0
	v_xor_b32_e32 v11, s22, v11
	v_and_b32_e32 v9, 1, v9
	v_and_b32_e32 v15, 1, v15
	;; [unrolled: 1-line block ×3, first 2 shown]
	s_cselect_b32 s3, -1, 0
	v_or_b32_e32 v17, 0x400, v0
	v_cmp_eq_u32_e64 s0, 1, v9
	v_cmp_eq_u32_e64 s1, 1, v15
	;; [unrolled: 1-line block ×3, first 2 shown]
	v_and_b32_e32 v9, 1, v11
	v_xor_b32_e32 v5, s22, v5
	s_xor_b32 s0, s3, s0
	v_xor_b32_e32 v13, s22, v13
	v_cndmask_b32_e64 v4, 0, 1, s0
	s_xor_b32 s0, s3, s1
	v_and_b32_e32 v5, 1, v5
	v_cndmask_b32_e64 v11, 0, 1, s0
	s_xor_b32 s0, s3, s2
	v_cndmask_b32_e32 v4, 0, v4, vcc_lo
	v_cndmask_b32_e64 v15, 0, 1, s0
	v_cmp_eq_u32_e64 s0, 1, v9
	v_bitop3_b16 v9, v11, 0, 0xff00 bitop3:0xf8
	v_cmp_gt_i32_e64 s1, s15, v2
	v_xor_b32_e32 v3, s22, v3
	v_lshlrev_b16 v11, 8, v15
	s_xor_b32 s0, s3, s0
	v_and_b32_e32 v9, 0xffff, v9
	v_cndmask_b32_e64 v15, 0, 1, s0
	v_cmp_gt_i32_e64 s0, s15, v17
	v_or_b32_e32 v11, v4, v11
	v_or_b32_e32 v17, 0x500, v0
	v_and_b32_e32 v3, 1, v3
	v_lshlrev_b16 v15, 8, v15
	v_cndmask_b32_e64 v9, 0, v9, s0
	v_cmp_eq_u32_e64 s0, 1, v5
	v_and_b32_e32 v11, 0xffff, v11
	v_xor_b32_e32 v6, s22, v6
	v_xor_b32_e32 v7, s22, v7
	v_bitop3_b16 v15, v9, v15, 0xff bitop3:0xec
	s_xor_b32 s0, s3, s0
	v_dual_cndmask_b32 v4, v4, v11, s1 :: v_dual_bitop2_b32 v11, 1, v13 bitop3:0x40
	v_cndmask_b32_e64 v13, 0, 1, s0
	s_delay_alu instid0(VALU_DEP_3) | instskip(SKIP_3) | instid1(VALU_DEP_3)
	v_and_b32_e32 v5, 0xffff, v15
	v_cmp_gt_i32_e64 s0, s15, v17
	v_and_b32_e32 v6, 1, v6
	v_or_b32_e32 v17, 0xd00, v0
	v_dual_cndmask_b32 v5, v9, v5, s0 :: v_dual_bitop2_b32 v7, 1, v7 bitop3:0x40
	v_cmp_eq_u32_e64 s0, 1, v11
	v_or_b32_e32 v9, 0x200, v0
	v_lshl_or_b32 v11, v13, 16, v4
	v_cmp_eq_u32_e64 s2, 1, v6
	v_lshrrev_b32_e32 v13, 16, v5
	s_xor_b32 s0, s3, s0
	v_cmp_gt_i32_e64 s1, s15, v9
	v_cndmask_b32_e64 v15, 0, 1, s0
	v_cmp_eq_u32_e64 s0, 1, v3
	v_xor_b32_e32 v9, s22, v10
	v_or_b32_e32 v6, 0xc00, v0
	v_cndmask_b32_e64 v3, v4, v11, s1
	v_bitop3_b16 v4, v15, v13, 0xff00 bitop3:0xf8
	v_or_b32_e32 v13, 0x600, v0
	s_xor_b32 s0, s3, s0
	v_and_b32_e32 v9, 1, v9
	v_cndmask_b32_e64 v10, 0, 1, s0
	v_lshlrev_b32_e32 v4, 16, v4
	v_cmp_gt_i32_e64 s1, s15, v13
	v_lshrrev_b32_e32 v11, 16, v3
	v_cmp_eq_u32_e64 s0, 1, v9
	v_lshlrev_b16 v10, 8, v10
	v_and_or_b32 v4, 0xffff, v5, v4
	v_xor_b32_e32 v13, s22, v16
	s_xor_b32 s0, s3, s0
	s_delay_alu instid0(VALU_DEP_3) | instskip(NEXT) | instid1(VALU_DEP_3)
	v_bitop3_b16 v9, v11, v10, 0xff bitop3:0xec
	v_cndmask_b32_e64 v4, v5, v4, s1
	v_xor_b32_e32 v5, s22, v12
	v_xor_b32_e32 v12, s22, v18
	v_cndmask_b32_e64 v10, 0, 1, s0
	v_and_b32_e32 v13, 1, v13
	v_lshlrev_b32_e32 v9, 16, v9
	v_and_b32_e32 v5, 1, v5
	v_and_b32_e32 v12, 1, v12
	v_lshrrev_b32_e32 v11, 16, v4
	v_lshlrev_b16 v10, 8, v10
	v_and_or_b32 v9, 0xffff, v3, v9
	v_cmp_eq_u32_e64 s0, 1, v5
	v_cmp_eq_u32_e64 s1, 1, v12
	v_or_b32_e32 v5, 0x800, v0
	v_xor_b32_e32 v8, s22, v8
	s_xor_b32 s0, s3, s0
	s_xor_b32 s1, s3, s1
	v_cndmask_b32_e64 v12, 0, 1, s0
	v_cmp_eq_u32_e64 s0, 1, v13
	v_cndmask_b32_e64 v13, 0, 1, s1
	v_and_b32_e32 v8, 1, v8
	v_cmp_gt_i32_e64 s1, s15, v17
	s_xor_b32 s0, s3, s0
	s_delay_alu instid0(SALU_CYCLE_1) | instskip(SKIP_1) | instid1(SALU_CYCLE_1)
	v_cndmask_b32_e64 v15, 0, 1, s0
	s_xor_b32 s0, s3, s2
	v_cndmask_b32_e64 v16, 0, 1, s0
	v_cmp_gt_i32_e64 s0, s15, v6
	s_delay_alu instid0(VALU_DEP_1) | instskip(SKIP_3) | instid1(VALU_DEP_3)
	v_cndmask_b32_e64 v6, 0, v13, s0
	v_lshlrev_b16 v13, 8, v15
	v_cmp_gt_i32_e64 s0, s15, v5
	v_or_b32_e32 v15, 0x900, v0
	v_bitop3_b16 v13, v6, v13, 0xff bitop3:0xec
	s_delay_alu instid0(VALU_DEP_3) | instskip(SKIP_4) | instid1(VALU_DEP_4)
	v_cndmask_b32_e64 v5, 0, v12, s0
	v_lshlrev_b16 v12, 8, v16
	v_xor_b32_e32 v16, s22, v19
	v_cmp_eq_u32_e64 s0, 1, v8
	v_and_b32_e32 v13, 0xffff, v13
	v_or_b32_e32 v12, v5, v12
	s_delay_alu instid0(VALU_DEP_4) | instskip(SKIP_1) | instid1(VALU_DEP_3)
	v_and_b32_e32 v16, 1, v16
	s_xor_b32 s0, s3, s0
	v_cndmask_b32_e64 v6, v6, v13, s1
	s_delay_alu instid0(VALU_DEP_3) | instskip(NEXT) | instid1(VALU_DEP_3)
	v_and_b32_e32 v8, 0xffff, v12
	v_cmp_eq_u32_e64 s1, 1, v16
	v_cndmask_b32_e64 v12, 0, 1, s0
	s_delay_alu instid0(VALU_DEP_4) | instskip(SKIP_1) | instid1(SALU_CYCLE_1)
	v_lshrrev_b32_e32 v13, 16, v6
	s_xor_b32 s0, s3, s1
	v_cndmask_b32_e64 v16, 0, 1, s0
	v_cmp_gt_i32_e64 s0, s15, v15
	s_delay_alu instid0(VALU_DEP_1) | instskip(SKIP_1) | instid1(VALU_DEP_4)
	v_cndmask_b32_e64 v5, v5, v8, s0
	v_lshlrev_b32_e32 v8, 16, v12
	v_bitop3_b16 v12, v16, v13, 0xff00 bitop3:0xf8
	v_xor_b32_e32 v13, s22, v14
	v_or_b32_e32 v14, 0xa00, v0
	v_cmp_eq_u32_e64 s0, 1, v7
	v_and_or_b32 v8, 0x1ff, v5, v8
	s_delay_alu instid0(VALU_DEP_4) | instskip(NEXT) | instid1(VALU_DEP_4)
	v_dual_lshlrev_b32 v7, 16, v12 :: v_dual_bitop2_b32 v12, 1, v13 bitop3:0x40
	v_cmp_gt_i32_e64 s1, s15, v14
	s_xor_b32 s0, s3, s0
	v_or_b32_e32 v13, 0x300, v0
	v_and_or_b32 v7, 0xffff, v6, v7
	v_cndmask_b32_e64 v8, v5, v8, s1
	v_or_b32_e32 v5, 0xe00, v0
	v_cmp_eq_u32_e64 s1, 1, v12
	v_cndmask_b32_e64 v12, 0, 1, s0
	s_delay_alu instid0(VALU_DEP_3) | instskip(NEXT) | instid1(VALU_DEP_1)
	v_cmp_gt_i32_e64 s0, s15, v5
	v_cndmask_b32_e64 v7, v6, v7, s0
	s_delay_alu instid0(VALU_DEP_4)
	s_xor_b32 s0, s3, s1
	v_bitop3_b16 v6, v11, v10, 0xff bitop3:0xec
	v_cndmask_b32_e64 v5, 0, 1, s0
	v_lshrrev_b32_e32 v10, 16, v8
	v_lshlrev_b16 v11, 8, v12
	v_lshrrev_b32_e32 v12, 16, v7
	v_cmp_gt_i32_e64 s0, s15, v13
	v_lshlrev_b16 v5, 8, v5
	s_delay_alu instid0(VALU_DEP_4) | instskip(NEXT) | instid1(VALU_DEP_3)
	v_bitop3_b16 v10, v10, v11, 0xff bitop3:0xec
	v_dual_lshlrev_b32 v11, 16, v6 :: v_dual_cndmask_b32 v6, v3, v9, s0
	s_delay_alu instid0(VALU_DEP_3) | instskip(SKIP_1) | instid1(VALU_DEP_4)
	v_bitop3_b16 v5, v12, v5, 0xff bitop3:0xec
	v_or_b32_e32 v9, 0x700, v0
	v_lshlrev_b32_e32 v3, 16, v10
	s_delay_alu instid0(VALU_DEP_4)
	v_and_or_b32 v10, 0xffff, v4, v11
	v_or_b32_e32 v11, 0xb00, v0
	v_lshlrev_b32_e32 v5, 16, v5
	v_cmp_gt_i32_e64 s0, s15, v9
	v_and_or_b32 v3, 0xffff, v8, v3
	v_or_b32_e32 v12, 0xf00, v0
	s_delay_alu instid0(VALU_DEP_4) | instskip(NEXT) | instid1(VALU_DEP_4)
	v_and_or_b32 v13, 0xffff, v7, v5
	v_cndmask_b32_e64 v5, v4, v10, s0
	v_cmp_gt_i32_e64 s0, s15, v11
	s_delay_alu instid0(VALU_DEP_1) | instskip(SKIP_1) | instid1(VALU_DEP_1)
	v_cndmask_b32_e64 v4, v8, v3, s0
	v_cmp_gt_i32_e64 s0, s15, v12
	v_cndmask_b32_e64 v3, v7, v13, s0
	s_and_saveexec_b32 s0, vcc_lo
	s_cbranch_execnz .LBB217_53
; %bb.36:
	s_or_b32 exec_lo, exec_lo, s0
	s_delay_alu instid0(SALU_CYCLE_1)
	s_mov_b32 s0, exec_lo
	v_cmpx_gt_i32_e64 s15, v0
	s_cbranch_execnz .LBB217_54
.LBB217_37:
	s_or_b32 exec_lo, exec_lo, s0
	s_delay_alu instid0(SALU_CYCLE_1)
	s_mov_b32 s0, exec_lo
	v_cmpx_gt_i32_e64 s15, v0
	s_cbranch_execnz .LBB217_55
.LBB217_38:
	s_or_b32 exec_lo, exec_lo, s0
	s_delay_alu instid0(SALU_CYCLE_1)
	s_mov_b32 s0, exec_lo
	v_cmpx_gt_i32_e64 s15, v0
	s_cbranch_execnz .LBB217_56
.LBB217_39:
	s_or_b32 exec_lo, exec_lo, s0
	s_delay_alu instid0(SALU_CYCLE_1)
	s_mov_b32 s0, exec_lo
	v_cmpx_gt_i32_e64 s15, v0
	s_cbranch_execnz .LBB217_57
.LBB217_40:
	s_or_b32 exec_lo, exec_lo, s0
	s_delay_alu instid0(SALU_CYCLE_1)
	s_mov_b32 s0, exec_lo
	v_cmpx_gt_i32_e64 s15, v0
	s_cbranch_execnz .LBB217_58
.LBB217_41:
	s_or_b32 exec_lo, exec_lo, s0
	s_delay_alu instid0(SALU_CYCLE_1)
	s_mov_b32 s0, exec_lo
	v_cmpx_gt_i32_e64 s15, v0
	s_cbranch_execnz .LBB217_59
.LBB217_42:
	s_or_b32 exec_lo, exec_lo, s0
	s_delay_alu instid0(SALU_CYCLE_1)
	s_mov_b32 s0, exec_lo
	v_cmpx_gt_i32_e64 s15, v0
	s_cbranch_execnz .LBB217_60
.LBB217_43:
	s_or_b32 exec_lo, exec_lo, s0
	s_delay_alu instid0(SALU_CYCLE_1)
	s_mov_b32 s0, exec_lo
	v_cmpx_gt_i32_e64 s15, v0
	s_cbranch_execnz .LBB217_61
.LBB217_44:
	s_or_b32 exec_lo, exec_lo, s0
	s_delay_alu instid0(SALU_CYCLE_1)
	s_mov_b32 s0, exec_lo
	v_cmpx_gt_i32_e64 s15, v0
	s_cbranch_execnz .LBB217_62
.LBB217_45:
	s_or_b32 exec_lo, exec_lo, s0
	s_delay_alu instid0(SALU_CYCLE_1)
	s_mov_b32 s0, exec_lo
	v_cmpx_gt_i32_e64 s15, v0
	s_cbranch_execnz .LBB217_63
.LBB217_46:
	s_or_b32 exec_lo, exec_lo, s0
	s_delay_alu instid0(SALU_CYCLE_1)
	s_mov_b32 s0, exec_lo
	v_cmpx_gt_i32_e64 s15, v0
	s_cbranch_execnz .LBB217_64
.LBB217_47:
	s_or_b32 exec_lo, exec_lo, s0
	s_delay_alu instid0(SALU_CYCLE_1)
	s_mov_b32 s0, exec_lo
	v_cmpx_gt_i32_e64 s15, v0
	s_cbranch_execnz .LBB217_65
.LBB217_48:
	s_or_b32 exec_lo, exec_lo, s0
	s_delay_alu instid0(SALU_CYCLE_1)
	s_mov_b32 s0, exec_lo
	v_cmpx_gt_i32_e64 s15, v0
	s_cbranch_execnz .LBB217_66
.LBB217_49:
	s_or_b32 exec_lo, exec_lo, s0
	s_delay_alu instid0(SALU_CYCLE_1)
	s_mov_b32 s0, exec_lo
	v_cmpx_gt_i32_e64 s15, v0
	s_cbranch_execnz .LBB217_67
.LBB217_50:
	s_or_b32 exec_lo, exec_lo, s0
	s_delay_alu instid0(SALU_CYCLE_1)
	s_mov_b32 s0, exec_lo
	v_cmpx_gt_i32_e64 s15, v0
	s_cbranch_execz .LBB217_52
.LBB217_51:
	v_dual_lshrrev_b32 v1, 24, v3 :: v_dual_add_nc_u32 v0, s24, v0
	global_store_b8 v0, v1, s[16:17]
.LBB217_52:
	s_endpgm
.LBB217_53:
	v_mov_b32_e32 v0, v2
	global_store_b8 v1, v6, s[16:17]
	s_wait_xcnt 0x0
	s_or_b32 exec_lo, exec_lo, s0
	s_delay_alu instid0(SALU_CYCLE_1)
	s_mov_b32 s0, exec_lo
	v_cmpx_gt_i32_e64 s15, v0
	s_cbranch_execz .LBB217_37
.LBB217_54:
	v_dual_lshrrev_b32 v1, 8, v6 :: v_dual_add_nc_u32 v2, s24, v0
	v_add_nc_u32_e32 v0, 0x100, v0
	global_store_b8 v2, v1, s[16:17]
	s_wait_xcnt 0x0
	s_or_b32 exec_lo, exec_lo, s0
	s_delay_alu instid0(SALU_CYCLE_1)
	s_mov_b32 s0, exec_lo
	v_cmpx_gt_i32_e64 s15, v0
	s_cbranch_execz .LBB217_38
.LBB217_55:
	v_add_nc_u32_e32 v1, s24, v0
	v_add_nc_u32_e32 v0, 0x100, v0
	global_store_d16_hi_b8 v1, v6, s[16:17]
	s_wait_xcnt 0x0
	s_or_b32 exec_lo, exec_lo, s0
	s_delay_alu instid0(SALU_CYCLE_1)
	s_mov_b32 s0, exec_lo
	v_cmpx_gt_i32_e64 s15, v0
	s_cbranch_execz .LBB217_39
.LBB217_56:
	v_dual_lshrrev_b32 v1, 24, v6 :: v_dual_add_nc_u32 v2, s24, v0
	v_add_nc_u32_e32 v0, 0x100, v0
	global_store_b8 v2, v1, s[16:17]
	s_wait_xcnt 0x0
	s_or_b32 exec_lo, exec_lo, s0
	s_delay_alu instid0(SALU_CYCLE_1)
	s_mov_b32 s0, exec_lo
	v_cmpx_gt_i32_e64 s15, v0
	s_cbranch_execz .LBB217_40
.LBB217_57:
	v_add_nc_u32_e32 v1, s24, v0
	v_add_nc_u32_e32 v0, 0x100, v0
	global_store_b8 v1, v5, s[16:17]
	s_wait_xcnt 0x0
	s_or_b32 exec_lo, exec_lo, s0
	s_delay_alu instid0(SALU_CYCLE_1)
	s_mov_b32 s0, exec_lo
	v_cmpx_gt_i32_e64 s15, v0
	s_cbranch_execz .LBB217_41
.LBB217_58:
	v_dual_lshrrev_b32 v1, 8, v5 :: v_dual_add_nc_u32 v2, s24, v0
	v_add_nc_u32_e32 v0, 0x100, v0
	global_store_b8 v2, v1, s[16:17]
	s_wait_xcnt 0x0
	s_or_b32 exec_lo, exec_lo, s0
	s_delay_alu instid0(SALU_CYCLE_1)
	s_mov_b32 s0, exec_lo
	v_cmpx_gt_i32_e64 s15, v0
	s_cbranch_execz .LBB217_42
.LBB217_59:
	v_add_nc_u32_e32 v1, s24, v0
	v_add_nc_u32_e32 v0, 0x100, v0
	global_store_d16_hi_b8 v1, v5, s[16:17]
	s_wait_xcnt 0x0
	s_or_b32 exec_lo, exec_lo, s0
	s_delay_alu instid0(SALU_CYCLE_1)
	s_mov_b32 s0, exec_lo
	v_cmpx_gt_i32_e64 s15, v0
	s_cbranch_execz .LBB217_43
.LBB217_60:
	v_dual_lshrrev_b32 v1, 24, v5 :: v_dual_add_nc_u32 v2, s24, v0
	v_add_nc_u32_e32 v0, 0x100, v0
	global_store_b8 v2, v1, s[16:17]
	s_wait_xcnt 0x0
	s_or_b32 exec_lo, exec_lo, s0
	s_delay_alu instid0(SALU_CYCLE_1)
	s_mov_b32 s0, exec_lo
	v_cmpx_gt_i32_e64 s15, v0
	s_cbranch_execz .LBB217_44
.LBB217_61:
	v_add_nc_u32_e32 v1, s24, v0
	v_add_nc_u32_e32 v0, 0x100, v0
	global_store_b8 v1, v4, s[16:17]
	s_wait_xcnt 0x0
	s_or_b32 exec_lo, exec_lo, s0
	s_delay_alu instid0(SALU_CYCLE_1)
	s_mov_b32 s0, exec_lo
	v_cmpx_gt_i32_e64 s15, v0
	s_cbranch_execz .LBB217_45
.LBB217_62:
	v_lshrrev_b32_e32 v1, 8, v4
	v_add_nc_u32_e32 v2, s24, v0
	v_add_nc_u32_e32 v0, 0x100, v0
	global_store_b8 v2, v1, s[16:17]
	s_wait_xcnt 0x0
	s_or_b32 exec_lo, exec_lo, s0
	s_delay_alu instid0(SALU_CYCLE_1)
	s_mov_b32 s0, exec_lo
	v_cmpx_gt_i32_e64 s15, v0
	s_cbranch_execz .LBB217_46
.LBB217_63:
	v_add_nc_u32_e32 v1, s24, v0
	v_add_nc_u32_e32 v0, 0x100, v0
	global_store_d16_hi_b8 v1, v4, s[16:17]
	s_wait_xcnt 0x0
	s_or_b32 exec_lo, exec_lo, s0
	s_delay_alu instid0(SALU_CYCLE_1)
	s_mov_b32 s0, exec_lo
	v_cmpx_gt_i32_e64 s15, v0
	s_cbranch_execz .LBB217_47
.LBB217_64:
	v_lshrrev_b32_e32 v1, 24, v4
	v_add_nc_u32_e32 v2, s24, v0
	v_add_nc_u32_e32 v0, 0x100, v0
	global_store_b8 v2, v1, s[16:17]
	s_wait_xcnt 0x0
	s_or_b32 exec_lo, exec_lo, s0
	s_delay_alu instid0(SALU_CYCLE_1)
	s_mov_b32 s0, exec_lo
	v_cmpx_gt_i32_e64 s15, v0
	s_cbranch_execz .LBB217_48
.LBB217_65:
	v_add_nc_u32_e32 v1, s24, v0
	v_add_nc_u32_e32 v0, 0x100, v0
	global_store_b8 v1, v3, s[16:17]
	s_wait_xcnt 0x0
	s_or_b32 exec_lo, exec_lo, s0
	s_delay_alu instid0(SALU_CYCLE_1)
	s_mov_b32 s0, exec_lo
	v_cmpx_gt_i32_e64 s15, v0
	s_cbranch_execz .LBB217_49
.LBB217_66:
	v_dual_lshrrev_b32 v1, 8, v3 :: v_dual_add_nc_u32 v2, s24, v0
	v_add_nc_u32_e32 v0, 0x100, v0
	global_store_b8 v2, v1, s[16:17]
	s_wait_xcnt 0x0
	s_or_b32 exec_lo, exec_lo, s0
	s_delay_alu instid0(SALU_CYCLE_1)
	s_mov_b32 s0, exec_lo
	v_cmpx_gt_i32_e64 s15, v0
	s_cbranch_execz .LBB217_50
.LBB217_67:
	v_add_nc_u32_e32 v1, s24, v0
	v_add_nc_u32_e32 v0, 0x100, v0
	global_store_d16_hi_b8 v1, v3, s[16:17]
	s_wait_xcnt 0x0
	s_or_b32 exec_lo, exec_lo, s0
	s_delay_alu instid0(SALU_CYCLE_1)
	s_mov_b32 s0, exec_lo
	v_cmpx_gt_i32_e64 s15, v0
	s_cbranch_execnz .LBB217_51
	s_branch .LBB217_52
	.section	.rodata,"a",@progbits
	.p2align	6, 0x0
	.amdhsa_kernel _ZN2at6native29vectorized_elementwise_kernelILi8ENS0_13AUnaryFunctorIbbbNS0_12_GLOBAL__N_116CompareEqFunctorIbEEEESt5arrayIPcLm2EEEEviT0_T1_
		.amdhsa_group_segment_fixed_size 0
		.amdhsa_private_segment_fixed_size 0
		.amdhsa_kernarg_size 32
		.amdhsa_user_sgpr_count 2
		.amdhsa_user_sgpr_dispatch_ptr 0
		.amdhsa_user_sgpr_queue_ptr 0
		.amdhsa_user_sgpr_kernarg_segment_ptr 1
		.amdhsa_user_sgpr_dispatch_id 0
		.amdhsa_user_sgpr_kernarg_preload_length 0
		.amdhsa_user_sgpr_kernarg_preload_offset 0
		.amdhsa_user_sgpr_private_segment_size 0
		.amdhsa_wavefront_size32 1
		.amdhsa_uses_dynamic_stack 0
		.amdhsa_enable_private_segment 0
		.amdhsa_system_sgpr_workgroup_id_x 1
		.amdhsa_system_sgpr_workgroup_id_y 0
		.amdhsa_system_sgpr_workgroup_id_z 0
		.amdhsa_system_sgpr_workgroup_info 0
		.amdhsa_system_vgpr_workitem_id 0
		.amdhsa_next_free_vgpr 20
		.amdhsa_next_free_sgpr 27
		.amdhsa_named_barrier_count 0
		.amdhsa_reserve_vcc 1
		.amdhsa_float_round_mode_32 0
		.amdhsa_float_round_mode_16_64 0
		.amdhsa_float_denorm_mode_32 3
		.amdhsa_float_denorm_mode_16_64 3
		.amdhsa_fp16_overflow 0
		.amdhsa_memory_ordered 1
		.amdhsa_forward_progress 1
		.amdhsa_inst_pref_size 37
		.amdhsa_round_robin_scheduling 0
		.amdhsa_exception_fp_ieee_invalid_op 0
		.amdhsa_exception_fp_denorm_src 0
		.amdhsa_exception_fp_ieee_div_zero 0
		.amdhsa_exception_fp_ieee_overflow 0
		.amdhsa_exception_fp_ieee_underflow 0
		.amdhsa_exception_fp_ieee_inexact 0
		.amdhsa_exception_int_div_zero 0
	.end_amdhsa_kernel
	.section	.text._ZN2at6native29vectorized_elementwise_kernelILi8ENS0_13AUnaryFunctorIbbbNS0_12_GLOBAL__N_116CompareEqFunctorIbEEEESt5arrayIPcLm2EEEEviT0_T1_,"axG",@progbits,_ZN2at6native29vectorized_elementwise_kernelILi8ENS0_13AUnaryFunctorIbbbNS0_12_GLOBAL__N_116CompareEqFunctorIbEEEESt5arrayIPcLm2EEEEviT0_T1_,comdat
.Lfunc_end217:
	.size	_ZN2at6native29vectorized_elementwise_kernelILi8ENS0_13AUnaryFunctorIbbbNS0_12_GLOBAL__N_116CompareEqFunctorIbEEEESt5arrayIPcLm2EEEEviT0_T1_, .Lfunc_end217-_ZN2at6native29vectorized_elementwise_kernelILi8ENS0_13AUnaryFunctorIbbbNS0_12_GLOBAL__N_116CompareEqFunctorIbEEEESt5arrayIPcLm2EEEEviT0_T1_
                                        ; -- End function
	.set _ZN2at6native29vectorized_elementwise_kernelILi8ENS0_13AUnaryFunctorIbbbNS0_12_GLOBAL__N_116CompareEqFunctorIbEEEESt5arrayIPcLm2EEEEviT0_T1_.num_vgpr, 20
	.set _ZN2at6native29vectorized_elementwise_kernelILi8ENS0_13AUnaryFunctorIbbbNS0_12_GLOBAL__N_116CompareEqFunctorIbEEEESt5arrayIPcLm2EEEEviT0_T1_.num_agpr, 0
	.set _ZN2at6native29vectorized_elementwise_kernelILi8ENS0_13AUnaryFunctorIbbbNS0_12_GLOBAL__N_116CompareEqFunctorIbEEEESt5arrayIPcLm2EEEEviT0_T1_.numbered_sgpr, 27
	.set _ZN2at6native29vectorized_elementwise_kernelILi8ENS0_13AUnaryFunctorIbbbNS0_12_GLOBAL__N_116CompareEqFunctorIbEEEESt5arrayIPcLm2EEEEviT0_T1_.num_named_barrier, 0
	.set _ZN2at6native29vectorized_elementwise_kernelILi8ENS0_13AUnaryFunctorIbbbNS0_12_GLOBAL__N_116CompareEqFunctorIbEEEESt5arrayIPcLm2EEEEviT0_T1_.private_seg_size, 0
	.set _ZN2at6native29vectorized_elementwise_kernelILi8ENS0_13AUnaryFunctorIbbbNS0_12_GLOBAL__N_116CompareEqFunctorIbEEEESt5arrayIPcLm2EEEEviT0_T1_.uses_vcc, 1
	.set _ZN2at6native29vectorized_elementwise_kernelILi8ENS0_13AUnaryFunctorIbbbNS0_12_GLOBAL__N_116CompareEqFunctorIbEEEESt5arrayIPcLm2EEEEviT0_T1_.uses_flat_scratch, 0
	.set _ZN2at6native29vectorized_elementwise_kernelILi8ENS0_13AUnaryFunctorIbbbNS0_12_GLOBAL__N_116CompareEqFunctorIbEEEESt5arrayIPcLm2EEEEviT0_T1_.has_dyn_sized_stack, 0
	.set _ZN2at6native29vectorized_elementwise_kernelILi8ENS0_13AUnaryFunctorIbbbNS0_12_GLOBAL__N_116CompareEqFunctorIbEEEESt5arrayIPcLm2EEEEviT0_T1_.has_recursion, 0
	.set _ZN2at6native29vectorized_elementwise_kernelILi8ENS0_13AUnaryFunctorIbbbNS0_12_GLOBAL__N_116CompareEqFunctorIbEEEESt5arrayIPcLm2EEEEviT0_T1_.has_indirect_call, 0
	.section	.AMDGPU.csdata,"",@progbits
; Kernel info:
; codeLenInByte = 4620
; TotalNumSgprs: 29
; NumVgprs: 20
; ScratchSize: 0
; MemoryBound: 0
; FloatMode: 240
; IeeeMode: 1
; LDSByteSize: 0 bytes/workgroup (compile time only)
; SGPRBlocks: 0
; VGPRBlocks: 1
; NumSGPRsForWavesPerEU: 29
; NumVGPRsForWavesPerEU: 20
; NamedBarCnt: 0
; Occupancy: 16
; WaveLimiterHint : 1
; COMPUTE_PGM_RSRC2:SCRATCH_EN: 0
; COMPUTE_PGM_RSRC2:USER_SGPR: 2
; COMPUTE_PGM_RSRC2:TRAP_HANDLER: 0
; COMPUTE_PGM_RSRC2:TGID_X_EN: 1
; COMPUTE_PGM_RSRC2:TGID_Y_EN: 0
; COMPUTE_PGM_RSRC2:TGID_Z_EN: 0
; COMPUTE_PGM_RSRC2:TIDIG_COMP_CNT: 0
	.section	.text._ZN2at6native29vectorized_elementwise_kernelILi4ENS0_13AUnaryFunctorIbbbNS0_12_GLOBAL__N_116CompareEqFunctorIbEEEESt5arrayIPcLm2EEEEviT0_T1_,"axG",@progbits,_ZN2at6native29vectorized_elementwise_kernelILi4ENS0_13AUnaryFunctorIbbbNS0_12_GLOBAL__N_116CompareEqFunctorIbEEEESt5arrayIPcLm2EEEEviT0_T1_,comdat
	.globl	_ZN2at6native29vectorized_elementwise_kernelILi4ENS0_13AUnaryFunctorIbbbNS0_12_GLOBAL__N_116CompareEqFunctorIbEEEESt5arrayIPcLm2EEEEviT0_T1_ ; -- Begin function _ZN2at6native29vectorized_elementwise_kernelILi4ENS0_13AUnaryFunctorIbbbNS0_12_GLOBAL__N_116CompareEqFunctorIbEEEESt5arrayIPcLm2EEEEviT0_T1_
	.p2align	8
	.type	_ZN2at6native29vectorized_elementwise_kernelILi4ENS0_13AUnaryFunctorIbbbNS0_12_GLOBAL__N_116CompareEqFunctorIbEEEESt5arrayIPcLm2EEEEviT0_T1_,@function
_ZN2at6native29vectorized_elementwise_kernelILi4ENS0_13AUnaryFunctorIbbbNS0_12_GLOBAL__N_116CompareEqFunctorIbEEEESt5arrayIPcLm2EEEEviT0_T1_: ; @_ZN2at6native29vectorized_elementwise_kernelILi4ENS0_13AUnaryFunctorIbbbNS0_12_GLOBAL__N_116CompareEqFunctorIbEEEESt5arrayIPcLm2EEEEviT0_T1_
; %bb.0:
	s_clause 0x1
	s_load_b96 s[20:22], s[0:1], 0x0
	s_load_b128 s[16:19], s[0:1], 0x10
	s_wait_xcnt 0x0
	s_bfe_u32 s0, ttmp6, 0x4000c
	s_and_b32 s1, ttmp6, 15
	s_add_co_i32 s0, s0, 1
	s_getreg_b32 s2, hwreg(HW_REG_IB_STS2, 6, 4)
	s_mul_i32 s0, ttmp9, s0
	s_delay_alu instid0(SALU_CYCLE_1) | instskip(SKIP_2) | instid1(SALU_CYCLE_1)
	s_add_co_i32 s1, s1, s0
	s_cmp_eq_u32 s2, 0
	s_cselect_b32 s0, ttmp9, s1
	s_lshl_b32 s24, s0, 12
	s_mov_b32 s0, -1
	s_wait_kmcnt 0x0
	s_sub_co_i32 s15, s20, s24
	s_delay_alu instid0(SALU_CYCLE_1)
	s_cmp_gt_i32 s15, 0xfff
	s_cbranch_scc0 .LBB218_2
; %bb.1:
	s_bitcmp1_b32 s22, 0
	s_cselect_b32 s20, -1, 0
	s_ashr_i32 s25, s24, 31
	s_cmp_eq_u32 s21, 0
	s_add_nc_u64 s[0:1], s[18:19], s[24:25]
	s_clause 0x3
	global_load_b32 v1, v0, s[0:1] scale_offset
	global_load_b32 v2, v0, s[0:1] offset:1024 scale_offset
	global_load_b32 v3, v0, s[0:1] offset:2048 scale_offset
	;; [unrolled: 1-line block ×3, first 2 shown]
	s_cselect_b32 s23, -1, 0
	s_wait_loadcnt 0x3
	v_and_b32_e32 v5, 0xff, v1
	s_wait_loadcnt 0x2
	s_wait_xcnt 0x0
	v_cmp_lt_u32_e64 s0, 0xffffff, v2
	s_wait_loadcnt 0x1
	v_cmp_lt_u32_e64 s1, 0xffffff, v3
	v_and_b32_e32 v6, 0xff00, v1
	v_and_b32_e32 v7, 0xff0000, v1
	v_cmp_lt_u32_e32 vcc_lo, 0xffffff, v1
	v_and_b32_e32 v1, 0xff, v2
	v_and_b32_e32 v8, 0xff00, v2
	;; [unrolled: 1-line block ×4, first 2 shown]
	s_wait_loadcnt 0x0
	v_cmp_lt_u32_e64 s2, 0xffffff, v4
	s_xor_b32 s0, s0, s20
	v_and_b32_e32 v10, 0xff00, v3
	v_and_b32_e32 v11, 0xff0000, v3
	;; [unrolled: 1-line block ×3, first 2 shown]
	s_xor_b32 s1, s1, s20
	s_xor_b32 s0, s23, s0
	v_cmp_ne_u32_e64 s3, 0, v5
	v_cmp_ne_u32_e64 s9, 0, v2
	s_xor_b32 s2, s2, s20
	v_cndmask_b32_e64 v2, 0, 1, s0
	s_xor_b32 s0, s23, s1
	v_cmp_ne_u32_e64 s4, 0, v6
	v_cmp_ne_u32_e64 s12, 0, v3
	v_cndmask_b32_e64 v3, 0, 1, s0
	s_xor_b32 s0, s23, s2
	v_cmp_ne_u32_e64 s5, 0, v7
	v_and_b32_e32 v12, 0xff00, v4
	v_and_b32_e32 v13, 0xff0000, v4
	v_cndmask_b32_e64 v4, 0, 1, s0
	s_xor_b32 s0, s3, s20
	v_cmp_ne_u32_e64 s6, 0, v1
	s_xor_b32 s1, s4, s20
	s_xor_b32 s0, s23, s0
	v_cmp_ne_u32_e64 s7, 0, v8
	s_xor_b32 s2, s5, s20
	v_cndmask_b32_e64 v5, 0, 1, s0
	s_xor_b32 s0, s23, s1
	v_cmp_ne_u32_e64 s8, 0, v9
	s_xor_b32 s3, s6, s20
	v_cndmask_b32_e64 v6, 0, 1, s0
	s_xor_b32 s0, s23, s2
	s_xor_b32 s4, s7, s20
	v_cndmask_b32_e64 v7, 0, 1, s0
	s_xor_b32 s0, s23, s3
	v_cmp_ne_u32_e64 s10, 0, v10
	s_xor_b32 s5, s8, s20
	v_cndmask_b32_e64 v8, 0, 1, s0
	s_xor_b32 s0, s23, s4
	v_cmp_ne_u32_e64 s11, 0, v11
	s_xor_b32 s6, s9, s20
	v_cndmask_b32_e64 v9, 0, 1, s0
	s_xor_b32 s0, s23, s5
	s_xor_b32 s7, s10, s20
	v_cndmask_b32_e64 v10, 0, 1, s0
	s_xor_b32 s0, s23, s6
	v_cmp_ne_u32_e64 s13, 0, v12
	s_xor_b32 s8, s11, s20
	v_cndmask_b32_e64 v11, 0, 1, s0
	s_xor_b32 s0, s23, s7
	s_xor_b32 s26, vcc_lo, s20
	s_xor_b32 s9, s12, s20
	v_cndmask_b32_e64 v12, 0, 1, s0
	s_xor_b32 s0, s23, s8
	s_xor_b32 s26, s23, s26
	v_cmp_ne_u32_e64 s14, 0, v13
	s_xor_b32 s10, s13, s20
	v_cndmask_b32_e64 v13, 0, 1, s0
	s_xor_b32 s0, s23, s9
	v_cndmask_b32_e64 v1, 0, 1, s26
	v_cndmask_b32_e64 v14, 0, 1, s0
	s_xor_b32 s0, s23, s10
	s_xor_b32 s11, s14, s20
	v_cndmask_b32_e64 v15, 0, 1, s0
	v_lshlrev_b16 v1, 8, v1
	v_lshlrev_b16 v6, 8, v6
	s_xor_b32 s0, s23, s11
	v_lshlrev_b16 v2, 8, v2
	v_lshlrev_b16 v9, 8, v9
	;; [unrolled: 1-line block ×4, first 2 shown]
	v_cndmask_b32_e64 v16, 0, 1, s0
	v_lshlrev_b16 v4, 8, v4
	v_lshlrev_b16 v15, 8, v15
	v_or_b32_e32 v1, v7, v1
	v_or_b32_e32 v5, v5, v6
	;; [unrolled: 1-line block ×7, first 2 shown]
	v_dual_lshlrev_b32 v1, 16, v1 :: v_dual_bitop2_b32 v7, v14, v15 bitop3:0x54
	v_and_b32_e32 v5, 0xffff, v5
	v_lshlrev_b32_e32 v2, 16, v2
	v_and_b32_e32 v6, 0xffff, v6
	v_lshlrev_b32_e32 v3, 16, v3
	;; [unrolled: 2-line block ×3, first 2 shown]
	v_and_b32_e32 v7, 0xffff, v7
	v_or_b32_e32 v1, v5, v1
	v_or_b32_e32 v2, v6, v2
	;; [unrolled: 1-line block ×3, first 2 shown]
	s_add_nc_u64 s[2:3], s[16:17], s[24:25]
	v_or_b32_e32 v4, v7, v4
	s_mov_b32 s0, 0
	s_clause 0x3
	global_store_b32 v0, v1, s[2:3] scale_offset
	global_store_b32 v0, v2, s[2:3] offset:1024 scale_offset
	global_store_b32 v0, v3, s[2:3] offset:2048 scale_offset
	;; [unrolled: 1-line block ×3, first 2 shown]
.LBB218_2:
	s_and_not1_b32 vcc_lo, exec_lo, s0
	s_cbranch_vccnz .LBB218_52
; %bb.3:
	v_cmp_gt_i32_e32 vcc_lo, s15, v0
	s_wait_xcnt 0x0
	v_dual_mov_b32 v4, 0 :: v_dual_bitop2_b32 v1, s24, v0 bitop3:0x54
	v_or_b32_e32 v2, 0x100, v0
	v_dual_mov_b32 v9, 0 :: v_dual_mov_b32 v17, v0
	s_and_saveexec_b32 s1, vcc_lo
	s_cbranch_execz .LBB218_5
; %bb.4:
	global_load_u8 v3, v1, s[18:19]
	v_or_b32_e32 v17, 0x100, v0
	s_wait_loadcnt 0x0
	v_cmp_ne_u16_e64 s0, 0, v3
	s_delay_alu instid0(VALU_DEP_1)
	v_cndmask_b32_e64 v9, 0, 1, s0
.LBB218_5:
	s_wait_xcnt 0x0
	s_or_b32 exec_lo, exec_lo, s1
	s_delay_alu instid0(SALU_CYCLE_1)
	s_mov_b32 s1, exec_lo
	v_cmpx_gt_i32_e64 s15, v17
	s_cbranch_execz .LBB218_7
; %bb.6:
	v_add_nc_u32_e32 v3, s24, v17
	v_add_nc_u32_e32 v17, 0x100, v17
	global_load_u8 v3, v3, s[18:19]
	s_wait_loadcnt 0x0
	v_cmp_ne_u16_e64 s0, 0, v3
	s_delay_alu instid0(VALU_DEP_1)
	v_cndmask_b32_e64 v4, 0, 1, s0
.LBB218_7:
	s_wait_xcnt 0x0
	s_or_b32 exec_lo, exec_lo, s1
	v_dual_mov_b32 v3, 0 :: v_dual_mov_b32 v5, 0
	s_mov_b32 s1, exec_lo
	v_cmpx_gt_i32_e64 s15, v17
	s_cbranch_execz .LBB218_9
; %bb.8:
	v_add_nc_u32_e32 v5, s24, v17
	v_add_nc_u32_e32 v17, 0x100, v17
	global_load_u8 v5, v5, s[18:19]
	s_wait_loadcnt 0x0
	v_cmp_ne_u16_e64 s0, 0, v5
	s_wait_xcnt 0x0
	s_delay_alu instid0(VALU_DEP_1)
	v_cndmask_b32_e64 v5, 0, 1, s0
.LBB218_9:
	s_or_b32 exec_lo, exec_lo, s1
	s_delay_alu instid0(SALU_CYCLE_1)
	s_mov_b32 s1, exec_lo
	v_cmpx_gt_i32_e64 s15, v17
	s_cbranch_execz .LBB218_11
; %bb.10:
	v_add_nc_u32_e32 v3, s24, v17
	v_add_nc_u32_e32 v17, 0x100, v17
	global_load_u8 v3, v3, s[18:19]
	s_wait_loadcnt 0x0
	v_cmp_ne_u16_e64 s0, 0, v3
	s_wait_xcnt 0x0
	s_delay_alu instid0(VALU_DEP_1)
	v_cndmask_b32_e64 v3, 0, 1, s0
.LBB218_11:
	s_or_b32 exec_lo, exec_lo, s1
	v_dual_mov_b32 v11, 0 :: v_dual_mov_b32 v15, 0
	s_mov_b32 s1, exec_lo
	v_cmpx_gt_i32_e64 s15, v17
	s_cbranch_execz .LBB218_13
; %bb.12:
	v_add_nc_u32_e32 v6, s24, v17
	v_add_nc_u32_e32 v17, 0x100, v17
	global_load_u8 v6, v6, s[18:19]
	s_wait_loadcnt 0x0
	v_cmp_ne_u16_e64 s0, 0, v6
	s_delay_alu instid0(VALU_DEP_1)
	v_cndmask_b32_e64 v15, 0, 1, s0
.LBB218_13:
	s_wait_xcnt 0x0
	s_or_b32 exec_lo, exec_lo, s1
	s_delay_alu instid0(SALU_CYCLE_1)
	s_mov_b32 s1, exec_lo
	v_cmpx_gt_i32_e64 s15, v17
	s_cbranch_execz .LBB218_15
; %bb.14:
	v_add_nc_u32_e32 v6, s24, v17
	v_add_nc_u32_e32 v17, 0x100, v17
	global_load_u8 v6, v6, s[18:19]
	s_wait_loadcnt 0x0
	v_cmp_ne_u16_e64 s0, 0, v6
	s_delay_alu instid0(VALU_DEP_1)
	v_cndmask_b32_e64 v11, 0, 1, s0
.LBB218_15:
	s_wait_xcnt 0x0
	s_or_b32 exec_lo, exec_lo, s1
	v_dual_mov_b32 v10, 0 :: v_dual_mov_b32 v13, 0
	s_mov_b32 s1, exec_lo
	v_cmpx_gt_i32_e64 s15, v17
	s_cbranch_execz .LBB218_17
; %bb.16:
	v_add_nc_u32_e32 v6, s24, v17
	v_add_nc_u32_e32 v17, 0x100, v17
	global_load_u8 v6, v6, s[18:19]
	s_wait_loadcnt 0x0
	v_cmp_ne_u16_e64 s0, 0, v6
	s_delay_alu instid0(VALU_DEP_1)
	v_cndmask_b32_e64 v13, 0, 1, s0
.LBB218_17:
	s_wait_xcnt 0x0
	s_or_b32 exec_lo, exec_lo, s1
	s_delay_alu instid0(SALU_CYCLE_1)
	s_mov_b32 s1, exec_lo
	v_cmpx_gt_i32_e64 s15, v17
	s_cbranch_execz .LBB218_19
; %bb.18:
	v_add_nc_u32_e32 v6, s24, v17
	v_add_nc_u32_e32 v17, 0x100, v17
	global_load_u8 v6, v6, s[18:19]
	s_wait_loadcnt 0x0
	v_cmp_ne_u16_e64 s0, 0, v6
	s_delay_alu instid0(VALU_DEP_1)
	v_cndmask_b32_e64 v10, 0, 1, s0
.LBB218_19:
	s_wait_xcnt 0x0
	s_or_b32 exec_lo, exec_lo, s1
	v_dual_mov_b32 v6, 0 :: v_dual_mov_b32 v12, 0
	s_mov_b32 s1, exec_lo
	v_cmpx_gt_i32_e64 s15, v17
	s_cbranch_execz .LBB218_21
; %bb.20:
	v_add_nc_u32_e32 v7, s24, v17
	v_add_nc_u32_e32 v17, 0x100, v17
	global_load_u8 v7, v7, s[18:19]
	s_wait_loadcnt 0x0
	v_cmp_ne_u16_e64 s0, 0, v7
	s_delay_alu instid0(VALU_DEP_1)
	v_cndmask_b32_e64 v12, 0, 1, s0
.LBB218_21:
	s_wait_xcnt 0x0
	s_or_b32 exec_lo, exec_lo, s1
	s_delay_alu instid0(SALU_CYCLE_1)
	s_mov_b32 s1, exec_lo
	v_cmpx_gt_i32_e64 s15, v17
	s_cbranch_execz .LBB218_23
; %bb.22:
	v_add_nc_u32_e32 v6, s24, v17
	v_add_nc_u32_e32 v17, 0x100, v17
	global_load_u8 v6, v6, s[18:19]
	s_wait_loadcnt 0x0
	v_cmp_ne_u16_e64 s0, 0, v6
	s_wait_xcnt 0x0
	s_delay_alu instid0(VALU_DEP_1)
	v_cndmask_b32_e64 v6, 0, 1, s0
.LBB218_23:
	s_or_b32 exec_lo, exec_lo, s1
	v_dual_mov_b32 v7, 0 :: v_dual_mov_b32 v8, 0
	s_mov_b32 s1, exec_lo
	v_cmpx_gt_i32_e64 s15, v17
	s_cbranch_execz .LBB218_25
; %bb.24:
	v_add_nc_u32_e32 v8, s24, v17
	v_add_nc_u32_e32 v17, 0x100, v17
	global_load_u8 v8, v8, s[18:19]
	s_wait_loadcnt 0x0
	v_cmp_ne_u16_e64 s0, 0, v8
	s_wait_xcnt 0x0
	s_delay_alu instid0(VALU_DEP_1)
	v_cndmask_b32_e64 v8, 0, 1, s0
.LBB218_25:
	s_or_b32 exec_lo, exec_lo, s1
	s_delay_alu instid0(SALU_CYCLE_1)
	s_mov_b32 s1, exec_lo
	v_cmpx_gt_i32_e64 s15, v17
	s_cbranch_execz .LBB218_27
; %bb.26:
	v_add_nc_u32_e32 v7, s24, v17
	v_add_nc_u32_e32 v17, 0x100, v17
	global_load_u8 v7, v7, s[18:19]
	s_wait_loadcnt 0x0
	v_cmp_ne_u16_e64 s0, 0, v7
	s_wait_xcnt 0x0
	s_delay_alu instid0(VALU_DEP_1)
	v_cndmask_b32_e64 v7, 0, 1, s0
.LBB218_27:
	s_or_b32 exec_lo, exec_lo, s1
	v_dual_mov_b32 v16, 0 :: v_dual_mov_b32 v18, 0
	s_mov_b32 s1, exec_lo
	v_cmpx_gt_i32_e64 s15, v17
	s_cbranch_execz .LBB218_29
; %bb.28:
	v_add_nc_u32_e32 v14, s24, v17
	v_add_nc_u32_e32 v17, 0x100, v17
	global_load_u8 v14, v14, s[18:19]
	s_wait_loadcnt 0x0
	v_cmp_ne_u16_e64 s0, 0, v14
	s_delay_alu instid0(VALU_DEP_1)
	v_cndmask_b32_e64 v18, 0, 1, s0
.LBB218_29:
	s_wait_xcnt 0x0
	s_or_b32 exec_lo, exec_lo, s1
	s_delay_alu instid0(SALU_CYCLE_1)
	s_mov_b32 s1, exec_lo
	v_cmpx_gt_i32_e64 s15, v17
	s_cbranch_execz .LBB218_31
; %bb.30:
	v_add_nc_u32_e32 v14, s24, v17
	v_add_nc_u32_e32 v17, 0x100, v17
	global_load_u8 v14, v14, s[18:19]
	s_wait_loadcnt 0x0
	v_cmp_ne_u16_e64 s0, 0, v14
	s_delay_alu instid0(VALU_DEP_1)
	v_cndmask_b32_e64 v16, 0, 1, s0
.LBB218_31:
	s_wait_xcnt 0x0
	s_or_b32 exec_lo, exec_lo, s1
	v_dual_mov_b32 v14, 0 :: v_dual_mov_b32 v19, 0
	s_mov_b32 s1, exec_lo
	v_cmpx_gt_i32_e64 s15, v17
	s_cbranch_execz .LBB218_33
; %bb.32:
	v_add_nc_u32_e32 v19, s24, v17
	v_add_nc_u32_e32 v17, 0x100, v17
	global_load_u8 v19, v19, s[18:19]
	s_wait_loadcnt 0x0
	v_cmp_ne_u16_e64 s0, 0, v19
	s_wait_xcnt 0x0
	s_delay_alu instid0(VALU_DEP_1)
	v_cndmask_b32_e64 v19, 0, 1, s0
.LBB218_33:
	s_or_b32 exec_lo, exec_lo, s1
	s_delay_alu instid0(SALU_CYCLE_1)
	s_mov_b32 s1, exec_lo
	v_cmpx_gt_i32_e64 s15, v17
	s_cbranch_execz .LBB218_35
; %bb.34:
	v_add_nc_u32_e32 v14, s24, v17
	global_load_u8 v14, v14, s[18:19]
	s_wait_loadcnt 0x0
	v_cmp_ne_u16_e64 s0, 0, v14
	s_wait_xcnt 0x0
	s_delay_alu instid0(VALU_DEP_1)
	v_cndmask_b32_e64 v14, 0, 1, s0
.LBB218_35:
	s_or_b32 exec_lo, exec_lo, s1
	v_xor_b32_e32 v9, s22, v9
	v_xor_b32_e32 v15, s22, v15
	;; [unrolled: 1-line block ×3, first 2 shown]
	s_cmp_eq_u32 s21, 0
	v_xor_b32_e32 v11, s22, v11
	v_and_b32_e32 v9, 1, v9
	v_and_b32_e32 v15, 1, v15
	;; [unrolled: 1-line block ×3, first 2 shown]
	s_cselect_b32 s3, -1, 0
	v_or_b32_e32 v17, 0x400, v0
	v_cmp_eq_u32_e64 s0, 1, v9
	v_cmp_eq_u32_e64 s1, 1, v15
	;; [unrolled: 1-line block ×3, first 2 shown]
	v_and_b32_e32 v9, 1, v11
	v_xor_b32_e32 v5, s22, v5
	s_xor_b32 s0, s3, s0
	v_xor_b32_e32 v13, s22, v13
	v_cndmask_b32_e64 v4, 0, 1, s0
	s_xor_b32 s0, s3, s1
	v_and_b32_e32 v5, 1, v5
	v_cndmask_b32_e64 v11, 0, 1, s0
	s_xor_b32 s0, s3, s2
	v_cndmask_b32_e32 v4, 0, v4, vcc_lo
	v_cndmask_b32_e64 v15, 0, 1, s0
	v_cmp_eq_u32_e64 s0, 1, v9
	v_bitop3_b16 v9, v11, 0, 0xff00 bitop3:0xf8
	v_cmp_gt_i32_e64 s1, s15, v2
	v_xor_b32_e32 v3, s22, v3
	v_lshlrev_b16 v11, 8, v15
	s_xor_b32 s0, s3, s0
	v_and_b32_e32 v9, 0xffff, v9
	v_cndmask_b32_e64 v15, 0, 1, s0
	v_cmp_gt_i32_e64 s0, s15, v17
	v_or_b32_e32 v11, v4, v11
	v_or_b32_e32 v17, 0x500, v0
	v_and_b32_e32 v3, 1, v3
	v_lshlrev_b16 v15, 8, v15
	v_cndmask_b32_e64 v9, 0, v9, s0
	v_cmp_eq_u32_e64 s0, 1, v5
	v_and_b32_e32 v11, 0xffff, v11
	v_xor_b32_e32 v6, s22, v6
	v_xor_b32_e32 v7, s22, v7
	v_bitop3_b16 v15, v9, v15, 0xff bitop3:0xec
	s_xor_b32 s0, s3, s0
	v_dual_cndmask_b32 v4, v4, v11, s1 :: v_dual_bitop2_b32 v11, 1, v13 bitop3:0x40
	v_cndmask_b32_e64 v13, 0, 1, s0
	s_delay_alu instid0(VALU_DEP_3) | instskip(SKIP_3) | instid1(VALU_DEP_3)
	v_and_b32_e32 v5, 0xffff, v15
	v_cmp_gt_i32_e64 s0, s15, v17
	v_and_b32_e32 v6, 1, v6
	v_or_b32_e32 v17, 0xd00, v0
	v_dual_cndmask_b32 v5, v9, v5, s0 :: v_dual_bitop2_b32 v7, 1, v7 bitop3:0x40
	v_cmp_eq_u32_e64 s0, 1, v11
	v_or_b32_e32 v9, 0x200, v0
	v_lshl_or_b32 v11, v13, 16, v4
	v_cmp_eq_u32_e64 s2, 1, v6
	v_lshrrev_b32_e32 v13, 16, v5
	s_xor_b32 s0, s3, s0
	v_cmp_gt_i32_e64 s1, s15, v9
	v_cndmask_b32_e64 v15, 0, 1, s0
	v_cmp_eq_u32_e64 s0, 1, v3
	v_xor_b32_e32 v9, s22, v10
	v_or_b32_e32 v6, 0xc00, v0
	v_cndmask_b32_e64 v3, v4, v11, s1
	v_bitop3_b16 v4, v15, v13, 0xff00 bitop3:0xf8
	v_or_b32_e32 v13, 0x600, v0
	s_xor_b32 s0, s3, s0
	v_and_b32_e32 v9, 1, v9
	v_cndmask_b32_e64 v10, 0, 1, s0
	v_lshlrev_b32_e32 v4, 16, v4
	v_cmp_gt_i32_e64 s1, s15, v13
	v_lshrrev_b32_e32 v11, 16, v3
	v_cmp_eq_u32_e64 s0, 1, v9
	v_lshlrev_b16 v10, 8, v10
	v_and_or_b32 v4, 0xffff, v5, v4
	v_xor_b32_e32 v13, s22, v16
	s_xor_b32 s0, s3, s0
	s_delay_alu instid0(VALU_DEP_3) | instskip(NEXT) | instid1(VALU_DEP_3)
	v_bitop3_b16 v9, v11, v10, 0xff bitop3:0xec
	v_cndmask_b32_e64 v4, v5, v4, s1
	v_xor_b32_e32 v5, s22, v12
	v_xor_b32_e32 v12, s22, v18
	v_cndmask_b32_e64 v10, 0, 1, s0
	v_and_b32_e32 v13, 1, v13
	v_lshlrev_b32_e32 v9, 16, v9
	v_and_b32_e32 v5, 1, v5
	v_and_b32_e32 v12, 1, v12
	v_lshrrev_b32_e32 v11, 16, v4
	v_lshlrev_b16 v10, 8, v10
	v_and_or_b32 v9, 0xffff, v3, v9
	v_cmp_eq_u32_e64 s0, 1, v5
	v_cmp_eq_u32_e64 s1, 1, v12
	v_or_b32_e32 v5, 0x800, v0
	v_xor_b32_e32 v8, s22, v8
	s_xor_b32 s0, s3, s0
	s_xor_b32 s1, s3, s1
	v_cndmask_b32_e64 v12, 0, 1, s0
	v_cmp_eq_u32_e64 s0, 1, v13
	v_cndmask_b32_e64 v13, 0, 1, s1
	v_and_b32_e32 v8, 1, v8
	v_cmp_gt_i32_e64 s1, s15, v17
	s_xor_b32 s0, s3, s0
	s_delay_alu instid0(SALU_CYCLE_1) | instskip(SKIP_1) | instid1(SALU_CYCLE_1)
	v_cndmask_b32_e64 v15, 0, 1, s0
	s_xor_b32 s0, s3, s2
	v_cndmask_b32_e64 v16, 0, 1, s0
	v_cmp_gt_i32_e64 s0, s15, v6
	s_delay_alu instid0(VALU_DEP_1) | instskip(SKIP_3) | instid1(VALU_DEP_3)
	v_cndmask_b32_e64 v6, 0, v13, s0
	v_lshlrev_b16 v13, 8, v15
	v_cmp_gt_i32_e64 s0, s15, v5
	v_or_b32_e32 v15, 0x900, v0
	v_bitop3_b16 v13, v6, v13, 0xff bitop3:0xec
	s_delay_alu instid0(VALU_DEP_3) | instskip(SKIP_4) | instid1(VALU_DEP_4)
	v_cndmask_b32_e64 v5, 0, v12, s0
	v_lshlrev_b16 v12, 8, v16
	v_xor_b32_e32 v16, s22, v19
	v_cmp_eq_u32_e64 s0, 1, v8
	v_and_b32_e32 v13, 0xffff, v13
	v_or_b32_e32 v12, v5, v12
	s_delay_alu instid0(VALU_DEP_4) | instskip(SKIP_1) | instid1(VALU_DEP_3)
	v_and_b32_e32 v16, 1, v16
	s_xor_b32 s0, s3, s0
	v_cndmask_b32_e64 v6, v6, v13, s1
	s_delay_alu instid0(VALU_DEP_3) | instskip(NEXT) | instid1(VALU_DEP_3)
	v_and_b32_e32 v8, 0xffff, v12
	v_cmp_eq_u32_e64 s1, 1, v16
	v_cndmask_b32_e64 v12, 0, 1, s0
	s_delay_alu instid0(VALU_DEP_4) | instskip(SKIP_1) | instid1(SALU_CYCLE_1)
	v_lshrrev_b32_e32 v13, 16, v6
	s_xor_b32 s0, s3, s1
	v_cndmask_b32_e64 v16, 0, 1, s0
	v_cmp_gt_i32_e64 s0, s15, v15
	s_delay_alu instid0(VALU_DEP_1) | instskip(SKIP_1) | instid1(VALU_DEP_4)
	v_cndmask_b32_e64 v5, v5, v8, s0
	v_lshlrev_b32_e32 v8, 16, v12
	v_bitop3_b16 v12, v16, v13, 0xff00 bitop3:0xf8
	v_xor_b32_e32 v13, s22, v14
	v_or_b32_e32 v14, 0xa00, v0
	v_cmp_eq_u32_e64 s0, 1, v7
	v_and_or_b32 v8, 0x1ff, v5, v8
	s_delay_alu instid0(VALU_DEP_4) | instskip(NEXT) | instid1(VALU_DEP_4)
	v_dual_lshlrev_b32 v7, 16, v12 :: v_dual_bitop2_b32 v12, 1, v13 bitop3:0x40
	v_cmp_gt_i32_e64 s1, s15, v14
	s_xor_b32 s0, s3, s0
	v_or_b32_e32 v13, 0x300, v0
	v_and_or_b32 v7, 0xffff, v6, v7
	v_cndmask_b32_e64 v8, v5, v8, s1
	v_or_b32_e32 v5, 0xe00, v0
	v_cmp_eq_u32_e64 s1, 1, v12
	v_cndmask_b32_e64 v12, 0, 1, s0
	s_delay_alu instid0(VALU_DEP_3) | instskip(NEXT) | instid1(VALU_DEP_1)
	v_cmp_gt_i32_e64 s0, s15, v5
	v_cndmask_b32_e64 v7, v6, v7, s0
	s_delay_alu instid0(VALU_DEP_4)
	s_xor_b32 s0, s3, s1
	v_bitop3_b16 v6, v11, v10, 0xff bitop3:0xec
	v_cndmask_b32_e64 v5, 0, 1, s0
	v_lshrrev_b32_e32 v10, 16, v8
	v_lshlrev_b16 v11, 8, v12
	v_lshrrev_b32_e32 v12, 16, v7
	v_cmp_gt_i32_e64 s0, s15, v13
	v_lshlrev_b16 v5, 8, v5
	s_delay_alu instid0(VALU_DEP_4) | instskip(NEXT) | instid1(VALU_DEP_3)
	v_bitop3_b16 v10, v10, v11, 0xff bitop3:0xec
	v_dual_lshlrev_b32 v11, 16, v6 :: v_dual_cndmask_b32 v6, v3, v9, s0
	s_delay_alu instid0(VALU_DEP_3) | instskip(SKIP_1) | instid1(VALU_DEP_4)
	v_bitop3_b16 v5, v12, v5, 0xff bitop3:0xec
	v_or_b32_e32 v9, 0x700, v0
	v_lshlrev_b32_e32 v3, 16, v10
	s_delay_alu instid0(VALU_DEP_4)
	v_and_or_b32 v10, 0xffff, v4, v11
	v_or_b32_e32 v11, 0xb00, v0
	v_lshlrev_b32_e32 v5, 16, v5
	v_cmp_gt_i32_e64 s0, s15, v9
	v_and_or_b32 v3, 0xffff, v8, v3
	v_or_b32_e32 v12, 0xf00, v0
	s_delay_alu instid0(VALU_DEP_4) | instskip(NEXT) | instid1(VALU_DEP_4)
	v_and_or_b32 v13, 0xffff, v7, v5
	v_cndmask_b32_e64 v5, v4, v10, s0
	v_cmp_gt_i32_e64 s0, s15, v11
	s_delay_alu instid0(VALU_DEP_1) | instskip(SKIP_1) | instid1(VALU_DEP_1)
	v_cndmask_b32_e64 v4, v8, v3, s0
	v_cmp_gt_i32_e64 s0, s15, v12
	v_cndmask_b32_e64 v3, v7, v13, s0
	s_and_saveexec_b32 s0, vcc_lo
	s_cbranch_execnz .LBB218_53
; %bb.36:
	s_or_b32 exec_lo, exec_lo, s0
	s_delay_alu instid0(SALU_CYCLE_1)
	s_mov_b32 s0, exec_lo
	v_cmpx_gt_i32_e64 s15, v0
	s_cbranch_execnz .LBB218_54
.LBB218_37:
	s_or_b32 exec_lo, exec_lo, s0
	s_delay_alu instid0(SALU_CYCLE_1)
	s_mov_b32 s0, exec_lo
	v_cmpx_gt_i32_e64 s15, v0
	s_cbranch_execnz .LBB218_55
.LBB218_38:
	s_or_b32 exec_lo, exec_lo, s0
	s_delay_alu instid0(SALU_CYCLE_1)
	s_mov_b32 s0, exec_lo
	v_cmpx_gt_i32_e64 s15, v0
	s_cbranch_execnz .LBB218_56
.LBB218_39:
	s_or_b32 exec_lo, exec_lo, s0
	s_delay_alu instid0(SALU_CYCLE_1)
	s_mov_b32 s0, exec_lo
	v_cmpx_gt_i32_e64 s15, v0
	s_cbranch_execnz .LBB218_57
.LBB218_40:
	s_or_b32 exec_lo, exec_lo, s0
	s_delay_alu instid0(SALU_CYCLE_1)
	s_mov_b32 s0, exec_lo
	v_cmpx_gt_i32_e64 s15, v0
	s_cbranch_execnz .LBB218_58
.LBB218_41:
	s_or_b32 exec_lo, exec_lo, s0
	s_delay_alu instid0(SALU_CYCLE_1)
	s_mov_b32 s0, exec_lo
	v_cmpx_gt_i32_e64 s15, v0
	s_cbranch_execnz .LBB218_59
.LBB218_42:
	s_or_b32 exec_lo, exec_lo, s0
	s_delay_alu instid0(SALU_CYCLE_1)
	s_mov_b32 s0, exec_lo
	v_cmpx_gt_i32_e64 s15, v0
	s_cbranch_execnz .LBB218_60
.LBB218_43:
	s_or_b32 exec_lo, exec_lo, s0
	s_delay_alu instid0(SALU_CYCLE_1)
	s_mov_b32 s0, exec_lo
	v_cmpx_gt_i32_e64 s15, v0
	s_cbranch_execnz .LBB218_61
.LBB218_44:
	s_or_b32 exec_lo, exec_lo, s0
	s_delay_alu instid0(SALU_CYCLE_1)
	s_mov_b32 s0, exec_lo
	v_cmpx_gt_i32_e64 s15, v0
	s_cbranch_execnz .LBB218_62
.LBB218_45:
	s_or_b32 exec_lo, exec_lo, s0
	s_delay_alu instid0(SALU_CYCLE_1)
	s_mov_b32 s0, exec_lo
	v_cmpx_gt_i32_e64 s15, v0
	s_cbranch_execnz .LBB218_63
.LBB218_46:
	s_or_b32 exec_lo, exec_lo, s0
	s_delay_alu instid0(SALU_CYCLE_1)
	s_mov_b32 s0, exec_lo
	v_cmpx_gt_i32_e64 s15, v0
	s_cbranch_execnz .LBB218_64
.LBB218_47:
	s_or_b32 exec_lo, exec_lo, s0
	s_delay_alu instid0(SALU_CYCLE_1)
	s_mov_b32 s0, exec_lo
	v_cmpx_gt_i32_e64 s15, v0
	s_cbranch_execnz .LBB218_65
.LBB218_48:
	s_or_b32 exec_lo, exec_lo, s0
	s_delay_alu instid0(SALU_CYCLE_1)
	s_mov_b32 s0, exec_lo
	v_cmpx_gt_i32_e64 s15, v0
	s_cbranch_execnz .LBB218_66
.LBB218_49:
	s_or_b32 exec_lo, exec_lo, s0
	s_delay_alu instid0(SALU_CYCLE_1)
	s_mov_b32 s0, exec_lo
	v_cmpx_gt_i32_e64 s15, v0
	s_cbranch_execnz .LBB218_67
.LBB218_50:
	s_or_b32 exec_lo, exec_lo, s0
	s_delay_alu instid0(SALU_CYCLE_1)
	s_mov_b32 s0, exec_lo
	v_cmpx_gt_i32_e64 s15, v0
	s_cbranch_execz .LBB218_52
.LBB218_51:
	v_dual_lshrrev_b32 v1, 24, v3 :: v_dual_add_nc_u32 v0, s24, v0
	global_store_b8 v0, v1, s[16:17]
.LBB218_52:
	s_endpgm
.LBB218_53:
	v_mov_b32_e32 v0, v2
	global_store_b8 v1, v6, s[16:17]
	s_wait_xcnt 0x0
	s_or_b32 exec_lo, exec_lo, s0
	s_delay_alu instid0(SALU_CYCLE_1)
	s_mov_b32 s0, exec_lo
	v_cmpx_gt_i32_e64 s15, v0
	s_cbranch_execz .LBB218_37
.LBB218_54:
	v_dual_lshrrev_b32 v1, 8, v6 :: v_dual_add_nc_u32 v2, s24, v0
	v_add_nc_u32_e32 v0, 0x100, v0
	global_store_b8 v2, v1, s[16:17]
	s_wait_xcnt 0x0
	s_or_b32 exec_lo, exec_lo, s0
	s_delay_alu instid0(SALU_CYCLE_1)
	s_mov_b32 s0, exec_lo
	v_cmpx_gt_i32_e64 s15, v0
	s_cbranch_execz .LBB218_38
.LBB218_55:
	v_add_nc_u32_e32 v1, s24, v0
	v_add_nc_u32_e32 v0, 0x100, v0
	global_store_d16_hi_b8 v1, v6, s[16:17]
	s_wait_xcnt 0x0
	s_or_b32 exec_lo, exec_lo, s0
	s_delay_alu instid0(SALU_CYCLE_1)
	s_mov_b32 s0, exec_lo
	v_cmpx_gt_i32_e64 s15, v0
	s_cbranch_execz .LBB218_39
.LBB218_56:
	v_dual_lshrrev_b32 v1, 24, v6 :: v_dual_add_nc_u32 v2, s24, v0
	v_add_nc_u32_e32 v0, 0x100, v0
	global_store_b8 v2, v1, s[16:17]
	s_wait_xcnt 0x0
	s_or_b32 exec_lo, exec_lo, s0
	s_delay_alu instid0(SALU_CYCLE_1)
	s_mov_b32 s0, exec_lo
	v_cmpx_gt_i32_e64 s15, v0
	s_cbranch_execz .LBB218_40
.LBB218_57:
	v_add_nc_u32_e32 v1, s24, v0
	v_add_nc_u32_e32 v0, 0x100, v0
	global_store_b8 v1, v5, s[16:17]
	s_wait_xcnt 0x0
	s_or_b32 exec_lo, exec_lo, s0
	s_delay_alu instid0(SALU_CYCLE_1)
	s_mov_b32 s0, exec_lo
	v_cmpx_gt_i32_e64 s15, v0
	s_cbranch_execz .LBB218_41
.LBB218_58:
	v_dual_lshrrev_b32 v1, 8, v5 :: v_dual_add_nc_u32 v2, s24, v0
	v_add_nc_u32_e32 v0, 0x100, v0
	global_store_b8 v2, v1, s[16:17]
	s_wait_xcnt 0x0
	s_or_b32 exec_lo, exec_lo, s0
	s_delay_alu instid0(SALU_CYCLE_1)
	s_mov_b32 s0, exec_lo
	v_cmpx_gt_i32_e64 s15, v0
	s_cbranch_execz .LBB218_42
.LBB218_59:
	v_add_nc_u32_e32 v1, s24, v0
	v_add_nc_u32_e32 v0, 0x100, v0
	global_store_d16_hi_b8 v1, v5, s[16:17]
	s_wait_xcnt 0x0
	s_or_b32 exec_lo, exec_lo, s0
	s_delay_alu instid0(SALU_CYCLE_1)
	s_mov_b32 s0, exec_lo
	v_cmpx_gt_i32_e64 s15, v0
	s_cbranch_execz .LBB218_43
.LBB218_60:
	v_dual_lshrrev_b32 v1, 24, v5 :: v_dual_add_nc_u32 v2, s24, v0
	v_add_nc_u32_e32 v0, 0x100, v0
	global_store_b8 v2, v1, s[16:17]
	s_wait_xcnt 0x0
	s_or_b32 exec_lo, exec_lo, s0
	s_delay_alu instid0(SALU_CYCLE_1)
	s_mov_b32 s0, exec_lo
	v_cmpx_gt_i32_e64 s15, v0
	s_cbranch_execz .LBB218_44
.LBB218_61:
	v_add_nc_u32_e32 v1, s24, v0
	v_add_nc_u32_e32 v0, 0x100, v0
	global_store_b8 v1, v4, s[16:17]
	s_wait_xcnt 0x0
	s_or_b32 exec_lo, exec_lo, s0
	s_delay_alu instid0(SALU_CYCLE_1)
	s_mov_b32 s0, exec_lo
	v_cmpx_gt_i32_e64 s15, v0
	s_cbranch_execz .LBB218_45
.LBB218_62:
	v_lshrrev_b32_e32 v1, 8, v4
	v_add_nc_u32_e32 v2, s24, v0
	v_add_nc_u32_e32 v0, 0x100, v0
	global_store_b8 v2, v1, s[16:17]
	s_wait_xcnt 0x0
	s_or_b32 exec_lo, exec_lo, s0
	s_delay_alu instid0(SALU_CYCLE_1)
	s_mov_b32 s0, exec_lo
	v_cmpx_gt_i32_e64 s15, v0
	s_cbranch_execz .LBB218_46
.LBB218_63:
	v_add_nc_u32_e32 v1, s24, v0
	v_add_nc_u32_e32 v0, 0x100, v0
	global_store_d16_hi_b8 v1, v4, s[16:17]
	s_wait_xcnt 0x0
	s_or_b32 exec_lo, exec_lo, s0
	s_delay_alu instid0(SALU_CYCLE_1)
	s_mov_b32 s0, exec_lo
	v_cmpx_gt_i32_e64 s15, v0
	s_cbranch_execz .LBB218_47
.LBB218_64:
	v_lshrrev_b32_e32 v1, 24, v4
	v_add_nc_u32_e32 v2, s24, v0
	v_add_nc_u32_e32 v0, 0x100, v0
	global_store_b8 v2, v1, s[16:17]
	s_wait_xcnt 0x0
	s_or_b32 exec_lo, exec_lo, s0
	s_delay_alu instid0(SALU_CYCLE_1)
	s_mov_b32 s0, exec_lo
	v_cmpx_gt_i32_e64 s15, v0
	s_cbranch_execz .LBB218_48
.LBB218_65:
	v_add_nc_u32_e32 v1, s24, v0
	v_add_nc_u32_e32 v0, 0x100, v0
	global_store_b8 v1, v3, s[16:17]
	s_wait_xcnt 0x0
	s_or_b32 exec_lo, exec_lo, s0
	s_delay_alu instid0(SALU_CYCLE_1)
	s_mov_b32 s0, exec_lo
	v_cmpx_gt_i32_e64 s15, v0
	s_cbranch_execz .LBB218_49
.LBB218_66:
	v_dual_lshrrev_b32 v1, 8, v3 :: v_dual_add_nc_u32 v2, s24, v0
	v_add_nc_u32_e32 v0, 0x100, v0
	global_store_b8 v2, v1, s[16:17]
	s_wait_xcnt 0x0
	s_or_b32 exec_lo, exec_lo, s0
	s_delay_alu instid0(SALU_CYCLE_1)
	s_mov_b32 s0, exec_lo
	v_cmpx_gt_i32_e64 s15, v0
	s_cbranch_execz .LBB218_50
.LBB218_67:
	v_add_nc_u32_e32 v1, s24, v0
	v_add_nc_u32_e32 v0, 0x100, v0
	global_store_d16_hi_b8 v1, v3, s[16:17]
	s_wait_xcnt 0x0
	s_or_b32 exec_lo, exec_lo, s0
	s_delay_alu instid0(SALU_CYCLE_1)
	s_mov_b32 s0, exec_lo
	v_cmpx_gt_i32_e64 s15, v0
	s_cbranch_execnz .LBB218_51
	s_branch .LBB218_52
	.section	.rodata,"a",@progbits
	.p2align	6, 0x0
	.amdhsa_kernel _ZN2at6native29vectorized_elementwise_kernelILi4ENS0_13AUnaryFunctorIbbbNS0_12_GLOBAL__N_116CompareEqFunctorIbEEEESt5arrayIPcLm2EEEEviT0_T1_
		.amdhsa_group_segment_fixed_size 0
		.amdhsa_private_segment_fixed_size 0
		.amdhsa_kernarg_size 32
		.amdhsa_user_sgpr_count 2
		.amdhsa_user_sgpr_dispatch_ptr 0
		.amdhsa_user_sgpr_queue_ptr 0
		.amdhsa_user_sgpr_kernarg_segment_ptr 1
		.amdhsa_user_sgpr_dispatch_id 0
		.amdhsa_user_sgpr_kernarg_preload_length 0
		.amdhsa_user_sgpr_kernarg_preload_offset 0
		.amdhsa_user_sgpr_private_segment_size 0
		.amdhsa_wavefront_size32 1
		.amdhsa_uses_dynamic_stack 0
		.amdhsa_enable_private_segment 0
		.amdhsa_system_sgpr_workgroup_id_x 1
		.amdhsa_system_sgpr_workgroup_id_y 0
		.amdhsa_system_sgpr_workgroup_id_z 0
		.amdhsa_system_sgpr_workgroup_info 0
		.amdhsa_system_vgpr_workitem_id 0
		.amdhsa_next_free_vgpr 20
		.amdhsa_next_free_sgpr 27
		.amdhsa_named_barrier_count 0
		.amdhsa_reserve_vcc 1
		.amdhsa_float_round_mode_32 0
		.amdhsa_float_round_mode_16_64 0
		.amdhsa_float_denorm_mode_32 3
		.amdhsa_float_denorm_mode_16_64 3
		.amdhsa_fp16_overflow 0
		.amdhsa_memory_ordered 1
		.amdhsa_forward_progress 1
		.amdhsa_inst_pref_size 37
		.amdhsa_round_robin_scheduling 0
		.amdhsa_exception_fp_ieee_invalid_op 0
		.amdhsa_exception_fp_denorm_src 0
		.amdhsa_exception_fp_ieee_div_zero 0
		.amdhsa_exception_fp_ieee_overflow 0
		.amdhsa_exception_fp_ieee_underflow 0
		.amdhsa_exception_fp_ieee_inexact 0
		.amdhsa_exception_int_div_zero 0
	.end_amdhsa_kernel
	.section	.text._ZN2at6native29vectorized_elementwise_kernelILi4ENS0_13AUnaryFunctorIbbbNS0_12_GLOBAL__N_116CompareEqFunctorIbEEEESt5arrayIPcLm2EEEEviT0_T1_,"axG",@progbits,_ZN2at6native29vectorized_elementwise_kernelILi4ENS0_13AUnaryFunctorIbbbNS0_12_GLOBAL__N_116CompareEqFunctorIbEEEESt5arrayIPcLm2EEEEviT0_T1_,comdat
.Lfunc_end218:
	.size	_ZN2at6native29vectorized_elementwise_kernelILi4ENS0_13AUnaryFunctorIbbbNS0_12_GLOBAL__N_116CompareEqFunctorIbEEEESt5arrayIPcLm2EEEEviT0_T1_, .Lfunc_end218-_ZN2at6native29vectorized_elementwise_kernelILi4ENS0_13AUnaryFunctorIbbbNS0_12_GLOBAL__N_116CompareEqFunctorIbEEEESt5arrayIPcLm2EEEEviT0_T1_
                                        ; -- End function
	.set _ZN2at6native29vectorized_elementwise_kernelILi4ENS0_13AUnaryFunctorIbbbNS0_12_GLOBAL__N_116CompareEqFunctorIbEEEESt5arrayIPcLm2EEEEviT0_T1_.num_vgpr, 20
	.set _ZN2at6native29vectorized_elementwise_kernelILi4ENS0_13AUnaryFunctorIbbbNS0_12_GLOBAL__N_116CompareEqFunctorIbEEEESt5arrayIPcLm2EEEEviT0_T1_.num_agpr, 0
	.set _ZN2at6native29vectorized_elementwise_kernelILi4ENS0_13AUnaryFunctorIbbbNS0_12_GLOBAL__N_116CompareEqFunctorIbEEEESt5arrayIPcLm2EEEEviT0_T1_.numbered_sgpr, 27
	.set _ZN2at6native29vectorized_elementwise_kernelILi4ENS0_13AUnaryFunctorIbbbNS0_12_GLOBAL__N_116CompareEqFunctorIbEEEESt5arrayIPcLm2EEEEviT0_T1_.num_named_barrier, 0
	.set _ZN2at6native29vectorized_elementwise_kernelILi4ENS0_13AUnaryFunctorIbbbNS0_12_GLOBAL__N_116CompareEqFunctorIbEEEESt5arrayIPcLm2EEEEviT0_T1_.private_seg_size, 0
	.set _ZN2at6native29vectorized_elementwise_kernelILi4ENS0_13AUnaryFunctorIbbbNS0_12_GLOBAL__N_116CompareEqFunctorIbEEEESt5arrayIPcLm2EEEEviT0_T1_.uses_vcc, 1
	.set _ZN2at6native29vectorized_elementwise_kernelILi4ENS0_13AUnaryFunctorIbbbNS0_12_GLOBAL__N_116CompareEqFunctorIbEEEESt5arrayIPcLm2EEEEviT0_T1_.uses_flat_scratch, 0
	.set _ZN2at6native29vectorized_elementwise_kernelILi4ENS0_13AUnaryFunctorIbbbNS0_12_GLOBAL__N_116CompareEqFunctorIbEEEESt5arrayIPcLm2EEEEviT0_T1_.has_dyn_sized_stack, 0
	.set _ZN2at6native29vectorized_elementwise_kernelILi4ENS0_13AUnaryFunctorIbbbNS0_12_GLOBAL__N_116CompareEqFunctorIbEEEESt5arrayIPcLm2EEEEviT0_T1_.has_recursion, 0
	.set _ZN2at6native29vectorized_elementwise_kernelILi4ENS0_13AUnaryFunctorIbbbNS0_12_GLOBAL__N_116CompareEqFunctorIbEEEESt5arrayIPcLm2EEEEviT0_T1_.has_indirect_call, 0
	.section	.AMDGPU.csdata,"",@progbits
; Kernel info:
; codeLenInByte = 4660
; TotalNumSgprs: 29
; NumVgprs: 20
; ScratchSize: 0
; MemoryBound: 0
; FloatMode: 240
; IeeeMode: 1
; LDSByteSize: 0 bytes/workgroup (compile time only)
; SGPRBlocks: 0
; VGPRBlocks: 1
; NumSGPRsForWavesPerEU: 29
; NumVGPRsForWavesPerEU: 20
; NamedBarCnt: 0
; Occupancy: 16
; WaveLimiterHint : 1
; COMPUTE_PGM_RSRC2:SCRATCH_EN: 0
; COMPUTE_PGM_RSRC2:USER_SGPR: 2
; COMPUTE_PGM_RSRC2:TRAP_HANDLER: 0
; COMPUTE_PGM_RSRC2:TGID_X_EN: 1
; COMPUTE_PGM_RSRC2:TGID_Y_EN: 0
; COMPUTE_PGM_RSRC2:TGID_Z_EN: 0
; COMPUTE_PGM_RSRC2:TIDIG_COMP_CNT: 0
	.section	.text._ZN2at6native29vectorized_elementwise_kernelILi2ENS0_13AUnaryFunctorIbbbNS0_12_GLOBAL__N_116CompareEqFunctorIbEEEESt5arrayIPcLm2EEEEviT0_T1_,"axG",@progbits,_ZN2at6native29vectorized_elementwise_kernelILi2ENS0_13AUnaryFunctorIbbbNS0_12_GLOBAL__N_116CompareEqFunctorIbEEEESt5arrayIPcLm2EEEEviT0_T1_,comdat
	.globl	_ZN2at6native29vectorized_elementwise_kernelILi2ENS0_13AUnaryFunctorIbbbNS0_12_GLOBAL__N_116CompareEqFunctorIbEEEESt5arrayIPcLm2EEEEviT0_T1_ ; -- Begin function _ZN2at6native29vectorized_elementwise_kernelILi2ENS0_13AUnaryFunctorIbbbNS0_12_GLOBAL__N_116CompareEqFunctorIbEEEESt5arrayIPcLm2EEEEviT0_T1_
	.p2align	8
	.type	_ZN2at6native29vectorized_elementwise_kernelILi2ENS0_13AUnaryFunctorIbbbNS0_12_GLOBAL__N_116CompareEqFunctorIbEEEESt5arrayIPcLm2EEEEviT0_T1_,@function
_ZN2at6native29vectorized_elementwise_kernelILi2ENS0_13AUnaryFunctorIbbbNS0_12_GLOBAL__N_116CompareEqFunctorIbEEEESt5arrayIPcLm2EEEEviT0_T1_: ; @_ZN2at6native29vectorized_elementwise_kernelILi2ENS0_13AUnaryFunctorIbbbNS0_12_GLOBAL__N_116CompareEqFunctorIbEEEESt5arrayIPcLm2EEEEviT0_T1_
; %bb.0:
	s_clause 0x1
	s_load_b96 s[20:22], s[0:1], 0x0
	s_load_b128 s[16:19], s[0:1], 0x10
	s_wait_xcnt 0x0
	s_bfe_u32 s0, ttmp6, 0x4000c
	s_and_b32 s1, ttmp6, 15
	s_add_co_i32 s0, s0, 1
	s_getreg_b32 s2, hwreg(HW_REG_IB_STS2, 6, 4)
	s_mul_i32 s0, ttmp9, s0
	s_delay_alu instid0(SALU_CYCLE_1) | instskip(SKIP_2) | instid1(SALU_CYCLE_1)
	s_add_co_i32 s1, s1, s0
	s_cmp_eq_u32 s2, 0
	s_cselect_b32 s0, ttmp9, s1
	s_lshl_b32 s24, s0, 12
	s_wait_kmcnt 0x0
	s_sub_co_i32 s15, s20, s24
	s_mov_b32 s20, -1
	s_cmp_gt_i32 s15, 0xfff
	s_cbranch_scc0 .LBB219_2
; %bb.1:
	s_bitcmp1_b32 s22, 0
	s_mov_b32 s20, 0
	s_cselect_b32 s23, -1, 0
	s_ashr_i32 s25, s24, 31
	s_cmp_eq_u32 s21, 0
	s_add_nc_u64 s[0:1], s[18:19], s[24:25]
	s_clause 0x7
	global_load_u16 v1, v0, s[0:1] scale_offset
	global_load_u16 v2, v0, s[0:1] offset:512 scale_offset
	global_load_u16 v3, v0, s[0:1] offset:1024 scale_offset
	;; [unrolled: 1-line block ×7, first 2 shown]
	s_add_nc_u64 s[26:27], s[16:17], s[24:25]
	s_cselect_b32 s25, -1, 0
	s_wait_loadcnt 0x7
	v_and_b32_e32 v9, 0xff, v1
	s_wait_loadcnt 0x6
	s_wait_xcnt 0x0
	v_cmp_lt_u16_e64 s0, 0xff, v2
	s_wait_loadcnt 0x5
	v_cmp_lt_u16_e64 s1, 0xff, v3
	v_cmp_lt_u16_e32 vcc_lo, 0xff, v1
	v_and_b32_e32 v1, 0xff, v2
	v_and_b32_e32 v2, 0xff, v3
	s_wait_loadcnt 0x4
	v_cmp_lt_u16_e64 s2, 0xff, v4
	s_xor_b32 s0, s0, s23
	v_and_b32_e32 v3, 0xff, v4
	s_wait_loadcnt 0x3
	v_cmp_lt_u16_e64 s3, 0xff, v5
	s_xor_b32 s1, s1, s23
	s_xor_b32 s0, s25, s0
	v_and_b32_e32 v4, 0xff, v5
	s_wait_loadcnt 0x2
	v_cmp_lt_u16_e64 s4, 0xff, v6
	v_cmp_ne_u16_e64 s9, 0, v2
	s_xor_b32 s2, s2, s23
	v_cndmask_b32_e64 v2, 0, 1, s0
	s_xor_b32 s0, s25, s1
	v_and_b32_e32 v5, 0xff, v6
	s_wait_loadcnt 0x1
	v_cmp_lt_u16_e64 s5, 0xff, v7
	v_cmp_ne_u16_e64 s10, 0, v3
	s_xor_b32 s3, s3, s23
	v_cndmask_b32_e64 v3, 0, 1, s0
	;; [unrolled: 7-line block ×3, first 2 shown]
	s_xor_b32 s0, s25, s3
	v_and_b32_e32 v7, 0xff, v8
	v_cmp_ne_u16_e64 s12, 0, v5
	s_xor_b32 s5, s5, s23
	v_cndmask_b32_e64 v5, 0, 1, s0
	s_xor_b32 s0, s25, s4
	v_cmp_ne_u16_e64 s7, 0, v9
	v_cmp_ne_u16_e64 s13, 0, v6
	s_xor_b32 s6, s6, s23
	v_cndmask_b32_e64 v6, 0, 1, s0
	s_xor_b32 s0, s25, s5
	v_cmp_ne_u16_e64 s8, 0, v1
	v_cmp_ne_u16_e64 s14, 0, v7
	v_cndmask_b32_e64 v7, 0, 1, s0
	s_xor_b32 s0, s25, s6
	s_xor_b32 s28, vcc_lo, s23
	v_cndmask_b32_e64 v8, 0, 1, s0
	s_xor_b32 s0, s7, s23
	s_xor_b32 s1, s8, s23
	;; [unrolled: 1-line block ×4, first 2 shown]
	v_cndmask_b32_e64 v9, 0, 1, s0
	s_xor_b32 s0, s25, s1
	s_xor_b32 s28, s25, s28
	;; [unrolled: 1-line block ×3, first 2 shown]
	v_cndmask_b32_e64 v10, 0, 1, s0
	s_xor_b32 s0, s25, s2
	v_cndmask_b32_e64 v1, 0, 1, s28
	s_xor_b32 s4, s11, s23
	;; [unrolled: 2-line block ×3, first 2 shown]
	s_xor_b32 s5, s12, s23
	v_cndmask_b32_e64 v12, 0, 1, s0
	s_xor_b32 s0, s25, s4
	s_xor_b32 s6, s13, s23
	v_cndmask_b32_e64 v13, 0, 1, s0
	s_xor_b32 s0, s25, s5
	v_lshlrev_b16 v1, 8, v1
	s_xor_b32 s7, s14, s23
	v_cndmask_b32_e64 v14, 0, 1, s0
	s_xor_b32 s0, s25, s6
	v_lshlrev_b16 v2, 8, v2
	v_lshlrev_b16 v3, 8, v3
	v_cndmask_b32_e64 v15, 0, 1, s0
	s_xor_b32 s0, s25, s7
	v_lshlrev_b16 v4, 8, v4
	v_lshlrev_b16 v5, 8, v5
	v_cndmask_b32_e64 v16, 0, 1, s0
	v_lshlrev_b16 v8, 8, v8
	v_lshlrev_b16 v7, 8, v7
	;; [unrolled: 1-line block ×3, first 2 shown]
	v_or_b32_e32 v1, v9, v1
	v_or_b32_e32 v2, v10, v2
	;; [unrolled: 1-line block ×8, first 2 shown]
	s_clause 0x7
	global_store_b16 v0, v1, s[26:27] scale_offset
	global_store_b16 v0, v2, s[26:27] offset:512 scale_offset
	global_store_b16 v0, v3, s[26:27] offset:1024 scale_offset
	;; [unrolled: 1-line block ×7, first 2 shown]
.LBB219_2:
	s_and_not1_b32 vcc_lo, exec_lo, s20
	s_cbranch_vccnz .LBB219_52
; %bb.3:
	v_cmp_gt_i32_e32 vcc_lo, s15, v0
	s_wait_xcnt 0x4
	v_dual_mov_b32 v4, 0 :: v_dual_bitop2_b32 v1, s24, v0 bitop3:0x54
	v_or_b32_e32 v2, 0x100, v0
	v_dual_mov_b32 v9, 0 :: v_dual_mov_b32 v17, v0
	s_wait_xcnt 0x0
	s_and_saveexec_b32 s1, vcc_lo
	s_cbranch_execz .LBB219_5
; %bb.4:
	global_load_u8 v3, v1, s[18:19]
	v_or_b32_e32 v17, 0x100, v0
	s_wait_loadcnt 0x0
	v_cmp_ne_u16_e64 s0, 0, v3
	s_delay_alu instid0(VALU_DEP_1)
	v_cndmask_b32_e64 v9, 0, 1, s0
.LBB219_5:
	s_wait_xcnt 0x0
	s_or_b32 exec_lo, exec_lo, s1
	s_delay_alu instid0(SALU_CYCLE_1)
	s_mov_b32 s1, exec_lo
	v_cmpx_gt_i32_e64 s15, v17
	s_cbranch_execz .LBB219_7
; %bb.6:
	v_add_nc_u32_e32 v3, s24, v17
	v_add_nc_u32_e32 v17, 0x100, v17
	global_load_u8 v3, v3, s[18:19]
	s_wait_loadcnt 0x0
	v_cmp_ne_u16_e64 s0, 0, v3
	s_delay_alu instid0(VALU_DEP_1)
	v_cndmask_b32_e64 v4, 0, 1, s0
.LBB219_7:
	s_wait_xcnt 0x0
	s_or_b32 exec_lo, exec_lo, s1
	v_dual_mov_b32 v3, 0 :: v_dual_mov_b32 v5, 0
	s_mov_b32 s1, exec_lo
	v_cmpx_gt_i32_e64 s15, v17
	s_cbranch_execz .LBB219_9
; %bb.8:
	v_add_nc_u32_e32 v5, s24, v17
	v_add_nc_u32_e32 v17, 0x100, v17
	global_load_u8 v5, v5, s[18:19]
	s_wait_loadcnt 0x0
	v_cmp_ne_u16_e64 s0, 0, v5
	s_wait_xcnt 0x0
	s_delay_alu instid0(VALU_DEP_1)
	v_cndmask_b32_e64 v5, 0, 1, s0
.LBB219_9:
	s_or_b32 exec_lo, exec_lo, s1
	s_delay_alu instid0(SALU_CYCLE_1)
	s_mov_b32 s1, exec_lo
	v_cmpx_gt_i32_e64 s15, v17
	s_cbranch_execz .LBB219_11
; %bb.10:
	v_add_nc_u32_e32 v3, s24, v17
	v_add_nc_u32_e32 v17, 0x100, v17
	global_load_u8 v3, v3, s[18:19]
	s_wait_loadcnt 0x0
	v_cmp_ne_u16_e64 s0, 0, v3
	s_wait_xcnt 0x0
	s_delay_alu instid0(VALU_DEP_1)
	v_cndmask_b32_e64 v3, 0, 1, s0
.LBB219_11:
	s_or_b32 exec_lo, exec_lo, s1
	v_dual_mov_b32 v11, 0 :: v_dual_mov_b32 v15, 0
	s_mov_b32 s1, exec_lo
	v_cmpx_gt_i32_e64 s15, v17
	s_cbranch_execz .LBB219_13
; %bb.12:
	v_add_nc_u32_e32 v6, s24, v17
	v_add_nc_u32_e32 v17, 0x100, v17
	global_load_u8 v6, v6, s[18:19]
	s_wait_loadcnt 0x0
	v_cmp_ne_u16_e64 s0, 0, v6
	s_delay_alu instid0(VALU_DEP_1)
	v_cndmask_b32_e64 v15, 0, 1, s0
.LBB219_13:
	s_wait_xcnt 0x0
	s_or_b32 exec_lo, exec_lo, s1
	s_delay_alu instid0(SALU_CYCLE_1)
	s_mov_b32 s1, exec_lo
	v_cmpx_gt_i32_e64 s15, v17
	s_cbranch_execz .LBB219_15
; %bb.14:
	v_add_nc_u32_e32 v6, s24, v17
	v_add_nc_u32_e32 v17, 0x100, v17
	global_load_u8 v6, v6, s[18:19]
	s_wait_loadcnt 0x0
	v_cmp_ne_u16_e64 s0, 0, v6
	s_delay_alu instid0(VALU_DEP_1)
	v_cndmask_b32_e64 v11, 0, 1, s0
.LBB219_15:
	s_wait_xcnt 0x0
	s_or_b32 exec_lo, exec_lo, s1
	v_dual_mov_b32 v10, 0 :: v_dual_mov_b32 v13, 0
	s_mov_b32 s1, exec_lo
	v_cmpx_gt_i32_e64 s15, v17
	s_cbranch_execz .LBB219_17
; %bb.16:
	v_add_nc_u32_e32 v6, s24, v17
	v_add_nc_u32_e32 v17, 0x100, v17
	global_load_u8 v6, v6, s[18:19]
	s_wait_loadcnt 0x0
	v_cmp_ne_u16_e64 s0, 0, v6
	s_delay_alu instid0(VALU_DEP_1)
	v_cndmask_b32_e64 v13, 0, 1, s0
.LBB219_17:
	s_wait_xcnt 0x0
	s_or_b32 exec_lo, exec_lo, s1
	s_delay_alu instid0(SALU_CYCLE_1)
	s_mov_b32 s1, exec_lo
	v_cmpx_gt_i32_e64 s15, v17
	s_cbranch_execz .LBB219_19
; %bb.18:
	v_add_nc_u32_e32 v6, s24, v17
	v_add_nc_u32_e32 v17, 0x100, v17
	global_load_u8 v6, v6, s[18:19]
	s_wait_loadcnt 0x0
	v_cmp_ne_u16_e64 s0, 0, v6
	s_delay_alu instid0(VALU_DEP_1)
	v_cndmask_b32_e64 v10, 0, 1, s0
.LBB219_19:
	s_wait_xcnt 0x0
	s_or_b32 exec_lo, exec_lo, s1
	v_dual_mov_b32 v6, 0 :: v_dual_mov_b32 v12, 0
	s_mov_b32 s1, exec_lo
	v_cmpx_gt_i32_e64 s15, v17
	s_cbranch_execz .LBB219_21
; %bb.20:
	v_add_nc_u32_e32 v7, s24, v17
	v_add_nc_u32_e32 v17, 0x100, v17
	global_load_u8 v7, v7, s[18:19]
	s_wait_loadcnt 0x0
	v_cmp_ne_u16_e64 s0, 0, v7
	s_delay_alu instid0(VALU_DEP_1)
	v_cndmask_b32_e64 v12, 0, 1, s0
.LBB219_21:
	s_wait_xcnt 0x0
	s_or_b32 exec_lo, exec_lo, s1
	s_delay_alu instid0(SALU_CYCLE_1)
	s_mov_b32 s1, exec_lo
	v_cmpx_gt_i32_e64 s15, v17
	s_cbranch_execz .LBB219_23
; %bb.22:
	v_add_nc_u32_e32 v6, s24, v17
	v_add_nc_u32_e32 v17, 0x100, v17
	global_load_u8 v6, v6, s[18:19]
	s_wait_loadcnt 0x0
	v_cmp_ne_u16_e64 s0, 0, v6
	s_wait_xcnt 0x0
	s_delay_alu instid0(VALU_DEP_1)
	v_cndmask_b32_e64 v6, 0, 1, s0
.LBB219_23:
	s_or_b32 exec_lo, exec_lo, s1
	v_dual_mov_b32 v7, 0 :: v_dual_mov_b32 v8, 0
	s_mov_b32 s1, exec_lo
	v_cmpx_gt_i32_e64 s15, v17
	s_cbranch_execz .LBB219_25
; %bb.24:
	v_add_nc_u32_e32 v8, s24, v17
	v_add_nc_u32_e32 v17, 0x100, v17
	global_load_u8 v8, v8, s[18:19]
	s_wait_loadcnt 0x0
	v_cmp_ne_u16_e64 s0, 0, v8
	s_wait_xcnt 0x0
	s_delay_alu instid0(VALU_DEP_1)
	v_cndmask_b32_e64 v8, 0, 1, s0
.LBB219_25:
	s_or_b32 exec_lo, exec_lo, s1
	s_delay_alu instid0(SALU_CYCLE_1)
	s_mov_b32 s1, exec_lo
	v_cmpx_gt_i32_e64 s15, v17
	s_cbranch_execz .LBB219_27
; %bb.26:
	v_add_nc_u32_e32 v7, s24, v17
	v_add_nc_u32_e32 v17, 0x100, v17
	global_load_u8 v7, v7, s[18:19]
	s_wait_loadcnt 0x0
	v_cmp_ne_u16_e64 s0, 0, v7
	s_wait_xcnt 0x0
	s_delay_alu instid0(VALU_DEP_1)
	v_cndmask_b32_e64 v7, 0, 1, s0
.LBB219_27:
	s_or_b32 exec_lo, exec_lo, s1
	v_dual_mov_b32 v16, 0 :: v_dual_mov_b32 v18, 0
	s_mov_b32 s1, exec_lo
	v_cmpx_gt_i32_e64 s15, v17
	s_cbranch_execz .LBB219_29
; %bb.28:
	v_add_nc_u32_e32 v14, s24, v17
	v_add_nc_u32_e32 v17, 0x100, v17
	global_load_u8 v14, v14, s[18:19]
	s_wait_loadcnt 0x0
	v_cmp_ne_u16_e64 s0, 0, v14
	s_delay_alu instid0(VALU_DEP_1)
	v_cndmask_b32_e64 v18, 0, 1, s0
.LBB219_29:
	s_wait_xcnt 0x0
	s_or_b32 exec_lo, exec_lo, s1
	s_delay_alu instid0(SALU_CYCLE_1)
	s_mov_b32 s1, exec_lo
	v_cmpx_gt_i32_e64 s15, v17
	s_cbranch_execz .LBB219_31
; %bb.30:
	v_add_nc_u32_e32 v14, s24, v17
	v_add_nc_u32_e32 v17, 0x100, v17
	global_load_u8 v14, v14, s[18:19]
	s_wait_loadcnt 0x0
	v_cmp_ne_u16_e64 s0, 0, v14
	s_delay_alu instid0(VALU_DEP_1)
	v_cndmask_b32_e64 v16, 0, 1, s0
.LBB219_31:
	s_wait_xcnt 0x0
	s_or_b32 exec_lo, exec_lo, s1
	v_dual_mov_b32 v14, 0 :: v_dual_mov_b32 v19, 0
	s_mov_b32 s1, exec_lo
	v_cmpx_gt_i32_e64 s15, v17
	s_cbranch_execz .LBB219_33
; %bb.32:
	v_add_nc_u32_e32 v19, s24, v17
	v_add_nc_u32_e32 v17, 0x100, v17
	global_load_u8 v19, v19, s[18:19]
	s_wait_loadcnt 0x0
	v_cmp_ne_u16_e64 s0, 0, v19
	s_wait_xcnt 0x0
	s_delay_alu instid0(VALU_DEP_1)
	v_cndmask_b32_e64 v19, 0, 1, s0
.LBB219_33:
	s_or_b32 exec_lo, exec_lo, s1
	s_delay_alu instid0(SALU_CYCLE_1)
	s_mov_b32 s1, exec_lo
	v_cmpx_gt_i32_e64 s15, v17
	s_cbranch_execz .LBB219_35
; %bb.34:
	v_add_nc_u32_e32 v14, s24, v17
	global_load_u8 v14, v14, s[18:19]
	s_wait_loadcnt 0x0
	v_cmp_ne_u16_e64 s0, 0, v14
	s_wait_xcnt 0x0
	s_delay_alu instid0(VALU_DEP_1)
	v_cndmask_b32_e64 v14, 0, 1, s0
.LBB219_35:
	s_or_b32 exec_lo, exec_lo, s1
	v_xor_b32_e32 v9, s22, v9
	v_xor_b32_e32 v15, s22, v15
	;; [unrolled: 1-line block ×3, first 2 shown]
	s_cmp_eq_u32 s21, 0
	v_xor_b32_e32 v11, s22, v11
	v_and_b32_e32 v9, 1, v9
	v_and_b32_e32 v15, 1, v15
	;; [unrolled: 1-line block ×3, first 2 shown]
	s_cselect_b32 s3, -1, 0
	v_or_b32_e32 v17, 0x400, v0
	v_cmp_eq_u32_e64 s0, 1, v9
	v_cmp_eq_u32_e64 s1, 1, v15
	;; [unrolled: 1-line block ×3, first 2 shown]
	v_and_b32_e32 v9, 1, v11
	v_xor_b32_e32 v5, s22, v5
	s_xor_b32 s0, s3, s0
	v_xor_b32_e32 v13, s22, v13
	v_cndmask_b32_e64 v4, 0, 1, s0
	s_xor_b32 s0, s3, s1
	v_and_b32_e32 v5, 1, v5
	v_cndmask_b32_e64 v11, 0, 1, s0
	s_xor_b32 s0, s3, s2
	v_cndmask_b32_e32 v4, 0, v4, vcc_lo
	v_cndmask_b32_e64 v15, 0, 1, s0
	v_cmp_eq_u32_e64 s0, 1, v9
	v_bitop3_b16 v9, v11, 0, 0xff00 bitop3:0xf8
	v_cmp_gt_i32_e64 s1, s15, v2
	v_xor_b32_e32 v3, s22, v3
	v_lshlrev_b16 v11, 8, v15
	s_xor_b32 s0, s3, s0
	v_and_b32_e32 v9, 0xffff, v9
	v_cndmask_b32_e64 v15, 0, 1, s0
	v_cmp_gt_i32_e64 s0, s15, v17
	v_or_b32_e32 v11, v4, v11
	v_or_b32_e32 v17, 0x500, v0
	v_and_b32_e32 v3, 1, v3
	v_lshlrev_b16 v15, 8, v15
	v_cndmask_b32_e64 v9, 0, v9, s0
	v_cmp_eq_u32_e64 s0, 1, v5
	v_and_b32_e32 v11, 0xffff, v11
	v_xor_b32_e32 v6, s22, v6
	v_xor_b32_e32 v7, s22, v7
	v_bitop3_b16 v15, v9, v15, 0xff bitop3:0xec
	s_xor_b32 s0, s3, s0
	v_dual_cndmask_b32 v4, v4, v11, s1 :: v_dual_bitop2_b32 v11, 1, v13 bitop3:0x40
	v_cndmask_b32_e64 v13, 0, 1, s0
	s_delay_alu instid0(VALU_DEP_3) | instskip(SKIP_3) | instid1(VALU_DEP_3)
	v_and_b32_e32 v5, 0xffff, v15
	v_cmp_gt_i32_e64 s0, s15, v17
	v_and_b32_e32 v6, 1, v6
	v_or_b32_e32 v17, 0xd00, v0
	v_dual_cndmask_b32 v5, v9, v5, s0 :: v_dual_bitop2_b32 v7, 1, v7 bitop3:0x40
	v_cmp_eq_u32_e64 s0, 1, v11
	v_or_b32_e32 v9, 0x200, v0
	v_lshl_or_b32 v11, v13, 16, v4
	v_cmp_eq_u32_e64 s2, 1, v6
	v_lshrrev_b32_e32 v13, 16, v5
	s_xor_b32 s0, s3, s0
	v_cmp_gt_i32_e64 s1, s15, v9
	v_cndmask_b32_e64 v15, 0, 1, s0
	v_cmp_eq_u32_e64 s0, 1, v3
	v_xor_b32_e32 v9, s22, v10
	v_or_b32_e32 v6, 0xc00, v0
	v_cndmask_b32_e64 v3, v4, v11, s1
	v_bitop3_b16 v4, v15, v13, 0xff00 bitop3:0xf8
	v_or_b32_e32 v13, 0x600, v0
	s_xor_b32 s0, s3, s0
	v_and_b32_e32 v9, 1, v9
	v_cndmask_b32_e64 v10, 0, 1, s0
	v_lshlrev_b32_e32 v4, 16, v4
	v_cmp_gt_i32_e64 s1, s15, v13
	v_lshrrev_b32_e32 v11, 16, v3
	v_cmp_eq_u32_e64 s0, 1, v9
	v_lshlrev_b16 v10, 8, v10
	v_and_or_b32 v4, 0xffff, v5, v4
	v_xor_b32_e32 v13, s22, v16
	s_xor_b32 s0, s3, s0
	s_delay_alu instid0(VALU_DEP_3) | instskip(NEXT) | instid1(VALU_DEP_3)
	v_bitop3_b16 v9, v11, v10, 0xff bitop3:0xec
	v_cndmask_b32_e64 v4, v5, v4, s1
	v_xor_b32_e32 v5, s22, v12
	v_xor_b32_e32 v12, s22, v18
	v_cndmask_b32_e64 v10, 0, 1, s0
	v_and_b32_e32 v13, 1, v13
	v_lshlrev_b32_e32 v9, 16, v9
	v_and_b32_e32 v5, 1, v5
	v_and_b32_e32 v12, 1, v12
	v_lshrrev_b32_e32 v11, 16, v4
	v_lshlrev_b16 v10, 8, v10
	v_and_or_b32 v9, 0xffff, v3, v9
	v_cmp_eq_u32_e64 s0, 1, v5
	v_cmp_eq_u32_e64 s1, 1, v12
	v_or_b32_e32 v5, 0x800, v0
	v_xor_b32_e32 v8, s22, v8
	s_xor_b32 s0, s3, s0
	s_xor_b32 s1, s3, s1
	v_cndmask_b32_e64 v12, 0, 1, s0
	v_cmp_eq_u32_e64 s0, 1, v13
	v_cndmask_b32_e64 v13, 0, 1, s1
	v_and_b32_e32 v8, 1, v8
	v_cmp_gt_i32_e64 s1, s15, v17
	s_xor_b32 s0, s3, s0
	s_delay_alu instid0(SALU_CYCLE_1) | instskip(SKIP_1) | instid1(SALU_CYCLE_1)
	v_cndmask_b32_e64 v15, 0, 1, s0
	s_xor_b32 s0, s3, s2
	v_cndmask_b32_e64 v16, 0, 1, s0
	v_cmp_gt_i32_e64 s0, s15, v6
	s_delay_alu instid0(VALU_DEP_1) | instskip(SKIP_3) | instid1(VALU_DEP_3)
	v_cndmask_b32_e64 v6, 0, v13, s0
	v_lshlrev_b16 v13, 8, v15
	v_cmp_gt_i32_e64 s0, s15, v5
	v_or_b32_e32 v15, 0x900, v0
	v_bitop3_b16 v13, v6, v13, 0xff bitop3:0xec
	s_delay_alu instid0(VALU_DEP_3) | instskip(SKIP_4) | instid1(VALU_DEP_4)
	v_cndmask_b32_e64 v5, 0, v12, s0
	v_lshlrev_b16 v12, 8, v16
	v_xor_b32_e32 v16, s22, v19
	v_cmp_eq_u32_e64 s0, 1, v8
	v_and_b32_e32 v13, 0xffff, v13
	v_or_b32_e32 v12, v5, v12
	s_delay_alu instid0(VALU_DEP_4) | instskip(SKIP_1) | instid1(VALU_DEP_3)
	v_and_b32_e32 v16, 1, v16
	s_xor_b32 s0, s3, s0
	v_cndmask_b32_e64 v6, v6, v13, s1
	s_delay_alu instid0(VALU_DEP_3) | instskip(NEXT) | instid1(VALU_DEP_3)
	v_and_b32_e32 v8, 0xffff, v12
	v_cmp_eq_u32_e64 s1, 1, v16
	v_cndmask_b32_e64 v12, 0, 1, s0
	s_delay_alu instid0(VALU_DEP_4) | instskip(SKIP_1) | instid1(SALU_CYCLE_1)
	v_lshrrev_b32_e32 v13, 16, v6
	s_xor_b32 s0, s3, s1
	v_cndmask_b32_e64 v16, 0, 1, s0
	v_cmp_gt_i32_e64 s0, s15, v15
	s_delay_alu instid0(VALU_DEP_1) | instskip(SKIP_1) | instid1(VALU_DEP_4)
	v_cndmask_b32_e64 v5, v5, v8, s0
	v_lshlrev_b32_e32 v8, 16, v12
	v_bitop3_b16 v12, v16, v13, 0xff00 bitop3:0xf8
	v_xor_b32_e32 v13, s22, v14
	v_or_b32_e32 v14, 0xa00, v0
	v_cmp_eq_u32_e64 s0, 1, v7
	v_and_or_b32 v8, 0x1ff, v5, v8
	s_delay_alu instid0(VALU_DEP_4) | instskip(NEXT) | instid1(VALU_DEP_4)
	v_dual_lshlrev_b32 v7, 16, v12 :: v_dual_bitop2_b32 v12, 1, v13 bitop3:0x40
	v_cmp_gt_i32_e64 s1, s15, v14
	s_xor_b32 s0, s3, s0
	v_or_b32_e32 v13, 0x300, v0
	v_and_or_b32 v7, 0xffff, v6, v7
	v_cndmask_b32_e64 v8, v5, v8, s1
	v_or_b32_e32 v5, 0xe00, v0
	v_cmp_eq_u32_e64 s1, 1, v12
	v_cndmask_b32_e64 v12, 0, 1, s0
	s_delay_alu instid0(VALU_DEP_3) | instskip(NEXT) | instid1(VALU_DEP_1)
	v_cmp_gt_i32_e64 s0, s15, v5
	v_cndmask_b32_e64 v7, v6, v7, s0
	s_delay_alu instid0(VALU_DEP_4)
	s_xor_b32 s0, s3, s1
	v_bitop3_b16 v6, v11, v10, 0xff bitop3:0xec
	v_cndmask_b32_e64 v5, 0, 1, s0
	v_lshrrev_b32_e32 v10, 16, v8
	v_lshlrev_b16 v11, 8, v12
	v_lshrrev_b32_e32 v12, 16, v7
	v_cmp_gt_i32_e64 s0, s15, v13
	v_lshlrev_b16 v5, 8, v5
	s_delay_alu instid0(VALU_DEP_4) | instskip(NEXT) | instid1(VALU_DEP_3)
	v_bitop3_b16 v10, v10, v11, 0xff bitop3:0xec
	v_dual_lshlrev_b32 v11, 16, v6 :: v_dual_cndmask_b32 v6, v3, v9, s0
	s_delay_alu instid0(VALU_DEP_3) | instskip(SKIP_1) | instid1(VALU_DEP_4)
	v_bitop3_b16 v5, v12, v5, 0xff bitop3:0xec
	v_or_b32_e32 v9, 0x700, v0
	v_lshlrev_b32_e32 v3, 16, v10
	s_delay_alu instid0(VALU_DEP_4)
	v_and_or_b32 v10, 0xffff, v4, v11
	v_or_b32_e32 v11, 0xb00, v0
	v_lshlrev_b32_e32 v5, 16, v5
	v_cmp_gt_i32_e64 s0, s15, v9
	v_and_or_b32 v3, 0xffff, v8, v3
	v_or_b32_e32 v12, 0xf00, v0
	s_delay_alu instid0(VALU_DEP_4) | instskip(NEXT) | instid1(VALU_DEP_4)
	v_and_or_b32 v13, 0xffff, v7, v5
	v_cndmask_b32_e64 v5, v4, v10, s0
	v_cmp_gt_i32_e64 s0, s15, v11
	s_delay_alu instid0(VALU_DEP_1) | instskip(SKIP_1) | instid1(VALU_DEP_1)
	v_cndmask_b32_e64 v4, v8, v3, s0
	v_cmp_gt_i32_e64 s0, s15, v12
	v_cndmask_b32_e64 v3, v7, v13, s0
	s_and_saveexec_b32 s0, vcc_lo
	s_cbranch_execnz .LBB219_53
; %bb.36:
	s_or_b32 exec_lo, exec_lo, s0
	s_delay_alu instid0(SALU_CYCLE_1)
	s_mov_b32 s0, exec_lo
	v_cmpx_gt_i32_e64 s15, v0
	s_cbranch_execnz .LBB219_54
.LBB219_37:
	s_or_b32 exec_lo, exec_lo, s0
	s_delay_alu instid0(SALU_CYCLE_1)
	s_mov_b32 s0, exec_lo
	v_cmpx_gt_i32_e64 s15, v0
	s_cbranch_execnz .LBB219_55
.LBB219_38:
	s_or_b32 exec_lo, exec_lo, s0
	s_delay_alu instid0(SALU_CYCLE_1)
	s_mov_b32 s0, exec_lo
	v_cmpx_gt_i32_e64 s15, v0
	s_cbranch_execnz .LBB219_56
.LBB219_39:
	s_or_b32 exec_lo, exec_lo, s0
	s_delay_alu instid0(SALU_CYCLE_1)
	s_mov_b32 s0, exec_lo
	v_cmpx_gt_i32_e64 s15, v0
	s_cbranch_execnz .LBB219_57
.LBB219_40:
	s_or_b32 exec_lo, exec_lo, s0
	s_delay_alu instid0(SALU_CYCLE_1)
	s_mov_b32 s0, exec_lo
	v_cmpx_gt_i32_e64 s15, v0
	s_cbranch_execnz .LBB219_58
.LBB219_41:
	s_or_b32 exec_lo, exec_lo, s0
	s_delay_alu instid0(SALU_CYCLE_1)
	s_mov_b32 s0, exec_lo
	v_cmpx_gt_i32_e64 s15, v0
	s_cbranch_execnz .LBB219_59
.LBB219_42:
	s_or_b32 exec_lo, exec_lo, s0
	s_delay_alu instid0(SALU_CYCLE_1)
	s_mov_b32 s0, exec_lo
	v_cmpx_gt_i32_e64 s15, v0
	s_cbranch_execnz .LBB219_60
.LBB219_43:
	s_or_b32 exec_lo, exec_lo, s0
	s_delay_alu instid0(SALU_CYCLE_1)
	s_mov_b32 s0, exec_lo
	v_cmpx_gt_i32_e64 s15, v0
	s_cbranch_execnz .LBB219_61
.LBB219_44:
	s_or_b32 exec_lo, exec_lo, s0
	s_delay_alu instid0(SALU_CYCLE_1)
	s_mov_b32 s0, exec_lo
	v_cmpx_gt_i32_e64 s15, v0
	s_cbranch_execnz .LBB219_62
.LBB219_45:
	s_or_b32 exec_lo, exec_lo, s0
	s_delay_alu instid0(SALU_CYCLE_1)
	s_mov_b32 s0, exec_lo
	v_cmpx_gt_i32_e64 s15, v0
	s_cbranch_execnz .LBB219_63
.LBB219_46:
	s_or_b32 exec_lo, exec_lo, s0
	s_delay_alu instid0(SALU_CYCLE_1)
	s_mov_b32 s0, exec_lo
	v_cmpx_gt_i32_e64 s15, v0
	s_cbranch_execnz .LBB219_64
.LBB219_47:
	s_or_b32 exec_lo, exec_lo, s0
	s_delay_alu instid0(SALU_CYCLE_1)
	s_mov_b32 s0, exec_lo
	v_cmpx_gt_i32_e64 s15, v0
	s_cbranch_execnz .LBB219_65
.LBB219_48:
	s_or_b32 exec_lo, exec_lo, s0
	s_delay_alu instid0(SALU_CYCLE_1)
	s_mov_b32 s0, exec_lo
	v_cmpx_gt_i32_e64 s15, v0
	s_cbranch_execnz .LBB219_66
.LBB219_49:
	s_or_b32 exec_lo, exec_lo, s0
	s_delay_alu instid0(SALU_CYCLE_1)
	s_mov_b32 s0, exec_lo
	v_cmpx_gt_i32_e64 s15, v0
	s_cbranch_execnz .LBB219_67
.LBB219_50:
	s_or_b32 exec_lo, exec_lo, s0
	s_delay_alu instid0(SALU_CYCLE_1)
	s_mov_b32 s0, exec_lo
	v_cmpx_gt_i32_e64 s15, v0
	s_cbranch_execz .LBB219_52
.LBB219_51:
	v_dual_lshrrev_b32 v1, 24, v3 :: v_dual_add_nc_u32 v0, s24, v0
	global_store_b8 v0, v1, s[16:17]
.LBB219_52:
	s_endpgm
.LBB219_53:
	v_mov_b32_e32 v0, v2
	global_store_b8 v1, v6, s[16:17]
	s_wait_xcnt 0x0
	s_or_b32 exec_lo, exec_lo, s0
	s_delay_alu instid0(SALU_CYCLE_1)
	s_mov_b32 s0, exec_lo
	v_cmpx_gt_i32_e64 s15, v0
	s_cbranch_execz .LBB219_37
.LBB219_54:
	v_dual_lshrrev_b32 v1, 8, v6 :: v_dual_add_nc_u32 v2, s24, v0
	v_add_nc_u32_e32 v0, 0x100, v0
	global_store_b8 v2, v1, s[16:17]
	s_wait_xcnt 0x0
	s_or_b32 exec_lo, exec_lo, s0
	s_delay_alu instid0(SALU_CYCLE_1)
	s_mov_b32 s0, exec_lo
	v_cmpx_gt_i32_e64 s15, v0
	s_cbranch_execz .LBB219_38
.LBB219_55:
	v_add_nc_u32_e32 v1, s24, v0
	v_add_nc_u32_e32 v0, 0x100, v0
	global_store_d16_hi_b8 v1, v6, s[16:17]
	s_wait_xcnt 0x0
	s_or_b32 exec_lo, exec_lo, s0
	s_delay_alu instid0(SALU_CYCLE_1)
	s_mov_b32 s0, exec_lo
	v_cmpx_gt_i32_e64 s15, v0
	s_cbranch_execz .LBB219_39
.LBB219_56:
	v_dual_lshrrev_b32 v1, 24, v6 :: v_dual_add_nc_u32 v2, s24, v0
	v_add_nc_u32_e32 v0, 0x100, v0
	global_store_b8 v2, v1, s[16:17]
	s_wait_xcnt 0x0
	s_or_b32 exec_lo, exec_lo, s0
	s_delay_alu instid0(SALU_CYCLE_1)
	s_mov_b32 s0, exec_lo
	v_cmpx_gt_i32_e64 s15, v0
	s_cbranch_execz .LBB219_40
.LBB219_57:
	v_add_nc_u32_e32 v1, s24, v0
	v_add_nc_u32_e32 v0, 0x100, v0
	global_store_b8 v1, v5, s[16:17]
	s_wait_xcnt 0x0
	s_or_b32 exec_lo, exec_lo, s0
	s_delay_alu instid0(SALU_CYCLE_1)
	s_mov_b32 s0, exec_lo
	v_cmpx_gt_i32_e64 s15, v0
	s_cbranch_execz .LBB219_41
.LBB219_58:
	v_dual_lshrrev_b32 v1, 8, v5 :: v_dual_add_nc_u32 v2, s24, v0
	v_add_nc_u32_e32 v0, 0x100, v0
	global_store_b8 v2, v1, s[16:17]
	s_wait_xcnt 0x0
	s_or_b32 exec_lo, exec_lo, s0
	s_delay_alu instid0(SALU_CYCLE_1)
	s_mov_b32 s0, exec_lo
	v_cmpx_gt_i32_e64 s15, v0
	s_cbranch_execz .LBB219_42
.LBB219_59:
	v_add_nc_u32_e32 v1, s24, v0
	v_add_nc_u32_e32 v0, 0x100, v0
	global_store_d16_hi_b8 v1, v5, s[16:17]
	s_wait_xcnt 0x0
	s_or_b32 exec_lo, exec_lo, s0
	s_delay_alu instid0(SALU_CYCLE_1)
	s_mov_b32 s0, exec_lo
	v_cmpx_gt_i32_e64 s15, v0
	s_cbranch_execz .LBB219_43
.LBB219_60:
	v_dual_lshrrev_b32 v1, 24, v5 :: v_dual_add_nc_u32 v2, s24, v0
	v_add_nc_u32_e32 v0, 0x100, v0
	global_store_b8 v2, v1, s[16:17]
	s_wait_xcnt 0x0
	s_or_b32 exec_lo, exec_lo, s0
	s_delay_alu instid0(SALU_CYCLE_1)
	s_mov_b32 s0, exec_lo
	v_cmpx_gt_i32_e64 s15, v0
	s_cbranch_execz .LBB219_44
.LBB219_61:
	v_add_nc_u32_e32 v1, s24, v0
	v_add_nc_u32_e32 v0, 0x100, v0
	global_store_b8 v1, v4, s[16:17]
	s_wait_xcnt 0x0
	s_or_b32 exec_lo, exec_lo, s0
	s_delay_alu instid0(SALU_CYCLE_1)
	s_mov_b32 s0, exec_lo
	v_cmpx_gt_i32_e64 s15, v0
	s_cbranch_execz .LBB219_45
.LBB219_62:
	v_lshrrev_b32_e32 v1, 8, v4
	v_add_nc_u32_e32 v2, s24, v0
	v_add_nc_u32_e32 v0, 0x100, v0
	global_store_b8 v2, v1, s[16:17]
	s_wait_xcnt 0x0
	s_or_b32 exec_lo, exec_lo, s0
	s_delay_alu instid0(SALU_CYCLE_1)
	s_mov_b32 s0, exec_lo
	v_cmpx_gt_i32_e64 s15, v0
	s_cbranch_execz .LBB219_46
.LBB219_63:
	v_add_nc_u32_e32 v1, s24, v0
	v_add_nc_u32_e32 v0, 0x100, v0
	global_store_d16_hi_b8 v1, v4, s[16:17]
	s_wait_xcnt 0x0
	s_or_b32 exec_lo, exec_lo, s0
	s_delay_alu instid0(SALU_CYCLE_1)
	s_mov_b32 s0, exec_lo
	v_cmpx_gt_i32_e64 s15, v0
	s_cbranch_execz .LBB219_47
.LBB219_64:
	v_lshrrev_b32_e32 v1, 24, v4
	v_add_nc_u32_e32 v2, s24, v0
	v_add_nc_u32_e32 v0, 0x100, v0
	global_store_b8 v2, v1, s[16:17]
	s_wait_xcnt 0x0
	s_or_b32 exec_lo, exec_lo, s0
	s_delay_alu instid0(SALU_CYCLE_1)
	s_mov_b32 s0, exec_lo
	v_cmpx_gt_i32_e64 s15, v0
	s_cbranch_execz .LBB219_48
.LBB219_65:
	v_add_nc_u32_e32 v1, s24, v0
	v_add_nc_u32_e32 v0, 0x100, v0
	global_store_b8 v1, v3, s[16:17]
	s_wait_xcnt 0x0
	s_or_b32 exec_lo, exec_lo, s0
	s_delay_alu instid0(SALU_CYCLE_1)
	s_mov_b32 s0, exec_lo
	v_cmpx_gt_i32_e64 s15, v0
	s_cbranch_execz .LBB219_49
.LBB219_66:
	v_dual_lshrrev_b32 v1, 8, v3 :: v_dual_add_nc_u32 v2, s24, v0
	v_add_nc_u32_e32 v0, 0x100, v0
	global_store_b8 v2, v1, s[16:17]
	s_wait_xcnt 0x0
	s_or_b32 exec_lo, exec_lo, s0
	s_delay_alu instid0(SALU_CYCLE_1)
	s_mov_b32 s0, exec_lo
	v_cmpx_gt_i32_e64 s15, v0
	s_cbranch_execz .LBB219_50
.LBB219_67:
	v_add_nc_u32_e32 v1, s24, v0
	v_add_nc_u32_e32 v0, 0x100, v0
	global_store_d16_hi_b8 v1, v3, s[16:17]
	s_wait_xcnt 0x0
	s_or_b32 exec_lo, exec_lo, s0
	s_delay_alu instid0(SALU_CYCLE_1)
	s_mov_b32 s0, exec_lo
	v_cmpx_gt_i32_e64 s15, v0
	s_cbranch_execnz .LBB219_51
	s_branch .LBB219_52
	.section	.rodata,"a",@progbits
	.p2align	6, 0x0
	.amdhsa_kernel _ZN2at6native29vectorized_elementwise_kernelILi2ENS0_13AUnaryFunctorIbbbNS0_12_GLOBAL__N_116CompareEqFunctorIbEEEESt5arrayIPcLm2EEEEviT0_T1_
		.amdhsa_group_segment_fixed_size 0
		.amdhsa_private_segment_fixed_size 0
		.amdhsa_kernarg_size 32
		.amdhsa_user_sgpr_count 2
		.amdhsa_user_sgpr_dispatch_ptr 0
		.amdhsa_user_sgpr_queue_ptr 0
		.amdhsa_user_sgpr_kernarg_segment_ptr 1
		.amdhsa_user_sgpr_dispatch_id 0
		.amdhsa_user_sgpr_kernarg_preload_length 0
		.amdhsa_user_sgpr_kernarg_preload_offset 0
		.amdhsa_user_sgpr_private_segment_size 0
		.amdhsa_wavefront_size32 1
		.amdhsa_uses_dynamic_stack 0
		.amdhsa_enable_private_segment 0
		.amdhsa_system_sgpr_workgroup_id_x 1
		.amdhsa_system_sgpr_workgroup_id_y 0
		.amdhsa_system_sgpr_workgroup_id_z 0
		.amdhsa_system_sgpr_workgroup_info 0
		.amdhsa_system_vgpr_workitem_id 0
		.amdhsa_next_free_vgpr 20
		.amdhsa_next_free_sgpr 29
		.amdhsa_named_barrier_count 0
		.amdhsa_reserve_vcc 1
		.amdhsa_float_round_mode_32 0
		.amdhsa_float_round_mode_16_64 0
		.amdhsa_float_denorm_mode_32 3
		.amdhsa_float_denorm_mode_16_64 3
		.amdhsa_fp16_overflow 0
		.amdhsa_memory_ordered 1
		.amdhsa_forward_progress 1
		.amdhsa_inst_pref_size 37
		.amdhsa_round_robin_scheduling 0
		.amdhsa_exception_fp_ieee_invalid_op 0
		.amdhsa_exception_fp_denorm_src 0
		.amdhsa_exception_fp_ieee_div_zero 0
		.amdhsa_exception_fp_ieee_overflow 0
		.amdhsa_exception_fp_ieee_underflow 0
		.amdhsa_exception_fp_ieee_inexact 0
		.amdhsa_exception_int_div_zero 0
	.end_amdhsa_kernel
	.section	.text._ZN2at6native29vectorized_elementwise_kernelILi2ENS0_13AUnaryFunctorIbbbNS0_12_GLOBAL__N_116CompareEqFunctorIbEEEESt5arrayIPcLm2EEEEviT0_T1_,"axG",@progbits,_ZN2at6native29vectorized_elementwise_kernelILi2ENS0_13AUnaryFunctorIbbbNS0_12_GLOBAL__N_116CompareEqFunctorIbEEEESt5arrayIPcLm2EEEEviT0_T1_,comdat
.Lfunc_end219:
	.size	_ZN2at6native29vectorized_elementwise_kernelILi2ENS0_13AUnaryFunctorIbbbNS0_12_GLOBAL__N_116CompareEqFunctorIbEEEESt5arrayIPcLm2EEEEviT0_T1_, .Lfunc_end219-_ZN2at6native29vectorized_elementwise_kernelILi2ENS0_13AUnaryFunctorIbbbNS0_12_GLOBAL__N_116CompareEqFunctorIbEEEESt5arrayIPcLm2EEEEviT0_T1_
                                        ; -- End function
	.set _ZN2at6native29vectorized_elementwise_kernelILi2ENS0_13AUnaryFunctorIbbbNS0_12_GLOBAL__N_116CompareEqFunctorIbEEEESt5arrayIPcLm2EEEEviT0_T1_.num_vgpr, 20
	.set _ZN2at6native29vectorized_elementwise_kernelILi2ENS0_13AUnaryFunctorIbbbNS0_12_GLOBAL__N_116CompareEqFunctorIbEEEESt5arrayIPcLm2EEEEviT0_T1_.num_agpr, 0
	.set _ZN2at6native29vectorized_elementwise_kernelILi2ENS0_13AUnaryFunctorIbbbNS0_12_GLOBAL__N_116CompareEqFunctorIbEEEESt5arrayIPcLm2EEEEviT0_T1_.numbered_sgpr, 29
	.set _ZN2at6native29vectorized_elementwise_kernelILi2ENS0_13AUnaryFunctorIbbbNS0_12_GLOBAL__N_116CompareEqFunctorIbEEEESt5arrayIPcLm2EEEEviT0_T1_.num_named_barrier, 0
	.set _ZN2at6native29vectorized_elementwise_kernelILi2ENS0_13AUnaryFunctorIbbbNS0_12_GLOBAL__N_116CompareEqFunctorIbEEEESt5arrayIPcLm2EEEEviT0_T1_.private_seg_size, 0
	.set _ZN2at6native29vectorized_elementwise_kernelILi2ENS0_13AUnaryFunctorIbbbNS0_12_GLOBAL__N_116CompareEqFunctorIbEEEESt5arrayIPcLm2EEEEviT0_T1_.uses_vcc, 1
	.set _ZN2at6native29vectorized_elementwise_kernelILi2ENS0_13AUnaryFunctorIbbbNS0_12_GLOBAL__N_116CompareEqFunctorIbEEEESt5arrayIPcLm2EEEEviT0_T1_.uses_flat_scratch, 0
	.set _ZN2at6native29vectorized_elementwise_kernelILi2ENS0_13AUnaryFunctorIbbbNS0_12_GLOBAL__N_116CompareEqFunctorIbEEEESt5arrayIPcLm2EEEEviT0_T1_.has_dyn_sized_stack, 0
	.set _ZN2at6native29vectorized_elementwise_kernelILi2ENS0_13AUnaryFunctorIbbbNS0_12_GLOBAL__N_116CompareEqFunctorIbEEEESt5arrayIPcLm2EEEEviT0_T1_.has_recursion, 0
	.set _ZN2at6native29vectorized_elementwise_kernelILi2ENS0_13AUnaryFunctorIbbbNS0_12_GLOBAL__N_116CompareEqFunctorIbEEEESt5arrayIPcLm2EEEEviT0_T1_.has_indirect_call, 0
	.section	.AMDGPU.csdata,"",@progbits
; Kernel info:
; codeLenInByte = 4688
; TotalNumSgprs: 31
; NumVgprs: 20
; ScratchSize: 0
; MemoryBound: 0
; FloatMode: 240
; IeeeMode: 1
; LDSByteSize: 0 bytes/workgroup (compile time only)
; SGPRBlocks: 0
; VGPRBlocks: 1
; NumSGPRsForWavesPerEU: 31
; NumVGPRsForWavesPerEU: 20
; NamedBarCnt: 0
; Occupancy: 16
; WaveLimiterHint : 1
; COMPUTE_PGM_RSRC2:SCRATCH_EN: 0
; COMPUTE_PGM_RSRC2:USER_SGPR: 2
; COMPUTE_PGM_RSRC2:TRAP_HANDLER: 0
; COMPUTE_PGM_RSRC2:TGID_X_EN: 1
; COMPUTE_PGM_RSRC2:TGID_Y_EN: 0
; COMPUTE_PGM_RSRC2:TGID_Z_EN: 0
; COMPUTE_PGM_RSRC2:TIDIG_COMP_CNT: 0
	.section	.text._ZN2at6native27unrolled_elementwise_kernelINS0_13AUnaryFunctorIbbbNS0_12_GLOBAL__N_116CompareEqFunctorIbEEEESt5arrayIPcLm2EELi4E23TrivialOffsetCalculatorILi1EjESB_NS0_6memory15LoadWithoutCastENSC_16StoreWithoutCastEEEviT_T0_T2_T3_T4_T5_,"axG",@progbits,_ZN2at6native27unrolled_elementwise_kernelINS0_13AUnaryFunctorIbbbNS0_12_GLOBAL__N_116CompareEqFunctorIbEEEESt5arrayIPcLm2EELi4E23TrivialOffsetCalculatorILi1EjESB_NS0_6memory15LoadWithoutCastENSC_16StoreWithoutCastEEEviT_T0_T2_T3_T4_T5_,comdat
	.globl	_ZN2at6native27unrolled_elementwise_kernelINS0_13AUnaryFunctorIbbbNS0_12_GLOBAL__N_116CompareEqFunctorIbEEEESt5arrayIPcLm2EELi4E23TrivialOffsetCalculatorILi1EjESB_NS0_6memory15LoadWithoutCastENSC_16StoreWithoutCastEEEviT_T0_T2_T3_T4_T5_ ; -- Begin function _ZN2at6native27unrolled_elementwise_kernelINS0_13AUnaryFunctorIbbbNS0_12_GLOBAL__N_116CompareEqFunctorIbEEEESt5arrayIPcLm2EELi4E23TrivialOffsetCalculatorILi1EjESB_NS0_6memory15LoadWithoutCastENSC_16StoreWithoutCastEEEviT_T0_T2_T3_T4_T5_
	.p2align	8
	.type	_ZN2at6native27unrolled_elementwise_kernelINS0_13AUnaryFunctorIbbbNS0_12_GLOBAL__N_116CompareEqFunctorIbEEEESt5arrayIPcLm2EELi4E23TrivialOffsetCalculatorILi1EjESB_NS0_6memory15LoadWithoutCastENSC_16StoreWithoutCastEEEviT_T0_T2_T3_T4_T5_,@function
_ZN2at6native27unrolled_elementwise_kernelINS0_13AUnaryFunctorIbbbNS0_12_GLOBAL__N_116CompareEqFunctorIbEEEESt5arrayIPcLm2EELi4E23TrivialOffsetCalculatorILi1EjESB_NS0_6memory15LoadWithoutCastENSC_16StoreWithoutCastEEEviT_T0_T2_T3_T4_T5_: ; @_ZN2at6native27unrolled_elementwise_kernelINS0_13AUnaryFunctorIbbbNS0_12_GLOBAL__N_116CompareEqFunctorIbEEEESt5arrayIPcLm2EELi4E23TrivialOffsetCalculatorILi1EjESB_NS0_6memory15LoadWithoutCastENSC_16StoreWithoutCastEEEviT_T0_T2_T3_T4_T5_
; %bb.0:
	s_clause 0x1
	s_load_b96 s[8:10], s[0:1], 0x0
	s_load_b128 s[4:7], s[0:1], 0x10
	s_bfe_u32 s2, ttmp6, 0x4000c
	s_wait_xcnt 0x0
	s_and_b32 s0, ttmp6, 15
	s_add_co_i32 s2, s2, 1
	v_dual_mov_b32 v3, 0 :: v_dual_mov_b32 v4, 0
	s_mul_i32 s1, ttmp9, s2
	s_getreg_b32 s2, hwreg(HW_REG_IB_STS2, 6, 4)
	s_add_co_i32 s0, s0, s1
	s_cmp_eq_u32 s2, 0
	v_or_b32_e32 v1, 0x100, v0
	s_cselect_b32 s0, ttmp9, s0
	v_mov_b32_e32 v6, v0
	s_lshl_b32 s2, s0, 10
	s_delay_alu instid0(SALU_CYCLE_1) | instskip(SKIP_2) | instid1(SALU_CYCLE_1)
	v_or_b32_e32 v2, s2, v0
	s_wait_kmcnt 0x0
	s_sub_co_i32 s3, s8, s2
	v_cmp_gt_i32_e32 vcc_lo, s3, v0
	s_and_saveexec_b32 s1, vcc_lo
	s_cbranch_execz .LBB220_2
; %bb.1:
	global_load_u8 v4, v2, s[6:7]
	v_or_b32_e32 v6, 0x100, v0
	s_wait_loadcnt 0x0
	v_cmp_ne_u16_e64 s0, 0, v4
	s_delay_alu instid0(VALU_DEP_1)
	v_cndmask_b32_e64 v4, 0, 1, s0
.LBB220_2:
	s_or_b32 exec_lo, exec_lo, s1
	s_delay_alu instid0(SALU_CYCLE_1)
	s_mov_b32 s1, exec_lo
	v_cmpx_gt_i32_e64 s3, v6
	s_cbranch_execz .LBB220_4
; %bb.3:
	v_add_nc_u32_e32 v3, s2, v6
	v_add_nc_u32_e32 v6, 0x100, v6
	global_load_u8 v3, v3, s[6:7]
	s_wait_loadcnt 0x0
	v_cmp_ne_u16_e64 s0, 0, v3
	s_delay_alu instid0(VALU_DEP_1)
	v_cndmask_b32_e64 v3, 0, 1, s0
.LBB220_4:
	s_or_b32 exec_lo, exec_lo, s1
	v_dual_mov_b32 v5, 0 :: v_dual_mov_b32 v7, 0
	s_mov_b32 s1, exec_lo
	v_cmpx_gt_i32_e64 s3, v6
	s_cbranch_execz .LBB220_6
; %bb.5:
	v_add_nc_u32_e32 v7, s2, v6
	v_add_nc_u32_e32 v6, 0x100, v6
	global_load_u8 v7, v7, s[6:7]
	s_wait_loadcnt 0x0
	v_cmp_ne_u16_e64 s0, 0, v7
	s_delay_alu instid0(VALU_DEP_1)
	v_cndmask_b32_e64 v7, 0, 1, s0
.LBB220_6:
	s_or_b32 exec_lo, exec_lo, s1
	s_delay_alu instid0(SALU_CYCLE_1)
	s_mov_b32 s1, exec_lo
	v_cmpx_gt_i32_e64 s3, v6
	s_cbranch_execz .LBB220_8
; %bb.7:
	v_add_nc_u32_e32 v5, s2, v6
	global_load_u8 v5, v5, s[6:7]
	s_wait_loadcnt 0x0
	v_cmp_ne_u16_e64 s0, 0, v5
	s_delay_alu instid0(VALU_DEP_1)
	v_cndmask_b32_e64 v5, 0, 1, s0
.LBB220_8:
	s_or_b32 exec_lo, exec_lo, s1
	v_xor_b32_e32 v4, s10, v4
	s_cmp_eq_u32 s9, 0
	s_cselect_b32 s6, -1, 0
	s_delay_alu instid0(VALU_DEP_1) | instskip(NEXT) | instid1(VALU_DEP_1)
	v_and_b32_e32 v4, 1, v4
	v_cmp_eq_u32_e64 s0, 1, v4
	s_xor_b32 s0, s6, s0
	s_delay_alu instid0(SALU_CYCLE_1) | instskip(NEXT) | instid1(VALU_DEP_1)
	v_cndmask_b32_e64 v4, 0, 1, s0
	v_dual_cndmask_b32 v4, 0, v4, vcc_lo :: v_dual_bitop2_b32 v3, s10, v3 bitop3:0x14
	s_delay_alu instid0(VALU_DEP_1) | instskip(NEXT) | instid1(VALU_DEP_1)
	v_and_b32_e32 v3, 1, v3
	v_cmp_eq_u32_e64 s1, 1, v3
	v_xor_b32_e32 v3, s10, v7
	s_xor_b32 s0, s6, s1
	s_delay_alu instid0(VALU_DEP_1) | instskip(SKIP_1) | instid1(VALU_DEP_2)
	v_and_b32_e32 v3, 1, v3
	v_cndmask_b32_e64 v6, 0, 1, s0
	v_cmp_eq_u32_e64 s0, 1, v3
	s_delay_alu instid0(VALU_DEP_2) | instskip(SKIP_1) | instid1(VALU_DEP_1)
	v_lshlrev_b16 v6, 8, v6
	s_xor_b32 s0, s6, s0
	v_or_b32_e32 v3, v4, v6
	v_cndmask_b32_e64 v6, 0, 1, s0
	v_cmp_gt_i32_e64 s0, s3, v1
	s_delay_alu instid0(VALU_DEP_3) | instskip(NEXT) | instid1(VALU_DEP_3)
	v_and_b32_e32 v3, 0xffff, v3
	v_dual_lshlrev_b32 v6, 16, v6 :: v_dual_bitop2_b32 v5, s10, v5 bitop3:0x14
	s_delay_alu instid0(VALU_DEP_1) | instskip(SKIP_1) | instid1(VALU_DEP_2)
	v_dual_cndmask_b32 v3, v4, v3, s0 :: v_dual_bitop2_b32 v4, 1, v5 bitop3:0x40
	v_or_b32_e32 v5, 0x200, v0
	v_or_b32_e32 v6, v3, v6
	s_delay_alu instid0(VALU_DEP_2) | instskip(NEXT) | instid1(VALU_DEP_1)
	v_cmp_gt_i32_e64 s1, s3, v5
	v_cndmask_b32_e64 v3, v3, v6, s1
	s_delay_alu instid0(VALU_DEP_1) | instskip(SKIP_2) | instid1(SALU_CYCLE_1)
	v_lshrrev_b32_e32 v5, 16, v3
	v_cmp_eq_u32_e64 s0, 1, v4
	s_xor_b32 s0, s6, s0
	v_cndmask_b32_e64 v4, 0, 1, s0
	s_delay_alu instid0(VALU_DEP_1) | instskip(NEXT) | instid1(VALU_DEP_1)
	v_lshlrev_b16 v4, 8, v4
	v_bitop3_b16 v4, v5, v4, 0xff bitop3:0xec
	v_or_b32_e32 v5, 0x300, v0
	s_delay_alu instid0(VALU_DEP_2) | instskip(NEXT) | instid1(VALU_DEP_2)
	v_lshlrev_b32_e32 v4, 16, v4
	v_cmp_gt_i32_e64 s0, s3, v5
	s_delay_alu instid0(VALU_DEP_2) | instskip(NEXT) | instid1(VALU_DEP_1)
	v_and_or_b32 v4, 0xffff, v3, v4
	v_cndmask_b32_e64 v3, v3, v4, s0
	s_and_saveexec_b32 s0, vcc_lo
	s_cbranch_execnz .LBB220_13
; %bb.9:
	s_or_b32 exec_lo, exec_lo, s0
	s_delay_alu instid0(SALU_CYCLE_1)
	s_mov_b32 s0, exec_lo
	v_cmpx_gt_i32_e64 s3, v0
	s_cbranch_execnz .LBB220_14
.LBB220_10:
	s_or_b32 exec_lo, exec_lo, s0
	s_delay_alu instid0(SALU_CYCLE_1)
	s_mov_b32 s0, exec_lo
	v_cmpx_gt_i32_e64 s3, v0
	s_cbranch_execnz .LBB220_15
.LBB220_11:
	s_or_b32 exec_lo, exec_lo, s0
	s_delay_alu instid0(SALU_CYCLE_1)
	s_mov_b32 s0, exec_lo
	v_cmpx_gt_i32_e64 s3, v0
	s_cbranch_execnz .LBB220_16
.LBB220_12:
	s_endpgm
.LBB220_13:
	v_mov_b32_e32 v0, v1
	global_store_b8 v2, v3, s[4:5]
	s_wait_xcnt 0x0
	s_or_b32 exec_lo, exec_lo, s0
	s_delay_alu instid0(SALU_CYCLE_1)
	s_mov_b32 s0, exec_lo
	v_cmpx_gt_i32_e64 s3, v0
	s_cbranch_execz .LBB220_10
.LBB220_14:
	v_add_nc_u32_e32 v1, 0x100, v0
	v_dual_add_nc_u32 v2, s2, v0 :: v_dual_lshrrev_b32 v4, 8, v3
	s_delay_alu instid0(VALU_DEP_2) | instskip(SKIP_3) | instid1(SALU_CYCLE_1)
	v_mov_b32_e32 v0, v1
	global_store_b8 v2, v4, s[4:5]
	s_wait_xcnt 0x0
	s_or_b32 exec_lo, exec_lo, s0
	s_mov_b32 s0, exec_lo
	v_cmpx_gt_i32_e64 s3, v0
	s_cbranch_execz .LBB220_11
.LBB220_15:
	v_add_nc_u32_e32 v1, 0x100, v0
	s_delay_alu instid0(VALU_DEP_1) | instskip(SKIP_3) | instid1(SALU_CYCLE_1)
	v_dual_add_nc_u32 v2, s2, v0 :: v_dual_mov_b32 v0, v1
	global_store_d16_hi_b8 v2, v3, s[4:5]
	s_wait_xcnt 0x0
	s_or_b32 exec_lo, exec_lo, s0
	s_mov_b32 s0, exec_lo
	v_cmpx_gt_i32_e64 s3, v0
	s_cbranch_execz .LBB220_12
.LBB220_16:
	v_dual_add_nc_u32 v0, s2, v0 :: v_dual_lshrrev_b32 v1, 24, v3
	global_store_b8 v0, v1, s[4:5]
	s_endpgm
	.section	.rodata,"a",@progbits
	.p2align	6, 0x0
	.amdhsa_kernel _ZN2at6native27unrolled_elementwise_kernelINS0_13AUnaryFunctorIbbbNS0_12_GLOBAL__N_116CompareEqFunctorIbEEEESt5arrayIPcLm2EELi4E23TrivialOffsetCalculatorILi1EjESB_NS0_6memory15LoadWithoutCastENSC_16StoreWithoutCastEEEviT_T0_T2_T3_T4_T5_
		.amdhsa_group_segment_fixed_size 0
		.amdhsa_private_segment_fixed_size 0
		.amdhsa_kernarg_size 36
		.amdhsa_user_sgpr_count 2
		.amdhsa_user_sgpr_dispatch_ptr 0
		.amdhsa_user_sgpr_queue_ptr 0
		.amdhsa_user_sgpr_kernarg_segment_ptr 1
		.amdhsa_user_sgpr_dispatch_id 0
		.amdhsa_user_sgpr_kernarg_preload_length 0
		.amdhsa_user_sgpr_kernarg_preload_offset 0
		.amdhsa_user_sgpr_private_segment_size 0
		.amdhsa_wavefront_size32 1
		.amdhsa_uses_dynamic_stack 0
		.amdhsa_enable_private_segment 0
		.amdhsa_system_sgpr_workgroup_id_x 1
		.amdhsa_system_sgpr_workgroup_id_y 0
		.amdhsa_system_sgpr_workgroup_id_z 0
		.amdhsa_system_sgpr_workgroup_info 0
		.amdhsa_system_vgpr_workitem_id 0
		.amdhsa_next_free_vgpr 8
		.amdhsa_next_free_sgpr 11
		.amdhsa_named_barrier_count 0
		.amdhsa_reserve_vcc 1
		.amdhsa_float_round_mode_32 0
		.amdhsa_float_round_mode_16_64 0
		.amdhsa_float_denorm_mode_32 3
		.amdhsa_float_denorm_mode_16_64 3
		.amdhsa_fp16_overflow 0
		.amdhsa_memory_ordered 1
		.amdhsa_forward_progress 1
		.amdhsa_inst_pref_size 8
		.amdhsa_round_robin_scheduling 0
		.amdhsa_exception_fp_ieee_invalid_op 0
		.amdhsa_exception_fp_denorm_src 0
		.amdhsa_exception_fp_ieee_div_zero 0
		.amdhsa_exception_fp_ieee_overflow 0
		.amdhsa_exception_fp_ieee_underflow 0
		.amdhsa_exception_fp_ieee_inexact 0
		.amdhsa_exception_int_div_zero 0
	.end_amdhsa_kernel
	.section	.text._ZN2at6native27unrolled_elementwise_kernelINS0_13AUnaryFunctorIbbbNS0_12_GLOBAL__N_116CompareEqFunctorIbEEEESt5arrayIPcLm2EELi4E23TrivialOffsetCalculatorILi1EjESB_NS0_6memory15LoadWithoutCastENSC_16StoreWithoutCastEEEviT_T0_T2_T3_T4_T5_,"axG",@progbits,_ZN2at6native27unrolled_elementwise_kernelINS0_13AUnaryFunctorIbbbNS0_12_GLOBAL__N_116CompareEqFunctorIbEEEESt5arrayIPcLm2EELi4E23TrivialOffsetCalculatorILi1EjESB_NS0_6memory15LoadWithoutCastENSC_16StoreWithoutCastEEEviT_T0_T2_T3_T4_T5_,comdat
.Lfunc_end220:
	.size	_ZN2at6native27unrolled_elementwise_kernelINS0_13AUnaryFunctorIbbbNS0_12_GLOBAL__N_116CompareEqFunctorIbEEEESt5arrayIPcLm2EELi4E23TrivialOffsetCalculatorILi1EjESB_NS0_6memory15LoadWithoutCastENSC_16StoreWithoutCastEEEviT_T0_T2_T3_T4_T5_, .Lfunc_end220-_ZN2at6native27unrolled_elementwise_kernelINS0_13AUnaryFunctorIbbbNS0_12_GLOBAL__N_116CompareEqFunctorIbEEEESt5arrayIPcLm2EELi4E23TrivialOffsetCalculatorILi1EjESB_NS0_6memory15LoadWithoutCastENSC_16StoreWithoutCastEEEviT_T0_T2_T3_T4_T5_
                                        ; -- End function
	.set _ZN2at6native27unrolled_elementwise_kernelINS0_13AUnaryFunctorIbbbNS0_12_GLOBAL__N_116CompareEqFunctorIbEEEESt5arrayIPcLm2EELi4E23TrivialOffsetCalculatorILi1EjESB_NS0_6memory15LoadWithoutCastENSC_16StoreWithoutCastEEEviT_T0_T2_T3_T4_T5_.num_vgpr, 8
	.set _ZN2at6native27unrolled_elementwise_kernelINS0_13AUnaryFunctorIbbbNS0_12_GLOBAL__N_116CompareEqFunctorIbEEEESt5arrayIPcLm2EELi4E23TrivialOffsetCalculatorILi1EjESB_NS0_6memory15LoadWithoutCastENSC_16StoreWithoutCastEEEviT_T0_T2_T3_T4_T5_.num_agpr, 0
	.set _ZN2at6native27unrolled_elementwise_kernelINS0_13AUnaryFunctorIbbbNS0_12_GLOBAL__N_116CompareEqFunctorIbEEEESt5arrayIPcLm2EELi4E23TrivialOffsetCalculatorILi1EjESB_NS0_6memory15LoadWithoutCastENSC_16StoreWithoutCastEEEviT_T0_T2_T3_T4_T5_.numbered_sgpr, 11
	.set _ZN2at6native27unrolled_elementwise_kernelINS0_13AUnaryFunctorIbbbNS0_12_GLOBAL__N_116CompareEqFunctorIbEEEESt5arrayIPcLm2EELi4E23TrivialOffsetCalculatorILi1EjESB_NS0_6memory15LoadWithoutCastENSC_16StoreWithoutCastEEEviT_T0_T2_T3_T4_T5_.num_named_barrier, 0
	.set _ZN2at6native27unrolled_elementwise_kernelINS0_13AUnaryFunctorIbbbNS0_12_GLOBAL__N_116CompareEqFunctorIbEEEESt5arrayIPcLm2EELi4E23TrivialOffsetCalculatorILi1EjESB_NS0_6memory15LoadWithoutCastENSC_16StoreWithoutCastEEEviT_T0_T2_T3_T4_T5_.private_seg_size, 0
	.set _ZN2at6native27unrolled_elementwise_kernelINS0_13AUnaryFunctorIbbbNS0_12_GLOBAL__N_116CompareEqFunctorIbEEEESt5arrayIPcLm2EELi4E23TrivialOffsetCalculatorILi1EjESB_NS0_6memory15LoadWithoutCastENSC_16StoreWithoutCastEEEviT_T0_T2_T3_T4_T5_.uses_vcc, 1
	.set _ZN2at6native27unrolled_elementwise_kernelINS0_13AUnaryFunctorIbbbNS0_12_GLOBAL__N_116CompareEqFunctorIbEEEESt5arrayIPcLm2EELi4E23TrivialOffsetCalculatorILi1EjESB_NS0_6memory15LoadWithoutCastENSC_16StoreWithoutCastEEEviT_T0_T2_T3_T4_T5_.uses_flat_scratch, 0
	.set _ZN2at6native27unrolled_elementwise_kernelINS0_13AUnaryFunctorIbbbNS0_12_GLOBAL__N_116CompareEqFunctorIbEEEESt5arrayIPcLm2EELi4E23TrivialOffsetCalculatorILi1EjESB_NS0_6memory15LoadWithoutCastENSC_16StoreWithoutCastEEEviT_T0_T2_T3_T4_T5_.has_dyn_sized_stack, 0
	.set _ZN2at6native27unrolled_elementwise_kernelINS0_13AUnaryFunctorIbbbNS0_12_GLOBAL__N_116CompareEqFunctorIbEEEESt5arrayIPcLm2EELi4E23TrivialOffsetCalculatorILi1EjESB_NS0_6memory15LoadWithoutCastENSC_16StoreWithoutCastEEEviT_T0_T2_T3_T4_T5_.has_recursion, 0
	.set _ZN2at6native27unrolled_elementwise_kernelINS0_13AUnaryFunctorIbbbNS0_12_GLOBAL__N_116CompareEqFunctorIbEEEESt5arrayIPcLm2EELi4E23TrivialOffsetCalculatorILi1EjESB_NS0_6memory15LoadWithoutCastENSC_16StoreWithoutCastEEEviT_T0_T2_T3_T4_T5_.has_indirect_call, 0
	.section	.AMDGPU.csdata,"",@progbits
; Kernel info:
; codeLenInByte = 968
; TotalNumSgprs: 13
; NumVgprs: 8
; ScratchSize: 0
; MemoryBound: 0
; FloatMode: 240
; IeeeMode: 1
; LDSByteSize: 0 bytes/workgroup (compile time only)
; SGPRBlocks: 0
; VGPRBlocks: 0
; NumSGPRsForWavesPerEU: 13
; NumVGPRsForWavesPerEU: 8
; NamedBarCnt: 0
; Occupancy: 16
; WaveLimiterHint : 0
; COMPUTE_PGM_RSRC2:SCRATCH_EN: 0
; COMPUTE_PGM_RSRC2:USER_SGPR: 2
; COMPUTE_PGM_RSRC2:TRAP_HANDLER: 0
; COMPUTE_PGM_RSRC2:TGID_X_EN: 1
; COMPUTE_PGM_RSRC2:TGID_Y_EN: 0
; COMPUTE_PGM_RSRC2:TGID_Z_EN: 0
; COMPUTE_PGM_RSRC2:TIDIG_COMP_CNT: 0
	.section	.text._ZN2at6native32elementwise_kernel_manual_unrollILi128ELi8EZNS0_22gpu_kernel_impl_nocastINS0_13AUnaryFunctorIbbbNS0_12_GLOBAL__N_116CompareEqFunctorIbEEEEEEvRNS_18TensorIteratorBaseERKT_EUlibE_EEviT1_,"axG",@progbits,_ZN2at6native32elementwise_kernel_manual_unrollILi128ELi8EZNS0_22gpu_kernel_impl_nocastINS0_13AUnaryFunctorIbbbNS0_12_GLOBAL__N_116CompareEqFunctorIbEEEEEEvRNS_18TensorIteratorBaseERKT_EUlibE_EEviT1_,comdat
	.globl	_ZN2at6native32elementwise_kernel_manual_unrollILi128ELi8EZNS0_22gpu_kernel_impl_nocastINS0_13AUnaryFunctorIbbbNS0_12_GLOBAL__N_116CompareEqFunctorIbEEEEEEvRNS_18TensorIteratorBaseERKT_EUlibE_EEviT1_ ; -- Begin function _ZN2at6native32elementwise_kernel_manual_unrollILi128ELi8EZNS0_22gpu_kernel_impl_nocastINS0_13AUnaryFunctorIbbbNS0_12_GLOBAL__N_116CompareEqFunctorIbEEEEEEvRNS_18TensorIteratorBaseERKT_EUlibE_EEviT1_
	.p2align	8
	.type	_ZN2at6native32elementwise_kernel_manual_unrollILi128ELi8EZNS0_22gpu_kernel_impl_nocastINS0_13AUnaryFunctorIbbbNS0_12_GLOBAL__N_116CompareEqFunctorIbEEEEEEvRNS_18TensorIteratorBaseERKT_EUlibE_EEviT1_,@function
_ZN2at6native32elementwise_kernel_manual_unrollILi128ELi8EZNS0_22gpu_kernel_impl_nocastINS0_13AUnaryFunctorIbbbNS0_12_GLOBAL__N_116CompareEqFunctorIbEEEEEEvRNS_18TensorIteratorBaseERKT_EUlibE_EEviT1_: ; @_ZN2at6native32elementwise_kernel_manual_unrollILi128ELi8EZNS0_22gpu_kernel_impl_nocastINS0_13AUnaryFunctorIbbbNS0_12_GLOBAL__N_116CompareEqFunctorIbEEEEEEvRNS_18TensorIteratorBaseERKT_EUlibE_EEviT1_
; %bb.0:
	s_clause 0x1
	s_load_b32 s28, s[0:1], 0x8
	s_load_b32 s34, s[0:1], 0x0
	s_bfe_u32 s2, ttmp6, 0x4000c
	s_and_b32 s3, ttmp6, 15
	s_add_co_i32 s2, s2, 1
	s_getreg_b32 s4, hwreg(HW_REG_IB_STS2, 6, 4)
	s_mul_i32 s2, ttmp9, s2
	s_add_nc_u64 s[12:13], s[0:1], 8
	s_add_co_i32 s3, s3, s2
	s_cmp_eq_u32 s4, 0
	s_mov_b32 s15, 0
	s_cselect_b32 s2, ttmp9, s3
	s_wait_xcnt 0x0
	s_mov_b32 s0, exec_lo
	v_lshl_or_b32 v0, s2, 10, v0
	s_delay_alu instid0(VALU_DEP_1) | instskip(SKIP_2) | instid1(SALU_CYCLE_1)
	v_or_b32_e32 v16, 0x380, v0
	s_wait_kmcnt 0x0
	s_add_co_i32 s29, s28, -1
	s_cmp_gt_u32 s29, 1
	s_cselect_b32 s30, -1, 0
	v_cmpx_le_i32_e64 s34, v16
	s_xor_b32 s31, exec_lo, s0
	s_cbranch_execz .LBB221_7
; %bb.1:
	s_clause 0x4
	s_load_b128 s[4:7], s[12:13], 0x4
	s_load_b64 s[22:23], s[12:13], 0x158
	s_load_b64 s[16:17], s[12:13], 0x14
	s_load_b128 s[8:11], s[12:13], 0xc4
	s_load_b128 s[0:3], s[12:13], 0x148
	s_cmp_lg_u32 s28, 0
	s_add_nc_u64 s[20:21], s[12:13], 0xc4
	s_cselect_b32 s36, -1, 0
	s_min_u32 s35, s29, 15
	s_cmp_gt_u32 s28, 1
	s_mov_b32 s19, s15
	s_cselect_b32 s33, -1, 0
	s_wait_kmcnt 0x0
	s_mov_b32 s14, s5
	s_bitcmp1_b32 s23, 0
	s_mov_b32 s18, s16
	s_cselect_b32 s5, -1, 0
	s_cmp_eq_u32 s22, 0
	s_cselect_b32 s16, -1, 0
	s_delay_alu instid0(SALU_CYCLE_1)
	s_xor_b32 s5, s16, s5
	s_mov_b32 s16, exec_lo
	v_cmpx_gt_i32_e64 s34, v0
	s_cbranch_execz .LBB221_14
; %bb.2:
	s_and_not1_b32 vcc_lo, exec_lo, s30
	s_cbranch_vccnz .LBB221_21
; %bb.3:
	s_and_not1_b32 vcc_lo, exec_lo, s36
	s_cbranch_vccnz .LBB221_129
; %bb.4:
	s_add_co_i32 s23, s35, 1
	s_cmp_eq_u32 s29, 2
	s_cbranch_scc1 .LBB221_131
; %bb.5:
	v_dual_mov_b32 v2, 0 :: v_dual_mov_b32 v3, 0
	v_mov_b32_e32 v1, v0
	s_and_b32 s22, s23, 28
	s_mov_b32 s37, 0
	s_mov_b64 s[24:25], s[12:13]
	s_mov_b64 s[26:27], s[20:21]
.LBB221_6:                              ; =>This Inner Loop Header: Depth=1
	s_clause 0x1
	s_load_b256 s[40:47], s[24:25], 0x4
	s_load_b128 s[56:59], s[24:25], 0x24
	s_load_b256 s[48:55], s[26:27], 0x0
	s_add_co_i32 s37, s37, 4
	s_wait_xcnt 0x0
	s_add_nc_u64 s[24:25], s[24:25], 48
	s_cmp_lg_u32 s22, s37
	s_add_nc_u64 s[26:27], s[26:27], 32
	s_wait_kmcnt 0x0
	v_mul_hi_u32 v4, s41, v1
	s_delay_alu instid0(VALU_DEP_1) | instskip(NEXT) | instid1(VALU_DEP_1)
	v_add_nc_u32_e32 v4, v1, v4
	v_lshrrev_b32_e32 v4, s42, v4
	s_delay_alu instid0(VALU_DEP_1) | instskip(NEXT) | instid1(VALU_DEP_1)
	v_mul_hi_u32 v5, s44, v4
	v_add_nc_u32_e32 v5, v4, v5
	s_delay_alu instid0(VALU_DEP_1) | instskip(NEXT) | instid1(VALU_DEP_1)
	v_lshrrev_b32_e32 v5, s45, v5
	v_mul_hi_u32 v6, s47, v5
	s_delay_alu instid0(VALU_DEP_1) | instskip(SKIP_1) | instid1(VALU_DEP_1)
	v_add_nc_u32_e32 v6, v5, v6
	v_mul_lo_u32 v7, v4, s40
	v_sub_nc_u32_e32 v1, v1, v7
	v_mul_lo_u32 v7, v5, s43
	s_delay_alu instid0(VALU_DEP_4) | instskip(NEXT) | instid1(VALU_DEP_3)
	v_lshrrev_b32_e32 v6, s56, v6
	v_mad_u32 v3, v1, s49, v3
	v_mad_u32 v1, v1, s48, v2
	s_delay_alu instid0(VALU_DEP_4) | instskip(NEXT) | instid1(VALU_DEP_4)
	v_sub_nc_u32_e32 v2, v4, v7
	v_mul_hi_u32 v8, s58, v6
	v_mul_lo_u32 v4, v6, s46
	s_delay_alu instid0(VALU_DEP_3) | instskip(SKIP_1) | instid1(VALU_DEP_4)
	v_mad_u32 v3, v2, s51, v3
	v_mad_u32 v2, v2, s50, v1
	v_add_nc_u32_e32 v7, v6, v8
	s_delay_alu instid0(VALU_DEP_1) | instskip(NEXT) | instid1(VALU_DEP_1)
	v_dual_sub_nc_u32 v4, v5, v4 :: v_dual_lshrrev_b32 v1, s59, v7
	v_mad_u32 v3, v4, s53, v3
	s_delay_alu instid0(VALU_DEP_4) | instskip(NEXT) | instid1(VALU_DEP_3)
	v_mad_u32 v2, v4, s52, v2
	v_mul_lo_u32 v5, v1, s57
	s_delay_alu instid0(VALU_DEP_1) | instskip(NEXT) | instid1(VALU_DEP_1)
	v_sub_nc_u32_e32 v4, v6, v5
	v_mad_u32 v3, v4, s55, v3
	s_delay_alu instid0(VALU_DEP_4)
	v_mad_u32 v2, v4, s54, v2
	s_cbranch_scc1 .LBB221_6
	s_branch .LBB221_132
.LBB221_7:
	s_and_not1_saveexec_b32 s0, s31
	s_cbranch_execz .LBB221_221
.LBB221_8:
	v_cndmask_b32_e64 v14, 0, 1, s30
	s_and_not1_b32 vcc_lo, exec_lo, s30
	s_cbranch_vccnz .LBB221_20
; %bb.9:
	s_cmp_lg_u32 s28, 0
	s_mov_b32 s6, 0
	s_cbranch_scc0 .LBB221_23
; %bb.10:
	s_min_u32 s1, s29, 15
	s_delay_alu instid0(SALU_CYCLE_1)
	s_add_co_i32 s1, s1, 1
	s_cmp_eq_u32 s29, 2
	s_cbranch_scc1 .LBB221_24
; %bb.11:
	v_dual_mov_b32 v2, 0 :: v_dual_mov_b32 v3, 0
	v_mov_b32_e32 v1, v0
	s_and_b32 s0, s1, 28
	s_add_nc_u64 s[2:3], s[12:13], 0xc4
	s_mov_b32 s7, 0
	s_mov_b64 s[4:5], s[12:13]
.LBB221_12:                             ; =>This Inner Loop Header: Depth=1
	s_clause 0x1
	s_load_b256 s[16:23], s[4:5], 0x4
	s_load_b128 s[8:11], s[4:5], 0x24
	s_load_b256 s[36:43], s[2:3], 0x0
	s_add_co_i32 s7, s7, 4
	s_wait_xcnt 0x0
	s_add_nc_u64 s[4:5], s[4:5], 48
	s_cmp_lg_u32 s0, s7
	s_add_nc_u64 s[2:3], s[2:3], 32
	s_wait_kmcnt 0x0
	v_mul_hi_u32 v4, s17, v1
	s_delay_alu instid0(VALU_DEP_1) | instskip(NEXT) | instid1(VALU_DEP_1)
	v_add_nc_u32_e32 v4, v1, v4
	v_lshrrev_b32_e32 v4, s18, v4
	s_delay_alu instid0(VALU_DEP_1) | instskip(NEXT) | instid1(VALU_DEP_1)
	v_mul_hi_u32 v5, s20, v4
	v_add_nc_u32_e32 v5, v4, v5
	s_delay_alu instid0(VALU_DEP_1) | instskip(NEXT) | instid1(VALU_DEP_1)
	v_lshrrev_b32_e32 v5, s21, v5
	v_mul_hi_u32 v6, s23, v5
	s_delay_alu instid0(VALU_DEP_1) | instskip(SKIP_1) | instid1(VALU_DEP_1)
	v_add_nc_u32_e32 v6, v5, v6
	v_mul_lo_u32 v7, v4, s16
	v_sub_nc_u32_e32 v1, v1, v7
	v_mul_lo_u32 v7, v5, s19
	s_delay_alu instid0(VALU_DEP_4) | instskip(NEXT) | instid1(VALU_DEP_3)
	v_lshrrev_b32_e32 v6, s8, v6
	v_mad_u32 v3, v1, s37, v3
	v_mad_u32 v1, v1, s36, v2
	s_delay_alu instid0(VALU_DEP_4) | instskip(NEXT) | instid1(VALU_DEP_4)
	v_sub_nc_u32_e32 v2, v4, v7
	v_mul_hi_u32 v8, s10, v6
	v_mul_lo_u32 v4, v6, s22
	s_delay_alu instid0(VALU_DEP_3) | instskip(SKIP_1) | instid1(VALU_DEP_4)
	v_mad_u32 v3, v2, s39, v3
	v_mad_u32 v2, v2, s38, v1
	v_add_nc_u32_e32 v7, v6, v8
	s_delay_alu instid0(VALU_DEP_1) | instskip(NEXT) | instid1(VALU_DEP_1)
	v_dual_sub_nc_u32 v4, v5, v4 :: v_dual_lshrrev_b32 v1, s11, v7
	v_mad_u32 v3, v4, s41, v3
	s_delay_alu instid0(VALU_DEP_4) | instskip(NEXT) | instid1(VALU_DEP_3)
	v_mad_u32 v2, v4, s40, v2
	v_mul_lo_u32 v5, v1, s9
	s_delay_alu instid0(VALU_DEP_1) | instskip(NEXT) | instid1(VALU_DEP_1)
	v_sub_nc_u32_e32 v4, v6, v5
	v_mad_u32 v3, v4, s43, v3
	s_delay_alu instid0(VALU_DEP_4)
	v_mad_u32 v2, v4, s42, v2
	s_cbranch_scc1 .LBB221_12
; %bb.13:
	s_and_b32 s4, s1, 3
	s_mov_b32 s1, 0
	s_cmp_eq_u32 s4, 0
	s_cbranch_scc0 .LBB221_25
	s_branch .LBB221_27
.LBB221_14:
	s_or_b32 exec_lo, exec_lo, s16
	s_delay_alu instid0(SALU_CYCLE_1)
	s_mov_b32 s16, exec_lo
	v_cmpx_gt_i32_e64 s34, v0
	s_cbranch_execz .LBB221_139
.LBB221_15:
	s_and_not1_b32 vcc_lo, exec_lo, s30
	s_cbranch_vccnz .LBB221_22
; %bb.16:
	s_and_not1_b32 vcc_lo, exec_lo, s36
	s_cbranch_vccnz .LBB221_130
; %bb.17:
	s_add_co_i32 s23, s35, 1
	s_cmp_eq_u32 s29, 2
	s_cbranch_scc1 .LBB221_147
; %bb.18:
	v_dual_mov_b32 v2, 0 :: v_dual_mov_b32 v3, 0
	v_mov_b32_e32 v1, v0
	s_and_b32 s22, s23, 28
	s_mov_b32 s37, 0
	s_mov_b64 s[24:25], s[12:13]
	s_mov_b64 s[26:27], s[20:21]
.LBB221_19:                             ; =>This Inner Loop Header: Depth=1
	s_clause 0x1
	s_load_b256 s[40:47], s[24:25], 0x4
	s_load_b128 s[56:59], s[24:25], 0x24
	s_load_b256 s[48:55], s[26:27], 0x0
	s_add_co_i32 s37, s37, 4
	s_wait_xcnt 0x0
	s_add_nc_u64 s[24:25], s[24:25], 48
	s_cmp_eq_u32 s22, s37
	s_add_nc_u64 s[26:27], s[26:27], 32
	s_wait_kmcnt 0x0
	v_mul_hi_u32 v4, s41, v1
	s_delay_alu instid0(VALU_DEP_1) | instskip(NEXT) | instid1(VALU_DEP_1)
	v_add_nc_u32_e32 v4, v1, v4
	v_lshrrev_b32_e32 v4, s42, v4
	s_delay_alu instid0(VALU_DEP_1) | instskip(NEXT) | instid1(VALU_DEP_1)
	v_mul_hi_u32 v5, s44, v4
	v_add_nc_u32_e32 v5, v4, v5
	s_delay_alu instid0(VALU_DEP_1) | instskip(NEXT) | instid1(VALU_DEP_1)
	v_lshrrev_b32_e32 v5, s45, v5
	v_mul_hi_u32 v6, s47, v5
	s_delay_alu instid0(VALU_DEP_1) | instskip(SKIP_1) | instid1(VALU_DEP_1)
	v_add_nc_u32_e32 v6, v5, v6
	v_mul_lo_u32 v7, v4, s40
	v_sub_nc_u32_e32 v1, v1, v7
	v_mul_lo_u32 v7, v5, s43
	s_delay_alu instid0(VALU_DEP_4) | instskip(NEXT) | instid1(VALU_DEP_3)
	v_lshrrev_b32_e32 v6, s56, v6
	v_mad_u32 v3, v1, s49, v3
	v_mad_u32 v1, v1, s48, v2
	s_delay_alu instid0(VALU_DEP_4) | instskip(NEXT) | instid1(VALU_DEP_4)
	v_sub_nc_u32_e32 v2, v4, v7
	v_mul_hi_u32 v8, s58, v6
	v_mul_lo_u32 v4, v6, s46
	s_delay_alu instid0(VALU_DEP_3) | instskip(SKIP_1) | instid1(VALU_DEP_4)
	v_mad_u32 v3, v2, s51, v3
	v_mad_u32 v2, v2, s50, v1
	v_add_nc_u32_e32 v7, v6, v8
	s_delay_alu instid0(VALU_DEP_1) | instskip(NEXT) | instid1(VALU_DEP_1)
	v_dual_sub_nc_u32 v4, v5, v4 :: v_dual_lshrrev_b32 v1, s59, v7
	v_mad_u32 v3, v4, s53, v3
	s_delay_alu instid0(VALU_DEP_4) | instskip(NEXT) | instid1(VALU_DEP_3)
	v_mad_u32 v2, v4, s52, v2
	v_mul_lo_u32 v5, v1, s57
	s_delay_alu instid0(VALU_DEP_1) | instskip(NEXT) | instid1(VALU_DEP_1)
	v_sub_nc_u32_e32 v4, v6, v5
	v_mad_u32 v3, v4, s55, v3
	s_delay_alu instid0(VALU_DEP_4)
	v_mad_u32 v2, v4, s54, v2
	s_cbranch_scc0 .LBB221_19
	s_branch .LBB221_148
.LBB221_20:
	s_mov_b32 s6, -1
                                        ; implicit-def: $vgpr3
	s_branch .LBB221_27
.LBB221_21:
                                        ; implicit-def: $vgpr3
	s_branch .LBB221_136
.LBB221_22:
                                        ; implicit-def: $vgpr3
	s_branch .LBB221_152
.LBB221_23:
	v_dual_mov_b32 v3, 0 :: v_dual_mov_b32 v2, 0
	s_branch .LBB221_27
.LBB221_24:
	v_mov_b64_e32 v[2:3], 0
	v_mov_b32_e32 v1, v0
	s_mov_b32 s0, 0
	s_and_b32 s4, s1, 3
	s_mov_b32 s1, 0
	s_cmp_eq_u32 s4, 0
	s_cbranch_scc1 .LBB221_27
.LBB221_25:
	s_lshl_b32 s2, s0, 3
	s_mov_b32 s3, s1
	s_mul_u64 s[8:9], s[0:1], 12
	s_add_nc_u64 s[2:3], s[12:13], s[2:3]
	s_delay_alu instid0(SALU_CYCLE_1)
	s_add_nc_u64 s[0:1], s[2:3], 0xc4
	s_add_nc_u64 s[2:3], s[12:13], s[8:9]
.LBB221_26:                             ; =>This Inner Loop Header: Depth=1
	s_load_b96 s[8:10], s[2:3], 0x4
	s_add_co_i32 s4, s4, -1
	s_wait_xcnt 0x0
	s_add_nc_u64 s[2:3], s[2:3], 12
	s_cmp_lg_u32 s4, 0
	s_wait_kmcnt 0x0
	v_mul_hi_u32 v4, s9, v1
	s_delay_alu instid0(VALU_DEP_1) | instskip(NEXT) | instid1(VALU_DEP_1)
	v_add_nc_u32_e32 v4, v1, v4
	v_lshrrev_b32_e32 v4, s10, v4
	s_load_b64 s[10:11], s[0:1], 0x0
	s_wait_xcnt 0x0
	s_add_nc_u64 s[0:1], s[0:1], 8
	s_delay_alu instid0(VALU_DEP_1) | instskip(NEXT) | instid1(VALU_DEP_1)
	v_mul_lo_u32 v5, v4, s8
	v_sub_nc_u32_e32 v1, v1, v5
	s_wait_kmcnt 0x0
	s_delay_alu instid0(VALU_DEP_1)
	v_mad_u32 v3, v1, s11, v3
	v_mad_u32 v2, v1, s10, v2
	v_mov_b32_e32 v1, v4
	s_cbranch_scc1 .LBB221_26
.LBB221_27:
	s_and_not1_b32 vcc_lo, exec_lo, s6
	s_cbranch_vccnz .LBB221_30
; %bb.28:
	s_clause 0x1
	s_load_b96 s[0:2], s[12:13], 0x4
	s_load_b64 s[4:5], s[12:13], 0xc4
	s_cmp_lt_u32 s28, 2
	s_wait_kmcnt 0x0
	v_mul_hi_u32 v1, s1, v0
	s_delay_alu instid0(VALU_DEP_1) | instskip(NEXT) | instid1(VALU_DEP_1)
	v_add_nc_u32_e32 v1, v0, v1
	v_lshrrev_b32_e32 v1, s2, v1
	s_delay_alu instid0(VALU_DEP_1) | instskip(NEXT) | instid1(VALU_DEP_1)
	v_mul_lo_u32 v2, v1, s0
	v_sub_nc_u32_e32 v2, v0, v2
	s_delay_alu instid0(VALU_DEP_1)
	v_mul_lo_u32 v3, v2, s5
	v_mul_lo_u32 v2, v2, s4
	s_cbranch_scc1 .LBB221_30
; %bb.29:
	s_clause 0x1
	s_load_b96 s[0:2], s[12:13], 0x10
	s_load_b64 s[4:5], s[12:13], 0xcc
	s_wait_kmcnt 0x0
	v_mul_hi_u32 v4, s1, v1
	s_delay_alu instid0(VALU_DEP_1) | instskip(NEXT) | instid1(VALU_DEP_1)
	v_add_nc_u32_e32 v4, v1, v4
	v_lshrrev_b32_e32 v4, s2, v4
	s_delay_alu instid0(VALU_DEP_1) | instskip(NEXT) | instid1(VALU_DEP_1)
	v_mul_lo_u32 v4, v4, s0
	v_sub_nc_u32_e32 v1, v1, v4
	s_delay_alu instid0(VALU_DEP_1)
	v_mad_u32 v2, v1, s4, v2
	v_mad_u32 v3, v1, s5, v3
.LBB221_30:
	v_cmp_ne_u32_e32 vcc_lo, 1, v14
	v_add_nc_u32_e32 v1, 0x80, v0
	s_cbranch_vccnz .LBB221_36
; %bb.31:
	s_cmp_lg_u32 s28, 0
	s_mov_b32 s6, 0
	s_cbranch_scc0 .LBB221_37
; %bb.32:
	s_min_u32 s1, s29, 15
	s_delay_alu instid0(SALU_CYCLE_1)
	s_add_co_i32 s1, s1, 1
	s_cmp_eq_u32 s29, 2
	s_cbranch_scc1 .LBB221_38
; %bb.33:
	v_dual_mov_b32 v4, 0 :: v_dual_mov_b32 v5, 0
	v_mov_b32_e32 v6, v1
	s_and_b32 s0, s1, 28
	s_add_nc_u64 s[2:3], s[12:13], 0xc4
	s_mov_b32 s7, 0
	s_mov_b64 s[4:5], s[12:13]
.LBB221_34:                             ; =>This Inner Loop Header: Depth=1
	s_clause 0x1
	s_load_b256 s[16:23], s[4:5], 0x4
	s_load_b128 s[8:11], s[4:5], 0x24
	s_load_b256 s[36:43], s[2:3], 0x0
	s_add_co_i32 s7, s7, 4
	s_wait_xcnt 0x0
	s_add_nc_u64 s[4:5], s[4:5], 48
	s_cmp_lg_u32 s0, s7
	s_add_nc_u64 s[2:3], s[2:3], 32
	s_wait_kmcnt 0x0
	v_mul_hi_u32 v7, s17, v6
	s_delay_alu instid0(VALU_DEP_1) | instskip(NEXT) | instid1(VALU_DEP_1)
	v_add_nc_u32_e32 v7, v6, v7
	v_lshrrev_b32_e32 v7, s18, v7
	s_delay_alu instid0(VALU_DEP_1) | instskip(NEXT) | instid1(VALU_DEP_1)
	v_mul_hi_u32 v8, s20, v7
	v_add_nc_u32_e32 v8, v7, v8
	s_delay_alu instid0(VALU_DEP_1) | instskip(NEXT) | instid1(VALU_DEP_1)
	v_lshrrev_b32_e32 v8, s21, v8
	v_mul_hi_u32 v9, s23, v8
	s_delay_alu instid0(VALU_DEP_1) | instskip(SKIP_1) | instid1(VALU_DEP_1)
	v_add_nc_u32_e32 v9, v8, v9
	v_mul_lo_u32 v10, v7, s16
	v_sub_nc_u32_e32 v6, v6, v10
	v_mul_lo_u32 v10, v8, s19
	s_delay_alu instid0(VALU_DEP_4) | instskip(NEXT) | instid1(VALU_DEP_3)
	v_lshrrev_b32_e32 v9, s8, v9
	v_mad_u32 v5, v6, s37, v5
	v_mad_u32 v4, v6, s36, v4
	s_delay_alu instid0(VALU_DEP_4) | instskip(NEXT) | instid1(VALU_DEP_4)
	v_sub_nc_u32_e32 v6, v7, v10
	v_mul_hi_u32 v11, s10, v9
	v_mul_lo_u32 v7, v9, s22
	s_delay_alu instid0(VALU_DEP_3) | instskip(SKIP_1) | instid1(VALU_DEP_4)
	v_mad_u32 v5, v6, s39, v5
	v_mad_u32 v4, v6, s38, v4
	v_add_nc_u32_e32 v10, v9, v11
	s_delay_alu instid0(VALU_DEP_1) | instskip(NEXT) | instid1(VALU_DEP_1)
	v_dual_sub_nc_u32 v7, v8, v7 :: v_dual_lshrrev_b32 v6, s11, v10
	v_mad_u32 v5, v7, s41, v5
	s_delay_alu instid0(VALU_DEP_4) | instskip(NEXT) | instid1(VALU_DEP_3)
	v_mad_u32 v4, v7, s40, v4
	v_mul_lo_u32 v8, v6, s9
	s_delay_alu instid0(VALU_DEP_1) | instskip(NEXT) | instid1(VALU_DEP_1)
	v_sub_nc_u32_e32 v7, v9, v8
	v_mad_u32 v5, v7, s43, v5
	s_delay_alu instid0(VALU_DEP_4)
	v_mad_u32 v4, v7, s42, v4
	s_cbranch_scc1 .LBB221_34
; %bb.35:
	s_and_b32 s4, s1, 3
	s_mov_b32 s1, 0
	s_cmp_eq_u32 s4, 0
	s_cbranch_scc0 .LBB221_39
	s_branch .LBB221_41
.LBB221_36:
	s_mov_b32 s6, -1
                                        ; implicit-def: $vgpr5
	s_branch .LBB221_41
.LBB221_37:
	v_dual_mov_b32 v5, 0 :: v_dual_mov_b32 v4, 0
	s_branch .LBB221_41
.LBB221_38:
	v_mov_b64_e32 v[4:5], 0
	v_mov_b32_e32 v6, v1
	s_mov_b32 s0, 0
	s_and_b32 s4, s1, 3
	s_mov_b32 s1, 0
	s_cmp_eq_u32 s4, 0
	s_cbranch_scc1 .LBB221_41
.LBB221_39:
	s_lshl_b32 s2, s0, 3
	s_mov_b32 s3, s1
	s_mul_u64 s[8:9], s[0:1], 12
	s_add_nc_u64 s[2:3], s[12:13], s[2:3]
	s_delay_alu instid0(SALU_CYCLE_1)
	s_add_nc_u64 s[0:1], s[2:3], 0xc4
	s_add_nc_u64 s[2:3], s[12:13], s[8:9]
.LBB221_40:                             ; =>This Inner Loop Header: Depth=1
	s_load_b96 s[8:10], s[2:3], 0x4
	s_add_co_i32 s4, s4, -1
	s_wait_xcnt 0x0
	s_add_nc_u64 s[2:3], s[2:3], 12
	s_cmp_lg_u32 s4, 0
	s_wait_kmcnt 0x0
	v_mul_hi_u32 v7, s9, v6
	s_delay_alu instid0(VALU_DEP_1) | instskip(NEXT) | instid1(VALU_DEP_1)
	v_add_nc_u32_e32 v7, v6, v7
	v_lshrrev_b32_e32 v7, s10, v7
	s_load_b64 s[10:11], s[0:1], 0x0
	s_wait_xcnt 0x0
	s_add_nc_u64 s[0:1], s[0:1], 8
	s_delay_alu instid0(VALU_DEP_1) | instskip(NEXT) | instid1(VALU_DEP_1)
	v_mul_lo_u32 v8, v7, s8
	v_sub_nc_u32_e32 v6, v6, v8
	s_wait_kmcnt 0x0
	s_delay_alu instid0(VALU_DEP_1)
	v_mad_u32 v5, v6, s11, v5
	v_mad_u32 v4, v6, s10, v4
	v_mov_b32_e32 v6, v7
	s_cbranch_scc1 .LBB221_40
.LBB221_41:
	s_and_not1_b32 vcc_lo, exec_lo, s6
	s_cbranch_vccnz .LBB221_44
; %bb.42:
	s_clause 0x1
	s_load_b96 s[0:2], s[12:13], 0x4
	s_load_b64 s[4:5], s[12:13], 0xc4
	s_cmp_lt_u32 s28, 2
	s_wait_kmcnt 0x0
	v_mul_hi_u32 v4, s1, v1
	s_delay_alu instid0(VALU_DEP_1) | instskip(NEXT) | instid1(VALU_DEP_1)
	v_add_nc_u32_e32 v4, v1, v4
	v_lshrrev_b32_e32 v6, s2, v4
	s_delay_alu instid0(VALU_DEP_1) | instskip(NEXT) | instid1(VALU_DEP_1)
	v_mul_lo_u32 v4, v6, s0
	v_sub_nc_u32_e32 v1, v1, v4
	s_delay_alu instid0(VALU_DEP_1)
	v_mul_lo_u32 v5, v1, s5
	v_mul_lo_u32 v4, v1, s4
	s_cbranch_scc1 .LBB221_44
; %bb.43:
	s_clause 0x1
	s_load_b96 s[0:2], s[12:13], 0x10
	s_load_b64 s[4:5], s[12:13], 0xcc
	s_wait_kmcnt 0x0
	v_mul_hi_u32 v1, s1, v6
	s_delay_alu instid0(VALU_DEP_1) | instskip(NEXT) | instid1(VALU_DEP_1)
	v_add_nc_u32_e32 v1, v6, v1
	v_lshrrev_b32_e32 v1, s2, v1
	s_delay_alu instid0(VALU_DEP_1) | instskip(NEXT) | instid1(VALU_DEP_1)
	v_mul_lo_u32 v1, v1, s0
	v_sub_nc_u32_e32 v1, v6, v1
	s_delay_alu instid0(VALU_DEP_1)
	v_mad_u32 v4, v1, s4, v4
	v_mad_u32 v5, v1, s5, v5
.LBB221_44:
	v_cmp_ne_u32_e32 vcc_lo, 1, v14
	v_add_nc_u32_e32 v1, 0x100, v0
	s_cbranch_vccnz .LBB221_50
; %bb.45:
	s_cmp_lg_u32 s28, 0
	s_mov_b32 s6, 0
	s_cbranch_scc0 .LBB221_51
; %bb.46:
	s_min_u32 s1, s29, 15
	s_delay_alu instid0(SALU_CYCLE_1)
	s_add_co_i32 s1, s1, 1
	s_cmp_eq_u32 s29, 2
	s_cbranch_scc1 .LBB221_52
; %bb.47:
	v_dual_mov_b32 v6, 0 :: v_dual_mov_b32 v7, 0
	v_mov_b32_e32 v8, v1
	s_and_b32 s0, s1, 28
	s_add_nc_u64 s[2:3], s[12:13], 0xc4
	s_mov_b32 s7, 0
	s_mov_b64 s[4:5], s[12:13]
.LBB221_48:                             ; =>This Inner Loop Header: Depth=1
	s_clause 0x1
	s_load_b256 s[16:23], s[4:5], 0x4
	s_load_b128 s[8:11], s[4:5], 0x24
	s_load_b256 s[36:43], s[2:3], 0x0
	s_add_co_i32 s7, s7, 4
	s_wait_xcnt 0x0
	s_add_nc_u64 s[4:5], s[4:5], 48
	s_cmp_lg_u32 s0, s7
	s_add_nc_u64 s[2:3], s[2:3], 32
	s_wait_kmcnt 0x0
	v_mul_hi_u32 v9, s17, v8
	s_delay_alu instid0(VALU_DEP_1) | instskip(NEXT) | instid1(VALU_DEP_1)
	v_add_nc_u32_e32 v9, v8, v9
	v_lshrrev_b32_e32 v9, s18, v9
	s_delay_alu instid0(VALU_DEP_1) | instskip(NEXT) | instid1(VALU_DEP_1)
	v_mul_hi_u32 v10, s20, v9
	v_add_nc_u32_e32 v10, v9, v10
	s_delay_alu instid0(VALU_DEP_1) | instskip(NEXT) | instid1(VALU_DEP_1)
	v_lshrrev_b32_e32 v10, s21, v10
	v_mul_hi_u32 v11, s23, v10
	s_delay_alu instid0(VALU_DEP_1) | instskip(SKIP_1) | instid1(VALU_DEP_1)
	v_add_nc_u32_e32 v11, v10, v11
	v_mul_lo_u32 v12, v9, s16
	v_sub_nc_u32_e32 v8, v8, v12
	v_mul_lo_u32 v12, v10, s19
	s_delay_alu instid0(VALU_DEP_4) | instskip(NEXT) | instid1(VALU_DEP_3)
	v_lshrrev_b32_e32 v11, s8, v11
	v_mad_u32 v7, v8, s37, v7
	v_mad_u32 v6, v8, s36, v6
	s_delay_alu instid0(VALU_DEP_4) | instskip(NEXT) | instid1(VALU_DEP_4)
	v_sub_nc_u32_e32 v8, v9, v12
	v_mul_hi_u32 v13, s10, v11
	v_mul_lo_u32 v9, v11, s22
	s_delay_alu instid0(VALU_DEP_3) | instskip(SKIP_1) | instid1(VALU_DEP_4)
	v_mad_u32 v7, v8, s39, v7
	v_mad_u32 v6, v8, s38, v6
	v_add_nc_u32_e32 v12, v11, v13
	s_delay_alu instid0(VALU_DEP_1) | instskip(NEXT) | instid1(VALU_DEP_1)
	v_dual_sub_nc_u32 v9, v10, v9 :: v_dual_lshrrev_b32 v8, s11, v12
	v_mad_u32 v7, v9, s41, v7
	s_delay_alu instid0(VALU_DEP_4) | instskip(NEXT) | instid1(VALU_DEP_3)
	v_mad_u32 v6, v9, s40, v6
	v_mul_lo_u32 v10, v8, s9
	s_delay_alu instid0(VALU_DEP_1) | instskip(NEXT) | instid1(VALU_DEP_1)
	v_sub_nc_u32_e32 v9, v11, v10
	v_mad_u32 v7, v9, s43, v7
	s_delay_alu instid0(VALU_DEP_4)
	v_mad_u32 v6, v9, s42, v6
	s_cbranch_scc1 .LBB221_48
; %bb.49:
	s_and_b32 s4, s1, 3
	s_mov_b32 s1, 0
	s_cmp_eq_u32 s4, 0
	s_cbranch_scc0 .LBB221_53
	s_branch .LBB221_55
.LBB221_50:
	s_mov_b32 s6, -1
                                        ; implicit-def: $vgpr7
	s_branch .LBB221_55
.LBB221_51:
	v_dual_mov_b32 v7, 0 :: v_dual_mov_b32 v6, 0
	s_branch .LBB221_55
.LBB221_52:
	v_mov_b64_e32 v[6:7], 0
	v_mov_b32_e32 v8, v1
	s_mov_b32 s0, 0
	s_and_b32 s4, s1, 3
	s_mov_b32 s1, 0
	s_cmp_eq_u32 s4, 0
	s_cbranch_scc1 .LBB221_55
.LBB221_53:
	s_lshl_b32 s2, s0, 3
	s_mov_b32 s3, s1
	s_mul_u64 s[8:9], s[0:1], 12
	s_add_nc_u64 s[2:3], s[12:13], s[2:3]
	s_delay_alu instid0(SALU_CYCLE_1)
	s_add_nc_u64 s[0:1], s[2:3], 0xc4
	s_add_nc_u64 s[2:3], s[12:13], s[8:9]
.LBB221_54:                             ; =>This Inner Loop Header: Depth=1
	s_load_b96 s[8:10], s[2:3], 0x4
	s_add_co_i32 s4, s4, -1
	s_wait_xcnt 0x0
	s_add_nc_u64 s[2:3], s[2:3], 12
	s_cmp_lg_u32 s4, 0
	s_wait_kmcnt 0x0
	v_mul_hi_u32 v9, s9, v8
	s_delay_alu instid0(VALU_DEP_1) | instskip(NEXT) | instid1(VALU_DEP_1)
	v_add_nc_u32_e32 v9, v8, v9
	v_lshrrev_b32_e32 v9, s10, v9
	s_load_b64 s[10:11], s[0:1], 0x0
	s_wait_xcnt 0x0
	s_add_nc_u64 s[0:1], s[0:1], 8
	s_delay_alu instid0(VALU_DEP_1) | instskip(NEXT) | instid1(VALU_DEP_1)
	v_mul_lo_u32 v10, v9, s8
	v_sub_nc_u32_e32 v8, v8, v10
	s_wait_kmcnt 0x0
	s_delay_alu instid0(VALU_DEP_1)
	v_mad_u32 v7, v8, s11, v7
	v_mad_u32 v6, v8, s10, v6
	v_mov_b32_e32 v8, v9
	s_cbranch_scc1 .LBB221_54
.LBB221_55:
	s_and_not1_b32 vcc_lo, exec_lo, s6
	s_cbranch_vccnz .LBB221_58
; %bb.56:
	s_clause 0x1
	s_load_b96 s[0:2], s[12:13], 0x4
	s_load_b64 s[4:5], s[12:13], 0xc4
	s_cmp_lt_u32 s28, 2
	s_wait_kmcnt 0x0
	v_mul_hi_u32 v6, s1, v1
	s_delay_alu instid0(VALU_DEP_1) | instskip(NEXT) | instid1(VALU_DEP_1)
	v_add_nc_u32_e32 v6, v1, v6
	v_lshrrev_b32_e32 v8, s2, v6
	s_delay_alu instid0(VALU_DEP_1) | instskip(NEXT) | instid1(VALU_DEP_1)
	v_mul_lo_u32 v6, v8, s0
	v_sub_nc_u32_e32 v1, v1, v6
	s_delay_alu instid0(VALU_DEP_1)
	v_mul_lo_u32 v7, v1, s5
	v_mul_lo_u32 v6, v1, s4
	s_cbranch_scc1 .LBB221_58
; %bb.57:
	s_clause 0x1
	s_load_b96 s[0:2], s[12:13], 0x10
	s_load_b64 s[4:5], s[12:13], 0xcc
	s_wait_kmcnt 0x0
	v_mul_hi_u32 v1, s1, v8
	s_delay_alu instid0(VALU_DEP_1) | instskip(NEXT) | instid1(VALU_DEP_1)
	v_add_nc_u32_e32 v1, v8, v1
	v_lshrrev_b32_e32 v1, s2, v1
	s_delay_alu instid0(VALU_DEP_1) | instskip(NEXT) | instid1(VALU_DEP_1)
	v_mul_lo_u32 v1, v1, s0
	v_sub_nc_u32_e32 v1, v8, v1
	s_delay_alu instid0(VALU_DEP_1)
	v_mad_u32 v6, v1, s4, v6
	v_mad_u32 v7, v1, s5, v7
.LBB221_58:
	v_cmp_ne_u32_e32 vcc_lo, 1, v14
	v_add_nc_u32_e32 v1, 0x180, v0
	s_cbranch_vccnz .LBB221_64
; %bb.59:
	s_cmp_lg_u32 s28, 0
	s_mov_b32 s6, 0
	s_cbranch_scc0 .LBB221_65
; %bb.60:
	s_min_u32 s1, s29, 15
	s_delay_alu instid0(SALU_CYCLE_1)
	s_add_co_i32 s1, s1, 1
	s_cmp_eq_u32 s29, 2
	s_cbranch_scc1 .LBB221_66
; %bb.61:
	v_dual_mov_b32 v8, 0 :: v_dual_mov_b32 v9, 0
	v_mov_b32_e32 v10, v1
	s_and_b32 s0, s1, 28
	s_add_nc_u64 s[2:3], s[12:13], 0xc4
	s_mov_b32 s7, 0
	s_mov_b64 s[4:5], s[12:13]
.LBB221_62:                             ; =>This Inner Loop Header: Depth=1
	s_clause 0x1
	s_load_b256 s[16:23], s[4:5], 0x4
	s_load_b128 s[8:11], s[4:5], 0x24
	s_load_b256 s[36:43], s[2:3], 0x0
	s_add_co_i32 s7, s7, 4
	s_wait_xcnt 0x0
	s_add_nc_u64 s[4:5], s[4:5], 48
	s_cmp_lg_u32 s0, s7
	s_add_nc_u64 s[2:3], s[2:3], 32
	s_wait_kmcnt 0x0
	v_mul_hi_u32 v11, s17, v10
	s_delay_alu instid0(VALU_DEP_1) | instskip(NEXT) | instid1(VALU_DEP_1)
	v_add_nc_u32_e32 v11, v10, v11
	v_lshrrev_b32_e32 v11, s18, v11
	s_delay_alu instid0(VALU_DEP_1) | instskip(NEXT) | instid1(VALU_DEP_1)
	v_mul_hi_u32 v12, s20, v11
	v_add_nc_u32_e32 v12, v11, v12
	s_delay_alu instid0(VALU_DEP_1) | instskip(NEXT) | instid1(VALU_DEP_1)
	v_lshrrev_b32_e32 v12, s21, v12
	v_mul_hi_u32 v13, s23, v12
	s_delay_alu instid0(VALU_DEP_1) | instskip(SKIP_1) | instid1(VALU_DEP_1)
	v_add_nc_u32_e32 v13, v12, v13
	v_mul_lo_u32 v15, v11, s16
	v_sub_nc_u32_e32 v10, v10, v15
	v_mul_lo_u32 v15, v12, s19
	s_delay_alu instid0(VALU_DEP_4) | instskip(NEXT) | instid1(VALU_DEP_3)
	v_lshrrev_b32_e32 v13, s8, v13
	v_mad_u32 v9, v10, s37, v9
	v_mad_u32 v8, v10, s36, v8
	s_delay_alu instid0(VALU_DEP_4) | instskip(NEXT) | instid1(VALU_DEP_4)
	v_sub_nc_u32_e32 v10, v11, v15
	v_mul_hi_u32 v17, s10, v13
	v_mul_lo_u32 v11, v13, s22
	s_delay_alu instid0(VALU_DEP_3) | instskip(SKIP_1) | instid1(VALU_DEP_3)
	v_mad_u32 v9, v10, s39, v9
	v_mad_u32 v8, v10, s38, v8
	v_dual_add_nc_u32 v15, v13, v17 :: v_dual_sub_nc_u32 v11, v12, v11
	s_delay_alu instid0(VALU_DEP_1) | instskip(NEXT) | instid1(VALU_DEP_2)
	v_lshrrev_b32_e32 v10, s11, v15
	v_mad_u32 v9, v11, s41, v9
	s_delay_alu instid0(VALU_DEP_4) | instskip(NEXT) | instid1(VALU_DEP_3)
	v_mad_u32 v8, v11, s40, v8
	v_mul_lo_u32 v12, v10, s9
	s_delay_alu instid0(VALU_DEP_1) | instskip(NEXT) | instid1(VALU_DEP_1)
	v_sub_nc_u32_e32 v11, v13, v12
	v_mad_u32 v9, v11, s43, v9
	s_delay_alu instid0(VALU_DEP_4)
	v_mad_u32 v8, v11, s42, v8
	s_cbranch_scc1 .LBB221_62
; %bb.63:
	s_and_b32 s4, s1, 3
	s_mov_b32 s1, 0
	s_cmp_eq_u32 s4, 0
	s_cbranch_scc0 .LBB221_67
	s_branch .LBB221_69
.LBB221_64:
	s_mov_b32 s6, -1
                                        ; implicit-def: $vgpr9
	s_branch .LBB221_69
.LBB221_65:
	v_dual_mov_b32 v9, 0 :: v_dual_mov_b32 v8, 0
	s_branch .LBB221_69
.LBB221_66:
	v_mov_b64_e32 v[8:9], 0
	v_mov_b32_e32 v10, v1
	s_mov_b32 s0, 0
	s_and_b32 s4, s1, 3
	s_mov_b32 s1, 0
	s_cmp_eq_u32 s4, 0
	s_cbranch_scc1 .LBB221_69
.LBB221_67:
	s_lshl_b32 s2, s0, 3
	s_mov_b32 s3, s1
	s_mul_u64 s[8:9], s[0:1], 12
	s_add_nc_u64 s[2:3], s[12:13], s[2:3]
	s_delay_alu instid0(SALU_CYCLE_1)
	s_add_nc_u64 s[0:1], s[2:3], 0xc4
	s_add_nc_u64 s[2:3], s[12:13], s[8:9]
.LBB221_68:                             ; =>This Inner Loop Header: Depth=1
	s_load_b96 s[8:10], s[2:3], 0x4
	s_add_co_i32 s4, s4, -1
	s_wait_xcnt 0x0
	s_add_nc_u64 s[2:3], s[2:3], 12
	s_cmp_lg_u32 s4, 0
	s_wait_kmcnt 0x0
	v_mul_hi_u32 v11, s9, v10
	s_delay_alu instid0(VALU_DEP_1) | instskip(NEXT) | instid1(VALU_DEP_1)
	v_add_nc_u32_e32 v11, v10, v11
	v_lshrrev_b32_e32 v11, s10, v11
	s_load_b64 s[10:11], s[0:1], 0x0
	s_wait_xcnt 0x0
	s_add_nc_u64 s[0:1], s[0:1], 8
	s_delay_alu instid0(VALU_DEP_1) | instskip(NEXT) | instid1(VALU_DEP_1)
	v_mul_lo_u32 v12, v11, s8
	v_sub_nc_u32_e32 v10, v10, v12
	s_wait_kmcnt 0x0
	s_delay_alu instid0(VALU_DEP_1)
	v_mad_u32 v9, v10, s11, v9
	v_mad_u32 v8, v10, s10, v8
	v_mov_b32_e32 v10, v11
	s_cbranch_scc1 .LBB221_68
.LBB221_69:
	s_and_not1_b32 vcc_lo, exec_lo, s6
	s_cbranch_vccnz .LBB221_72
; %bb.70:
	s_clause 0x1
	s_load_b96 s[0:2], s[12:13], 0x4
	s_load_b64 s[4:5], s[12:13], 0xc4
	s_cmp_lt_u32 s28, 2
	s_wait_kmcnt 0x0
	v_mul_hi_u32 v8, s1, v1
	s_delay_alu instid0(VALU_DEP_1) | instskip(NEXT) | instid1(VALU_DEP_1)
	v_add_nc_u32_e32 v8, v1, v8
	v_lshrrev_b32_e32 v10, s2, v8
	s_delay_alu instid0(VALU_DEP_1) | instskip(NEXT) | instid1(VALU_DEP_1)
	v_mul_lo_u32 v8, v10, s0
	v_sub_nc_u32_e32 v1, v1, v8
	s_delay_alu instid0(VALU_DEP_1)
	v_mul_lo_u32 v9, v1, s5
	v_mul_lo_u32 v8, v1, s4
	s_cbranch_scc1 .LBB221_72
; %bb.71:
	s_clause 0x1
	s_load_b96 s[0:2], s[12:13], 0x10
	s_load_b64 s[4:5], s[12:13], 0xcc
	s_wait_kmcnt 0x0
	v_mul_hi_u32 v1, s1, v10
	s_delay_alu instid0(VALU_DEP_1) | instskip(NEXT) | instid1(VALU_DEP_1)
	v_add_nc_u32_e32 v1, v10, v1
	v_lshrrev_b32_e32 v1, s2, v1
	s_delay_alu instid0(VALU_DEP_1) | instskip(NEXT) | instid1(VALU_DEP_1)
	v_mul_lo_u32 v1, v1, s0
	v_sub_nc_u32_e32 v1, v10, v1
	s_delay_alu instid0(VALU_DEP_1)
	v_mad_u32 v8, v1, s4, v8
	v_mad_u32 v9, v1, s5, v9
.LBB221_72:
	v_cmp_ne_u32_e32 vcc_lo, 1, v14
	v_add_nc_u32_e32 v1, 0x200, v0
	s_cbranch_vccnz .LBB221_78
; %bb.73:
	s_cmp_lg_u32 s28, 0
	s_mov_b32 s6, 0
	s_cbranch_scc0 .LBB221_79
; %bb.74:
	s_min_u32 s1, s29, 15
	s_delay_alu instid0(SALU_CYCLE_1)
	s_add_co_i32 s1, s1, 1
	s_cmp_eq_u32 s29, 2
	s_cbranch_scc1 .LBB221_80
; %bb.75:
	v_dual_mov_b32 v10, 0 :: v_dual_mov_b32 v11, 0
	v_mov_b32_e32 v12, v1
	s_and_b32 s0, s1, 28
	s_add_nc_u64 s[2:3], s[12:13], 0xc4
	s_mov_b32 s7, 0
	s_mov_b64 s[4:5], s[12:13]
.LBB221_76:                             ; =>This Inner Loop Header: Depth=1
	s_clause 0x1
	s_load_b256 s[16:23], s[4:5], 0x4
	s_load_b128 s[8:11], s[4:5], 0x24
	s_load_b256 s[36:43], s[2:3], 0x0
	s_add_co_i32 s7, s7, 4
	s_wait_xcnt 0x0
	s_add_nc_u64 s[4:5], s[4:5], 48
	s_cmp_lg_u32 s0, s7
	s_add_nc_u64 s[2:3], s[2:3], 32
	s_wait_kmcnt 0x0
	v_mul_hi_u32 v13, s17, v12
	s_delay_alu instid0(VALU_DEP_1) | instskip(NEXT) | instid1(VALU_DEP_1)
	v_add_nc_u32_e32 v13, v12, v13
	v_lshrrev_b32_e32 v13, s18, v13
	s_delay_alu instid0(VALU_DEP_1) | instskip(NEXT) | instid1(VALU_DEP_1)
	v_mul_lo_u32 v18, v13, s16
	v_sub_nc_u32_e32 v12, v12, v18
	v_mul_hi_u32 v15, s20, v13
	s_delay_alu instid0(VALU_DEP_2) | instskip(SKIP_1) | instid1(VALU_DEP_3)
	v_mad_u32 v11, v12, s37, v11
	v_mad_u32 v10, v12, s36, v10
	v_add_nc_u32_e32 v15, v13, v15
	s_delay_alu instid0(VALU_DEP_1) | instskip(NEXT) | instid1(VALU_DEP_1)
	v_lshrrev_b32_e32 v15, s21, v15
	v_mul_hi_u32 v17, s23, v15
	v_mul_lo_u32 v18, v15, s19
	s_delay_alu instid0(VALU_DEP_1) | instskip(NEXT) | instid1(VALU_DEP_1)
	v_dual_add_nc_u32 v17, v15, v17 :: v_dual_sub_nc_u32 v12, v13, v18
	v_lshrrev_b32_e32 v17, s8, v17
	s_delay_alu instid0(VALU_DEP_2) | instskip(SKIP_1) | instid1(VALU_DEP_3)
	v_mad_u32 v11, v12, s39, v11
	v_mad_u32 v10, v12, s38, v10
	v_mul_hi_u32 v19, s10, v17
	v_mul_lo_u32 v13, v17, s22
	s_delay_alu instid0(VALU_DEP_1) | instskip(NEXT) | instid1(VALU_DEP_1)
	v_dual_add_nc_u32 v18, v17, v19 :: v_dual_sub_nc_u32 v13, v15, v13
	v_lshrrev_b32_e32 v12, s11, v18
	s_delay_alu instid0(VALU_DEP_2) | instskip(SKIP_1) | instid1(VALU_DEP_3)
	v_mad_u32 v11, v13, s41, v11
	v_mad_u32 v10, v13, s40, v10
	v_mul_lo_u32 v15, v12, s9
	s_delay_alu instid0(VALU_DEP_1) | instskip(NEXT) | instid1(VALU_DEP_1)
	v_sub_nc_u32_e32 v13, v17, v15
	v_mad_u32 v11, v13, s43, v11
	s_delay_alu instid0(VALU_DEP_4)
	v_mad_u32 v10, v13, s42, v10
	s_cbranch_scc1 .LBB221_76
; %bb.77:
	s_and_b32 s4, s1, 3
	s_mov_b32 s1, 0
	s_cmp_eq_u32 s4, 0
	s_cbranch_scc0 .LBB221_81
	s_branch .LBB221_83
.LBB221_78:
	s_mov_b32 s6, -1
                                        ; implicit-def: $vgpr11
	s_branch .LBB221_83
.LBB221_79:
	v_dual_mov_b32 v11, 0 :: v_dual_mov_b32 v10, 0
	s_branch .LBB221_83
.LBB221_80:
	v_mov_b64_e32 v[10:11], 0
	v_mov_b32_e32 v12, v1
	s_mov_b32 s0, 0
	s_and_b32 s4, s1, 3
	s_mov_b32 s1, 0
	s_cmp_eq_u32 s4, 0
	s_cbranch_scc1 .LBB221_83
.LBB221_81:
	s_lshl_b32 s2, s0, 3
	s_mov_b32 s3, s1
	s_mul_u64 s[8:9], s[0:1], 12
	s_add_nc_u64 s[2:3], s[12:13], s[2:3]
	s_delay_alu instid0(SALU_CYCLE_1)
	s_add_nc_u64 s[0:1], s[2:3], 0xc4
	s_add_nc_u64 s[2:3], s[12:13], s[8:9]
.LBB221_82:                             ; =>This Inner Loop Header: Depth=1
	s_load_b96 s[8:10], s[2:3], 0x4
	s_add_co_i32 s4, s4, -1
	s_wait_xcnt 0x0
	s_add_nc_u64 s[2:3], s[2:3], 12
	s_cmp_lg_u32 s4, 0
	s_wait_kmcnt 0x0
	v_mul_hi_u32 v13, s9, v12
	s_delay_alu instid0(VALU_DEP_1) | instskip(NEXT) | instid1(VALU_DEP_1)
	v_add_nc_u32_e32 v13, v12, v13
	v_lshrrev_b32_e32 v13, s10, v13
	s_load_b64 s[10:11], s[0:1], 0x0
	s_wait_xcnt 0x0
	s_add_nc_u64 s[0:1], s[0:1], 8
	s_delay_alu instid0(VALU_DEP_1) | instskip(NEXT) | instid1(VALU_DEP_1)
	v_mul_lo_u32 v15, v13, s8
	v_sub_nc_u32_e32 v12, v12, v15
	s_wait_kmcnt 0x0
	s_delay_alu instid0(VALU_DEP_1)
	v_mad_u32 v11, v12, s11, v11
	v_mad_u32 v10, v12, s10, v10
	v_mov_b32_e32 v12, v13
	s_cbranch_scc1 .LBB221_82
.LBB221_83:
	s_and_not1_b32 vcc_lo, exec_lo, s6
	s_cbranch_vccnz .LBB221_86
; %bb.84:
	s_clause 0x1
	s_load_b96 s[0:2], s[12:13], 0x4
	s_load_b64 s[4:5], s[12:13], 0xc4
	s_cmp_lt_u32 s28, 2
	s_wait_kmcnt 0x0
	v_mul_hi_u32 v10, s1, v1
	s_delay_alu instid0(VALU_DEP_1) | instskip(NEXT) | instid1(VALU_DEP_1)
	v_add_nc_u32_e32 v10, v1, v10
	v_lshrrev_b32_e32 v12, s2, v10
	s_delay_alu instid0(VALU_DEP_1) | instskip(NEXT) | instid1(VALU_DEP_1)
	v_mul_lo_u32 v10, v12, s0
	v_sub_nc_u32_e32 v1, v1, v10
	s_delay_alu instid0(VALU_DEP_1)
	v_mul_lo_u32 v11, v1, s5
	v_mul_lo_u32 v10, v1, s4
	s_cbranch_scc1 .LBB221_86
; %bb.85:
	s_clause 0x1
	s_load_b96 s[0:2], s[12:13], 0x10
	s_load_b64 s[4:5], s[12:13], 0xcc
	s_wait_kmcnt 0x0
	v_mul_hi_u32 v1, s1, v12
	s_delay_alu instid0(VALU_DEP_1) | instskip(NEXT) | instid1(VALU_DEP_1)
	v_add_nc_u32_e32 v1, v12, v1
	v_lshrrev_b32_e32 v1, s2, v1
	s_delay_alu instid0(VALU_DEP_1) | instskip(NEXT) | instid1(VALU_DEP_1)
	v_mul_lo_u32 v1, v1, s0
	v_sub_nc_u32_e32 v1, v12, v1
	s_delay_alu instid0(VALU_DEP_1)
	v_mad_u32 v10, v1, s4, v10
	v_mad_u32 v11, v1, s5, v11
.LBB221_86:
	v_cmp_ne_u32_e32 vcc_lo, 1, v14
	v_add_nc_u32_e32 v1, 0x280, v0
	s_cbranch_vccnz .LBB221_92
; %bb.87:
	s_cmp_lg_u32 s28, 0
	s_mov_b32 s6, 0
	s_cbranch_scc0 .LBB221_93
; %bb.88:
	s_min_u32 s1, s29, 15
	s_delay_alu instid0(SALU_CYCLE_1)
	s_add_co_i32 s1, s1, 1
	s_cmp_eq_u32 s29, 2
	s_cbranch_scc1 .LBB221_94
; %bb.89:
	v_dual_mov_b32 v12, 0 :: v_dual_mov_b32 v13, 0
	v_mov_b32_e32 v15, v1
	s_and_b32 s0, s1, 28
	s_add_nc_u64 s[2:3], s[12:13], 0xc4
	s_mov_b32 s7, 0
	s_mov_b64 s[4:5], s[12:13]
.LBB221_90:                             ; =>This Inner Loop Header: Depth=1
	s_clause 0x1
	s_load_b256 s[16:23], s[4:5], 0x4
	s_load_b128 s[8:11], s[4:5], 0x24
	s_load_b256 s[36:43], s[2:3], 0x0
	s_add_co_i32 s7, s7, 4
	s_wait_xcnt 0x0
	s_add_nc_u64 s[4:5], s[4:5], 48
	s_cmp_lg_u32 s0, s7
	s_add_nc_u64 s[2:3], s[2:3], 32
	s_wait_kmcnt 0x0
	v_mul_hi_u32 v17, s17, v15
	s_delay_alu instid0(VALU_DEP_1) | instskip(NEXT) | instid1(VALU_DEP_1)
	v_add_nc_u32_e32 v17, v15, v17
	v_lshrrev_b32_e32 v17, s18, v17
	s_delay_alu instid0(VALU_DEP_1) | instskip(NEXT) | instid1(VALU_DEP_1)
	v_mul_hi_u32 v18, s20, v17
	v_add_nc_u32_e32 v18, v17, v18
	s_delay_alu instid0(VALU_DEP_1) | instskip(NEXT) | instid1(VALU_DEP_1)
	v_lshrrev_b32_e32 v18, s21, v18
	v_mul_hi_u32 v19, s23, v18
	s_delay_alu instid0(VALU_DEP_1) | instskip(SKIP_1) | instid1(VALU_DEP_1)
	v_add_nc_u32_e32 v19, v18, v19
	v_mul_lo_u32 v20, v17, s16
	v_sub_nc_u32_e32 v15, v15, v20
	v_mul_lo_u32 v20, v18, s19
	s_delay_alu instid0(VALU_DEP_4) | instskip(NEXT) | instid1(VALU_DEP_3)
	v_lshrrev_b32_e32 v19, s8, v19
	v_mad_u32 v13, v15, s37, v13
	v_mad_u32 v12, v15, s36, v12
	s_delay_alu instid0(VALU_DEP_4) | instskip(NEXT) | instid1(VALU_DEP_4)
	v_sub_nc_u32_e32 v15, v17, v20
	v_mul_hi_u32 v21, s10, v19
	v_mul_lo_u32 v17, v19, s22
	s_delay_alu instid0(VALU_DEP_3) | instskip(SKIP_1) | instid1(VALU_DEP_4)
	v_mad_u32 v13, v15, s39, v13
	v_mad_u32 v12, v15, s38, v12
	v_add_nc_u32_e32 v20, v19, v21
	s_delay_alu instid0(VALU_DEP_1) | instskip(NEXT) | instid1(VALU_DEP_1)
	v_dual_sub_nc_u32 v17, v18, v17 :: v_dual_lshrrev_b32 v15, s11, v20
	v_mad_u32 v13, v17, s41, v13
	s_delay_alu instid0(VALU_DEP_4) | instskip(NEXT) | instid1(VALU_DEP_3)
	v_mad_u32 v12, v17, s40, v12
	v_mul_lo_u32 v18, v15, s9
	s_delay_alu instid0(VALU_DEP_1) | instskip(NEXT) | instid1(VALU_DEP_1)
	v_sub_nc_u32_e32 v17, v19, v18
	v_mad_u32 v13, v17, s43, v13
	s_delay_alu instid0(VALU_DEP_4)
	v_mad_u32 v12, v17, s42, v12
	s_cbranch_scc1 .LBB221_90
; %bb.91:
	s_and_b32 s4, s1, 3
	s_mov_b32 s1, 0
	s_cmp_eq_u32 s4, 0
	s_cbranch_scc0 .LBB221_95
	s_branch .LBB221_97
.LBB221_92:
	s_mov_b32 s6, -1
                                        ; implicit-def: $vgpr13
	s_branch .LBB221_97
.LBB221_93:
	v_dual_mov_b32 v13, 0 :: v_dual_mov_b32 v12, 0
	s_branch .LBB221_97
.LBB221_94:
	v_mov_b64_e32 v[12:13], 0
	v_mov_b32_e32 v15, v1
	s_mov_b32 s0, 0
	s_and_b32 s4, s1, 3
	s_mov_b32 s1, 0
	s_cmp_eq_u32 s4, 0
	s_cbranch_scc1 .LBB221_97
.LBB221_95:
	s_lshl_b32 s2, s0, 3
	s_mov_b32 s3, s1
	s_mul_u64 s[8:9], s[0:1], 12
	s_add_nc_u64 s[2:3], s[12:13], s[2:3]
	s_delay_alu instid0(SALU_CYCLE_1)
	s_add_nc_u64 s[0:1], s[2:3], 0xc4
	s_add_nc_u64 s[2:3], s[12:13], s[8:9]
.LBB221_96:                             ; =>This Inner Loop Header: Depth=1
	s_load_b96 s[8:10], s[2:3], 0x4
	s_add_co_i32 s4, s4, -1
	s_wait_xcnt 0x0
	s_add_nc_u64 s[2:3], s[2:3], 12
	s_cmp_lg_u32 s4, 0
	s_wait_kmcnt 0x0
	v_mul_hi_u32 v17, s9, v15
	s_delay_alu instid0(VALU_DEP_1) | instskip(NEXT) | instid1(VALU_DEP_1)
	v_add_nc_u32_e32 v17, v15, v17
	v_lshrrev_b32_e32 v17, s10, v17
	s_load_b64 s[10:11], s[0:1], 0x0
	s_wait_xcnt 0x0
	s_add_nc_u64 s[0:1], s[0:1], 8
	s_delay_alu instid0(VALU_DEP_1) | instskip(NEXT) | instid1(VALU_DEP_1)
	v_mul_lo_u32 v18, v17, s8
	v_sub_nc_u32_e32 v15, v15, v18
	s_wait_kmcnt 0x0
	s_delay_alu instid0(VALU_DEP_1)
	v_mad_u32 v13, v15, s11, v13
	v_mad_u32 v12, v15, s10, v12
	v_mov_b32_e32 v15, v17
	s_cbranch_scc1 .LBB221_96
.LBB221_97:
	s_and_not1_b32 vcc_lo, exec_lo, s6
	s_cbranch_vccnz .LBB221_100
; %bb.98:
	s_clause 0x1
	s_load_b96 s[0:2], s[12:13], 0x4
	s_load_b64 s[4:5], s[12:13], 0xc4
	s_cmp_lt_u32 s28, 2
	s_wait_kmcnt 0x0
	v_mul_hi_u32 v12, s1, v1
	s_delay_alu instid0(VALU_DEP_1) | instskip(NEXT) | instid1(VALU_DEP_1)
	v_add_nc_u32_e32 v12, v1, v12
	v_lshrrev_b32_e32 v15, s2, v12
	s_delay_alu instid0(VALU_DEP_1) | instskip(NEXT) | instid1(VALU_DEP_1)
	v_mul_lo_u32 v12, v15, s0
	v_sub_nc_u32_e32 v1, v1, v12
	s_delay_alu instid0(VALU_DEP_1)
	v_mul_lo_u32 v13, v1, s5
	v_mul_lo_u32 v12, v1, s4
	s_cbranch_scc1 .LBB221_100
; %bb.99:
	s_clause 0x1
	s_load_b96 s[0:2], s[12:13], 0x10
	s_load_b64 s[4:5], s[12:13], 0xcc
	s_wait_kmcnt 0x0
	v_mul_hi_u32 v1, s1, v15
	s_delay_alu instid0(VALU_DEP_1) | instskip(NEXT) | instid1(VALU_DEP_1)
	v_add_nc_u32_e32 v1, v15, v1
	v_lshrrev_b32_e32 v1, s2, v1
	s_delay_alu instid0(VALU_DEP_1) | instskip(NEXT) | instid1(VALU_DEP_1)
	v_mul_lo_u32 v1, v1, s0
	v_sub_nc_u32_e32 v1, v15, v1
	s_delay_alu instid0(VALU_DEP_1)
	v_mad_u32 v12, v1, s4, v12
	v_mad_u32 v13, v1, s5, v13
.LBB221_100:
	v_cmp_ne_u32_e32 vcc_lo, 1, v14
	v_add_nc_u32_e32 v15, 0x300, v0
	s_cbranch_vccnz .LBB221_106
; %bb.101:
	s_cmp_lg_u32 s28, 0
	s_mov_b32 s6, 0
	s_cbranch_scc0 .LBB221_107
; %bb.102:
	s_min_u32 s1, s29, 15
	s_delay_alu instid0(SALU_CYCLE_1)
	s_add_co_i32 s1, s1, 1
	s_cmp_eq_u32 s29, 2
	s_cbranch_scc1 .LBB221_108
; %bb.103:
	v_dual_mov_b32 v0, 0 :: v_dual_mov_b32 v1, 0
	v_mov_b32_e32 v17, v15
	s_and_b32 s0, s1, 28
	s_add_nc_u64 s[2:3], s[12:13], 0xc4
	s_mov_b32 s7, 0
	s_mov_b64 s[4:5], s[12:13]
.LBB221_104:                            ; =>This Inner Loop Header: Depth=1
	s_clause 0x1
	s_load_b256 s[16:23], s[4:5], 0x4
	s_load_b128 s[8:11], s[4:5], 0x24
	s_load_b256 s[36:43], s[2:3], 0x0
	s_add_co_i32 s7, s7, 4
	s_wait_xcnt 0x0
	s_add_nc_u64 s[4:5], s[4:5], 48
	s_cmp_lg_u32 s0, s7
	s_add_nc_u64 s[2:3], s[2:3], 32
	s_wait_kmcnt 0x0
	v_mul_hi_u32 v18, s17, v17
	s_delay_alu instid0(VALU_DEP_1) | instskip(NEXT) | instid1(VALU_DEP_1)
	v_add_nc_u32_e32 v18, v17, v18
	v_lshrrev_b32_e32 v18, s18, v18
	s_delay_alu instid0(VALU_DEP_1) | instskip(NEXT) | instid1(VALU_DEP_1)
	v_mul_hi_u32 v19, s20, v18
	v_add_nc_u32_e32 v19, v18, v19
	s_delay_alu instid0(VALU_DEP_1) | instskip(NEXT) | instid1(VALU_DEP_1)
	v_lshrrev_b32_e32 v19, s21, v19
	v_mul_hi_u32 v20, s23, v19
	s_delay_alu instid0(VALU_DEP_1) | instskip(SKIP_1) | instid1(VALU_DEP_1)
	v_add_nc_u32_e32 v20, v19, v20
	v_mul_lo_u32 v21, v18, s16
	v_sub_nc_u32_e32 v17, v17, v21
	v_mul_lo_u32 v21, v19, s19
	s_delay_alu instid0(VALU_DEP_4) | instskip(NEXT) | instid1(VALU_DEP_3)
	v_lshrrev_b32_e32 v20, s8, v20
	v_mad_u32 v1, v17, s37, v1
	v_mad_u32 v0, v17, s36, v0
	s_delay_alu instid0(VALU_DEP_4) | instskip(NEXT) | instid1(VALU_DEP_4)
	v_sub_nc_u32_e32 v17, v18, v21
	v_mul_hi_u32 v22, s10, v20
	v_mul_lo_u32 v18, v20, s22
	s_delay_alu instid0(VALU_DEP_3) | instskip(SKIP_1) | instid1(VALU_DEP_4)
	v_mad_u32 v1, v17, s39, v1
	v_mad_u32 v0, v17, s38, v0
	v_add_nc_u32_e32 v21, v20, v22
	s_delay_alu instid0(VALU_DEP_1) | instskip(NEXT) | instid1(VALU_DEP_1)
	v_dual_sub_nc_u32 v18, v19, v18 :: v_dual_lshrrev_b32 v17, s11, v21
	v_mad_u32 v1, v18, s41, v1
	s_delay_alu instid0(VALU_DEP_4) | instskip(NEXT) | instid1(VALU_DEP_3)
	v_mad_u32 v0, v18, s40, v0
	v_mul_lo_u32 v19, v17, s9
	s_delay_alu instid0(VALU_DEP_1) | instskip(NEXT) | instid1(VALU_DEP_1)
	v_sub_nc_u32_e32 v18, v20, v19
	v_mad_u32 v1, v18, s43, v1
	s_delay_alu instid0(VALU_DEP_4)
	v_mad_u32 v0, v18, s42, v0
	s_cbranch_scc1 .LBB221_104
; %bb.105:
	s_and_b32 s4, s1, 3
	s_mov_b32 s1, 0
	s_cmp_eq_u32 s4, 0
	s_cbranch_scc0 .LBB221_109
	s_branch .LBB221_111
.LBB221_106:
	s_mov_b32 s6, -1
                                        ; implicit-def: $vgpr1
	s_branch .LBB221_111
.LBB221_107:
	v_dual_mov_b32 v1, 0 :: v_dual_mov_b32 v0, 0
	s_branch .LBB221_111
.LBB221_108:
	v_mov_b64_e32 v[0:1], 0
	v_mov_b32_e32 v17, v15
	s_mov_b32 s0, 0
	s_and_b32 s4, s1, 3
	s_mov_b32 s1, 0
	s_cmp_eq_u32 s4, 0
	s_cbranch_scc1 .LBB221_111
.LBB221_109:
	s_lshl_b32 s2, s0, 3
	s_mov_b32 s3, s1
	s_mul_u64 s[8:9], s[0:1], 12
	s_add_nc_u64 s[2:3], s[12:13], s[2:3]
	s_delay_alu instid0(SALU_CYCLE_1)
	s_add_nc_u64 s[0:1], s[2:3], 0xc4
	s_add_nc_u64 s[2:3], s[12:13], s[8:9]
.LBB221_110:                            ; =>This Inner Loop Header: Depth=1
	s_load_b96 s[8:10], s[2:3], 0x4
	s_add_co_i32 s4, s4, -1
	s_wait_xcnt 0x0
	s_add_nc_u64 s[2:3], s[2:3], 12
	s_cmp_lg_u32 s4, 0
	s_wait_kmcnt 0x0
	v_mul_hi_u32 v18, s9, v17
	s_delay_alu instid0(VALU_DEP_1) | instskip(NEXT) | instid1(VALU_DEP_1)
	v_add_nc_u32_e32 v18, v17, v18
	v_lshrrev_b32_e32 v18, s10, v18
	s_load_b64 s[10:11], s[0:1], 0x0
	s_wait_xcnt 0x0
	s_add_nc_u64 s[0:1], s[0:1], 8
	s_delay_alu instid0(VALU_DEP_1) | instskip(NEXT) | instid1(VALU_DEP_1)
	v_mul_lo_u32 v19, v18, s8
	v_sub_nc_u32_e32 v17, v17, v19
	s_wait_kmcnt 0x0
	s_delay_alu instid0(VALU_DEP_1)
	v_mad_u32 v1, v17, s11, v1
	v_mad_u32 v0, v17, s10, v0
	v_mov_b32_e32 v17, v18
	s_cbranch_scc1 .LBB221_110
.LBB221_111:
	s_and_not1_b32 vcc_lo, exec_lo, s6
	s_cbranch_vccnz .LBB221_114
; %bb.112:
	s_clause 0x1
	s_load_b96 s[0:2], s[12:13], 0x4
	s_load_b64 s[4:5], s[12:13], 0xc4
	s_cmp_lt_u32 s28, 2
	s_wait_kmcnt 0x0
	v_mul_hi_u32 v0, s1, v15
	s_delay_alu instid0(VALU_DEP_1) | instskip(NEXT) | instid1(VALU_DEP_1)
	v_add_nc_u32_e32 v0, v15, v0
	v_lshrrev_b32_e32 v17, s2, v0
	s_delay_alu instid0(VALU_DEP_1) | instskip(NEXT) | instid1(VALU_DEP_1)
	v_mul_lo_u32 v0, v17, s0
	v_sub_nc_u32_e32 v0, v15, v0
	s_delay_alu instid0(VALU_DEP_1)
	v_mul_lo_u32 v1, v0, s5
	v_mul_lo_u32 v0, v0, s4
	s_cbranch_scc1 .LBB221_114
; %bb.113:
	s_clause 0x1
	s_load_b96 s[0:2], s[12:13], 0x10
	s_load_b64 s[4:5], s[12:13], 0xcc
	s_wait_kmcnt 0x0
	v_mul_hi_u32 v15, s1, v17
	s_delay_alu instid0(VALU_DEP_1) | instskip(NEXT) | instid1(VALU_DEP_1)
	v_add_nc_u32_e32 v15, v17, v15
	v_lshrrev_b32_e32 v15, s2, v15
	s_delay_alu instid0(VALU_DEP_1) | instskip(NEXT) | instid1(VALU_DEP_1)
	v_mul_lo_u32 v15, v15, s0
	v_sub_nc_u32_e32 v15, v17, v15
	s_delay_alu instid0(VALU_DEP_1)
	v_mad_u32 v0, v15, s4, v0
	v_mad_u32 v1, v15, s5, v1
.LBB221_114:
	v_cmp_ne_u32_e32 vcc_lo, 1, v14
	s_cbranch_vccnz .LBB221_120
; %bb.115:
	s_cmp_lg_u32 s28, 0
	s_mov_b32 s6, 0
	s_cbranch_scc0 .LBB221_121
; %bb.116:
	s_min_u32 s1, s29, 15
	s_delay_alu instid0(SALU_CYCLE_1)
	s_add_co_i32 s1, s1, 1
	s_cmp_eq_u32 s29, 2
	s_cbranch_scc1 .LBB221_122
; %bb.117:
	v_dual_mov_b32 v14, 0 :: v_dual_mov_b32 v15, 0
	v_mov_b32_e32 v17, v16
	s_and_b32 s0, s1, 28
	s_add_nc_u64 s[2:3], s[12:13], 0xc4
	s_mov_b32 s7, 0
	s_mov_b64 s[4:5], s[12:13]
.LBB221_118:                            ; =>This Inner Loop Header: Depth=1
	s_clause 0x1
	s_load_b256 s[16:23], s[4:5], 0x4
	s_load_b128 s[8:11], s[4:5], 0x24
	s_load_b256 s[36:43], s[2:3], 0x0
	s_add_co_i32 s7, s7, 4
	s_wait_xcnt 0x0
	s_add_nc_u64 s[4:5], s[4:5], 48
	s_cmp_lg_u32 s0, s7
	s_add_nc_u64 s[2:3], s[2:3], 32
	s_wait_kmcnt 0x0
	v_mul_hi_u32 v18, s17, v17
	s_delay_alu instid0(VALU_DEP_1) | instskip(NEXT) | instid1(VALU_DEP_1)
	v_add_nc_u32_e32 v18, v17, v18
	v_lshrrev_b32_e32 v18, s18, v18
	s_delay_alu instid0(VALU_DEP_1) | instskip(NEXT) | instid1(VALU_DEP_1)
	v_mul_hi_u32 v19, s20, v18
	v_add_nc_u32_e32 v19, v18, v19
	s_delay_alu instid0(VALU_DEP_1) | instskip(NEXT) | instid1(VALU_DEP_1)
	v_lshrrev_b32_e32 v19, s21, v19
	v_mul_hi_u32 v20, s23, v19
	s_delay_alu instid0(VALU_DEP_1) | instskip(SKIP_1) | instid1(VALU_DEP_1)
	v_add_nc_u32_e32 v20, v19, v20
	v_mul_lo_u32 v21, v18, s16
	v_sub_nc_u32_e32 v17, v17, v21
	v_mul_lo_u32 v21, v19, s19
	s_delay_alu instid0(VALU_DEP_4) | instskip(NEXT) | instid1(VALU_DEP_3)
	v_lshrrev_b32_e32 v20, s8, v20
	v_mad_u32 v15, v17, s37, v15
	v_mad_u32 v14, v17, s36, v14
	s_delay_alu instid0(VALU_DEP_4) | instskip(NEXT) | instid1(VALU_DEP_4)
	v_sub_nc_u32_e32 v17, v18, v21
	v_mul_hi_u32 v22, s10, v20
	v_mul_lo_u32 v18, v20, s22
	s_delay_alu instid0(VALU_DEP_3) | instskip(SKIP_1) | instid1(VALU_DEP_4)
	v_mad_u32 v15, v17, s39, v15
	v_mad_u32 v14, v17, s38, v14
	v_add_nc_u32_e32 v21, v20, v22
	s_delay_alu instid0(VALU_DEP_1) | instskip(NEXT) | instid1(VALU_DEP_1)
	v_dual_sub_nc_u32 v18, v19, v18 :: v_dual_lshrrev_b32 v17, s11, v21
	v_mad_u32 v15, v18, s41, v15
	s_delay_alu instid0(VALU_DEP_4) | instskip(NEXT) | instid1(VALU_DEP_3)
	v_mad_u32 v14, v18, s40, v14
	v_mul_lo_u32 v19, v17, s9
	s_delay_alu instid0(VALU_DEP_1) | instskip(NEXT) | instid1(VALU_DEP_1)
	v_sub_nc_u32_e32 v18, v20, v19
	v_mad_u32 v15, v18, s43, v15
	s_delay_alu instid0(VALU_DEP_4)
	v_mad_u32 v14, v18, s42, v14
	s_cbranch_scc1 .LBB221_118
; %bb.119:
	s_and_b32 s4, s1, 3
	s_mov_b32 s1, 0
	s_cmp_eq_u32 s4, 0
	s_cbranch_scc0 .LBB221_123
	s_branch .LBB221_125
.LBB221_120:
	s_mov_b32 s6, -1
                                        ; implicit-def: $vgpr15
	s_branch .LBB221_125
.LBB221_121:
	v_dual_mov_b32 v15, 0 :: v_dual_mov_b32 v14, 0
	s_branch .LBB221_125
.LBB221_122:
	v_mov_b64_e32 v[14:15], 0
	v_mov_b32_e32 v17, v16
	s_mov_b32 s0, 0
	s_and_b32 s4, s1, 3
	s_mov_b32 s1, 0
	s_cmp_eq_u32 s4, 0
	s_cbranch_scc1 .LBB221_125
.LBB221_123:
	s_lshl_b32 s2, s0, 3
	s_mov_b32 s3, s1
	s_mul_u64 s[8:9], s[0:1], 12
	s_add_nc_u64 s[2:3], s[12:13], s[2:3]
	s_delay_alu instid0(SALU_CYCLE_1)
	s_add_nc_u64 s[0:1], s[2:3], 0xc4
	s_add_nc_u64 s[2:3], s[12:13], s[8:9]
.LBB221_124:                            ; =>This Inner Loop Header: Depth=1
	s_load_b96 s[8:10], s[2:3], 0x4
	s_add_co_i32 s4, s4, -1
	s_wait_xcnt 0x0
	s_add_nc_u64 s[2:3], s[2:3], 12
	s_cmp_lg_u32 s4, 0
	s_wait_kmcnt 0x0
	v_mul_hi_u32 v18, s9, v17
	s_delay_alu instid0(VALU_DEP_1) | instskip(NEXT) | instid1(VALU_DEP_1)
	v_add_nc_u32_e32 v18, v17, v18
	v_lshrrev_b32_e32 v18, s10, v18
	s_load_b64 s[10:11], s[0:1], 0x0
	s_wait_xcnt 0x0
	s_add_nc_u64 s[0:1], s[0:1], 8
	s_delay_alu instid0(VALU_DEP_1) | instskip(NEXT) | instid1(VALU_DEP_1)
	v_mul_lo_u32 v19, v18, s8
	v_sub_nc_u32_e32 v17, v17, v19
	s_wait_kmcnt 0x0
	s_delay_alu instid0(VALU_DEP_1)
	v_mad_u32 v15, v17, s11, v15
	v_mad_u32 v14, v17, s10, v14
	v_mov_b32_e32 v17, v18
	s_cbranch_scc1 .LBB221_124
.LBB221_125:
	s_and_not1_b32 vcc_lo, exec_lo, s6
	s_cbranch_vccnz .LBB221_128
; %bb.126:
	s_clause 0x1
	s_load_b96 s[0:2], s[12:13], 0x4
	s_load_b64 s[4:5], s[12:13], 0xc4
	s_cmp_lt_u32 s28, 2
	s_wait_kmcnt 0x0
	v_mul_hi_u32 v14, s1, v16
	s_delay_alu instid0(VALU_DEP_1) | instskip(NEXT) | instid1(VALU_DEP_1)
	v_add_nc_u32_e32 v14, v16, v14
	v_lshrrev_b32_e32 v17, s2, v14
	s_delay_alu instid0(VALU_DEP_1) | instskip(NEXT) | instid1(VALU_DEP_1)
	v_mul_lo_u32 v14, v17, s0
	v_sub_nc_u32_e32 v14, v16, v14
	s_delay_alu instid0(VALU_DEP_1)
	v_mul_lo_u32 v15, v14, s5
	v_mul_lo_u32 v14, v14, s4
	s_cbranch_scc1 .LBB221_128
; %bb.127:
	s_clause 0x1
	s_load_b96 s[0:2], s[12:13], 0x10
	s_load_b64 s[4:5], s[12:13], 0xcc
	s_wait_kmcnt 0x0
	v_mul_hi_u32 v16, s1, v17
	s_delay_alu instid0(VALU_DEP_1) | instskip(NEXT) | instid1(VALU_DEP_1)
	v_add_nc_u32_e32 v16, v17, v16
	v_lshrrev_b32_e32 v16, s2, v16
	s_delay_alu instid0(VALU_DEP_1) | instskip(NEXT) | instid1(VALU_DEP_1)
	v_mul_lo_u32 v16, v16, s0
	v_sub_nc_u32_e32 v16, v17, v16
	s_delay_alu instid0(VALU_DEP_1)
	v_mad_u32 v14, v16, s4, v14
	v_mad_u32 v15, v16, s5, v15
.LBB221_128:
	s_clause 0x1
	s_load_b128 s[8:11], s[12:13], 0x148
	s_load_b64 s[0:1], s[12:13], 0x158
	s_wait_kmcnt 0x0
	s_clause 0x7
	global_load_u8 v16, v3, s[10:11]
	global_load_u8 v17, v5, s[10:11]
	;; [unrolled: 1-line block ×8, first 2 shown]
	s_bitcmp1_b32 s1, 0
	s_cselect_b32 s7, -1, 0
	s_cmp_eq_u32 s0, 0
	s_wait_xcnt 0x0
	s_cselect_b32 s10, -1, 0
	s_wait_loadcnt 0x7
	v_cmp_ne_u16_e32 vcc_lo, 0, v16
	s_wait_loadcnt 0x6
	v_cmp_ne_u16_e64 s0, 0, v17
	s_wait_loadcnt 0x5
	v_cmp_ne_u16_e64 s1, 0, v18
	;; [unrolled: 2-line block ×5, first 2 shown]
	s_xor_b32 s0, s0, s7
	s_xor_b32 s1, s1, s7
	s_xor_b32 s0, s10, s0
	s_wait_loadcnt 0x1
	v_cmp_ne_u16_e64 s5, 0, v22
	s_wait_loadcnt 0x0
	v_cmp_ne_u16_e64 s6, 0, v23
	s_xor_b32 s2, s2, s7
	v_cndmask_b32_e64 v3, 0, 1, s0
	s_xor_b32 s0, s10, s1
	s_xor_b32 s3, s3, s7
	v_cndmask_b32_e64 v5, 0, 1, s0
	s_xor_b32 s0, s10, s2
	s_xor_b32 s11, vcc_lo, s7
	s_xor_b32 s4, s4, s7
	v_cndmask_b32_e64 v7, 0, 1, s0
	s_xor_b32 s0, s10, s3
	s_xor_b32 s5, s5, s7
	s_xor_b32 s6, s6, s7
	s_xor_b32 s7, s10, s11
	v_cndmask_b32_e64 v9, 0, 1, s0
	s_xor_b32 s0, s10, s4
	v_cndmask_b32_e64 v1, 0, 1, s7
	v_cndmask_b32_e64 v11, 0, 1, s0
	s_xor_b32 s0, s10, s5
	s_delay_alu instid0(SALU_CYCLE_1) | instskip(SKIP_1) | instid1(SALU_CYCLE_1)
	v_cndmask_b32_e64 v13, 0, 1, s0
	s_xor_b32 s0, s10, s6
	v_cndmask_b32_e64 v15, 0, 1, s0
	s_clause 0x7
	global_store_b8 v2, v1, s[8:9]
	global_store_b8 v4, v3, s[8:9]
	;; [unrolled: 1-line block ×8, first 2 shown]
	s_endpgm
.LBB221_129:
	v_dual_mov_b32 v3, 0 :: v_dual_mov_b32 v2, 0
	s_branch .LBB221_135
.LBB221_130:
	v_dual_mov_b32 v3, 0 :: v_dual_mov_b32 v2, 0
	s_branch .LBB221_151
.LBB221_131:
	v_mov_b64_e32 v[2:3], 0
	v_mov_b32_e32 v1, v0
	s_mov_b32 s22, 0
.LBB221_132:
	s_and_b32 s26, s23, 3
	s_mov_b32 s23, 0
	s_cmp_eq_u32 s26, 0
	s_cbranch_scc1 .LBB221_135
; %bb.133:
	s_lshl_b32 s24, s22, 3
	s_mov_b32 s25, s23
	s_mul_u64 s[38:39], s[22:23], 12
	s_add_nc_u64 s[24:25], s[12:13], s[24:25]
	s_delay_alu instid0(SALU_CYCLE_1)
	s_add_nc_u64 s[22:23], s[24:25], 0xc4
	s_add_nc_u64 s[24:25], s[12:13], s[38:39]
.LBB221_134:                            ; =>This Inner Loop Header: Depth=1
	s_load_b96 s[40:42], s[24:25], 0x4
	s_load_b64 s[38:39], s[22:23], 0x0
	s_add_co_i32 s26, s26, -1
	s_wait_xcnt 0x0
	s_add_nc_u64 s[24:25], s[24:25], 12
	s_cmp_lg_u32 s26, 0
	s_add_nc_u64 s[22:23], s[22:23], 8
	s_wait_kmcnt 0x0
	v_mul_hi_u32 v4, s41, v1
	s_delay_alu instid0(VALU_DEP_1) | instskip(NEXT) | instid1(VALU_DEP_1)
	v_add_nc_u32_e32 v4, v1, v4
	v_lshrrev_b32_e32 v4, s42, v4
	s_delay_alu instid0(VALU_DEP_1) | instskip(NEXT) | instid1(VALU_DEP_1)
	v_mul_lo_u32 v5, v4, s40
	v_sub_nc_u32_e32 v1, v1, v5
	s_delay_alu instid0(VALU_DEP_1)
	v_mad_u32 v3, v1, s39, v3
	v_mad_u32 v2, v1, s38, v2
	v_mov_b32_e32 v1, v4
	s_cbranch_scc1 .LBB221_134
.LBB221_135:
	s_cbranch_execnz .LBB221_138
.LBB221_136:
	v_mov_b32_e32 v1, 0
	s_and_not1_b32 vcc_lo, exec_lo, s33
	s_delay_alu instid0(VALU_DEP_1) | instskip(NEXT) | instid1(VALU_DEP_1)
	v_mul_u64_e32 v[2:3], s[14:15], v[0:1]
	v_add_nc_u32_e32 v2, v0, v3
	s_delay_alu instid0(VALU_DEP_1) | instskip(NEXT) | instid1(VALU_DEP_1)
	v_lshrrev_b32_e32 v4, s6, v2
	v_mul_lo_u32 v2, v4, s4
	s_delay_alu instid0(VALU_DEP_1) | instskip(NEXT) | instid1(VALU_DEP_1)
	v_sub_nc_u32_e32 v2, v0, v2
	v_mul_lo_u32 v3, v2, s9
	v_mul_lo_u32 v2, v2, s8
	s_cbranch_vccnz .LBB221_138
; %bb.137:
	v_mov_b32_e32 v5, v1
	s_delay_alu instid0(VALU_DEP_1) | instskip(NEXT) | instid1(VALU_DEP_1)
	v_mul_u64_e32 v[6:7], s[18:19], v[4:5]
	v_add_nc_u32_e32 v1, v4, v7
	s_delay_alu instid0(VALU_DEP_1) | instskip(NEXT) | instid1(VALU_DEP_1)
	v_lshrrev_b32_e32 v1, s17, v1
	v_mul_lo_u32 v1, v1, s7
	s_delay_alu instid0(VALU_DEP_1) | instskip(NEXT) | instid1(VALU_DEP_1)
	v_sub_nc_u32_e32 v1, v4, v1
	v_mad_u32 v2, v1, s10, v2
	v_mad_u32 v3, v1, s11, v3
.LBB221_138:
	global_load_u8 v1, v3, s[2:3]
	v_add_nc_u32_e32 v0, 0x80, v0
	s_wait_loadcnt 0x0
	v_cmp_ne_u16_e32 vcc_lo, 0, v1
	s_xor_b32 s22, vcc_lo, s5
	s_delay_alu instid0(SALU_CYCLE_1) | instskip(SKIP_3) | instid1(SALU_CYCLE_1)
	v_cndmask_b32_e64 v1, 0, 1, s22
	global_store_b8 v2, v1, s[0:1]
	s_wait_xcnt 0x0
	s_or_b32 exec_lo, exec_lo, s16
	s_mov_b32 s16, exec_lo
	v_cmpx_gt_i32_e64 s34, v0
	s_cbranch_execnz .LBB221_15
.LBB221_139:
	s_or_b32 exec_lo, exec_lo, s16
	s_delay_alu instid0(SALU_CYCLE_1)
	s_mov_b32 s16, exec_lo
	v_cmpx_gt_i32_e64 s34, v0
	s_cbranch_execz .LBB221_155
.LBB221_140:
	s_and_not1_b32 vcc_lo, exec_lo, s30
	s_cbranch_vccnz .LBB221_145
; %bb.141:
	s_and_not1_b32 vcc_lo, exec_lo, s36
	s_cbranch_vccnz .LBB221_146
; %bb.142:
	s_add_co_i32 s23, s35, 1
	s_cmp_eq_u32 s29, 2
	s_cbranch_scc1 .LBB221_163
; %bb.143:
	v_dual_mov_b32 v2, 0 :: v_dual_mov_b32 v3, 0
	v_mov_b32_e32 v1, v0
	s_and_b32 s22, s23, 28
	s_mov_b32 s37, 0
	s_mov_b64 s[24:25], s[12:13]
	s_mov_b64 s[26:27], s[20:21]
.LBB221_144:                            ; =>This Inner Loop Header: Depth=1
	s_clause 0x1
	s_load_b256 s[40:47], s[24:25], 0x4
	s_load_b128 s[56:59], s[24:25], 0x24
	s_load_b256 s[48:55], s[26:27], 0x0
	s_add_co_i32 s37, s37, 4
	s_wait_xcnt 0x0
	s_add_nc_u64 s[24:25], s[24:25], 48
	s_cmp_eq_u32 s22, s37
	s_add_nc_u64 s[26:27], s[26:27], 32
	s_wait_kmcnt 0x0
	v_mul_hi_u32 v4, s41, v1
	s_delay_alu instid0(VALU_DEP_1) | instskip(NEXT) | instid1(VALU_DEP_1)
	v_add_nc_u32_e32 v4, v1, v4
	v_lshrrev_b32_e32 v4, s42, v4
	s_delay_alu instid0(VALU_DEP_1) | instskip(NEXT) | instid1(VALU_DEP_1)
	v_mul_hi_u32 v5, s44, v4
	v_add_nc_u32_e32 v5, v4, v5
	s_delay_alu instid0(VALU_DEP_1) | instskip(NEXT) | instid1(VALU_DEP_1)
	v_lshrrev_b32_e32 v5, s45, v5
	v_mul_hi_u32 v6, s47, v5
	s_delay_alu instid0(VALU_DEP_1) | instskip(SKIP_1) | instid1(VALU_DEP_1)
	v_add_nc_u32_e32 v6, v5, v6
	v_mul_lo_u32 v7, v4, s40
	v_sub_nc_u32_e32 v1, v1, v7
	v_mul_lo_u32 v7, v5, s43
	s_delay_alu instid0(VALU_DEP_4) | instskip(NEXT) | instid1(VALU_DEP_3)
	v_lshrrev_b32_e32 v6, s56, v6
	v_mad_u32 v3, v1, s49, v3
	v_mad_u32 v1, v1, s48, v2
	s_delay_alu instid0(VALU_DEP_4) | instskip(NEXT) | instid1(VALU_DEP_4)
	v_sub_nc_u32_e32 v2, v4, v7
	v_mul_hi_u32 v8, s58, v6
	v_mul_lo_u32 v4, v6, s46
	s_delay_alu instid0(VALU_DEP_3) | instskip(SKIP_1) | instid1(VALU_DEP_4)
	v_mad_u32 v3, v2, s51, v3
	v_mad_u32 v2, v2, s50, v1
	v_add_nc_u32_e32 v7, v6, v8
	s_delay_alu instid0(VALU_DEP_1) | instskip(NEXT) | instid1(VALU_DEP_1)
	v_dual_sub_nc_u32 v4, v5, v4 :: v_dual_lshrrev_b32 v1, s59, v7
	v_mad_u32 v3, v4, s53, v3
	s_delay_alu instid0(VALU_DEP_4) | instskip(NEXT) | instid1(VALU_DEP_3)
	v_mad_u32 v2, v4, s52, v2
	v_mul_lo_u32 v5, v1, s57
	s_delay_alu instid0(VALU_DEP_1) | instskip(NEXT) | instid1(VALU_DEP_1)
	v_sub_nc_u32_e32 v4, v6, v5
	v_mad_u32 v3, v4, s55, v3
	s_delay_alu instid0(VALU_DEP_4)
	v_mad_u32 v2, v4, s54, v2
	s_cbranch_scc0 .LBB221_144
	s_branch .LBB221_164
.LBB221_145:
                                        ; implicit-def: $vgpr3
	s_branch .LBB221_168
.LBB221_146:
	v_dual_mov_b32 v3, 0 :: v_dual_mov_b32 v2, 0
	s_branch .LBB221_167
.LBB221_147:
	v_mov_b64_e32 v[2:3], 0
	v_mov_b32_e32 v1, v0
	s_mov_b32 s22, 0
.LBB221_148:
	s_and_b32 s26, s23, 3
	s_mov_b32 s23, 0
	s_cmp_eq_u32 s26, 0
	s_cbranch_scc1 .LBB221_151
; %bb.149:
	s_lshl_b32 s24, s22, 3
	s_mov_b32 s25, s23
	s_mul_u64 s[38:39], s[22:23], 12
	s_add_nc_u64 s[24:25], s[12:13], s[24:25]
	s_delay_alu instid0(SALU_CYCLE_1)
	s_add_nc_u64 s[22:23], s[24:25], 0xc4
	s_add_nc_u64 s[24:25], s[12:13], s[38:39]
.LBB221_150:                            ; =>This Inner Loop Header: Depth=1
	s_load_b96 s[40:42], s[24:25], 0x4
	s_load_b64 s[38:39], s[22:23], 0x0
	s_add_co_i32 s26, s26, -1
	s_wait_xcnt 0x0
	s_add_nc_u64 s[24:25], s[24:25], 12
	s_cmp_lg_u32 s26, 0
	s_add_nc_u64 s[22:23], s[22:23], 8
	s_wait_kmcnt 0x0
	v_mul_hi_u32 v4, s41, v1
	s_delay_alu instid0(VALU_DEP_1) | instskip(NEXT) | instid1(VALU_DEP_1)
	v_add_nc_u32_e32 v4, v1, v4
	v_lshrrev_b32_e32 v4, s42, v4
	s_delay_alu instid0(VALU_DEP_1) | instskip(NEXT) | instid1(VALU_DEP_1)
	v_mul_lo_u32 v5, v4, s40
	v_sub_nc_u32_e32 v1, v1, v5
	s_delay_alu instid0(VALU_DEP_1)
	v_mad_u32 v3, v1, s39, v3
	v_mad_u32 v2, v1, s38, v2
	v_mov_b32_e32 v1, v4
	s_cbranch_scc1 .LBB221_150
.LBB221_151:
	s_cbranch_execnz .LBB221_154
.LBB221_152:
	v_mov_b32_e32 v1, 0
	s_and_not1_b32 vcc_lo, exec_lo, s33
	s_delay_alu instid0(VALU_DEP_1) | instskip(NEXT) | instid1(VALU_DEP_1)
	v_mul_u64_e32 v[2:3], s[14:15], v[0:1]
	v_add_nc_u32_e32 v2, v0, v3
	s_delay_alu instid0(VALU_DEP_1) | instskip(NEXT) | instid1(VALU_DEP_1)
	v_lshrrev_b32_e32 v4, s6, v2
	v_mul_lo_u32 v2, v4, s4
	s_delay_alu instid0(VALU_DEP_1) | instskip(NEXT) | instid1(VALU_DEP_1)
	v_sub_nc_u32_e32 v2, v0, v2
	v_mul_lo_u32 v3, v2, s9
	v_mul_lo_u32 v2, v2, s8
	s_cbranch_vccnz .LBB221_154
; %bb.153:
	v_mov_b32_e32 v5, v1
	s_delay_alu instid0(VALU_DEP_1) | instskip(NEXT) | instid1(VALU_DEP_1)
	v_mul_u64_e32 v[6:7], s[18:19], v[4:5]
	v_add_nc_u32_e32 v1, v4, v7
	s_delay_alu instid0(VALU_DEP_1) | instskip(NEXT) | instid1(VALU_DEP_1)
	v_lshrrev_b32_e32 v1, s17, v1
	v_mul_lo_u32 v1, v1, s7
	s_delay_alu instid0(VALU_DEP_1) | instskip(NEXT) | instid1(VALU_DEP_1)
	v_sub_nc_u32_e32 v1, v4, v1
	v_mad_u32 v2, v1, s10, v2
	v_mad_u32 v3, v1, s11, v3
.LBB221_154:
	global_load_u8 v1, v3, s[2:3]
	v_add_nc_u32_e32 v0, 0x80, v0
	s_wait_loadcnt 0x0
	v_cmp_ne_u16_e32 vcc_lo, 0, v1
	s_xor_b32 s22, vcc_lo, s5
	s_delay_alu instid0(SALU_CYCLE_1) | instskip(SKIP_3) | instid1(SALU_CYCLE_1)
	v_cndmask_b32_e64 v1, 0, 1, s22
	global_store_b8 v2, v1, s[0:1]
	s_wait_xcnt 0x0
	s_or_b32 exec_lo, exec_lo, s16
	s_mov_b32 s16, exec_lo
	v_cmpx_gt_i32_e64 s34, v0
	s_cbranch_execnz .LBB221_140
.LBB221_155:
	s_or_b32 exec_lo, exec_lo, s16
	s_delay_alu instid0(SALU_CYCLE_1)
	s_mov_b32 s16, exec_lo
	v_cmpx_gt_i32_e64 s34, v0
	s_cbranch_execz .LBB221_171
.LBB221_156:
	s_and_not1_b32 vcc_lo, exec_lo, s30
	s_cbranch_vccnz .LBB221_161
; %bb.157:
	s_and_not1_b32 vcc_lo, exec_lo, s36
	s_cbranch_vccnz .LBB221_162
; %bb.158:
	s_add_co_i32 s23, s35, 1
	s_cmp_eq_u32 s29, 2
	s_cbranch_scc1 .LBB221_179
; %bb.159:
	v_dual_mov_b32 v2, 0 :: v_dual_mov_b32 v3, 0
	v_mov_b32_e32 v1, v0
	s_and_b32 s22, s23, 28
	s_mov_b32 s37, 0
	s_mov_b64 s[24:25], s[12:13]
	s_mov_b64 s[26:27], s[20:21]
.LBB221_160:                            ; =>This Inner Loop Header: Depth=1
	s_clause 0x1
	s_load_b256 s[40:47], s[24:25], 0x4
	s_load_b128 s[56:59], s[24:25], 0x24
	s_load_b256 s[48:55], s[26:27], 0x0
	s_add_co_i32 s37, s37, 4
	s_wait_xcnt 0x0
	s_add_nc_u64 s[24:25], s[24:25], 48
	s_cmp_eq_u32 s22, s37
	s_add_nc_u64 s[26:27], s[26:27], 32
	s_wait_kmcnt 0x0
	v_mul_hi_u32 v4, s41, v1
	s_delay_alu instid0(VALU_DEP_1) | instskip(NEXT) | instid1(VALU_DEP_1)
	v_add_nc_u32_e32 v4, v1, v4
	v_lshrrev_b32_e32 v4, s42, v4
	s_delay_alu instid0(VALU_DEP_1) | instskip(NEXT) | instid1(VALU_DEP_1)
	v_mul_hi_u32 v5, s44, v4
	v_add_nc_u32_e32 v5, v4, v5
	s_delay_alu instid0(VALU_DEP_1) | instskip(NEXT) | instid1(VALU_DEP_1)
	v_lshrrev_b32_e32 v5, s45, v5
	v_mul_hi_u32 v6, s47, v5
	s_delay_alu instid0(VALU_DEP_1) | instskip(SKIP_1) | instid1(VALU_DEP_1)
	v_add_nc_u32_e32 v6, v5, v6
	v_mul_lo_u32 v7, v4, s40
	v_sub_nc_u32_e32 v1, v1, v7
	v_mul_lo_u32 v7, v5, s43
	s_delay_alu instid0(VALU_DEP_4) | instskip(NEXT) | instid1(VALU_DEP_3)
	v_lshrrev_b32_e32 v6, s56, v6
	v_mad_u32 v3, v1, s49, v3
	v_mad_u32 v1, v1, s48, v2
	s_delay_alu instid0(VALU_DEP_4) | instskip(NEXT) | instid1(VALU_DEP_4)
	v_sub_nc_u32_e32 v2, v4, v7
	v_mul_hi_u32 v8, s58, v6
	v_mul_lo_u32 v4, v6, s46
	s_delay_alu instid0(VALU_DEP_3) | instskip(SKIP_1) | instid1(VALU_DEP_4)
	v_mad_u32 v3, v2, s51, v3
	v_mad_u32 v2, v2, s50, v1
	v_add_nc_u32_e32 v7, v6, v8
	s_delay_alu instid0(VALU_DEP_1) | instskip(NEXT) | instid1(VALU_DEP_1)
	v_dual_sub_nc_u32 v4, v5, v4 :: v_dual_lshrrev_b32 v1, s59, v7
	v_mad_u32 v3, v4, s53, v3
	s_delay_alu instid0(VALU_DEP_4) | instskip(NEXT) | instid1(VALU_DEP_3)
	v_mad_u32 v2, v4, s52, v2
	v_mul_lo_u32 v5, v1, s57
	s_delay_alu instid0(VALU_DEP_1) | instskip(NEXT) | instid1(VALU_DEP_1)
	v_sub_nc_u32_e32 v4, v6, v5
	v_mad_u32 v3, v4, s55, v3
	s_delay_alu instid0(VALU_DEP_4)
	v_mad_u32 v2, v4, s54, v2
	s_cbranch_scc0 .LBB221_160
	s_branch .LBB221_180
.LBB221_161:
                                        ; implicit-def: $vgpr3
	s_branch .LBB221_184
.LBB221_162:
	v_dual_mov_b32 v3, 0 :: v_dual_mov_b32 v2, 0
	s_branch .LBB221_183
.LBB221_163:
	v_mov_b64_e32 v[2:3], 0
	v_mov_b32_e32 v1, v0
	s_mov_b32 s22, 0
.LBB221_164:
	s_and_b32 s26, s23, 3
	s_mov_b32 s23, 0
	s_cmp_eq_u32 s26, 0
	s_cbranch_scc1 .LBB221_167
; %bb.165:
	s_lshl_b32 s24, s22, 3
	s_mov_b32 s25, s23
	s_mul_u64 s[38:39], s[22:23], 12
	s_add_nc_u64 s[24:25], s[12:13], s[24:25]
	s_delay_alu instid0(SALU_CYCLE_1)
	s_add_nc_u64 s[22:23], s[24:25], 0xc4
	s_add_nc_u64 s[24:25], s[12:13], s[38:39]
.LBB221_166:                            ; =>This Inner Loop Header: Depth=1
	s_load_b96 s[40:42], s[24:25], 0x4
	s_load_b64 s[38:39], s[22:23], 0x0
	s_add_co_i32 s26, s26, -1
	s_wait_xcnt 0x0
	s_add_nc_u64 s[24:25], s[24:25], 12
	s_cmp_lg_u32 s26, 0
	s_add_nc_u64 s[22:23], s[22:23], 8
	s_wait_kmcnt 0x0
	v_mul_hi_u32 v4, s41, v1
	s_delay_alu instid0(VALU_DEP_1) | instskip(NEXT) | instid1(VALU_DEP_1)
	v_add_nc_u32_e32 v4, v1, v4
	v_lshrrev_b32_e32 v4, s42, v4
	s_delay_alu instid0(VALU_DEP_1) | instskip(NEXT) | instid1(VALU_DEP_1)
	v_mul_lo_u32 v5, v4, s40
	v_sub_nc_u32_e32 v1, v1, v5
	s_delay_alu instid0(VALU_DEP_1)
	v_mad_u32 v3, v1, s39, v3
	v_mad_u32 v2, v1, s38, v2
	v_mov_b32_e32 v1, v4
	s_cbranch_scc1 .LBB221_166
.LBB221_167:
	s_cbranch_execnz .LBB221_170
.LBB221_168:
	v_mov_b32_e32 v1, 0
	s_and_not1_b32 vcc_lo, exec_lo, s33
	s_delay_alu instid0(VALU_DEP_1) | instskip(NEXT) | instid1(VALU_DEP_1)
	v_mul_u64_e32 v[2:3], s[14:15], v[0:1]
	v_add_nc_u32_e32 v2, v0, v3
	s_delay_alu instid0(VALU_DEP_1) | instskip(NEXT) | instid1(VALU_DEP_1)
	v_lshrrev_b32_e32 v4, s6, v2
	v_mul_lo_u32 v2, v4, s4
	s_delay_alu instid0(VALU_DEP_1) | instskip(NEXT) | instid1(VALU_DEP_1)
	v_sub_nc_u32_e32 v2, v0, v2
	v_mul_lo_u32 v3, v2, s9
	v_mul_lo_u32 v2, v2, s8
	s_cbranch_vccnz .LBB221_170
; %bb.169:
	v_mov_b32_e32 v5, v1
	s_delay_alu instid0(VALU_DEP_1) | instskip(NEXT) | instid1(VALU_DEP_1)
	v_mul_u64_e32 v[6:7], s[18:19], v[4:5]
	v_add_nc_u32_e32 v1, v4, v7
	s_delay_alu instid0(VALU_DEP_1) | instskip(NEXT) | instid1(VALU_DEP_1)
	v_lshrrev_b32_e32 v1, s17, v1
	v_mul_lo_u32 v1, v1, s7
	s_delay_alu instid0(VALU_DEP_1) | instskip(NEXT) | instid1(VALU_DEP_1)
	v_sub_nc_u32_e32 v1, v4, v1
	v_mad_u32 v2, v1, s10, v2
	v_mad_u32 v3, v1, s11, v3
.LBB221_170:
	global_load_u8 v1, v3, s[2:3]
	v_add_nc_u32_e32 v0, 0x80, v0
	s_wait_loadcnt 0x0
	v_cmp_ne_u16_e32 vcc_lo, 0, v1
	s_xor_b32 s22, vcc_lo, s5
	s_delay_alu instid0(SALU_CYCLE_1) | instskip(SKIP_3) | instid1(SALU_CYCLE_1)
	v_cndmask_b32_e64 v1, 0, 1, s22
	global_store_b8 v2, v1, s[0:1]
	s_wait_xcnt 0x0
	s_or_b32 exec_lo, exec_lo, s16
	s_mov_b32 s16, exec_lo
	v_cmpx_gt_i32_e64 s34, v0
	s_cbranch_execnz .LBB221_156
.LBB221_171:
	s_or_b32 exec_lo, exec_lo, s16
	s_delay_alu instid0(SALU_CYCLE_1)
	s_mov_b32 s16, exec_lo
	v_cmpx_gt_i32_e64 s34, v0
	s_cbranch_execz .LBB221_187
.LBB221_172:
	s_and_not1_b32 vcc_lo, exec_lo, s30
	s_cbranch_vccnz .LBB221_177
; %bb.173:
	s_and_not1_b32 vcc_lo, exec_lo, s36
	s_cbranch_vccnz .LBB221_178
; %bb.174:
	s_add_co_i32 s23, s35, 1
	s_cmp_eq_u32 s29, 2
	s_cbranch_scc1 .LBB221_195
; %bb.175:
	v_dual_mov_b32 v2, 0 :: v_dual_mov_b32 v3, 0
	v_mov_b32_e32 v1, v0
	s_and_b32 s22, s23, 28
	s_mov_b32 s37, 0
	s_mov_b64 s[24:25], s[12:13]
	s_mov_b64 s[26:27], s[20:21]
.LBB221_176:                            ; =>This Inner Loop Header: Depth=1
	s_clause 0x1
	s_load_b256 s[40:47], s[24:25], 0x4
	s_load_b128 s[56:59], s[24:25], 0x24
	s_load_b256 s[48:55], s[26:27], 0x0
	s_add_co_i32 s37, s37, 4
	s_wait_xcnt 0x0
	s_add_nc_u64 s[24:25], s[24:25], 48
	s_cmp_eq_u32 s22, s37
	s_add_nc_u64 s[26:27], s[26:27], 32
	s_wait_kmcnt 0x0
	v_mul_hi_u32 v4, s41, v1
	s_delay_alu instid0(VALU_DEP_1) | instskip(NEXT) | instid1(VALU_DEP_1)
	v_add_nc_u32_e32 v4, v1, v4
	v_lshrrev_b32_e32 v4, s42, v4
	s_delay_alu instid0(VALU_DEP_1) | instskip(NEXT) | instid1(VALU_DEP_1)
	v_mul_hi_u32 v5, s44, v4
	v_add_nc_u32_e32 v5, v4, v5
	s_delay_alu instid0(VALU_DEP_1) | instskip(NEXT) | instid1(VALU_DEP_1)
	v_lshrrev_b32_e32 v5, s45, v5
	v_mul_hi_u32 v6, s47, v5
	s_delay_alu instid0(VALU_DEP_1) | instskip(SKIP_1) | instid1(VALU_DEP_1)
	v_add_nc_u32_e32 v6, v5, v6
	v_mul_lo_u32 v7, v4, s40
	v_sub_nc_u32_e32 v1, v1, v7
	v_mul_lo_u32 v7, v5, s43
	s_delay_alu instid0(VALU_DEP_4) | instskip(NEXT) | instid1(VALU_DEP_3)
	v_lshrrev_b32_e32 v6, s56, v6
	v_mad_u32 v3, v1, s49, v3
	v_mad_u32 v1, v1, s48, v2
	s_delay_alu instid0(VALU_DEP_4) | instskip(NEXT) | instid1(VALU_DEP_4)
	v_sub_nc_u32_e32 v2, v4, v7
	v_mul_hi_u32 v8, s58, v6
	v_mul_lo_u32 v4, v6, s46
	s_delay_alu instid0(VALU_DEP_3) | instskip(SKIP_1) | instid1(VALU_DEP_4)
	v_mad_u32 v3, v2, s51, v3
	v_mad_u32 v2, v2, s50, v1
	v_add_nc_u32_e32 v7, v6, v8
	s_delay_alu instid0(VALU_DEP_1) | instskip(NEXT) | instid1(VALU_DEP_1)
	v_dual_sub_nc_u32 v4, v5, v4 :: v_dual_lshrrev_b32 v1, s59, v7
	v_mad_u32 v3, v4, s53, v3
	s_delay_alu instid0(VALU_DEP_4) | instskip(NEXT) | instid1(VALU_DEP_3)
	v_mad_u32 v2, v4, s52, v2
	v_mul_lo_u32 v5, v1, s57
	s_delay_alu instid0(VALU_DEP_1) | instskip(NEXT) | instid1(VALU_DEP_1)
	v_sub_nc_u32_e32 v4, v6, v5
	v_mad_u32 v3, v4, s55, v3
	s_delay_alu instid0(VALU_DEP_4)
	v_mad_u32 v2, v4, s54, v2
	s_cbranch_scc0 .LBB221_176
	s_branch .LBB221_196
.LBB221_177:
                                        ; implicit-def: $vgpr3
	s_branch .LBB221_200
.LBB221_178:
	v_dual_mov_b32 v3, 0 :: v_dual_mov_b32 v2, 0
	s_branch .LBB221_199
.LBB221_179:
	v_mov_b64_e32 v[2:3], 0
	v_mov_b32_e32 v1, v0
	s_mov_b32 s22, 0
.LBB221_180:
	s_and_b32 s26, s23, 3
	s_mov_b32 s23, 0
	s_cmp_eq_u32 s26, 0
	s_cbranch_scc1 .LBB221_183
; %bb.181:
	s_lshl_b32 s24, s22, 3
	s_mov_b32 s25, s23
	s_mul_u64 s[38:39], s[22:23], 12
	s_add_nc_u64 s[24:25], s[12:13], s[24:25]
	s_delay_alu instid0(SALU_CYCLE_1)
	s_add_nc_u64 s[22:23], s[24:25], 0xc4
	s_add_nc_u64 s[24:25], s[12:13], s[38:39]
.LBB221_182:                            ; =>This Inner Loop Header: Depth=1
	s_load_b96 s[40:42], s[24:25], 0x4
	s_load_b64 s[38:39], s[22:23], 0x0
	s_add_co_i32 s26, s26, -1
	s_wait_xcnt 0x0
	s_add_nc_u64 s[24:25], s[24:25], 12
	s_cmp_lg_u32 s26, 0
	s_add_nc_u64 s[22:23], s[22:23], 8
	s_wait_kmcnt 0x0
	v_mul_hi_u32 v4, s41, v1
	s_delay_alu instid0(VALU_DEP_1) | instskip(NEXT) | instid1(VALU_DEP_1)
	v_add_nc_u32_e32 v4, v1, v4
	v_lshrrev_b32_e32 v4, s42, v4
	s_delay_alu instid0(VALU_DEP_1) | instskip(NEXT) | instid1(VALU_DEP_1)
	v_mul_lo_u32 v5, v4, s40
	v_sub_nc_u32_e32 v1, v1, v5
	s_delay_alu instid0(VALU_DEP_1)
	v_mad_u32 v3, v1, s39, v3
	v_mad_u32 v2, v1, s38, v2
	v_mov_b32_e32 v1, v4
	s_cbranch_scc1 .LBB221_182
.LBB221_183:
	s_cbranch_execnz .LBB221_186
.LBB221_184:
	v_mov_b32_e32 v1, 0
	s_and_not1_b32 vcc_lo, exec_lo, s33
	s_delay_alu instid0(VALU_DEP_1) | instskip(NEXT) | instid1(VALU_DEP_1)
	v_mul_u64_e32 v[2:3], s[14:15], v[0:1]
	v_add_nc_u32_e32 v2, v0, v3
	s_delay_alu instid0(VALU_DEP_1) | instskip(NEXT) | instid1(VALU_DEP_1)
	v_lshrrev_b32_e32 v4, s6, v2
	v_mul_lo_u32 v2, v4, s4
	s_delay_alu instid0(VALU_DEP_1) | instskip(NEXT) | instid1(VALU_DEP_1)
	v_sub_nc_u32_e32 v2, v0, v2
	v_mul_lo_u32 v3, v2, s9
	v_mul_lo_u32 v2, v2, s8
	s_cbranch_vccnz .LBB221_186
; %bb.185:
	v_mov_b32_e32 v5, v1
	s_delay_alu instid0(VALU_DEP_1) | instskip(NEXT) | instid1(VALU_DEP_1)
	v_mul_u64_e32 v[6:7], s[18:19], v[4:5]
	v_add_nc_u32_e32 v1, v4, v7
	s_delay_alu instid0(VALU_DEP_1) | instskip(NEXT) | instid1(VALU_DEP_1)
	v_lshrrev_b32_e32 v1, s17, v1
	v_mul_lo_u32 v1, v1, s7
	s_delay_alu instid0(VALU_DEP_1) | instskip(NEXT) | instid1(VALU_DEP_1)
	v_sub_nc_u32_e32 v1, v4, v1
	v_mad_u32 v2, v1, s10, v2
	v_mad_u32 v3, v1, s11, v3
.LBB221_186:
	global_load_u8 v1, v3, s[2:3]
	v_add_nc_u32_e32 v0, 0x80, v0
	s_wait_loadcnt 0x0
	v_cmp_ne_u16_e32 vcc_lo, 0, v1
	s_xor_b32 s22, vcc_lo, s5
	s_delay_alu instid0(SALU_CYCLE_1) | instskip(SKIP_3) | instid1(SALU_CYCLE_1)
	v_cndmask_b32_e64 v1, 0, 1, s22
	global_store_b8 v2, v1, s[0:1]
	s_wait_xcnt 0x0
	s_or_b32 exec_lo, exec_lo, s16
	s_mov_b32 s16, exec_lo
	v_cmpx_gt_i32_e64 s34, v0
	s_cbranch_execnz .LBB221_172
.LBB221_187:
	s_or_b32 exec_lo, exec_lo, s16
	s_delay_alu instid0(SALU_CYCLE_1)
	s_mov_b32 s16, exec_lo
	v_cmpx_gt_i32_e64 s34, v0
	s_cbranch_execz .LBB221_203
.LBB221_188:
	s_and_not1_b32 vcc_lo, exec_lo, s30
	s_cbranch_vccnz .LBB221_193
; %bb.189:
	s_and_not1_b32 vcc_lo, exec_lo, s36
	s_cbranch_vccnz .LBB221_194
; %bb.190:
	s_add_co_i32 s23, s35, 1
	s_cmp_eq_u32 s29, 2
	s_cbranch_scc1 .LBB221_211
; %bb.191:
	v_dual_mov_b32 v2, 0 :: v_dual_mov_b32 v3, 0
	v_mov_b32_e32 v1, v0
	s_and_b32 s22, s23, 28
	s_mov_b32 s37, 0
	s_mov_b64 s[24:25], s[12:13]
	s_mov_b64 s[26:27], s[20:21]
.LBB221_192:                            ; =>This Inner Loop Header: Depth=1
	s_clause 0x1
	s_load_b256 s[40:47], s[24:25], 0x4
	s_load_b128 s[56:59], s[24:25], 0x24
	s_load_b256 s[48:55], s[26:27], 0x0
	s_add_co_i32 s37, s37, 4
	s_wait_xcnt 0x0
	s_add_nc_u64 s[24:25], s[24:25], 48
	s_cmp_eq_u32 s22, s37
	s_add_nc_u64 s[26:27], s[26:27], 32
	s_wait_kmcnt 0x0
	v_mul_hi_u32 v4, s41, v1
	s_delay_alu instid0(VALU_DEP_1) | instskip(NEXT) | instid1(VALU_DEP_1)
	v_add_nc_u32_e32 v4, v1, v4
	v_lshrrev_b32_e32 v4, s42, v4
	s_delay_alu instid0(VALU_DEP_1) | instskip(NEXT) | instid1(VALU_DEP_1)
	v_mul_hi_u32 v5, s44, v4
	v_add_nc_u32_e32 v5, v4, v5
	s_delay_alu instid0(VALU_DEP_1) | instskip(NEXT) | instid1(VALU_DEP_1)
	v_lshrrev_b32_e32 v5, s45, v5
	v_mul_hi_u32 v6, s47, v5
	s_delay_alu instid0(VALU_DEP_1) | instskip(SKIP_1) | instid1(VALU_DEP_1)
	v_add_nc_u32_e32 v6, v5, v6
	v_mul_lo_u32 v7, v4, s40
	v_sub_nc_u32_e32 v1, v1, v7
	v_mul_lo_u32 v7, v5, s43
	s_delay_alu instid0(VALU_DEP_4) | instskip(NEXT) | instid1(VALU_DEP_3)
	v_lshrrev_b32_e32 v6, s56, v6
	v_mad_u32 v3, v1, s49, v3
	v_mad_u32 v1, v1, s48, v2
	s_delay_alu instid0(VALU_DEP_4) | instskip(NEXT) | instid1(VALU_DEP_4)
	v_sub_nc_u32_e32 v2, v4, v7
	v_mul_hi_u32 v8, s58, v6
	v_mul_lo_u32 v4, v6, s46
	s_delay_alu instid0(VALU_DEP_3) | instskip(SKIP_1) | instid1(VALU_DEP_4)
	v_mad_u32 v3, v2, s51, v3
	v_mad_u32 v2, v2, s50, v1
	v_add_nc_u32_e32 v7, v6, v8
	s_delay_alu instid0(VALU_DEP_1) | instskip(NEXT) | instid1(VALU_DEP_1)
	v_dual_sub_nc_u32 v4, v5, v4 :: v_dual_lshrrev_b32 v1, s59, v7
	v_mad_u32 v3, v4, s53, v3
	s_delay_alu instid0(VALU_DEP_4) | instskip(NEXT) | instid1(VALU_DEP_3)
	v_mad_u32 v2, v4, s52, v2
	v_mul_lo_u32 v5, v1, s57
	s_delay_alu instid0(VALU_DEP_1) | instskip(NEXT) | instid1(VALU_DEP_1)
	v_sub_nc_u32_e32 v4, v6, v5
	v_mad_u32 v3, v4, s55, v3
	s_delay_alu instid0(VALU_DEP_4)
	v_mad_u32 v2, v4, s54, v2
	s_cbranch_scc0 .LBB221_192
	s_branch .LBB221_212
.LBB221_193:
                                        ; implicit-def: $vgpr3
	s_branch .LBB221_216
.LBB221_194:
	v_dual_mov_b32 v3, 0 :: v_dual_mov_b32 v2, 0
	s_branch .LBB221_215
.LBB221_195:
	v_mov_b64_e32 v[2:3], 0
	v_mov_b32_e32 v1, v0
	s_mov_b32 s22, 0
.LBB221_196:
	s_and_b32 s26, s23, 3
	s_mov_b32 s23, 0
	s_cmp_eq_u32 s26, 0
	s_cbranch_scc1 .LBB221_199
; %bb.197:
	s_lshl_b32 s24, s22, 3
	s_mov_b32 s25, s23
	s_mul_u64 s[38:39], s[22:23], 12
	s_add_nc_u64 s[24:25], s[12:13], s[24:25]
	s_delay_alu instid0(SALU_CYCLE_1)
	s_add_nc_u64 s[22:23], s[24:25], 0xc4
	s_add_nc_u64 s[24:25], s[12:13], s[38:39]
.LBB221_198:                            ; =>This Inner Loop Header: Depth=1
	s_load_b96 s[40:42], s[24:25], 0x4
	s_load_b64 s[38:39], s[22:23], 0x0
	s_add_co_i32 s26, s26, -1
	s_wait_xcnt 0x0
	s_add_nc_u64 s[24:25], s[24:25], 12
	s_cmp_lg_u32 s26, 0
	s_add_nc_u64 s[22:23], s[22:23], 8
	s_wait_kmcnt 0x0
	v_mul_hi_u32 v4, s41, v1
	s_delay_alu instid0(VALU_DEP_1) | instskip(NEXT) | instid1(VALU_DEP_1)
	v_add_nc_u32_e32 v4, v1, v4
	v_lshrrev_b32_e32 v4, s42, v4
	s_delay_alu instid0(VALU_DEP_1) | instskip(NEXT) | instid1(VALU_DEP_1)
	v_mul_lo_u32 v5, v4, s40
	v_sub_nc_u32_e32 v1, v1, v5
	s_delay_alu instid0(VALU_DEP_1)
	v_mad_u32 v3, v1, s39, v3
	v_mad_u32 v2, v1, s38, v2
	v_mov_b32_e32 v1, v4
	s_cbranch_scc1 .LBB221_198
.LBB221_199:
	s_cbranch_execnz .LBB221_202
.LBB221_200:
	v_mov_b32_e32 v1, 0
	s_and_not1_b32 vcc_lo, exec_lo, s33
	s_delay_alu instid0(VALU_DEP_1) | instskip(NEXT) | instid1(VALU_DEP_1)
	v_mul_u64_e32 v[2:3], s[14:15], v[0:1]
	v_add_nc_u32_e32 v2, v0, v3
	s_delay_alu instid0(VALU_DEP_1) | instskip(NEXT) | instid1(VALU_DEP_1)
	v_lshrrev_b32_e32 v4, s6, v2
	v_mul_lo_u32 v2, v4, s4
	s_delay_alu instid0(VALU_DEP_1) | instskip(NEXT) | instid1(VALU_DEP_1)
	v_sub_nc_u32_e32 v2, v0, v2
	v_mul_lo_u32 v3, v2, s9
	v_mul_lo_u32 v2, v2, s8
	s_cbranch_vccnz .LBB221_202
; %bb.201:
	v_mov_b32_e32 v5, v1
	s_delay_alu instid0(VALU_DEP_1) | instskip(NEXT) | instid1(VALU_DEP_1)
	v_mul_u64_e32 v[6:7], s[18:19], v[4:5]
	v_add_nc_u32_e32 v1, v4, v7
	s_delay_alu instid0(VALU_DEP_1) | instskip(NEXT) | instid1(VALU_DEP_1)
	v_lshrrev_b32_e32 v1, s17, v1
	v_mul_lo_u32 v1, v1, s7
	s_delay_alu instid0(VALU_DEP_1) | instskip(NEXT) | instid1(VALU_DEP_1)
	v_sub_nc_u32_e32 v1, v4, v1
	v_mad_u32 v2, v1, s10, v2
	v_mad_u32 v3, v1, s11, v3
.LBB221_202:
	global_load_u8 v1, v3, s[2:3]
	v_add_nc_u32_e32 v0, 0x80, v0
	s_wait_loadcnt 0x0
	v_cmp_ne_u16_e32 vcc_lo, 0, v1
	s_xor_b32 s22, vcc_lo, s5
	s_delay_alu instid0(SALU_CYCLE_1) | instskip(SKIP_3) | instid1(SALU_CYCLE_1)
	v_cndmask_b32_e64 v1, 0, 1, s22
	global_store_b8 v2, v1, s[0:1]
	s_wait_xcnt 0x0
	s_or_b32 exec_lo, exec_lo, s16
	s_mov_b32 s16, exec_lo
	v_cmpx_gt_i32_e64 s34, v0
	s_cbranch_execnz .LBB221_188
.LBB221_203:
	s_or_b32 exec_lo, exec_lo, s16
	s_delay_alu instid0(SALU_CYCLE_1)
	s_mov_b32 s16, exec_lo
	v_cmpx_gt_i32_e64 s34, v0
	s_cbranch_execz .LBB221_219
.LBB221_204:
	s_and_not1_b32 vcc_lo, exec_lo, s30
	s_cbranch_vccnz .LBB221_209
; %bb.205:
	s_and_not1_b32 vcc_lo, exec_lo, s36
	s_cbranch_vccnz .LBB221_210
; %bb.206:
	s_add_co_i32 s23, s35, 1
	s_cmp_eq_u32 s29, 2
	s_cbranch_scc1 .LBB221_222
; %bb.207:
	v_dual_mov_b32 v2, 0 :: v_dual_mov_b32 v3, 0
	v_mov_b32_e32 v1, v0
	s_and_b32 s22, s23, 28
	s_mov_b32 s37, 0
	s_mov_b64 s[24:25], s[12:13]
	s_mov_b64 s[26:27], s[20:21]
.LBB221_208:                            ; =>This Inner Loop Header: Depth=1
	s_clause 0x1
	s_load_b256 s[40:47], s[24:25], 0x4
	s_load_b128 s[56:59], s[24:25], 0x24
	s_load_b256 s[48:55], s[26:27], 0x0
	s_add_co_i32 s37, s37, 4
	s_wait_xcnt 0x0
	s_add_nc_u64 s[24:25], s[24:25], 48
	s_cmp_eq_u32 s22, s37
	s_add_nc_u64 s[26:27], s[26:27], 32
	s_wait_kmcnt 0x0
	v_mul_hi_u32 v4, s41, v1
	s_delay_alu instid0(VALU_DEP_1) | instskip(NEXT) | instid1(VALU_DEP_1)
	v_add_nc_u32_e32 v4, v1, v4
	v_lshrrev_b32_e32 v4, s42, v4
	s_delay_alu instid0(VALU_DEP_1) | instskip(NEXT) | instid1(VALU_DEP_1)
	v_mul_hi_u32 v5, s44, v4
	v_add_nc_u32_e32 v5, v4, v5
	s_delay_alu instid0(VALU_DEP_1) | instskip(NEXT) | instid1(VALU_DEP_1)
	v_lshrrev_b32_e32 v5, s45, v5
	v_mul_hi_u32 v6, s47, v5
	s_delay_alu instid0(VALU_DEP_1) | instskip(SKIP_1) | instid1(VALU_DEP_1)
	v_add_nc_u32_e32 v6, v5, v6
	v_mul_lo_u32 v7, v4, s40
	v_sub_nc_u32_e32 v1, v1, v7
	v_mul_lo_u32 v7, v5, s43
	s_delay_alu instid0(VALU_DEP_4) | instskip(NEXT) | instid1(VALU_DEP_3)
	v_lshrrev_b32_e32 v6, s56, v6
	v_mad_u32 v3, v1, s49, v3
	v_mad_u32 v1, v1, s48, v2
	s_delay_alu instid0(VALU_DEP_4) | instskip(NEXT) | instid1(VALU_DEP_4)
	v_sub_nc_u32_e32 v2, v4, v7
	v_mul_hi_u32 v8, s58, v6
	v_mul_lo_u32 v4, v6, s46
	s_delay_alu instid0(VALU_DEP_3) | instskip(SKIP_1) | instid1(VALU_DEP_4)
	v_mad_u32 v3, v2, s51, v3
	v_mad_u32 v2, v2, s50, v1
	v_add_nc_u32_e32 v7, v6, v8
	s_delay_alu instid0(VALU_DEP_1) | instskip(NEXT) | instid1(VALU_DEP_1)
	v_dual_sub_nc_u32 v4, v5, v4 :: v_dual_lshrrev_b32 v1, s59, v7
	v_mad_u32 v3, v4, s53, v3
	s_delay_alu instid0(VALU_DEP_4) | instskip(NEXT) | instid1(VALU_DEP_3)
	v_mad_u32 v2, v4, s52, v2
	v_mul_lo_u32 v5, v1, s57
	s_delay_alu instid0(VALU_DEP_1) | instskip(NEXT) | instid1(VALU_DEP_1)
	v_sub_nc_u32_e32 v4, v6, v5
	v_mad_u32 v3, v4, s55, v3
	s_delay_alu instid0(VALU_DEP_4)
	v_mad_u32 v2, v4, s54, v2
	s_cbranch_scc0 .LBB221_208
	s_branch .LBB221_223
.LBB221_209:
                                        ; implicit-def: $vgpr3
	s_branch .LBB221_227
.LBB221_210:
	v_dual_mov_b32 v3, 0 :: v_dual_mov_b32 v2, 0
	s_branch .LBB221_226
.LBB221_211:
	v_mov_b64_e32 v[2:3], 0
	v_mov_b32_e32 v1, v0
	s_mov_b32 s22, 0
.LBB221_212:
	s_and_b32 s26, s23, 3
	s_mov_b32 s23, 0
	s_cmp_eq_u32 s26, 0
	s_cbranch_scc1 .LBB221_215
; %bb.213:
	s_lshl_b32 s24, s22, 3
	s_mov_b32 s25, s23
	s_mul_u64 s[38:39], s[22:23], 12
	s_add_nc_u64 s[24:25], s[12:13], s[24:25]
	s_delay_alu instid0(SALU_CYCLE_1)
	s_add_nc_u64 s[22:23], s[24:25], 0xc4
	s_add_nc_u64 s[24:25], s[12:13], s[38:39]
.LBB221_214:                            ; =>This Inner Loop Header: Depth=1
	s_load_b96 s[40:42], s[24:25], 0x4
	s_load_b64 s[38:39], s[22:23], 0x0
	s_add_co_i32 s26, s26, -1
	s_wait_xcnt 0x0
	s_add_nc_u64 s[24:25], s[24:25], 12
	s_cmp_lg_u32 s26, 0
	s_add_nc_u64 s[22:23], s[22:23], 8
	s_wait_kmcnt 0x0
	v_mul_hi_u32 v4, s41, v1
	s_delay_alu instid0(VALU_DEP_1) | instskip(NEXT) | instid1(VALU_DEP_1)
	v_add_nc_u32_e32 v4, v1, v4
	v_lshrrev_b32_e32 v4, s42, v4
	s_delay_alu instid0(VALU_DEP_1) | instskip(NEXT) | instid1(VALU_DEP_1)
	v_mul_lo_u32 v5, v4, s40
	v_sub_nc_u32_e32 v1, v1, v5
	s_delay_alu instid0(VALU_DEP_1)
	v_mad_u32 v3, v1, s39, v3
	v_mad_u32 v2, v1, s38, v2
	v_mov_b32_e32 v1, v4
	s_cbranch_scc1 .LBB221_214
.LBB221_215:
	s_cbranch_execnz .LBB221_218
.LBB221_216:
	v_mov_b32_e32 v1, 0
	s_and_not1_b32 vcc_lo, exec_lo, s33
	s_delay_alu instid0(VALU_DEP_1) | instskip(NEXT) | instid1(VALU_DEP_1)
	v_mul_u64_e32 v[2:3], s[14:15], v[0:1]
	v_add_nc_u32_e32 v2, v0, v3
	s_delay_alu instid0(VALU_DEP_1) | instskip(NEXT) | instid1(VALU_DEP_1)
	v_lshrrev_b32_e32 v4, s6, v2
	v_mul_lo_u32 v2, v4, s4
	s_delay_alu instid0(VALU_DEP_1) | instskip(NEXT) | instid1(VALU_DEP_1)
	v_sub_nc_u32_e32 v2, v0, v2
	v_mul_lo_u32 v3, v2, s9
	v_mul_lo_u32 v2, v2, s8
	s_cbranch_vccnz .LBB221_218
; %bb.217:
	v_mov_b32_e32 v5, v1
	s_delay_alu instid0(VALU_DEP_1) | instskip(NEXT) | instid1(VALU_DEP_1)
	v_mul_u64_e32 v[6:7], s[18:19], v[4:5]
	v_add_nc_u32_e32 v1, v4, v7
	s_delay_alu instid0(VALU_DEP_1) | instskip(NEXT) | instid1(VALU_DEP_1)
	v_lshrrev_b32_e32 v1, s17, v1
	v_mul_lo_u32 v1, v1, s7
	s_delay_alu instid0(VALU_DEP_1) | instskip(NEXT) | instid1(VALU_DEP_1)
	v_sub_nc_u32_e32 v1, v4, v1
	v_mad_u32 v2, v1, s10, v2
	v_mad_u32 v3, v1, s11, v3
.LBB221_218:
	global_load_u8 v1, v3, s[2:3]
	v_add_nc_u32_e32 v0, 0x80, v0
	s_wait_loadcnt 0x0
	v_cmp_ne_u16_e32 vcc_lo, 0, v1
	s_xor_b32 s22, vcc_lo, s5
	s_delay_alu instid0(SALU_CYCLE_1) | instskip(SKIP_3) | instid1(SALU_CYCLE_1)
	v_cndmask_b32_e64 v1, 0, 1, s22
	global_store_b8 v2, v1, s[0:1]
	s_wait_xcnt 0x0
	s_or_b32 exec_lo, exec_lo, s16
	s_mov_b32 s16, exec_lo
	v_cmpx_gt_i32_e64 s34, v0
	s_cbranch_execnz .LBB221_204
.LBB221_219:
	s_or_b32 exec_lo, exec_lo, s16
	s_delay_alu instid0(SALU_CYCLE_1)
	s_mov_b32 s16, exec_lo
	v_cmpx_gt_i32_e64 s34, v0
	s_cbranch_execnz .LBB221_230
.LBB221_220:
	s_or_b32 exec_lo, exec_lo, s16
                                        ; implicit-def: $vgpr16
                                        ; implicit-def: $vgpr0
	s_and_not1_saveexec_b32 s0, s31
	s_cbranch_execnz .LBB221_8
.LBB221_221:
	s_endpgm
.LBB221_222:
	v_mov_b64_e32 v[2:3], 0
	v_mov_b32_e32 v1, v0
	s_mov_b32 s22, 0
.LBB221_223:
	s_and_b32 s26, s23, 3
	s_mov_b32 s23, 0
	s_cmp_eq_u32 s26, 0
	s_cbranch_scc1 .LBB221_226
; %bb.224:
	s_lshl_b32 s24, s22, 3
	s_mov_b32 s25, s23
	s_mul_u64 s[38:39], s[22:23], 12
	s_add_nc_u64 s[24:25], s[12:13], s[24:25]
	s_delay_alu instid0(SALU_CYCLE_1)
	s_add_nc_u64 s[22:23], s[24:25], 0xc4
	s_add_nc_u64 s[24:25], s[12:13], s[38:39]
.LBB221_225:                            ; =>This Inner Loop Header: Depth=1
	s_load_b96 s[40:42], s[24:25], 0x4
	s_load_b64 s[38:39], s[22:23], 0x0
	s_add_co_i32 s26, s26, -1
	s_wait_xcnt 0x0
	s_add_nc_u64 s[24:25], s[24:25], 12
	s_cmp_lg_u32 s26, 0
	s_add_nc_u64 s[22:23], s[22:23], 8
	s_wait_kmcnt 0x0
	v_mul_hi_u32 v4, s41, v1
	s_delay_alu instid0(VALU_DEP_1) | instskip(NEXT) | instid1(VALU_DEP_1)
	v_add_nc_u32_e32 v4, v1, v4
	v_lshrrev_b32_e32 v4, s42, v4
	s_delay_alu instid0(VALU_DEP_1) | instskip(NEXT) | instid1(VALU_DEP_1)
	v_mul_lo_u32 v5, v4, s40
	v_sub_nc_u32_e32 v1, v1, v5
	s_delay_alu instid0(VALU_DEP_1)
	v_mad_u32 v3, v1, s39, v3
	v_mad_u32 v2, v1, s38, v2
	v_mov_b32_e32 v1, v4
	s_cbranch_scc1 .LBB221_225
.LBB221_226:
	s_cbranch_execnz .LBB221_229
.LBB221_227:
	v_mov_b32_e32 v1, 0
	s_and_not1_b32 vcc_lo, exec_lo, s33
	s_delay_alu instid0(VALU_DEP_1) | instskip(NEXT) | instid1(VALU_DEP_1)
	v_mul_u64_e32 v[2:3], s[14:15], v[0:1]
	v_add_nc_u32_e32 v2, v0, v3
	s_delay_alu instid0(VALU_DEP_1) | instskip(NEXT) | instid1(VALU_DEP_1)
	v_lshrrev_b32_e32 v4, s6, v2
	v_mul_lo_u32 v2, v4, s4
	s_delay_alu instid0(VALU_DEP_1) | instskip(NEXT) | instid1(VALU_DEP_1)
	v_sub_nc_u32_e32 v2, v0, v2
	v_mul_lo_u32 v3, v2, s9
	v_mul_lo_u32 v2, v2, s8
	s_cbranch_vccnz .LBB221_229
; %bb.228:
	v_mov_b32_e32 v5, v1
	s_delay_alu instid0(VALU_DEP_1) | instskip(NEXT) | instid1(VALU_DEP_1)
	v_mul_u64_e32 v[6:7], s[18:19], v[4:5]
	v_add_nc_u32_e32 v1, v4, v7
	s_delay_alu instid0(VALU_DEP_1) | instskip(NEXT) | instid1(VALU_DEP_1)
	v_lshrrev_b32_e32 v1, s17, v1
	v_mul_lo_u32 v1, v1, s7
	s_delay_alu instid0(VALU_DEP_1) | instskip(NEXT) | instid1(VALU_DEP_1)
	v_sub_nc_u32_e32 v1, v4, v1
	v_mad_u32 v2, v1, s10, v2
	v_mad_u32 v3, v1, s11, v3
.LBB221_229:
	global_load_u8 v1, v3, s[2:3]
	v_add_nc_u32_e32 v0, 0x80, v0
	s_wait_loadcnt 0x0
	v_cmp_ne_u16_e32 vcc_lo, 0, v1
	s_xor_b32 s22, vcc_lo, s5
	s_delay_alu instid0(SALU_CYCLE_1) | instskip(SKIP_3) | instid1(SALU_CYCLE_1)
	v_cndmask_b32_e64 v1, 0, 1, s22
	global_store_b8 v2, v1, s[0:1]
	s_wait_xcnt 0x0
	s_or_b32 exec_lo, exec_lo, s16
	s_mov_b32 s16, exec_lo
	v_cmpx_gt_i32_e64 s34, v0
	s_cbranch_execz .LBB221_220
.LBB221_230:
	s_and_not1_b32 vcc_lo, exec_lo, s30
	s_cbranch_vccnz .LBB221_235
; %bb.231:
	s_and_not1_b32 vcc_lo, exec_lo, s36
	s_cbranch_vccnz .LBB221_236
; %bb.232:
	s_add_co_i32 s35, s35, 1
	s_cmp_eq_u32 s29, 2
	s_cbranch_scc1 .LBB221_237
; %bb.233:
	v_dual_mov_b32 v2, 0 :: v_dual_mov_b32 v3, 0
	v_mov_b32_e32 v1, v0
	s_and_b32 s22, s35, 28
	s_mov_b32 s23, 0
	s_mov_b64 s[24:25], s[12:13]
.LBB221_234:                            ; =>This Inner Loop Header: Depth=1
	s_clause 0x1
	s_load_b256 s[36:43], s[24:25], 0x4
	s_load_b128 s[52:55], s[24:25], 0x24
	s_load_b256 s[44:51], s[20:21], 0x0
	s_add_co_i32 s23, s23, 4
	s_wait_xcnt 0x0
	s_add_nc_u64 s[24:25], s[24:25], 48
	s_cmp_eq_u32 s22, s23
	s_add_nc_u64 s[20:21], s[20:21], 32
	s_wait_kmcnt 0x0
	v_mul_hi_u32 v4, s37, v1
	s_delay_alu instid0(VALU_DEP_1) | instskip(NEXT) | instid1(VALU_DEP_1)
	v_add_nc_u32_e32 v4, v1, v4
	v_lshrrev_b32_e32 v4, s38, v4
	s_delay_alu instid0(VALU_DEP_1) | instskip(NEXT) | instid1(VALU_DEP_1)
	v_mul_hi_u32 v5, s40, v4
	v_add_nc_u32_e32 v5, v4, v5
	s_delay_alu instid0(VALU_DEP_1) | instskip(NEXT) | instid1(VALU_DEP_1)
	v_lshrrev_b32_e32 v5, s41, v5
	v_mul_hi_u32 v6, s43, v5
	s_delay_alu instid0(VALU_DEP_1) | instskip(SKIP_1) | instid1(VALU_DEP_1)
	v_add_nc_u32_e32 v6, v5, v6
	v_mul_lo_u32 v7, v4, s36
	v_sub_nc_u32_e32 v1, v1, v7
	v_mul_lo_u32 v7, v5, s39
	s_delay_alu instid0(VALU_DEP_4) | instskip(NEXT) | instid1(VALU_DEP_3)
	v_lshrrev_b32_e32 v6, s52, v6
	v_mad_u32 v3, v1, s45, v3
	v_mad_u32 v1, v1, s44, v2
	s_delay_alu instid0(VALU_DEP_4) | instskip(NEXT) | instid1(VALU_DEP_4)
	v_sub_nc_u32_e32 v2, v4, v7
	v_mul_hi_u32 v8, s54, v6
	v_mul_lo_u32 v4, v6, s42
	s_delay_alu instid0(VALU_DEP_3) | instskip(SKIP_1) | instid1(VALU_DEP_4)
	v_mad_u32 v3, v2, s47, v3
	v_mad_u32 v2, v2, s46, v1
	v_add_nc_u32_e32 v7, v6, v8
	s_delay_alu instid0(VALU_DEP_1) | instskip(NEXT) | instid1(VALU_DEP_1)
	v_dual_sub_nc_u32 v4, v5, v4 :: v_dual_lshrrev_b32 v1, s55, v7
	v_mad_u32 v3, v4, s49, v3
	s_delay_alu instid0(VALU_DEP_4) | instskip(NEXT) | instid1(VALU_DEP_3)
	v_mad_u32 v2, v4, s48, v2
	v_mul_lo_u32 v5, v1, s53
	s_delay_alu instid0(VALU_DEP_1) | instskip(NEXT) | instid1(VALU_DEP_1)
	v_sub_nc_u32_e32 v4, v6, v5
	v_mad_u32 v3, v4, s51, v3
	s_delay_alu instid0(VALU_DEP_4)
	v_mad_u32 v2, v4, s50, v2
	s_cbranch_scc0 .LBB221_234
	s_branch .LBB221_238
.LBB221_235:
                                        ; implicit-def: $vgpr3
	s_branch .LBB221_242
.LBB221_236:
	v_dual_mov_b32 v3, 0 :: v_dual_mov_b32 v2, 0
	s_branch .LBB221_241
.LBB221_237:
	v_mov_b64_e32 v[2:3], 0
	v_mov_b32_e32 v1, v0
	s_mov_b32 s22, 0
.LBB221_238:
	s_and_b32 s24, s35, 3
	s_mov_b32 s23, 0
	s_cmp_eq_u32 s24, 0
	s_cbranch_scc1 .LBB221_241
; %bb.239:
	s_lshl_b32 s20, s22, 3
	s_mov_b32 s21, s23
	s_mul_u64 s[22:23], s[22:23], 12
	s_add_nc_u64 s[20:21], s[12:13], s[20:21]
	s_add_nc_u64 s[22:23], s[12:13], s[22:23]
	;; [unrolled: 1-line block ×3, first 2 shown]
.LBB221_240:                            ; =>This Inner Loop Header: Depth=1
	s_load_b96 s[36:38], s[22:23], 0x4
	s_load_b64 s[26:27], s[20:21], 0x0
	s_add_co_i32 s24, s24, -1
	s_wait_xcnt 0x0
	s_add_nc_u64 s[22:23], s[22:23], 12
	s_cmp_lg_u32 s24, 0
	s_add_nc_u64 s[20:21], s[20:21], 8
	s_wait_kmcnt 0x0
	v_mul_hi_u32 v4, s37, v1
	s_delay_alu instid0(VALU_DEP_1) | instskip(NEXT) | instid1(VALU_DEP_1)
	v_add_nc_u32_e32 v4, v1, v4
	v_lshrrev_b32_e32 v4, s38, v4
	s_delay_alu instid0(VALU_DEP_1) | instskip(NEXT) | instid1(VALU_DEP_1)
	v_mul_lo_u32 v5, v4, s36
	v_sub_nc_u32_e32 v1, v1, v5
	s_delay_alu instid0(VALU_DEP_1)
	v_mad_u32 v3, v1, s27, v3
	v_mad_u32 v2, v1, s26, v2
	v_mov_b32_e32 v1, v4
	s_cbranch_scc1 .LBB221_240
.LBB221_241:
	s_cbranch_execnz .LBB221_244
.LBB221_242:
	v_mov_b32_e32 v1, 0
	s_and_not1_b32 vcc_lo, exec_lo, s33
	s_delay_alu instid0(VALU_DEP_1) | instskip(NEXT) | instid1(VALU_DEP_1)
	v_mul_u64_e32 v[2:3], s[14:15], v[0:1]
	v_add_nc_u32_e32 v2, v0, v3
	s_delay_alu instid0(VALU_DEP_1) | instskip(NEXT) | instid1(VALU_DEP_1)
	v_lshrrev_b32_e32 v4, s6, v2
	v_mul_lo_u32 v2, v4, s4
	s_delay_alu instid0(VALU_DEP_1) | instskip(NEXT) | instid1(VALU_DEP_1)
	v_sub_nc_u32_e32 v0, v0, v2
	v_mul_lo_u32 v3, v0, s9
	v_mul_lo_u32 v2, v0, s8
	s_cbranch_vccnz .LBB221_244
; %bb.243:
	v_mov_b32_e32 v5, v1
	s_delay_alu instid0(VALU_DEP_1) | instskip(NEXT) | instid1(VALU_DEP_1)
	v_mul_u64_e32 v[0:1], s[18:19], v[4:5]
	v_add_nc_u32_e32 v0, v4, v1
	s_delay_alu instid0(VALU_DEP_1) | instskip(NEXT) | instid1(VALU_DEP_1)
	v_lshrrev_b32_e32 v0, s17, v0
	v_mul_lo_u32 v0, v0, s7
	s_delay_alu instid0(VALU_DEP_1) | instskip(NEXT) | instid1(VALU_DEP_1)
	v_sub_nc_u32_e32 v0, v4, v0
	v_mad_u32 v2, v0, s10, v2
	v_mad_u32 v3, v0, s11, v3
.LBB221_244:
	global_load_u8 v0, v3, s[2:3]
	s_wait_loadcnt 0x0
	v_cmp_ne_u16_e32 vcc_lo, 0, v0
	s_wait_xcnt 0x0
	s_xor_b32 s2, vcc_lo, s5
	s_delay_alu instid0(SALU_CYCLE_1)
	v_cndmask_b32_e64 v0, 0, 1, s2
	global_store_b8 v2, v0, s[0:1]
	s_wait_xcnt 0x0
	s_or_b32 exec_lo, exec_lo, s16
                                        ; implicit-def: $vgpr16
                                        ; implicit-def: $vgpr0
	s_and_not1_saveexec_b32 s0, s31
	s_cbranch_execz .LBB221_221
	s_branch .LBB221_8
	.section	.rodata,"a",@progbits
	.p2align	6, 0x0
	.amdhsa_kernel _ZN2at6native32elementwise_kernel_manual_unrollILi128ELi8EZNS0_22gpu_kernel_impl_nocastINS0_13AUnaryFunctorIbbbNS0_12_GLOBAL__N_116CompareEqFunctorIbEEEEEEvRNS_18TensorIteratorBaseERKT_EUlibE_EEviT1_
		.amdhsa_group_segment_fixed_size 0
		.amdhsa_private_segment_fixed_size 0
		.amdhsa_kernarg_size 360
		.amdhsa_user_sgpr_count 2
		.amdhsa_user_sgpr_dispatch_ptr 0
		.amdhsa_user_sgpr_queue_ptr 0
		.amdhsa_user_sgpr_kernarg_segment_ptr 1
		.amdhsa_user_sgpr_dispatch_id 0
		.amdhsa_user_sgpr_kernarg_preload_length 0
		.amdhsa_user_sgpr_kernarg_preload_offset 0
		.amdhsa_user_sgpr_private_segment_size 0
		.amdhsa_wavefront_size32 1
		.amdhsa_uses_dynamic_stack 0
		.amdhsa_enable_private_segment 0
		.amdhsa_system_sgpr_workgroup_id_x 1
		.amdhsa_system_sgpr_workgroup_id_y 0
		.amdhsa_system_sgpr_workgroup_id_z 0
		.amdhsa_system_sgpr_workgroup_info 0
		.amdhsa_system_vgpr_workitem_id 0
		.amdhsa_next_free_vgpr 24
		.amdhsa_next_free_sgpr 60
		.amdhsa_named_barrier_count 0
		.amdhsa_reserve_vcc 1
		.amdhsa_float_round_mode_32 0
		.amdhsa_float_round_mode_16_64 0
		.amdhsa_float_denorm_mode_32 3
		.amdhsa_float_denorm_mode_16_64 3
		.amdhsa_fp16_overflow 0
		.amdhsa_memory_ordered 1
		.amdhsa_forward_progress 1
		.amdhsa_inst_pref_size 99
		.amdhsa_round_robin_scheduling 0
		.amdhsa_exception_fp_ieee_invalid_op 0
		.amdhsa_exception_fp_denorm_src 0
		.amdhsa_exception_fp_ieee_div_zero 0
		.amdhsa_exception_fp_ieee_overflow 0
		.amdhsa_exception_fp_ieee_underflow 0
		.amdhsa_exception_fp_ieee_inexact 0
		.amdhsa_exception_int_div_zero 0
	.end_amdhsa_kernel
	.section	.text._ZN2at6native32elementwise_kernel_manual_unrollILi128ELi8EZNS0_22gpu_kernel_impl_nocastINS0_13AUnaryFunctorIbbbNS0_12_GLOBAL__N_116CompareEqFunctorIbEEEEEEvRNS_18TensorIteratorBaseERKT_EUlibE_EEviT1_,"axG",@progbits,_ZN2at6native32elementwise_kernel_manual_unrollILi128ELi8EZNS0_22gpu_kernel_impl_nocastINS0_13AUnaryFunctorIbbbNS0_12_GLOBAL__N_116CompareEqFunctorIbEEEEEEvRNS_18TensorIteratorBaseERKT_EUlibE_EEviT1_,comdat
.Lfunc_end221:
	.size	_ZN2at6native32elementwise_kernel_manual_unrollILi128ELi8EZNS0_22gpu_kernel_impl_nocastINS0_13AUnaryFunctorIbbbNS0_12_GLOBAL__N_116CompareEqFunctorIbEEEEEEvRNS_18TensorIteratorBaseERKT_EUlibE_EEviT1_, .Lfunc_end221-_ZN2at6native32elementwise_kernel_manual_unrollILi128ELi8EZNS0_22gpu_kernel_impl_nocastINS0_13AUnaryFunctorIbbbNS0_12_GLOBAL__N_116CompareEqFunctorIbEEEEEEvRNS_18TensorIteratorBaseERKT_EUlibE_EEviT1_
                                        ; -- End function
	.set _ZN2at6native32elementwise_kernel_manual_unrollILi128ELi8EZNS0_22gpu_kernel_impl_nocastINS0_13AUnaryFunctorIbbbNS0_12_GLOBAL__N_116CompareEqFunctorIbEEEEEEvRNS_18TensorIteratorBaseERKT_EUlibE_EEviT1_.num_vgpr, 24
	.set _ZN2at6native32elementwise_kernel_manual_unrollILi128ELi8EZNS0_22gpu_kernel_impl_nocastINS0_13AUnaryFunctorIbbbNS0_12_GLOBAL__N_116CompareEqFunctorIbEEEEEEvRNS_18TensorIteratorBaseERKT_EUlibE_EEviT1_.num_agpr, 0
	.set _ZN2at6native32elementwise_kernel_manual_unrollILi128ELi8EZNS0_22gpu_kernel_impl_nocastINS0_13AUnaryFunctorIbbbNS0_12_GLOBAL__N_116CompareEqFunctorIbEEEEEEvRNS_18TensorIteratorBaseERKT_EUlibE_EEviT1_.numbered_sgpr, 60
	.set _ZN2at6native32elementwise_kernel_manual_unrollILi128ELi8EZNS0_22gpu_kernel_impl_nocastINS0_13AUnaryFunctorIbbbNS0_12_GLOBAL__N_116CompareEqFunctorIbEEEEEEvRNS_18TensorIteratorBaseERKT_EUlibE_EEviT1_.num_named_barrier, 0
	.set _ZN2at6native32elementwise_kernel_manual_unrollILi128ELi8EZNS0_22gpu_kernel_impl_nocastINS0_13AUnaryFunctorIbbbNS0_12_GLOBAL__N_116CompareEqFunctorIbEEEEEEvRNS_18TensorIteratorBaseERKT_EUlibE_EEviT1_.private_seg_size, 0
	.set _ZN2at6native32elementwise_kernel_manual_unrollILi128ELi8EZNS0_22gpu_kernel_impl_nocastINS0_13AUnaryFunctorIbbbNS0_12_GLOBAL__N_116CompareEqFunctorIbEEEEEEvRNS_18TensorIteratorBaseERKT_EUlibE_EEviT1_.uses_vcc, 1
	.set _ZN2at6native32elementwise_kernel_manual_unrollILi128ELi8EZNS0_22gpu_kernel_impl_nocastINS0_13AUnaryFunctorIbbbNS0_12_GLOBAL__N_116CompareEqFunctorIbEEEEEEvRNS_18TensorIteratorBaseERKT_EUlibE_EEviT1_.uses_flat_scratch, 0
	.set _ZN2at6native32elementwise_kernel_manual_unrollILi128ELi8EZNS0_22gpu_kernel_impl_nocastINS0_13AUnaryFunctorIbbbNS0_12_GLOBAL__N_116CompareEqFunctorIbEEEEEEvRNS_18TensorIteratorBaseERKT_EUlibE_EEviT1_.has_dyn_sized_stack, 0
	.set _ZN2at6native32elementwise_kernel_manual_unrollILi128ELi8EZNS0_22gpu_kernel_impl_nocastINS0_13AUnaryFunctorIbbbNS0_12_GLOBAL__N_116CompareEqFunctorIbEEEEEEvRNS_18TensorIteratorBaseERKT_EUlibE_EEviT1_.has_recursion, 0
	.set _ZN2at6native32elementwise_kernel_manual_unrollILi128ELi8EZNS0_22gpu_kernel_impl_nocastINS0_13AUnaryFunctorIbbbNS0_12_GLOBAL__N_116CompareEqFunctorIbEEEEEEvRNS_18TensorIteratorBaseERKT_EUlibE_EEviT1_.has_indirect_call, 0
	.section	.AMDGPU.csdata,"",@progbits
; Kernel info:
; codeLenInByte = 12668
; TotalNumSgprs: 62
; NumVgprs: 24
; ScratchSize: 0
; MemoryBound: 0
; FloatMode: 240
; IeeeMode: 1
; LDSByteSize: 0 bytes/workgroup (compile time only)
; SGPRBlocks: 0
; VGPRBlocks: 1
; NumSGPRsForWavesPerEU: 62
; NumVGPRsForWavesPerEU: 24
; NamedBarCnt: 0
; Occupancy: 16
; WaveLimiterHint : 1
; COMPUTE_PGM_RSRC2:SCRATCH_EN: 0
; COMPUTE_PGM_RSRC2:USER_SGPR: 2
; COMPUTE_PGM_RSRC2:TRAP_HANDLER: 0
; COMPUTE_PGM_RSRC2:TGID_X_EN: 1
; COMPUTE_PGM_RSRC2:TGID_Y_EN: 0
; COMPUTE_PGM_RSRC2:TGID_Z_EN: 0
; COMPUTE_PGM_RSRC2:TIDIG_COMP_CNT: 0
	.section	.text._ZN2at6native32elementwise_kernel_manual_unrollILi128ELi4EZNS0_15gpu_kernel_implINS0_13AUnaryFunctorIbbbNS0_12_GLOBAL__N_116CompareEqFunctorIbEEEEEEvRNS_18TensorIteratorBaseERKT_EUlibE_EEviT1_,"axG",@progbits,_ZN2at6native32elementwise_kernel_manual_unrollILi128ELi4EZNS0_15gpu_kernel_implINS0_13AUnaryFunctorIbbbNS0_12_GLOBAL__N_116CompareEqFunctorIbEEEEEEvRNS_18TensorIteratorBaseERKT_EUlibE_EEviT1_,comdat
	.globl	_ZN2at6native32elementwise_kernel_manual_unrollILi128ELi4EZNS0_15gpu_kernel_implINS0_13AUnaryFunctorIbbbNS0_12_GLOBAL__N_116CompareEqFunctorIbEEEEEEvRNS_18TensorIteratorBaseERKT_EUlibE_EEviT1_ ; -- Begin function _ZN2at6native32elementwise_kernel_manual_unrollILi128ELi4EZNS0_15gpu_kernel_implINS0_13AUnaryFunctorIbbbNS0_12_GLOBAL__N_116CompareEqFunctorIbEEEEEEvRNS_18TensorIteratorBaseERKT_EUlibE_EEviT1_
	.p2align	8
	.type	_ZN2at6native32elementwise_kernel_manual_unrollILi128ELi4EZNS0_15gpu_kernel_implINS0_13AUnaryFunctorIbbbNS0_12_GLOBAL__N_116CompareEqFunctorIbEEEEEEvRNS_18TensorIteratorBaseERKT_EUlibE_EEviT1_,@function
_ZN2at6native32elementwise_kernel_manual_unrollILi128ELi4EZNS0_15gpu_kernel_implINS0_13AUnaryFunctorIbbbNS0_12_GLOBAL__N_116CompareEqFunctorIbEEEEEEvRNS_18TensorIteratorBaseERKT_EUlibE_EEviT1_: ; @_ZN2at6native32elementwise_kernel_manual_unrollILi128ELi4EZNS0_15gpu_kernel_implINS0_13AUnaryFunctorIbbbNS0_12_GLOBAL__N_116CompareEqFunctorIbEEEEEEvRNS_18TensorIteratorBaseERKT_EUlibE_EEviT1_
; %bb.0:
	s_load_b32 s2, s[0:1], 0x28
	s_bfe_u32 s3, ttmp6, 0x4000c
	s_clause 0x1
	s_load_b32 s14, s[0:1], 0x0
	s_load_b256 s[4:11], s[0:1], 0x8
	s_add_co_i32 s3, s3, 1
	s_and_b32 s12, ttmp6, 15
	s_wait_xcnt 0x0
	s_mul_i32 s0, ttmp9, s3
	s_getreg_b32 s13, hwreg(HW_REG_IB_STS2, 6, 4)
	s_add_co_i32 s12, s12, s0
	s_mov_b32 s1, 0
	s_wait_kmcnt 0x0
	s_bfe_u32 s3, s2, 0x80008
	s_cmp_eq_u32 s13, 0
	s_mov_b32 s13, 0
	s_cselect_b32 s0, ttmp9, s12
	s_delay_alu instid0(SALU_CYCLE_1) | instskip(SKIP_1) | instid1(VALU_DEP_1)
	v_lshl_or_b32 v4, s0, 9, v0
	s_mov_b32 s0, exec_lo
	v_or_b32_e32 v0, 0x180, v4
	s_delay_alu instid0(VALU_DEP_1)
	v_cmpx_le_i32_e64 s14, v0
	s_xor_b32 s12, exec_lo, s0
	s_cbranch_execz .LBB222_951
; %bb.1:
	s_bitcmp1_b32 s11, 0
	s_mov_b32 s18, 0
	s_cselect_b32 s0, -1, 0
	s_cmp_eq_u32 s10, 0
	s_mov_b32 s20, -1
	s_cselect_b32 s13, -1, 0
	s_mov_b32 s16, 0
	s_xor_b32 s13, s13, s0
	s_mov_b32 s15, 0
	s_mov_b32 s17, exec_lo
	v_cmpx_gt_i32_e64 s14, v4
	s_cbranch_execz .LBB222_232
; %bb.2:
	v_mul_lo_u32 v0, v4, s9
	s_and_b32 s15, 0xffff, s3
	s_delay_alu instid0(SALU_CYCLE_1) | instskip(NEXT) | instid1(VALU_DEP_1)
	s_cmp_lt_i32 s15, 11
	v_ashrrev_i32_e32 v1, 31, v0
	s_delay_alu instid0(VALU_DEP_1)
	v_add_nc_u64_e32 v[0:1], s[6:7], v[0:1]
	s_cbranch_scc1 .LBB222_9
; %bb.3:
	s_cmp_gt_i32 s15, 25
	s_cbranch_scc0 .LBB222_18
; %bb.4:
	s_cmp_gt_i32 s15, 28
	s_cbranch_scc0 .LBB222_20
	;; [unrolled: 3-line block ×4, first 2 shown]
; %bb.7:
	s_cmp_eq_u32 s15, 46
	s_mov_b32 s20, 0
	s_cbranch_scc0 .LBB222_25
; %bb.8:
	global_load_b32 v2, v[0:1], off
	s_mov_b32 s19, -1
	s_wait_loadcnt 0x0
	v_and_b32_e32 v2, 0x7fff7fff, v2
	s_delay_alu instid0(VALU_DEP_1)
	v_cmp_ne_u32_e64 s0, 0, v2
	s_branch .LBB222_27
.LBB222_9:
	s_mov_b32 s19, 0
                                        ; implicit-def: $sgpr0
	s_and_b32 vcc_lo, exec_lo, s20
	s_cbranch_vccnz .LBB222_73
.LBB222_10:
	s_and_not1_b32 vcc_lo, exec_lo, s19
	s_cbranch_vccnz .LBB222_120
.LBB222_11:
	v_mul_lo_u32 v0, v4, s8
	s_and_b32 s16, s2, 0xff
	s_delay_alu instid0(VALU_DEP_2) | instskip(SKIP_1) | instid1(VALU_DEP_1)
	s_xor_b32 s15, s0, s13
	s_cmp_lt_i32 s16, 11
	v_ashrrev_i32_e32 v1, 31, v0
	s_delay_alu instid0(VALU_DEP_1)
	v_add_nc_u64_e32 v[0:1], s[4:5], v[0:1]
	s_cbranch_scc1 .LBB222_19
; %bb.12:
	s_and_b32 s19, 0xffff, s16
	s_delay_alu instid0(SALU_CYCLE_1)
	s_cmp_gt_i32 s19, 25
	s_cbranch_scc0 .LBB222_21
; %bb.13:
	s_cmp_gt_i32 s19, 28
	s_cbranch_scc0 .LBB222_23
; %bb.14:
	;; [unrolled: 3-line block ×4, first 2 shown]
	s_mov_b32 s21, 0
	s_mov_b32 s0, -1
	s_cmp_eq_u32 s19, 46
	s_mov_b32 s20, 0
	s_cbranch_scc0 .LBB222_122
; %bb.17:
	v_cndmask_b32_e64 v2, 0, 1.0, s15
	s_mov_b32 s20, -1
	s_mov_b32 s0, 0
	s_delay_alu instid0(VALU_DEP_1) | instskip(NEXT) | instid1(VALU_DEP_1)
	v_bfe_u32 v3, v2, 16, 1
	v_add3_u32 v2, v2, v3, 0x7fff
	s_delay_alu instid0(VALU_DEP_1)
	v_lshrrev_b32_e32 v2, 16, v2
	global_store_b32 v[0:1], v2, off
	s_branch .LBB222_122
.LBB222_18:
	s_mov_b32 s19, 0
                                        ; implicit-def: $sgpr0
	s_and_b32 vcc_lo, exec_lo, s20
	s_cbranch_vccnz .LBB222_48
	s_branch .LBB222_72
.LBB222_19:
	s_mov_b32 s0, 0
	s_mov_b32 s20, 0
	s_cbranch_execnz .LBB222_191
	s_branch .LBB222_229
.LBB222_20:
	s_mov_b32 s19, 0
                                        ; implicit-def: $sgpr0
	s_branch .LBB222_35
.LBB222_21:
	s_mov_b32 s21, -1
	s_mov_b32 s0, 0
	s_mov_b32 s20, 0
	s_branch .LBB222_149
.LBB222_22:
	s_mov_b32 s19, 0
                                        ; implicit-def: $sgpr0
	s_branch .LBB222_30
.LBB222_23:
	s_mov_b32 s21, -1
	s_mov_b32 s0, 0
	s_mov_b32 s20, 0
	s_branch .LBB222_132
.LBB222_24:
	s_mov_b32 s21, -1
	s_mov_b32 s0, 0
	s_mov_b32 s20, 0
	s_branch .LBB222_128
.LBB222_25:
	s_mov_b32 s16, -1
.LBB222_26:
	s_mov_b32 s19, 0
                                        ; implicit-def: $sgpr0
.LBB222_27:
	s_and_b32 vcc_lo, exec_lo, s20
	s_cbranch_vccz .LBB222_29
; %bb.28:
	s_cmp_eq_u32 s15, 44
	s_mov_b32 s16, -1
	s_cselect_b32 s19, -1, 0
	s_or_b32 s0, s0, exec_lo
.LBB222_29:
	s_mov_b32 s20, 0
.LBB222_30:
	s_delay_alu instid0(SALU_CYCLE_1)
	s_and_b32 vcc_lo, exec_lo, s20
	s_cbranch_vccz .LBB222_34
; %bb.31:
	s_cmp_eq_u32 s15, 29
	s_cbranch_scc0 .LBB222_33
; %bb.32:
	global_load_b64 v[2:3], v[0:1], off
	s_mov_b32 s19, -1
	s_mov_b32 s16, 0
	s_mov_b32 s20, 0
	s_wait_loadcnt 0x0
	v_cmp_ne_u64_e64 s0, 0, v[2:3]
	s_branch .LBB222_35
.LBB222_33:
	s_mov_b32 s16, -1
                                        ; implicit-def: $sgpr0
.LBB222_34:
	s_mov_b32 s20, 0
.LBB222_35:
	s_delay_alu instid0(SALU_CYCLE_1)
	s_and_b32 vcc_lo, exec_lo, s20
	s_cbranch_vccz .LBB222_47
; %bb.36:
	s_cmp_lt_i32 s15, 27
	s_cbranch_scc1 .LBB222_39
; %bb.37:
	s_cmp_gt_i32 s15, 27
	s_cbranch_scc0 .LBB222_40
; %bb.38:
	global_load_b32 v2, v[0:1], off
	s_mov_b32 s19, 0
	s_wait_loadcnt 0x0
	v_cmp_ne_u32_e64 s0, 0, v2
	s_branch .LBB222_41
.LBB222_39:
	s_mov_b32 s19, -1
                                        ; implicit-def: $sgpr0
	s_branch .LBB222_44
.LBB222_40:
	s_mov_b32 s19, -1
                                        ; implicit-def: $sgpr0
.LBB222_41:
	s_delay_alu instid0(SALU_CYCLE_1)
	s_and_not1_b32 vcc_lo, exec_lo, s19
	s_cbranch_vccnz .LBB222_43
; %bb.42:
	global_load_u16 v2, v[0:1], off
	s_and_not1_b32 s0, s0, exec_lo
	s_wait_loadcnt 0x0
	v_cmp_ne_u16_e32 vcc_lo, 0, v2
	s_and_b32 s19, vcc_lo, exec_lo
	s_delay_alu instid0(SALU_CYCLE_1)
	s_or_b32 s0, s0, s19
.LBB222_43:
	s_mov_b32 s19, 0
.LBB222_44:
	s_delay_alu instid0(SALU_CYCLE_1)
	s_and_not1_b32 vcc_lo, exec_lo, s19
	s_cbranch_vccnz .LBB222_46
; %bb.45:
	global_load_u8 v2, v[0:1], off
	s_and_not1_b32 s0, s0, exec_lo
	s_wait_loadcnt 0x0
	v_cmp_ne_u16_e32 vcc_lo, 0, v2
	s_and_b32 s19, vcc_lo, exec_lo
	s_delay_alu instid0(SALU_CYCLE_1)
	s_or_b32 s0, s0, s19
.LBB222_46:
	s_mov_b32 s19, -1
.LBB222_47:
	s_branch .LBB222_72
.LBB222_48:
	s_cmp_gt_i32 s15, 22
	s_cbranch_scc0 .LBB222_52
; %bb.49:
	s_cmp_lt_i32 s15, 24
	s_cbranch_scc1 .LBB222_53
; %bb.50:
	s_cmp_gt_i32 s15, 24
	s_cbranch_scc0 .LBB222_54
; %bb.51:
	global_load_u8 v2, v[0:1], off
	s_mov_b32 s19, 0
	s_wait_loadcnt 0x0
	v_cmp_ne_u16_e64 s0, 0, v2
	s_branch .LBB222_55
.LBB222_52:
	s_mov_b32 s20, -1
                                        ; implicit-def: $sgpr0
	s_branch .LBB222_61
.LBB222_53:
	s_mov_b32 s19, -1
                                        ; implicit-def: $sgpr0
	s_branch .LBB222_58
.LBB222_54:
	s_mov_b32 s19, -1
                                        ; implicit-def: $sgpr0
.LBB222_55:
	s_delay_alu instid0(SALU_CYCLE_1)
	s_and_not1_b32 vcc_lo, exec_lo, s19
	s_cbranch_vccnz .LBB222_57
; %bb.56:
	global_load_u8 v2, v[0:1], off
	s_and_not1_b32 s0, s0, exec_lo
	s_wait_loadcnt 0x0
	v_and_b32_e32 v2, 0x7f, v2
	s_delay_alu instid0(VALU_DEP_1) | instskip(SKIP_1) | instid1(SALU_CYCLE_1)
	v_cmp_ne_u16_e32 vcc_lo, 0, v2
	s_and_b32 s19, vcc_lo, exec_lo
	s_or_b32 s0, s0, s19
.LBB222_57:
	s_mov_b32 s19, 0
.LBB222_58:
	s_delay_alu instid0(SALU_CYCLE_1)
	s_and_not1_b32 vcc_lo, exec_lo, s19
	s_cbranch_vccnz .LBB222_60
; %bb.59:
	global_load_u8 v2, v[0:1], off
	s_and_not1_b32 s0, s0, exec_lo
	s_wait_loadcnt 0x0
	v_dual_lshlrev_b32 v3, 25, v2 :: v_dual_lshlrev_b32 v2, 8, v2
	s_delay_alu instid0(VALU_DEP_1) | instskip(NEXT) | instid1(VALU_DEP_2)
	v_cmp_gt_u32_e32 vcc_lo, 0x8000000, v3
	v_and_or_b32 v2, 0x7f00, v2, 0.5
	s_delay_alu instid0(VALU_DEP_1) | instskip(NEXT) | instid1(VALU_DEP_1)
	v_dual_add_f32 v2, -0.5, v2 :: v_dual_lshrrev_b32 v5, 4, v3
	v_or_b32_e32 v5, 0x70000000, v5
	s_delay_alu instid0(VALU_DEP_1) | instskip(NEXT) | instid1(VALU_DEP_1)
	v_mul_f32_e32 v5, 0x7800000, v5
	v_cndmask_b32_e32 v2, v5, v2, vcc_lo
	s_delay_alu instid0(VALU_DEP_1) | instskip(SKIP_1) | instid1(SALU_CYCLE_1)
	v_cmp_neq_f32_e32 vcc_lo, 0, v2
	s_and_b32 s19, vcc_lo, exec_lo
	s_or_b32 s0, s0, s19
.LBB222_60:
	s_mov_b32 s20, 0
	s_mov_b32 s19, -1
.LBB222_61:
	s_and_not1_b32 vcc_lo, exec_lo, s20
	s_cbranch_vccnz .LBB222_72
; %bb.62:
	s_cmp_gt_i32 s15, 14
	s_cbranch_scc0 .LBB222_65
; %bb.63:
	s_cmp_eq_u32 s15, 15
	s_cbranch_scc0 .LBB222_66
; %bb.64:
	global_load_u16 v2, v[0:1], off
	s_mov_b32 s16, 0
	s_mov_b32 s19, -1
	s_wait_loadcnt 0x0
	v_and_b32_e32 v2, 0x7fff, v2
	s_delay_alu instid0(VALU_DEP_1)
	v_cmp_ne_u16_e64 s0, 0, v2
	s_branch .LBB222_67
.LBB222_65:
	s_mov_b32 s20, -1
                                        ; implicit-def: $sgpr0
	s_branch .LBB222_68
.LBB222_66:
	s_mov_b32 s16, -1
                                        ; implicit-def: $sgpr0
.LBB222_67:
	s_mov_b32 s20, 0
.LBB222_68:
	s_delay_alu instid0(SALU_CYCLE_1)
	s_and_b32 vcc_lo, exec_lo, s20
	s_cbranch_vccz .LBB222_72
; %bb.69:
	s_cmp_eq_u32 s15, 11
	s_cbranch_scc0 .LBB222_71
; %bb.70:
	global_load_u8 v2, v[0:1], off
	s_mov_b32 s16, 0
	s_mov_b32 s19, -1
	s_wait_loadcnt 0x0
	v_cmp_ne_u16_e64 s0, 0, v2
	s_branch .LBB222_72
.LBB222_71:
	s_mov_b32 s16, -1
                                        ; implicit-def: $sgpr0
.LBB222_72:
	s_branch .LBB222_10
.LBB222_73:
	s_cmp_lt_i32 s15, 5
	s_cbranch_scc1 .LBB222_78
; %bb.74:
	s_cmp_lt_i32 s15, 8
	s_cbranch_scc1 .LBB222_79
; %bb.75:
	s_cmp_lt_i32 s15, 9
	s_cbranch_scc1 .LBB222_80
; %bb.76:
	s_cmp_gt_i32 s15, 9
	s_cbranch_scc0 .LBB222_81
; %bb.77:
	global_load_b128 v[6:9], v[0:1], off
	s_mov_b32 s19, 0
	s_wait_loadcnt 0x0
	v_cmp_neq_f64_e32 vcc_lo, 0, v[6:7]
	v_cmp_neq_f64_e64 s0, 0, v[8:9]
	s_or_b32 s0, vcc_lo, s0
	s_branch .LBB222_82
.LBB222_78:
                                        ; implicit-def: $sgpr0
	s_branch .LBB222_100
.LBB222_79:
	s_mov_b32 s19, -1
                                        ; implicit-def: $sgpr0
	s_branch .LBB222_88
.LBB222_80:
	s_mov_b32 s19, -1
                                        ; implicit-def: $sgpr0
	s_branch .LBB222_85
.LBB222_81:
	s_mov_b32 s19, -1
                                        ; implicit-def: $sgpr0
.LBB222_82:
	s_delay_alu instid0(SALU_CYCLE_1)
	s_and_not1_b32 vcc_lo, exec_lo, s19
	s_cbranch_vccnz .LBB222_84
; %bb.83:
	global_load_b64 v[2:3], v[0:1], off
	s_and_not1_b32 s0, s0, exec_lo
	s_wait_loadcnt 0x0
	v_bitop3_b32 v2, v2, 0x7fffffff, v3 bitop3:0xc8
	s_delay_alu instid0(VALU_DEP_1) | instskip(SKIP_1) | instid1(SALU_CYCLE_1)
	v_cmp_ne_u32_e32 vcc_lo, 0, v2
	s_and_b32 s19, vcc_lo, exec_lo
	s_or_b32 s0, s0, s19
.LBB222_84:
	s_mov_b32 s19, 0
.LBB222_85:
	s_delay_alu instid0(SALU_CYCLE_1)
	s_and_not1_b32 vcc_lo, exec_lo, s19
	s_cbranch_vccnz .LBB222_87
; %bb.86:
	global_load_b32 v2, v[0:1], off
	s_and_not1_b32 s0, s0, exec_lo
	s_wait_loadcnt 0x0
	v_and_b32_e32 v2, 0x7fff7fff, v2
	s_delay_alu instid0(VALU_DEP_1) | instskip(SKIP_1) | instid1(SALU_CYCLE_1)
	v_cmp_ne_u32_e32 vcc_lo, 0, v2
	s_and_b32 s19, vcc_lo, exec_lo
	s_or_b32 s0, s0, s19
.LBB222_87:
	s_mov_b32 s19, 0
.LBB222_88:
	s_delay_alu instid0(SALU_CYCLE_1)
	s_and_not1_b32 vcc_lo, exec_lo, s19
	s_cbranch_vccnz .LBB222_99
; %bb.89:
	s_cmp_lt_i32 s15, 6
	s_cbranch_scc1 .LBB222_92
; %bb.90:
	s_cmp_gt_i32 s15, 6
	s_cbranch_scc0 .LBB222_93
; %bb.91:
	global_load_b64 v[2:3], v[0:1], off
	s_mov_b32 s19, 0
	s_wait_loadcnt 0x0
	v_cmp_neq_f64_e64 s0, 0, v[2:3]
	s_branch .LBB222_94
.LBB222_92:
	s_mov_b32 s19, -1
                                        ; implicit-def: $sgpr0
	s_branch .LBB222_97
.LBB222_93:
	s_mov_b32 s19, -1
                                        ; implicit-def: $sgpr0
.LBB222_94:
	s_delay_alu instid0(SALU_CYCLE_1)
	s_and_not1_b32 vcc_lo, exec_lo, s19
	s_cbranch_vccnz .LBB222_96
; %bb.95:
	global_load_b32 v2, v[0:1], off
	s_and_not1_b32 s0, s0, exec_lo
	s_wait_loadcnt 0x0
	v_cmp_neq_f32_e32 vcc_lo, 0, v2
	s_and_b32 s19, vcc_lo, exec_lo
	s_delay_alu instid0(SALU_CYCLE_1)
	s_or_b32 s0, s0, s19
.LBB222_96:
	s_mov_b32 s19, 0
.LBB222_97:
	s_delay_alu instid0(SALU_CYCLE_1)
	s_and_not1_b32 vcc_lo, exec_lo, s19
	s_cbranch_vccnz .LBB222_99
; %bb.98:
	global_load_u16 v2, v[0:1], off
	s_and_not1_b32 s0, s0, exec_lo
	s_wait_loadcnt 0x0
	v_and_b32_e32 v2, 0x7fff, v2
	s_delay_alu instid0(VALU_DEP_1) | instskip(SKIP_1) | instid1(SALU_CYCLE_1)
	v_cmp_ne_u16_e32 vcc_lo, 0, v2
	s_and_b32 s19, vcc_lo, exec_lo
	s_or_b32 s0, s0, s19
.LBB222_99:
	s_cbranch_execnz .LBB222_119
.LBB222_100:
	s_cmp_lt_i32 s15, 2
	s_cbranch_scc1 .LBB222_104
; %bb.101:
	s_cmp_lt_i32 s15, 3
	s_cbranch_scc1 .LBB222_105
; %bb.102:
	s_cmp_gt_i32 s15, 3
	s_cbranch_scc0 .LBB222_106
; %bb.103:
	global_load_b64 v[2:3], v[0:1], off
	s_mov_b32 s19, 0
	s_wait_loadcnt 0x0
	v_cmp_ne_u64_e64 s0, 0, v[2:3]
	s_branch .LBB222_107
.LBB222_104:
	s_mov_b32 s19, -1
                                        ; implicit-def: $sgpr0
	s_branch .LBB222_113
.LBB222_105:
	s_mov_b32 s19, -1
                                        ; implicit-def: $sgpr0
	s_branch .LBB222_110
.LBB222_106:
	s_mov_b32 s19, -1
                                        ; implicit-def: $sgpr0
.LBB222_107:
	s_delay_alu instid0(SALU_CYCLE_1)
	s_and_not1_b32 vcc_lo, exec_lo, s19
	s_cbranch_vccnz .LBB222_109
; %bb.108:
	global_load_b32 v2, v[0:1], off
	s_and_not1_b32 s0, s0, exec_lo
	s_wait_loadcnt 0x0
	v_cmp_ne_u32_e32 vcc_lo, 0, v2
	s_and_b32 s19, vcc_lo, exec_lo
	s_delay_alu instid0(SALU_CYCLE_1)
	s_or_b32 s0, s0, s19
.LBB222_109:
	s_mov_b32 s19, 0
.LBB222_110:
	s_delay_alu instid0(SALU_CYCLE_1)
	s_and_not1_b32 vcc_lo, exec_lo, s19
	s_cbranch_vccnz .LBB222_112
; %bb.111:
	global_load_u16 v2, v[0:1], off
	s_and_not1_b32 s0, s0, exec_lo
	s_wait_loadcnt 0x0
	v_cmp_ne_u16_e32 vcc_lo, 0, v2
	s_and_b32 s19, vcc_lo, exec_lo
	s_delay_alu instid0(SALU_CYCLE_1)
	s_or_b32 s0, s0, s19
.LBB222_112:
	s_mov_b32 s19, 0
.LBB222_113:
	s_delay_alu instid0(SALU_CYCLE_1)
	s_and_not1_b32 vcc_lo, exec_lo, s19
	s_cbranch_vccnz .LBB222_119
; %bb.114:
	s_cmp_gt_i32 s15, 0
	s_mov_b32 s15, 0
	s_cbranch_scc0 .LBB222_116
; %bb.115:
	global_load_u8 v2, v[0:1], off
	s_wait_loadcnt 0x0
	v_cmp_ne_u16_e64 s0, 0, v2
	s_branch .LBB222_117
.LBB222_116:
	s_mov_b32 s15, -1
                                        ; implicit-def: $sgpr0
.LBB222_117:
	s_delay_alu instid0(SALU_CYCLE_1)
	s_and_not1_b32 vcc_lo, exec_lo, s15
	s_cbranch_vccnz .LBB222_119
; %bb.118:
	global_load_u8 v0, v[0:1], off
	s_and_not1_b32 s0, s0, exec_lo
	s_wait_loadcnt 0x0
	v_cmp_ne_u16_e32 vcc_lo, 0, v0
	s_and_b32 s15, vcc_lo, exec_lo
	s_delay_alu instid0(SALU_CYCLE_1)
	s_or_b32 s0, s0, s15
.LBB222_119:
	s_branch .LBB222_11
.LBB222_120:
	s_mov_b32 s0, 0
	s_mov_b32 s19, 0
                                        ; implicit-def: $vgpr4
	s_branch .LBB222_231
.LBB222_121:
	s_mov_b32 s21, -1
	s_mov_b32 s0, 0
	s_mov_b32 s20, 0
.LBB222_122:
	s_and_b32 vcc_lo, exec_lo, s21
	s_cbranch_vccz .LBB222_127
; %bb.123:
	s_cmp_eq_u32 s19, 44
	s_mov_b32 s0, -1
	s_cbranch_scc0 .LBB222_127
; %bb.124:
	v_cndmask_b32_e64 v5, 0, 1.0, s15
	s_mov_b32 s20, exec_lo
	s_wait_xcnt 0x0
	s_delay_alu instid0(VALU_DEP_1) | instskip(NEXT) | instid1(VALU_DEP_1)
	v_dual_mov_b32 v3, 0xff :: v_dual_lshrrev_b32 v2, 23, v5
	v_cmpx_ne_u32_e32 0xff, v2
; %bb.125:
	v_and_b32_e32 v3, 0x400000, v5
	v_and_or_b32 v5, 0x3fffff, v5, v2
	s_delay_alu instid0(VALU_DEP_2) | instskip(NEXT) | instid1(VALU_DEP_2)
	v_cmp_ne_u32_e32 vcc_lo, 0, v3
	v_cmp_ne_u32_e64 s0, 0, v5
	s_and_b32 s0, vcc_lo, s0
	s_delay_alu instid0(SALU_CYCLE_1) | instskip(NEXT) | instid1(VALU_DEP_1)
	v_cndmask_b32_e64 v3, 0, 1, s0
	v_add_nc_u32_e32 v3, v2, v3
; %bb.126:
	s_or_b32 exec_lo, exec_lo, s20
	s_mov_b32 s20, -1
	s_mov_b32 s0, 0
	global_store_b8 v[0:1], v3, off
.LBB222_127:
	s_mov_b32 s21, 0
.LBB222_128:
	s_delay_alu instid0(SALU_CYCLE_1)
	s_and_b32 vcc_lo, exec_lo, s21
	s_cbranch_vccz .LBB222_131
; %bb.129:
	s_cmp_eq_u32 s19, 29
	s_mov_b32 s0, -1
	s_cbranch_scc0 .LBB222_131
; %bb.130:
	s_mov_b32 s0, 0
	s_wait_xcnt 0x0
	v_cndmask_b32_e64 v2, 0, 1, s15
	v_mov_b32_e32 v3, s0
	s_mov_b32 s20, -1
	s_mov_b32 s21, 0
	global_store_b64 v[0:1], v[2:3], off
	s_branch .LBB222_132
.LBB222_131:
	s_mov_b32 s21, 0
.LBB222_132:
	s_delay_alu instid0(SALU_CYCLE_1)
	s_and_b32 vcc_lo, exec_lo, s21
	s_cbranch_vccz .LBB222_148
; %bb.133:
	s_cmp_lt_i32 s19, 27
	s_mov_b32 s20, -1
	s_cbranch_scc1 .LBB222_139
; %bb.134:
	s_cmp_gt_i32 s19, 27
	s_cbranch_scc0 .LBB222_136
; %bb.135:
	s_wait_xcnt 0x0
	v_cndmask_b32_e64 v2, 0, 1, s15
	s_mov_b32 s20, 0
	global_store_b32 v[0:1], v2, off
.LBB222_136:
	s_and_not1_b32 vcc_lo, exec_lo, s20
	s_cbranch_vccnz .LBB222_138
; %bb.137:
	s_wait_xcnt 0x0
	v_cndmask_b32_e64 v2, 0, 1, s15
	global_store_b16 v[0:1], v2, off
.LBB222_138:
	s_mov_b32 s20, 0
.LBB222_139:
	s_delay_alu instid0(SALU_CYCLE_1)
	s_and_not1_b32 vcc_lo, exec_lo, s20
	s_cbranch_vccnz .LBB222_147
; %bb.140:
	s_wait_xcnt 0x0
	v_cndmask_b32_e64 v3, 0, 1.0, s15
	v_mov_b32_e32 v5, 0x80
	s_mov_b32 s20, exec_lo
	s_delay_alu instid0(VALU_DEP_2)
	v_cmpx_gt_u32_e32 0x43800000, v3
	s_cbranch_execz .LBB222_146
; %bb.141:
	s_mov_b32 s21, 0
	s_mov_b32 s22, exec_lo
                                        ; implicit-def: $vgpr2
	v_cmpx_lt_u32_e32 0x3bffffff, v3
	s_xor_b32 s22, exec_lo, s22
	s_cbranch_execnz .LBB222_261
; %bb.142:
	s_and_not1_saveexec_b32 s22, s22
	s_cbranch_execnz .LBB222_262
.LBB222_143:
	s_or_b32 exec_lo, exec_lo, s22
	v_mov_b32_e32 v5, 0
	s_and_saveexec_b32 s22, s21
.LBB222_144:
	v_mov_b32_e32 v5, v2
.LBB222_145:
	s_or_b32 exec_lo, exec_lo, s22
.LBB222_146:
	s_delay_alu instid0(SALU_CYCLE_1)
	s_or_b32 exec_lo, exec_lo, s20
	global_store_b8 v[0:1], v5, off
.LBB222_147:
	s_mov_b32 s20, -1
.LBB222_148:
	s_mov_b32 s21, 0
.LBB222_149:
	s_delay_alu instid0(SALU_CYCLE_1)
	s_and_b32 vcc_lo, exec_lo, s21
	s_cbranch_vccz .LBB222_190
; %bb.150:
	s_cmp_gt_i32 s19, 22
	s_mov_b32 s21, -1
	s_cbranch_scc0 .LBB222_182
; %bb.151:
	s_cmp_lt_i32 s19, 24
	s_mov_b32 s20, -1
	s_cbranch_scc1 .LBB222_171
; %bb.152:
	s_cmp_gt_i32 s19, 24
	s_cbranch_scc0 .LBB222_160
; %bb.153:
	s_wait_xcnt 0x0
	v_cndmask_b32_e64 v3, 0, 1.0, s15
	v_mov_b32_e32 v5, 0x80
	s_mov_b32 s20, exec_lo
	s_delay_alu instid0(VALU_DEP_2)
	v_cmpx_gt_u32_e32 0x47800000, v3
	s_cbranch_execz .LBB222_159
; %bb.154:
	s_mov_b32 s21, 0
	s_mov_b32 s22, exec_lo
                                        ; implicit-def: $vgpr2
	v_cmpx_lt_u32_e32 0x37ffffff, v3
	s_xor_b32 s22, exec_lo, s22
	s_cbranch_execnz .LBB222_487
; %bb.155:
	s_and_not1_saveexec_b32 s22, s22
	s_cbranch_execnz .LBB222_488
.LBB222_156:
	s_or_b32 exec_lo, exec_lo, s22
	v_mov_b32_e32 v5, 0
	s_and_saveexec_b32 s22, s21
.LBB222_157:
	v_mov_b32_e32 v5, v2
.LBB222_158:
	s_or_b32 exec_lo, exec_lo, s22
.LBB222_159:
	s_delay_alu instid0(SALU_CYCLE_1)
	s_or_b32 exec_lo, exec_lo, s20
	s_mov_b32 s20, 0
	global_store_b8 v[0:1], v5, off
.LBB222_160:
	s_and_b32 vcc_lo, exec_lo, s20
	s_cbranch_vccz .LBB222_170
; %bb.161:
	s_wait_xcnt 0x0
	v_cndmask_b32_e64 v3, 0, 1.0, s15
	s_mov_b32 s20, exec_lo
                                        ; implicit-def: $vgpr2
	s_delay_alu instid0(VALU_DEP_1)
	v_cmpx_gt_u32_e32 0x43f00000, v3
	s_xor_b32 s20, exec_lo, s20
	s_cbranch_execz .LBB222_167
; %bb.162:
	s_mov_b32 s21, exec_lo
                                        ; implicit-def: $vgpr2
	v_cmpx_lt_u32_e32 0x3c7fffff, v3
	s_xor_b32 s21, exec_lo, s21
; %bb.163:
	v_bfe_u32 v2, v3, 20, 1
	s_delay_alu instid0(VALU_DEP_1) | instskip(NEXT) | instid1(VALU_DEP_1)
	v_add3_u32 v2, v3, v2, 0x407ffff
	v_and_b32_e32 v3, 0xff00000, v2
	v_lshrrev_b32_e32 v2, 20, v2
	s_delay_alu instid0(VALU_DEP_2) | instskip(NEXT) | instid1(VALU_DEP_2)
	v_cmp_ne_u32_e32 vcc_lo, 0x7f00000, v3
                                        ; implicit-def: $vgpr3
	v_cndmask_b32_e32 v2, 0x7e, v2, vcc_lo
; %bb.164:
	s_and_not1_saveexec_b32 s21, s21
; %bb.165:
	v_add_f32_e32 v2, 0x46800000, v3
; %bb.166:
	s_or_b32 exec_lo, exec_lo, s21
                                        ; implicit-def: $vgpr3
.LBB222_167:
	s_and_not1_saveexec_b32 s20, s20
; %bb.168:
	v_mov_b32_e32 v2, 0x7f
	v_cmp_lt_u32_e32 vcc_lo, 0x7f800000, v3
	s_delay_alu instid0(VALU_DEP_2)
	v_cndmask_b32_e32 v2, 0x7e, v2, vcc_lo
; %bb.169:
	s_or_b32 exec_lo, exec_lo, s20
	global_store_b8 v[0:1], v2, off
.LBB222_170:
	s_mov_b32 s20, 0
.LBB222_171:
	s_delay_alu instid0(SALU_CYCLE_1)
	s_and_not1_b32 vcc_lo, exec_lo, s20
	s_cbranch_vccnz .LBB222_181
; %bb.172:
	s_wait_xcnt 0x0
	v_cndmask_b32_e64 v3, 0, 1.0, s15
	s_mov_b32 s20, exec_lo
                                        ; implicit-def: $vgpr2
	s_delay_alu instid0(VALU_DEP_1)
	v_cmpx_gt_u32_e32 0x47800000, v3
	s_xor_b32 s20, exec_lo, s20
	s_cbranch_execz .LBB222_178
; %bb.173:
	s_mov_b32 s21, exec_lo
                                        ; implicit-def: $vgpr2
	v_cmpx_lt_u32_e32 0x387fffff, v3
	s_xor_b32 s21, exec_lo, s21
; %bb.174:
	v_bfe_u32 v2, v3, 21, 1
	s_delay_alu instid0(VALU_DEP_1) | instskip(NEXT) | instid1(VALU_DEP_1)
	v_add3_u32 v2, v3, v2, 0x80fffff
                                        ; implicit-def: $vgpr3
	v_lshrrev_b32_e32 v2, 21, v2
; %bb.175:
	s_and_not1_saveexec_b32 s21, s21
; %bb.176:
	v_add_f32_e32 v2, 0x43000000, v3
; %bb.177:
	s_or_b32 exec_lo, exec_lo, s21
                                        ; implicit-def: $vgpr3
.LBB222_178:
	s_and_not1_saveexec_b32 s20, s20
; %bb.179:
	v_mov_b32_e32 v2, 0x7f
	v_cmp_lt_u32_e32 vcc_lo, 0x7f800000, v3
	s_delay_alu instid0(VALU_DEP_2)
	v_cndmask_b32_e32 v2, 0x7c, v2, vcc_lo
; %bb.180:
	s_or_b32 exec_lo, exec_lo, s20
	global_store_b8 v[0:1], v2, off
.LBB222_181:
	s_mov_b32 s21, 0
	s_mov_b32 s20, -1
.LBB222_182:
	s_and_not1_b32 vcc_lo, exec_lo, s21
	s_cbranch_vccnz .LBB222_190
; %bb.183:
	s_cmp_gt_i32 s19, 14
	s_mov_b32 s21, -1
	s_cbranch_scc0 .LBB222_187
; %bb.184:
	s_cmp_eq_u32 s19, 15
	s_mov_b32 s0, -1
	s_cbranch_scc0 .LBB222_186
; %bb.185:
	s_wait_xcnt 0x0
	v_cndmask_b32_e64 v2, 0, 1.0, s15
	s_mov_b32 s20, -1
	s_mov_b32 s0, 0
	s_delay_alu instid0(VALU_DEP_1) | instskip(NEXT) | instid1(VALU_DEP_1)
	v_bfe_u32 v3, v2, 16, 1
	v_add3_u32 v2, v2, v3, 0x7fff
	global_store_d16_hi_b16 v[0:1], v2, off
.LBB222_186:
	s_mov_b32 s21, 0
.LBB222_187:
	s_delay_alu instid0(SALU_CYCLE_1)
	s_and_b32 vcc_lo, exec_lo, s21
	s_cbranch_vccz .LBB222_190
; %bb.188:
	s_cmp_eq_u32 s19, 11
	s_mov_b32 s0, -1
	s_cbranch_scc0 .LBB222_190
; %bb.189:
	s_wait_xcnt 0x0
	v_cndmask_b32_e64 v2, 0, 1, s15
	s_mov_b32 s20, -1
	s_mov_b32 s0, 0
	global_store_b8 v[0:1], v2, off
.LBB222_190:
	s_branch .LBB222_229
.LBB222_191:
	s_and_b32 s16, 0xffff, s16
	s_mov_b32 s19, -1
	s_cmp_lt_i32 s16, 5
	s_cbranch_scc1 .LBB222_212
; %bb.192:
	s_cmp_lt_i32 s16, 8
	s_cbranch_scc1 .LBB222_202
; %bb.193:
	s_cmp_lt_i32 s16, 9
	s_cbranch_scc1 .LBB222_199
; %bb.194:
	s_cmp_gt_i32 s16, 9
	s_cbranch_scc0 .LBB222_196
; %bb.195:
	s_wait_xcnt 0x0
	v_cndmask_b32_e64 v2, 0, 1, s15
	v_mov_b32_e32 v8, 0
	s_mov_b32 s19, 0
	s_delay_alu instid0(VALU_DEP_2) | instskip(NEXT) | instid1(VALU_DEP_2)
	v_cvt_f64_u32_e32 v[6:7], v2
	v_mov_b32_e32 v9, v8
	global_store_b128 v[0:1], v[6:9], off
.LBB222_196:
	s_and_not1_b32 vcc_lo, exec_lo, s19
	s_cbranch_vccnz .LBB222_198
; %bb.197:
	s_wait_xcnt 0x0
	v_cndmask_b32_e64 v2, 0, 1.0, s15
	v_mov_b32_e32 v3, 0
	global_store_b64 v[0:1], v[2:3], off
.LBB222_198:
	s_mov_b32 s19, 0
.LBB222_199:
	s_delay_alu instid0(SALU_CYCLE_1)
	s_and_not1_b32 vcc_lo, exec_lo, s19
	s_cbranch_vccnz .LBB222_201
; %bb.200:
	s_wait_xcnt 0x0
	v_cndmask_b32_e64 v2, 0, 1.0, s15
	s_delay_alu instid0(VALU_DEP_1) | instskip(NEXT) | instid1(VALU_DEP_1)
	v_cvt_f16_f32_e32 v2, v2
	v_and_b32_e32 v2, 0xffff, v2
	global_store_b32 v[0:1], v2, off
.LBB222_201:
	s_mov_b32 s19, 0
.LBB222_202:
	s_delay_alu instid0(SALU_CYCLE_1)
	s_and_not1_b32 vcc_lo, exec_lo, s19
	s_cbranch_vccnz .LBB222_211
; %bb.203:
	s_cmp_lt_i32 s16, 6
	s_mov_b32 s19, -1
	s_cbranch_scc1 .LBB222_209
; %bb.204:
	s_cmp_gt_i32 s16, 6
	s_cbranch_scc0 .LBB222_206
; %bb.205:
	s_wait_xcnt 0x0
	v_cndmask_b32_e64 v2, 0, 1, s15
	s_mov_b32 s19, 0
	s_delay_alu instid0(VALU_DEP_1)
	v_cvt_f64_u32_e32 v[2:3], v2
	global_store_b64 v[0:1], v[2:3], off
.LBB222_206:
	s_and_not1_b32 vcc_lo, exec_lo, s19
	s_cbranch_vccnz .LBB222_208
; %bb.207:
	s_wait_xcnt 0x0
	v_cndmask_b32_e64 v2, 0, 1.0, s15
	global_store_b32 v[0:1], v2, off
.LBB222_208:
	s_mov_b32 s19, 0
.LBB222_209:
	s_delay_alu instid0(SALU_CYCLE_1)
	s_and_not1_b32 vcc_lo, exec_lo, s19
	s_cbranch_vccnz .LBB222_211
; %bb.210:
	s_wait_xcnt 0x0
	v_cndmask_b32_e64 v2, 0, 1.0, s15
	s_delay_alu instid0(VALU_DEP_1)
	v_cvt_f16_f32_e32 v2, v2
	global_store_b16 v[0:1], v2, off
.LBB222_211:
	s_mov_b32 s19, 0
.LBB222_212:
	s_delay_alu instid0(SALU_CYCLE_1)
	s_and_not1_b32 vcc_lo, exec_lo, s19
	s_cbranch_vccnz .LBB222_228
; %bb.213:
	s_cmp_lt_i32 s16, 2
	s_mov_b32 s19, -1
	s_cbranch_scc1 .LBB222_223
; %bb.214:
	s_cmp_lt_i32 s16, 3
	s_cbranch_scc1 .LBB222_220
; %bb.215:
	s_cmp_gt_i32 s16, 3
	s_cbranch_scc0 .LBB222_217
; %bb.216:
	s_mov_b32 s19, 0
	s_wait_xcnt 0x0
	v_cndmask_b32_e64 v2, 0, 1, s15
	v_mov_b32_e32 v3, s19
	global_store_b64 v[0:1], v[2:3], off
.LBB222_217:
	s_and_not1_b32 vcc_lo, exec_lo, s19
	s_cbranch_vccnz .LBB222_219
; %bb.218:
	s_wait_xcnt 0x0
	v_cndmask_b32_e64 v2, 0, 1, s15
	global_store_b32 v[0:1], v2, off
.LBB222_219:
	s_mov_b32 s19, 0
.LBB222_220:
	s_delay_alu instid0(SALU_CYCLE_1)
	s_and_not1_b32 vcc_lo, exec_lo, s19
	s_cbranch_vccnz .LBB222_222
; %bb.221:
	s_wait_xcnt 0x0
	v_cndmask_b32_e64 v2, 0, 1, s15
	global_store_b16 v[0:1], v2, off
.LBB222_222:
	s_mov_b32 s19, 0
.LBB222_223:
	s_delay_alu instid0(SALU_CYCLE_1)
	s_and_not1_b32 vcc_lo, exec_lo, s19
	s_cbranch_vccnz .LBB222_228
; %bb.224:
	s_wait_xcnt 0x0
	v_cndmask_b32_e64 v2, 0, 1, s15
	s_cmp_gt_i32 s16, 0
	s_mov_b32 s15, -1
	s_cbranch_scc0 .LBB222_226
; %bb.225:
	s_mov_b32 s15, 0
	global_store_b8 v[0:1], v2, off
.LBB222_226:
	s_and_not1_b32 vcc_lo, exec_lo, s15
	s_cbranch_vccnz .LBB222_228
; %bb.227:
	global_store_b8 v[0:1], v2, off
.LBB222_228:
	s_mov_b32 s20, -1
.LBB222_229:
	s_mov_b32 s16, 0
	s_and_not1_b32 vcc_lo, exec_lo, s20
	s_mov_b32 s19, 0
	s_cbranch_vccnz .LBB222_231
; %bb.230:
	v_add_nc_u32_e32 v4, 0x80, v4
	s_mov_b32 s19, -1
.LBB222_231:
	s_and_b32 s15, s0, exec_lo
	s_and_b32 s16, s16, exec_lo
	s_or_not1_b32 s20, s19, exec_lo
.LBB222_232:
	s_wait_xcnt 0x0
	s_or_b32 exec_lo, exec_lo, s17
	s_mov_b32 s0, 0
	s_mov_b32 s19, 0
                                        ; implicit-def: $sgpr21
                                        ; implicit-def: $vgpr0_vgpr1
	s_and_saveexec_b32 s17, s20
	s_cbranch_execnz .LBB222_236
; %bb.233:
	s_or_b32 exec_lo, exec_lo, s17
	s_mov_b32 s14, 0
	s_and_saveexec_b32 s17, s16
	s_cbranch_execnz .LBB222_783
.LBB222_234:
	s_or_b32 exec_lo, exec_lo, s17
	s_and_saveexec_b32 s16, s18
	s_delay_alu instid0(SALU_CYCLE_1)
	s_xor_b32 s16, exec_lo, s16
	s_cbranch_execnz .LBB222_784
.LBB222_235:
	s_or_b32 exec_lo, exec_lo, s16
	s_and_saveexec_b32 s16, s0
	s_cbranch_execnz .LBB222_785
	s_branch .LBB222_830
.LBB222_236:
	s_mov_b32 s0, -1
	s_mov_b32 s18, s16
	s_mov_b32 s19, s15
	s_mov_b32 s20, exec_lo
	v_cmpx_gt_i32_e64 s14, v4
	s_cbranch_execz .LBB222_473
; %bb.237:
	v_mul_lo_u32 v0, v4, s9
	s_and_b32 s19, 0xffff, s3
	s_delay_alu instid0(SALU_CYCLE_1) | instskip(NEXT) | instid1(VALU_DEP_1)
	s_cmp_lt_i32 s19, 11
	v_ashrrev_i32_e32 v1, 31, v0
	s_delay_alu instid0(VALU_DEP_1)
	v_add_nc_u64_e32 v[0:1], s[6:7], v[0:1]
	s_cbranch_scc1 .LBB222_244
; %bb.238:
	s_cmp_gt_i32 s19, 25
	s_cbranch_scc0 .LBB222_253
; %bb.239:
	s_cmp_gt_i32 s19, 28
	s_cbranch_scc0 .LBB222_255
	;; [unrolled: 3-line block ×4, first 2 shown]
; %bb.242:
	s_cmp_eq_u32 s19, 46
	s_mov_b32 s22, 0
	s_cbranch_scc0 .LBB222_263
; %bb.243:
	global_load_b32 v2, v[0:1], off
	s_mov_b32 s18, 0
	s_mov_b32 s21, -1
	s_wait_loadcnt 0x0
	v_and_b32_e32 v2, 0x7fff7fff, v2
	s_delay_alu instid0(VALU_DEP_1)
	v_cmp_ne_u32_e64 s0, 0, v2
	s_branch .LBB222_265
.LBB222_244:
	s_mov_b32 s21, 0
	s_mov_b32 s18, s16
                                        ; implicit-def: $sgpr0
	s_cbranch_execnz .LBB222_312
.LBB222_245:
	s_and_not1_b32 vcc_lo, exec_lo, s21
	s_cbranch_vccnz .LBB222_360
.LBB222_246:
	s_wait_xcnt 0x0
	v_mul_lo_u32 v0, v4, s8
	s_and_b32 s19, s2, 0xff
	s_delay_alu instid0(VALU_DEP_2) | instskip(SKIP_1) | instid1(VALU_DEP_1)
	s_xor_b32 s18, s0, s13
	s_cmp_lt_i32 s19, 11
	v_ashrrev_i32_e32 v1, 31, v0
	s_delay_alu instid0(VALU_DEP_1)
	v_add_nc_u64_e32 v[0:1], s[4:5], v[0:1]
	s_cbranch_scc1 .LBB222_254
; %bb.247:
	s_and_b32 s21, 0xffff, s19
	s_delay_alu instid0(SALU_CYCLE_1)
	s_cmp_gt_i32 s21, 25
	s_cbranch_scc0 .LBB222_256
; %bb.248:
	s_cmp_gt_i32 s21, 28
	s_cbranch_scc0 .LBB222_258
; %bb.249:
	;; [unrolled: 3-line block ×4, first 2 shown]
	s_mov_b32 s23, 0
	s_mov_b32 s0, -1
	s_cmp_eq_u32 s21, 46
	s_mov_b32 s22, 0
	s_cbranch_scc0 .LBB222_362
; %bb.252:
	v_cndmask_b32_e64 v2, 0, 1.0, s18
	s_mov_b32 s22, -1
	s_mov_b32 s0, 0
	s_delay_alu instid0(VALU_DEP_1) | instskip(NEXT) | instid1(VALU_DEP_1)
	v_bfe_u32 v3, v2, 16, 1
	v_add3_u32 v2, v2, v3, 0x7fff
	s_delay_alu instid0(VALU_DEP_1)
	v_lshrrev_b32_e32 v2, 16, v2
	global_store_b32 v[0:1], v2, off
	s_branch .LBB222_362
.LBB222_253:
	s_mov_b32 s22, -1
	s_mov_b32 s21, 0
	s_mov_b32 s18, s16
                                        ; implicit-def: $sgpr0
	s_branch .LBB222_286
.LBB222_254:
	s_mov_b32 s21, -1
	s_mov_b32 s22, 0
	s_mov_b32 s0, s15
	s_branch .LBB222_431
.LBB222_255:
	s_mov_b32 s22, -1
	s_mov_b32 s21, 0
	s_mov_b32 s18, s16
                                        ; implicit-def: $sgpr0
	s_branch .LBB222_273
.LBB222_256:
	s_mov_b32 s23, -1
	s_mov_b32 s22, 0
	s_mov_b32 s0, s15
	s_branch .LBB222_389
.LBB222_257:
	s_mov_b32 s22, -1
	s_mov_b32 s21, 0
	s_mov_b32 s18, s16
                                        ; implicit-def: $sgpr0
	s_branch .LBB222_268
.LBB222_258:
	s_mov_b32 s23, -1
	s_mov_b32 s22, 0
	s_mov_b32 s0, s15
	s_branch .LBB222_372
.LBB222_259:
	s_mov_b32 s22, -1
	s_mov_b32 s21, 0
	s_mov_b32 s18, s16
	s_branch .LBB222_264
.LBB222_260:
	s_mov_b32 s23, -1
	s_mov_b32 s22, 0
	s_mov_b32 s0, s15
	s_branch .LBB222_368
.LBB222_261:
	v_bfe_u32 v2, v3, 20, 1
	s_mov_b32 s21, exec_lo
	s_delay_alu instid0(VALU_DEP_1) | instskip(NEXT) | instid1(VALU_DEP_1)
	v_add3_u32 v2, v3, v2, 0x487ffff
                                        ; implicit-def: $vgpr3
	v_lshrrev_b32_e32 v2, 20, v2
	s_and_not1_saveexec_b32 s22, s22
	s_cbranch_execz .LBB222_143
.LBB222_262:
	v_add_f32_e32 v2, 0x46000000, v3
	s_and_not1_b32 s21, s21, exec_lo
	s_delay_alu instid0(VALU_DEP_1) | instskip(NEXT) | instid1(VALU_DEP_1)
	v_and_b32_e32 v2, 0xff, v2
	v_cmp_ne_u32_e32 vcc_lo, 0, v2
	s_and_b32 s23, vcc_lo, exec_lo
	s_delay_alu instid0(SALU_CYCLE_1)
	s_or_b32 s21, s21, s23
	s_or_b32 exec_lo, exec_lo, s22
	v_mov_b32_e32 v5, 0
	s_and_saveexec_b32 s22, s21
	s_cbranch_execnz .LBB222_144
	s_branch .LBB222_145
.LBB222_263:
	s_mov_b32 s18, -1
	s_mov_b32 s21, 0
.LBB222_264:
                                        ; implicit-def: $sgpr0
.LBB222_265:
	s_and_b32 vcc_lo, exec_lo, s22
	s_cbranch_vccz .LBB222_267
; %bb.266:
	s_cmp_eq_u32 s19, 44
	s_cselect_b32 s21, -1, 0
	s_or_b32 s0, s0, exec_lo
	s_or_b32 s18, s18, exec_lo
.LBB222_267:
	s_mov_b32 s22, 0
.LBB222_268:
	s_delay_alu instid0(SALU_CYCLE_1)
	s_and_b32 vcc_lo, exec_lo, s22
	s_cbranch_vccz .LBB222_272
; %bb.269:
	s_cmp_eq_u32 s19, 29
	s_cbranch_scc0 .LBB222_271
; %bb.270:
	global_load_b64 v[2:3], v[0:1], off
	s_mov_b32 s21, -1
	s_mov_b32 s18, 0
	s_mov_b32 s22, 0
	s_wait_loadcnt 0x0
	v_cmp_ne_u64_e64 s0, 0, v[2:3]
	s_branch .LBB222_273
.LBB222_271:
	s_mov_b32 s18, -1
                                        ; implicit-def: $sgpr0
.LBB222_272:
	s_mov_b32 s22, 0
.LBB222_273:
	s_delay_alu instid0(SALU_CYCLE_1)
	s_and_b32 vcc_lo, exec_lo, s22
	s_cbranch_vccz .LBB222_285
; %bb.274:
	s_cmp_lt_i32 s19, 27
	s_cbranch_scc1 .LBB222_277
; %bb.275:
	s_cmp_gt_i32 s19, 27
	s_cbranch_scc0 .LBB222_278
; %bb.276:
	global_load_b32 v2, v[0:1], off
	s_mov_b32 s21, 0
	s_wait_loadcnt 0x0
	v_cmp_ne_u32_e64 s0, 0, v2
	s_branch .LBB222_279
.LBB222_277:
	s_mov_b32 s21, -1
                                        ; implicit-def: $sgpr0
	s_branch .LBB222_282
.LBB222_278:
	s_mov_b32 s21, -1
                                        ; implicit-def: $sgpr0
.LBB222_279:
	s_delay_alu instid0(SALU_CYCLE_1)
	s_and_not1_b32 vcc_lo, exec_lo, s21
	s_cbranch_vccnz .LBB222_281
; %bb.280:
	global_load_u16 v2, v[0:1], off
	s_and_not1_b32 s0, s0, exec_lo
	s_wait_loadcnt 0x0
	v_cmp_ne_u16_e32 vcc_lo, 0, v2
	s_and_b32 s21, vcc_lo, exec_lo
	s_delay_alu instid0(SALU_CYCLE_1)
	s_or_b32 s0, s0, s21
.LBB222_281:
	s_mov_b32 s21, 0
.LBB222_282:
	s_delay_alu instid0(SALU_CYCLE_1)
	s_and_not1_b32 vcc_lo, exec_lo, s21
	s_cbranch_vccnz .LBB222_284
; %bb.283:
	global_load_u8 v2, v[0:1], off
	s_and_not1_b32 s0, s0, exec_lo
	s_wait_loadcnt 0x0
	v_cmp_ne_u16_e32 vcc_lo, 0, v2
	s_and_b32 s21, vcc_lo, exec_lo
	s_delay_alu instid0(SALU_CYCLE_1)
	s_or_b32 s0, s0, s21
.LBB222_284:
	s_mov_b32 s21, -1
.LBB222_285:
	s_mov_b32 s22, 0
.LBB222_286:
	s_delay_alu instid0(SALU_CYCLE_1)
	s_and_b32 vcc_lo, exec_lo, s22
	s_cbranch_vccz .LBB222_311
; %bb.287:
	s_cmp_gt_i32 s19, 22
	s_cbranch_scc0 .LBB222_291
; %bb.288:
	s_cmp_lt_i32 s19, 24
	s_cbranch_scc1 .LBB222_292
; %bb.289:
	s_cmp_gt_i32 s19, 24
	s_cbranch_scc0 .LBB222_293
; %bb.290:
	global_load_u8 v2, v[0:1], off
	s_mov_b32 s21, 0
	s_wait_loadcnt 0x0
	v_cmp_ne_u16_e64 s0, 0, v2
	s_branch .LBB222_294
.LBB222_291:
	s_mov_b32 s22, -1
                                        ; implicit-def: $sgpr0
	s_branch .LBB222_300
.LBB222_292:
	s_mov_b32 s21, -1
                                        ; implicit-def: $sgpr0
	s_branch .LBB222_297
.LBB222_293:
	s_mov_b32 s21, -1
                                        ; implicit-def: $sgpr0
.LBB222_294:
	s_delay_alu instid0(SALU_CYCLE_1)
	s_and_not1_b32 vcc_lo, exec_lo, s21
	s_cbranch_vccnz .LBB222_296
; %bb.295:
	global_load_u8 v2, v[0:1], off
	s_and_not1_b32 s0, s0, exec_lo
	s_wait_loadcnt 0x0
	v_and_b32_e32 v2, 0x7f, v2
	s_delay_alu instid0(VALU_DEP_1) | instskip(SKIP_1) | instid1(SALU_CYCLE_1)
	v_cmp_ne_u16_e32 vcc_lo, 0, v2
	s_and_b32 s21, vcc_lo, exec_lo
	s_or_b32 s0, s0, s21
.LBB222_296:
	s_mov_b32 s21, 0
.LBB222_297:
	s_delay_alu instid0(SALU_CYCLE_1)
	s_and_not1_b32 vcc_lo, exec_lo, s21
	s_cbranch_vccnz .LBB222_299
; %bb.298:
	global_load_u8 v2, v[0:1], off
	s_and_not1_b32 s0, s0, exec_lo
	s_wait_loadcnt 0x0
	v_dual_lshlrev_b32 v3, 25, v2 :: v_dual_lshlrev_b32 v2, 8, v2
	s_delay_alu instid0(VALU_DEP_1) | instskip(NEXT) | instid1(VALU_DEP_2)
	v_cmp_gt_u32_e32 vcc_lo, 0x8000000, v3
	v_and_or_b32 v2, 0x7f00, v2, 0.5
	s_delay_alu instid0(VALU_DEP_1) | instskip(NEXT) | instid1(VALU_DEP_1)
	v_dual_add_f32 v2, -0.5, v2 :: v_dual_lshrrev_b32 v5, 4, v3
	v_or_b32_e32 v5, 0x70000000, v5
	s_delay_alu instid0(VALU_DEP_1) | instskip(NEXT) | instid1(VALU_DEP_1)
	v_mul_f32_e32 v5, 0x7800000, v5
	v_cndmask_b32_e32 v2, v5, v2, vcc_lo
	s_delay_alu instid0(VALU_DEP_1) | instskip(SKIP_1) | instid1(SALU_CYCLE_1)
	v_cmp_neq_f32_e32 vcc_lo, 0, v2
	s_and_b32 s21, vcc_lo, exec_lo
	s_or_b32 s0, s0, s21
.LBB222_299:
	s_mov_b32 s22, 0
	s_mov_b32 s21, -1
.LBB222_300:
	s_and_not1_b32 vcc_lo, exec_lo, s22
	s_cbranch_vccnz .LBB222_311
; %bb.301:
	s_cmp_gt_i32 s19, 14
	s_cbranch_scc0 .LBB222_304
; %bb.302:
	s_cmp_eq_u32 s19, 15
	s_cbranch_scc0 .LBB222_305
; %bb.303:
	global_load_u16 v2, v[0:1], off
	s_mov_b32 s18, 0
	s_mov_b32 s21, -1
	s_wait_loadcnt 0x0
	v_and_b32_e32 v2, 0x7fff, v2
	s_delay_alu instid0(VALU_DEP_1)
	v_cmp_ne_u16_e64 s0, 0, v2
	s_branch .LBB222_306
.LBB222_304:
	s_mov_b32 s22, -1
                                        ; implicit-def: $sgpr0
	s_branch .LBB222_307
.LBB222_305:
	s_mov_b32 s18, -1
                                        ; implicit-def: $sgpr0
.LBB222_306:
	s_mov_b32 s22, 0
.LBB222_307:
	s_delay_alu instid0(SALU_CYCLE_1)
	s_and_b32 vcc_lo, exec_lo, s22
	s_cbranch_vccz .LBB222_311
; %bb.308:
	s_cmp_eq_u32 s19, 11
	s_cbranch_scc0 .LBB222_310
; %bb.309:
	global_load_u8 v2, v[0:1], off
	s_mov_b32 s18, 0
	s_mov_b32 s21, -1
	s_wait_loadcnt 0x0
	v_cmp_ne_u16_e64 s0, 0, v2
	s_branch .LBB222_311
.LBB222_310:
	s_mov_b32 s18, -1
                                        ; implicit-def: $sgpr0
.LBB222_311:
	s_branch .LBB222_245
.LBB222_312:
	s_cmp_lt_i32 s19, 5
	s_cbranch_scc1 .LBB222_317
; %bb.313:
	s_cmp_lt_i32 s19, 8
	s_cbranch_scc1 .LBB222_318
; %bb.314:
	s_cmp_lt_i32 s19, 9
	s_cbranch_scc1 .LBB222_319
; %bb.315:
	s_cmp_gt_i32 s19, 9
	s_cbranch_scc0 .LBB222_320
; %bb.316:
	global_load_b128 v[6:9], v[0:1], off
	s_mov_b32 s21, 0
	s_wait_loadcnt 0x0
	v_cmp_neq_f64_e32 vcc_lo, 0, v[6:7]
	v_cmp_neq_f64_e64 s0, 0, v[8:9]
	s_or_b32 s0, vcc_lo, s0
	s_branch .LBB222_321
.LBB222_317:
	s_mov_b32 s21, -1
                                        ; implicit-def: $sgpr0
	s_branch .LBB222_339
.LBB222_318:
	s_mov_b32 s21, -1
                                        ; implicit-def: $sgpr0
	s_branch .LBB222_327
.LBB222_319:
	s_mov_b32 s21, -1
                                        ; implicit-def: $sgpr0
	s_branch .LBB222_324
.LBB222_320:
	s_mov_b32 s21, -1
                                        ; implicit-def: $sgpr0
.LBB222_321:
	s_delay_alu instid0(SALU_CYCLE_1)
	s_and_not1_b32 vcc_lo, exec_lo, s21
	s_cbranch_vccnz .LBB222_323
; %bb.322:
	global_load_b64 v[2:3], v[0:1], off
	s_and_not1_b32 s0, s0, exec_lo
	s_wait_loadcnt 0x0
	v_bitop3_b32 v2, v2, 0x7fffffff, v3 bitop3:0xc8
	s_delay_alu instid0(VALU_DEP_1) | instskip(SKIP_1) | instid1(SALU_CYCLE_1)
	v_cmp_ne_u32_e32 vcc_lo, 0, v2
	s_and_b32 s21, vcc_lo, exec_lo
	s_or_b32 s0, s0, s21
.LBB222_323:
	s_mov_b32 s21, 0
.LBB222_324:
	s_delay_alu instid0(SALU_CYCLE_1)
	s_and_not1_b32 vcc_lo, exec_lo, s21
	s_cbranch_vccnz .LBB222_326
; %bb.325:
	global_load_b32 v2, v[0:1], off
	s_and_not1_b32 s0, s0, exec_lo
	s_wait_loadcnt 0x0
	v_and_b32_e32 v2, 0x7fff7fff, v2
	s_delay_alu instid0(VALU_DEP_1) | instskip(SKIP_1) | instid1(SALU_CYCLE_1)
	v_cmp_ne_u32_e32 vcc_lo, 0, v2
	s_and_b32 s21, vcc_lo, exec_lo
	s_or_b32 s0, s0, s21
.LBB222_326:
	s_mov_b32 s21, 0
.LBB222_327:
	s_delay_alu instid0(SALU_CYCLE_1)
	s_and_not1_b32 vcc_lo, exec_lo, s21
	s_cbranch_vccnz .LBB222_338
; %bb.328:
	s_cmp_lt_i32 s19, 6
	s_cbranch_scc1 .LBB222_331
; %bb.329:
	s_cmp_gt_i32 s19, 6
	s_cbranch_scc0 .LBB222_332
; %bb.330:
	global_load_b64 v[2:3], v[0:1], off
	s_mov_b32 s21, 0
	s_wait_loadcnt 0x0
	v_cmp_neq_f64_e64 s0, 0, v[2:3]
	s_branch .LBB222_333
.LBB222_331:
	s_mov_b32 s21, -1
                                        ; implicit-def: $sgpr0
	s_branch .LBB222_336
.LBB222_332:
	s_mov_b32 s21, -1
                                        ; implicit-def: $sgpr0
.LBB222_333:
	s_delay_alu instid0(SALU_CYCLE_1)
	s_and_not1_b32 vcc_lo, exec_lo, s21
	s_cbranch_vccnz .LBB222_335
; %bb.334:
	global_load_b32 v2, v[0:1], off
	s_and_not1_b32 s0, s0, exec_lo
	s_wait_loadcnt 0x0
	v_cmp_neq_f32_e32 vcc_lo, 0, v2
	s_and_b32 s21, vcc_lo, exec_lo
	s_delay_alu instid0(SALU_CYCLE_1)
	s_or_b32 s0, s0, s21
.LBB222_335:
	s_mov_b32 s21, 0
.LBB222_336:
	s_delay_alu instid0(SALU_CYCLE_1)
	s_and_not1_b32 vcc_lo, exec_lo, s21
	s_cbranch_vccnz .LBB222_338
; %bb.337:
	global_load_u16 v2, v[0:1], off
	s_and_not1_b32 s0, s0, exec_lo
	s_wait_loadcnt 0x0
	v_and_b32_e32 v2, 0x7fff, v2
	s_delay_alu instid0(VALU_DEP_1) | instskip(SKIP_1) | instid1(SALU_CYCLE_1)
	v_cmp_ne_u16_e32 vcc_lo, 0, v2
	s_and_b32 s21, vcc_lo, exec_lo
	s_or_b32 s0, s0, s21
.LBB222_338:
	s_mov_b32 s21, 0
.LBB222_339:
	s_delay_alu instid0(SALU_CYCLE_1)
	s_and_not1_b32 vcc_lo, exec_lo, s21
	s_cbranch_vccnz .LBB222_359
; %bb.340:
	s_cmp_lt_i32 s19, 2
	s_cbranch_scc1 .LBB222_344
; %bb.341:
	s_cmp_lt_i32 s19, 3
	s_cbranch_scc1 .LBB222_345
; %bb.342:
	s_cmp_gt_i32 s19, 3
	s_cbranch_scc0 .LBB222_346
; %bb.343:
	global_load_b64 v[2:3], v[0:1], off
	s_mov_b32 s21, 0
	s_wait_loadcnt 0x0
	v_cmp_ne_u64_e64 s0, 0, v[2:3]
	s_branch .LBB222_347
.LBB222_344:
	s_mov_b32 s21, -1
                                        ; implicit-def: $sgpr0
	s_branch .LBB222_353
.LBB222_345:
	s_mov_b32 s21, -1
                                        ; implicit-def: $sgpr0
	s_branch .LBB222_350
.LBB222_346:
	s_mov_b32 s21, -1
                                        ; implicit-def: $sgpr0
.LBB222_347:
	s_delay_alu instid0(SALU_CYCLE_1)
	s_and_not1_b32 vcc_lo, exec_lo, s21
	s_cbranch_vccnz .LBB222_349
; %bb.348:
	global_load_b32 v2, v[0:1], off
	s_and_not1_b32 s0, s0, exec_lo
	s_wait_loadcnt 0x0
	v_cmp_ne_u32_e32 vcc_lo, 0, v2
	s_and_b32 s21, vcc_lo, exec_lo
	s_delay_alu instid0(SALU_CYCLE_1)
	s_or_b32 s0, s0, s21
.LBB222_349:
	s_mov_b32 s21, 0
.LBB222_350:
	s_delay_alu instid0(SALU_CYCLE_1)
	s_and_not1_b32 vcc_lo, exec_lo, s21
	s_cbranch_vccnz .LBB222_352
; %bb.351:
	global_load_u16 v2, v[0:1], off
	s_and_not1_b32 s0, s0, exec_lo
	s_wait_loadcnt 0x0
	v_cmp_ne_u16_e32 vcc_lo, 0, v2
	s_and_b32 s21, vcc_lo, exec_lo
	s_delay_alu instid0(SALU_CYCLE_1)
	s_or_b32 s0, s0, s21
.LBB222_352:
	s_mov_b32 s21, 0
.LBB222_353:
	s_delay_alu instid0(SALU_CYCLE_1)
	s_and_not1_b32 vcc_lo, exec_lo, s21
	s_cbranch_vccnz .LBB222_359
; %bb.354:
	s_cmp_gt_i32 s19, 0
	s_mov_b32 s19, 0
	s_cbranch_scc0 .LBB222_356
; %bb.355:
	global_load_u8 v2, v[0:1], off
	s_wait_loadcnt 0x0
	v_cmp_ne_u16_e64 s0, 0, v2
	s_branch .LBB222_357
.LBB222_356:
	s_mov_b32 s19, -1
                                        ; implicit-def: $sgpr0
.LBB222_357:
	s_delay_alu instid0(SALU_CYCLE_1)
	s_and_not1_b32 vcc_lo, exec_lo, s19
	s_cbranch_vccnz .LBB222_359
; %bb.358:
	global_load_u8 v0, v[0:1], off
	s_and_not1_b32 s0, s0, exec_lo
	s_wait_loadcnt 0x0
	v_cmp_ne_u16_e32 vcc_lo, 0, v0
	s_and_b32 s19, vcc_lo, exec_lo
	s_delay_alu instid0(SALU_CYCLE_1)
	s_or_b32 s0, s0, s19
.LBB222_359:
	s_branch .LBB222_246
.LBB222_360:
	s_mov_b32 s21, 0
	s_mov_b32 s0, s15
                                        ; implicit-def: $vgpr4
	s_branch .LBB222_472
.LBB222_361:
	s_mov_b32 s23, -1
	s_mov_b32 s22, 0
	s_mov_b32 s0, s15
.LBB222_362:
	s_and_b32 vcc_lo, exec_lo, s23
	s_cbranch_vccz .LBB222_367
; %bb.363:
	s_cmp_eq_u32 s21, 44
	s_mov_b32 s0, -1
	s_cbranch_scc0 .LBB222_367
; %bb.364:
	v_cndmask_b32_e64 v5, 0, 1.0, s18
	s_mov_b32 s22, exec_lo
	s_wait_xcnt 0x0
	s_delay_alu instid0(VALU_DEP_1) | instskip(NEXT) | instid1(VALU_DEP_1)
	v_dual_mov_b32 v3, 0xff :: v_dual_lshrrev_b32 v2, 23, v5
	v_cmpx_ne_u32_e32 0xff, v2
; %bb.365:
	v_and_b32_e32 v3, 0x400000, v5
	v_and_or_b32 v5, 0x3fffff, v5, v2
	s_delay_alu instid0(VALU_DEP_2) | instskip(NEXT) | instid1(VALU_DEP_2)
	v_cmp_ne_u32_e32 vcc_lo, 0, v3
	v_cmp_ne_u32_e64 s0, 0, v5
	s_and_b32 s0, vcc_lo, s0
	s_delay_alu instid0(SALU_CYCLE_1) | instskip(NEXT) | instid1(VALU_DEP_1)
	v_cndmask_b32_e64 v3, 0, 1, s0
	v_add_nc_u32_e32 v3, v2, v3
; %bb.366:
	s_or_b32 exec_lo, exec_lo, s22
	s_mov_b32 s22, -1
	s_mov_b32 s0, 0
	global_store_b8 v[0:1], v3, off
.LBB222_367:
	s_mov_b32 s23, 0
.LBB222_368:
	s_delay_alu instid0(SALU_CYCLE_1)
	s_and_b32 vcc_lo, exec_lo, s23
	s_cbranch_vccz .LBB222_371
; %bb.369:
	s_cmp_eq_u32 s21, 29
	s_mov_b32 s0, -1
	s_cbranch_scc0 .LBB222_371
; %bb.370:
	s_mov_b32 s0, 0
	s_wait_xcnt 0x0
	v_cndmask_b32_e64 v2, 0, 1, s18
	v_mov_b32_e32 v3, s0
	s_mov_b32 s22, -1
	s_mov_b32 s23, 0
	global_store_b64 v[0:1], v[2:3], off
	s_branch .LBB222_372
.LBB222_371:
	s_mov_b32 s23, 0
.LBB222_372:
	s_delay_alu instid0(SALU_CYCLE_1)
	s_and_b32 vcc_lo, exec_lo, s23
	s_cbranch_vccz .LBB222_388
; %bb.373:
	s_cmp_lt_i32 s21, 27
	s_mov_b32 s22, -1
	s_cbranch_scc1 .LBB222_379
; %bb.374:
	s_cmp_gt_i32 s21, 27
	s_cbranch_scc0 .LBB222_376
; %bb.375:
	s_wait_xcnt 0x0
	v_cndmask_b32_e64 v2, 0, 1, s18
	s_mov_b32 s22, 0
	global_store_b32 v[0:1], v2, off
.LBB222_376:
	s_and_not1_b32 vcc_lo, exec_lo, s22
	s_cbranch_vccnz .LBB222_378
; %bb.377:
	s_wait_xcnt 0x0
	v_cndmask_b32_e64 v2, 0, 1, s18
	global_store_b16 v[0:1], v2, off
.LBB222_378:
	s_mov_b32 s22, 0
.LBB222_379:
	s_delay_alu instid0(SALU_CYCLE_1)
	s_and_not1_b32 vcc_lo, exec_lo, s22
	s_cbranch_vccnz .LBB222_387
; %bb.380:
	s_wait_xcnt 0x0
	v_cndmask_b32_e64 v3, 0, 1.0, s18
	v_mov_b32_e32 v5, 0x80
	s_mov_b32 s22, exec_lo
	s_delay_alu instid0(VALU_DEP_2)
	v_cmpx_gt_u32_e32 0x43800000, v3
	s_cbranch_execz .LBB222_386
; %bb.381:
	s_mov_b32 s23, 0
	s_mov_b32 s24, exec_lo
                                        ; implicit-def: $vgpr2
	v_cmpx_lt_u32_e32 0x3bffffff, v3
	s_xor_b32 s24, exec_lo, s24
	s_cbranch_execnz .LBB222_489
; %bb.382:
	s_and_not1_saveexec_b32 s24, s24
	s_cbranch_execnz .LBB222_490
.LBB222_383:
	s_or_b32 exec_lo, exec_lo, s24
	v_mov_b32_e32 v5, 0
	s_and_saveexec_b32 s24, s23
.LBB222_384:
	v_mov_b32_e32 v5, v2
.LBB222_385:
	s_or_b32 exec_lo, exec_lo, s24
.LBB222_386:
	s_delay_alu instid0(SALU_CYCLE_1)
	s_or_b32 exec_lo, exec_lo, s22
	global_store_b8 v[0:1], v5, off
.LBB222_387:
	s_mov_b32 s22, -1
.LBB222_388:
	s_mov_b32 s23, 0
.LBB222_389:
	s_delay_alu instid0(SALU_CYCLE_1)
	s_and_b32 vcc_lo, exec_lo, s23
	s_cbranch_vccz .LBB222_430
; %bb.390:
	s_cmp_gt_i32 s21, 22
	s_mov_b32 s23, -1
	s_cbranch_scc0 .LBB222_422
; %bb.391:
	s_cmp_lt_i32 s21, 24
	s_mov_b32 s22, -1
	s_cbranch_scc1 .LBB222_411
; %bb.392:
	s_cmp_gt_i32 s21, 24
	s_cbranch_scc0 .LBB222_400
; %bb.393:
	s_wait_xcnt 0x0
	v_cndmask_b32_e64 v3, 0, 1.0, s18
	v_mov_b32_e32 v5, 0x80
	s_mov_b32 s22, exec_lo
	s_delay_alu instid0(VALU_DEP_2)
	v_cmpx_gt_u32_e32 0x47800000, v3
	s_cbranch_execz .LBB222_399
; %bb.394:
	s_mov_b32 s23, 0
	s_mov_b32 s24, exec_lo
                                        ; implicit-def: $vgpr2
	v_cmpx_lt_u32_e32 0x37ffffff, v3
	s_xor_b32 s24, exec_lo, s24
	s_cbranch_execnz .LBB222_728
; %bb.395:
	s_and_not1_saveexec_b32 s24, s24
	s_cbranch_execnz .LBB222_729
.LBB222_396:
	s_or_b32 exec_lo, exec_lo, s24
	v_mov_b32_e32 v5, 0
	s_and_saveexec_b32 s24, s23
.LBB222_397:
	v_mov_b32_e32 v5, v2
.LBB222_398:
	s_or_b32 exec_lo, exec_lo, s24
.LBB222_399:
	s_delay_alu instid0(SALU_CYCLE_1)
	s_or_b32 exec_lo, exec_lo, s22
	s_mov_b32 s22, 0
	global_store_b8 v[0:1], v5, off
.LBB222_400:
	s_and_b32 vcc_lo, exec_lo, s22
	s_cbranch_vccz .LBB222_410
; %bb.401:
	s_wait_xcnt 0x0
	v_cndmask_b32_e64 v3, 0, 1.0, s18
	s_mov_b32 s22, exec_lo
                                        ; implicit-def: $vgpr2
	s_delay_alu instid0(VALU_DEP_1)
	v_cmpx_gt_u32_e32 0x43f00000, v3
	s_xor_b32 s22, exec_lo, s22
	s_cbranch_execz .LBB222_407
; %bb.402:
	s_mov_b32 s23, exec_lo
                                        ; implicit-def: $vgpr2
	v_cmpx_lt_u32_e32 0x3c7fffff, v3
	s_xor_b32 s23, exec_lo, s23
; %bb.403:
	v_bfe_u32 v2, v3, 20, 1
	s_delay_alu instid0(VALU_DEP_1) | instskip(NEXT) | instid1(VALU_DEP_1)
	v_add3_u32 v2, v3, v2, 0x407ffff
	v_and_b32_e32 v3, 0xff00000, v2
	v_lshrrev_b32_e32 v2, 20, v2
	s_delay_alu instid0(VALU_DEP_2) | instskip(NEXT) | instid1(VALU_DEP_2)
	v_cmp_ne_u32_e32 vcc_lo, 0x7f00000, v3
                                        ; implicit-def: $vgpr3
	v_cndmask_b32_e32 v2, 0x7e, v2, vcc_lo
; %bb.404:
	s_and_not1_saveexec_b32 s23, s23
; %bb.405:
	v_add_f32_e32 v2, 0x46800000, v3
; %bb.406:
	s_or_b32 exec_lo, exec_lo, s23
                                        ; implicit-def: $vgpr3
.LBB222_407:
	s_and_not1_saveexec_b32 s22, s22
; %bb.408:
	v_mov_b32_e32 v2, 0x7f
	v_cmp_lt_u32_e32 vcc_lo, 0x7f800000, v3
	s_delay_alu instid0(VALU_DEP_2)
	v_cndmask_b32_e32 v2, 0x7e, v2, vcc_lo
; %bb.409:
	s_or_b32 exec_lo, exec_lo, s22
	global_store_b8 v[0:1], v2, off
.LBB222_410:
	s_mov_b32 s22, 0
.LBB222_411:
	s_delay_alu instid0(SALU_CYCLE_1)
	s_and_not1_b32 vcc_lo, exec_lo, s22
	s_cbranch_vccnz .LBB222_421
; %bb.412:
	s_wait_xcnt 0x0
	v_cndmask_b32_e64 v3, 0, 1.0, s18
	s_mov_b32 s22, exec_lo
                                        ; implicit-def: $vgpr2
	s_delay_alu instid0(VALU_DEP_1)
	v_cmpx_gt_u32_e32 0x47800000, v3
	s_xor_b32 s22, exec_lo, s22
	s_cbranch_execz .LBB222_418
; %bb.413:
	s_mov_b32 s23, exec_lo
                                        ; implicit-def: $vgpr2
	v_cmpx_lt_u32_e32 0x387fffff, v3
	s_xor_b32 s23, exec_lo, s23
; %bb.414:
	v_bfe_u32 v2, v3, 21, 1
	s_delay_alu instid0(VALU_DEP_1) | instskip(NEXT) | instid1(VALU_DEP_1)
	v_add3_u32 v2, v3, v2, 0x80fffff
                                        ; implicit-def: $vgpr3
	v_lshrrev_b32_e32 v2, 21, v2
; %bb.415:
	s_and_not1_saveexec_b32 s23, s23
; %bb.416:
	v_add_f32_e32 v2, 0x43000000, v3
; %bb.417:
	s_or_b32 exec_lo, exec_lo, s23
                                        ; implicit-def: $vgpr3
.LBB222_418:
	s_and_not1_saveexec_b32 s22, s22
; %bb.419:
	v_mov_b32_e32 v2, 0x7f
	v_cmp_lt_u32_e32 vcc_lo, 0x7f800000, v3
	s_delay_alu instid0(VALU_DEP_2)
	v_cndmask_b32_e32 v2, 0x7c, v2, vcc_lo
; %bb.420:
	s_or_b32 exec_lo, exec_lo, s22
	global_store_b8 v[0:1], v2, off
.LBB222_421:
	s_mov_b32 s23, 0
	s_mov_b32 s22, -1
.LBB222_422:
	s_and_not1_b32 vcc_lo, exec_lo, s23
	s_cbranch_vccnz .LBB222_430
; %bb.423:
	s_cmp_gt_i32 s21, 14
	s_mov_b32 s23, -1
	s_cbranch_scc0 .LBB222_427
; %bb.424:
	s_cmp_eq_u32 s21, 15
	s_mov_b32 s0, -1
	s_cbranch_scc0 .LBB222_426
; %bb.425:
	s_wait_xcnt 0x0
	v_cndmask_b32_e64 v2, 0, 1.0, s18
	s_mov_b32 s22, -1
	s_mov_b32 s0, 0
	s_delay_alu instid0(VALU_DEP_1) | instskip(NEXT) | instid1(VALU_DEP_1)
	v_bfe_u32 v3, v2, 16, 1
	v_add3_u32 v2, v2, v3, 0x7fff
	global_store_d16_hi_b16 v[0:1], v2, off
.LBB222_426:
	s_mov_b32 s23, 0
.LBB222_427:
	s_delay_alu instid0(SALU_CYCLE_1)
	s_and_b32 vcc_lo, exec_lo, s23
	s_cbranch_vccz .LBB222_430
; %bb.428:
	s_cmp_eq_u32 s21, 11
	s_mov_b32 s0, -1
	s_cbranch_scc0 .LBB222_430
; %bb.429:
	s_wait_xcnt 0x0
	v_cndmask_b32_e64 v2, 0, 1, s18
	s_mov_b32 s22, -1
	s_mov_b32 s0, 0
	global_store_b8 v[0:1], v2, off
.LBB222_430:
	s_mov_b32 s21, 0
.LBB222_431:
	s_delay_alu instid0(SALU_CYCLE_1)
	s_and_b32 vcc_lo, exec_lo, s21
	s_cbranch_vccz .LBB222_470
; %bb.432:
	s_and_b32 s19, 0xffff, s19
	s_mov_b32 s21, -1
	s_cmp_lt_i32 s19, 5
	s_cbranch_scc1 .LBB222_453
; %bb.433:
	s_cmp_lt_i32 s19, 8
	s_cbranch_scc1 .LBB222_443
; %bb.434:
	;; [unrolled: 3-line block ×3, first 2 shown]
	s_cmp_gt_i32 s19, 9
	s_cbranch_scc0 .LBB222_437
; %bb.436:
	s_wait_xcnt 0x0
	v_cndmask_b32_e64 v2, 0, 1, s18
	v_mov_b32_e32 v8, 0
	s_mov_b32 s21, 0
	s_delay_alu instid0(VALU_DEP_2) | instskip(NEXT) | instid1(VALU_DEP_2)
	v_cvt_f64_u32_e32 v[6:7], v2
	v_mov_b32_e32 v9, v8
	global_store_b128 v[0:1], v[6:9], off
.LBB222_437:
	s_and_not1_b32 vcc_lo, exec_lo, s21
	s_cbranch_vccnz .LBB222_439
; %bb.438:
	s_wait_xcnt 0x0
	v_cndmask_b32_e64 v2, 0, 1.0, s18
	v_mov_b32_e32 v3, 0
	global_store_b64 v[0:1], v[2:3], off
.LBB222_439:
	s_mov_b32 s21, 0
.LBB222_440:
	s_delay_alu instid0(SALU_CYCLE_1)
	s_and_not1_b32 vcc_lo, exec_lo, s21
	s_cbranch_vccnz .LBB222_442
; %bb.441:
	s_wait_xcnt 0x0
	v_cndmask_b32_e64 v2, 0, 1.0, s18
	s_delay_alu instid0(VALU_DEP_1) | instskip(NEXT) | instid1(VALU_DEP_1)
	v_cvt_f16_f32_e32 v2, v2
	v_and_b32_e32 v2, 0xffff, v2
	global_store_b32 v[0:1], v2, off
.LBB222_442:
	s_mov_b32 s21, 0
.LBB222_443:
	s_delay_alu instid0(SALU_CYCLE_1)
	s_and_not1_b32 vcc_lo, exec_lo, s21
	s_cbranch_vccnz .LBB222_452
; %bb.444:
	s_cmp_lt_i32 s19, 6
	s_mov_b32 s21, -1
	s_cbranch_scc1 .LBB222_450
; %bb.445:
	s_cmp_gt_i32 s19, 6
	s_cbranch_scc0 .LBB222_447
; %bb.446:
	s_wait_xcnt 0x0
	v_cndmask_b32_e64 v2, 0, 1, s18
	s_mov_b32 s21, 0
	s_delay_alu instid0(VALU_DEP_1)
	v_cvt_f64_u32_e32 v[2:3], v2
	global_store_b64 v[0:1], v[2:3], off
.LBB222_447:
	s_and_not1_b32 vcc_lo, exec_lo, s21
	s_cbranch_vccnz .LBB222_449
; %bb.448:
	s_wait_xcnt 0x0
	v_cndmask_b32_e64 v2, 0, 1.0, s18
	global_store_b32 v[0:1], v2, off
.LBB222_449:
	s_mov_b32 s21, 0
.LBB222_450:
	s_delay_alu instid0(SALU_CYCLE_1)
	s_and_not1_b32 vcc_lo, exec_lo, s21
	s_cbranch_vccnz .LBB222_452
; %bb.451:
	s_wait_xcnt 0x0
	v_cndmask_b32_e64 v2, 0, 1.0, s18
	s_delay_alu instid0(VALU_DEP_1)
	v_cvt_f16_f32_e32 v2, v2
	global_store_b16 v[0:1], v2, off
.LBB222_452:
	s_mov_b32 s21, 0
.LBB222_453:
	s_delay_alu instid0(SALU_CYCLE_1)
	s_and_not1_b32 vcc_lo, exec_lo, s21
	s_cbranch_vccnz .LBB222_469
; %bb.454:
	s_cmp_lt_i32 s19, 2
	s_mov_b32 s21, -1
	s_cbranch_scc1 .LBB222_464
; %bb.455:
	s_cmp_lt_i32 s19, 3
	s_cbranch_scc1 .LBB222_461
; %bb.456:
	s_cmp_gt_i32 s19, 3
	s_cbranch_scc0 .LBB222_458
; %bb.457:
	s_mov_b32 s21, 0
	s_wait_xcnt 0x0
	v_cndmask_b32_e64 v2, 0, 1, s18
	v_mov_b32_e32 v3, s21
	global_store_b64 v[0:1], v[2:3], off
.LBB222_458:
	s_and_not1_b32 vcc_lo, exec_lo, s21
	s_cbranch_vccnz .LBB222_460
; %bb.459:
	s_wait_xcnt 0x0
	v_cndmask_b32_e64 v2, 0, 1, s18
	global_store_b32 v[0:1], v2, off
.LBB222_460:
	s_mov_b32 s21, 0
.LBB222_461:
	s_delay_alu instid0(SALU_CYCLE_1)
	s_and_not1_b32 vcc_lo, exec_lo, s21
	s_cbranch_vccnz .LBB222_463
; %bb.462:
	s_wait_xcnt 0x0
	v_cndmask_b32_e64 v2, 0, 1, s18
	global_store_b16 v[0:1], v2, off
.LBB222_463:
	s_mov_b32 s21, 0
.LBB222_464:
	s_delay_alu instid0(SALU_CYCLE_1)
	s_and_not1_b32 vcc_lo, exec_lo, s21
	s_cbranch_vccnz .LBB222_469
; %bb.465:
	s_wait_xcnt 0x0
	v_cndmask_b32_e64 v2, 0, 1, s18
	s_cmp_gt_i32 s19, 0
	s_mov_b32 s18, -1
	s_cbranch_scc0 .LBB222_467
; %bb.466:
	s_mov_b32 s18, 0
	global_store_b8 v[0:1], v2, off
.LBB222_467:
	s_and_not1_b32 vcc_lo, exec_lo, s18
	s_cbranch_vccnz .LBB222_469
; %bb.468:
	global_store_b8 v[0:1], v2, off
.LBB222_469:
	s_mov_b32 s22, -1
.LBB222_470:
	s_mov_b32 s18, 0
	s_and_not1_b32 vcc_lo, exec_lo, s22
	s_mov_b32 s21, 0
	s_cbranch_vccnz .LBB222_472
; %bb.471:
	v_add_nc_u32_e32 v4, 0x80, v4
	s_mov_b32 s21, -1
.LBB222_472:
	s_and_not1_b32 s19, s15, exec_lo
	s_and_b32 s0, s0, exec_lo
	s_and_not1_b32 s22, s16, exec_lo
	s_and_b32 s18, s18, exec_lo
	s_or_b32 s19, s19, s0
	s_or_b32 s18, s22, s18
	s_or_not1_b32 s0, s21, exec_lo
.LBB222_473:
	s_wait_xcnt 0x0
	s_or_b32 exec_lo, exec_lo, s20
	s_mov_b32 s22, 0
	s_mov_b32 s23, 0
	;; [unrolled: 1-line block ×3, first 2 shown]
                                        ; implicit-def: $sgpr21
                                        ; implicit-def: $vgpr0_vgpr1
	s_and_saveexec_b32 s20, s0
	s_cbranch_execz .LBB222_782
; %bb.474:
	s_mov_b32 s24, -1
	s_mov_b32 s0, s18
	s_mov_b32 s22, s19
	s_mov_b32 s21, exec_lo
	v_cmpx_gt_i32_e64 s14, v4
	s_cbranch_execz .LBB222_714
; %bb.475:
	v_mul_lo_u32 v0, v4, s9
	s_and_b32 s23, 0xffff, s3
	s_delay_alu instid0(SALU_CYCLE_1) | instskip(NEXT) | instid1(VALU_DEP_1)
	s_cmp_lt_i32 s23, 11
	v_ashrrev_i32_e32 v1, 31, v0
	s_delay_alu instid0(VALU_DEP_1)
	v_add_nc_u64_e32 v[0:1], s[6:7], v[0:1]
	s_cbranch_scc1 .LBB222_482
; %bb.476:
	s_cmp_gt_i32 s23, 25
	s_cbranch_scc0 .LBB222_483
; %bb.477:
	s_cmp_gt_i32 s23, 28
	s_cbranch_scc0 .LBB222_484
	;; [unrolled: 3-line block ×4, first 2 shown]
; %bb.480:
	s_cmp_eq_u32 s23, 46
	s_mov_b32 s25, 0
	s_cbranch_scc0 .LBB222_491
; %bb.481:
	global_load_b32 v2, v[0:1], off
	s_mov_b32 s22, 0
	s_wait_loadcnt 0x0
	v_and_b32_e32 v2, 0x7fff7fff, v2
	s_delay_alu instid0(VALU_DEP_1)
	v_cmp_ne_u32_e64 s0, 0, v2
	s_branch .LBB222_493
.LBB222_482:
	s_mov_b32 s25, -1
	s_mov_b32 s24, 0
	s_mov_b32 s22, s18
                                        ; implicit-def: $sgpr0
	s_branch .LBB222_540
.LBB222_483:
	s_mov_b32 s25, -1
	s_mov_b32 s24, 0
	s_mov_b32 s22, s18
                                        ; implicit-def: $sgpr0
	s_branch .LBB222_514
.LBB222_484:
	s_mov_b32 s25, -1
	s_mov_b32 s24, 0
	s_mov_b32 s22, s18
                                        ; implicit-def: $sgpr0
	s_branch .LBB222_501
.LBB222_485:
	s_mov_b32 s25, -1
	s_mov_b32 s24, 0
	s_mov_b32 s22, s18
                                        ; implicit-def: $sgpr0
	s_branch .LBB222_496
.LBB222_486:
	s_mov_b32 s25, -1
	s_mov_b32 s24, 0
	s_mov_b32 s22, s18
	s_branch .LBB222_492
.LBB222_487:
	v_bfe_u32 v2, v3, 21, 1
	s_mov_b32 s21, exec_lo
	s_delay_alu instid0(VALU_DEP_1) | instskip(NEXT) | instid1(VALU_DEP_1)
	v_add3_u32 v2, v3, v2, 0x88fffff
                                        ; implicit-def: $vgpr3
	v_lshrrev_b32_e32 v2, 21, v2
	s_and_not1_saveexec_b32 s22, s22
	s_cbranch_execz .LBB222_156
.LBB222_488:
	v_add_f32_e32 v2, 0x42800000, v3
	s_and_not1_b32 s21, s21, exec_lo
	s_delay_alu instid0(VALU_DEP_1) | instskip(NEXT) | instid1(VALU_DEP_1)
	v_and_b32_e32 v2, 0xff, v2
	v_cmp_ne_u32_e32 vcc_lo, 0, v2
	s_and_b32 s23, vcc_lo, exec_lo
	s_delay_alu instid0(SALU_CYCLE_1)
	s_or_b32 s21, s21, s23
	s_or_b32 exec_lo, exec_lo, s22
	v_mov_b32_e32 v5, 0
	s_and_saveexec_b32 s22, s21
	s_cbranch_execnz .LBB222_157
	s_branch .LBB222_158
.LBB222_489:
	v_bfe_u32 v2, v3, 20, 1
	s_mov_b32 s23, exec_lo
	s_delay_alu instid0(VALU_DEP_1) | instskip(NEXT) | instid1(VALU_DEP_1)
	v_add3_u32 v2, v3, v2, 0x487ffff
                                        ; implicit-def: $vgpr3
	v_lshrrev_b32_e32 v2, 20, v2
	s_and_not1_saveexec_b32 s24, s24
	s_cbranch_execz .LBB222_383
.LBB222_490:
	v_add_f32_e32 v2, 0x46000000, v3
	s_and_not1_b32 s23, s23, exec_lo
	s_delay_alu instid0(VALU_DEP_1) | instskip(NEXT) | instid1(VALU_DEP_1)
	v_and_b32_e32 v2, 0xff, v2
	v_cmp_ne_u32_e32 vcc_lo, 0, v2
	s_and_b32 s25, vcc_lo, exec_lo
	s_delay_alu instid0(SALU_CYCLE_1)
	s_or_b32 s23, s23, s25
	s_or_b32 exec_lo, exec_lo, s24
	v_mov_b32_e32 v5, 0
	s_and_saveexec_b32 s24, s23
	s_cbranch_execnz .LBB222_384
	s_branch .LBB222_385
.LBB222_491:
	s_mov_b32 s22, -1
	s_mov_b32 s24, 0
.LBB222_492:
                                        ; implicit-def: $sgpr0
.LBB222_493:
	s_and_b32 vcc_lo, exec_lo, s25
	s_cbranch_vccz .LBB222_495
; %bb.494:
	s_cmp_eq_u32 s23, 44
	s_cselect_b32 s24, -1, 0
	s_or_b32 s0, s0, exec_lo
	s_or_b32 s22, s22, exec_lo
.LBB222_495:
	s_mov_b32 s25, 0
.LBB222_496:
	s_delay_alu instid0(SALU_CYCLE_1)
	s_and_b32 vcc_lo, exec_lo, s25
	s_cbranch_vccz .LBB222_500
; %bb.497:
	s_cmp_eq_u32 s23, 29
	s_cbranch_scc0 .LBB222_499
; %bb.498:
	global_load_b64 v[2:3], v[0:1], off
	s_mov_b32 s24, -1
	s_mov_b32 s22, 0
	s_mov_b32 s25, 0
	s_wait_loadcnt 0x0
	v_cmp_ne_u64_e64 s0, 0, v[2:3]
	s_branch .LBB222_501
.LBB222_499:
	s_mov_b32 s22, -1
                                        ; implicit-def: $sgpr0
.LBB222_500:
	s_mov_b32 s25, 0
.LBB222_501:
	s_delay_alu instid0(SALU_CYCLE_1)
	s_and_b32 vcc_lo, exec_lo, s25
	s_cbranch_vccz .LBB222_513
; %bb.502:
	s_cmp_lt_i32 s23, 27
	s_cbranch_scc1 .LBB222_505
; %bb.503:
	s_cmp_gt_i32 s23, 27
	s_cbranch_scc0 .LBB222_506
; %bb.504:
	global_load_b32 v2, v[0:1], off
	s_mov_b32 s24, 0
	s_wait_loadcnt 0x0
	v_cmp_ne_u32_e64 s0, 0, v2
	s_branch .LBB222_507
.LBB222_505:
	s_mov_b32 s24, -1
                                        ; implicit-def: $sgpr0
	s_branch .LBB222_510
.LBB222_506:
	s_mov_b32 s24, -1
                                        ; implicit-def: $sgpr0
.LBB222_507:
	s_delay_alu instid0(SALU_CYCLE_1)
	s_and_not1_b32 vcc_lo, exec_lo, s24
	s_cbranch_vccnz .LBB222_509
; %bb.508:
	global_load_u16 v2, v[0:1], off
	s_and_not1_b32 s0, s0, exec_lo
	s_wait_loadcnt 0x0
	v_cmp_ne_u16_e32 vcc_lo, 0, v2
	s_and_b32 s24, vcc_lo, exec_lo
	s_delay_alu instid0(SALU_CYCLE_1)
	s_or_b32 s0, s0, s24
.LBB222_509:
	s_mov_b32 s24, 0
.LBB222_510:
	s_delay_alu instid0(SALU_CYCLE_1)
	s_and_not1_b32 vcc_lo, exec_lo, s24
	s_cbranch_vccnz .LBB222_512
; %bb.511:
	global_load_u8 v2, v[0:1], off
	s_and_not1_b32 s0, s0, exec_lo
	s_wait_loadcnt 0x0
	v_cmp_ne_u16_e32 vcc_lo, 0, v2
	s_and_b32 s24, vcc_lo, exec_lo
	s_delay_alu instid0(SALU_CYCLE_1)
	s_or_b32 s0, s0, s24
.LBB222_512:
	s_mov_b32 s24, -1
.LBB222_513:
	s_mov_b32 s25, 0
.LBB222_514:
	s_delay_alu instid0(SALU_CYCLE_1)
	s_and_b32 vcc_lo, exec_lo, s25
	s_cbranch_vccz .LBB222_539
; %bb.515:
	s_cmp_gt_i32 s23, 22
	s_cbranch_scc0 .LBB222_519
; %bb.516:
	s_cmp_lt_i32 s23, 24
	s_cbranch_scc1 .LBB222_520
; %bb.517:
	s_cmp_gt_i32 s23, 24
	s_cbranch_scc0 .LBB222_521
; %bb.518:
	global_load_u8 v2, v[0:1], off
	s_mov_b32 s24, 0
	s_wait_loadcnt 0x0
	v_cmp_ne_u16_e64 s0, 0, v2
	s_branch .LBB222_522
.LBB222_519:
	s_mov_b32 s25, -1
                                        ; implicit-def: $sgpr0
	s_branch .LBB222_528
.LBB222_520:
	s_mov_b32 s24, -1
                                        ; implicit-def: $sgpr0
	s_branch .LBB222_525
.LBB222_521:
	s_mov_b32 s24, -1
                                        ; implicit-def: $sgpr0
.LBB222_522:
	s_delay_alu instid0(SALU_CYCLE_1)
	s_and_not1_b32 vcc_lo, exec_lo, s24
	s_cbranch_vccnz .LBB222_524
; %bb.523:
	global_load_u8 v2, v[0:1], off
	s_and_not1_b32 s0, s0, exec_lo
	s_wait_loadcnt 0x0
	v_and_b32_e32 v2, 0x7f, v2
	s_delay_alu instid0(VALU_DEP_1) | instskip(SKIP_1) | instid1(SALU_CYCLE_1)
	v_cmp_ne_u16_e32 vcc_lo, 0, v2
	s_and_b32 s24, vcc_lo, exec_lo
	s_or_b32 s0, s0, s24
.LBB222_524:
	s_mov_b32 s24, 0
.LBB222_525:
	s_delay_alu instid0(SALU_CYCLE_1)
	s_and_not1_b32 vcc_lo, exec_lo, s24
	s_cbranch_vccnz .LBB222_527
; %bb.526:
	global_load_u8 v2, v[0:1], off
	s_and_not1_b32 s0, s0, exec_lo
	s_wait_loadcnt 0x0
	v_dual_lshlrev_b32 v3, 25, v2 :: v_dual_lshlrev_b32 v2, 8, v2
	s_delay_alu instid0(VALU_DEP_1) | instskip(NEXT) | instid1(VALU_DEP_2)
	v_cmp_gt_u32_e32 vcc_lo, 0x8000000, v3
	v_and_or_b32 v2, 0x7f00, v2, 0.5
	s_delay_alu instid0(VALU_DEP_1) | instskip(NEXT) | instid1(VALU_DEP_1)
	v_dual_add_f32 v2, -0.5, v2 :: v_dual_lshrrev_b32 v5, 4, v3
	v_or_b32_e32 v5, 0x70000000, v5
	s_delay_alu instid0(VALU_DEP_1) | instskip(NEXT) | instid1(VALU_DEP_1)
	v_mul_f32_e32 v5, 0x7800000, v5
	v_cndmask_b32_e32 v2, v5, v2, vcc_lo
	s_delay_alu instid0(VALU_DEP_1) | instskip(SKIP_1) | instid1(SALU_CYCLE_1)
	v_cmp_neq_f32_e32 vcc_lo, 0, v2
	s_and_b32 s24, vcc_lo, exec_lo
	s_or_b32 s0, s0, s24
.LBB222_527:
	s_mov_b32 s25, 0
	s_mov_b32 s24, -1
.LBB222_528:
	s_and_not1_b32 vcc_lo, exec_lo, s25
	s_cbranch_vccnz .LBB222_539
; %bb.529:
	s_cmp_gt_i32 s23, 14
	s_cbranch_scc0 .LBB222_532
; %bb.530:
	s_cmp_eq_u32 s23, 15
	s_cbranch_scc0 .LBB222_533
; %bb.531:
	global_load_u16 v2, v[0:1], off
	s_mov_b32 s22, 0
	s_mov_b32 s24, -1
	s_wait_loadcnt 0x0
	v_and_b32_e32 v2, 0x7fff, v2
	s_delay_alu instid0(VALU_DEP_1)
	v_cmp_ne_u16_e64 s0, 0, v2
	s_branch .LBB222_534
.LBB222_532:
	s_mov_b32 s25, -1
                                        ; implicit-def: $sgpr0
	s_branch .LBB222_535
.LBB222_533:
	s_mov_b32 s22, -1
                                        ; implicit-def: $sgpr0
.LBB222_534:
	s_mov_b32 s25, 0
.LBB222_535:
	s_delay_alu instid0(SALU_CYCLE_1)
	s_and_b32 vcc_lo, exec_lo, s25
	s_cbranch_vccz .LBB222_539
; %bb.536:
	s_cmp_eq_u32 s23, 11
	s_cbranch_scc0 .LBB222_538
; %bb.537:
	global_load_u8 v2, v[0:1], off
	s_mov_b32 s22, 0
	s_mov_b32 s24, -1
	s_wait_loadcnt 0x0
	v_cmp_ne_u16_e64 s0, 0, v2
	s_branch .LBB222_539
.LBB222_538:
	s_mov_b32 s22, -1
                                        ; implicit-def: $sgpr0
.LBB222_539:
	s_mov_b32 s25, 0
.LBB222_540:
	s_delay_alu instid0(SALU_CYCLE_1)
	s_and_b32 vcc_lo, exec_lo, s25
	s_cbranch_vccz .LBB222_589
; %bb.541:
	s_cmp_lt_i32 s23, 5
	s_cbranch_scc1 .LBB222_546
; %bb.542:
	s_cmp_lt_i32 s23, 8
	s_cbranch_scc1 .LBB222_547
	;; [unrolled: 3-line block ×3, first 2 shown]
; %bb.544:
	s_cmp_gt_i32 s23, 9
	s_cbranch_scc0 .LBB222_549
; %bb.545:
	global_load_b128 v[6:9], v[0:1], off
	s_mov_b32 s24, 0
	s_wait_loadcnt 0x0
	v_cmp_neq_f64_e32 vcc_lo, 0, v[6:7]
	v_cmp_neq_f64_e64 s0, 0, v[8:9]
	s_or_b32 s0, vcc_lo, s0
	s_branch .LBB222_550
.LBB222_546:
	s_mov_b32 s24, -1
                                        ; implicit-def: $sgpr0
	s_branch .LBB222_568
.LBB222_547:
	s_mov_b32 s24, -1
                                        ; implicit-def: $sgpr0
	s_branch .LBB222_556
.LBB222_548:
	s_mov_b32 s24, -1
                                        ; implicit-def: $sgpr0
	s_branch .LBB222_553
.LBB222_549:
	s_mov_b32 s24, -1
                                        ; implicit-def: $sgpr0
.LBB222_550:
	s_delay_alu instid0(SALU_CYCLE_1)
	s_and_not1_b32 vcc_lo, exec_lo, s24
	s_cbranch_vccnz .LBB222_552
; %bb.551:
	global_load_b64 v[2:3], v[0:1], off
	s_and_not1_b32 s0, s0, exec_lo
	s_wait_loadcnt 0x0
	v_bitop3_b32 v2, v2, 0x7fffffff, v3 bitop3:0xc8
	s_delay_alu instid0(VALU_DEP_1) | instskip(SKIP_1) | instid1(SALU_CYCLE_1)
	v_cmp_ne_u32_e32 vcc_lo, 0, v2
	s_and_b32 s24, vcc_lo, exec_lo
	s_or_b32 s0, s0, s24
.LBB222_552:
	s_mov_b32 s24, 0
.LBB222_553:
	s_delay_alu instid0(SALU_CYCLE_1)
	s_and_not1_b32 vcc_lo, exec_lo, s24
	s_cbranch_vccnz .LBB222_555
; %bb.554:
	global_load_b32 v2, v[0:1], off
	s_and_not1_b32 s0, s0, exec_lo
	s_wait_loadcnt 0x0
	v_and_b32_e32 v2, 0x7fff7fff, v2
	s_delay_alu instid0(VALU_DEP_1) | instskip(SKIP_1) | instid1(SALU_CYCLE_1)
	v_cmp_ne_u32_e32 vcc_lo, 0, v2
	s_and_b32 s24, vcc_lo, exec_lo
	s_or_b32 s0, s0, s24
.LBB222_555:
	s_mov_b32 s24, 0
.LBB222_556:
	s_delay_alu instid0(SALU_CYCLE_1)
	s_and_not1_b32 vcc_lo, exec_lo, s24
	s_cbranch_vccnz .LBB222_567
; %bb.557:
	s_cmp_lt_i32 s23, 6
	s_cbranch_scc1 .LBB222_560
; %bb.558:
	s_cmp_gt_i32 s23, 6
	s_cbranch_scc0 .LBB222_561
; %bb.559:
	global_load_b64 v[2:3], v[0:1], off
	s_mov_b32 s24, 0
	s_wait_loadcnt 0x0
	v_cmp_neq_f64_e64 s0, 0, v[2:3]
	s_branch .LBB222_562
.LBB222_560:
	s_mov_b32 s24, -1
                                        ; implicit-def: $sgpr0
	s_branch .LBB222_565
.LBB222_561:
	s_mov_b32 s24, -1
                                        ; implicit-def: $sgpr0
.LBB222_562:
	s_delay_alu instid0(SALU_CYCLE_1)
	s_and_not1_b32 vcc_lo, exec_lo, s24
	s_cbranch_vccnz .LBB222_564
; %bb.563:
	global_load_b32 v2, v[0:1], off
	s_and_not1_b32 s0, s0, exec_lo
	s_wait_loadcnt 0x0
	v_cmp_neq_f32_e32 vcc_lo, 0, v2
	s_and_b32 s24, vcc_lo, exec_lo
	s_delay_alu instid0(SALU_CYCLE_1)
	s_or_b32 s0, s0, s24
.LBB222_564:
	s_mov_b32 s24, 0
.LBB222_565:
	s_delay_alu instid0(SALU_CYCLE_1)
	s_and_not1_b32 vcc_lo, exec_lo, s24
	s_cbranch_vccnz .LBB222_567
; %bb.566:
	global_load_u16 v2, v[0:1], off
	s_and_not1_b32 s0, s0, exec_lo
	s_wait_loadcnt 0x0
	v_and_b32_e32 v2, 0x7fff, v2
	s_delay_alu instid0(VALU_DEP_1) | instskip(SKIP_1) | instid1(SALU_CYCLE_1)
	v_cmp_ne_u16_e32 vcc_lo, 0, v2
	s_and_b32 s24, vcc_lo, exec_lo
	s_or_b32 s0, s0, s24
.LBB222_567:
	s_mov_b32 s24, 0
.LBB222_568:
	s_delay_alu instid0(SALU_CYCLE_1)
	s_and_not1_b32 vcc_lo, exec_lo, s24
	s_cbranch_vccnz .LBB222_588
; %bb.569:
	s_cmp_lt_i32 s23, 2
	s_cbranch_scc1 .LBB222_573
; %bb.570:
	s_cmp_lt_i32 s23, 3
	s_cbranch_scc1 .LBB222_574
; %bb.571:
	s_cmp_gt_i32 s23, 3
	s_cbranch_scc0 .LBB222_575
; %bb.572:
	global_load_b64 v[2:3], v[0:1], off
	s_mov_b32 s24, 0
	s_wait_loadcnt 0x0
	v_cmp_ne_u64_e64 s0, 0, v[2:3]
	s_branch .LBB222_576
.LBB222_573:
	s_mov_b32 s24, -1
                                        ; implicit-def: $sgpr0
	s_branch .LBB222_582
.LBB222_574:
	s_mov_b32 s24, -1
                                        ; implicit-def: $sgpr0
	s_branch .LBB222_579
.LBB222_575:
	s_mov_b32 s24, -1
                                        ; implicit-def: $sgpr0
.LBB222_576:
	s_delay_alu instid0(SALU_CYCLE_1)
	s_and_not1_b32 vcc_lo, exec_lo, s24
	s_cbranch_vccnz .LBB222_578
; %bb.577:
	global_load_b32 v2, v[0:1], off
	s_and_not1_b32 s0, s0, exec_lo
	s_wait_loadcnt 0x0
	v_cmp_ne_u32_e32 vcc_lo, 0, v2
	s_and_b32 s24, vcc_lo, exec_lo
	s_delay_alu instid0(SALU_CYCLE_1)
	s_or_b32 s0, s0, s24
.LBB222_578:
	s_mov_b32 s24, 0
.LBB222_579:
	s_delay_alu instid0(SALU_CYCLE_1)
	s_and_not1_b32 vcc_lo, exec_lo, s24
	s_cbranch_vccnz .LBB222_581
; %bb.580:
	global_load_u16 v2, v[0:1], off
	s_and_not1_b32 s0, s0, exec_lo
	s_wait_loadcnt 0x0
	v_cmp_ne_u16_e32 vcc_lo, 0, v2
	s_and_b32 s24, vcc_lo, exec_lo
	s_delay_alu instid0(SALU_CYCLE_1)
	s_or_b32 s0, s0, s24
.LBB222_581:
	s_mov_b32 s24, 0
.LBB222_582:
	s_delay_alu instid0(SALU_CYCLE_1)
	s_and_not1_b32 vcc_lo, exec_lo, s24
	s_cbranch_vccnz .LBB222_588
; %bb.583:
	s_cmp_gt_i32 s23, 0
	s_mov_b32 s23, 0
	s_cbranch_scc0 .LBB222_585
; %bb.584:
	global_load_u8 v2, v[0:1], off
	s_wait_loadcnt 0x0
	v_cmp_ne_u16_e64 s0, 0, v2
	s_branch .LBB222_586
.LBB222_585:
	s_mov_b32 s23, -1
                                        ; implicit-def: $sgpr0
.LBB222_586:
	s_delay_alu instid0(SALU_CYCLE_1)
	s_and_not1_b32 vcc_lo, exec_lo, s23
	s_cbranch_vccnz .LBB222_588
; %bb.587:
	global_load_u8 v0, v[0:1], off
	s_and_not1_b32 s0, s0, exec_lo
	s_wait_loadcnt 0x0
	v_cmp_ne_u16_e32 vcc_lo, 0, v0
	s_and_b32 s23, vcc_lo, exec_lo
	s_delay_alu instid0(SALU_CYCLE_1)
	s_or_b32 s0, s0, s23
.LBB222_588:
	s_mov_b32 s24, -1
.LBB222_589:
	s_delay_alu instid0(SALU_CYCLE_1)
	s_and_not1_b32 vcc_lo, exec_lo, s24
	s_cbranch_vccnz .LBB222_597
; %bb.590:
	s_wait_xcnt 0x0
	v_mul_lo_u32 v0, v4, s8
	s_and_b32 s23, s2, 0xff
	s_delay_alu instid0(VALU_DEP_2) | instskip(SKIP_1) | instid1(VALU_DEP_1)
	s_xor_b32 s22, s0, s13
	s_cmp_lt_i32 s23, 11
	v_ashrrev_i32_e32 v1, 31, v0
	s_delay_alu instid0(VALU_DEP_1)
	v_add_nc_u64_e32 v[0:1], s[4:5], v[0:1]
	s_cbranch_scc1 .LBB222_598
; %bb.591:
	s_and_b32 s24, 0xffff, s23
	s_delay_alu instid0(SALU_CYCLE_1)
	s_cmp_gt_i32 s24, 25
	s_cbranch_scc0 .LBB222_599
; %bb.592:
	s_cmp_gt_i32 s24, 28
	s_cbranch_scc0 .LBB222_600
; %bb.593:
	;; [unrolled: 3-line block ×4, first 2 shown]
	s_mov_b32 s26, 0
	s_mov_b32 s0, -1
	s_cmp_eq_u32 s24, 46
	s_mov_b32 s25, 0
	s_cbranch_scc0 .LBB222_603
; %bb.596:
	v_cndmask_b32_e64 v2, 0, 1.0, s22
	s_mov_b32 s25, -1
	s_mov_b32 s0, 0
	s_delay_alu instid0(VALU_DEP_1) | instskip(NEXT) | instid1(VALU_DEP_1)
	v_bfe_u32 v3, v2, 16, 1
	v_add3_u32 v2, v2, v3, 0x7fff
	s_delay_alu instid0(VALU_DEP_1)
	v_lshrrev_b32_e32 v2, 16, v2
	global_store_b32 v[0:1], v2, off
	s_branch .LBB222_603
.LBB222_597:
	s_mov_b32 s23, 0
	s_mov_b32 s0, s19
                                        ; implicit-def: $vgpr4
	s_branch .LBB222_713
.LBB222_598:
	s_mov_b32 s24, -1
	s_mov_b32 s25, 0
	s_mov_b32 s0, s19
	s_branch .LBB222_672
.LBB222_599:
	s_mov_b32 s26, -1
	s_mov_b32 s25, 0
	s_mov_b32 s0, s19
	s_branch .LBB222_630
.LBB222_600:
	s_mov_b32 s26, -1
	s_mov_b32 s25, 0
	s_mov_b32 s0, s19
	s_branch .LBB222_613
.LBB222_601:
	s_mov_b32 s26, -1
	s_mov_b32 s25, 0
	s_mov_b32 s0, s19
	s_branch .LBB222_609
.LBB222_602:
	s_mov_b32 s26, -1
	s_mov_b32 s25, 0
	s_mov_b32 s0, s19
.LBB222_603:
	s_and_b32 vcc_lo, exec_lo, s26
	s_cbranch_vccz .LBB222_608
; %bb.604:
	s_cmp_eq_u32 s24, 44
	s_mov_b32 s0, -1
	s_cbranch_scc0 .LBB222_608
; %bb.605:
	v_cndmask_b32_e64 v5, 0, 1.0, s22
	s_mov_b32 s25, exec_lo
	s_wait_xcnt 0x0
	s_delay_alu instid0(VALU_DEP_1) | instskip(NEXT) | instid1(VALU_DEP_1)
	v_dual_mov_b32 v3, 0xff :: v_dual_lshrrev_b32 v2, 23, v5
	v_cmpx_ne_u32_e32 0xff, v2
; %bb.606:
	v_and_b32_e32 v3, 0x400000, v5
	v_and_or_b32 v5, 0x3fffff, v5, v2
	s_delay_alu instid0(VALU_DEP_2) | instskip(NEXT) | instid1(VALU_DEP_2)
	v_cmp_ne_u32_e32 vcc_lo, 0, v3
	v_cmp_ne_u32_e64 s0, 0, v5
	s_and_b32 s0, vcc_lo, s0
	s_delay_alu instid0(SALU_CYCLE_1) | instskip(NEXT) | instid1(VALU_DEP_1)
	v_cndmask_b32_e64 v3, 0, 1, s0
	v_add_nc_u32_e32 v3, v2, v3
; %bb.607:
	s_or_b32 exec_lo, exec_lo, s25
	s_mov_b32 s25, -1
	s_mov_b32 s0, 0
	global_store_b8 v[0:1], v3, off
.LBB222_608:
	s_mov_b32 s26, 0
.LBB222_609:
	s_delay_alu instid0(SALU_CYCLE_1)
	s_and_b32 vcc_lo, exec_lo, s26
	s_cbranch_vccz .LBB222_612
; %bb.610:
	s_cmp_eq_u32 s24, 29
	s_mov_b32 s0, -1
	s_cbranch_scc0 .LBB222_612
; %bb.611:
	s_mov_b32 s0, 0
	s_wait_xcnt 0x0
	v_cndmask_b32_e64 v2, 0, 1, s22
	v_mov_b32_e32 v3, s0
	s_mov_b32 s25, -1
	s_mov_b32 s26, 0
	global_store_b64 v[0:1], v[2:3], off
	s_branch .LBB222_613
.LBB222_612:
	s_mov_b32 s26, 0
.LBB222_613:
	s_delay_alu instid0(SALU_CYCLE_1)
	s_and_b32 vcc_lo, exec_lo, s26
	s_cbranch_vccz .LBB222_629
; %bb.614:
	s_cmp_lt_i32 s24, 27
	s_mov_b32 s25, -1
	s_cbranch_scc1 .LBB222_620
; %bb.615:
	s_cmp_gt_i32 s24, 27
	s_cbranch_scc0 .LBB222_617
; %bb.616:
	s_wait_xcnt 0x0
	v_cndmask_b32_e64 v2, 0, 1, s22
	s_mov_b32 s25, 0
	global_store_b32 v[0:1], v2, off
.LBB222_617:
	s_and_not1_b32 vcc_lo, exec_lo, s25
	s_cbranch_vccnz .LBB222_619
; %bb.618:
	s_wait_xcnt 0x0
	v_cndmask_b32_e64 v2, 0, 1, s22
	global_store_b16 v[0:1], v2, off
.LBB222_619:
	s_mov_b32 s25, 0
.LBB222_620:
	s_delay_alu instid0(SALU_CYCLE_1)
	s_and_not1_b32 vcc_lo, exec_lo, s25
	s_cbranch_vccnz .LBB222_628
; %bb.621:
	s_wait_xcnt 0x0
	v_cndmask_b32_e64 v3, 0, 1.0, s22
	v_mov_b32_e32 v5, 0x80
	s_mov_b32 s25, exec_lo
	s_delay_alu instid0(VALU_DEP_2)
	v_cmpx_gt_u32_e32 0x43800000, v3
	s_cbranch_execz .LBB222_627
; %bb.622:
	s_mov_b32 s26, 0
	s_mov_b32 s27, exec_lo
                                        ; implicit-def: $vgpr2
	v_cmpx_lt_u32_e32 0x3bffffff, v3
	s_xor_b32 s27, exec_lo, s27
	s_cbranch_execnz .LBB222_730
; %bb.623:
	s_and_not1_saveexec_b32 s27, s27
	s_cbranch_execnz .LBB222_731
.LBB222_624:
	s_or_b32 exec_lo, exec_lo, s27
	v_mov_b32_e32 v5, 0
	s_and_saveexec_b32 s27, s26
.LBB222_625:
	v_mov_b32_e32 v5, v2
.LBB222_626:
	s_or_b32 exec_lo, exec_lo, s27
.LBB222_627:
	s_delay_alu instid0(SALU_CYCLE_1)
	s_or_b32 exec_lo, exec_lo, s25
	global_store_b8 v[0:1], v5, off
.LBB222_628:
	s_mov_b32 s25, -1
.LBB222_629:
	s_mov_b32 s26, 0
.LBB222_630:
	s_delay_alu instid0(SALU_CYCLE_1)
	s_and_b32 vcc_lo, exec_lo, s26
	s_cbranch_vccz .LBB222_671
; %bb.631:
	s_cmp_gt_i32 s24, 22
	s_mov_b32 s26, -1
	s_cbranch_scc0 .LBB222_663
; %bb.632:
	s_cmp_lt_i32 s24, 24
	s_mov_b32 s25, -1
	s_cbranch_scc1 .LBB222_652
; %bb.633:
	s_cmp_gt_i32 s24, 24
	s_cbranch_scc0 .LBB222_641
; %bb.634:
	s_wait_xcnt 0x0
	v_cndmask_b32_e64 v3, 0, 1.0, s22
	v_mov_b32_e32 v5, 0x80
	s_mov_b32 s25, exec_lo
	s_delay_alu instid0(VALU_DEP_2)
	v_cmpx_gt_u32_e32 0x47800000, v3
	s_cbranch_execz .LBB222_640
; %bb.635:
	s_mov_b32 s26, 0
	s_mov_b32 s27, exec_lo
                                        ; implicit-def: $vgpr2
	v_cmpx_lt_u32_e32 0x37ffffff, v3
	s_xor_b32 s27, exec_lo, s27
	s_cbranch_execnz .LBB222_1879
; %bb.636:
	s_and_not1_saveexec_b32 s27, s27
	s_cbranch_execnz .LBB222_1880
.LBB222_637:
	s_or_b32 exec_lo, exec_lo, s27
	v_mov_b32_e32 v5, 0
	s_and_saveexec_b32 s27, s26
.LBB222_638:
	v_mov_b32_e32 v5, v2
.LBB222_639:
	s_or_b32 exec_lo, exec_lo, s27
.LBB222_640:
	s_delay_alu instid0(SALU_CYCLE_1)
	s_or_b32 exec_lo, exec_lo, s25
	s_mov_b32 s25, 0
	global_store_b8 v[0:1], v5, off
.LBB222_641:
	s_and_b32 vcc_lo, exec_lo, s25
	s_cbranch_vccz .LBB222_651
; %bb.642:
	s_wait_xcnt 0x0
	v_cndmask_b32_e64 v3, 0, 1.0, s22
	s_mov_b32 s25, exec_lo
                                        ; implicit-def: $vgpr2
	s_delay_alu instid0(VALU_DEP_1)
	v_cmpx_gt_u32_e32 0x43f00000, v3
	s_xor_b32 s25, exec_lo, s25
	s_cbranch_execz .LBB222_648
; %bb.643:
	s_mov_b32 s26, exec_lo
                                        ; implicit-def: $vgpr2
	v_cmpx_lt_u32_e32 0x3c7fffff, v3
	s_xor_b32 s26, exec_lo, s26
; %bb.644:
	v_bfe_u32 v2, v3, 20, 1
	s_delay_alu instid0(VALU_DEP_1) | instskip(NEXT) | instid1(VALU_DEP_1)
	v_add3_u32 v2, v3, v2, 0x407ffff
	v_and_b32_e32 v3, 0xff00000, v2
	v_lshrrev_b32_e32 v2, 20, v2
	s_delay_alu instid0(VALU_DEP_2) | instskip(NEXT) | instid1(VALU_DEP_2)
	v_cmp_ne_u32_e32 vcc_lo, 0x7f00000, v3
                                        ; implicit-def: $vgpr3
	v_cndmask_b32_e32 v2, 0x7e, v2, vcc_lo
; %bb.645:
	s_and_not1_saveexec_b32 s26, s26
; %bb.646:
	v_add_f32_e32 v2, 0x46800000, v3
; %bb.647:
	s_or_b32 exec_lo, exec_lo, s26
                                        ; implicit-def: $vgpr3
.LBB222_648:
	s_and_not1_saveexec_b32 s25, s25
; %bb.649:
	v_mov_b32_e32 v2, 0x7f
	v_cmp_lt_u32_e32 vcc_lo, 0x7f800000, v3
	s_delay_alu instid0(VALU_DEP_2)
	v_cndmask_b32_e32 v2, 0x7e, v2, vcc_lo
; %bb.650:
	s_or_b32 exec_lo, exec_lo, s25
	global_store_b8 v[0:1], v2, off
.LBB222_651:
	s_mov_b32 s25, 0
.LBB222_652:
	s_delay_alu instid0(SALU_CYCLE_1)
	s_and_not1_b32 vcc_lo, exec_lo, s25
	s_cbranch_vccnz .LBB222_662
; %bb.653:
	s_wait_xcnt 0x0
	v_cndmask_b32_e64 v3, 0, 1.0, s22
	s_mov_b32 s25, exec_lo
                                        ; implicit-def: $vgpr2
	s_delay_alu instid0(VALU_DEP_1)
	v_cmpx_gt_u32_e32 0x47800000, v3
	s_xor_b32 s25, exec_lo, s25
	s_cbranch_execz .LBB222_659
; %bb.654:
	s_mov_b32 s26, exec_lo
                                        ; implicit-def: $vgpr2
	v_cmpx_lt_u32_e32 0x387fffff, v3
	s_xor_b32 s26, exec_lo, s26
; %bb.655:
	v_bfe_u32 v2, v3, 21, 1
	s_delay_alu instid0(VALU_DEP_1) | instskip(NEXT) | instid1(VALU_DEP_1)
	v_add3_u32 v2, v3, v2, 0x80fffff
                                        ; implicit-def: $vgpr3
	v_lshrrev_b32_e32 v2, 21, v2
; %bb.656:
	s_and_not1_saveexec_b32 s26, s26
; %bb.657:
	v_add_f32_e32 v2, 0x43000000, v3
; %bb.658:
	s_or_b32 exec_lo, exec_lo, s26
                                        ; implicit-def: $vgpr3
.LBB222_659:
	s_and_not1_saveexec_b32 s25, s25
; %bb.660:
	v_mov_b32_e32 v2, 0x7f
	v_cmp_lt_u32_e32 vcc_lo, 0x7f800000, v3
	s_delay_alu instid0(VALU_DEP_2)
	v_cndmask_b32_e32 v2, 0x7c, v2, vcc_lo
; %bb.661:
	s_or_b32 exec_lo, exec_lo, s25
	global_store_b8 v[0:1], v2, off
.LBB222_662:
	s_mov_b32 s26, 0
	s_mov_b32 s25, -1
.LBB222_663:
	s_and_not1_b32 vcc_lo, exec_lo, s26
	s_cbranch_vccnz .LBB222_671
; %bb.664:
	s_cmp_gt_i32 s24, 14
	s_mov_b32 s26, -1
	s_cbranch_scc0 .LBB222_668
; %bb.665:
	s_cmp_eq_u32 s24, 15
	s_mov_b32 s0, -1
	s_cbranch_scc0 .LBB222_667
; %bb.666:
	s_wait_xcnt 0x0
	v_cndmask_b32_e64 v2, 0, 1.0, s22
	s_mov_b32 s25, -1
	s_mov_b32 s0, 0
	s_delay_alu instid0(VALU_DEP_1) | instskip(NEXT) | instid1(VALU_DEP_1)
	v_bfe_u32 v3, v2, 16, 1
	v_add3_u32 v2, v2, v3, 0x7fff
	global_store_d16_hi_b16 v[0:1], v2, off
.LBB222_667:
	s_mov_b32 s26, 0
.LBB222_668:
	s_delay_alu instid0(SALU_CYCLE_1)
	s_and_b32 vcc_lo, exec_lo, s26
	s_cbranch_vccz .LBB222_671
; %bb.669:
	s_cmp_eq_u32 s24, 11
	s_mov_b32 s0, -1
	s_cbranch_scc0 .LBB222_671
; %bb.670:
	s_wait_xcnt 0x0
	v_cndmask_b32_e64 v2, 0, 1, s22
	s_mov_b32 s25, -1
	s_mov_b32 s0, 0
	global_store_b8 v[0:1], v2, off
.LBB222_671:
	s_mov_b32 s24, 0
.LBB222_672:
	s_delay_alu instid0(SALU_CYCLE_1)
	s_and_b32 vcc_lo, exec_lo, s24
	s_cbranch_vccz .LBB222_711
; %bb.673:
	s_and_b32 s23, 0xffff, s23
	s_mov_b32 s24, -1
	s_cmp_lt_i32 s23, 5
	s_cbranch_scc1 .LBB222_694
; %bb.674:
	s_cmp_lt_i32 s23, 8
	s_cbranch_scc1 .LBB222_684
; %bb.675:
	;; [unrolled: 3-line block ×3, first 2 shown]
	s_cmp_gt_i32 s23, 9
	s_cbranch_scc0 .LBB222_678
; %bb.677:
	s_wait_xcnt 0x0
	v_cndmask_b32_e64 v2, 0, 1, s22
	v_mov_b32_e32 v8, 0
	s_mov_b32 s24, 0
	s_delay_alu instid0(VALU_DEP_2) | instskip(NEXT) | instid1(VALU_DEP_2)
	v_cvt_f64_u32_e32 v[6:7], v2
	v_mov_b32_e32 v9, v8
	global_store_b128 v[0:1], v[6:9], off
.LBB222_678:
	s_and_not1_b32 vcc_lo, exec_lo, s24
	s_cbranch_vccnz .LBB222_680
; %bb.679:
	s_wait_xcnt 0x0
	v_cndmask_b32_e64 v2, 0, 1.0, s22
	v_mov_b32_e32 v3, 0
	global_store_b64 v[0:1], v[2:3], off
.LBB222_680:
	s_mov_b32 s24, 0
.LBB222_681:
	s_delay_alu instid0(SALU_CYCLE_1)
	s_and_not1_b32 vcc_lo, exec_lo, s24
	s_cbranch_vccnz .LBB222_683
; %bb.682:
	s_wait_xcnt 0x0
	v_cndmask_b32_e64 v2, 0, 1.0, s22
	s_delay_alu instid0(VALU_DEP_1) | instskip(NEXT) | instid1(VALU_DEP_1)
	v_cvt_f16_f32_e32 v2, v2
	v_and_b32_e32 v2, 0xffff, v2
	global_store_b32 v[0:1], v2, off
.LBB222_683:
	s_mov_b32 s24, 0
.LBB222_684:
	s_delay_alu instid0(SALU_CYCLE_1)
	s_and_not1_b32 vcc_lo, exec_lo, s24
	s_cbranch_vccnz .LBB222_693
; %bb.685:
	s_cmp_lt_i32 s23, 6
	s_mov_b32 s24, -1
	s_cbranch_scc1 .LBB222_691
; %bb.686:
	s_cmp_gt_i32 s23, 6
	s_cbranch_scc0 .LBB222_688
; %bb.687:
	s_wait_xcnt 0x0
	v_cndmask_b32_e64 v2, 0, 1, s22
	s_mov_b32 s24, 0
	s_delay_alu instid0(VALU_DEP_1)
	v_cvt_f64_u32_e32 v[2:3], v2
	global_store_b64 v[0:1], v[2:3], off
.LBB222_688:
	s_and_not1_b32 vcc_lo, exec_lo, s24
	s_cbranch_vccnz .LBB222_690
; %bb.689:
	s_wait_xcnt 0x0
	v_cndmask_b32_e64 v2, 0, 1.0, s22
	global_store_b32 v[0:1], v2, off
.LBB222_690:
	s_mov_b32 s24, 0
.LBB222_691:
	s_delay_alu instid0(SALU_CYCLE_1)
	s_and_not1_b32 vcc_lo, exec_lo, s24
	s_cbranch_vccnz .LBB222_693
; %bb.692:
	s_wait_xcnt 0x0
	v_cndmask_b32_e64 v2, 0, 1.0, s22
	s_delay_alu instid0(VALU_DEP_1)
	v_cvt_f16_f32_e32 v2, v2
	global_store_b16 v[0:1], v2, off
.LBB222_693:
	s_mov_b32 s24, 0
.LBB222_694:
	s_delay_alu instid0(SALU_CYCLE_1)
	s_and_not1_b32 vcc_lo, exec_lo, s24
	s_cbranch_vccnz .LBB222_710
; %bb.695:
	s_cmp_lt_i32 s23, 2
	s_mov_b32 s24, -1
	s_cbranch_scc1 .LBB222_705
; %bb.696:
	s_cmp_lt_i32 s23, 3
	s_cbranch_scc1 .LBB222_702
; %bb.697:
	s_cmp_gt_i32 s23, 3
	s_cbranch_scc0 .LBB222_699
; %bb.698:
	s_mov_b32 s24, 0
	s_wait_xcnt 0x0
	v_cndmask_b32_e64 v2, 0, 1, s22
	v_mov_b32_e32 v3, s24
	global_store_b64 v[0:1], v[2:3], off
.LBB222_699:
	s_and_not1_b32 vcc_lo, exec_lo, s24
	s_cbranch_vccnz .LBB222_701
; %bb.700:
	s_wait_xcnt 0x0
	v_cndmask_b32_e64 v2, 0, 1, s22
	global_store_b32 v[0:1], v2, off
.LBB222_701:
	s_mov_b32 s24, 0
.LBB222_702:
	s_delay_alu instid0(SALU_CYCLE_1)
	s_and_not1_b32 vcc_lo, exec_lo, s24
	s_cbranch_vccnz .LBB222_704
; %bb.703:
	s_wait_xcnt 0x0
	v_cndmask_b32_e64 v2, 0, 1, s22
	global_store_b16 v[0:1], v2, off
.LBB222_704:
	s_mov_b32 s24, 0
.LBB222_705:
	s_delay_alu instid0(SALU_CYCLE_1)
	s_and_not1_b32 vcc_lo, exec_lo, s24
	s_cbranch_vccnz .LBB222_710
; %bb.706:
	s_wait_xcnt 0x0
	v_cndmask_b32_e64 v2, 0, 1, s22
	s_cmp_gt_i32 s23, 0
	s_mov_b32 s22, -1
	s_cbranch_scc0 .LBB222_708
; %bb.707:
	s_mov_b32 s22, 0
	global_store_b8 v[0:1], v2, off
.LBB222_708:
	s_and_not1_b32 vcc_lo, exec_lo, s22
	s_cbranch_vccnz .LBB222_710
; %bb.709:
	global_store_b8 v[0:1], v2, off
.LBB222_710:
	s_mov_b32 s25, -1
.LBB222_711:
	s_mov_b32 s22, 0
	s_and_not1_b32 vcc_lo, exec_lo, s25
	s_mov_b32 s23, 0
	s_cbranch_vccnz .LBB222_713
; %bb.712:
	v_add_nc_u32_e32 v4, 0x80, v4
	s_mov_b32 s23, -1
.LBB222_713:
	s_and_not1_b32 s24, s19, exec_lo
	s_and_b32 s0, s0, exec_lo
	s_and_not1_b32 s25, s18, exec_lo
	s_and_b32 s26, s22, exec_lo
	s_or_b32 s22, s24, s0
	s_or_b32 s0, s25, s26
	s_or_not1_b32 s24, s23, exec_lo
.LBB222_714:
	s_wait_xcnt 0x0
	s_or_b32 exec_lo, exec_lo, s21
	s_mov_b32 s25, 0
	s_mov_b32 s26, 0
	;; [unrolled: 1-line block ×3, first 2 shown]
                                        ; implicit-def: $sgpr21
                                        ; implicit-def: $vgpr0_vgpr1
	s_and_saveexec_b32 s23, s24
	s_cbranch_execz .LBB222_781
; %bb.715:
	v_cmp_gt_i32_e32 vcc_lo, s14, v4
	s_mov_b32 s24, 0
	s_mov_b32 s28, s0
                                        ; implicit-def: $sgpr21
                                        ; implicit-def: $vgpr0_vgpr1
	s_and_saveexec_b32 s14, vcc_lo
	s_cbranch_execz .LBB222_780
; %bb.716:
	v_mul_lo_u32 v0, v4, s9
	s_and_b32 s25, 0xffff, s3
	s_delay_alu instid0(SALU_CYCLE_1) | instskip(NEXT) | instid1(VALU_DEP_1)
	s_cmp_lt_i32 s25, 11
	v_ashrrev_i32_e32 v1, 31, v0
	s_delay_alu instid0(VALU_DEP_1)
	v_add_nc_u64_e32 v[0:1], s[6:7], v[0:1]
	s_cbranch_scc1 .LBB222_723
; %bb.717:
	s_cmp_gt_i32 s25, 25
	s_cbranch_scc0 .LBB222_724
; %bb.718:
	s_cmp_gt_i32 s25, 28
	s_cbranch_scc0 .LBB222_725
	;; [unrolled: 3-line block ×4, first 2 shown]
; %bb.721:
	s_cmp_eq_u32 s25, 46
	s_mov_b32 s28, 0
	s_cbranch_scc0 .LBB222_732
; %bb.722:
	global_load_b32 v2, v[0:1], off
	s_mov_b32 s27, -1
	s_wait_loadcnt 0x0
	v_and_b32_e32 v2, 0x7fff7fff, v2
	s_delay_alu instid0(VALU_DEP_1)
	v_cmp_ne_u32_e64 s21, 0, v2
	s_branch .LBB222_734
.LBB222_723:
	s_mov_b32 s25, -1
	s_mov_b32 s24, s0
                                        ; implicit-def: $sgpr21
	s_branch .LBB222_779
.LBB222_724:
	s_mov_b32 s28, -1
	s_mov_b32 s24, s0
                                        ; implicit-def: $sgpr21
	s_branch .LBB222_755
.LBB222_725:
	s_mov_b32 s28, -1
	s_mov_b32 s24, s0
                                        ; implicit-def: $sgpr21
	s_branch .LBB222_742
.LBB222_726:
	s_mov_b32 s28, -1
	s_mov_b32 s24, s0
                                        ; implicit-def: $sgpr21
	s_branch .LBB222_737
.LBB222_727:
	s_mov_b32 s28, -1
	s_mov_b32 s24, s0
	s_branch .LBB222_733
.LBB222_728:
	v_bfe_u32 v2, v3, 21, 1
	s_mov_b32 s23, exec_lo
	s_delay_alu instid0(VALU_DEP_1) | instskip(NEXT) | instid1(VALU_DEP_1)
	v_add3_u32 v2, v3, v2, 0x88fffff
                                        ; implicit-def: $vgpr3
	v_lshrrev_b32_e32 v2, 21, v2
	s_and_not1_saveexec_b32 s24, s24
	s_cbranch_execz .LBB222_396
.LBB222_729:
	v_add_f32_e32 v2, 0x42800000, v3
	s_and_not1_b32 s23, s23, exec_lo
	s_delay_alu instid0(VALU_DEP_1) | instskip(NEXT) | instid1(VALU_DEP_1)
	v_and_b32_e32 v2, 0xff, v2
	v_cmp_ne_u32_e32 vcc_lo, 0, v2
	s_and_b32 s25, vcc_lo, exec_lo
	s_delay_alu instid0(SALU_CYCLE_1)
	s_or_b32 s23, s23, s25
	s_or_b32 exec_lo, exec_lo, s24
	v_mov_b32_e32 v5, 0
	s_and_saveexec_b32 s24, s23
	s_cbranch_execnz .LBB222_397
	s_branch .LBB222_398
.LBB222_730:
	v_bfe_u32 v2, v3, 20, 1
	s_mov_b32 s26, exec_lo
	s_delay_alu instid0(VALU_DEP_1) | instskip(NEXT) | instid1(VALU_DEP_1)
	v_add3_u32 v2, v3, v2, 0x487ffff
                                        ; implicit-def: $vgpr3
	v_lshrrev_b32_e32 v2, 20, v2
	s_and_not1_saveexec_b32 s27, s27
	s_cbranch_execz .LBB222_624
.LBB222_731:
	v_add_f32_e32 v2, 0x46000000, v3
	s_and_not1_b32 s26, s26, exec_lo
	s_delay_alu instid0(VALU_DEP_1) | instskip(NEXT) | instid1(VALU_DEP_1)
	v_and_b32_e32 v2, 0xff, v2
	v_cmp_ne_u32_e32 vcc_lo, 0, v2
	s_and_b32 s28, vcc_lo, exec_lo
	s_delay_alu instid0(SALU_CYCLE_1)
	s_or_b32 s26, s26, s28
	s_or_b32 exec_lo, exec_lo, s27
	v_mov_b32_e32 v5, 0
	s_and_saveexec_b32 s27, s26
	s_cbranch_execnz .LBB222_625
	s_branch .LBB222_626
.LBB222_732:
	s_mov_b32 s24, -1
.LBB222_733:
                                        ; implicit-def: $sgpr21
.LBB222_734:
	s_and_b32 vcc_lo, exec_lo, s28
	s_cbranch_vccz .LBB222_736
; %bb.735:
	s_cmp_lg_u32 s25, 44
	s_mov_b32 s27, -1
	s_cselect_b32 s28, -1, 0
	s_and_not1_b32 s24, s24, exec_lo
	s_and_b32 s28, s28, exec_lo
	s_or_b32 s21, s21, exec_lo
	s_or_b32 s24, s24, s28
.LBB222_736:
	s_mov_b32 s28, 0
.LBB222_737:
	s_delay_alu instid0(SALU_CYCLE_1)
	s_and_b32 vcc_lo, exec_lo, s28
	s_cbranch_vccz .LBB222_741
; %bb.738:
	s_cmp_eq_u32 s25, 29
	s_cbranch_scc0 .LBB222_740
; %bb.739:
	global_load_b64 v[2:3], v[0:1], off
	s_mov_b32 s24, 0
	s_mov_b32 s27, -1
	s_mov_b32 s28, 0
	s_wait_loadcnt 0x0
	v_cmp_ne_u64_e64 s21, 0, v[2:3]
	s_branch .LBB222_742
.LBB222_740:
	s_mov_b32 s24, -1
                                        ; implicit-def: $sgpr21
.LBB222_741:
	s_mov_b32 s28, 0
.LBB222_742:
	s_delay_alu instid0(SALU_CYCLE_1)
	s_and_b32 vcc_lo, exec_lo, s28
	s_cbranch_vccz .LBB222_754
; %bb.743:
	s_cmp_lt_i32 s25, 27
	s_cbranch_scc1 .LBB222_746
; %bb.744:
	s_cmp_gt_i32 s25, 27
	s_cbranch_scc0 .LBB222_747
; %bb.745:
	global_load_b32 v2, v[0:1], off
	s_mov_b32 s27, 0
	s_wait_loadcnt 0x0
	v_cmp_ne_u32_e64 s21, 0, v2
	s_branch .LBB222_748
.LBB222_746:
	s_mov_b32 s27, -1
                                        ; implicit-def: $sgpr21
	s_branch .LBB222_751
.LBB222_747:
	s_mov_b32 s27, -1
                                        ; implicit-def: $sgpr21
.LBB222_748:
	s_delay_alu instid0(SALU_CYCLE_1)
	s_and_not1_b32 vcc_lo, exec_lo, s27
	s_cbranch_vccnz .LBB222_750
; %bb.749:
	global_load_u16 v2, v[0:1], off
	s_and_not1_b32 s21, s21, exec_lo
	s_wait_loadcnt 0x0
	v_cmp_ne_u16_e32 vcc_lo, 0, v2
	s_and_b32 s27, vcc_lo, exec_lo
	s_delay_alu instid0(SALU_CYCLE_1)
	s_or_b32 s21, s21, s27
.LBB222_750:
	s_mov_b32 s27, 0
.LBB222_751:
	s_delay_alu instid0(SALU_CYCLE_1)
	s_and_not1_b32 vcc_lo, exec_lo, s27
	s_cbranch_vccnz .LBB222_753
; %bb.752:
	global_load_u8 v2, v[0:1], off
	s_and_not1_b32 s21, s21, exec_lo
	s_wait_loadcnt 0x0
	v_cmp_ne_u16_e32 vcc_lo, 0, v2
	s_and_b32 s27, vcc_lo, exec_lo
	s_delay_alu instid0(SALU_CYCLE_1)
	s_or_b32 s21, s21, s27
.LBB222_753:
	s_mov_b32 s27, -1
.LBB222_754:
	s_mov_b32 s28, 0
.LBB222_755:
	s_delay_alu instid0(SALU_CYCLE_1)
	s_and_b32 vcc_lo, exec_lo, s28
	s_cbranch_vccz .LBB222_778
; %bb.756:
	s_cmp_gt_i32 s25, 22
	s_cbranch_scc0 .LBB222_760
; %bb.757:
	s_cmp_lt_i32 s25, 24
	s_cbranch_scc1 .LBB222_761
; %bb.758:
	s_cmp_gt_i32 s25, 24
	s_cbranch_scc0 .LBB222_762
; %bb.759:
	global_load_u8 v2, v[0:1], off
	s_wait_loadcnt 0x0
	v_cmp_ne_u16_e64 s21, 0, v2
	s_branch .LBB222_763
.LBB222_760:
	s_mov_b32 s26, -1
                                        ; implicit-def: $sgpr21
	s_branch .LBB222_769
.LBB222_761:
	s_mov_b32 s26, -1
                                        ; implicit-def: $sgpr21
	s_branch .LBB222_766
.LBB222_762:
	s_mov_b32 s26, -1
                                        ; implicit-def: $sgpr21
.LBB222_763:
	s_delay_alu instid0(SALU_CYCLE_1)
	s_and_not1_b32 vcc_lo, exec_lo, s26
	s_cbranch_vccnz .LBB222_765
; %bb.764:
	global_load_u8 v2, v[0:1], off
	s_and_not1_b32 s21, s21, exec_lo
	s_wait_loadcnt 0x0
	v_and_b32_e32 v2, 0x7f, v2
	s_delay_alu instid0(VALU_DEP_1) | instskip(SKIP_1) | instid1(SALU_CYCLE_1)
	v_cmp_ne_u16_e32 vcc_lo, 0, v2
	s_and_b32 s26, vcc_lo, exec_lo
	s_or_b32 s21, s21, s26
.LBB222_765:
	s_mov_b32 s26, 0
.LBB222_766:
	s_delay_alu instid0(SALU_CYCLE_1)
	s_and_not1_b32 vcc_lo, exec_lo, s26
	s_cbranch_vccnz .LBB222_768
; %bb.767:
	global_load_u8 v2, v[0:1], off
	s_and_not1_b32 s21, s21, exec_lo
	s_wait_loadcnt 0x0
	v_dual_lshlrev_b32 v3, 25, v2 :: v_dual_lshlrev_b32 v2, 8, v2
	s_delay_alu instid0(VALU_DEP_1) | instskip(NEXT) | instid1(VALU_DEP_2)
	v_cmp_gt_u32_e32 vcc_lo, 0x8000000, v3
	v_and_or_b32 v2, 0x7f00, v2, 0.5
	s_delay_alu instid0(VALU_DEP_1) | instskip(NEXT) | instid1(VALU_DEP_1)
	v_dual_add_f32 v2, -0.5, v2 :: v_dual_lshrrev_b32 v5, 4, v3
	v_or_b32_e32 v5, 0x70000000, v5
	s_delay_alu instid0(VALU_DEP_1) | instskip(NEXT) | instid1(VALU_DEP_1)
	v_mul_f32_e32 v5, 0x7800000, v5
	v_cndmask_b32_e32 v2, v5, v2, vcc_lo
	s_delay_alu instid0(VALU_DEP_1) | instskip(SKIP_1) | instid1(SALU_CYCLE_1)
	v_cmp_neq_f32_e32 vcc_lo, 0, v2
	s_and_b32 s26, vcc_lo, exec_lo
	s_or_b32 s21, s21, s26
.LBB222_768:
	s_mov_b32 s26, 0
	s_mov_b32 s27, -1
.LBB222_769:
	s_and_not1_b32 vcc_lo, exec_lo, s26
	s_mov_b32 s26, 0
	s_cbranch_vccnz .LBB222_778
; %bb.770:
	s_cmp_gt_i32 s25, 14
	s_cbranch_scc0 .LBB222_773
; %bb.771:
	s_cmp_eq_u32 s25, 15
	s_cbranch_scc0 .LBB222_774
; %bb.772:
	global_load_u16 v2, v[0:1], off
	s_mov_b32 s24, 0
	s_mov_b32 s27, -1
	s_wait_loadcnt 0x0
	v_and_b32_e32 v2, 0x7fff, v2
	s_delay_alu instid0(VALU_DEP_1)
	v_cmp_ne_u16_e64 s21, 0, v2
	s_branch .LBB222_776
.LBB222_773:
	s_mov_b32 s26, -1
	s_branch .LBB222_775
.LBB222_774:
	s_mov_b32 s24, -1
.LBB222_775:
                                        ; implicit-def: $sgpr21
.LBB222_776:
	s_and_b32 vcc_lo, exec_lo, s26
	s_mov_b32 s26, 0
	s_cbranch_vccz .LBB222_778
; %bb.777:
	s_cmp_lg_u32 s25, 11
	s_mov_b32 s26, -1
	s_cselect_b32 s25, -1, 0
	s_and_not1_b32 s24, s24, exec_lo
	s_and_b32 s25, s25, exec_lo
	s_delay_alu instid0(SALU_CYCLE_1)
	s_or_b32 s24, s24, s25
.LBB222_778:
	s_mov_b32 s25, 0
.LBB222_779:
	s_and_not1_b32 s28, s0, exec_lo
	s_and_b32 s29, s24, exec_lo
	s_and_b32 s27, s27, exec_lo
	s_and_b32 s25, s25, exec_lo
	s_and_b32 s24, s26, exec_lo
	s_or_b32 s28, s28, s29
.LBB222_780:
	s_wait_xcnt 0x0
	s_or_b32 exec_lo, exec_lo, s14
	s_delay_alu instid0(SALU_CYCLE_1)
	s_and_not1_b32 s0, s0, exec_lo
	s_and_b32 s14, s28, exec_lo
	s_and_b32 s27, s27, exec_lo
	;; [unrolled: 1-line block ×4, first 2 shown]
	s_or_b32 s0, s0, s14
.LBB222_781:
	s_or_b32 exec_lo, exec_lo, s23
	s_delay_alu instid0(SALU_CYCLE_1)
	s_and_not1_b32 s14, s19, exec_lo
	s_and_b32 s19, s22, exec_lo
	s_and_b32 s0, s0, exec_lo
	s_or_b32 s19, s14, s19
	s_and_not1_b32 s14, s18, exec_lo
	s_and_b32 s24, s27, exec_lo
	s_and_b32 s23, s26, exec_lo
	;; [unrolled: 1-line block ×3, first 2 shown]
	s_or_b32 s18, s14, s0
.LBB222_782:
	s_or_b32 exec_lo, exec_lo, s20
	s_delay_alu instid0(SALU_CYCLE_1)
	s_and_not1_b32 s0, s15, exec_lo
	s_and_b32 s14, s19, exec_lo
	s_and_b32 s19, s24, exec_lo
	s_or_b32 s15, s0, s14
	s_and_not1_b32 s14, s16, exec_lo
	s_and_b32 s16, s18, exec_lo
	s_and_b32 s0, s23, exec_lo
	;; [unrolled: 1-line block ×3, first 2 shown]
	s_or_b32 s16, s14, s16
	s_or_b32 exec_lo, exec_lo, s17
	s_mov_b32 s14, 0
	s_and_saveexec_b32 s17, s16
	s_cbranch_execz .LBB222_234
.LBB222_783:
	s_mov_b32 s14, exec_lo
	s_and_not1_b32 s19, s19, exec_lo
	s_and_not1_b32 s18, s18, exec_lo
	s_trap 2
	s_or_b32 exec_lo, exec_lo, s17
	s_and_saveexec_b32 s16, s18
	s_delay_alu instid0(SALU_CYCLE_1)
	s_xor_b32 s16, exec_lo, s16
	s_cbranch_execz .LBB222_235
.LBB222_784:
	global_load_u8 v2, v[0:1], off
	s_and_not1_b32 s17, s21, exec_lo
	s_or_b32 s19, s19, exec_lo
	s_wait_loadcnt 0x0
	v_cmp_ne_u16_e32 vcc_lo, 0, v2
	s_and_b32 s18, vcc_lo, exec_lo
	s_delay_alu instid0(SALU_CYCLE_1)
	s_or_b32 s21, s17, s18
	s_wait_xcnt 0x0
	s_or_b32 exec_lo, exec_lo, s16
	s_and_saveexec_b32 s16, s0
	s_cbranch_execz .LBB222_830
.LBB222_785:
	s_sext_i32_i16 s0, s3
	s_delay_alu instid0(SALU_CYCLE_1)
	s_cmp_lt_i32 s0, 5
	s_cbranch_scc1 .LBB222_790
; %bb.786:
	s_cmp_lt_i32 s0, 8
	s_cbranch_scc1 .LBB222_791
; %bb.787:
	;; [unrolled: 3-line block ×3, first 2 shown]
	s_cmp_gt_i32 s0, 9
	s_cbranch_scc0 .LBB222_793
; %bb.789:
	global_load_b128 v[6:9], v[0:1], off
	s_mov_b32 s17, 0
	s_wait_loadcnt 0x0
	v_cmp_neq_f64_e32 vcc_lo, 0, v[6:7]
	v_cmp_neq_f64_e64 s0, 0, v[8:9]
	s_or_b32 s0, vcc_lo, s0
	s_branch .LBB222_794
.LBB222_790:
                                        ; implicit-def: $sgpr0
	s_branch .LBB222_811
.LBB222_791:
                                        ; implicit-def: $sgpr0
	s_branch .LBB222_800
.LBB222_792:
	s_mov_b32 s17, -1
                                        ; implicit-def: $sgpr0
	s_branch .LBB222_797
.LBB222_793:
	s_mov_b32 s17, -1
                                        ; implicit-def: $sgpr0
.LBB222_794:
	s_delay_alu instid0(SALU_CYCLE_1)
	s_and_not1_b32 vcc_lo, exec_lo, s17
	s_cbranch_vccnz .LBB222_796
; %bb.795:
	global_load_b64 v[2:3], v[0:1], off
	s_and_not1_b32 s0, s0, exec_lo
	s_wait_loadcnt 0x0
	v_bitop3_b32 v2, v2, 0x7fffffff, v3 bitop3:0xc8
	s_delay_alu instid0(VALU_DEP_1) | instskip(SKIP_1) | instid1(SALU_CYCLE_1)
	v_cmp_ne_u32_e32 vcc_lo, 0, v2
	s_and_b32 s17, vcc_lo, exec_lo
	s_or_b32 s0, s0, s17
.LBB222_796:
	s_mov_b32 s17, 0
.LBB222_797:
	s_delay_alu instid0(SALU_CYCLE_1)
	s_and_not1_b32 vcc_lo, exec_lo, s17
	s_cbranch_vccnz .LBB222_799
; %bb.798:
	global_load_b32 v2, v[0:1], off
	s_and_not1_b32 s0, s0, exec_lo
	s_wait_loadcnt 0x0
	v_and_b32_e32 v2, 0x7fff7fff, v2
	s_delay_alu instid0(VALU_DEP_1) | instskip(SKIP_1) | instid1(SALU_CYCLE_1)
	v_cmp_ne_u32_e32 vcc_lo, 0, v2
	s_and_b32 s17, vcc_lo, exec_lo
	s_or_b32 s0, s0, s17
.LBB222_799:
	s_cbranch_execnz .LBB222_810
.LBB222_800:
	s_sext_i32_i16 s0, s3
	s_delay_alu instid0(SALU_CYCLE_1)
	s_cmp_lt_i32 s0, 6
	s_cbranch_scc1 .LBB222_803
; %bb.801:
	s_cmp_gt_i32 s0, 6
	s_cbranch_scc0 .LBB222_804
; %bb.802:
	global_load_b64 v[2:3], v[0:1], off
	s_mov_b32 s17, 0
	s_wait_loadcnt 0x0
	v_cmp_neq_f64_e64 s0, 0, v[2:3]
	s_branch .LBB222_805
.LBB222_803:
	s_mov_b32 s17, -1
                                        ; implicit-def: $sgpr0
	s_branch .LBB222_808
.LBB222_804:
	s_mov_b32 s17, -1
                                        ; implicit-def: $sgpr0
.LBB222_805:
	s_delay_alu instid0(SALU_CYCLE_1)
	s_and_not1_b32 vcc_lo, exec_lo, s17
	s_cbranch_vccnz .LBB222_807
; %bb.806:
	global_load_b32 v2, v[0:1], off
	s_and_not1_b32 s0, s0, exec_lo
	s_wait_loadcnt 0x0
	v_cmp_neq_f32_e32 vcc_lo, 0, v2
	s_and_b32 s17, vcc_lo, exec_lo
	s_delay_alu instid0(SALU_CYCLE_1)
	s_or_b32 s0, s0, s17
.LBB222_807:
	s_mov_b32 s17, 0
.LBB222_808:
	s_delay_alu instid0(SALU_CYCLE_1)
	s_and_not1_b32 vcc_lo, exec_lo, s17
	s_cbranch_vccnz .LBB222_810
; %bb.809:
	global_load_u16 v2, v[0:1], off
	s_and_not1_b32 s0, s0, exec_lo
	s_wait_loadcnt 0x0
	v_and_b32_e32 v2, 0x7fff, v2
	s_delay_alu instid0(VALU_DEP_1) | instskip(SKIP_1) | instid1(SALU_CYCLE_1)
	v_cmp_ne_u16_e32 vcc_lo, 0, v2
	s_and_b32 s17, vcc_lo, exec_lo
	s_or_b32 s0, s0, s17
.LBB222_810:
	s_cbranch_execnz .LBB222_829
.LBB222_811:
	s_sext_i32_i16 s0, s3
	s_delay_alu instid0(SALU_CYCLE_1)
	s_cmp_lt_i32 s0, 2
	s_cbranch_scc1 .LBB222_815
; %bb.812:
	s_cmp_lt_i32 s0, 3
	s_cbranch_scc1 .LBB222_816
; %bb.813:
	s_cmp_gt_i32 s0, 3
	s_cbranch_scc0 .LBB222_817
; %bb.814:
	global_load_b64 v[2:3], v[0:1], off
	s_mov_b32 s17, 0
	s_wait_loadcnt 0x0
	v_cmp_ne_u64_e64 s0, 0, v[2:3]
	s_branch .LBB222_818
.LBB222_815:
                                        ; implicit-def: $sgpr0
	s_branch .LBB222_824
.LBB222_816:
	s_mov_b32 s17, -1
                                        ; implicit-def: $sgpr0
	s_branch .LBB222_821
.LBB222_817:
	s_mov_b32 s17, -1
                                        ; implicit-def: $sgpr0
.LBB222_818:
	s_delay_alu instid0(SALU_CYCLE_1)
	s_and_not1_b32 vcc_lo, exec_lo, s17
	s_cbranch_vccnz .LBB222_820
; %bb.819:
	global_load_b32 v2, v[0:1], off
	s_and_not1_b32 s0, s0, exec_lo
	s_wait_loadcnt 0x0
	v_cmp_ne_u32_e32 vcc_lo, 0, v2
	s_and_b32 s17, vcc_lo, exec_lo
	s_delay_alu instid0(SALU_CYCLE_1)
	s_or_b32 s0, s0, s17
.LBB222_820:
	s_mov_b32 s17, 0
.LBB222_821:
	s_delay_alu instid0(SALU_CYCLE_1)
	s_and_not1_b32 vcc_lo, exec_lo, s17
	s_cbranch_vccnz .LBB222_823
; %bb.822:
	global_load_u16 v2, v[0:1], off
	s_and_not1_b32 s0, s0, exec_lo
	s_wait_loadcnt 0x0
	v_cmp_ne_u16_e32 vcc_lo, 0, v2
	s_and_b32 s17, vcc_lo, exec_lo
	s_delay_alu instid0(SALU_CYCLE_1)
	s_or_b32 s0, s0, s17
.LBB222_823:
	s_cbranch_execnz .LBB222_829
.LBB222_824:
	s_sext_i32_i16 s0, s3
	s_mov_b32 s17, 0
	s_cmp_gt_i32 s0, 0
	s_cbranch_scc0 .LBB222_826
; %bb.825:
	global_load_u8 v2, v[0:1], off
	s_wait_loadcnt 0x0
	v_cmp_ne_u16_e64 s0, 0, v2
	s_branch .LBB222_827
.LBB222_826:
	s_mov_b32 s17, -1
                                        ; implicit-def: $sgpr0
.LBB222_827:
	s_delay_alu instid0(SALU_CYCLE_1)
	s_and_not1_b32 vcc_lo, exec_lo, s17
	s_cbranch_vccnz .LBB222_829
; %bb.828:
	global_load_u8 v0, v[0:1], off
	s_and_not1_b32 s0, s0, exec_lo
	s_wait_loadcnt 0x0
	v_cmp_ne_u16_e32 vcc_lo, 0, v0
	s_and_b32 s17, vcc_lo, exec_lo
	s_delay_alu instid0(SALU_CYCLE_1)
	s_or_b32 s0, s0, s17
.LBB222_829:
	s_and_not1_b32 s17, s21, exec_lo
	s_delay_alu instid0(VALU_DEP_1)
	s_and_b32 s0, s0, exec_lo
	s_or_b32 s19, s19, exec_lo
	s_or_b32 s21, s17, s0
.LBB222_830:
	s_wait_xcnt 0x0
	s_or_b32 exec_lo, exec_lo, s16
	s_mov_b32 s0, 0
	s_mov_b32 s20, 0
                                        ; implicit-def: $sgpr16
                                        ; implicit-def: $sgpr17
                                        ; implicit-def: $vgpr0_vgpr1
	s_and_saveexec_b32 s18, s19
	s_cbranch_execnz .LBB222_834
; %bb.831:
	s_or_b32 exec_lo, exec_lo, s18
	s_and_saveexec_b32 s13, s15
	s_cbranch_execnz .LBB222_911
.LBB222_832:
	s_or_b32 exec_lo, exec_lo, s13
	s_and_saveexec_b32 s13, s0
	s_delay_alu instid0(SALU_CYCLE_1)
	s_xor_b32 s0, exec_lo, s13
	s_cbranch_execnz .LBB222_912
.LBB222_833:
	s_or_b32 exec_lo, exec_lo, s0
	s_and_saveexec_b32 s0, s20
	s_delay_alu instid0(SALU_CYCLE_1)
	s_xor_b32 s0, exec_lo, s0
	s_cbranch_execnz .LBB222_913
	s_branch .LBB222_950
.LBB222_834:
	v_mul_lo_u32 v0, v4, s8
	s_and_b32 s17, s2, 0xff
	s_xor_b32 s16, s21, s13
	s_cmp_lt_i32 s17, 11
	s_delay_alu instid0(VALU_DEP_1) | instskip(NEXT) | instid1(VALU_DEP_1)
	v_ashrrev_i32_e32 v1, 31, v0
	v_add_nc_u64_e32 v[0:1], s[4:5], v[0:1]
	s_cbranch_scc1 .LBB222_841
; %bb.835:
	s_and_b32 s13, 0xffff, s17
	s_mov_b32 s19, -1
	s_cmp_gt_i32 s13, 25
	s_mov_b32 s0, s15
	s_cbranch_scc0 .LBB222_869
; %bb.836:
	s_cmp_gt_i32 s13, 28
	s_mov_b32 s0, s15
	s_cbranch_scc0 .LBB222_853
; %bb.837:
	;; [unrolled: 4-line block ×4, first 2 shown]
	s_cmp_eq_u32 s13, 46
	s_mov_b32 s0, -1
	s_cbranch_scc0 .LBB222_842
; %bb.840:
	v_cndmask_b32_e64 v2, 0, 1.0, s16
	s_mov_b32 s0, 0
	s_mov_b32 s19, 0
	s_delay_alu instid0(VALU_DEP_1) | instskip(NEXT) | instid1(VALU_DEP_1)
	v_bfe_u32 v3, v2, 16, 1
	v_add3_u32 v2, v2, v3, 0x7fff
	s_delay_alu instid0(VALU_DEP_1)
	v_lshrrev_b32_e32 v2, 16, v2
	global_store_b32 v[0:1], v2, off
	s_branch .LBB222_843
.LBB222_841:
	s_mov_b32 s21, 0
	s_mov_b32 s19, -1
	s_mov_b32 s0, s15
	s_branch .LBB222_910
.LBB222_842:
	s_mov_b32 s19, 0
.LBB222_843:
	s_delay_alu instid0(SALU_CYCLE_1)
	s_and_b32 vcc_lo, exec_lo, s19
	s_cbranch_vccz .LBB222_848
; %bb.844:
	s_cmp_eq_u32 s13, 44
	s_mov_b32 s0, -1
	s_cbranch_scc0 .LBB222_848
; %bb.845:
	v_cndmask_b32_e64 v4, 0, 1.0, s16
	s_mov_b32 s19, exec_lo
	s_wait_xcnt 0x0
	s_delay_alu instid0(VALU_DEP_1) | instskip(NEXT) | instid1(VALU_DEP_1)
	v_dual_mov_b32 v3, 0xff :: v_dual_lshrrev_b32 v2, 23, v4
	v_cmpx_ne_u32_e32 0xff, v2
; %bb.846:
	v_and_b32_e32 v3, 0x400000, v4
	v_and_or_b32 v4, 0x3fffff, v4, v2
	s_delay_alu instid0(VALU_DEP_2) | instskip(NEXT) | instid1(VALU_DEP_2)
	v_cmp_ne_u32_e32 vcc_lo, 0, v3
	v_cmp_ne_u32_e64 s0, 0, v4
	s_and_b32 s0, vcc_lo, s0
	s_delay_alu instid0(SALU_CYCLE_1) | instskip(NEXT) | instid1(VALU_DEP_1)
	v_cndmask_b32_e64 v3, 0, 1, s0
	v_add_nc_u32_e32 v3, v2, v3
; %bb.847:
	s_or_b32 exec_lo, exec_lo, s19
	s_mov_b32 s0, 0
	global_store_b8 v[0:1], v3, off
.LBB222_848:
	s_mov_b32 s19, 0
.LBB222_849:
	s_delay_alu instid0(SALU_CYCLE_1)
	s_and_b32 vcc_lo, exec_lo, s19
	s_cbranch_vccz .LBB222_852
; %bb.850:
	s_cmp_eq_u32 s13, 29
	s_mov_b32 s0, -1
	s_cbranch_scc0 .LBB222_852
; %bb.851:
	s_mov_b32 s0, 0
	s_wait_xcnt 0x0
	v_cndmask_b32_e64 v2, 0, 1, s16
	v_mov_b32_e32 v3, s0
	s_mov_b32 s19, 0
	global_store_b64 v[0:1], v[2:3], off
	s_branch .LBB222_853
.LBB222_852:
	s_mov_b32 s19, 0
.LBB222_853:
	s_delay_alu instid0(SALU_CYCLE_1)
	s_and_b32 vcc_lo, exec_lo, s19
	s_cbranch_vccz .LBB222_868
; %bb.854:
	s_cmp_lt_i32 s13, 27
	s_mov_b32 s19, -1
	s_cbranch_scc1 .LBB222_860
; %bb.855:
	s_wait_xcnt 0x0
	v_cndmask_b32_e64 v2, 0, 1, s16
	s_cmp_gt_i32 s13, 27
	s_cbranch_scc0 .LBB222_857
; %bb.856:
	s_mov_b32 s19, 0
	global_store_b32 v[0:1], v2, off
.LBB222_857:
	s_and_not1_b32 vcc_lo, exec_lo, s19
	s_cbranch_vccnz .LBB222_859
; %bb.858:
	global_store_b16 v[0:1], v2, off
.LBB222_859:
	s_mov_b32 s19, 0
.LBB222_860:
	s_delay_alu instid0(SALU_CYCLE_1)
	s_and_not1_b32 vcc_lo, exec_lo, s19
	s_cbranch_vccnz .LBB222_868
; %bb.861:
	s_wait_xcnt 0x0
	v_cndmask_b32_e64 v3, 0, 1.0, s16
	v_mov_b32_e32 v4, 0x80
	s_mov_b32 s19, exec_lo
	s_delay_alu instid0(VALU_DEP_2)
	v_cmpx_gt_u32_e32 0x43800000, v3
	s_cbranch_execz .LBB222_867
; %bb.862:
	s_mov_b32 s21, exec_lo
                                        ; implicit-def: $vgpr2
	v_cmpx_lt_u32_e32 0x3bffffff, v3
	s_xor_b32 s21, exec_lo, s21
	s_cbranch_execnz .LBB222_1071
; %bb.863:
	s_and_not1_saveexec_b32 s21, s21
	s_cbranch_execnz .LBB222_1072
.LBB222_864:
	s_or_b32 exec_lo, exec_lo, s21
	v_mov_b32_e32 v4, 0
	s_and_saveexec_b32 s21, s20
.LBB222_865:
	v_mov_b32_e32 v4, v2
.LBB222_866:
	s_or_b32 exec_lo, exec_lo, s21
.LBB222_867:
	s_delay_alu instid0(SALU_CYCLE_1)
	s_or_b32 exec_lo, exec_lo, s19
	global_store_b8 v[0:1], v4, off
.LBB222_868:
	s_mov_b32 s19, 0
.LBB222_869:
	s_delay_alu instid0(SALU_CYCLE_1)
	s_and_b32 vcc_lo, exec_lo, s19
	s_mov_b32 s19, 0
	s_cbranch_vccz .LBB222_909
; %bb.870:
	s_cmp_gt_i32 s13, 22
	s_mov_b32 s20, -1
	s_cbranch_scc0 .LBB222_902
; %bb.871:
	s_cmp_lt_i32 s13, 24
	s_cbranch_scc1 .LBB222_891
; %bb.872:
	s_cmp_gt_i32 s13, 24
	s_cbranch_scc0 .LBB222_880
; %bb.873:
	s_wait_xcnt 0x0
	v_cndmask_b32_e64 v3, 0, 1.0, s16
	v_mov_b32_e32 v4, 0x80
	s_mov_b32 s20, exec_lo
	s_delay_alu instid0(VALU_DEP_2)
	v_cmpx_gt_u32_e32 0x47800000, v3
	s_cbranch_execz .LBB222_879
; %bb.874:
	s_mov_b32 s21, 0
	s_mov_b32 s22, exec_lo
                                        ; implicit-def: $vgpr2
	v_cmpx_lt_u32_e32 0x37ffffff, v3
	s_xor_b32 s22, exec_lo, s22
	s_cbranch_execnz .LBB222_1183
; %bb.875:
	s_and_not1_saveexec_b32 s22, s22
	s_cbranch_execnz .LBB222_1184
.LBB222_876:
	s_or_b32 exec_lo, exec_lo, s22
	v_mov_b32_e32 v4, 0
	s_and_saveexec_b32 s22, s21
.LBB222_877:
	v_mov_b32_e32 v4, v2
.LBB222_878:
	s_or_b32 exec_lo, exec_lo, s22
.LBB222_879:
	s_delay_alu instid0(SALU_CYCLE_1)
	s_or_b32 exec_lo, exec_lo, s20
	s_mov_b32 s20, 0
	global_store_b8 v[0:1], v4, off
.LBB222_880:
	s_and_b32 vcc_lo, exec_lo, s20
	s_cbranch_vccz .LBB222_890
; %bb.881:
	s_wait_xcnt 0x0
	v_cndmask_b32_e64 v3, 0, 1.0, s16
	s_mov_b32 s20, exec_lo
                                        ; implicit-def: $vgpr2
	s_delay_alu instid0(VALU_DEP_1)
	v_cmpx_gt_u32_e32 0x43f00000, v3
	s_xor_b32 s20, exec_lo, s20
	s_cbranch_execz .LBB222_887
; %bb.882:
	s_mov_b32 s21, exec_lo
                                        ; implicit-def: $vgpr2
	v_cmpx_lt_u32_e32 0x3c7fffff, v3
	s_xor_b32 s21, exec_lo, s21
; %bb.883:
	v_bfe_u32 v2, v3, 20, 1
	s_delay_alu instid0(VALU_DEP_1) | instskip(NEXT) | instid1(VALU_DEP_1)
	v_add3_u32 v2, v3, v2, 0x407ffff
	v_and_b32_e32 v3, 0xff00000, v2
	v_lshrrev_b32_e32 v2, 20, v2
	s_delay_alu instid0(VALU_DEP_2) | instskip(NEXT) | instid1(VALU_DEP_2)
	v_cmp_ne_u32_e32 vcc_lo, 0x7f00000, v3
                                        ; implicit-def: $vgpr3
	v_cndmask_b32_e32 v2, 0x7e, v2, vcc_lo
; %bb.884:
	s_and_not1_saveexec_b32 s21, s21
; %bb.885:
	v_add_f32_e32 v2, 0x46800000, v3
; %bb.886:
	s_or_b32 exec_lo, exec_lo, s21
                                        ; implicit-def: $vgpr3
.LBB222_887:
	s_and_not1_saveexec_b32 s20, s20
; %bb.888:
	v_mov_b32_e32 v2, 0x7f
	v_cmp_lt_u32_e32 vcc_lo, 0x7f800000, v3
	s_delay_alu instid0(VALU_DEP_2)
	v_cndmask_b32_e32 v2, 0x7e, v2, vcc_lo
; %bb.889:
	s_or_b32 exec_lo, exec_lo, s20
	global_store_b8 v[0:1], v2, off
.LBB222_890:
	s_mov_b32 s20, 0
.LBB222_891:
	s_delay_alu instid0(SALU_CYCLE_1)
	s_and_not1_b32 vcc_lo, exec_lo, s20
	s_cbranch_vccnz .LBB222_901
; %bb.892:
	s_wait_xcnt 0x0
	v_cndmask_b32_e64 v3, 0, 1.0, s16
	s_mov_b32 s20, exec_lo
                                        ; implicit-def: $vgpr2
	s_delay_alu instid0(VALU_DEP_1)
	v_cmpx_gt_u32_e32 0x47800000, v3
	s_xor_b32 s20, exec_lo, s20
	s_cbranch_execz .LBB222_898
; %bb.893:
	s_mov_b32 s21, exec_lo
                                        ; implicit-def: $vgpr2
	v_cmpx_lt_u32_e32 0x387fffff, v3
	s_xor_b32 s21, exec_lo, s21
; %bb.894:
	v_bfe_u32 v2, v3, 21, 1
	s_delay_alu instid0(VALU_DEP_1) | instskip(NEXT) | instid1(VALU_DEP_1)
	v_add3_u32 v2, v3, v2, 0x80fffff
                                        ; implicit-def: $vgpr3
	v_lshrrev_b32_e32 v2, 21, v2
; %bb.895:
	s_and_not1_saveexec_b32 s21, s21
; %bb.896:
	v_add_f32_e32 v2, 0x43000000, v3
; %bb.897:
	s_or_b32 exec_lo, exec_lo, s21
                                        ; implicit-def: $vgpr3
.LBB222_898:
	s_and_not1_saveexec_b32 s20, s20
; %bb.899:
	v_mov_b32_e32 v2, 0x7f
	v_cmp_lt_u32_e32 vcc_lo, 0x7f800000, v3
	s_delay_alu instid0(VALU_DEP_2)
	v_cndmask_b32_e32 v2, 0x7c, v2, vcc_lo
; %bb.900:
	s_or_b32 exec_lo, exec_lo, s20
	global_store_b8 v[0:1], v2, off
.LBB222_901:
	s_mov_b32 s20, 0
.LBB222_902:
	s_delay_alu instid0(SALU_CYCLE_1)
	s_and_not1_b32 vcc_lo, exec_lo, s20
	s_mov_b32 s21, 0
	s_cbranch_vccnz .LBB222_910
; %bb.903:
	s_cmp_gt_i32 s13, 14
	s_mov_b32 s20, -1
	s_cbranch_scc0 .LBB222_907
; %bb.904:
	s_cmp_eq_u32 s13, 15
	s_mov_b32 s0, -1
	s_cbranch_scc0 .LBB222_906
; %bb.905:
	s_wait_xcnt 0x0
	v_cndmask_b32_e64 v2, 0, 1.0, s16
	s_mov_b32 s0, 0
	s_delay_alu instid0(VALU_DEP_1) | instskip(NEXT) | instid1(VALU_DEP_1)
	v_bfe_u32 v3, v2, 16, 1
	v_add3_u32 v2, v2, v3, 0x7fff
	global_store_d16_hi_b16 v[0:1], v2, off
.LBB222_906:
	s_mov_b32 s20, 0
.LBB222_907:
	s_delay_alu instid0(SALU_CYCLE_1)
	s_and_b32 vcc_lo, exec_lo, s20
	s_cbranch_vccz .LBB222_910
; %bb.908:
	s_cmp_lg_u32 s13, 11
	s_mov_b32 s21, -1
	s_cselect_b32 s13, -1, 0
	s_and_not1_b32 s0, s0, exec_lo
	s_and_b32 s13, s13, exec_lo
	s_delay_alu instid0(SALU_CYCLE_1)
	s_or_b32 s0, s0, s13
	s_branch .LBB222_910
.LBB222_909:
	s_mov_b32 s21, 0
.LBB222_910:
	s_and_not1_b32 s13, s15, exec_lo
	s_and_b32 s15, s0, exec_lo
	s_and_b32 s20, s19, exec_lo
	;; [unrolled: 1-line block ×3, first 2 shown]
	s_or_b32 s15, s13, s15
	s_wait_xcnt 0x0
	s_or_b32 exec_lo, exec_lo, s18
	s_and_saveexec_b32 s13, s15
	s_cbranch_execz .LBB222_832
.LBB222_911:
	s_or_b32 s14, s14, exec_lo
	s_and_not1_b32 s0, s0, exec_lo
	s_trap 2
	s_or_b32 exec_lo, exec_lo, s13
	s_and_saveexec_b32 s13, s0
	s_delay_alu instid0(SALU_CYCLE_1)
	s_xor_b32 s0, exec_lo, s13
	s_cbranch_execz .LBB222_833
.LBB222_912:
	v_cndmask_b32_e64 v2, 0, 1, s16
	global_store_b8 v[0:1], v2, off
	s_wait_xcnt 0x0
	s_or_b32 exec_lo, exec_lo, s0
	s_and_saveexec_b32 s0, s20
	s_delay_alu instid0(SALU_CYCLE_1)
	s_xor_b32 s0, exec_lo, s0
	s_cbranch_execz .LBB222_950
.LBB222_913:
	s_sext_i32_i16 s15, s17
	s_mov_b32 s13, -1
	s_cmp_lt_i32 s15, 5
	s_cbranch_scc1 .LBB222_934
; %bb.914:
	s_cmp_lt_i32 s15, 8
	s_cbranch_scc1 .LBB222_924
; %bb.915:
	;; [unrolled: 3-line block ×3, first 2 shown]
	s_cmp_gt_i32 s15, 9
	s_cbranch_scc0 .LBB222_918
; %bb.917:
	v_cndmask_b32_e64 v2, 0, 1, s16
	v_mov_b32_e32 v4, 0
	s_mov_b32 s13, 0
	s_delay_alu instid0(VALU_DEP_2) | instskip(NEXT) | instid1(VALU_DEP_2)
	v_cvt_f64_u32_e32 v[2:3], v2
	v_mov_b32_e32 v5, v4
	global_store_b128 v[0:1], v[2:5], off
.LBB222_918:
	s_and_not1_b32 vcc_lo, exec_lo, s13
	s_cbranch_vccnz .LBB222_920
; %bb.919:
	s_wait_xcnt 0x0
	v_cndmask_b32_e64 v2, 0, 1.0, s16
	v_mov_b32_e32 v3, 0
	global_store_b64 v[0:1], v[2:3], off
.LBB222_920:
	s_mov_b32 s13, 0
.LBB222_921:
	s_delay_alu instid0(SALU_CYCLE_1)
	s_and_not1_b32 vcc_lo, exec_lo, s13
	s_cbranch_vccnz .LBB222_923
; %bb.922:
	s_wait_xcnt 0x0
	v_cndmask_b32_e64 v2, 0, 1.0, s16
	s_delay_alu instid0(VALU_DEP_1) | instskip(NEXT) | instid1(VALU_DEP_1)
	v_cvt_f16_f32_e32 v2, v2
	v_and_b32_e32 v2, 0xffff, v2
	global_store_b32 v[0:1], v2, off
.LBB222_923:
	s_mov_b32 s13, 0
.LBB222_924:
	s_delay_alu instid0(SALU_CYCLE_1)
	s_and_not1_b32 vcc_lo, exec_lo, s13
	s_cbranch_vccnz .LBB222_933
; %bb.925:
	s_sext_i32_i16 s15, s17
	s_mov_b32 s13, -1
	s_cmp_lt_i32 s15, 6
	s_cbranch_scc1 .LBB222_931
; %bb.926:
	s_cmp_gt_i32 s15, 6
	s_cbranch_scc0 .LBB222_928
; %bb.927:
	s_wait_xcnt 0x0
	v_cndmask_b32_e64 v2, 0, 1, s16
	s_mov_b32 s13, 0
	s_delay_alu instid0(VALU_DEP_1)
	v_cvt_f64_u32_e32 v[2:3], v2
	global_store_b64 v[0:1], v[2:3], off
.LBB222_928:
	s_and_not1_b32 vcc_lo, exec_lo, s13
	s_cbranch_vccnz .LBB222_930
; %bb.929:
	s_wait_xcnt 0x0
	v_cndmask_b32_e64 v2, 0, 1.0, s16
	global_store_b32 v[0:1], v2, off
.LBB222_930:
	s_mov_b32 s13, 0
.LBB222_931:
	s_delay_alu instid0(SALU_CYCLE_1)
	s_and_not1_b32 vcc_lo, exec_lo, s13
	s_cbranch_vccnz .LBB222_933
; %bb.932:
	s_wait_xcnt 0x0
	v_cndmask_b32_e64 v2, 0, 1.0, s16
	s_delay_alu instid0(VALU_DEP_1)
	v_cvt_f16_f32_e32 v2, v2
	global_store_b16 v[0:1], v2, off
.LBB222_933:
	s_mov_b32 s13, 0
.LBB222_934:
	s_delay_alu instid0(SALU_CYCLE_1)
	s_and_not1_b32 vcc_lo, exec_lo, s13
	s_cbranch_vccnz .LBB222_950
; %bb.935:
	s_sext_i32_i16 s15, s17
	s_mov_b32 s13, -1
	s_cmp_lt_i32 s15, 2
	s_cbranch_scc1 .LBB222_945
; %bb.936:
	s_cmp_lt_i32 s15, 3
	s_cbranch_scc1 .LBB222_942
; %bb.937:
	s_cmp_gt_i32 s15, 3
	s_cbranch_scc0 .LBB222_939
; %bb.938:
	s_mov_b32 s13, 0
	s_wait_xcnt 0x0
	v_cndmask_b32_e64 v2, 0, 1, s16
	v_mov_b32_e32 v3, s13
	global_store_b64 v[0:1], v[2:3], off
.LBB222_939:
	s_and_not1_b32 vcc_lo, exec_lo, s13
	s_cbranch_vccnz .LBB222_941
; %bb.940:
	s_wait_xcnt 0x0
	v_cndmask_b32_e64 v2, 0, 1, s16
	global_store_b32 v[0:1], v2, off
.LBB222_941:
	s_mov_b32 s13, 0
.LBB222_942:
	s_delay_alu instid0(SALU_CYCLE_1)
	s_and_not1_b32 vcc_lo, exec_lo, s13
	s_cbranch_vccnz .LBB222_944
; %bb.943:
	s_wait_xcnt 0x0
	v_cndmask_b32_e64 v2, 0, 1, s16
	global_store_b16 v[0:1], v2, off
.LBB222_944:
	s_mov_b32 s13, 0
.LBB222_945:
	s_delay_alu instid0(SALU_CYCLE_1)
	s_and_not1_b32 vcc_lo, exec_lo, s13
	s_cbranch_vccnz .LBB222_950
; %bb.946:
	s_wait_xcnt 0x0
	v_cndmask_b32_e64 v2, 0, 1, s16
	s_sext_i32_i16 s13, s17
	s_delay_alu instid0(SALU_CYCLE_1)
	s_cmp_gt_i32 s13, 0
	s_mov_b32 s13, -1
	s_cbranch_scc0 .LBB222_948
; %bb.947:
	s_mov_b32 s13, 0
	global_store_b8 v[0:1], v2, off
.LBB222_948:
	s_and_not1_b32 vcc_lo, exec_lo, s13
	s_cbranch_vccnz .LBB222_950
; %bb.949:
	global_store_b8 v[0:1], v2, off
.LBB222_950:
	s_wait_xcnt 0x0
	s_or_b32 exec_lo, exec_lo, s0
	s_delay_alu instid0(SALU_CYCLE_1)
	s_and_b32 s13, s14, exec_lo
                                        ; implicit-def: $vgpr4
.LBB222_951:
	s_or_saveexec_b32 s12, s12
	s_mov_b32 s0, 0
                                        ; implicit-def: $sgpr15
                                        ; implicit-def: $sgpr14
                                        ; implicit-def: $vgpr0_vgpr1
	s_xor_b32 exec_lo, exec_lo, s12
	s_cbranch_execz .LBB222_1830
; %bb.952:
	v_mul_lo_u32 v0, s9, v4
	s_and_b32 s14, 0xffff, s3
	s_delay_alu instid0(SALU_CYCLE_1) | instskip(NEXT) | instid1(VALU_DEP_1)
	s_cmp_lt_i32 s14, 11
	v_ashrrev_i32_e32 v1, 31, v0
	s_delay_alu instid0(VALU_DEP_1)
	v_add_nc_u64_e32 v[2:3], s[6:7], v[0:1]
	s_cbranch_scc1 .LBB222_959
; %bb.953:
	s_cmp_gt_i32 s14, 25
	s_mov_b32 s15, 0
	s_cbranch_scc0 .LBB222_961
; %bb.954:
	s_cmp_gt_i32 s14, 28
	s_cbranch_scc0 .LBB222_962
; %bb.955:
	s_cmp_gt_i32 s14, 43
	;; [unrolled: 3-line block ×3, first 2 shown]
	s_cbranch_scc0 .LBB222_964
; %bb.957:
	s_cmp_eq_u32 s14, 46
	s_cbranch_scc0 .LBB222_965
; %bb.958:
	global_load_b32 v1, v[2:3], off
	s_mov_b32 s3, -1
	s_wait_loadcnt 0x0
	v_and_b32_e32 v1, 0x7fff7fff, v1
	s_delay_alu instid0(VALU_DEP_1)
	v_cmp_ne_u32_e64 s16, 0, v1
	s_branch .LBB222_967
.LBB222_959:
	s_mov_b32 s3, 0
	s_mov_b32 s1, s13
                                        ; implicit-def: $sgpr16
	s_cbranch_execnz .LBB222_1012
.LBB222_960:
	s_and_not1_b32 vcc_lo, exec_lo, s3
	s_cbranch_vccz .LBB222_1057
	s_branch .LBB222_1828
.LBB222_961:
	s_mov_b32 s3, 0
                                        ; implicit-def: $sgpr16
	s_cbranch_execnz .LBB222_987
	s_branch .LBB222_1008
.LBB222_962:
	s_mov_b32 s1, -1
	s_mov_b32 s3, 0
                                        ; implicit-def: $sgpr16
	s_branch .LBB222_974
.LBB222_963:
	s_mov_b32 s3, 0
                                        ; implicit-def: $sgpr16
	s_cbranch_execnz .LBB222_970
	s_branch .LBB222_973
.LBB222_964:
	s_mov_b32 s1, -1
	s_branch .LBB222_966
.LBB222_965:
	s_mov_b32 s0, -1
.LBB222_966:
	s_mov_b32 s3, 0
                                        ; implicit-def: $sgpr16
.LBB222_967:
	s_and_b32 vcc_lo, exec_lo, s1
	s_cbranch_vccz .LBB222_969
; %bb.968:
	s_cmp_lg_u32 s14, 44
	s_mov_b32 s3, -1
	s_cselect_b32 s0, -1, 0
	s_or_b32 s16, s16, exec_lo
.LBB222_969:
	s_branch .LBB222_973
.LBB222_970:
	s_cmp_eq_u32 s14, 29
	s_cbranch_scc0 .LBB222_972
; %bb.971:
	global_load_b64 v[6:7], v[2:3], off
	s_mov_b32 s0, 0
	s_mov_b32 s3, -1
	s_mov_b32 s1, 0
	s_wait_loadcnt 0x0
	v_cmp_ne_u64_e64 s16, 0, v[6:7]
	s_branch .LBB222_974
.LBB222_972:
	s_mov_b32 s0, -1
                                        ; implicit-def: $sgpr16
.LBB222_973:
	s_mov_b32 s1, 0
.LBB222_974:
	s_delay_alu instid0(SALU_CYCLE_1)
	s_and_b32 vcc_lo, exec_lo, s1
	s_cbranch_vccz .LBB222_986
; %bb.975:
	s_cmp_lt_i32 s14, 27
	s_cbranch_scc1 .LBB222_978
; %bb.976:
	s_cmp_gt_i32 s14, 27
	s_cbranch_scc0 .LBB222_979
; %bb.977:
	global_load_b32 v1, v[2:3], off
	s_mov_b32 s1, 0
	s_wait_loadcnt 0x0
	v_cmp_ne_u32_e64 s16, 0, v1
	s_branch .LBB222_980
.LBB222_978:
	s_mov_b32 s1, -1
                                        ; implicit-def: $sgpr16
	s_branch .LBB222_983
.LBB222_979:
	s_mov_b32 s1, -1
                                        ; implicit-def: $sgpr16
.LBB222_980:
	s_delay_alu instid0(SALU_CYCLE_1)
	s_and_not1_b32 vcc_lo, exec_lo, s1
	s_cbranch_vccnz .LBB222_982
; %bb.981:
	global_load_u16 v1, v[2:3], off
	s_and_not1_b32 s1, s16, exec_lo
	s_wait_loadcnt 0x0
	v_cmp_ne_u16_e32 vcc_lo, 0, v1
	s_and_b32 s3, vcc_lo, exec_lo
	s_delay_alu instid0(SALU_CYCLE_1)
	s_or_b32 s16, s1, s3
.LBB222_982:
	s_mov_b32 s1, 0
.LBB222_983:
	s_delay_alu instid0(SALU_CYCLE_1)
	s_and_not1_b32 vcc_lo, exec_lo, s1
	s_cbranch_vccnz .LBB222_985
; %bb.984:
	global_load_u8 v1, v[2:3], off
	s_and_not1_b32 s1, s16, exec_lo
	s_wait_loadcnt 0x0
	v_cmp_ne_u16_e32 vcc_lo, 0, v1
	s_and_b32 s3, vcc_lo, exec_lo
	s_delay_alu instid0(SALU_CYCLE_1)
	s_or_b32 s16, s1, s3
.LBB222_985:
	s_mov_b32 s3, -1
.LBB222_986:
	s_branch .LBB222_1008
.LBB222_987:
	s_cmp_gt_i32 s14, 22
	s_cbranch_scc0 .LBB222_991
; %bb.988:
	s_cmp_lt_i32 s14, 24
	s_cbranch_scc1 .LBB222_992
; %bb.989:
	s_cmp_gt_i32 s14, 24
	s_cbranch_scc0 .LBB222_993
; %bb.990:
	global_load_u8 v1, v[2:3], off
	s_mov_b32 s1, 0
	s_wait_loadcnt 0x0
	v_cmp_ne_u16_e64 s16, 0, v1
	s_branch .LBB222_994
.LBB222_991:
                                        ; implicit-def: $sgpr16
	s_branch .LBB222_1000
.LBB222_992:
	s_mov_b32 s1, -1
                                        ; implicit-def: $sgpr16
	s_branch .LBB222_997
.LBB222_993:
	s_mov_b32 s1, -1
                                        ; implicit-def: $sgpr16
.LBB222_994:
	s_delay_alu instid0(SALU_CYCLE_1)
	s_and_not1_b32 vcc_lo, exec_lo, s1
	s_cbranch_vccnz .LBB222_996
; %bb.995:
	global_load_u8 v1, v[2:3], off
	s_and_not1_b32 s1, s16, exec_lo
	s_wait_loadcnt 0x0
	v_and_b32_e32 v1, 0x7f, v1
	s_delay_alu instid0(VALU_DEP_1) | instskip(SKIP_1) | instid1(SALU_CYCLE_1)
	v_cmp_ne_u16_e32 vcc_lo, 0, v1
	s_and_b32 s3, vcc_lo, exec_lo
	s_or_b32 s16, s1, s3
.LBB222_996:
	s_mov_b32 s1, 0
.LBB222_997:
	s_delay_alu instid0(SALU_CYCLE_1)
	s_and_not1_b32 vcc_lo, exec_lo, s1
	s_cbranch_vccnz .LBB222_999
; %bb.998:
	global_load_u8 v1, v[2:3], off
	s_and_not1_b32 s1, s16, exec_lo
	s_wait_loadcnt 0x0
	v_dual_lshlrev_b32 v5, 25, v1 :: v_dual_lshlrev_b32 v1, 8, v1
	s_delay_alu instid0(VALU_DEP_1) | instskip(NEXT) | instid1(VALU_DEP_2)
	v_lshrrev_b32_e32 v6, 4, v5
	v_and_or_b32 v1, 0x7f00, v1, 0.5
	v_cmp_gt_u32_e32 vcc_lo, 0x8000000, v5
	s_delay_alu instid0(VALU_DEP_3) | instskip(NEXT) | instid1(VALU_DEP_1)
	v_or_b32_e32 v6, 0x70000000, v6
	v_dual_add_f32 v1, -0.5, v1 :: v_dual_mul_f32 v6, 0x7800000, v6
	s_delay_alu instid0(VALU_DEP_1) | instskip(NEXT) | instid1(VALU_DEP_1)
	v_cndmask_b32_e32 v1, v6, v1, vcc_lo
	v_cmp_neq_f32_e32 vcc_lo, 0, v1
	s_and_b32 s3, vcc_lo, exec_lo
	s_delay_alu instid0(SALU_CYCLE_1)
	s_or_b32 s16, s1, s3
.LBB222_999:
	s_mov_b32 s3, -1
	s_cbranch_execnz .LBB222_1008
.LBB222_1000:
	s_cmp_gt_i32 s14, 14
	s_cbranch_scc0 .LBB222_1003
; %bb.1001:
	s_cmp_eq_u32 s14, 15
	s_cbranch_scc0 .LBB222_1004
; %bb.1002:
	global_load_u16 v1, v[2:3], off
	s_mov_b32 s0, 0
	s_mov_b32 s3, -1
	s_wait_loadcnt 0x0
	v_and_b32_e32 v1, 0x7fff, v1
	s_delay_alu instid0(VALU_DEP_1)
	v_cmp_ne_u16_e64 s16, 0, v1
	s_branch .LBB222_1005
.LBB222_1003:
	s_mov_b32 s1, -1
                                        ; implicit-def: $sgpr16
	s_branch .LBB222_1006
.LBB222_1004:
	s_mov_b32 s0, -1
                                        ; implicit-def: $sgpr16
.LBB222_1005:
	s_mov_b32 s1, 0
.LBB222_1006:
	s_delay_alu instid0(SALU_CYCLE_1)
	s_and_b32 vcc_lo, exec_lo, s1
	s_cbranch_vccz .LBB222_1008
; %bb.1007:
	s_cmp_lg_u32 s14, 11
	s_mov_b32 s15, -1
	s_cselect_b32 s0, -1, 0
.LBB222_1008:
	s_delay_alu instid0(SALU_CYCLE_1)
	s_and_b32 vcc_lo, exec_lo, s0
	s_mov_b32 s1, s13
	s_cbranch_vccnz .LBB222_1069
; %bb.1009:
	s_and_not1_b32 vcc_lo, exec_lo, s15
	s_cbranch_vccnz .LBB222_1011
.LBB222_1010:
	global_load_u8 v1, v[2:3], off
	s_and_not1_b32 s0, s16, exec_lo
	s_mov_b32 s3, -1
	s_wait_loadcnt 0x0
	v_cmp_ne_u16_e32 vcc_lo, 0, v1
	s_and_b32 s15, vcc_lo, exec_lo
	s_delay_alu instid0(SALU_CYCLE_1)
	s_or_b32 s16, s0, s15
.LBB222_1011:
	s_branch .LBB222_960
.LBB222_1012:
	s_cmp_lt_i32 s14, 5
	s_cbranch_scc1 .LBB222_1017
; %bb.1013:
	s_cmp_lt_i32 s14, 8
	s_cbranch_scc1 .LBB222_1018
; %bb.1014:
	;; [unrolled: 3-line block ×3, first 2 shown]
	s_cmp_gt_i32 s14, 9
	s_cbranch_scc0 .LBB222_1020
; %bb.1016:
	global_load_b128 v[6:9], v[2:3], off
	s_wait_loadcnt 0x0
	v_cmp_neq_f64_e32 vcc_lo, 0, v[6:7]
	v_cmp_neq_f64_e64 s0, 0, v[8:9]
	s_or_b32 s16, vcc_lo, s0
	s_mov_b32 s0, 0
	s_branch .LBB222_1021
.LBB222_1017:
                                        ; implicit-def: $sgpr16
	s_branch .LBB222_1038
.LBB222_1018:
                                        ; implicit-def: $sgpr16
	s_branch .LBB222_1027
.LBB222_1019:
	s_mov_b32 s0, -1
                                        ; implicit-def: $sgpr16
	s_branch .LBB222_1024
.LBB222_1020:
	s_mov_b32 s0, -1
                                        ; implicit-def: $sgpr16
.LBB222_1021:
	s_delay_alu instid0(SALU_CYCLE_1)
	s_and_not1_b32 vcc_lo, exec_lo, s0
	s_cbranch_vccnz .LBB222_1023
; %bb.1022:
	global_load_b64 v[6:7], v[2:3], off
	s_and_not1_b32 s0, s16, exec_lo
	s_wait_loadcnt 0x0
	v_bitop3_b32 v1, v6, 0x7fffffff, v7 bitop3:0xc8
	s_delay_alu instid0(VALU_DEP_1) | instskip(SKIP_1) | instid1(SALU_CYCLE_1)
	v_cmp_ne_u32_e32 vcc_lo, 0, v1
	s_and_b32 s3, vcc_lo, exec_lo
	s_or_b32 s16, s0, s3
.LBB222_1023:
	s_mov_b32 s0, 0
.LBB222_1024:
	s_delay_alu instid0(SALU_CYCLE_1)
	s_and_not1_b32 vcc_lo, exec_lo, s0
	s_cbranch_vccnz .LBB222_1026
; %bb.1025:
	global_load_b32 v1, v[2:3], off
	s_and_not1_b32 s0, s16, exec_lo
	s_wait_loadcnt 0x0
	v_and_b32_e32 v1, 0x7fff7fff, v1
	s_delay_alu instid0(VALU_DEP_1) | instskip(SKIP_1) | instid1(SALU_CYCLE_1)
	v_cmp_ne_u32_e32 vcc_lo, 0, v1
	s_and_b32 s3, vcc_lo, exec_lo
	s_or_b32 s16, s0, s3
.LBB222_1026:
	s_cbranch_execnz .LBB222_1037
.LBB222_1027:
	s_cmp_lt_i32 s14, 6
	s_cbranch_scc1 .LBB222_1030
; %bb.1028:
	s_cmp_gt_i32 s14, 6
	s_cbranch_scc0 .LBB222_1031
; %bb.1029:
	global_load_b64 v[6:7], v[2:3], off
	s_mov_b32 s0, 0
	s_wait_loadcnt 0x0
	v_cmp_neq_f64_e64 s16, 0, v[6:7]
	s_branch .LBB222_1032
.LBB222_1030:
	s_mov_b32 s0, -1
                                        ; implicit-def: $sgpr16
	s_branch .LBB222_1035
.LBB222_1031:
	s_mov_b32 s0, -1
                                        ; implicit-def: $sgpr16
.LBB222_1032:
	s_delay_alu instid0(SALU_CYCLE_1)
	s_and_not1_b32 vcc_lo, exec_lo, s0
	s_cbranch_vccnz .LBB222_1034
; %bb.1033:
	global_load_b32 v1, v[2:3], off
	s_and_not1_b32 s0, s16, exec_lo
	s_wait_loadcnt 0x0
	v_cmp_neq_f32_e32 vcc_lo, 0, v1
	s_and_b32 s3, vcc_lo, exec_lo
	s_delay_alu instid0(SALU_CYCLE_1)
	s_or_b32 s16, s0, s3
.LBB222_1034:
	s_mov_b32 s0, 0
.LBB222_1035:
	s_delay_alu instid0(SALU_CYCLE_1)
	s_and_not1_b32 vcc_lo, exec_lo, s0
	s_cbranch_vccnz .LBB222_1037
; %bb.1036:
	global_load_u16 v1, v[2:3], off
	s_and_not1_b32 s0, s16, exec_lo
	s_wait_loadcnt 0x0
	v_and_b32_e32 v1, 0x7fff, v1
	s_delay_alu instid0(VALU_DEP_1) | instskip(SKIP_1) | instid1(SALU_CYCLE_1)
	v_cmp_ne_u16_e32 vcc_lo, 0, v1
	s_and_b32 s3, vcc_lo, exec_lo
	s_or_b32 s16, s0, s3
.LBB222_1037:
	s_cbranch_execnz .LBB222_1056
.LBB222_1038:
	s_cmp_lt_i32 s14, 2
	s_cbranch_scc1 .LBB222_1042
; %bb.1039:
	s_cmp_lt_i32 s14, 3
	s_cbranch_scc1 .LBB222_1043
; %bb.1040:
	s_cmp_gt_i32 s14, 3
	s_cbranch_scc0 .LBB222_1044
; %bb.1041:
	global_load_b64 v[6:7], v[2:3], off
	s_mov_b32 s0, 0
	s_wait_loadcnt 0x0
	v_cmp_ne_u64_e64 s16, 0, v[6:7]
	s_branch .LBB222_1045
.LBB222_1042:
                                        ; implicit-def: $sgpr16
	s_branch .LBB222_1051
.LBB222_1043:
	s_mov_b32 s0, -1
                                        ; implicit-def: $sgpr16
	s_branch .LBB222_1048
.LBB222_1044:
	s_mov_b32 s0, -1
                                        ; implicit-def: $sgpr16
.LBB222_1045:
	s_delay_alu instid0(SALU_CYCLE_1)
	s_and_not1_b32 vcc_lo, exec_lo, s0
	s_cbranch_vccnz .LBB222_1047
; %bb.1046:
	global_load_b32 v1, v[2:3], off
	s_and_not1_b32 s0, s16, exec_lo
	s_wait_loadcnt 0x0
	v_cmp_ne_u32_e32 vcc_lo, 0, v1
	s_and_b32 s3, vcc_lo, exec_lo
	s_delay_alu instid0(SALU_CYCLE_1)
	s_or_b32 s16, s0, s3
.LBB222_1047:
	s_mov_b32 s0, 0
.LBB222_1048:
	s_delay_alu instid0(SALU_CYCLE_1)
	s_and_not1_b32 vcc_lo, exec_lo, s0
	s_cbranch_vccnz .LBB222_1050
; %bb.1049:
	global_load_u16 v1, v[2:3], off
	s_and_not1_b32 s0, s16, exec_lo
	s_wait_loadcnt 0x0
	v_cmp_ne_u16_e32 vcc_lo, 0, v1
	s_and_b32 s3, vcc_lo, exec_lo
	s_delay_alu instid0(SALU_CYCLE_1)
	s_or_b32 s16, s0, s3
.LBB222_1050:
	s_cbranch_execnz .LBB222_1056
.LBB222_1051:
	s_cmp_gt_i32 s14, 0
	s_mov_b32 s0, 0
	s_cbranch_scc0 .LBB222_1053
; %bb.1052:
	global_load_u8 v1, v[2:3], off
	s_wait_loadcnt 0x0
	v_cmp_ne_u16_e64 s16, 0, v1
	s_branch .LBB222_1054
.LBB222_1053:
	s_mov_b32 s0, -1
                                        ; implicit-def: $sgpr16
.LBB222_1054:
	s_delay_alu instid0(SALU_CYCLE_1)
	s_and_not1_b32 vcc_lo, exec_lo, s0
	s_cbranch_vccnz .LBB222_1056
; %bb.1055:
	global_load_u8 v1, v[2:3], off
	s_and_not1_b32 s0, s16, exec_lo
	s_wait_loadcnt 0x0
	v_cmp_ne_u16_e32 vcc_lo, 0, v1
	s_and_b32 s3, vcc_lo, exec_lo
	s_delay_alu instid0(SALU_CYCLE_1)
	s_or_b32 s16, s0, s3
.LBB222_1056:
.LBB222_1057:
	s_lshl_b32 s3, s9, 7
	s_cmp_lt_i32 s14, 11
	v_add_nc_u32_e32 v0, s3, v0
	s_delay_alu instid0(VALU_DEP_1) | instskip(SKIP_1) | instid1(VALU_DEP_1)
	v_ashrrev_i32_e32 v1, 31, v0
	s_wait_xcnt 0x0
	v_add_nc_u64_e32 v[2:3], s[6:7], v[0:1]
	s_cbranch_scc1 .LBB222_1064
; %bb.1058:
	s_cmp_gt_i32 s14, 25
	s_mov_b32 s17, 0
	s_cbranch_scc0 .LBB222_1066
; %bb.1059:
	s_cmp_gt_i32 s14, 28
	s_cbranch_scc0 .LBB222_1067
; %bb.1060:
	s_cmp_gt_i32 s14, 43
	;; [unrolled: 3-line block ×3, first 2 shown]
	s_cbranch_scc0 .LBB222_1070
; %bb.1062:
	s_cmp_eq_u32 s14, 46
	s_mov_b32 s18, 0
	s_cbranch_scc0 .LBB222_1073
; %bb.1063:
	global_load_b32 v1, v[2:3], off
	s_mov_b32 s0, 0
	s_mov_b32 s9, -1
	s_wait_loadcnt 0x0
	v_and_b32_e32 v1, 0x7fff7fff, v1
	s_delay_alu instid0(VALU_DEP_1)
	v_cmp_ne_u32_e64 s15, 0, v1
	s_branch .LBB222_1075
.LBB222_1064:
	s_mov_b32 s9, 0
                                        ; implicit-def: $sgpr15
	s_cbranch_execnz .LBB222_1122
.LBB222_1065:
	s_and_not1_b32 vcc_lo, exec_lo, s9
	s_cbranch_vccz .LBB222_1169
	s_branch .LBB222_1828
.LBB222_1066:
	s_mov_b32 s9, 0
	s_mov_b32 s0, 0
                                        ; implicit-def: $sgpr15
	s_cbranch_execnz .LBB222_1096
	s_branch .LBB222_1118
.LBB222_1067:
	s_mov_b32 s18, -1
	s_mov_b32 s9, 0
	s_mov_b32 s0, 0
                                        ; implicit-def: $sgpr15
	s_branch .LBB222_1083
.LBB222_1068:
	s_mov_b32 s18, -1
	s_mov_b32 s9, 0
	s_mov_b32 s0, 0
                                        ; implicit-def: $sgpr15
	s_branch .LBB222_1078
.LBB222_1069:
	s_mov_b32 s3, 0
	s_or_b32 s1, s13, exec_lo
	s_trap 2
	s_cbranch_execz .LBB222_1010
	s_branch .LBB222_1011
.LBB222_1070:
	s_mov_b32 s18, -1
	s_mov_b32 s9, 0
	s_mov_b32 s0, 0
	s_branch .LBB222_1074
.LBB222_1071:
	v_bfe_u32 v2, v3, 20, 1
	s_mov_b32 s20, exec_lo
	s_delay_alu instid0(VALU_DEP_1) | instskip(NEXT) | instid1(VALU_DEP_1)
	v_add3_u32 v2, v3, v2, 0x487ffff
                                        ; implicit-def: $vgpr3
	v_lshrrev_b32_e32 v2, 20, v2
	s_and_not1_saveexec_b32 s21, s21
	s_cbranch_execz .LBB222_864
.LBB222_1072:
	v_add_f32_e32 v2, 0x46000000, v3
	s_and_not1_b32 s20, s20, exec_lo
	s_delay_alu instid0(VALU_DEP_1) | instskip(NEXT) | instid1(VALU_DEP_1)
	v_and_b32_e32 v2, 0xff, v2
	v_cmp_ne_u32_e32 vcc_lo, 0, v2
	s_and_b32 s22, vcc_lo, exec_lo
	s_delay_alu instid0(SALU_CYCLE_1)
	s_or_b32 s20, s20, s22
	s_or_b32 exec_lo, exec_lo, s21
	v_mov_b32_e32 v4, 0
	s_and_saveexec_b32 s21, s20
	s_cbranch_execnz .LBB222_865
	s_branch .LBB222_866
.LBB222_1073:
	s_mov_b32 s0, -1
	s_mov_b32 s9, 0
.LBB222_1074:
                                        ; implicit-def: $sgpr15
.LBB222_1075:
	s_and_b32 vcc_lo, exec_lo, s18
	s_cbranch_vccz .LBB222_1077
; %bb.1076:
	s_cmp_lg_u32 s14, 44
	s_mov_b32 s9, -1
	s_cselect_b32 s0, -1, 0
	s_or_b32 s15, s15, exec_lo
.LBB222_1077:
	s_mov_b32 s18, 0
.LBB222_1078:
	s_delay_alu instid0(SALU_CYCLE_1)
	s_and_b32 vcc_lo, exec_lo, s18
	s_cbranch_vccz .LBB222_1082
; %bb.1079:
	s_cmp_eq_u32 s14, 29
	s_cbranch_scc0 .LBB222_1081
; %bb.1080:
	global_load_b64 v[6:7], v[2:3], off
	s_mov_b32 s0, 0
	s_mov_b32 s9, -1
	s_mov_b32 s18, 0
	s_wait_loadcnt 0x0
	v_cmp_ne_u64_e64 s15, 0, v[6:7]
	s_branch .LBB222_1083
.LBB222_1081:
	s_mov_b32 s0, -1
                                        ; implicit-def: $sgpr15
.LBB222_1082:
	s_mov_b32 s18, 0
.LBB222_1083:
	s_delay_alu instid0(SALU_CYCLE_1)
	s_and_b32 vcc_lo, exec_lo, s18
	s_cbranch_vccz .LBB222_1095
; %bb.1084:
	s_cmp_lt_i32 s14, 27
	s_cbranch_scc1 .LBB222_1087
; %bb.1085:
	s_cmp_gt_i32 s14, 27
	s_cbranch_scc0 .LBB222_1088
; %bb.1086:
	global_load_b32 v1, v[2:3], off
	s_mov_b32 s9, 0
	s_wait_loadcnt 0x0
	v_cmp_ne_u32_e64 s15, 0, v1
	s_branch .LBB222_1089
.LBB222_1087:
	s_mov_b32 s9, -1
                                        ; implicit-def: $sgpr15
	s_branch .LBB222_1092
.LBB222_1088:
	s_mov_b32 s9, -1
                                        ; implicit-def: $sgpr15
.LBB222_1089:
	s_delay_alu instid0(SALU_CYCLE_1)
	s_and_not1_b32 vcc_lo, exec_lo, s9
	s_cbranch_vccnz .LBB222_1091
; %bb.1090:
	global_load_u16 v1, v[2:3], off
	s_and_not1_b32 s9, s15, exec_lo
	s_wait_loadcnt 0x0
	v_cmp_ne_u16_e32 vcc_lo, 0, v1
	s_and_b32 s15, vcc_lo, exec_lo
	s_delay_alu instid0(SALU_CYCLE_1)
	s_or_b32 s15, s9, s15
.LBB222_1091:
	s_mov_b32 s9, 0
.LBB222_1092:
	s_delay_alu instid0(SALU_CYCLE_1)
	s_and_not1_b32 vcc_lo, exec_lo, s9
	s_cbranch_vccnz .LBB222_1094
; %bb.1093:
	global_load_u8 v1, v[2:3], off
	s_and_not1_b32 s9, s15, exec_lo
	s_wait_loadcnt 0x0
	v_cmp_ne_u16_e32 vcc_lo, 0, v1
	s_and_b32 s15, vcc_lo, exec_lo
	s_delay_alu instid0(SALU_CYCLE_1)
	s_or_b32 s15, s9, s15
.LBB222_1094:
	s_mov_b32 s9, -1
.LBB222_1095:
	s_branch .LBB222_1118
.LBB222_1096:
	s_cmp_gt_i32 s14, 22
	s_cbranch_scc0 .LBB222_1100
; %bb.1097:
	s_cmp_lt_i32 s14, 24
	s_cbranch_scc1 .LBB222_1101
; %bb.1098:
	s_cmp_gt_i32 s14, 24
	s_cbranch_scc0 .LBB222_1102
; %bb.1099:
	global_load_u8 v1, v[2:3], off
	s_mov_b32 s9, 0
	s_wait_loadcnt 0x0
	v_cmp_ne_u16_e64 s15, 0, v1
	s_branch .LBB222_1103
.LBB222_1100:
	s_mov_b32 s17, -1
                                        ; implicit-def: $sgpr15
	s_branch .LBB222_1109
.LBB222_1101:
	s_mov_b32 s9, -1
                                        ; implicit-def: $sgpr15
	s_branch .LBB222_1106
.LBB222_1102:
	s_mov_b32 s9, -1
                                        ; implicit-def: $sgpr15
.LBB222_1103:
	s_delay_alu instid0(SALU_CYCLE_1)
	s_and_not1_b32 vcc_lo, exec_lo, s9
	s_cbranch_vccnz .LBB222_1105
; %bb.1104:
	global_load_u8 v1, v[2:3], off
	s_and_not1_b32 s9, s15, exec_lo
	s_wait_loadcnt 0x0
	v_and_b32_e32 v1, 0x7f, v1
	s_delay_alu instid0(VALU_DEP_1) | instskip(SKIP_1) | instid1(SALU_CYCLE_1)
	v_cmp_ne_u16_e32 vcc_lo, 0, v1
	s_and_b32 s15, vcc_lo, exec_lo
	s_or_b32 s15, s9, s15
.LBB222_1105:
	s_mov_b32 s9, 0
.LBB222_1106:
	s_delay_alu instid0(SALU_CYCLE_1)
	s_and_not1_b32 vcc_lo, exec_lo, s9
	s_cbranch_vccnz .LBB222_1108
; %bb.1107:
	global_load_u8 v1, v[2:3], off
	s_and_not1_b32 s9, s15, exec_lo
	s_wait_loadcnt 0x0
	v_dual_lshlrev_b32 v5, 25, v1 :: v_dual_lshlrev_b32 v1, 8, v1
	s_delay_alu instid0(VALU_DEP_1) | instskip(NEXT) | instid1(VALU_DEP_2)
	v_lshrrev_b32_e32 v6, 4, v5
	v_and_or_b32 v1, 0x7f00, v1, 0.5
	v_cmp_gt_u32_e32 vcc_lo, 0x8000000, v5
	s_delay_alu instid0(VALU_DEP_3) | instskip(NEXT) | instid1(VALU_DEP_1)
	v_or_b32_e32 v6, 0x70000000, v6
	v_dual_add_f32 v1, -0.5, v1 :: v_dual_mul_f32 v6, 0x7800000, v6
	s_delay_alu instid0(VALU_DEP_1) | instskip(NEXT) | instid1(VALU_DEP_1)
	v_cndmask_b32_e32 v1, v6, v1, vcc_lo
	v_cmp_neq_f32_e32 vcc_lo, 0, v1
	s_and_b32 s15, vcc_lo, exec_lo
	s_delay_alu instid0(SALU_CYCLE_1)
	s_or_b32 s15, s9, s15
.LBB222_1108:
	s_mov_b32 s9, -1
.LBB222_1109:
	s_and_not1_b32 vcc_lo, exec_lo, s17
	s_mov_b32 s17, 0
	s_cbranch_vccnz .LBB222_1118
; %bb.1110:
	s_cmp_gt_i32 s14, 14
	s_cbranch_scc0 .LBB222_1113
; %bb.1111:
	s_cmp_eq_u32 s14, 15
	s_cbranch_scc0 .LBB222_1114
; %bb.1112:
	global_load_u16 v1, v[2:3], off
	s_mov_b32 s0, 0
	s_mov_b32 s9, -1
	s_wait_loadcnt 0x0
	v_and_b32_e32 v1, 0x7fff, v1
	s_delay_alu instid0(VALU_DEP_1)
	v_cmp_ne_u16_e64 s15, 0, v1
	s_branch .LBB222_1116
.LBB222_1113:
	s_mov_b32 s17, -1
	s_branch .LBB222_1115
.LBB222_1114:
	s_mov_b32 s0, -1
.LBB222_1115:
                                        ; implicit-def: $sgpr15
.LBB222_1116:
	s_and_b32 vcc_lo, exec_lo, s17
	s_mov_b32 s17, 0
	s_cbranch_vccz .LBB222_1118
; %bb.1117:
	s_cmp_lg_u32 s14, 11
	s_mov_b32 s17, -1
	s_cselect_b32 s0, -1, 0
.LBB222_1118:
	s_delay_alu instid0(SALU_CYCLE_1)
	s_and_b32 vcc_lo, exec_lo, s0
	s_cbranch_vccnz .LBB222_1181
; %bb.1119:
	s_and_not1_b32 vcc_lo, exec_lo, s17
	s_cbranch_vccnz .LBB222_1121
.LBB222_1120:
	global_load_u8 v1, v[2:3], off
	s_and_not1_b32 s0, s15, exec_lo
	s_mov_b32 s9, -1
	s_wait_loadcnt 0x0
	v_cmp_ne_u16_e32 vcc_lo, 0, v1
	s_and_b32 s15, vcc_lo, exec_lo
	s_delay_alu instid0(SALU_CYCLE_1)
	s_or_b32 s15, s0, s15
.LBB222_1121:
	s_branch .LBB222_1065
.LBB222_1122:
	s_cmp_lt_i32 s14, 5
	s_cbranch_scc1 .LBB222_1127
; %bb.1123:
	s_cmp_lt_i32 s14, 8
	s_cbranch_scc1 .LBB222_1128
; %bb.1124:
	;; [unrolled: 3-line block ×3, first 2 shown]
	s_cmp_gt_i32 s14, 9
	s_cbranch_scc0 .LBB222_1130
; %bb.1126:
	global_load_b128 v[6:9], v[2:3], off
	s_wait_loadcnt 0x0
	v_cmp_neq_f64_e32 vcc_lo, 0, v[6:7]
	v_cmp_neq_f64_e64 s0, 0, v[8:9]
	s_or_b32 s15, vcc_lo, s0
	s_mov_b32 s0, 0
	s_branch .LBB222_1131
.LBB222_1127:
                                        ; implicit-def: $sgpr15
	s_branch .LBB222_1149
.LBB222_1128:
	s_mov_b32 s0, -1
                                        ; implicit-def: $sgpr15
	s_branch .LBB222_1137
.LBB222_1129:
	s_mov_b32 s0, -1
                                        ; implicit-def: $sgpr15
	s_branch .LBB222_1134
.LBB222_1130:
	s_mov_b32 s0, -1
                                        ; implicit-def: $sgpr15
.LBB222_1131:
	s_delay_alu instid0(SALU_CYCLE_1)
	s_and_not1_b32 vcc_lo, exec_lo, s0
	s_cbranch_vccnz .LBB222_1133
; %bb.1132:
	global_load_b64 v[6:7], v[2:3], off
	s_and_not1_b32 s0, s15, exec_lo
	s_wait_loadcnt 0x0
	v_bitop3_b32 v1, v6, 0x7fffffff, v7 bitop3:0xc8
	s_delay_alu instid0(VALU_DEP_1) | instskip(SKIP_1) | instid1(SALU_CYCLE_1)
	v_cmp_ne_u32_e32 vcc_lo, 0, v1
	s_and_b32 s9, vcc_lo, exec_lo
	s_or_b32 s15, s0, s9
.LBB222_1133:
	s_mov_b32 s0, 0
.LBB222_1134:
	s_delay_alu instid0(SALU_CYCLE_1)
	s_and_not1_b32 vcc_lo, exec_lo, s0
	s_cbranch_vccnz .LBB222_1136
; %bb.1135:
	global_load_b32 v1, v[2:3], off
	s_and_not1_b32 s0, s15, exec_lo
	s_wait_loadcnt 0x0
	v_and_b32_e32 v1, 0x7fff7fff, v1
	s_delay_alu instid0(VALU_DEP_1) | instskip(SKIP_1) | instid1(SALU_CYCLE_1)
	v_cmp_ne_u32_e32 vcc_lo, 0, v1
	s_and_b32 s9, vcc_lo, exec_lo
	s_or_b32 s15, s0, s9
.LBB222_1136:
	s_mov_b32 s0, 0
.LBB222_1137:
	s_delay_alu instid0(SALU_CYCLE_1)
	s_and_not1_b32 vcc_lo, exec_lo, s0
	s_cbranch_vccnz .LBB222_1148
; %bb.1138:
	s_cmp_lt_i32 s14, 6
	s_cbranch_scc1 .LBB222_1141
; %bb.1139:
	s_cmp_gt_i32 s14, 6
	s_cbranch_scc0 .LBB222_1142
; %bb.1140:
	global_load_b64 v[6:7], v[2:3], off
	s_mov_b32 s0, 0
	s_wait_loadcnt 0x0
	v_cmp_neq_f64_e64 s15, 0, v[6:7]
	s_branch .LBB222_1143
.LBB222_1141:
	s_mov_b32 s0, -1
                                        ; implicit-def: $sgpr15
	s_branch .LBB222_1146
.LBB222_1142:
	s_mov_b32 s0, -1
                                        ; implicit-def: $sgpr15
.LBB222_1143:
	s_delay_alu instid0(SALU_CYCLE_1)
	s_and_not1_b32 vcc_lo, exec_lo, s0
	s_cbranch_vccnz .LBB222_1145
; %bb.1144:
	global_load_b32 v1, v[2:3], off
	s_and_not1_b32 s0, s15, exec_lo
	s_wait_loadcnt 0x0
	v_cmp_neq_f32_e32 vcc_lo, 0, v1
	s_and_b32 s9, vcc_lo, exec_lo
	s_delay_alu instid0(SALU_CYCLE_1)
	s_or_b32 s15, s0, s9
.LBB222_1145:
	s_mov_b32 s0, 0
.LBB222_1146:
	s_delay_alu instid0(SALU_CYCLE_1)
	s_and_not1_b32 vcc_lo, exec_lo, s0
	s_cbranch_vccnz .LBB222_1148
; %bb.1147:
	global_load_u16 v1, v[2:3], off
	s_and_not1_b32 s0, s15, exec_lo
	s_wait_loadcnt 0x0
	v_and_b32_e32 v1, 0x7fff, v1
	s_delay_alu instid0(VALU_DEP_1) | instskip(SKIP_1) | instid1(SALU_CYCLE_1)
	v_cmp_ne_u16_e32 vcc_lo, 0, v1
	s_and_b32 s9, vcc_lo, exec_lo
	s_or_b32 s15, s0, s9
.LBB222_1148:
	s_cbranch_execnz .LBB222_1168
.LBB222_1149:
	s_cmp_lt_i32 s14, 2
	s_cbranch_scc1 .LBB222_1153
; %bb.1150:
	s_cmp_lt_i32 s14, 3
	s_cbranch_scc1 .LBB222_1154
; %bb.1151:
	s_cmp_gt_i32 s14, 3
	s_cbranch_scc0 .LBB222_1155
; %bb.1152:
	global_load_b64 v[6:7], v[2:3], off
	s_mov_b32 s0, 0
	s_wait_loadcnt 0x0
	v_cmp_ne_u64_e64 s15, 0, v[6:7]
	s_branch .LBB222_1156
.LBB222_1153:
	s_mov_b32 s0, -1
                                        ; implicit-def: $sgpr15
	s_branch .LBB222_1162
.LBB222_1154:
	s_mov_b32 s0, -1
                                        ; implicit-def: $sgpr15
	s_branch .LBB222_1159
.LBB222_1155:
	s_mov_b32 s0, -1
                                        ; implicit-def: $sgpr15
.LBB222_1156:
	s_delay_alu instid0(SALU_CYCLE_1)
	s_and_not1_b32 vcc_lo, exec_lo, s0
	s_cbranch_vccnz .LBB222_1158
; %bb.1157:
	global_load_b32 v1, v[2:3], off
	s_and_not1_b32 s0, s15, exec_lo
	s_wait_loadcnt 0x0
	v_cmp_ne_u32_e32 vcc_lo, 0, v1
	s_and_b32 s9, vcc_lo, exec_lo
	s_delay_alu instid0(SALU_CYCLE_1)
	s_or_b32 s15, s0, s9
.LBB222_1158:
	s_mov_b32 s0, 0
.LBB222_1159:
	s_delay_alu instid0(SALU_CYCLE_1)
	s_and_not1_b32 vcc_lo, exec_lo, s0
	s_cbranch_vccnz .LBB222_1161
; %bb.1160:
	global_load_u16 v1, v[2:3], off
	s_and_not1_b32 s0, s15, exec_lo
	s_wait_loadcnt 0x0
	v_cmp_ne_u16_e32 vcc_lo, 0, v1
	s_and_b32 s9, vcc_lo, exec_lo
	s_delay_alu instid0(SALU_CYCLE_1)
	s_or_b32 s15, s0, s9
.LBB222_1161:
	s_mov_b32 s0, 0
.LBB222_1162:
	s_delay_alu instid0(SALU_CYCLE_1)
	s_and_not1_b32 vcc_lo, exec_lo, s0
	s_cbranch_vccnz .LBB222_1168
; %bb.1163:
	s_cmp_gt_i32 s14, 0
	s_mov_b32 s0, 0
	s_cbranch_scc0 .LBB222_1165
; %bb.1164:
	global_load_u8 v1, v[2:3], off
	s_wait_loadcnt 0x0
	v_cmp_ne_u16_e64 s15, 0, v1
	s_branch .LBB222_1166
.LBB222_1165:
	s_mov_b32 s0, -1
                                        ; implicit-def: $sgpr15
.LBB222_1166:
	s_delay_alu instid0(SALU_CYCLE_1)
	s_and_not1_b32 vcc_lo, exec_lo, s0
	s_cbranch_vccnz .LBB222_1168
; %bb.1167:
	global_load_u8 v1, v[2:3], off
	s_and_not1_b32 s0, s15, exec_lo
	s_wait_loadcnt 0x0
	v_cmp_ne_u16_e32 vcc_lo, 0, v1
	s_and_b32 s9, vcc_lo, exec_lo
	s_delay_alu instid0(SALU_CYCLE_1)
	s_or_b32 s15, s0, s9
.LBB222_1168:
.LBB222_1169:
	v_add_nc_u32_e32 v0, s3, v0
	s_cmp_lt_i32 s14, 11
	s_delay_alu instid0(VALU_DEP_1) | instskip(SKIP_1) | instid1(VALU_DEP_1)
	v_ashrrev_i32_e32 v1, 31, v0
	s_wait_xcnt 0x0
	v_add_nc_u64_e32 v[2:3], s[6:7], v[0:1]
	s_cbranch_scc1 .LBB222_1176
; %bb.1170:
	s_cmp_gt_i32 s14, 25
	s_mov_b32 s18, 0
	s_cbranch_scc0 .LBB222_1178
; %bb.1171:
	s_cmp_gt_i32 s14, 28
	s_cbranch_scc0 .LBB222_1179
; %bb.1172:
	s_cmp_gt_i32 s14, 43
	;; [unrolled: 3-line block ×3, first 2 shown]
	s_cbranch_scc0 .LBB222_1182
; %bb.1174:
	s_cmp_eq_u32 s14, 46
	s_mov_b32 s19, 0
	s_cbranch_scc0 .LBB222_1185
; %bb.1175:
	global_load_b32 v1, v[2:3], off
	s_mov_b32 s0, 0
	s_mov_b32 s17, -1
	s_wait_loadcnt 0x0
	v_and_b32_e32 v1, 0x7fff7fff, v1
	s_delay_alu instid0(VALU_DEP_1)
	v_cmp_ne_u32_e64 s9, 0, v1
	s_branch .LBB222_1187
.LBB222_1176:
	s_mov_b32 s17, 0
                                        ; implicit-def: $sgpr9
	s_cbranch_execnz .LBB222_1235
.LBB222_1177:
	s_and_not1_b32 vcc_lo, exec_lo, s17
	s_cbranch_vccz .LBB222_1283
	s_branch .LBB222_1828
.LBB222_1178:
	s_mov_b32 s19, -1
	s_mov_b32 s17, 0
	s_mov_b32 s0, 0
                                        ; implicit-def: $sgpr9
	s_branch .LBB222_1208
.LBB222_1179:
	s_mov_b32 s19, -1
	s_mov_b32 s17, 0
	s_mov_b32 s0, 0
                                        ; implicit-def: $sgpr9
	s_branch .LBB222_1195
.LBB222_1180:
	s_mov_b32 s19, -1
	s_mov_b32 s17, 0
	s_mov_b32 s0, 0
                                        ; implicit-def: $sgpr9
	s_branch .LBB222_1190
.LBB222_1181:
	s_mov_b32 s9, 0
	s_or_b32 s1, s1, exec_lo
	s_trap 2
	s_cbranch_execz .LBB222_1120
	s_branch .LBB222_1121
.LBB222_1182:
	s_mov_b32 s19, -1
	s_mov_b32 s17, 0
	s_mov_b32 s0, 0
	s_branch .LBB222_1186
.LBB222_1183:
	v_bfe_u32 v2, v3, 21, 1
	s_mov_b32 s21, exec_lo
	s_delay_alu instid0(VALU_DEP_1) | instskip(NEXT) | instid1(VALU_DEP_1)
	v_add3_u32 v2, v3, v2, 0x88fffff
                                        ; implicit-def: $vgpr3
	v_lshrrev_b32_e32 v2, 21, v2
	s_and_not1_saveexec_b32 s22, s22
	s_cbranch_execz .LBB222_876
.LBB222_1184:
	v_add_f32_e32 v2, 0x42800000, v3
	s_and_not1_b32 s21, s21, exec_lo
	s_delay_alu instid0(VALU_DEP_1) | instskip(NEXT) | instid1(VALU_DEP_1)
	v_and_b32_e32 v2, 0xff, v2
	v_cmp_ne_u32_e32 vcc_lo, 0, v2
	s_and_b32 s23, vcc_lo, exec_lo
	s_delay_alu instid0(SALU_CYCLE_1)
	s_or_b32 s21, s21, s23
	s_or_b32 exec_lo, exec_lo, s22
	v_mov_b32_e32 v4, 0
	s_and_saveexec_b32 s22, s21
	s_cbranch_execnz .LBB222_877
	s_branch .LBB222_878
.LBB222_1185:
	s_mov_b32 s0, -1
	s_mov_b32 s17, 0
.LBB222_1186:
                                        ; implicit-def: $sgpr9
.LBB222_1187:
	s_and_b32 vcc_lo, exec_lo, s19
	s_cbranch_vccz .LBB222_1189
; %bb.1188:
	s_cmp_lg_u32 s14, 44
	s_mov_b32 s17, -1
	s_cselect_b32 s0, -1, 0
	s_or_b32 s9, s9, exec_lo
.LBB222_1189:
	s_mov_b32 s19, 0
.LBB222_1190:
	s_delay_alu instid0(SALU_CYCLE_1)
	s_and_b32 vcc_lo, exec_lo, s19
	s_cbranch_vccz .LBB222_1194
; %bb.1191:
	s_cmp_eq_u32 s14, 29
	s_cbranch_scc0 .LBB222_1193
; %bb.1192:
	global_load_b64 v[6:7], v[2:3], off
	s_mov_b32 s0, 0
	s_mov_b32 s17, -1
	s_mov_b32 s19, 0
	s_wait_loadcnt 0x0
	v_cmp_ne_u64_e64 s9, 0, v[6:7]
	s_branch .LBB222_1195
.LBB222_1193:
	s_mov_b32 s0, -1
                                        ; implicit-def: $sgpr9
.LBB222_1194:
	s_mov_b32 s19, 0
.LBB222_1195:
	s_delay_alu instid0(SALU_CYCLE_1)
	s_and_b32 vcc_lo, exec_lo, s19
	s_cbranch_vccz .LBB222_1207
; %bb.1196:
	s_cmp_lt_i32 s14, 27
	s_cbranch_scc1 .LBB222_1199
; %bb.1197:
	s_cmp_gt_i32 s14, 27
	s_cbranch_scc0 .LBB222_1200
; %bb.1198:
	global_load_b32 v1, v[2:3], off
	s_mov_b32 s17, 0
	s_wait_loadcnt 0x0
	v_cmp_ne_u32_e64 s9, 0, v1
	s_branch .LBB222_1201
.LBB222_1199:
	s_mov_b32 s17, -1
                                        ; implicit-def: $sgpr9
	s_branch .LBB222_1204
.LBB222_1200:
	s_mov_b32 s17, -1
                                        ; implicit-def: $sgpr9
.LBB222_1201:
	s_delay_alu instid0(SALU_CYCLE_1)
	s_and_not1_b32 vcc_lo, exec_lo, s17
	s_cbranch_vccnz .LBB222_1203
; %bb.1202:
	global_load_u16 v1, v[2:3], off
	s_and_not1_b32 s9, s9, exec_lo
	s_wait_loadcnt 0x0
	v_cmp_ne_u16_e32 vcc_lo, 0, v1
	s_and_b32 s17, vcc_lo, exec_lo
	s_delay_alu instid0(SALU_CYCLE_1)
	s_or_b32 s9, s9, s17
.LBB222_1203:
	s_mov_b32 s17, 0
.LBB222_1204:
	s_delay_alu instid0(SALU_CYCLE_1)
	s_and_not1_b32 vcc_lo, exec_lo, s17
	s_cbranch_vccnz .LBB222_1206
; %bb.1205:
	global_load_u8 v1, v[2:3], off
	s_and_not1_b32 s9, s9, exec_lo
	s_wait_loadcnt 0x0
	v_cmp_ne_u16_e32 vcc_lo, 0, v1
	s_and_b32 s17, vcc_lo, exec_lo
	s_delay_alu instid0(SALU_CYCLE_1)
	s_or_b32 s9, s9, s17
.LBB222_1206:
	s_mov_b32 s17, -1
.LBB222_1207:
	s_mov_b32 s19, 0
.LBB222_1208:
	s_delay_alu instid0(SALU_CYCLE_1)
	s_and_b32 vcc_lo, exec_lo, s19
	s_cbranch_vccz .LBB222_1231
; %bb.1209:
	s_cmp_gt_i32 s14, 22
	s_cbranch_scc0 .LBB222_1213
; %bb.1210:
	s_cmp_lt_i32 s14, 24
	s_cbranch_scc1 .LBB222_1214
; %bb.1211:
	s_cmp_gt_i32 s14, 24
	s_cbranch_scc0 .LBB222_1215
; %bb.1212:
	global_load_u8 v1, v[2:3], off
	s_mov_b32 s17, 0
	s_wait_loadcnt 0x0
	v_cmp_ne_u16_e64 s9, 0, v1
	s_branch .LBB222_1216
.LBB222_1213:
	s_mov_b32 s18, -1
                                        ; implicit-def: $sgpr9
	s_branch .LBB222_1222
.LBB222_1214:
	s_mov_b32 s17, -1
                                        ; implicit-def: $sgpr9
	s_branch .LBB222_1219
.LBB222_1215:
	s_mov_b32 s17, -1
                                        ; implicit-def: $sgpr9
.LBB222_1216:
	s_delay_alu instid0(SALU_CYCLE_1)
	s_and_not1_b32 vcc_lo, exec_lo, s17
	s_cbranch_vccnz .LBB222_1218
; %bb.1217:
	global_load_u8 v1, v[2:3], off
	s_and_not1_b32 s9, s9, exec_lo
	s_wait_loadcnt 0x0
	v_and_b32_e32 v1, 0x7f, v1
	s_delay_alu instid0(VALU_DEP_1) | instskip(SKIP_1) | instid1(SALU_CYCLE_1)
	v_cmp_ne_u16_e32 vcc_lo, 0, v1
	s_and_b32 s17, vcc_lo, exec_lo
	s_or_b32 s9, s9, s17
.LBB222_1218:
	s_mov_b32 s17, 0
.LBB222_1219:
	s_delay_alu instid0(SALU_CYCLE_1)
	s_and_not1_b32 vcc_lo, exec_lo, s17
	s_cbranch_vccnz .LBB222_1221
; %bb.1220:
	global_load_u8 v1, v[2:3], off
	s_and_not1_b32 s9, s9, exec_lo
	s_wait_loadcnt 0x0
	v_dual_lshlrev_b32 v5, 25, v1 :: v_dual_lshlrev_b32 v1, 8, v1
	s_delay_alu instid0(VALU_DEP_1) | instskip(NEXT) | instid1(VALU_DEP_2)
	v_lshrrev_b32_e32 v6, 4, v5
	v_and_or_b32 v1, 0x7f00, v1, 0.5
	v_cmp_gt_u32_e32 vcc_lo, 0x8000000, v5
	s_delay_alu instid0(VALU_DEP_3) | instskip(NEXT) | instid1(VALU_DEP_1)
	v_or_b32_e32 v6, 0x70000000, v6
	v_dual_add_f32 v1, -0.5, v1 :: v_dual_mul_f32 v6, 0x7800000, v6
	s_delay_alu instid0(VALU_DEP_1) | instskip(NEXT) | instid1(VALU_DEP_1)
	v_cndmask_b32_e32 v1, v6, v1, vcc_lo
	v_cmp_neq_f32_e32 vcc_lo, 0, v1
	s_and_b32 s17, vcc_lo, exec_lo
	s_delay_alu instid0(SALU_CYCLE_1)
	s_or_b32 s9, s9, s17
.LBB222_1221:
	s_mov_b32 s17, -1
.LBB222_1222:
	s_and_not1_b32 vcc_lo, exec_lo, s18
	s_mov_b32 s18, 0
	s_cbranch_vccnz .LBB222_1231
; %bb.1223:
	s_cmp_gt_i32 s14, 14
	s_cbranch_scc0 .LBB222_1226
; %bb.1224:
	s_cmp_eq_u32 s14, 15
	s_cbranch_scc0 .LBB222_1227
; %bb.1225:
	global_load_u16 v1, v[2:3], off
	s_mov_b32 s0, 0
	s_mov_b32 s17, -1
	s_wait_loadcnt 0x0
	v_and_b32_e32 v1, 0x7fff, v1
	s_delay_alu instid0(VALU_DEP_1)
	v_cmp_ne_u16_e64 s9, 0, v1
	s_branch .LBB222_1229
.LBB222_1226:
	s_mov_b32 s18, -1
	s_branch .LBB222_1228
.LBB222_1227:
	s_mov_b32 s0, -1
.LBB222_1228:
                                        ; implicit-def: $sgpr9
.LBB222_1229:
	s_and_b32 vcc_lo, exec_lo, s18
	s_mov_b32 s18, 0
	s_cbranch_vccz .LBB222_1231
; %bb.1230:
	s_cmp_lg_u32 s14, 11
	s_mov_b32 s18, -1
	s_cselect_b32 s0, -1, 0
.LBB222_1231:
	s_delay_alu instid0(SALU_CYCLE_1)
	s_and_b32 vcc_lo, exec_lo, s0
	s_cbranch_vccnz .LBB222_1294
; %bb.1232:
	s_and_not1_b32 vcc_lo, exec_lo, s18
	s_cbranch_vccnz .LBB222_1234
.LBB222_1233:
	global_load_u8 v1, v[2:3], off
	s_and_not1_b32 s0, s9, exec_lo
	s_mov_b32 s17, -1
	s_wait_loadcnt 0x0
	v_cmp_ne_u16_e32 vcc_lo, 0, v1
	s_and_b32 s9, vcc_lo, exec_lo
	s_delay_alu instid0(SALU_CYCLE_1)
	s_or_b32 s9, s0, s9
.LBB222_1234:
	s_branch .LBB222_1177
.LBB222_1235:
	s_cmp_lt_i32 s14, 5
	s_cbranch_scc1 .LBB222_1240
; %bb.1236:
	s_cmp_lt_i32 s14, 8
	s_cbranch_scc1 .LBB222_1241
; %bb.1237:
	;; [unrolled: 3-line block ×3, first 2 shown]
	s_cmp_gt_i32 s14, 9
	s_cbranch_scc0 .LBB222_1243
; %bb.1239:
	global_load_b128 v[6:9], v[2:3], off
	s_wait_loadcnt 0x0
	v_cmp_neq_f64_e32 vcc_lo, 0, v[6:7]
	v_cmp_neq_f64_e64 s0, 0, v[8:9]
	s_or_b32 s9, vcc_lo, s0
	s_mov_b32 s0, 0
	s_branch .LBB222_1244
.LBB222_1240:
	s_mov_b32 s0, -1
                                        ; implicit-def: $sgpr9
	s_branch .LBB222_1262
.LBB222_1241:
	s_mov_b32 s0, -1
                                        ; implicit-def: $sgpr9
	s_branch .LBB222_1250
.LBB222_1242:
	s_mov_b32 s0, -1
                                        ; implicit-def: $sgpr9
	s_branch .LBB222_1247
.LBB222_1243:
	s_mov_b32 s0, -1
                                        ; implicit-def: $sgpr9
.LBB222_1244:
	s_delay_alu instid0(SALU_CYCLE_1)
	s_and_not1_b32 vcc_lo, exec_lo, s0
	s_cbranch_vccnz .LBB222_1246
; %bb.1245:
	global_load_b64 v[6:7], v[2:3], off
	s_and_not1_b32 s0, s9, exec_lo
	s_wait_loadcnt 0x0
	v_bitop3_b32 v1, v6, 0x7fffffff, v7 bitop3:0xc8
	s_delay_alu instid0(VALU_DEP_1) | instskip(SKIP_1) | instid1(SALU_CYCLE_1)
	v_cmp_ne_u32_e32 vcc_lo, 0, v1
	s_and_b32 s9, vcc_lo, exec_lo
	s_or_b32 s9, s0, s9
.LBB222_1246:
	s_mov_b32 s0, 0
.LBB222_1247:
	s_delay_alu instid0(SALU_CYCLE_1)
	s_and_not1_b32 vcc_lo, exec_lo, s0
	s_cbranch_vccnz .LBB222_1249
; %bb.1248:
	global_load_b32 v1, v[2:3], off
	s_and_not1_b32 s0, s9, exec_lo
	s_wait_loadcnt 0x0
	v_and_b32_e32 v1, 0x7fff7fff, v1
	s_delay_alu instid0(VALU_DEP_1) | instskip(SKIP_1) | instid1(SALU_CYCLE_1)
	v_cmp_ne_u32_e32 vcc_lo, 0, v1
	s_and_b32 s9, vcc_lo, exec_lo
	s_or_b32 s9, s0, s9
.LBB222_1249:
	s_mov_b32 s0, 0
.LBB222_1250:
	s_delay_alu instid0(SALU_CYCLE_1)
	s_and_not1_b32 vcc_lo, exec_lo, s0
	s_cbranch_vccnz .LBB222_1261
; %bb.1251:
	s_cmp_lt_i32 s14, 6
	s_cbranch_scc1 .LBB222_1254
; %bb.1252:
	s_cmp_gt_i32 s14, 6
	s_cbranch_scc0 .LBB222_1255
; %bb.1253:
	global_load_b64 v[6:7], v[2:3], off
	s_mov_b32 s0, 0
	s_wait_loadcnt 0x0
	v_cmp_neq_f64_e64 s9, 0, v[6:7]
	s_branch .LBB222_1256
.LBB222_1254:
	s_mov_b32 s0, -1
                                        ; implicit-def: $sgpr9
	s_branch .LBB222_1259
.LBB222_1255:
	s_mov_b32 s0, -1
                                        ; implicit-def: $sgpr9
.LBB222_1256:
	s_delay_alu instid0(SALU_CYCLE_1)
	s_and_not1_b32 vcc_lo, exec_lo, s0
	s_cbranch_vccnz .LBB222_1258
; %bb.1257:
	global_load_b32 v1, v[2:3], off
	s_and_not1_b32 s0, s9, exec_lo
	s_wait_loadcnt 0x0
	v_cmp_neq_f32_e32 vcc_lo, 0, v1
	s_and_b32 s9, vcc_lo, exec_lo
	s_delay_alu instid0(SALU_CYCLE_1)
	s_or_b32 s9, s0, s9
.LBB222_1258:
	s_mov_b32 s0, 0
.LBB222_1259:
	s_delay_alu instid0(SALU_CYCLE_1)
	s_and_not1_b32 vcc_lo, exec_lo, s0
	s_cbranch_vccnz .LBB222_1261
; %bb.1260:
	global_load_u16 v1, v[2:3], off
	s_and_not1_b32 s0, s9, exec_lo
	s_wait_loadcnt 0x0
	v_and_b32_e32 v1, 0x7fff, v1
	s_delay_alu instid0(VALU_DEP_1) | instskip(SKIP_1) | instid1(SALU_CYCLE_1)
	v_cmp_ne_u16_e32 vcc_lo, 0, v1
	s_and_b32 s9, vcc_lo, exec_lo
	s_or_b32 s9, s0, s9
.LBB222_1261:
	s_mov_b32 s0, 0
.LBB222_1262:
	s_delay_alu instid0(SALU_CYCLE_1)
	s_and_not1_b32 vcc_lo, exec_lo, s0
	s_cbranch_vccnz .LBB222_1282
; %bb.1263:
	s_cmp_lt_i32 s14, 2
	s_cbranch_scc1 .LBB222_1267
; %bb.1264:
	s_cmp_lt_i32 s14, 3
	s_cbranch_scc1 .LBB222_1268
; %bb.1265:
	s_cmp_gt_i32 s14, 3
	s_cbranch_scc0 .LBB222_1269
; %bb.1266:
	global_load_b64 v[6:7], v[2:3], off
	s_mov_b32 s0, 0
	s_wait_loadcnt 0x0
	v_cmp_ne_u64_e64 s9, 0, v[6:7]
	s_branch .LBB222_1270
.LBB222_1267:
	s_mov_b32 s0, -1
                                        ; implicit-def: $sgpr9
	s_branch .LBB222_1276
.LBB222_1268:
	s_mov_b32 s0, -1
                                        ; implicit-def: $sgpr9
	s_branch .LBB222_1273
.LBB222_1269:
	s_mov_b32 s0, -1
                                        ; implicit-def: $sgpr9
.LBB222_1270:
	s_delay_alu instid0(SALU_CYCLE_1)
	s_and_not1_b32 vcc_lo, exec_lo, s0
	s_cbranch_vccnz .LBB222_1272
; %bb.1271:
	global_load_b32 v1, v[2:3], off
	s_and_not1_b32 s0, s9, exec_lo
	s_wait_loadcnt 0x0
	v_cmp_ne_u32_e32 vcc_lo, 0, v1
	s_and_b32 s9, vcc_lo, exec_lo
	s_delay_alu instid0(SALU_CYCLE_1)
	s_or_b32 s9, s0, s9
.LBB222_1272:
	s_mov_b32 s0, 0
.LBB222_1273:
	s_delay_alu instid0(SALU_CYCLE_1)
	s_and_not1_b32 vcc_lo, exec_lo, s0
	s_cbranch_vccnz .LBB222_1275
; %bb.1274:
	global_load_u16 v1, v[2:3], off
	s_and_not1_b32 s0, s9, exec_lo
	s_wait_loadcnt 0x0
	v_cmp_ne_u16_e32 vcc_lo, 0, v1
	s_and_b32 s9, vcc_lo, exec_lo
	s_delay_alu instid0(SALU_CYCLE_1)
	s_or_b32 s9, s0, s9
.LBB222_1275:
	s_mov_b32 s0, 0
.LBB222_1276:
	s_delay_alu instid0(SALU_CYCLE_1)
	s_and_not1_b32 vcc_lo, exec_lo, s0
	s_cbranch_vccnz .LBB222_1282
; %bb.1277:
	s_cmp_gt_i32 s14, 0
	s_mov_b32 s0, 0
	s_cbranch_scc0 .LBB222_1279
; %bb.1278:
	global_load_u8 v1, v[2:3], off
	s_wait_loadcnt 0x0
	v_cmp_ne_u16_e64 s9, 0, v1
	s_branch .LBB222_1280
.LBB222_1279:
	s_mov_b32 s0, -1
                                        ; implicit-def: $sgpr9
.LBB222_1280:
	s_delay_alu instid0(SALU_CYCLE_1)
	s_and_not1_b32 vcc_lo, exec_lo, s0
	s_cbranch_vccnz .LBB222_1282
; %bb.1281:
	global_load_u8 v1, v[2:3], off
	s_and_not1_b32 s0, s9, exec_lo
	s_wait_loadcnt 0x0
	v_cmp_ne_u16_e32 vcc_lo, 0, v1
	s_and_b32 s9, vcc_lo, exec_lo
	s_delay_alu instid0(SALU_CYCLE_1)
	s_or_b32 s9, s0, s9
.LBB222_1282:
.LBB222_1283:
	v_add_nc_u32_e32 v0, s3, v0
	s_cmp_lt_i32 s14, 11
	s_delay_alu instid0(VALU_DEP_1) | instskip(NEXT) | instid1(VALU_DEP_1)
	v_ashrrev_i32_e32 v1, 31, v0
	v_add_nc_u64_e32 v[0:1], s[6:7], v[0:1]
	s_cbranch_scc1 .LBB222_1290
; %bb.1284:
	s_cmp_gt_i32 s14, 25
	s_mov_b32 s7, 0
	s_cbranch_scc0 .LBB222_1291
; %bb.1285:
	s_cmp_gt_i32 s14, 28
	s_cbranch_scc0 .LBB222_1292
; %bb.1286:
	s_cmp_gt_i32 s14, 43
	;; [unrolled: 3-line block ×3, first 2 shown]
	s_cbranch_scc0 .LBB222_1295
; %bb.1288:
	s_cmp_eq_u32 s14, 46
	s_mov_b32 s17, 0
	s_cbranch_scc0 .LBB222_1296
; %bb.1289:
	global_load_b32 v2, v[0:1], off
	s_mov_b32 s0, 0
	s_mov_b32 s6, -1
	s_wait_loadcnt 0x0
	v_and_b32_e32 v2, 0x7fff7fff, v2
	s_delay_alu instid0(VALU_DEP_1)
	v_cmp_ne_u32_e64 s3, 0, v2
	s_branch .LBB222_1298
.LBB222_1290:
	s_mov_b32 s0, -1
	s_mov_b32 s6, 0
                                        ; implicit-def: $sgpr3
	s_branch .LBB222_1346
.LBB222_1291:
	s_mov_b32 s17, -1
	s_mov_b32 s6, 0
	s_mov_b32 s0, 0
                                        ; implicit-def: $sgpr3
	s_branch .LBB222_1319
.LBB222_1292:
	s_mov_b32 s17, -1
	s_mov_b32 s6, 0
	s_mov_b32 s0, 0
                                        ; implicit-def: $sgpr3
	s_branch .LBB222_1306
.LBB222_1293:
	s_mov_b32 s17, -1
	s_mov_b32 s6, 0
	s_mov_b32 s0, 0
                                        ; implicit-def: $sgpr3
	s_branch .LBB222_1301
.LBB222_1294:
	s_mov_b32 s17, 0
	s_or_b32 s1, s1, exec_lo
	s_trap 2
	s_cbranch_execz .LBB222_1233
	s_branch .LBB222_1234
.LBB222_1295:
	s_mov_b32 s17, -1
	s_mov_b32 s6, 0
	s_mov_b32 s0, 0
	s_branch .LBB222_1297
.LBB222_1296:
	s_mov_b32 s0, -1
	s_mov_b32 s6, 0
.LBB222_1297:
                                        ; implicit-def: $sgpr3
.LBB222_1298:
	s_and_b32 vcc_lo, exec_lo, s17
	s_cbranch_vccz .LBB222_1300
; %bb.1299:
	s_cmp_lg_u32 s14, 44
	s_mov_b32 s6, -1
	s_cselect_b32 s0, -1, 0
	s_or_b32 s3, s3, exec_lo
.LBB222_1300:
	s_mov_b32 s17, 0
.LBB222_1301:
	s_delay_alu instid0(SALU_CYCLE_1)
	s_and_b32 vcc_lo, exec_lo, s17
	s_cbranch_vccz .LBB222_1305
; %bb.1302:
	s_cmp_eq_u32 s14, 29
	s_cbranch_scc0 .LBB222_1304
; %bb.1303:
	global_load_b64 v[2:3], v[0:1], off
	s_mov_b32 s0, 0
	s_mov_b32 s6, -1
	s_mov_b32 s17, 0
	s_wait_loadcnt 0x0
	v_cmp_ne_u64_e64 s3, 0, v[2:3]
	s_branch .LBB222_1306
.LBB222_1304:
	s_mov_b32 s0, -1
                                        ; implicit-def: $sgpr3
.LBB222_1305:
	s_mov_b32 s17, 0
.LBB222_1306:
	s_delay_alu instid0(SALU_CYCLE_1)
	s_and_b32 vcc_lo, exec_lo, s17
	s_cbranch_vccz .LBB222_1318
; %bb.1307:
	s_cmp_lt_i32 s14, 27
	s_cbranch_scc1 .LBB222_1310
; %bb.1308:
	s_cmp_gt_i32 s14, 27
	s_cbranch_scc0 .LBB222_1311
; %bb.1309:
	global_load_b32 v2, v[0:1], off
	s_mov_b32 s6, 0
	s_wait_loadcnt 0x0
	v_cmp_ne_u32_e64 s3, 0, v2
	s_branch .LBB222_1312
.LBB222_1310:
	s_mov_b32 s6, -1
                                        ; implicit-def: $sgpr3
	s_branch .LBB222_1315
.LBB222_1311:
	s_mov_b32 s6, -1
                                        ; implicit-def: $sgpr3
.LBB222_1312:
	s_delay_alu instid0(SALU_CYCLE_1)
	s_and_not1_b32 vcc_lo, exec_lo, s6
	s_cbranch_vccnz .LBB222_1314
; %bb.1313:
	global_load_u16 v2, v[0:1], off
	s_and_not1_b32 s3, s3, exec_lo
	s_wait_loadcnt 0x0
	v_cmp_ne_u16_e32 vcc_lo, 0, v2
	s_and_b32 s6, vcc_lo, exec_lo
	s_delay_alu instid0(SALU_CYCLE_1)
	s_or_b32 s3, s3, s6
.LBB222_1314:
	s_mov_b32 s6, 0
.LBB222_1315:
	s_delay_alu instid0(SALU_CYCLE_1)
	s_and_not1_b32 vcc_lo, exec_lo, s6
	s_cbranch_vccnz .LBB222_1317
; %bb.1316:
	global_load_u8 v2, v[0:1], off
	s_and_not1_b32 s3, s3, exec_lo
	s_wait_loadcnt 0x0
	v_cmp_ne_u16_e32 vcc_lo, 0, v2
	s_and_b32 s6, vcc_lo, exec_lo
	s_delay_alu instid0(SALU_CYCLE_1)
	s_or_b32 s3, s3, s6
.LBB222_1317:
	s_mov_b32 s6, -1
.LBB222_1318:
	s_mov_b32 s17, 0
.LBB222_1319:
	s_delay_alu instid0(SALU_CYCLE_1)
	s_and_b32 vcc_lo, exec_lo, s17
	s_cbranch_vccz .LBB222_1342
; %bb.1320:
	s_cmp_gt_i32 s14, 22
	s_cbranch_scc0 .LBB222_1324
; %bb.1321:
	s_cmp_lt_i32 s14, 24
	s_cbranch_scc1 .LBB222_1325
; %bb.1322:
	s_cmp_gt_i32 s14, 24
	s_cbranch_scc0 .LBB222_1326
; %bb.1323:
	global_load_u8 v2, v[0:1], off
	s_mov_b32 s6, 0
	s_wait_loadcnt 0x0
	v_cmp_ne_u16_e64 s3, 0, v2
	s_branch .LBB222_1327
.LBB222_1324:
	s_mov_b32 s7, -1
                                        ; implicit-def: $sgpr3
	s_branch .LBB222_1333
.LBB222_1325:
	s_mov_b32 s6, -1
                                        ; implicit-def: $sgpr3
	s_branch .LBB222_1330
.LBB222_1326:
	s_mov_b32 s6, -1
                                        ; implicit-def: $sgpr3
.LBB222_1327:
	s_delay_alu instid0(SALU_CYCLE_1)
	s_and_not1_b32 vcc_lo, exec_lo, s6
	s_cbranch_vccnz .LBB222_1329
; %bb.1328:
	global_load_u8 v2, v[0:1], off
	s_and_not1_b32 s3, s3, exec_lo
	s_wait_loadcnt 0x0
	v_and_b32_e32 v2, 0x7f, v2
	s_delay_alu instid0(VALU_DEP_1) | instskip(SKIP_1) | instid1(SALU_CYCLE_1)
	v_cmp_ne_u16_e32 vcc_lo, 0, v2
	s_and_b32 s6, vcc_lo, exec_lo
	s_or_b32 s3, s3, s6
.LBB222_1329:
	s_mov_b32 s6, 0
.LBB222_1330:
	s_delay_alu instid0(SALU_CYCLE_1)
	s_and_not1_b32 vcc_lo, exec_lo, s6
	s_cbranch_vccnz .LBB222_1332
; %bb.1331:
	global_load_u8 v2, v[0:1], off
	s_and_not1_b32 s3, s3, exec_lo
	s_wait_loadcnt 0x0
	v_dual_lshlrev_b32 v3, 25, v2 :: v_dual_lshlrev_b32 v2, 8, v2
	s_delay_alu instid0(VALU_DEP_1) | instskip(NEXT) | instid1(VALU_DEP_2)
	v_cmp_gt_u32_e32 vcc_lo, 0x8000000, v3
	v_and_or_b32 v2, 0x7f00, v2, 0.5
	s_delay_alu instid0(VALU_DEP_1) | instskip(NEXT) | instid1(VALU_DEP_1)
	v_dual_add_f32 v2, -0.5, v2 :: v_dual_lshrrev_b32 v5, 4, v3
	v_or_b32_e32 v5, 0x70000000, v5
	s_delay_alu instid0(VALU_DEP_1) | instskip(NEXT) | instid1(VALU_DEP_1)
	v_mul_f32_e32 v5, 0x7800000, v5
	v_cndmask_b32_e32 v2, v5, v2, vcc_lo
	s_delay_alu instid0(VALU_DEP_1) | instskip(SKIP_1) | instid1(SALU_CYCLE_1)
	v_cmp_neq_f32_e32 vcc_lo, 0, v2
	s_and_b32 s6, vcc_lo, exec_lo
	s_or_b32 s3, s3, s6
.LBB222_1332:
	s_mov_b32 s6, -1
.LBB222_1333:
	s_and_not1_b32 vcc_lo, exec_lo, s7
	s_mov_b32 s7, 0
	s_cbranch_vccnz .LBB222_1342
; %bb.1334:
	s_cmp_gt_i32 s14, 14
	s_cbranch_scc0 .LBB222_1337
; %bb.1335:
	s_cmp_eq_u32 s14, 15
	s_cbranch_scc0 .LBB222_1338
; %bb.1336:
	global_load_u16 v2, v[0:1], off
	s_mov_b32 s0, 0
	s_mov_b32 s6, -1
	s_wait_loadcnt 0x0
	v_and_b32_e32 v2, 0x7fff, v2
	s_delay_alu instid0(VALU_DEP_1)
	v_cmp_ne_u16_e64 s3, 0, v2
	s_branch .LBB222_1340
.LBB222_1337:
	s_mov_b32 s7, -1
	s_branch .LBB222_1339
.LBB222_1338:
	s_mov_b32 s0, -1
.LBB222_1339:
                                        ; implicit-def: $sgpr3
.LBB222_1340:
	s_and_b32 vcc_lo, exec_lo, s7
	s_mov_b32 s7, 0
	s_cbranch_vccz .LBB222_1342
; %bb.1341:
	s_cmp_lg_u32 s14, 11
	s_mov_b32 s7, -1
	s_cselect_b32 s0, -1, 0
.LBB222_1342:
	s_delay_alu instid0(SALU_CYCLE_1)
	s_and_b32 vcc_lo, exec_lo, s0
	s_cbranch_vccnz .LBB222_1874
; %bb.1343:
	s_and_not1_b32 vcc_lo, exec_lo, s7
	s_cbranch_vccnz .LBB222_1345
.LBB222_1344:
	global_load_u8 v2, v[0:1], off
	s_and_not1_b32 s0, s3, exec_lo
	s_mov_b32 s6, -1
	s_wait_loadcnt 0x0
	v_cmp_ne_u16_e32 vcc_lo, 0, v2
	s_and_b32 s3, vcc_lo, exec_lo
	s_delay_alu instid0(SALU_CYCLE_1)
	s_or_b32 s3, s0, s3
.LBB222_1345:
	s_mov_b32 s0, 0
.LBB222_1346:
	s_delay_alu instid0(SALU_CYCLE_1)
	s_and_b32 vcc_lo, exec_lo, s0
	s_cbranch_vccz .LBB222_1395
; %bb.1347:
	s_cmp_lt_i32 s14, 5
	s_cbranch_scc1 .LBB222_1352
; %bb.1348:
	s_cmp_lt_i32 s14, 8
	s_cbranch_scc1 .LBB222_1353
	;; [unrolled: 3-line block ×3, first 2 shown]
; %bb.1350:
	s_cmp_gt_i32 s14, 9
	s_cbranch_scc0 .LBB222_1355
; %bb.1351:
	global_load_b128 v[6:9], v[0:1], off
	s_wait_loadcnt 0x0
	v_cmp_neq_f64_e32 vcc_lo, 0, v[6:7]
	v_cmp_neq_f64_e64 s0, 0, v[8:9]
	s_or_b32 s3, vcc_lo, s0
	s_mov_b32 s0, 0
	s_branch .LBB222_1356
.LBB222_1352:
	s_mov_b32 s0, -1
                                        ; implicit-def: $sgpr3
	s_branch .LBB222_1374
.LBB222_1353:
	s_mov_b32 s0, -1
                                        ; implicit-def: $sgpr3
	s_branch .LBB222_1362
.LBB222_1354:
	s_mov_b32 s0, -1
                                        ; implicit-def: $sgpr3
	s_branch .LBB222_1359
.LBB222_1355:
	s_mov_b32 s0, -1
                                        ; implicit-def: $sgpr3
.LBB222_1356:
	s_delay_alu instid0(SALU_CYCLE_1)
	s_and_not1_b32 vcc_lo, exec_lo, s0
	s_cbranch_vccnz .LBB222_1358
; %bb.1357:
	global_load_b64 v[2:3], v[0:1], off
	s_and_not1_b32 s0, s3, exec_lo
	s_wait_loadcnt 0x0
	v_bitop3_b32 v2, v2, 0x7fffffff, v3 bitop3:0xc8
	s_delay_alu instid0(VALU_DEP_1) | instskip(SKIP_1) | instid1(SALU_CYCLE_1)
	v_cmp_ne_u32_e32 vcc_lo, 0, v2
	s_and_b32 s3, vcc_lo, exec_lo
	s_or_b32 s3, s0, s3
.LBB222_1358:
	s_mov_b32 s0, 0
.LBB222_1359:
	s_delay_alu instid0(SALU_CYCLE_1)
	s_and_not1_b32 vcc_lo, exec_lo, s0
	s_cbranch_vccnz .LBB222_1361
; %bb.1360:
	global_load_b32 v2, v[0:1], off
	s_and_not1_b32 s0, s3, exec_lo
	s_wait_loadcnt 0x0
	v_and_b32_e32 v2, 0x7fff7fff, v2
	s_delay_alu instid0(VALU_DEP_1) | instskip(SKIP_1) | instid1(SALU_CYCLE_1)
	v_cmp_ne_u32_e32 vcc_lo, 0, v2
	s_and_b32 s3, vcc_lo, exec_lo
	s_or_b32 s3, s0, s3
.LBB222_1361:
	s_mov_b32 s0, 0
.LBB222_1362:
	s_delay_alu instid0(SALU_CYCLE_1)
	s_and_not1_b32 vcc_lo, exec_lo, s0
	s_cbranch_vccnz .LBB222_1373
; %bb.1363:
	s_cmp_lt_i32 s14, 6
	s_cbranch_scc1 .LBB222_1366
; %bb.1364:
	s_cmp_gt_i32 s14, 6
	s_cbranch_scc0 .LBB222_1367
; %bb.1365:
	global_load_b64 v[2:3], v[0:1], off
	s_mov_b32 s0, 0
	s_wait_loadcnt 0x0
	v_cmp_neq_f64_e64 s3, 0, v[2:3]
	s_branch .LBB222_1368
.LBB222_1366:
	s_mov_b32 s0, -1
                                        ; implicit-def: $sgpr3
	s_branch .LBB222_1371
.LBB222_1367:
	s_mov_b32 s0, -1
                                        ; implicit-def: $sgpr3
.LBB222_1368:
	s_delay_alu instid0(SALU_CYCLE_1)
	s_and_not1_b32 vcc_lo, exec_lo, s0
	s_cbranch_vccnz .LBB222_1370
; %bb.1369:
	global_load_b32 v2, v[0:1], off
	s_and_not1_b32 s0, s3, exec_lo
	s_wait_loadcnt 0x0
	v_cmp_neq_f32_e32 vcc_lo, 0, v2
	s_and_b32 s3, vcc_lo, exec_lo
	s_delay_alu instid0(SALU_CYCLE_1)
	s_or_b32 s3, s0, s3
.LBB222_1370:
	s_mov_b32 s0, 0
.LBB222_1371:
	s_delay_alu instid0(SALU_CYCLE_1)
	s_and_not1_b32 vcc_lo, exec_lo, s0
	s_cbranch_vccnz .LBB222_1373
; %bb.1372:
	global_load_u16 v2, v[0:1], off
	s_and_not1_b32 s0, s3, exec_lo
	s_wait_loadcnt 0x0
	v_and_b32_e32 v2, 0x7fff, v2
	s_delay_alu instid0(VALU_DEP_1) | instskip(SKIP_1) | instid1(SALU_CYCLE_1)
	v_cmp_ne_u16_e32 vcc_lo, 0, v2
	s_and_b32 s3, vcc_lo, exec_lo
	s_or_b32 s3, s0, s3
.LBB222_1373:
	s_mov_b32 s0, 0
.LBB222_1374:
	s_delay_alu instid0(SALU_CYCLE_1)
	s_and_not1_b32 vcc_lo, exec_lo, s0
	s_cbranch_vccnz .LBB222_1394
; %bb.1375:
	s_cmp_lt_i32 s14, 2
	s_cbranch_scc1 .LBB222_1379
; %bb.1376:
	s_cmp_lt_i32 s14, 3
	s_cbranch_scc1 .LBB222_1380
; %bb.1377:
	s_cmp_gt_i32 s14, 3
	s_cbranch_scc0 .LBB222_1381
; %bb.1378:
	global_load_b64 v[2:3], v[0:1], off
	s_mov_b32 s0, 0
	s_wait_loadcnt 0x0
	v_cmp_ne_u64_e64 s3, 0, v[2:3]
	s_branch .LBB222_1382
.LBB222_1379:
	s_mov_b32 s0, -1
                                        ; implicit-def: $sgpr3
	s_branch .LBB222_1388
.LBB222_1380:
	s_mov_b32 s0, -1
                                        ; implicit-def: $sgpr3
	s_branch .LBB222_1385
.LBB222_1381:
	s_mov_b32 s0, -1
                                        ; implicit-def: $sgpr3
.LBB222_1382:
	s_delay_alu instid0(SALU_CYCLE_1)
	s_and_not1_b32 vcc_lo, exec_lo, s0
	s_cbranch_vccnz .LBB222_1384
; %bb.1383:
	global_load_b32 v2, v[0:1], off
	s_and_not1_b32 s0, s3, exec_lo
	s_wait_loadcnt 0x0
	v_cmp_ne_u32_e32 vcc_lo, 0, v2
	s_and_b32 s3, vcc_lo, exec_lo
	s_delay_alu instid0(SALU_CYCLE_1)
	s_or_b32 s3, s0, s3
.LBB222_1384:
	s_mov_b32 s0, 0
.LBB222_1385:
	s_delay_alu instid0(SALU_CYCLE_1)
	s_and_not1_b32 vcc_lo, exec_lo, s0
	s_cbranch_vccnz .LBB222_1387
; %bb.1386:
	global_load_u16 v2, v[0:1], off
	s_and_not1_b32 s0, s3, exec_lo
	s_wait_loadcnt 0x0
	v_cmp_ne_u16_e32 vcc_lo, 0, v2
	s_and_b32 s3, vcc_lo, exec_lo
	s_delay_alu instid0(SALU_CYCLE_1)
	s_or_b32 s3, s0, s3
.LBB222_1387:
	s_mov_b32 s0, 0
.LBB222_1388:
	s_delay_alu instid0(SALU_CYCLE_1)
	s_and_not1_b32 vcc_lo, exec_lo, s0
	s_cbranch_vccnz .LBB222_1394
; %bb.1389:
	s_cmp_gt_i32 s14, 0
	s_mov_b32 s0, 0
	s_cbranch_scc0 .LBB222_1391
; %bb.1390:
	global_load_u8 v2, v[0:1], off
	s_wait_loadcnt 0x0
	v_cmp_ne_u16_e64 s3, 0, v2
	s_branch .LBB222_1392
.LBB222_1391:
	s_mov_b32 s0, -1
                                        ; implicit-def: $sgpr3
.LBB222_1392:
	s_delay_alu instid0(SALU_CYCLE_1)
	s_and_not1_b32 vcc_lo, exec_lo, s0
	s_cbranch_vccnz .LBB222_1394
; %bb.1393:
	global_load_u8 v0, v[0:1], off
	s_and_not1_b32 s0, s3, exec_lo
	s_wait_loadcnt 0x0
	v_cmp_ne_u16_e32 vcc_lo, 0, v0
	s_and_b32 s3, vcc_lo, exec_lo
	s_delay_alu instid0(SALU_CYCLE_1)
	s_or_b32 s3, s0, s3
.LBB222_1394:
	s_mov_b32 s6, -1
.LBB222_1395:
	s_delay_alu instid0(SALU_CYCLE_1)
	s_and_not1_b32 vcc_lo, exec_lo, s6
	s_cbranch_vccnz .LBB222_1828
; %bb.1396:
	s_wait_xcnt 0x0
	v_mul_lo_u32 v0, s8, v4
	s_bitcmp1_b32 s11, 0
	s_mov_b32 s17, 0
	s_cselect_b32 s6, -1, 0
	s_cmp_eq_u32 s10, 0
	s_cselect_b32 s7, -1, 0
	s_xor_b32 s0, s16, s6
	s_and_b32 s14, s2, 0xff
	s_xor_b32 s2, s7, s0
	s_cmp_lt_i32 s14, 11
	s_delay_alu instid0(VALU_DEP_1) | instskip(SKIP_1) | instid1(VALU_DEP_1)
	v_ashrrev_i32_e32 v1, 31, v0
	s_mov_b32 s0, -1
	v_add_nc_u64_e32 v[2:3], s[4:5], v[0:1]
	s_cbranch_scc0 .LBB222_1399
; %bb.1397:
	s_and_b32 vcc_lo, exec_lo, s0
	s_cbranch_vccnz .LBB222_1476
.LBB222_1398:
	s_and_not1_b32 vcc_lo, exec_lo, s17
	s_cbranch_vccz .LBB222_1514
	s_branch .LBB222_1828
.LBB222_1399:
	s_and_b32 s10, 0xffff, s14
	s_mov_b32 s16, -1
	s_mov_b32 s11, 0
	s_cmp_gt_i32 s10, 25
	s_mov_b32 s0, 0
	s_cbranch_scc0 .LBB222_1432
; %bb.1400:
	s_cmp_gt_i32 s10, 28
	s_cbranch_scc0 .LBB222_1415
; %bb.1401:
	s_cmp_gt_i32 s10, 43
	;; [unrolled: 3-line block ×3, first 2 shown]
	s_cbranch_scc0 .LBB222_1405
; %bb.1403:
	s_mov_b32 s0, -1
	s_mov_b32 s16, 0
	s_cmp_eq_u32 s10, 46
	s_cbranch_scc0 .LBB222_1405
; %bb.1404:
	v_cndmask_b32_e64 v1, 0, 1.0, s2
	s_mov_b32 s0, 0
	s_mov_b32 s17, -1
	s_delay_alu instid0(VALU_DEP_1) | instskip(NEXT) | instid1(VALU_DEP_1)
	v_bfe_u32 v4, v1, 16, 1
	v_add3_u32 v1, v1, v4, 0x7fff
	s_delay_alu instid0(VALU_DEP_1)
	v_lshrrev_b32_e32 v1, 16, v1
	global_store_b32 v[2:3], v1, off
.LBB222_1405:
	s_and_b32 vcc_lo, exec_lo, s16
	s_cbranch_vccz .LBB222_1410
; %bb.1406:
	s_cmp_eq_u32 s10, 44
	s_mov_b32 s0, -1
	s_cbranch_scc0 .LBB222_1410
; %bb.1407:
	v_cndmask_b32_e64 v5, 0, 1.0, s2
	s_mov_b32 s16, exec_lo
	s_wait_xcnt 0x0
	s_delay_alu instid0(VALU_DEP_1) | instskip(NEXT) | instid1(VALU_DEP_1)
	v_dual_mov_b32 v4, 0xff :: v_dual_lshrrev_b32 v1, 23, v5
	v_cmpx_ne_u32_e32 0xff, v1
; %bb.1408:
	v_and_b32_e32 v4, 0x400000, v5
	v_and_or_b32 v5, 0x3fffff, v5, v1
	s_delay_alu instid0(VALU_DEP_2) | instskip(NEXT) | instid1(VALU_DEP_2)
	v_cmp_ne_u32_e32 vcc_lo, 0, v4
	v_cmp_ne_u32_e64 s0, 0, v5
	s_and_b32 s0, vcc_lo, s0
	s_delay_alu instid0(SALU_CYCLE_1) | instskip(NEXT) | instid1(VALU_DEP_1)
	v_cndmask_b32_e64 v4, 0, 1, s0
	v_add_nc_u32_e32 v4, v1, v4
; %bb.1409:
	s_or_b32 exec_lo, exec_lo, s16
	s_mov_b32 s0, 0
	s_mov_b32 s17, -1
	global_store_b8 v[2:3], v4, off
.LBB222_1410:
	s_mov_b32 s16, 0
.LBB222_1411:
	s_delay_alu instid0(SALU_CYCLE_1)
	s_and_b32 vcc_lo, exec_lo, s16
	s_cbranch_vccz .LBB222_1414
; %bb.1412:
	s_cmp_eq_u32 s10, 29
	s_mov_b32 s0, -1
	s_cbranch_scc0 .LBB222_1414
; %bb.1413:
	s_mov_b32 s0, 0
	s_wait_xcnt 0x0
	v_cndmask_b32_e64 v4, 0, 1, s2
	v_mov_b32_e32 v5, s0
	s_mov_b32 s17, -1
	global_store_b64 v[2:3], v[4:5], off
.LBB222_1414:
	s_mov_b32 s16, 0
.LBB222_1415:
	s_delay_alu instid0(SALU_CYCLE_1)
	s_and_b32 vcc_lo, exec_lo, s16
	s_cbranch_vccz .LBB222_1431
; %bb.1416:
	s_cmp_lt_i32 s10, 27
	s_mov_b32 s16, -1
	s_cbranch_scc1 .LBB222_1422
; %bb.1417:
	s_cmp_gt_i32 s10, 27
	s_cbranch_scc0 .LBB222_1419
; %bb.1418:
	s_wait_xcnt 0x0
	v_cndmask_b32_e64 v1, 0, 1, s2
	s_mov_b32 s16, 0
	global_store_b32 v[2:3], v1, off
.LBB222_1419:
	s_and_not1_b32 vcc_lo, exec_lo, s16
	s_cbranch_vccnz .LBB222_1421
; %bb.1420:
	s_wait_xcnt 0x0
	v_cndmask_b32_e64 v1, 0, 1, s2
	global_store_b16 v[2:3], v1, off
.LBB222_1421:
	s_mov_b32 s16, 0
.LBB222_1422:
	s_delay_alu instid0(SALU_CYCLE_1)
	s_and_not1_b32 vcc_lo, exec_lo, s16
	s_cbranch_vccnz .LBB222_1430
; %bb.1423:
	s_wait_xcnt 0x0
	v_cndmask_b32_e64 v4, 0, 1.0, s2
	v_mov_b32_e32 v5, 0x80
	s_mov_b32 s16, exec_lo
	s_delay_alu instid0(VALU_DEP_2)
	v_cmpx_gt_u32_e32 0x43800000, v4
	s_cbranch_execz .LBB222_1429
; %bb.1424:
	s_mov_b32 s17, 0
	s_mov_b32 s18, exec_lo
                                        ; implicit-def: $vgpr1
	v_cmpx_lt_u32_e32 0x3bffffff, v4
	s_xor_b32 s18, exec_lo, s18
	s_cbranch_execnz .LBB222_1876
; %bb.1425:
	s_and_not1_saveexec_b32 s18, s18
	s_cbranch_execnz .LBB222_1877
.LBB222_1426:
	s_or_b32 exec_lo, exec_lo, s18
	v_mov_b32_e32 v5, 0
	s_and_saveexec_b32 s18, s17
.LBB222_1427:
	v_mov_b32_e32 v5, v1
.LBB222_1428:
	s_or_b32 exec_lo, exec_lo, s18
.LBB222_1429:
	s_delay_alu instid0(SALU_CYCLE_1)
	s_or_b32 exec_lo, exec_lo, s16
	global_store_b8 v[2:3], v5, off
.LBB222_1430:
	s_mov_b32 s17, -1
.LBB222_1431:
	s_mov_b32 s16, 0
.LBB222_1432:
	s_delay_alu instid0(SALU_CYCLE_1)
	s_and_b32 vcc_lo, exec_lo, s16
	s_cbranch_vccz .LBB222_1472
; %bb.1433:
	s_cmp_gt_i32 s10, 22
	s_mov_b32 s11, -1
	s_cbranch_scc0 .LBB222_1465
; %bb.1434:
	s_cmp_lt_i32 s10, 24
	s_cbranch_scc1 .LBB222_1454
; %bb.1435:
	s_cmp_gt_i32 s10, 24
	s_cbranch_scc0 .LBB222_1443
; %bb.1436:
	s_wait_xcnt 0x0
	v_cndmask_b32_e64 v4, 0, 1.0, s2
	v_mov_b32_e32 v5, 0x80
	s_mov_b32 s11, exec_lo
	s_delay_alu instid0(VALU_DEP_2)
	v_cmpx_gt_u32_e32 0x47800000, v4
	s_cbranch_execz .LBB222_1442
; %bb.1437:
	s_mov_b32 s16, 0
	s_mov_b32 s17, exec_lo
                                        ; implicit-def: $vgpr1
	v_cmpx_lt_u32_e32 0x37ffffff, v4
	s_xor_b32 s17, exec_lo, s17
	s_cbranch_execnz .LBB222_1881
; %bb.1438:
	s_and_not1_saveexec_b32 s17, s17
	s_cbranch_execnz .LBB222_1882
.LBB222_1439:
	s_or_b32 exec_lo, exec_lo, s17
	v_mov_b32_e32 v5, 0
	s_and_saveexec_b32 s17, s16
.LBB222_1440:
	v_mov_b32_e32 v5, v1
.LBB222_1441:
	s_or_b32 exec_lo, exec_lo, s17
.LBB222_1442:
	s_delay_alu instid0(SALU_CYCLE_1)
	s_or_b32 exec_lo, exec_lo, s11
	s_mov_b32 s11, 0
	global_store_b8 v[2:3], v5, off
.LBB222_1443:
	s_and_b32 vcc_lo, exec_lo, s11
	s_cbranch_vccz .LBB222_1453
; %bb.1444:
	s_wait_xcnt 0x0
	v_cndmask_b32_e64 v4, 0, 1.0, s2
	s_mov_b32 s11, exec_lo
                                        ; implicit-def: $vgpr1
	s_delay_alu instid0(VALU_DEP_1)
	v_cmpx_gt_u32_e32 0x43f00000, v4
	s_xor_b32 s11, exec_lo, s11
	s_cbranch_execz .LBB222_1450
; %bb.1445:
	s_mov_b32 s16, exec_lo
                                        ; implicit-def: $vgpr1
	v_cmpx_lt_u32_e32 0x3c7fffff, v4
	s_xor_b32 s16, exec_lo, s16
; %bb.1446:
	v_bfe_u32 v1, v4, 20, 1
	s_delay_alu instid0(VALU_DEP_1) | instskip(NEXT) | instid1(VALU_DEP_1)
	v_add3_u32 v1, v4, v1, 0x407ffff
	v_and_b32_e32 v4, 0xff00000, v1
	v_lshrrev_b32_e32 v1, 20, v1
	s_delay_alu instid0(VALU_DEP_2) | instskip(NEXT) | instid1(VALU_DEP_2)
	v_cmp_ne_u32_e32 vcc_lo, 0x7f00000, v4
                                        ; implicit-def: $vgpr4
	v_cndmask_b32_e32 v1, 0x7e, v1, vcc_lo
; %bb.1447:
	s_and_not1_saveexec_b32 s16, s16
; %bb.1448:
	v_add_f32_e32 v1, 0x46800000, v4
; %bb.1449:
	s_or_b32 exec_lo, exec_lo, s16
                                        ; implicit-def: $vgpr4
.LBB222_1450:
	s_and_not1_saveexec_b32 s11, s11
; %bb.1451:
	v_mov_b32_e32 v1, 0x7f
	v_cmp_lt_u32_e32 vcc_lo, 0x7f800000, v4
	s_delay_alu instid0(VALU_DEP_2)
	v_cndmask_b32_e32 v1, 0x7e, v1, vcc_lo
; %bb.1452:
	s_or_b32 exec_lo, exec_lo, s11
	global_store_b8 v[2:3], v1, off
.LBB222_1453:
	s_mov_b32 s11, 0
.LBB222_1454:
	s_delay_alu instid0(SALU_CYCLE_1)
	s_and_not1_b32 vcc_lo, exec_lo, s11
	s_cbranch_vccnz .LBB222_1464
; %bb.1455:
	s_wait_xcnt 0x0
	v_cndmask_b32_e64 v4, 0, 1.0, s2
	s_mov_b32 s11, exec_lo
                                        ; implicit-def: $vgpr1
	s_delay_alu instid0(VALU_DEP_1)
	v_cmpx_gt_u32_e32 0x47800000, v4
	s_xor_b32 s11, exec_lo, s11
	s_cbranch_execz .LBB222_1461
; %bb.1456:
	s_mov_b32 s16, exec_lo
                                        ; implicit-def: $vgpr1
	v_cmpx_lt_u32_e32 0x387fffff, v4
	s_xor_b32 s16, exec_lo, s16
; %bb.1457:
	v_bfe_u32 v1, v4, 21, 1
	s_delay_alu instid0(VALU_DEP_1) | instskip(NEXT) | instid1(VALU_DEP_1)
	v_add3_u32 v1, v4, v1, 0x80fffff
                                        ; implicit-def: $vgpr4
	v_lshrrev_b32_e32 v1, 21, v1
; %bb.1458:
	s_and_not1_saveexec_b32 s16, s16
; %bb.1459:
	v_add_f32_e32 v1, 0x43000000, v4
; %bb.1460:
	s_or_b32 exec_lo, exec_lo, s16
                                        ; implicit-def: $vgpr4
.LBB222_1461:
	s_and_not1_saveexec_b32 s11, s11
; %bb.1462:
	v_mov_b32_e32 v1, 0x7f
	v_cmp_lt_u32_e32 vcc_lo, 0x7f800000, v4
	s_delay_alu instid0(VALU_DEP_2)
	v_cndmask_b32_e32 v1, 0x7c, v1, vcc_lo
; %bb.1463:
	s_or_b32 exec_lo, exec_lo, s11
	global_store_b8 v[2:3], v1, off
.LBB222_1464:
	s_mov_b32 s11, 0
	s_mov_b32 s17, -1
.LBB222_1465:
	s_and_not1_b32 vcc_lo, exec_lo, s11
	s_mov_b32 s11, 0
	s_cbranch_vccnz .LBB222_1472
; %bb.1466:
	s_cmp_gt_i32 s10, 14
	s_mov_b32 s11, -1
	s_cbranch_scc0 .LBB222_1470
; %bb.1467:
	s_cmp_eq_u32 s10, 15
	s_mov_b32 s0, -1
	s_cbranch_scc0 .LBB222_1469
; %bb.1468:
	s_wait_xcnt 0x0
	v_cndmask_b32_e64 v1, 0, 1.0, s2
	s_mov_b32 s0, 0
	s_mov_b32 s17, -1
	s_delay_alu instid0(VALU_DEP_1) | instskip(NEXT) | instid1(VALU_DEP_1)
	v_bfe_u32 v4, v1, 16, 1
	v_add3_u32 v1, v1, v4, 0x7fff
	global_store_d16_hi_b16 v[2:3], v1, off
.LBB222_1469:
	s_mov_b32 s11, 0
.LBB222_1470:
	s_delay_alu instid0(SALU_CYCLE_1)
	s_and_b32 vcc_lo, exec_lo, s11
	s_mov_b32 s11, 0
	s_cbranch_vccz .LBB222_1472
; %bb.1471:
	s_cmp_lg_u32 s10, 11
	s_mov_b32 s11, -1
	s_cselect_b32 s0, -1, 0
.LBB222_1472:
	s_delay_alu instid0(SALU_CYCLE_1)
	s_and_b32 vcc_lo, exec_lo, s0
	s_cbranch_vccnz .LBB222_1875
; %bb.1473:
	s_and_not1_b32 vcc_lo, exec_lo, s11
	s_cbranch_vccnz .LBB222_1475
.LBB222_1474:
	s_wait_xcnt 0x0
	v_cndmask_b32_e64 v1, 0, 1, s2
	s_mov_b32 s17, -1
	global_store_b8 v[2:3], v1, off
.LBB222_1475:
	s_branch .LBB222_1398
.LBB222_1476:
	s_and_b32 s0, 0xffff, s14
	s_mov_b32 s10, -1
	s_cmp_lt_i32 s0, 5
	s_cbranch_scc1 .LBB222_1497
; %bb.1477:
	s_cmp_lt_i32 s0, 8
	s_cbranch_scc1 .LBB222_1487
; %bb.1478:
	;; [unrolled: 3-line block ×3, first 2 shown]
	s_cmp_gt_i32 s0, 9
	s_cbranch_scc0 .LBB222_1481
; %bb.1480:
	s_wait_xcnt 0x0
	v_cndmask_b32_e64 v1, 0, 1, s2
	v_mov_b32_e32 v6, 0
	s_mov_b32 s10, 0
	s_delay_alu instid0(VALU_DEP_2) | instskip(NEXT) | instid1(VALU_DEP_2)
	v_cvt_f64_u32_e32 v[4:5], v1
	v_mov_b32_e32 v7, v6
	global_store_b128 v[2:3], v[4:7], off
.LBB222_1481:
	s_and_not1_b32 vcc_lo, exec_lo, s10
	s_cbranch_vccnz .LBB222_1483
; %bb.1482:
	s_wait_xcnt 0x0
	v_cndmask_b32_e64 v4, 0, 1.0, s2
	v_mov_b32_e32 v5, 0
	global_store_b64 v[2:3], v[4:5], off
.LBB222_1483:
	s_mov_b32 s10, 0
.LBB222_1484:
	s_delay_alu instid0(SALU_CYCLE_1)
	s_and_not1_b32 vcc_lo, exec_lo, s10
	s_cbranch_vccnz .LBB222_1486
; %bb.1485:
	s_wait_xcnt 0x0
	v_cndmask_b32_e64 v1, 0, 1.0, s2
	s_delay_alu instid0(VALU_DEP_1) | instskip(NEXT) | instid1(VALU_DEP_1)
	v_cvt_f16_f32_e32 v1, v1
	v_and_b32_e32 v1, 0xffff, v1
	global_store_b32 v[2:3], v1, off
.LBB222_1486:
	s_mov_b32 s10, 0
.LBB222_1487:
	s_delay_alu instid0(SALU_CYCLE_1)
	s_and_not1_b32 vcc_lo, exec_lo, s10
	s_cbranch_vccnz .LBB222_1496
; %bb.1488:
	s_cmp_lt_i32 s0, 6
	s_mov_b32 s10, -1
	s_cbranch_scc1 .LBB222_1494
; %bb.1489:
	s_cmp_gt_i32 s0, 6
	s_cbranch_scc0 .LBB222_1491
; %bb.1490:
	s_wait_xcnt 0x0
	v_cndmask_b32_e64 v1, 0, 1, s2
	s_mov_b32 s10, 0
	s_delay_alu instid0(VALU_DEP_1)
	v_cvt_f64_u32_e32 v[4:5], v1
	global_store_b64 v[2:3], v[4:5], off
.LBB222_1491:
	s_and_not1_b32 vcc_lo, exec_lo, s10
	s_cbranch_vccnz .LBB222_1493
; %bb.1492:
	s_wait_xcnt 0x0
	v_cndmask_b32_e64 v1, 0, 1.0, s2
	global_store_b32 v[2:3], v1, off
.LBB222_1493:
	s_mov_b32 s10, 0
.LBB222_1494:
	s_delay_alu instid0(SALU_CYCLE_1)
	s_and_not1_b32 vcc_lo, exec_lo, s10
	s_cbranch_vccnz .LBB222_1496
; %bb.1495:
	s_wait_xcnt 0x0
	v_cndmask_b32_e64 v1, 0, 1.0, s2
	s_delay_alu instid0(VALU_DEP_1)
	v_cvt_f16_f32_e32 v1, v1
	global_store_b16 v[2:3], v1, off
.LBB222_1496:
	s_mov_b32 s10, 0
.LBB222_1497:
	s_delay_alu instid0(SALU_CYCLE_1)
	s_and_not1_b32 vcc_lo, exec_lo, s10
	s_cbranch_vccnz .LBB222_1513
; %bb.1498:
	s_cmp_lt_i32 s0, 2
	s_mov_b32 s10, -1
	s_cbranch_scc1 .LBB222_1508
; %bb.1499:
	s_cmp_lt_i32 s0, 3
	s_cbranch_scc1 .LBB222_1505
; %bb.1500:
	s_cmp_gt_i32 s0, 3
	s_cbranch_scc0 .LBB222_1502
; %bb.1501:
	s_mov_b32 s10, 0
	s_wait_xcnt 0x0
	v_cndmask_b32_e64 v4, 0, 1, s2
	v_mov_b32_e32 v5, s10
	global_store_b64 v[2:3], v[4:5], off
.LBB222_1502:
	s_and_not1_b32 vcc_lo, exec_lo, s10
	s_cbranch_vccnz .LBB222_1504
; %bb.1503:
	s_wait_xcnt 0x0
	v_cndmask_b32_e64 v1, 0, 1, s2
	global_store_b32 v[2:3], v1, off
.LBB222_1504:
	s_mov_b32 s10, 0
.LBB222_1505:
	s_delay_alu instid0(SALU_CYCLE_1)
	s_and_not1_b32 vcc_lo, exec_lo, s10
	s_cbranch_vccnz .LBB222_1507
; %bb.1506:
	s_wait_xcnt 0x0
	v_cndmask_b32_e64 v1, 0, 1, s2
	global_store_b16 v[2:3], v1, off
.LBB222_1507:
	s_mov_b32 s10, 0
.LBB222_1508:
	s_delay_alu instid0(SALU_CYCLE_1)
	s_and_not1_b32 vcc_lo, exec_lo, s10
	s_cbranch_vccnz .LBB222_1513
; %bb.1509:
	s_wait_xcnt 0x0
	v_cndmask_b32_e64 v1, 0, 1, s2
	s_cmp_gt_i32 s0, 0
	s_mov_b32 s0, -1
	s_cbranch_scc0 .LBB222_1511
; %bb.1510:
	s_mov_b32 s0, 0
	global_store_b8 v[2:3], v1, off
.LBB222_1511:
	s_and_not1_b32 vcc_lo, exec_lo, s0
	s_cbranch_vccnz .LBB222_1513
; %bb.1512:
	global_store_b8 v[2:3], v1, off
.LBB222_1513:
.LBB222_1514:
	s_lshl_b32 s2, s8, 7
	s_xor_b32 s0, s15, s6
	v_add_nc_u32_e32 v0, s2, v0
	s_xor_b32 s8, s7, s0
	s_cmp_lt_i32 s14, 11
	s_wait_xcnt 0x0
	s_delay_alu instid0(VALU_DEP_1) | instskip(NEXT) | instid1(VALU_DEP_1)
	v_ashrrev_i32_e32 v1, 31, v0
	v_add_nc_u64_e32 v[2:3], s[4:5], v[0:1]
	s_cbranch_scc1 .LBB222_1592
; %bb.1515:
	s_and_b32 s10, 0xffff, s14
	s_mov_b32 s16, -1
	s_mov_b32 s11, 0
	s_cmp_gt_i32 s10, 25
	s_mov_b32 s15, 0
	s_mov_b32 s0, 0
	s_cbranch_scc0 .LBB222_1548
; %bb.1516:
	s_cmp_gt_i32 s10, 28
	s_cbranch_scc0 .LBB222_1531
; %bb.1517:
	s_cmp_gt_i32 s10, 43
	;; [unrolled: 3-line block ×3, first 2 shown]
	s_cbranch_scc0 .LBB222_1521
; %bb.1519:
	s_mov_b32 s0, -1
	s_mov_b32 s16, 0
	s_cmp_eq_u32 s10, 46
	s_cbranch_scc0 .LBB222_1521
; %bb.1520:
	v_cndmask_b32_e64 v1, 0, 1.0, s8
	s_mov_b32 s0, 0
	s_mov_b32 s15, -1
	s_delay_alu instid0(VALU_DEP_1) | instskip(NEXT) | instid1(VALU_DEP_1)
	v_bfe_u32 v4, v1, 16, 1
	v_add3_u32 v1, v1, v4, 0x7fff
	s_delay_alu instid0(VALU_DEP_1)
	v_lshrrev_b32_e32 v1, 16, v1
	global_store_b32 v[2:3], v1, off
.LBB222_1521:
	s_and_b32 vcc_lo, exec_lo, s16
	s_cbranch_vccz .LBB222_1526
; %bb.1522:
	s_cmp_eq_u32 s10, 44
	s_mov_b32 s0, -1
	s_cbranch_scc0 .LBB222_1526
; %bb.1523:
	v_cndmask_b32_e64 v5, 0, 1.0, s8
	s_mov_b32 s15, exec_lo
	s_wait_xcnt 0x0
	s_delay_alu instid0(VALU_DEP_1) | instskip(NEXT) | instid1(VALU_DEP_1)
	v_dual_mov_b32 v4, 0xff :: v_dual_lshrrev_b32 v1, 23, v5
	v_cmpx_ne_u32_e32 0xff, v1
; %bb.1524:
	v_and_b32_e32 v4, 0x400000, v5
	v_and_or_b32 v5, 0x3fffff, v5, v1
	s_delay_alu instid0(VALU_DEP_2) | instskip(NEXT) | instid1(VALU_DEP_2)
	v_cmp_ne_u32_e32 vcc_lo, 0, v4
	v_cmp_ne_u32_e64 s0, 0, v5
	s_and_b32 s0, vcc_lo, s0
	s_delay_alu instid0(SALU_CYCLE_1) | instskip(NEXT) | instid1(VALU_DEP_1)
	v_cndmask_b32_e64 v4, 0, 1, s0
	v_add_nc_u32_e32 v4, v1, v4
; %bb.1525:
	s_or_b32 exec_lo, exec_lo, s15
	s_mov_b32 s0, 0
	s_mov_b32 s15, -1
	global_store_b8 v[2:3], v4, off
.LBB222_1526:
	s_mov_b32 s16, 0
.LBB222_1527:
	s_delay_alu instid0(SALU_CYCLE_1)
	s_and_b32 vcc_lo, exec_lo, s16
	s_cbranch_vccz .LBB222_1530
; %bb.1528:
	s_cmp_eq_u32 s10, 29
	s_mov_b32 s0, -1
	s_cbranch_scc0 .LBB222_1530
; %bb.1529:
	s_mov_b32 s0, 0
	s_wait_xcnt 0x0
	v_cndmask_b32_e64 v4, 0, 1, s8
	v_mov_b32_e32 v5, s0
	s_mov_b32 s15, -1
	global_store_b64 v[2:3], v[4:5], off
.LBB222_1530:
	s_mov_b32 s16, 0
.LBB222_1531:
	s_delay_alu instid0(SALU_CYCLE_1)
	s_and_b32 vcc_lo, exec_lo, s16
	s_cbranch_vccz .LBB222_1547
; %bb.1532:
	s_cmp_lt_i32 s10, 27
	s_mov_b32 s15, -1
	s_cbranch_scc1 .LBB222_1538
; %bb.1533:
	s_cmp_gt_i32 s10, 27
	s_cbranch_scc0 .LBB222_1535
; %bb.1534:
	s_wait_xcnt 0x0
	v_cndmask_b32_e64 v1, 0, 1, s8
	s_mov_b32 s15, 0
	global_store_b32 v[2:3], v1, off
.LBB222_1535:
	s_and_not1_b32 vcc_lo, exec_lo, s15
	s_cbranch_vccnz .LBB222_1537
; %bb.1536:
	s_wait_xcnt 0x0
	v_cndmask_b32_e64 v1, 0, 1, s8
	global_store_b16 v[2:3], v1, off
.LBB222_1537:
	s_mov_b32 s15, 0
.LBB222_1538:
	s_delay_alu instid0(SALU_CYCLE_1)
	s_and_not1_b32 vcc_lo, exec_lo, s15
	s_cbranch_vccnz .LBB222_1546
; %bb.1539:
	s_wait_xcnt 0x0
	v_cndmask_b32_e64 v4, 0, 1.0, s8
	v_mov_b32_e32 v5, 0x80
	s_mov_b32 s15, exec_lo
	s_delay_alu instid0(VALU_DEP_2)
	v_cmpx_gt_u32_e32 0x43800000, v4
	s_cbranch_execz .LBB222_1545
; %bb.1540:
	s_mov_b32 s16, 0
	s_mov_b32 s17, exec_lo
                                        ; implicit-def: $vgpr1
	v_cmpx_lt_u32_e32 0x3bffffff, v4
	s_xor_b32 s17, exec_lo, s17
	s_cbranch_execnz .LBB222_1883
; %bb.1541:
	s_and_not1_saveexec_b32 s17, s17
	s_cbranch_execnz .LBB222_1884
.LBB222_1542:
	s_or_b32 exec_lo, exec_lo, s17
	v_mov_b32_e32 v5, 0
	s_and_saveexec_b32 s17, s16
.LBB222_1543:
	v_mov_b32_e32 v5, v1
.LBB222_1544:
	s_or_b32 exec_lo, exec_lo, s17
.LBB222_1545:
	s_delay_alu instid0(SALU_CYCLE_1)
	s_or_b32 exec_lo, exec_lo, s15
	global_store_b8 v[2:3], v5, off
.LBB222_1546:
	s_mov_b32 s15, -1
.LBB222_1547:
	s_mov_b32 s16, 0
.LBB222_1548:
	s_delay_alu instid0(SALU_CYCLE_1)
	s_and_b32 vcc_lo, exec_lo, s16
	s_cbranch_vccz .LBB222_1588
; %bb.1549:
	s_cmp_gt_i32 s10, 22
	s_mov_b32 s11, -1
	s_cbranch_scc0 .LBB222_1581
; %bb.1550:
	s_cmp_lt_i32 s10, 24
	s_cbranch_scc1 .LBB222_1570
; %bb.1551:
	s_cmp_gt_i32 s10, 24
	s_cbranch_scc0 .LBB222_1559
; %bb.1552:
	s_wait_xcnt 0x0
	v_cndmask_b32_e64 v4, 0, 1.0, s8
	v_mov_b32_e32 v5, 0x80
	s_mov_b32 s11, exec_lo
	s_delay_alu instid0(VALU_DEP_2)
	v_cmpx_gt_u32_e32 0x47800000, v4
	s_cbranch_execz .LBB222_1558
; %bb.1553:
	s_mov_b32 s15, 0
	s_mov_b32 s16, exec_lo
                                        ; implicit-def: $vgpr1
	v_cmpx_lt_u32_e32 0x37ffffff, v4
	s_xor_b32 s16, exec_lo, s16
	s_cbranch_execnz .LBB222_1886
; %bb.1554:
	s_and_not1_saveexec_b32 s16, s16
	s_cbranch_execnz .LBB222_1887
.LBB222_1555:
	s_or_b32 exec_lo, exec_lo, s16
	v_mov_b32_e32 v5, 0
	s_and_saveexec_b32 s16, s15
.LBB222_1556:
	v_mov_b32_e32 v5, v1
.LBB222_1557:
	s_or_b32 exec_lo, exec_lo, s16
.LBB222_1558:
	s_delay_alu instid0(SALU_CYCLE_1)
	s_or_b32 exec_lo, exec_lo, s11
	s_mov_b32 s11, 0
	global_store_b8 v[2:3], v5, off
.LBB222_1559:
	s_and_b32 vcc_lo, exec_lo, s11
	s_cbranch_vccz .LBB222_1569
; %bb.1560:
	s_wait_xcnt 0x0
	v_cndmask_b32_e64 v4, 0, 1.0, s8
	s_mov_b32 s11, exec_lo
                                        ; implicit-def: $vgpr1
	s_delay_alu instid0(VALU_DEP_1)
	v_cmpx_gt_u32_e32 0x43f00000, v4
	s_xor_b32 s11, exec_lo, s11
	s_cbranch_execz .LBB222_1566
; %bb.1561:
	s_mov_b32 s15, exec_lo
                                        ; implicit-def: $vgpr1
	v_cmpx_lt_u32_e32 0x3c7fffff, v4
	s_xor_b32 s15, exec_lo, s15
; %bb.1562:
	v_bfe_u32 v1, v4, 20, 1
	s_delay_alu instid0(VALU_DEP_1) | instskip(NEXT) | instid1(VALU_DEP_1)
	v_add3_u32 v1, v4, v1, 0x407ffff
	v_and_b32_e32 v4, 0xff00000, v1
	v_lshrrev_b32_e32 v1, 20, v1
	s_delay_alu instid0(VALU_DEP_2) | instskip(NEXT) | instid1(VALU_DEP_2)
	v_cmp_ne_u32_e32 vcc_lo, 0x7f00000, v4
                                        ; implicit-def: $vgpr4
	v_cndmask_b32_e32 v1, 0x7e, v1, vcc_lo
; %bb.1563:
	s_and_not1_saveexec_b32 s15, s15
; %bb.1564:
	v_add_f32_e32 v1, 0x46800000, v4
; %bb.1565:
	s_or_b32 exec_lo, exec_lo, s15
                                        ; implicit-def: $vgpr4
.LBB222_1566:
	s_and_not1_saveexec_b32 s11, s11
; %bb.1567:
	v_mov_b32_e32 v1, 0x7f
	v_cmp_lt_u32_e32 vcc_lo, 0x7f800000, v4
	s_delay_alu instid0(VALU_DEP_2)
	v_cndmask_b32_e32 v1, 0x7e, v1, vcc_lo
; %bb.1568:
	s_or_b32 exec_lo, exec_lo, s11
	global_store_b8 v[2:3], v1, off
.LBB222_1569:
	s_mov_b32 s11, 0
.LBB222_1570:
	s_delay_alu instid0(SALU_CYCLE_1)
	s_and_not1_b32 vcc_lo, exec_lo, s11
	s_cbranch_vccnz .LBB222_1580
; %bb.1571:
	s_wait_xcnt 0x0
	v_cndmask_b32_e64 v4, 0, 1.0, s8
	s_mov_b32 s11, exec_lo
                                        ; implicit-def: $vgpr1
	s_delay_alu instid0(VALU_DEP_1)
	v_cmpx_gt_u32_e32 0x47800000, v4
	s_xor_b32 s11, exec_lo, s11
	s_cbranch_execz .LBB222_1577
; %bb.1572:
	s_mov_b32 s15, exec_lo
                                        ; implicit-def: $vgpr1
	v_cmpx_lt_u32_e32 0x387fffff, v4
	s_xor_b32 s15, exec_lo, s15
; %bb.1573:
	v_bfe_u32 v1, v4, 21, 1
	s_delay_alu instid0(VALU_DEP_1) | instskip(NEXT) | instid1(VALU_DEP_1)
	v_add3_u32 v1, v4, v1, 0x80fffff
                                        ; implicit-def: $vgpr4
	v_lshrrev_b32_e32 v1, 21, v1
; %bb.1574:
	s_and_not1_saveexec_b32 s15, s15
; %bb.1575:
	v_add_f32_e32 v1, 0x43000000, v4
; %bb.1576:
	s_or_b32 exec_lo, exec_lo, s15
                                        ; implicit-def: $vgpr4
.LBB222_1577:
	s_and_not1_saveexec_b32 s11, s11
; %bb.1578:
	v_mov_b32_e32 v1, 0x7f
	v_cmp_lt_u32_e32 vcc_lo, 0x7f800000, v4
	s_delay_alu instid0(VALU_DEP_2)
	v_cndmask_b32_e32 v1, 0x7c, v1, vcc_lo
; %bb.1579:
	s_or_b32 exec_lo, exec_lo, s11
	global_store_b8 v[2:3], v1, off
.LBB222_1580:
	s_mov_b32 s11, 0
	s_mov_b32 s15, -1
.LBB222_1581:
	s_and_not1_b32 vcc_lo, exec_lo, s11
	s_mov_b32 s11, 0
	s_cbranch_vccnz .LBB222_1588
; %bb.1582:
	s_cmp_gt_i32 s10, 14
	s_mov_b32 s11, -1
	s_cbranch_scc0 .LBB222_1586
; %bb.1583:
	s_cmp_eq_u32 s10, 15
	s_mov_b32 s0, -1
	s_cbranch_scc0 .LBB222_1585
; %bb.1584:
	s_wait_xcnt 0x0
	v_cndmask_b32_e64 v1, 0, 1.0, s8
	s_mov_b32 s0, 0
	s_mov_b32 s15, -1
	s_delay_alu instid0(VALU_DEP_1) | instskip(NEXT) | instid1(VALU_DEP_1)
	v_bfe_u32 v4, v1, 16, 1
	v_add3_u32 v1, v1, v4, 0x7fff
	global_store_d16_hi_b16 v[2:3], v1, off
.LBB222_1585:
	s_mov_b32 s11, 0
.LBB222_1586:
	s_delay_alu instid0(SALU_CYCLE_1)
	s_and_b32 vcc_lo, exec_lo, s11
	s_mov_b32 s11, 0
	s_cbranch_vccz .LBB222_1588
; %bb.1587:
	s_cmp_lg_u32 s10, 11
	s_mov_b32 s11, -1
	s_cselect_b32 s0, -1, 0
.LBB222_1588:
	s_delay_alu instid0(SALU_CYCLE_1)
	s_and_b32 vcc_lo, exec_lo, s0
	s_cbranch_vccnz .LBB222_1878
; %bb.1589:
	s_and_not1_b32 vcc_lo, exec_lo, s11
	s_cbranch_vccnz .LBB222_1591
.LBB222_1590:
	s_wait_xcnt 0x0
	v_cndmask_b32_e64 v1, 0, 1, s8
	s_mov_b32 s15, -1
	global_store_b8 v[2:3], v1, off
.LBB222_1591:
	s_mov_b32 s0, 0
	s_branch .LBB222_1593
.LBB222_1592:
	s_mov_b32 s0, -1
	s_mov_b32 s15, 0
.LBB222_1593:
	s_and_b32 vcc_lo, exec_lo, s0
	s_cbranch_vccz .LBB222_1632
; %bb.1594:
	s_and_b32 s0, 0xffff, s14
	s_mov_b32 s10, -1
	s_cmp_lt_i32 s0, 5
	s_cbranch_scc1 .LBB222_1615
; %bb.1595:
	s_cmp_lt_i32 s0, 8
	s_cbranch_scc1 .LBB222_1605
; %bb.1596:
	;; [unrolled: 3-line block ×3, first 2 shown]
	s_cmp_gt_i32 s0, 9
	s_cbranch_scc0 .LBB222_1599
; %bb.1598:
	s_wait_xcnt 0x0
	v_cndmask_b32_e64 v1, 0, 1, s8
	v_mov_b32_e32 v6, 0
	s_mov_b32 s10, 0
	s_delay_alu instid0(VALU_DEP_2) | instskip(NEXT) | instid1(VALU_DEP_2)
	v_cvt_f64_u32_e32 v[4:5], v1
	v_mov_b32_e32 v7, v6
	global_store_b128 v[2:3], v[4:7], off
.LBB222_1599:
	s_and_not1_b32 vcc_lo, exec_lo, s10
	s_cbranch_vccnz .LBB222_1601
; %bb.1600:
	s_wait_xcnt 0x0
	v_cndmask_b32_e64 v4, 0, 1.0, s8
	v_mov_b32_e32 v5, 0
	global_store_b64 v[2:3], v[4:5], off
.LBB222_1601:
	s_mov_b32 s10, 0
.LBB222_1602:
	s_delay_alu instid0(SALU_CYCLE_1)
	s_and_not1_b32 vcc_lo, exec_lo, s10
	s_cbranch_vccnz .LBB222_1604
; %bb.1603:
	s_wait_xcnt 0x0
	v_cndmask_b32_e64 v1, 0, 1.0, s8
	s_delay_alu instid0(VALU_DEP_1) | instskip(NEXT) | instid1(VALU_DEP_1)
	v_cvt_f16_f32_e32 v1, v1
	v_and_b32_e32 v1, 0xffff, v1
	global_store_b32 v[2:3], v1, off
.LBB222_1604:
	s_mov_b32 s10, 0
.LBB222_1605:
	s_delay_alu instid0(SALU_CYCLE_1)
	s_and_not1_b32 vcc_lo, exec_lo, s10
	s_cbranch_vccnz .LBB222_1614
; %bb.1606:
	s_cmp_lt_i32 s0, 6
	s_mov_b32 s10, -1
	s_cbranch_scc1 .LBB222_1612
; %bb.1607:
	s_cmp_gt_i32 s0, 6
	s_cbranch_scc0 .LBB222_1609
; %bb.1608:
	s_wait_xcnt 0x0
	v_cndmask_b32_e64 v1, 0, 1, s8
	s_mov_b32 s10, 0
	s_delay_alu instid0(VALU_DEP_1)
	v_cvt_f64_u32_e32 v[4:5], v1
	global_store_b64 v[2:3], v[4:5], off
.LBB222_1609:
	s_and_not1_b32 vcc_lo, exec_lo, s10
	s_cbranch_vccnz .LBB222_1611
; %bb.1610:
	s_wait_xcnt 0x0
	v_cndmask_b32_e64 v1, 0, 1.0, s8
	global_store_b32 v[2:3], v1, off
.LBB222_1611:
	s_mov_b32 s10, 0
.LBB222_1612:
	s_delay_alu instid0(SALU_CYCLE_1)
	s_and_not1_b32 vcc_lo, exec_lo, s10
	s_cbranch_vccnz .LBB222_1614
; %bb.1613:
	s_wait_xcnt 0x0
	v_cndmask_b32_e64 v1, 0, 1.0, s8
	s_delay_alu instid0(VALU_DEP_1)
	v_cvt_f16_f32_e32 v1, v1
	global_store_b16 v[2:3], v1, off
.LBB222_1614:
	s_mov_b32 s10, 0
.LBB222_1615:
	s_delay_alu instid0(SALU_CYCLE_1)
	s_and_not1_b32 vcc_lo, exec_lo, s10
	s_cbranch_vccnz .LBB222_1631
; %bb.1616:
	s_cmp_lt_i32 s0, 2
	s_mov_b32 s10, -1
	s_cbranch_scc1 .LBB222_1626
; %bb.1617:
	s_cmp_lt_i32 s0, 3
	s_cbranch_scc1 .LBB222_1623
; %bb.1618:
	s_cmp_gt_i32 s0, 3
	s_cbranch_scc0 .LBB222_1620
; %bb.1619:
	s_mov_b32 s10, 0
	s_wait_xcnt 0x0
	v_cndmask_b32_e64 v4, 0, 1, s8
	v_mov_b32_e32 v5, s10
	global_store_b64 v[2:3], v[4:5], off
.LBB222_1620:
	s_and_not1_b32 vcc_lo, exec_lo, s10
	s_cbranch_vccnz .LBB222_1622
; %bb.1621:
	s_wait_xcnt 0x0
	v_cndmask_b32_e64 v1, 0, 1, s8
	global_store_b32 v[2:3], v1, off
.LBB222_1622:
	s_mov_b32 s10, 0
.LBB222_1623:
	s_delay_alu instid0(SALU_CYCLE_1)
	s_and_not1_b32 vcc_lo, exec_lo, s10
	s_cbranch_vccnz .LBB222_1625
; %bb.1624:
	s_wait_xcnt 0x0
	v_cndmask_b32_e64 v1, 0, 1, s8
	global_store_b16 v[2:3], v1, off
.LBB222_1625:
	s_mov_b32 s10, 0
.LBB222_1626:
	s_delay_alu instid0(SALU_CYCLE_1)
	s_and_not1_b32 vcc_lo, exec_lo, s10
	s_cbranch_vccnz .LBB222_1631
; %bb.1627:
	s_wait_xcnt 0x0
	v_cndmask_b32_e64 v1, 0, 1, s8
	s_cmp_gt_i32 s0, 0
	s_mov_b32 s0, -1
	s_cbranch_scc0 .LBB222_1629
; %bb.1628:
	s_mov_b32 s0, 0
	global_store_b8 v[2:3], v1, off
.LBB222_1629:
	s_and_not1_b32 vcc_lo, exec_lo, s0
	s_cbranch_vccnz .LBB222_1631
; %bb.1630:
	global_store_b8 v[2:3], v1, off
.LBB222_1631:
	s_mov_b32 s15, -1
.LBB222_1632:
	s_delay_alu instid0(SALU_CYCLE_1)
	s_and_not1_b32 vcc_lo, exec_lo, s15
	s_cbranch_vccnz .LBB222_1828
; %bb.1633:
	v_add_nc_u32_e32 v0, s2, v0
	s_xor_b32 s0, s9, s6
	s_delay_alu instid0(SALU_CYCLE_1) | instskip(SKIP_3) | instid1(VALU_DEP_1)
	s_xor_b32 s8, s7, s0
	s_cmp_lt_i32 s14, 11
	s_wait_xcnt 0x0
	v_ashrrev_i32_e32 v1, 31, v0
	v_add_nc_u64_e32 v[2:3], s[4:5], v[0:1]
	s_cbranch_scc1 .LBB222_1711
; %bb.1634:
	s_and_b32 s9, 0xffff, s14
	s_mov_b32 s15, -1
	s_mov_b32 s10, 0
	s_cmp_gt_i32 s9, 25
	s_mov_b32 s11, 0
	s_mov_b32 s0, 0
	s_cbranch_scc0 .LBB222_1667
; %bb.1635:
	s_cmp_gt_i32 s9, 28
	s_cbranch_scc0 .LBB222_1650
; %bb.1636:
	s_cmp_gt_i32 s9, 43
	;; [unrolled: 3-line block ×3, first 2 shown]
	s_cbranch_scc0 .LBB222_1640
; %bb.1638:
	s_mov_b32 s0, -1
	s_mov_b32 s15, 0
	s_cmp_eq_u32 s9, 46
	s_cbranch_scc0 .LBB222_1640
; %bb.1639:
	v_cndmask_b32_e64 v1, 0, 1.0, s8
	s_mov_b32 s0, 0
	s_mov_b32 s11, -1
	s_delay_alu instid0(VALU_DEP_1) | instskip(NEXT) | instid1(VALU_DEP_1)
	v_bfe_u32 v4, v1, 16, 1
	v_add3_u32 v1, v1, v4, 0x7fff
	s_delay_alu instid0(VALU_DEP_1)
	v_lshrrev_b32_e32 v1, 16, v1
	global_store_b32 v[2:3], v1, off
.LBB222_1640:
	s_and_b32 vcc_lo, exec_lo, s15
	s_cbranch_vccz .LBB222_1645
; %bb.1641:
	s_cmp_eq_u32 s9, 44
	s_mov_b32 s0, -1
	s_cbranch_scc0 .LBB222_1645
; %bb.1642:
	v_cndmask_b32_e64 v5, 0, 1.0, s8
	s_mov_b32 s11, exec_lo
	s_wait_xcnt 0x0
	s_delay_alu instid0(VALU_DEP_1) | instskip(NEXT) | instid1(VALU_DEP_1)
	v_dual_mov_b32 v4, 0xff :: v_dual_lshrrev_b32 v1, 23, v5
	v_cmpx_ne_u32_e32 0xff, v1
; %bb.1643:
	v_and_b32_e32 v4, 0x400000, v5
	v_and_or_b32 v5, 0x3fffff, v5, v1
	s_delay_alu instid0(VALU_DEP_2) | instskip(NEXT) | instid1(VALU_DEP_2)
	v_cmp_ne_u32_e32 vcc_lo, 0, v4
	v_cmp_ne_u32_e64 s0, 0, v5
	s_and_b32 s0, vcc_lo, s0
	s_delay_alu instid0(SALU_CYCLE_1) | instskip(NEXT) | instid1(VALU_DEP_1)
	v_cndmask_b32_e64 v4, 0, 1, s0
	v_add_nc_u32_e32 v4, v1, v4
; %bb.1644:
	s_or_b32 exec_lo, exec_lo, s11
	s_mov_b32 s0, 0
	s_mov_b32 s11, -1
	global_store_b8 v[2:3], v4, off
.LBB222_1645:
	s_mov_b32 s15, 0
.LBB222_1646:
	s_delay_alu instid0(SALU_CYCLE_1)
	s_and_b32 vcc_lo, exec_lo, s15
	s_cbranch_vccz .LBB222_1649
; %bb.1647:
	s_cmp_eq_u32 s9, 29
	s_mov_b32 s0, -1
	s_cbranch_scc0 .LBB222_1649
; %bb.1648:
	s_mov_b32 s0, 0
	s_wait_xcnt 0x0
	v_cndmask_b32_e64 v4, 0, 1, s8
	v_mov_b32_e32 v5, s0
	s_mov_b32 s11, -1
	global_store_b64 v[2:3], v[4:5], off
.LBB222_1649:
	s_mov_b32 s15, 0
.LBB222_1650:
	s_delay_alu instid0(SALU_CYCLE_1)
	s_and_b32 vcc_lo, exec_lo, s15
	s_cbranch_vccz .LBB222_1666
; %bb.1651:
	s_cmp_lt_i32 s9, 27
	s_mov_b32 s11, -1
	s_cbranch_scc1 .LBB222_1657
; %bb.1652:
	s_cmp_gt_i32 s9, 27
	s_cbranch_scc0 .LBB222_1654
; %bb.1653:
	s_wait_xcnt 0x0
	v_cndmask_b32_e64 v1, 0, 1, s8
	s_mov_b32 s11, 0
	global_store_b32 v[2:3], v1, off
.LBB222_1654:
	s_and_not1_b32 vcc_lo, exec_lo, s11
	s_cbranch_vccnz .LBB222_1656
; %bb.1655:
	s_wait_xcnt 0x0
	v_cndmask_b32_e64 v1, 0, 1, s8
	global_store_b16 v[2:3], v1, off
.LBB222_1656:
	s_mov_b32 s11, 0
.LBB222_1657:
	s_delay_alu instid0(SALU_CYCLE_1)
	s_and_not1_b32 vcc_lo, exec_lo, s11
	s_cbranch_vccnz .LBB222_1665
; %bb.1658:
	s_wait_xcnt 0x0
	v_cndmask_b32_e64 v4, 0, 1.0, s8
	v_mov_b32_e32 v5, 0x80
	s_mov_b32 s11, exec_lo
	s_delay_alu instid0(VALU_DEP_2)
	v_cmpx_gt_u32_e32 0x43800000, v4
	s_cbranch_execz .LBB222_1664
; %bb.1659:
	s_mov_b32 s15, 0
	s_mov_b32 s16, exec_lo
                                        ; implicit-def: $vgpr1
	v_cmpx_lt_u32_e32 0x3bffffff, v4
	s_xor_b32 s16, exec_lo, s16
	s_cbranch_execnz .LBB222_1888
; %bb.1660:
	s_and_not1_saveexec_b32 s16, s16
	s_cbranch_execnz .LBB222_1889
.LBB222_1661:
	s_or_b32 exec_lo, exec_lo, s16
	v_mov_b32_e32 v5, 0
	s_and_saveexec_b32 s16, s15
.LBB222_1662:
	v_mov_b32_e32 v5, v1
.LBB222_1663:
	s_or_b32 exec_lo, exec_lo, s16
.LBB222_1664:
	s_delay_alu instid0(SALU_CYCLE_1)
	s_or_b32 exec_lo, exec_lo, s11
	global_store_b8 v[2:3], v5, off
.LBB222_1665:
	s_mov_b32 s11, -1
.LBB222_1666:
	s_mov_b32 s15, 0
.LBB222_1667:
	s_delay_alu instid0(SALU_CYCLE_1)
	s_and_b32 vcc_lo, exec_lo, s15
	s_cbranch_vccz .LBB222_1707
; %bb.1668:
	s_cmp_gt_i32 s9, 22
	s_mov_b32 s10, -1
	s_cbranch_scc0 .LBB222_1700
; %bb.1669:
	s_cmp_lt_i32 s9, 24
	s_cbranch_scc1 .LBB222_1689
; %bb.1670:
	s_cmp_gt_i32 s9, 24
	s_cbranch_scc0 .LBB222_1678
; %bb.1671:
	s_wait_xcnt 0x0
	v_cndmask_b32_e64 v4, 0, 1.0, s8
	v_mov_b32_e32 v5, 0x80
	s_mov_b32 s10, exec_lo
	s_delay_alu instid0(VALU_DEP_2)
	v_cmpx_gt_u32_e32 0x47800000, v4
	s_cbranch_execz .LBB222_1677
; %bb.1672:
	s_mov_b32 s11, 0
	s_mov_b32 s15, exec_lo
                                        ; implicit-def: $vgpr1
	v_cmpx_lt_u32_e32 0x37ffffff, v4
	s_xor_b32 s15, exec_lo, s15
	s_cbranch_execnz .LBB222_1891
; %bb.1673:
	s_and_not1_saveexec_b32 s15, s15
	s_cbranch_execnz .LBB222_1892
.LBB222_1674:
	s_or_b32 exec_lo, exec_lo, s15
	v_mov_b32_e32 v5, 0
	s_and_saveexec_b32 s15, s11
.LBB222_1675:
	v_mov_b32_e32 v5, v1
.LBB222_1676:
	s_or_b32 exec_lo, exec_lo, s15
.LBB222_1677:
	s_delay_alu instid0(SALU_CYCLE_1)
	s_or_b32 exec_lo, exec_lo, s10
	s_mov_b32 s10, 0
	global_store_b8 v[2:3], v5, off
.LBB222_1678:
	s_and_b32 vcc_lo, exec_lo, s10
	s_cbranch_vccz .LBB222_1688
; %bb.1679:
	s_wait_xcnt 0x0
	v_cndmask_b32_e64 v4, 0, 1.0, s8
	s_mov_b32 s10, exec_lo
                                        ; implicit-def: $vgpr1
	s_delay_alu instid0(VALU_DEP_1)
	v_cmpx_gt_u32_e32 0x43f00000, v4
	s_xor_b32 s10, exec_lo, s10
	s_cbranch_execz .LBB222_1685
; %bb.1680:
	s_mov_b32 s11, exec_lo
                                        ; implicit-def: $vgpr1
	v_cmpx_lt_u32_e32 0x3c7fffff, v4
	s_xor_b32 s11, exec_lo, s11
; %bb.1681:
	v_bfe_u32 v1, v4, 20, 1
	s_delay_alu instid0(VALU_DEP_1) | instskip(NEXT) | instid1(VALU_DEP_1)
	v_add3_u32 v1, v4, v1, 0x407ffff
	v_and_b32_e32 v4, 0xff00000, v1
	v_lshrrev_b32_e32 v1, 20, v1
	s_delay_alu instid0(VALU_DEP_2) | instskip(NEXT) | instid1(VALU_DEP_2)
	v_cmp_ne_u32_e32 vcc_lo, 0x7f00000, v4
                                        ; implicit-def: $vgpr4
	v_cndmask_b32_e32 v1, 0x7e, v1, vcc_lo
; %bb.1682:
	s_and_not1_saveexec_b32 s11, s11
; %bb.1683:
	v_add_f32_e32 v1, 0x46800000, v4
; %bb.1684:
	s_or_b32 exec_lo, exec_lo, s11
                                        ; implicit-def: $vgpr4
.LBB222_1685:
	s_and_not1_saveexec_b32 s10, s10
; %bb.1686:
	v_mov_b32_e32 v1, 0x7f
	v_cmp_lt_u32_e32 vcc_lo, 0x7f800000, v4
	s_delay_alu instid0(VALU_DEP_2)
	v_cndmask_b32_e32 v1, 0x7e, v1, vcc_lo
; %bb.1687:
	s_or_b32 exec_lo, exec_lo, s10
	global_store_b8 v[2:3], v1, off
.LBB222_1688:
	s_mov_b32 s10, 0
.LBB222_1689:
	s_delay_alu instid0(SALU_CYCLE_1)
	s_and_not1_b32 vcc_lo, exec_lo, s10
	s_cbranch_vccnz .LBB222_1699
; %bb.1690:
	s_wait_xcnt 0x0
	v_cndmask_b32_e64 v4, 0, 1.0, s8
	s_mov_b32 s10, exec_lo
                                        ; implicit-def: $vgpr1
	s_delay_alu instid0(VALU_DEP_1)
	v_cmpx_gt_u32_e32 0x47800000, v4
	s_xor_b32 s10, exec_lo, s10
	s_cbranch_execz .LBB222_1696
; %bb.1691:
	s_mov_b32 s11, exec_lo
                                        ; implicit-def: $vgpr1
	v_cmpx_lt_u32_e32 0x387fffff, v4
	s_xor_b32 s11, exec_lo, s11
; %bb.1692:
	v_bfe_u32 v1, v4, 21, 1
	s_delay_alu instid0(VALU_DEP_1) | instskip(NEXT) | instid1(VALU_DEP_1)
	v_add3_u32 v1, v4, v1, 0x80fffff
                                        ; implicit-def: $vgpr4
	v_lshrrev_b32_e32 v1, 21, v1
; %bb.1693:
	s_and_not1_saveexec_b32 s11, s11
; %bb.1694:
	v_add_f32_e32 v1, 0x43000000, v4
; %bb.1695:
	s_or_b32 exec_lo, exec_lo, s11
                                        ; implicit-def: $vgpr4
.LBB222_1696:
	s_and_not1_saveexec_b32 s10, s10
; %bb.1697:
	v_mov_b32_e32 v1, 0x7f
	v_cmp_lt_u32_e32 vcc_lo, 0x7f800000, v4
	s_delay_alu instid0(VALU_DEP_2)
	v_cndmask_b32_e32 v1, 0x7c, v1, vcc_lo
; %bb.1698:
	s_or_b32 exec_lo, exec_lo, s10
	global_store_b8 v[2:3], v1, off
.LBB222_1699:
	s_mov_b32 s10, 0
	s_mov_b32 s11, -1
.LBB222_1700:
	s_and_not1_b32 vcc_lo, exec_lo, s10
	s_mov_b32 s10, 0
	s_cbranch_vccnz .LBB222_1707
; %bb.1701:
	s_cmp_gt_i32 s9, 14
	s_mov_b32 s10, -1
	s_cbranch_scc0 .LBB222_1705
; %bb.1702:
	s_cmp_eq_u32 s9, 15
	s_mov_b32 s0, -1
	s_cbranch_scc0 .LBB222_1704
; %bb.1703:
	s_wait_xcnt 0x0
	v_cndmask_b32_e64 v1, 0, 1.0, s8
	s_mov_b32 s0, 0
	s_mov_b32 s11, -1
	s_delay_alu instid0(VALU_DEP_1) | instskip(NEXT) | instid1(VALU_DEP_1)
	v_bfe_u32 v4, v1, 16, 1
	v_add3_u32 v1, v1, v4, 0x7fff
	global_store_d16_hi_b16 v[2:3], v1, off
.LBB222_1704:
	s_mov_b32 s10, 0
.LBB222_1705:
	s_delay_alu instid0(SALU_CYCLE_1)
	s_and_b32 vcc_lo, exec_lo, s10
	s_mov_b32 s10, 0
	s_cbranch_vccz .LBB222_1707
; %bb.1706:
	s_cmp_lg_u32 s9, 11
	s_mov_b32 s10, -1
	s_cselect_b32 s0, -1, 0
.LBB222_1707:
	s_delay_alu instid0(SALU_CYCLE_1)
	s_and_b32 vcc_lo, exec_lo, s0
	s_cbranch_vccnz .LBB222_1885
; %bb.1708:
	s_and_not1_b32 vcc_lo, exec_lo, s10
	s_cbranch_vccnz .LBB222_1710
.LBB222_1709:
	s_wait_xcnt 0x0
	v_cndmask_b32_e64 v1, 0, 1, s8
	s_mov_b32 s11, -1
	global_store_b8 v[2:3], v1, off
.LBB222_1710:
	s_mov_b32 s0, 0
	s_branch .LBB222_1712
.LBB222_1711:
	s_mov_b32 s0, -1
	s_mov_b32 s11, 0
.LBB222_1712:
	s_and_b32 vcc_lo, exec_lo, s0
	s_cbranch_vccz .LBB222_1751
; %bb.1713:
	s_and_b32 s0, 0xffff, s14
	s_mov_b32 s9, -1
	s_cmp_lt_i32 s0, 5
	s_cbranch_scc1 .LBB222_1734
; %bb.1714:
	s_cmp_lt_i32 s0, 8
	s_cbranch_scc1 .LBB222_1724
; %bb.1715:
	;; [unrolled: 3-line block ×3, first 2 shown]
	s_cmp_gt_i32 s0, 9
	s_cbranch_scc0 .LBB222_1718
; %bb.1717:
	s_wait_xcnt 0x0
	v_cndmask_b32_e64 v1, 0, 1, s8
	v_mov_b32_e32 v6, 0
	s_mov_b32 s9, 0
	s_delay_alu instid0(VALU_DEP_2) | instskip(NEXT) | instid1(VALU_DEP_2)
	v_cvt_f64_u32_e32 v[4:5], v1
	v_mov_b32_e32 v7, v6
	global_store_b128 v[2:3], v[4:7], off
.LBB222_1718:
	s_and_not1_b32 vcc_lo, exec_lo, s9
	s_cbranch_vccnz .LBB222_1720
; %bb.1719:
	s_wait_xcnt 0x0
	v_cndmask_b32_e64 v4, 0, 1.0, s8
	v_mov_b32_e32 v5, 0
	global_store_b64 v[2:3], v[4:5], off
.LBB222_1720:
	s_mov_b32 s9, 0
.LBB222_1721:
	s_delay_alu instid0(SALU_CYCLE_1)
	s_and_not1_b32 vcc_lo, exec_lo, s9
	s_cbranch_vccnz .LBB222_1723
; %bb.1722:
	s_wait_xcnt 0x0
	v_cndmask_b32_e64 v1, 0, 1.0, s8
	s_delay_alu instid0(VALU_DEP_1) | instskip(NEXT) | instid1(VALU_DEP_1)
	v_cvt_f16_f32_e32 v1, v1
	v_and_b32_e32 v1, 0xffff, v1
	global_store_b32 v[2:3], v1, off
.LBB222_1723:
	s_mov_b32 s9, 0
.LBB222_1724:
	s_delay_alu instid0(SALU_CYCLE_1)
	s_and_not1_b32 vcc_lo, exec_lo, s9
	s_cbranch_vccnz .LBB222_1733
; %bb.1725:
	s_cmp_lt_i32 s0, 6
	s_mov_b32 s9, -1
	s_cbranch_scc1 .LBB222_1731
; %bb.1726:
	s_cmp_gt_i32 s0, 6
	s_cbranch_scc0 .LBB222_1728
; %bb.1727:
	s_wait_xcnt 0x0
	v_cndmask_b32_e64 v1, 0, 1, s8
	s_mov_b32 s9, 0
	s_delay_alu instid0(VALU_DEP_1)
	v_cvt_f64_u32_e32 v[4:5], v1
	global_store_b64 v[2:3], v[4:5], off
.LBB222_1728:
	s_and_not1_b32 vcc_lo, exec_lo, s9
	s_cbranch_vccnz .LBB222_1730
; %bb.1729:
	s_wait_xcnt 0x0
	v_cndmask_b32_e64 v1, 0, 1.0, s8
	global_store_b32 v[2:3], v1, off
.LBB222_1730:
	s_mov_b32 s9, 0
.LBB222_1731:
	s_delay_alu instid0(SALU_CYCLE_1)
	s_and_not1_b32 vcc_lo, exec_lo, s9
	s_cbranch_vccnz .LBB222_1733
; %bb.1732:
	s_wait_xcnt 0x0
	v_cndmask_b32_e64 v1, 0, 1.0, s8
	s_delay_alu instid0(VALU_DEP_1)
	v_cvt_f16_f32_e32 v1, v1
	global_store_b16 v[2:3], v1, off
.LBB222_1733:
	s_mov_b32 s9, 0
.LBB222_1734:
	s_delay_alu instid0(SALU_CYCLE_1)
	s_and_not1_b32 vcc_lo, exec_lo, s9
	s_cbranch_vccnz .LBB222_1750
; %bb.1735:
	s_cmp_lt_i32 s0, 2
	s_mov_b32 s9, -1
	s_cbranch_scc1 .LBB222_1745
; %bb.1736:
	s_cmp_lt_i32 s0, 3
	s_cbranch_scc1 .LBB222_1742
; %bb.1737:
	s_cmp_gt_i32 s0, 3
	s_cbranch_scc0 .LBB222_1739
; %bb.1738:
	s_mov_b32 s9, 0
	s_wait_xcnt 0x0
	v_cndmask_b32_e64 v4, 0, 1, s8
	v_mov_b32_e32 v5, s9
	global_store_b64 v[2:3], v[4:5], off
.LBB222_1739:
	s_and_not1_b32 vcc_lo, exec_lo, s9
	s_cbranch_vccnz .LBB222_1741
; %bb.1740:
	s_wait_xcnt 0x0
	v_cndmask_b32_e64 v1, 0, 1, s8
	global_store_b32 v[2:3], v1, off
.LBB222_1741:
	s_mov_b32 s9, 0
.LBB222_1742:
	s_delay_alu instid0(SALU_CYCLE_1)
	s_and_not1_b32 vcc_lo, exec_lo, s9
	s_cbranch_vccnz .LBB222_1744
; %bb.1743:
	s_wait_xcnt 0x0
	v_cndmask_b32_e64 v1, 0, 1, s8
	global_store_b16 v[2:3], v1, off
.LBB222_1744:
	s_mov_b32 s9, 0
.LBB222_1745:
	s_delay_alu instid0(SALU_CYCLE_1)
	s_and_not1_b32 vcc_lo, exec_lo, s9
	s_cbranch_vccnz .LBB222_1750
; %bb.1746:
	s_wait_xcnt 0x0
	v_cndmask_b32_e64 v1, 0, 1, s8
	s_cmp_gt_i32 s0, 0
	s_mov_b32 s0, -1
	s_cbranch_scc0 .LBB222_1748
; %bb.1747:
	s_mov_b32 s0, 0
	global_store_b8 v[2:3], v1, off
.LBB222_1748:
	s_and_not1_b32 vcc_lo, exec_lo, s0
	s_cbranch_vccnz .LBB222_1750
; %bb.1749:
	global_store_b8 v[2:3], v1, off
.LBB222_1750:
	s_mov_b32 s11, -1
.LBB222_1751:
	s_delay_alu instid0(SALU_CYCLE_1)
	s_and_not1_b32 vcc_lo, exec_lo, s11
	s_cbranch_vccnz .LBB222_1828
; %bb.1752:
	v_add_nc_u32_e32 v0, s2, v0
	s_xor_b32 s0, s3, s6
	s_delay_alu instid0(SALU_CYCLE_1) | instskip(SKIP_3) | instid1(VALU_DEP_1)
	s_xor_b32 s15, s7, s0
	s_cmp_lt_i32 s14, 11
	s_wait_xcnt 0x0
	v_ashrrev_i32_e32 v1, 31, v0
	v_add_nc_u64_e32 v[0:1], s[4:5], v[0:1]
	s_cbranch_scc1 .LBB222_1873
; %bb.1753:
	s_and_b32 s2, 0xffff, s14
	s_mov_b32 s4, -1
	s_mov_b32 s3, 0
	s_cmp_gt_i32 s2, 25
	s_mov_b32 s0, 0
	s_cbranch_scc0 .LBB222_1786
; %bb.1754:
	s_cmp_gt_i32 s2, 28
	s_cbranch_scc0 .LBB222_1770
; %bb.1755:
	s_cmp_gt_i32 s2, 43
	;; [unrolled: 3-line block ×3, first 2 shown]
	s_cbranch_scc0 .LBB222_1760
; %bb.1757:
	s_cmp_eq_u32 s2, 46
	s_mov_b32 s0, -1
	s_cbranch_scc0 .LBB222_1759
; %bb.1758:
	v_cndmask_b32_e64 v2, 0, 1.0, s15
	s_mov_b32 s0, 0
	s_delay_alu instid0(VALU_DEP_1) | instskip(NEXT) | instid1(VALU_DEP_1)
	v_bfe_u32 v3, v2, 16, 1
	v_add3_u32 v2, v2, v3, 0x7fff
	s_delay_alu instid0(VALU_DEP_1)
	v_lshrrev_b32_e32 v2, 16, v2
	global_store_b32 v[0:1], v2, off
.LBB222_1759:
	s_mov_b32 s4, 0
.LBB222_1760:
	s_delay_alu instid0(SALU_CYCLE_1)
	s_and_b32 vcc_lo, exec_lo, s4
	s_cbranch_vccz .LBB222_1765
; %bb.1761:
	s_cmp_eq_u32 s2, 44
	s_mov_b32 s0, -1
	s_cbranch_scc0 .LBB222_1765
; %bb.1762:
	v_cndmask_b32_e64 v4, 0, 1.0, s15
	s_mov_b32 s4, exec_lo
	s_wait_xcnt 0x0
	s_delay_alu instid0(VALU_DEP_1) | instskip(NEXT) | instid1(VALU_DEP_1)
	v_dual_mov_b32 v3, 0xff :: v_dual_lshrrev_b32 v2, 23, v4
	v_cmpx_ne_u32_e32 0xff, v2
; %bb.1763:
	v_and_b32_e32 v3, 0x400000, v4
	v_and_or_b32 v4, 0x3fffff, v4, v2
	s_delay_alu instid0(VALU_DEP_2) | instskip(NEXT) | instid1(VALU_DEP_2)
	v_cmp_ne_u32_e32 vcc_lo, 0, v3
	v_cmp_ne_u32_e64 s0, 0, v4
	s_and_b32 s0, vcc_lo, s0
	s_delay_alu instid0(SALU_CYCLE_1) | instskip(NEXT) | instid1(VALU_DEP_1)
	v_cndmask_b32_e64 v3, 0, 1, s0
	v_add_nc_u32_e32 v3, v2, v3
; %bb.1764:
	s_or_b32 exec_lo, exec_lo, s4
	s_mov_b32 s0, 0
	global_store_b8 v[0:1], v3, off
.LBB222_1765:
	s_mov_b32 s4, 0
.LBB222_1766:
	s_delay_alu instid0(SALU_CYCLE_1)
	s_and_b32 vcc_lo, exec_lo, s4
	s_cbranch_vccz .LBB222_1769
; %bb.1767:
	s_cmp_eq_u32 s2, 29
	s_mov_b32 s0, -1
	s_cbranch_scc0 .LBB222_1769
; %bb.1768:
	s_mov_b32 s0, 0
	s_wait_xcnt 0x0
	v_cndmask_b32_e64 v2, 0, 1, s15
	v_mov_b32_e32 v3, s0
	global_store_b64 v[0:1], v[2:3], off
.LBB222_1769:
	s_mov_b32 s4, 0
.LBB222_1770:
	s_delay_alu instid0(SALU_CYCLE_1)
	s_and_b32 vcc_lo, exec_lo, s4
	s_cbranch_vccz .LBB222_1785
; %bb.1771:
	s_cmp_lt_i32 s2, 27
	s_mov_b32 s4, -1
	s_cbranch_scc1 .LBB222_1777
; %bb.1772:
	s_wait_xcnt 0x0
	v_cndmask_b32_e64 v2, 0, 1, s15
	s_cmp_gt_i32 s2, 27
	s_cbranch_scc0 .LBB222_1774
; %bb.1773:
	s_mov_b32 s4, 0
	global_store_b32 v[0:1], v2, off
.LBB222_1774:
	s_and_not1_b32 vcc_lo, exec_lo, s4
	s_cbranch_vccnz .LBB222_1776
; %bb.1775:
	global_store_b16 v[0:1], v2, off
.LBB222_1776:
	s_mov_b32 s4, 0
.LBB222_1777:
	s_delay_alu instid0(SALU_CYCLE_1)
	s_and_not1_b32 vcc_lo, exec_lo, s4
	s_cbranch_vccnz .LBB222_1785
; %bb.1778:
	s_wait_xcnt 0x0
	v_cndmask_b32_e64 v3, 0, 1.0, s15
	v_mov_b32_e32 v4, 0x80
	s_mov_b32 s4, exec_lo
	s_delay_alu instid0(VALU_DEP_2)
	v_cmpx_gt_u32_e32 0x43800000, v3
	s_cbranch_execz .LBB222_1784
; %bb.1779:
	s_mov_b32 s5, 0
	s_mov_b32 s6, exec_lo
                                        ; implicit-def: $vgpr2
	v_cmpx_lt_u32_e32 0x3bffffff, v3
	s_xor_b32 s6, exec_lo, s6
	s_cbranch_execnz .LBB222_1893
; %bb.1780:
	s_and_not1_saveexec_b32 s6, s6
	s_cbranch_execnz .LBB222_1894
.LBB222_1781:
	s_or_b32 exec_lo, exec_lo, s6
	v_mov_b32_e32 v4, 0
	s_and_saveexec_b32 s6, s5
.LBB222_1782:
	v_mov_b32_e32 v4, v2
.LBB222_1783:
	s_or_b32 exec_lo, exec_lo, s6
.LBB222_1784:
	s_delay_alu instid0(SALU_CYCLE_1)
	s_or_b32 exec_lo, exec_lo, s4
	global_store_b8 v[0:1], v4, off
.LBB222_1785:
	s_mov_b32 s4, 0
.LBB222_1786:
	s_delay_alu instid0(SALU_CYCLE_1)
	s_and_b32 vcc_lo, exec_lo, s4
	s_cbranch_vccz .LBB222_1826
; %bb.1787:
	s_cmp_gt_i32 s2, 22
	s_mov_b32 s3, -1
	s_cbranch_scc0 .LBB222_1819
; %bb.1788:
	s_cmp_lt_i32 s2, 24
	s_cbranch_scc1 .LBB222_1808
; %bb.1789:
	s_cmp_gt_i32 s2, 24
	s_cbranch_scc0 .LBB222_1797
; %bb.1790:
	s_wait_xcnt 0x0
	v_cndmask_b32_e64 v3, 0, 1.0, s15
	v_mov_b32_e32 v4, 0x80
	s_mov_b32 s3, exec_lo
	s_delay_alu instid0(VALU_DEP_2)
	v_cmpx_gt_u32_e32 0x47800000, v3
	s_cbranch_execz .LBB222_1796
; %bb.1791:
	s_mov_b32 s4, 0
	s_mov_b32 s5, exec_lo
                                        ; implicit-def: $vgpr2
	v_cmpx_lt_u32_e32 0x37ffffff, v3
	s_xor_b32 s5, exec_lo, s5
	s_cbranch_execnz .LBB222_1895
; %bb.1792:
	s_and_not1_saveexec_b32 s5, s5
	s_cbranch_execnz .LBB222_1896
.LBB222_1793:
	s_or_b32 exec_lo, exec_lo, s5
	v_mov_b32_e32 v4, 0
	s_and_saveexec_b32 s5, s4
.LBB222_1794:
	v_mov_b32_e32 v4, v2
.LBB222_1795:
	s_or_b32 exec_lo, exec_lo, s5
.LBB222_1796:
	s_delay_alu instid0(SALU_CYCLE_1)
	s_or_b32 exec_lo, exec_lo, s3
	s_mov_b32 s3, 0
	global_store_b8 v[0:1], v4, off
.LBB222_1797:
	s_and_b32 vcc_lo, exec_lo, s3
	s_cbranch_vccz .LBB222_1807
; %bb.1798:
	s_wait_xcnt 0x0
	v_cndmask_b32_e64 v3, 0, 1.0, s15
	s_mov_b32 s3, exec_lo
                                        ; implicit-def: $vgpr2
	s_delay_alu instid0(VALU_DEP_1)
	v_cmpx_gt_u32_e32 0x43f00000, v3
	s_xor_b32 s3, exec_lo, s3
	s_cbranch_execz .LBB222_1804
; %bb.1799:
	s_mov_b32 s4, exec_lo
                                        ; implicit-def: $vgpr2
	v_cmpx_lt_u32_e32 0x3c7fffff, v3
	s_xor_b32 s4, exec_lo, s4
; %bb.1800:
	v_bfe_u32 v2, v3, 20, 1
	s_delay_alu instid0(VALU_DEP_1) | instskip(NEXT) | instid1(VALU_DEP_1)
	v_add3_u32 v2, v3, v2, 0x407ffff
	v_and_b32_e32 v3, 0xff00000, v2
	v_lshrrev_b32_e32 v2, 20, v2
	s_delay_alu instid0(VALU_DEP_2) | instskip(NEXT) | instid1(VALU_DEP_2)
	v_cmp_ne_u32_e32 vcc_lo, 0x7f00000, v3
                                        ; implicit-def: $vgpr3
	v_cndmask_b32_e32 v2, 0x7e, v2, vcc_lo
; %bb.1801:
	s_and_not1_saveexec_b32 s4, s4
; %bb.1802:
	v_add_f32_e32 v2, 0x46800000, v3
; %bb.1803:
	s_or_b32 exec_lo, exec_lo, s4
                                        ; implicit-def: $vgpr3
.LBB222_1804:
	s_and_not1_saveexec_b32 s3, s3
; %bb.1805:
	v_mov_b32_e32 v2, 0x7f
	v_cmp_lt_u32_e32 vcc_lo, 0x7f800000, v3
	s_delay_alu instid0(VALU_DEP_2)
	v_cndmask_b32_e32 v2, 0x7e, v2, vcc_lo
; %bb.1806:
	s_or_b32 exec_lo, exec_lo, s3
	global_store_b8 v[0:1], v2, off
.LBB222_1807:
	s_mov_b32 s3, 0
.LBB222_1808:
	s_delay_alu instid0(SALU_CYCLE_1)
	s_and_not1_b32 vcc_lo, exec_lo, s3
	s_cbranch_vccnz .LBB222_1818
; %bb.1809:
	s_wait_xcnt 0x0
	v_cndmask_b32_e64 v3, 0, 1.0, s15
	s_mov_b32 s3, exec_lo
                                        ; implicit-def: $vgpr2
	s_delay_alu instid0(VALU_DEP_1)
	v_cmpx_gt_u32_e32 0x47800000, v3
	s_xor_b32 s3, exec_lo, s3
	s_cbranch_execz .LBB222_1815
; %bb.1810:
	s_mov_b32 s4, exec_lo
                                        ; implicit-def: $vgpr2
	v_cmpx_lt_u32_e32 0x387fffff, v3
	s_xor_b32 s4, exec_lo, s4
; %bb.1811:
	v_bfe_u32 v2, v3, 21, 1
	s_delay_alu instid0(VALU_DEP_1) | instskip(NEXT) | instid1(VALU_DEP_1)
	v_add3_u32 v2, v3, v2, 0x80fffff
                                        ; implicit-def: $vgpr3
	v_lshrrev_b32_e32 v2, 21, v2
; %bb.1812:
	s_and_not1_saveexec_b32 s4, s4
; %bb.1813:
	v_add_f32_e32 v2, 0x43000000, v3
; %bb.1814:
	s_or_b32 exec_lo, exec_lo, s4
                                        ; implicit-def: $vgpr3
.LBB222_1815:
	s_and_not1_saveexec_b32 s3, s3
; %bb.1816:
	v_mov_b32_e32 v2, 0x7f
	v_cmp_lt_u32_e32 vcc_lo, 0x7f800000, v3
	s_delay_alu instid0(VALU_DEP_2)
	v_cndmask_b32_e32 v2, 0x7c, v2, vcc_lo
; %bb.1817:
	s_or_b32 exec_lo, exec_lo, s3
	global_store_b8 v[0:1], v2, off
.LBB222_1818:
	s_mov_b32 s3, 0
.LBB222_1819:
	s_delay_alu instid0(SALU_CYCLE_1)
	s_and_not1_b32 vcc_lo, exec_lo, s3
	s_mov_b32 s3, 0
	s_cbranch_vccnz .LBB222_1826
; %bb.1820:
	s_cmp_gt_i32 s2, 14
	s_mov_b32 s3, -1
	s_cbranch_scc0 .LBB222_1824
; %bb.1821:
	s_cmp_eq_u32 s2, 15
	s_mov_b32 s0, -1
	s_cbranch_scc0 .LBB222_1823
; %bb.1822:
	s_wait_xcnt 0x0
	v_cndmask_b32_e64 v2, 0, 1.0, s15
	s_mov_b32 s0, 0
	s_delay_alu instid0(VALU_DEP_1) | instskip(NEXT) | instid1(VALU_DEP_1)
	v_bfe_u32 v3, v2, 16, 1
	v_add3_u32 v2, v2, v3, 0x7fff
	global_store_d16_hi_b16 v[0:1], v2, off
.LBB222_1823:
	s_mov_b32 s3, 0
.LBB222_1824:
	s_delay_alu instid0(SALU_CYCLE_1)
	s_and_b32 vcc_lo, exec_lo, s3
	s_mov_b32 s3, 0
	s_cbranch_vccz .LBB222_1826
; %bb.1825:
	s_cmp_lg_u32 s2, 11
	s_mov_b32 s3, -1
	s_cselect_b32 s0, -1, 0
.LBB222_1826:
	s_delay_alu instid0(SALU_CYCLE_1)
	s_and_b32 vcc_lo, exec_lo, s0
	s_cbranch_vccnz .LBB222_1890
.LBB222_1827:
	s_mov_b32 s0, 0
	s_branch .LBB222_1829
.LBB222_1828:
	s_mov_b32 s0, 0
	s_mov_b32 s3, 0
                                        ; implicit-def: $sgpr15
                                        ; implicit-def: $sgpr14
                                        ; implicit-def: $vgpr0_vgpr1
.LBB222_1829:
	s_and_not1_b32 s2, s13, exec_lo
	s_and_b32 s4, s1, exec_lo
	s_and_b32 s0, s0, exec_lo
	;; [unrolled: 1-line block ×3, first 2 shown]
	s_or_b32 s13, s2, s4
.LBB222_1830:
	s_wait_xcnt 0x0
	s_or_b32 exec_lo, exec_lo, s12
	s_and_saveexec_b32 s2, s13
	s_cbranch_execnz .LBB222_1834
; %bb.1831:
	s_or_b32 exec_lo, exec_lo, s2
	s_and_saveexec_b32 s2, s1
	s_delay_alu instid0(SALU_CYCLE_1)
	s_xor_b32 s1, exec_lo, s2
	s_cbranch_execnz .LBB222_1835
.LBB222_1832:
	s_or_b32 exec_lo, exec_lo, s1
	s_and_saveexec_b32 s1, s0
	s_cbranch_execnz .LBB222_1836
.LBB222_1833:
	s_endpgm
.LBB222_1834:
	; divergent unreachable
	s_or_b32 exec_lo, exec_lo, s2
	s_and_saveexec_b32 s2, s1
	s_delay_alu instid0(SALU_CYCLE_1)
	s_xor_b32 s1, exec_lo, s2
	s_cbranch_execz .LBB222_1832
.LBB222_1835:
	v_cndmask_b32_e64 v2, 0, 1, s15
	global_store_b8 v[0:1], v2, off
	s_wait_xcnt 0x0
	s_or_b32 exec_lo, exec_lo, s1
	s_and_saveexec_b32 s1, s0
	s_cbranch_execz .LBB222_1833
.LBB222_1836:
	s_sext_i32_i16 s1, s14
	s_mov_b32 s0, -1
	s_cmp_lt_i32 s1, 5
	s_cbranch_scc1 .LBB222_1857
; %bb.1837:
	s_cmp_lt_i32 s1, 8
	s_cbranch_scc1 .LBB222_1847
; %bb.1838:
	;; [unrolled: 3-line block ×3, first 2 shown]
	s_cmp_gt_i32 s1, 9
	s_cbranch_scc0 .LBB222_1841
; %bb.1840:
	v_cndmask_b32_e64 v2, 0, 1, s15
	v_mov_b32_e32 v4, 0
	s_mov_b32 s0, 0
	s_delay_alu instid0(VALU_DEP_2) | instskip(NEXT) | instid1(VALU_DEP_2)
	v_cvt_f64_u32_e32 v[2:3], v2
	v_mov_b32_e32 v5, v4
	global_store_b128 v[0:1], v[2:5], off
.LBB222_1841:
	s_and_not1_b32 vcc_lo, exec_lo, s0
	s_cbranch_vccnz .LBB222_1843
; %bb.1842:
	s_wait_xcnt 0x0
	v_cndmask_b32_e64 v2, 0, 1.0, s15
	v_mov_b32_e32 v3, 0
	global_store_b64 v[0:1], v[2:3], off
.LBB222_1843:
	s_mov_b32 s0, 0
.LBB222_1844:
	s_delay_alu instid0(SALU_CYCLE_1)
	s_and_not1_b32 vcc_lo, exec_lo, s0
	s_cbranch_vccnz .LBB222_1846
; %bb.1845:
	s_wait_xcnt 0x0
	v_cndmask_b32_e64 v2, 0, 1.0, s15
	s_delay_alu instid0(VALU_DEP_1) | instskip(NEXT) | instid1(VALU_DEP_1)
	v_cvt_f16_f32_e32 v2, v2
	v_and_b32_e32 v2, 0xffff, v2
	global_store_b32 v[0:1], v2, off
.LBB222_1846:
	s_mov_b32 s0, 0
.LBB222_1847:
	s_delay_alu instid0(SALU_CYCLE_1)
	s_and_not1_b32 vcc_lo, exec_lo, s0
	s_cbranch_vccnz .LBB222_1856
; %bb.1848:
	s_sext_i32_i16 s1, s14
	s_mov_b32 s0, -1
	s_cmp_lt_i32 s1, 6
	s_cbranch_scc1 .LBB222_1854
; %bb.1849:
	s_cmp_gt_i32 s1, 6
	s_cbranch_scc0 .LBB222_1851
; %bb.1850:
	s_wait_xcnt 0x0
	v_cndmask_b32_e64 v2, 0, 1, s15
	s_mov_b32 s0, 0
	s_delay_alu instid0(VALU_DEP_1)
	v_cvt_f64_u32_e32 v[2:3], v2
	global_store_b64 v[0:1], v[2:3], off
.LBB222_1851:
	s_and_not1_b32 vcc_lo, exec_lo, s0
	s_cbranch_vccnz .LBB222_1853
; %bb.1852:
	s_wait_xcnt 0x0
	v_cndmask_b32_e64 v2, 0, 1.0, s15
	global_store_b32 v[0:1], v2, off
.LBB222_1853:
	s_mov_b32 s0, 0
.LBB222_1854:
	s_delay_alu instid0(SALU_CYCLE_1)
	s_and_not1_b32 vcc_lo, exec_lo, s0
	s_cbranch_vccnz .LBB222_1856
; %bb.1855:
	s_wait_xcnt 0x0
	v_cndmask_b32_e64 v2, 0, 1.0, s15
	s_delay_alu instid0(VALU_DEP_1)
	v_cvt_f16_f32_e32 v2, v2
	global_store_b16 v[0:1], v2, off
.LBB222_1856:
	s_mov_b32 s0, 0
.LBB222_1857:
	s_delay_alu instid0(SALU_CYCLE_1)
	s_and_not1_b32 vcc_lo, exec_lo, s0
	s_cbranch_vccnz .LBB222_1833
; %bb.1858:
	s_sext_i32_i16 s1, s14
	s_mov_b32 s0, -1
	s_cmp_lt_i32 s1, 2
	s_cbranch_scc1 .LBB222_1868
; %bb.1859:
	s_cmp_lt_i32 s1, 3
	s_cbranch_scc1 .LBB222_1865
; %bb.1860:
	s_cmp_gt_i32 s1, 3
	s_cbranch_scc0 .LBB222_1862
; %bb.1861:
	s_mov_b32 s0, 0
	s_wait_xcnt 0x0
	v_cndmask_b32_e64 v2, 0, 1, s15
	v_mov_b32_e32 v3, s0
	global_store_b64 v[0:1], v[2:3], off
.LBB222_1862:
	s_and_not1_b32 vcc_lo, exec_lo, s0
	s_cbranch_vccnz .LBB222_1864
; %bb.1863:
	s_wait_xcnt 0x0
	v_cndmask_b32_e64 v2, 0, 1, s15
	global_store_b32 v[0:1], v2, off
.LBB222_1864:
	s_mov_b32 s0, 0
.LBB222_1865:
	s_delay_alu instid0(SALU_CYCLE_1)
	s_and_not1_b32 vcc_lo, exec_lo, s0
	s_cbranch_vccnz .LBB222_1867
; %bb.1866:
	s_wait_xcnt 0x0
	v_cndmask_b32_e64 v2, 0, 1, s15
	global_store_b16 v[0:1], v2, off
.LBB222_1867:
	s_mov_b32 s0, 0
.LBB222_1868:
	s_delay_alu instid0(SALU_CYCLE_1)
	s_and_not1_b32 vcc_lo, exec_lo, s0
	s_cbranch_vccnz .LBB222_1833
; %bb.1869:
	s_wait_xcnt 0x0
	v_cndmask_b32_e64 v2, 0, 1, s15
	s_sext_i32_i16 s0, s14
	s_delay_alu instid0(SALU_CYCLE_1)
	s_cmp_gt_i32 s0, 0
	s_mov_b32 s0, -1
	s_cbranch_scc0 .LBB222_1871
; %bb.1870:
	s_mov_b32 s0, 0
	global_store_b8 v[0:1], v2, off
.LBB222_1871:
	s_and_not1_b32 vcc_lo, exec_lo, s0
	s_cbranch_vccnz .LBB222_1833
; %bb.1872:
	global_store_b8 v[0:1], v2, off
	s_endpgm
.LBB222_1873:
	s_mov_b32 s3, 0
	s_mov_b32 s0, -1
	s_branch .LBB222_1829
.LBB222_1874:
	s_mov_b32 s6, 0
	s_or_b32 s1, s1, exec_lo
	s_trap 2
	s_cbranch_execz .LBB222_1344
	s_branch .LBB222_1345
.LBB222_1875:
	s_or_b32 s1, s1, exec_lo
	s_trap 2
	s_cbranch_execz .LBB222_1474
	s_branch .LBB222_1475
.LBB222_1876:
	v_bfe_u32 v1, v4, 20, 1
	s_mov_b32 s17, exec_lo
	s_delay_alu instid0(VALU_DEP_1) | instskip(NEXT) | instid1(VALU_DEP_1)
	v_add3_u32 v1, v4, v1, 0x487ffff
                                        ; implicit-def: $vgpr4
	v_lshrrev_b32_e32 v1, 20, v1
	s_and_not1_saveexec_b32 s18, s18
	s_cbranch_execz .LBB222_1426
.LBB222_1877:
	v_add_f32_e32 v1, 0x46000000, v4
	s_and_not1_b32 s17, s17, exec_lo
	s_delay_alu instid0(VALU_DEP_1) | instskip(NEXT) | instid1(VALU_DEP_1)
	v_and_b32_e32 v1, 0xff, v1
	v_cmp_ne_u32_e32 vcc_lo, 0, v1
	s_and_b32 s19, vcc_lo, exec_lo
	s_delay_alu instid0(SALU_CYCLE_1)
	s_or_b32 s17, s17, s19
	s_or_b32 exec_lo, exec_lo, s18
	v_mov_b32_e32 v5, 0
	s_and_saveexec_b32 s18, s17
	s_cbranch_execnz .LBB222_1427
	s_branch .LBB222_1428
.LBB222_1878:
	s_or_b32 s1, s1, exec_lo
	s_trap 2
	s_cbranch_execz .LBB222_1590
	s_branch .LBB222_1591
.LBB222_1879:
	v_bfe_u32 v2, v3, 21, 1
	s_mov_b32 s26, exec_lo
	s_delay_alu instid0(VALU_DEP_1) | instskip(NEXT) | instid1(VALU_DEP_1)
	v_add3_u32 v2, v3, v2, 0x88fffff
                                        ; implicit-def: $vgpr3
	v_lshrrev_b32_e32 v2, 21, v2
	s_and_not1_saveexec_b32 s27, s27
	s_cbranch_execz .LBB222_637
.LBB222_1880:
	v_add_f32_e32 v2, 0x42800000, v3
	s_and_not1_b32 s26, s26, exec_lo
	s_delay_alu instid0(VALU_DEP_1) | instskip(NEXT) | instid1(VALU_DEP_1)
	v_and_b32_e32 v2, 0xff, v2
	v_cmp_ne_u32_e32 vcc_lo, 0, v2
	s_and_b32 s28, vcc_lo, exec_lo
	s_delay_alu instid0(SALU_CYCLE_1)
	s_or_b32 s26, s26, s28
	s_or_b32 exec_lo, exec_lo, s27
	v_mov_b32_e32 v5, 0
	s_and_saveexec_b32 s27, s26
	s_cbranch_execnz .LBB222_638
	s_branch .LBB222_639
.LBB222_1881:
	v_bfe_u32 v1, v4, 21, 1
	s_mov_b32 s16, exec_lo
	s_delay_alu instid0(VALU_DEP_1) | instskip(NEXT) | instid1(VALU_DEP_1)
	v_add3_u32 v1, v4, v1, 0x88fffff
                                        ; implicit-def: $vgpr4
	v_lshrrev_b32_e32 v1, 21, v1
	s_and_not1_saveexec_b32 s17, s17
	s_cbranch_execz .LBB222_1439
.LBB222_1882:
	v_add_f32_e32 v1, 0x42800000, v4
	s_and_not1_b32 s16, s16, exec_lo
	s_delay_alu instid0(VALU_DEP_1) | instskip(NEXT) | instid1(VALU_DEP_1)
	v_and_b32_e32 v1, 0xff, v1
	v_cmp_ne_u32_e32 vcc_lo, 0, v1
	s_and_b32 s18, vcc_lo, exec_lo
	s_delay_alu instid0(SALU_CYCLE_1)
	s_or_b32 s16, s16, s18
	s_or_b32 exec_lo, exec_lo, s17
	v_mov_b32_e32 v5, 0
	s_and_saveexec_b32 s17, s16
	s_cbranch_execnz .LBB222_1440
	s_branch .LBB222_1441
.LBB222_1883:
	v_bfe_u32 v1, v4, 20, 1
	s_mov_b32 s16, exec_lo
	s_delay_alu instid0(VALU_DEP_1) | instskip(NEXT) | instid1(VALU_DEP_1)
	v_add3_u32 v1, v4, v1, 0x487ffff
                                        ; implicit-def: $vgpr4
	v_lshrrev_b32_e32 v1, 20, v1
	s_and_not1_saveexec_b32 s17, s17
	s_cbranch_execz .LBB222_1542
.LBB222_1884:
	v_add_f32_e32 v1, 0x46000000, v4
	s_and_not1_b32 s16, s16, exec_lo
	s_delay_alu instid0(VALU_DEP_1) | instskip(NEXT) | instid1(VALU_DEP_1)
	v_and_b32_e32 v1, 0xff, v1
	v_cmp_ne_u32_e32 vcc_lo, 0, v1
	s_and_b32 s18, vcc_lo, exec_lo
	s_delay_alu instid0(SALU_CYCLE_1)
	s_or_b32 s16, s16, s18
	s_or_b32 exec_lo, exec_lo, s17
	v_mov_b32_e32 v5, 0
	s_and_saveexec_b32 s17, s16
	s_cbranch_execnz .LBB222_1543
	s_branch .LBB222_1544
.LBB222_1885:
	s_or_b32 s1, s1, exec_lo
	s_trap 2
	s_cbranch_execz .LBB222_1709
	s_branch .LBB222_1710
.LBB222_1886:
	v_bfe_u32 v1, v4, 21, 1
	s_mov_b32 s15, exec_lo
	s_delay_alu instid0(VALU_DEP_1) | instskip(NEXT) | instid1(VALU_DEP_1)
	v_add3_u32 v1, v4, v1, 0x88fffff
                                        ; implicit-def: $vgpr4
	v_lshrrev_b32_e32 v1, 21, v1
	s_and_not1_saveexec_b32 s16, s16
	s_cbranch_execz .LBB222_1555
.LBB222_1887:
	v_add_f32_e32 v1, 0x42800000, v4
	s_and_not1_b32 s15, s15, exec_lo
	s_delay_alu instid0(VALU_DEP_1) | instskip(NEXT) | instid1(VALU_DEP_1)
	v_and_b32_e32 v1, 0xff, v1
	v_cmp_ne_u32_e32 vcc_lo, 0, v1
	s_and_b32 s17, vcc_lo, exec_lo
	s_delay_alu instid0(SALU_CYCLE_1)
	s_or_b32 s15, s15, s17
	s_or_b32 exec_lo, exec_lo, s16
	v_mov_b32_e32 v5, 0
	s_and_saveexec_b32 s16, s15
	s_cbranch_execnz .LBB222_1556
	s_branch .LBB222_1557
.LBB222_1888:
	v_bfe_u32 v1, v4, 20, 1
	s_mov_b32 s15, exec_lo
	s_delay_alu instid0(VALU_DEP_1) | instskip(NEXT) | instid1(VALU_DEP_1)
	v_add3_u32 v1, v4, v1, 0x487ffff
                                        ; implicit-def: $vgpr4
	v_lshrrev_b32_e32 v1, 20, v1
	s_and_not1_saveexec_b32 s16, s16
	s_cbranch_execz .LBB222_1661
.LBB222_1889:
	v_add_f32_e32 v1, 0x46000000, v4
	s_and_not1_b32 s15, s15, exec_lo
	s_delay_alu instid0(VALU_DEP_1) | instskip(NEXT) | instid1(VALU_DEP_1)
	v_and_b32_e32 v1, 0xff, v1
	v_cmp_ne_u32_e32 vcc_lo, 0, v1
	s_and_b32 s17, vcc_lo, exec_lo
	s_delay_alu instid0(SALU_CYCLE_1)
	s_or_b32 s15, s15, s17
	s_or_b32 exec_lo, exec_lo, s16
	v_mov_b32_e32 v5, 0
	s_and_saveexec_b32 s16, s15
	s_cbranch_execnz .LBB222_1662
	s_branch .LBB222_1663
.LBB222_1890:
	s_mov_b32 s3, 0
	s_or_b32 s1, s1, exec_lo
	s_trap 2
	s_branch .LBB222_1827
.LBB222_1891:
	v_bfe_u32 v1, v4, 21, 1
	s_mov_b32 s11, exec_lo
	s_delay_alu instid0(VALU_DEP_1) | instskip(NEXT) | instid1(VALU_DEP_1)
	v_add3_u32 v1, v4, v1, 0x88fffff
                                        ; implicit-def: $vgpr4
	v_lshrrev_b32_e32 v1, 21, v1
	s_and_not1_saveexec_b32 s15, s15
	s_cbranch_execz .LBB222_1674
.LBB222_1892:
	v_add_f32_e32 v1, 0x42800000, v4
	s_and_not1_b32 s11, s11, exec_lo
	s_delay_alu instid0(VALU_DEP_1) | instskip(NEXT) | instid1(VALU_DEP_1)
	v_and_b32_e32 v1, 0xff, v1
	v_cmp_ne_u32_e32 vcc_lo, 0, v1
	s_and_b32 s16, vcc_lo, exec_lo
	s_delay_alu instid0(SALU_CYCLE_1)
	s_or_b32 s11, s11, s16
	s_or_b32 exec_lo, exec_lo, s15
	v_mov_b32_e32 v5, 0
	s_and_saveexec_b32 s15, s11
	s_cbranch_execnz .LBB222_1675
	s_branch .LBB222_1676
.LBB222_1893:
	v_bfe_u32 v2, v3, 20, 1
	s_mov_b32 s5, exec_lo
	s_delay_alu instid0(VALU_DEP_1) | instskip(NEXT) | instid1(VALU_DEP_1)
	v_add3_u32 v2, v3, v2, 0x487ffff
                                        ; implicit-def: $vgpr3
	v_lshrrev_b32_e32 v2, 20, v2
	s_and_not1_saveexec_b32 s6, s6
	s_cbranch_execz .LBB222_1781
.LBB222_1894:
	v_add_f32_e32 v2, 0x46000000, v3
	s_and_not1_b32 s5, s5, exec_lo
	s_delay_alu instid0(VALU_DEP_1) | instskip(NEXT) | instid1(VALU_DEP_1)
	v_and_b32_e32 v2, 0xff, v2
	v_cmp_ne_u32_e32 vcc_lo, 0, v2
	s_and_b32 s7, vcc_lo, exec_lo
	s_delay_alu instid0(SALU_CYCLE_1)
	s_or_b32 s5, s5, s7
	s_or_b32 exec_lo, exec_lo, s6
	v_mov_b32_e32 v4, 0
	s_and_saveexec_b32 s6, s5
	s_cbranch_execnz .LBB222_1782
	s_branch .LBB222_1783
.LBB222_1895:
	v_bfe_u32 v2, v3, 21, 1
	s_mov_b32 s4, exec_lo
	s_delay_alu instid0(VALU_DEP_1) | instskip(NEXT) | instid1(VALU_DEP_1)
	v_add3_u32 v2, v3, v2, 0x88fffff
                                        ; implicit-def: $vgpr3
	v_lshrrev_b32_e32 v2, 21, v2
	s_and_not1_saveexec_b32 s5, s5
	s_cbranch_execz .LBB222_1793
.LBB222_1896:
	v_add_f32_e32 v2, 0x42800000, v3
	s_and_not1_b32 s4, s4, exec_lo
	s_delay_alu instid0(VALU_DEP_1) | instskip(NEXT) | instid1(VALU_DEP_1)
	v_and_b32_e32 v2, 0xff, v2
	v_cmp_ne_u32_e32 vcc_lo, 0, v2
	s_and_b32 s6, vcc_lo, exec_lo
	s_delay_alu instid0(SALU_CYCLE_1)
	s_or_b32 s4, s4, s6
	s_or_b32 exec_lo, exec_lo, s5
	v_mov_b32_e32 v4, 0
	s_and_saveexec_b32 s5, s4
	s_cbranch_execnz .LBB222_1794
	s_branch .LBB222_1795
	.section	.rodata,"a",@progbits
	.p2align	6, 0x0
	.amdhsa_kernel _ZN2at6native32elementwise_kernel_manual_unrollILi128ELi4EZNS0_15gpu_kernel_implINS0_13AUnaryFunctorIbbbNS0_12_GLOBAL__N_116CompareEqFunctorIbEEEEEEvRNS_18TensorIteratorBaseERKT_EUlibE_EEviT1_
		.amdhsa_group_segment_fixed_size 0
		.amdhsa_private_segment_fixed_size 0
		.amdhsa_kernarg_size 48
		.amdhsa_user_sgpr_count 2
		.amdhsa_user_sgpr_dispatch_ptr 0
		.amdhsa_user_sgpr_queue_ptr 0
		.amdhsa_user_sgpr_kernarg_segment_ptr 1
		.amdhsa_user_sgpr_dispatch_id 0
		.amdhsa_user_sgpr_kernarg_preload_length 0
		.amdhsa_user_sgpr_kernarg_preload_offset 0
		.amdhsa_user_sgpr_private_segment_size 0
		.amdhsa_wavefront_size32 1
		.amdhsa_uses_dynamic_stack 0
		.amdhsa_enable_private_segment 0
		.amdhsa_system_sgpr_workgroup_id_x 1
		.amdhsa_system_sgpr_workgroup_id_y 0
		.amdhsa_system_sgpr_workgroup_id_z 0
		.amdhsa_system_sgpr_workgroup_info 0
		.amdhsa_system_vgpr_workitem_id 0
		.amdhsa_next_free_vgpr 10
		.amdhsa_next_free_sgpr 30
		.amdhsa_named_barrier_count 0
		.amdhsa_reserve_vcc 1
		.amdhsa_float_round_mode_32 0
		.amdhsa_float_round_mode_16_64 0
		.amdhsa_float_denorm_mode_32 3
		.amdhsa_float_denorm_mode_16_64 3
		.amdhsa_fp16_overflow 0
		.amdhsa_memory_ordered 1
		.amdhsa_forward_progress 1
		.amdhsa_inst_pref_size 242
		.amdhsa_round_robin_scheduling 0
		.amdhsa_exception_fp_ieee_invalid_op 0
		.amdhsa_exception_fp_denorm_src 0
		.amdhsa_exception_fp_ieee_div_zero 0
		.amdhsa_exception_fp_ieee_overflow 0
		.amdhsa_exception_fp_ieee_underflow 0
		.amdhsa_exception_fp_ieee_inexact 0
		.amdhsa_exception_int_div_zero 0
	.end_amdhsa_kernel
	.section	.text._ZN2at6native32elementwise_kernel_manual_unrollILi128ELi4EZNS0_15gpu_kernel_implINS0_13AUnaryFunctorIbbbNS0_12_GLOBAL__N_116CompareEqFunctorIbEEEEEEvRNS_18TensorIteratorBaseERKT_EUlibE_EEviT1_,"axG",@progbits,_ZN2at6native32elementwise_kernel_manual_unrollILi128ELi4EZNS0_15gpu_kernel_implINS0_13AUnaryFunctorIbbbNS0_12_GLOBAL__N_116CompareEqFunctorIbEEEEEEvRNS_18TensorIteratorBaseERKT_EUlibE_EEviT1_,comdat
.Lfunc_end222:
	.size	_ZN2at6native32elementwise_kernel_manual_unrollILi128ELi4EZNS0_15gpu_kernel_implINS0_13AUnaryFunctorIbbbNS0_12_GLOBAL__N_116CompareEqFunctorIbEEEEEEvRNS_18TensorIteratorBaseERKT_EUlibE_EEviT1_, .Lfunc_end222-_ZN2at6native32elementwise_kernel_manual_unrollILi128ELi4EZNS0_15gpu_kernel_implINS0_13AUnaryFunctorIbbbNS0_12_GLOBAL__N_116CompareEqFunctorIbEEEEEEvRNS_18TensorIteratorBaseERKT_EUlibE_EEviT1_
                                        ; -- End function
	.set _ZN2at6native32elementwise_kernel_manual_unrollILi128ELi4EZNS0_15gpu_kernel_implINS0_13AUnaryFunctorIbbbNS0_12_GLOBAL__N_116CompareEqFunctorIbEEEEEEvRNS_18TensorIteratorBaseERKT_EUlibE_EEviT1_.num_vgpr, 10
	.set _ZN2at6native32elementwise_kernel_manual_unrollILi128ELi4EZNS0_15gpu_kernel_implINS0_13AUnaryFunctorIbbbNS0_12_GLOBAL__N_116CompareEqFunctorIbEEEEEEvRNS_18TensorIteratorBaseERKT_EUlibE_EEviT1_.num_agpr, 0
	.set _ZN2at6native32elementwise_kernel_manual_unrollILi128ELi4EZNS0_15gpu_kernel_implINS0_13AUnaryFunctorIbbbNS0_12_GLOBAL__N_116CompareEqFunctorIbEEEEEEvRNS_18TensorIteratorBaseERKT_EUlibE_EEviT1_.numbered_sgpr, 30
	.set _ZN2at6native32elementwise_kernel_manual_unrollILi128ELi4EZNS0_15gpu_kernel_implINS0_13AUnaryFunctorIbbbNS0_12_GLOBAL__N_116CompareEqFunctorIbEEEEEEvRNS_18TensorIteratorBaseERKT_EUlibE_EEviT1_.num_named_barrier, 0
	.set _ZN2at6native32elementwise_kernel_manual_unrollILi128ELi4EZNS0_15gpu_kernel_implINS0_13AUnaryFunctorIbbbNS0_12_GLOBAL__N_116CompareEqFunctorIbEEEEEEvRNS_18TensorIteratorBaseERKT_EUlibE_EEviT1_.private_seg_size, 0
	.set _ZN2at6native32elementwise_kernel_manual_unrollILi128ELi4EZNS0_15gpu_kernel_implINS0_13AUnaryFunctorIbbbNS0_12_GLOBAL__N_116CompareEqFunctorIbEEEEEEvRNS_18TensorIteratorBaseERKT_EUlibE_EEviT1_.uses_vcc, 1
	.set _ZN2at6native32elementwise_kernel_manual_unrollILi128ELi4EZNS0_15gpu_kernel_implINS0_13AUnaryFunctorIbbbNS0_12_GLOBAL__N_116CompareEqFunctorIbEEEEEEvRNS_18TensorIteratorBaseERKT_EUlibE_EEviT1_.uses_flat_scratch, 0
	.set _ZN2at6native32elementwise_kernel_manual_unrollILi128ELi4EZNS0_15gpu_kernel_implINS0_13AUnaryFunctorIbbbNS0_12_GLOBAL__N_116CompareEqFunctorIbEEEEEEvRNS_18TensorIteratorBaseERKT_EUlibE_EEviT1_.has_dyn_sized_stack, 0
	.set _ZN2at6native32elementwise_kernel_manual_unrollILi128ELi4EZNS0_15gpu_kernel_implINS0_13AUnaryFunctorIbbbNS0_12_GLOBAL__N_116CompareEqFunctorIbEEEEEEvRNS_18TensorIteratorBaseERKT_EUlibE_EEviT1_.has_recursion, 0
	.set _ZN2at6native32elementwise_kernel_manual_unrollILi128ELi4EZNS0_15gpu_kernel_implINS0_13AUnaryFunctorIbbbNS0_12_GLOBAL__N_116CompareEqFunctorIbEEEEEEvRNS_18TensorIteratorBaseERKT_EUlibE_EEviT1_.has_indirect_call, 0
	.section	.AMDGPU.csdata,"",@progbits
; Kernel info:
; codeLenInByte = 30912
; TotalNumSgprs: 32
; NumVgprs: 10
; ScratchSize: 0
; MemoryBound: 1
; FloatMode: 240
; IeeeMode: 1
; LDSByteSize: 0 bytes/workgroup (compile time only)
; SGPRBlocks: 0
; VGPRBlocks: 0
; NumSGPRsForWavesPerEU: 32
; NumVGPRsForWavesPerEU: 10
; NamedBarCnt: 0
; Occupancy: 16
; WaveLimiterHint : 0
; COMPUTE_PGM_RSRC2:SCRATCH_EN: 0
; COMPUTE_PGM_RSRC2:USER_SGPR: 2
; COMPUTE_PGM_RSRC2:TRAP_HANDLER: 0
; COMPUTE_PGM_RSRC2:TGID_X_EN: 1
; COMPUTE_PGM_RSRC2:TGID_Y_EN: 0
; COMPUTE_PGM_RSRC2:TGID_Z_EN: 0
; COMPUTE_PGM_RSRC2:TIDIG_COMP_CNT: 0
	.section	.text._ZN2at6native32elementwise_kernel_manual_unrollILi128ELi4EZNS0_15gpu_kernel_implINS0_13AUnaryFunctorIbbbNS0_12_GLOBAL__N_116CompareEqFunctorIbEEEEEEvRNS_18TensorIteratorBaseERKT_EUlibE0_EEviT1_,"axG",@progbits,_ZN2at6native32elementwise_kernel_manual_unrollILi128ELi4EZNS0_15gpu_kernel_implINS0_13AUnaryFunctorIbbbNS0_12_GLOBAL__N_116CompareEqFunctorIbEEEEEEvRNS_18TensorIteratorBaseERKT_EUlibE0_EEviT1_,comdat
	.globl	_ZN2at6native32elementwise_kernel_manual_unrollILi128ELi4EZNS0_15gpu_kernel_implINS0_13AUnaryFunctorIbbbNS0_12_GLOBAL__N_116CompareEqFunctorIbEEEEEEvRNS_18TensorIteratorBaseERKT_EUlibE0_EEviT1_ ; -- Begin function _ZN2at6native32elementwise_kernel_manual_unrollILi128ELi4EZNS0_15gpu_kernel_implINS0_13AUnaryFunctorIbbbNS0_12_GLOBAL__N_116CompareEqFunctorIbEEEEEEvRNS_18TensorIteratorBaseERKT_EUlibE0_EEviT1_
	.p2align	8
	.type	_ZN2at6native32elementwise_kernel_manual_unrollILi128ELi4EZNS0_15gpu_kernel_implINS0_13AUnaryFunctorIbbbNS0_12_GLOBAL__N_116CompareEqFunctorIbEEEEEEvRNS_18TensorIteratorBaseERKT_EUlibE0_EEviT1_,@function
_ZN2at6native32elementwise_kernel_manual_unrollILi128ELi4EZNS0_15gpu_kernel_implINS0_13AUnaryFunctorIbbbNS0_12_GLOBAL__N_116CompareEqFunctorIbEEEEEEvRNS_18TensorIteratorBaseERKT_EUlibE0_EEviT1_: ; @_ZN2at6native32elementwise_kernel_manual_unrollILi128ELi4EZNS0_15gpu_kernel_implINS0_13AUnaryFunctorIbbbNS0_12_GLOBAL__N_116CompareEqFunctorIbEEEEEEvRNS_18TensorIteratorBaseERKT_EUlibE0_EEviT1_
; %bb.0:
	s_clause 0x1
	s_load_b32 s30, s[0:1], 0x8
	s_load_b32 s37, s[0:1], 0x0
	s_bfe_u32 s2, ttmp6, 0x4000c
	s_and_b32 s3, ttmp6, 15
	s_add_co_i32 s2, s2, 1
	s_getreg_b32 s4, hwreg(HW_REG_IB_STS2, 6, 4)
	s_mul_i32 s2, ttmp9, s2
	s_mov_b32 s28, -1
	s_add_co_i32 s3, s3, s2
	s_cmp_eq_u32 s4, 0
	s_add_nc_u64 s[16:17], s[0:1], 8
	s_cselect_b32 s2, ttmp9, s3
	s_mov_b32 s3, 0
	v_lshl_or_b32 v0, s2, 9, v0
	s_mov_b32 s8, 0
	s_wait_xcnt 0x0
	s_mov_b32 s0, exec_lo
	s_delay_alu instid0(VALU_DEP_1) | instskip(SKIP_2) | instid1(SALU_CYCLE_1)
	v_or_b32_e32 v9, 0x180, v0
	s_wait_kmcnt 0x0
	s_add_co_i32 s31, s30, -1
	s_cmp_gt_u32 s31, 1
	s_cselect_b32 s33, -1, 0
	v_cmpx_le_i32_e64 s37, v9
	s_xor_b32 s34, exec_lo, s0
	s_cbranch_execz .LBB223_1019
; %bb.1:
	s_clause 0x4
	s_load_b96 s[0:2], s[16:17], 0x158
	s_load_b128 s[8:11], s[16:17], 0x4
	s_load_b64 s[20:21], s[16:17], 0x14
	s_load_b128 s[12:15], s[16:17], 0xc4
	s_load_b128 s[4:7], s[16:17], 0x148
	s_cmp_lg_u32 s30, 0
	s_mov_b32 s19, 0
	s_cselect_b32 s39, -1, 0
	s_min_u32 s38, s31, 15
	s_cmp_gt_u32 s30, 1
	s_add_nc_u64 s[24:25], s[16:17], 0xc4
	s_cselect_b32 s36, -1, 0
	s_mov_b32 s23, s19
	s_mov_b32 s40, s19
	s_mov_b32 s41, exec_lo
	s_wait_kmcnt 0x0
	s_bfe_u32 s35, s2, 0x80008
	s_bitcmp1_b32 s1, 0
	s_mov_b32 s18, s9
	s_cselect_b32 s1, -1, 0
	s_cmp_eq_u32 s0, 0
	s_mov_b32 s22, s20
	s_cselect_b32 s0, -1, 0
	s_mov_b32 s20, s19
	s_xor_b32 s9, s0, s1
	v_cmpx_gt_i32_e64 s37, v0
	s_cbranch_execz .LBB223_248
; %bb.2:
	s_and_not1_b32 vcc_lo, exec_lo, s33
	s_cbranch_vccnz .LBB223_8
; %bb.3:
	s_and_not1_b32 vcc_lo, exec_lo, s39
	s_cbranch_vccnz .LBB223_9
; %bb.4:
	s_add_co_i32 s1, s38, 1
	s_cmp_eq_u32 s31, 2
	s_cbranch_scc1 .LBB223_10
; %bb.5:
	v_dual_mov_b32 v2, 0 :: v_dual_mov_b32 v4, 0
	v_mov_b32_e32 v1, v0
	s_and_b32 s0, s1, 28
	s_mov_b32 s20, 0
	s_mov_b64 s[26:27], s[16:17]
	s_mov_b64 s[28:29], s[24:25]
.LBB223_6:                              ; =>This Inner Loop Header: Depth=1
	s_clause 0x1
	s_load_b256 s[44:51], s[26:27], 0x4
	s_load_b128 s[60:63], s[26:27], 0x24
	s_load_b256 s[52:59], s[28:29], 0x0
	s_add_co_i32 s20, s20, 4
	s_wait_xcnt 0x0
	s_add_nc_u64 s[26:27], s[26:27], 48
	s_cmp_lg_u32 s0, s20
	s_add_nc_u64 s[28:29], s[28:29], 32
	s_wait_kmcnt 0x0
	v_mul_hi_u32 v3, s45, v1
	s_delay_alu instid0(VALU_DEP_1) | instskip(NEXT) | instid1(VALU_DEP_1)
	v_add_nc_u32_e32 v3, v1, v3
	v_lshrrev_b32_e32 v3, s46, v3
	s_delay_alu instid0(VALU_DEP_1) | instskip(NEXT) | instid1(VALU_DEP_1)
	v_mul_hi_u32 v5, s48, v3
	v_add_nc_u32_e32 v5, v3, v5
	s_delay_alu instid0(VALU_DEP_1) | instskip(NEXT) | instid1(VALU_DEP_1)
	v_lshrrev_b32_e32 v5, s49, v5
	v_mul_hi_u32 v6, s51, v5
	s_delay_alu instid0(VALU_DEP_1) | instskip(SKIP_1) | instid1(VALU_DEP_1)
	v_add_nc_u32_e32 v6, v5, v6
	v_mul_lo_u32 v7, v3, s44
	v_sub_nc_u32_e32 v1, v1, v7
	v_mul_lo_u32 v7, v5, s47
	s_delay_alu instid0(VALU_DEP_4) | instskip(NEXT) | instid1(VALU_DEP_3)
	v_lshrrev_b32_e32 v6, s60, v6
	v_mad_u32 v4, v1, s53, v4
	v_mad_u32 v1, v1, s52, v2
	s_delay_alu instid0(VALU_DEP_4) | instskip(NEXT) | instid1(VALU_DEP_4)
	v_sub_nc_u32_e32 v2, v3, v7
	v_mul_hi_u32 v8, s62, v6
	v_mul_lo_u32 v3, v6, s50
	s_delay_alu instid0(VALU_DEP_3) | instskip(SKIP_1) | instid1(VALU_DEP_3)
	v_mad_u32 v4, v2, s55, v4
	v_mad_u32 v2, v2, s54, v1
	v_dual_add_nc_u32 v7, v6, v8 :: v_dual_sub_nc_u32 v3, v5, v3
	s_delay_alu instid0(VALU_DEP_1) | instskip(NEXT) | instid1(VALU_DEP_2)
	v_lshrrev_b32_e32 v1, s63, v7
	v_mad_u32 v4, v3, s57, v4
	s_delay_alu instid0(VALU_DEP_4) | instskip(NEXT) | instid1(VALU_DEP_3)
	v_mad_u32 v2, v3, s56, v2
	v_mul_lo_u32 v5, v1, s61
	s_delay_alu instid0(VALU_DEP_1) | instskip(NEXT) | instid1(VALU_DEP_1)
	v_sub_nc_u32_e32 v3, v6, v5
	v_mad_u32 v4, v3, s59, v4
	s_delay_alu instid0(VALU_DEP_4)
	v_mad_u32 v2, v3, s58, v2
	s_cbranch_scc1 .LBB223_6
; %bb.7:
	s_delay_alu instid0(VALU_DEP_2)
	v_mov_b32_e32 v3, v4
	s_and_b32 s20, s1, 3
	s_mov_b32 s1, 0
	s_cmp_eq_u32 s20, 0
	s_cbranch_scc0 .LBB223_11
	s_branch .LBB223_14
.LBB223_8:
                                        ; implicit-def: $vgpr4
                                        ; implicit-def: $vgpr2
	s_branch .LBB223_15
.LBB223_9:
	v_dual_mov_b32 v4, 0 :: v_dual_mov_b32 v2, 0
	s_branch .LBB223_14
.LBB223_10:
	v_mov_b64_e32 v[2:3], 0
	v_mov_b32_e32 v1, v0
	s_mov_b32 s0, 0
                                        ; implicit-def: $vgpr4
	s_and_b32 s20, s1, 3
	s_mov_b32 s1, 0
	s_cmp_eq_u32 s20, 0
	s_cbranch_scc1 .LBB223_14
.LBB223_11:
	s_lshl_b32 s26, s0, 3
	s_mov_b32 s27, s1
	s_mul_u64 s[28:29], s[0:1], 12
	s_add_nc_u64 s[26:27], s[16:17], s[26:27]
	s_delay_alu instid0(SALU_CYCLE_1)
	s_add_nc_u64 s[0:1], s[26:27], 0xc4
	s_add_nc_u64 s[26:27], s[16:17], s[28:29]
.LBB223_12:                             ; =>This Inner Loop Header: Depth=1
	s_load_b96 s[44:46], s[26:27], 0x4
	s_load_b64 s[28:29], s[0:1], 0x0
	s_add_co_i32 s20, s20, -1
	s_wait_xcnt 0x0
	s_add_nc_u64 s[26:27], s[26:27], 12
	s_cmp_lg_u32 s20, 0
	s_add_nc_u64 s[0:1], s[0:1], 8
	s_wait_kmcnt 0x0
	v_mul_hi_u32 v4, s45, v1
	s_delay_alu instid0(VALU_DEP_1) | instskip(NEXT) | instid1(VALU_DEP_1)
	v_add_nc_u32_e32 v4, v1, v4
	v_lshrrev_b32_e32 v4, s46, v4
	s_delay_alu instid0(VALU_DEP_1) | instskip(NEXT) | instid1(VALU_DEP_1)
	v_mul_lo_u32 v5, v4, s44
	v_sub_nc_u32_e32 v1, v1, v5
	s_delay_alu instid0(VALU_DEP_1)
	v_mad_u32 v3, v1, s29, v3
	v_mad_u32 v2, v1, s28, v2
	v_mov_b32_e32 v1, v4
	s_cbranch_scc1 .LBB223_12
; %bb.13:
	s_delay_alu instid0(VALU_DEP_3)
	v_mov_b32_e32 v4, v3
.LBB223_14:
	s_cbranch_execnz .LBB223_17
.LBB223_15:
	v_mov_b32_e32 v1, 0
	s_and_not1_b32 vcc_lo, exec_lo, s36
	s_delay_alu instid0(VALU_DEP_1) | instskip(NEXT) | instid1(VALU_DEP_1)
	v_mul_u64_e32 v[2:3], s[18:19], v[0:1]
	v_add_nc_u32_e32 v2, v0, v3
	s_delay_alu instid0(VALU_DEP_1) | instskip(NEXT) | instid1(VALU_DEP_1)
	v_lshrrev_b32_e32 v6, s10, v2
	v_mul_lo_u32 v2, v6, s8
	s_delay_alu instid0(VALU_DEP_1) | instskip(NEXT) | instid1(VALU_DEP_1)
	v_sub_nc_u32_e32 v2, v0, v2
	v_mul_lo_u32 v4, v2, s13
	v_mul_lo_u32 v2, v2, s12
	s_cbranch_vccnz .LBB223_17
; %bb.16:
	v_mov_b32_e32 v7, v1
	s_delay_alu instid0(VALU_DEP_1) | instskip(NEXT) | instid1(VALU_DEP_1)
	v_mul_u64_e32 v[8:9], s[22:23], v[6:7]
	v_add_nc_u32_e32 v1, v6, v9
	s_delay_alu instid0(VALU_DEP_1) | instskip(NEXT) | instid1(VALU_DEP_1)
	v_lshrrev_b32_e32 v1, s21, v1
	v_mul_lo_u32 v1, v1, s11
	s_delay_alu instid0(VALU_DEP_1) | instskip(NEXT) | instid1(VALU_DEP_1)
	v_sub_nc_u32_e32 v1, v6, v1
	v_mad_u32 v2, v1, s14, v2
	v_mad_u32 v4, v1, s15, v4
.LBB223_17:
	v_mov_b32_e32 v5, 0
	s_and_b32 s20, 0xffff, s35
	s_delay_alu instid0(SALU_CYCLE_1) | instskip(NEXT) | instid1(VALU_DEP_1)
	s_cmp_lt_i32 s20, 11
	v_add_nc_u64_e32 v[4:5], s[6:7], v[4:5]
	s_cbranch_scc1 .LBB223_24
; %bb.18:
	s_cmp_gt_i32 s20, 25
	s_cbranch_scc0 .LBB223_33
; %bb.19:
	s_cmp_gt_i32 s20, 28
	s_cbranch_scc0 .LBB223_35
	;; [unrolled: 3-line block ×4, first 2 shown]
; %bb.22:
	s_cmp_eq_u32 s20, 46
	s_mov_b32 s27, 0
	s_cbranch_scc0 .LBB223_41
; %bb.23:
	global_load_b32 v1, v[4:5], off
	s_mov_b32 s1, 0
	s_mov_b32 s26, -1
	s_wait_loadcnt 0x0
	v_and_b32_e32 v1, 0x7fff7fff, v1
	s_delay_alu instid0(VALU_DEP_1)
	v_cmp_ne_u32_e64 s0, 0, v1
	s_branch .LBB223_43
.LBB223_24:
	s_mov_b32 s1, 0
	s_mov_b32 s26, 0
                                        ; implicit-def: $sgpr0
	s_cbranch_execnz .LBB223_89
.LBB223_25:
	s_and_not1_b32 vcc_lo, exec_lo, s26
	s_cbranch_vccnz .LBB223_136
.LBB223_26:
	v_mov_b32_e32 v3, 0
	s_and_b32 s20, s2, 0xff
	s_delay_alu instid0(VALU_DEP_2) | instskip(SKIP_1) | instid1(VALU_DEP_1)
	s_xor_b32 s1, s0, s9
	s_cmp_lt_i32 s20, 11
	v_add_nc_u64_e32 v[2:3], s[4:5], v[2:3]
	s_cbranch_scc1 .LBB223_34
; %bb.27:
	s_and_b32 s26, 0xffff, s20
	s_delay_alu instid0(SALU_CYCLE_1)
	s_cmp_gt_i32 s26, 25
	s_cbranch_scc0 .LBB223_36
; %bb.28:
	s_cmp_gt_i32 s26, 28
	s_cbranch_scc0 .LBB223_38
; %bb.29:
	;; [unrolled: 3-line block ×4, first 2 shown]
	s_mov_b32 s28, 0
	s_mov_b32 s0, -1
	s_cmp_eq_u32 s26, 46
	s_mov_b32 s27, 0
	s_cbranch_scc0 .LBB223_138
; %bb.32:
	v_cndmask_b32_e64 v1, 0, 1.0, s1
	s_mov_b32 s27, -1
	s_mov_b32 s0, 0
	s_delay_alu instid0(VALU_DEP_1) | instskip(NEXT) | instid1(VALU_DEP_1)
	v_bfe_u32 v4, v1, 16, 1
	v_add3_u32 v1, v1, v4, 0x7fff
	s_delay_alu instid0(VALU_DEP_1)
	v_lshrrev_b32_e32 v1, 16, v1
	global_store_b32 v[2:3], v1, off
	s_branch .LBB223_138
.LBB223_33:
	s_mov_b32 s1, 0
	s_mov_b32 s26, 0
                                        ; implicit-def: $sgpr0
	s_cbranch_execnz .LBB223_64
	s_branch .LBB223_88
.LBB223_34:
	s_mov_b32 s0, 0
	s_mov_b32 s27, 0
	s_cbranch_execnz .LBB223_207
	s_branch .LBB223_245
.LBB223_35:
	s_mov_b32 s27, -1
	s_mov_b32 s1, 0
	s_mov_b32 s26, 0
                                        ; implicit-def: $sgpr0
	s_branch .LBB223_51
.LBB223_36:
	s_mov_b32 s28, -1
	s_mov_b32 s0, 0
	s_mov_b32 s27, 0
	s_branch .LBB223_165
.LBB223_37:
	s_mov_b32 s27, -1
	s_mov_b32 s1, 0
	s_mov_b32 s26, 0
                                        ; implicit-def: $sgpr0
	s_branch .LBB223_46
.LBB223_38:
	s_mov_b32 s28, -1
	s_mov_b32 s0, 0
	s_mov_b32 s27, 0
	s_branch .LBB223_148
.LBB223_39:
	s_mov_b32 s27, -1
	s_mov_b32 s1, 0
	s_branch .LBB223_42
.LBB223_40:
	s_mov_b32 s28, -1
	s_mov_b32 s0, 0
	s_mov_b32 s27, 0
	s_branch .LBB223_144
.LBB223_41:
	s_mov_b32 s1, -1
.LBB223_42:
	s_mov_b32 s26, 0
                                        ; implicit-def: $sgpr0
.LBB223_43:
	s_and_b32 vcc_lo, exec_lo, s27
	s_cbranch_vccz .LBB223_45
; %bb.44:
	s_cmp_eq_u32 s20, 44
	s_mov_b32 s1, -1
	s_cselect_b32 s26, -1, 0
	s_or_b32 s0, s0, exec_lo
.LBB223_45:
	s_mov_b32 s27, 0
.LBB223_46:
	s_delay_alu instid0(SALU_CYCLE_1)
	s_and_b32 vcc_lo, exec_lo, s27
	s_cbranch_vccz .LBB223_50
; %bb.47:
	s_cmp_eq_u32 s20, 29
	s_cbranch_scc0 .LBB223_49
; %bb.48:
	global_load_b64 v[6:7], v[4:5], off
	s_mov_b32 s26, -1
	s_mov_b32 s1, 0
	s_mov_b32 s27, 0
	s_wait_loadcnt 0x0
	v_cmp_ne_u64_e64 s0, 0, v[6:7]
	s_branch .LBB223_51
.LBB223_49:
	s_mov_b32 s1, -1
                                        ; implicit-def: $sgpr0
.LBB223_50:
	s_mov_b32 s27, 0
.LBB223_51:
	s_delay_alu instid0(SALU_CYCLE_1)
	s_and_b32 vcc_lo, exec_lo, s27
	s_cbranch_vccz .LBB223_63
; %bb.52:
	s_cmp_lt_i32 s20, 27
	s_cbranch_scc1 .LBB223_55
; %bb.53:
	s_cmp_gt_i32 s20, 27
	s_cbranch_scc0 .LBB223_56
; %bb.54:
	global_load_b32 v1, v[4:5], off
	s_mov_b32 s26, 0
	s_wait_loadcnt 0x0
	v_cmp_ne_u32_e64 s0, 0, v1
	s_branch .LBB223_57
.LBB223_55:
	s_mov_b32 s26, -1
                                        ; implicit-def: $sgpr0
	s_branch .LBB223_60
.LBB223_56:
	s_mov_b32 s26, -1
                                        ; implicit-def: $sgpr0
.LBB223_57:
	s_delay_alu instid0(SALU_CYCLE_1)
	s_and_not1_b32 vcc_lo, exec_lo, s26
	s_cbranch_vccnz .LBB223_59
; %bb.58:
	global_load_u16 v1, v[4:5], off
	s_and_not1_b32 s0, s0, exec_lo
	s_wait_loadcnt 0x0
	v_cmp_ne_u16_e32 vcc_lo, 0, v1
	s_and_b32 s26, vcc_lo, exec_lo
	s_delay_alu instid0(SALU_CYCLE_1)
	s_or_b32 s0, s0, s26
.LBB223_59:
	s_mov_b32 s26, 0
.LBB223_60:
	s_delay_alu instid0(SALU_CYCLE_1)
	s_and_not1_b32 vcc_lo, exec_lo, s26
	s_cbranch_vccnz .LBB223_62
; %bb.61:
	global_load_u8 v1, v[4:5], off
	s_and_not1_b32 s0, s0, exec_lo
	s_wait_loadcnt 0x0
	v_cmp_ne_u16_e32 vcc_lo, 0, v1
	s_and_b32 s26, vcc_lo, exec_lo
	s_delay_alu instid0(SALU_CYCLE_1)
	s_or_b32 s0, s0, s26
.LBB223_62:
	s_mov_b32 s26, -1
.LBB223_63:
	s_branch .LBB223_88
.LBB223_64:
	s_cmp_gt_i32 s20, 22
	s_cbranch_scc0 .LBB223_68
; %bb.65:
	s_cmp_lt_i32 s20, 24
	s_cbranch_scc1 .LBB223_69
; %bb.66:
	s_cmp_gt_i32 s20, 24
	s_cbranch_scc0 .LBB223_70
; %bb.67:
	global_load_u8 v1, v[4:5], off
	s_mov_b32 s26, 0
	s_wait_loadcnt 0x0
	v_cmp_ne_u16_e64 s0, 0, v1
	s_branch .LBB223_71
.LBB223_68:
	s_mov_b32 s27, -1
                                        ; implicit-def: $sgpr0
	s_branch .LBB223_77
.LBB223_69:
	s_mov_b32 s26, -1
                                        ; implicit-def: $sgpr0
	s_branch .LBB223_74
.LBB223_70:
	s_mov_b32 s26, -1
                                        ; implicit-def: $sgpr0
.LBB223_71:
	s_delay_alu instid0(SALU_CYCLE_1)
	s_and_not1_b32 vcc_lo, exec_lo, s26
	s_cbranch_vccnz .LBB223_73
; %bb.72:
	global_load_u8 v1, v[4:5], off
	s_and_not1_b32 s0, s0, exec_lo
	s_wait_loadcnt 0x0
	v_and_b32_e32 v1, 0x7f, v1
	s_delay_alu instid0(VALU_DEP_1) | instskip(SKIP_1) | instid1(SALU_CYCLE_1)
	v_cmp_ne_u16_e32 vcc_lo, 0, v1
	s_and_b32 s26, vcc_lo, exec_lo
	s_or_b32 s0, s0, s26
.LBB223_73:
	s_mov_b32 s26, 0
.LBB223_74:
	s_delay_alu instid0(SALU_CYCLE_1)
	s_and_not1_b32 vcc_lo, exec_lo, s26
	s_cbranch_vccnz .LBB223_76
; %bb.75:
	global_load_u8 v1, v[4:5], off
	s_and_not1_b32 s0, s0, exec_lo
	s_wait_loadcnt 0x0
	v_dual_lshlrev_b32 v3, 25, v1 :: v_dual_lshlrev_b32 v1, 8, v1
	s_delay_alu instid0(VALU_DEP_1) | instskip(NEXT) | instid1(VALU_DEP_2)
	v_cmp_gt_u32_e32 vcc_lo, 0x8000000, v3
	v_and_or_b32 v1, 0x7f00, v1, 0.5
	s_delay_alu instid0(VALU_DEP_1) | instskip(NEXT) | instid1(VALU_DEP_1)
	v_dual_add_f32 v1, -0.5, v1 :: v_dual_lshrrev_b32 v6, 4, v3
	v_or_b32_e32 v6, 0x70000000, v6
	s_delay_alu instid0(VALU_DEP_1) | instskip(NEXT) | instid1(VALU_DEP_1)
	v_mul_f32_e32 v6, 0x7800000, v6
	v_cndmask_b32_e32 v1, v6, v1, vcc_lo
	s_delay_alu instid0(VALU_DEP_1) | instskip(SKIP_1) | instid1(SALU_CYCLE_1)
	v_cmp_neq_f32_e32 vcc_lo, 0, v1
	s_and_b32 s26, vcc_lo, exec_lo
	s_or_b32 s0, s0, s26
.LBB223_76:
	s_mov_b32 s27, 0
	s_mov_b32 s26, -1
.LBB223_77:
	s_and_not1_b32 vcc_lo, exec_lo, s27
	s_cbranch_vccnz .LBB223_88
; %bb.78:
	s_cmp_gt_i32 s20, 14
	s_cbranch_scc0 .LBB223_81
; %bb.79:
	s_cmp_eq_u32 s20, 15
	s_cbranch_scc0 .LBB223_82
; %bb.80:
	global_load_u16 v1, v[4:5], off
	s_mov_b32 s1, 0
	s_mov_b32 s26, -1
	s_wait_loadcnt 0x0
	v_and_b32_e32 v1, 0x7fff, v1
	s_delay_alu instid0(VALU_DEP_1)
	v_cmp_ne_u16_e64 s0, 0, v1
	s_branch .LBB223_83
.LBB223_81:
	s_mov_b32 s27, -1
                                        ; implicit-def: $sgpr0
	s_branch .LBB223_84
.LBB223_82:
	s_mov_b32 s1, -1
                                        ; implicit-def: $sgpr0
.LBB223_83:
	s_mov_b32 s27, 0
.LBB223_84:
	s_delay_alu instid0(SALU_CYCLE_1)
	s_and_b32 vcc_lo, exec_lo, s27
	s_cbranch_vccz .LBB223_88
; %bb.85:
	s_cmp_eq_u32 s20, 11
	s_cbranch_scc0 .LBB223_87
; %bb.86:
	global_load_u8 v1, v[4:5], off
	s_mov_b32 s1, 0
	s_mov_b32 s26, -1
	s_wait_loadcnt 0x0
	v_cmp_ne_u16_e64 s0, 0, v1
	s_branch .LBB223_88
.LBB223_87:
	s_mov_b32 s1, -1
                                        ; implicit-def: $sgpr0
.LBB223_88:
	s_branch .LBB223_25
.LBB223_89:
	s_cmp_lt_i32 s20, 5
	s_cbranch_scc1 .LBB223_94
; %bb.90:
	s_cmp_lt_i32 s20, 8
	s_cbranch_scc1 .LBB223_95
; %bb.91:
	;; [unrolled: 3-line block ×3, first 2 shown]
	s_cmp_gt_i32 s20, 9
	s_cbranch_scc0 .LBB223_97
; %bb.93:
	global_load_b128 v[6:9], v[4:5], off
	s_mov_b32 s26, 0
	s_wait_loadcnt 0x0
	v_cmp_neq_f64_e32 vcc_lo, 0, v[6:7]
	v_cmp_neq_f64_e64 s0, 0, v[8:9]
	s_or_b32 s0, vcc_lo, s0
	s_branch .LBB223_98
.LBB223_94:
                                        ; implicit-def: $sgpr0
	s_branch .LBB223_116
.LBB223_95:
	s_mov_b32 s26, -1
                                        ; implicit-def: $sgpr0
	s_branch .LBB223_104
.LBB223_96:
	s_mov_b32 s26, -1
                                        ; implicit-def: $sgpr0
	s_branch .LBB223_101
.LBB223_97:
	s_mov_b32 s26, -1
                                        ; implicit-def: $sgpr0
.LBB223_98:
	s_delay_alu instid0(SALU_CYCLE_1)
	s_and_not1_b32 vcc_lo, exec_lo, s26
	s_cbranch_vccnz .LBB223_100
; %bb.99:
	global_load_b64 v[6:7], v[4:5], off
	s_and_not1_b32 s0, s0, exec_lo
	s_wait_loadcnt 0x0
	v_bitop3_b32 v1, v6, 0x7fffffff, v7 bitop3:0xc8
	s_delay_alu instid0(VALU_DEP_1) | instskip(SKIP_1) | instid1(SALU_CYCLE_1)
	v_cmp_ne_u32_e32 vcc_lo, 0, v1
	s_and_b32 s26, vcc_lo, exec_lo
	s_or_b32 s0, s0, s26
.LBB223_100:
	s_mov_b32 s26, 0
.LBB223_101:
	s_delay_alu instid0(SALU_CYCLE_1)
	s_and_not1_b32 vcc_lo, exec_lo, s26
	s_cbranch_vccnz .LBB223_103
; %bb.102:
	global_load_b32 v1, v[4:5], off
	s_and_not1_b32 s0, s0, exec_lo
	s_wait_loadcnt 0x0
	v_and_b32_e32 v1, 0x7fff7fff, v1
	s_delay_alu instid0(VALU_DEP_1) | instskip(SKIP_1) | instid1(SALU_CYCLE_1)
	v_cmp_ne_u32_e32 vcc_lo, 0, v1
	s_and_b32 s26, vcc_lo, exec_lo
	s_or_b32 s0, s0, s26
.LBB223_103:
	s_mov_b32 s26, 0
.LBB223_104:
	s_delay_alu instid0(SALU_CYCLE_1)
	s_and_not1_b32 vcc_lo, exec_lo, s26
	s_cbranch_vccnz .LBB223_115
; %bb.105:
	s_cmp_lt_i32 s20, 6
	s_cbranch_scc1 .LBB223_108
; %bb.106:
	s_cmp_gt_i32 s20, 6
	s_cbranch_scc0 .LBB223_109
; %bb.107:
	global_load_b64 v[6:7], v[4:5], off
	s_mov_b32 s26, 0
	s_wait_loadcnt 0x0
	v_cmp_neq_f64_e64 s0, 0, v[6:7]
	s_branch .LBB223_110
.LBB223_108:
	s_mov_b32 s26, -1
                                        ; implicit-def: $sgpr0
	s_branch .LBB223_113
.LBB223_109:
	s_mov_b32 s26, -1
                                        ; implicit-def: $sgpr0
.LBB223_110:
	s_delay_alu instid0(SALU_CYCLE_1)
	s_and_not1_b32 vcc_lo, exec_lo, s26
	s_cbranch_vccnz .LBB223_112
; %bb.111:
	global_load_b32 v1, v[4:5], off
	s_and_not1_b32 s0, s0, exec_lo
	s_wait_loadcnt 0x0
	v_cmp_neq_f32_e32 vcc_lo, 0, v1
	s_and_b32 s26, vcc_lo, exec_lo
	s_delay_alu instid0(SALU_CYCLE_1)
	s_or_b32 s0, s0, s26
.LBB223_112:
	s_mov_b32 s26, 0
.LBB223_113:
	s_delay_alu instid0(SALU_CYCLE_1)
	s_and_not1_b32 vcc_lo, exec_lo, s26
	s_cbranch_vccnz .LBB223_115
; %bb.114:
	global_load_u16 v1, v[4:5], off
	s_and_not1_b32 s0, s0, exec_lo
	s_wait_loadcnt 0x0
	v_and_b32_e32 v1, 0x7fff, v1
	s_delay_alu instid0(VALU_DEP_1) | instskip(SKIP_1) | instid1(SALU_CYCLE_1)
	v_cmp_ne_u16_e32 vcc_lo, 0, v1
	s_and_b32 s26, vcc_lo, exec_lo
	s_or_b32 s0, s0, s26
.LBB223_115:
	s_cbranch_execnz .LBB223_135
.LBB223_116:
	s_cmp_lt_i32 s20, 2
	s_cbranch_scc1 .LBB223_120
; %bb.117:
	s_cmp_lt_i32 s20, 3
	s_cbranch_scc1 .LBB223_121
; %bb.118:
	s_cmp_gt_i32 s20, 3
	s_cbranch_scc0 .LBB223_122
; %bb.119:
	global_load_b64 v[6:7], v[4:5], off
	s_mov_b32 s26, 0
	s_wait_loadcnt 0x0
	v_cmp_ne_u64_e64 s0, 0, v[6:7]
	s_branch .LBB223_123
.LBB223_120:
	s_mov_b32 s26, -1
                                        ; implicit-def: $sgpr0
	s_branch .LBB223_129
.LBB223_121:
	s_mov_b32 s26, -1
                                        ; implicit-def: $sgpr0
	s_branch .LBB223_126
.LBB223_122:
	s_mov_b32 s26, -1
                                        ; implicit-def: $sgpr0
.LBB223_123:
	s_delay_alu instid0(SALU_CYCLE_1)
	s_and_not1_b32 vcc_lo, exec_lo, s26
	s_cbranch_vccnz .LBB223_125
; %bb.124:
	global_load_b32 v1, v[4:5], off
	s_and_not1_b32 s0, s0, exec_lo
	s_wait_loadcnt 0x0
	v_cmp_ne_u32_e32 vcc_lo, 0, v1
	s_and_b32 s26, vcc_lo, exec_lo
	s_delay_alu instid0(SALU_CYCLE_1)
	s_or_b32 s0, s0, s26
.LBB223_125:
	s_mov_b32 s26, 0
.LBB223_126:
	s_delay_alu instid0(SALU_CYCLE_1)
	s_and_not1_b32 vcc_lo, exec_lo, s26
	s_cbranch_vccnz .LBB223_128
; %bb.127:
	global_load_u16 v1, v[4:5], off
	s_and_not1_b32 s0, s0, exec_lo
	s_wait_loadcnt 0x0
	v_cmp_ne_u16_e32 vcc_lo, 0, v1
	s_and_b32 s26, vcc_lo, exec_lo
	s_delay_alu instid0(SALU_CYCLE_1)
	s_or_b32 s0, s0, s26
.LBB223_128:
	s_mov_b32 s26, 0
.LBB223_129:
	s_delay_alu instid0(SALU_CYCLE_1)
	s_and_not1_b32 vcc_lo, exec_lo, s26
	s_cbranch_vccnz .LBB223_135
; %bb.130:
	s_cmp_gt_i32 s20, 0
	s_mov_b32 s20, 0
	s_cbranch_scc0 .LBB223_132
; %bb.131:
	global_load_u8 v1, v[4:5], off
	s_wait_loadcnt 0x0
	v_cmp_ne_u16_e64 s0, 0, v1
	s_branch .LBB223_133
.LBB223_132:
	s_mov_b32 s20, -1
                                        ; implicit-def: $sgpr0
.LBB223_133:
	s_delay_alu instid0(SALU_CYCLE_1)
	s_and_not1_b32 vcc_lo, exec_lo, s20
	s_cbranch_vccnz .LBB223_135
; %bb.134:
	global_load_u8 v1, v[4:5], off
	s_and_not1_b32 s0, s0, exec_lo
	s_wait_loadcnt 0x0
	v_cmp_ne_u16_e32 vcc_lo, 0, v1
	s_and_b32 s20, vcc_lo, exec_lo
	s_delay_alu instid0(SALU_CYCLE_1)
	s_or_b32 s0, s0, s20
.LBB223_135:
	s_branch .LBB223_26
.LBB223_136:
	s_mov_b32 s0, 0
	s_mov_b32 s26, 0
                                        ; implicit-def: $vgpr0
	s_branch .LBB223_247
.LBB223_137:
	s_mov_b32 s28, -1
	s_mov_b32 s0, 0
	s_mov_b32 s27, 0
.LBB223_138:
	s_and_b32 vcc_lo, exec_lo, s28
	s_cbranch_vccz .LBB223_143
; %bb.139:
	s_cmp_eq_u32 s26, 44
	s_mov_b32 s0, -1
	s_cbranch_scc0 .LBB223_143
; %bb.140:
	v_cndmask_b32_e64 v5, 0, 1.0, s1
	s_mov_b32 s27, exec_lo
	s_wait_xcnt 0x0
	s_delay_alu instid0(VALU_DEP_1) | instskip(NEXT) | instid1(VALU_DEP_1)
	v_dual_mov_b32 v4, 0xff :: v_dual_lshrrev_b32 v1, 23, v5
	v_cmpx_ne_u32_e32 0xff, v1
; %bb.141:
	v_and_b32_e32 v4, 0x400000, v5
	v_and_or_b32 v5, 0x3fffff, v5, v1
	s_delay_alu instid0(VALU_DEP_2) | instskip(NEXT) | instid1(VALU_DEP_2)
	v_cmp_ne_u32_e32 vcc_lo, 0, v4
	v_cmp_ne_u32_e64 s0, 0, v5
	s_and_b32 s0, vcc_lo, s0
	s_delay_alu instid0(SALU_CYCLE_1) | instskip(NEXT) | instid1(VALU_DEP_1)
	v_cndmask_b32_e64 v4, 0, 1, s0
	v_add_nc_u32_e32 v4, v1, v4
; %bb.142:
	s_or_b32 exec_lo, exec_lo, s27
	s_mov_b32 s27, -1
	s_mov_b32 s0, 0
	global_store_b8 v[2:3], v4, off
.LBB223_143:
	s_mov_b32 s28, 0
.LBB223_144:
	s_delay_alu instid0(SALU_CYCLE_1)
	s_and_b32 vcc_lo, exec_lo, s28
	s_cbranch_vccz .LBB223_147
; %bb.145:
	s_cmp_eq_u32 s26, 29
	s_mov_b32 s0, -1
	s_cbranch_scc0 .LBB223_147
; %bb.146:
	s_mov_b32 s0, 0
	s_wait_xcnt 0x0
	v_cndmask_b32_e64 v4, 0, 1, s1
	v_mov_b32_e32 v5, s0
	s_mov_b32 s27, -1
	s_mov_b32 s28, 0
	global_store_b64 v[2:3], v[4:5], off
	s_branch .LBB223_148
.LBB223_147:
	s_mov_b32 s28, 0
.LBB223_148:
	s_delay_alu instid0(SALU_CYCLE_1)
	s_and_b32 vcc_lo, exec_lo, s28
	s_cbranch_vccz .LBB223_164
; %bb.149:
	s_cmp_lt_i32 s26, 27
	s_mov_b32 s27, -1
	s_cbranch_scc1 .LBB223_155
; %bb.150:
	s_cmp_gt_i32 s26, 27
	s_cbranch_scc0 .LBB223_152
; %bb.151:
	s_wait_xcnt 0x0
	v_cndmask_b32_e64 v1, 0, 1, s1
	s_mov_b32 s27, 0
	global_store_b32 v[2:3], v1, off
.LBB223_152:
	s_and_not1_b32 vcc_lo, exec_lo, s27
	s_cbranch_vccnz .LBB223_154
; %bb.153:
	s_wait_xcnt 0x0
	v_cndmask_b32_e64 v1, 0, 1, s1
	global_store_b16 v[2:3], v1, off
.LBB223_154:
	s_mov_b32 s27, 0
.LBB223_155:
	s_delay_alu instid0(SALU_CYCLE_1)
	s_and_not1_b32 vcc_lo, exec_lo, s27
	s_cbranch_vccnz .LBB223_163
; %bb.156:
	s_wait_xcnt 0x0
	v_cndmask_b32_e64 v4, 0, 1.0, s1
	v_mov_b32_e32 v5, 0x80
	s_mov_b32 s27, exec_lo
	s_delay_alu instid0(VALU_DEP_2)
	v_cmpx_gt_u32_e32 0x43800000, v4
	s_cbranch_execz .LBB223_162
; %bb.157:
	s_mov_b32 s28, 0
	s_mov_b32 s29, exec_lo
                                        ; implicit-def: $vgpr1
	v_cmpx_lt_u32_e32 0x3bffffff, v4
	s_xor_b32 s29, exec_lo, s29
	s_cbranch_execz .LBB223_291
; %bb.158:
	v_bfe_u32 v1, v4, 20, 1
	s_mov_b32 s28, exec_lo
	s_delay_alu instid0(VALU_DEP_1) | instskip(NEXT) | instid1(VALU_DEP_1)
	v_add3_u32 v1, v4, v1, 0x487ffff
                                        ; implicit-def: $vgpr4
	v_lshrrev_b32_e32 v1, 20, v1
	s_and_not1_saveexec_b32 s29, s29
	s_cbranch_execnz .LBB223_292
.LBB223_159:
	s_or_b32 exec_lo, exec_lo, s29
	v_mov_b32_e32 v5, 0
	s_and_saveexec_b32 s29, s28
.LBB223_160:
	v_mov_b32_e32 v5, v1
.LBB223_161:
	s_or_b32 exec_lo, exec_lo, s29
.LBB223_162:
	s_delay_alu instid0(SALU_CYCLE_1)
	s_or_b32 exec_lo, exec_lo, s27
	global_store_b8 v[2:3], v5, off
.LBB223_163:
	s_mov_b32 s27, -1
.LBB223_164:
	s_mov_b32 s28, 0
.LBB223_165:
	s_delay_alu instid0(SALU_CYCLE_1)
	s_and_b32 vcc_lo, exec_lo, s28
	s_cbranch_vccz .LBB223_206
; %bb.166:
	s_cmp_gt_i32 s26, 22
	s_mov_b32 s28, -1
	s_cbranch_scc0 .LBB223_198
; %bb.167:
	s_cmp_lt_i32 s26, 24
	s_mov_b32 s27, -1
	s_cbranch_scc1 .LBB223_187
; %bb.168:
	s_cmp_gt_i32 s26, 24
	s_cbranch_scc0 .LBB223_176
; %bb.169:
	s_wait_xcnt 0x0
	v_cndmask_b32_e64 v4, 0, 1.0, s1
	v_mov_b32_e32 v5, 0x80
	s_mov_b32 s27, exec_lo
	s_delay_alu instid0(VALU_DEP_2)
	v_cmpx_gt_u32_e32 0x47800000, v4
	s_cbranch_execz .LBB223_175
; %bb.170:
	s_mov_b32 s28, 0
	s_mov_b32 s29, exec_lo
                                        ; implicit-def: $vgpr1
	v_cmpx_lt_u32_e32 0x37ffffff, v4
	s_xor_b32 s29, exec_lo, s29
	s_cbranch_execz .LBB223_295
; %bb.171:
	v_bfe_u32 v1, v4, 21, 1
	s_mov_b32 s28, exec_lo
	s_delay_alu instid0(VALU_DEP_1) | instskip(NEXT) | instid1(VALU_DEP_1)
	v_add3_u32 v1, v4, v1, 0x88fffff
                                        ; implicit-def: $vgpr4
	v_lshrrev_b32_e32 v1, 21, v1
	s_and_not1_saveexec_b32 s29, s29
	s_cbranch_execnz .LBB223_296
.LBB223_172:
	s_or_b32 exec_lo, exec_lo, s29
	v_mov_b32_e32 v5, 0
	s_and_saveexec_b32 s29, s28
.LBB223_173:
	v_mov_b32_e32 v5, v1
.LBB223_174:
	s_or_b32 exec_lo, exec_lo, s29
.LBB223_175:
	s_delay_alu instid0(SALU_CYCLE_1)
	s_or_b32 exec_lo, exec_lo, s27
	s_mov_b32 s27, 0
	global_store_b8 v[2:3], v5, off
.LBB223_176:
	s_and_b32 vcc_lo, exec_lo, s27
	s_cbranch_vccz .LBB223_186
; %bb.177:
	s_wait_xcnt 0x0
	v_cndmask_b32_e64 v4, 0, 1.0, s1
	s_mov_b32 s27, exec_lo
                                        ; implicit-def: $vgpr1
	s_delay_alu instid0(VALU_DEP_1)
	v_cmpx_gt_u32_e32 0x43f00000, v4
	s_xor_b32 s27, exec_lo, s27
	s_cbranch_execz .LBB223_183
; %bb.178:
	s_mov_b32 s28, exec_lo
                                        ; implicit-def: $vgpr1
	v_cmpx_lt_u32_e32 0x3c7fffff, v4
	s_xor_b32 s28, exec_lo, s28
; %bb.179:
	v_bfe_u32 v1, v4, 20, 1
	s_delay_alu instid0(VALU_DEP_1) | instskip(NEXT) | instid1(VALU_DEP_1)
	v_add3_u32 v1, v4, v1, 0x407ffff
	v_and_b32_e32 v4, 0xff00000, v1
	v_lshrrev_b32_e32 v1, 20, v1
	s_delay_alu instid0(VALU_DEP_2) | instskip(NEXT) | instid1(VALU_DEP_2)
	v_cmp_ne_u32_e32 vcc_lo, 0x7f00000, v4
                                        ; implicit-def: $vgpr4
	v_cndmask_b32_e32 v1, 0x7e, v1, vcc_lo
; %bb.180:
	s_and_not1_saveexec_b32 s28, s28
; %bb.181:
	v_add_f32_e32 v1, 0x46800000, v4
; %bb.182:
	s_or_b32 exec_lo, exec_lo, s28
                                        ; implicit-def: $vgpr4
.LBB223_183:
	s_and_not1_saveexec_b32 s27, s27
; %bb.184:
	v_mov_b32_e32 v1, 0x7f
	v_cmp_lt_u32_e32 vcc_lo, 0x7f800000, v4
	s_delay_alu instid0(VALU_DEP_2)
	v_cndmask_b32_e32 v1, 0x7e, v1, vcc_lo
; %bb.185:
	s_or_b32 exec_lo, exec_lo, s27
	global_store_b8 v[2:3], v1, off
.LBB223_186:
	s_mov_b32 s27, 0
.LBB223_187:
	s_delay_alu instid0(SALU_CYCLE_1)
	s_and_not1_b32 vcc_lo, exec_lo, s27
	s_cbranch_vccnz .LBB223_197
; %bb.188:
	s_wait_xcnt 0x0
	v_cndmask_b32_e64 v4, 0, 1.0, s1
	s_mov_b32 s27, exec_lo
                                        ; implicit-def: $vgpr1
	s_delay_alu instid0(VALU_DEP_1)
	v_cmpx_gt_u32_e32 0x47800000, v4
	s_xor_b32 s27, exec_lo, s27
	s_cbranch_execz .LBB223_194
; %bb.189:
	s_mov_b32 s28, exec_lo
                                        ; implicit-def: $vgpr1
	v_cmpx_lt_u32_e32 0x387fffff, v4
	s_xor_b32 s28, exec_lo, s28
; %bb.190:
	v_bfe_u32 v1, v4, 21, 1
	s_delay_alu instid0(VALU_DEP_1) | instskip(NEXT) | instid1(VALU_DEP_1)
	v_add3_u32 v1, v4, v1, 0x80fffff
                                        ; implicit-def: $vgpr4
	v_lshrrev_b32_e32 v1, 21, v1
; %bb.191:
	s_and_not1_saveexec_b32 s28, s28
; %bb.192:
	v_add_f32_e32 v1, 0x43000000, v4
; %bb.193:
	s_or_b32 exec_lo, exec_lo, s28
                                        ; implicit-def: $vgpr4
.LBB223_194:
	s_and_not1_saveexec_b32 s27, s27
; %bb.195:
	v_mov_b32_e32 v1, 0x7f
	v_cmp_lt_u32_e32 vcc_lo, 0x7f800000, v4
	s_delay_alu instid0(VALU_DEP_2)
	v_cndmask_b32_e32 v1, 0x7c, v1, vcc_lo
; %bb.196:
	s_or_b32 exec_lo, exec_lo, s27
	global_store_b8 v[2:3], v1, off
.LBB223_197:
	s_mov_b32 s28, 0
	s_mov_b32 s27, -1
.LBB223_198:
	s_and_not1_b32 vcc_lo, exec_lo, s28
	s_cbranch_vccnz .LBB223_206
; %bb.199:
	s_cmp_gt_i32 s26, 14
	s_mov_b32 s28, -1
	s_cbranch_scc0 .LBB223_203
; %bb.200:
	s_cmp_eq_u32 s26, 15
	s_mov_b32 s0, -1
	s_cbranch_scc0 .LBB223_202
; %bb.201:
	s_wait_xcnt 0x0
	v_cndmask_b32_e64 v1, 0, 1.0, s1
	s_mov_b32 s27, -1
	s_mov_b32 s0, 0
	s_delay_alu instid0(VALU_DEP_1) | instskip(NEXT) | instid1(VALU_DEP_1)
	v_bfe_u32 v4, v1, 16, 1
	v_add3_u32 v1, v1, v4, 0x7fff
	global_store_d16_hi_b16 v[2:3], v1, off
.LBB223_202:
	s_mov_b32 s28, 0
.LBB223_203:
	s_delay_alu instid0(SALU_CYCLE_1)
	s_and_b32 vcc_lo, exec_lo, s28
	s_cbranch_vccz .LBB223_206
; %bb.204:
	s_cmp_eq_u32 s26, 11
	s_mov_b32 s0, -1
	s_cbranch_scc0 .LBB223_206
; %bb.205:
	s_wait_xcnt 0x0
	v_cndmask_b32_e64 v1, 0, 1, s1
	s_mov_b32 s27, -1
	s_mov_b32 s0, 0
	global_store_b8 v[2:3], v1, off
.LBB223_206:
	s_branch .LBB223_245
.LBB223_207:
	s_and_b32 s20, 0xffff, s20
	s_mov_b32 s26, -1
	s_cmp_lt_i32 s20, 5
	s_cbranch_scc1 .LBB223_228
; %bb.208:
	s_cmp_lt_i32 s20, 8
	s_cbranch_scc1 .LBB223_218
; %bb.209:
	;; [unrolled: 3-line block ×3, first 2 shown]
	s_cmp_gt_i32 s20, 9
	s_cbranch_scc0 .LBB223_212
; %bb.211:
	s_wait_xcnt 0x0
	v_cndmask_b32_e64 v1, 0, 1, s1
	v_mov_b32_e32 v6, 0
	s_mov_b32 s26, 0
	s_delay_alu instid0(VALU_DEP_2) | instskip(NEXT) | instid1(VALU_DEP_2)
	v_cvt_f64_u32_e32 v[4:5], v1
	v_mov_b32_e32 v7, v6
	global_store_b128 v[2:3], v[4:7], off
.LBB223_212:
	s_and_not1_b32 vcc_lo, exec_lo, s26
	s_cbranch_vccnz .LBB223_214
; %bb.213:
	s_wait_xcnt 0x0
	v_cndmask_b32_e64 v4, 0, 1.0, s1
	v_mov_b32_e32 v5, 0
	global_store_b64 v[2:3], v[4:5], off
.LBB223_214:
	s_mov_b32 s26, 0
.LBB223_215:
	s_delay_alu instid0(SALU_CYCLE_1)
	s_and_not1_b32 vcc_lo, exec_lo, s26
	s_cbranch_vccnz .LBB223_217
; %bb.216:
	s_wait_xcnt 0x0
	v_cndmask_b32_e64 v1, 0, 1.0, s1
	s_delay_alu instid0(VALU_DEP_1) | instskip(NEXT) | instid1(VALU_DEP_1)
	v_cvt_f16_f32_e32 v1, v1
	v_and_b32_e32 v1, 0xffff, v1
	global_store_b32 v[2:3], v1, off
.LBB223_217:
	s_mov_b32 s26, 0
.LBB223_218:
	s_delay_alu instid0(SALU_CYCLE_1)
	s_and_not1_b32 vcc_lo, exec_lo, s26
	s_cbranch_vccnz .LBB223_227
; %bb.219:
	s_cmp_lt_i32 s20, 6
	s_mov_b32 s26, -1
	s_cbranch_scc1 .LBB223_225
; %bb.220:
	s_cmp_gt_i32 s20, 6
	s_cbranch_scc0 .LBB223_222
; %bb.221:
	s_wait_xcnt 0x0
	v_cndmask_b32_e64 v1, 0, 1, s1
	s_mov_b32 s26, 0
	s_delay_alu instid0(VALU_DEP_1)
	v_cvt_f64_u32_e32 v[4:5], v1
	global_store_b64 v[2:3], v[4:5], off
.LBB223_222:
	s_and_not1_b32 vcc_lo, exec_lo, s26
	s_cbranch_vccnz .LBB223_224
; %bb.223:
	s_wait_xcnt 0x0
	v_cndmask_b32_e64 v1, 0, 1.0, s1
	global_store_b32 v[2:3], v1, off
.LBB223_224:
	s_mov_b32 s26, 0
.LBB223_225:
	s_delay_alu instid0(SALU_CYCLE_1)
	s_and_not1_b32 vcc_lo, exec_lo, s26
	s_cbranch_vccnz .LBB223_227
; %bb.226:
	s_wait_xcnt 0x0
	v_cndmask_b32_e64 v1, 0, 1.0, s1
	s_delay_alu instid0(VALU_DEP_1)
	v_cvt_f16_f32_e32 v1, v1
	global_store_b16 v[2:3], v1, off
.LBB223_227:
	s_mov_b32 s26, 0
.LBB223_228:
	s_delay_alu instid0(SALU_CYCLE_1)
	s_and_not1_b32 vcc_lo, exec_lo, s26
	s_cbranch_vccnz .LBB223_244
; %bb.229:
	s_cmp_lt_i32 s20, 2
	s_mov_b32 s26, -1
	s_cbranch_scc1 .LBB223_239
; %bb.230:
	s_cmp_lt_i32 s20, 3
	s_cbranch_scc1 .LBB223_236
; %bb.231:
	s_cmp_gt_i32 s20, 3
	s_cbranch_scc0 .LBB223_233
; %bb.232:
	s_mov_b32 s26, 0
	s_wait_xcnt 0x0
	v_cndmask_b32_e64 v4, 0, 1, s1
	v_mov_b32_e32 v5, s26
	global_store_b64 v[2:3], v[4:5], off
.LBB223_233:
	s_and_not1_b32 vcc_lo, exec_lo, s26
	s_cbranch_vccnz .LBB223_235
; %bb.234:
	s_wait_xcnt 0x0
	v_cndmask_b32_e64 v1, 0, 1, s1
	global_store_b32 v[2:3], v1, off
.LBB223_235:
	s_mov_b32 s26, 0
.LBB223_236:
	s_delay_alu instid0(SALU_CYCLE_1)
	s_and_not1_b32 vcc_lo, exec_lo, s26
	s_cbranch_vccnz .LBB223_238
; %bb.237:
	s_wait_xcnt 0x0
	v_cndmask_b32_e64 v1, 0, 1, s1
	global_store_b16 v[2:3], v1, off
.LBB223_238:
	s_mov_b32 s26, 0
.LBB223_239:
	s_delay_alu instid0(SALU_CYCLE_1)
	s_and_not1_b32 vcc_lo, exec_lo, s26
	s_cbranch_vccnz .LBB223_244
; %bb.240:
	s_cmp_gt_i32 s20, 0
	s_mov_b32 s20, -1
	s_cbranch_scc0 .LBB223_242
; %bb.241:
	s_wait_xcnt 0x0
	v_cndmask_b32_e64 v1, 0, 1, s1
	s_mov_b32 s20, 0
	global_store_b8 v[2:3], v1, off
.LBB223_242:
	s_and_not1_b32 vcc_lo, exec_lo, s20
	s_cbranch_vccnz .LBB223_244
; %bb.243:
	s_wait_xcnt 0x0
	v_cndmask_b32_e64 v1, 0, 1, s1
	global_store_b8 v[2:3], v1, off
.LBB223_244:
	s_mov_b32 s27, -1
.LBB223_245:
	s_mov_b32 s1, 0
	s_and_not1_b32 vcc_lo, exec_lo, s27
	s_mov_b32 s26, 0
	s_cbranch_vccnz .LBB223_247
; %bb.246:
	v_add_nc_u32_e32 v0, 0x80, v0
	s_mov_b32 s26, -1
.LBB223_247:
	s_and_b32 s20, s0, exec_lo
	s_and_b32 s40, s1, exec_lo
	s_or_not1_b32 s28, s26, exec_lo
.LBB223_248:
	s_wait_xcnt 0x0
	s_or_b32 exec_lo, exec_lo, s41
	s_mov_b32 s0, 0
	s_mov_b32 s27, 0
                                        ; implicit-def: $sgpr26
                                        ; implicit-def: $vgpr4_vgpr5
                                        ; implicit-def: $vgpr2
	s_and_saveexec_b32 s41, s28
	s_cbranch_execz .LBB223_256
; %bb.249:
	s_mov_b32 s28, -1
	s_mov_b32 s42, s40
	s_mov_b32 s43, s20
	s_mov_b32 s44, exec_lo
	v_cmpx_gt_i32_e64 s37, v0
	s_cbranch_execz .LBB223_507
; %bb.250:
	s_and_not1_b32 vcc_lo, exec_lo, s33
	s_cbranch_vccnz .LBB223_259
; %bb.251:
	s_and_not1_b32 vcc_lo, exec_lo, s39
	s_cbranch_vccnz .LBB223_260
; %bb.252:
	s_add_co_i32 s1, s38, 1
	s_cmp_eq_u32 s31, 2
	s_cbranch_scc1 .LBB223_261
; %bb.253:
	v_dual_mov_b32 v2, 0 :: v_dual_mov_b32 v4, 0
	v_mov_b32_e32 v1, v0
	s_and_b32 s0, s1, 28
	s_mov_b32 s42, 0
	s_mov_b64 s[26:27], s[16:17]
	s_mov_b64 s[28:29], s[24:25]
.LBB223_254:                            ; =>This Inner Loop Header: Depth=1
	s_clause 0x1
	s_load_b256 s[48:55], s[26:27], 0x4
	s_load_b128 s[64:67], s[26:27], 0x24
	s_load_b256 s[56:63], s[28:29], 0x0
	s_add_co_i32 s42, s42, 4
	s_wait_xcnt 0x0
	s_add_nc_u64 s[26:27], s[26:27], 48
	s_cmp_eq_u32 s0, s42
	s_add_nc_u64 s[28:29], s[28:29], 32
	s_wait_kmcnt 0x0
	v_mul_hi_u32 v3, s49, v1
	s_delay_alu instid0(VALU_DEP_1) | instskip(NEXT) | instid1(VALU_DEP_1)
	v_add_nc_u32_e32 v3, v1, v3
	v_lshrrev_b32_e32 v3, s50, v3
	s_delay_alu instid0(VALU_DEP_1) | instskip(NEXT) | instid1(VALU_DEP_1)
	v_mul_hi_u32 v5, s52, v3
	v_add_nc_u32_e32 v5, v3, v5
	s_delay_alu instid0(VALU_DEP_1) | instskip(NEXT) | instid1(VALU_DEP_1)
	v_lshrrev_b32_e32 v5, s53, v5
	v_mul_hi_u32 v6, s55, v5
	s_delay_alu instid0(VALU_DEP_1) | instskip(SKIP_1) | instid1(VALU_DEP_1)
	v_add_nc_u32_e32 v6, v5, v6
	v_mul_lo_u32 v7, v3, s48
	v_sub_nc_u32_e32 v1, v1, v7
	v_mul_lo_u32 v7, v5, s51
	s_delay_alu instid0(VALU_DEP_4) | instskip(NEXT) | instid1(VALU_DEP_3)
	v_lshrrev_b32_e32 v6, s64, v6
	v_mad_u32 v4, v1, s57, v4
	v_mad_u32 v1, v1, s56, v2
	s_delay_alu instid0(VALU_DEP_4) | instskip(NEXT) | instid1(VALU_DEP_4)
	v_sub_nc_u32_e32 v2, v3, v7
	v_mul_hi_u32 v8, s66, v6
	v_mul_lo_u32 v3, v6, s54
	s_delay_alu instid0(VALU_DEP_3) | instskip(SKIP_1) | instid1(VALU_DEP_3)
	v_mad_u32 v4, v2, s59, v4
	v_mad_u32 v2, v2, s58, v1
	v_dual_add_nc_u32 v7, v6, v8 :: v_dual_sub_nc_u32 v3, v5, v3
	s_delay_alu instid0(VALU_DEP_1) | instskip(NEXT) | instid1(VALU_DEP_2)
	v_lshrrev_b32_e32 v1, s67, v7
	v_mad_u32 v4, v3, s61, v4
	s_delay_alu instid0(VALU_DEP_4) | instskip(NEXT) | instid1(VALU_DEP_3)
	v_mad_u32 v2, v3, s60, v2
	v_mul_lo_u32 v5, v1, s65
	s_delay_alu instid0(VALU_DEP_1) | instskip(NEXT) | instid1(VALU_DEP_1)
	v_sub_nc_u32_e32 v3, v6, v5
	v_mad_u32 v4, v3, s63, v4
	s_delay_alu instid0(VALU_DEP_4)
	v_mad_u32 v2, v3, s62, v2
	s_cbranch_scc0 .LBB223_254
; %bb.255:
	s_delay_alu instid0(VALU_DEP_2)
	v_mov_b32_e32 v3, v4
	s_branch .LBB223_262
.LBB223_256:
	s_or_b32 exec_lo, exec_lo, s41
	s_mov_b32 s1, 0
	s_and_saveexec_b32 s6, s40
	s_cbranch_execnz .LBB223_851
.LBB223_257:
	s_or_b32 exec_lo, exec_lo, s6
	s_and_saveexec_b32 s6, s19
	s_delay_alu instid0(SALU_CYCLE_1)
	s_xor_b32 s6, exec_lo, s6
	s_cbranch_execz .LBB223_852
.LBB223_258:
	global_load_u8 v0, v[4:5], off
	s_and_not1_b32 s7, s26, exec_lo
	s_or_b32 s27, s27, exec_lo
	s_wait_loadcnt 0x0
	v_cmp_ne_u16_e32 vcc_lo, 0, v0
	s_and_b32 s8, vcc_lo, exec_lo
	s_delay_alu instid0(SALU_CYCLE_1)
	s_or_b32 s26, s7, s8
	s_wait_xcnt 0x0
	s_or_b32 exec_lo, exec_lo, s6
	s_and_saveexec_b32 s6, s0
	s_cbranch_execz .LBB223_898
	s_branch .LBB223_853
.LBB223_259:
                                        ; implicit-def: $vgpr4
                                        ; implicit-def: $vgpr2
	s_branch .LBB223_267
.LBB223_260:
	v_dual_mov_b32 v4, 0 :: v_dual_mov_b32 v2, 0
	s_branch .LBB223_266
.LBB223_261:
	v_mov_b64_e32 v[2:3], 0
	v_mov_b32_e32 v1, v0
                                        ; implicit-def: $vgpr4
.LBB223_262:
	s_and_b32 s28, s1, 3
	s_mov_b32 s1, 0
	s_cmp_eq_u32 s28, 0
	s_cbranch_scc1 .LBB223_266
; %bb.263:
	s_lshl_b32 s26, s0, 3
	s_mov_b32 s27, s1
	s_mul_u64 s[42:43], s[0:1], 12
	s_add_nc_u64 s[26:27], s[16:17], s[26:27]
	s_delay_alu instid0(SALU_CYCLE_1)
	s_add_nc_u64 s[0:1], s[26:27], 0xc4
	s_add_nc_u64 s[26:27], s[16:17], s[42:43]
.LBB223_264:                            ; =>This Inner Loop Header: Depth=1
	s_load_b96 s[48:50], s[26:27], 0x4
	s_load_b64 s[42:43], s[0:1], 0x0
	s_add_co_i32 s28, s28, -1
	s_wait_xcnt 0x0
	s_add_nc_u64 s[26:27], s[26:27], 12
	s_cmp_lg_u32 s28, 0
	s_add_nc_u64 s[0:1], s[0:1], 8
	s_wait_kmcnt 0x0
	v_mul_hi_u32 v4, s49, v1
	s_delay_alu instid0(VALU_DEP_1) | instskip(NEXT) | instid1(VALU_DEP_1)
	v_add_nc_u32_e32 v4, v1, v4
	v_lshrrev_b32_e32 v4, s50, v4
	s_delay_alu instid0(VALU_DEP_1) | instskip(NEXT) | instid1(VALU_DEP_1)
	v_mul_lo_u32 v5, v4, s48
	v_sub_nc_u32_e32 v1, v1, v5
	s_delay_alu instid0(VALU_DEP_1)
	v_mad_u32 v3, v1, s43, v3
	v_mad_u32 v2, v1, s42, v2
	v_mov_b32_e32 v1, v4
	s_cbranch_scc1 .LBB223_264
; %bb.265:
	s_delay_alu instid0(VALU_DEP_3)
	v_mov_b32_e32 v4, v3
.LBB223_266:
	s_cbranch_execnz .LBB223_269
.LBB223_267:
	v_mov_b32_e32 v1, 0
	s_and_not1_b32 vcc_lo, exec_lo, s36
	s_delay_alu instid0(VALU_DEP_1) | instskip(NEXT) | instid1(VALU_DEP_1)
	v_mul_u64_e32 v[2:3], s[18:19], v[0:1]
	v_add_nc_u32_e32 v2, v0, v3
	s_delay_alu instid0(VALU_DEP_1) | instskip(NEXT) | instid1(VALU_DEP_1)
	v_lshrrev_b32_e32 v6, s10, v2
	v_mul_lo_u32 v2, v6, s8
	s_delay_alu instid0(VALU_DEP_1) | instskip(NEXT) | instid1(VALU_DEP_1)
	v_sub_nc_u32_e32 v2, v0, v2
	v_mul_lo_u32 v4, v2, s13
	v_mul_lo_u32 v2, v2, s12
	s_cbranch_vccnz .LBB223_269
; %bb.268:
	v_mov_b32_e32 v7, v1
	s_delay_alu instid0(VALU_DEP_1) | instskip(NEXT) | instid1(VALU_DEP_1)
	v_mul_u64_e32 v[8:9], s[22:23], v[6:7]
	v_add_nc_u32_e32 v1, v6, v9
	s_delay_alu instid0(VALU_DEP_1) | instskip(NEXT) | instid1(VALU_DEP_1)
	v_lshrrev_b32_e32 v1, s21, v1
	v_mul_lo_u32 v1, v1, s11
	s_delay_alu instid0(VALU_DEP_1) | instskip(NEXT) | instid1(VALU_DEP_1)
	v_sub_nc_u32_e32 v1, v6, v1
	v_mad_u32 v2, v1, s14, v2
	v_mad_u32 v4, v1, s15, v4
.LBB223_269:
	v_mov_b32_e32 v5, 0
	s_and_b32 s26, 0xffff, s35
	s_delay_alu instid0(SALU_CYCLE_1) | instskip(NEXT) | instid1(VALU_DEP_1)
	s_cmp_lt_i32 s26, 11
	v_add_nc_u64_e32 v[4:5], s[6:7], v[4:5]
	s_cbranch_scc1 .LBB223_276
; %bb.270:
	s_cmp_gt_i32 s26, 25
	s_cbranch_scc0 .LBB223_285
; %bb.271:
	s_cmp_gt_i32 s26, 28
	s_cbranch_scc0 .LBB223_287
	;; [unrolled: 3-line block ×4, first 2 shown]
; %bb.274:
	s_cmp_eq_u32 s26, 46
	s_mov_b32 s28, 0
	s_cbranch_scc0 .LBB223_297
; %bb.275:
	global_load_b32 v1, v[4:5], off
	s_mov_b32 s1, 0
	s_mov_b32 s27, -1
	s_wait_loadcnt 0x0
	v_and_b32_e32 v1, 0x7fff7fff, v1
	s_delay_alu instid0(VALU_DEP_1)
	v_cmp_ne_u32_e64 s0, 0, v1
	s_branch .LBB223_299
.LBB223_276:
	s_mov_b32 s27, 0
	s_mov_b32 s1, s40
                                        ; implicit-def: $sgpr0
	s_cbranch_execnz .LBB223_346
.LBB223_277:
	s_and_not1_b32 vcc_lo, exec_lo, s27
	s_cbranch_vccnz .LBB223_394
.LBB223_278:
	v_mov_b32_e32 v3, 0
	s_and_b32 s26, s2, 0xff
	s_delay_alu instid0(VALU_DEP_2) | instskip(SKIP_1) | instid1(VALU_DEP_1)
	s_xor_b32 s1, s0, s9
	s_cmp_lt_i32 s26, 11
	v_add_nc_u64_e32 v[2:3], s[4:5], v[2:3]
	s_cbranch_scc1 .LBB223_286
; %bb.279:
	s_and_b32 s27, 0xffff, s26
	s_delay_alu instid0(SALU_CYCLE_1)
	s_cmp_gt_i32 s27, 25
	s_cbranch_scc0 .LBB223_288
; %bb.280:
	s_cmp_gt_i32 s27, 28
	s_cbranch_scc0 .LBB223_290
; %bb.281:
	;; [unrolled: 3-line block ×4, first 2 shown]
	s_mov_b32 s29, 0
	s_mov_b32 s0, -1
	s_cmp_eq_u32 s27, 46
	s_mov_b32 s28, 0
	s_cbranch_scc0 .LBB223_396
; %bb.284:
	v_cndmask_b32_e64 v1, 0, 1.0, s1
	s_mov_b32 s28, -1
	s_mov_b32 s0, 0
	s_wait_xcnt 0x0
	s_delay_alu instid0(VALU_DEP_1) | instskip(NEXT) | instid1(VALU_DEP_1)
	v_bfe_u32 v4, v1, 16, 1
	v_add3_u32 v1, v1, v4, 0x7fff
	s_delay_alu instid0(VALU_DEP_1)
	v_lshrrev_b32_e32 v1, 16, v1
	global_store_b32 v[2:3], v1, off
	s_branch .LBB223_396
.LBB223_285:
	s_mov_b32 s28, -1
	s_mov_b32 s27, 0
	s_mov_b32 s1, s40
                                        ; implicit-def: $sgpr0
	s_branch .LBB223_320
.LBB223_286:
	s_mov_b32 s27, -1
	s_mov_b32 s28, 0
	s_mov_b32 s0, s20
	s_branch .LBB223_465
.LBB223_287:
	s_mov_b32 s28, -1
	s_mov_b32 s27, 0
	s_mov_b32 s1, s40
                                        ; implicit-def: $sgpr0
	s_branch .LBB223_307
.LBB223_288:
	s_mov_b32 s29, -1
	s_mov_b32 s28, 0
	s_mov_b32 s0, s20
	s_branch .LBB223_423
.LBB223_289:
	s_mov_b32 s28, -1
	s_mov_b32 s27, 0
	s_mov_b32 s1, s40
                                        ; implicit-def: $sgpr0
	s_branch .LBB223_302
.LBB223_290:
	s_mov_b32 s29, -1
	s_mov_b32 s28, 0
	s_mov_b32 s0, s20
	s_branch .LBB223_406
.LBB223_291:
	s_and_not1_saveexec_b32 s29, s29
	s_cbranch_execz .LBB223_159
.LBB223_292:
	v_add_f32_e32 v1, 0x46000000, v4
	s_and_not1_b32 s28, s28, exec_lo
	s_delay_alu instid0(VALU_DEP_1) | instskip(NEXT) | instid1(VALU_DEP_1)
	v_and_b32_e32 v1, 0xff, v1
	v_cmp_ne_u32_e32 vcc_lo, 0, v1
	s_and_b32 s40, vcc_lo, exec_lo
	s_delay_alu instid0(SALU_CYCLE_1)
	s_or_b32 s28, s28, s40
	s_or_b32 exec_lo, exec_lo, s29
	v_mov_b32_e32 v5, 0
	s_and_saveexec_b32 s29, s28
	s_cbranch_execnz .LBB223_160
	s_branch .LBB223_161
.LBB223_293:
	s_mov_b32 s28, -1
	s_mov_b32 s27, 0
	s_mov_b32 s1, s40
	s_branch .LBB223_298
.LBB223_294:
	s_mov_b32 s29, -1
	s_mov_b32 s28, 0
	s_mov_b32 s0, s20
	s_branch .LBB223_402
.LBB223_295:
	s_and_not1_saveexec_b32 s29, s29
	s_cbranch_execz .LBB223_172
.LBB223_296:
	v_add_f32_e32 v1, 0x42800000, v4
	s_and_not1_b32 s28, s28, exec_lo
	s_delay_alu instid0(VALU_DEP_1) | instskip(NEXT) | instid1(VALU_DEP_1)
	v_and_b32_e32 v1, 0xff, v1
	v_cmp_ne_u32_e32 vcc_lo, 0, v1
	s_and_b32 s40, vcc_lo, exec_lo
	s_delay_alu instid0(SALU_CYCLE_1)
	s_or_b32 s28, s28, s40
	s_or_b32 exec_lo, exec_lo, s29
	v_mov_b32_e32 v5, 0
	s_and_saveexec_b32 s29, s28
	s_cbranch_execnz .LBB223_173
	s_branch .LBB223_174
.LBB223_297:
	s_mov_b32 s1, -1
	s_mov_b32 s27, 0
.LBB223_298:
                                        ; implicit-def: $sgpr0
.LBB223_299:
	s_and_b32 vcc_lo, exec_lo, s28
	s_cbranch_vccz .LBB223_301
; %bb.300:
	s_cmp_eq_u32 s26, 44
	s_cselect_b32 s27, -1, 0
	s_or_b32 s0, s0, exec_lo
	s_or_b32 s1, s1, exec_lo
.LBB223_301:
	s_mov_b32 s28, 0
.LBB223_302:
	s_delay_alu instid0(SALU_CYCLE_1)
	s_and_b32 vcc_lo, exec_lo, s28
	s_cbranch_vccz .LBB223_306
; %bb.303:
	s_cmp_eq_u32 s26, 29
	s_cbranch_scc0 .LBB223_305
; %bb.304:
	global_load_b64 v[6:7], v[4:5], off
	s_mov_b32 s27, -1
	s_mov_b32 s1, 0
	s_mov_b32 s28, 0
	s_wait_loadcnt 0x0
	v_cmp_ne_u64_e64 s0, 0, v[6:7]
	s_branch .LBB223_307
.LBB223_305:
	s_mov_b32 s1, -1
                                        ; implicit-def: $sgpr0
.LBB223_306:
	s_mov_b32 s28, 0
.LBB223_307:
	s_delay_alu instid0(SALU_CYCLE_1)
	s_and_b32 vcc_lo, exec_lo, s28
	s_cbranch_vccz .LBB223_319
; %bb.308:
	s_cmp_lt_i32 s26, 27
	s_cbranch_scc1 .LBB223_311
; %bb.309:
	s_cmp_gt_i32 s26, 27
	s_cbranch_scc0 .LBB223_312
; %bb.310:
	global_load_b32 v1, v[4:5], off
	s_mov_b32 s27, 0
	s_wait_loadcnt 0x0
	v_cmp_ne_u32_e64 s0, 0, v1
	s_branch .LBB223_313
.LBB223_311:
	s_mov_b32 s27, -1
                                        ; implicit-def: $sgpr0
	s_branch .LBB223_316
.LBB223_312:
	s_mov_b32 s27, -1
                                        ; implicit-def: $sgpr0
.LBB223_313:
	s_delay_alu instid0(SALU_CYCLE_1)
	s_and_not1_b32 vcc_lo, exec_lo, s27
	s_cbranch_vccnz .LBB223_315
; %bb.314:
	global_load_u16 v1, v[4:5], off
	s_and_not1_b32 s0, s0, exec_lo
	s_wait_loadcnt 0x0
	v_cmp_ne_u16_e32 vcc_lo, 0, v1
	s_and_b32 s27, vcc_lo, exec_lo
	s_delay_alu instid0(SALU_CYCLE_1)
	s_or_b32 s0, s0, s27
.LBB223_315:
	s_mov_b32 s27, 0
.LBB223_316:
	s_delay_alu instid0(SALU_CYCLE_1)
	s_and_not1_b32 vcc_lo, exec_lo, s27
	s_cbranch_vccnz .LBB223_318
; %bb.317:
	global_load_u8 v1, v[4:5], off
	s_and_not1_b32 s0, s0, exec_lo
	s_wait_loadcnt 0x0
	v_cmp_ne_u16_e32 vcc_lo, 0, v1
	s_and_b32 s27, vcc_lo, exec_lo
	s_delay_alu instid0(SALU_CYCLE_1)
	s_or_b32 s0, s0, s27
.LBB223_318:
	s_mov_b32 s27, -1
.LBB223_319:
	s_mov_b32 s28, 0
.LBB223_320:
	s_delay_alu instid0(SALU_CYCLE_1)
	s_and_b32 vcc_lo, exec_lo, s28
	s_cbranch_vccz .LBB223_345
; %bb.321:
	s_cmp_gt_i32 s26, 22
	s_cbranch_scc0 .LBB223_325
; %bb.322:
	s_cmp_lt_i32 s26, 24
	s_cbranch_scc1 .LBB223_326
; %bb.323:
	s_cmp_gt_i32 s26, 24
	s_cbranch_scc0 .LBB223_327
; %bb.324:
	global_load_u8 v1, v[4:5], off
	s_mov_b32 s27, 0
	s_wait_loadcnt 0x0
	v_cmp_ne_u16_e64 s0, 0, v1
	s_branch .LBB223_328
.LBB223_325:
	s_mov_b32 s28, -1
                                        ; implicit-def: $sgpr0
	s_branch .LBB223_334
.LBB223_326:
	s_mov_b32 s27, -1
                                        ; implicit-def: $sgpr0
	s_branch .LBB223_331
.LBB223_327:
	s_mov_b32 s27, -1
                                        ; implicit-def: $sgpr0
.LBB223_328:
	s_delay_alu instid0(SALU_CYCLE_1)
	s_and_not1_b32 vcc_lo, exec_lo, s27
	s_cbranch_vccnz .LBB223_330
; %bb.329:
	global_load_u8 v1, v[4:5], off
	s_and_not1_b32 s0, s0, exec_lo
	s_wait_loadcnt 0x0
	v_and_b32_e32 v1, 0x7f, v1
	s_delay_alu instid0(VALU_DEP_1) | instskip(SKIP_1) | instid1(SALU_CYCLE_1)
	v_cmp_ne_u16_e32 vcc_lo, 0, v1
	s_and_b32 s27, vcc_lo, exec_lo
	s_or_b32 s0, s0, s27
.LBB223_330:
	s_mov_b32 s27, 0
.LBB223_331:
	s_delay_alu instid0(SALU_CYCLE_1)
	s_and_not1_b32 vcc_lo, exec_lo, s27
	s_cbranch_vccnz .LBB223_333
; %bb.332:
	global_load_u8 v1, v[4:5], off
	s_and_not1_b32 s0, s0, exec_lo
	s_wait_loadcnt 0x0
	v_dual_lshlrev_b32 v3, 25, v1 :: v_dual_lshlrev_b32 v1, 8, v1
	s_delay_alu instid0(VALU_DEP_1) | instskip(NEXT) | instid1(VALU_DEP_2)
	v_cmp_gt_u32_e32 vcc_lo, 0x8000000, v3
	v_and_or_b32 v1, 0x7f00, v1, 0.5
	s_delay_alu instid0(VALU_DEP_1) | instskip(NEXT) | instid1(VALU_DEP_1)
	v_dual_add_f32 v1, -0.5, v1 :: v_dual_lshrrev_b32 v6, 4, v3
	v_or_b32_e32 v6, 0x70000000, v6
	s_delay_alu instid0(VALU_DEP_1) | instskip(NEXT) | instid1(VALU_DEP_1)
	v_mul_f32_e32 v6, 0x7800000, v6
	v_cndmask_b32_e32 v1, v6, v1, vcc_lo
	s_delay_alu instid0(VALU_DEP_1) | instskip(SKIP_1) | instid1(SALU_CYCLE_1)
	v_cmp_neq_f32_e32 vcc_lo, 0, v1
	s_and_b32 s27, vcc_lo, exec_lo
	s_or_b32 s0, s0, s27
.LBB223_333:
	s_mov_b32 s28, 0
	s_mov_b32 s27, -1
.LBB223_334:
	s_and_not1_b32 vcc_lo, exec_lo, s28
	s_cbranch_vccnz .LBB223_345
; %bb.335:
	s_cmp_gt_i32 s26, 14
	s_cbranch_scc0 .LBB223_338
; %bb.336:
	s_cmp_eq_u32 s26, 15
	s_cbranch_scc0 .LBB223_339
; %bb.337:
	global_load_u16 v1, v[4:5], off
	s_mov_b32 s1, 0
	s_mov_b32 s27, -1
	s_wait_loadcnt 0x0
	v_and_b32_e32 v1, 0x7fff, v1
	s_delay_alu instid0(VALU_DEP_1)
	v_cmp_ne_u16_e64 s0, 0, v1
	s_branch .LBB223_340
.LBB223_338:
	s_mov_b32 s28, -1
                                        ; implicit-def: $sgpr0
	s_branch .LBB223_341
.LBB223_339:
	s_mov_b32 s1, -1
                                        ; implicit-def: $sgpr0
.LBB223_340:
	s_mov_b32 s28, 0
.LBB223_341:
	s_delay_alu instid0(SALU_CYCLE_1)
	s_and_b32 vcc_lo, exec_lo, s28
	s_cbranch_vccz .LBB223_345
; %bb.342:
	s_cmp_eq_u32 s26, 11
	s_cbranch_scc0 .LBB223_344
; %bb.343:
	global_load_u8 v1, v[4:5], off
	s_mov_b32 s1, 0
	s_mov_b32 s27, -1
	s_wait_loadcnt 0x0
	v_cmp_ne_u16_e64 s0, 0, v1
	s_branch .LBB223_345
.LBB223_344:
	s_mov_b32 s1, -1
                                        ; implicit-def: $sgpr0
.LBB223_345:
	s_branch .LBB223_277
.LBB223_346:
	s_cmp_lt_i32 s26, 5
	s_cbranch_scc1 .LBB223_351
; %bb.347:
	s_cmp_lt_i32 s26, 8
	s_cbranch_scc1 .LBB223_352
; %bb.348:
	;; [unrolled: 3-line block ×3, first 2 shown]
	s_cmp_gt_i32 s26, 9
	s_cbranch_scc0 .LBB223_354
; %bb.350:
	global_load_b128 v[6:9], v[4:5], off
	s_mov_b32 s27, 0
	s_wait_loadcnt 0x0
	v_cmp_neq_f64_e32 vcc_lo, 0, v[6:7]
	v_cmp_neq_f64_e64 s0, 0, v[8:9]
	s_or_b32 s0, vcc_lo, s0
	s_branch .LBB223_355
.LBB223_351:
	s_mov_b32 s27, -1
                                        ; implicit-def: $sgpr0
	s_branch .LBB223_373
.LBB223_352:
	s_mov_b32 s27, -1
                                        ; implicit-def: $sgpr0
	s_branch .LBB223_361
.LBB223_353:
	s_mov_b32 s27, -1
                                        ; implicit-def: $sgpr0
	s_branch .LBB223_358
.LBB223_354:
	s_mov_b32 s27, -1
                                        ; implicit-def: $sgpr0
.LBB223_355:
	s_delay_alu instid0(SALU_CYCLE_1)
	s_and_not1_b32 vcc_lo, exec_lo, s27
	s_cbranch_vccnz .LBB223_357
; %bb.356:
	global_load_b64 v[6:7], v[4:5], off
	s_and_not1_b32 s0, s0, exec_lo
	s_wait_loadcnt 0x0
	v_bitop3_b32 v1, v6, 0x7fffffff, v7 bitop3:0xc8
	s_delay_alu instid0(VALU_DEP_1) | instskip(SKIP_1) | instid1(SALU_CYCLE_1)
	v_cmp_ne_u32_e32 vcc_lo, 0, v1
	s_and_b32 s27, vcc_lo, exec_lo
	s_or_b32 s0, s0, s27
.LBB223_357:
	s_mov_b32 s27, 0
.LBB223_358:
	s_delay_alu instid0(SALU_CYCLE_1)
	s_and_not1_b32 vcc_lo, exec_lo, s27
	s_cbranch_vccnz .LBB223_360
; %bb.359:
	global_load_b32 v1, v[4:5], off
	s_and_not1_b32 s0, s0, exec_lo
	s_wait_loadcnt 0x0
	v_and_b32_e32 v1, 0x7fff7fff, v1
	s_delay_alu instid0(VALU_DEP_1) | instskip(SKIP_1) | instid1(SALU_CYCLE_1)
	v_cmp_ne_u32_e32 vcc_lo, 0, v1
	s_and_b32 s27, vcc_lo, exec_lo
	s_or_b32 s0, s0, s27
.LBB223_360:
	s_mov_b32 s27, 0
.LBB223_361:
	s_delay_alu instid0(SALU_CYCLE_1)
	s_and_not1_b32 vcc_lo, exec_lo, s27
	s_cbranch_vccnz .LBB223_372
; %bb.362:
	s_cmp_lt_i32 s26, 6
	s_cbranch_scc1 .LBB223_365
; %bb.363:
	s_cmp_gt_i32 s26, 6
	s_cbranch_scc0 .LBB223_366
; %bb.364:
	global_load_b64 v[6:7], v[4:5], off
	s_mov_b32 s27, 0
	s_wait_loadcnt 0x0
	v_cmp_neq_f64_e64 s0, 0, v[6:7]
	s_branch .LBB223_367
.LBB223_365:
	s_mov_b32 s27, -1
                                        ; implicit-def: $sgpr0
	s_branch .LBB223_370
.LBB223_366:
	s_mov_b32 s27, -1
                                        ; implicit-def: $sgpr0
.LBB223_367:
	s_delay_alu instid0(SALU_CYCLE_1)
	s_and_not1_b32 vcc_lo, exec_lo, s27
	s_cbranch_vccnz .LBB223_369
; %bb.368:
	global_load_b32 v1, v[4:5], off
	s_and_not1_b32 s0, s0, exec_lo
	s_wait_loadcnt 0x0
	v_cmp_neq_f32_e32 vcc_lo, 0, v1
	s_and_b32 s27, vcc_lo, exec_lo
	s_delay_alu instid0(SALU_CYCLE_1)
	s_or_b32 s0, s0, s27
.LBB223_369:
	s_mov_b32 s27, 0
.LBB223_370:
	s_delay_alu instid0(SALU_CYCLE_1)
	s_and_not1_b32 vcc_lo, exec_lo, s27
	s_cbranch_vccnz .LBB223_372
; %bb.371:
	global_load_u16 v1, v[4:5], off
	s_and_not1_b32 s0, s0, exec_lo
	s_wait_loadcnt 0x0
	v_and_b32_e32 v1, 0x7fff, v1
	s_delay_alu instid0(VALU_DEP_1) | instskip(SKIP_1) | instid1(SALU_CYCLE_1)
	v_cmp_ne_u16_e32 vcc_lo, 0, v1
	s_and_b32 s27, vcc_lo, exec_lo
	s_or_b32 s0, s0, s27
.LBB223_372:
	s_mov_b32 s27, 0
.LBB223_373:
	s_delay_alu instid0(SALU_CYCLE_1)
	s_and_not1_b32 vcc_lo, exec_lo, s27
	s_cbranch_vccnz .LBB223_393
; %bb.374:
	s_cmp_lt_i32 s26, 2
	s_cbranch_scc1 .LBB223_378
; %bb.375:
	s_cmp_lt_i32 s26, 3
	s_cbranch_scc1 .LBB223_379
; %bb.376:
	s_cmp_gt_i32 s26, 3
	s_cbranch_scc0 .LBB223_380
; %bb.377:
	global_load_b64 v[6:7], v[4:5], off
	s_mov_b32 s27, 0
	s_wait_loadcnt 0x0
	v_cmp_ne_u64_e64 s0, 0, v[6:7]
	s_branch .LBB223_381
.LBB223_378:
	s_mov_b32 s27, -1
                                        ; implicit-def: $sgpr0
	s_branch .LBB223_387
.LBB223_379:
	s_mov_b32 s27, -1
                                        ; implicit-def: $sgpr0
	s_branch .LBB223_384
.LBB223_380:
	s_mov_b32 s27, -1
                                        ; implicit-def: $sgpr0
.LBB223_381:
	s_delay_alu instid0(SALU_CYCLE_1)
	s_and_not1_b32 vcc_lo, exec_lo, s27
	s_cbranch_vccnz .LBB223_383
; %bb.382:
	global_load_b32 v1, v[4:5], off
	s_and_not1_b32 s0, s0, exec_lo
	s_wait_loadcnt 0x0
	v_cmp_ne_u32_e32 vcc_lo, 0, v1
	s_and_b32 s27, vcc_lo, exec_lo
	s_delay_alu instid0(SALU_CYCLE_1)
	s_or_b32 s0, s0, s27
.LBB223_383:
	s_mov_b32 s27, 0
.LBB223_384:
	s_delay_alu instid0(SALU_CYCLE_1)
	s_and_not1_b32 vcc_lo, exec_lo, s27
	s_cbranch_vccnz .LBB223_386
; %bb.385:
	global_load_u16 v1, v[4:5], off
	s_and_not1_b32 s0, s0, exec_lo
	s_wait_loadcnt 0x0
	v_cmp_ne_u16_e32 vcc_lo, 0, v1
	s_and_b32 s27, vcc_lo, exec_lo
	s_delay_alu instid0(SALU_CYCLE_1)
	s_or_b32 s0, s0, s27
.LBB223_386:
	s_mov_b32 s27, 0
.LBB223_387:
	s_delay_alu instid0(SALU_CYCLE_1)
	s_and_not1_b32 vcc_lo, exec_lo, s27
	s_cbranch_vccnz .LBB223_393
; %bb.388:
	s_cmp_gt_i32 s26, 0
	s_mov_b32 s26, 0
	s_cbranch_scc0 .LBB223_390
; %bb.389:
	global_load_u8 v1, v[4:5], off
	s_wait_loadcnt 0x0
	v_cmp_ne_u16_e64 s0, 0, v1
	s_branch .LBB223_391
.LBB223_390:
	s_mov_b32 s26, -1
                                        ; implicit-def: $sgpr0
.LBB223_391:
	s_delay_alu instid0(SALU_CYCLE_1)
	s_and_not1_b32 vcc_lo, exec_lo, s26
	s_cbranch_vccnz .LBB223_393
; %bb.392:
	global_load_u8 v1, v[4:5], off
	s_and_not1_b32 s0, s0, exec_lo
	s_wait_loadcnt 0x0
	v_cmp_ne_u16_e32 vcc_lo, 0, v1
	s_and_b32 s26, vcc_lo, exec_lo
	s_delay_alu instid0(SALU_CYCLE_1)
	s_or_b32 s0, s0, s26
.LBB223_393:
	s_branch .LBB223_278
.LBB223_394:
	s_mov_b32 s26, 0
	s_mov_b32 s0, s20
                                        ; implicit-def: $vgpr0
	s_branch .LBB223_506
.LBB223_395:
	s_mov_b32 s29, -1
	s_mov_b32 s28, 0
	s_mov_b32 s0, s20
.LBB223_396:
	s_and_b32 vcc_lo, exec_lo, s29
	s_cbranch_vccz .LBB223_401
; %bb.397:
	s_cmp_eq_u32 s27, 44
	s_mov_b32 s0, -1
	s_cbranch_scc0 .LBB223_401
; %bb.398:
	s_wait_xcnt 0x0
	v_cndmask_b32_e64 v5, 0, 1.0, s1
	s_mov_b32 s28, exec_lo
	s_delay_alu instid0(VALU_DEP_1) | instskip(NEXT) | instid1(VALU_DEP_1)
	v_dual_mov_b32 v4, 0xff :: v_dual_lshrrev_b32 v1, 23, v5
	v_cmpx_ne_u32_e32 0xff, v1
; %bb.399:
	v_and_b32_e32 v4, 0x400000, v5
	v_and_or_b32 v5, 0x3fffff, v5, v1
	s_delay_alu instid0(VALU_DEP_2) | instskip(NEXT) | instid1(VALU_DEP_2)
	v_cmp_ne_u32_e32 vcc_lo, 0, v4
	v_cmp_ne_u32_e64 s0, 0, v5
	s_and_b32 s0, vcc_lo, s0
	s_delay_alu instid0(SALU_CYCLE_1) | instskip(NEXT) | instid1(VALU_DEP_1)
	v_cndmask_b32_e64 v4, 0, 1, s0
	v_add_nc_u32_e32 v4, v1, v4
; %bb.400:
	s_or_b32 exec_lo, exec_lo, s28
	s_mov_b32 s28, -1
	s_mov_b32 s0, 0
	global_store_b8 v[2:3], v4, off
.LBB223_401:
	s_mov_b32 s29, 0
.LBB223_402:
	s_delay_alu instid0(SALU_CYCLE_1)
	s_and_b32 vcc_lo, exec_lo, s29
	s_cbranch_vccz .LBB223_405
; %bb.403:
	s_cmp_eq_u32 s27, 29
	s_mov_b32 s0, -1
	s_cbranch_scc0 .LBB223_405
; %bb.404:
	s_mov_b32 s0, 0
	s_wait_xcnt 0x0
	v_cndmask_b32_e64 v4, 0, 1, s1
	v_mov_b32_e32 v5, s0
	s_mov_b32 s28, -1
	s_mov_b32 s29, 0
	global_store_b64 v[2:3], v[4:5], off
	s_branch .LBB223_406
.LBB223_405:
	s_mov_b32 s29, 0
.LBB223_406:
	s_delay_alu instid0(SALU_CYCLE_1)
	s_and_b32 vcc_lo, exec_lo, s29
	s_cbranch_vccz .LBB223_422
; %bb.407:
	s_cmp_lt_i32 s27, 27
	s_mov_b32 s28, -1
	s_cbranch_scc1 .LBB223_413
; %bb.408:
	s_cmp_gt_i32 s27, 27
	s_cbranch_scc0 .LBB223_410
; %bb.409:
	s_wait_xcnt 0x0
	v_cndmask_b32_e64 v1, 0, 1, s1
	s_mov_b32 s28, 0
	global_store_b32 v[2:3], v1, off
.LBB223_410:
	s_and_not1_b32 vcc_lo, exec_lo, s28
	s_cbranch_vccnz .LBB223_412
; %bb.411:
	s_wait_xcnt 0x0
	v_cndmask_b32_e64 v1, 0, 1, s1
	global_store_b16 v[2:3], v1, off
.LBB223_412:
	s_mov_b32 s28, 0
.LBB223_413:
	s_delay_alu instid0(SALU_CYCLE_1)
	s_and_not1_b32 vcc_lo, exec_lo, s28
	s_cbranch_vccnz .LBB223_421
; %bb.414:
	s_wait_xcnt 0x0
	v_cndmask_b32_e64 v4, 0, 1.0, s1
	v_mov_b32_e32 v5, 0x80
	s_mov_b32 s28, exec_lo
	s_delay_alu instid0(VALU_DEP_2)
	v_cmpx_gt_u32_e32 0x43800000, v4
	s_cbranch_execz .LBB223_420
; %bb.415:
	s_mov_b32 s29, 0
	s_mov_b32 s42, exec_lo
                                        ; implicit-def: $vgpr1
	v_cmpx_lt_u32_e32 0x3bffffff, v4
	s_xor_b32 s42, exec_lo, s42
	s_cbranch_execz .LBB223_537
; %bb.416:
	v_bfe_u32 v1, v4, 20, 1
	s_mov_b32 s29, exec_lo
	s_delay_alu instid0(VALU_DEP_1) | instskip(NEXT) | instid1(VALU_DEP_1)
	v_add3_u32 v1, v4, v1, 0x487ffff
                                        ; implicit-def: $vgpr4
	v_lshrrev_b32_e32 v1, 20, v1
	s_and_not1_saveexec_b32 s42, s42
	s_cbranch_execnz .LBB223_538
.LBB223_417:
	s_or_b32 exec_lo, exec_lo, s42
	v_mov_b32_e32 v5, 0
	s_and_saveexec_b32 s42, s29
.LBB223_418:
	v_mov_b32_e32 v5, v1
.LBB223_419:
	s_or_b32 exec_lo, exec_lo, s42
.LBB223_420:
	s_delay_alu instid0(SALU_CYCLE_1)
	s_or_b32 exec_lo, exec_lo, s28
	global_store_b8 v[2:3], v5, off
.LBB223_421:
	s_mov_b32 s28, -1
.LBB223_422:
	s_mov_b32 s29, 0
.LBB223_423:
	s_delay_alu instid0(SALU_CYCLE_1)
	s_and_b32 vcc_lo, exec_lo, s29
	s_cbranch_vccz .LBB223_464
; %bb.424:
	s_cmp_gt_i32 s27, 22
	s_mov_b32 s29, -1
	s_cbranch_scc0 .LBB223_456
; %bb.425:
	s_cmp_lt_i32 s27, 24
	s_mov_b32 s28, -1
	s_cbranch_scc1 .LBB223_445
; %bb.426:
	s_cmp_gt_i32 s27, 24
	s_cbranch_scc0 .LBB223_434
; %bb.427:
	s_wait_xcnt 0x0
	v_cndmask_b32_e64 v4, 0, 1.0, s1
	v_mov_b32_e32 v5, 0x80
	s_mov_b32 s28, exec_lo
	s_delay_alu instid0(VALU_DEP_2)
	v_cmpx_gt_u32_e32 0x47800000, v4
	s_cbranch_execz .LBB223_433
; %bb.428:
	s_mov_b32 s29, 0
	s_mov_b32 s42, exec_lo
                                        ; implicit-def: $vgpr1
	v_cmpx_lt_u32_e32 0x37ffffff, v4
	s_xor_b32 s42, exec_lo, s42
	s_cbranch_execz .LBB223_540
; %bb.429:
	v_bfe_u32 v1, v4, 21, 1
	s_mov_b32 s29, exec_lo
	s_delay_alu instid0(VALU_DEP_1) | instskip(NEXT) | instid1(VALU_DEP_1)
	v_add3_u32 v1, v4, v1, 0x88fffff
                                        ; implicit-def: $vgpr4
	v_lshrrev_b32_e32 v1, 21, v1
	s_and_not1_saveexec_b32 s42, s42
	s_cbranch_execnz .LBB223_541
.LBB223_430:
	s_or_b32 exec_lo, exec_lo, s42
	v_mov_b32_e32 v5, 0
	s_and_saveexec_b32 s42, s29
.LBB223_431:
	v_mov_b32_e32 v5, v1
.LBB223_432:
	s_or_b32 exec_lo, exec_lo, s42
.LBB223_433:
	s_delay_alu instid0(SALU_CYCLE_1)
	s_or_b32 exec_lo, exec_lo, s28
	s_mov_b32 s28, 0
	global_store_b8 v[2:3], v5, off
.LBB223_434:
	s_and_b32 vcc_lo, exec_lo, s28
	s_cbranch_vccz .LBB223_444
; %bb.435:
	s_wait_xcnt 0x0
	v_cndmask_b32_e64 v4, 0, 1.0, s1
	s_mov_b32 s28, exec_lo
                                        ; implicit-def: $vgpr1
	s_delay_alu instid0(VALU_DEP_1)
	v_cmpx_gt_u32_e32 0x43f00000, v4
	s_xor_b32 s28, exec_lo, s28
	s_cbranch_execz .LBB223_441
; %bb.436:
	s_mov_b32 s29, exec_lo
                                        ; implicit-def: $vgpr1
	v_cmpx_lt_u32_e32 0x3c7fffff, v4
	s_xor_b32 s29, exec_lo, s29
; %bb.437:
	v_bfe_u32 v1, v4, 20, 1
	s_delay_alu instid0(VALU_DEP_1) | instskip(NEXT) | instid1(VALU_DEP_1)
	v_add3_u32 v1, v4, v1, 0x407ffff
	v_and_b32_e32 v4, 0xff00000, v1
	v_lshrrev_b32_e32 v1, 20, v1
	s_delay_alu instid0(VALU_DEP_2) | instskip(NEXT) | instid1(VALU_DEP_2)
	v_cmp_ne_u32_e32 vcc_lo, 0x7f00000, v4
                                        ; implicit-def: $vgpr4
	v_cndmask_b32_e32 v1, 0x7e, v1, vcc_lo
; %bb.438:
	s_and_not1_saveexec_b32 s29, s29
; %bb.439:
	v_add_f32_e32 v1, 0x46800000, v4
; %bb.440:
	s_or_b32 exec_lo, exec_lo, s29
                                        ; implicit-def: $vgpr4
.LBB223_441:
	s_and_not1_saveexec_b32 s28, s28
; %bb.442:
	v_mov_b32_e32 v1, 0x7f
	v_cmp_lt_u32_e32 vcc_lo, 0x7f800000, v4
	s_delay_alu instid0(VALU_DEP_2)
	v_cndmask_b32_e32 v1, 0x7e, v1, vcc_lo
; %bb.443:
	s_or_b32 exec_lo, exec_lo, s28
	global_store_b8 v[2:3], v1, off
.LBB223_444:
	s_mov_b32 s28, 0
.LBB223_445:
	s_delay_alu instid0(SALU_CYCLE_1)
	s_and_not1_b32 vcc_lo, exec_lo, s28
	s_cbranch_vccnz .LBB223_455
; %bb.446:
	s_wait_xcnt 0x0
	v_cndmask_b32_e64 v4, 0, 1.0, s1
	s_mov_b32 s28, exec_lo
                                        ; implicit-def: $vgpr1
	s_delay_alu instid0(VALU_DEP_1)
	v_cmpx_gt_u32_e32 0x47800000, v4
	s_xor_b32 s28, exec_lo, s28
	s_cbranch_execz .LBB223_452
; %bb.447:
	s_mov_b32 s29, exec_lo
                                        ; implicit-def: $vgpr1
	v_cmpx_lt_u32_e32 0x387fffff, v4
	s_xor_b32 s29, exec_lo, s29
; %bb.448:
	v_bfe_u32 v1, v4, 21, 1
	s_delay_alu instid0(VALU_DEP_1) | instskip(NEXT) | instid1(VALU_DEP_1)
	v_add3_u32 v1, v4, v1, 0x80fffff
                                        ; implicit-def: $vgpr4
	v_lshrrev_b32_e32 v1, 21, v1
; %bb.449:
	s_and_not1_saveexec_b32 s29, s29
; %bb.450:
	v_add_f32_e32 v1, 0x43000000, v4
; %bb.451:
	s_or_b32 exec_lo, exec_lo, s29
                                        ; implicit-def: $vgpr4
.LBB223_452:
	s_and_not1_saveexec_b32 s28, s28
; %bb.453:
	v_mov_b32_e32 v1, 0x7f
	v_cmp_lt_u32_e32 vcc_lo, 0x7f800000, v4
	s_delay_alu instid0(VALU_DEP_2)
	v_cndmask_b32_e32 v1, 0x7c, v1, vcc_lo
; %bb.454:
	s_or_b32 exec_lo, exec_lo, s28
	global_store_b8 v[2:3], v1, off
.LBB223_455:
	s_mov_b32 s29, 0
	s_mov_b32 s28, -1
.LBB223_456:
	s_and_not1_b32 vcc_lo, exec_lo, s29
	s_cbranch_vccnz .LBB223_464
; %bb.457:
	s_cmp_gt_i32 s27, 14
	s_mov_b32 s29, -1
	s_cbranch_scc0 .LBB223_461
; %bb.458:
	s_cmp_eq_u32 s27, 15
	s_mov_b32 s0, -1
	s_cbranch_scc0 .LBB223_460
; %bb.459:
	s_wait_xcnt 0x0
	v_cndmask_b32_e64 v1, 0, 1.0, s1
	s_mov_b32 s28, -1
	s_mov_b32 s0, 0
	s_delay_alu instid0(VALU_DEP_1) | instskip(NEXT) | instid1(VALU_DEP_1)
	v_bfe_u32 v4, v1, 16, 1
	v_add3_u32 v1, v1, v4, 0x7fff
	global_store_d16_hi_b16 v[2:3], v1, off
.LBB223_460:
	s_mov_b32 s29, 0
.LBB223_461:
	s_delay_alu instid0(SALU_CYCLE_1)
	s_and_b32 vcc_lo, exec_lo, s29
	s_cbranch_vccz .LBB223_464
; %bb.462:
	s_cmp_eq_u32 s27, 11
	s_mov_b32 s0, -1
	s_cbranch_scc0 .LBB223_464
; %bb.463:
	s_wait_xcnt 0x0
	v_cndmask_b32_e64 v1, 0, 1, s1
	s_mov_b32 s28, -1
	s_mov_b32 s0, 0
	global_store_b8 v[2:3], v1, off
.LBB223_464:
	s_mov_b32 s27, 0
.LBB223_465:
	s_delay_alu instid0(SALU_CYCLE_1)
	s_and_b32 vcc_lo, exec_lo, s27
	s_cbranch_vccz .LBB223_504
; %bb.466:
	s_and_b32 s26, 0xffff, s26
	s_mov_b32 s27, -1
	s_cmp_lt_i32 s26, 5
	s_cbranch_scc1 .LBB223_487
; %bb.467:
	s_cmp_lt_i32 s26, 8
	s_cbranch_scc1 .LBB223_477
; %bb.468:
	;; [unrolled: 3-line block ×3, first 2 shown]
	s_cmp_gt_i32 s26, 9
	s_cbranch_scc0 .LBB223_471
; %bb.470:
	s_wait_xcnt 0x0
	v_cndmask_b32_e64 v1, 0, 1, s1
	v_mov_b32_e32 v6, 0
	s_mov_b32 s27, 0
	s_delay_alu instid0(VALU_DEP_2) | instskip(NEXT) | instid1(VALU_DEP_2)
	v_cvt_f64_u32_e32 v[4:5], v1
	v_mov_b32_e32 v7, v6
	global_store_b128 v[2:3], v[4:7], off
.LBB223_471:
	s_and_not1_b32 vcc_lo, exec_lo, s27
	s_cbranch_vccnz .LBB223_473
; %bb.472:
	s_wait_xcnt 0x0
	v_cndmask_b32_e64 v4, 0, 1.0, s1
	v_mov_b32_e32 v5, 0
	global_store_b64 v[2:3], v[4:5], off
.LBB223_473:
	s_mov_b32 s27, 0
.LBB223_474:
	s_delay_alu instid0(SALU_CYCLE_1)
	s_and_not1_b32 vcc_lo, exec_lo, s27
	s_cbranch_vccnz .LBB223_476
; %bb.475:
	s_wait_xcnt 0x0
	v_cndmask_b32_e64 v1, 0, 1.0, s1
	s_delay_alu instid0(VALU_DEP_1) | instskip(NEXT) | instid1(VALU_DEP_1)
	v_cvt_f16_f32_e32 v1, v1
	v_and_b32_e32 v1, 0xffff, v1
	global_store_b32 v[2:3], v1, off
.LBB223_476:
	s_mov_b32 s27, 0
.LBB223_477:
	s_delay_alu instid0(SALU_CYCLE_1)
	s_and_not1_b32 vcc_lo, exec_lo, s27
	s_cbranch_vccnz .LBB223_486
; %bb.478:
	s_cmp_lt_i32 s26, 6
	s_mov_b32 s27, -1
	s_cbranch_scc1 .LBB223_484
; %bb.479:
	s_cmp_gt_i32 s26, 6
	s_cbranch_scc0 .LBB223_481
; %bb.480:
	s_wait_xcnt 0x0
	v_cndmask_b32_e64 v1, 0, 1, s1
	s_mov_b32 s27, 0
	s_delay_alu instid0(VALU_DEP_1)
	v_cvt_f64_u32_e32 v[4:5], v1
	global_store_b64 v[2:3], v[4:5], off
.LBB223_481:
	s_and_not1_b32 vcc_lo, exec_lo, s27
	s_cbranch_vccnz .LBB223_483
; %bb.482:
	s_wait_xcnt 0x0
	v_cndmask_b32_e64 v1, 0, 1.0, s1
	global_store_b32 v[2:3], v1, off
.LBB223_483:
	s_mov_b32 s27, 0
.LBB223_484:
	s_delay_alu instid0(SALU_CYCLE_1)
	s_and_not1_b32 vcc_lo, exec_lo, s27
	s_cbranch_vccnz .LBB223_486
; %bb.485:
	s_wait_xcnt 0x0
	v_cndmask_b32_e64 v1, 0, 1.0, s1
	s_delay_alu instid0(VALU_DEP_1)
	v_cvt_f16_f32_e32 v1, v1
	global_store_b16 v[2:3], v1, off
.LBB223_486:
	s_mov_b32 s27, 0
.LBB223_487:
	s_delay_alu instid0(SALU_CYCLE_1)
	s_and_not1_b32 vcc_lo, exec_lo, s27
	s_cbranch_vccnz .LBB223_503
; %bb.488:
	s_cmp_lt_i32 s26, 2
	s_mov_b32 s27, -1
	s_cbranch_scc1 .LBB223_498
; %bb.489:
	s_cmp_lt_i32 s26, 3
	s_cbranch_scc1 .LBB223_495
; %bb.490:
	s_cmp_gt_i32 s26, 3
	s_cbranch_scc0 .LBB223_492
; %bb.491:
	s_mov_b32 s27, 0
	s_wait_xcnt 0x0
	v_cndmask_b32_e64 v4, 0, 1, s1
	v_mov_b32_e32 v5, s27
	global_store_b64 v[2:3], v[4:5], off
.LBB223_492:
	s_and_not1_b32 vcc_lo, exec_lo, s27
	s_cbranch_vccnz .LBB223_494
; %bb.493:
	s_wait_xcnt 0x0
	v_cndmask_b32_e64 v1, 0, 1, s1
	global_store_b32 v[2:3], v1, off
.LBB223_494:
	s_mov_b32 s27, 0
.LBB223_495:
	s_delay_alu instid0(SALU_CYCLE_1)
	s_and_not1_b32 vcc_lo, exec_lo, s27
	s_cbranch_vccnz .LBB223_497
; %bb.496:
	s_wait_xcnt 0x0
	v_cndmask_b32_e64 v1, 0, 1, s1
	global_store_b16 v[2:3], v1, off
.LBB223_497:
	s_mov_b32 s27, 0
.LBB223_498:
	s_delay_alu instid0(SALU_CYCLE_1)
	s_and_not1_b32 vcc_lo, exec_lo, s27
	s_cbranch_vccnz .LBB223_503
; %bb.499:
	s_wait_xcnt 0x0
	v_cndmask_b32_e64 v1, 0, 1, s1
	s_cmp_gt_i32 s26, 0
	s_mov_b32 s1, -1
	s_cbranch_scc0 .LBB223_501
; %bb.500:
	s_mov_b32 s1, 0
	global_store_b8 v[2:3], v1, off
.LBB223_501:
	s_and_not1_b32 vcc_lo, exec_lo, s1
	s_cbranch_vccnz .LBB223_503
; %bb.502:
	global_store_b8 v[2:3], v1, off
.LBB223_503:
	s_mov_b32 s28, -1
.LBB223_504:
	s_mov_b32 s1, 0
	s_and_not1_b32 vcc_lo, exec_lo, s28
	s_mov_b32 s26, 0
	s_cbranch_vccnz .LBB223_506
; %bb.505:
	v_add_nc_u32_e32 v0, 0x80, v0
	s_mov_b32 s26, -1
.LBB223_506:
	s_and_not1_b32 s27, s20, exec_lo
	s_and_b32 s0, s0, exec_lo
	s_and_not1_b32 s28, s40, exec_lo
	s_and_b32 s1, s1, exec_lo
	s_or_b32 s43, s27, s0
	s_or_b32 s42, s28, s1
	s_or_not1_b32 s28, s26, exec_lo
.LBB223_507:
	s_wait_xcnt 0x0
	s_or_b32 exec_lo, exec_lo, s44
	s_mov_b32 s1, 0
	s_mov_b32 s0, 0
	;; [unrolled: 1-line block ×3, first 2 shown]
                                        ; implicit-def: $sgpr26
                                        ; implicit-def: $vgpr4_vgpr5
                                        ; implicit-def: $vgpr2
	s_and_saveexec_b32 s44, s28
	s_cbranch_execz .LBB223_850
; %bb.508:
	s_mov_b32 s46, -1
	s_mov_b32 s28, s42
	s_mov_b32 s29, s43
	s_mov_b32 s45, exec_lo
	v_cmpx_gt_i32_e64 s37, v0
	s_cbranch_execz .LBB223_765
; %bb.509:
	s_and_not1_b32 vcc_lo, exec_lo, s33
	s_cbranch_vccnz .LBB223_515
; %bb.510:
	s_and_not1_b32 vcc_lo, exec_lo, s39
	s_cbranch_vccnz .LBB223_516
; %bb.511:
	s_add_co_i32 s1, s38, 1
	s_cmp_eq_u32 s31, 2
	s_cbranch_scc1 .LBB223_517
; %bb.512:
	v_dual_mov_b32 v2, 0 :: v_dual_mov_b32 v4, 0
	v_mov_b32_e32 v1, v0
	s_and_b32 s0, s1, 28
	s_mov_b32 s46, 0
	s_mov_b64 s[26:27], s[16:17]
	s_mov_b64 s[28:29], s[24:25]
.LBB223_513:                            ; =>This Inner Loop Header: Depth=1
	s_clause 0x1
	s_load_b256 s[48:55], s[26:27], 0x4
	s_load_b128 s[64:67], s[26:27], 0x24
	s_load_b256 s[56:63], s[28:29], 0x0
	s_add_co_i32 s46, s46, 4
	s_wait_xcnt 0x0
	s_add_nc_u64 s[26:27], s[26:27], 48
	s_cmp_eq_u32 s0, s46
	s_add_nc_u64 s[28:29], s[28:29], 32
	s_wait_kmcnt 0x0
	v_mul_hi_u32 v3, s49, v1
	s_delay_alu instid0(VALU_DEP_1) | instskip(NEXT) | instid1(VALU_DEP_1)
	v_add_nc_u32_e32 v3, v1, v3
	v_lshrrev_b32_e32 v3, s50, v3
	s_delay_alu instid0(VALU_DEP_1) | instskip(NEXT) | instid1(VALU_DEP_1)
	v_mul_hi_u32 v5, s52, v3
	v_add_nc_u32_e32 v5, v3, v5
	s_delay_alu instid0(VALU_DEP_1) | instskip(NEXT) | instid1(VALU_DEP_1)
	v_lshrrev_b32_e32 v5, s53, v5
	v_mul_hi_u32 v6, s55, v5
	s_delay_alu instid0(VALU_DEP_1) | instskip(SKIP_1) | instid1(VALU_DEP_1)
	v_add_nc_u32_e32 v6, v5, v6
	v_mul_lo_u32 v7, v3, s48
	v_sub_nc_u32_e32 v1, v1, v7
	v_mul_lo_u32 v7, v5, s51
	s_delay_alu instid0(VALU_DEP_4) | instskip(NEXT) | instid1(VALU_DEP_3)
	v_lshrrev_b32_e32 v6, s64, v6
	v_mad_u32 v4, v1, s57, v4
	v_mad_u32 v1, v1, s56, v2
	s_delay_alu instid0(VALU_DEP_4) | instskip(NEXT) | instid1(VALU_DEP_4)
	v_sub_nc_u32_e32 v2, v3, v7
	v_mul_hi_u32 v8, s66, v6
	v_mul_lo_u32 v3, v6, s54
	s_delay_alu instid0(VALU_DEP_3) | instskip(SKIP_1) | instid1(VALU_DEP_3)
	v_mad_u32 v4, v2, s59, v4
	v_mad_u32 v2, v2, s58, v1
	v_dual_add_nc_u32 v7, v6, v8 :: v_dual_sub_nc_u32 v3, v5, v3
	s_delay_alu instid0(VALU_DEP_1) | instskip(NEXT) | instid1(VALU_DEP_2)
	v_lshrrev_b32_e32 v1, s67, v7
	v_mad_u32 v4, v3, s61, v4
	s_delay_alu instid0(VALU_DEP_4) | instskip(NEXT) | instid1(VALU_DEP_3)
	v_mad_u32 v2, v3, s60, v2
	v_mul_lo_u32 v5, v1, s65
	s_delay_alu instid0(VALU_DEP_1) | instskip(NEXT) | instid1(VALU_DEP_1)
	v_sub_nc_u32_e32 v3, v6, v5
	v_mad_u32 v4, v3, s63, v4
	s_delay_alu instid0(VALU_DEP_4)
	v_mad_u32 v2, v3, s62, v2
	s_cbranch_scc0 .LBB223_513
; %bb.514:
	s_delay_alu instid0(VALU_DEP_2)
	v_mov_b32_e32 v3, v4
	s_branch .LBB223_518
.LBB223_515:
	s_mov_b32 s0, -1
                                        ; implicit-def: $vgpr4
                                        ; implicit-def: $vgpr2
	s_branch .LBB223_523
.LBB223_516:
	v_dual_mov_b32 v4, 0 :: v_dual_mov_b32 v2, 0
	s_branch .LBB223_522
.LBB223_517:
	v_mov_b64_e32 v[2:3], 0
	v_mov_b32_e32 v1, v0
                                        ; implicit-def: $vgpr4
.LBB223_518:
	s_and_b32 s28, s1, 3
	s_mov_b32 s1, 0
	s_cmp_eq_u32 s28, 0
	s_cbranch_scc1 .LBB223_522
; %bb.519:
	s_lshl_b32 s26, s0, 3
	s_mov_b32 s27, s1
	s_mul_u64 s[46:47], s[0:1], 12
	s_add_nc_u64 s[26:27], s[16:17], s[26:27]
	s_delay_alu instid0(SALU_CYCLE_1)
	s_add_nc_u64 s[0:1], s[26:27], 0xc4
	s_add_nc_u64 s[26:27], s[16:17], s[46:47]
.LBB223_520:                            ; =>This Inner Loop Header: Depth=1
	s_load_b96 s[48:50], s[26:27], 0x4
	s_load_b64 s[46:47], s[0:1], 0x0
	s_add_co_i32 s28, s28, -1
	s_wait_xcnt 0x0
	s_add_nc_u64 s[26:27], s[26:27], 12
	s_cmp_lg_u32 s28, 0
	s_add_nc_u64 s[0:1], s[0:1], 8
	s_wait_kmcnt 0x0
	v_mul_hi_u32 v4, s49, v1
	s_delay_alu instid0(VALU_DEP_1) | instskip(NEXT) | instid1(VALU_DEP_1)
	v_add_nc_u32_e32 v4, v1, v4
	v_lshrrev_b32_e32 v4, s50, v4
	s_delay_alu instid0(VALU_DEP_1) | instskip(NEXT) | instid1(VALU_DEP_1)
	v_mul_lo_u32 v5, v4, s48
	v_sub_nc_u32_e32 v1, v1, v5
	s_delay_alu instid0(VALU_DEP_1)
	v_mad_u32 v3, v1, s47, v3
	v_mad_u32 v2, v1, s46, v2
	v_mov_b32_e32 v1, v4
	s_cbranch_scc1 .LBB223_520
; %bb.521:
	s_delay_alu instid0(VALU_DEP_3)
	v_mov_b32_e32 v4, v3
.LBB223_522:
	s_mov_b32 s0, 0
.LBB223_523:
	s_delay_alu instid0(SALU_CYCLE_1)
	s_and_not1_b32 vcc_lo, exec_lo, s0
	s_cbranch_vccnz .LBB223_526
; %bb.524:
	v_mov_b32_e32 v1, 0
	s_and_not1_b32 vcc_lo, exec_lo, s36
	s_delay_alu instid0(VALU_DEP_1) | instskip(NEXT) | instid1(VALU_DEP_1)
	v_mul_u64_e32 v[2:3], s[18:19], v[0:1]
	v_add_nc_u32_e32 v2, v0, v3
	s_delay_alu instid0(VALU_DEP_1) | instskip(NEXT) | instid1(VALU_DEP_1)
	v_lshrrev_b32_e32 v6, s10, v2
	v_mul_lo_u32 v2, v6, s8
	s_delay_alu instid0(VALU_DEP_1) | instskip(NEXT) | instid1(VALU_DEP_1)
	v_sub_nc_u32_e32 v2, v0, v2
	v_mul_lo_u32 v4, v2, s13
	v_mul_lo_u32 v2, v2, s12
	s_cbranch_vccnz .LBB223_526
; %bb.525:
	v_mov_b32_e32 v7, v1
	s_delay_alu instid0(VALU_DEP_1) | instskip(NEXT) | instid1(VALU_DEP_1)
	v_mul_u64_e32 v[8:9], s[22:23], v[6:7]
	v_add_nc_u32_e32 v1, v6, v9
	s_delay_alu instid0(VALU_DEP_1) | instskip(NEXT) | instid1(VALU_DEP_1)
	v_lshrrev_b32_e32 v1, s21, v1
	v_mul_lo_u32 v1, v1, s11
	s_delay_alu instid0(VALU_DEP_1) | instskip(NEXT) | instid1(VALU_DEP_1)
	v_sub_nc_u32_e32 v1, v6, v1
	v_mad_u32 v2, v1, s14, v2
	v_mad_u32 v4, v1, s15, v4
.LBB223_526:
	v_mov_b32_e32 v5, 0
	s_and_b32 s26, 0xffff, s35
	s_delay_alu instid0(SALU_CYCLE_1) | instskip(NEXT) | instid1(VALU_DEP_1)
	s_cmp_lt_i32 s26, 11
	v_add_nc_u64_e32 v[4:5], s[6:7], v[4:5]
	s_cbranch_scc1 .LBB223_533
; %bb.527:
	s_cmp_gt_i32 s26, 25
	s_cbranch_scc0 .LBB223_534
; %bb.528:
	s_cmp_gt_i32 s26, 28
	s_cbranch_scc0 .LBB223_535
; %bb.529:
	s_cmp_gt_i32 s26, 43
	s_cbranch_scc0 .LBB223_536
; %bb.530:
	s_cmp_gt_i32 s26, 45
	s_cbranch_scc0 .LBB223_539
; %bb.531:
	s_cmp_eq_u32 s26, 46
	s_mov_b32 s28, 0
	s_cbranch_scc0 .LBB223_542
; %bb.532:
	global_load_b32 v1, v[4:5], off
	s_mov_b32 s1, 0
	s_mov_b32 s27, -1
	s_wait_loadcnt 0x0
	v_and_b32_e32 v1, 0x7fff7fff, v1
	s_delay_alu instid0(VALU_DEP_1)
	v_cmp_ne_u32_e64 s0, 0, v1
	s_branch .LBB223_544
.LBB223_533:
	s_mov_b32 s28, -1
	s_mov_b32 s27, 0
	s_mov_b32 s1, s42
                                        ; implicit-def: $sgpr0
	s_branch .LBB223_591
.LBB223_534:
	s_mov_b32 s28, -1
	s_mov_b32 s27, 0
	s_mov_b32 s1, s42
                                        ; implicit-def: $sgpr0
	s_branch .LBB223_565
.LBB223_535:
	s_mov_b32 s28, -1
	s_mov_b32 s27, 0
	s_mov_b32 s1, s42
                                        ; implicit-def: $sgpr0
	s_branch .LBB223_552
.LBB223_536:
	s_mov_b32 s28, -1
	s_mov_b32 s27, 0
	s_mov_b32 s1, s42
                                        ; implicit-def: $sgpr0
	s_branch .LBB223_547
.LBB223_537:
	s_and_not1_saveexec_b32 s42, s42
	s_cbranch_execz .LBB223_417
.LBB223_538:
	v_add_f32_e32 v1, 0x46000000, v4
	s_and_not1_b32 s29, s29, exec_lo
	s_delay_alu instid0(VALU_DEP_1) | instskip(NEXT) | instid1(VALU_DEP_1)
	v_and_b32_e32 v1, 0xff, v1
	v_cmp_ne_u32_e32 vcc_lo, 0, v1
	s_and_b32 s43, vcc_lo, exec_lo
	s_delay_alu instid0(SALU_CYCLE_1)
	s_or_b32 s29, s29, s43
	s_or_b32 exec_lo, exec_lo, s42
	v_mov_b32_e32 v5, 0
	s_and_saveexec_b32 s42, s29
	s_cbranch_execnz .LBB223_418
	s_branch .LBB223_419
.LBB223_539:
	s_mov_b32 s28, -1
	s_mov_b32 s27, 0
	s_mov_b32 s1, s42
	s_branch .LBB223_543
.LBB223_540:
	s_and_not1_saveexec_b32 s42, s42
	s_cbranch_execz .LBB223_430
.LBB223_541:
	v_add_f32_e32 v1, 0x42800000, v4
	s_and_not1_b32 s29, s29, exec_lo
	s_delay_alu instid0(VALU_DEP_1) | instskip(NEXT) | instid1(VALU_DEP_1)
	v_and_b32_e32 v1, 0xff, v1
	v_cmp_ne_u32_e32 vcc_lo, 0, v1
	s_and_b32 s43, vcc_lo, exec_lo
	s_delay_alu instid0(SALU_CYCLE_1)
	s_or_b32 s29, s29, s43
	s_or_b32 exec_lo, exec_lo, s42
	v_mov_b32_e32 v5, 0
	s_and_saveexec_b32 s42, s29
	s_cbranch_execnz .LBB223_431
	s_branch .LBB223_432
.LBB223_542:
	s_mov_b32 s1, -1
	s_mov_b32 s27, 0
.LBB223_543:
                                        ; implicit-def: $sgpr0
.LBB223_544:
	s_and_b32 vcc_lo, exec_lo, s28
	s_cbranch_vccz .LBB223_546
; %bb.545:
	s_cmp_eq_u32 s26, 44
	s_cselect_b32 s27, -1, 0
	s_or_b32 s0, s0, exec_lo
	s_or_b32 s1, s1, exec_lo
.LBB223_546:
	s_mov_b32 s28, 0
.LBB223_547:
	s_delay_alu instid0(SALU_CYCLE_1)
	s_and_b32 vcc_lo, exec_lo, s28
	s_cbranch_vccz .LBB223_551
; %bb.548:
	s_cmp_eq_u32 s26, 29
	s_cbranch_scc0 .LBB223_550
; %bb.549:
	global_load_b64 v[6:7], v[4:5], off
	s_mov_b32 s27, -1
	s_mov_b32 s1, 0
	s_mov_b32 s28, 0
	s_wait_loadcnt 0x0
	v_cmp_ne_u64_e64 s0, 0, v[6:7]
	s_branch .LBB223_552
.LBB223_550:
	s_mov_b32 s1, -1
                                        ; implicit-def: $sgpr0
.LBB223_551:
	s_mov_b32 s28, 0
.LBB223_552:
	s_delay_alu instid0(SALU_CYCLE_1)
	s_and_b32 vcc_lo, exec_lo, s28
	s_cbranch_vccz .LBB223_564
; %bb.553:
	s_cmp_lt_i32 s26, 27
	s_cbranch_scc1 .LBB223_556
; %bb.554:
	s_cmp_gt_i32 s26, 27
	s_cbranch_scc0 .LBB223_557
; %bb.555:
	global_load_b32 v1, v[4:5], off
	s_mov_b32 s27, 0
	s_wait_loadcnt 0x0
	v_cmp_ne_u32_e64 s0, 0, v1
	s_branch .LBB223_558
.LBB223_556:
	s_mov_b32 s27, -1
                                        ; implicit-def: $sgpr0
	s_branch .LBB223_561
.LBB223_557:
	s_mov_b32 s27, -1
                                        ; implicit-def: $sgpr0
.LBB223_558:
	s_delay_alu instid0(SALU_CYCLE_1)
	s_and_not1_b32 vcc_lo, exec_lo, s27
	s_cbranch_vccnz .LBB223_560
; %bb.559:
	global_load_u16 v1, v[4:5], off
	s_and_not1_b32 s0, s0, exec_lo
	s_wait_loadcnt 0x0
	v_cmp_ne_u16_e32 vcc_lo, 0, v1
	s_and_b32 s27, vcc_lo, exec_lo
	s_delay_alu instid0(SALU_CYCLE_1)
	s_or_b32 s0, s0, s27
.LBB223_560:
	s_mov_b32 s27, 0
.LBB223_561:
	s_delay_alu instid0(SALU_CYCLE_1)
	s_and_not1_b32 vcc_lo, exec_lo, s27
	s_cbranch_vccnz .LBB223_563
; %bb.562:
	global_load_u8 v1, v[4:5], off
	s_and_not1_b32 s0, s0, exec_lo
	s_wait_loadcnt 0x0
	v_cmp_ne_u16_e32 vcc_lo, 0, v1
	s_and_b32 s27, vcc_lo, exec_lo
	s_delay_alu instid0(SALU_CYCLE_1)
	s_or_b32 s0, s0, s27
.LBB223_563:
	s_mov_b32 s27, -1
.LBB223_564:
	s_mov_b32 s28, 0
.LBB223_565:
	s_delay_alu instid0(SALU_CYCLE_1)
	s_and_b32 vcc_lo, exec_lo, s28
	s_cbranch_vccz .LBB223_590
; %bb.566:
	s_cmp_gt_i32 s26, 22
	s_cbranch_scc0 .LBB223_570
; %bb.567:
	s_cmp_lt_i32 s26, 24
	s_cbranch_scc1 .LBB223_571
; %bb.568:
	s_cmp_gt_i32 s26, 24
	s_cbranch_scc0 .LBB223_572
; %bb.569:
	global_load_u8 v1, v[4:5], off
	s_mov_b32 s27, 0
	s_wait_loadcnt 0x0
	v_cmp_ne_u16_e64 s0, 0, v1
	s_branch .LBB223_573
.LBB223_570:
	s_mov_b32 s28, -1
                                        ; implicit-def: $sgpr0
	s_branch .LBB223_579
.LBB223_571:
	s_mov_b32 s27, -1
                                        ; implicit-def: $sgpr0
	s_branch .LBB223_576
.LBB223_572:
	s_mov_b32 s27, -1
                                        ; implicit-def: $sgpr0
.LBB223_573:
	s_delay_alu instid0(SALU_CYCLE_1)
	s_and_not1_b32 vcc_lo, exec_lo, s27
	s_cbranch_vccnz .LBB223_575
; %bb.574:
	global_load_u8 v1, v[4:5], off
	s_and_not1_b32 s0, s0, exec_lo
	s_wait_loadcnt 0x0
	v_and_b32_e32 v1, 0x7f, v1
	s_delay_alu instid0(VALU_DEP_1) | instskip(SKIP_1) | instid1(SALU_CYCLE_1)
	v_cmp_ne_u16_e32 vcc_lo, 0, v1
	s_and_b32 s27, vcc_lo, exec_lo
	s_or_b32 s0, s0, s27
.LBB223_575:
	s_mov_b32 s27, 0
.LBB223_576:
	s_delay_alu instid0(SALU_CYCLE_1)
	s_and_not1_b32 vcc_lo, exec_lo, s27
	s_cbranch_vccnz .LBB223_578
; %bb.577:
	global_load_u8 v1, v[4:5], off
	s_and_not1_b32 s0, s0, exec_lo
	s_wait_loadcnt 0x0
	v_dual_lshlrev_b32 v3, 25, v1 :: v_dual_lshlrev_b32 v1, 8, v1
	s_delay_alu instid0(VALU_DEP_1) | instskip(NEXT) | instid1(VALU_DEP_2)
	v_cmp_gt_u32_e32 vcc_lo, 0x8000000, v3
	v_and_or_b32 v1, 0x7f00, v1, 0.5
	s_delay_alu instid0(VALU_DEP_1) | instskip(NEXT) | instid1(VALU_DEP_1)
	v_dual_add_f32 v1, -0.5, v1 :: v_dual_lshrrev_b32 v6, 4, v3
	v_or_b32_e32 v6, 0x70000000, v6
	s_delay_alu instid0(VALU_DEP_1) | instskip(NEXT) | instid1(VALU_DEP_1)
	v_mul_f32_e32 v6, 0x7800000, v6
	v_cndmask_b32_e32 v1, v6, v1, vcc_lo
	s_delay_alu instid0(VALU_DEP_1) | instskip(SKIP_1) | instid1(SALU_CYCLE_1)
	v_cmp_neq_f32_e32 vcc_lo, 0, v1
	s_and_b32 s27, vcc_lo, exec_lo
	s_or_b32 s0, s0, s27
.LBB223_578:
	s_mov_b32 s28, 0
	s_mov_b32 s27, -1
.LBB223_579:
	s_and_not1_b32 vcc_lo, exec_lo, s28
	s_cbranch_vccnz .LBB223_590
; %bb.580:
	s_cmp_gt_i32 s26, 14
	s_cbranch_scc0 .LBB223_583
; %bb.581:
	s_cmp_eq_u32 s26, 15
	s_cbranch_scc0 .LBB223_584
; %bb.582:
	global_load_u16 v1, v[4:5], off
	s_mov_b32 s1, 0
	s_mov_b32 s27, -1
	s_wait_loadcnt 0x0
	v_and_b32_e32 v1, 0x7fff, v1
	s_delay_alu instid0(VALU_DEP_1)
	v_cmp_ne_u16_e64 s0, 0, v1
	s_branch .LBB223_585
.LBB223_583:
	s_mov_b32 s28, -1
                                        ; implicit-def: $sgpr0
	s_branch .LBB223_586
.LBB223_584:
	s_mov_b32 s1, -1
                                        ; implicit-def: $sgpr0
.LBB223_585:
	s_mov_b32 s28, 0
.LBB223_586:
	s_delay_alu instid0(SALU_CYCLE_1)
	s_and_b32 vcc_lo, exec_lo, s28
	s_cbranch_vccz .LBB223_590
; %bb.587:
	s_cmp_eq_u32 s26, 11
	s_cbranch_scc0 .LBB223_589
; %bb.588:
	global_load_u8 v1, v[4:5], off
	s_mov_b32 s1, 0
	s_mov_b32 s27, -1
	s_wait_loadcnt 0x0
	v_cmp_ne_u16_e64 s0, 0, v1
	s_branch .LBB223_590
.LBB223_589:
	s_mov_b32 s1, -1
                                        ; implicit-def: $sgpr0
.LBB223_590:
	s_mov_b32 s28, 0
.LBB223_591:
	s_delay_alu instid0(SALU_CYCLE_1)
	s_and_b32 vcc_lo, exec_lo, s28
	s_cbranch_vccz .LBB223_640
; %bb.592:
	s_cmp_lt_i32 s26, 5
	s_cbranch_scc1 .LBB223_597
; %bb.593:
	s_cmp_lt_i32 s26, 8
	s_cbranch_scc1 .LBB223_598
	;; [unrolled: 3-line block ×3, first 2 shown]
; %bb.595:
	s_cmp_gt_i32 s26, 9
	s_cbranch_scc0 .LBB223_600
; %bb.596:
	global_load_b128 v[6:9], v[4:5], off
	s_mov_b32 s27, 0
	s_wait_loadcnt 0x0
	v_cmp_neq_f64_e32 vcc_lo, 0, v[6:7]
	v_cmp_neq_f64_e64 s0, 0, v[8:9]
	s_or_b32 s0, vcc_lo, s0
	s_branch .LBB223_601
.LBB223_597:
	s_mov_b32 s27, -1
                                        ; implicit-def: $sgpr0
	s_branch .LBB223_619
.LBB223_598:
	s_mov_b32 s27, -1
                                        ; implicit-def: $sgpr0
	s_branch .LBB223_607
.LBB223_599:
	s_mov_b32 s27, -1
                                        ; implicit-def: $sgpr0
	s_branch .LBB223_604
.LBB223_600:
	s_mov_b32 s27, -1
                                        ; implicit-def: $sgpr0
.LBB223_601:
	s_delay_alu instid0(SALU_CYCLE_1)
	s_and_not1_b32 vcc_lo, exec_lo, s27
	s_cbranch_vccnz .LBB223_603
; %bb.602:
	global_load_b64 v[6:7], v[4:5], off
	s_and_not1_b32 s0, s0, exec_lo
	s_wait_loadcnt 0x0
	v_bitop3_b32 v1, v6, 0x7fffffff, v7 bitop3:0xc8
	s_delay_alu instid0(VALU_DEP_1) | instskip(SKIP_1) | instid1(SALU_CYCLE_1)
	v_cmp_ne_u32_e32 vcc_lo, 0, v1
	s_and_b32 s27, vcc_lo, exec_lo
	s_or_b32 s0, s0, s27
.LBB223_603:
	s_mov_b32 s27, 0
.LBB223_604:
	s_delay_alu instid0(SALU_CYCLE_1)
	s_and_not1_b32 vcc_lo, exec_lo, s27
	s_cbranch_vccnz .LBB223_606
; %bb.605:
	global_load_b32 v1, v[4:5], off
	s_and_not1_b32 s0, s0, exec_lo
	s_wait_loadcnt 0x0
	v_and_b32_e32 v1, 0x7fff7fff, v1
	s_delay_alu instid0(VALU_DEP_1) | instskip(SKIP_1) | instid1(SALU_CYCLE_1)
	v_cmp_ne_u32_e32 vcc_lo, 0, v1
	s_and_b32 s27, vcc_lo, exec_lo
	s_or_b32 s0, s0, s27
.LBB223_606:
	s_mov_b32 s27, 0
.LBB223_607:
	s_delay_alu instid0(SALU_CYCLE_1)
	s_and_not1_b32 vcc_lo, exec_lo, s27
	s_cbranch_vccnz .LBB223_618
; %bb.608:
	s_cmp_lt_i32 s26, 6
	s_cbranch_scc1 .LBB223_611
; %bb.609:
	s_cmp_gt_i32 s26, 6
	s_cbranch_scc0 .LBB223_612
; %bb.610:
	global_load_b64 v[6:7], v[4:5], off
	s_mov_b32 s27, 0
	s_wait_loadcnt 0x0
	v_cmp_neq_f64_e64 s0, 0, v[6:7]
	s_branch .LBB223_613
.LBB223_611:
	s_mov_b32 s27, -1
                                        ; implicit-def: $sgpr0
	s_branch .LBB223_616
.LBB223_612:
	s_mov_b32 s27, -1
                                        ; implicit-def: $sgpr0
.LBB223_613:
	s_delay_alu instid0(SALU_CYCLE_1)
	s_and_not1_b32 vcc_lo, exec_lo, s27
	s_cbranch_vccnz .LBB223_615
; %bb.614:
	global_load_b32 v1, v[4:5], off
	s_and_not1_b32 s0, s0, exec_lo
	s_wait_loadcnt 0x0
	v_cmp_neq_f32_e32 vcc_lo, 0, v1
	s_and_b32 s27, vcc_lo, exec_lo
	s_delay_alu instid0(SALU_CYCLE_1)
	s_or_b32 s0, s0, s27
.LBB223_615:
	s_mov_b32 s27, 0
.LBB223_616:
	s_delay_alu instid0(SALU_CYCLE_1)
	s_and_not1_b32 vcc_lo, exec_lo, s27
	s_cbranch_vccnz .LBB223_618
; %bb.617:
	global_load_u16 v1, v[4:5], off
	s_and_not1_b32 s0, s0, exec_lo
	s_wait_loadcnt 0x0
	v_and_b32_e32 v1, 0x7fff, v1
	s_delay_alu instid0(VALU_DEP_1) | instskip(SKIP_1) | instid1(SALU_CYCLE_1)
	v_cmp_ne_u16_e32 vcc_lo, 0, v1
	s_and_b32 s27, vcc_lo, exec_lo
	s_or_b32 s0, s0, s27
.LBB223_618:
	s_mov_b32 s27, 0
.LBB223_619:
	s_delay_alu instid0(SALU_CYCLE_1)
	s_and_not1_b32 vcc_lo, exec_lo, s27
	s_cbranch_vccnz .LBB223_639
; %bb.620:
	s_cmp_lt_i32 s26, 2
	s_cbranch_scc1 .LBB223_624
; %bb.621:
	s_cmp_lt_i32 s26, 3
	s_cbranch_scc1 .LBB223_625
; %bb.622:
	s_cmp_gt_i32 s26, 3
	s_cbranch_scc0 .LBB223_626
; %bb.623:
	global_load_b64 v[6:7], v[4:5], off
	s_mov_b32 s27, 0
	s_wait_loadcnt 0x0
	v_cmp_ne_u64_e64 s0, 0, v[6:7]
	s_branch .LBB223_627
.LBB223_624:
	s_mov_b32 s27, -1
                                        ; implicit-def: $sgpr0
	s_branch .LBB223_633
.LBB223_625:
	s_mov_b32 s27, -1
                                        ; implicit-def: $sgpr0
	s_branch .LBB223_630
.LBB223_626:
	s_mov_b32 s27, -1
                                        ; implicit-def: $sgpr0
.LBB223_627:
	s_delay_alu instid0(SALU_CYCLE_1)
	s_and_not1_b32 vcc_lo, exec_lo, s27
	s_cbranch_vccnz .LBB223_629
; %bb.628:
	global_load_b32 v1, v[4:5], off
	s_and_not1_b32 s0, s0, exec_lo
	s_wait_loadcnt 0x0
	v_cmp_ne_u32_e32 vcc_lo, 0, v1
	s_and_b32 s27, vcc_lo, exec_lo
	s_delay_alu instid0(SALU_CYCLE_1)
	s_or_b32 s0, s0, s27
.LBB223_629:
	s_mov_b32 s27, 0
.LBB223_630:
	s_delay_alu instid0(SALU_CYCLE_1)
	s_and_not1_b32 vcc_lo, exec_lo, s27
	s_cbranch_vccnz .LBB223_632
; %bb.631:
	global_load_u16 v1, v[4:5], off
	s_and_not1_b32 s0, s0, exec_lo
	s_wait_loadcnt 0x0
	v_cmp_ne_u16_e32 vcc_lo, 0, v1
	s_and_b32 s27, vcc_lo, exec_lo
	s_delay_alu instid0(SALU_CYCLE_1)
	s_or_b32 s0, s0, s27
.LBB223_632:
	s_mov_b32 s27, 0
.LBB223_633:
	s_delay_alu instid0(SALU_CYCLE_1)
	s_and_not1_b32 vcc_lo, exec_lo, s27
	s_cbranch_vccnz .LBB223_639
; %bb.634:
	s_cmp_gt_i32 s26, 0
	s_mov_b32 s26, 0
	s_cbranch_scc0 .LBB223_636
; %bb.635:
	global_load_u8 v1, v[4:5], off
	s_wait_loadcnt 0x0
	v_cmp_ne_u16_e64 s0, 0, v1
	s_branch .LBB223_637
.LBB223_636:
	s_mov_b32 s26, -1
                                        ; implicit-def: $sgpr0
.LBB223_637:
	s_delay_alu instid0(SALU_CYCLE_1)
	s_and_not1_b32 vcc_lo, exec_lo, s26
	s_cbranch_vccnz .LBB223_639
; %bb.638:
	global_load_u8 v1, v[4:5], off
	s_and_not1_b32 s0, s0, exec_lo
	s_wait_loadcnt 0x0
	v_cmp_ne_u16_e32 vcc_lo, 0, v1
	s_and_b32 s26, vcc_lo, exec_lo
	s_delay_alu instid0(SALU_CYCLE_1)
	s_or_b32 s0, s0, s26
.LBB223_639:
	s_mov_b32 s27, -1
.LBB223_640:
	s_delay_alu instid0(SALU_CYCLE_1)
	s_and_not1_b32 vcc_lo, exec_lo, s27
	s_cbranch_vccnz .LBB223_648
; %bb.641:
	v_mov_b32_e32 v3, 0
	s_and_b32 s26, s2, 0xff
	s_delay_alu instid0(VALU_DEP_2) | instskip(SKIP_1) | instid1(VALU_DEP_1)
	s_xor_b32 s1, s0, s9
	s_cmp_lt_i32 s26, 11
	v_add_nc_u64_e32 v[2:3], s[4:5], v[2:3]
	s_cbranch_scc1 .LBB223_649
; %bb.642:
	s_and_b32 s27, 0xffff, s26
	s_delay_alu instid0(SALU_CYCLE_1)
	s_cmp_gt_i32 s27, 25
	s_cbranch_scc0 .LBB223_650
; %bb.643:
	s_cmp_gt_i32 s27, 28
	s_cbranch_scc0 .LBB223_651
; %bb.644:
	;; [unrolled: 3-line block ×4, first 2 shown]
	s_mov_b32 s29, 0
	s_mov_b32 s0, -1
	s_cmp_eq_u32 s27, 46
	s_mov_b32 s28, 0
	s_cbranch_scc0 .LBB223_654
; %bb.647:
	v_cndmask_b32_e64 v1, 0, 1.0, s1
	s_mov_b32 s28, -1
	s_mov_b32 s0, 0
	s_wait_xcnt 0x0
	s_delay_alu instid0(VALU_DEP_1) | instskip(NEXT) | instid1(VALU_DEP_1)
	v_bfe_u32 v4, v1, 16, 1
	v_add3_u32 v1, v1, v4, 0x7fff
	s_delay_alu instid0(VALU_DEP_1)
	v_lshrrev_b32_e32 v1, 16, v1
	global_store_b32 v[2:3], v1, off
	s_branch .LBB223_654
.LBB223_648:
	s_mov_b32 s26, 0
	s_mov_b32 s0, s43
                                        ; implicit-def: $vgpr0
	s_branch .LBB223_764
.LBB223_649:
	s_mov_b32 s27, -1
	s_mov_b32 s28, 0
	s_mov_b32 s0, s43
	s_branch .LBB223_723
.LBB223_650:
	s_mov_b32 s29, -1
	s_mov_b32 s28, 0
	s_mov_b32 s0, s43
	s_branch .LBB223_681
.LBB223_651:
	s_mov_b32 s29, -1
	s_mov_b32 s28, 0
	s_mov_b32 s0, s43
	s_branch .LBB223_664
.LBB223_652:
	s_mov_b32 s29, -1
	s_mov_b32 s28, 0
	s_mov_b32 s0, s43
	s_branch .LBB223_660
.LBB223_653:
	s_mov_b32 s29, -1
	s_mov_b32 s28, 0
	s_mov_b32 s0, s43
.LBB223_654:
	s_and_b32 vcc_lo, exec_lo, s29
	s_cbranch_vccz .LBB223_659
; %bb.655:
	s_cmp_eq_u32 s27, 44
	s_mov_b32 s0, -1
	s_cbranch_scc0 .LBB223_659
; %bb.656:
	s_wait_xcnt 0x0
	v_cndmask_b32_e64 v5, 0, 1.0, s1
	s_mov_b32 s28, exec_lo
	s_delay_alu instid0(VALU_DEP_1) | instskip(NEXT) | instid1(VALU_DEP_1)
	v_dual_mov_b32 v4, 0xff :: v_dual_lshrrev_b32 v1, 23, v5
	v_cmpx_ne_u32_e32 0xff, v1
; %bb.657:
	v_and_b32_e32 v4, 0x400000, v5
	v_and_or_b32 v5, 0x3fffff, v5, v1
	s_delay_alu instid0(VALU_DEP_2) | instskip(NEXT) | instid1(VALU_DEP_2)
	v_cmp_ne_u32_e32 vcc_lo, 0, v4
	v_cmp_ne_u32_e64 s0, 0, v5
	s_and_b32 s0, vcc_lo, s0
	s_delay_alu instid0(SALU_CYCLE_1) | instskip(NEXT) | instid1(VALU_DEP_1)
	v_cndmask_b32_e64 v4, 0, 1, s0
	v_add_nc_u32_e32 v4, v1, v4
; %bb.658:
	s_or_b32 exec_lo, exec_lo, s28
	s_mov_b32 s28, -1
	s_mov_b32 s0, 0
	global_store_b8 v[2:3], v4, off
.LBB223_659:
	s_mov_b32 s29, 0
.LBB223_660:
	s_delay_alu instid0(SALU_CYCLE_1)
	s_and_b32 vcc_lo, exec_lo, s29
	s_cbranch_vccz .LBB223_663
; %bb.661:
	s_cmp_eq_u32 s27, 29
	s_mov_b32 s0, -1
	s_cbranch_scc0 .LBB223_663
; %bb.662:
	s_mov_b32 s0, 0
	s_wait_xcnt 0x0
	v_cndmask_b32_e64 v4, 0, 1, s1
	v_mov_b32_e32 v5, s0
	s_mov_b32 s28, -1
	s_mov_b32 s29, 0
	global_store_b64 v[2:3], v[4:5], off
	s_branch .LBB223_664
.LBB223_663:
	s_mov_b32 s29, 0
.LBB223_664:
	s_delay_alu instid0(SALU_CYCLE_1)
	s_and_b32 vcc_lo, exec_lo, s29
	s_cbranch_vccz .LBB223_680
; %bb.665:
	s_cmp_lt_i32 s27, 27
	s_mov_b32 s28, -1
	s_cbranch_scc1 .LBB223_671
; %bb.666:
	s_cmp_gt_i32 s27, 27
	s_cbranch_scc0 .LBB223_668
; %bb.667:
	s_wait_xcnt 0x0
	v_cndmask_b32_e64 v1, 0, 1, s1
	s_mov_b32 s28, 0
	global_store_b32 v[2:3], v1, off
.LBB223_668:
	s_and_not1_b32 vcc_lo, exec_lo, s28
	s_cbranch_vccnz .LBB223_670
; %bb.669:
	s_wait_xcnt 0x0
	v_cndmask_b32_e64 v1, 0, 1, s1
	global_store_b16 v[2:3], v1, off
.LBB223_670:
	s_mov_b32 s28, 0
.LBB223_671:
	s_delay_alu instid0(SALU_CYCLE_1)
	s_and_not1_b32 vcc_lo, exec_lo, s28
	s_cbranch_vccnz .LBB223_679
; %bb.672:
	s_wait_xcnt 0x0
	v_cndmask_b32_e64 v4, 0, 1.0, s1
	v_mov_b32_e32 v5, 0x80
	s_mov_b32 s28, exec_lo
	s_delay_alu instid0(VALU_DEP_2)
	v_cmpx_gt_u32_e32 0x43800000, v4
	s_cbranch_execz .LBB223_678
; %bb.673:
	s_mov_b32 s29, 0
	s_mov_b32 s46, exec_lo
                                        ; implicit-def: $vgpr1
	v_cmpx_lt_u32_e32 0x3bffffff, v4
	s_xor_b32 s46, exec_lo, s46
	s_cbranch_execz .LBB223_795
; %bb.674:
	v_bfe_u32 v1, v4, 20, 1
	s_mov_b32 s29, exec_lo
	s_delay_alu instid0(VALU_DEP_1) | instskip(NEXT) | instid1(VALU_DEP_1)
	v_add3_u32 v1, v4, v1, 0x487ffff
                                        ; implicit-def: $vgpr4
	v_lshrrev_b32_e32 v1, 20, v1
	s_and_not1_saveexec_b32 s46, s46
	s_cbranch_execnz .LBB223_796
.LBB223_675:
	s_or_b32 exec_lo, exec_lo, s46
	v_mov_b32_e32 v5, 0
	s_and_saveexec_b32 s46, s29
.LBB223_676:
	v_mov_b32_e32 v5, v1
.LBB223_677:
	s_or_b32 exec_lo, exec_lo, s46
.LBB223_678:
	s_delay_alu instid0(SALU_CYCLE_1)
	s_or_b32 exec_lo, exec_lo, s28
	global_store_b8 v[2:3], v5, off
.LBB223_679:
	s_mov_b32 s28, -1
.LBB223_680:
	s_mov_b32 s29, 0
.LBB223_681:
	s_delay_alu instid0(SALU_CYCLE_1)
	s_and_b32 vcc_lo, exec_lo, s29
	s_cbranch_vccz .LBB223_722
; %bb.682:
	s_cmp_gt_i32 s27, 22
	s_mov_b32 s29, -1
	s_cbranch_scc0 .LBB223_714
; %bb.683:
	s_cmp_lt_i32 s27, 24
	s_mov_b32 s28, -1
	s_cbranch_scc1 .LBB223_703
; %bb.684:
	s_cmp_gt_i32 s27, 24
	s_cbranch_scc0 .LBB223_692
; %bb.685:
	s_wait_xcnt 0x0
	v_cndmask_b32_e64 v4, 0, 1.0, s1
	v_mov_b32_e32 v5, 0x80
	s_mov_b32 s28, exec_lo
	s_delay_alu instid0(VALU_DEP_2)
	v_cmpx_gt_u32_e32 0x47800000, v4
	s_cbranch_execz .LBB223_691
; %bb.686:
	s_mov_b32 s29, 0
	s_mov_b32 s46, exec_lo
                                        ; implicit-def: $vgpr1
	v_cmpx_lt_u32_e32 0x37ffffff, v4
	s_xor_b32 s46, exec_lo, s46
	s_cbranch_execz .LBB223_798
; %bb.687:
	v_bfe_u32 v1, v4, 21, 1
	s_mov_b32 s29, exec_lo
	s_delay_alu instid0(VALU_DEP_1) | instskip(NEXT) | instid1(VALU_DEP_1)
	v_add3_u32 v1, v4, v1, 0x88fffff
                                        ; implicit-def: $vgpr4
	v_lshrrev_b32_e32 v1, 21, v1
	s_and_not1_saveexec_b32 s46, s46
	s_cbranch_execnz .LBB223_799
.LBB223_688:
	s_or_b32 exec_lo, exec_lo, s46
	v_mov_b32_e32 v5, 0
	s_and_saveexec_b32 s46, s29
.LBB223_689:
	v_mov_b32_e32 v5, v1
.LBB223_690:
	s_or_b32 exec_lo, exec_lo, s46
.LBB223_691:
	s_delay_alu instid0(SALU_CYCLE_1)
	s_or_b32 exec_lo, exec_lo, s28
	s_mov_b32 s28, 0
	global_store_b8 v[2:3], v5, off
.LBB223_692:
	s_and_b32 vcc_lo, exec_lo, s28
	s_cbranch_vccz .LBB223_702
; %bb.693:
	s_wait_xcnt 0x0
	v_cndmask_b32_e64 v4, 0, 1.0, s1
	s_mov_b32 s28, exec_lo
                                        ; implicit-def: $vgpr1
	s_delay_alu instid0(VALU_DEP_1)
	v_cmpx_gt_u32_e32 0x43f00000, v4
	s_xor_b32 s28, exec_lo, s28
	s_cbranch_execz .LBB223_699
; %bb.694:
	s_mov_b32 s29, exec_lo
                                        ; implicit-def: $vgpr1
	v_cmpx_lt_u32_e32 0x3c7fffff, v4
	s_xor_b32 s29, exec_lo, s29
; %bb.695:
	v_bfe_u32 v1, v4, 20, 1
	s_delay_alu instid0(VALU_DEP_1) | instskip(NEXT) | instid1(VALU_DEP_1)
	v_add3_u32 v1, v4, v1, 0x407ffff
	v_and_b32_e32 v4, 0xff00000, v1
	v_lshrrev_b32_e32 v1, 20, v1
	s_delay_alu instid0(VALU_DEP_2) | instskip(NEXT) | instid1(VALU_DEP_2)
	v_cmp_ne_u32_e32 vcc_lo, 0x7f00000, v4
                                        ; implicit-def: $vgpr4
	v_cndmask_b32_e32 v1, 0x7e, v1, vcc_lo
; %bb.696:
	s_and_not1_saveexec_b32 s29, s29
; %bb.697:
	v_add_f32_e32 v1, 0x46800000, v4
; %bb.698:
	s_or_b32 exec_lo, exec_lo, s29
                                        ; implicit-def: $vgpr4
.LBB223_699:
	s_and_not1_saveexec_b32 s28, s28
; %bb.700:
	v_mov_b32_e32 v1, 0x7f
	v_cmp_lt_u32_e32 vcc_lo, 0x7f800000, v4
	s_delay_alu instid0(VALU_DEP_2)
	v_cndmask_b32_e32 v1, 0x7e, v1, vcc_lo
; %bb.701:
	s_or_b32 exec_lo, exec_lo, s28
	global_store_b8 v[2:3], v1, off
.LBB223_702:
	s_mov_b32 s28, 0
.LBB223_703:
	s_delay_alu instid0(SALU_CYCLE_1)
	s_and_not1_b32 vcc_lo, exec_lo, s28
	s_cbranch_vccnz .LBB223_713
; %bb.704:
	s_wait_xcnt 0x0
	v_cndmask_b32_e64 v4, 0, 1.0, s1
	s_mov_b32 s28, exec_lo
                                        ; implicit-def: $vgpr1
	s_delay_alu instid0(VALU_DEP_1)
	v_cmpx_gt_u32_e32 0x47800000, v4
	s_xor_b32 s28, exec_lo, s28
	s_cbranch_execz .LBB223_710
; %bb.705:
	s_mov_b32 s29, exec_lo
                                        ; implicit-def: $vgpr1
	v_cmpx_lt_u32_e32 0x387fffff, v4
	s_xor_b32 s29, exec_lo, s29
; %bb.706:
	v_bfe_u32 v1, v4, 21, 1
	s_delay_alu instid0(VALU_DEP_1) | instskip(NEXT) | instid1(VALU_DEP_1)
	v_add3_u32 v1, v4, v1, 0x80fffff
                                        ; implicit-def: $vgpr4
	v_lshrrev_b32_e32 v1, 21, v1
; %bb.707:
	s_and_not1_saveexec_b32 s29, s29
; %bb.708:
	v_add_f32_e32 v1, 0x43000000, v4
; %bb.709:
	s_or_b32 exec_lo, exec_lo, s29
                                        ; implicit-def: $vgpr4
.LBB223_710:
	s_and_not1_saveexec_b32 s28, s28
; %bb.711:
	v_mov_b32_e32 v1, 0x7f
	v_cmp_lt_u32_e32 vcc_lo, 0x7f800000, v4
	s_delay_alu instid0(VALU_DEP_2)
	v_cndmask_b32_e32 v1, 0x7c, v1, vcc_lo
; %bb.712:
	s_or_b32 exec_lo, exec_lo, s28
	global_store_b8 v[2:3], v1, off
.LBB223_713:
	s_mov_b32 s29, 0
	s_mov_b32 s28, -1
.LBB223_714:
	s_and_not1_b32 vcc_lo, exec_lo, s29
	s_cbranch_vccnz .LBB223_722
; %bb.715:
	s_cmp_gt_i32 s27, 14
	s_mov_b32 s29, -1
	s_cbranch_scc0 .LBB223_719
; %bb.716:
	s_cmp_eq_u32 s27, 15
	s_mov_b32 s0, -1
	s_cbranch_scc0 .LBB223_718
; %bb.717:
	s_wait_xcnt 0x0
	v_cndmask_b32_e64 v1, 0, 1.0, s1
	s_mov_b32 s28, -1
	s_mov_b32 s0, 0
	s_delay_alu instid0(VALU_DEP_1) | instskip(NEXT) | instid1(VALU_DEP_1)
	v_bfe_u32 v4, v1, 16, 1
	v_add3_u32 v1, v1, v4, 0x7fff
	global_store_d16_hi_b16 v[2:3], v1, off
.LBB223_718:
	s_mov_b32 s29, 0
.LBB223_719:
	s_delay_alu instid0(SALU_CYCLE_1)
	s_and_b32 vcc_lo, exec_lo, s29
	s_cbranch_vccz .LBB223_722
; %bb.720:
	s_cmp_eq_u32 s27, 11
	s_mov_b32 s0, -1
	s_cbranch_scc0 .LBB223_722
; %bb.721:
	s_wait_xcnt 0x0
	v_cndmask_b32_e64 v1, 0, 1, s1
	s_mov_b32 s28, -1
	s_mov_b32 s0, 0
	global_store_b8 v[2:3], v1, off
.LBB223_722:
	s_mov_b32 s27, 0
.LBB223_723:
	s_delay_alu instid0(SALU_CYCLE_1)
	s_and_b32 vcc_lo, exec_lo, s27
	s_cbranch_vccz .LBB223_762
; %bb.724:
	s_and_b32 s26, 0xffff, s26
	s_mov_b32 s27, -1
	s_cmp_lt_i32 s26, 5
	s_cbranch_scc1 .LBB223_745
; %bb.725:
	s_cmp_lt_i32 s26, 8
	s_cbranch_scc1 .LBB223_735
; %bb.726:
	;; [unrolled: 3-line block ×3, first 2 shown]
	s_cmp_gt_i32 s26, 9
	s_cbranch_scc0 .LBB223_729
; %bb.728:
	s_wait_xcnt 0x0
	v_cndmask_b32_e64 v1, 0, 1, s1
	v_mov_b32_e32 v6, 0
	s_mov_b32 s27, 0
	s_delay_alu instid0(VALU_DEP_2) | instskip(NEXT) | instid1(VALU_DEP_2)
	v_cvt_f64_u32_e32 v[4:5], v1
	v_mov_b32_e32 v7, v6
	global_store_b128 v[2:3], v[4:7], off
.LBB223_729:
	s_and_not1_b32 vcc_lo, exec_lo, s27
	s_cbranch_vccnz .LBB223_731
; %bb.730:
	s_wait_xcnt 0x0
	v_cndmask_b32_e64 v4, 0, 1.0, s1
	v_mov_b32_e32 v5, 0
	global_store_b64 v[2:3], v[4:5], off
.LBB223_731:
	s_mov_b32 s27, 0
.LBB223_732:
	s_delay_alu instid0(SALU_CYCLE_1)
	s_and_not1_b32 vcc_lo, exec_lo, s27
	s_cbranch_vccnz .LBB223_734
; %bb.733:
	s_wait_xcnt 0x0
	v_cndmask_b32_e64 v1, 0, 1.0, s1
	s_delay_alu instid0(VALU_DEP_1) | instskip(NEXT) | instid1(VALU_DEP_1)
	v_cvt_f16_f32_e32 v1, v1
	v_and_b32_e32 v1, 0xffff, v1
	global_store_b32 v[2:3], v1, off
.LBB223_734:
	s_mov_b32 s27, 0
.LBB223_735:
	s_delay_alu instid0(SALU_CYCLE_1)
	s_and_not1_b32 vcc_lo, exec_lo, s27
	s_cbranch_vccnz .LBB223_744
; %bb.736:
	s_cmp_lt_i32 s26, 6
	s_mov_b32 s27, -1
	s_cbranch_scc1 .LBB223_742
; %bb.737:
	s_cmp_gt_i32 s26, 6
	s_cbranch_scc0 .LBB223_739
; %bb.738:
	s_wait_xcnt 0x0
	v_cndmask_b32_e64 v1, 0, 1, s1
	s_mov_b32 s27, 0
	s_delay_alu instid0(VALU_DEP_1)
	v_cvt_f64_u32_e32 v[4:5], v1
	global_store_b64 v[2:3], v[4:5], off
.LBB223_739:
	s_and_not1_b32 vcc_lo, exec_lo, s27
	s_cbranch_vccnz .LBB223_741
; %bb.740:
	s_wait_xcnt 0x0
	v_cndmask_b32_e64 v1, 0, 1.0, s1
	global_store_b32 v[2:3], v1, off
.LBB223_741:
	s_mov_b32 s27, 0
.LBB223_742:
	s_delay_alu instid0(SALU_CYCLE_1)
	s_and_not1_b32 vcc_lo, exec_lo, s27
	s_cbranch_vccnz .LBB223_744
; %bb.743:
	s_wait_xcnt 0x0
	v_cndmask_b32_e64 v1, 0, 1.0, s1
	s_delay_alu instid0(VALU_DEP_1)
	v_cvt_f16_f32_e32 v1, v1
	global_store_b16 v[2:3], v1, off
.LBB223_744:
	s_mov_b32 s27, 0
.LBB223_745:
	s_delay_alu instid0(SALU_CYCLE_1)
	s_and_not1_b32 vcc_lo, exec_lo, s27
	s_cbranch_vccnz .LBB223_761
; %bb.746:
	s_cmp_lt_i32 s26, 2
	s_mov_b32 s27, -1
	s_cbranch_scc1 .LBB223_756
; %bb.747:
	s_cmp_lt_i32 s26, 3
	s_cbranch_scc1 .LBB223_753
; %bb.748:
	s_cmp_gt_i32 s26, 3
	s_cbranch_scc0 .LBB223_750
; %bb.749:
	s_mov_b32 s27, 0
	s_wait_xcnt 0x0
	v_cndmask_b32_e64 v4, 0, 1, s1
	v_mov_b32_e32 v5, s27
	global_store_b64 v[2:3], v[4:5], off
.LBB223_750:
	s_and_not1_b32 vcc_lo, exec_lo, s27
	s_cbranch_vccnz .LBB223_752
; %bb.751:
	s_wait_xcnt 0x0
	v_cndmask_b32_e64 v1, 0, 1, s1
	global_store_b32 v[2:3], v1, off
.LBB223_752:
	s_mov_b32 s27, 0
.LBB223_753:
	s_delay_alu instid0(SALU_CYCLE_1)
	s_and_not1_b32 vcc_lo, exec_lo, s27
	s_cbranch_vccnz .LBB223_755
; %bb.754:
	s_wait_xcnt 0x0
	v_cndmask_b32_e64 v1, 0, 1, s1
	global_store_b16 v[2:3], v1, off
.LBB223_755:
	s_mov_b32 s27, 0
.LBB223_756:
	s_delay_alu instid0(SALU_CYCLE_1)
	s_and_not1_b32 vcc_lo, exec_lo, s27
	s_cbranch_vccnz .LBB223_761
; %bb.757:
	s_wait_xcnt 0x0
	v_cndmask_b32_e64 v1, 0, 1, s1
	s_cmp_gt_i32 s26, 0
	s_mov_b32 s1, -1
	s_cbranch_scc0 .LBB223_759
; %bb.758:
	s_mov_b32 s1, 0
	global_store_b8 v[2:3], v1, off
.LBB223_759:
	s_and_not1_b32 vcc_lo, exec_lo, s1
	s_cbranch_vccnz .LBB223_761
; %bb.760:
	global_store_b8 v[2:3], v1, off
.LBB223_761:
	s_mov_b32 s28, -1
.LBB223_762:
	s_mov_b32 s1, 0
	s_and_not1_b32 vcc_lo, exec_lo, s28
	s_mov_b32 s26, 0
	s_cbranch_vccnz .LBB223_764
; %bb.763:
	v_add_nc_u32_e32 v0, 0x80, v0
	s_mov_b32 s26, -1
.LBB223_764:
	s_and_not1_b32 s27, s43, exec_lo
	s_and_b32 s0, s0, exec_lo
	s_and_not1_b32 s28, s42, exec_lo
	s_and_b32 s1, s1, exec_lo
	s_or_b32 s29, s27, s0
	s_or_b32 s28, s28, s1
	s_or_not1_b32 s46, s26, exec_lo
.LBB223_765:
	s_wait_xcnt 0x0
	s_or_b32 exec_lo, exec_lo, s45
	s_mov_b32 s1, 0
	s_mov_b32 s0, 0
	;; [unrolled: 1-line block ×3, first 2 shown]
                                        ; implicit-def: $sgpr26
                                        ; implicit-def: $vgpr4_vgpr5
                                        ; implicit-def: $vgpr2
	s_and_saveexec_b32 s45, s46
	s_cbranch_execz .LBB223_849
; %bb.766:
	v_cmp_gt_i32_e32 vcc_lo, s37, v0
	s_mov_b32 s47, s28
	s_mov_b32 s46, 0
                                        ; implicit-def: $sgpr26
                                        ; implicit-def: $vgpr4_vgpr5
                                        ; implicit-def: $vgpr2
	s_and_saveexec_b32 s37, vcc_lo
	s_cbranch_execz .LBB223_848
; %bb.767:
	s_and_not1_b32 vcc_lo, exec_lo, s33
	s_cbranch_vccnz .LBB223_773
; %bb.768:
	s_and_not1_b32 vcc_lo, exec_lo, s39
	s_cbranch_vccnz .LBB223_774
; %bb.769:
	s_add_co_i32 s38, s38, 1
	s_cmp_eq_u32 s31, 2
	s_cbranch_scc1 .LBB223_775
; %bb.770:
	v_dual_mov_b32 v2, 0 :: v_dual_mov_b32 v4, 0
	v_mov_b32_e32 v1, v0
	s_and_b32 s0, s38, 28
	s_mov_b64 s[26:27], s[16:17]
.LBB223_771:                            ; =>This Inner Loop Header: Depth=1
	s_clause 0x1
	s_load_b256 s[48:55], s[26:27], 0x4
	s_load_b128 s[64:67], s[26:27], 0x24
	s_load_b256 s[56:63], s[24:25], 0x0
	s_add_co_i32 s1, s1, 4
	s_wait_xcnt 0x0
	s_add_nc_u64 s[26:27], s[26:27], 48
	s_cmp_eq_u32 s0, s1
	s_add_nc_u64 s[24:25], s[24:25], 32
	s_wait_kmcnt 0x0
	v_mul_hi_u32 v3, s49, v1
	s_delay_alu instid0(VALU_DEP_1) | instskip(NEXT) | instid1(VALU_DEP_1)
	v_add_nc_u32_e32 v3, v1, v3
	v_lshrrev_b32_e32 v3, s50, v3
	s_delay_alu instid0(VALU_DEP_1) | instskip(NEXT) | instid1(VALU_DEP_1)
	v_mul_hi_u32 v5, s52, v3
	v_add_nc_u32_e32 v5, v3, v5
	s_delay_alu instid0(VALU_DEP_1) | instskip(NEXT) | instid1(VALU_DEP_1)
	v_lshrrev_b32_e32 v5, s53, v5
	v_mul_hi_u32 v6, s55, v5
	s_delay_alu instid0(VALU_DEP_1) | instskip(SKIP_1) | instid1(VALU_DEP_1)
	v_add_nc_u32_e32 v6, v5, v6
	v_mul_lo_u32 v7, v3, s48
	v_sub_nc_u32_e32 v1, v1, v7
	v_mul_lo_u32 v7, v5, s51
	s_delay_alu instid0(VALU_DEP_4) | instskip(NEXT) | instid1(VALU_DEP_3)
	v_lshrrev_b32_e32 v6, s64, v6
	v_mad_u32 v4, v1, s57, v4
	v_mad_u32 v1, v1, s56, v2
	s_delay_alu instid0(VALU_DEP_4) | instskip(NEXT) | instid1(VALU_DEP_4)
	v_sub_nc_u32_e32 v2, v3, v7
	v_mul_hi_u32 v8, s66, v6
	v_mul_lo_u32 v3, v6, s54
	s_delay_alu instid0(VALU_DEP_3) | instskip(SKIP_1) | instid1(VALU_DEP_3)
	v_mad_u32 v4, v2, s59, v4
	v_mad_u32 v2, v2, s58, v1
	v_dual_add_nc_u32 v7, v6, v8 :: v_dual_sub_nc_u32 v3, v5, v3
	s_delay_alu instid0(VALU_DEP_1) | instskip(NEXT) | instid1(VALU_DEP_2)
	v_lshrrev_b32_e32 v1, s67, v7
	v_mad_u32 v4, v3, s61, v4
	s_delay_alu instid0(VALU_DEP_4) | instskip(NEXT) | instid1(VALU_DEP_3)
	v_mad_u32 v2, v3, s60, v2
	v_mul_lo_u32 v5, v1, s65
	s_delay_alu instid0(VALU_DEP_1) | instskip(NEXT) | instid1(VALU_DEP_1)
	v_sub_nc_u32_e32 v3, v6, v5
	v_mad_u32 v4, v3, s63, v4
	s_delay_alu instid0(VALU_DEP_4)
	v_mad_u32 v2, v3, s62, v2
	s_cbranch_scc0 .LBB223_771
; %bb.772:
	s_delay_alu instid0(VALU_DEP_2)
	v_mov_b32_e32 v3, v4
	s_branch .LBB223_776
.LBB223_773:
	s_mov_b32 s0, -1
                                        ; implicit-def: $vgpr4
                                        ; implicit-def: $vgpr2
	s_branch .LBB223_781
.LBB223_774:
	v_dual_mov_b32 v4, 0 :: v_dual_mov_b32 v2, 0
	s_branch .LBB223_780
.LBB223_775:
	v_mov_b64_e32 v[2:3], 0
	v_mov_b32_e32 v1, v0
                                        ; implicit-def: $vgpr4
.LBB223_776:
	s_and_b32 s26, s38, 3
	s_mov_b32 s1, 0
	s_cmp_eq_u32 s26, 0
	s_cbranch_scc1 .LBB223_780
; %bb.777:
	s_lshl_b32 s24, s0, 3
	s_mov_b32 s25, s1
	s_mul_u64 s[38:39], s[0:1], 12
	s_add_nc_u64 s[24:25], s[16:17], s[24:25]
	s_delay_alu instid0(SALU_CYCLE_1)
	s_add_nc_u64 s[0:1], s[24:25], 0xc4
	s_add_nc_u64 s[24:25], s[16:17], s[38:39]
.LBB223_778:                            ; =>This Inner Loop Header: Depth=1
	s_load_b96 s[48:50], s[24:25], 0x4
	s_load_b64 s[38:39], s[0:1], 0x0
	s_add_co_i32 s26, s26, -1
	s_wait_xcnt 0x0
	s_add_nc_u64 s[24:25], s[24:25], 12
	s_cmp_lg_u32 s26, 0
	s_add_nc_u64 s[0:1], s[0:1], 8
	s_wait_kmcnt 0x0
	v_mul_hi_u32 v4, s49, v1
	s_delay_alu instid0(VALU_DEP_1) | instskip(NEXT) | instid1(VALU_DEP_1)
	v_add_nc_u32_e32 v4, v1, v4
	v_lshrrev_b32_e32 v4, s50, v4
	s_delay_alu instid0(VALU_DEP_1) | instskip(NEXT) | instid1(VALU_DEP_1)
	v_mul_lo_u32 v5, v4, s48
	v_sub_nc_u32_e32 v1, v1, v5
	s_delay_alu instid0(VALU_DEP_1)
	v_mad_u32 v3, v1, s39, v3
	v_mad_u32 v2, v1, s38, v2
	v_mov_b32_e32 v1, v4
	s_cbranch_scc1 .LBB223_778
; %bb.779:
	s_delay_alu instid0(VALU_DEP_3)
	v_mov_b32_e32 v4, v3
.LBB223_780:
	s_mov_b32 s0, 0
.LBB223_781:
	s_delay_alu instid0(SALU_CYCLE_1)
	s_and_not1_b32 vcc_lo, exec_lo, s0
	s_cbranch_vccnz .LBB223_784
; %bb.782:
	v_mov_b32_e32 v1, 0
	s_and_not1_b32 vcc_lo, exec_lo, s36
	s_delay_alu instid0(VALU_DEP_1) | instskip(NEXT) | instid1(VALU_DEP_1)
	v_mul_u64_e32 v[2:3], s[18:19], v[0:1]
	v_add_nc_u32_e32 v2, v0, v3
	s_delay_alu instid0(VALU_DEP_1) | instskip(NEXT) | instid1(VALU_DEP_1)
	v_lshrrev_b32_e32 v6, s10, v2
	v_mul_lo_u32 v2, v6, s8
	s_delay_alu instid0(VALU_DEP_1) | instskip(NEXT) | instid1(VALU_DEP_1)
	v_sub_nc_u32_e32 v0, v0, v2
	v_mul_lo_u32 v4, v0, s13
	v_mul_lo_u32 v2, v0, s12
	s_cbranch_vccnz .LBB223_784
; %bb.783:
	v_mov_b32_e32 v7, v1
	s_delay_alu instid0(VALU_DEP_1) | instskip(NEXT) | instid1(VALU_DEP_1)
	v_mul_u64_e32 v[0:1], s[22:23], v[6:7]
	v_add_nc_u32_e32 v0, v6, v1
	s_delay_alu instid0(VALU_DEP_1) | instskip(NEXT) | instid1(VALU_DEP_1)
	v_lshrrev_b32_e32 v0, s21, v0
	v_mul_lo_u32 v0, v0, s11
	s_delay_alu instid0(VALU_DEP_1) | instskip(NEXT) | instid1(VALU_DEP_1)
	v_sub_nc_u32_e32 v0, v6, v0
	v_mad_u32 v2, v0, s14, v2
	v_mad_u32 v4, v0, s15, v4
.LBB223_784:
	v_mov_b32_e32 v5, 0
	s_and_b32 s1, 0xffff, s35
	s_delay_alu instid0(SALU_CYCLE_1) | instskip(NEXT) | instid1(VALU_DEP_1)
	s_cmp_lt_i32 s1, 11
	v_add_nc_u64_e32 v[4:5], s[6:7], v[4:5]
	s_cbranch_scc1 .LBB223_791
; %bb.785:
	s_cmp_gt_i32 s1, 25
	s_mov_b32 s6, 0
	s_cbranch_scc0 .LBB223_792
; %bb.786:
	s_cmp_gt_i32 s1, 28
	s_cbranch_scc0 .LBB223_793
; %bb.787:
	s_cmp_gt_i32 s1, 43
	;; [unrolled: 3-line block ×3, first 2 shown]
	s_cbranch_scc0 .LBB223_797
; %bb.789:
	s_cmp_eq_u32 s1, 46
	s_mov_b32 s8, 0
	s_cbranch_scc0 .LBB223_800
; %bb.790:
	global_load_b32 v0, v[4:5], off
	s_mov_b32 s0, 0
	s_mov_b32 s7, -1
	s_wait_loadcnt 0x0
	v_and_b32_e32 v0, 0x7fff7fff, v0
	s_delay_alu instid0(VALU_DEP_1)
	v_cmp_ne_u32_e64 s26, 0, v0
	s_branch .LBB223_802
.LBB223_791:
	s_mov_b32 s1, -1
	s_mov_b32 s7, 0
	s_mov_b32 s6, 0
	s_mov_b32 s0, s28
                                        ; implicit-def: $sgpr26
	s_branch .LBB223_847
.LBB223_792:
	s_mov_b32 s8, -1
	s_mov_b32 s7, 0
	s_mov_b32 s0, s28
                                        ; implicit-def: $sgpr26
	s_branch .LBB223_823
.LBB223_793:
	s_mov_b32 s8, -1
	s_mov_b32 s7, 0
	s_mov_b32 s0, s28
                                        ; implicit-def: $sgpr26
	s_branch .LBB223_810
.LBB223_794:
	s_mov_b32 s8, -1
	s_mov_b32 s7, 0
	s_mov_b32 s0, s28
                                        ; implicit-def: $sgpr26
	s_branch .LBB223_805
.LBB223_795:
	s_and_not1_saveexec_b32 s46, s46
	s_cbranch_execz .LBB223_675
.LBB223_796:
	v_add_f32_e32 v1, 0x46000000, v4
	s_and_not1_b32 s29, s29, exec_lo
	s_delay_alu instid0(VALU_DEP_1) | instskip(NEXT) | instid1(VALU_DEP_1)
	v_and_b32_e32 v1, 0xff, v1
	v_cmp_ne_u32_e32 vcc_lo, 0, v1
	s_and_b32 s47, vcc_lo, exec_lo
	s_delay_alu instid0(SALU_CYCLE_1)
	s_or_b32 s29, s29, s47
	s_or_b32 exec_lo, exec_lo, s46
	v_mov_b32_e32 v5, 0
	s_and_saveexec_b32 s46, s29
	s_cbranch_execnz .LBB223_676
	s_branch .LBB223_677
.LBB223_797:
	s_mov_b32 s8, -1
	s_mov_b32 s7, 0
	s_mov_b32 s0, s28
	s_branch .LBB223_801
.LBB223_798:
	s_and_not1_saveexec_b32 s46, s46
	s_cbranch_execz .LBB223_688
.LBB223_799:
	v_add_f32_e32 v1, 0x42800000, v4
	s_and_not1_b32 s29, s29, exec_lo
	s_delay_alu instid0(VALU_DEP_1) | instskip(NEXT) | instid1(VALU_DEP_1)
	v_and_b32_e32 v1, 0xff, v1
	v_cmp_ne_u32_e32 vcc_lo, 0, v1
	s_and_b32 s47, vcc_lo, exec_lo
	s_delay_alu instid0(SALU_CYCLE_1)
	s_or_b32 s29, s29, s47
	s_or_b32 exec_lo, exec_lo, s46
	v_mov_b32_e32 v5, 0
	s_and_saveexec_b32 s46, s29
	s_cbranch_execnz .LBB223_689
	s_branch .LBB223_690
.LBB223_800:
	s_mov_b32 s0, -1
	s_mov_b32 s7, 0
.LBB223_801:
                                        ; implicit-def: $sgpr26
.LBB223_802:
	s_and_b32 vcc_lo, exec_lo, s8
	s_cbranch_vccz .LBB223_804
; %bb.803:
	s_cmp_lg_u32 s1, 44
	s_mov_b32 s7, -1
	s_cselect_b32 s8, -1, 0
	s_and_not1_b32 s0, s0, exec_lo
	s_and_b32 s8, s8, exec_lo
	s_or_b32 s26, s26, exec_lo
	s_or_b32 s0, s0, s8
.LBB223_804:
	s_mov_b32 s8, 0
.LBB223_805:
	s_delay_alu instid0(SALU_CYCLE_1)
	s_and_b32 vcc_lo, exec_lo, s8
	s_cbranch_vccz .LBB223_809
; %bb.806:
	s_cmp_eq_u32 s1, 29
	s_cbranch_scc0 .LBB223_808
; %bb.807:
	global_load_b64 v[0:1], v[4:5], off
	s_mov_b32 s0, 0
	s_mov_b32 s7, -1
	s_mov_b32 s8, 0
	s_wait_loadcnt 0x0
	v_cmp_ne_u64_e64 s26, 0, v[0:1]
	s_branch .LBB223_810
.LBB223_808:
	s_mov_b32 s0, -1
                                        ; implicit-def: $sgpr26
.LBB223_809:
	s_mov_b32 s8, 0
.LBB223_810:
	s_delay_alu instid0(SALU_CYCLE_1)
	s_and_b32 vcc_lo, exec_lo, s8
	s_cbranch_vccz .LBB223_822
; %bb.811:
	s_cmp_lt_i32 s1, 27
	s_cbranch_scc1 .LBB223_814
; %bb.812:
	s_cmp_gt_i32 s1, 27
	s_cbranch_scc0 .LBB223_815
; %bb.813:
	global_load_b32 v0, v[4:5], off
	s_mov_b32 s7, 0
	s_wait_loadcnt 0x0
	v_cmp_ne_u32_e64 s26, 0, v0
	s_branch .LBB223_816
.LBB223_814:
	s_mov_b32 s7, -1
                                        ; implicit-def: $sgpr26
	s_branch .LBB223_819
.LBB223_815:
	s_mov_b32 s7, -1
                                        ; implicit-def: $sgpr26
.LBB223_816:
	s_delay_alu instid0(SALU_CYCLE_1)
	s_and_not1_b32 vcc_lo, exec_lo, s7
	s_cbranch_vccnz .LBB223_818
; %bb.817:
	global_load_u16 v0, v[4:5], off
	s_and_not1_b32 s7, s26, exec_lo
	s_wait_loadcnt 0x0
	v_cmp_ne_u16_e32 vcc_lo, 0, v0
	s_and_b32 s8, vcc_lo, exec_lo
	s_delay_alu instid0(SALU_CYCLE_1)
	s_or_b32 s26, s7, s8
.LBB223_818:
	s_mov_b32 s7, 0
.LBB223_819:
	s_delay_alu instid0(SALU_CYCLE_1)
	s_and_not1_b32 vcc_lo, exec_lo, s7
	s_cbranch_vccnz .LBB223_821
; %bb.820:
	global_load_u8 v0, v[4:5], off
	s_and_not1_b32 s7, s26, exec_lo
	s_wait_loadcnt 0x0
	v_cmp_ne_u16_e32 vcc_lo, 0, v0
	s_and_b32 s8, vcc_lo, exec_lo
	s_delay_alu instid0(SALU_CYCLE_1)
	s_or_b32 s26, s7, s8
.LBB223_821:
	s_mov_b32 s7, -1
.LBB223_822:
	s_mov_b32 s8, 0
.LBB223_823:
	s_delay_alu instid0(SALU_CYCLE_1)
	s_and_b32 vcc_lo, exec_lo, s8
	s_cbranch_vccz .LBB223_846
; %bb.824:
	s_cmp_gt_i32 s1, 22
	s_cbranch_scc0 .LBB223_828
; %bb.825:
	s_cmp_lt_i32 s1, 24
	s_cbranch_scc1 .LBB223_829
; %bb.826:
	s_cmp_gt_i32 s1, 24
	s_cbranch_scc0 .LBB223_830
; %bb.827:
	global_load_u8 v0, v[4:5], off
	s_wait_loadcnt 0x0
	v_cmp_ne_u16_e64 s26, 0, v0
	s_branch .LBB223_831
.LBB223_828:
	s_mov_b32 s6, -1
                                        ; implicit-def: $sgpr26
	s_branch .LBB223_837
.LBB223_829:
	s_mov_b32 s6, -1
                                        ; implicit-def: $sgpr26
	s_branch .LBB223_834
.LBB223_830:
	s_mov_b32 s6, -1
                                        ; implicit-def: $sgpr26
.LBB223_831:
	s_delay_alu instid0(SALU_CYCLE_1)
	s_and_not1_b32 vcc_lo, exec_lo, s6
	s_cbranch_vccnz .LBB223_833
; %bb.832:
	global_load_u8 v0, v[4:5], off
	s_and_not1_b32 s6, s26, exec_lo
	s_wait_loadcnt 0x0
	v_and_b32_e32 v0, 0x7f, v0
	s_delay_alu instid0(VALU_DEP_1) | instskip(SKIP_1) | instid1(SALU_CYCLE_1)
	v_cmp_ne_u16_e32 vcc_lo, 0, v0
	s_and_b32 s7, vcc_lo, exec_lo
	s_or_b32 s26, s6, s7
.LBB223_833:
	s_mov_b32 s6, 0
.LBB223_834:
	s_delay_alu instid0(SALU_CYCLE_1)
	s_and_not1_b32 vcc_lo, exec_lo, s6
	s_cbranch_vccnz .LBB223_836
; %bb.835:
	global_load_u8 v0, v[4:5], off
	s_and_not1_b32 s6, s26, exec_lo
	s_wait_loadcnt 0x0
	v_dual_lshlrev_b32 v1, 25, v0 :: v_dual_lshlrev_b32 v0, 8, v0
	s_delay_alu instid0(VALU_DEP_1) | instskip(NEXT) | instid1(VALU_DEP_2)
	v_cmp_gt_u32_e32 vcc_lo, 0x8000000, v1
	v_and_or_b32 v0, 0x7f00, v0, 0.5
	s_delay_alu instid0(VALU_DEP_1) | instskip(NEXT) | instid1(VALU_DEP_1)
	v_dual_add_f32 v0, -0.5, v0 :: v_dual_lshrrev_b32 v3, 4, v1
	v_or_b32_e32 v3, 0x70000000, v3
	s_delay_alu instid0(VALU_DEP_1) | instskip(NEXT) | instid1(VALU_DEP_1)
	v_mul_f32_e32 v3, 0x7800000, v3
	v_cndmask_b32_e32 v0, v3, v0, vcc_lo
	s_delay_alu instid0(VALU_DEP_1) | instskip(SKIP_1) | instid1(SALU_CYCLE_1)
	v_cmp_neq_f32_e32 vcc_lo, 0, v0
	s_and_b32 s7, vcc_lo, exec_lo
	s_or_b32 s26, s6, s7
.LBB223_836:
	s_mov_b32 s6, 0
	s_mov_b32 s7, -1
.LBB223_837:
	s_and_not1_b32 vcc_lo, exec_lo, s6
	s_mov_b32 s6, 0
	s_cbranch_vccnz .LBB223_846
; %bb.838:
	s_cmp_gt_i32 s1, 14
	s_cbranch_scc0 .LBB223_841
; %bb.839:
	s_cmp_eq_u32 s1, 15
	s_cbranch_scc0 .LBB223_842
; %bb.840:
	global_load_u16 v0, v[4:5], off
	s_mov_b32 s0, 0
	s_mov_b32 s7, -1
	s_wait_loadcnt 0x0
	v_and_b32_e32 v0, 0x7fff, v0
	s_delay_alu instid0(VALU_DEP_1)
	v_cmp_ne_u16_e64 s26, 0, v0
	s_branch .LBB223_844
.LBB223_841:
	s_mov_b32 s6, -1
	s_branch .LBB223_843
.LBB223_842:
	s_mov_b32 s0, -1
.LBB223_843:
                                        ; implicit-def: $sgpr26
.LBB223_844:
	s_and_b32 vcc_lo, exec_lo, s6
	s_mov_b32 s6, 0
	s_cbranch_vccz .LBB223_846
; %bb.845:
	s_cmp_lg_u32 s1, 11
	s_mov_b32 s6, -1
	s_cselect_b32 s1, -1, 0
	s_and_not1_b32 s0, s0, exec_lo
	s_and_b32 s1, s1, exec_lo
	s_delay_alu instid0(SALU_CYCLE_1)
	s_or_b32 s0, s0, s1
.LBB223_846:
	s_mov_b32 s1, 0
.LBB223_847:
	s_and_b32 s27, s7, exec_lo
	s_and_not1_b32 s7, s28, exec_lo
	s_and_b32 s0, s0, exec_lo
	s_and_b32 s46, s1, exec_lo
	;; [unrolled: 1-line block ×3, first 2 shown]
	s_or_b32 s47, s7, s0
.LBB223_848:
	s_wait_xcnt 0x0
	s_or_b32 exec_lo, exec_lo, s37
	s_delay_alu instid0(SALU_CYCLE_1)
	s_and_not1_b32 s6, s28, exec_lo
	s_and_b32 s7, s47, exec_lo
	s_and_b32 s27, s27, exec_lo
	;; [unrolled: 1-line block ×4, first 2 shown]
	s_or_b32 s28, s6, s7
.LBB223_849:
	s_or_b32 exec_lo, exec_lo, s45
	s_delay_alu instid0(SALU_CYCLE_1)
	s_and_not1_b32 s6, s43, exec_lo
	s_and_b32 s7, s29, exec_lo
	s_and_b32 s27, s27, exec_lo
	s_or_b32 s43, s6, s7
	s_and_not1_b32 s6, s42, exec_lo
	s_and_b32 s7, s28, exec_lo
	s_and_b32 s0, s0, exec_lo
	;; [unrolled: 1-line block ×3, first 2 shown]
	s_or_b32 s42, s6, s7
.LBB223_850:
	s_or_b32 exec_lo, exec_lo, s44
	s_delay_alu instid0(SALU_CYCLE_1)
	s_and_not1_b32 s6, s20, exec_lo
	s_and_b32 s7, s43, exec_lo
	s_and_b32 s27, s27, exec_lo
	s_or_b32 s20, s6, s7
	s_and_not1_b32 s6, s40, exec_lo
	s_and_b32 s7, s42, exec_lo
	s_and_b32 s0, s0, exec_lo
	s_and_b32 s19, s1, exec_lo
	s_or_b32 s40, s6, s7
	s_or_b32 exec_lo, exec_lo, s41
	s_mov_b32 s1, 0
	s_and_saveexec_b32 s6, s40
	s_cbranch_execz .LBB223_257
.LBB223_851:
	s_mov_b32 s1, exec_lo
	s_and_not1_b32 s27, s27, exec_lo
	s_and_not1_b32 s19, s19, exec_lo
	s_trap 2
	s_or_b32 exec_lo, exec_lo, s6
	s_and_saveexec_b32 s6, s19
	s_delay_alu instid0(SALU_CYCLE_1)
	s_xor_b32 s6, exec_lo, s6
	s_cbranch_execnz .LBB223_258
.LBB223_852:
	s_or_b32 exec_lo, exec_lo, s6
	s_and_saveexec_b32 s6, s0
	s_cbranch_execz .LBB223_898
.LBB223_853:
	s_sext_i32_i16 s0, s35
	s_delay_alu instid0(SALU_CYCLE_1)
	s_cmp_lt_i32 s0, 5
	s_cbranch_scc1 .LBB223_858
; %bb.854:
	s_cmp_lt_i32 s0, 8
	s_cbranch_scc1 .LBB223_859
; %bb.855:
	;; [unrolled: 3-line block ×3, first 2 shown]
	s_cmp_gt_i32 s0, 9
	s_cbranch_scc0 .LBB223_861
; %bb.857:
	global_load_b128 v[6:9], v[4:5], off
	s_mov_b32 s7, 0
	s_wait_loadcnt 0x0
	v_cmp_neq_f64_e32 vcc_lo, 0, v[6:7]
	v_cmp_neq_f64_e64 s0, 0, v[8:9]
	s_or_b32 s0, vcc_lo, s0
	s_branch .LBB223_862
.LBB223_858:
                                        ; implicit-def: $sgpr0
	s_branch .LBB223_879
.LBB223_859:
                                        ; implicit-def: $sgpr0
	s_branch .LBB223_868
.LBB223_860:
	s_mov_b32 s7, -1
                                        ; implicit-def: $sgpr0
	s_branch .LBB223_865
.LBB223_861:
	s_mov_b32 s7, -1
                                        ; implicit-def: $sgpr0
.LBB223_862:
	s_delay_alu instid0(SALU_CYCLE_1)
	s_and_not1_b32 vcc_lo, exec_lo, s7
	s_cbranch_vccnz .LBB223_864
; %bb.863:
	global_load_b64 v[0:1], v[4:5], off
	s_and_not1_b32 s0, s0, exec_lo
	s_wait_loadcnt 0x0
	v_bitop3_b32 v0, v0, 0x7fffffff, v1 bitop3:0xc8
	s_delay_alu instid0(VALU_DEP_1) | instskip(SKIP_1) | instid1(SALU_CYCLE_1)
	v_cmp_ne_u32_e32 vcc_lo, 0, v0
	s_and_b32 s7, vcc_lo, exec_lo
	s_or_b32 s0, s0, s7
.LBB223_864:
	s_mov_b32 s7, 0
.LBB223_865:
	s_delay_alu instid0(SALU_CYCLE_1)
	s_and_not1_b32 vcc_lo, exec_lo, s7
	s_cbranch_vccnz .LBB223_867
; %bb.866:
	global_load_b32 v0, v[4:5], off
	s_and_not1_b32 s0, s0, exec_lo
	s_wait_loadcnt 0x0
	v_and_b32_e32 v0, 0x7fff7fff, v0
	s_delay_alu instid0(VALU_DEP_1) | instskip(SKIP_1) | instid1(SALU_CYCLE_1)
	v_cmp_ne_u32_e32 vcc_lo, 0, v0
	s_and_b32 s7, vcc_lo, exec_lo
	s_or_b32 s0, s0, s7
.LBB223_867:
	s_cbranch_execnz .LBB223_878
.LBB223_868:
	s_sext_i32_i16 s0, s35
	s_delay_alu instid0(SALU_CYCLE_1)
	s_cmp_lt_i32 s0, 6
	s_cbranch_scc1 .LBB223_871
; %bb.869:
	s_cmp_gt_i32 s0, 6
	s_cbranch_scc0 .LBB223_872
; %bb.870:
	global_load_b64 v[0:1], v[4:5], off
	s_mov_b32 s7, 0
	s_wait_loadcnt 0x0
	v_cmp_neq_f64_e64 s0, 0, v[0:1]
	s_branch .LBB223_873
.LBB223_871:
	s_mov_b32 s7, -1
                                        ; implicit-def: $sgpr0
	s_branch .LBB223_876
.LBB223_872:
	s_mov_b32 s7, -1
                                        ; implicit-def: $sgpr0
.LBB223_873:
	s_delay_alu instid0(SALU_CYCLE_1)
	s_and_not1_b32 vcc_lo, exec_lo, s7
	s_cbranch_vccnz .LBB223_875
; %bb.874:
	global_load_b32 v0, v[4:5], off
	s_and_not1_b32 s0, s0, exec_lo
	s_wait_loadcnt 0x0
	v_cmp_neq_f32_e32 vcc_lo, 0, v0
	s_and_b32 s7, vcc_lo, exec_lo
	s_delay_alu instid0(SALU_CYCLE_1)
	s_or_b32 s0, s0, s7
.LBB223_875:
	s_mov_b32 s7, 0
.LBB223_876:
	s_delay_alu instid0(SALU_CYCLE_1)
	s_and_not1_b32 vcc_lo, exec_lo, s7
	s_cbranch_vccnz .LBB223_878
; %bb.877:
	global_load_u16 v0, v[4:5], off
	s_and_not1_b32 s0, s0, exec_lo
	s_wait_loadcnt 0x0
	v_and_b32_e32 v0, 0x7fff, v0
	s_delay_alu instid0(VALU_DEP_1) | instskip(SKIP_1) | instid1(SALU_CYCLE_1)
	v_cmp_ne_u16_e32 vcc_lo, 0, v0
	s_and_b32 s7, vcc_lo, exec_lo
	s_or_b32 s0, s0, s7
.LBB223_878:
	s_cbranch_execnz .LBB223_897
.LBB223_879:
	s_sext_i32_i16 s0, s35
	s_delay_alu instid0(SALU_CYCLE_1)
	s_cmp_lt_i32 s0, 2
	s_cbranch_scc1 .LBB223_883
; %bb.880:
	s_cmp_lt_i32 s0, 3
	s_cbranch_scc1 .LBB223_884
; %bb.881:
	s_cmp_gt_i32 s0, 3
	s_cbranch_scc0 .LBB223_885
; %bb.882:
	global_load_b64 v[0:1], v[4:5], off
	s_mov_b32 s7, 0
	s_wait_loadcnt 0x0
	v_cmp_ne_u64_e64 s0, 0, v[0:1]
	s_branch .LBB223_886
.LBB223_883:
                                        ; implicit-def: $sgpr0
	s_branch .LBB223_892
.LBB223_884:
	s_mov_b32 s7, -1
                                        ; implicit-def: $sgpr0
	s_branch .LBB223_889
.LBB223_885:
	s_mov_b32 s7, -1
                                        ; implicit-def: $sgpr0
.LBB223_886:
	s_delay_alu instid0(SALU_CYCLE_1)
	s_and_not1_b32 vcc_lo, exec_lo, s7
	s_cbranch_vccnz .LBB223_888
; %bb.887:
	global_load_b32 v0, v[4:5], off
	s_and_not1_b32 s0, s0, exec_lo
	s_wait_loadcnt 0x0
	v_cmp_ne_u32_e32 vcc_lo, 0, v0
	s_and_b32 s7, vcc_lo, exec_lo
	s_delay_alu instid0(SALU_CYCLE_1)
	s_or_b32 s0, s0, s7
.LBB223_888:
	s_mov_b32 s7, 0
.LBB223_889:
	s_delay_alu instid0(SALU_CYCLE_1)
	s_and_not1_b32 vcc_lo, exec_lo, s7
	s_cbranch_vccnz .LBB223_891
; %bb.890:
	global_load_u16 v0, v[4:5], off
	s_and_not1_b32 s0, s0, exec_lo
	s_wait_loadcnt 0x0
	v_cmp_ne_u16_e32 vcc_lo, 0, v0
	s_and_b32 s7, vcc_lo, exec_lo
	s_delay_alu instid0(SALU_CYCLE_1)
	s_or_b32 s0, s0, s7
.LBB223_891:
	s_cbranch_execnz .LBB223_897
.LBB223_892:
	s_sext_i32_i16 s0, s35
	s_mov_b32 s7, 0
	s_cmp_gt_i32 s0, 0
	s_cbranch_scc0 .LBB223_894
; %bb.893:
	global_load_u8 v0, v[4:5], off
	s_wait_loadcnt 0x0
	v_cmp_ne_u16_e64 s0, 0, v0
	s_branch .LBB223_895
.LBB223_894:
	s_mov_b32 s7, -1
                                        ; implicit-def: $sgpr0
.LBB223_895:
	s_delay_alu instid0(SALU_CYCLE_1)
	s_and_not1_b32 vcc_lo, exec_lo, s7
	s_cbranch_vccnz .LBB223_897
; %bb.896:
	global_load_u8 v0, v[4:5], off
	s_and_not1_b32 s0, s0, exec_lo
	s_wait_loadcnt 0x0
	v_cmp_ne_u16_e32 vcc_lo, 0, v0
	s_and_b32 s7, vcc_lo, exec_lo
	s_delay_alu instid0(SALU_CYCLE_1)
	s_or_b32 s0, s0, s7
.LBB223_897:
	s_and_not1_b32 s7, s26, exec_lo
	s_delay_alu instid0(VALU_DEP_1)
	s_and_b32 s0, s0, exec_lo
	s_or_b32 s27, s27, exec_lo
	s_or_b32 s26, s7, s0
.LBB223_898:
	s_wait_xcnt 0x0
	s_or_b32 exec_lo, exec_lo, s6
	s_mov_b32 s0, 0
	s_mov_b32 s10, 0
                                        ; implicit-def: $sgpr6
                                        ; implicit-def: $sgpr7
                                        ; implicit-def: $vgpr0_vgpr1
	s_and_saveexec_b32 s8, s27
	s_cbranch_execz .LBB223_906
; %bb.899:
	v_mov_b32_e32 v3, 0
	s_and_b32 s7, s2, 0xff
	s_xor_b32 s6, s26, s9
	s_cmp_lt_i32 s7, 11
	s_delay_alu instid0(VALU_DEP_1)
	v_add_nc_u64_e32 v[0:1], s[4:5], v[2:3]
	s_cbranch_scc1 .LBB223_909
; %bb.900:
	s_and_b32 s2, 0xffff, s7
	s_mov_b32 s4, -1
	s_cmp_gt_i32 s2, 25
	s_mov_b32 s0, s20
	s_cbranch_scc0 .LBB223_937
; %bb.901:
	s_cmp_gt_i32 s2, 28
	s_mov_b32 s0, s20
	s_cbranch_scc0 .LBB223_921
; %bb.902:
	;; [unrolled: 4-line block ×4, first 2 shown]
	s_cmp_eq_u32 s2, 46
	s_mov_b32 s0, -1
	s_cbranch_scc0 .LBB223_910
; %bb.905:
	v_cndmask_b32_e64 v2, 0, 1.0, s6
	s_mov_b32 s0, 0
	s_mov_b32 s4, 0
	s_delay_alu instid0(VALU_DEP_1) | instskip(NEXT) | instid1(VALU_DEP_1)
	v_bfe_u32 v3, v2, 16, 1
	v_add3_u32 v2, v2, v3, 0x7fff
	s_delay_alu instid0(VALU_DEP_1)
	v_lshrrev_b32_e32 v2, 16, v2
	global_store_b32 v[0:1], v2, off
	s_branch .LBB223_911
.LBB223_906:
	s_or_b32 exec_lo, exec_lo, s8
	s_and_saveexec_b32 s2, s20
	s_cbranch_execnz .LBB223_979
.LBB223_907:
	s_or_b32 exec_lo, exec_lo, s2
	s_and_saveexec_b32 s2, s0
	s_delay_alu instid0(SALU_CYCLE_1)
	s_xor_b32 s0, exec_lo, s2
	s_cbranch_execz .LBB223_980
.LBB223_908:
	v_cndmask_b32_e64 v2, 0, 1, s6
	global_store_b8 v[0:1], v2, off
	s_wait_xcnt 0x0
	s_or_b32 exec_lo, exec_lo, s0
	s_and_saveexec_b32 s0, s10
	s_delay_alu instid0(SALU_CYCLE_1)
	s_xor_b32 s0, exec_lo, s0
	s_cbranch_execz .LBB223_1018
	s_branch .LBB223_981
.LBB223_909:
	s_mov_b32 s5, 0
	s_mov_b32 s4, -1
	s_mov_b32 s0, s20
	s_branch .LBB223_978
.LBB223_910:
	s_mov_b32 s4, 0
.LBB223_911:
	s_delay_alu instid0(SALU_CYCLE_1)
	s_and_b32 vcc_lo, exec_lo, s4
	s_cbranch_vccz .LBB223_916
; %bb.912:
	s_cmp_eq_u32 s2, 44
	s_mov_b32 s0, -1
	s_cbranch_scc0 .LBB223_916
; %bb.913:
	v_cndmask_b32_e64 v4, 0, 1.0, s6
	s_mov_b32 s4, exec_lo
	s_wait_xcnt 0x0
	s_delay_alu instid0(VALU_DEP_1) | instskip(NEXT) | instid1(VALU_DEP_1)
	v_dual_mov_b32 v3, 0xff :: v_dual_lshrrev_b32 v2, 23, v4
	v_cmpx_ne_u32_e32 0xff, v2
; %bb.914:
	v_and_b32_e32 v3, 0x400000, v4
	v_and_or_b32 v4, 0x3fffff, v4, v2
	s_delay_alu instid0(VALU_DEP_2) | instskip(NEXT) | instid1(VALU_DEP_2)
	v_cmp_ne_u32_e32 vcc_lo, 0, v3
	v_cmp_ne_u32_e64 s0, 0, v4
	s_and_b32 s0, vcc_lo, s0
	s_delay_alu instid0(SALU_CYCLE_1) | instskip(NEXT) | instid1(VALU_DEP_1)
	v_cndmask_b32_e64 v3, 0, 1, s0
	v_add_nc_u32_e32 v3, v2, v3
; %bb.915:
	s_or_b32 exec_lo, exec_lo, s4
	s_mov_b32 s0, 0
	global_store_b8 v[0:1], v3, off
.LBB223_916:
	s_mov_b32 s4, 0
.LBB223_917:
	s_delay_alu instid0(SALU_CYCLE_1)
	s_and_b32 vcc_lo, exec_lo, s4
	s_cbranch_vccz .LBB223_920
; %bb.918:
	s_cmp_eq_u32 s2, 29
	s_mov_b32 s0, -1
	s_cbranch_scc0 .LBB223_920
; %bb.919:
	s_mov_b32 s0, 0
	s_wait_xcnt 0x0
	v_cndmask_b32_e64 v2, 0, 1, s6
	v_mov_b32_e32 v3, s0
	s_mov_b32 s4, 0
	global_store_b64 v[0:1], v[2:3], off
	s_branch .LBB223_921
.LBB223_920:
	s_mov_b32 s4, 0
.LBB223_921:
	s_delay_alu instid0(SALU_CYCLE_1)
	s_and_b32 vcc_lo, exec_lo, s4
	s_cbranch_vccz .LBB223_936
; %bb.922:
	s_cmp_lt_i32 s2, 27
	s_mov_b32 s4, -1
	s_cbranch_scc1 .LBB223_928
; %bb.923:
	s_cmp_gt_i32 s2, 27
	s_cbranch_scc0 .LBB223_925
; %bb.924:
	s_wait_xcnt 0x0
	v_cndmask_b32_e64 v2, 0, 1, s6
	s_mov_b32 s4, 0
	global_store_b32 v[0:1], v2, off
.LBB223_925:
	s_and_not1_b32 vcc_lo, exec_lo, s4
	s_cbranch_vccnz .LBB223_927
; %bb.926:
	s_wait_xcnt 0x0
	v_cndmask_b32_e64 v2, 0, 1, s6
	global_store_b16 v[0:1], v2, off
.LBB223_927:
	s_mov_b32 s4, 0
.LBB223_928:
	s_delay_alu instid0(SALU_CYCLE_1)
	s_and_not1_b32 vcc_lo, exec_lo, s4
	s_cbranch_vccnz .LBB223_936
; %bb.929:
	s_wait_xcnt 0x0
	v_cndmask_b32_e64 v3, 0, 1.0, s6
	v_mov_b32_e32 v4, 0x80
	s_mov_b32 s4, exec_lo
	s_delay_alu instid0(VALU_DEP_2)
	v_cmpx_gt_u32_e32 0x43800000, v3
	s_cbranch_execz .LBB223_935
; %bb.930:
	s_mov_b32 s5, 0
	s_mov_b32 s9, exec_lo
                                        ; implicit-def: $vgpr2
	v_cmpx_lt_u32_e32 0x3bffffff, v3
	s_xor_b32 s9, exec_lo, s9
	s_cbranch_execz .LBB223_1093
; %bb.931:
	v_bfe_u32 v2, v3, 20, 1
	s_mov_b32 s5, exec_lo
	s_delay_alu instid0(VALU_DEP_1) | instskip(NEXT) | instid1(VALU_DEP_1)
	v_add3_u32 v2, v3, v2, 0x487ffff
                                        ; implicit-def: $vgpr3
	v_lshrrev_b32_e32 v2, 20, v2
	s_and_not1_saveexec_b32 s9, s9
	s_cbranch_execnz .LBB223_1094
.LBB223_932:
	s_or_b32 exec_lo, exec_lo, s9
	v_mov_b32_e32 v4, 0
	s_and_saveexec_b32 s9, s5
.LBB223_933:
	v_mov_b32_e32 v4, v2
.LBB223_934:
	s_or_b32 exec_lo, exec_lo, s9
.LBB223_935:
	s_delay_alu instid0(SALU_CYCLE_1)
	s_or_b32 exec_lo, exec_lo, s4
	global_store_b8 v[0:1], v4, off
.LBB223_936:
	s_mov_b32 s4, 0
.LBB223_937:
	s_delay_alu instid0(SALU_CYCLE_1)
	s_and_b32 vcc_lo, exec_lo, s4
	s_mov_b32 s4, 0
	s_cbranch_vccz .LBB223_977
; %bb.938:
	s_cmp_gt_i32 s2, 22
	s_mov_b32 s5, -1
	s_cbranch_scc0 .LBB223_970
; %bb.939:
	s_cmp_lt_i32 s2, 24
	s_cbranch_scc1 .LBB223_959
; %bb.940:
	s_cmp_gt_i32 s2, 24
	s_cbranch_scc0 .LBB223_948
; %bb.941:
	s_wait_xcnt 0x0
	v_cndmask_b32_e64 v3, 0, 1.0, s6
	v_mov_b32_e32 v4, 0x80
	s_mov_b32 s5, exec_lo
	s_delay_alu instid0(VALU_DEP_2)
	v_cmpx_gt_u32_e32 0x47800000, v3
	s_cbranch_execz .LBB223_947
; %bb.942:
	s_mov_b32 s9, 0
	s_mov_b32 s10, exec_lo
                                        ; implicit-def: $vgpr2
	v_cmpx_lt_u32_e32 0x37ffffff, v3
	s_xor_b32 s10, exec_lo, s10
	s_cbranch_execz .LBB223_1201
; %bb.943:
	v_bfe_u32 v2, v3, 21, 1
	s_mov_b32 s9, exec_lo
	s_delay_alu instid0(VALU_DEP_1) | instskip(NEXT) | instid1(VALU_DEP_1)
	v_add3_u32 v2, v3, v2, 0x88fffff
                                        ; implicit-def: $vgpr3
	v_lshrrev_b32_e32 v2, 21, v2
	s_and_not1_saveexec_b32 s10, s10
	s_cbranch_execnz .LBB223_1202
.LBB223_944:
	s_or_b32 exec_lo, exec_lo, s10
	v_mov_b32_e32 v4, 0
	s_and_saveexec_b32 s10, s9
.LBB223_945:
	v_mov_b32_e32 v4, v2
.LBB223_946:
	s_or_b32 exec_lo, exec_lo, s10
.LBB223_947:
	s_delay_alu instid0(SALU_CYCLE_1)
	s_or_b32 exec_lo, exec_lo, s5
	s_mov_b32 s5, 0
	global_store_b8 v[0:1], v4, off
.LBB223_948:
	s_and_b32 vcc_lo, exec_lo, s5
	s_cbranch_vccz .LBB223_958
; %bb.949:
	s_wait_xcnt 0x0
	v_cndmask_b32_e64 v3, 0, 1.0, s6
	s_mov_b32 s5, exec_lo
                                        ; implicit-def: $vgpr2
	s_delay_alu instid0(VALU_DEP_1)
	v_cmpx_gt_u32_e32 0x43f00000, v3
	s_xor_b32 s5, exec_lo, s5
	s_cbranch_execz .LBB223_955
; %bb.950:
	s_mov_b32 s9, exec_lo
                                        ; implicit-def: $vgpr2
	v_cmpx_lt_u32_e32 0x3c7fffff, v3
	s_xor_b32 s9, exec_lo, s9
; %bb.951:
	v_bfe_u32 v2, v3, 20, 1
	s_delay_alu instid0(VALU_DEP_1) | instskip(NEXT) | instid1(VALU_DEP_1)
	v_add3_u32 v2, v3, v2, 0x407ffff
	v_and_b32_e32 v3, 0xff00000, v2
	v_lshrrev_b32_e32 v2, 20, v2
	s_delay_alu instid0(VALU_DEP_2) | instskip(NEXT) | instid1(VALU_DEP_2)
	v_cmp_ne_u32_e32 vcc_lo, 0x7f00000, v3
                                        ; implicit-def: $vgpr3
	v_cndmask_b32_e32 v2, 0x7e, v2, vcc_lo
; %bb.952:
	s_and_not1_saveexec_b32 s9, s9
; %bb.953:
	v_add_f32_e32 v2, 0x46800000, v3
; %bb.954:
	s_or_b32 exec_lo, exec_lo, s9
                                        ; implicit-def: $vgpr3
.LBB223_955:
	s_and_not1_saveexec_b32 s5, s5
; %bb.956:
	v_mov_b32_e32 v2, 0x7f
	v_cmp_lt_u32_e32 vcc_lo, 0x7f800000, v3
	s_delay_alu instid0(VALU_DEP_2)
	v_cndmask_b32_e32 v2, 0x7e, v2, vcc_lo
; %bb.957:
	s_or_b32 exec_lo, exec_lo, s5
	global_store_b8 v[0:1], v2, off
.LBB223_958:
	s_mov_b32 s5, 0
.LBB223_959:
	s_delay_alu instid0(SALU_CYCLE_1)
	s_and_not1_b32 vcc_lo, exec_lo, s5
	s_cbranch_vccnz .LBB223_969
; %bb.960:
	s_wait_xcnt 0x0
	v_cndmask_b32_e64 v3, 0, 1.0, s6
	s_mov_b32 s5, exec_lo
                                        ; implicit-def: $vgpr2
	s_delay_alu instid0(VALU_DEP_1)
	v_cmpx_gt_u32_e32 0x47800000, v3
	s_xor_b32 s5, exec_lo, s5
	s_cbranch_execz .LBB223_966
; %bb.961:
	s_mov_b32 s9, exec_lo
                                        ; implicit-def: $vgpr2
	v_cmpx_lt_u32_e32 0x387fffff, v3
	s_xor_b32 s9, exec_lo, s9
; %bb.962:
	v_bfe_u32 v2, v3, 21, 1
	s_delay_alu instid0(VALU_DEP_1) | instskip(NEXT) | instid1(VALU_DEP_1)
	v_add3_u32 v2, v3, v2, 0x80fffff
                                        ; implicit-def: $vgpr3
	v_lshrrev_b32_e32 v2, 21, v2
; %bb.963:
	s_and_not1_saveexec_b32 s9, s9
; %bb.964:
	v_add_f32_e32 v2, 0x43000000, v3
; %bb.965:
	s_or_b32 exec_lo, exec_lo, s9
                                        ; implicit-def: $vgpr3
.LBB223_966:
	s_and_not1_saveexec_b32 s5, s5
; %bb.967:
	v_mov_b32_e32 v2, 0x7f
	v_cmp_lt_u32_e32 vcc_lo, 0x7f800000, v3
	s_delay_alu instid0(VALU_DEP_2)
	v_cndmask_b32_e32 v2, 0x7c, v2, vcc_lo
; %bb.968:
	s_or_b32 exec_lo, exec_lo, s5
	global_store_b8 v[0:1], v2, off
.LBB223_969:
	s_mov_b32 s5, 0
.LBB223_970:
	s_delay_alu instid0(SALU_CYCLE_1)
	s_and_not1_b32 vcc_lo, exec_lo, s5
	s_mov_b32 s5, 0
	s_cbranch_vccnz .LBB223_978
; %bb.971:
	s_cmp_gt_i32 s2, 14
	s_mov_b32 s5, -1
	s_cbranch_scc0 .LBB223_975
; %bb.972:
	s_cmp_eq_u32 s2, 15
	s_mov_b32 s0, -1
	s_cbranch_scc0 .LBB223_974
; %bb.973:
	s_wait_xcnt 0x0
	v_cndmask_b32_e64 v2, 0, 1.0, s6
	s_mov_b32 s0, 0
	s_delay_alu instid0(VALU_DEP_1) | instskip(NEXT) | instid1(VALU_DEP_1)
	v_bfe_u32 v3, v2, 16, 1
	v_add3_u32 v2, v2, v3, 0x7fff
	global_store_d16_hi_b16 v[0:1], v2, off
.LBB223_974:
	s_mov_b32 s5, 0
.LBB223_975:
	s_delay_alu instid0(SALU_CYCLE_1)
	s_and_b32 vcc_lo, exec_lo, s5
	s_mov_b32 s5, 0
	s_cbranch_vccz .LBB223_978
; %bb.976:
	s_cmp_lg_u32 s2, 11
	s_mov_b32 s5, -1
	s_cselect_b32 s2, -1, 0
	s_and_not1_b32 s0, s0, exec_lo
	s_and_b32 s2, s2, exec_lo
	s_delay_alu instid0(SALU_CYCLE_1)
	s_or_b32 s0, s0, s2
	s_branch .LBB223_978
.LBB223_977:
	s_mov_b32 s5, 0
.LBB223_978:
	s_and_b32 s10, s4, exec_lo
	s_and_not1_b32 s2, s20, exec_lo
	s_and_b32 s4, s0, exec_lo
	s_and_b32 s0, s5, exec_lo
	s_or_b32 s20, s2, s4
	s_wait_xcnt 0x0
	s_or_b32 exec_lo, exec_lo, s8
	s_and_saveexec_b32 s2, s20
	s_cbranch_execz .LBB223_907
.LBB223_979:
	s_or_b32 s1, s1, exec_lo
	s_and_not1_b32 s0, s0, exec_lo
	s_trap 2
	s_or_b32 exec_lo, exec_lo, s2
	s_and_saveexec_b32 s2, s0
	s_delay_alu instid0(SALU_CYCLE_1)
	s_xor_b32 s0, exec_lo, s2
	s_cbranch_execnz .LBB223_908
.LBB223_980:
	s_or_b32 exec_lo, exec_lo, s0
	s_and_saveexec_b32 s0, s10
	s_delay_alu instid0(SALU_CYCLE_1)
	s_xor_b32 s0, exec_lo, s0
	s_cbranch_execz .LBB223_1018
.LBB223_981:
	s_sext_i32_i16 s4, s7
	s_mov_b32 s2, -1
	s_cmp_lt_i32 s4, 5
	s_cbranch_scc1 .LBB223_1002
; %bb.982:
	s_cmp_lt_i32 s4, 8
	s_cbranch_scc1 .LBB223_992
; %bb.983:
	;; [unrolled: 3-line block ×3, first 2 shown]
	s_cmp_gt_i32 s4, 9
	s_cbranch_scc0 .LBB223_986
; %bb.985:
	v_cndmask_b32_e64 v2, 0, 1, s6
	v_mov_b32_e32 v4, 0
	s_mov_b32 s2, 0
	s_delay_alu instid0(VALU_DEP_2) | instskip(NEXT) | instid1(VALU_DEP_2)
	v_cvt_f64_u32_e32 v[2:3], v2
	v_mov_b32_e32 v5, v4
	global_store_b128 v[0:1], v[2:5], off
.LBB223_986:
	s_and_not1_b32 vcc_lo, exec_lo, s2
	s_cbranch_vccnz .LBB223_988
; %bb.987:
	s_wait_xcnt 0x0
	v_cndmask_b32_e64 v2, 0, 1.0, s6
	v_mov_b32_e32 v3, 0
	global_store_b64 v[0:1], v[2:3], off
.LBB223_988:
	s_mov_b32 s2, 0
.LBB223_989:
	s_delay_alu instid0(SALU_CYCLE_1)
	s_and_not1_b32 vcc_lo, exec_lo, s2
	s_cbranch_vccnz .LBB223_991
; %bb.990:
	s_wait_xcnt 0x0
	v_cndmask_b32_e64 v2, 0, 1.0, s6
	s_delay_alu instid0(VALU_DEP_1) | instskip(NEXT) | instid1(VALU_DEP_1)
	v_cvt_f16_f32_e32 v2, v2
	v_and_b32_e32 v2, 0xffff, v2
	global_store_b32 v[0:1], v2, off
.LBB223_991:
	s_mov_b32 s2, 0
.LBB223_992:
	s_delay_alu instid0(SALU_CYCLE_1)
	s_and_not1_b32 vcc_lo, exec_lo, s2
	s_cbranch_vccnz .LBB223_1001
; %bb.993:
	s_sext_i32_i16 s4, s7
	s_mov_b32 s2, -1
	s_cmp_lt_i32 s4, 6
	s_cbranch_scc1 .LBB223_999
; %bb.994:
	s_cmp_gt_i32 s4, 6
	s_cbranch_scc0 .LBB223_996
; %bb.995:
	s_wait_xcnt 0x0
	v_cndmask_b32_e64 v2, 0, 1, s6
	s_mov_b32 s2, 0
	s_delay_alu instid0(VALU_DEP_1)
	v_cvt_f64_u32_e32 v[2:3], v2
	global_store_b64 v[0:1], v[2:3], off
.LBB223_996:
	s_and_not1_b32 vcc_lo, exec_lo, s2
	s_cbranch_vccnz .LBB223_998
; %bb.997:
	s_wait_xcnt 0x0
	v_cndmask_b32_e64 v2, 0, 1.0, s6
	global_store_b32 v[0:1], v2, off
.LBB223_998:
	s_mov_b32 s2, 0
.LBB223_999:
	s_delay_alu instid0(SALU_CYCLE_1)
	s_and_not1_b32 vcc_lo, exec_lo, s2
	s_cbranch_vccnz .LBB223_1001
; %bb.1000:
	s_wait_xcnt 0x0
	v_cndmask_b32_e64 v2, 0, 1.0, s6
	s_delay_alu instid0(VALU_DEP_1)
	v_cvt_f16_f32_e32 v2, v2
	global_store_b16 v[0:1], v2, off
.LBB223_1001:
	s_mov_b32 s2, 0
.LBB223_1002:
	s_delay_alu instid0(SALU_CYCLE_1)
	s_and_not1_b32 vcc_lo, exec_lo, s2
	s_cbranch_vccnz .LBB223_1018
; %bb.1003:
	s_sext_i32_i16 s4, s7
	s_mov_b32 s2, -1
	s_cmp_lt_i32 s4, 2
	s_cbranch_scc1 .LBB223_1013
; %bb.1004:
	s_cmp_lt_i32 s4, 3
	s_cbranch_scc1 .LBB223_1010
; %bb.1005:
	s_cmp_gt_i32 s4, 3
	s_cbranch_scc0 .LBB223_1007
; %bb.1006:
	s_mov_b32 s2, 0
	s_wait_xcnt 0x0
	v_cndmask_b32_e64 v2, 0, 1, s6
	v_mov_b32_e32 v3, s2
	global_store_b64 v[0:1], v[2:3], off
.LBB223_1007:
	s_and_not1_b32 vcc_lo, exec_lo, s2
	s_cbranch_vccnz .LBB223_1009
; %bb.1008:
	s_wait_xcnt 0x0
	v_cndmask_b32_e64 v2, 0, 1, s6
	global_store_b32 v[0:1], v2, off
.LBB223_1009:
	s_mov_b32 s2, 0
.LBB223_1010:
	s_delay_alu instid0(SALU_CYCLE_1)
	s_and_not1_b32 vcc_lo, exec_lo, s2
	s_cbranch_vccnz .LBB223_1012
; %bb.1011:
	s_wait_xcnt 0x0
	v_cndmask_b32_e64 v2, 0, 1, s6
	global_store_b16 v[0:1], v2, off
.LBB223_1012:
	s_mov_b32 s2, 0
.LBB223_1013:
	s_delay_alu instid0(SALU_CYCLE_1)
	s_and_not1_b32 vcc_lo, exec_lo, s2
	s_cbranch_vccnz .LBB223_1018
; %bb.1014:
	s_sext_i32_i16 s2, s7
	s_delay_alu instid0(SALU_CYCLE_1)
	s_cmp_gt_i32 s2, 0
	s_mov_b32 s2, -1
	s_cbranch_scc0 .LBB223_1016
; %bb.1015:
	s_wait_xcnt 0x0
	v_cndmask_b32_e64 v2, 0, 1, s6
	s_mov_b32 s2, 0
	global_store_b8 v[0:1], v2, off
.LBB223_1016:
	s_and_not1_b32 vcc_lo, exec_lo, s2
	s_cbranch_vccnz .LBB223_1018
; %bb.1017:
	s_wait_xcnt 0x0
	v_cndmask_b32_e64 v2, 0, 1, s6
	global_store_b8 v[0:1], v2, off
.LBB223_1018:
	s_wait_xcnt 0x0
	s_or_b32 exec_lo, exec_lo, s0
	s_delay_alu instid0(SALU_CYCLE_1)
	s_and_b32 s8, s1, exec_lo
                                        ; implicit-def: $vgpr9
                                        ; implicit-def: $vgpr0
.LBB223_1019:
	s_or_saveexec_b32 s9, s34
	s_mov_b32 s0, 0
                                        ; implicit-def: $sgpr4
                                        ; implicit-def: $vgpr2_vgpr3
                                        ; implicit-def: $sgpr2
	s_xor_b32 exec_lo, exec_lo, s9
	s_cbranch_execz .LBB223_1958
; %bb.1020:
	v_cndmask_b32_e64 v1, 0, 1, s33
	s_and_not1_b32 vcc_lo, exec_lo, s33
	s_cbranch_vccnz .LBB223_1026
; %bb.1021:
	s_cmp_lg_u32 s30, 0
	s_mov_b32 s6, 0
	s_cbranch_scc0 .LBB223_1027
; %bb.1022:
	s_min_u32 s1, s31, 15
	s_delay_alu instid0(SALU_CYCLE_1)
	s_add_co_i32 s1, s1, 1
	s_cmp_eq_u32 s31, 2
	s_cbranch_scc1 .LBB223_1028
; %bb.1023:
	v_dual_mov_b32 v6, 0 :: v_dual_mov_b32 v14, 0
	v_mov_b32_e32 v2, v0
	s_and_b32 s0, s1, 28
	s_add_nc_u64 s[2:3], s[16:17], 0xc4
	s_mov_b32 s7, 0
	s_mov_b64 s[4:5], s[16:17]
.LBB223_1024:                           ; =>This Inner Loop Header: Depth=1
	s_clause 0x1
	s_load_b256 s[20:27], s[4:5], 0x4
	s_load_b128 s[12:15], s[4:5], 0x24
	s_load_b256 s[36:43], s[2:3], 0x0
	s_add_co_i32 s7, s7, 4
	s_wait_xcnt 0x0
	s_add_nc_u64 s[4:5], s[4:5], 48
	s_cmp_lg_u32 s0, s7
	s_add_nc_u64 s[2:3], s[2:3], 32
	s_wait_kmcnt 0x0
	v_mul_hi_u32 v3, s21, v2
	s_delay_alu instid0(VALU_DEP_1) | instskip(NEXT) | instid1(VALU_DEP_1)
	v_add_nc_u32_e32 v3, v2, v3
	v_lshrrev_b32_e32 v3, s22, v3
	s_delay_alu instid0(VALU_DEP_1) | instskip(NEXT) | instid1(VALU_DEP_1)
	v_mul_hi_u32 v4, s24, v3
	v_add_nc_u32_e32 v4, v3, v4
	s_delay_alu instid0(VALU_DEP_1) | instskip(NEXT) | instid1(VALU_DEP_1)
	v_lshrrev_b32_e32 v4, s25, v4
	v_mul_hi_u32 v5, s27, v4
	s_delay_alu instid0(VALU_DEP_1) | instskip(SKIP_1) | instid1(VALU_DEP_1)
	v_add_nc_u32_e32 v5, v4, v5
	v_mul_lo_u32 v7, v3, s20
	v_sub_nc_u32_e32 v2, v2, v7
	v_mul_lo_u32 v7, v4, s23
	s_delay_alu instid0(VALU_DEP_4) | instskip(NEXT) | instid1(VALU_DEP_3)
	v_lshrrev_b32_e32 v5, s12, v5
	v_mad_u32 v10, v2, s37, v14
	v_mad_u32 v2, v2, s36, v6
	s_delay_alu instid0(VALU_DEP_4) | instskip(NEXT) | instid1(VALU_DEP_4)
	v_sub_nc_u32_e32 v3, v3, v7
	v_mul_hi_u32 v8, s14, v5
	v_mul_lo_u32 v6, v5, s26
	s_delay_alu instid0(VALU_DEP_1) | instskip(NEXT) | instid1(VALU_DEP_4)
	v_dual_add_nc_u32 v7, v5, v8 :: v_dual_sub_nc_u32 v4, v4, v6
	v_mad_u32 v8, v3, s39, v10
	v_mad_u32 v3, v3, s38, v2
	s_delay_alu instid0(VALU_DEP_3) | instskip(NEXT) | instid1(VALU_DEP_1)
	v_lshrrev_b32_e32 v2, s15, v7
	v_mul_lo_u32 v6, v2, s13
	s_delay_alu instid0(VALU_DEP_4) | instskip(NEXT) | instid1(VALU_DEP_4)
	v_mad_u32 v7, v4, s41, v8
	v_mad_u32 v3, v4, s40, v3
	s_delay_alu instid0(VALU_DEP_3) | instskip(NEXT) | instid1(VALU_DEP_1)
	v_sub_nc_u32_e32 v4, v5, v6
	v_mad_u32 v14, v4, s43, v7
	s_delay_alu instid0(VALU_DEP_3)
	v_mad_u32 v6, v4, s42, v3
	s_cbranch_scc1 .LBB223_1024
; %bb.1025:
	s_delay_alu instid0(VALU_DEP_2)
	v_mov_b32_e32 v7, v14
	s_and_b32 s4, s1, 3
	s_mov_b32 s1, 0
	s_cmp_eq_u32 s4, 0
	s_cbranch_scc0 .LBB223_1029
	s_branch .LBB223_1032
.LBB223_1026:
	s_mov_b32 s6, -1
                                        ; implicit-def: $vgpr14
                                        ; implicit-def: $vgpr6
	s_branch .LBB223_1032
.LBB223_1027:
	v_dual_mov_b32 v14, 0 :: v_dual_mov_b32 v6, 0
	s_branch .LBB223_1032
.LBB223_1028:
	v_mov_b64_e32 v[6:7], 0
	v_mov_b32_e32 v2, v0
                                        ; implicit-def: $vgpr14
	s_and_b32 s4, s1, 3
	s_mov_b32 s1, 0
	s_cmp_eq_u32 s4, 0
	s_cbranch_scc1 .LBB223_1032
.LBB223_1029:
	s_lshl_b32 s2, s0, 3
	s_mov_b32 s3, s1
	s_mul_u64 s[10:11], s[0:1], 12
	s_add_nc_u64 s[2:3], s[16:17], s[2:3]
	s_delay_alu instid0(SALU_CYCLE_1)
	s_add_nc_u64 s[0:1], s[2:3], 0xc4
	s_add_nc_u64 s[2:3], s[16:17], s[10:11]
.LBB223_1030:                           ; =>This Inner Loop Header: Depth=1
	s_load_b96 s[12:14], s[2:3], 0x4
	s_load_b64 s[10:11], s[0:1], 0x0
	s_add_co_i32 s4, s4, -1
	s_wait_xcnt 0x0
	s_add_nc_u64 s[2:3], s[2:3], 12
	s_cmp_lg_u32 s4, 0
	s_add_nc_u64 s[0:1], s[0:1], 8
	s_wait_kmcnt 0x0
	v_mul_hi_u32 v3, s13, v2
	s_delay_alu instid0(VALU_DEP_1) | instskip(NEXT) | instid1(VALU_DEP_1)
	v_add_nc_u32_e32 v3, v2, v3
	v_lshrrev_b32_e32 v3, s14, v3
	s_delay_alu instid0(VALU_DEP_1) | instskip(NEXT) | instid1(VALU_DEP_1)
	v_mul_lo_u32 v4, v3, s12
	v_sub_nc_u32_e32 v2, v2, v4
	s_delay_alu instid0(VALU_DEP_1)
	v_mad_u32 v7, v2, s11, v7
	v_mad_u32 v6, v2, s10, v6
	v_mov_b32_e32 v2, v3
	s_cbranch_scc1 .LBB223_1030
; %bb.1031:
	s_delay_alu instid0(VALU_DEP_3)
	v_mov_b32_e32 v14, v7
.LBB223_1032:
	s_and_not1_b32 vcc_lo, exec_lo, s6
	s_cbranch_vccnz .LBB223_1035
; %bb.1033:
	s_clause 0x1
	s_load_b96 s[0:2], s[16:17], 0x4
	s_load_b64 s[4:5], s[16:17], 0xc4
	s_cmp_lt_u32 s30, 2
	s_wait_kmcnt 0x0
	v_mul_hi_u32 v2, s1, v0
	s_delay_alu instid0(VALU_DEP_1) | instskip(NEXT) | instid1(VALU_DEP_1)
	v_add_nc_u32_e32 v2, v0, v2
	v_lshrrev_b32_e32 v2, s2, v2
	s_delay_alu instid0(VALU_DEP_1) | instskip(NEXT) | instid1(VALU_DEP_1)
	v_mul_lo_u32 v3, v2, s0
	v_sub_nc_u32_e32 v3, v0, v3
	s_delay_alu instid0(VALU_DEP_1)
	v_mul_lo_u32 v14, v3, s5
	v_mul_lo_u32 v6, v3, s4
	s_cbranch_scc1 .LBB223_1035
; %bb.1034:
	s_clause 0x1
	s_load_b96 s[0:2], s[16:17], 0x10
	s_load_b64 s[4:5], s[16:17], 0xcc
	s_wait_kmcnt 0x0
	v_mul_hi_u32 v3, s1, v2
	s_delay_alu instid0(VALU_DEP_1) | instskip(NEXT) | instid1(VALU_DEP_1)
	v_add_nc_u32_e32 v3, v2, v3
	v_lshrrev_b32_e32 v3, s2, v3
	s_delay_alu instid0(VALU_DEP_1) | instskip(NEXT) | instid1(VALU_DEP_1)
	v_mul_lo_u32 v3, v3, s0
	v_sub_nc_u32_e32 v2, v2, v3
	s_delay_alu instid0(VALU_DEP_1)
	v_mad_u32 v6, v2, s4, v6
	v_mad_u32 v14, v2, s5, v14
.LBB223_1035:
	v_cmp_ne_u32_e32 vcc_lo, 1, v1
	v_add_nc_u32_e32 v2, 0x80, v0
	s_cbranch_vccnz .LBB223_1041
; %bb.1036:
	s_cmp_lg_u32 s30, 0
	s_mov_b32 s6, 0
	s_cbranch_scc0 .LBB223_1042
; %bb.1037:
	s_min_u32 s1, s31, 15
	s_delay_alu instid0(SALU_CYCLE_1)
	s_add_co_i32 s1, s1, 1
	s_cmp_eq_u32 s31, 2
	s_cbranch_scc1 .LBB223_1043
; %bb.1038:
	v_dual_mov_b32 v4, 0 :: v_dual_mov_b32 v12, 0
	v_mov_b32_e32 v3, v2
	s_and_b32 s0, s1, 28
	s_add_nc_u64 s[2:3], s[16:17], 0xc4
	s_mov_b32 s7, 0
	s_mov_b64 s[4:5], s[16:17]
.LBB223_1039:                           ; =>This Inner Loop Header: Depth=1
	s_clause 0x1
	s_load_b256 s[20:27], s[4:5], 0x4
	s_load_b128 s[12:15], s[4:5], 0x24
	s_load_b256 s[36:43], s[2:3], 0x0
	s_add_co_i32 s7, s7, 4
	s_wait_xcnt 0x0
	s_add_nc_u64 s[4:5], s[4:5], 48
	s_cmp_lg_u32 s0, s7
	s_add_nc_u64 s[2:3], s[2:3], 32
	s_wait_kmcnt 0x0
	v_mul_hi_u32 v5, s21, v3
	s_delay_alu instid0(VALU_DEP_1) | instskip(NEXT) | instid1(VALU_DEP_1)
	v_add_nc_u32_e32 v5, v3, v5
	v_lshrrev_b32_e32 v5, s22, v5
	s_delay_alu instid0(VALU_DEP_1) | instskip(NEXT) | instid1(VALU_DEP_1)
	v_mul_hi_u32 v7, s24, v5
	v_add_nc_u32_e32 v7, v5, v7
	s_delay_alu instid0(VALU_DEP_1) | instskip(NEXT) | instid1(VALU_DEP_1)
	v_lshrrev_b32_e32 v7, s25, v7
	v_mul_hi_u32 v8, s27, v7
	s_delay_alu instid0(VALU_DEP_1) | instskip(SKIP_1) | instid1(VALU_DEP_1)
	v_add_nc_u32_e32 v8, v7, v8
	v_mul_lo_u32 v10, v5, s20
	v_sub_nc_u32_e32 v3, v3, v10
	v_mul_lo_u32 v10, v7, s23
	s_delay_alu instid0(VALU_DEP_4) | instskip(NEXT) | instid1(VALU_DEP_3)
	v_lshrrev_b32_e32 v8, s12, v8
	v_mad_u32 v12, v3, s37, v12
	v_mad_u32 v3, v3, s36, v4
	s_delay_alu instid0(VALU_DEP_4) | instskip(NEXT) | instid1(VALU_DEP_4)
	v_sub_nc_u32_e32 v4, v5, v10
	v_mul_hi_u32 v11, s14, v8
	v_mul_lo_u32 v5, v8, s26
	s_delay_alu instid0(VALU_DEP_1) | instskip(NEXT) | instid1(VALU_DEP_4)
	v_dual_add_nc_u32 v10, v8, v11 :: v_dual_sub_nc_u32 v5, v7, v5
	v_mad_u32 v11, v4, s39, v12
	v_mad_u32 v4, v4, s38, v3
	s_delay_alu instid0(VALU_DEP_3) | instskip(NEXT) | instid1(VALU_DEP_1)
	v_lshrrev_b32_e32 v3, s15, v10
	v_mul_lo_u32 v7, v3, s13
	s_delay_alu instid0(VALU_DEP_4) | instskip(NEXT) | instid1(VALU_DEP_4)
	v_mad_u32 v10, v5, s41, v11
	v_mad_u32 v4, v5, s40, v4
	s_delay_alu instid0(VALU_DEP_3) | instskip(NEXT) | instid1(VALU_DEP_1)
	v_sub_nc_u32_e32 v5, v8, v7
	v_mad_u32 v12, v5, s43, v10
	s_delay_alu instid0(VALU_DEP_3)
	v_mad_u32 v4, v5, s42, v4
	s_cbranch_scc1 .LBB223_1039
; %bb.1040:
	s_delay_alu instid0(VALU_DEP_2)
	v_mov_b32_e32 v5, v12
	s_and_b32 s4, s1, 3
	s_mov_b32 s1, 0
	s_cmp_eq_u32 s4, 0
	s_cbranch_scc0 .LBB223_1044
	s_branch .LBB223_1047
.LBB223_1041:
	s_mov_b32 s6, -1
                                        ; implicit-def: $vgpr12
                                        ; implicit-def: $vgpr4
	s_branch .LBB223_1047
.LBB223_1042:
	v_dual_mov_b32 v12, 0 :: v_dual_mov_b32 v4, 0
	s_branch .LBB223_1047
.LBB223_1043:
	v_mov_b64_e32 v[4:5], 0
	v_mov_b32_e32 v3, v2
	s_mov_b32 s0, 0
                                        ; implicit-def: $vgpr12
	s_and_b32 s4, s1, 3
	s_mov_b32 s1, 0
	s_cmp_eq_u32 s4, 0
	s_cbranch_scc1 .LBB223_1047
.LBB223_1044:
	s_lshl_b32 s2, s0, 3
	s_mov_b32 s3, s1
	s_mul_u64 s[10:11], s[0:1], 12
	s_add_nc_u64 s[2:3], s[16:17], s[2:3]
	s_delay_alu instid0(SALU_CYCLE_1)
	s_add_nc_u64 s[0:1], s[2:3], 0xc4
	s_add_nc_u64 s[2:3], s[16:17], s[10:11]
.LBB223_1045:                           ; =>This Inner Loop Header: Depth=1
	s_load_b96 s[12:14], s[2:3], 0x4
	s_load_b64 s[10:11], s[0:1], 0x0
	s_add_co_i32 s4, s4, -1
	s_wait_xcnt 0x0
	s_add_nc_u64 s[2:3], s[2:3], 12
	s_cmp_lg_u32 s4, 0
	s_add_nc_u64 s[0:1], s[0:1], 8
	s_wait_kmcnt 0x0
	v_mul_hi_u32 v7, s13, v3
	s_delay_alu instid0(VALU_DEP_1) | instskip(NEXT) | instid1(VALU_DEP_1)
	v_add_nc_u32_e32 v7, v3, v7
	v_lshrrev_b32_e32 v7, s14, v7
	s_delay_alu instid0(VALU_DEP_1) | instskip(NEXT) | instid1(VALU_DEP_1)
	v_mul_lo_u32 v8, v7, s12
	v_sub_nc_u32_e32 v3, v3, v8
	s_delay_alu instid0(VALU_DEP_1)
	v_mad_u32 v5, v3, s11, v5
	v_mad_u32 v4, v3, s10, v4
	v_mov_b32_e32 v3, v7
	s_cbranch_scc1 .LBB223_1045
; %bb.1046:
	s_delay_alu instid0(VALU_DEP_3)
	v_mov_b32_e32 v12, v5
.LBB223_1047:
	s_and_not1_b32 vcc_lo, exec_lo, s6
	s_cbranch_vccnz .LBB223_1050
; %bb.1048:
	s_clause 0x1
	s_load_b96 s[0:2], s[16:17], 0x4
	s_load_b64 s[4:5], s[16:17], 0xc4
	s_cmp_lt_u32 s30, 2
	s_wait_kmcnt 0x0
	v_mul_hi_u32 v3, s1, v2
	s_delay_alu instid0(VALU_DEP_1) | instskip(NEXT) | instid1(VALU_DEP_1)
	v_add_nc_u32_e32 v3, v2, v3
	v_lshrrev_b32_e32 v3, s2, v3
	s_delay_alu instid0(VALU_DEP_1) | instskip(NEXT) | instid1(VALU_DEP_1)
	v_mul_lo_u32 v4, v3, s0
	v_sub_nc_u32_e32 v2, v2, v4
	s_delay_alu instid0(VALU_DEP_1)
	v_mul_lo_u32 v12, v2, s5
	v_mul_lo_u32 v4, v2, s4
	s_cbranch_scc1 .LBB223_1050
; %bb.1049:
	s_clause 0x1
	s_load_b96 s[0:2], s[16:17], 0x10
	s_load_b64 s[4:5], s[16:17], 0xcc
	s_wait_kmcnt 0x0
	v_mul_hi_u32 v2, s1, v3
	s_delay_alu instid0(VALU_DEP_1) | instskip(NEXT) | instid1(VALU_DEP_1)
	v_add_nc_u32_e32 v2, v3, v2
	v_lshrrev_b32_e32 v2, s2, v2
	s_delay_alu instid0(VALU_DEP_1) | instskip(NEXT) | instid1(VALU_DEP_1)
	v_mul_lo_u32 v2, v2, s0
	v_sub_nc_u32_e32 v2, v3, v2
	s_delay_alu instid0(VALU_DEP_1)
	v_mad_u32 v4, v2, s4, v4
	v_mad_u32 v12, v2, s5, v12
.LBB223_1050:
	v_cmp_ne_u32_e32 vcc_lo, 1, v1
	v_add_nc_u32_e32 v0, 0x100, v0
	s_cbranch_vccnz .LBB223_1056
; %bb.1051:
	s_cmp_lg_u32 s30, 0
	s_mov_b32 s6, 0
	s_cbranch_scc0 .LBB223_1057
; %bb.1052:
	s_min_u32 s1, s31, 15
	s_delay_alu instid0(SALU_CYCLE_1)
	s_add_co_i32 s1, s1, 1
	s_cmp_eq_u32 s31, 2
	s_cbranch_scc1 .LBB223_1058
; %bb.1053:
	v_dual_mov_b32 v2, 0 :: v_dual_mov_b32 v10, 0
	v_mov_b32_e32 v5, v0
	s_and_b32 s0, s1, 28
	s_add_nc_u64 s[2:3], s[16:17], 0xc4
	s_mov_b32 s7, 0
	s_mov_b64 s[4:5], s[16:17]
.LBB223_1054:                           ; =>This Inner Loop Header: Depth=1
	s_clause 0x1
	s_load_b256 s[20:27], s[4:5], 0x4
	s_load_b128 s[12:15], s[4:5], 0x24
	s_load_b256 s[36:43], s[2:3], 0x0
	s_add_co_i32 s7, s7, 4
	s_wait_xcnt 0x0
	s_add_nc_u64 s[4:5], s[4:5], 48
	s_cmp_lg_u32 s0, s7
	s_add_nc_u64 s[2:3], s[2:3], 32
	s_wait_kmcnt 0x0
	v_mul_hi_u32 v3, s21, v5
	s_delay_alu instid0(VALU_DEP_1) | instskip(NEXT) | instid1(VALU_DEP_1)
	v_add_nc_u32_e32 v3, v5, v3
	v_lshrrev_b32_e32 v3, s22, v3
	s_delay_alu instid0(VALU_DEP_1) | instskip(NEXT) | instid1(VALU_DEP_1)
	v_mul_hi_u32 v7, s24, v3
	v_add_nc_u32_e32 v7, v3, v7
	s_delay_alu instid0(VALU_DEP_1) | instskip(NEXT) | instid1(VALU_DEP_1)
	v_lshrrev_b32_e32 v7, s25, v7
	v_mul_hi_u32 v8, s27, v7
	s_delay_alu instid0(VALU_DEP_1) | instskip(NEXT) | instid1(VALU_DEP_1)
	v_add_nc_u32_e32 v8, v7, v8
	v_lshrrev_b32_e32 v8, s12, v8
	v_mul_lo_u32 v11, v3, s20
	s_delay_alu instid0(VALU_DEP_2) | instskip(NEXT) | instid1(VALU_DEP_2)
	v_mul_hi_u32 v13, s14, v8
	v_sub_nc_u32_e32 v5, v5, v11
	s_delay_alu instid0(VALU_DEP_1) | instskip(SKIP_1) | instid1(VALU_DEP_4)
	v_mad_u32 v10, v5, s37, v10
	v_mad_u32 v2, v5, s36, v2
	v_add_nc_u32_e32 v5, v8, v13
	s_delay_alu instid0(VALU_DEP_1) | instskip(SKIP_1) | instid1(VALU_DEP_1)
	v_lshrrev_b32_e32 v5, s15, v5
	v_mul_lo_u32 v11, v7, s23
	v_sub_nc_u32_e32 v3, v3, v11
	v_mul_lo_u32 v11, v8, s26
	s_delay_alu instid0(VALU_DEP_2) | instskip(SKIP_1) | instid1(VALU_DEP_3)
	v_mad_u32 v10, v3, s39, v10
	v_mad_u32 v2, v3, s38, v2
	v_sub_nc_u32_e32 v3, v7, v11
	v_mul_lo_u32 v7, v5, s13
	s_delay_alu instid0(VALU_DEP_2) | instskip(NEXT) | instid1(VALU_DEP_4)
	v_mad_u32 v10, v3, s41, v10
	v_mad_u32 v2, v3, s40, v2
	s_delay_alu instid0(VALU_DEP_3) | instskip(NEXT) | instid1(VALU_DEP_1)
	v_sub_nc_u32_e32 v3, v8, v7
	v_mad_u32 v10, v3, s43, v10
	s_delay_alu instid0(VALU_DEP_3)
	v_mad_u32 v2, v3, s42, v2
	s_cbranch_scc1 .LBB223_1054
; %bb.1055:
	s_delay_alu instid0(VALU_DEP_2)
	v_mov_b32_e32 v3, v10
	s_and_b32 s4, s1, 3
	s_mov_b32 s1, 0
	s_cmp_eq_u32 s4, 0
	s_cbranch_scc0 .LBB223_1059
	s_branch .LBB223_1062
.LBB223_1056:
	s_mov_b32 s6, -1
                                        ; implicit-def: $vgpr10
                                        ; implicit-def: $vgpr2
	s_branch .LBB223_1062
.LBB223_1057:
	v_dual_mov_b32 v10, 0 :: v_dual_mov_b32 v2, 0
	s_branch .LBB223_1062
.LBB223_1058:
	v_mov_b64_e32 v[2:3], 0
	v_mov_b32_e32 v5, v0
	s_mov_b32 s0, 0
                                        ; implicit-def: $vgpr10
	s_and_b32 s4, s1, 3
	s_mov_b32 s1, 0
	s_cmp_eq_u32 s4, 0
	s_cbranch_scc1 .LBB223_1062
.LBB223_1059:
	s_lshl_b32 s2, s0, 3
	s_mov_b32 s3, s1
	s_mul_u64 s[10:11], s[0:1], 12
	s_add_nc_u64 s[2:3], s[16:17], s[2:3]
	s_delay_alu instid0(SALU_CYCLE_1)
	s_add_nc_u64 s[0:1], s[2:3], 0xc4
	s_add_nc_u64 s[2:3], s[16:17], s[10:11]
.LBB223_1060:                           ; =>This Inner Loop Header: Depth=1
	s_load_b96 s[12:14], s[2:3], 0x4
	s_load_b64 s[10:11], s[0:1], 0x0
	s_add_co_i32 s4, s4, -1
	s_wait_xcnt 0x0
	s_add_nc_u64 s[2:3], s[2:3], 12
	s_cmp_lg_u32 s4, 0
	s_add_nc_u64 s[0:1], s[0:1], 8
	s_wait_kmcnt 0x0
	v_mul_hi_u32 v7, s13, v5
	s_delay_alu instid0(VALU_DEP_1) | instskip(NEXT) | instid1(VALU_DEP_1)
	v_add_nc_u32_e32 v7, v5, v7
	v_lshrrev_b32_e32 v7, s14, v7
	s_delay_alu instid0(VALU_DEP_1) | instskip(NEXT) | instid1(VALU_DEP_1)
	v_mul_lo_u32 v8, v7, s12
	v_sub_nc_u32_e32 v5, v5, v8
	s_delay_alu instid0(VALU_DEP_1)
	v_mad_u32 v3, v5, s11, v3
	v_mad_u32 v2, v5, s10, v2
	v_mov_b32_e32 v5, v7
	s_cbranch_scc1 .LBB223_1060
; %bb.1061:
	s_delay_alu instid0(VALU_DEP_3)
	v_mov_b32_e32 v10, v3
.LBB223_1062:
	s_and_not1_b32 vcc_lo, exec_lo, s6
	s_cbranch_vccnz .LBB223_1065
; %bb.1063:
	s_clause 0x1
	s_load_b96 s[0:2], s[16:17], 0x4
	s_load_b64 s[4:5], s[16:17], 0xc4
	s_cmp_lt_u32 s30, 2
	s_wait_kmcnt 0x0
	v_mul_hi_u32 v2, s1, v0
	s_delay_alu instid0(VALU_DEP_1) | instskip(NEXT) | instid1(VALU_DEP_1)
	v_add_nc_u32_e32 v2, v0, v2
	v_lshrrev_b32_e32 v3, s2, v2
	s_delay_alu instid0(VALU_DEP_1) | instskip(NEXT) | instid1(VALU_DEP_1)
	v_mul_lo_u32 v2, v3, s0
	v_sub_nc_u32_e32 v0, v0, v2
	s_delay_alu instid0(VALU_DEP_1)
	v_mul_lo_u32 v10, v0, s5
	v_mul_lo_u32 v2, v0, s4
	s_cbranch_scc1 .LBB223_1065
; %bb.1064:
	s_clause 0x1
	s_load_b96 s[0:2], s[16:17], 0x10
	s_load_b64 s[4:5], s[16:17], 0xcc
	s_wait_kmcnt 0x0
	v_mul_hi_u32 v0, s1, v3
	s_delay_alu instid0(VALU_DEP_1) | instskip(NEXT) | instid1(VALU_DEP_1)
	v_add_nc_u32_e32 v0, v3, v0
	v_lshrrev_b32_e32 v0, s2, v0
	s_delay_alu instid0(VALU_DEP_1) | instskip(NEXT) | instid1(VALU_DEP_1)
	v_mul_lo_u32 v0, v0, s0
	v_sub_nc_u32_e32 v0, v3, v0
	s_delay_alu instid0(VALU_DEP_1)
	v_mad_u32 v2, v0, s4, v2
	v_mad_u32 v10, v0, s5, v10
.LBB223_1065:
	v_cmp_ne_u32_e32 vcc_lo, 1, v1
	s_cbranch_vccnz .LBB223_1071
; %bb.1066:
	s_cmp_lg_u32 s30, 0
	s_mov_b32 s6, 0
	s_cbranch_scc0 .LBB223_1072
; %bb.1067:
	s_min_u32 s1, s31, 15
	s_delay_alu instid0(SALU_CYCLE_1)
	s_add_co_i32 s1, s1, 1
	s_cmp_eq_u32 s31, 2
	s_cbranch_scc1 .LBB223_1073
; %bb.1068:
	v_dual_mov_b32 v0, 0 :: v_dual_mov_b32 v8, 0
	v_mov_b32_e32 v3, v9
	s_and_b32 s0, s1, 28
	s_add_nc_u64 s[2:3], s[16:17], 0xc4
	s_mov_b32 s7, 0
	s_mov_b64 s[4:5], s[16:17]
.LBB223_1069:                           ; =>This Inner Loop Header: Depth=1
	s_clause 0x1
	s_load_b256 s[20:27], s[4:5], 0x4
	s_load_b128 s[12:15], s[4:5], 0x24
	s_load_b256 s[36:43], s[2:3], 0x0
	s_add_co_i32 s7, s7, 4
	s_wait_xcnt 0x0
	s_add_nc_u64 s[4:5], s[4:5], 48
	s_cmp_lg_u32 s0, s7
	s_add_nc_u64 s[2:3], s[2:3], 32
	s_wait_kmcnt 0x0
	v_mul_hi_u32 v1, s21, v3
	s_delay_alu instid0(VALU_DEP_1) | instskip(NEXT) | instid1(VALU_DEP_1)
	v_add_nc_u32_e32 v1, v3, v1
	v_lshrrev_b32_e32 v1, s22, v1
	s_delay_alu instid0(VALU_DEP_1) | instskip(NEXT) | instid1(VALU_DEP_1)
	v_mul_lo_u32 v11, v1, s20
	v_sub_nc_u32_e32 v3, v3, v11
	v_mul_hi_u32 v5, s24, v1
	s_delay_alu instid0(VALU_DEP_2) | instskip(SKIP_1) | instid1(VALU_DEP_3)
	v_mad_u32 v8, v3, s37, v8
	v_mad_u32 v0, v3, s36, v0
	v_add_nc_u32_e32 v5, v1, v5
	s_delay_alu instid0(VALU_DEP_1) | instskip(NEXT) | instid1(VALU_DEP_1)
	v_lshrrev_b32_e32 v5, s25, v5
	v_mul_lo_u32 v11, v5, s23
	s_delay_alu instid0(VALU_DEP_1) | instskip(SKIP_1) | instid1(VALU_DEP_2)
	v_sub_nc_u32_e32 v1, v1, v11
	v_mul_hi_u32 v7, s27, v5
	v_mad_u32 v8, v1, s39, v8
	v_mad_u32 v0, v1, s38, v0
	s_delay_alu instid0(VALU_DEP_3) | instskip(NEXT) | instid1(VALU_DEP_1)
	v_add_nc_u32_e32 v7, v5, v7
	v_lshrrev_b32_e32 v7, s12, v7
	s_delay_alu instid0(VALU_DEP_1) | instskip(SKIP_1) | instid1(VALU_DEP_1)
	v_mul_hi_u32 v13, s14, v7
	v_mul_lo_u32 v11, v7, s26
	v_dual_add_nc_u32 v3, v7, v13 :: v_dual_sub_nc_u32 v1, v5, v11
	s_delay_alu instid0(VALU_DEP_1) | instskip(NEXT) | instid1(VALU_DEP_2)
	v_lshrrev_b32_e32 v3, s15, v3
	v_mad_u32 v8, v1, s41, v8
	v_mad_u32 v0, v1, s40, v0
	s_delay_alu instid0(VALU_DEP_3) | instskip(NEXT) | instid1(VALU_DEP_1)
	v_mul_lo_u32 v5, v3, s13
	v_sub_nc_u32_e32 v1, v7, v5
	s_delay_alu instid0(VALU_DEP_1) | instskip(NEXT) | instid1(VALU_DEP_4)
	v_mad_u32 v8, v1, s43, v8
	v_mad_u32 v0, v1, s42, v0
	s_cbranch_scc1 .LBB223_1069
; %bb.1070:
	s_delay_alu instid0(VALU_DEP_2)
	v_mov_b32_e32 v1, v8
	s_and_b32 s4, s1, 3
	s_mov_b32 s1, 0
	s_cmp_eq_u32 s4, 0
	s_cbranch_scc0 .LBB223_1074
	s_branch .LBB223_1077
.LBB223_1071:
	s_mov_b32 s6, -1
                                        ; implicit-def: $vgpr8
                                        ; implicit-def: $vgpr0
	s_branch .LBB223_1077
.LBB223_1072:
	v_dual_mov_b32 v8, 0 :: v_dual_mov_b32 v0, 0
	s_branch .LBB223_1077
.LBB223_1073:
	v_mov_b64_e32 v[0:1], 0
	v_mov_b32_e32 v3, v9
	s_mov_b32 s0, 0
                                        ; implicit-def: $vgpr8
	s_and_b32 s4, s1, 3
	s_mov_b32 s1, 0
	s_cmp_eq_u32 s4, 0
	s_cbranch_scc1 .LBB223_1077
.LBB223_1074:
	s_lshl_b32 s2, s0, 3
	s_mov_b32 s3, s1
	s_mul_u64 s[10:11], s[0:1], 12
	s_add_nc_u64 s[2:3], s[16:17], s[2:3]
	s_delay_alu instid0(SALU_CYCLE_1)
	s_add_nc_u64 s[0:1], s[2:3], 0xc4
	s_add_nc_u64 s[2:3], s[16:17], s[10:11]
.LBB223_1075:                           ; =>This Inner Loop Header: Depth=1
	s_load_b96 s[12:14], s[2:3], 0x4
	s_load_b64 s[10:11], s[0:1], 0x0
	s_add_co_i32 s4, s4, -1
	s_wait_xcnt 0x0
	s_add_nc_u64 s[2:3], s[2:3], 12
	s_cmp_lg_u32 s4, 0
	s_add_nc_u64 s[0:1], s[0:1], 8
	s_wait_kmcnt 0x0
	v_mul_hi_u32 v5, s13, v3
	s_delay_alu instid0(VALU_DEP_1) | instskip(NEXT) | instid1(VALU_DEP_1)
	v_add_nc_u32_e32 v5, v3, v5
	v_lshrrev_b32_e32 v5, s14, v5
	s_delay_alu instid0(VALU_DEP_1) | instskip(NEXT) | instid1(VALU_DEP_1)
	v_mul_lo_u32 v7, v5, s12
	v_sub_nc_u32_e32 v3, v3, v7
	s_delay_alu instid0(VALU_DEP_1)
	v_mad_u32 v1, v3, s11, v1
	v_mad_u32 v0, v3, s10, v0
	v_mov_b32_e32 v3, v5
	s_cbranch_scc1 .LBB223_1075
; %bb.1076:
	s_delay_alu instid0(VALU_DEP_3)
	v_mov_b32_e32 v8, v1
.LBB223_1077:
	s_and_not1_b32 vcc_lo, exec_lo, s6
	s_cbranch_vccnz .LBB223_1080
; %bb.1078:
	s_clause 0x1
	s_load_b96 s[0:2], s[16:17], 0x4
	s_load_b64 s[4:5], s[16:17], 0xc4
	s_cmp_lt_u32 s30, 2
	s_wait_kmcnt 0x0
	v_mul_hi_u32 v0, s1, v9
	s_delay_alu instid0(VALU_DEP_1) | instskip(NEXT) | instid1(VALU_DEP_1)
	v_add_nc_u32_e32 v0, v9, v0
	v_lshrrev_b32_e32 v1, s2, v0
	s_delay_alu instid0(VALU_DEP_1) | instskip(NEXT) | instid1(VALU_DEP_1)
	v_mul_lo_u32 v0, v1, s0
	v_sub_nc_u32_e32 v0, v9, v0
	s_delay_alu instid0(VALU_DEP_1)
	v_mul_lo_u32 v8, v0, s5
	v_mul_lo_u32 v0, v0, s4
	s_cbranch_scc1 .LBB223_1080
; %bb.1079:
	s_clause 0x1
	s_load_b96 s[0:2], s[16:17], 0x10
	s_load_b64 s[4:5], s[16:17], 0xcc
	s_wait_kmcnt 0x0
	v_mul_hi_u32 v3, s1, v1
	s_delay_alu instid0(VALU_DEP_1) | instskip(NEXT) | instid1(VALU_DEP_1)
	v_add_nc_u32_e32 v3, v1, v3
	v_lshrrev_b32_e32 v3, s2, v3
	s_delay_alu instid0(VALU_DEP_1) | instskip(NEXT) | instid1(VALU_DEP_1)
	v_mul_lo_u32 v3, v3, s0
	v_sub_nc_u32_e32 v1, v1, v3
	s_delay_alu instid0(VALU_DEP_1)
	v_mad_u32 v0, v1, s4, v0
	v_mad_u32 v8, v1, s5, v8
.LBB223_1080:
	v_mov_b32_e32 v15, 0
	s_load_b128 s[4:7], s[16:17], 0x148
	global_load_u8 v1, v15, s[16:17] offset:353
	s_wait_kmcnt 0x0
	v_add_nc_u64_e32 v[14:15], s[6:7], v[14:15]
	s_wait_loadcnt 0x0
	v_and_b32_e32 v3, 0xffff, v1
	v_readfirstlane_b32 s3, v1
	s_delay_alu instid0(VALU_DEP_2)
	v_cmp_gt_i32_e32 vcc_lo, 11, v3
	s_cbranch_vccnz .LBB223_1087
; %bb.1081:
	s_and_b32 s0, 0xffff, s3
	s_mov_b32 s11, 0
	s_cmp_gt_i32 s0, 25
	s_cbranch_scc0 .LBB223_1089
; %bb.1082:
	s_cmp_gt_i32 s0, 28
	s_cbranch_scc0 .LBB223_1090
; %bb.1083:
	;; [unrolled: 3-line block ×4, first 2 shown]
	s_cmp_eq_u32 s0, 46
	s_mov_b32 s12, 0
	s_cbranch_scc0 .LBB223_1095
; %bb.1086:
	global_load_b32 v1, v[14:15], off
	s_mov_b32 s1, 0
	s_mov_b32 s10, -1
	s_wait_loadcnt 0x0
	v_and_b32_e32 v1, 0x7fff7fff, v1
	s_delay_alu instid0(VALU_DEP_1)
	v_cmp_ne_u32_e64 s2, 0, v1
	s_branch .LBB223_1097
.LBB223_1087:
	s_mov_b32 s10, 0
	s_mov_b32 s1, s8
                                        ; implicit-def: $sgpr2
	s_cbranch_execnz .LBB223_1142
.LBB223_1088:
	s_and_not1_b32 vcc_lo, exec_lo, s10
	s_cbranch_vccz .LBB223_1187
	s_branch .LBB223_1956
.LBB223_1089:
	s_mov_b32 s10, 0
	s_mov_b32 s1, 0
                                        ; implicit-def: $sgpr2
	s_cbranch_execnz .LBB223_1117
	s_branch .LBB223_1138
.LBB223_1090:
	s_mov_b32 s12, -1
	s_mov_b32 s10, 0
	s_mov_b32 s1, 0
                                        ; implicit-def: $sgpr2
	s_branch .LBB223_1104
.LBB223_1091:
	s_mov_b32 s10, 0
	s_mov_b32 s1, 0
                                        ; implicit-def: $sgpr2
	s_cbranch_execnz .LBB223_1100
	s_branch .LBB223_1103
.LBB223_1092:
	s_mov_b32 s12, -1
	s_mov_b32 s10, 0
	s_mov_b32 s1, 0
	s_branch .LBB223_1096
.LBB223_1093:
	s_and_not1_saveexec_b32 s9, s9
	s_cbranch_execz .LBB223_932
.LBB223_1094:
	v_add_f32_e32 v2, 0x46000000, v3
	s_and_not1_b32 s5, s5, exec_lo
	s_delay_alu instid0(VALU_DEP_1) | instskip(NEXT) | instid1(VALU_DEP_1)
	v_and_b32_e32 v2, 0xff, v2
	v_cmp_ne_u32_e32 vcc_lo, 0, v2
	s_and_b32 s10, vcc_lo, exec_lo
	s_delay_alu instid0(SALU_CYCLE_1)
	s_or_b32 s5, s5, s10
	s_or_b32 exec_lo, exec_lo, s9
	v_mov_b32_e32 v4, 0
	s_and_saveexec_b32 s9, s5
	s_cbranch_execnz .LBB223_933
	s_branch .LBB223_934
.LBB223_1095:
	s_mov_b32 s1, -1
	s_mov_b32 s10, 0
.LBB223_1096:
                                        ; implicit-def: $sgpr2
.LBB223_1097:
	s_and_b32 vcc_lo, exec_lo, s12
	s_cbranch_vccz .LBB223_1099
; %bb.1098:
	s_cmp_lg_u32 s0, 44
	s_mov_b32 s10, -1
	s_cselect_b32 s1, -1, 0
	s_or_b32 s2, s2, exec_lo
.LBB223_1099:
	s_branch .LBB223_1103
.LBB223_1100:
	s_cmp_eq_u32 s0, 29
	s_cbranch_scc0 .LBB223_1102
; %bb.1101:
	global_load_b64 v[16:17], v[14:15], off
	s_mov_b32 s1, 0
	s_mov_b32 s10, -1
	s_mov_b32 s12, 0
	s_wait_loadcnt 0x0
	v_cmp_ne_u64_e64 s2, 0, v[16:17]
	s_branch .LBB223_1104
.LBB223_1102:
	s_mov_b32 s1, -1
                                        ; implicit-def: $sgpr2
.LBB223_1103:
	s_mov_b32 s12, 0
.LBB223_1104:
	s_delay_alu instid0(SALU_CYCLE_1)
	s_and_b32 vcc_lo, exec_lo, s12
	s_cbranch_vccz .LBB223_1116
; %bb.1105:
	s_cmp_lt_i32 s0, 27
	s_cbranch_scc1 .LBB223_1108
; %bb.1106:
	s_cmp_gt_i32 s0, 27
	s_cbranch_scc0 .LBB223_1109
; %bb.1107:
	global_load_b32 v1, v[14:15], off
	s_mov_b32 s10, 0
	s_wait_loadcnt 0x0
	v_cmp_ne_u32_e64 s2, 0, v1
	s_branch .LBB223_1110
.LBB223_1108:
	s_mov_b32 s10, -1
                                        ; implicit-def: $sgpr2
	s_branch .LBB223_1113
.LBB223_1109:
	s_mov_b32 s10, -1
                                        ; implicit-def: $sgpr2
.LBB223_1110:
	s_delay_alu instid0(SALU_CYCLE_1)
	s_and_not1_b32 vcc_lo, exec_lo, s10
	s_cbranch_vccnz .LBB223_1112
; %bb.1111:
	global_load_u16 v1, v[14:15], off
	s_and_not1_b32 s2, s2, exec_lo
	s_wait_loadcnt 0x0
	v_cmp_ne_u16_e32 vcc_lo, 0, v1
	s_and_b32 s10, vcc_lo, exec_lo
	s_delay_alu instid0(SALU_CYCLE_1)
	s_or_b32 s2, s2, s10
.LBB223_1112:
	s_mov_b32 s10, 0
.LBB223_1113:
	s_delay_alu instid0(SALU_CYCLE_1)
	s_and_not1_b32 vcc_lo, exec_lo, s10
	s_cbranch_vccnz .LBB223_1115
; %bb.1114:
	global_load_u8 v1, v[14:15], off
	s_and_not1_b32 s2, s2, exec_lo
	s_wait_loadcnt 0x0
	v_cmp_ne_u16_e32 vcc_lo, 0, v1
	s_and_b32 s10, vcc_lo, exec_lo
	s_delay_alu instid0(SALU_CYCLE_1)
	s_or_b32 s2, s2, s10
.LBB223_1115:
	s_mov_b32 s10, -1
.LBB223_1116:
	s_branch .LBB223_1138
.LBB223_1117:
	s_cmp_gt_i32 s0, 22
	s_cbranch_scc0 .LBB223_1121
; %bb.1118:
	s_cmp_lt_i32 s0, 24
	s_cbranch_scc1 .LBB223_1122
; %bb.1119:
	s_cmp_gt_i32 s0, 24
	s_cbranch_scc0 .LBB223_1123
; %bb.1120:
	global_load_u8 v1, v[14:15], off
	s_mov_b32 s10, 0
	s_wait_loadcnt 0x0
	v_cmp_ne_u16_e64 s2, 0, v1
	s_branch .LBB223_1124
.LBB223_1121:
                                        ; implicit-def: $sgpr2
	s_mov_b32 s11, 0
	s_branch .LBB223_1130
.LBB223_1122:
	s_mov_b32 s10, -1
                                        ; implicit-def: $sgpr2
	s_branch .LBB223_1127
.LBB223_1123:
	s_mov_b32 s10, -1
                                        ; implicit-def: $sgpr2
.LBB223_1124:
	s_delay_alu instid0(SALU_CYCLE_1)
	s_and_not1_b32 vcc_lo, exec_lo, s10
	s_cbranch_vccnz .LBB223_1126
; %bb.1125:
	global_load_u8 v1, v[14:15], off
	s_and_not1_b32 s2, s2, exec_lo
	s_wait_loadcnt 0x0
	v_and_b32_e32 v1, 0x7f, v1
	s_delay_alu instid0(VALU_DEP_1) | instskip(SKIP_1) | instid1(SALU_CYCLE_1)
	v_cmp_ne_u16_e32 vcc_lo, 0, v1
	s_and_b32 s10, vcc_lo, exec_lo
	s_or_b32 s2, s2, s10
.LBB223_1126:
	s_mov_b32 s10, 0
.LBB223_1127:
	s_delay_alu instid0(SALU_CYCLE_1)
	s_and_not1_b32 vcc_lo, exec_lo, s10
	s_cbranch_vccnz .LBB223_1129
; %bb.1128:
	global_load_u8 v1, v[14:15], off
	s_and_not1_b32 s2, s2, exec_lo
	s_wait_loadcnt 0x0
	v_dual_lshlrev_b32 v3, 25, v1 :: v_dual_lshlrev_b32 v1, 8, v1
	s_delay_alu instid0(VALU_DEP_1) | instskip(NEXT) | instid1(VALU_DEP_2)
	v_cmp_gt_u32_e32 vcc_lo, 0x8000000, v3
	v_and_or_b32 v1, 0x7f00, v1, 0.5
	s_delay_alu instid0(VALU_DEP_1) | instskip(NEXT) | instid1(VALU_DEP_1)
	v_dual_lshrrev_b32 v5, 4, v3 :: v_dual_add_f32 v1, -0.5, v1
	v_or_b32_e32 v5, 0x70000000, v5
	s_delay_alu instid0(VALU_DEP_1) | instskip(NEXT) | instid1(VALU_DEP_1)
	v_mul_f32_e32 v5, 0x7800000, v5
	v_cndmask_b32_e32 v1, v5, v1, vcc_lo
	s_delay_alu instid0(VALU_DEP_1) | instskip(SKIP_1) | instid1(SALU_CYCLE_1)
	v_cmp_neq_f32_e32 vcc_lo, 0, v1
	s_and_b32 s10, vcc_lo, exec_lo
	s_or_b32 s2, s2, s10
.LBB223_1129:
	s_mov_b32 s10, -1
	s_and_not1_b32 vcc_lo, exec_lo, s11
	s_mov_b32 s11, 0
	s_cbranch_vccnz .LBB223_1138
.LBB223_1130:
	s_cmp_gt_i32 s0, 14
	s_cbranch_scc0 .LBB223_1133
; %bb.1131:
	s_cmp_eq_u32 s0, 15
	s_cbranch_scc0 .LBB223_1134
; %bb.1132:
	global_load_u16 v1, v[14:15], off
	s_mov_b32 s1, 0
	s_mov_b32 s10, -1
	s_wait_loadcnt 0x0
	v_and_b32_e32 v1, 0x7fff, v1
	s_delay_alu instid0(VALU_DEP_1)
	v_cmp_ne_u16_e64 s2, 0, v1
	s_branch .LBB223_1136
.LBB223_1133:
	s_mov_b32 s11, -1
	s_branch .LBB223_1135
.LBB223_1134:
	s_mov_b32 s1, -1
.LBB223_1135:
                                        ; implicit-def: $sgpr2
.LBB223_1136:
	s_and_b32 vcc_lo, exec_lo, s11
	s_mov_b32 s11, 0
	s_cbranch_vccz .LBB223_1138
; %bb.1137:
	s_cmp_lg_u32 s0, 11
	s_mov_b32 s11, -1
	s_cselect_b32 s1, -1, 0
.LBB223_1138:
	s_delay_alu instid0(SALU_CYCLE_1)
	s_and_b32 vcc_lo, exec_lo, s1
	s_mov_b32 s1, s8
	s_cbranch_vccnz .LBB223_1199
; %bb.1139:
	s_and_not1_b32 vcc_lo, exec_lo, s11
	s_cbranch_vccnz .LBB223_1141
.LBB223_1140:
	global_load_u8 v1, v[14:15], off
	s_and_not1_b32 s0, s2, exec_lo
	s_mov_b32 s10, -1
	s_wait_loadcnt 0x0
	v_cmp_ne_u16_e32 vcc_lo, 0, v1
	s_and_b32 s2, vcc_lo, exec_lo
	s_delay_alu instid0(SALU_CYCLE_1)
	s_or_b32 s2, s0, s2
.LBB223_1141:
	s_branch .LBB223_1088
.LBB223_1142:
	s_and_b32 s10, 0xffff, s3
	s_delay_alu instid0(SALU_CYCLE_1)
	s_cmp_lt_i32 s10, 5
	s_cbranch_scc1 .LBB223_1147
; %bb.1143:
	s_cmp_lt_i32 s10, 8
	s_cbranch_scc1 .LBB223_1148
; %bb.1144:
	;; [unrolled: 3-line block ×3, first 2 shown]
	s_cmp_gt_i32 s10, 9
	s_cbranch_scc0 .LBB223_1150
; %bb.1146:
	global_load_b128 v[16:19], v[14:15], off
	s_wait_loadcnt 0x0
	v_cmp_neq_f64_e32 vcc_lo, 0, v[16:17]
	v_cmp_neq_f64_e64 s0, 0, v[18:19]
	s_or_b32 s2, vcc_lo, s0
	s_mov_b32 s0, 0
	s_branch .LBB223_1151
.LBB223_1147:
                                        ; implicit-def: $sgpr2
	s_branch .LBB223_1168
.LBB223_1148:
                                        ; implicit-def: $sgpr2
	s_branch .LBB223_1157
.LBB223_1149:
	s_mov_b32 s0, -1
                                        ; implicit-def: $sgpr2
	s_branch .LBB223_1154
.LBB223_1150:
	s_mov_b32 s0, -1
                                        ; implicit-def: $sgpr2
.LBB223_1151:
	s_delay_alu instid0(SALU_CYCLE_1)
	s_and_not1_b32 vcc_lo, exec_lo, s0
	s_cbranch_vccnz .LBB223_1153
; %bb.1152:
	global_load_b64 v[16:17], v[14:15], off
	s_and_not1_b32 s0, s2, exec_lo
	s_wait_loadcnt 0x0
	v_bitop3_b32 v1, v16, 0x7fffffff, v17 bitop3:0xc8
	s_delay_alu instid0(VALU_DEP_1) | instskip(SKIP_1) | instid1(SALU_CYCLE_1)
	v_cmp_ne_u32_e32 vcc_lo, 0, v1
	s_and_b32 s2, vcc_lo, exec_lo
	s_or_b32 s2, s0, s2
.LBB223_1153:
	s_mov_b32 s0, 0
.LBB223_1154:
	s_delay_alu instid0(SALU_CYCLE_1)
	s_and_not1_b32 vcc_lo, exec_lo, s0
	s_cbranch_vccnz .LBB223_1156
; %bb.1155:
	global_load_b32 v1, v[14:15], off
	s_and_not1_b32 s0, s2, exec_lo
	s_wait_loadcnt 0x0
	v_and_b32_e32 v1, 0x7fff7fff, v1
	s_delay_alu instid0(VALU_DEP_1) | instskip(SKIP_1) | instid1(SALU_CYCLE_1)
	v_cmp_ne_u32_e32 vcc_lo, 0, v1
	s_and_b32 s2, vcc_lo, exec_lo
	s_or_b32 s2, s0, s2
.LBB223_1156:
	s_cbranch_execnz .LBB223_1167
.LBB223_1157:
	s_cmp_lt_i32 s10, 6
	s_cbranch_scc1 .LBB223_1160
; %bb.1158:
	s_cmp_gt_i32 s10, 6
	s_cbranch_scc0 .LBB223_1161
; %bb.1159:
	global_load_b64 v[16:17], v[14:15], off
	s_mov_b32 s0, 0
	s_wait_loadcnt 0x0
	v_cmp_neq_f64_e64 s2, 0, v[16:17]
	s_branch .LBB223_1162
.LBB223_1160:
	s_mov_b32 s0, -1
                                        ; implicit-def: $sgpr2
	s_branch .LBB223_1165
.LBB223_1161:
	s_mov_b32 s0, -1
                                        ; implicit-def: $sgpr2
.LBB223_1162:
	s_delay_alu instid0(SALU_CYCLE_1)
	s_and_not1_b32 vcc_lo, exec_lo, s0
	s_cbranch_vccnz .LBB223_1164
; %bb.1163:
	global_load_b32 v1, v[14:15], off
	s_and_not1_b32 s0, s2, exec_lo
	s_wait_loadcnt 0x0
	v_cmp_neq_f32_e32 vcc_lo, 0, v1
	s_and_b32 s2, vcc_lo, exec_lo
	s_delay_alu instid0(SALU_CYCLE_1)
	s_or_b32 s2, s0, s2
.LBB223_1164:
	s_mov_b32 s0, 0
.LBB223_1165:
	s_delay_alu instid0(SALU_CYCLE_1)
	s_and_not1_b32 vcc_lo, exec_lo, s0
	s_cbranch_vccnz .LBB223_1167
; %bb.1166:
	global_load_u16 v1, v[14:15], off
	s_and_not1_b32 s0, s2, exec_lo
	s_wait_loadcnt 0x0
	v_and_b32_e32 v1, 0x7fff, v1
	s_delay_alu instid0(VALU_DEP_1) | instskip(SKIP_1) | instid1(SALU_CYCLE_1)
	v_cmp_ne_u16_e32 vcc_lo, 0, v1
	s_and_b32 s2, vcc_lo, exec_lo
	s_or_b32 s2, s0, s2
.LBB223_1167:
	s_cbranch_execnz .LBB223_1186
.LBB223_1168:
	s_cmp_lt_i32 s10, 2
	s_cbranch_scc1 .LBB223_1172
; %bb.1169:
	s_cmp_lt_i32 s10, 3
	s_cbranch_scc1 .LBB223_1173
; %bb.1170:
	s_cmp_gt_i32 s10, 3
	s_cbranch_scc0 .LBB223_1174
; %bb.1171:
	global_load_b64 v[16:17], v[14:15], off
	s_mov_b32 s0, 0
	s_wait_loadcnt 0x0
	v_cmp_ne_u64_e64 s2, 0, v[16:17]
	s_branch .LBB223_1175
.LBB223_1172:
                                        ; implicit-def: $sgpr2
	s_branch .LBB223_1181
.LBB223_1173:
	s_mov_b32 s0, -1
                                        ; implicit-def: $sgpr2
	s_branch .LBB223_1178
.LBB223_1174:
	s_mov_b32 s0, -1
                                        ; implicit-def: $sgpr2
.LBB223_1175:
	s_delay_alu instid0(SALU_CYCLE_1)
	s_and_not1_b32 vcc_lo, exec_lo, s0
	s_cbranch_vccnz .LBB223_1177
; %bb.1176:
	global_load_b32 v1, v[14:15], off
	s_and_not1_b32 s0, s2, exec_lo
	s_wait_loadcnt 0x0
	v_cmp_ne_u32_e32 vcc_lo, 0, v1
	s_and_b32 s2, vcc_lo, exec_lo
	s_delay_alu instid0(SALU_CYCLE_1)
	s_or_b32 s2, s0, s2
.LBB223_1177:
	s_mov_b32 s0, 0
.LBB223_1178:
	s_delay_alu instid0(SALU_CYCLE_1)
	s_and_not1_b32 vcc_lo, exec_lo, s0
	s_cbranch_vccnz .LBB223_1180
; %bb.1179:
	global_load_u16 v1, v[14:15], off
	s_and_not1_b32 s0, s2, exec_lo
	s_wait_loadcnt 0x0
	v_cmp_ne_u16_e32 vcc_lo, 0, v1
	s_and_b32 s2, vcc_lo, exec_lo
	s_delay_alu instid0(SALU_CYCLE_1)
	s_or_b32 s2, s0, s2
.LBB223_1180:
	s_cbranch_execnz .LBB223_1186
.LBB223_1181:
	s_cmp_gt_i32 s10, 0
	s_mov_b32 s0, 0
	s_cbranch_scc0 .LBB223_1183
; %bb.1182:
	global_load_u8 v1, v[14:15], off
	s_wait_loadcnt 0x0
	v_cmp_ne_u16_e64 s2, 0, v1
	s_branch .LBB223_1184
.LBB223_1183:
	s_mov_b32 s0, -1
                                        ; implicit-def: $sgpr2
.LBB223_1184:
	s_delay_alu instid0(SALU_CYCLE_1)
	s_and_not1_b32 vcc_lo, exec_lo, s0
	s_cbranch_vccnz .LBB223_1186
; %bb.1185:
	global_load_u8 v1, v[14:15], off
	s_and_not1_b32 s0, s2, exec_lo
	s_wait_loadcnt 0x0
	v_cmp_ne_u16_e32 vcc_lo, 0, v1
	s_and_b32 s2, vcc_lo, exec_lo
	s_delay_alu instid0(SALU_CYCLE_1)
	s_or_b32 s2, s0, s2
.LBB223_1186:
.LBB223_1187:
	v_mov_b32_e32 v13, 0
	s_and_b32 s12, 0xffff, s3
	s_delay_alu instid0(SALU_CYCLE_1) | instskip(NEXT) | instid1(VALU_DEP_1)
	s_cmp_lt_i32 s12, 11
	v_add_nc_u64_e32 v[12:13], s[6:7], v[12:13]
	s_cbranch_scc1 .LBB223_1194
; %bb.1188:
	s_cmp_gt_i32 s12, 25
	s_mov_b32 s10, 0
	s_cbranch_scc0 .LBB223_1196
; %bb.1189:
	s_cmp_gt_i32 s12, 28
	s_cbranch_scc0 .LBB223_1197
; %bb.1190:
	s_cmp_gt_i32 s12, 43
	;; [unrolled: 3-line block ×3, first 2 shown]
	s_cbranch_scc0 .LBB223_1200
; %bb.1192:
	s_cmp_eq_u32 s12, 46
	s_mov_b32 s13, 0
	s_cbranch_scc0 .LBB223_1203
; %bb.1193:
	global_load_b32 v1, v[12:13], off
	s_mov_b32 s0, 0
	s_mov_b32 s3, -1
	s_wait_loadcnt 0x0
	v_and_b32_e32 v1, 0x7fff7fff, v1
	s_delay_alu instid0(VALU_DEP_1)
	v_cmp_ne_u32_e64 s11, 0, v1
	s_branch .LBB223_1205
.LBB223_1194:
	s_mov_b32 s3, 0
                                        ; implicit-def: $sgpr11
	s_cbranch_execnz .LBB223_1252
.LBB223_1195:
	s_and_not1_b32 vcc_lo, exec_lo, s3
	s_cbranch_vccnz .LBB223_1956
	s_branch .LBB223_1299
.LBB223_1196:
	s_mov_b32 s3, 0
	s_mov_b32 s0, 0
                                        ; implicit-def: $sgpr11
	s_cbranch_execnz .LBB223_1226
	s_branch .LBB223_1248
.LBB223_1197:
	s_mov_b32 s13, -1
	s_mov_b32 s3, 0
	s_mov_b32 s0, 0
                                        ; implicit-def: $sgpr11
	s_branch .LBB223_1213
.LBB223_1198:
	s_mov_b32 s13, -1
	s_mov_b32 s3, 0
	s_mov_b32 s0, 0
                                        ; implicit-def: $sgpr11
	s_branch .LBB223_1208
.LBB223_1199:
	s_mov_b32 s10, 0
	s_or_b32 s1, s8, exec_lo
	s_trap 2
	s_cbranch_execz .LBB223_1140
	s_branch .LBB223_1141
.LBB223_1200:
	s_mov_b32 s13, -1
	s_mov_b32 s3, 0
	s_mov_b32 s0, 0
	s_branch .LBB223_1204
.LBB223_1201:
	s_and_not1_saveexec_b32 s10, s10
	s_cbranch_execz .LBB223_944
.LBB223_1202:
	v_add_f32_e32 v2, 0x42800000, v3
	s_and_not1_b32 s9, s9, exec_lo
	s_delay_alu instid0(VALU_DEP_1) | instskip(NEXT) | instid1(VALU_DEP_1)
	v_and_b32_e32 v2, 0xff, v2
	v_cmp_ne_u32_e32 vcc_lo, 0, v2
	s_and_b32 s11, vcc_lo, exec_lo
	s_delay_alu instid0(SALU_CYCLE_1)
	s_or_b32 s9, s9, s11
	s_or_b32 exec_lo, exec_lo, s10
	v_mov_b32_e32 v4, 0
	s_and_saveexec_b32 s10, s9
	s_cbranch_execnz .LBB223_945
	s_branch .LBB223_946
.LBB223_1203:
	s_mov_b32 s0, -1
	s_mov_b32 s3, 0
.LBB223_1204:
                                        ; implicit-def: $sgpr11
.LBB223_1205:
	s_and_b32 vcc_lo, exec_lo, s13
	s_cbranch_vccz .LBB223_1207
; %bb.1206:
	s_cmp_lg_u32 s12, 44
	s_mov_b32 s3, -1
	s_cselect_b32 s0, -1, 0
	s_or_b32 s11, s11, exec_lo
.LBB223_1207:
	s_mov_b32 s13, 0
.LBB223_1208:
	s_delay_alu instid0(SALU_CYCLE_1)
	s_and_b32 vcc_lo, exec_lo, s13
	s_cbranch_vccz .LBB223_1212
; %bb.1209:
	s_cmp_eq_u32 s12, 29
	s_cbranch_scc0 .LBB223_1211
; %bb.1210:
	global_load_b64 v[14:15], v[12:13], off
	s_mov_b32 s0, 0
	s_mov_b32 s3, -1
	s_mov_b32 s13, 0
	s_wait_loadcnt 0x0
	v_cmp_ne_u64_e64 s11, 0, v[14:15]
	s_branch .LBB223_1213
.LBB223_1211:
	s_mov_b32 s0, -1
                                        ; implicit-def: $sgpr11
.LBB223_1212:
	s_mov_b32 s13, 0
.LBB223_1213:
	s_delay_alu instid0(SALU_CYCLE_1)
	s_and_b32 vcc_lo, exec_lo, s13
	s_cbranch_vccz .LBB223_1225
; %bb.1214:
	s_cmp_lt_i32 s12, 27
	s_cbranch_scc1 .LBB223_1217
; %bb.1215:
	s_cmp_gt_i32 s12, 27
	s_cbranch_scc0 .LBB223_1218
; %bb.1216:
	global_load_b32 v1, v[12:13], off
	s_mov_b32 s3, 0
	s_wait_loadcnt 0x0
	v_cmp_ne_u32_e64 s11, 0, v1
	s_branch .LBB223_1219
.LBB223_1217:
	s_mov_b32 s3, -1
                                        ; implicit-def: $sgpr11
	s_branch .LBB223_1222
.LBB223_1218:
	s_mov_b32 s3, -1
                                        ; implicit-def: $sgpr11
.LBB223_1219:
	s_delay_alu instid0(SALU_CYCLE_1)
	s_and_not1_b32 vcc_lo, exec_lo, s3
	s_cbranch_vccnz .LBB223_1221
; %bb.1220:
	global_load_u16 v1, v[12:13], off
	s_and_not1_b32 s3, s11, exec_lo
	s_wait_loadcnt 0x0
	v_cmp_ne_u16_e32 vcc_lo, 0, v1
	s_and_b32 s11, vcc_lo, exec_lo
	s_delay_alu instid0(SALU_CYCLE_1)
	s_or_b32 s11, s3, s11
.LBB223_1221:
	s_mov_b32 s3, 0
.LBB223_1222:
	s_delay_alu instid0(SALU_CYCLE_1)
	s_and_not1_b32 vcc_lo, exec_lo, s3
	s_cbranch_vccnz .LBB223_1224
; %bb.1223:
	global_load_u8 v1, v[12:13], off
	s_and_not1_b32 s3, s11, exec_lo
	s_wait_loadcnt 0x0
	v_cmp_ne_u16_e32 vcc_lo, 0, v1
	s_and_b32 s11, vcc_lo, exec_lo
	s_delay_alu instid0(SALU_CYCLE_1)
	s_or_b32 s11, s3, s11
.LBB223_1224:
	s_mov_b32 s3, -1
.LBB223_1225:
	s_branch .LBB223_1248
.LBB223_1226:
	s_cmp_gt_i32 s12, 22
	s_cbranch_scc0 .LBB223_1230
; %bb.1227:
	s_cmp_lt_i32 s12, 24
	s_cbranch_scc1 .LBB223_1231
; %bb.1228:
	s_cmp_gt_i32 s12, 24
	s_cbranch_scc0 .LBB223_1232
; %bb.1229:
	global_load_u8 v1, v[12:13], off
	s_mov_b32 s3, 0
	s_wait_loadcnt 0x0
	v_cmp_ne_u16_e64 s11, 0, v1
	s_branch .LBB223_1233
.LBB223_1230:
	s_mov_b32 s10, -1
                                        ; implicit-def: $sgpr11
	s_branch .LBB223_1239
.LBB223_1231:
	s_mov_b32 s3, -1
                                        ; implicit-def: $sgpr11
	s_branch .LBB223_1236
.LBB223_1232:
	s_mov_b32 s3, -1
                                        ; implicit-def: $sgpr11
.LBB223_1233:
	s_delay_alu instid0(SALU_CYCLE_1)
	s_and_not1_b32 vcc_lo, exec_lo, s3
	s_cbranch_vccnz .LBB223_1235
; %bb.1234:
	global_load_u8 v1, v[12:13], off
	s_and_not1_b32 s3, s11, exec_lo
	s_wait_loadcnt 0x0
	v_and_b32_e32 v1, 0x7f, v1
	s_delay_alu instid0(VALU_DEP_1) | instskip(SKIP_1) | instid1(SALU_CYCLE_1)
	v_cmp_ne_u16_e32 vcc_lo, 0, v1
	s_and_b32 s10, vcc_lo, exec_lo
	s_or_b32 s11, s3, s10
.LBB223_1235:
	s_mov_b32 s3, 0
.LBB223_1236:
	s_delay_alu instid0(SALU_CYCLE_1)
	s_and_not1_b32 vcc_lo, exec_lo, s3
	s_cbranch_vccnz .LBB223_1238
; %bb.1237:
	global_load_u8 v1, v[12:13], off
	s_and_not1_b32 s3, s11, exec_lo
	s_wait_loadcnt 0x0
	v_dual_lshlrev_b32 v3, 25, v1 :: v_dual_lshlrev_b32 v1, 8, v1
	s_delay_alu instid0(VALU_DEP_1) | instskip(NEXT) | instid1(VALU_DEP_2)
	v_cmp_gt_u32_e32 vcc_lo, 0x8000000, v3
	v_and_or_b32 v1, 0x7f00, v1, 0.5
	s_delay_alu instid0(VALU_DEP_1) | instskip(NEXT) | instid1(VALU_DEP_1)
	v_dual_lshrrev_b32 v5, 4, v3 :: v_dual_add_f32 v1, -0.5, v1
	v_or_b32_e32 v5, 0x70000000, v5
	s_delay_alu instid0(VALU_DEP_1) | instskip(NEXT) | instid1(VALU_DEP_1)
	v_mul_f32_e32 v5, 0x7800000, v5
	v_cndmask_b32_e32 v1, v5, v1, vcc_lo
	s_delay_alu instid0(VALU_DEP_1) | instskip(SKIP_1) | instid1(SALU_CYCLE_1)
	v_cmp_neq_f32_e32 vcc_lo, 0, v1
	s_and_b32 s10, vcc_lo, exec_lo
	s_or_b32 s11, s3, s10
.LBB223_1238:
	s_mov_b32 s10, 0
	s_mov_b32 s3, -1
.LBB223_1239:
	s_and_not1_b32 vcc_lo, exec_lo, s10
	s_mov_b32 s10, 0
	s_cbranch_vccnz .LBB223_1248
; %bb.1240:
	s_cmp_gt_i32 s12, 14
	s_cbranch_scc0 .LBB223_1243
; %bb.1241:
	s_cmp_eq_u32 s12, 15
	s_cbranch_scc0 .LBB223_1244
; %bb.1242:
	global_load_u16 v1, v[12:13], off
	s_mov_b32 s0, 0
	s_mov_b32 s3, -1
	s_wait_loadcnt 0x0
	v_and_b32_e32 v1, 0x7fff, v1
	s_delay_alu instid0(VALU_DEP_1)
	v_cmp_ne_u16_e64 s11, 0, v1
	s_branch .LBB223_1246
.LBB223_1243:
	s_mov_b32 s10, -1
	s_branch .LBB223_1245
.LBB223_1244:
	s_mov_b32 s0, -1
.LBB223_1245:
                                        ; implicit-def: $sgpr11
.LBB223_1246:
	s_and_b32 vcc_lo, exec_lo, s10
	s_mov_b32 s10, 0
	s_cbranch_vccz .LBB223_1248
; %bb.1247:
	s_cmp_lg_u32 s12, 11
	s_mov_b32 s10, -1
	s_cselect_b32 s0, -1, 0
.LBB223_1248:
	s_delay_alu instid0(SALU_CYCLE_1)
	s_and_b32 vcc_lo, exec_lo, s0
	s_cbranch_vccnz .LBB223_1311
; %bb.1249:
	s_and_not1_b32 vcc_lo, exec_lo, s10
	s_cbranch_vccnz .LBB223_1251
.LBB223_1250:
	global_load_u8 v1, v[12:13], off
	s_and_not1_b32 s0, s11, exec_lo
	s_mov_b32 s3, -1
	s_wait_loadcnt 0x0
	v_cmp_ne_u16_e32 vcc_lo, 0, v1
	s_and_b32 s10, vcc_lo, exec_lo
	s_delay_alu instid0(SALU_CYCLE_1)
	s_or_b32 s11, s0, s10
.LBB223_1251:
	s_branch .LBB223_1195
.LBB223_1252:
	s_cmp_lt_i32 s12, 5
	s_cbranch_scc1 .LBB223_1257
; %bb.1253:
	s_cmp_lt_i32 s12, 8
	s_cbranch_scc1 .LBB223_1258
; %bb.1254:
	s_cmp_lt_i32 s12, 9
	s_cbranch_scc1 .LBB223_1259
; %bb.1255:
	s_cmp_gt_i32 s12, 9
	s_cbranch_scc0 .LBB223_1260
; %bb.1256:
	global_load_b128 v[14:17], v[12:13], off
	s_wait_loadcnt 0x0
	v_cmp_neq_f64_e32 vcc_lo, 0, v[14:15]
	v_cmp_neq_f64_e64 s0, 0, v[16:17]
	s_or_b32 s11, vcc_lo, s0
	s_mov_b32 s0, 0
	s_branch .LBB223_1261
.LBB223_1257:
                                        ; implicit-def: $sgpr11
	s_branch .LBB223_1279
.LBB223_1258:
	s_mov_b32 s0, -1
                                        ; implicit-def: $sgpr11
	s_branch .LBB223_1267
.LBB223_1259:
	s_mov_b32 s0, -1
                                        ; implicit-def: $sgpr11
	s_branch .LBB223_1264
.LBB223_1260:
	s_mov_b32 s0, -1
                                        ; implicit-def: $sgpr11
.LBB223_1261:
	s_delay_alu instid0(SALU_CYCLE_1)
	s_and_not1_b32 vcc_lo, exec_lo, s0
	s_cbranch_vccnz .LBB223_1263
; %bb.1262:
	global_load_b64 v[14:15], v[12:13], off
	s_and_not1_b32 s0, s11, exec_lo
	s_wait_loadcnt 0x0
	v_bitop3_b32 v1, v14, 0x7fffffff, v15 bitop3:0xc8
	s_delay_alu instid0(VALU_DEP_1) | instskip(SKIP_1) | instid1(SALU_CYCLE_1)
	v_cmp_ne_u32_e32 vcc_lo, 0, v1
	s_and_b32 s3, vcc_lo, exec_lo
	s_or_b32 s11, s0, s3
.LBB223_1263:
	s_mov_b32 s0, 0
.LBB223_1264:
	s_delay_alu instid0(SALU_CYCLE_1)
	s_and_not1_b32 vcc_lo, exec_lo, s0
	s_cbranch_vccnz .LBB223_1266
; %bb.1265:
	global_load_b32 v1, v[12:13], off
	s_and_not1_b32 s0, s11, exec_lo
	s_wait_loadcnt 0x0
	v_and_b32_e32 v1, 0x7fff7fff, v1
	s_delay_alu instid0(VALU_DEP_1) | instskip(SKIP_1) | instid1(SALU_CYCLE_1)
	v_cmp_ne_u32_e32 vcc_lo, 0, v1
	s_and_b32 s3, vcc_lo, exec_lo
	s_or_b32 s11, s0, s3
.LBB223_1266:
	s_mov_b32 s0, 0
.LBB223_1267:
	s_delay_alu instid0(SALU_CYCLE_1)
	s_and_not1_b32 vcc_lo, exec_lo, s0
	s_cbranch_vccnz .LBB223_1278
; %bb.1268:
	s_cmp_lt_i32 s12, 6
	s_cbranch_scc1 .LBB223_1271
; %bb.1269:
	s_cmp_gt_i32 s12, 6
	s_cbranch_scc0 .LBB223_1272
; %bb.1270:
	global_load_b64 v[14:15], v[12:13], off
	s_mov_b32 s0, 0
	s_wait_loadcnt 0x0
	v_cmp_neq_f64_e64 s11, 0, v[14:15]
	s_branch .LBB223_1273
.LBB223_1271:
	s_mov_b32 s0, -1
                                        ; implicit-def: $sgpr11
	s_branch .LBB223_1276
.LBB223_1272:
	s_mov_b32 s0, -1
                                        ; implicit-def: $sgpr11
.LBB223_1273:
	s_delay_alu instid0(SALU_CYCLE_1)
	s_and_not1_b32 vcc_lo, exec_lo, s0
	s_cbranch_vccnz .LBB223_1275
; %bb.1274:
	global_load_b32 v1, v[12:13], off
	s_and_not1_b32 s0, s11, exec_lo
	s_wait_loadcnt 0x0
	v_cmp_neq_f32_e32 vcc_lo, 0, v1
	s_and_b32 s3, vcc_lo, exec_lo
	s_delay_alu instid0(SALU_CYCLE_1)
	s_or_b32 s11, s0, s3
.LBB223_1275:
	s_mov_b32 s0, 0
.LBB223_1276:
	s_delay_alu instid0(SALU_CYCLE_1)
	s_and_not1_b32 vcc_lo, exec_lo, s0
	s_cbranch_vccnz .LBB223_1278
; %bb.1277:
	global_load_u16 v1, v[12:13], off
	s_and_not1_b32 s0, s11, exec_lo
	s_wait_loadcnt 0x0
	v_and_b32_e32 v1, 0x7fff, v1
	s_delay_alu instid0(VALU_DEP_1) | instskip(SKIP_1) | instid1(SALU_CYCLE_1)
	v_cmp_ne_u16_e32 vcc_lo, 0, v1
	s_and_b32 s3, vcc_lo, exec_lo
	s_or_b32 s11, s0, s3
.LBB223_1278:
	s_cbranch_execnz .LBB223_1298
.LBB223_1279:
	s_cmp_lt_i32 s12, 2
	s_cbranch_scc1 .LBB223_1283
; %bb.1280:
	s_cmp_lt_i32 s12, 3
	s_cbranch_scc1 .LBB223_1284
; %bb.1281:
	s_cmp_gt_i32 s12, 3
	s_cbranch_scc0 .LBB223_1285
; %bb.1282:
	global_load_b64 v[14:15], v[12:13], off
	s_mov_b32 s0, 0
	s_wait_loadcnt 0x0
	v_cmp_ne_u64_e64 s11, 0, v[14:15]
	s_branch .LBB223_1286
.LBB223_1283:
	s_mov_b32 s0, -1
                                        ; implicit-def: $sgpr11
	s_branch .LBB223_1292
.LBB223_1284:
	s_mov_b32 s0, -1
                                        ; implicit-def: $sgpr11
	s_branch .LBB223_1289
.LBB223_1285:
	s_mov_b32 s0, -1
                                        ; implicit-def: $sgpr11
.LBB223_1286:
	s_delay_alu instid0(SALU_CYCLE_1)
	s_and_not1_b32 vcc_lo, exec_lo, s0
	s_cbranch_vccnz .LBB223_1288
; %bb.1287:
	global_load_b32 v1, v[12:13], off
	s_and_not1_b32 s0, s11, exec_lo
	s_wait_loadcnt 0x0
	v_cmp_ne_u32_e32 vcc_lo, 0, v1
	s_and_b32 s3, vcc_lo, exec_lo
	s_delay_alu instid0(SALU_CYCLE_1)
	s_or_b32 s11, s0, s3
.LBB223_1288:
	s_mov_b32 s0, 0
.LBB223_1289:
	s_delay_alu instid0(SALU_CYCLE_1)
	s_and_not1_b32 vcc_lo, exec_lo, s0
	s_cbranch_vccnz .LBB223_1291
; %bb.1290:
	global_load_u16 v1, v[12:13], off
	s_and_not1_b32 s0, s11, exec_lo
	s_wait_loadcnt 0x0
	v_cmp_ne_u16_e32 vcc_lo, 0, v1
	s_and_b32 s3, vcc_lo, exec_lo
	s_delay_alu instid0(SALU_CYCLE_1)
	s_or_b32 s11, s0, s3
.LBB223_1291:
	s_mov_b32 s0, 0
.LBB223_1292:
	s_delay_alu instid0(SALU_CYCLE_1)
	s_and_not1_b32 vcc_lo, exec_lo, s0
	s_cbranch_vccnz .LBB223_1298
; %bb.1293:
	s_cmp_gt_i32 s12, 0
	s_mov_b32 s0, 0
	s_cbranch_scc0 .LBB223_1295
; %bb.1294:
	global_load_u8 v1, v[12:13], off
	s_wait_loadcnt 0x0
	v_cmp_ne_u16_e64 s11, 0, v1
	s_branch .LBB223_1296
.LBB223_1295:
	s_mov_b32 s0, -1
                                        ; implicit-def: $sgpr11
.LBB223_1296:
	s_delay_alu instid0(SALU_CYCLE_1)
	s_and_not1_b32 vcc_lo, exec_lo, s0
	s_cbranch_vccnz .LBB223_1298
; %bb.1297:
	global_load_u8 v1, v[12:13], off
	s_and_not1_b32 s0, s11, exec_lo
	s_wait_loadcnt 0x0
	v_cmp_ne_u16_e32 vcc_lo, 0, v1
	s_and_b32 s3, vcc_lo, exec_lo
	s_delay_alu instid0(SALU_CYCLE_1)
	s_or_b32 s11, s0, s3
.LBB223_1298:
.LBB223_1299:
	v_mov_b32_e32 v11, 0
	s_cmp_lt_i32 s12, 11
	s_delay_alu instid0(VALU_DEP_1)
	v_add_nc_u64_e32 v[10:11], s[6:7], v[10:11]
	s_cbranch_scc1 .LBB223_1306
; %bb.1300:
	s_cmp_gt_i32 s12, 25
	s_mov_b32 s13, 0
	s_cbranch_scc0 .LBB223_1308
; %bb.1301:
	s_cmp_gt_i32 s12, 28
	s_cbranch_scc0 .LBB223_1309
; %bb.1302:
	s_cmp_gt_i32 s12, 43
	;; [unrolled: 3-line block ×3, first 2 shown]
	s_cbranch_scc0 .LBB223_1312
; %bb.1304:
	s_cmp_eq_u32 s12, 46
	s_mov_b32 s14, 0
	s_cbranch_scc0 .LBB223_1313
; %bb.1305:
	global_load_b32 v1, v[10:11], off
	s_mov_b32 s0, 0
	s_mov_b32 s3, -1
	s_wait_loadcnt 0x0
	v_and_b32_e32 v1, 0x7fff7fff, v1
	s_delay_alu instid0(VALU_DEP_1)
	v_cmp_ne_u32_e64 s10, 0, v1
	s_branch .LBB223_1315
.LBB223_1306:
	s_mov_b32 s3, 0
                                        ; implicit-def: $sgpr10
	s_cbranch_execnz .LBB223_1363
.LBB223_1307:
	s_and_not1_b32 vcc_lo, exec_lo, s3
	s_cbranch_vccnz .LBB223_1956
	s_branch .LBB223_1411
.LBB223_1308:
	s_mov_b32 s14, -1
	s_mov_b32 s3, 0
	s_mov_b32 s0, 0
                                        ; implicit-def: $sgpr10
	s_branch .LBB223_1336
.LBB223_1309:
	s_mov_b32 s14, -1
	s_mov_b32 s3, 0
	s_mov_b32 s0, 0
                                        ; implicit-def: $sgpr10
	s_branch .LBB223_1323
.LBB223_1310:
	s_mov_b32 s14, -1
	s_mov_b32 s3, 0
	s_mov_b32 s0, 0
                                        ; implicit-def: $sgpr10
	s_branch .LBB223_1318
.LBB223_1311:
	s_mov_b32 s3, 0
	s_or_b32 s1, s1, exec_lo
	s_trap 2
	s_cbranch_execz .LBB223_1250
	s_branch .LBB223_1251
.LBB223_1312:
	s_mov_b32 s14, -1
	s_mov_b32 s3, 0
	s_mov_b32 s0, 0
	s_branch .LBB223_1314
.LBB223_1313:
	s_mov_b32 s0, -1
	s_mov_b32 s3, 0
.LBB223_1314:
                                        ; implicit-def: $sgpr10
.LBB223_1315:
	s_and_b32 vcc_lo, exec_lo, s14
	s_cbranch_vccz .LBB223_1317
; %bb.1316:
	s_cmp_lg_u32 s12, 44
	s_mov_b32 s3, -1
	s_cselect_b32 s0, -1, 0
	s_or_b32 s10, s10, exec_lo
.LBB223_1317:
	s_mov_b32 s14, 0
.LBB223_1318:
	s_delay_alu instid0(SALU_CYCLE_1)
	s_and_b32 vcc_lo, exec_lo, s14
	s_cbranch_vccz .LBB223_1322
; %bb.1319:
	s_cmp_eq_u32 s12, 29
	s_cbranch_scc0 .LBB223_1321
; %bb.1320:
	global_load_b64 v[12:13], v[10:11], off
	s_mov_b32 s0, 0
	s_mov_b32 s3, -1
	s_mov_b32 s14, 0
	s_wait_loadcnt 0x0
	v_cmp_ne_u64_e64 s10, 0, v[12:13]
	s_branch .LBB223_1323
.LBB223_1321:
	s_mov_b32 s0, -1
                                        ; implicit-def: $sgpr10
.LBB223_1322:
	s_mov_b32 s14, 0
.LBB223_1323:
	s_delay_alu instid0(SALU_CYCLE_1)
	s_and_b32 vcc_lo, exec_lo, s14
	s_cbranch_vccz .LBB223_1335
; %bb.1324:
	s_cmp_lt_i32 s12, 27
	s_cbranch_scc1 .LBB223_1327
; %bb.1325:
	s_cmp_gt_i32 s12, 27
	s_cbranch_scc0 .LBB223_1328
; %bb.1326:
	global_load_b32 v1, v[10:11], off
	s_mov_b32 s3, 0
	s_wait_loadcnt 0x0
	v_cmp_ne_u32_e64 s10, 0, v1
	s_branch .LBB223_1329
.LBB223_1327:
	s_mov_b32 s3, -1
                                        ; implicit-def: $sgpr10
	s_branch .LBB223_1332
.LBB223_1328:
	s_mov_b32 s3, -1
                                        ; implicit-def: $sgpr10
.LBB223_1329:
	s_delay_alu instid0(SALU_CYCLE_1)
	s_and_not1_b32 vcc_lo, exec_lo, s3
	s_cbranch_vccnz .LBB223_1331
; %bb.1330:
	global_load_u16 v1, v[10:11], off
	s_and_not1_b32 s3, s10, exec_lo
	s_wait_loadcnt 0x0
	v_cmp_ne_u16_e32 vcc_lo, 0, v1
	s_and_b32 s10, vcc_lo, exec_lo
	s_delay_alu instid0(SALU_CYCLE_1)
	s_or_b32 s10, s3, s10
.LBB223_1331:
	s_mov_b32 s3, 0
.LBB223_1332:
	s_delay_alu instid0(SALU_CYCLE_1)
	s_and_not1_b32 vcc_lo, exec_lo, s3
	s_cbranch_vccnz .LBB223_1334
; %bb.1333:
	global_load_u8 v1, v[10:11], off
	s_and_not1_b32 s3, s10, exec_lo
	s_wait_loadcnt 0x0
	v_cmp_ne_u16_e32 vcc_lo, 0, v1
	s_and_b32 s10, vcc_lo, exec_lo
	s_delay_alu instid0(SALU_CYCLE_1)
	s_or_b32 s10, s3, s10
.LBB223_1334:
	s_mov_b32 s3, -1
.LBB223_1335:
	s_mov_b32 s14, 0
.LBB223_1336:
	s_delay_alu instid0(SALU_CYCLE_1)
	s_and_b32 vcc_lo, exec_lo, s14
	s_cbranch_vccz .LBB223_1359
; %bb.1337:
	s_cmp_gt_i32 s12, 22
	s_cbranch_scc0 .LBB223_1341
; %bb.1338:
	s_cmp_lt_i32 s12, 24
	s_cbranch_scc1 .LBB223_1342
; %bb.1339:
	s_cmp_gt_i32 s12, 24
	s_cbranch_scc0 .LBB223_1343
; %bb.1340:
	global_load_u8 v1, v[10:11], off
	s_mov_b32 s3, 0
	s_wait_loadcnt 0x0
	v_cmp_ne_u16_e64 s10, 0, v1
	s_branch .LBB223_1344
.LBB223_1341:
	s_mov_b32 s13, -1
                                        ; implicit-def: $sgpr10
	s_branch .LBB223_1350
.LBB223_1342:
	s_mov_b32 s3, -1
                                        ; implicit-def: $sgpr10
	s_branch .LBB223_1347
.LBB223_1343:
	s_mov_b32 s3, -1
                                        ; implicit-def: $sgpr10
.LBB223_1344:
	s_delay_alu instid0(SALU_CYCLE_1)
	s_and_not1_b32 vcc_lo, exec_lo, s3
	s_cbranch_vccnz .LBB223_1346
; %bb.1345:
	global_load_u8 v1, v[10:11], off
	s_and_not1_b32 s3, s10, exec_lo
	s_wait_loadcnt 0x0
	v_and_b32_e32 v1, 0x7f, v1
	s_delay_alu instid0(VALU_DEP_1) | instskip(SKIP_1) | instid1(SALU_CYCLE_1)
	v_cmp_ne_u16_e32 vcc_lo, 0, v1
	s_and_b32 s10, vcc_lo, exec_lo
	s_or_b32 s10, s3, s10
.LBB223_1346:
	s_mov_b32 s3, 0
.LBB223_1347:
	s_delay_alu instid0(SALU_CYCLE_1)
	s_and_not1_b32 vcc_lo, exec_lo, s3
	s_cbranch_vccnz .LBB223_1349
; %bb.1348:
	global_load_u8 v1, v[10:11], off
	s_and_not1_b32 s3, s10, exec_lo
	s_wait_loadcnt 0x0
	v_dual_lshlrev_b32 v3, 25, v1 :: v_dual_lshlrev_b32 v1, 8, v1
	s_delay_alu instid0(VALU_DEP_1) | instskip(NEXT) | instid1(VALU_DEP_2)
	v_cmp_gt_u32_e32 vcc_lo, 0x8000000, v3
	v_and_or_b32 v1, 0x7f00, v1, 0.5
	s_delay_alu instid0(VALU_DEP_1) | instskip(NEXT) | instid1(VALU_DEP_1)
	v_dual_lshrrev_b32 v5, 4, v3 :: v_dual_add_f32 v1, -0.5, v1
	v_or_b32_e32 v5, 0x70000000, v5
	s_delay_alu instid0(VALU_DEP_1) | instskip(NEXT) | instid1(VALU_DEP_1)
	v_mul_f32_e32 v5, 0x7800000, v5
	v_cndmask_b32_e32 v1, v5, v1, vcc_lo
	s_delay_alu instid0(VALU_DEP_1) | instskip(SKIP_1) | instid1(SALU_CYCLE_1)
	v_cmp_neq_f32_e32 vcc_lo, 0, v1
	s_and_b32 s10, vcc_lo, exec_lo
	s_or_b32 s10, s3, s10
.LBB223_1349:
	s_mov_b32 s3, -1
.LBB223_1350:
	s_and_not1_b32 vcc_lo, exec_lo, s13
	s_mov_b32 s13, 0
	s_cbranch_vccnz .LBB223_1359
; %bb.1351:
	s_cmp_gt_i32 s12, 14
	s_cbranch_scc0 .LBB223_1354
; %bb.1352:
	s_cmp_eq_u32 s12, 15
	s_cbranch_scc0 .LBB223_1355
; %bb.1353:
	global_load_u16 v1, v[10:11], off
	s_mov_b32 s0, 0
	s_mov_b32 s3, -1
	s_wait_loadcnt 0x0
	v_and_b32_e32 v1, 0x7fff, v1
	s_delay_alu instid0(VALU_DEP_1)
	v_cmp_ne_u16_e64 s10, 0, v1
	s_branch .LBB223_1357
.LBB223_1354:
	s_mov_b32 s13, -1
	s_branch .LBB223_1356
.LBB223_1355:
	s_mov_b32 s0, -1
.LBB223_1356:
                                        ; implicit-def: $sgpr10
.LBB223_1357:
	s_and_b32 vcc_lo, exec_lo, s13
	s_mov_b32 s13, 0
	s_cbranch_vccz .LBB223_1359
; %bb.1358:
	s_cmp_lg_u32 s12, 11
	s_mov_b32 s13, -1
	s_cselect_b32 s0, -1, 0
.LBB223_1359:
	s_delay_alu instid0(SALU_CYCLE_1)
	s_and_b32 vcc_lo, exec_lo, s0
	s_cbranch_vccnz .LBB223_1422
; %bb.1360:
	s_and_not1_b32 vcc_lo, exec_lo, s13
	s_cbranch_vccnz .LBB223_1362
.LBB223_1361:
	global_load_u8 v1, v[10:11], off
	s_and_not1_b32 s0, s10, exec_lo
	s_mov_b32 s3, -1
	s_wait_loadcnt 0x0
	v_cmp_ne_u16_e32 vcc_lo, 0, v1
	s_and_b32 s10, vcc_lo, exec_lo
	s_delay_alu instid0(SALU_CYCLE_1)
	s_or_b32 s10, s0, s10
.LBB223_1362:
	s_branch .LBB223_1307
.LBB223_1363:
	s_cmp_lt_i32 s12, 5
	s_cbranch_scc1 .LBB223_1368
; %bb.1364:
	s_cmp_lt_i32 s12, 8
	s_cbranch_scc1 .LBB223_1369
; %bb.1365:
	;; [unrolled: 3-line block ×3, first 2 shown]
	s_cmp_gt_i32 s12, 9
	s_cbranch_scc0 .LBB223_1371
; %bb.1367:
	global_load_b128 v[12:15], v[10:11], off
	s_wait_loadcnt 0x0
	v_cmp_neq_f64_e32 vcc_lo, 0, v[12:13]
	v_cmp_neq_f64_e64 s0, 0, v[14:15]
	s_or_b32 s10, vcc_lo, s0
	s_mov_b32 s0, 0
	s_branch .LBB223_1372
.LBB223_1368:
	s_mov_b32 s0, -1
                                        ; implicit-def: $sgpr10
	s_branch .LBB223_1390
.LBB223_1369:
	s_mov_b32 s0, -1
                                        ; implicit-def: $sgpr10
	s_branch .LBB223_1378
.LBB223_1370:
	s_mov_b32 s0, -1
                                        ; implicit-def: $sgpr10
	s_branch .LBB223_1375
.LBB223_1371:
	s_mov_b32 s0, -1
                                        ; implicit-def: $sgpr10
.LBB223_1372:
	s_delay_alu instid0(SALU_CYCLE_1)
	s_and_not1_b32 vcc_lo, exec_lo, s0
	s_cbranch_vccnz .LBB223_1374
; %bb.1373:
	global_load_b64 v[12:13], v[10:11], off
	s_and_not1_b32 s0, s10, exec_lo
	s_wait_loadcnt 0x0
	v_bitop3_b32 v1, v12, 0x7fffffff, v13 bitop3:0xc8
	s_delay_alu instid0(VALU_DEP_1) | instskip(SKIP_1) | instid1(SALU_CYCLE_1)
	v_cmp_ne_u32_e32 vcc_lo, 0, v1
	s_and_b32 s3, vcc_lo, exec_lo
	s_or_b32 s10, s0, s3
.LBB223_1374:
	s_mov_b32 s0, 0
.LBB223_1375:
	s_delay_alu instid0(SALU_CYCLE_1)
	s_and_not1_b32 vcc_lo, exec_lo, s0
	s_cbranch_vccnz .LBB223_1377
; %bb.1376:
	global_load_b32 v1, v[10:11], off
	s_and_not1_b32 s0, s10, exec_lo
	s_wait_loadcnt 0x0
	v_and_b32_e32 v1, 0x7fff7fff, v1
	s_delay_alu instid0(VALU_DEP_1) | instskip(SKIP_1) | instid1(SALU_CYCLE_1)
	v_cmp_ne_u32_e32 vcc_lo, 0, v1
	s_and_b32 s3, vcc_lo, exec_lo
	s_or_b32 s10, s0, s3
.LBB223_1377:
	s_mov_b32 s0, 0
.LBB223_1378:
	s_delay_alu instid0(SALU_CYCLE_1)
	s_and_not1_b32 vcc_lo, exec_lo, s0
	s_cbranch_vccnz .LBB223_1389
; %bb.1379:
	s_cmp_lt_i32 s12, 6
	s_cbranch_scc1 .LBB223_1382
; %bb.1380:
	s_cmp_gt_i32 s12, 6
	s_cbranch_scc0 .LBB223_1383
; %bb.1381:
	global_load_b64 v[12:13], v[10:11], off
	s_mov_b32 s0, 0
	s_wait_loadcnt 0x0
	v_cmp_neq_f64_e64 s10, 0, v[12:13]
	s_branch .LBB223_1384
.LBB223_1382:
	s_mov_b32 s0, -1
                                        ; implicit-def: $sgpr10
	s_branch .LBB223_1387
.LBB223_1383:
	s_mov_b32 s0, -1
                                        ; implicit-def: $sgpr10
.LBB223_1384:
	s_delay_alu instid0(SALU_CYCLE_1)
	s_and_not1_b32 vcc_lo, exec_lo, s0
	s_cbranch_vccnz .LBB223_1386
; %bb.1385:
	global_load_b32 v1, v[10:11], off
	s_and_not1_b32 s0, s10, exec_lo
	s_wait_loadcnt 0x0
	v_cmp_neq_f32_e32 vcc_lo, 0, v1
	s_and_b32 s3, vcc_lo, exec_lo
	s_delay_alu instid0(SALU_CYCLE_1)
	s_or_b32 s10, s0, s3
.LBB223_1386:
	s_mov_b32 s0, 0
.LBB223_1387:
	s_delay_alu instid0(SALU_CYCLE_1)
	s_and_not1_b32 vcc_lo, exec_lo, s0
	s_cbranch_vccnz .LBB223_1389
; %bb.1388:
	global_load_u16 v1, v[10:11], off
	s_and_not1_b32 s0, s10, exec_lo
	s_wait_loadcnt 0x0
	v_and_b32_e32 v1, 0x7fff, v1
	s_delay_alu instid0(VALU_DEP_1) | instskip(SKIP_1) | instid1(SALU_CYCLE_1)
	v_cmp_ne_u16_e32 vcc_lo, 0, v1
	s_and_b32 s3, vcc_lo, exec_lo
	s_or_b32 s10, s0, s3
.LBB223_1389:
	s_mov_b32 s0, 0
.LBB223_1390:
	s_delay_alu instid0(SALU_CYCLE_1)
	s_and_not1_b32 vcc_lo, exec_lo, s0
	s_cbranch_vccnz .LBB223_1410
; %bb.1391:
	s_cmp_lt_i32 s12, 2
	s_cbranch_scc1 .LBB223_1395
; %bb.1392:
	s_cmp_lt_i32 s12, 3
	s_cbranch_scc1 .LBB223_1396
; %bb.1393:
	s_cmp_gt_i32 s12, 3
	s_cbranch_scc0 .LBB223_1397
; %bb.1394:
	global_load_b64 v[12:13], v[10:11], off
	s_mov_b32 s0, 0
	s_wait_loadcnt 0x0
	v_cmp_ne_u64_e64 s10, 0, v[12:13]
	s_branch .LBB223_1398
.LBB223_1395:
	s_mov_b32 s0, -1
                                        ; implicit-def: $sgpr10
	s_branch .LBB223_1404
.LBB223_1396:
	s_mov_b32 s0, -1
                                        ; implicit-def: $sgpr10
	s_branch .LBB223_1401
.LBB223_1397:
	s_mov_b32 s0, -1
                                        ; implicit-def: $sgpr10
.LBB223_1398:
	s_delay_alu instid0(SALU_CYCLE_1)
	s_and_not1_b32 vcc_lo, exec_lo, s0
	s_cbranch_vccnz .LBB223_1400
; %bb.1399:
	global_load_b32 v1, v[10:11], off
	s_and_not1_b32 s0, s10, exec_lo
	s_wait_loadcnt 0x0
	v_cmp_ne_u32_e32 vcc_lo, 0, v1
	s_and_b32 s3, vcc_lo, exec_lo
	s_delay_alu instid0(SALU_CYCLE_1)
	s_or_b32 s10, s0, s3
.LBB223_1400:
	s_mov_b32 s0, 0
.LBB223_1401:
	s_delay_alu instid0(SALU_CYCLE_1)
	s_and_not1_b32 vcc_lo, exec_lo, s0
	s_cbranch_vccnz .LBB223_1403
; %bb.1402:
	global_load_u16 v1, v[10:11], off
	s_and_not1_b32 s0, s10, exec_lo
	s_wait_loadcnt 0x0
	v_cmp_ne_u16_e32 vcc_lo, 0, v1
	s_and_b32 s3, vcc_lo, exec_lo
	s_delay_alu instid0(SALU_CYCLE_1)
	s_or_b32 s10, s0, s3
.LBB223_1403:
	s_mov_b32 s0, 0
.LBB223_1404:
	s_delay_alu instid0(SALU_CYCLE_1)
	s_and_not1_b32 vcc_lo, exec_lo, s0
	s_cbranch_vccnz .LBB223_1410
; %bb.1405:
	s_cmp_gt_i32 s12, 0
	s_mov_b32 s0, 0
	s_cbranch_scc0 .LBB223_1407
; %bb.1406:
	global_load_u8 v1, v[10:11], off
	s_wait_loadcnt 0x0
	v_cmp_ne_u16_e64 s10, 0, v1
	s_branch .LBB223_1408
.LBB223_1407:
	s_mov_b32 s0, -1
                                        ; implicit-def: $sgpr10
.LBB223_1408:
	s_delay_alu instid0(SALU_CYCLE_1)
	s_and_not1_b32 vcc_lo, exec_lo, s0
	s_cbranch_vccnz .LBB223_1410
; %bb.1409:
	global_load_u8 v1, v[10:11], off
	s_and_not1_b32 s0, s10, exec_lo
	s_wait_loadcnt 0x0
	v_cmp_ne_u16_e32 vcc_lo, 0, v1
	s_and_b32 s3, vcc_lo, exec_lo
	s_delay_alu instid0(SALU_CYCLE_1)
	s_or_b32 s10, s0, s3
.LBB223_1410:
.LBB223_1411:
	v_mov_b32_e32 v9, 0
	s_cmp_lt_i32 s12, 11
	s_delay_alu instid0(VALU_DEP_1)
	v_add_nc_u64_e32 v[8:9], s[6:7], v[8:9]
	s_cbranch_scc1 .LBB223_1418
; %bb.1412:
	s_cmp_gt_i32 s12, 25
	s_mov_b32 s7, 0
	s_cbranch_scc0 .LBB223_1419
; %bb.1413:
	s_cmp_gt_i32 s12, 28
	s_cbranch_scc0 .LBB223_1420
; %bb.1414:
	s_cmp_gt_i32 s12, 43
	;; [unrolled: 3-line block ×3, first 2 shown]
	s_cbranch_scc0 .LBB223_1423
; %bb.1416:
	s_cmp_eq_u32 s12, 46
	s_mov_b32 s13, 0
	s_cbranch_scc0 .LBB223_1424
; %bb.1417:
	global_load_b32 v1, v[8:9], off
	s_mov_b32 s0, 0
	s_mov_b32 s6, -1
	s_wait_loadcnt 0x0
	v_and_b32_e32 v1, 0x7fff7fff, v1
	s_delay_alu instid0(VALU_DEP_1)
	v_cmp_ne_u32_e64 s3, 0, v1
	s_branch .LBB223_1426
.LBB223_1418:
	s_mov_b32 s0, -1
	s_mov_b32 s6, 0
                                        ; implicit-def: $sgpr3
	s_branch .LBB223_1474
.LBB223_1419:
	s_mov_b32 s13, -1
	s_mov_b32 s6, 0
	s_mov_b32 s0, 0
                                        ; implicit-def: $sgpr3
	s_branch .LBB223_1447
.LBB223_1420:
	s_mov_b32 s13, -1
	s_mov_b32 s6, 0
	s_mov_b32 s0, 0
                                        ; implicit-def: $sgpr3
	s_branch .LBB223_1434
.LBB223_1421:
	s_mov_b32 s13, -1
	s_mov_b32 s6, 0
	s_mov_b32 s0, 0
                                        ; implicit-def: $sgpr3
	s_branch .LBB223_1429
.LBB223_1422:
	s_mov_b32 s3, 0
	s_or_b32 s1, s1, exec_lo
	s_trap 2
	s_cbranch_execz .LBB223_1361
	s_branch .LBB223_1362
.LBB223_1423:
	s_mov_b32 s13, -1
	s_mov_b32 s6, 0
	s_mov_b32 s0, 0
	s_branch .LBB223_1425
.LBB223_1424:
	s_mov_b32 s0, -1
	s_mov_b32 s6, 0
.LBB223_1425:
                                        ; implicit-def: $sgpr3
.LBB223_1426:
	s_and_b32 vcc_lo, exec_lo, s13
	s_cbranch_vccz .LBB223_1428
; %bb.1427:
	s_cmp_lg_u32 s12, 44
	s_mov_b32 s6, -1
	s_cselect_b32 s0, -1, 0
	s_or_b32 s3, s3, exec_lo
.LBB223_1428:
	s_mov_b32 s13, 0
.LBB223_1429:
	s_delay_alu instid0(SALU_CYCLE_1)
	s_and_b32 vcc_lo, exec_lo, s13
	s_cbranch_vccz .LBB223_1433
; %bb.1430:
	s_cmp_eq_u32 s12, 29
	s_cbranch_scc0 .LBB223_1432
; %bb.1431:
	global_load_b64 v[10:11], v[8:9], off
	s_mov_b32 s0, 0
	s_mov_b32 s6, -1
	s_mov_b32 s13, 0
	s_wait_loadcnt 0x0
	v_cmp_ne_u64_e64 s3, 0, v[10:11]
	s_branch .LBB223_1434
.LBB223_1432:
	s_mov_b32 s0, -1
                                        ; implicit-def: $sgpr3
.LBB223_1433:
	s_mov_b32 s13, 0
.LBB223_1434:
	s_delay_alu instid0(SALU_CYCLE_1)
	s_and_b32 vcc_lo, exec_lo, s13
	s_cbranch_vccz .LBB223_1446
; %bb.1435:
	s_cmp_lt_i32 s12, 27
	s_cbranch_scc1 .LBB223_1438
; %bb.1436:
	s_cmp_gt_i32 s12, 27
	s_cbranch_scc0 .LBB223_1439
; %bb.1437:
	global_load_b32 v1, v[8:9], off
	s_mov_b32 s6, 0
	s_wait_loadcnt 0x0
	v_cmp_ne_u32_e64 s3, 0, v1
	s_branch .LBB223_1440
.LBB223_1438:
	s_mov_b32 s6, -1
                                        ; implicit-def: $sgpr3
	s_branch .LBB223_1443
.LBB223_1439:
	s_mov_b32 s6, -1
                                        ; implicit-def: $sgpr3
.LBB223_1440:
	s_delay_alu instid0(SALU_CYCLE_1)
	s_and_not1_b32 vcc_lo, exec_lo, s6
	s_cbranch_vccnz .LBB223_1442
; %bb.1441:
	global_load_u16 v1, v[8:9], off
	s_and_not1_b32 s3, s3, exec_lo
	s_wait_loadcnt 0x0
	v_cmp_ne_u16_e32 vcc_lo, 0, v1
	s_and_b32 s6, vcc_lo, exec_lo
	s_delay_alu instid0(SALU_CYCLE_1)
	s_or_b32 s3, s3, s6
.LBB223_1442:
	s_mov_b32 s6, 0
.LBB223_1443:
	s_delay_alu instid0(SALU_CYCLE_1)
	s_and_not1_b32 vcc_lo, exec_lo, s6
	s_cbranch_vccnz .LBB223_1445
; %bb.1444:
	global_load_u8 v1, v[8:9], off
	s_and_not1_b32 s3, s3, exec_lo
	s_wait_loadcnt 0x0
	v_cmp_ne_u16_e32 vcc_lo, 0, v1
	s_and_b32 s6, vcc_lo, exec_lo
	s_delay_alu instid0(SALU_CYCLE_1)
	s_or_b32 s3, s3, s6
.LBB223_1445:
	s_mov_b32 s6, -1
.LBB223_1446:
	s_mov_b32 s13, 0
.LBB223_1447:
	s_delay_alu instid0(SALU_CYCLE_1)
	s_and_b32 vcc_lo, exec_lo, s13
	s_cbranch_vccz .LBB223_1470
; %bb.1448:
	s_cmp_gt_i32 s12, 22
	s_cbranch_scc0 .LBB223_1452
; %bb.1449:
	s_cmp_lt_i32 s12, 24
	s_cbranch_scc1 .LBB223_1453
; %bb.1450:
	s_cmp_gt_i32 s12, 24
	s_cbranch_scc0 .LBB223_1454
; %bb.1451:
	global_load_u8 v1, v[8:9], off
	s_mov_b32 s6, 0
	s_wait_loadcnt 0x0
	v_cmp_ne_u16_e64 s3, 0, v1
	s_branch .LBB223_1455
.LBB223_1452:
	s_mov_b32 s7, -1
                                        ; implicit-def: $sgpr3
	s_branch .LBB223_1461
.LBB223_1453:
	s_mov_b32 s6, -1
                                        ; implicit-def: $sgpr3
	s_branch .LBB223_1458
.LBB223_1454:
	s_mov_b32 s6, -1
                                        ; implicit-def: $sgpr3
.LBB223_1455:
	s_delay_alu instid0(SALU_CYCLE_1)
	s_and_not1_b32 vcc_lo, exec_lo, s6
	s_cbranch_vccnz .LBB223_1457
; %bb.1456:
	global_load_u8 v1, v[8:9], off
	s_and_not1_b32 s3, s3, exec_lo
	s_wait_loadcnt 0x0
	v_and_b32_e32 v1, 0x7f, v1
	s_delay_alu instid0(VALU_DEP_1) | instskip(SKIP_1) | instid1(SALU_CYCLE_1)
	v_cmp_ne_u16_e32 vcc_lo, 0, v1
	s_and_b32 s6, vcc_lo, exec_lo
	s_or_b32 s3, s3, s6
.LBB223_1457:
	s_mov_b32 s6, 0
.LBB223_1458:
	s_delay_alu instid0(SALU_CYCLE_1)
	s_and_not1_b32 vcc_lo, exec_lo, s6
	s_cbranch_vccnz .LBB223_1460
; %bb.1459:
	global_load_u8 v1, v[8:9], off
	s_and_not1_b32 s3, s3, exec_lo
	s_wait_loadcnt 0x0
	v_dual_lshlrev_b32 v3, 25, v1 :: v_dual_lshlrev_b32 v1, 8, v1
	s_delay_alu instid0(VALU_DEP_1) | instskip(NEXT) | instid1(VALU_DEP_2)
	v_cmp_gt_u32_e32 vcc_lo, 0x8000000, v3
	v_and_or_b32 v1, 0x7f00, v1, 0.5
	s_delay_alu instid0(VALU_DEP_1) | instskip(NEXT) | instid1(VALU_DEP_1)
	v_dual_lshrrev_b32 v5, 4, v3 :: v_dual_add_f32 v1, -0.5, v1
	v_or_b32_e32 v5, 0x70000000, v5
	s_delay_alu instid0(VALU_DEP_1) | instskip(NEXT) | instid1(VALU_DEP_1)
	v_mul_f32_e32 v5, 0x7800000, v5
	v_cndmask_b32_e32 v1, v5, v1, vcc_lo
	s_delay_alu instid0(VALU_DEP_1) | instskip(SKIP_1) | instid1(SALU_CYCLE_1)
	v_cmp_neq_f32_e32 vcc_lo, 0, v1
	s_and_b32 s6, vcc_lo, exec_lo
	s_or_b32 s3, s3, s6
.LBB223_1460:
	s_mov_b32 s6, -1
.LBB223_1461:
	s_and_not1_b32 vcc_lo, exec_lo, s7
	s_mov_b32 s7, 0
	s_cbranch_vccnz .LBB223_1470
; %bb.1462:
	s_cmp_gt_i32 s12, 14
	s_cbranch_scc0 .LBB223_1465
; %bb.1463:
	s_cmp_eq_u32 s12, 15
	s_cbranch_scc0 .LBB223_1466
; %bb.1464:
	global_load_u16 v1, v[8:9], off
	s_mov_b32 s0, 0
	s_mov_b32 s6, -1
	s_wait_loadcnt 0x0
	v_and_b32_e32 v1, 0x7fff, v1
	s_delay_alu instid0(VALU_DEP_1)
	v_cmp_ne_u16_e64 s3, 0, v1
	s_branch .LBB223_1468
.LBB223_1465:
	s_mov_b32 s7, -1
	s_branch .LBB223_1467
.LBB223_1466:
	s_mov_b32 s0, -1
.LBB223_1467:
                                        ; implicit-def: $sgpr3
.LBB223_1468:
	s_and_b32 vcc_lo, exec_lo, s7
	s_mov_b32 s7, 0
	s_cbranch_vccz .LBB223_1470
; %bb.1469:
	s_cmp_lg_u32 s12, 11
	s_mov_b32 s7, -1
	s_cselect_b32 s0, -1, 0
.LBB223_1470:
	s_delay_alu instid0(SALU_CYCLE_1)
	s_and_b32 vcc_lo, exec_lo, s0
	s_cbranch_vccnz .LBB223_2002
; %bb.1471:
	s_and_not1_b32 vcc_lo, exec_lo, s7
	s_cbranch_vccnz .LBB223_1473
.LBB223_1472:
	global_load_u8 v1, v[8:9], off
	s_and_not1_b32 s0, s3, exec_lo
	s_mov_b32 s6, -1
	s_wait_loadcnt 0x0
	v_cmp_ne_u16_e32 vcc_lo, 0, v1
	s_and_b32 s3, vcc_lo, exec_lo
	s_delay_alu instid0(SALU_CYCLE_1)
	s_or_b32 s3, s0, s3
.LBB223_1473:
	s_mov_b32 s0, 0
.LBB223_1474:
	s_delay_alu instid0(SALU_CYCLE_1)
	s_and_b32 vcc_lo, exec_lo, s0
	s_cbranch_vccz .LBB223_1523
; %bb.1475:
	s_cmp_lt_i32 s12, 5
	s_cbranch_scc1 .LBB223_1480
; %bb.1476:
	s_cmp_lt_i32 s12, 8
	s_cbranch_scc1 .LBB223_1481
	;; [unrolled: 3-line block ×3, first 2 shown]
; %bb.1478:
	s_cmp_gt_i32 s12, 9
	s_cbranch_scc0 .LBB223_1483
; %bb.1479:
	global_load_b128 v[10:13], v[8:9], off
	s_wait_loadcnt 0x0
	v_cmp_neq_f64_e32 vcc_lo, 0, v[10:11]
	v_cmp_neq_f64_e64 s0, 0, v[12:13]
	s_or_b32 s3, vcc_lo, s0
	s_mov_b32 s0, 0
	s_branch .LBB223_1484
.LBB223_1480:
	s_mov_b32 s0, -1
                                        ; implicit-def: $sgpr3
	s_branch .LBB223_1502
.LBB223_1481:
	s_mov_b32 s0, -1
                                        ; implicit-def: $sgpr3
	s_branch .LBB223_1490
.LBB223_1482:
	s_mov_b32 s0, -1
                                        ; implicit-def: $sgpr3
	s_branch .LBB223_1487
.LBB223_1483:
	s_mov_b32 s0, -1
                                        ; implicit-def: $sgpr3
.LBB223_1484:
	s_delay_alu instid0(SALU_CYCLE_1)
	s_and_not1_b32 vcc_lo, exec_lo, s0
	s_cbranch_vccnz .LBB223_1486
; %bb.1485:
	global_load_b64 v[10:11], v[8:9], off
	s_and_not1_b32 s0, s3, exec_lo
	s_wait_loadcnt 0x0
	v_bitop3_b32 v1, v10, 0x7fffffff, v11 bitop3:0xc8
	s_delay_alu instid0(VALU_DEP_1) | instskip(SKIP_1) | instid1(SALU_CYCLE_1)
	v_cmp_ne_u32_e32 vcc_lo, 0, v1
	s_and_b32 s3, vcc_lo, exec_lo
	s_or_b32 s3, s0, s3
.LBB223_1486:
	s_mov_b32 s0, 0
.LBB223_1487:
	s_delay_alu instid0(SALU_CYCLE_1)
	s_and_not1_b32 vcc_lo, exec_lo, s0
	s_cbranch_vccnz .LBB223_1489
; %bb.1488:
	global_load_b32 v1, v[8:9], off
	s_and_not1_b32 s0, s3, exec_lo
	s_wait_loadcnt 0x0
	v_and_b32_e32 v1, 0x7fff7fff, v1
	s_delay_alu instid0(VALU_DEP_1) | instskip(SKIP_1) | instid1(SALU_CYCLE_1)
	v_cmp_ne_u32_e32 vcc_lo, 0, v1
	s_and_b32 s3, vcc_lo, exec_lo
	s_or_b32 s3, s0, s3
.LBB223_1489:
	s_mov_b32 s0, 0
.LBB223_1490:
	s_delay_alu instid0(SALU_CYCLE_1)
	s_and_not1_b32 vcc_lo, exec_lo, s0
	s_cbranch_vccnz .LBB223_1501
; %bb.1491:
	s_cmp_lt_i32 s12, 6
	s_cbranch_scc1 .LBB223_1494
; %bb.1492:
	s_cmp_gt_i32 s12, 6
	s_cbranch_scc0 .LBB223_1495
; %bb.1493:
	global_load_b64 v[10:11], v[8:9], off
	s_mov_b32 s0, 0
	s_wait_loadcnt 0x0
	v_cmp_neq_f64_e64 s3, 0, v[10:11]
	s_branch .LBB223_1496
.LBB223_1494:
	s_mov_b32 s0, -1
                                        ; implicit-def: $sgpr3
	s_branch .LBB223_1499
.LBB223_1495:
	s_mov_b32 s0, -1
                                        ; implicit-def: $sgpr3
.LBB223_1496:
	s_delay_alu instid0(SALU_CYCLE_1)
	s_and_not1_b32 vcc_lo, exec_lo, s0
	s_cbranch_vccnz .LBB223_1498
; %bb.1497:
	global_load_b32 v1, v[8:9], off
	s_and_not1_b32 s0, s3, exec_lo
	s_wait_loadcnt 0x0
	v_cmp_neq_f32_e32 vcc_lo, 0, v1
	s_and_b32 s3, vcc_lo, exec_lo
	s_delay_alu instid0(SALU_CYCLE_1)
	s_or_b32 s3, s0, s3
.LBB223_1498:
	s_mov_b32 s0, 0
.LBB223_1499:
	s_delay_alu instid0(SALU_CYCLE_1)
	s_and_not1_b32 vcc_lo, exec_lo, s0
	s_cbranch_vccnz .LBB223_1501
; %bb.1500:
	global_load_u16 v1, v[8:9], off
	s_and_not1_b32 s0, s3, exec_lo
	s_wait_loadcnt 0x0
	v_and_b32_e32 v1, 0x7fff, v1
	s_delay_alu instid0(VALU_DEP_1) | instskip(SKIP_1) | instid1(SALU_CYCLE_1)
	v_cmp_ne_u16_e32 vcc_lo, 0, v1
	s_and_b32 s3, vcc_lo, exec_lo
	s_or_b32 s3, s0, s3
.LBB223_1501:
	s_mov_b32 s0, 0
.LBB223_1502:
	s_delay_alu instid0(SALU_CYCLE_1)
	s_and_not1_b32 vcc_lo, exec_lo, s0
	s_cbranch_vccnz .LBB223_1522
; %bb.1503:
	s_cmp_lt_i32 s12, 2
	s_cbranch_scc1 .LBB223_1507
; %bb.1504:
	s_cmp_lt_i32 s12, 3
	s_cbranch_scc1 .LBB223_1508
; %bb.1505:
	s_cmp_gt_i32 s12, 3
	s_cbranch_scc0 .LBB223_1509
; %bb.1506:
	global_load_b64 v[10:11], v[8:9], off
	s_mov_b32 s0, 0
	s_wait_loadcnt 0x0
	v_cmp_ne_u64_e64 s3, 0, v[10:11]
	s_branch .LBB223_1510
.LBB223_1507:
	s_mov_b32 s0, -1
                                        ; implicit-def: $sgpr3
	s_branch .LBB223_1516
.LBB223_1508:
	s_mov_b32 s0, -1
                                        ; implicit-def: $sgpr3
	s_branch .LBB223_1513
.LBB223_1509:
	s_mov_b32 s0, -1
                                        ; implicit-def: $sgpr3
.LBB223_1510:
	s_delay_alu instid0(SALU_CYCLE_1)
	s_and_not1_b32 vcc_lo, exec_lo, s0
	s_cbranch_vccnz .LBB223_1512
; %bb.1511:
	global_load_b32 v1, v[8:9], off
	s_and_not1_b32 s0, s3, exec_lo
	s_wait_loadcnt 0x0
	v_cmp_ne_u32_e32 vcc_lo, 0, v1
	s_and_b32 s3, vcc_lo, exec_lo
	s_delay_alu instid0(SALU_CYCLE_1)
	s_or_b32 s3, s0, s3
.LBB223_1512:
	s_mov_b32 s0, 0
.LBB223_1513:
	s_delay_alu instid0(SALU_CYCLE_1)
	s_and_not1_b32 vcc_lo, exec_lo, s0
	s_cbranch_vccnz .LBB223_1515
; %bb.1514:
	global_load_u16 v1, v[8:9], off
	s_and_not1_b32 s0, s3, exec_lo
	s_wait_loadcnt 0x0
	v_cmp_ne_u16_e32 vcc_lo, 0, v1
	s_and_b32 s3, vcc_lo, exec_lo
	s_delay_alu instid0(SALU_CYCLE_1)
	s_or_b32 s3, s0, s3
.LBB223_1515:
	s_mov_b32 s0, 0
.LBB223_1516:
	s_delay_alu instid0(SALU_CYCLE_1)
	s_and_not1_b32 vcc_lo, exec_lo, s0
	s_cbranch_vccnz .LBB223_1522
; %bb.1517:
	s_cmp_gt_i32 s12, 0
	s_mov_b32 s0, 0
	s_cbranch_scc0 .LBB223_1519
; %bb.1518:
	global_load_u8 v1, v[8:9], off
	s_wait_loadcnt 0x0
	v_cmp_ne_u16_e64 s3, 0, v1
	s_branch .LBB223_1520
.LBB223_1519:
	s_mov_b32 s0, -1
                                        ; implicit-def: $sgpr3
.LBB223_1520:
	s_delay_alu instid0(SALU_CYCLE_1)
	s_and_not1_b32 vcc_lo, exec_lo, s0
	s_cbranch_vccnz .LBB223_1522
; %bb.1521:
	global_load_u8 v1, v[8:9], off
	s_and_not1_b32 s0, s3, exec_lo
	s_wait_loadcnt 0x0
	v_cmp_ne_u16_e32 vcc_lo, 0, v1
	s_and_b32 s3, vcc_lo, exec_lo
	s_delay_alu instid0(SALU_CYCLE_1)
	s_or_b32 s3, s0, s3
.LBB223_1522:
	s_mov_b32 s6, -1
.LBB223_1523:
	s_delay_alu instid0(SALU_CYCLE_1)
	s_and_not1_b32 vcc_lo, exec_lo, s6
	s_cbranch_vccnz .LBB223_1956
; %bb.1524:
	s_load_b96 s[12:14], s[16:17], 0x158
	v_mov_b32_e32 v7, 0
	s_mov_b32 s15, 0
	s_delay_alu instid0(VALU_DEP_1)
	v_add_nc_u64_e32 v[6:7], s[4:5], v[6:7]
	s_wait_kmcnt 0x0
	s_bitcmp1_b32 s13, 0
	s_cselect_b32 s6, -1, 0
	s_cmp_eq_u32 s12, 0
	s_cselect_b32 s7, -1, 0
	s_xor_b32 s0, s2, s6
	s_and_b32 s2, s14, 0xff
	s_xor_b32 s12, s7, s0
	s_cmp_lt_i32 s2, 11
	s_mov_b32 s0, -1
	s_cbranch_scc1 .LBB223_1603
; %bb.1525:
	s_and_b32 s13, 0xffff, s2
	s_mov_b32 s16, -1
	s_mov_b32 s14, 0
	s_cmp_gt_i32 s13, 25
	s_mov_b32 s0, 0
	s_cbranch_scc0 .LBB223_1558
; %bb.1526:
	s_cmp_gt_i32 s13, 28
	s_cbranch_scc0 .LBB223_1541
; %bb.1527:
	s_cmp_gt_i32 s13, 43
	;; [unrolled: 3-line block ×3, first 2 shown]
	s_cbranch_scc0 .LBB223_1531
; %bb.1529:
	s_mov_b32 s0, -1
	s_mov_b32 s16, 0
	s_cmp_eq_u32 s13, 46
	s_cbranch_scc0 .LBB223_1531
; %bb.1530:
	v_cndmask_b32_e64 v1, 0, 1.0, s12
	s_mov_b32 s0, 0
	s_mov_b32 s15, -1
	s_delay_alu instid0(VALU_DEP_1) | instskip(NEXT) | instid1(VALU_DEP_1)
	v_bfe_u32 v3, v1, 16, 1
	v_add3_u32 v1, v1, v3, 0x7fff
	s_delay_alu instid0(VALU_DEP_1)
	v_lshrrev_b32_e32 v1, 16, v1
	global_store_b32 v[6:7], v1, off
.LBB223_1531:
	s_and_b32 vcc_lo, exec_lo, s16
	s_cbranch_vccz .LBB223_1536
; %bb.1532:
	s_cmp_eq_u32 s13, 44
	s_mov_b32 s0, -1
	s_cbranch_scc0 .LBB223_1536
; %bb.1533:
	v_cndmask_b32_e64 v5, 0, 1.0, s12
	v_mov_b32_e32 v3, 0xff
	s_mov_b32 s15, exec_lo
	s_wait_xcnt 0x0
	s_delay_alu instid0(VALU_DEP_2) | instskip(NEXT) | instid1(VALU_DEP_1)
	v_lshrrev_b32_e32 v1, 23, v5
	v_cmpx_ne_u32_e32 0xff, v1
; %bb.1534:
	v_and_b32_e32 v3, 0x400000, v5
	v_and_or_b32 v5, 0x3fffff, v5, v1
	s_delay_alu instid0(VALU_DEP_2) | instskip(NEXT) | instid1(VALU_DEP_2)
	v_cmp_ne_u32_e32 vcc_lo, 0, v3
	v_cmp_ne_u32_e64 s0, 0, v5
	s_and_b32 s0, vcc_lo, s0
	s_delay_alu instid0(SALU_CYCLE_1) | instskip(NEXT) | instid1(VALU_DEP_1)
	v_cndmask_b32_e64 v3, 0, 1, s0
	v_add_nc_u32_e32 v3, v1, v3
; %bb.1535:
	s_or_b32 exec_lo, exec_lo, s15
	s_mov_b32 s0, 0
	s_mov_b32 s15, -1
	global_store_b8 v[6:7], v3, off
.LBB223_1536:
	s_mov_b32 s16, 0
.LBB223_1537:
	s_delay_alu instid0(SALU_CYCLE_1)
	s_and_b32 vcc_lo, exec_lo, s16
	s_cbranch_vccz .LBB223_1540
; %bb.1538:
	s_cmp_eq_u32 s13, 29
	s_mov_b32 s0, -1
	s_cbranch_scc0 .LBB223_1540
; %bb.1539:
	s_mov_b32 s0, 0
	v_cndmask_b32_e64 v8, 0, 1, s12
	v_mov_b32_e32 v9, s0
	s_mov_b32 s15, -1
	global_store_b64 v[6:7], v[8:9], off
.LBB223_1540:
	s_mov_b32 s16, 0
.LBB223_1541:
	s_delay_alu instid0(SALU_CYCLE_1)
	s_and_b32 vcc_lo, exec_lo, s16
	s_cbranch_vccz .LBB223_1557
; %bb.1542:
	s_cmp_lt_i32 s13, 27
	s_mov_b32 s15, -1
	s_cbranch_scc1 .LBB223_1548
; %bb.1543:
	s_cmp_gt_i32 s13, 27
	s_cbranch_scc0 .LBB223_1545
; %bb.1544:
	s_wait_xcnt 0x0
	v_cndmask_b32_e64 v1, 0, 1, s12
	s_mov_b32 s15, 0
	global_store_b32 v[6:7], v1, off
.LBB223_1545:
	s_and_not1_b32 vcc_lo, exec_lo, s15
	s_cbranch_vccnz .LBB223_1547
; %bb.1546:
	s_wait_xcnt 0x0
	v_cndmask_b32_e64 v1, 0, 1, s12
	global_store_b16 v[6:7], v1, off
.LBB223_1547:
	s_mov_b32 s15, 0
.LBB223_1548:
	s_delay_alu instid0(SALU_CYCLE_1)
	s_and_not1_b32 vcc_lo, exec_lo, s15
	s_cbranch_vccnz .LBB223_1556
; %bb.1549:
	s_wait_xcnt 0x0
	v_cndmask_b32_e64 v3, 0, 1.0, s12
	v_mov_b32_e32 v5, 0x80
	s_mov_b32 s15, exec_lo
	s_delay_alu instid0(VALU_DEP_2)
	v_cmpx_gt_u32_e32 0x43800000, v3
	s_cbranch_execz .LBB223_1555
; %bb.1550:
	s_mov_b32 s16, 0
	s_mov_b32 s17, exec_lo
                                        ; implicit-def: $vgpr1
	v_cmpx_lt_u32_e32 0x3bffffff, v3
	s_xor_b32 s17, exec_lo, s17
	s_cbranch_execz .LBB223_2003
; %bb.1551:
	v_bfe_u32 v1, v3, 20, 1
	s_mov_b32 s16, exec_lo
	s_delay_alu instid0(VALU_DEP_1) | instskip(NEXT) | instid1(VALU_DEP_1)
	v_add3_u32 v1, v3, v1, 0x487ffff
                                        ; implicit-def: $vgpr3
	v_lshrrev_b32_e32 v1, 20, v1
	s_and_not1_saveexec_b32 s17, s17
	s_cbranch_execnz .LBB223_2004
.LBB223_1552:
	s_or_b32 exec_lo, exec_lo, s17
	v_mov_b32_e32 v5, 0
	s_and_saveexec_b32 s17, s16
.LBB223_1553:
	v_mov_b32_e32 v5, v1
.LBB223_1554:
	s_or_b32 exec_lo, exec_lo, s17
.LBB223_1555:
	s_delay_alu instid0(SALU_CYCLE_1)
	s_or_b32 exec_lo, exec_lo, s15
	global_store_b8 v[6:7], v5, off
.LBB223_1556:
	s_mov_b32 s15, -1
.LBB223_1557:
	s_mov_b32 s16, 0
.LBB223_1558:
	s_delay_alu instid0(SALU_CYCLE_1)
	s_and_b32 vcc_lo, exec_lo, s16
	s_cbranch_vccz .LBB223_1598
; %bb.1559:
	s_cmp_gt_i32 s13, 22
	s_mov_b32 s14, -1
	s_cbranch_scc0 .LBB223_1591
; %bb.1560:
	s_cmp_lt_i32 s13, 24
	s_cbranch_scc1 .LBB223_1580
; %bb.1561:
	s_cmp_gt_i32 s13, 24
	s_cbranch_scc0 .LBB223_1569
; %bb.1562:
	s_wait_xcnt 0x0
	v_cndmask_b32_e64 v3, 0, 1.0, s12
	v_mov_b32_e32 v5, 0x80
	s_mov_b32 s14, exec_lo
	s_delay_alu instid0(VALU_DEP_2)
	v_cmpx_gt_u32_e32 0x47800000, v3
	s_cbranch_execz .LBB223_1568
; %bb.1563:
	s_mov_b32 s15, 0
	s_mov_b32 s16, exec_lo
                                        ; implicit-def: $vgpr1
	v_cmpx_lt_u32_e32 0x37ffffff, v3
	s_xor_b32 s16, exec_lo, s16
	s_cbranch_execz .LBB223_2006
; %bb.1564:
	v_bfe_u32 v1, v3, 21, 1
	s_mov_b32 s15, exec_lo
	s_delay_alu instid0(VALU_DEP_1) | instskip(NEXT) | instid1(VALU_DEP_1)
	v_add3_u32 v1, v3, v1, 0x88fffff
                                        ; implicit-def: $vgpr3
	v_lshrrev_b32_e32 v1, 21, v1
	s_and_not1_saveexec_b32 s16, s16
	s_cbranch_execnz .LBB223_2007
.LBB223_1565:
	s_or_b32 exec_lo, exec_lo, s16
	v_mov_b32_e32 v5, 0
	s_and_saveexec_b32 s16, s15
.LBB223_1566:
	v_mov_b32_e32 v5, v1
.LBB223_1567:
	s_or_b32 exec_lo, exec_lo, s16
.LBB223_1568:
	s_delay_alu instid0(SALU_CYCLE_1)
	s_or_b32 exec_lo, exec_lo, s14
	s_mov_b32 s14, 0
	global_store_b8 v[6:7], v5, off
.LBB223_1569:
	s_and_b32 vcc_lo, exec_lo, s14
	s_cbranch_vccz .LBB223_1579
; %bb.1570:
	s_wait_xcnt 0x0
	v_cndmask_b32_e64 v3, 0, 1.0, s12
	s_mov_b32 s14, exec_lo
                                        ; implicit-def: $vgpr1
	s_delay_alu instid0(VALU_DEP_1)
	v_cmpx_gt_u32_e32 0x43f00000, v3
	s_xor_b32 s14, exec_lo, s14
	s_cbranch_execz .LBB223_1576
; %bb.1571:
	s_mov_b32 s15, exec_lo
                                        ; implicit-def: $vgpr1
	v_cmpx_lt_u32_e32 0x3c7fffff, v3
	s_xor_b32 s15, exec_lo, s15
; %bb.1572:
	v_bfe_u32 v1, v3, 20, 1
	s_delay_alu instid0(VALU_DEP_1) | instskip(NEXT) | instid1(VALU_DEP_1)
	v_add3_u32 v1, v3, v1, 0x407ffff
	v_and_b32_e32 v3, 0xff00000, v1
	v_lshrrev_b32_e32 v1, 20, v1
	s_delay_alu instid0(VALU_DEP_2) | instskip(NEXT) | instid1(VALU_DEP_2)
	v_cmp_ne_u32_e32 vcc_lo, 0x7f00000, v3
                                        ; implicit-def: $vgpr3
	v_cndmask_b32_e32 v1, 0x7e, v1, vcc_lo
; %bb.1573:
	s_and_not1_saveexec_b32 s15, s15
; %bb.1574:
	v_add_f32_e32 v1, 0x46800000, v3
; %bb.1575:
	s_or_b32 exec_lo, exec_lo, s15
                                        ; implicit-def: $vgpr3
.LBB223_1576:
	s_and_not1_saveexec_b32 s14, s14
; %bb.1577:
	v_mov_b32_e32 v1, 0x7f
	v_cmp_lt_u32_e32 vcc_lo, 0x7f800000, v3
	s_delay_alu instid0(VALU_DEP_2)
	v_cndmask_b32_e32 v1, 0x7e, v1, vcc_lo
; %bb.1578:
	s_or_b32 exec_lo, exec_lo, s14
	global_store_b8 v[6:7], v1, off
.LBB223_1579:
	s_mov_b32 s14, 0
.LBB223_1580:
	s_delay_alu instid0(SALU_CYCLE_1)
	s_and_not1_b32 vcc_lo, exec_lo, s14
	s_cbranch_vccnz .LBB223_1590
; %bb.1581:
	s_wait_xcnt 0x0
	v_cndmask_b32_e64 v3, 0, 1.0, s12
	s_mov_b32 s14, exec_lo
                                        ; implicit-def: $vgpr1
	s_delay_alu instid0(VALU_DEP_1)
	v_cmpx_gt_u32_e32 0x47800000, v3
	s_xor_b32 s14, exec_lo, s14
	s_cbranch_execz .LBB223_1587
; %bb.1582:
	s_mov_b32 s15, exec_lo
                                        ; implicit-def: $vgpr1
	v_cmpx_lt_u32_e32 0x387fffff, v3
	s_xor_b32 s15, exec_lo, s15
; %bb.1583:
	v_bfe_u32 v1, v3, 21, 1
	s_delay_alu instid0(VALU_DEP_1) | instskip(NEXT) | instid1(VALU_DEP_1)
	v_add3_u32 v1, v3, v1, 0x80fffff
                                        ; implicit-def: $vgpr3
	v_lshrrev_b32_e32 v1, 21, v1
; %bb.1584:
	s_and_not1_saveexec_b32 s15, s15
; %bb.1585:
	v_add_f32_e32 v1, 0x43000000, v3
; %bb.1586:
	s_or_b32 exec_lo, exec_lo, s15
                                        ; implicit-def: $vgpr3
.LBB223_1587:
	s_and_not1_saveexec_b32 s14, s14
; %bb.1588:
	v_mov_b32_e32 v1, 0x7f
	v_cmp_lt_u32_e32 vcc_lo, 0x7f800000, v3
	s_delay_alu instid0(VALU_DEP_2)
	v_cndmask_b32_e32 v1, 0x7c, v1, vcc_lo
; %bb.1589:
	s_or_b32 exec_lo, exec_lo, s14
	global_store_b8 v[6:7], v1, off
.LBB223_1590:
	s_mov_b32 s14, 0
	s_mov_b32 s15, -1
.LBB223_1591:
	s_and_not1_b32 vcc_lo, exec_lo, s14
	s_mov_b32 s14, 0
	s_cbranch_vccnz .LBB223_1598
; %bb.1592:
	s_cmp_gt_i32 s13, 14
	s_mov_b32 s14, -1
	s_cbranch_scc0 .LBB223_1596
; %bb.1593:
	s_cmp_eq_u32 s13, 15
	s_mov_b32 s0, -1
	s_cbranch_scc0 .LBB223_1595
; %bb.1594:
	s_wait_xcnt 0x0
	v_cndmask_b32_e64 v1, 0, 1.0, s12
	s_mov_b32 s0, 0
	s_mov_b32 s15, -1
	s_delay_alu instid0(VALU_DEP_1) | instskip(NEXT) | instid1(VALU_DEP_1)
	v_bfe_u32 v3, v1, 16, 1
	v_add3_u32 v1, v1, v3, 0x7fff
	global_store_d16_hi_b16 v[6:7], v1, off
.LBB223_1595:
	s_mov_b32 s14, 0
.LBB223_1596:
	s_delay_alu instid0(SALU_CYCLE_1)
	s_and_b32 vcc_lo, exec_lo, s14
	s_mov_b32 s14, 0
	s_cbranch_vccz .LBB223_1598
; %bb.1597:
	s_cmp_lg_u32 s13, 11
	s_mov_b32 s14, -1
	s_cselect_b32 s0, -1, 0
.LBB223_1598:
	s_delay_alu instid0(SALU_CYCLE_1)
	s_and_b32 vcc_lo, exec_lo, s0
	s_cbranch_vccnz .LBB223_2005
; %bb.1599:
	s_and_not1_b32 vcc_lo, exec_lo, s14
	s_cbranch_vccnz .LBB223_1601
.LBB223_1600:
	s_wait_xcnt 0x0
	v_cndmask_b32_e64 v1, 0, 1, s12
	s_mov_b32 s15, -1
	global_store_b8 v[6:7], v1, off
.LBB223_1601:
.LBB223_1602:
	s_and_not1_b32 vcc_lo, exec_lo, s15
	s_cbranch_vccnz .LBB223_1956
	s_branch .LBB223_1642
.LBB223_1603:
	s_and_b32 vcc_lo, exec_lo, s0
	s_cbranch_vccz .LBB223_1602
; %bb.1604:
	s_and_b32 s0, 0xffff, s2
	s_mov_b32 s13, -1
	s_cmp_lt_i32 s0, 5
	s_cbranch_scc1 .LBB223_1625
; %bb.1605:
	s_cmp_lt_i32 s0, 8
	s_cbranch_scc1 .LBB223_1615
; %bb.1606:
	;; [unrolled: 3-line block ×3, first 2 shown]
	s_cmp_gt_i32 s0, 9
	s_cbranch_scc0 .LBB223_1609
; %bb.1608:
	s_wait_xcnt 0x0
	v_cndmask_b32_e64 v1, 0, 1, s12
	v_mov_b32_e32 v10, 0
	s_mov_b32 s13, 0
	s_delay_alu instid0(VALU_DEP_2) | instskip(NEXT) | instid1(VALU_DEP_2)
	v_cvt_f64_u32_e32 v[8:9], v1
	v_mov_b32_e32 v11, v10
	global_store_b128 v[6:7], v[8:11], off
.LBB223_1609:
	s_and_not1_b32 vcc_lo, exec_lo, s13
	s_cbranch_vccnz .LBB223_1611
; %bb.1610:
	s_wait_xcnt 0x0
	v_cndmask_b32_e64 v8, 0, 1.0, s12
	v_mov_b32_e32 v9, 0
	global_store_b64 v[6:7], v[8:9], off
.LBB223_1611:
	s_mov_b32 s13, 0
.LBB223_1612:
	s_delay_alu instid0(SALU_CYCLE_1)
	s_and_not1_b32 vcc_lo, exec_lo, s13
	s_cbranch_vccnz .LBB223_1614
; %bb.1613:
	s_wait_xcnt 0x0
	v_cndmask_b32_e64 v1, 0, 1.0, s12
	s_delay_alu instid0(VALU_DEP_1) | instskip(NEXT) | instid1(VALU_DEP_1)
	v_cvt_f16_f32_e32 v1, v1
	v_and_b32_e32 v1, 0xffff, v1
	global_store_b32 v[6:7], v1, off
.LBB223_1614:
	s_mov_b32 s13, 0
.LBB223_1615:
	s_delay_alu instid0(SALU_CYCLE_1)
	s_and_not1_b32 vcc_lo, exec_lo, s13
	s_cbranch_vccnz .LBB223_1624
; %bb.1616:
	s_cmp_lt_i32 s0, 6
	s_mov_b32 s13, -1
	s_cbranch_scc1 .LBB223_1622
; %bb.1617:
	s_cmp_gt_i32 s0, 6
	s_cbranch_scc0 .LBB223_1619
; %bb.1618:
	s_wait_xcnt 0x0
	v_cndmask_b32_e64 v1, 0, 1, s12
	s_mov_b32 s13, 0
	s_delay_alu instid0(VALU_DEP_1)
	v_cvt_f64_u32_e32 v[8:9], v1
	global_store_b64 v[6:7], v[8:9], off
.LBB223_1619:
	s_and_not1_b32 vcc_lo, exec_lo, s13
	s_cbranch_vccnz .LBB223_1621
; %bb.1620:
	s_wait_xcnt 0x0
	v_cndmask_b32_e64 v1, 0, 1.0, s12
	global_store_b32 v[6:7], v1, off
.LBB223_1621:
	s_mov_b32 s13, 0
.LBB223_1622:
	s_delay_alu instid0(SALU_CYCLE_1)
	s_and_not1_b32 vcc_lo, exec_lo, s13
	s_cbranch_vccnz .LBB223_1624
; %bb.1623:
	s_wait_xcnt 0x0
	v_cndmask_b32_e64 v1, 0, 1.0, s12
	s_delay_alu instid0(VALU_DEP_1)
	v_cvt_f16_f32_e32 v1, v1
	global_store_b16 v[6:7], v1, off
.LBB223_1624:
	s_mov_b32 s13, 0
.LBB223_1625:
	s_delay_alu instid0(SALU_CYCLE_1)
	s_and_not1_b32 vcc_lo, exec_lo, s13
	s_cbranch_vccnz .LBB223_1641
; %bb.1626:
	s_cmp_lt_i32 s0, 2
	s_mov_b32 s13, -1
	s_cbranch_scc1 .LBB223_1636
; %bb.1627:
	s_cmp_lt_i32 s0, 3
	s_cbranch_scc1 .LBB223_1633
; %bb.1628:
	s_cmp_gt_i32 s0, 3
	s_cbranch_scc0 .LBB223_1630
; %bb.1629:
	s_mov_b32 s13, 0
	s_wait_xcnt 0x0
	v_cndmask_b32_e64 v8, 0, 1, s12
	v_mov_b32_e32 v9, s13
	global_store_b64 v[6:7], v[8:9], off
.LBB223_1630:
	s_and_not1_b32 vcc_lo, exec_lo, s13
	s_cbranch_vccnz .LBB223_1632
; %bb.1631:
	s_wait_xcnt 0x0
	v_cndmask_b32_e64 v1, 0, 1, s12
	global_store_b32 v[6:7], v1, off
.LBB223_1632:
	s_mov_b32 s13, 0
.LBB223_1633:
	s_delay_alu instid0(SALU_CYCLE_1)
	s_and_not1_b32 vcc_lo, exec_lo, s13
	s_cbranch_vccnz .LBB223_1635
; %bb.1634:
	s_wait_xcnt 0x0
	v_cndmask_b32_e64 v1, 0, 1, s12
	global_store_b16 v[6:7], v1, off
.LBB223_1635:
	s_mov_b32 s13, 0
.LBB223_1636:
	s_delay_alu instid0(SALU_CYCLE_1)
	s_and_not1_b32 vcc_lo, exec_lo, s13
	s_cbranch_vccnz .LBB223_1641
; %bb.1637:
	s_wait_xcnt 0x0
	v_cndmask_b32_e64 v1, 0, 1, s12
	s_cmp_gt_i32 s0, 0
	s_mov_b32 s0, -1
	s_cbranch_scc0 .LBB223_1639
; %bb.1638:
	s_mov_b32 s0, 0
	global_store_b8 v[6:7], v1, off
.LBB223_1639:
	s_and_not1_b32 vcc_lo, exec_lo, s0
	s_cbranch_vccnz .LBB223_1641
; %bb.1640:
	global_store_b8 v[6:7], v1, off
.LBB223_1641:
.LBB223_1642:
	s_wait_xcnt 0x0
	v_mov_b32_e32 v5, 0
	s_xor_b32 s0, s11, s6
	s_and_b32 s11, 0xffff, s2
	s_xor_b32 s12, s7, s0
	s_cmp_lt_i32 s11, 11
	v_add_nc_u64_e32 v[4:5], s[4:5], v[4:5]
	s_cbranch_scc1 .LBB223_1720
; %bb.1643:
	s_mov_b32 s15, -1
	s_mov_b32 s13, 0
	s_cmp_gt_i32 s11, 25
	s_mov_b32 s14, 0
	s_mov_b32 s0, 0
	s_cbranch_scc0 .LBB223_1676
; %bb.1644:
	s_cmp_gt_i32 s11, 28
	s_cbranch_scc0 .LBB223_1659
; %bb.1645:
	s_cmp_gt_i32 s11, 43
	;; [unrolled: 3-line block ×3, first 2 shown]
	s_cbranch_scc0 .LBB223_1649
; %bb.1647:
	s_mov_b32 s0, -1
	s_mov_b32 s15, 0
	s_cmp_eq_u32 s11, 46
	s_cbranch_scc0 .LBB223_1649
; %bb.1648:
	v_cndmask_b32_e64 v1, 0, 1.0, s12
	s_mov_b32 s0, 0
	s_mov_b32 s14, -1
	s_delay_alu instid0(VALU_DEP_1) | instskip(NEXT) | instid1(VALU_DEP_1)
	v_bfe_u32 v3, v1, 16, 1
	v_add3_u32 v1, v1, v3, 0x7fff
	s_delay_alu instid0(VALU_DEP_1)
	v_lshrrev_b32_e32 v1, 16, v1
	global_store_b32 v[4:5], v1, off
.LBB223_1649:
	s_and_b32 vcc_lo, exec_lo, s15
	s_cbranch_vccz .LBB223_1654
; %bb.1650:
	s_cmp_eq_u32 s11, 44
	s_mov_b32 s0, -1
	s_cbranch_scc0 .LBB223_1654
; %bb.1651:
	v_cndmask_b32_e64 v6, 0, 1.0, s12
	v_mov_b32_e32 v3, 0xff
	s_mov_b32 s14, exec_lo
	s_wait_xcnt 0x0
	s_delay_alu instid0(VALU_DEP_2) | instskip(NEXT) | instid1(VALU_DEP_1)
	v_lshrrev_b32_e32 v1, 23, v6
	v_cmpx_ne_u32_e32 0xff, v1
; %bb.1652:
	v_and_b32_e32 v3, 0x400000, v6
	v_and_or_b32 v6, 0x3fffff, v6, v1
	s_delay_alu instid0(VALU_DEP_2) | instskip(NEXT) | instid1(VALU_DEP_2)
	v_cmp_ne_u32_e32 vcc_lo, 0, v3
	v_cmp_ne_u32_e64 s0, 0, v6
	s_and_b32 s0, vcc_lo, s0
	s_delay_alu instid0(SALU_CYCLE_1) | instskip(NEXT) | instid1(VALU_DEP_1)
	v_cndmask_b32_e64 v3, 0, 1, s0
	v_add_nc_u32_e32 v3, v1, v3
; %bb.1653:
	s_or_b32 exec_lo, exec_lo, s14
	s_mov_b32 s0, 0
	s_mov_b32 s14, -1
	global_store_b8 v[4:5], v3, off
.LBB223_1654:
	s_mov_b32 s15, 0
.LBB223_1655:
	s_delay_alu instid0(SALU_CYCLE_1)
	s_and_b32 vcc_lo, exec_lo, s15
	s_cbranch_vccz .LBB223_1658
; %bb.1656:
	s_cmp_eq_u32 s11, 29
	s_mov_b32 s0, -1
	s_cbranch_scc0 .LBB223_1658
; %bb.1657:
	s_mov_b32 s0, 0
	v_cndmask_b32_e64 v6, 0, 1, s12
	v_mov_b32_e32 v7, s0
	s_mov_b32 s14, -1
	global_store_b64 v[4:5], v[6:7], off
.LBB223_1658:
	s_mov_b32 s15, 0
.LBB223_1659:
	s_delay_alu instid0(SALU_CYCLE_1)
	s_and_b32 vcc_lo, exec_lo, s15
	s_cbranch_vccz .LBB223_1675
; %bb.1660:
	s_cmp_lt_i32 s11, 27
	s_mov_b32 s14, -1
	s_cbranch_scc1 .LBB223_1666
; %bb.1661:
	s_cmp_gt_i32 s11, 27
	s_cbranch_scc0 .LBB223_1663
; %bb.1662:
	s_wait_xcnt 0x0
	v_cndmask_b32_e64 v1, 0, 1, s12
	s_mov_b32 s14, 0
	global_store_b32 v[4:5], v1, off
.LBB223_1663:
	s_and_not1_b32 vcc_lo, exec_lo, s14
	s_cbranch_vccnz .LBB223_1665
; %bb.1664:
	s_wait_xcnt 0x0
	v_cndmask_b32_e64 v1, 0, 1, s12
	global_store_b16 v[4:5], v1, off
.LBB223_1665:
	s_mov_b32 s14, 0
.LBB223_1666:
	s_delay_alu instid0(SALU_CYCLE_1)
	s_and_not1_b32 vcc_lo, exec_lo, s14
	s_cbranch_vccnz .LBB223_1674
; %bb.1667:
	s_wait_xcnt 0x0
	v_cndmask_b32_e64 v3, 0, 1.0, s12
	v_mov_b32_e32 v6, 0x80
	s_mov_b32 s14, exec_lo
	s_delay_alu instid0(VALU_DEP_2)
	v_cmpx_gt_u32_e32 0x43800000, v3
	s_cbranch_execz .LBB223_1673
; %bb.1668:
	s_mov_b32 s15, 0
	s_mov_b32 s16, exec_lo
                                        ; implicit-def: $vgpr1
	v_cmpx_lt_u32_e32 0x3bffffff, v3
	s_xor_b32 s16, exec_lo, s16
	s_cbranch_execz .LBB223_2008
; %bb.1669:
	v_bfe_u32 v1, v3, 20, 1
	s_mov_b32 s15, exec_lo
	s_delay_alu instid0(VALU_DEP_1) | instskip(NEXT) | instid1(VALU_DEP_1)
	v_add3_u32 v1, v3, v1, 0x487ffff
                                        ; implicit-def: $vgpr3
	v_lshrrev_b32_e32 v1, 20, v1
	s_and_not1_saveexec_b32 s16, s16
	s_cbranch_execnz .LBB223_2009
.LBB223_1670:
	s_or_b32 exec_lo, exec_lo, s16
	v_mov_b32_e32 v6, 0
	s_and_saveexec_b32 s16, s15
.LBB223_1671:
	v_mov_b32_e32 v6, v1
.LBB223_1672:
	s_or_b32 exec_lo, exec_lo, s16
.LBB223_1673:
	s_delay_alu instid0(SALU_CYCLE_1)
	s_or_b32 exec_lo, exec_lo, s14
	global_store_b8 v[4:5], v6, off
.LBB223_1674:
	s_mov_b32 s14, -1
.LBB223_1675:
	s_mov_b32 s15, 0
.LBB223_1676:
	s_delay_alu instid0(SALU_CYCLE_1)
	s_and_b32 vcc_lo, exec_lo, s15
	s_cbranch_vccz .LBB223_1716
; %bb.1677:
	s_cmp_gt_i32 s11, 22
	s_mov_b32 s13, -1
	s_cbranch_scc0 .LBB223_1709
; %bb.1678:
	s_cmp_lt_i32 s11, 24
	s_cbranch_scc1 .LBB223_1698
; %bb.1679:
	s_cmp_gt_i32 s11, 24
	s_cbranch_scc0 .LBB223_1687
; %bb.1680:
	s_wait_xcnt 0x0
	v_cndmask_b32_e64 v3, 0, 1.0, s12
	v_mov_b32_e32 v6, 0x80
	s_mov_b32 s13, exec_lo
	s_delay_alu instid0(VALU_DEP_2)
	v_cmpx_gt_u32_e32 0x47800000, v3
	s_cbranch_execz .LBB223_1686
; %bb.1681:
	s_mov_b32 s14, 0
	s_mov_b32 s15, exec_lo
                                        ; implicit-def: $vgpr1
	v_cmpx_lt_u32_e32 0x37ffffff, v3
	s_xor_b32 s15, exec_lo, s15
	s_cbranch_execz .LBB223_2011
; %bb.1682:
	v_bfe_u32 v1, v3, 21, 1
	s_mov_b32 s14, exec_lo
	s_delay_alu instid0(VALU_DEP_1) | instskip(NEXT) | instid1(VALU_DEP_1)
	v_add3_u32 v1, v3, v1, 0x88fffff
                                        ; implicit-def: $vgpr3
	v_lshrrev_b32_e32 v1, 21, v1
	s_and_not1_saveexec_b32 s15, s15
	s_cbranch_execnz .LBB223_2012
.LBB223_1683:
	s_or_b32 exec_lo, exec_lo, s15
	v_mov_b32_e32 v6, 0
	s_and_saveexec_b32 s15, s14
.LBB223_1684:
	v_mov_b32_e32 v6, v1
.LBB223_1685:
	s_or_b32 exec_lo, exec_lo, s15
.LBB223_1686:
	s_delay_alu instid0(SALU_CYCLE_1)
	s_or_b32 exec_lo, exec_lo, s13
	s_mov_b32 s13, 0
	global_store_b8 v[4:5], v6, off
.LBB223_1687:
	s_and_b32 vcc_lo, exec_lo, s13
	s_cbranch_vccz .LBB223_1697
; %bb.1688:
	s_wait_xcnt 0x0
	v_cndmask_b32_e64 v3, 0, 1.0, s12
	s_mov_b32 s13, exec_lo
                                        ; implicit-def: $vgpr1
	s_delay_alu instid0(VALU_DEP_1)
	v_cmpx_gt_u32_e32 0x43f00000, v3
	s_xor_b32 s13, exec_lo, s13
	s_cbranch_execz .LBB223_1694
; %bb.1689:
	s_mov_b32 s14, exec_lo
                                        ; implicit-def: $vgpr1
	v_cmpx_lt_u32_e32 0x3c7fffff, v3
	s_xor_b32 s14, exec_lo, s14
; %bb.1690:
	v_bfe_u32 v1, v3, 20, 1
	s_delay_alu instid0(VALU_DEP_1) | instskip(NEXT) | instid1(VALU_DEP_1)
	v_add3_u32 v1, v3, v1, 0x407ffff
	v_and_b32_e32 v3, 0xff00000, v1
	v_lshrrev_b32_e32 v1, 20, v1
	s_delay_alu instid0(VALU_DEP_2) | instskip(NEXT) | instid1(VALU_DEP_2)
	v_cmp_ne_u32_e32 vcc_lo, 0x7f00000, v3
                                        ; implicit-def: $vgpr3
	v_cndmask_b32_e32 v1, 0x7e, v1, vcc_lo
; %bb.1691:
	s_and_not1_saveexec_b32 s14, s14
; %bb.1692:
	v_add_f32_e32 v1, 0x46800000, v3
; %bb.1693:
	s_or_b32 exec_lo, exec_lo, s14
                                        ; implicit-def: $vgpr3
.LBB223_1694:
	s_and_not1_saveexec_b32 s13, s13
; %bb.1695:
	v_mov_b32_e32 v1, 0x7f
	v_cmp_lt_u32_e32 vcc_lo, 0x7f800000, v3
	s_delay_alu instid0(VALU_DEP_2)
	v_cndmask_b32_e32 v1, 0x7e, v1, vcc_lo
; %bb.1696:
	s_or_b32 exec_lo, exec_lo, s13
	global_store_b8 v[4:5], v1, off
.LBB223_1697:
	s_mov_b32 s13, 0
.LBB223_1698:
	s_delay_alu instid0(SALU_CYCLE_1)
	s_and_not1_b32 vcc_lo, exec_lo, s13
	s_cbranch_vccnz .LBB223_1708
; %bb.1699:
	s_wait_xcnt 0x0
	v_cndmask_b32_e64 v3, 0, 1.0, s12
	s_mov_b32 s13, exec_lo
                                        ; implicit-def: $vgpr1
	s_delay_alu instid0(VALU_DEP_1)
	v_cmpx_gt_u32_e32 0x47800000, v3
	s_xor_b32 s13, exec_lo, s13
	s_cbranch_execz .LBB223_1705
; %bb.1700:
	s_mov_b32 s14, exec_lo
                                        ; implicit-def: $vgpr1
	v_cmpx_lt_u32_e32 0x387fffff, v3
	s_xor_b32 s14, exec_lo, s14
; %bb.1701:
	v_bfe_u32 v1, v3, 21, 1
	s_delay_alu instid0(VALU_DEP_1) | instskip(NEXT) | instid1(VALU_DEP_1)
	v_add3_u32 v1, v3, v1, 0x80fffff
                                        ; implicit-def: $vgpr3
	v_lshrrev_b32_e32 v1, 21, v1
; %bb.1702:
	s_and_not1_saveexec_b32 s14, s14
; %bb.1703:
	v_add_f32_e32 v1, 0x43000000, v3
; %bb.1704:
	s_or_b32 exec_lo, exec_lo, s14
                                        ; implicit-def: $vgpr3
.LBB223_1705:
	s_and_not1_saveexec_b32 s13, s13
; %bb.1706:
	v_mov_b32_e32 v1, 0x7f
	v_cmp_lt_u32_e32 vcc_lo, 0x7f800000, v3
	s_delay_alu instid0(VALU_DEP_2)
	v_cndmask_b32_e32 v1, 0x7c, v1, vcc_lo
; %bb.1707:
	s_or_b32 exec_lo, exec_lo, s13
	global_store_b8 v[4:5], v1, off
.LBB223_1708:
	s_mov_b32 s13, 0
	s_mov_b32 s14, -1
.LBB223_1709:
	s_and_not1_b32 vcc_lo, exec_lo, s13
	s_mov_b32 s13, 0
	s_cbranch_vccnz .LBB223_1716
; %bb.1710:
	s_cmp_gt_i32 s11, 14
	s_mov_b32 s13, -1
	s_cbranch_scc0 .LBB223_1714
; %bb.1711:
	s_cmp_eq_u32 s11, 15
	s_mov_b32 s0, -1
	s_cbranch_scc0 .LBB223_1713
; %bb.1712:
	s_wait_xcnt 0x0
	v_cndmask_b32_e64 v1, 0, 1.0, s12
	s_mov_b32 s0, 0
	s_mov_b32 s14, -1
	s_delay_alu instid0(VALU_DEP_1) | instskip(NEXT) | instid1(VALU_DEP_1)
	v_bfe_u32 v3, v1, 16, 1
	v_add3_u32 v1, v1, v3, 0x7fff
	global_store_d16_hi_b16 v[4:5], v1, off
.LBB223_1713:
	s_mov_b32 s13, 0
.LBB223_1714:
	s_delay_alu instid0(SALU_CYCLE_1)
	s_and_b32 vcc_lo, exec_lo, s13
	s_mov_b32 s13, 0
	s_cbranch_vccz .LBB223_1716
; %bb.1715:
	s_cmp_lg_u32 s11, 11
	s_mov_b32 s13, -1
	s_cselect_b32 s0, -1, 0
.LBB223_1716:
	s_delay_alu instid0(SALU_CYCLE_1)
	s_and_b32 vcc_lo, exec_lo, s0
	s_cbranch_vccnz .LBB223_2010
; %bb.1717:
	s_and_not1_b32 vcc_lo, exec_lo, s13
	s_cbranch_vccnz .LBB223_1719
.LBB223_1718:
	s_wait_xcnt 0x0
	v_cndmask_b32_e64 v1, 0, 1, s12
	s_mov_b32 s14, -1
	global_store_b8 v[4:5], v1, off
.LBB223_1719:
	s_mov_b32 s0, 0
	s_branch .LBB223_1721
.LBB223_1720:
	s_mov_b32 s0, -1
	s_mov_b32 s14, 0
.LBB223_1721:
	s_and_b32 vcc_lo, exec_lo, s0
	s_cbranch_vccz .LBB223_1760
; %bb.1722:
	s_cmp_lt_i32 s11, 5
	s_mov_b32 s0, -1
	s_cbranch_scc1 .LBB223_1743
; %bb.1723:
	s_cmp_lt_i32 s11, 8
	s_cbranch_scc1 .LBB223_1733
; %bb.1724:
	s_cmp_lt_i32 s11, 9
	s_cbranch_scc1 .LBB223_1730
; %bb.1725:
	s_cmp_gt_i32 s11, 9
	s_cbranch_scc0 .LBB223_1727
; %bb.1726:
	s_wait_xcnt 0x0
	v_cndmask_b32_e64 v1, 0, 1, s12
	v_mov_b32_e32 v8, 0
	s_mov_b32 s0, 0
	s_delay_alu instid0(VALU_DEP_2) | instskip(NEXT) | instid1(VALU_DEP_2)
	v_cvt_f64_u32_e32 v[6:7], v1
	v_mov_b32_e32 v9, v8
	global_store_b128 v[4:5], v[6:9], off
.LBB223_1727:
	s_and_not1_b32 vcc_lo, exec_lo, s0
	s_cbranch_vccnz .LBB223_1729
; %bb.1728:
	s_wait_xcnt 0x0
	v_cndmask_b32_e64 v6, 0, 1.0, s12
	v_mov_b32_e32 v7, 0
	global_store_b64 v[4:5], v[6:7], off
.LBB223_1729:
	s_mov_b32 s0, 0
.LBB223_1730:
	s_delay_alu instid0(SALU_CYCLE_1)
	s_and_not1_b32 vcc_lo, exec_lo, s0
	s_cbranch_vccnz .LBB223_1732
; %bb.1731:
	s_wait_xcnt 0x0
	v_cndmask_b32_e64 v1, 0, 1.0, s12
	s_delay_alu instid0(VALU_DEP_1) | instskip(NEXT) | instid1(VALU_DEP_1)
	v_cvt_f16_f32_e32 v1, v1
	v_and_b32_e32 v1, 0xffff, v1
	global_store_b32 v[4:5], v1, off
.LBB223_1732:
	s_mov_b32 s0, 0
.LBB223_1733:
	s_delay_alu instid0(SALU_CYCLE_1)
	s_and_not1_b32 vcc_lo, exec_lo, s0
	s_cbranch_vccnz .LBB223_1742
; %bb.1734:
	s_cmp_lt_i32 s11, 6
	s_mov_b32 s0, -1
	s_cbranch_scc1 .LBB223_1740
; %bb.1735:
	s_cmp_gt_i32 s11, 6
	s_cbranch_scc0 .LBB223_1737
; %bb.1736:
	s_wait_xcnt 0x0
	v_cndmask_b32_e64 v1, 0, 1, s12
	s_mov_b32 s0, 0
	s_delay_alu instid0(VALU_DEP_1)
	v_cvt_f64_u32_e32 v[6:7], v1
	global_store_b64 v[4:5], v[6:7], off
.LBB223_1737:
	s_and_not1_b32 vcc_lo, exec_lo, s0
	s_cbranch_vccnz .LBB223_1739
; %bb.1738:
	s_wait_xcnt 0x0
	v_cndmask_b32_e64 v1, 0, 1.0, s12
	global_store_b32 v[4:5], v1, off
.LBB223_1739:
	s_mov_b32 s0, 0
.LBB223_1740:
	s_delay_alu instid0(SALU_CYCLE_1)
	s_and_not1_b32 vcc_lo, exec_lo, s0
	s_cbranch_vccnz .LBB223_1742
; %bb.1741:
	s_wait_xcnt 0x0
	v_cndmask_b32_e64 v1, 0, 1.0, s12
	s_delay_alu instid0(VALU_DEP_1)
	v_cvt_f16_f32_e32 v1, v1
	global_store_b16 v[4:5], v1, off
.LBB223_1742:
	s_mov_b32 s0, 0
.LBB223_1743:
	s_delay_alu instid0(SALU_CYCLE_1)
	s_and_not1_b32 vcc_lo, exec_lo, s0
	s_cbranch_vccnz .LBB223_1759
; %bb.1744:
	s_cmp_lt_i32 s11, 2
	s_mov_b32 s0, -1
	s_cbranch_scc1 .LBB223_1754
; %bb.1745:
	s_cmp_lt_i32 s11, 3
	s_cbranch_scc1 .LBB223_1751
; %bb.1746:
	s_cmp_gt_i32 s11, 3
	s_cbranch_scc0 .LBB223_1748
; %bb.1747:
	s_mov_b32 s0, 0
	s_wait_xcnt 0x0
	v_cndmask_b32_e64 v6, 0, 1, s12
	v_mov_b32_e32 v7, s0
	global_store_b64 v[4:5], v[6:7], off
.LBB223_1748:
	s_and_not1_b32 vcc_lo, exec_lo, s0
	s_cbranch_vccnz .LBB223_1750
; %bb.1749:
	s_wait_xcnt 0x0
	v_cndmask_b32_e64 v1, 0, 1, s12
	global_store_b32 v[4:5], v1, off
.LBB223_1750:
	s_mov_b32 s0, 0
.LBB223_1751:
	s_delay_alu instid0(SALU_CYCLE_1)
	s_and_not1_b32 vcc_lo, exec_lo, s0
	s_cbranch_vccnz .LBB223_1753
; %bb.1752:
	s_wait_xcnt 0x0
	v_cndmask_b32_e64 v1, 0, 1, s12
	global_store_b16 v[4:5], v1, off
.LBB223_1753:
	s_mov_b32 s0, 0
.LBB223_1754:
	s_delay_alu instid0(SALU_CYCLE_1)
	s_and_not1_b32 vcc_lo, exec_lo, s0
	s_cbranch_vccnz .LBB223_1759
; %bb.1755:
	s_wait_xcnt 0x0
	v_cndmask_b32_e64 v1, 0, 1, s12
	s_cmp_gt_i32 s11, 0
	s_mov_b32 s0, -1
	s_cbranch_scc0 .LBB223_1757
; %bb.1756:
	s_mov_b32 s0, 0
	global_store_b8 v[4:5], v1, off
.LBB223_1757:
	s_and_not1_b32 vcc_lo, exec_lo, s0
	s_cbranch_vccnz .LBB223_1759
; %bb.1758:
	global_store_b8 v[4:5], v1, off
.LBB223_1759:
	s_mov_b32 s14, -1
.LBB223_1760:
	s_delay_alu instid0(SALU_CYCLE_1)
	s_and_not1_b32 vcc_lo, exec_lo, s14
	s_cbranch_vccnz .LBB223_1956
; %bb.1761:
	s_wait_xcnt 0x0
	v_mov_b32_e32 v3, 0
	s_xor_b32 s0, s10, s6
	s_delay_alu instid0(SALU_CYCLE_1) | instskip(SKIP_1) | instid1(VALU_DEP_1)
	s_xor_b32 s10, s7, s0
	s_cmp_lt_i32 s11, 11
	v_add_nc_u64_e32 v[2:3], s[4:5], v[2:3]
	s_cbranch_scc1 .LBB223_1839
; %bb.1762:
	s_mov_b32 s14, -1
	s_mov_b32 s12, 0
	s_cmp_gt_i32 s11, 25
	s_mov_b32 s13, 0
	s_mov_b32 s0, 0
	s_cbranch_scc0 .LBB223_1795
; %bb.1763:
	s_cmp_gt_i32 s11, 28
	s_cbranch_scc0 .LBB223_1778
; %bb.1764:
	s_cmp_gt_i32 s11, 43
	;; [unrolled: 3-line block ×3, first 2 shown]
	s_cbranch_scc0 .LBB223_1768
; %bb.1766:
	s_mov_b32 s0, -1
	s_mov_b32 s14, 0
	s_cmp_eq_u32 s11, 46
	s_cbranch_scc0 .LBB223_1768
; %bb.1767:
	v_cndmask_b32_e64 v1, 0, 1.0, s10
	s_mov_b32 s0, 0
	s_mov_b32 s13, -1
	s_delay_alu instid0(VALU_DEP_1) | instskip(NEXT) | instid1(VALU_DEP_1)
	v_bfe_u32 v4, v1, 16, 1
	v_add3_u32 v1, v1, v4, 0x7fff
	s_delay_alu instid0(VALU_DEP_1)
	v_lshrrev_b32_e32 v1, 16, v1
	global_store_b32 v[2:3], v1, off
.LBB223_1768:
	s_and_b32 vcc_lo, exec_lo, s14
	s_cbranch_vccz .LBB223_1773
; %bb.1769:
	s_cmp_eq_u32 s11, 44
	s_mov_b32 s0, -1
	s_cbranch_scc0 .LBB223_1773
; %bb.1770:
	v_cndmask_b32_e64 v5, 0, 1.0, s10
	s_mov_b32 s13, exec_lo
	s_wait_xcnt 0x0
	s_delay_alu instid0(VALU_DEP_1) | instskip(NEXT) | instid1(VALU_DEP_1)
	v_dual_mov_b32 v4, 0xff :: v_dual_lshrrev_b32 v1, 23, v5
	v_cmpx_ne_u32_e32 0xff, v1
; %bb.1771:
	v_and_b32_e32 v4, 0x400000, v5
	v_and_or_b32 v5, 0x3fffff, v5, v1
	s_delay_alu instid0(VALU_DEP_2) | instskip(NEXT) | instid1(VALU_DEP_2)
	v_cmp_ne_u32_e32 vcc_lo, 0, v4
	v_cmp_ne_u32_e64 s0, 0, v5
	s_and_b32 s0, vcc_lo, s0
	s_delay_alu instid0(SALU_CYCLE_1) | instskip(NEXT) | instid1(VALU_DEP_1)
	v_cndmask_b32_e64 v4, 0, 1, s0
	v_add_nc_u32_e32 v4, v1, v4
; %bb.1772:
	s_or_b32 exec_lo, exec_lo, s13
	s_mov_b32 s0, 0
	s_mov_b32 s13, -1
	global_store_b8 v[2:3], v4, off
.LBB223_1773:
	s_mov_b32 s14, 0
.LBB223_1774:
	s_delay_alu instid0(SALU_CYCLE_1)
	s_and_b32 vcc_lo, exec_lo, s14
	s_cbranch_vccz .LBB223_1777
; %bb.1775:
	s_cmp_eq_u32 s11, 29
	s_mov_b32 s0, -1
	s_cbranch_scc0 .LBB223_1777
; %bb.1776:
	s_mov_b32 s0, 0
	s_wait_xcnt 0x0
	v_cndmask_b32_e64 v4, 0, 1, s10
	v_mov_b32_e32 v5, s0
	s_mov_b32 s13, -1
	global_store_b64 v[2:3], v[4:5], off
.LBB223_1777:
	s_mov_b32 s14, 0
.LBB223_1778:
	s_delay_alu instid0(SALU_CYCLE_1)
	s_and_b32 vcc_lo, exec_lo, s14
	s_cbranch_vccz .LBB223_1794
; %bb.1779:
	s_cmp_lt_i32 s11, 27
	s_mov_b32 s13, -1
	s_cbranch_scc1 .LBB223_1785
; %bb.1780:
	s_cmp_gt_i32 s11, 27
	s_cbranch_scc0 .LBB223_1782
; %bb.1781:
	s_wait_xcnt 0x0
	v_cndmask_b32_e64 v1, 0, 1, s10
	s_mov_b32 s13, 0
	global_store_b32 v[2:3], v1, off
.LBB223_1782:
	s_and_not1_b32 vcc_lo, exec_lo, s13
	s_cbranch_vccnz .LBB223_1784
; %bb.1783:
	s_wait_xcnt 0x0
	v_cndmask_b32_e64 v1, 0, 1, s10
	global_store_b16 v[2:3], v1, off
.LBB223_1784:
	s_mov_b32 s13, 0
.LBB223_1785:
	s_delay_alu instid0(SALU_CYCLE_1)
	s_and_not1_b32 vcc_lo, exec_lo, s13
	s_cbranch_vccnz .LBB223_1793
; %bb.1786:
	s_wait_xcnt 0x0
	v_cndmask_b32_e64 v4, 0, 1.0, s10
	v_mov_b32_e32 v5, 0x80
	s_mov_b32 s13, exec_lo
	s_delay_alu instid0(VALU_DEP_2)
	v_cmpx_gt_u32_e32 0x43800000, v4
	s_cbranch_execz .LBB223_1792
; %bb.1787:
	s_mov_b32 s14, 0
	s_mov_b32 s15, exec_lo
                                        ; implicit-def: $vgpr1
	v_cmpx_lt_u32_e32 0x3bffffff, v4
	s_xor_b32 s15, exec_lo, s15
	s_cbranch_execz .LBB223_2013
; %bb.1788:
	v_bfe_u32 v1, v4, 20, 1
	s_mov_b32 s14, exec_lo
	s_delay_alu instid0(VALU_DEP_1) | instskip(NEXT) | instid1(VALU_DEP_1)
	v_add3_u32 v1, v4, v1, 0x487ffff
                                        ; implicit-def: $vgpr4
	v_lshrrev_b32_e32 v1, 20, v1
	s_and_not1_saveexec_b32 s15, s15
	s_cbranch_execnz .LBB223_2014
.LBB223_1789:
	s_or_b32 exec_lo, exec_lo, s15
	v_mov_b32_e32 v5, 0
	s_and_saveexec_b32 s15, s14
.LBB223_1790:
	v_mov_b32_e32 v5, v1
.LBB223_1791:
	s_or_b32 exec_lo, exec_lo, s15
.LBB223_1792:
	s_delay_alu instid0(SALU_CYCLE_1)
	s_or_b32 exec_lo, exec_lo, s13
	global_store_b8 v[2:3], v5, off
.LBB223_1793:
	s_mov_b32 s13, -1
.LBB223_1794:
	s_mov_b32 s14, 0
.LBB223_1795:
	s_delay_alu instid0(SALU_CYCLE_1)
	s_and_b32 vcc_lo, exec_lo, s14
	s_cbranch_vccz .LBB223_1835
; %bb.1796:
	s_cmp_gt_i32 s11, 22
	s_mov_b32 s12, -1
	s_cbranch_scc0 .LBB223_1828
; %bb.1797:
	s_cmp_lt_i32 s11, 24
	s_cbranch_scc1 .LBB223_1817
; %bb.1798:
	s_cmp_gt_i32 s11, 24
	s_cbranch_scc0 .LBB223_1806
; %bb.1799:
	s_wait_xcnt 0x0
	v_cndmask_b32_e64 v4, 0, 1.0, s10
	v_mov_b32_e32 v5, 0x80
	s_mov_b32 s12, exec_lo
	s_delay_alu instid0(VALU_DEP_2)
	v_cmpx_gt_u32_e32 0x47800000, v4
	s_cbranch_execz .LBB223_1805
; %bb.1800:
	s_mov_b32 s13, 0
	s_mov_b32 s14, exec_lo
                                        ; implicit-def: $vgpr1
	v_cmpx_lt_u32_e32 0x37ffffff, v4
	s_xor_b32 s14, exec_lo, s14
	s_cbranch_execz .LBB223_2016
; %bb.1801:
	v_bfe_u32 v1, v4, 21, 1
	s_mov_b32 s13, exec_lo
	s_delay_alu instid0(VALU_DEP_1) | instskip(NEXT) | instid1(VALU_DEP_1)
	v_add3_u32 v1, v4, v1, 0x88fffff
                                        ; implicit-def: $vgpr4
	v_lshrrev_b32_e32 v1, 21, v1
	s_and_not1_saveexec_b32 s14, s14
	s_cbranch_execnz .LBB223_2017
.LBB223_1802:
	s_or_b32 exec_lo, exec_lo, s14
	v_mov_b32_e32 v5, 0
	s_and_saveexec_b32 s14, s13
.LBB223_1803:
	v_mov_b32_e32 v5, v1
.LBB223_1804:
	s_or_b32 exec_lo, exec_lo, s14
.LBB223_1805:
	s_delay_alu instid0(SALU_CYCLE_1)
	s_or_b32 exec_lo, exec_lo, s12
	s_mov_b32 s12, 0
	global_store_b8 v[2:3], v5, off
.LBB223_1806:
	s_and_b32 vcc_lo, exec_lo, s12
	s_cbranch_vccz .LBB223_1816
; %bb.1807:
	s_wait_xcnt 0x0
	v_cndmask_b32_e64 v4, 0, 1.0, s10
	s_mov_b32 s12, exec_lo
                                        ; implicit-def: $vgpr1
	s_delay_alu instid0(VALU_DEP_1)
	v_cmpx_gt_u32_e32 0x43f00000, v4
	s_xor_b32 s12, exec_lo, s12
	s_cbranch_execz .LBB223_1813
; %bb.1808:
	s_mov_b32 s13, exec_lo
                                        ; implicit-def: $vgpr1
	v_cmpx_lt_u32_e32 0x3c7fffff, v4
	s_xor_b32 s13, exec_lo, s13
; %bb.1809:
	v_bfe_u32 v1, v4, 20, 1
	s_delay_alu instid0(VALU_DEP_1) | instskip(NEXT) | instid1(VALU_DEP_1)
	v_add3_u32 v1, v4, v1, 0x407ffff
	v_and_b32_e32 v4, 0xff00000, v1
	v_lshrrev_b32_e32 v1, 20, v1
	s_delay_alu instid0(VALU_DEP_2) | instskip(NEXT) | instid1(VALU_DEP_2)
	v_cmp_ne_u32_e32 vcc_lo, 0x7f00000, v4
                                        ; implicit-def: $vgpr4
	v_cndmask_b32_e32 v1, 0x7e, v1, vcc_lo
; %bb.1810:
	s_and_not1_saveexec_b32 s13, s13
; %bb.1811:
	v_add_f32_e32 v1, 0x46800000, v4
; %bb.1812:
	s_or_b32 exec_lo, exec_lo, s13
                                        ; implicit-def: $vgpr4
.LBB223_1813:
	s_and_not1_saveexec_b32 s12, s12
; %bb.1814:
	v_mov_b32_e32 v1, 0x7f
	v_cmp_lt_u32_e32 vcc_lo, 0x7f800000, v4
	s_delay_alu instid0(VALU_DEP_2)
	v_cndmask_b32_e32 v1, 0x7e, v1, vcc_lo
; %bb.1815:
	s_or_b32 exec_lo, exec_lo, s12
	global_store_b8 v[2:3], v1, off
.LBB223_1816:
	s_mov_b32 s12, 0
.LBB223_1817:
	s_delay_alu instid0(SALU_CYCLE_1)
	s_and_not1_b32 vcc_lo, exec_lo, s12
	s_cbranch_vccnz .LBB223_1827
; %bb.1818:
	s_wait_xcnt 0x0
	v_cndmask_b32_e64 v4, 0, 1.0, s10
	s_mov_b32 s12, exec_lo
                                        ; implicit-def: $vgpr1
	s_delay_alu instid0(VALU_DEP_1)
	v_cmpx_gt_u32_e32 0x47800000, v4
	s_xor_b32 s12, exec_lo, s12
	s_cbranch_execz .LBB223_1824
; %bb.1819:
	s_mov_b32 s13, exec_lo
                                        ; implicit-def: $vgpr1
	v_cmpx_lt_u32_e32 0x387fffff, v4
	s_xor_b32 s13, exec_lo, s13
; %bb.1820:
	v_bfe_u32 v1, v4, 21, 1
	s_delay_alu instid0(VALU_DEP_1) | instskip(NEXT) | instid1(VALU_DEP_1)
	v_add3_u32 v1, v4, v1, 0x80fffff
                                        ; implicit-def: $vgpr4
	v_lshrrev_b32_e32 v1, 21, v1
; %bb.1821:
	s_and_not1_saveexec_b32 s13, s13
; %bb.1822:
	v_add_f32_e32 v1, 0x43000000, v4
; %bb.1823:
	s_or_b32 exec_lo, exec_lo, s13
                                        ; implicit-def: $vgpr4
.LBB223_1824:
	s_and_not1_saveexec_b32 s12, s12
; %bb.1825:
	v_mov_b32_e32 v1, 0x7f
	v_cmp_lt_u32_e32 vcc_lo, 0x7f800000, v4
	s_delay_alu instid0(VALU_DEP_2)
	v_cndmask_b32_e32 v1, 0x7c, v1, vcc_lo
; %bb.1826:
	s_or_b32 exec_lo, exec_lo, s12
	global_store_b8 v[2:3], v1, off
.LBB223_1827:
	s_mov_b32 s12, 0
	s_mov_b32 s13, -1
.LBB223_1828:
	s_and_not1_b32 vcc_lo, exec_lo, s12
	s_mov_b32 s12, 0
	s_cbranch_vccnz .LBB223_1835
; %bb.1829:
	s_cmp_gt_i32 s11, 14
	s_mov_b32 s12, -1
	s_cbranch_scc0 .LBB223_1833
; %bb.1830:
	s_cmp_eq_u32 s11, 15
	s_mov_b32 s0, -1
	s_cbranch_scc0 .LBB223_1832
; %bb.1831:
	s_wait_xcnt 0x0
	v_cndmask_b32_e64 v1, 0, 1.0, s10
	s_mov_b32 s0, 0
	s_mov_b32 s13, -1
	s_delay_alu instid0(VALU_DEP_1) | instskip(NEXT) | instid1(VALU_DEP_1)
	v_bfe_u32 v4, v1, 16, 1
	v_add3_u32 v1, v1, v4, 0x7fff
	global_store_d16_hi_b16 v[2:3], v1, off
.LBB223_1832:
	s_mov_b32 s12, 0
.LBB223_1833:
	s_delay_alu instid0(SALU_CYCLE_1)
	s_and_b32 vcc_lo, exec_lo, s12
	s_mov_b32 s12, 0
	s_cbranch_vccz .LBB223_1835
; %bb.1834:
	s_cmp_lg_u32 s11, 11
	s_mov_b32 s12, -1
	s_cselect_b32 s0, -1, 0
.LBB223_1835:
	s_delay_alu instid0(SALU_CYCLE_1)
	s_and_b32 vcc_lo, exec_lo, s0
	s_cbranch_vccnz .LBB223_2015
; %bb.1836:
	s_and_not1_b32 vcc_lo, exec_lo, s12
	s_cbranch_vccnz .LBB223_1838
.LBB223_1837:
	s_wait_xcnt 0x0
	v_cndmask_b32_e64 v1, 0, 1, s10
	s_mov_b32 s13, -1
	global_store_b8 v[2:3], v1, off
.LBB223_1838:
	s_mov_b32 s0, 0
	s_branch .LBB223_1840
.LBB223_1839:
	s_mov_b32 s0, -1
	s_mov_b32 s13, 0
.LBB223_1840:
	s_and_b32 vcc_lo, exec_lo, s0
	s_cbranch_vccz .LBB223_1879
; %bb.1841:
	s_cmp_lt_i32 s11, 5
	s_mov_b32 s0, -1
	s_cbranch_scc1 .LBB223_1862
; %bb.1842:
	s_cmp_lt_i32 s11, 8
	s_cbranch_scc1 .LBB223_1852
; %bb.1843:
	s_cmp_lt_i32 s11, 9
	s_cbranch_scc1 .LBB223_1849
; %bb.1844:
	s_cmp_gt_i32 s11, 9
	s_cbranch_scc0 .LBB223_1846
; %bb.1845:
	s_wait_xcnt 0x0
	v_cndmask_b32_e64 v1, 0, 1, s10
	v_mov_b32_e32 v6, 0
	s_mov_b32 s0, 0
	s_delay_alu instid0(VALU_DEP_2) | instskip(NEXT) | instid1(VALU_DEP_2)
	v_cvt_f64_u32_e32 v[4:5], v1
	v_mov_b32_e32 v7, v6
	global_store_b128 v[2:3], v[4:7], off
.LBB223_1846:
	s_and_not1_b32 vcc_lo, exec_lo, s0
	s_cbranch_vccnz .LBB223_1848
; %bb.1847:
	s_wait_xcnt 0x0
	v_cndmask_b32_e64 v4, 0, 1.0, s10
	v_mov_b32_e32 v5, 0
	global_store_b64 v[2:3], v[4:5], off
.LBB223_1848:
	s_mov_b32 s0, 0
.LBB223_1849:
	s_delay_alu instid0(SALU_CYCLE_1)
	s_and_not1_b32 vcc_lo, exec_lo, s0
	s_cbranch_vccnz .LBB223_1851
; %bb.1850:
	s_wait_xcnt 0x0
	v_cndmask_b32_e64 v1, 0, 1.0, s10
	s_delay_alu instid0(VALU_DEP_1) | instskip(NEXT) | instid1(VALU_DEP_1)
	v_cvt_f16_f32_e32 v1, v1
	v_and_b32_e32 v1, 0xffff, v1
	global_store_b32 v[2:3], v1, off
.LBB223_1851:
	s_mov_b32 s0, 0
.LBB223_1852:
	s_delay_alu instid0(SALU_CYCLE_1)
	s_and_not1_b32 vcc_lo, exec_lo, s0
	s_cbranch_vccnz .LBB223_1861
; %bb.1853:
	s_cmp_lt_i32 s11, 6
	s_mov_b32 s0, -1
	s_cbranch_scc1 .LBB223_1859
; %bb.1854:
	s_cmp_gt_i32 s11, 6
	s_cbranch_scc0 .LBB223_1856
; %bb.1855:
	s_wait_xcnt 0x0
	v_cndmask_b32_e64 v1, 0, 1, s10
	s_mov_b32 s0, 0
	s_delay_alu instid0(VALU_DEP_1)
	v_cvt_f64_u32_e32 v[4:5], v1
	global_store_b64 v[2:3], v[4:5], off
.LBB223_1856:
	s_and_not1_b32 vcc_lo, exec_lo, s0
	s_cbranch_vccnz .LBB223_1858
; %bb.1857:
	s_wait_xcnt 0x0
	v_cndmask_b32_e64 v1, 0, 1.0, s10
	global_store_b32 v[2:3], v1, off
.LBB223_1858:
	s_mov_b32 s0, 0
.LBB223_1859:
	s_delay_alu instid0(SALU_CYCLE_1)
	s_and_not1_b32 vcc_lo, exec_lo, s0
	s_cbranch_vccnz .LBB223_1861
; %bb.1860:
	s_wait_xcnt 0x0
	v_cndmask_b32_e64 v1, 0, 1.0, s10
	s_delay_alu instid0(VALU_DEP_1)
	v_cvt_f16_f32_e32 v1, v1
	global_store_b16 v[2:3], v1, off
.LBB223_1861:
	s_mov_b32 s0, 0
.LBB223_1862:
	s_delay_alu instid0(SALU_CYCLE_1)
	s_and_not1_b32 vcc_lo, exec_lo, s0
	s_cbranch_vccnz .LBB223_1878
; %bb.1863:
	s_cmp_lt_i32 s11, 2
	s_mov_b32 s0, -1
	s_cbranch_scc1 .LBB223_1873
; %bb.1864:
	s_cmp_lt_i32 s11, 3
	s_cbranch_scc1 .LBB223_1870
; %bb.1865:
	s_cmp_gt_i32 s11, 3
	s_cbranch_scc0 .LBB223_1867
; %bb.1866:
	s_mov_b32 s0, 0
	s_wait_xcnt 0x0
	v_cndmask_b32_e64 v4, 0, 1, s10
	v_mov_b32_e32 v5, s0
	global_store_b64 v[2:3], v[4:5], off
.LBB223_1867:
	s_and_not1_b32 vcc_lo, exec_lo, s0
	s_cbranch_vccnz .LBB223_1869
; %bb.1868:
	s_wait_xcnt 0x0
	v_cndmask_b32_e64 v1, 0, 1, s10
	global_store_b32 v[2:3], v1, off
.LBB223_1869:
	s_mov_b32 s0, 0
.LBB223_1870:
	s_delay_alu instid0(SALU_CYCLE_1)
	s_and_not1_b32 vcc_lo, exec_lo, s0
	s_cbranch_vccnz .LBB223_1872
; %bb.1871:
	s_wait_xcnt 0x0
	v_cndmask_b32_e64 v1, 0, 1, s10
	global_store_b16 v[2:3], v1, off
.LBB223_1872:
	s_mov_b32 s0, 0
.LBB223_1873:
	s_delay_alu instid0(SALU_CYCLE_1)
	s_and_not1_b32 vcc_lo, exec_lo, s0
	s_cbranch_vccnz .LBB223_1878
; %bb.1874:
	s_cmp_gt_i32 s11, 0
	s_mov_b32 s0, -1
	s_cbranch_scc0 .LBB223_1876
; %bb.1875:
	s_wait_xcnt 0x0
	v_cndmask_b32_e64 v1, 0, 1, s10
	s_mov_b32 s0, 0
	global_store_b8 v[2:3], v1, off
.LBB223_1876:
	s_and_not1_b32 vcc_lo, exec_lo, s0
	s_cbranch_vccnz .LBB223_1878
; %bb.1877:
	s_wait_xcnt 0x0
	v_cndmask_b32_e64 v1, 0, 1, s10
	global_store_b8 v[2:3], v1, off
.LBB223_1878:
	s_mov_b32 s13, -1
.LBB223_1879:
	s_delay_alu instid0(SALU_CYCLE_1)
	s_and_not1_b32 vcc_lo, exec_lo, s13
	s_cbranch_vccnz .LBB223_1956
; %bb.1880:
	s_wait_xcnt 0x0
	v_mov_b32_e32 v1, 0
	s_xor_b32 s0, s3, s6
	s_delay_alu instid0(VALU_DEP_1)
	v_add_nc_u64_e32 v[2:3], s[4:5], v[0:1]
	s_xor_b32 s4, s7, s0
	s_cmp_lt_i32 s11, 11
	s_cbranch_scc1 .LBB223_2001
; %bb.1881:
	s_mov_b32 s5, -1
	s_mov_b32 s3, 0
	s_cmp_gt_i32 s11, 25
	s_mov_b32 s0, 0
	s_cbranch_scc0 .LBB223_1914
; %bb.1882:
	s_cmp_gt_i32 s11, 28
	s_cbranch_scc0 .LBB223_1898
; %bb.1883:
	s_cmp_gt_i32 s11, 43
	s_cbranch_scc0 .LBB223_1894
; %bb.1884:
	s_cmp_gt_i32 s11, 45
	s_cbranch_scc0 .LBB223_1888
; %bb.1885:
	s_cmp_eq_u32 s11, 46
	s_mov_b32 s0, -1
	s_cbranch_scc0 .LBB223_1887
; %bb.1886:
	v_cndmask_b32_e64 v0, 0, 1.0, s4
	s_mov_b32 s0, 0
	s_delay_alu instid0(VALU_DEP_1) | instskip(NEXT) | instid1(VALU_DEP_1)
	v_bfe_u32 v1, v0, 16, 1
	v_add3_u32 v0, v0, v1, 0x7fff
	s_delay_alu instid0(VALU_DEP_1)
	v_lshrrev_b32_e32 v0, 16, v0
	global_store_b32 v[2:3], v0, off
.LBB223_1887:
	s_mov_b32 s5, 0
.LBB223_1888:
	s_delay_alu instid0(SALU_CYCLE_1)
	s_and_b32 vcc_lo, exec_lo, s5
	s_cbranch_vccz .LBB223_1893
; %bb.1889:
	s_cmp_eq_u32 s11, 44
	s_mov_b32 s0, -1
	s_cbranch_scc0 .LBB223_1893
; %bb.1890:
	v_cndmask_b32_e64 v4, 0, 1.0, s4
	s_mov_b32 s5, exec_lo
	s_wait_xcnt 0x0
	s_delay_alu instid0(VALU_DEP_1) | instskip(NEXT) | instid1(VALU_DEP_1)
	v_dual_mov_b32 v1, 0xff :: v_dual_lshrrev_b32 v0, 23, v4
	v_cmpx_ne_u32_e32 0xff, v0
; %bb.1891:
	v_and_b32_e32 v1, 0x400000, v4
	v_and_or_b32 v4, 0x3fffff, v4, v0
	s_delay_alu instid0(VALU_DEP_2) | instskip(NEXT) | instid1(VALU_DEP_2)
	v_cmp_ne_u32_e32 vcc_lo, 0, v1
	v_cmp_ne_u32_e64 s0, 0, v4
	s_and_b32 s0, vcc_lo, s0
	s_delay_alu instid0(SALU_CYCLE_1) | instskip(NEXT) | instid1(VALU_DEP_1)
	v_cndmask_b32_e64 v1, 0, 1, s0
	v_add_nc_u32_e32 v1, v0, v1
; %bb.1892:
	s_or_b32 exec_lo, exec_lo, s5
	s_mov_b32 s0, 0
	global_store_b8 v[2:3], v1, off
.LBB223_1893:
	s_mov_b32 s5, 0
.LBB223_1894:
	s_delay_alu instid0(SALU_CYCLE_1)
	s_and_b32 vcc_lo, exec_lo, s5
	s_cbranch_vccz .LBB223_1897
; %bb.1895:
	s_cmp_eq_u32 s11, 29
	s_mov_b32 s0, -1
	s_cbranch_scc0 .LBB223_1897
; %bb.1896:
	s_mov_b32 s0, 0
	s_wait_xcnt 0x0
	v_cndmask_b32_e64 v0, 0, 1, s4
	v_mov_b32_e32 v1, s0
	global_store_b64 v[2:3], v[0:1], off
.LBB223_1897:
	s_mov_b32 s5, 0
.LBB223_1898:
	s_delay_alu instid0(SALU_CYCLE_1)
	s_and_b32 vcc_lo, exec_lo, s5
	s_cbranch_vccz .LBB223_1913
; %bb.1899:
	s_cmp_lt_i32 s11, 27
	s_mov_b32 s5, -1
	s_cbranch_scc1 .LBB223_1905
; %bb.1900:
	s_cmp_gt_i32 s11, 27
	s_cbranch_scc0 .LBB223_1902
; %bb.1901:
	s_wait_xcnt 0x0
	v_cndmask_b32_e64 v0, 0, 1, s4
	s_mov_b32 s5, 0
	global_store_b32 v[2:3], v0, off
.LBB223_1902:
	s_and_not1_b32 vcc_lo, exec_lo, s5
	s_cbranch_vccnz .LBB223_1904
; %bb.1903:
	s_wait_xcnt 0x0
	v_cndmask_b32_e64 v0, 0, 1, s4
	global_store_b16 v[2:3], v0, off
.LBB223_1904:
	s_mov_b32 s5, 0
.LBB223_1905:
	s_delay_alu instid0(SALU_CYCLE_1)
	s_and_not1_b32 vcc_lo, exec_lo, s5
	s_cbranch_vccnz .LBB223_1913
; %bb.1906:
	s_wait_xcnt 0x0
	v_cndmask_b32_e64 v1, 0, 1.0, s4
	v_mov_b32_e32 v4, 0x80
	s_mov_b32 s5, exec_lo
	s_delay_alu instid0(VALU_DEP_2)
	v_cmpx_gt_u32_e32 0x43800000, v1
	s_cbranch_execz .LBB223_1912
; %bb.1907:
	s_mov_b32 s6, 0
	s_mov_b32 s7, exec_lo
                                        ; implicit-def: $vgpr0
	v_cmpx_lt_u32_e32 0x3bffffff, v1
	s_xor_b32 s7, exec_lo, s7
	s_cbranch_execz .LBB223_2018
; %bb.1908:
	v_bfe_u32 v0, v1, 20, 1
	s_mov_b32 s6, exec_lo
	s_delay_alu instid0(VALU_DEP_1) | instskip(NEXT) | instid1(VALU_DEP_1)
	v_add3_u32 v0, v1, v0, 0x487ffff
                                        ; implicit-def: $vgpr1
	v_lshrrev_b32_e32 v0, 20, v0
	s_and_not1_saveexec_b32 s7, s7
	s_cbranch_execnz .LBB223_2019
.LBB223_1909:
	s_or_b32 exec_lo, exec_lo, s7
	v_mov_b32_e32 v4, 0
	s_and_saveexec_b32 s7, s6
.LBB223_1910:
	v_mov_b32_e32 v4, v0
.LBB223_1911:
	s_or_b32 exec_lo, exec_lo, s7
.LBB223_1912:
	s_delay_alu instid0(SALU_CYCLE_1)
	s_or_b32 exec_lo, exec_lo, s5
	global_store_b8 v[2:3], v4, off
.LBB223_1913:
	s_mov_b32 s5, 0
.LBB223_1914:
	s_delay_alu instid0(SALU_CYCLE_1)
	s_and_b32 vcc_lo, exec_lo, s5
	s_cbranch_vccz .LBB223_1954
; %bb.1915:
	s_cmp_gt_i32 s11, 22
	s_mov_b32 s3, -1
	s_cbranch_scc0 .LBB223_1947
; %bb.1916:
	s_cmp_lt_i32 s11, 24
	s_cbranch_scc1 .LBB223_1936
; %bb.1917:
	s_cmp_gt_i32 s11, 24
	s_cbranch_scc0 .LBB223_1925
; %bb.1918:
	s_wait_xcnt 0x0
	v_cndmask_b32_e64 v1, 0, 1.0, s4
	v_mov_b32_e32 v4, 0x80
	s_mov_b32 s3, exec_lo
	s_delay_alu instid0(VALU_DEP_2)
	v_cmpx_gt_u32_e32 0x47800000, v1
	s_cbranch_execz .LBB223_1924
; %bb.1919:
	s_mov_b32 s5, 0
	s_mov_b32 s6, exec_lo
                                        ; implicit-def: $vgpr0
	v_cmpx_lt_u32_e32 0x37ffffff, v1
	s_xor_b32 s6, exec_lo, s6
	s_cbranch_execz .LBB223_2021
; %bb.1920:
	v_bfe_u32 v0, v1, 21, 1
	s_mov_b32 s5, exec_lo
	s_delay_alu instid0(VALU_DEP_1) | instskip(NEXT) | instid1(VALU_DEP_1)
	v_add3_u32 v0, v1, v0, 0x88fffff
                                        ; implicit-def: $vgpr1
	v_lshrrev_b32_e32 v0, 21, v0
	s_and_not1_saveexec_b32 s6, s6
	s_cbranch_execnz .LBB223_2022
.LBB223_1921:
	s_or_b32 exec_lo, exec_lo, s6
	v_mov_b32_e32 v4, 0
	s_and_saveexec_b32 s6, s5
.LBB223_1922:
	v_mov_b32_e32 v4, v0
.LBB223_1923:
	s_or_b32 exec_lo, exec_lo, s6
.LBB223_1924:
	s_delay_alu instid0(SALU_CYCLE_1)
	s_or_b32 exec_lo, exec_lo, s3
	s_mov_b32 s3, 0
	global_store_b8 v[2:3], v4, off
.LBB223_1925:
	s_and_b32 vcc_lo, exec_lo, s3
	s_cbranch_vccz .LBB223_1935
; %bb.1926:
	s_wait_xcnt 0x0
	v_cndmask_b32_e64 v1, 0, 1.0, s4
	s_mov_b32 s3, exec_lo
                                        ; implicit-def: $vgpr0
	s_delay_alu instid0(VALU_DEP_1)
	v_cmpx_gt_u32_e32 0x43f00000, v1
	s_xor_b32 s3, exec_lo, s3
	s_cbranch_execz .LBB223_1932
; %bb.1927:
	s_mov_b32 s5, exec_lo
                                        ; implicit-def: $vgpr0
	v_cmpx_lt_u32_e32 0x3c7fffff, v1
	s_xor_b32 s5, exec_lo, s5
; %bb.1928:
	v_bfe_u32 v0, v1, 20, 1
	s_delay_alu instid0(VALU_DEP_1) | instskip(NEXT) | instid1(VALU_DEP_1)
	v_add3_u32 v0, v1, v0, 0x407ffff
	v_and_b32_e32 v1, 0xff00000, v0
	v_lshrrev_b32_e32 v0, 20, v0
	s_delay_alu instid0(VALU_DEP_2) | instskip(NEXT) | instid1(VALU_DEP_2)
	v_cmp_ne_u32_e32 vcc_lo, 0x7f00000, v1
                                        ; implicit-def: $vgpr1
	v_cndmask_b32_e32 v0, 0x7e, v0, vcc_lo
; %bb.1929:
	s_and_not1_saveexec_b32 s5, s5
; %bb.1930:
	v_add_f32_e32 v0, 0x46800000, v1
; %bb.1931:
	s_or_b32 exec_lo, exec_lo, s5
                                        ; implicit-def: $vgpr1
.LBB223_1932:
	s_and_not1_saveexec_b32 s3, s3
; %bb.1933:
	v_mov_b32_e32 v0, 0x7f
	v_cmp_lt_u32_e32 vcc_lo, 0x7f800000, v1
	s_delay_alu instid0(VALU_DEP_2)
	v_cndmask_b32_e32 v0, 0x7e, v0, vcc_lo
; %bb.1934:
	s_or_b32 exec_lo, exec_lo, s3
	global_store_b8 v[2:3], v0, off
.LBB223_1935:
	s_mov_b32 s3, 0
.LBB223_1936:
	s_delay_alu instid0(SALU_CYCLE_1)
	s_and_not1_b32 vcc_lo, exec_lo, s3
	s_cbranch_vccnz .LBB223_1946
; %bb.1937:
	s_wait_xcnt 0x0
	v_cndmask_b32_e64 v1, 0, 1.0, s4
	s_mov_b32 s3, exec_lo
                                        ; implicit-def: $vgpr0
	s_delay_alu instid0(VALU_DEP_1)
	v_cmpx_gt_u32_e32 0x47800000, v1
	s_xor_b32 s3, exec_lo, s3
	s_cbranch_execz .LBB223_1943
; %bb.1938:
	s_mov_b32 s5, exec_lo
                                        ; implicit-def: $vgpr0
	v_cmpx_lt_u32_e32 0x387fffff, v1
	s_xor_b32 s5, exec_lo, s5
; %bb.1939:
	v_bfe_u32 v0, v1, 21, 1
	s_delay_alu instid0(VALU_DEP_1) | instskip(NEXT) | instid1(VALU_DEP_1)
	v_add3_u32 v0, v1, v0, 0x80fffff
                                        ; implicit-def: $vgpr1
	v_lshrrev_b32_e32 v0, 21, v0
; %bb.1940:
	s_and_not1_saveexec_b32 s5, s5
; %bb.1941:
	v_add_f32_e32 v0, 0x43000000, v1
; %bb.1942:
	s_or_b32 exec_lo, exec_lo, s5
                                        ; implicit-def: $vgpr1
.LBB223_1943:
	s_and_not1_saveexec_b32 s3, s3
; %bb.1944:
	v_mov_b32_e32 v0, 0x7f
	v_cmp_lt_u32_e32 vcc_lo, 0x7f800000, v1
	s_delay_alu instid0(VALU_DEP_2)
	v_cndmask_b32_e32 v0, 0x7c, v0, vcc_lo
; %bb.1945:
	s_or_b32 exec_lo, exec_lo, s3
	global_store_b8 v[2:3], v0, off
.LBB223_1946:
	s_mov_b32 s3, 0
.LBB223_1947:
	s_delay_alu instid0(SALU_CYCLE_1)
	s_and_not1_b32 vcc_lo, exec_lo, s3
	s_mov_b32 s3, 0
	s_cbranch_vccnz .LBB223_1954
; %bb.1948:
	s_cmp_gt_i32 s11, 14
	s_mov_b32 s3, -1
	s_cbranch_scc0 .LBB223_1952
; %bb.1949:
	s_cmp_eq_u32 s11, 15
	s_mov_b32 s0, -1
	s_cbranch_scc0 .LBB223_1951
; %bb.1950:
	s_wait_xcnt 0x0
	v_cndmask_b32_e64 v0, 0, 1.0, s4
	s_mov_b32 s0, 0
	s_delay_alu instid0(VALU_DEP_1) | instskip(NEXT) | instid1(VALU_DEP_1)
	v_bfe_u32 v1, v0, 16, 1
	v_add3_u32 v0, v0, v1, 0x7fff
	global_store_d16_hi_b16 v[2:3], v0, off
.LBB223_1951:
	s_mov_b32 s3, 0
.LBB223_1952:
	s_delay_alu instid0(SALU_CYCLE_1)
	s_and_b32 vcc_lo, exec_lo, s3
	s_mov_b32 s3, 0
	s_cbranch_vccz .LBB223_1954
; %bb.1953:
	s_cmp_lg_u32 s11, 11
	s_mov_b32 s3, -1
	s_cselect_b32 s0, -1, 0
.LBB223_1954:
	s_delay_alu instid0(SALU_CYCLE_1)
	s_and_b32 vcc_lo, exec_lo, s0
	s_cbranch_vccnz .LBB223_2020
.LBB223_1955:
	s_mov_b32 s0, 0
	s_branch .LBB223_1957
.LBB223_1956:
	s_mov_b32 s0, 0
	s_mov_b32 s3, 0
                                        ; implicit-def: $sgpr4
                                        ; implicit-def: $vgpr2_vgpr3
                                        ; implicit-def: $sgpr2
.LBB223_1957:
	s_and_not1_b32 s5, s8, exec_lo
	s_and_b32 s1, s1, exec_lo
	s_and_b32 s0, s0, exec_lo
	;; [unrolled: 1-line block ×3, first 2 shown]
	s_or_b32 s8, s5, s1
.LBB223_1958:
	s_wait_xcnt 0x0
	s_or_b32 exec_lo, exec_lo, s9
	s_and_saveexec_b32 s1, s8
	s_cbranch_execz .LBB223_1961
; %bb.1959:
	; divergent unreachable
	s_or_b32 exec_lo, exec_lo, s1
	s_and_saveexec_b32 s1, s3
	s_delay_alu instid0(SALU_CYCLE_1)
	s_xor_b32 s1, exec_lo, s1
	s_cbranch_execnz .LBB223_1962
.LBB223_1960:
	s_or_b32 exec_lo, exec_lo, s1
	s_and_saveexec_b32 s1, s0
	s_cbranch_execnz .LBB223_1963
	s_branch .LBB223_2000
.LBB223_1961:
	s_or_b32 exec_lo, exec_lo, s1
	s_and_saveexec_b32 s1, s3
	s_delay_alu instid0(SALU_CYCLE_1)
	s_xor_b32 s1, exec_lo, s1
	s_cbranch_execz .LBB223_1960
.LBB223_1962:
	v_cndmask_b32_e64 v0, 0, 1, s4
	global_store_b8 v[2:3], v0, off
	s_wait_xcnt 0x0
	s_or_b32 exec_lo, exec_lo, s1
	s_and_saveexec_b32 s1, s0
	s_cbranch_execz .LBB223_2000
.LBB223_1963:
	s_sext_i32_i16 s1, s2
	s_mov_b32 s0, -1
	s_cmp_lt_i32 s1, 5
	s_cbranch_scc1 .LBB223_1984
; %bb.1964:
	s_cmp_lt_i32 s1, 8
	s_cbranch_scc1 .LBB223_1974
; %bb.1965:
	;; [unrolled: 3-line block ×3, first 2 shown]
	s_cmp_gt_i32 s1, 9
	s_cbranch_scc0 .LBB223_1968
; %bb.1967:
	v_cndmask_b32_e64 v0, 0, 1, s4
	v_mov_b32_e32 v6, 0
	s_mov_b32 s0, 0
	s_delay_alu instid0(VALU_DEP_2) | instskip(NEXT) | instid1(VALU_DEP_2)
	v_cvt_f64_u32_e32 v[4:5], v0
	v_mov_b32_e32 v7, v6
	global_store_b128 v[2:3], v[4:7], off
.LBB223_1968:
	s_and_not1_b32 vcc_lo, exec_lo, s0
	s_cbranch_vccnz .LBB223_1970
; %bb.1969:
	v_cndmask_b32_e64 v0, 0, 1.0, s4
	v_mov_b32_e32 v1, 0
	global_store_b64 v[2:3], v[0:1], off
.LBB223_1970:
	s_mov_b32 s0, 0
.LBB223_1971:
	s_delay_alu instid0(SALU_CYCLE_1)
	s_and_not1_b32 vcc_lo, exec_lo, s0
	s_cbranch_vccnz .LBB223_1973
; %bb.1972:
	s_wait_xcnt 0x0
	v_cndmask_b32_e64 v0, 0, 1.0, s4
	s_delay_alu instid0(VALU_DEP_1) | instskip(NEXT) | instid1(VALU_DEP_1)
	v_cvt_f16_f32_e32 v0, v0
	v_and_b32_e32 v0, 0xffff, v0
	global_store_b32 v[2:3], v0, off
.LBB223_1973:
	s_mov_b32 s0, 0
.LBB223_1974:
	s_delay_alu instid0(SALU_CYCLE_1)
	s_and_not1_b32 vcc_lo, exec_lo, s0
	s_cbranch_vccnz .LBB223_1983
; %bb.1975:
	s_sext_i32_i16 s1, s2
	s_mov_b32 s0, -1
	s_cmp_lt_i32 s1, 6
	s_cbranch_scc1 .LBB223_1981
; %bb.1976:
	s_cmp_gt_i32 s1, 6
	s_cbranch_scc0 .LBB223_1978
; %bb.1977:
	s_wait_xcnt 0x0
	v_cndmask_b32_e64 v0, 0, 1, s4
	s_mov_b32 s0, 0
	s_delay_alu instid0(VALU_DEP_1)
	v_cvt_f64_u32_e32 v[0:1], v0
	global_store_b64 v[2:3], v[0:1], off
.LBB223_1978:
	s_and_not1_b32 vcc_lo, exec_lo, s0
	s_cbranch_vccnz .LBB223_1980
; %bb.1979:
	s_wait_xcnt 0x0
	v_cndmask_b32_e64 v0, 0, 1.0, s4
	global_store_b32 v[2:3], v0, off
.LBB223_1980:
	s_mov_b32 s0, 0
.LBB223_1981:
	s_delay_alu instid0(SALU_CYCLE_1)
	s_and_not1_b32 vcc_lo, exec_lo, s0
	s_cbranch_vccnz .LBB223_1983
; %bb.1982:
	s_wait_xcnt 0x0
	v_cndmask_b32_e64 v0, 0, 1.0, s4
	s_delay_alu instid0(VALU_DEP_1)
	v_cvt_f16_f32_e32 v0, v0
	global_store_b16 v[2:3], v0, off
.LBB223_1983:
	s_mov_b32 s0, 0
.LBB223_1984:
	s_delay_alu instid0(SALU_CYCLE_1)
	s_and_not1_b32 vcc_lo, exec_lo, s0
	s_cbranch_vccnz .LBB223_2000
; %bb.1985:
	s_sext_i32_i16 s1, s2
	s_mov_b32 s0, -1
	s_cmp_lt_i32 s1, 2
	s_cbranch_scc1 .LBB223_1995
; %bb.1986:
	s_cmp_lt_i32 s1, 3
	s_cbranch_scc1 .LBB223_1992
; %bb.1987:
	s_cmp_gt_i32 s1, 3
	s_cbranch_scc0 .LBB223_1989
; %bb.1988:
	s_mov_b32 s0, 0
	s_wait_xcnt 0x0
	v_cndmask_b32_e64 v0, 0, 1, s4
	v_mov_b32_e32 v1, s0
	global_store_b64 v[2:3], v[0:1], off
.LBB223_1989:
	s_and_not1_b32 vcc_lo, exec_lo, s0
	s_cbranch_vccnz .LBB223_1991
; %bb.1990:
	s_wait_xcnt 0x0
	v_cndmask_b32_e64 v0, 0, 1, s4
	global_store_b32 v[2:3], v0, off
.LBB223_1991:
	s_mov_b32 s0, 0
.LBB223_1992:
	s_delay_alu instid0(SALU_CYCLE_1)
	s_and_not1_b32 vcc_lo, exec_lo, s0
	s_cbranch_vccnz .LBB223_1994
; %bb.1993:
	s_wait_xcnt 0x0
	v_cndmask_b32_e64 v0, 0, 1, s4
	global_store_b16 v[2:3], v0, off
.LBB223_1994:
	s_mov_b32 s0, 0
.LBB223_1995:
	s_delay_alu instid0(SALU_CYCLE_1)
	s_and_not1_b32 vcc_lo, exec_lo, s0
	s_cbranch_vccnz .LBB223_2000
; %bb.1996:
	s_sext_i32_i16 s0, s2
	s_delay_alu instid0(SALU_CYCLE_1)
	s_cmp_gt_i32 s0, 0
	s_mov_b32 s0, -1
	s_cbranch_scc0 .LBB223_1998
; %bb.1997:
	s_wait_xcnt 0x0
	v_cndmask_b32_e64 v0, 0, 1, s4
	s_mov_b32 s0, 0
	global_store_b8 v[2:3], v0, off
.LBB223_1998:
	s_and_not1_b32 vcc_lo, exec_lo, s0
	s_cbranch_vccnz .LBB223_2000
; %bb.1999:
	s_wait_xcnt 0x0
	v_cndmask_b32_e64 v0, 0, 1, s4
	global_store_b8 v[2:3], v0, off
	s_endpgm
.LBB223_2000:
	s_endpgm
.LBB223_2001:
	s_mov_b32 s3, 0
	s_mov_b32 s0, -1
	s_branch .LBB223_1957
.LBB223_2002:
	s_mov_b32 s6, 0
	s_or_b32 s1, s1, exec_lo
	s_trap 2
	s_cbranch_execz .LBB223_1472
	s_branch .LBB223_1473
.LBB223_2003:
	s_and_not1_saveexec_b32 s17, s17
	s_cbranch_execz .LBB223_1552
.LBB223_2004:
	v_add_f32_e32 v1, 0x46000000, v3
	s_and_not1_b32 s16, s16, exec_lo
	s_delay_alu instid0(VALU_DEP_1) | instskip(NEXT) | instid1(VALU_DEP_1)
	v_and_b32_e32 v1, 0xff, v1
	v_cmp_ne_u32_e32 vcc_lo, 0, v1
	s_and_b32 s18, vcc_lo, exec_lo
	s_delay_alu instid0(SALU_CYCLE_1)
	s_or_b32 s16, s16, s18
	s_or_b32 exec_lo, exec_lo, s17
	v_mov_b32_e32 v5, 0
	s_and_saveexec_b32 s17, s16
	s_cbranch_execnz .LBB223_1553
	s_branch .LBB223_1554
.LBB223_2005:
	s_or_b32 s1, s1, exec_lo
	s_trap 2
	s_cbranch_execz .LBB223_1600
	s_branch .LBB223_1601
.LBB223_2006:
	s_and_not1_saveexec_b32 s16, s16
	s_cbranch_execz .LBB223_1565
.LBB223_2007:
	v_add_f32_e32 v1, 0x42800000, v3
	s_and_not1_b32 s15, s15, exec_lo
	s_delay_alu instid0(VALU_DEP_1) | instskip(NEXT) | instid1(VALU_DEP_1)
	v_and_b32_e32 v1, 0xff, v1
	v_cmp_ne_u32_e32 vcc_lo, 0, v1
	s_and_b32 s17, vcc_lo, exec_lo
	s_delay_alu instid0(SALU_CYCLE_1)
	s_or_b32 s15, s15, s17
	s_or_b32 exec_lo, exec_lo, s16
	v_mov_b32_e32 v5, 0
	s_and_saveexec_b32 s16, s15
	s_cbranch_execnz .LBB223_1566
	s_branch .LBB223_1567
.LBB223_2008:
	s_and_not1_saveexec_b32 s16, s16
	s_cbranch_execz .LBB223_1670
.LBB223_2009:
	v_add_f32_e32 v1, 0x46000000, v3
	s_and_not1_b32 s15, s15, exec_lo
	s_delay_alu instid0(VALU_DEP_1) | instskip(NEXT) | instid1(VALU_DEP_1)
	v_and_b32_e32 v1, 0xff, v1
	v_cmp_ne_u32_e32 vcc_lo, 0, v1
	s_and_b32 s17, vcc_lo, exec_lo
	s_delay_alu instid0(SALU_CYCLE_1)
	s_or_b32 s15, s15, s17
	s_or_b32 exec_lo, exec_lo, s16
	v_mov_b32_e32 v6, 0
	s_and_saveexec_b32 s16, s15
	s_cbranch_execnz .LBB223_1671
	s_branch .LBB223_1672
.LBB223_2010:
	s_or_b32 s1, s1, exec_lo
	s_trap 2
	s_cbranch_execz .LBB223_1718
	s_branch .LBB223_1719
.LBB223_2011:
	s_and_not1_saveexec_b32 s15, s15
	s_cbranch_execz .LBB223_1683
.LBB223_2012:
	v_add_f32_e32 v1, 0x42800000, v3
	s_and_not1_b32 s14, s14, exec_lo
	s_delay_alu instid0(VALU_DEP_1) | instskip(NEXT) | instid1(VALU_DEP_1)
	v_and_b32_e32 v1, 0xff, v1
	v_cmp_ne_u32_e32 vcc_lo, 0, v1
	s_and_b32 s16, vcc_lo, exec_lo
	s_delay_alu instid0(SALU_CYCLE_1)
	s_or_b32 s14, s14, s16
	s_or_b32 exec_lo, exec_lo, s15
	v_mov_b32_e32 v6, 0
	s_and_saveexec_b32 s15, s14
	s_cbranch_execnz .LBB223_1684
	s_branch .LBB223_1685
.LBB223_2013:
	s_and_not1_saveexec_b32 s15, s15
	s_cbranch_execz .LBB223_1789
.LBB223_2014:
	v_add_f32_e32 v1, 0x46000000, v4
	s_and_not1_b32 s14, s14, exec_lo
	s_delay_alu instid0(VALU_DEP_1) | instskip(NEXT) | instid1(VALU_DEP_1)
	v_and_b32_e32 v1, 0xff, v1
	v_cmp_ne_u32_e32 vcc_lo, 0, v1
	s_and_b32 s16, vcc_lo, exec_lo
	s_delay_alu instid0(SALU_CYCLE_1)
	s_or_b32 s14, s14, s16
	s_or_b32 exec_lo, exec_lo, s15
	v_mov_b32_e32 v5, 0
	s_and_saveexec_b32 s15, s14
	s_cbranch_execnz .LBB223_1790
	s_branch .LBB223_1791
.LBB223_2015:
	s_or_b32 s1, s1, exec_lo
	s_trap 2
	s_cbranch_execz .LBB223_1837
	s_branch .LBB223_1838
.LBB223_2016:
	s_and_not1_saveexec_b32 s14, s14
	s_cbranch_execz .LBB223_1802
.LBB223_2017:
	v_add_f32_e32 v1, 0x42800000, v4
	s_and_not1_b32 s13, s13, exec_lo
	s_delay_alu instid0(VALU_DEP_1) | instskip(NEXT) | instid1(VALU_DEP_1)
	v_and_b32_e32 v1, 0xff, v1
	v_cmp_ne_u32_e32 vcc_lo, 0, v1
	s_and_b32 s15, vcc_lo, exec_lo
	s_delay_alu instid0(SALU_CYCLE_1)
	s_or_b32 s13, s13, s15
	s_or_b32 exec_lo, exec_lo, s14
	v_mov_b32_e32 v5, 0
	s_and_saveexec_b32 s14, s13
	s_cbranch_execnz .LBB223_1803
	s_branch .LBB223_1804
.LBB223_2018:
	s_and_not1_saveexec_b32 s7, s7
	s_cbranch_execz .LBB223_1909
.LBB223_2019:
	v_add_f32_e32 v0, 0x46000000, v1
	s_and_not1_b32 s6, s6, exec_lo
	s_delay_alu instid0(VALU_DEP_1) | instskip(NEXT) | instid1(VALU_DEP_1)
	v_and_b32_e32 v0, 0xff, v0
	v_cmp_ne_u32_e32 vcc_lo, 0, v0
	s_and_b32 s10, vcc_lo, exec_lo
	s_delay_alu instid0(SALU_CYCLE_1)
	s_or_b32 s6, s6, s10
	s_or_b32 exec_lo, exec_lo, s7
	v_mov_b32_e32 v4, 0
	s_and_saveexec_b32 s7, s6
	s_cbranch_execnz .LBB223_1910
	s_branch .LBB223_1911
.LBB223_2020:
	s_mov_b32 s3, 0
	s_or_b32 s1, s1, exec_lo
	s_trap 2
	s_branch .LBB223_1955
.LBB223_2021:
	s_and_not1_saveexec_b32 s6, s6
	s_cbranch_execz .LBB223_1921
.LBB223_2022:
	v_add_f32_e32 v0, 0x42800000, v1
	s_and_not1_b32 s5, s5, exec_lo
	s_delay_alu instid0(VALU_DEP_1) | instskip(NEXT) | instid1(VALU_DEP_1)
	v_and_b32_e32 v0, 0xff, v0
	v_cmp_ne_u32_e32 vcc_lo, 0, v0
	s_and_b32 s7, vcc_lo, exec_lo
	s_delay_alu instid0(SALU_CYCLE_1)
	s_or_b32 s5, s5, s7
	s_or_b32 exec_lo, exec_lo, s6
	v_mov_b32_e32 v4, 0
	s_and_saveexec_b32 s6, s5
	s_cbranch_execnz .LBB223_1922
	s_branch .LBB223_1923
	.section	.rodata,"a",@progbits
	.p2align	6, 0x0
	.amdhsa_kernel _ZN2at6native32elementwise_kernel_manual_unrollILi128ELi4EZNS0_15gpu_kernel_implINS0_13AUnaryFunctorIbbbNS0_12_GLOBAL__N_116CompareEqFunctorIbEEEEEEvRNS_18TensorIteratorBaseERKT_EUlibE0_EEviT1_
		.amdhsa_group_segment_fixed_size 0
		.amdhsa_private_segment_fixed_size 0
		.amdhsa_kernarg_size 368
		.amdhsa_user_sgpr_count 2
		.amdhsa_user_sgpr_dispatch_ptr 0
		.amdhsa_user_sgpr_queue_ptr 0
		.amdhsa_user_sgpr_kernarg_segment_ptr 1
		.amdhsa_user_sgpr_dispatch_id 0
		.amdhsa_user_sgpr_kernarg_preload_length 0
		.amdhsa_user_sgpr_kernarg_preload_offset 0
		.amdhsa_user_sgpr_private_segment_size 0
		.amdhsa_wavefront_size32 1
		.amdhsa_uses_dynamic_stack 0
		.amdhsa_enable_private_segment 0
		.amdhsa_system_sgpr_workgroup_id_x 1
		.amdhsa_system_sgpr_workgroup_id_y 0
		.amdhsa_system_sgpr_workgroup_id_z 0
		.amdhsa_system_sgpr_workgroup_info 0
		.amdhsa_system_vgpr_workitem_id 0
		.amdhsa_next_free_vgpr 20
		.amdhsa_next_free_sgpr 68
		.amdhsa_named_barrier_count 0
		.amdhsa_reserve_vcc 1
		.amdhsa_float_round_mode_32 0
		.amdhsa_float_round_mode_16_64 0
		.amdhsa_float_denorm_mode_32 3
		.amdhsa_float_denorm_mode_16_64 3
		.amdhsa_fp16_overflow 0
		.amdhsa_memory_ordered 1
		.amdhsa_forward_progress 1
		.amdhsa_inst_pref_size 255
		.amdhsa_round_robin_scheduling 0
		.amdhsa_exception_fp_ieee_invalid_op 0
		.amdhsa_exception_fp_denorm_src 0
		.amdhsa_exception_fp_ieee_div_zero 0
		.amdhsa_exception_fp_ieee_overflow 0
		.amdhsa_exception_fp_ieee_underflow 0
		.amdhsa_exception_fp_ieee_inexact 0
		.amdhsa_exception_int_div_zero 0
	.end_amdhsa_kernel
	.section	.text._ZN2at6native32elementwise_kernel_manual_unrollILi128ELi4EZNS0_15gpu_kernel_implINS0_13AUnaryFunctorIbbbNS0_12_GLOBAL__N_116CompareEqFunctorIbEEEEEEvRNS_18TensorIteratorBaseERKT_EUlibE0_EEviT1_,"axG",@progbits,_ZN2at6native32elementwise_kernel_manual_unrollILi128ELi4EZNS0_15gpu_kernel_implINS0_13AUnaryFunctorIbbbNS0_12_GLOBAL__N_116CompareEqFunctorIbEEEEEEvRNS_18TensorIteratorBaseERKT_EUlibE0_EEviT1_,comdat
.Lfunc_end223:
	.size	_ZN2at6native32elementwise_kernel_manual_unrollILi128ELi4EZNS0_15gpu_kernel_implINS0_13AUnaryFunctorIbbbNS0_12_GLOBAL__N_116CompareEqFunctorIbEEEEEEvRNS_18TensorIteratorBaseERKT_EUlibE0_EEviT1_, .Lfunc_end223-_ZN2at6native32elementwise_kernel_manual_unrollILi128ELi4EZNS0_15gpu_kernel_implINS0_13AUnaryFunctorIbbbNS0_12_GLOBAL__N_116CompareEqFunctorIbEEEEEEvRNS_18TensorIteratorBaseERKT_EUlibE0_EEviT1_
                                        ; -- End function
	.set _ZN2at6native32elementwise_kernel_manual_unrollILi128ELi4EZNS0_15gpu_kernel_implINS0_13AUnaryFunctorIbbbNS0_12_GLOBAL__N_116CompareEqFunctorIbEEEEEEvRNS_18TensorIteratorBaseERKT_EUlibE0_EEviT1_.num_vgpr, 20
	.set _ZN2at6native32elementwise_kernel_manual_unrollILi128ELi4EZNS0_15gpu_kernel_implINS0_13AUnaryFunctorIbbbNS0_12_GLOBAL__N_116CompareEqFunctorIbEEEEEEvRNS_18TensorIteratorBaseERKT_EUlibE0_EEviT1_.num_agpr, 0
	.set _ZN2at6native32elementwise_kernel_manual_unrollILi128ELi4EZNS0_15gpu_kernel_implINS0_13AUnaryFunctorIbbbNS0_12_GLOBAL__N_116CompareEqFunctorIbEEEEEEvRNS_18TensorIteratorBaseERKT_EUlibE0_EEviT1_.numbered_sgpr, 68
	.set _ZN2at6native32elementwise_kernel_manual_unrollILi128ELi4EZNS0_15gpu_kernel_implINS0_13AUnaryFunctorIbbbNS0_12_GLOBAL__N_116CompareEqFunctorIbEEEEEEvRNS_18TensorIteratorBaseERKT_EUlibE0_EEviT1_.num_named_barrier, 0
	.set _ZN2at6native32elementwise_kernel_manual_unrollILi128ELi4EZNS0_15gpu_kernel_implINS0_13AUnaryFunctorIbbbNS0_12_GLOBAL__N_116CompareEqFunctorIbEEEEEEvRNS_18TensorIteratorBaseERKT_EUlibE0_EEviT1_.private_seg_size, 0
	.set _ZN2at6native32elementwise_kernel_manual_unrollILi128ELi4EZNS0_15gpu_kernel_implINS0_13AUnaryFunctorIbbbNS0_12_GLOBAL__N_116CompareEqFunctorIbEEEEEEvRNS_18TensorIteratorBaseERKT_EUlibE0_EEviT1_.uses_vcc, 1
	.set _ZN2at6native32elementwise_kernel_manual_unrollILi128ELi4EZNS0_15gpu_kernel_implINS0_13AUnaryFunctorIbbbNS0_12_GLOBAL__N_116CompareEqFunctorIbEEEEEEvRNS_18TensorIteratorBaseERKT_EUlibE0_EEviT1_.uses_flat_scratch, 0
	.set _ZN2at6native32elementwise_kernel_manual_unrollILi128ELi4EZNS0_15gpu_kernel_implINS0_13AUnaryFunctorIbbbNS0_12_GLOBAL__N_116CompareEqFunctorIbEEEEEEvRNS_18TensorIteratorBaseERKT_EUlibE0_EEviT1_.has_dyn_sized_stack, 0
	.set _ZN2at6native32elementwise_kernel_manual_unrollILi128ELi4EZNS0_15gpu_kernel_implINS0_13AUnaryFunctorIbbbNS0_12_GLOBAL__N_116CompareEqFunctorIbEEEEEEvRNS_18TensorIteratorBaseERKT_EUlibE0_EEviT1_.has_recursion, 0
	.set _ZN2at6native32elementwise_kernel_manual_unrollILi128ELi4EZNS0_15gpu_kernel_implINS0_13AUnaryFunctorIbbbNS0_12_GLOBAL__N_116CompareEqFunctorIbEEEEEEvRNS_18TensorIteratorBaseERKT_EUlibE0_EEviT1_.has_indirect_call, 0
	.section	.AMDGPU.csdata,"",@progbits
; Kernel info:
; codeLenInByte = 36816
; TotalNumSgprs: 70
; NumVgprs: 20
; ScratchSize: 0
; MemoryBound: 1
; FloatMode: 240
; IeeeMode: 1
; LDSByteSize: 0 bytes/workgroup (compile time only)
; SGPRBlocks: 0
; VGPRBlocks: 1
; NumSGPRsForWavesPerEU: 70
; NumVGPRsForWavesPerEU: 20
; NamedBarCnt: 0
; Occupancy: 16
; WaveLimiterHint : 1
; COMPUTE_PGM_RSRC2:SCRATCH_EN: 0
; COMPUTE_PGM_RSRC2:USER_SGPR: 2
; COMPUTE_PGM_RSRC2:TRAP_HANDLER: 0
; COMPUTE_PGM_RSRC2:TGID_X_EN: 1
; COMPUTE_PGM_RSRC2:TGID_Y_EN: 0
; COMPUTE_PGM_RSRC2:TGID_Z_EN: 0
; COMPUTE_PGM_RSRC2:TIDIG_COMP_CNT: 0
	.text
	.p2align	2                               ; -- Begin function _ZN2at6native25elementwise_kernel_helperILb0ENS0_13BinaryFunctorIN3c1011Float8_e5m2ES4_bNS0_12_GLOBAL__N_116CompareEqFunctorIS4_EEEENS0_6memory8policies11unroll_baseILi256ESt5arrayIPcLm3EE23TrivialOffsetCalculatorILi2EjESF_ILi1EjENS9_15LoadWithoutCastENS9_16StoreWithoutCastELi16ELi1EEEEEvT0_T1_
	.type	_ZN2at6native25elementwise_kernel_helperILb0ENS0_13BinaryFunctorIN3c1011Float8_e5m2ES4_bNS0_12_GLOBAL__N_116CompareEqFunctorIS4_EEEENS0_6memory8policies11unroll_baseILi256ESt5arrayIPcLm3EE23TrivialOffsetCalculatorILi2EjESF_ILi1EjENS9_15LoadWithoutCastENS9_16StoreWithoutCastELi16ELi1EEEEEvT0_T1_,@function
_ZN2at6native25elementwise_kernel_helperILb0ENS0_13BinaryFunctorIN3c1011Float8_e5m2ES4_bNS0_12_GLOBAL__N_116CompareEqFunctorIS4_EEEENS0_6memory8policies11unroll_baseILi256ESt5arrayIPcLm3EE23TrivialOffsetCalculatorILi2EjESF_ILi1EjENS9_15LoadWithoutCastENS9_16StoreWithoutCastELi16ELi1EEEEEvT0_T1_: ; @_ZN2at6native25elementwise_kernel_helperILb0ENS0_13BinaryFunctorIN3c1011Float8_e5m2ES4_bNS0_12_GLOBAL__N_116CompareEqFunctorIS4_EEEENS0_6memory8policies11unroll_baseILi256ESt5arrayIPcLm3EE23TrivialOffsetCalculatorILi2EjESF_ILi1EjENS9_15LoadWithoutCastENS9_16StoreWithoutCastELi16ELi1EEEEEvT0_T1_
; %bb.0:
	s_wait_loadcnt_dscnt 0x0
	s_wait_kmcnt 0x0
	s_bfe_u32 s0, ttmp6, 0x4000c
	s_and_b32 s1, ttmp6, 15
	s_add_co_i32 s0, s0, 1
	s_getreg_b32 s2, hwreg(HW_REG_IB_STS2, 6, 4)
	s_mul_i32 s0, ttmp9, s0
	v_dual_mov_b32 v17, v6 :: v_dual_mov_b32 v16, v5
	s_add_co_i32 s1, s1, s0
	s_cmp_eq_u32 s2, 0
	v_and_b32_e32 v6, 0x3ff, v31
	v_mov_b32_e32 v30, 0
	s_cselect_b32 s0, ttmp9, s1
	v_dual_mov_b32 v19, v4 :: v_dual_mov_b32 v18, v3
	s_lshl_b32 s2, s0, 12
	v_dual_mov_b32 v9, v2 :: v_dual_mov_b32 v8, v1
	v_cmp_lt_i32_e32 vcc_lo, v6, v7
	v_dual_mov_b32 v2, 0 :: v_dual_bitop2_b32 v10, s2, v6 bitop3:0x54
	v_dual_mov_b32 v29, 0 :: v_dual_add_nc_u32 v24, 0x100, v6
	v_dual_mov_b32 v31, 0 :: v_dual_mov_b32 v32, 0
	v_dual_mov_b32 v34, 0 :: v_dual_mov_b32 v33, 0
	;; [unrolled: 1-line block ×14, first 2 shown]
	v_mov_b32_e32 v28, 0
	s_and_saveexec_b32 s1, vcc_lo
	s_cbranch_execz .LBB224_32
; %bb.1:
	v_mov_b32_e32 v11, 0
	s_delay_alu instid0(VALU_DEP_1) | instskip(SKIP_2) | instid1(VALU_DEP_3)
	v_dual_mov_b32 v28, v11 :: v_dual_add_nc_u32 v1, 0x100, v6
	v_add_nc_u64_e32 v[4:5], v[18:19], v[10:11]
	v_add_nc_u64_e32 v[12:13], v[16:17], v[10:11]
	v_cmp_lt_u32_e64 s0, v1, v7
	v_dual_mov_b32 v26, v11 :: v_dual_mov_b32 v27, v11
	v_dual_mov_b32 v14, v11 :: v_dual_mov_b32 v25, v11
	flat_load_u8 v65, v[4:5]
	flat_load_u8 v66, v[12:13]
	s_wait_xcnt 0x0
	v_dual_mov_b32 v13, v11 :: v_dual_mov_b32 v12, v11
	v_dual_mov_b32 v5, v11 :: v_dual_mov_b32 v55, v11
	;; [unrolled: 1-line block ×11, first 2 shown]
	v_mov_b32_e32 v30, v11
	s_and_saveexec_b32 s3, s0
	s_cbranch_execz .LBB224_31
; %bb.2:
	v_dual_mov_b32 v15, 0 :: v_dual_add_nc_u32 v14, s2, v6
	s_delay_alu instid0(VALU_DEP_1) | instskip(NEXT) | instid1(VALU_DEP_2)
	v_dual_mov_b32 v28, v15 :: v_dual_add_nc_u32 v1, 0x200, v6
	v_add_nc_u64_e32 v[20:21], v[18:19], v[14:15]
	v_add_nc_u64_e32 v[22:23], v[16:17], v[14:15]
	s_delay_alu instid0(VALU_DEP_3)
	v_cmp_lt_u32_e64 s0, v1, v7
	v_dual_mov_b32 v26, v15 :: v_dual_mov_b32 v27, v15
	flat_load_u8 v64, v[20:21] offset:256
	flat_load_u8 v55, v[22:23] offset:256
	v_dual_mov_b32 v14, v15 :: v_dual_mov_b32 v25, v15
	v_dual_mov_b32 v13, v15 :: v_dual_mov_b32 v12, v15
	;; [unrolled: 1-line block ×11, first 2 shown]
	v_mov_b32_e32 v30, v15
	s_wait_xcnt 0x0
	s_and_saveexec_b32 s4, s0
	s_cbranch_execz .LBB224_30
; %bb.3:
	flat_load_u8 v54, v[20:21] offset:512
	flat_load_u8 v53, v[22:23] offset:512
	v_dual_mov_b32 v28, 0 :: v_dual_add_nc_u32 v1, 0x300, v6
	v_dual_mov_b32 v15, 0 :: v_dual_mov_b32 v5, 0
	v_dual_mov_b32 v26, 0 :: v_dual_mov_b32 v27, 0
	s_delay_alu instid0(VALU_DEP_3)
	v_cmp_lt_u32_e64 s0, v1, v7
	v_dual_mov_b32 v14, 0 :: v_dual_mov_b32 v25, 0
	v_dual_mov_b32 v13, 0 :: v_dual_mov_b32 v12, 0
	;; [unrolled: 1-line block ×10, first 2 shown]
	s_wait_xcnt 0x0
	s_and_saveexec_b32 s5, s0
	s_cbranch_execz .LBB224_29
; %bb.4:
	flat_load_u8 v52, v[20:21] offset:768
	flat_load_u8 v51, v[22:23] offset:768
	v_or_b32_e32 v1, 0x400, v6
	v_dual_mov_b32 v15, 0 :: v_dual_mov_b32 v5, 0
	v_dual_mov_b32 v28, 0 :: v_dual_mov_b32 v26, 0
	s_delay_alu instid0(VALU_DEP_3)
	v_cmp_lt_u32_e64 s0, v1, v7
	v_dual_mov_b32 v27, 0 :: v_dual_mov_b32 v14, 0
	v_dual_mov_b32 v25, 0 :: v_dual_mov_b32 v13, 0
	;; [unrolled: 1-line block ×9, first 2 shown]
	v_mov_b32_e32 v30, 0
	s_wait_xcnt 0x0
	s_and_saveexec_b32 s6, s0
	s_cbranch_execz .LBB224_28
; %bb.5:
	flat_load_u8 v50, v[20:21] offset:1024
	flat_load_u8 v49, v[22:23] offset:1024
	v_dual_mov_b32 v28, 0 :: v_dual_add_nc_u32 v1, 0x500, v6
	v_dual_mov_b32 v15, 0 :: v_dual_mov_b32 v5, 0
	v_dual_mov_b32 v26, 0 :: v_dual_mov_b32 v27, 0
	s_delay_alu instid0(VALU_DEP_3)
	v_cmp_lt_u32_e64 s0, v1, v7
	v_dual_mov_b32 v14, 0 :: v_dual_mov_b32 v25, 0
	v_dual_mov_b32 v13, 0 :: v_dual_mov_b32 v12, 0
	;; [unrolled: 1-line block ×8, first 2 shown]
	s_wait_xcnt 0x0
	s_and_saveexec_b32 s7, s0
	s_cbranch_execz .LBB224_27
; %bb.6:
	flat_load_u8 v48, v[20:21] offset:1280
	flat_load_u8 v39, v[22:23] offset:1280
	v_dual_mov_b32 v28, 0 :: v_dual_add_nc_u32 v1, 0x600, v6
	v_dual_mov_b32 v15, 0 :: v_dual_mov_b32 v5, 0
	v_dual_mov_b32 v26, 0 :: v_dual_mov_b32 v27, 0
	;; [unrolled: 1-line block ×9, first 2 shown]
	s_mov_b32 s8, exec_lo
	s_wait_xcnt 0x0
	v_cmpx_lt_u32_e64 v1, v7
	s_cbranch_execz .LBB224_26
; %bb.7:
	flat_load_u8 v38, v[20:21] offset:1536
	flat_load_u8 v37, v[22:23] offset:1536
	v_dual_mov_b32 v28, 0 :: v_dual_add_nc_u32 v1, 0x700, v6
	v_dual_mov_b32 v15, 0 :: v_dual_mov_b32 v5, 0
	v_dual_mov_b32 v26, 0 :: v_dual_mov_b32 v27, 0
	;; [unrolled: 1-line block ×8, first 2 shown]
	s_mov_b32 s9, exec_lo
	s_wait_xcnt 0x0
	v_cmpx_lt_u32_e64 v1, v7
	s_cbranch_execz .LBB224_25
; %bb.8:
	flat_load_u8 v36, v[20:21] offset:1792
	flat_load_u8 v35, v[22:23] offset:1792
	v_or_b32_e32 v1, 0x800, v6
	v_dual_mov_b32 v15, 0 :: v_dual_mov_b32 v5, 0
	v_dual_mov_b32 v28, 0 :: v_dual_mov_b32 v26, 0
	;; [unrolled: 1-line block ×7, first 2 shown]
	v_mov_b32_e32 v30, 0
	s_mov_b32 s10, exec_lo
	s_wait_xcnt 0x0
	v_cmpx_lt_u32_e64 v1, v7
	s_cbranch_execz .LBB224_24
; %bb.9:
	flat_load_u8 v34, v[20:21] offset:2048
	flat_load_u8 v33, v[22:23] offset:2048
	v_dual_mov_b32 v28, 0 :: v_dual_add_nc_u32 v1, 0x900, v6
	v_dual_mov_b32 v15, 0 :: v_dual_mov_b32 v5, 0
	v_dual_mov_b32 v26, 0 :: v_dual_mov_b32 v27, 0
	;; [unrolled: 1-line block ×6, first 2 shown]
	s_mov_b32 s11, exec_lo
	s_wait_xcnt 0x0
	v_cmpx_lt_u32_e64 v1, v7
	s_cbranch_execz .LBB224_23
; %bb.10:
	flat_load_u8 v32, v[20:21] offset:2304
	flat_load_u8 v31, v[22:23] offset:2304
	v_dual_mov_b32 v28, 0 :: v_dual_add_nc_u32 v1, 0xa00, v6
	v_dual_mov_b32 v15, 0 :: v_dual_mov_b32 v5, 0
	v_dual_mov_b32 v26, 0 :: v_dual_mov_b32 v27, 0
	;; [unrolled: 1-line block ×5, first 2 shown]
	s_mov_b32 s12, exec_lo
	s_wait_xcnt 0x0
	v_cmpx_lt_u32_e64 v1, v7
	s_cbranch_execz .LBB224_22
; %bb.11:
	flat_load_u8 v30, v[20:21] offset:2560
	flat_load_u8 v29, v[22:23] offset:2560
	v_dual_mov_b32 v28, 0 :: v_dual_add_nc_u32 v1, 0xb00, v6
	v_dual_mov_b32 v15, 0 :: v_dual_mov_b32 v5, 0
	v_dual_mov_b32 v26, 0 :: v_dual_mov_b32 v27, 0
	;; [unrolled: 1-line block ×4, first 2 shown]
	s_mov_b32 s13, exec_lo
	s_wait_xcnt 0x0
	v_cmpx_lt_u32_e64 v1, v7
	s_cbranch_execz .LBB224_21
; %bb.12:
	flat_load_u8 v28, v[22:23] offset:2816
	flat_load_u8 v15, v[20:21] offset:2816
	v_or_b32_e32 v1, 0xc00, v6
	v_dual_mov_b32 v26, 0 :: v_dual_mov_b32 v5, 0
	v_dual_mov_b32 v27, 0 :: v_dual_mov_b32 v14, 0
	;; [unrolled: 1-line block ×3, first 2 shown]
	v_mov_b32_e32 v12, 0
	s_mov_b32 s14, exec_lo
	s_wait_xcnt 0x0
	v_cmpx_lt_u32_e64 v1, v7
	s_cbranch_execz .LBB224_20
; %bb.13:
	flat_load_u8 v27, v[22:23] offset:3072
	flat_load_u8 v26, v[20:21] offset:3072
	v_dual_mov_b32 v14, 0 :: v_dual_add_nc_u32 v1, 0xd00, v6
	v_dual_mov_b32 v5, 0 :: v_dual_mov_b32 v25, 0
	v_dual_mov_b32 v13, 0 :: v_dual_mov_b32 v12, 0
	s_mov_b32 s15, exec_lo
	s_wait_xcnt 0x0
	v_cmpx_lt_u32_e64 v1, v7
	s_cbranch_execz .LBB224_19
; %bb.14:
	v_dual_mov_b32 v13, 0 :: v_dual_add_nc_u32 v12, s2, v1
	v_add_nc_u32_e32 v1, 0xe00, v6
	s_mov_b32 s16, exec_lo
	s_delay_alu instid0(VALU_DEP_2)
	v_add_nc_u64_e32 v[4:5], v[16:17], v[12:13]
	v_add_nc_u64_e32 v[20:21], v[18:19], v[12:13]
	v_mov_b32_e32 v12, v13
	flat_load_u8 v25, v[4:5]
	flat_load_u8 v14, v[20:21]
	s_wait_xcnt 0x1
	v_mov_b32_e32 v5, v13
	s_wait_xcnt 0x0
	v_cmpx_lt_u32_e64 v1, v7
	s_cbranch_execz .LBB224_18
; %bb.15:
	v_dual_mov_b32 v5, 0 :: v_dual_add_nc_u32 v4, s2, v1
	v_add_nc_u32_e32 v1, 0xf00, v6
	s_mov_b32 s17, exec_lo
	s_delay_alu instid0(VALU_DEP_2)
	v_add_nc_u64_e32 v[20:21], v[16:17], v[4:5]
	v_add_nc_u64_e32 v[22:23], v[18:19], v[4:5]
	flat_load_u8 v12, v[20:21]
	flat_load_u8 v13, v[22:23]
	s_wait_xcnt 0x0
	v_cmpx_lt_u32_e64 v1, v7
	s_cbranch_execz .LBB224_17
; %bb.16:
	v_add_nc_u32_e32 v4, s2, v1
	s_delay_alu instid0(VALU_DEP_1)
	v_add_nc_u64_e32 v[18:19], v[18:19], v[4:5]
	v_add_nc_u64_e32 v[4:5], v[16:17], v[4:5]
	flat_load_u8 v1, v[18:19]
	flat_load_u8 v3, v[4:5]
	s_wait_loadcnt_dscnt 0x0
	v_perm_b32 v1, v3, v1, 0x5040100
	s_wait_xcnt 0x0
	s_delay_alu instid0(VALU_DEP_1)
	v_pk_lshlrev_b16 v5, 8, v1 op_sel_hi:[0,1]
.LBB224_17:
	s_or_b32 exec_lo, exec_lo, s17
.LBB224_18:
	s_delay_alu instid0(SALU_CYCLE_1)
	s_or_b32 exec_lo, exec_lo, s16
.LBB224_19:
	s_delay_alu instid0(SALU_CYCLE_1)
	s_or_b32 exec_lo, exec_lo, s15
.LBB224_20:
	s_delay_alu instid0(SALU_CYCLE_1)
	s_or_b32 exec_lo, exec_lo, s14
.LBB224_21:
	s_delay_alu instid0(SALU_CYCLE_1)
	s_or_b32 exec_lo, exec_lo, s13
.LBB224_22:
	s_delay_alu instid0(SALU_CYCLE_1)
	s_or_b32 exec_lo, exec_lo, s12
.LBB224_23:
	s_delay_alu instid0(SALU_CYCLE_1)
	s_or_b32 exec_lo, exec_lo, s11
.LBB224_24:
	s_delay_alu instid0(SALU_CYCLE_1)
	s_or_b32 exec_lo, exec_lo, s10
.LBB224_25:
	s_delay_alu instid0(SALU_CYCLE_1)
	s_or_b32 exec_lo, exec_lo, s9
.LBB224_26:
	s_delay_alu instid0(SALU_CYCLE_1)
	s_or_b32 exec_lo, exec_lo, s8
.LBB224_27:
	s_delay_alu instid0(SALU_CYCLE_1)
	s_or_b32 exec_lo, exec_lo, s7
.LBB224_28:
	s_delay_alu instid0(SALU_CYCLE_1)
	s_or_b32 exec_lo, exec_lo, s6
.LBB224_29:
	s_delay_alu instid0(SALU_CYCLE_1)
	s_or_b32 exec_lo, exec_lo, s5
.LBB224_30:
	s_delay_alu instid0(SALU_CYCLE_1)
	s_or_b32 exec_lo, exec_lo, s4
	s_wait_loadcnt_dscnt 0x0
	v_mov_b32_e32 v11, v15
.LBB224_31:
	s_or_b32 exec_lo, exec_lo, s3
.LBB224_32:
	s_delay_alu instid0(SALU_CYCLE_1)
	s_or_b32 exec_lo, exec_lo, s1
	v_cmp_eq_u32_e64 s0, 0, v0
	v_dual_mov_b32 v1, v2 :: v_dual_mov_b32 v4, v2
	v_mov_b32_e32 v3, v2
	s_and_saveexec_b32 s3, vcc_lo
	s_cbranch_execz .LBB224_34
; %bb.33:
	s_wait_loadcnt_dscnt 0x0
	v_dual_lshlrev_b32 v0, 25, v65 :: v_dual_lshlrev_b32 v1, 25, v66
	v_lshlrev_b16 v2, 8, v65
	v_lshlrev_b16 v4, 8, v66
	s_delay_alu instid0(VALU_DEP_3) | instskip(NEXT) | instid1(VALU_DEP_3)
	v_dual_lshrrev_b32 v3, 4, v0 :: v_dual_lshrrev_b32 v15, 4, v1
	v_and_or_b32 v16, 0x7f00, v2, 0.5
	s_delay_alu instid0(VALU_DEP_3) | instskip(SKIP_1) | instid1(VALU_DEP_4)
	v_and_or_b32 v17, 0x7f00, v4, 0.5
	v_cmp_gt_u32_e64 s1, 0x8000000, v0
	v_or_b32_e32 v3, 0x70000000, v3
	v_or_b32_e32 v15, 0x70000000, v15
	v_add_f32_e32 v16, -0.5, v16
	v_bfe_i32 v2, v2, 0, 16
	v_bfe_i32 v4, v4, 0, 16
	v_mul_f32_e32 v3, 0x7800000, v3
	v_add_f32_e32 v17, -0.5, v17
	v_mul_f32_e32 v15, 0x7800000, v15
	s_delay_alu instid0(VALU_DEP_3) | instskip(SKIP_1) | instid1(VALU_DEP_2)
	v_cndmask_b32_e64 v0, v3, v16, s1
	v_cmp_gt_u32_e64 s1, 0x8000000, v1
	v_and_or_b32 v0, 0x80000000, v2, v0
	s_delay_alu instid0(VALU_DEP_2) | instskip(NEXT) | instid1(VALU_DEP_1)
	v_cndmask_b32_e64 v1, v15, v17, s1
	v_and_or_b32 v1, 0x80000000, v4, v1
	s_delay_alu instid0(VALU_DEP_1) | instskip(NEXT) | instid1(VALU_DEP_1)
	v_cmp_eq_f32_e64 s1, v0, v1
	v_cndmask_b32_e64 v2, 0, 1, s1
	v_cmp_neq_f32_e64 s1, v0, v1
	s_delay_alu instid0(VALU_DEP_1) | instskip(NEXT) | instid1(VALU_DEP_1)
	v_cndmask_b32_e64 v0, 0, 1, s1
	v_dual_cndmask_b32 v0, v0, v2, s0 :: v_dual_mov_b32 v1, 0
	s_delay_alu instid0(VALU_DEP_1) | instskip(SKIP_1) | instid1(VALU_DEP_2)
	v_dual_mov_b32 v4, v1 :: v_dual_bitop2_b32 v0, 1, v0 bitop3:0x40
	v_mov_b32_e32 v3, v1
	v_and_b32_e32 v2, 0xffff, v0
.LBB224_34:
	s_or_b32 exec_lo, exec_lo, s3
	s_delay_alu instid0(SALU_CYCLE_1)
	s_mov_b32 s3, exec_lo
	v_cmpx_lt_i32_e64 v24, v7
	s_cbranch_execz .LBB224_36
; %bb.35:
	v_dual_lshlrev_b32 v0, 25, v64 :: v_dual_lshlrev_b32 v15, 25, v55
	v_lshlrev_b16 v16, 8, v64
	v_lshlrev_b16 v18, 8, v55
	s_delay_alu instid0(VALU_DEP_3) | instskip(NEXT) | instid1(VALU_DEP_3)
	v_dual_lshrrev_b32 v17, 4, v0 :: v_dual_lshrrev_b32 v19, 4, v15
	v_and_or_b32 v20, 0x7f00, v16, 0.5
	s_delay_alu instid0(VALU_DEP_3) | instskip(SKIP_1) | instid1(VALU_DEP_4)
	v_and_or_b32 v21, 0x7f00, v18, 0.5
	v_cmp_gt_u32_e64 s1, 0x8000000, v0
	v_or_b32_e32 v17, 0x70000000, v17
	v_or_b32_e32 v19, 0x70000000, v19
	v_add_f32_e32 v20, -0.5, v20
	v_bfe_i32 v16, v16, 0, 16
	v_bfe_i32 v18, v18, 0, 16
	v_mul_f32_e32 v17, 0x7800000, v17
	v_add_f32_e32 v21, -0.5, v21
	v_mul_f32_e32 v19, 0x7800000, v19
	s_delay_alu instid0(VALU_DEP_3) | instskip(SKIP_1) | instid1(VALU_DEP_2)
	v_cndmask_b32_e64 v0, v17, v20, s1
	v_cmp_gt_u32_e64 s1, 0x8000000, v15
	v_and_or_b32 v0, 0x80000000, v16, v0
	s_delay_alu instid0(VALU_DEP_2) | instskip(NEXT) | instid1(VALU_DEP_1)
	v_cndmask_b32_e64 v15, v19, v21, s1
	v_and_or_b32 v15, 0x80000000, v18, v15
	s_delay_alu instid0(VALU_DEP_1) | instskip(NEXT) | instid1(VALU_DEP_1)
	v_cmp_eq_f32_e64 s1, v0, v15
	v_cndmask_b32_e64 v16, 0, 1, s1
	v_cmp_neq_f32_e64 s1, v0, v15
	s_delay_alu instid0(VALU_DEP_1) | instskip(NEXT) | instid1(VALU_DEP_1)
	v_cndmask_b32_e64 v0, 0, 1, s1
	v_cndmask_b32_e64 v0, v0, v16, s0
	s_delay_alu instid0(VALU_DEP_1) | instskip(NEXT) | instid1(VALU_DEP_1)
	v_and_b32_e32 v0, 1, v0
	v_lshlrev_b16 v0, 8, v0
	s_delay_alu instid0(VALU_DEP_1) | instskip(NEXT) | instid1(VALU_DEP_1)
	v_bitop3_b16 v0, v2, v0, 0xff bitop3:0xec
	v_and_b32_e32 v0, 0xffff, v0
	s_delay_alu instid0(VALU_DEP_1)
	v_and_or_b32 v2, 0xffff0000, v2, v0
.LBB224_36:
	s_or_b32 exec_lo, exec_lo, s3
	v_add_nc_u32_e32 v0, 0x200, v6
	s_mov_b32 s3, exec_lo
	s_delay_alu instid0(VALU_DEP_1)
	v_cmpx_lt_i32_e64 v0, v7
	s_cbranch_execz .LBB224_38
; %bb.37:
	v_dual_lshlrev_b32 v0, 25, v54 :: v_dual_lshlrev_b32 v15, 25, v53
	v_lshlrev_b16 v16, 8, v54
	v_lshlrev_b16 v18, 8, v53
	s_delay_alu instid0(VALU_DEP_3) | instskip(NEXT) | instid1(VALU_DEP_3)
	v_dual_lshrrev_b32 v17, 4, v0 :: v_dual_lshrrev_b32 v19, 4, v15
	v_and_or_b32 v20, 0x7f00, v16, 0.5
	s_delay_alu instid0(VALU_DEP_3) | instskip(SKIP_1) | instid1(VALU_DEP_4)
	v_and_or_b32 v21, 0x7f00, v18, 0.5
	v_cmp_gt_u32_e64 s1, 0x8000000, v0
	v_or_b32_e32 v17, 0x70000000, v17
	v_or_b32_e32 v19, 0x70000000, v19
	v_add_f32_e32 v20, -0.5, v20
	v_bfe_i32 v16, v16, 0, 16
	v_bfe_i32 v18, v18, 0, 16
	v_mul_f32_e32 v17, 0x7800000, v17
	v_add_f32_e32 v21, -0.5, v21
	v_mul_f32_e32 v19, 0x7800000, v19
	s_delay_alu instid0(VALU_DEP_3) | instskip(SKIP_1) | instid1(VALU_DEP_2)
	v_cndmask_b32_e64 v0, v17, v20, s1
	v_cmp_gt_u32_e64 s1, 0x8000000, v15
	v_and_or_b32 v0, 0x80000000, v16, v0
	s_delay_alu instid0(VALU_DEP_2) | instskip(NEXT) | instid1(VALU_DEP_1)
	v_dual_lshrrev_b32 v16, 16, v2 :: v_dual_cndmask_b32 v15, v19, v21, s1
	v_and_or_b32 v15, 0x80000000, v18, v15
	s_delay_alu instid0(VALU_DEP_1) | instskip(NEXT) | instid1(VALU_DEP_1)
	v_cmp_eq_f32_e64 s1, v0, v15
	v_cndmask_b32_e64 v17, 0, 1, s1
	v_cmp_neq_f32_e64 s1, v0, v15
	v_and_b32_e32 v15, 0xffffff00, v16
	s_delay_alu instid0(VALU_DEP_2) | instskip(NEXT) | instid1(VALU_DEP_1)
	v_cndmask_b32_e64 v0, 0, 1, s1
	v_cndmask_b32_e64 v0, v0, v17, s0
	s_delay_alu instid0(VALU_DEP_1) | instskip(NEXT) | instid1(VALU_DEP_1)
	v_bitop3_b16 v0, v0, v15, 1 bitop3:0xec
	v_lshlrev_b32_e32 v0, 16, v0
	s_delay_alu instid0(VALU_DEP_1)
	v_and_or_b32 v2, 0xffff, v2, v0
.LBB224_38:
	s_or_b32 exec_lo, exec_lo, s3
	v_add_nc_u32_e32 v0, 0x300, v6
	s_mov_b32 s3, exec_lo
	s_delay_alu instid0(VALU_DEP_1)
	v_cmpx_lt_i32_e64 v0, v7
	s_cbranch_execz .LBB224_40
; %bb.39:
	v_dual_lshlrev_b32 v0, 25, v52 :: v_dual_lshlrev_b32 v15, 25, v51
	v_lshlrev_b16 v16, 8, v52
	v_lshlrev_b16 v18, 8, v51
	s_delay_alu instid0(VALU_DEP_3) | instskip(NEXT) | instid1(VALU_DEP_3)
	v_dual_lshrrev_b32 v17, 4, v0 :: v_dual_lshrrev_b32 v19, 4, v15
	v_and_or_b32 v20, 0x7f00, v16, 0.5
	s_delay_alu instid0(VALU_DEP_3) | instskip(SKIP_1) | instid1(VALU_DEP_4)
	v_and_or_b32 v21, 0x7f00, v18, 0.5
	v_cmp_gt_u32_e64 s1, 0x8000000, v0
	v_or_b32_e32 v17, 0x70000000, v17
	v_or_b32_e32 v19, 0x70000000, v19
	v_add_f32_e32 v20, -0.5, v20
	v_bfe_i32 v16, v16, 0, 16
	v_bfe_i32 v18, v18, 0, 16
	v_mul_f32_e32 v17, 0x7800000, v17
	v_add_f32_e32 v21, -0.5, v21
	v_mul_f32_e32 v19, 0x7800000, v19
	s_delay_alu instid0(VALU_DEP_3) | instskip(SKIP_1) | instid1(VALU_DEP_2)
	v_cndmask_b32_e64 v0, v17, v20, s1
	v_cmp_gt_u32_e64 s1, 0x8000000, v15
	v_and_or_b32 v0, 0x80000000, v16, v0
	s_delay_alu instid0(VALU_DEP_2) | instskip(NEXT) | instid1(VALU_DEP_1)
	v_cndmask_b32_e64 v15, v19, v21, s1
	v_and_or_b32 v15, 0x80000000, v18, v15
	s_delay_alu instid0(VALU_DEP_1) | instskip(NEXT) | instid1(VALU_DEP_1)
	v_cmp_eq_f32_e64 s1, v0, v15
	v_cndmask_b32_e64 v16, 0, 1, s1
	v_cmp_neq_f32_e64 s1, v0, v15
	v_lshrrev_b32_e32 v15, 16, v2
	s_delay_alu instid0(VALU_DEP_2) | instskip(NEXT) | instid1(VALU_DEP_1)
	v_cndmask_b32_e64 v0, 0, 1, s1
	v_cndmask_b32_e64 v0, v0, v16, s0
	s_delay_alu instid0(VALU_DEP_1) | instskip(NEXT) | instid1(VALU_DEP_1)
	v_and_b32_e32 v0, 1, v0
	v_lshlrev_b16 v0, 8, v0
	s_delay_alu instid0(VALU_DEP_1) | instskip(NEXT) | instid1(VALU_DEP_1)
	v_bitop3_b16 v0, v15, v0, 0xff bitop3:0xec
	v_lshlrev_b32_e32 v0, 16, v0
	s_delay_alu instid0(VALU_DEP_1)
	v_and_or_b32 v2, 0xffff, v2, v0
.LBB224_40:
	s_or_b32 exec_lo, exec_lo, s3
	v_or_b32_e32 v0, 0x400, v6
	s_mov_b32 s3, exec_lo
	s_delay_alu instid0(VALU_DEP_1)
	v_cmpx_lt_i32_e64 v0, v7
	s_cbranch_execz .LBB224_42
; %bb.41:
	v_dual_lshlrev_b32 v0, 25, v50 :: v_dual_lshlrev_b32 v15, 25, v49
	v_lshlrev_b16 v16, 8, v50
	v_lshlrev_b16 v18, 8, v49
	s_delay_alu instid0(VALU_DEP_3) | instskip(NEXT) | instid1(VALU_DEP_3)
	v_dual_lshrrev_b32 v17, 4, v0 :: v_dual_lshrrev_b32 v19, 4, v15
	v_and_or_b32 v20, 0x7f00, v16, 0.5
	s_delay_alu instid0(VALU_DEP_3) | instskip(SKIP_1) | instid1(VALU_DEP_4)
	v_and_or_b32 v21, 0x7f00, v18, 0.5
	v_cmp_gt_u32_e64 s1, 0x8000000, v0
	v_or_b32_e32 v17, 0x70000000, v17
	v_or_b32_e32 v19, 0x70000000, v19
	v_add_f32_e32 v20, -0.5, v20
	v_bfe_i32 v16, v16, 0, 16
	v_bfe_i32 v18, v18, 0, 16
	v_mul_f32_e32 v17, 0x7800000, v17
	v_add_f32_e32 v21, -0.5, v21
	v_mul_f32_e32 v19, 0x7800000, v19
	s_delay_alu instid0(VALU_DEP_3) | instskip(SKIP_1) | instid1(VALU_DEP_2)
	v_cndmask_b32_e64 v0, v17, v20, s1
	v_cmp_gt_u32_e64 s1, 0x8000000, v15
	v_and_or_b32 v0, 0x80000000, v16, v0
	s_delay_alu instid0(VALU_DEP_2) | instskip(NEXT) | instid1(VALU_DEP_1)
	v_cndmask_b32_e64 v15, v19, v21, s1
	v_and_or_b32 v15, 0x80000000, v18, v15
	s_delay_alu instid0(VALU_DEP_1) | instskip(NEXT) | instid1(VALU_DEP_1)
	v_cmp_eq_f32_e64 s1, v0, v15
	v_cndmask_b32_e64 v16, 0, 1, s1
	v_cmp_neq_f32_e64 s1, v0, v15
	v_and_b32_e32 v15, 0xffffff00, v1
	s_delay_alu instid0(VALU_DEP_2) | instskip(NEXT) | instid1(VALU_DEP_1)
	v_cndmask_b32_e64 v0, 0, 1, s1
	v_cndmask_b32_e64 v0, v0, v16, s0
	s_delay_alu instid0(VALU_DEP_1) | instskip(NEXT) | instid1(VALU_DEP_1)
	v_bitop3_b16 v0, v0, v15, 1 bitop3:0xec
	v_and_b32_e32 v0, 0xffff, v0
	s_delay_alu instid0(VALU_DEP_1)
	v_and_or_b32 v1, 0xffff0000, v1, v0
.LBB224_42:
	s_or_b32 exec_lo, exec_lo, s3
	v_add_nc_u32_e32 v0, 0x500, v6
	s_mov_b32 s3, exec_lo
	s_delay_alu instid0(VALU_DEP_1)
	v_cmpx_lt_i32_e64 v0, v7
	s_cbranch_execz .LBB224_44
; %bb.43:
	v_dual_lshlrev_b32 v0, 25, v48 :: v_dual_lshlrev_b32 v15, 25, v39
	v_lshlrev_b16 v16, 8, v48
	v_lshlrev_b16 v18, 8, v39
	s_delay_alu instid0(VALU_DEP_3) | instskip(NEXT) | instid1(VALU_DEP_3)
	v_dual_lshrrev_b32 v17, 4, v0 :: v_dual_lshrrev_b32 v19, 4, v15
	v_and_or_b32 v20, 0x7f00, v16, 0.5
	s_delay_alu instid0(VALU_DEP_3) | instskip(SKIP_1) | instid1(VALU_DEP_4)
	v_and_or_b32 v21, 0x7f00, v18, 0.5
	v_cmp_gt_u32_e64 s1, 0x8000000, v0
	v_or_b32_e32 v17, 0x70000000, v17
	v_or_b32_e32 v19, 0x70000000, v19
	v_add_f32_e32 v20, -0.5, v20
	v_bfe_i32 v16, v16, 0, 16
	v_bfe_i32 v18, v18, 0, 16
	v_mul_f32_e32 v17, 0x7800000, v17
	v_add_f32_e32 v21, -0.5, v21
	v_mul_f32_e32 v19, 0x7800000, v19
	s_delay_alu instid0(VALU_DEP_3) | instskip(SKIP_1) | instid1(VALU_DEP_2)
	v_cndmask_b32_e64 v0, v17, v20, s1
	v_cmp_gt_u32_e64 s1, 0x8000000, v15
	v_and_or_b32 v0, 0x80000000, v16, v0
	s_delay_alu instid0(VALU_DEP_2) | instskip(NEXT) | instid1(VALU_DEP_1)
	v_cndmask_b32_e64 v15, v19, v21, s1
	v_and_or_b32 v15, 0x80000000, v18, v15
	s_delay_alu instid0(VALU_DEP_1) | instskip(NEXT) | instid1(VALU_DEP_1)
	v_cmp_eq_f32_e64 s1, v0, v15
	v_cndmask_b32_e64 v16, 0, 1, s1
	v_cmp_neq_f32_e64 s1, v0, v15
	s_delay_alu instid0(VALU_DEP_1) | instskip(NEXT) | instid1(VALU_DEP_1)
	v_cndmask_b32_e64 v0, 0, 1, s1
	v_cndmask_b32_e64 v0, v0, v16, s0
	s_delay_alu instid0(VALU_DEP_1) | instskip(NEXT) | instid1(VALU_DEP_1)
	v_and_b32_e32 v0, 1, v0
	v_lshlrev_b16 v0, 8, v0
	s_delay_alu instid0(VALU_DEP_1) | instskip(NEXT) | instid1(VALU_DEP_1)
	v_bitop3_b16 v0, v1, v0, 0xff bitop3:0xec
	v_and_b32_e32 v0, 0xffff, v0
	s_delay_alu instid0(VALU_DEP_1)
	v_and_or_b32 v1, 0xffff0000, v1, v0
.LBB224_44:
	s_or_b32 exec_lo, exec_lo, s3
	v_add_nc_u32_e32 v0, 0x600, v6
	s_mov_b32 s3, exec_lo
	s_delay_alu instid0(VALU_DEP_1)
	v_cmpx_lt_i32_e64 v0, v7
	s_cbranch_execz .LBB224_46
; %bb.45:
	v_dual_lshlrev_b32 v0, 25, v38 :: v_dual_lshlrev_b32 v15, 25, v37
	v_lshlrev_b16 v16, 8, v38
	v_lshlrev_b16 v18, 8, v37
	s_delay_alu instid0(VALU_DEP_3) | instskip(NEXT) | instid1(VALU_DEP_3)
	v_dual_lshrrev_b32 v17, 4, v0 :: v_dual_lshrrev_b32 v19, 4, v15
	v_and_or_b32 v20, 0x7f00, v16, 0.5
	s_delay_alu instid0(VALU_DEP_3) | instskip(SKIP_1) | instid1(VALU_DEP_4)
	v_and_or_b32 v21, 0x7f00, v18, 0.5
	v_cmp_gt_u32_e64 s1, 0x8000000, v0
	v_or_b32_e32 v17, 0x70000000, v17
	v_or_b32_e32 v19, 0x70000000, v19
	v_add_f32_e32 v20, -0.5, v20
	v_bfe_i32 v16, v16, 0, 16
	v_bfe_i32 v18, v18, 0, 16
	v_mul_f32_e32 v17, 0x7800000, v17
	v_add_f32_e32 v21, -0.5, v21
	v_mul_f32_e32 v19, 0x7800000, v19
	s_delay_alu instid0(VALU_DEP_3) | instskip(SKIP_1) | instid1(VALU_DEP_2)
	v_cndmask_b32_e64 v0, v17, v20, s1
	v_cmp_gt_u32_e64 s1, 0x8000000, v15
	v_and_or_b32 v0, 0x80000000, v16, v0
	v_lshrrev_b32_e32 v16, 16, v1
	s_delay_alu instid0(VALU_DEP_3) | instskip(NEXT) | instid1(VALU_DEP_1)
	v_cndmask_b32_e64 v15, v19, v21, s1
	v_and_or_b32 v15, 0x80000000, v18, v15
	s_delay_alu instid0(VALU_DEP_1) | instskip(NEXT) | instid1(VALU_DEP_1)
	v_cmp_eq_f32_e64 s1, v0, v15
	v_cndmask_b32_e64 v17, 0, 1, s1
	v_cmp_neq_f32_e64 s1, v0, v15
	v_and_b32_e32 v15, 0xffffff00, v16
	s_delay_alu instid0(VALU_DEP_2) | instskip(NEXT) | instid1(VALU_DEP_1)
	v_cndmask_b32_e64 v0, 0, 1, s1
	v_cndmask_b32_e64 v0, v0, v17, s0
	s_delay_alu instid0(VALU_DEP_1) | instskip(NEXT) | instid1(VALU_DEP_1)
	v_bitop3_b16 v0, v0, v15, 1 bitop3:0xec
	v_lshlrev_b32_e32 v0, 16, v0
	s_delay_alu instid0(VALU_DEP_1)
	v_and_or_b32 v1, 0xffff, v1, v0
.LBB224_46:
	s_or_b32 exec_lo, exec_lo, s3
	v_add_nc_u32_e32 v0, 0x700, v6
	s_mov_b32 s3, exec_lo
	s_delay_alu instid0(VALU_DEP_1)
	v_cmpx_lt_i32_e64 v0, v7
	s_cbranch_execz .LBB224_48
; %bb.47:
	v_dual_lshlrev_b32 v0, 25, v36 :: v_dual_lshlrev_b32 v15, 25, v35
	v_lshlrev_b16 v16, 8, v36
	v_lshlrev_b16 v18, 8, v35
	s_delay_alu instid0(VALU_DEP_3) | instskip(NEXT) | instid1(VALU_DEP_3)
	v_dual_lshrrev_b32 v17, 4, v0 :: v_dual_lshrrev_b32 v19, 4, v15
	v_and_or_b32 v20, 0x7f00, v16, 0.5
	s_delay_alu instid0(VALU_DEP_3) | instskip(SKIP_1) | instid1(VALU_DEP_4)
	v_and_or_b32 v21, 0x7f00, v18, 0.5
	v_cmp_gt_u32_e64 s1, 0x8000000, v0
	v_or_b32_e32 v17, 0x70000000, v17
	v_or_b32_e32 v19, 0x70000000, v19
	v_add_f32_e32 v20, -0.5, v20
	v_bfe_i32 v16, v16, 0, 16
	v_bfe_i32 v18, v18, 0, 16
	v_mul_f32_e32 v17, 0x7800000, v17
	v_add_f32_e32 v21, -0.5, v21
	v_mul_f32_e32 v19, 0x7800000, v19
	s_delay_alu instid0(VALU_DEP_3) | instskip(SKIP_1) | instid1(VALU_DEP_2)
	v_cndmask_b32_e64 v0, v17, v20, s1
	v_cmp_gt_u32_e64 s1, 0x8000000, v15
	v_and_or_b32 v0, 0x80000000, v16, v0
	s_delay_alu instid0(VALU_DEP_2) | instskip(NEXT) | instid1(VALU_DEP_1)
	v_cndmask_b32_e64 v15, v19, v21, s1
	v_and_or_b32 v15, 0x80000000, v18, v15
	s_delay_alu instid0(VALU_DEP_1) | instskip(NEXT) | instid1(VALU_DEP_1)
	v_cmp_eq_f32_e64 s1, v0, v15
	v_cndmask_b32_e64 v16, 0, 1, s1
	v_cmp_neq_f32_e64 s1, v0, v15
	v_lshrrev_b32_e32 v15, 16, v1
	s_delay_alu instid0(VALU_DEP_2) | instskip(NEXT) | instid1(VALU_DEP_1)
	v_cndmask_b32_e64 v0, 0, 1, s1
	v_cndmask_b32_e64 v0, v0, v16, s0
	s_delay_alu instid0(VALU_DEP_1) | instskip(NEXT) | instid1(VALU_DEP_1)
	v_and_b32_e32 v0, 1, v0
	v_lshlrev_b16 v0, 8, v0
	s_delay_alu instid0(VALU_DEP_1) | instskip(NEXT) | instid1(VALU_DEP_1)
	v_bitop3_b16 v0, v15, v0, 0xff bitop3:0xec
	v_lshlrev_b32_e32 v0, 16, v0
	s_delay_alu instid0(VALU_DEP_1)
	v_and_or_b32 v1, 0xffff, v1, v0
.LBB224_48:
	s_or_b32 exec_lo, exec_lo, s3
	v_or_b32_e32 v0, 0x800, v6
	s_mov_b32 s3, exec_lo
	s_delay_alu instid0(VALU_DEP_1)
	v_cmpx_lt_i32_e64 v0, v7
	s_cbranch_execz .LBB224_50
; %bb.49:
	v_dual_lshlrev_b32 v0, 25, v34 :: v_dual_lshlrev_b32 v15, 25, v33
	v_lshlrev_b16 v16, 8, v34
	v_lshlrev_b16 v18, 8, v33
	s_delay_alu instid0(VALU_DEP_3) | instskip(NEXT) | instid1(VALU_DEP_3)
	v_dual_lshrrev_b32 v17, 4, v0 :: v_dual_lshrrev_b32 v19, 4, v15
	v_and_or_b32 v20, 0x7f00, v16, 0.5
	s_delay_alu instid0(VALU_DEP_3) | instskip(SKIP_1) | instid1(VALU_DEP_4)
	v_and_or_b32 v21, 0x7f00, v18, 0.5
	v_cmp_gt_u32_e64 s1, 0x8000000, v0
	v_or_b32_e32 v17, 0x70000000, v17
	v_or_b32_e32 v19, 0x70000000, v19
	v_add_f32_e32 v20, -0.5, v20
	v_bfe_i32 v16, v16, 0, 16
	v_bfe_i32 v18, v18, 0, 16
	v_mul_f32_e32 v17, 0x7800000, v17
	v_add_f32_e32 v21, -0.5, v21
	v_mul_f32_e32 v19, 0x7800000, v19
	s_delay_alu instid0(VALU_DEP_3) | instskip(SKIP_1) | instid1(VALU_DEP_2)
	v_cndmask_b32_e64 v0, v17, v20, s1
	v_cmp_gt_u32_e64 s1, 0x8000000, v15
	v_and_or_b32 v0, 0x80000000, v16, v0
	s_delay_alu instid0(VALU_DEP_2) | instskip(NEXT) | instid1(VALU_DEP_1)
	v_cndmask_b32_e64 v15, v19, v21, s1
	v_and_or_b32 v15, 0x80000000, v18, v15
	s_delay_alu instid0(VALU_DEP_1) | instskip(NEXT) | instid1(VALU_DEP_1)
	v_cmp_eq_f32_e64 s1, v0, v15
	v_cndmask_b32_e64 v16, 0, 1, s1
	v_cmp_neq_f32_e64 s1, v0, v15
	v_and_b32_e32 v15, 0xffffff00, v4
	s_delay_alu instid0(VALU_DEP_2) | instskip(NEXT) | instid1(VALU_DEP_1)
	v_cndmask_b32_e64 v0, 0, 1, s1
	v_cndmask_b32_e64 v0, v0, v16, s0
	s_delay_alu instid0(VALU_DEP_1) | instskip(NEXT) | instid1(VALU_DEP_1)
	v_bitop3_b16 v0, v0, v15, 1 bitop3:0xec
	v_and_b32_e32 v0, 0xffff, v0
	s_delay_alu instid0(VALU_DEP_1)
	v_and_or_b32 v4, 0xffff0000, v4, v0
.LBB224_50:
	s_or_b32 exec_lo, exec_lo, s3
	v_add_nc_u32_e32 v0, 0x900, v6
	s_mov_b32 s3, exec_lo
	s_delay_alu instid0(VALU_DEP_1)
	v_cmpx_lt_i32_e64 v0, v7
	s_cbranch_execz .LBB224_52
; %bb.51:
	v_dual_lshlrev_b32 v0, 25, v32 :: v_dual_lshlrev_b32 v15, 25, v31
	v_lshlrev_b16 v16, 8, v32
	v_lshlrev_b16 v18, 8, v31
	s_delay_alu instid0(VALU_DEP_3) | instskip(NEXT) | instid1(VALU_DEP_3)
	v_dual_lshrrev_b32 v17, 4, v0 :: v_dual_lshrrev_b32 v19, 4, v15
	v_and_or_b32 v20, 0x7f00, v16, 0.5
	s_delay_alu instid0(VALU_DEP_3) | instskip(SKIP_1) | instid1(VALU_DEP_4)
	v_and_or_b32 v21, 0x7f00, v18, 0.5
	v_cmp_gt_u32_e64 s1, 0x8000000, v0
	v_or_b32_e32 v17, 0x70000000, v17
	v_or_b32_e32 v19, 0x70000000, v19
	v_add_f32_e32 v20, -0.5, v20
	v_bfe_i32 v16, v16, 0, 16
	v_bfe_i32 v18, v18, 0, 16
	v_mul_f32_e32 v17, 0x7800000, v17
	v_add_f32_e32 v21, -0.5, v21
	v_mul_f32_e32 v19, 0x7800000, v19
	s_delay_alu instid0(VALU_DEP_3) | instskip(SKIP_1) | instid1(VALU_DEP_2)
	v_cndmask_b32_e64 v0, v17, v20, s1
	v_cmp_gt_u32_e64 s1, 0x8000000, v15
	v_and_or_b32 v0, 0x80000000, v16, v0
	s_delay_alu instid0(VALU_DEP_2) | instskip(NEXT) | instid1(VALU_DEP_1)
	v_cndmask_b32_e64 v15, v19, v21, s1
	v_and_or_b32 v15, 0x80000000, v18, v15
	s_delay_alu instid0(VALU_DEP_1) | instskip(NEXT) | instid1(VALU_DEP_1)
	v_cmp_eq_f32_e64 s1, v0, v15
	v_cndmask_b32_e64 v16, 0, 1, s1
	v_cmp_neq_f32_e64 s1, v0, v15
	s_delay_alu instid0(VALU_DEP_1) | instskip(NEXT) | instid1(VALU_DEP_1)
	v_cndmask_b32_e64 v0, 0, 1, s1
	v_cndmask_b32_e64 v0, v0, v16, s0
	s_delay_alu instid0(VALU_DEP_1) | instskip(NEXT) | instid1(VALU_DEP_1)
	v_and_b32_e32 v0, 1, v0
	v_lshlrev_b16 v0, 8, v0
	s_delay_alu instid0(VALU_DEP_1) | instskip(NEXT) | instid1(VALU_DEP_1)
	v_bitop3_b16 v0, v4, v0, 0xff bitop3:0xec
	v_and_b32_e32 v0, 0xffff, v0
	s_delay_alu instid0(VALU_DEP_1)
	v_and_or_b32 v4, 0xffff0000, v4, v0
.LBB224_52:
	s_or_b32 exec_lo, exec_lo, s3
	v_add_nc_u32_e32 v0, 0xa00, v6
	s_mov_b32 s3, exec_lo
	s_delay_alu instid0(VALU_DEP_1)
	v_cmpx_lt_i32_e64 v0, v7
	s_cbranch_execz .LBB224_54
; %bb.53:
	v_dual_lshlrev_b32 v0, 25, v30 :: v_dual_lshlrev_b32 v15, 25, v29
	v_lshlrev_b16 v16, 8, v30
	v_lshlrev_b16 v18, 8, v29
	s_delay_alu instid0(VALU_DEP_3) | instskip(NEXT) | instid1(VALU_DEP_3)
	v_dual_lshrrev_b32 v17, 4, v0 :: v_dual_lshrrev_b32 v19, 4, v15
	v_and_or_b32 v20, 0x7f00, v16, 0.5
	s_delay_alu instid0(VALU_DEP_3) | instskip(SKIP_1) | instid1(VALU_DEP_4)
	v_and_or_b32 v21, 0x7f00, v18, 0.5
	v_cmp_gt_u32_e64 s1, 0x8000000, v0
	v_or_b32_e32 v17, 0x70000000, v17
	v_or_b32_e32 v19, 0x70000000, v19
	v_add_f32_e32 v20, -0.5, v20
	v_bfe_i32 v16, v16, 0, 16
	v_bfe_i32 v18, v18, 0, 16
	v_mul_f32_e32 v17, 0x7800000, v17
	v_add_f32_e32 v21, -0.5, v21
	v_mul_f32_e32 v19, 0x7800000, v19
	s_delay_alu instid0(VALU_DEP_3) | instskip(SKIP_1) | instid1(VALU_DEP_2)
	v_cndmask_b32_e64 v0, v17, v20, s1
	v_cmp_gt_u32_e64 s1, 0x8000000, v15
	v_and_or_b32 v0, 0x80000000, v16, v0
	s_delay_alu instid0(VALU_DEP_2) | instskip(NEXT) | instid1(VALU_DEP_1)
	v_dual_lshrrev_b32 v16, 16, v4 :: v_dual_cndmask_b32 v15, v19, v21, s1
	v_and_or_b32 v15, 0x80000000, v18, v15
	s_delay_alu instid0(VALU_DEP_1) | instskip(NEXT) | instid1(VALU_DEP_1)
	v_cmp_eq_f32_e64 s1, v0, v15
	v_cndmask_b32_e64 v17, 0, 1, s1
	v_cmp_neq_f32_e64 s1, v0, v15
	v_and_b32_e32 v15, 0xffffff00, v16
	s_delay_alu instid0(VALU_DEP_2) | instskip(NEXT) | instid1(VALU_DEP_1)
	v_cndmask_b32_e64 v0, 0, 1, s1
	v_cndmask_b32_e64 v0, v0, v17, s0
	s_delay_alu instid0(VALU_DEP_1) | instskip(NEXT) | instid1(VALU_DEP_1)
	v_bitop3_b16 v0, v0, v15, 1 bitop3:0xec
	v_lshlrev_b32_e32 v0, 16, v0
	s_delay_alu instid0(VALU_DEP_1)
	v_and_or_b32 v4, 0xffff, v4, v0
.LBB224_54:
	s_or_b32 exec_lo, exec_lo, s3
	v_add_nc_u32_e32 v0, 0xb00, v6
	s_mov_b32 s3, exec_lo
	s_delay_alu instid0(VALU_DEP_1)
	v_cmpx_lt_i32_e64 v0, v7
	s_cbranch_execz .LBB224_56
; %bb.55:
	v_perm_b32 v0, v28, v11, 0x5040100
	v_dual_lshlrev_b32 v15, 25, v28 :: v_dual_lshlrev_b32 v11, 25, v11
	s_movk_i32 s1, 0x7f00
	s_mov_b32 s4, 0x7800000
	s_delay_alu instid0(VALU_DEP_2) | instskip(NEXT) | instid1(VALU_DEP_1)
	v_pk_lshlrev_b16 v0, 8, v0 op_sel_hi:[0,1]
	v_and_b32_e32 v16, 0x7f007f00, v0
	v_lshrrev_b32_e32 v17, 4, v15
	v_bitop3_b32 v19, v0, s1, 0x7f007f00 bitop3:0x80
	v_cmp_gt_u32_e64 s1, 0x8000000, v15
	s_delay_alu instid0(VALU_DEP_4) | instskip(NEXT) | instid1(VALU_DEP_4)
	v_dual_lshrrev_b32 v20, 16, v16 :: v_dual_lshrrev_b32 v18, 4, v11
	v_or_b32_e32 v17, 0x70000000, v17
	s_delay_alu instid0(VALU_DEP_2) | instskip(SKIP_1) | instid1(VALU_DEP_4)
	v_or_b32_e32 v16, 0x70000000, v18
	v_or_b32_e32 v18, 0.5, v19
	v_or_b32_e32 v19, 0.5, v20
	v_ashrrev_i32_e32 v20, 16, v0
	v_bfe_i32 v0, v0, 0, 16
	v_pk_mul_f32 v[16:17], v[16:17], s[4:5] op_sel_hi:[1,0]
	s_delay_alu instid0(VALU_DEP_4) | instskip(NEXT) | instid1(VALU_DEP_4)
	v_pk_add_f32 v[18:19], v[18:19], -0.5 op_sel_hi:[1,0]
	v_and_b32_e32 v20, 0x80000000, v20
	s_delay_alu instid0(VALU_DEP_4) | instskip(NEXT) | instid1(VALU_DEP_3)
	v_and_b32_e32 v0, 0x80000000, v0
	v_cndmask_b32_e64 v15, v17, v19, s1
	v_cmp_gt_u32_e64 s1, 0x8000000, v11
	s_delay_alu instid0(VALU_DEP_1) | instskip(NEXT) | instid1(VALU_DEP_3)
	v_cndmask_b32_e64 v11, v16, v18, s1
	v_or_b32_e32 v15, v20, v15
	s_delay_alu instid0(VALU_DEP_2) | instskip(NEXT) | instid1(VALU_DEP_1)
	v_or_b32_e32 v0, v0, v11
	v_cmp_eq_f32_e64 s1, v0, v15
	s_delay_alu instid0(VALU_DEP_1) | instskip(SKIP_1) | instid1(VALU_DEP_1)
	v_cndmask_b32_e64 v11, 0, 1, s1
	v_cmp_neq_f32_e64 s1, v0, v15
	v_cndmask_b32_e64 v0, 0, 1, s1
	s_delay_alu instid0(VALU_DEP_1) | instskip(NEXT) | instid1(VALU_DEP_1)
	v_dual_cndmask_b32 v0, v0, v11, s0 :: v_dual_lshrrev_b32 v11, 16, v4
	v_and_b32_e32 v0, 1, v0
	s_delay_alu instid0(VALU_DEP_1) | instskip(NEXT) | instid1(VALU_DEP_1)
	v_lshlrev_b16 v0, 8, v0
	v_bitop3_b16 v0, v11, v0, 0xff bitop3:0xec
	s_delay_alu instid0(VALU_DEP_1) | instskip(NEXT) | instid1(VALU_DEP_1)
	v_lshlrev_b32_e32 v0, 16, v0
	v_and_or_b32 v4, 0xffff, v4, v0
.LBB224_56:
	s_or_b32 exec_lo, exec_lo, s3
	v_or_b32_e32 v0, 0xc00, v6
	s_mov_b32 s3, exec_lo
	s_delay_alu instid0(VALU_DEP_1)
	v_cmpx_lt_i32_e64 v0, v7
	s_cbranch_execz .LBB224_58
; %bb.57:
	v_perm_b32 v0, v27, v26, 0x5040100
	v_dual_lshlrev_b32 v11, 25, v27 :: v_dual_lshlrev_b32 v15, 25, v26
	s_movk_i32 s1, 0x7f00
	s_mov_b32 s4, 0x7800000
	s_delay_alu instid0(VALU_DEP_2) | instskip(NEXT) | instid1(VALU_DEP_1)
	v_pk_lshlrev_b16 v0, 8, v0 op_sel_hi:[0,1]
	v_and_b32_e32 v16, 0x7f007f00, v0
	v_lshrrev_b32_e32 v17, 4, v11
	v_bitop3_b32 v19, v0, s1, 0x7f007f00 bitop3:0x80
	v_cmp_gt_u32_e64 s1, 0x8000000, v11
	s_delay_alu instid0(VALU_DEP_4) | instskip(NEXT) | instid1(VALU_DEP_4)
	v_dual_lshrrev_b32 v20, 16, v16 :: v_dual_lshrrev_b32 v18, 4, v15
	v_or_b32_e32 v17, 0x70000000, v17
	s_delay_alu instid0(VALU_DEP_2) | instskip(SKIP_1) | instid1(VALU_DEP_4)
	v_or_b32_e32 v16, 0x70000000, v18
	v_or_b32_e32 v18, 0.5, v19
	v_or_b32_e32 v19, 0.5, v20
	v_ashrrev_i32_e32 v20, 16, v0
	v_bfe_i32 v0, v0, 0, 16
	v_pk_mul_f32 v[16:17], v[16:17], s[4:5] op_sel_hi:[1,0]
	s_delay_alu instid0(VALU_DEP_4) | instskip(NEXT) | instid1(VALU_DEP_4)
	v_pk_add_f32 v[18:19], v[18:19], -0.5 op_sel_hi:[1,0]
	v_and_b32_e32 v20, 0x80000000, v20
	s_delay_alu instid0(VALU_DEP_4) | instskip(NEXT) | instid1(VALU_DEP_3)
	v_and_b32_e32 v0, 0x80000000, v0
	v_cndmask_b32_e64 v11, v17, v19, s1
	v_cmp_gt_u32_e64 s1, 0x8000000, v15
	s_delay_alu instid0(VALU_DEP_1) | instskip(NEXT) | instid1(VALU_DEP_3)
	v_cndmask_b32_e64 v15, v16, v18, s1
	v_or_b32_e32 v11, v20, v11
	s_delay_alu instid0(VALU_DEP_2) | instskip(NEXT) | instid1(VALU_DEP_1)
	v_or_b32_e32 v0, v0, v15
	v_cmp_eq_f32_e64 s1, v0, v11
	s_delay_alu instid0(VALU_DEP_1) | instskip(SKIP_2) | instid1(VALU_DEP_2)
	v_cndmask_b32_e64 v15, 0, 1, s1
	v_cmp_neq_f32_e64 s1, v0, v11
	v_and_b32_e32 v11, 0xffffff00, v3
	v_cndmask_b32_e64 v0, 0, 1, s1
	s_delay_alu instid0(VALU_DEP_1) | instskip(NEXT) | instid1(VALU_DEP_1)
	v_cndmask_b32_e64 v0, v0, v15, s0
	v_bitop3_b16 v0, v0, v11, 1 bitop3:0xec
	s_delay_alu instid0(VALU_DEP_1) | instskip(NEXT) | instid1(VALU_DEP_1)
	v_and_b32_e32 v0, 0xffff, v0
	v_and_or_b32 v3, 0xffff0000, v3, v0
.LBB224_58:
	s_or_b32 exec_lo, exec_lo, s3
	v_add_nc_u32_e32 v0, 0xd00, v6
	s_mov_b32 s3, exec_lo
	s_delay_alu instid0(VALU_DEP_1)
	v_cmpx_lt_i32_e64 v0, v7
	s_cbranch_execz .LBB224_60
; %bb.59:
	v_perm_b32 v0, v25, v14, 0x5040100
	v_dual_lshlrev_b32 v11, 25, v25 :: v_dual_lshlrev_b32 v18, 25, v14
	s_movk_i32 s1, 0x7f00
	s_mov_b32 s4, 0x7800000
	s_delay_alu instid0(VALU_DEP_2) | instskip(NEXT) | instid1(VALU_DEP_2)
	v_pk_lshlrev_b16 v0, 8, v0 op_sel_hi:[0,1]
	v_dual_lshrrev_b32 v15, 4, v11 :: v_dual_lshrrev_b32 v16, 4, v18
	s_delay_alu instid0(VALU_DEP_2) | instskip(SKIP_1) | instid1(VALU_DEP_3)
	v_and_b32_e32 v14, 0x7f007f00, v0
	v_bitop3_b32 v17, v0, s1, 0x7f007f00 bitop3:0x80
	v_or_b32_e32 v15, 0x70000000, v15
	v_cmp_gt_u32_e64 s1, 0x8000000, v11
	s_delay_alu instid0(VALU_DEP_4) | instskip(SKIP_2) | instid1(VALU_DEP_3)
	v_lshrrev_b32_e32 v19, 16, v14
	v_or_b32_e32 v14, 0x70000000, v16
	v_or_b32_e32 v16, 0.5, v17
	v_dual_ashrrev_i32 v19, 16, v0 :: v_dual_bitop2_b32 v17, 0.5, v19 bitop3:0x54
	s_delay_alu instid0(VALU_DEP_3) | instskip(SKIP_1) | instid1(VALU_DEP_3)
	v_pk_mul_f32 v[14:15], v[14:15], s[4:5] op_sel_hi:[1,0]
	v_bfe_i32 v0, v0, 0, 16
	v_pk_add_f32 v[16:17], v[16:17], -0.5 op_sel_hi:[1,0]
	s_delay_alu instid0(VALU_DEP_4) | instskip(NEXT) | instid1(VALU_DEP_3)
	v_and_b32_e32 v19, 0x80000000, v19
	v_and_b32_e32 v0, 0x80000000, v0
	s_delay_alu instid0(VALU_DEP_3) | instskip(SKIP_1) | instid1(VALU_DEP_1)
	v_cndmask_b32_e64 v11, v15, v17, s1
	v_cmp_gt_u32_e64 s1, 0x8000000, v18
	v_dual_cndmask_b32 v14, v14, v16, s1 :: v_dual_bitop2_b32 v11, v19, v11 bitop3:0x54
	s_delay_alu instid0(VALU_DEP_1) | instskip(NEXT) | instid1(VALU_DEP_1)
	v_or_b32_e32 v0, v0, v14
	v_cmp_eq_f32_e64 s1, v0, v11
	s_delay_alu instid0(VALU_DEP_1) | instskip(SKIP_1) | instid1(VALU_DEP_1)
	v_cndmask_b32_e64 v14, 0, 1, s1
	v_cmp_neq_f32_e64 s1, v0, v11
	v_cndmask_b32_e64 v0, 0, 1, s1
	s_delay_alu instid0(VALU_DEP_1) | instskip(NEXT) | instid1(VALU_DEP_1)
	v_cndmask_b32_e64 v0, v0, v14, s0
	v_and_b32_e32 v0, 1, v0
	s_delay_alu instid0(VALU_DEP_1) | instskip(NEXT) | instid1(VALU_DEP_1)
	v_lshlrev_b16 v0, 8, v0
	v_bitop3_b16 v0, v3, v0, 0xff bitop3:0xec
	s_delay_alu instid0(VALU_DEP_1) | instskip(NEXT) | instid1(VALU_DEP_1)
	v_and_b32_e32 v0, 0xffff, v0
	v_and_or_b32 v3, 0xffff0000, v3, v0
.LBB224_60:
	s_or_b32 exec_lo, exec_lo, s3
	v_add_nc_u32_e32 v0, 0xe00, v6
	s_mov_b32 s3, exec_lo
	s_delay_alu instid0(VALU_DEP_1)
	v_cmpx_lt_i32_e64 v0, v7
	s_cbranch_execz .LBB224_62
; %bb.61:
	v_perm_b32 v0, v12, v13, 0x5040100
	v_dual_lshlrev_b32 v11, 25, v12 :: v_dual_lshlrev_b32 v16, 25, v13
	s_movk_i32 s1, 0x7f00
	s_mov_b32 s4, 0x7800000
	s_delay_alu instid0(VALU_DEP_2) | instskip(NEXT) | instid1(VALU_DEP_2)
	v_pk_lshlrev_b16 v0, 8, v0 op_sel_hi:[0,1]
	v_dual_lshrrev_b32 v13, 4, v11 :: v_dual_lshrrev_b32 v14, 4, v16
	s_delay_alu instid0(VALU_DEP_2) | instskip(SKIP_1) | instid1(VALU_DEP_3)
	v_and_b32_e32 v12, 0x7f007f00, v0
	v_bitop3_b32 v15, v0, s1, 0x7f007f00 bitop3:0x80
	v_or_b32_e32 v13, 0x70000000, v13
	v_cmp_gt_u32_e64 s1, 0x8000000, v11
	s_delay_alu instid0(VALU_DEP_4) | instskip(SKIP_2) | instid1(VALU_DEP_3)
	v_lshrrev_b32_e32 v17, 16, v12
	v_or_b32_e32 v12, 0x70000000, v14
	v_or_b32_e32 v14, 0.5, v15
	v_dual_ashrrev_i32 v17, 16, v0 :: v_dual_bitop2_b32 v15, 0.5, v17 bitop3:0x54
	s_delay_alu instid0(VALU_DEP_3) | instskip(SKIP_1) | instid1(VALU_DEP_3)
	v_pk_mul_f32 v[12:13], v[12:13], s[4:5] op_sel_hi:[1,0]
	v_bfe_i32 v0, v0, 0, 16
	v_pk_add_f32 v[14:15], v[14:15], -0.5 op_sel_hi:[1,0]
	s_delay_alu instid0(VALU_DEP_4) | instskip(NEXT) | instid1(VALU_DEP_3)
	v_and_b32_e32 v17, 0x80000000, v17
	v_and_b32_e32 v0, 0x80000000, v0
	s_delay_alu instid0(VALU_DEP_3) | instskip(SKIP_1) | instid1(VALU_DEP_1)
	v_cndmask_b32_e64 v11, v13, v15, s1
	v_cmp_gt_u32_e64 s1, 0x8000000, v16
	v_dual_cndmask_b32 v12, v12, v14, s1 :: v_dual_bitop2_b32 v11, v17, v11 bitop3:0x54
	s_delay_alu instid0(VALU_DEP_1) | instskip(NEXT) | instid1(VALU_DEP_1)
	v_dual_lshrrev_b32 v12, 16, v3 :: v_dual_bitop2_b32 v0, v0, v12 bitop3:0x54
	v_cmp_eq_f32_e64 s1, v0, v11
	s_delay_alu instid0(VALU_DEP_1) | instskip(SKIP_1) | instid1(VALU_DEP_4)
	v_cndmask_b32_e64 v13, 0, 1, s1
	v_cmp_neq_f32_e64 s1, v0, v11
	v_and_b32_e32 v11, 0xffffff00, v12
	s_delay_alu instid0(VALU_DEP_2) | instskip(NEXT) | instid1(VALU_DEP_1)
	v_cndmask_b32_e64 v0, 0, 1, s1
	v_cndmask_b32_e64 v0, v0, v13, s0
	s_delay_alu instid0(VALU_DEP_1) | instskip(NEXT) | instid1(VALU_DEP_1)
	v_bitop3_b16 v0, v0, v11, 1 bitop3:0xec
	v_lshlrev_b32_e32 v0, 16, v0
	s_delay_alu instid0(VALU_DEP_1)
	v_and_or_b32 v3, 0xffff, v3, v0
.LBB224_62:
	s_or_b32 exec_lo, exec_lo, s3
	v_add_nc_u32_e32 v0, 0xf00, v6
	s_mov_b32 s3, exec_lo
	s_delay_alu instid0(VALU_DEP_1)
	v_cmpx_lt_i32_e64 v0, v7
	s_cbranch_execnz .LBB224_80
; %bb.63:
	s_or_b32 exec_lo, exec_lo, s3
	s_and_saveexec_b32 s0, vcc_lo
	s_delay_alu instid0(SALU_CYCLE_1)
	s_xor_b32 s0, exec_lo, s0
	s_cbranch_execnz .LBB224_81
.LBB224_64:
	s_or_b32 exec_lo, exec_lo, s0
	s_delay_alu instid0(SALU_CYCLE_1)
	s_mov_b32 s0, exec_lo
	v_cmpx_lt_i32_e64 v6, v7
	s_cbranch_execnz .LBB224_82
.LBB224_65:
	s_or_b32 exec_lo, exec_lo, s0
	s_delay_alu instid0(SALU_CYCLE_1)
	s_mov_b32 s0, exec_lo
	v_cmpx_lt_i32_e64 v6, v7
	s_cbranch_execnz .LBB224_83
.LBB224_66:
	s_or_b32 exec_lo, exec_lo, s0
	s_delay_alu instid0(SALU_CYCLE_1)
	s_mov_b32 s0, exec_lo
	v_cmpx_lt_i32_e64 v6, v7
	s_cbranch_execnz .LBB224_84
.LBB224_67:
	s_or_b32 exec_lo, exec_lo, s0
	s_delay_alu instid0(SALU_CYCLE_1)
	s_mov_b32 s0, exec_lo
	v_cmpx_lt_i32_e64 v6, v7
	s_cbranch_execnz .LBB224_85
.LBB224_68:
	s_or_b32 exec_lo, exec_lo, s0
	s_delay_alu instid0(SALU_CYCLE_1)
	s_mov_b32 s0, exec_lo
	v_cmpx_lt_i32_e64 v6, v7
	s_cbranch_execnz .LBB224_86
.LBB224_69:
	s_or_b32 exec_lo, exec_lo, s0
	s_delay_alu instid0(SALU_CYCLE_1)
	s_mov_b32 s0, exec_lo
	v_cmpx_lt_i32_e64 v6, v7
	s_cbranch_execnz .LBB224_87
.LBB224_70:
	s_or_b32 exec_lo, exec_lo, s0
	s_delay_alu instid0(SALU_CYCLE_1)
	s_mov_b32 s0, exec_lo
	v_cmpx_lt_i32_e64 v6, v7
	s_cbranch_execnz .LBB224_88
.LBB224_71:
	s_or_b32 exec_lo, exec_lo, s0
	s_delay_alu instid0(SALU_CYCLE_1)
	s_mov_b32 s0, exec_lo
	v_cmpx_lt_i32_e64 v6, v7
	s_cbranch_execnz .LBB224_89
.LBB224_72:
	s_or_b32 exec_lo, exec_lo, s0
	s_delay_alu instid0(SALU_CYCLE_1)
	s_mov_b32 s0, exec_lo
	v_cmpx_lt_i32_e64 v6, v7
	s_cbranch_execnz .LBB224_90
.LBB224_73:
	s_or_b32 exec_lo, exec_lo, s0
	s_delay_alu instid0(SALU_CYCLE_1)
	s_mov_b32 s0, exec_lo
	v_cmpx_lt_i32_e64 v6, v7
	s_cbranch_execnz .LBB224_91
.LBB224_74:
	s_or_b32 exec_lo, exec_lo, s0
	s_delay_alu instid0(SALU_CYCLE_1)
	s_mov_b32 s0, exec_lo
	v_cmpx_lt_i32_e64 v6, v7
	s_cbranch_execnz .LBB224_92
.LBB224_75:
	s_or_b32 exec_lo, exec_lo, s0
	s_delay_alu instid0(SALU_CYCLE_1)
	s_mov_b32 s0, exec_lo
	v_cmpx_lt_i32_e64 v6, v7
	s_cbranch_execnz .LBB224_93
.LBB224_76:
	s_or_b32 exec_lo, exec_lo, s0
	s_delay_alu instid0(SALU_CYCLE_1)
	s_mov_b32 s0, exec_lo
	v_cmpx_lt_i32_e64 v6, v7
	s_cbranch_execnz .LBB224_94
.LBB224_77:
	s_or_b32 exec_lo, exec_lo, s0
	s_delay_alu instid0(SALU_CYCLE_1)
	s_mov_b32 s0, exec_lo
	v_cmpx_lt_i32_e64 v6, v7
	s_cbranch_execnz .LBB224_95
.LBB224_78:
	s_or_b32 exec_lo, exec_lo, s0
	s_delay_alu instid0(SALU_CYCLE_1)
	s_mov_b32 s0, exec_lo
	v_cmpx_lt_i32_e64 v6, v7
	s_cbranch_execnz .LBB224_96
.LBB224_79:
	s_or_b32 exec_lo, exec_lo, s0
	s_wait_loadcnt_dscnt 0x0
	s_set_pc_i64 s[30:31]
.LBB224_80:
	v_dual_lshrrev_b32 v0, 16, v5 :: v_dual_lshlrev_b32 v11, 17, v5
	v_and_b32_e32 v12, 0x7f007f00, v5
	s_movk_i32 s1, 0x7f00
	s_mov_b32 s4, 0x7800000
	s_delay_alu instid0(VALU_DEP_2) | instskip(SKIP_2) | instid1(VALU_DEP_3)
	v_dual_lshlrev_b32 v0, 17, v0 :: v_dual_lshrrev_b32 v14, 4, v11
	v_bitop3_b32 v13, v5, s1, 0x7f007f00 bitop3:0x80
	v_lshrrev_b32_e32 v15, 16, v12
	v_lshrrev_b32_e32 v16, 4, v0
	s_delay_alu instid0(VALU_DEP_4) | instskip(NEXT) | instid1(VALU_DEP_4)
	v_or_b32_e32 v14, 0x70000000, v14
	v_or_b32_e32 v12, 0.5, v13
	s_delay_alu instid0(VALU_DEP_4) | instskip(SKIP_2) | instid1(VALU_DEP_3)
	v_or_b32_e32 v13, 0.5, v15
	v_cmp_gt_u32_e64 s1, 0x8000000, v0
	v_or_b32_e32 v15, 0x70000000, v16
	v_pk_add_f32 v[12:13], v[12:13], -0.5 op_sel_hi:[1,0]
	s_delay_alu instid0(VALU_DEP_2) | instskip(NEXT) | instid1(VALU_DEP_1)
	v_pk_mul_f32 v[14:15], v[14:15], s[4:5] op_sel_hi:[1,0]
	v_cndmask_b32_e64 v0, v15, v13, s1
	v_cmp_gt_u32_e64 s1, 0x8000000, v11
	v_ashrrev_i32_e32 v16, 16, v5
	v_bfe_i32 v5, v5, 0, 16
	s_delay_alu instid0(VALU_DEP_3) | instskip(NEXT) | instid1(VALU_DEP_3)
	v_cndmask_b32_e64 v11, v14, v12, s1
	v_and_b32_e32 v16, 0x80000000, v16
	s_delay_alu instid0(VALU_DEP_3) | instskip(NEXT) | instid1(VALU_DEP_1)
	v_and_b32_e32 v5, 0x80000000, v5
	v_or_b32_e32 v5, v5, v11
	s_delay_alu instid0(VALU_DEP_3) | instskip(NEXT) | instid1(VALU_DEP_1)
	v_or_b32_e32 v0, v16, v0
	v_cmp_eq_f32_e64 s1, v5, v0
	s_delay_alu instid0(VALU_DEP_1) | instskip(SKIP_2) | instid1(VALU_DEP_2)
	v_cndmask_b32_e64 v11, 0, 1, s1
	v_cmp_neq_f32_e64 s1, v5, v0
	v_lshrrev_b32_e32 v5, 16, v3
	v_cndmask_b32_e64 v0, 0, 1, s1
	s_delay_alu instid0(VALU_DEP_1) | instskip(NEXT) | instid1(VALU_DEP_1)
	v_cndmask_b32_e64 v0, v0, v11, s0
	v_and_b32_e32 v0, 1, v0
	s_delay_alu instid0(VALU_DEP_1) | instskip(NEXT) | instid1(VALU_DEP_1)
	v_lshlrev_b16 v0, 8, v0
	v_bitop3_b16 v0, v5, v0, 0xff bitop3:0xec
	s_delay_alu instid0(VALU_DEP_1) | instskip(NEXT) | instid1(VALU_DEP_1)
	v_lshlrev_b32_e32 v0, 16, v0
	v_and_or_b32 v3, 0xffff, v3, v0
	s_or_b32 exec_lo, exec_lo, s3
	s_and_saveexec_b32 s0, vcc_lo
	s_delay_alu instid0(SALU_CYCLE_1)
	s_xor_b32 s0, exec_lo, s0
	s_cbranch_execz .LBB224_64
.LBB224_81:
	v_dual_mov_b32 v11, 0 :: v_dual_mov_b32 v6, v24
	s_delay_alu instid0(VALU_DEP_1) | instskip(SKIP_3) | instid1(SALU_CYCLE_1)
	v_add_nc_u64_e32 v[10:11], v[8:9], v[10:11]
	flat_store_b8 v[10:11], v2
	s_wait_xcnt 0x0
	s_or_b32 exec_lo, exec_lo, s0
	s_mov_b32 s0, exec_lo
	v_cmpx_lt_i32_e64 v6, v7
	s_cbranch_execz .LBB224_65
.LBB224_82:
	v_dual_mov_b32 v11, 0 :: v_dual_add_nc_u32 v10, s2, v6
	v_lshrrev_b32_e32 v0, 8, v2
	v_add_nc_u32_e32 v6, 0x100, v6
	s_delay_alu instid0(VALU_DEP_3) | instskip(SKIP_3) | instid1(SALU_CYCLE_1)
	v_add_nc_u64_e32 v[10:11], v[8:9], v[10:11]
	flat_store_b8 v[10:11], v0
	s_wait_xcnt 0x0
	s_or_b32 exec_lo, exec_lo, s0
	s_mov_b32 s0, exec_lo
	v_cmpx_lt_i32_e64 v6, v7
	s_cbranch_execz .LBB224_66
.LBB224_83:
	v_dual_mov_b32 v11, 0 :: v_dual_add_nc_u32 v10, s2, v6
	v_add_nc_u32_e32 v6, 0x100, v6
	s_delay_alu instid0(VALU_DEP_2) | instskip(SKIP_3) | instid1(SALU_CYCLE_1)
	v_add_nc_u64_e32 v[10:11], v[8:9], v[10:11]
	flat_store_d16_hi_b8 v[10:11], v2
	s_wait_xcnt 0x0
	s_or_b32 exec_lo, exec_lo, s0
	s_mov_b32 s0, exec_lo
	v_cmpx_lt_i32_e64 v6, v7
	s_cbranch_execz .LBB224_67
.LBB224_84:
	v_dual_mov_b32 v11, 0 :: v_dual_add_nc_u32 v10, s2, v6
	v_lshrrev_b32_e32 v0, 24, v2
	v_add_nc_u32_e32 v6, 0x100, v6
	s_delay_alu instid0(VALU_DEP_3) | instskip(SKIP_3) | instid1(SALU_CYCLE_1)
	v_add_nc_u64_e32 v[10:11], v[8:9], v[10:11]
	flat_store_b8 v[10:11], v0
	s_wait_xcnt 0x0
	s_or_b32 exec_lo, exec_lo, s0
	s_mov_b32 s0, exec_lo
	v_cmpx_lt_i32_e64 v6, v7
	s_cbranch_execz .LBB224_68
.LBB224_85:
	v_dual_mov_b32 v11, 0 :: v_dual_add_nc_u32 v10, s2, v6
	v_add_nc_u32_e32 v6, 0x100, v6
	s_delay_alu instid0(VALU_DEP_2) | instskip(SKIP_3) | instid1(SALU_CYCLE_1)
	v_add_nc_u64_e32 v[10:11], v[8:9], v[10:11]
	flat_store_b8 v[10:11], v1
	s_wait_xcnt 0x0
	s_or_b32 exec_lo, exec_lo, s0
	s_mov_b32 s0, exec_lo
	v_cmpx_lt_i32_e64 v6, v7
	s_cbranch_execz .LBB224_69
.LBB224_86:
	v_dual_mov_b32 v11, 0 :: v_dual_add_nc_u32 v10, s2, v6
	v_lshrrev_b32_e32 v0, 8, v1
	v_add_nc_u32_e32 v6, 0x100, v6
	s_delay_alu instid0(VALU_DEP_3) | instskip(SKIP_3) | instid1(SALU_CYCLE_1)
	v_add_nc_u64_e32 v[10:11], v[8:9], v[10:11]
	flat_store_b8 v[10:11], v0
	s_wait_xcnt 0x0
	s_or_b32 exec_lo, exec_lo, s0
	s_mov_b32 s0, exec_lo
	v_cmpx_lt_i32_e64 v6, v7
	s_cbranch_execz .LBB224_70
.LBB224_87:
	v_dual_mov_b32 v11, 0 :: v_dual_add_nc_u32 v10, s2, v6
	v_add_nc_u32_e32 v6, 0x100, v6
	s_delay_alu instid0(VALU_DEP_2) | instskip(SKIP_3) | instid1(SALU_CYCLE_1)
	v_add_nc_u64_e32 v[10:11], v[8:9], v[10:11]
	flat_store_d16_hi_b8 v[10:11], v1
	s_wait_xcnt 0x0
	s_or_b32 exec_lo, exec_lo, s0
	s_mov_b32 s0, exec_lo
	v_cmpx_lt_i32_e64 v6, v7
	s_cbranch_execz .LBB224_71
.LBB224_88:
	v_dual_mov_b32 v11, 0 :: v_dual_add_nc_u32 v10, s2, v6
	v_lshrrev_b32_e32 v0, 24, v1
	v_add_nc_u32_e32 v6, 0x100, v6
	s_delay_alu instid0(VALU_DEP_3) | instskip(SKIP_3) | instid1(SALU_CYCLE_1)
	v_add_nc_u64_e32 v[10:11], v[8:9], v[10:11]
	flat_store_b8 v[10:11], v0
	s_wait_xcnt 0x0
	s_or_b32 exec_lo, exec_lo, s0
	s_mov_b32 s0, exec_lo
	v_cmpx_lt_i32_e64 v6, v7
	s_cbranch_execz .LBB224_72
.LBB224_89:
	v_dual_mov_b32 v1, 0 :: v_dual_add_nc_u32 v0, s2, v6
	v_add_nc_u32_e32 v6, 0x100, v6
	s_delay_alu instid0(VALU_DEP_2) | instskip(SKIP_3) | instid1(SALU_CYCLE_1)
	v_add_nc_u64_e32 v[0:1], v[8:9], v[0:1]
	flat_store_b8 v[0:1], v4
	s_wait_xcnt 0x0
	s_or_b32 exec_lo, exec_lo, s0
	s_mov_b32 s0, exec_lo
	v_cmpx_lt_i32_e64 v6, v7
	s_cbranch_execz .LBB224_73
.LBB224_90:
	v_dual_mov_b32 v1, 0 :: v_dual_add_nc_u32 v0, s2, v6
	v_lshrrev_b32_e32 v2, 8, v4
	v_add_nc_u32_e32 v6, 0x100, v6
	s_delay_alu instid0(VALU_DEP_3) | instskip(SKIP_3) | instid1(SALU_CYCLE_1)
	v_add_nc_u64_e32 v[0:1], v[8:9], v[0:1]
	flat_store_b8 v[0:1], v2
	s_wait_xcnt 0x0
	s_or_b32 exec_lo, exec_lo, s0
	s_mov_b32 s0, exec_lo
	v_cmpx_lt_i32_e64 v6, v7
	s_cbranch_execz .LBB224_74
.LBB224_91:
	v_dual_mov_b32 v1, 0 :: v_dual_add_nc_u32 v0, s2, v6
	v_add_nc_u32_e32 v6, 0x100, v6
	s_delay_alu instid0(VALU_DEP_2) | instskip(SKIP_3) | instid1(SALU_CYCLE_1)
	v_add_nc_u64_e32 v[0:1], v[8:9], v[0:1]
	flat_store_d16_hi_b8 v[0:1], v4
	s_wait_xcnt 0x0
	s_or_b32 exec_lo, exec_lo, s0
	s_mov_b32 s0, exec_lo
	v_cmpx_lt_i32_e64 v6, v7
	s_cbranch_execz .LBB224_75
.LBB224_92:
	v_dual_mov_b32 v1, 0 :: v_dual_add_nc_u32 v0, s2, v6
	v_lshrrev_b32_e32 v2, 24, v4
	v_add_nc_u32_e32 v6, 0x100, v6
	s_delay_alu instid0(VALU_DEP_3) | instskip(SKIP_3) | instid1(SALU_CYCLE_1)
	v_add_nc_u64_e32 v[0:1], v[8:9], v[0:1]
	flat_store_b8 v[0:1], v2
	s_wait_xcnt 0x0
	s_or_b32 exec_lo, exec_lo, s0
	s_mov_b32 s0, exec_lo
	v_cmpx_lt_i32_e64 v6, v7
	s_cbranch_execz .LBB224_76
.LBB224_93:
	v_dual_mov_b32 v1, 0 :: v_dual_add_nc_u32 v0, s2, v6
	v_add_nc_u32_e32 v6, 0x100, v6
	s_delay_alu instid0(VALU_DEP_2) | instskip(SKIP_3) | instid1(SALU_CYCLE_1)
	v_add_nc_u64_e32 v[0:1], v[8:9], v[0:1]
	flat_store_b8 v[0:1], v3
	s_wait_xcnt 0x0
	s_or_b32 exec_lo, exec_lo, s0
	s_mov_b32 s0, exec_lo
	v_cmpx_lt_i32_e64 v6, v7
	s_cbranch_execz .LBB224_77
.LBB224_94:
	v_dual_mov_b32 v1, 0 :: v_dual_add_nc_u32 v0, s2, v6
	v_lshrrev_b32_e32 v2, 8, v3
	v_add_nc_u32_e32 v6, 0x100, v6
	s_delay_alu instid0(VALU_DEP_3) | instskip(SKIP_3) | instid1(SALU_CYCLE_1)
	v_add_nc_u64_e32 v[0:1], v[8:9], v[0:1]
	flat_store_b8 v[0:1], v2
	s_wait_xcnt 0x0
	s_or_b32 exec_lo, exec_lo, s0
	s_mov_b32 s0, exec_lo
	v_cmpx_lt_i32_e64 v6, v7
	s_cbranch_execz .LBB224_78
.LBB224_95:
	v_dual_mov_b32 v1, 0 :: v_dual_add_nc_u32 v0, s2, v6
	v_add_nc_u32_e32 v6, 0x100, v6
	s_delay_alu instid0(VALU_DEP_2) | instskip(SKIP_3) | instid1(SALU_CYCLE_1)
	v_add_nc_u64_e32 v[0:1], v[8:9], v[0:1]
	flat_store_d16_hi_b8 v[0:1], v3
	s_wait_xcnt 0x0
	s_or_b32 exec_lo, exec_lo, s0
	s_mov_b32 s0, exec_lo
	v_cmpx_lt_i32_e64 v6, v7
	s_cbranch_execz .LBB224_79
.LBB224_96:
	v_dual_mov_b32 v1, 0 :: v_dual_add_nc_u32 v0, s2, v6
	v_lshrrev_b32_e32 v2, 24, v3
	s_delay_alu instid0(VALU_DEP_2)
	v_add_nc_u64_e32 v[0:1], v[8:9], v[0:1]
	flat_store_b8 v[0:1], v2
	s_wait_xcnt 0x0
	s_or_b32 exec_lo, exec_lo, s0
	s_wait_loadcnt_dscnt 0x0
	s_set_pc_i64 s[30:31]
.Lfunc_end224:
	.size	_ZN2at6native25elementwise_kernel_helperILb0ENS0_13BinaryFunctorIN3c1011Float8_e5m2ES4_bNS0_12_GLOBAL__N_116CompareEqFunctorIS4_EEEENS0_6memory8policies11unroll_baseILi256ESt5arrayIPcLm3EE23TrivialOffsetCalculatorILi2EjESF_ILi1EjENS9_15LoadWithoutCastENS9_16StoreWithoutCastELi16ELi1EEEEEvT0_T1_, .Lfunc_end224-_ZN2at6native25elementwise_kernel_helperILb0ENS0_13BinaryFunctorIN3c1011Float8_e5m2ES4_bNS0_12_GLOBAL__N_116CompareEqFunctorIS4_EEEENS0_6memory8policies11unroll_baseILi256ESt5arrayIPcLm3EE23TrivialOffsetCalculatorILi2EjESF_ILi1EjENS9_15LoadWithoutCastENS9_16StoreWithoutCastELi16ELi1EEEEEvT0_T1_
                                        ; -- End function
	.set .L_ZN2at6native25elementwise_kernel_helperILb0ENS0_13BinaryFunctorIN3c1011Float8_e5m2ES4_bNS0_12_GLOBAL__N_116CompareEqFunctorIS4_EEEENS0_6memory8policies11unroll_baseILi256ESt5arrayIPcLm3EE23TrivialOffsetCalculatorILi2EjESF_ILi1EjENS9_15LoadWithoutCastENS9_16StoreWithoutCastELi16ELi1EEEEEvT0_T1_.num_vgpr, 67
	.set .L_ZN2at6native25elementwise_kernel_helperILb0ENS0_13BinaryFunctorIN3c1011Float8_e5m2ES4_bNS0_12_GLOBAL__N_116CompareEqFunctorIS4_EEEENS0_6memory8policies11unroll_baseILi256ESt5arrayIPcLm3EE23TrivialOffsetCalculatorILi2EjESF_ILi1EjENS9_15LoadWithoutCastENS9_16StoreWithoutCastELi16ELi1EEEEEvT0_T1_.num_agpr, 0
	.set .L_ZN2at6native25elementwise_kernel_helperILb0ENS0_13BinaryFunctorIN3c1011Float8_e5m2ES4_bNS0_12_GLOBAL__N_116CompareEqFunctorIS4_EEEENS0_6memory8policies11unroll_baseILi256ESt5arrayIPcLm3EE23TrivialOffsetCalculatorILi2EjESF_ILi1EjENS9_15LoadWithoutCastENS9_16StoreWithoutCastELi16ELi1EEEEEvT0_T1_.numbered_sgpr, 32
	.set .L_ZN2at6native25elementwise_kernel_helperILb0ENS0_13BinaryFunctorIN3c1011Float8_e5m2ES4_bNS0_12_GLOBAL__N_116CompareEqFunctorIS4_EEEENS0_6memory8policies11unroll_baseILi256ESt5arrayIPcLm3EE23TrivialOffsetCalculatorILi2EjESF_ILi1EjENS9_15LoadWithoutCastENS9_16StoreWithoutCastELi16ELi1EEEEEvT0_T1_.num_named_barrier, 0
	.set .L_ZN2at6native25elementwise_kernel_helperILb0ENS0_13BinaryFunctorIN3c1011Float8_e5m2ES4_bNS0_12_GLOBAL__N_116CompareEqFunctorIS4_EEEENS0_6memory8policies11unroll_baseILi256ESt5arrayIPcLm3EE23TrivialOffsetCalculatorILi2EjESF_ILi1EjENS9_15LoadWithoutCastENS9_16StoreWithoutCastELi16ELi1EEEEEvT0_T1_.private_seg_size, 0
	.set .L_ZN2at6native25elementwise_kernel_helperILb0ENS0_13BinaryFunctorIN3c1011Float8_e5m2ES4_bNS0_12_GLOBAL__N_116CompareEqFunctorIS4_EEEENS0_6memory8policies11unroll_baseILi256ESt5arrayIPcLm3EE23TrivialOffsetCalculatorILi2EjESF_ILi1EjENS9_15LoadWithoutCastENS9_16StoreWithoutCastELi16ELi1EEEEEvT0_T1_.uses_vcc, 1
	.set .L_ZN2at6native25elementwise_kernel_helperILb0ENS0_13BinaryFunctorIN3c1011Float8_e5m2ES4_bNS0_12_GLOBAL__N_116CompareEqFunctorIS4_EEEENS0_6memory8policies11unroll_baseILi256ESt5arrayIPcLm3EE23TrivialOffsetCalculatorILi2EjESF_ILi1EjENS9_15LoadWithoutCastENS9_16StoreWithoutCastELi16ELi1EEEEEvT0_T1_.uses_flat_scratch, 0
	.set .L_ZN2at6native25elementwise_kernel_helperILb0ENS0_13BinaryFunctorIN3c1011Float8_e5m2ES4_bNS0_12_GLOBAL__N_116CompareEqFunctorIS4_EEEENS0_6memory8policies11unroll_baseILi256ESt5arrayIPcLm3EE23TrivialOffsetCalculatorILi2EjESF_ILi1EjENS9_15LoadWithoutCastENS9_16StoreWithoutCastELi16ELi1EEEEEvT0_T1_.has_dyn_sized_stack, 0
	.set .L_ZN2at6native25elementwise_kernel_helperILb0ENS0_13BinaryFunctorIN3c1011Float8_e5m2ES4_bNS0_12_GLOBAL__N_116CompareEqFunctorIS4_EEEENS0_6memory8policies11unroll_baseILi256ESt5arrayIPcLm3EE23TrivialOffsetCalculatorILi2EjESF_ILi1EjENS9_15LoadWithoutCastENS9_16StoreWithoutCastELi16ELi1EEEEEvT0_T1_.has_recursion, 0
	.set .L_ZN2at6native25elementwise_kernel_helperILb0ENS0_13BinaryFunctorIN3c1011Float8_e5m2ES4_bNS0_12_GLOBAL__N_116CompareEqFunctorIS4_EEEENS0_6memory8policies11unroll_baseILi256ESt5arrayIPcLm3EE23TrivialOffsetCalculatorILi2EjESF_ILi1EjENS9_15LoadWithoutCastENS9_16StoreWithoutCastELi16ELi1EEEEEvT0_T1_.has_indirect_call, 0
	.section	.AMDGPU.csdata,"",@progbits
; Function info:
; codeLenInByte = 9016
; TotalNumSgprs: 34
; NumVgprs: 67
; ScratchSize: 0
; MemoryBound: 0
	.section	.text._ZN2at6native29vectorized_elementwise_kernelILi16ENS0_13BinaryFunctorIN3c1011Float8_e5m2ES4_bNS0_12_GLOBAL__N_116CompareEqFunctorIS4_EEEESt5arrayIPcLm3EEEEviT0_T1_,"axG",@progbits,_ZN2at6native29vectorized_elementwise_kernelILi16ENS0_13BinaryFunctorIN3c1011Float8_e5m2ES4_bNS0_12_GLOBAL__N_116CompareEqFunctorIS4_EEEESt5arrayIPcLm3EEEEviT0_T1_,comdat
	.globl	_ZN2at6native29vectorized_elementwise_kernelILi16ENS0_13BinaryFunctorIN3c1011Float8_e5m2ES4_bNS0_12_GLOBAL__N_116CompareEqFunctorIS4_EEEESt5arrayIPcLm3EEEEviT0_T1_ ; -- Begin function _ZN2at6native29vectorized_elementwise_kernelILi16ENS0_13BinaryFunctorIN3c1011Float8_e5m2ES4_bNS0_12_GLOBAL__N_116CompareEqFunctorIS4_EEEESt5arrayIPcLm3EEEEviT0_T1_
	.p2align	8
	.type	_ZN2at6native29vectorized_elementwise_kernelILi16ENS0_13BinaryFunctorIN3c1011Float8_e5m2ES4_bNS0_12_GLOBAL__N_116CompareEqFunctorIS4_EEEESt5arrayIPcLm3EEEEviT0_T1_,@function
_ZN2at6native29vectorized_elementwise_kernelILi16ENS0_13BinaryFunctorIN3c1011Float8_e5m2ES4_bNS0_12_GLOBAL__N_116CompareEqFunctorIS4_EEEESt5arrayIPcLm3EEEEviT0_T1_: ; @_ZN2at6native29vectorized_elementwise_kernelILi16ENS0_13BinaryFunctorIN3c1011Float8_e5m2ES4_bNS0_12_GLOBAL__N_116CompareEqFunctorIS4_EEEESt5arrayIPcLm3EEEEviT0_T1_
; %bb.0:
	s_clause 0x2
	s_load_b64 s[8:9], s[0:1], 0x0
	s_load_b128 s[4:7], s[0:1], 0x8
	s_load_b64 s[2:3], s[0:1], 0x18
	s_wait_xcnt 0x0
	s_bfe_u32 s0, ttmp6, 0x4000c
	s_and_b32 s1, ttmp6, 15
	s_add_co_i32 s0, s0, 1
	s_getreg_b32 s10, hwreg(HW_REG_IB_STS2, 6, 4)
	s_mul_i32 s0, ttmp9, s0
	s_mov_b32 s32, 0
	s_add_co_i32 s1, s1, s0
	s_cmp_eq_u32 s10, 0
	s_cselect_b32 s0, ttmp9, s1
	s_delay_alu instid0(SALU_CYCLE_1) | instskip(SKIP_3) | instid1(SALU_CYCLE_1)
	s_lshl_b32 s10, s0, 12
	s_mov_b32 s0, -1
	s_wait_kmcnt 0x0
	s_sub_co_i32 s1, s8, s10
	s_cmp_gt_i32 s1, 0xfff
	s_cbranch_scc1 .LBB225_3
; %bb.1:
	s_and_not1_b32 vcc_lo, exec_lo, s0
	s_cbranch_vccz .LBB225_4
.LBB225_2:
	s_sendmsg sendmsg(MSG_DEALLOC_VGPRS)
	s_endpgm
.LBB225_3:
	s_ashr_i32 s11, s10, 31
	s_mov_b32 s8, 0x7800000
	s_add_nc_u64 s[12:13], s[6:7], s[10:11]
	s_cmp_eq_u32 s9, 0
	global_load_b128 v[2:5], v0, s[12:13] scale_offset
	s_wait_xcnt 0x0
	s_add_nc_u64 s[12:13], s[2:3], s[10:11]
	s_add_nc_u64 s[10:11], s[4:5], s[10:11]
	global_load_b128 v[6:9], v0, s[12:13] scale_offset
	s_wait_loadcnt 0x1
	v_lshrrev_b16 v11, 8, v3
	v_dual_lshrrev_b32 v12, 24, v3 :: v_dual_lshrrev_b32 v14, 24, v2
	v_lshrrev_b16 v13, 8, v2
	v_dual_lshrrev_b32 v1, 16, v2 :: v_dual_lshrrev_b32 v10, 16, v3
	v_dual_lshlrev_b32 v33, 25, v3 :: v_dual_lshlrev_b32 v34, 25, v2
	s_delay_alu instid0(VALU_DEP_4) | instskip(NEXT) | instid1(VALU_DEP_4)
	v_alignbit_b32 v41, v14, v2, 16
	v_perm_b32 v42, v13, v2, 0x5040100
	v_perm_b32 v2, v11, v3, 0x5040100
	v_dual_lshrrev_b32 v18, 24, v5 :: v_dual_lshrrev_b32 v20, 24, v4
	v_lshrrev_b16 v19, 8, v4
	s_wait_loadcnt 0x0
	v_lshrrev_b16 v23, 8, v7
	v_dual_lshrrev_b32 v24, 24, v7 :: v_dual_lshrrev_b32 v26, 24, v6
	v_lshrrev_b16 v25, 8, v6
	v_dual_lshlrev_b32 v11, 25, v11 :: v_dual_lshlrev_b32 v10, 25, v10
	v_lshlrev_b32_e32 v13, 25, v13
	v_pk_lshlrev_b16 v61, 8, v2 op_sel_hi:[0,1]
	v_dual_lshrrev_b32 v15, 16, v4 :: v_dual_lshrrev_b32 v16, 16, v5
	v_lshrrev_b16 v17, 8, v5
	v_dual_lshrrev_b32 v21, 16, v6 :: v_dual_lshrrev_b32 v22, 16, v7
	v_dual_lshlrev_b32 v35, 25, v7 :: v_dual_lshlrev_b32 v36, 25, v6
	v_dual_lshlrev_b32 v37, 25, v5 :: v_dual_lshlrev_b32 v38, 25, v4
	v_alignbit_b32 v43, v12, v3, 16
	v_dual_lshlrev_b32 v12, 25, v12 :: v_dual_lshrrev_b32 v44, 4, v34
	v_lshrrev_b32_e32 v3, 4, v33
	v_alignbit_b32 v45, v26, v6, 16
	v_perm_b32 v46, v25, v6, 0x5040100
	v_alignbit_b32 v47, v24, v7, 16
	v_perm_b32 v48, v23, v7, 0x5040100
	;; [unrolled: 2-line block ×3, first 2 shown]
	v_dual_lshrrev_b32 v4, 4, v11 :: v_dual_lshrrev_b32 v6, 4, v10
	v_lshrrev_b32_e32 v7, 16, v61
	v_dual_lshrrev_b32 v30, 24, v9 :: v_dual_lshrrev_b32 v32, 24, v8
	v_lshrrev_b16 v31, 8, v8
	v_alignbit_b32 v53, v18, v5, 16
	v_perm_b32 v54, v17, v5, 0x5040100
	v_lshrrev_b32_e32 v5, 4, v12
	v_or_b32_e32 v2, 0x70000000, v3
	v_or_b32_e32 v3, 0x70000000, v4
	;; [unrolled: 1-line block ×3, first 2 shown]
	v_and_or_b32 v7, 0x7f00, v7, 0.5
	v_and_or_b32 v6, 0x7f00, v61, 0.5
	v_pk_lshlrev_b16 v43, 8, v43 op_sel_hi:[0,1]
	v_dual_lshrrev_b32 v27, 16, v8 :: v_dual_lshrrev_b32 v28, 16, v9
	v_dual_lshlrev_b32 v39, 25, v9 :: v_dual_lshlrev_b32 v40, 25, v8
	v_alignbit_b32 v57, v32, v8, 16
	v_perm_b32 v58, v31, v8, 0x5040100
	v_pk_mul_f32 v[2:3], v[2:3], s[8:9] op_sel_hi:[1,0]
	v_pk_add_f32 v[6:7], v[6:7], -0.5 op_sel_hi:[1,0]
	v_dual_lshlrev_b32 v32, 25, v32 :: v_dual_lshrrev_b32 v8, 16, v43
	v_cmp_gt_u32_e32 vcc_lo, 0x8000000, v33
	v_cmp_gt_u32_e64 s0, 0x8000000, v11
	v_dual_lshlrev_b32 v14, 25, v14 :: v_dual_lshlrev_b32 v1, 25, v1
	v_or_b32_e32 v5, 0x70000000, v5
	s_delay_alu instid0(VALU_DEP_3)
	v_dual_cndmask_b32 v33, v2, v6, vcc_lo :: v_dual_cndmask_b32 v11, v3, v7, s0
	v_and_or_b32 v2, 0x7f00, v43, 0.5
	v_and_or_b32 v3, 0x7f00, v8, 0.5
	v_pk_lshlrev_b16 v42, 8, v42 op_sel_hi:[0,1]
	v_pk_lshlrev_b16 v41, 8, v41 op_sel_hi:[0,1]
	v_dual_lshrrev_b32 v6, 4, v14 :: v_dual_lshrrev_b32 v7, 4, v13
	v_pk_mul_f32 v[4:5], v[4:5], s[8:9] op_sel_hi:[1,0]
	v_pk_add_f32 v[2:3], v[2:3], -0.5 op_sel_hi:[1,0]
	v_cmp_gt_u32_e32 vcc_lo, 0x8000000, v10
	v_cmp_gt_u32_e64 s0, 0x8000000, v12
	v_lshrrev_b32_e32 v8, 16, v42
	v_lshrrev_b16 v29, 8, v9
	v_dual_lshlrev_b32 v23, 25, v23 :: v_dual_lshlrev_b32 v24, 25, v24
	s_delay_alu instid0(VALU_DEP_4)
	v_dual_cndmask_b32 v10, v5, v3, s0 :: v_dual_cndmask_b32 v12, v4, v2, vcc_lo
	v_lshrrev_b32_e32 v4, 4, v1
	v_or_b32_e32 v2, 0x70000000, v44
	v_or_b32_e32 v3, 0x70000000, v7
	;; [unrolled: 1-line block ×3, first 2 shown]
	v_and_or_b32 v7, 0x7f00, v8, 0.5
	v_and_or_b32 v6, 0x7f00, v42, 0.5
	v_dual_lshrrev_b32 v8, 16, v41 :: v_dual_lshlrev_b32 v27, 25, v27
	v_alignbit_b32 v59, v30, v9, 16
	v_perm_b32 v60, v29, v9, 0x5040100
	v_or_b32_e32 v4, 0x70000000, v4
	v_pk_mul_f32 v[2:3], v[2:3], s[8:9] op_sel_hi:[1,0]
	v_pk_add_f32 v[6:7], v[6:7], -0.5 op_sel_hi:[1,0]
	v_cmp_gt_u32_e32 vcc_lo, 0x8000000, v34
	v_and_or_b32 v9, 0x7f00, v8, 0.5
	v_and_or_b32 v8, 0x7f00, v41, 0.5
	v_cmp_gt_u32_e64 s0, 0x8000000, v13
	v_pk_lshlrev_b16 v48, 8, v48 op_sel_hi:[0,1]
	v_dual_lshrrev_b32 v49, 4, v36 :: v_dual_lshrrev_b32 v50, 4, v35
	s_delay_alu instid0(VALU_DEP_3)
	v_dual_cndmask_b32 v34, v2, v6, vcc_lo :: v_dual_cndmask_b32 v13, v3, v7, s0
	v_pk_mul_f32 v[2:3], v[4:5], s[8:9] op_sel_hi:[1,0]
	v_pk_add_f32 v[4:5], v[8:9], -0.5 op_sel_hi:[1,0]
	v_lshrrev_b32_e32 v7, 4, v23
	v_cmp_gt_u32_e32 vcc_lo, 0x8000000, v1
	v_lshrrev_b32_e32 v1, 16, v48
	v_cmp_gt_u32_e64 s0, 0x8000000, v14
	v_dual_lshlrev_b32 v22, 25, v22 :: v_dual_lshlrev_b32 v25, 25, v25
	v_cndmask_b32_e32 v62, v2, v4, vcc_lo
	s_delay_alu instid0(VALU_DEP_3)
	v_dual_lshrrev_b32 v8, 4, v24 :: v_dual_cndmask_b32 v14, v3, v5, s0
	v_or_b32_e32 v2, 0x70000000, v50
	v_or_b32_e32 v3, 0x70000000, v7
	v_and_or_b32 v4, 0x7f00, v48, 0.5
	v_and_or_b32 v5, 0x7f00, v1, 0.5
	v_pk_lshlrev_b16 v1, 8, v47 op_sel_hi:[0,1]
	v_dual_lshrrev_b32 v44, 4, v40 :: v_dual_lshrrev_b32 v6, 4, v22
	v_pk_mul_f32 v[2:3], v[2:3], s[8:9] op_sel_hi:[1,0]
	s_delay_alu instid0(VALU_DEP_4)
	v_pk_add_f32 v[4:5], v[4:5], -0.5 op_sel_hi:[1,0]
	v_lshrrev_b32_e32 v47, 4, v39
	v_or_b32_e32 v7, 0x70000000, v8
	v_cmp_gt_u32_e32 vcc_lo, 0x8000000, v35
	v_lshrrev_b32_e32 v8, 16, v1
	v_cmp_gt_u32_e64 s0, 0x8000000, v23
	v_dual_lshlrev_b32 v26, 25, v26 :: v_dual_lshlrev_b32 v21, 25, v21
	v_or_b32_e32 v6, 0x70000000, v6
	s_delay_alu instid0(VALU_DEP_3)
	v_dual_cndmask_b32 v35, v2, v4, vcc_lo :: v_dual_cndmask_b32 v23, v3, v5, s0
	v_and_or_b32 v2, 0x7f00, v1, 0.5
	v_and_or_b32 v3, 0x7f00, v8, 0.5
	v_pk_lshlrev_b16 v46, 8, v46 op_sel_hi:[0,1]
	v_pk_mul_f32 v[4:5], v[6:7], s[8:9] op_sel_hi:[1,0]
	v_cmp_gt_u32_e64 s0, 0x8000000, v24
	v_dual_lshlrev_b32 v17, 25, v17 :: v_dual_lshlrev_b32 v18, 25, v18
	v_pk_add_f32 v[2:3], v[2:3], -0.5 op_sel_hi:[1,0]
	v_lshrrev_b32_e32 v8, 4, v21
	v_cmp_gt_u32_e32 vcc_lo, 0x8000000, v22
	v_lshrrev_b32_e32 v7, 4, v25
	v_pk_lshlrev_b16 v45, 8, v45 op_sel_hi:[0,1]
	v_dual_cndmask_b32 v22, v5, v3, s0 :: v_dual_lshrrev_b32 v5, 16, v46
	v_dual_cndmask_b32 v24, v4, v2 :: v_dual_lshrrev_b32 v9, 4, v17
	v_or_b32_e32 v2, 0x70000000, v49
	v_or_b32_e32 v3, 0x70000000, v7
	v_and_or_b32 v4, 0x7f00, v46, 0.5
	v_and_or_b32 v5, 0x7f00, v5, 0.5
	v_lshrrev_b32_e32 v6, 4, v26
	v_pk_lshlrev_b16 v50, 8, v52 op_sel_hi:[0,1]
	v_pk_lshlrev_b16 v52, 8, v54 op_sel_hi:[0,1]
	v_pk_mul_f32 v[2:3], v[2:3], s[8:9] op_sel_hi:[1,0]
	v_pk_add_f32 v[4:5], v[4:5], -0.5 op_sel_hi:[1,0]
	v_cmp_gt_u32_e32 vcc_lo, 0x8000000, v36
	v_lshrrev_b32_e32 v7, 16, v45
	v_cmp_gt_u32_e64 s0, 0x8000000, v25
	v_dual_lshrrev_b32 v55, 4, v38 :: v_dual_lshrrev_b32 v56, 4, v37
	v_cndmask_b32_e32 v36, v2, v4, vcc_lo
	v_or_b32_e32 v4, 0x70000000, v8
	s_delay_alu instid0(VALU_DEP_4)
	v_dual_cndmask_b32 v25, v3, v5, s0 :: v_dual_lshrrev_b32 v8, 16, v52
	v_or_b32_e32 v5, 0x70000000, v6
	v_and_or_b32 v6, 0x7f00, v45, 0.5
	v_and_or_b32 v7, 0x7f00, v7, 0.5
	v_dual_lshlrev_b32 v20, 25, v20 :: v_dual_lshlrev_b32 v15, 25, v15
	v_or_b32_e32 v2, 0x70000000, v56
	v_or_b32_e32 v3, 0x70000000, v9
	v_pk_mul_f32 v[4:5], v[4:5], s[8:9] op_sel_hi:[1,0]
	v_pk_add_f32 v[6:7], v[6:7], -0.5 op_sel_hi:[1,0]
	v_cmp_gt_u32_e32 vcc_lo, 0x8000000, v21
	v_and_or_b32 v9, 0x7f00, v8, 0.5
	v_and_or_b32 v8, 0x7f00, v52, 0.5
	v_cmp_gt_u32_e64 s0, 0x8000000, v26
	v_dual_lshlrev_b32 v16, 25, v16 :: v_dual_lshlrev_b32 v19, 25, v19
	v_pk_lshlrev_b16 v49, 8, v51 op_sel_hi:[0,1]
	v_pk_lshlrev_b16 v51, 8, v53 op_sel_hi:[0,1]
	v_dual_cndmask_b32 v26, v4, v6 :: v_dual_lshrrev_b32 v53, 4, v15
	v_dual_cndmask_b32 v21, v5, v7, s0 :: v_dual_lshrrev_b32 v54, 4, v20
	v_pk_mul_f32 v[2:3], v[2:3], s[8:9] op_sel_hi:[1,0]
	v_pk_add_f32 v[4:5], v[8:9], -0.5 op_sel_hi:[1,0]
	v_cmp_gt_u32_e32 vcc_lo, 0x8000000, v37
	v_cmp_gt_u32_e64 s0, 0x8000000, v17
	v_dual_lshrrev_b32 v56, 4, v19 :: v_dual_lshrrev_b32 v6, 4, v16
	s_delay_alu instid0(VALU_DEP_4) | instskip(NEXT) | instid1(VALU_DEP_3)
	v_dual_lshrrev_b32 v7, 4, v18 :: v_dual_cndmask_b32 v37, v2, v4, vcc_lo
	v_dual_cndmask_b32 v17, v3, v5, s0 :: v_dual_lshrrev_b32 v3, 16, v51
	s_delay_alu instid0(VALU_DEP_3) | instskip(NEXT) | instid1(VALU_DEP_3)
	v_or_b32_e32 v4, 0x70000000, v6
	v_or_b32_e32 v5, 0x70000000, v7
	v_and_or_b32 v6, 0x7f00, v51, 0.5
	v_cmp_gt_u32_e64 s0, 0x8000000, v18
	v_and_or_b32 v7, 0x7f00, v3, 0.5
	v_dual_lshlrev_b32 v29, 25, v29 :: v_dual_lshlrev_b32 v30, 25, v30
	v_pk_mul_f32 v[4:5], v[4:5], s[8:9] op_sel_hi:[1,0]
	v_or_b32_e32 v2, 0x70000000, v55
	s_delay_alu instid0(VALU_DEP_4)
	v_pk_add_f32 v[6:7], v[6:7], -0.5 op_sel_hi:[1,0]
	v_lshrrev_b32_e32 v8, 16, v50
	v_or_b32_e32 v3, 0x70000000, v56
	v_cmp_gt_u32_e32 vcc_lo, 0x8000000, v16
	v_pk_lshlrev_b16 v56, 8, v60 op_sel_hi:[0,1]
	v_cndmask_b32_e64 v16, v5, v7, s0
	v_and_or_b32 v9, 0x7f00, v8, 0.5
	v_and_or_b32 v8, 0x7f00, v50, 0.5
	v_dual_cndmask_b32 v18, v4, v6, vcc_lo :: v_dual_lshrrev_b32 v60, 4, v32
	v_pk_mul_f32 v[2:3], v[2:3], s[8:9] op_sel_hi:[1,0]
	v_cmp_gt_u32_e32 vcc_lo, 0x8000000, v38
	s_delay_alu instid0(VALU_DEP_4)
	v_pk_add_f32 v[4:5], v[8:9], -0.5 op_sel_hi:[1,0]
	v_lshrrev_b32_e32 v8, 4, v29
	v_lshrrev_b32_e32 v7, 16, v49
	v_cmp_gt_u32_e64 s0, 0x8000000, v19
	v_and_or_b32 v6, 0x7f00, v49, 0.5
	v_cndmask_b32_e32 v38, v2, v4, vcc_lo
	v_or_b32_e32 v4, 0x70000000, v53
	v_and_or_b32 v7, 0x7f00, v7, 0.5
	v_cndmask_b32_e64 v19, v3, v5, s0
	v_or_b32_e32 v5, 0x70000000, v54
	v_or_b32_e32 v3, 0x70000000, v8
	v_lshrrev_b32_e32 v8, 16, v56
	v_dual_lshlrev_b32 v28, 25, v28 :: v_dual_lshlrev_b32 v31, 25, v31
	v_pk_lshlrev_b16 v55, 8, v57 op_sel_hi:[0,1]
	v_pk_lshlrev_b16 v57, 8, v58 op_sel_hi:[0,1]
	;; [unrolled: 1-line block ×3, first 2 shown]
	v_or_b32_e32 v2, 0x70000000, v47
	v_pk_mul_f32 v[4:5], v[4:5], s[8:9] op_sel_hi:[1,0]
	v_pk_add_f32 v[6:7], v[6:7], -0.5 op_sel_hi:[1,0]
	v_cmp_gt_u32_e32 vcc_lo, 0x8000000, v15
	v_and_or_b32 v9, 0x7f00, v8, 0.5
	v_and_or_b32 v8, 0x7f00, v56, 0.5
	v_cmp_gt_u32_e64 s0, 0x8000000, v20
	v_dual_cndmask_b32 v20, v4, v6 :: v_dual_lshrrev_b32 v47, 4, v31
	v_pk_mul_f32 v[2:3], v[2:3], s[8:9] op_sel_hi:[1,0]
	v_cmp_gt_u32_e32 vcc_lo, 0x8000000, v39
	s_delay_alu instid0(VALU_DEP_4)
	v_dual_cndmask_b32 v15, v5, v7, s0 :: v_dual_lshrrev_b32 v7, 4, v28
	v_pk_add_f32 v[4:5], v[8:9], -0.5 op_sel_hi:[1,0]
	v_lshrrev_b32_e32 v8, 16, v58
	v_cmp_gt_u32_e64 s0, 0x8000000, v29
	v_lshrrev_b32_e32 v53, 4, v30
	v_or_b32_e32 v6, 0x70000000, v44
	v_cndmask_b32_e32 v39, v2, v4, vcc_lo
	v_or_b32_e32 v2, 0x70000000, v7
	v_cndmask_b32_e64 v29, v3, v5, s0
	v_or_b32_e32 v3, 0x70000000, v53
	v_and_or_b32 v4, 0x7f00, v58, 0.5
	v_and_or_b32 v5, 0x7f00, v8, 0.5
	v_cmp_gt_u32_e32 vcc_lo, 0x8000000, v28
	v_or_b32_e32 v7, 0x70000000, v47
	v_pk_mul_f32 v[2:3], v[2:3], s[8:9] op_sel_hi:[1,0]
	v_cmp_gt_u32_e64 s0, 0x8000000, v30
	v_pk_add_f32 v[4:5], v[4:5], -0.5 op_sel_hi:[1,0]
	v_lshrrev_b32_e32 v8, 16, v57
	v_lshlrev_b32_e32 v54, 16, v41
	v_and_or_b32 v14, 0x80000000, v41, v14
	v_and_or_b32 v21, 0x80000000, v45, v21
	v_cndmask_b32_e32 v30, v2, v4, vcc_lo
	v_and_or_b32 v9, 0x7f00, v8, 0.5
	v_and_or_b32 v8, 0x7f00, v57, 0.5
	v_dual_cndmask_b32 v28, v3, v5, s0 :: v_dual_lshlrev_b32 v53, 16, v42
	v_pk_mul_f32 v[2:3], v[6:7], s[8:9] op_sel_hi:[1,0]
	v_cmp_gt_u32_e32 vcc_lo, 0x8000000, v40
	s_delay_alu instid0(VALU_DEP_4) | instskip(SKIP_3) | instid1(VALU_DEP_4)
	v_pk_add_f32 v[4:5], v[8:9], -0.5 op_sel_hi:[1,0]
	v_dual_lshlrev_b32 v40, 16, v45 :: v_dual_lshlrev_b32 v6, 16, v48
	v_lshlrev_b32_e32 v7, 16, v1
	v_and_or_b32 v54, 0x80000000, v54, v62
	v_dual_cndmask_b32 v9, v2, v4 :: v_dual_lshrrev_b32 v4, 16, v55
	s_delay_alu instid0(VALU_DEP_4)
	v_and_or_b32 v26, 0x80000000, v40, v26
	v_cmp_gt_u32_e64 s0, 0x8000000, v31
	v_and_or_b32 v7, 0x80000000, v7, v24
	v_lshlrev_b32_e32 v31, 16, v46
	v_and_or_b32 v34, 0x80000000, v53, v34
	v_cmp_eq_f32_e32 vcc_lo, v54, v26
	v_cndmask_b32_e64 v8, v3, v5, s0
	v_and_or_b32 v6, 0x80000000, v6, v35
	v_and_or_b32 v31, 0x80000000, v31, v36
	;; [unrolled: 1-line block ×3, first 2 shown]
	v_cndmask_b32_e64 v24, 0, 1, vcc_lo
	v_cmp_neq_f32_e32 vcc_lo, v54, v26
	v_and_or_b32 v25, 0x80000000, v46, v25
	v_dual_lshlrev_b32 v44, 16, v61 :: v_dual_lshlrev_b32 v47, 16, v43
	v_and_or_b32 v10, 0x80000000, v43, v10
	v_cndmask_b32_e64 v26, 0, 1, vcc_lo
	v_cmp_eq_f32_e32 vcc_lo, v14, v21
	v_and_or_b32 v1, 0x80000000, v1, v22
	v_and_or_b32 v12, 0x80000000, v47, v12
	;; [unrolled: 1-line block ×4, first 2 shown]
	v_cndmask_b32_e64 v35, 0, 1, vcc_lo
	v_cmp_neq_f32_e32 vcc_lo, v14, v21
	v_and_or_b32 v22, 0x80000000, v48, v23
	v_lshrrev_b32_e32 v59, 4, v27
	v_or_b32_e32 v3, 0x70000000, v60
	v_and_or_b32 v5, 0x7f00, v4, 0.5
	v_cndmask_b32_e64 v14, 0, 1, vcc_lo
	v_cmp_eq_f32_e32 vcc_lo, v34, v31
	v_or_b32_e32 v2, 0x70000000, v59
	v_and_or_b32 v4, 0x7f00, v55, 0.5
	v_cmp_gt_u32_e64 s0, 0x8000000, v27
	v_dual_lshlrev_b32 v42, 16, v50 :: v_dual_lshlrev_b32 v47, 16, v49
	v_cndmask_b32_e64 v21, 0, 1, vcc_lo
	v_cmp_neq_f32_e32 vcc_lo, v34, v31
	v_pk_mul_f32 v[2:3], v[2:3], s[8:9] op_sel_hi:[1,0]
	v_pk_add_f32 v[4:5], v[4:5], -0.5 op_sel_hi:[1,0]
	v_and_or_b32 v20, 0x80000000, v47, v20
	v_and_or_b32 v15, 0x80000000, v49, v15
	v_cndmask_b32_e64 v31, 0, 1, vcc_lo
	v_cmp_eq_f32_e32 vcc_lo, v13, v25
	v_cndmask_b32_e64 v2, v2, v4, s0
	v_cmp_gt_u32_e64 s0, 0x8000000, v32
	v_lshlrev_b32_e32 v4, 16, v55
	v_and_or_b32 v23, 0x80000000, v42, v38
	v_cndmask_b32_e64 v34, 0, 1, vcc_lo
	v_cmp_neq_f32_e32 vcc_lo, v13, v25
	v_cndmask_b32_e64 v3, v3, v5, s0
	v_and_or_b32 v2, 0x80000000, v4, v2
	v_lshlrev_b32_e32 v5, 16, v57
	v_and_or_b32 v19, 0x80000000, v50, v19
	v_cndmask_b32_e64 v13, 0, 1, vcc_lo
	v_cmp_eq_f32_e32 vcc_lo, v12, v7
	v_cmp_eq_f32_e64 s0, v20, v2
	v_and_or_b32 v3, 0x80000000, v55, v3
	v_dual_lshlrev_b32 v59, 16, v52 :: v_dual_lshlrev_b32 v41, 16, v51
	v_cndmask_b32_e64 v25, 0, 1, vcc_lo
	v_cmp_neq_f32_e32 vcc_lo, v12, v7
	v_and_or_b32 v16, 0x80000000, v51, v16
	s_delay_alu instid0(VALU_DEP_4)
	v_and_or_b32 v18, 0x80000000, v41, v18
	v_cndmask_b32_e64 v7, 0, 1, vcc_lo
	v_cmp_eq_f32_e32 vcc_lo, v10, v1
	v_cndmask_b32_e64 v12, 0, 1, vcc_lo
	v_cmp_neq_f32_e32 vcc_lo, v10, v1
	v_cndmask_b32_e64 v1, 0, 1, vcc_lo
	v_cmp_eq_f32_e32 vcc_lo, v33, v6
	v_cndmask_b32_e64 v10, 0, 1, vcc_lo
	v_cmp_eq_f32_e32 vcc_lo, v11, v22
	v_cndmask_b32_e64 v36, 0, 1, vcc_lo
	v_cmp_neq_f32_e32 vcc_lo, v11, v22
	v_cndmask_b32_e64 v11, 0, 1, vcc_lo
	v_cmp_neq_f32_e32 vcc_lo, v33, v6
	v_cndmask_b32_e64 v6, 0, 1, vcc_lo
	s_cselect_b32 vcc_lo, -1, 0
	v_cndmask_b32_e32 v1, v1, v12, vcc_lo
	v_dual_cndmask_b32 v22, v26, v24, vcc_lo :: v_dual_cndmask_b32 v12, v13, v34, vcc_lo
	v_dual_cndmask_b32 v11, v11, v36, vcc_lo :: v_dual_cndmask_b32 v13, v14, v35, vcc_lo
	v_cndmask_b32_e32 v14, v31, v21, vcc_lo
	s_delay_alu instid0(VALU_DEP_4) | instskip(NEXT) | instid1(VALU_DEP_3)
	v_dual_cndmask_b32 v6, v6, v10, vcc_lo :: v_dual_bitop2_b32 v1, 1, v1 bitop3:0x40
	v_dual_cndmask_b32 v7, v7, v25, vcc_lo :: v_dual_bitop2_b32 v11, 1, v11 bitop3:0x40
	s_delay_alu instid0(VALU_DEP_4) | instskip(NEXT) | instid1(VALU_DEP_3)
	v_and_b32_e32 v13, 1, v13
	v_lshlrev_b16 v1, 8, v1
	s_delay_alu instid0(VALU_DEP_3) | instskip(NEXT) | instid1(VALU_DEP_2)
	v_lshlrev_b16 v10, 8, v11
	v_bitop3_b16 v1, v7, v1, 1 bitop3:0xec
	v_and_b32_e32 v12, 1, v12
	s_delay_alu instid0(VALU_DEP_3)
	v_bitop3_b16 v6, v6, v10, 1 bitop3:0xec
	v_and_or_b32 v10, 0x80000000, v52, v17
	v_and_or_b32 v17, 0x80000000, v56, v29
	v_lshlrev_b32_e32 v1, 16, v1
	v_lshlrev_b16 v11, 8, v12
	v_and_or_b32 v12, 0x80000000, v59, v37
	v_and_b32_e32 v6, 0xffff, v6
	s_delay_alu instid0(VALU_DEP_3)
	v_bitop3_b16 v7, v14, v11, 1 bitop3:0xec
	v_lshlrev_b16 v11, 8, v13
	v_lshlrev_b32_e32 v13, 16, v56
	v_and_or_b32 v4, 0x80000000, v5, v9
	v_cndmask_b32_e64 v9, 0, 1, s0
	v_cmp_neq_f32_e64 s0, v20, v2
	v_and_or_b32 v5, 0x80000000, v57, v8
	v_and_or_b32 v13, 0x80000000, v13, v39
	v_bitop3_b16 v11, v22, v11, 1 bitop3:0xec
	v_and_b32_e32 v7, 0xffff, v7
	v_cndmask_b32_e64 v2, 0, 1, s0
	v_lshlrev_b32_e32 v14, 16, v58
	v_cmp_eq_f32_e64 s0, v15, v3
	s_delay_alu instid0(VALU_DEP_3) | instskip(NEXT) | instid1(VALU_DEP_3)
	v_cndmask_b32_e32 v2, v2, v9, vcc_lo
	v_and_or_b32 v8, 0x80000000, v14, v30
	s_delay_alu instid0(VALU_DEP_3) | instskip(SKIP_2) | instid1(VALU_DEP_2)
	v_cndmask_b32_e64 v14, 0, 1, s0
	v_cmp_neq_f32_e64 s0, v15, v3
	v_and_or_b32 v15, 0x80000000, v58, v28
	v_cndmask_b32_e64 v3, 0, 1, s0
	v_cmp_eq_f32_e64 s0, v23, v4
	s_delay_alu instid0(VALU_DEP_1) | instskip(SKIP_1) | instid1(VALU_DEP_1)
	v_cndmask_b32_e64 v9, 0, 1, s0
	v_cmp_neq_f32_e64 s0, v23, v4
	v_cndmask_b32_e64 v4, 0, 1, s0
	v_cmp_eq_f32_e64 s0, v19, v5
	s_delay_alu instid0(VALU_DEP_2) | instskip(NEXT) | instid1(VALU_DEP_2)
	v_dual_cndmask_b32 v3, v3, v14 :: v_dual_cndmask_b32 v4, v4, v9
	v_cndmask_b32_e64 v14, 0, 1, s0
	v_cmp_neq_f32_e64 s0, v19, v5
	s_delay_alu instid0(VALU_DEP_3) | instskip(NEXT) | instid1(VALU_DEP_2)
	v_and_b32_e32 v3, 1, v3
	v_cndmask_b32_e64 v5, 0, 1, s0
	v_cmp_eq_f32_e64 s0, v18, v8
	s_delay_alu instid0(VALU_DEP_3) | instskip(NEXT) | instid1(VALU_DEP_2)
	v_lshlrev_b16 v3, 8, v3
	v_cndmask_b32_e64 v19, 0, 1, s0
	v_cmp_neq_f32_e64 s0, v18, v8
	s_delay_alu instid0(VALU_DEP_3) | instskip(SKIP_1) | instid1(VALU_DEP_3)
	v_bitop3_b16 v2, v2, v3, 1 bitop3:0xec
	v_or_b32_e32 v3, v6, v1
	v_cndmask_b32_e64 v8, 0, 1, s0
	v_cmp_eq_f32_e64 s0, v16, v15
	s_delay_alu instid0(VALU_DEP_2) | instskip(NEXT) | instid1(VALU_DEP_2)
	v_dual_cndmask_b32 v5, v5, v14 :: v_dual_cndmask_b32 v8, v8, v19
	v_cndmask_b32_e64 v18, 0, 1, s0
	v_cmp_neq_f32_e64 s0, v16, v15
	s_delay_alu instid0(VALU_DEP_1) | instskip(SKIP_1) | instid1(VALU_DEP_1)
	v_cndmask_b32_e64 v15, 0, 1, s0
	v_cmp_eq_f32_e64 s0, v10, v17
	v_cndmask_b32_e64 v16, 0, 1, s0
	v_cmp_neq_f32_e64 s0, v10, v17
	s_delay_alu instid0(VALU_DEP_1) | instskip(SKIP_1) | instid1(VALU_DEP_2)
	v_cndmask_b32_e64 v10, 0, 1, s0
	v_cmp_eq_f32_e64 s0, v12, v13
	v_dual_cndmask_b32 v9, v15, v18 :: v_dual_cndmask_b32 v10, v10, v16
	s_delay_alu instid0(VALU_DEP_2) | instskip(SKIP_1) | instid1(VALU_DEP_3)
	v_cndmask_b32_e64 v14, 0, 1, s0
	v_cmp_neq_f32_e64 s0, v12, v13
	v_and_b32_e32 v10, 1, v10
	s_delay_alu instid0(VALU_DEP_2) | instskip(SKIP_1) | instid1(VALU_DEP_2)
	v_cndmask_b32_e64 v12, 0, 1, s0
	v_and_b32_e32 v9, 1, v9
	v_cndmask_b32_e32 v12, v12, v14, vcc_lo
	s_delay_alu instid0(VALU_DEP_2) | instskip(NEXT) | instid1(VALU_DEP_1)
	v_lshlrev_b16 v9, 8, v9
	v_bitop3_b16 v8, v8, v9, 1 bitop3:0xec
	s_delay_alu instid0(VALU_DEP_1) | instskip(NEXT) | instid1(VALU_DEP_1)
	v_dual_lshlrev_b32 v8, 16, v8 :: v_dual_bitop2_b32 v5, 1, v5 bitop3:0x40
	v_lshlrev_b16 v5, 8, v5
	s_delay_alu instid0(VALU_DEP_1) | instskip(SKIP_2) | instid1(VALU_DEP_3)
	v_bitop3_b16 v4, v4, v5, 1 bitop3:0xec
	v_lshlrev_b32_e32 v5, 16, v11
	v_lshlrev_b16 v10, 8, v10
	v_and_b32_e32 v4, 0xffff, v4
	s_delay_alu instid0(VALU_DEP_2) | instskip(NEXT) | instid1(VALU_DEP_1)
	v_bitop3_b16 v10, v12, v10, 1 bitop3:0xec
	v_and_b32_e32 v9, 0xffff, v10
	v_dual_lshlrev_b32 v10, 16, v2 :: v_dual_bitop2_b32 v2, v7, v5 bitop3:0x54
	s_delay_alu instid0(VALU_DEP_2) | instskip(NEXT) | instid1(VALU_DEP_2)
	v_or_b32_e32 v5, v9, v8
	v_or_b32_e32 v4, v4, v10
	global_store_b128 v0, v[2:5], s[10:11] scale_offset
	s_cbranch_execnz .LBB225_2
.LBB225_4:
	s_wait_xcnt 0x0
	v_dual_mov_b32 v31, v0 :: v_dual_mov_b32 v0, s9
	v_dual_mov_b32 v1, s4 :: v_dual_mov_b32 v2, s5
	;; [unrolled: 1-line block ×4, first 2 shown]
	v_mov_b32_e32 v7, s1
	s_get_pc_i64 s[10:11]
	s_add_nc_u64 s[10:11], s[10:11], _ZN2at6native25elementwise_kernel_helperILb0ENS0_13BinaryFunctorIN3c1011Float8_e5m2ES4_bNS0_12_GLOBAL__N_116CompareEqFunctorIS4_EEEENS0_6memory8policies11unroll_baseILi256ESt5arrayIPcLm3EE23TrivialOffsetCalculatorILi2EjESF_ILi1EjENS9_15LoadWithoutCastENS9_16StoreWithoutCastELi16ELi1EEEEEvT0_T1_@rel64+4
	s_delay_alu instid0(SALU_CYCLE_1)
	s_swap_pc_i64 s[30:31], s[10:11]
	s_endpgm
	.section	.rodata,"a",@progbits
	.p2align	6, 0x0
	.amdhsa_kernel _ZN2at6native29vectorized_elementwise_kernelILi16ENS0_13BinaryFunctorIN3c1011Float8_e5m2ES4_bNS0_12_GLOBAL__N_116CompareEqFunctorIS4_EEEESt5arrayIPcLm3EEEEviT0_T1_
		.amdhsa_group_segment_fixed_size 0
		.amdhsa_private_segment_fixed_size 0
		.amdhsa_kernarg_size 32
		.amdhsa_user_sgpr_count 2
		.amdhsa_user_sgpr_dispatch_ptr 0
		.amdhsa_user_sgpr_queue_ptr 0
		.amdhsa_user_sgpr_kernarg_segment_ptr 1
		.amdhsa_user_sgpr_dispatch_id 0
		.amdhsa_user_sgpr_kernarg_preload_length 0
		.amdhsa_user_sgpr_kernarg_preload_offset 0
		.amdhsa_user_sgpr_private_segment_size 0
		.amdhsa_wavefront_size32 1
		.amdhsa_uses_dynamic_stack 0
		.amdhsa_enable_private_segment 0
		.amdhsa_system_sgpr_workgroup_id_x 1
		.amdhsa_system_sgpr_workgroup_id_y 0
		.amdhsa_system_sgpr_workgroup_id_z 0
		.amdhsa_system_sgpr_workgroup_info 0
		.amdhsa_system_vgpr_workitem_id 0
		.amdhsa_next_free_vgpr 67
		.amdhsa_next_free_sgpr 33
		.amdhsa_named_barrier_count 0
		.amdhsa_reserve_vcc 1
		.amdhsa_float_round_mode_32 0
		.amdhsa_float_round_mode_16_64 0
		.amdhsa_float_denorm_mode_32 3
		.amdhsa_float_denorm_mode_16_64 3
		.amdhsa_fp16_overflow 0
		.amdhsa_memory_ordered 1
		.amdhsa_forward_progress 1
		.amdhsa_inst_pref_size 31
		.amdhsa_round_robin_scheduling 0
		.amdhsa_exception_fp_ieee_invalid_op 0
		.amdhsa_exception_fp_denorm_src 0
		.amdhsa_exception_fp_ieee_div_zero 0
		.amdhsa_exception_fp_ieee_overflow 0
		.amdhsa_exception_fp_ieee_underflow 0
		.amdhsa_exception_fp_ieee_inexact 0
		.amdhsa_exception_int_div_zero 0
	.end_amdhsa_kernel
	.section	.text._ZN2at6native29vectorized_elementwise_kernelILi16ENS0_13BinaryFunctorIN3c1011Float8_e5m2ES4_bNS0_12_GLOBAL__N_116CompareEqFunctorIS4_EEEESt5arrayIPcLm3EEEEviT0_T1_,"axG",@progbits,_ZN2at6native29vectorized_elementwise_kernelILi16ENS0_13BinaryFunctorIN3c1011Float8_e5m2ES4_bNS0_12_GLOBAL__N_116CompareEqFunctorIS4_EEEESt5arrayIPcLm3EEEEviT0_T1_,comdat
.Lfunc_end225:
	.size	_ZN2at6native29vectorized_elementwise_kernelILi16ENS0_13BinaryFunctorIN3c1011Float8_e5m2ES4_bNS0_12_GLOBAL__N_116CompareEqFunctorIS4_EEEESt5arrayIPcLm3EEEEviT0_T1_, .Lfunc_end225-_ZN2at6native29vectorized_elementwise_kernelILi16ENS0_13BinaryFunctorIN3c1011Float8_e5m2ES4_bNS0_12_GLOBAL__N_116CompareEqFunctorIS4_EEEESt5arrayIPcLm3EEEEviT0_T1_
                                        ; -- End function
	.set _ZN2at6native29vectorized_elementwise_kernelILi16ENS0_13BinaryFunctorIN3c1011Float8_e5m2ES4_bNS0_12_GLOBAL__N_116CompareEqFunctorIS4_EEEESt5arrayIPcLm3EEEEviT0_T1_.num_vgpr, max(63, .L_ZN2at6native25elementwise_kernel_helperILb0ENS0_13BinaryFunctorIN3c1011Float8_e5m2ES4_bNS0_12_GLOBAL__N_116CompareEqFunctorIS4_EEEENS0_6memory8policies11unroll_baseILi256ESt5arrayIPcLm3EE23TrivialOffsetCalculatorILi2EjESF_ILi1EjENS9_15LoadWithoutCastENS9_16StoreWithoutCastELi16ELi1EEEEEvT0_T1_.num_vgpr)
	.set _ZN2at6native29vectorized_elementwise_kernelILi16ENS0_13BinaryFunctorIN3c1011Float8_e5m2ES4_bNS0_12_GLOBAL__N_116CompareEqFunctorIS4_EEEESt5arrayIPcLm3EEEEviT0_T1_.num_agpr, max(0, .L_ZN2at6native25elementwise_kernel_helperILb0ENS0_13BinaryFunctorIN3c1011Float8_e5m2ES4_bNS0_12_GLOBAL__N_116CompareEqFunctorIS4_EEEENS0_6memory8policies11unroll_baseILi256ESt5arrayIPcLm3EE23TrivialOffsetCalculatorILi2EjESF_ILi1EjENS9_15LoadWithoutCastENS9_16StoreWithoutCastELi16ELi1EEEEEvT0_T1_.num_agpr)
	.set _ZN2at6native29vectorized_elementwise_kernelILi16ENS0_13BinaryFunctorIN3c1011Float8_e5m2ES4_bNS0_12_GLOBAL__N_116CompareEqFunctorIS4_EEEESt5arrayIPcLm3EEEEviT0_T1_.numbered_sgpr, max(33, .L_ZN2at6native25elementwise_kernel_helperILb0ENS0_13BinaryFunctorIN3c1011Float8_e5m2ES4_bNS0_12_GLOBAL__N_116CompareEqFunctorIS4_EEEENS0_6memory8policies11unroll_baseILi256ESt5arrayIPcLm3EE23TrivialOffsetCalculatorILi2EjESF_ILi1EjENS9_15LoadWithoutCastENS9_16StoreWithoutCastELi16ELi1EEEEEvT0_T1_.numbered_sgpr)
	.set _ZN2at6native29vectorized_elementwise_kernelILi16ENS0_13BinaryFunctorIN3c1011Float8_e5m2ES4_bNS0_12_GLOBAL__N_116CompareEqFunctorIS4_EEEESt5arrayIPcLm3EEEEviT0_T1_.num_named_barrier, max(0, .L_ZN2at6native25elementwise_kernel_helperILb0ENS0_13BinaryFunctorIN3c1011Float8_e5m2ES4_bNS0_12_GLOBAL__N_116CompareEqFunctorIS4_EEEENS0_6memory8policies11unroll_baseILi256ESt5arrayIPcLm3EE23TrivialOffsetCalculatorILi2EjESF_ILi1EjENS9_15LoadWithoutCastENS9_16StoreWithoutCastELi16ELi1EEEEEvT0_T1_.num_named_barrier)
	.set _ZN2at6native29vectorized_elementwise_kernelILi16ENS0_13BinaryFunctorIN3c1011Float8_e5m2ES4_bNS0_12_GLOBAL__N_116CompareEqFunctorIS4_EEEESt5arrayIPcLm3EEEEviT0_T1_.private_seg_size, 0+max(.L_ZN2at6native25elementwise_kernel_helperILb0ENS0_13BinaryFunctorIN3c1011Float8_e5m2ES4_bNS0_12_GLOBAL__N_116CompareEqFunctorIS4_EEEENS0_6memory8policies11unroll_baseILi256ESt5arrayIPcLm3EE23TrivialOffsetCalculatorILi2EjESF_ILi1EjENS9_15LoadWithoutCastENS9_16StoreWithoutCastELi16ELi1EEEEEvT0_T1_.private_seg_size)
	.set _ZN2at6native29vectorized_elementwise_kernelILi16ENS0_13BinaryFunctorIN3c1011Float8_e5m2ES4_bNS0_12_GLOBAL__N_116CompareEqFunctorIS4_EEEESt5arrayIPcLm3EEEEviT0_T1_.uses_vcc, or(1, .L_ZN2at6native25elementwise_kernel_helperILb0ENS0_13BinaryFunctorIN3c1011Float8_e5m2ES4_bNS0_12_GLOBAL__N_116CompareEqFunctorIS4_EEEENS0_6memory8policies11unroll_baseILi256ESt5arrayIPcLm3EE23TrivialOffsetCalculatorILi2EjESF_ILi1EjENS9_15LoadWithoutCastENS9_16StoreWithoutCastELi16ELi1EEEEEvT0_T1_.uses_vcc)
	.set _ZN2at6native29vectorized_elementwise_kernelILi16ENS0_13BinaryFunctorIN3c1011Float8_e5m2ES4_bNS0_12_GLOBAL__N_116CompareEqFunctorIS4_EEEESt5arrayIPcLm3EEEEviT0_T1_.uses_flat_scratch, or(0, .L_ZN2at6native25elementwise_kernel_helperILb0ENS0_13BinaryFunctorIN3c1011Float8_e5m2ES4_bNS0_12_GLOBAL__N_116CompareEqFunctorIS4_EEEENS0_6memory8policies11unroll_baseILi256ESt5arrayIPcLm3EE23TrivialOffsetCalculatorILi2EjESF_ILi1EjENS9_15LoadWithoutCastENS9_16StoreWithoutCastELi16ELi1EEEEEvT0_T1_.uses_flat_scratch)
	.set _ZN2at6native29vectorized_elementwise_kernelILi16ENS0_13BinaryFunctorIN3c1011Float8_e5m2ES4_bNS0_12_GLOBAL__N_116CompareEqFunctorIS4_EEEESt5arrayIPcLm3EEEEviT0_T1_.has_dyn_sized_stack, or(0, .L_ZN2at6native25elementwise_kernel_helperILb0ENS0_13BinaryFunctorIN3c1011Float8_e5m2ES4_bNS0_12_GLOBAL__N_116CompareEqFunctorIS4_EEEENS0_6memory8policies11unroll_baseILi256ESt5arrayIPcLm3EE23TrivialOffsetCalculatorILi2EjESF_ILi1EjENS9_15LoadWithoutCastENS9_16StoreWithoutCastELi16ELi1EEEEEvT0_T1_.has_dyn_sized_stack)
	.set _ZN2at6native29vectorized_elementwise_kernelILi16ENS0_13BinaryFunctorIN3c1011Float8_e5m2ES4_bNS0_12_GLOBAL__N_116CompareEqFunctorIS4_EEEESt5arrayIPcLm3EEEEviT0_T1_.has_recursion, or(0, .L_ZN2at6native25elementwise_kernel_helperILb0ENS0_13BinaryFunctorIN3c1011Float8_e5m2ES4_bNS0_12_GLOBAL__N_116CompareEqFunctorIS4_EEEENS0_6memory8policies11unroll_baseILi256ESt5arrayIPcLm3EE23TrivialOffsetCalculatorILi2EjESF_ILi1EjENS9_15LoadWithoutCastENS9_16StoreWithoutCastELi16ELi1EEEEEvT0_T1_.has_recursion)
	.set _ZN2at6native29vectorized_elementwise_kernelILi16ENS0_13BinaryFunctorIN3c1011Float8_e5m2ES4_bNS0_12_GLOBAL__N_116CompareEqFunctorIS4_EEEESt5arrayIPcLm3EEEEviT0_T1_.has_indirect_call, or(0, .L_ZN2at6native25elementwise_kernel_helperILb0ENS0_13BinaryFunctorIN3c1011Float8_e5m2ES4_bNS0_12_GLOBAL__N_116CompareEqFunctorIS4_EEEENS0_6memory8policies11unroll_baseILi256ESt5arrayIPcLm3EE23TrivialOffsetCalculatorILi2EjESF_ILi1EjENS9_15LoadWithoutCastENS9_16StoreWithoutCastELi16ELi1EEEEEvT0_T1_.has_indirect_call)
	.section	.AMDGPU.csdata,"",@progbits
; Kernel info:
; codeLenInByte = 3932
; TotalNumSgprs: 35
; NumVgprs: 67
; ScratchSize: 0
; MemoryBound: 0
; FloatMode: 240
; IeeeMode: 1
; LDSByteSize: 0 bytes/workgroup (compile time only)
; SGPRBlocks: 0
; VGPRBlocks: 4
; NumSGPRsForWavesPerEU: 35
; NumVGPRsForWavesPerEU: 67
; NamedBarCnt: 0
; Occupancy: 12
; WaveLimiterHint : 0
; COMPUTE_PGM_RSRC2:SCRATCH_EN: 0
; COMPUTE_PGM_RSRC2:USER_SGPR: 2
; COMPUTE_PGM_RSRC2:TRAP_HANDLER: 0
; COMPUTE_PGM_RSRC2:TGID_X_EN: 1
; COMPUTE_PGM_RSRC2:TGID_Y_EN: 0
; COMPUTE_PGM_RSRC2:TGID_Z_EN: 0
; COMPUTE_PGM_RSRC2:TIDIG_COMP_CNT: 0
	.section	.text._ZN2at6native29vectorized_elementwise_kernelILi8ENS0_13BinaryFunctorIN3c1011Float8_e5m2ES4_bNS0_12_GLOBAL__N_116CompareEqFunctorIS4_EEEESt5arrayIPcLm3EEEEviT0_T1_,"axG",@progbits,_ZN2at6native29vectorized_elementwise_kernelILi8ENS0_13BinaryFunctorIN3c1011Float8_e5m2ES4_bNS0_12_GLOBAL__N_116CompareEqFunctorIS4_EEEESt5arrayIPcLm3EEEEviT0_T1_,comdat
	.globl	_ZN2at6native29vectorized_elementwise_kernelILi8ENS0_13BinaryFunctorIN3c1011Float8_e5m2ES4_bNS0_12_GLOBAL__N_116CompareEqFunctorIS4_EEEESt5arrayIPcLm3EEEEviT0_T1_ ; -- Begin function _ZN2at6native29vectorized_elementwise_kernelILi8ENS0_13BinaryFunctorIN3c1011Float8_e5m2ES4_bNS0_12_GLOBAL__N_116CompareEqFunctorIS4_EEEESt5arrayIPcLm3EEEEviT0_T1_
	.p2align	8
	.type	_ZN2at6native29vectorized_elementwise_kernelILi8ENS0_13BinaryFunctorIN3c1011Float8_e5m2ES4_bNS0_12_GLOBAL__N_116CompareEqFunctorIS4_EEEESt5arrayIPcLm3EEEEviT0_T1_,@function
_ZN2at6native29vectorized_elementwise_kernelILi8ENS0_13BinaryFunctorIN3c1011Float8_e5m2ES4_bNS0_12_GLOBAL__N_116CompareEqFunctorIS4_EEEESt5arrayIPcLm3EEEEviT0_T1_: ; @_ZN2at6native29vectorized_elementwise_kernelILi8ENS0_13BinaryFunctorIN3c1011Float8_e5m2ES4_bNS0_12_GLOBAL__N_116CompareEqFunctorIS4_EEEESt5arrayIPcLm3EEEEviT0_T1_
; %bb.0:
	s_clause 0x2
	s_load_b64 s[8:9], s[0:1], 0x0
	s_load_b128 s[4:7], s[0:1], 0x8
	s_load_b64 s[2:3], s[0:1], 0x18
	s_wait_xcnt 0x0
	s_bfe_u32 s0, ttmp6, 0x4000c
	s_and_b32 s1, ttmp6, 15
	s_add_co_i32 s0, s0, 1
	s_getreg_b32 s10, hwreg(HW_REG_IB_STS2, 6, 4)
	s_mul_i32 s0, ttmp9, s0
	s_mov_b32 s32, 0
	s_add_co_i32 s1, s1, s0
	s_cmp_eq_u32 s10, 0
	s_cselect_b32 s0, ttmp9, s1
	s_delay_alu instid0(SALU_CYCLE_1) | instskip(SKIP_3) | instid1(SALU_CYCLE_1)
	s_lshl_b32 s10, s0, 12
	s_mov_b32 s0, -1
	s_wait_kmcnt 0x0
	s_sub_co_i32 s14, s8, s10
	s_cmp_gt_i32 s14, 0xfff
	s_cbranch_scc1 .LBB226_3
; %bb.1:
	s_and_not1_b32 vcc_lo, exec_lo, s0
	s_cbranch_vccz .LBB226_4
.LBB226_2:
	s_sendmsg sendmsg(MSG_DEALLOC_VGPRS)
	s_endpgm
.LBB226_3:
	s_ashr_i32 s11, s10, 31
	s_mov_b32 s8, 0x7800000
	s_add_nc_u64 s[0:1], s[6:7], s[10:11]
	s_add_nc_u64 s[12:13], s[2:3], s[10:11]
	s_clause 0x3
	global_load_b64 v[4:5], v0, s[0:1] scale_offset
	global_load_b64 v[2:3], v0, s[12:13] scale_offset
	global_load_b64 v[6:7], v0, s[12:13] offset:2048 scale_offset
	global_load_b64 v[8:9], v0, s[0:1] offset:2048 scale_offset
	s_wait_xcnt 0x0
	s_mov_b32 s1, 0xfe00000
	s_cmp_eq_u32 s9, 0
	s_add_nc_u64 s[10:11], s[4:5], s[10:11]
	s_wait_loadcnt 0x3
	v_dual_lshrrev_b32 v10, 8, v4 :: v_dual_lshrrev_b32 v12, 16, v4
	v_dual_lshlrev_b32 v14, 5, v4 :: v_dual_lshrrev_b32 v15, 3, v4
	s_wait_loadcnt 0x2
	v_dual_lshrrev_b32 v20, 8, v2 :: v_dual_lshrrev_b32 v21, 16, v2
	s_delay_alu instid0(VALU_DEP_3)
	v_and_or_b32 v17, 0x7f00, v12, 0.5
	v_and_or_b32 v16, 0x7f00, v10, 0.5
	v_and_or_b32 v15, v15, s1, 0x70000000
	v_and_or_b32 v14, v14, s1, 0x70000000
	v_dual_lshlrev_b32 v10, 17, v10 :: v_dual_lshlrev_b32 v12, 17, v12
	v_dual_lshlrev_b32 v18, 5, v2 :: v_dual_lshrrev_b32 v19, 3, v2
	v_pk_add_f32 v[16:17], v[16:17], -0.5 op_sel_hi:[1,0]
	s_delay_alu instid0(VALU_DEP_4) | instskip(NEXT) | instid1(VALU_DEP_4)
	v_pk_mul_f32 v[14:15], v[14:15], s[8:9] op_sel_hi:[1,0]
	v_cmp_gt_u32_e32 vcc_lo, 0x8000000, v10
	v_cmp_gt_u32_e64 s0, 0x8000000, v12
	s_wait_loadcnt 0x0
	v_lshrrev_b32_e32 v57, 3, v8
	v_and_or_b32 v19, v19, s1, 0x70000000
	v_and_or_b32 v18, v18, s1, 0x70000000
	v_dual_cndmask_b32 v59, v14, v16 :: v_dual_lshlrev_b32 v10, 5, v6
	v_cndmask_b32_e64 v58, v15, v17, s0
	v_and_or_b32 v15, 0x7f00, v21, 0.5
	v_and_or_b32 v14, 0x7f00, v20, 0.5
	v_dual_lshlrev_b32 v12, 17, v20 :: v_dual_lshlrev_b32 v20, 17, v21
	v_dual_lshrrev_b32 v35, 8, v5 :: v_dual_lshrrev_b32 v36, 16, v5
	v_dual_lshlrev_b32 v47, 8, v5 :: v_dual_lshlrev_b32 v48, 5, v5
	v_dual_lshrrev_b32 v49, 3, v5 :: v_dual_lshlrev_b32 v50, 5, v3
	v_pk_add_f32 v[14:15], v[14:15], -0.5 op_sel_hi:[1,0]
	v_pk_mul_f32 v[16:17], v[18:19], s[8:9] op_sel_hi:[1,0]
	v_cmp_gt_u32_e32 vcc_lo, 0x8000000, v12
	v_cmp_gt_u32_e64 s0, 0x8000000, v20
	v_lshrrev_b32_e32 v21, 3, v6
	v_and_or_b32 v19, v49, s1, 0x70000000
	v_and_or_b32 v18, v48, s1, 0x70000000
	v_dual_cndmask_b32 v60, v16, v14, vcc_lo :: v_dual_lshrrev_b32 v12, 8, v9
	v_cndmask_b32_e64 v49, v17, v15, s0
	v_and_or_b32 v15, 0x7f00, v36, 0.5
	v_and_or_b32 v14, 0x7f00, v35, 0.5
	v_dual_lshlrev_b32 v20, 17, v35 :: v_dual_lshlrev_b32 v35, 17, v36
	v_dual_lshrrev_b32 v41, 8, v3 :: v_dual_lshrrev_b32 v42, 16, v3
	v_dual_lshrrev_b32 v51, 3, v3 :: v_dual_lshrrev_b32 v52, 8, v8
	s_delay_alu instid0(VALU_DEP_4)
	v_pk_add_f32 v[14:15], v[14:15], -0.5 op_sel_hi:[1,0]
	v_pk_mul_f32 v[16:17], v[18:19], s[8:9] op_sel_hi:[1,0]
	v_cmp_gt_u32_e32 vcc_lo, 0x8000000, v20
	v_cmp_gt_u32_e64 s0, 0x8000000, v35
	v_lshrrev_b32_e32 v36, 16, v9
	v_and_or_b32 v19, v51, s1, 0x70000000
	v_and_or_b32 v18, v50, s1, 0x70000000
	v_dual_cndmask_b32 v48, v16, v14, vcc_lo :: v_dual_lshrrev_b32 v50, 8, v7
	v_cndmask_b32_e64 v35, v17, v15, s0
	v_and_or_b32 v15, 0x7f00, v42, 0.5
	v_and_or_b32 v14, 0x7f00, v41, 0.5
	v_dual_lshlrev_b32 v20, 17, v41 :: v_dual_lshlrev_b32 v41, 17, v42
	v_dual_lshrrev_b32 v53, 16, v8 :: v_dual_lshrrev_b32 v54, 8, v6
	v_dual_lshrrev_b32 v55, 16, v6 :: v_dual_lshlrev_b32 v56, 5, v8
	s_delay_alu instid0(VALU_DEP_4)
	v_pk_add_f32 v[14:15], v[14:15], -0.5 op_sel_hi:[1,0]
	v_pk_mul_f32 v[16:17], v[18:19], s[8:9] op_sel_hi:[1,0]
	v_cmp_gt_u32_e32 vcc_lo, 0x8000000, v20
	v_cmp_gt_u32_e64 s0, 0x8000000, v41
	v_lshrrev_b32_e32 v42, 16, v7
	v_and_or_b32 v19, v57, s1, 0x70000000
	v_and_or_b32 v18, v56, s1, 0x70000000
	s_delay_alu instid0(VALU_DEP_4)
	v_dual_cndmask_b32 v51, v16, v14, vcc_lo :: v_dual_cndmask_b32 v41, v17, v15, s0
	v_lshlrev_b32_e32 v20, 5, v9
	v_and_or_b32 v15, 0x7f00, v53, 0.5
	v_and_or_b32 v14, 0x7f00, v52, 0.5
	v_dual_lshlrev_b32 v52, 17, v52 :: v_dual_lshlrev_b32 v53, 17, v53
	v_pk_mul_f32 v[16:17], v[18:19], s[8:9] op_sel_hi:[1,0]
	v_lshrrev_b32_e32 v18, 3, v9
	s_delay_alu instid0(VALU_DEP_4) | instskip(NEXT) | instid1(VALU_DEP_4)
	v_pk_add_f32 v[14:15], v[14:15], -0.5 op_sel_hi:[1,0]
	v_cmp_gt_u32_e32 vcc_lo, 0x8000000, v52
	v_cmp_gt_u32_e64 s0, 0x8000000, v53
	v_lshlrev_b32_e32 v57, 17, v55
	v_lshlrev_b32_e32 v52, 5, v7
	v_and_or_b32 v19, v18, s1, 0x70000000
	s_delay_alu instid0(VALU_DEP_4)
	v_dual_cndmask_b32 v56, v16, v14, vcc_lo :: v_dual_cndmask_b32 v53, v17, v15, s0
	v_and_or_b32 v15, v21, s1, 0x70000000
	v_and_or_b32 v17, 0x7f00, v55, 0.5
	v_and_or_b32 v16, 0x7f00, v54, 0.5
	v_and_or_b32 v14, v10, s1, 0x70000000
	v_lshlrev_b32_e32 v10, 17, v54
	v_and_or_b32 v18, v20, s1, 0x70000000
	v_lshrrev_b32_e32 v20, 3, v7
	v_pk_add_f32 v[16:17], v[16:17], -0.5 op_sel_hi:[1,0]
	v_pk_mul_f32 v[14:15], v[14:15], s[8:9] op_sel_hi:[1,0]
	v_cmp_gt_u32_e32 vcc_lo, 0x8000000, v10
	v_lshlrev_b32_e32 v10, 17, v12
	v_cmp_gt_u32_e64 s0, 0x8000000, v57
	v_dual_lshlrev_b32 v23, 17, v4 :: v_dual_lshlrev_b32 v24, 25, v4
	v_cndmask_b32_e32 v55, v14, v16, vcc_lo
	v_and_or_b32 v14, 0x7f00, v12, 0.5
	s_delay_alu instid0(VALU_DEP_4)
	v_cndmask_b32_e64 v54, v15, v17, s0
	v_and_or_b32 v15, 0x7f00, v36, 0.5
	v_and_or_b32 v16, v52, s1, 0x70000000
	v_cmp_gt_u32_e32 vcc_lo, 0x8000000, v10
	v_dual_lshlrev_b32 v52, 8, v3 :: v_dual_lshlrev_b32 v10, 17, v36
	v_and_or_b32 v17, v20, s1, 0x70000000
	v_and_or_b32 v21, 0x7f00, v42, 0.5
	v_and_or_b32 v20, 0x7f00, v50, 0.5
	v_pk_add_f32 v[14:15], v[14:15], -0.5 op_sel_hi:[1,0]
	v_pk_mul_f32 v[18:19], v[18:19], s[8:9] op_sel_hi:[1,0]
	v_cmp_gt_u32_e64 s0, 0x8000000, v10
	v_lshlrev_b32_e32 v12, 17, v42
	v_lshlrev_b16 v1, 8, v4
	v_dual_lshlrev_b32 v25, 13, v4 :: v_dual_lshlrev_b32 v26, 16, v4
	v_lshlrev_b32_e32 v36, 17, v50
	v_pk_add_f32 v[20:21], v[20:21], -0.5 op_sel_hi:[1,0]
	v_pk_mul_f32 v[16:17], v[16:17], s[8:9] op_sel_hi:[1,0]
	v_dual_cndmask_b32 v42, v19, v15, s0 :: v_dual_cndmask_b32 v50, v18, v14, vcc_lo
	v_lshrrev_b32_e32 v14, 4, v24
	v_cmp_gt_u32_e32 vcc_lo, 0x8000000, v12
	v_dual_lshlrev_b32 v27, 17, v2 :: v_dual_lshlrev_b32 v28, 25, v2
	v_and_or_b32 v11, 0x7f00, v4, 0.5
	v_and_or_b32 v19, v25, s1, 0x70000000
	v_cndmask_b32_e32 v57, v17, v21, vcc_lo
	v_cmp_gt_u32_e32 vcc_lo, 0x8000000, v36
	v_and_or_b32 v10, 0x7f00, v1, 0.5
	v_or_b32_e32 v18, 0x70000000, v14
	v_lshlrev_b16 v22, 8, v2
	v_dual_lshlrev_b32 v29, 13, v2 :: v_dual_lshlrev_b32 v30, 16, v2
	s_delay_alu instid0(VALU_DEP_4) | instskip(NEXT) | instid1(VALU_DEP_4)
	v_pk_add_f32 v[10:11], v[10:11], -0.5 op_sel_hi:[1,0]
	v_pk_mul_f32 v[18:19], v[18:19], s[8:9] op_sel_hi:[1,0]
	v_cmp_gt_u32_e64 s0, 0x8000000, v23
	v_cndmask_b32_e32 v36, v16, v20, vcc_lo
	v_cmp_gt_u32_e32 vcc_lo, 0x8000000, v24
	v_lshrrev_b32_e32 v12, 4, v28
	v_and_or_b32 v13, 0x7f00, v2, 0.5
	v_dual_lshlrev_b32 v37, 17, v5 :: v_dual_lshlrev_b32 v38, 25, v5
	v_and_or_b32 v21, v29, s1, 0x70000000
	v_cndmask_b32_e32 v18, v18, v10, vcc_lo
	v_or_b32_e32 v20, 0x70000000, v12
	v_and_or_b32 v12, 0x7f00, v22, 0.5
	v_lshlrev_b16 v33, 8, v5
	v_dual_lshlrev_b32 v39, 13, v5 :: v_dual_lshlrev_b32 v40, 16, v5
	v_dual_lshlrev_b32 v43, 17, v3 :: v_dual_lshlrev_b32 v44, 25, v3
	v_cndmask_b32_e64 v19, v19, v11, s0
	v_pk_add_f32 v[10:11], v[12:13], -0.5 op_sel_hi:[1,0]
	v_pk_mul_f32 v[12:13], v[20:21], s[8:9] op_sel_hi:[1,0]
	v_dual_lshlrev_b32 v20, 13, v8 :: v_dual_lshrrev_b32 v16, 4, v38
	v_cmp_gt_u32_e32 vcc_lo, 0x8000000, v28
	v_cmp_gt_u32_e64 s0, 0x8000000, v27
	v_lshlrev_b16 v34, 8, v3
	v_dual_lshlrev_b32 v45, 13, v3 :: v_dual_lshlrev_b32 v46, 16, v3
	v_and_or_b32 v15, 0x7f00, v5, 0.5
	s_delay_alu instid0(VALU_DEP_4)
	v_dual_cndmask_b32 v21, v13, v11, s0 :: v_dual_cndmask_b32 v27, v12, v10, vcc_lo
	v_dual_lshlrev_b32 v28, 17, v6 :: v_dual_lshrrev_b32 v12, 4, v44
	v_and_or_b32 v11, v39, s1, 0x70000000
	v_and_or_b32 v14, 0x7f00, v33, 0.5
	v_or_b32_e32 v10, 0x70000000, v16
	v_and_or_b32 v17, 0x7f00, v3, 0.5
	v_dual_lshlrev_b32 v23, 17, v8 :: v_dual_lshlrev_b32 v29, 25, v8
	v_and_or_b32 v13, v45, s1, 0x70000000
	v_or_b32_e32 v12, 0x70000000, v12
	v_pk_add_f32 v[14:15], v[14:15], -0.5 op_sel_hi:[1,0]
	v_pk_mul_f32 v[10:11], v[10:11], s[8:9] op_sel_hi:[1,0]
	v_and_or_b32 v16, 0x7f00, v34, 0.5
	v_cmp_gt_u32_e32 vcc_lo, 0x8000000, v38
	v_cmp_gt_u32_e64 s0, 0x8000000, v37
	v_lshlrev_b16 v25, 8, v8
	v_dual_lshlrev_b32 v39, 25, v6 :: v_dual_lshrrev_b32 v38, 4, v29
	s_delay_alu instid0(VALU_DEP_3)
	v_dual_cndmask_b32 v45, v10, v14, vcc_lo :: v_dual_cndmask_b32 v37, v11, v15, s0
	v_pk_add_f32 v[14:15], v[16:17], -0.5 op_sel_hi:[1,0]
	v_pk_mul_f32 v[12:13], v[12:13], s[8:9] op_sel_hi:[1,0]
	v_cmp_gt_u32_e32 vcc_lo, 0x8000000, v43
	v_lshlrev_b32_e32 v61, 13, v6
	v_and_or_b32 v11, v20, s1, 0x70000000
	v_or_b32_e32 v10, 0x70000000, v38
	v_and_or_b32 v17, 0x7f00, v8, 0.5
	v_and_or_b32 v16, 0x7f00, v25, 0.5
	v_cndmask_b32_e32 v20, v13, v15, vcc_lo
	v_cmp_gt_u32_e32 vcc_lo, 0x8000000, v44
	v_lshlrev_b16 v24, 8, v6
	v_pk_mul_f32 v[10:11], v[10:11], s[8:9] op_sel_hi:[1,0]
	v_cmp_gt_u32_e64 s0, 0x8000000, v23
	v_and_or_b32 v13, 0x7f00, v6, 0.5
	v_dual_cndmask_b32 v38, v12, v14 :: v_dual_lshlrev_b32 v43, 25, v9
	v_pk_add_f32 v[14:15], v[16:17], -0.5 op_sel_hi:[1,0]
	v_dual_lshlrev_b32 v16, 13, v9 :: v_dual_lshrrev_b32 v17, 4, v39
	v_cmp_gt_u32_e32 vcc_lo, 0x8000000, v29
	v_and_or_b32 v12, 0x7f00, v24, 0.5
	s_delay_alu instid0(VALU_DEP_4)
	v_cndmask_b32_e64 v23, v11, v15, s0
	v_and_or_b32 v11, v61, s1, 0x70000000
	v_lshlrev_b16 v44, 8, v9
	v_cndmask_b32_e32 v29, v10, v14, vcc_lo
	v_or_b32_e32 v10, 0x70000000, v17
	v_pk_add_f32 v[12:13], v[12:13], -0.5 op_sel_hi:[1,0]
	v_cmp_gt_u32_e32 vcc_lo, 0x8000000, v39
	v_cmp_gt_u32_e64 s0, 0x8000000, v28
	v_and_or_b32 v15, v16, s1, 0x70000000
	v_pk_mul_f32 v[10:11], v[10:11], s[8:9] op_sel_hi:[1,0]
	v_lshrrev_b32_e32 v14, 4, v43
	v_and_or_b32 v17, 0x7f00, v9, 0.5
	v_and_or_b32 v16, 0x7f00, v44, 0.5
	s_delay_alu instid0(VALU_DEP_4) | instskip(SKIP_2) | instid1(VALU_DEP_4)
	v_dual_cndmask_b32 v39, v10, v12 :: v_dual_lshlrev_b32 v62, 17, v9
	v_cndmask_b32_e64 v28, v11, v13, s0
	v_or_b32_e32 v14, 0x70000000, v14
	v_pk_add_f32 v[10:11], v[16:17], -0.5 op_sel_hi:[1,0]
	v_cmp_gt_u32_e32 vcc_lo, 0x8000000, v43
	v_cmp_gt_u32_e64 s0, 0x8000000, v62
	v_dual_lshlrev_b32 v31, 8, v4 :: v_dual_lshlrev_b32 v32, 8, v2
	v_pk_mul_f32 v[12:13], v[14:15], s[8:9] op_sel_hi:[1,0]
	v_lshlrev_b32_e32 v15, 8, v8
	v_lshlrev_b16 v16, 8, v7
	v_and_or_b32 v17, 0x80000000, v4, v58
	v_and_or_b32 v35, 0x80000000, v5, v35
	v_dual_cndmask_b32 v11, v13, v11, s0 :: v_dual_cndmask_b32 v10, v12, v10, vcc_lo
	v_dual_lshlrev_b32 v13, 25, v7 :: v_dual_lshlrev_b32 v12, 8, v6
	v_lshlrev_b32_e32 v4, 13, v7
	v_and_or_b32 v43, 0x80000000, v2, v49
	v_and_or_b32 v41, 0x80000000, v3, v41
	s_delay_alu instid0(VALU_DEP_4) | instskip(NEXT) | instid1(VALU_DEP_4)
	v_dual_lshrrev_b32 v5, 4, v13 :: v_dual_lshlrev_b32 v58, 17, v7
	v_and_or_b32 v3, v4, s1, 0x70000000
	v_and_or_b32 v4, 0x7f00, v16, 0.5
	v_and_or_b32 v31, 0x80000000, v31, v59
	s_delay_alu instid0(VALU_DEP_4)
	v_or_b32_e32 v2, 0x70000000, v5
	v_and_or_b32 v5, 0x7f00, v7, 0.5
	v_cmp_gt_u32_e32 vcc_lo, 0x8000000, v58
	v_and_or_b32 v32, 0x80000000, v32, v60
	v_bfe_i32 v16, v16, 0, 16
	v_pk_mul_f32 v[2:3], v[2:3], s[8:9] op_sel_hi:[1,0]
	v_pk_add_f32 v[4:5], v[4:5], -0.5 op_sel_hi:[1,0]
	v_dual_lshlrev_b32 v49, 16, v9 :: v_dual_lshlrev_b32 v59, 16, v7
	v_lshlrev_b32_e32 v60, 8, v9
	v_and_or_b32 v47, 0x80000000, v47, v48
	s_delay_alu instid0(VALU_DEP_4)
	v_cndmask_b32_e32 v3, v3, v5, vcc_lo
	v_cmp_gt_u32_e32 vcc_lo, 0x8000000, v13
	v_lshlrev_b32_e32 v48, 8, v7
	v_bfe_i32 v22, v22, 0, 16
	v_and_or_b32 v5, 0x80000000, v7, v57
	v_and_or_b32 v7, 0x80000000, v26, v19
	v_cndmask_b32_e32 v2, v2, v4, vcc_lo
	v_cmp_eq_f32_e32 vcc_lo, v31, v32
	v_and_or_b32 v51, 0x80000000, v52, v51
	v_and_or_b32 v13, 0x80000000, v22, v27
	v_dual_lshlrev_b32 v61, 16, v8 :: v_dual_lshlrev_b32 v14, 16, v6
	v_and_or_b32 v2, 0x80000000, v16, v2
	v_cndmask_b32_e64 v16, 0, 1, vcc_lo
	v_cmp_neq_f32_e32 vcc_lo, v31, v32
	v_bfe_i32 v25, v25, 0, 16
	v_and_or_b32 v14, 0x80000000, v14, v28
	v_bfe_i32 v1, v1, 0, 16
	v_and_or_b32 v15, 0x80000000, v15, v56
	v_cndmask_b32_e64 v26, 0, 1, vcc_lo
	v_cmp_eq_f32_e32 vcc_lo, v17, v43
	v_and_or_b32 v25, 0x80000000, v25, v29
	v_and_or_b32 v12, 0x80000000, v12, v55
	;; [unrolled: 1-line block ×4, first 2 shown]
	v_cndmask_b32_e64 v27, 0, 1, vcc_lo
	v_cmp_neq_f32_e32 vcc_lo, v17, v43
	v_bfe_i32 v33, v33, 0, 16
	v_cmp_eq_f32_e64 s0, v1, v13
	v_bfe_i32 v34, v34, 0, 16
	v_and_or_b32 v21, 0x80000000, v40, v37
	v_cndmask_b32_e64 v17, 0, 1, vcc_lo
	v_cmp_eq_f32_e32 vcc_lo, v47, v51
	v_and_or_b32 v19, 0x80000000, v33, v45
	v_and_or_b32 v22, 0x80000000, v34, v38
	;; [unrolled: 1-line block ×3, first 2 shown]
	v_bfe_i32 v24, v24, 0, 16
	v_cndmask_b32_e64 v28, 0, 1, vcc_lo
	v_cmp_neq_f32_e32 vcc_lo, v47, v51
	v_and_or_b32 v23, 0x80000000, v61, v23
	v_and_or_b32 v8, 0x80000000, v8, v53
	;; [unrolled: 1-line block ×4, first 2 shown]
	v_cndmask_b32_e64 v29, 0, 1, vcc_lo
	v_cmp_eq_f32_e32 vcc_lo, v35, v41
	v_and_or_b32 v9, 0x80000000, v9, v42
	v_and_or_b32 v11, 0x80000000, v49, v11
	;; [unrolled: 1-line block ×4, first 2 shown]
	v_cndmask_b32_e64 v30, 0, 1, vcc_lo
	v_cmp_neq_f32_e32 vcc_lo, v35, v41
	v_and_or_b32 v4, 0x80000000, v48, v36
	v_bfe_i32 v44, v44, 0, 16
	v_cndmask_b32_e64 v31, 0, 1, vcc_lo
	v_cmp_eq_f32_e32 vcc_lo, v15, v12
	s_delay_alu instid0(VALU_DEP_3)
	v_and_or_b32 v10, 0x80000000, v44, v10
	v_cndmask_b32_e64 v32, 0, 1, vcc_lo
	s_cselect_b32 vcc_lo, -1, 0
	v_dual_cndmask_b32 v16, v26, v16 :: v_dual_cndmask_b32 v17, v17, v27
	v_cndmask_b32_e64 v26, 0, 1, s0
	v_cmp_neq_f32_e64 s0, v1, v13
	v_cndmask_b32_e32 v27, v31, v30, vcc_lo
	s_delay_alu instid0(VALU_DEP_2) | instskip(SKIP_1) | instid1(VALU_DEP_1)
	v_cndmask_b32_e64 v1, 0, 1, s0
	v_cmp_eq_f32_e64 s0, v7, v18
	v_cndmask_b32_e64 v13, 0, 1, s0
	v_cmp_neq_f32_e64 s0, v7, v18
	v_cndmask_b32_e32 v18, v29, v28, vcc_lo
	s_delay_alu instid0(VALU_DEP_2) | instskip(SKIP_1) | instid1(VALU_DEP_2)
	v_cndmask_b32_e64 v7, 0, 1, s0
	v_cmp_eq_f32_e64 s0, v19, v22
	v_dual_cndmask_b32 v1, v1, v26, vcc_lo :: v_dual_cndmask_b32 v7, v7, v13, vcc_lo
	s_delay_alu instid0(VALU_DEP_2) | instskip(SKIP_1) | instid1(VALU_DEP_1)
	v_cndmask_b32_e64 v28, 0, 1, s0
	v_cmp_neq_f32_e64 s0, v19, v22
	v_cndmask_b32_e64 v19, 0, 1, s0
	v_cmp_eq_f32_e64 s0, v21, v20
	s_delay_alu instid0(VALU_DEP_1) | instskip(SKIP_1) | instid1(VALU_DEP_1)
	v_cndmask_b32_e64 v22, 0, 1, s0
	v_cmp_neq_f32_e64 s0, v21, v20
	v_cndmask_b32_e64 v20, 0, 1, s0
	v_cmp_eq_f32_e64 s0, v25, v24
	s_delay_alu instid0(VALU_DEP_2) | instskip(NEXT) | instid1(VALU_DEP_2)
	v_dual_cndmask_b32 v13, v19, v28, vcc_lo :: v_dual_cndmask_b32 v19, v20, v22, vcc_lo
	v_cndmask_b32_e64 v21, 0, 1, s0
	v_cmp_neq_f32_e64 s0, v25, v24
	s_delay_alu instid0(VALU_DEP_1) | instskip(SKIP_1) | instid1(VALU_DEP_1)
	v_cndmask_b32_e64 v20, 0, 1, s0
	v_cmp_eq_f32_e64 s0, v23, v14
	v_cndmask_b32_e64 v22, 0, 1, s0
	v_cmp_neq_f32_e64 s0, v23, v14
	s_delay_alu instid0(VALU_DEP_1) | instskip(SKIP_1) | instid1(VALU_DEP_2)
	v_cndmask_b32_e64 v14, 0, 1, s0
	v_cmp_neq_f32_e64 s0, v15, v12
	v_dual_cndmask_b32 v20, v20, v21, vcc_lo :: v_dual_cndmask_b32 v14, v14, v22, vcc_lo
	s_delay_alu instid0(VALU_DEP_2) | instskip(SKIP_1) | instid1(VALU_DEP_1)
	v_cndmask_b32_e64 v12, 0, 1, s0
	v_cmp_eq_f32_e64 s0, v8, v6
	v_cndmask_b32_e64 v15, 0, 1, s0
	v_cmp_eq_f32_e64 s0, v9, v5
	s_delay_alu instid0(VALU_DEP_1) | instskip(SKIP_1) | instid1(VALU_DEP_1)
	v_cndmask_b32_e64 v21, 0, 1, s0
	v_cmp_neq_f32_e64 s0, v9, v5
	v_cndmask_b32_e64 v5, 0, 1, s0
	v_cmp_eq_f32_e64 s0, v11, v3
	s_delay_alu instid0(VALU_DEP_1) | instskip(SKIP_1) | instid1(VALU_DEP_1)
	v_cndmask_b32_e64 v9, 0, 1, s0
	v_cmp_neq_f32_e64 s0, v11, v3
	v_cndmask_b32_e64 v3, 0, 1, s0
	v_cmp_eq_f32_e64 s0, v50, v4
	s_delay_alu instid0(VALU_DEP_2) | instskip(NEXT) | instid1(VALU_DEP_2)
	v_cndmask_b32_e32 v3, v3, v9, vcc_lo
	v_cndmask_b32_e64 v11, 0, 1, s0
	v_cmp_neq_f32_e64 s0, v50, v4
	s_delay_alu instid0(VALU_DEP_1) | instskip(SKIP_1) | instid1(VALU_DEP_2)
	v_cndmask_b32_e64 v4, 0, 1, s0
	v_cmp_eq_f32_e64 s0, v10, v2
	v_cndmask_b32_e32 v4, v4, v11, vcc_lo
	s_delay_alu instid0(VALU_DEP_2) | instskip(SKIP_3) | instid1(VALU_DEP_3)
	v_cndmask_b32_e64 v9, 0, 1, s0
	v_cmp_neq_f32_e64 s0, v10, v2
	v_dual_cndmask_b32 v5, v5, v21, vcc_lo :: v_dual_bitop2_b32 v10, 1, v14 bitop3:0x40
	v_and_b32_e32 v3, 1, v3
	v_cndmask_b32_e64 v2, 0, 1, s0
	v_cmp_neq_f32_e64 s0, v8, v6
	s_delay_alu instid0(VALU_DEP_4) | instskip(NEXT) | instid1(VALU_DEP_4)
	v_and_b32_e32 v5, 1, v5
	v_lshlrev_b16 v3, 8, v3
	s_delay_alu instid0(VALU_DEP_4) | instskip(NEXT) | instid1(VALU_DEP_4)
	v_cndmask_b32_e32 v2, v2, v9, vcc_lo
	v_cndmask_b32_e64 v6, 0, 1, s0
	s_delay_alu instid0(VALU_DEP_4)
	v_lshlrev_b16 v5, 8, v5
	v_lshlrev_b16 v9, 8, v10
	v_and_b32_e32 v10, 1, v17
	v_bitop3_b16 v2, v2, v3, 1 bitop3:0xec
	v_cndmask_b32_e32 v6, v6, v15, vcc_lo
	v_bitop3_b16 v3, v4, v5, 1 bitop3:0xec
	v_bitop3_b16 v4, v20, v9, 1 bitop3:0xec
	v_dual_cndmask_b32 v5, v12, v32, vcc_lo :: v_dual_bitop2_b32 v9, 1, v27 bitop3:0x40
	s_delay_alu instid0(VALU_DEP_3) | instskip(NEXT) | instid1(VALU_DEP_3)
	v_dual_lshlrev_b32 v3, 16, v3 :: v_dual_bitop2_b32 v6, 1, v6 bitop3:0x40
	v_and_b32_e32 v8, 0xffff, v4
	s_delay_alu instid0(VALU_DEP_3) | instskip(SKIP_1) | instid1(VALU_DEP_4)
	v_lshlrev_b16 v9, 8, v9
	v_lshlrev_b16 v10, 8, v10
	;; [unrolled: 1-line block ×3, first 2 shown]
	v_and_b32_e32 v2, 0xffff, v2
	s_delay_alu instid0(VALU_DEP_4) | instskip(SKIP_1) | instid1(VALU_DEP_4)
	v_bitop3_b16 v9, v18, v9, 1 bitop3:0xec
	v_and_b32_e32 v4, 1, v19
	v_bitop3_b16 v5, v5, v6, 1 bitop3:0xec
	v_and_b32_e32 v7, 1, v7
	s_delay_alu instid0(VALU_DEP_4) | instskip(NEXT) | instid1(VALU_DEP_4)
	v_dual_lshlrev_b32 v6, 16, v9 :: v_dual_bitop2_b32 v3, v2, v3 bitop3:0x54
	v_lshlrev_b16 v4, 8, v4
	s_delay_alu instid0(VALU_DEP_4) | instskip(NEXT) | instid1(VALU_DEP_4)
	v_lshlrev_b32_e32 v9, 16, v5
	v_lshlrev_b16 v7, 8, v7
	s_delay_alu instid0(VALU_DEP_3) | instskip(NEXT) | instid1(VALU_DEP_3)
	v_bitop3_b16 v4, v13, v4, 1 bitop3:0xec
	v_or_b32_e32 v2, v8, v9
	s_delay_alu instid0(VALU_DEP_3) | instskip(SKIP_1) | instid1(VALU_DEP_4)
	v_bitop3_b16 v1, v1, v7, 1 bitop3:0xec
	v_bitop3_b16 v7, v16, v10, 1 bitop3:0xec
	v_and_b32_e32 v4, 0xffff, v4
	s_delay_alu instid0(VALU_DEP_3) | instskip(NEXT) | instid1(VALU_DEP_2)
	v_and_b32_e32 v1, 0xffff, v1
	v_dual_lshlrev_b32 v7, 16, v7 :: v_dual_bitop2_b32 v5, v4, v6 bitop3:0x54
	s_delay_alu instid0(VALU_DEP_1)
	v_or_b32_e32 v4, v1, v7
	s_clause 0x1
	global_store_b64 v0, v[4:5], s[10:11] scale_offset
	global_store_b64 v0, v[2:3], s[10:11] offset:2048 scale_offset
	s_cbranch_execnz .LBB226_2
.LBB226_4:
	s_wait_xcnt 0x0
	v_dual_mov_b32 v31, v0 :: v_dual_mov_b32 v0, s9
	v_dual_mov_b32 v1, s4 :: v_dual_mov_b32 v2, s5
	;; [unrolled: 1-line block ×4, first 2 shown]
	v_mov_b32_e32 v7, s14
	s_get_pc_i64 s[0:1]
	s_add_nc_u64 s[0:1], s[0:1], _ZN2at6native25elementwise_kernel_helperILb0ENS0_13BinaryFunctorIN3c1011Float8_e5m2ES4_bNS0_12_GLOBAL__N_116CompareEqFunctorIS4_EEEENS0_6memory8policies11unroll_baseILi256ESt5arrayIPcLm3EE23TrivialOffsetCalculatorILi2EjESF_ILi1EjENS9_15LoadWithoutCastENS9_16StoreWithoutCastELi16ELi1EEEEEvT0_T1_@rel64+4
	s_delay_alu instid0(SALU_CYCLE_1)
	s_swap_pc_i64 s[30:31], s[0:1]
	s_endpgm
	.section	.rodata,"a",@progbits
	.p2align	6, 0x0
	.amdhsa_kernel _ZN2at6native29vectorized_elementwise_kernelILi8ENS0_13BinaryFunctorIN3c1011Float8_e5m2ES4_bNS0_12_GLOBAL__N_116CompareEqFunctorIS4_EEEESt5arrayIPcLm3EEEEviT0_T1_
		.amdhsa_group_segment_fixed_size 0
		.amdhsa_private_segment_fixed_size 0
		.amdhsa_kernarg_size 32
		.amdhsa_user_sgpr_count 2
		.amdhsa_user_sgpr_dispatch_ptr 0
		.amdhsa_user_sgpr_queue_ptr 0
		.amdhsa_user_sgpr_kernarg_segment_ptr 1
		.amdhsa_user_sgpr_dispatch_id 0
		.amdhsa_user_sgpr_kernarg_preload_length 0
		.amdhsa_user_sgpr_kernarg_preload_offset 0
		.amdhsa_user_sgpr_private_segment_size 0
		.amdhsa_wavefront_size32 1
		.amdhsa_uses_dynamic_stack 0
		.amdhsa_enable_private_segment 0
		.amdhsa_system_sgpr_workgroup_id_x 1
		.amdhsa_system_sgpr_workgroup_id_y 0
		.amdhsa_system_sgpr_workgroup_id_z 0
		.amdhsa_system_sgpr_workgroup_info 0
		.amdhsa_system_vgpr_workitem_id 0
		.amdhsa_next_free_vgpr 67
		.amdhsa_next_free_sgpr 33
		.amdhsa_named_barrier_count 0
		.amdhsa_reserve_vcc 1
		.amdhsa_float_round_mode_32 0
		.amdhsa_float_round_mode_16_64 0
		.amdhsa_float_denorm_mode_32 3
		.amdhsa_float_denorm_mode_16_64 3
		.amdhsa_fp16_overflow 0
		.amdhsa_memory_ordered 1
		.amdhsa_forward_progress 1
		.amdhsa_inst_pref_size 30
		.amdhsa_round_robin_scheduling 0
		.amdhsa_exception_fp_ieee_invalid_op 0
		.amdhsa_exception_fp_denorm_src 0
		.amdhsa_exception_fp_ieee_div_zero 0
		.amdhsa_exception_fp_ieee_overflow 0
		.amdhsa_exception_fp_ieee_underflow 0
		.amdhsa_exception_fp_ieee_inexact 0
		.amdhsa_exception_int_div_zero 0
	.end_amdhsa_kernel
	.section	.text._ZN2at6native29vectorized_elementwise_kernelILi8ENS0_13BinaryFunctorIN3c1011Float8_e5m2ES4_bNS0_12_GLOBAL__N_116CompareEqFunctorIS4_EEEESt5arrayIPcLm3EEEEviT0_T1_,"axG",@progbits,_ZN2at6native29vectorized_elementwise_kernelILi8ENS0_13BinaryFunctorIN3c1011Float8_e5m2ES4_bNS0_12_GLOBAL__N_116CompareEqFunctorIS4_EEEESt5arrayIPcLm3EEEEviT0_T1_,comdat
.Lfunc_end226:
	.size	_ZN2at6native29vectorized_elementwise_kernelILi8ENS0_13BinaryFunctorIN3c1011Float8_e5m2ES4_bNS0_12_GLOBAL__N_116CompareEqFunctorIS4_EEEESt5arrayIPcLm3EEEEviT0_T1_, .Lfunc_end226-_ZN2at6native29vectorized_elementwise_kernelILi8ENS0_13BinaryFunctorIN3c1011Float8_e5m2ES4_bNS0_12_GLOBAL__N_116CompareEqFunctorIS4_EEEESt5arrayIPcLm3EEEEviT0_T1_
                                        ; -- End function
	.set _ZN2at6native29vectorized_elementwise_kernelILi8ENS0_13BinaryFunctorIN3c1011Float8_e5m2ES4_bNS0_12_GLOBAL__N_116CompareEqFunctorIS4_EEEESt5arrayIPcLm3EEEEviT0_T1_.num_vgpr, max(63, .L_ZN2at6native25elementwise_kernel_helperILb0ENS0_13BinaryFunctorIN3c1011Float8_e5m2ES4_bNS0_12_GLOBAL__N_116CompareEqFunctorIS4_EEEENS0_6memory8policies11unroll_baseILi256ESt5arrayIPcLm3EE23TrivialOffsetCalculatorILi2EjESF_ILi1EjENS9_15LoadWithoutCastENS9_16StoreWithoutCastELi16ELi1EEEEEvT0_T1_.num_vgpr)
	.set _ZN2at6native29vectorized_elementwise_kernelILi8ENS0_13BinaryFunctorIN3c1011Float8_e5m2ES4_bNS0_12_GLOBAL__N_116CompareEqFunctorIS4_EEEESt5arrayIPcLm3EEEEviT0_T1_.num_agpr, max(0, .L_ZN2at6native25elementwise_kernel_helperILb0ENS0_13BinaryFunctorIN3c1011Float8_e5m2ES4_bNS0_12_GLOBAL__N_116CompareEqFunctorIS4_EEEENS0_6memory8policies11unroll_baseILi256ESt5arrayIPcLm3EE23TrivialOffsetCalculatorILi2EjESF_ILi1EjENS9_15LoadWithoutCastENS9_16StoreWithoutCastELi16ELi1EEEEEvT0_T1_.num_agpr)
	.set _ZN2at6native29vectorized_elementwise_kernelILi8ENS0_13BinaryFunctorIN3c1011Float8_e5m2ES4_bNS0_12_GLOBAL__N_116CompareEqFunctorIS4_EEEESt5arrayIPcLm3EEEEviT0_T1_.numbered_sgpr, max(33, .L_ZN2at6native25elementwise_kernel_helperILb0ENS0_13BinaryFunctorIN3c1011Float8_e5m2ES4_bNS0_12_GLOBAL__N_116CompareEqFunctorIS4_EEEENS0_6memory8policies11unroll_baseILi256ESt5arrayIPcLm3EE23TrivialOffsetCalculatorILi2EjESF_ILi1EjENS9_15LoadWithoutCastENS9_16StoreWithoutCastELi16ELi1EEEEEvT0_T1_.numbered_sgpr)
	.set _ZN2at6native29vectorized_elementwise_kernelILi8ENS0_13BinaryFunctorIN3c1011Float8_e5m2ES4_bNS0_12_GLOBAL__N_116CompareEqFunctorIS4_EEEESt5arrayIPcLm3EEEEviT0_T1_.num_named_barrier, max(0, .L_ZN2at6native25elementwise_kernel_helperILb0ENS0_13BinaryFunctorIN3c1011Float8_e5m2ES4_bNS0_12_GLOBAL__N_116CompareEqFunctorIS4_EEEENS0_6memory8policies11unroll_baseILi256ESt5arrayIPcLm3EE23TrivialOffsetCalculatorILi2EjESF_ILi1EjENS9_15LoadWithoutCastENS9_16StoreWithoutCastELi16ELi1EEEEEvT0_T1_.num_named_barrier)
	.set _ZN2at6native29vectorized_elementwise_kernelILi8ENS0_13BinaryFunctorIN3c1011Float8_e5m2ES4_bNS0_12_GLOBAL__N_116CompareEqFunctorIS4_EEEESt5arrayIPcLm3EEEEviT0_T1_.private_seg_size, 0+max(.L_ZN2at6native25elementwise_kernel_helperILb0ENS0_13BinaryFunctorIN3c1011Float8_e5m2ES4_bNS0_12_GLOBAL__N_116CompareEqFunctorIS4_EEEENS0_6memory8policies11unroll_baseILi256ESt5arrayIPcLm3EE23TrivialOffsetCalculatorILi2EjESF_ILi1EjENS9_15LoadWithoutCastENS9_16StoreWithoutCastELi16ELi1EEEEEvT0_T1_.private_seg_size)
	.set _ZN2at6native29vectorized_elementwise_kernelILi8ENS0_13BinaryFunctorIN3c1011Float8_e5m2ES4_bNS0_12_GLOBAL__N_116CompareEqFunctorIS4_EEEESt5arrayIPcLm3EEEEviT0_T1_.uses_vcc, or(1, .L_ZN2at6native25elementwise_kernel_helperILb0ENS0_13BinaryFunctorIN3c1011Float8_e5m2ES4_bNS0_12_GLOBAL__N_116CompareEqFunctorIS4_EEEENS0_6memory8policies11unroll_baseILi256ESt5arrayIPcLm3EE23TrivialOffsetCalculatorILi2EjESF_ILi1EjENS9_15LoadWithoutCastENS9_16StoreWithoutCastELi16ELi1EEEEEvT0_T1_.uses_vcc)
	.set _ZN2at6native29vectorized_elementwise_kernelILi8ENS0_13BinaryFunctorIN3c1011Float8_e5m2ES4_bNS0_12_GLOBAL__N_116CompareEqFunctorIS4_EEEESt5arrayIPcLm3EEEEviT0_T1_.uses_flat_scratch, or(0, .L_ZN2at6native25elementwise_kernel_helperILb0ENS0_13BinaryFunctorIN3c1011Float8_e5m2ES4_bNS0_12_GLOBAL__N_116CompareEqFunctorIS4_EEEENS0_6memory8policies11unroll_baseILi256ESt5arrayIPcLm3EE23TrivialOffsetCalculatorILi2EjESF_ILi1EjENS9_15LoadWithoutCastENS9_16StoreWithoutCastELi16ELi1EEEEEvT0_T1_.uses_flat_scratch)
	.set _ZN2at6native29vectorized_elementwise_kernelILi8ENS0_13BinaryFunctorIN3c1011Float8_e5m2ES4_bNS0_12_GLOBAL__N_116CompareEqFunctorIS4_EEEESt5arrayIPcLm3EEEEviT0_T1_.has_dyn_sized_stack, or(0, .L_ZN2at6native25elementwise_kernel_helperILb0ENS0_13BinaryFunctorIN3c1011Float8_e5m2ES4_bNS0_12_GLOBAL__N_116CompareEqFunctorIS4_EEEENS0_6memory8policies11unroll_baseILi256ESt5arrayIPcLm3EE23TrivialOffsetCalculatorILi2EjESF_ILi1EjENS9_15LoadWithoutCastENS9_16StoreWithoutCastELi16ELi1EEEEEvT0_T1_.has_dyn_sized_stack)
	.set _ZN2at6native29vectorized_elementwise_kernelILi8ENS0_13BinaryFunctorIN3c1011Float8_e5m2ES4_bNS0_12_GLOBAL__N_116CompareEqFunctorIS4_EEEESt5arrayIPcLm3EEEEviT0_T1_.has_recursion, or(0, .L_ZN2at6native25elementwise_kernel_helperILb0ENS0_13BinaryFunctorIN3c1011Float8_e5m2ES4_bNS0_12_GLOBAL__N_116CompareEqFunctorIS4_EEEENS0_6memory8policies11unroll_baseILi256ESt5arrayIPcLm3EE23TrivialOffsetCalculatorILi2EjESF_ILi1EjENS9_15LoadWithoutCastENS9_16StoreWithoutCastELi16ELi1EEEEEvT0_T1_.has_recursion)
	.set _ZN2at6native29vectorized_elementwise_kernelILi8ENS0_13BinaryFunctorIN3c1011Float8_e5m2ES4_bNS0_12_GLOBAL__N_116CompareEqFunctorIS4_EEEESt5arrayIPcLm3EEEEviT0_T1_.has_indirect_call, or(0, .L_ZN2at6native25elementwise_kernel_helperILb0ENS0_13BinaryFunctorIN3c1011Float8_e5m2ES4_bNS0_12_GLOBAL__N_116CompareEqFunctorIS4_EEEENS0_6memory8policies11unroll_baseILi256ESt5arrayIPcLm3EE23TrivialOffsetCalculatorILi2EjESF_ILi1EjENS9_15LoadWithoutCastENS9_16StoreWithoutCastELi16ELi1EEEEEvT0_T1_.has_indirect_call)
	.section	.AMDGPU.csdata,"",@progbits
; Kernel info:
; codeLenInByte = 3816
; TotalNumSgprs: 35
; NumVgprs: 67
; ScratchSize: 0
; MemoryBound: 0
; FloatMode: 240
; IeeeMode: 1
; LDSByteSize: 0 bytes/workgroup (compile time only)
; SGPRBlocks: 0
; VGPRBlocks: 4
; NumSGPRsForWavesPerEU: 35
; NumVGPRsForWavesPerEU: 67
; NamedBarCnt: 0
; Occupancy: 12
; WaveLimiterHint : 1
; COMPUTE_PGM_RSRC2:SCRATCH_EN: 0
; COMPUTE_PGM_RSRC2:USER_SGPR: 2
; COMPUTE_PGM_RSRC2:TRAP_HANDLER: 0
; COMPUTE_PGM_RSRC2:TGID_X_EN: 1
; COMPUTE_PGM_RSRC2:TGID_Y_EN: 0
; COMPUTE_PGM_RSRC2:TGID_Z_EN: 0
; COMPUTE_PGM_RSRC2:TIDIG_COMP_CNT: 0
	.section	.text._ZN2at6native29vectorized_elementwise_kernelILi4ENS0_13BinaryFunctorIN3c1011Float8_e5m2ES4_bNS0_12_GLOBAL__N_116CompareEqFunctorIS4_EEEESt5arrayIPcLm3EEEEviT0_T1_,"axG",@progbits,_ZN2at6native29vectorized_elementwise_kernelILi4ENS0_13BinaryFunctorIN3c1011Float8_e5m2ES4_bNS0_12_GLOBAL__N_116CompareEqFunctorIS4_EEEESt5arrayIPcLm3EEEEviT0_T1_,comdat
	.globl	_ZN2at6native29vectorized_elementwise_kernelILi4ENS0_13BinaryFunctorIN3c1011Float8_e5m2ES4_bNS0_12_GLOBAL__N_116CompareEqFunctorIS4_EEEESt5arrayIPcLm3EEEEviT0_T1_ ; -- Begin function _ZN2at6native29vectorized_elementwise_kernelILi4ENS0_13BinaryFunctorIN3c1011Float8_e5m2ES4_bNS0_12_GLOBAL__N_116CompareEqFunctorIS4_EEEESt5arrayIPcLm3EEEEviT0_T1_
	.p2align	8
	.type	_ZN2at6native29vectorized_elementwise_kernelILi4ENS0_13BinaryFunctorIN3c1011Float8_e5m2ES4_bNS0_12_GLOBAL__N_116CompareEqFunctorIS4_EEEESt5arrayIPcLm3EEEEviT0_T1_,@function
_ZN2at6native29vectorized_elementwise_kernelILi4ENS0_13BinaryFunctorIN3c1011Float8_e5m2ES4_bNS0_12_GLOBAL__N_116CompareEqFunctorIS4_EEEESt5arrayIPcLm3EEEEviT0_T1_: ; @_ZN2at6native29vectorized_elementwise_kernelILi4ENS0_13BinaryFunctorIN3c1011Float8_e5m2ES4_bNS0_12_GLOBAL__N_116CompareEqFunctorIS4_EEEESt5arrayIPcLm3EEEEviT0_T1_
; %bb.0:
	s_clause 0x2
	s_load_b64 s[8:9], s[0:1], 0x0
	s_load_b128 s[4:7], s[0:1], 0x8
	s_load_b64 s[2:3], s[0:1], 0x18
	s_wait_xcnt 0x0
	s_bfe_u32 s0, ttmp6, 0x4000c
	s_and_b32 s1, ttmp6, 15
	s_add_co_i32 s0, s0, 1
	s_getreg_b32 s10, hwreg(HW_REG_IB_STS2, 6, 4)
	s_mul_i32 s0, ttmp9, s0
	s_mov_b32 s32, 0
	s_add_co_i32 s1, s1, s0
	s_cmp_eq_u32 s10, 0
	s_cselect_b32 s0, ttmp9, s1
	s_delay_alu instid0(SALU_CYCLE_1) | instskip(SKIP_3) | instid1(SALU_CYCLE_1)
	s_lshl_b32 s10, s0, 12
	s_mov_b32 s0, -1
	s_wait_kmcnt 0x0
	s_sub_co_i32 s14, s8, s10
	s_cmp_gt_i32 s14, 0xfff
	s_cbranch_scc1 .LBB227_3
; %bb.1:
	s_and_not1_b32 vcc_lo, exec_lo, s0
	s_cbranch_vccz .LBB227_4
.LBB227_2:
	s_sendmsg sendmsg(MSG_DEALLOC_VGPRS)
	s_endpgm
.LBB227_3:
	s_ashr_i32 s11, s10, 31
	s_mov_b32 s8, 0x7800000
	s_add_nc_u64 s[0:1], s[6:7], s[10:11]
	s_add_nc_u64 s[12:13], s[2:3], s[10:11]
	s_clause 0x7
	global_load_b32 v1, v0, s[0:1] scale_offset
	global_load_b32 v16, v0, s[12:13] scale_offset
	global_load_b32 v17, v0, s[0:1] offset:1024 scale_offset
	global_load_b32 v18, v0, s[12:13] offset:1024 scale_offset
	global_load_b32 v19, v0, s[0:1] offset:2048 scale_offset
	global_load_b32 v20, v0, s[12:13] offset:2048 scale_offset
	global_load_b32 v21, v0, s[12:13] offset:3072 scale_offset
	global_load_b32 v22, v0, s[0:1] offset:3072 scale_offset
	s_wait_xcnt 0x0
	s_mov_b32 s1, 0xfe00000
	s_cmp_eq_u32 s9, 0
	s_add_nc_u64 s[10:11], s[4:5], s[10:11]
	s_wait_loadcnt 0x7
	v_dual_lshrrev_b32 v2, 8, v1 :: v_dual_lshrrev_b32 v4, 16, v1
	v_dual_lshlrev_b32 v8, 5, v1 :: v_dual_lshrrev_b32 v9, 3, v1
	s_wait_loadcnt 0x6
	v_dual_lshrrev_b32 v26, 8, v16 :: v_dual_lshrrev_b32 v27, 16, v16
	s_delay_alu instid0(VALU_DEP_3)
	v_and_or_b32 v11, 0x7f00, v4, 0.5
	v_and_or_b32 v10, 0x7f00, v2, 0.5
	v_and_or_b32 v9, v9, s1, 0x70000000
	v_and_or_b32 v8, v8, s1, 0x70000000
	v_dual_lshlrev_b32 v2, 17, v2 :: v_dual_lshlrev_b32 v4, 17, v4
	v_dual_lshlrev_b32 v12, 5, v16 :: v_dual_lshrrev_b32 v13, 3, v16
	v_pk_add_f32 v[10:11], v[10:11], -0.5 op_sel_hi:[1,0]
	s_delay_alu instid0(VALU_DEP_4) | instskip(NEXT) | instid1(VALU_DEP_4)
	v_pk_mul_f32 v[8:9], v[8:9], s[8:9] op_sel_hi:[1,0]
	v_cmp_gt_u32_e32 vcc_lo, 0x8000000, v2
	v_cmp_gt_u32_e64 s0, 0x8000000, v4
	s_wait_loadcnt 0x2
	v_lshrrev_b32_e32 v56, 16, v20
	v_and_or_b32 v13, v13, s1, 0x70000000
	v_and_or_b32 v12, v12, s1, 0x70000000
	v_dual_cndmask_b32 v58, v8, v10, vcc_lo :: v_dual_lshlrev_b32 v2, 5, v19
	v_cndmask_b32_e64 v57, v9, v11, s0
	v_and_or_b32 v9, 0x7f00, v27, 0.5
	v_and_or_b32 v8, 0x7f00, v26, 0.5
	v_dual_lshlrev_b32 v4, 17, v26 :: v_dual_lshlrev_b32 v26, 17, v27
	v_dual_lshrrev_b32 v36, 8, v17 :: v_dual_lshrrev_b32 v37, 16, v17
	v_dual_lshlrev_b32 v48, 8, v17 :: v_dual_lshlrev_b32 v49, 5, v17
	v_dual_lshrrev_b32 v50, 3, v17 :: v_dual_lshlrev_b32 v51, 5, v18
	v_pk_add_f32 v[8:9], v[8:9], -0.5 op_sel_hi:[1,0]
	v_pk_mul_f32 v[10:11], v[12:13], s[8:9] op_sel_hi:[1,0]
	v_cmp_gt_u32_e32 vcc_lo, 0x8000000, v4
	v_cmp_gt_u32_e64 s0, 0x8000000, v26
	v_lshrrev_b32_e32 v27, 3, v19
	v_and_or_b32 v13, v50, s1, 0x70000000
	v_and_or_b32 v12, v49, s1, 0x70000000
	s_delay_alu instid0(VALU_DEP_4)
	v_dual_cndmask_b32 v50, v10, v8, vcc_lo :: v_dual_cndmask_b32 v26, v11, v9, s0
	v_and_or_b32 v9, 0x7f00, v37, 0.5
	v_and_or_b32 v8, 0x7f00, v36, 0.5
	v_dual_lshlrev_b32 v36, 17, v36 :: v_dual_lshlrev_b32 v37, 17, v37
	v_dual_lshrrev_b32 v42, 8, v18 :: v_dual_lshrrev_b32 v43, 16, v18
	v_dual_lshrrev_b32 v52, 3, v18 :: v_dual_lshrrev_b32 v53, 8, v19
	s_delay_alu instid0(VALU_DEP_4)
	v_pk_add_f32 v[8:9], v[8:9], -0.5 op_sel_hi:[1,0]
	v_pk_mul_f32 v[10:11], v[12:13], s[8:9] op_sel_hi:[1,0]
	v_cmp_gt_u32_e64 s0, 0x8000000, v37
	v_and_or_b32 v12, v51, s1, 0x70000000
	s_wait_loadcnt 0x0
	v_lshrrev_b32_e32 v51, 8, v22
	v_cmp_gt_u32_e32 vcc_lo, 0x8000000, v36
	v_and_or_b32 v13, v52, s1, 0x70000000
	v_cndmask_b32_e64 v36, v11, v9, s0
	v_and_or_b32 v9, 0x7f00, v43, 0.5
	v_dual_lshlrev_b32 v43, 17, v43 :: v_dual_cndmask_b32 v37, v10, v8, vcc_lo
	v_and_or_b32 v8, 0x7f00, v42, 0.5
	v_dual_lshlrev_b32 v42, 17, v42 :: v_dual_lshrrev_b32 v54, 16, v19
	v_lshrrev_b32_e32 v55, 8, v20
	v_pk_mul_f32 v[10:11], v[12:13], s[8:9] op_sel_hi:[1,0]
	s_delay_alu instid0(VALU_DEP_4) | instskip(NEXT) | instid1(VALU_DEP_4)
	v_pk_add_f32 v[8:9], v[8:9], -0.5 op_sel_hi:[1,0]
	v_cmp_gt_u32_e32 vcc_lo, 0x8000000, v42
	v_cmp_gt_u32_e64 s0, 0x8000000, v43
	v_lshrrev_b32_e32 v52, 16, v22
	v_and_or_b32 v13, v27, s1, 0x70000000
	v_and_or_b32 v12, v2, s1, 0x70000000
	v_dual_cndmask_b32 v42, v10, v8, vcc_lo :: v_dual_lshrrev_b32 v2, 8, v21
	v_cndmask_b32_e64 v27, v11, v9, s0
	v_and_or_b32 v9, 0x7f00, v54, 0.5
	v_and_or_b32 v8, 0x7f00, v53, 0.5
	v_dual_lshlrev_b32 v43, 17, v53 :: v_dual_lshlrev_b32 v53, 17, v54
	v_dual_lshlrev_b32 v4, 5, v20 :: v_dual_lshrrev_b32 v49, 3, v20
	s_delay_alu instid0(VALU_DEP_3) | instskip(SKIP_1) | instid1(VALU_DEP_4)
	v_pk_add_f32 v[8:9], v[8:9], -0.5 op_sel_hi:[1,0]
	v_pk_mul_f32 v[10:11], v[12:13], s[8:9] op_sel_hi:[1,0]
	v_cmp_gt_u32_e32 vcc_lo, 0x8000000, v43
	v_cmp_gt_u32_e64 s0, 0x8000000, v53
	v_lshlrev_b32_e32 v54, 5, v22
	v_and_or_b32 v13, v49, s1, 0x70000000
	v_and_or_b32 v12, v4, s1, 0x70000000
	v_dual_cndmask_b32 v49, v10, v8 :: v_dual_lshrrev_b32 v4, 3, v22
	v_cndmask_b32_e64 v43, v11, v9, s0
	v_and_or_b32 v9, 0x7f00, v56, 0.5
	v_and_or_b32 v8, 0x7f00, v55, 0.5
	v_dual_lshlrev_b32 v53, 17, v55 :: v_dual_lshlrev_b32 v55, 17, v56
	v_pk_mul_f32 v[10:11], v[12:13], s[8:9] op_sel_hi:[1,0]
	v_lshlrev_b32_e32 v56, 17, v52
	s_delay_alu instid0(VALU_DEP_4) | instskip(NEXT) | instid1(VALU_DEP_4)
	v_pk_add_f32 v[8:9], v[8:9], -0.5 op_sel_hi:[1,0]
	v_cmp_gt_u32_e32 vcc_lo, 0x8000000, v53
	v_cmp_gt_u32_e64 s0, 0x8000000, v55
	v_dual_lshlrev_b32 v6, 17, v1 :: v_dual_lshlrev_b32 v14, 25, v1
	v_dual_lshlrev_b32 v12, 5, v21 :: v_dual_lshrrev_b32 v13, 3, v21
	s_delay_alu instid0(VALU_DEP_3)
	v_dual_cndmask_b32 v53, v11, v9, s0 :: v_dual_cndmask_b32 v55, v10, v8, vcc_lo
	v_and_or_b32 v9, v4, s1, 0x70000000
	v_and_or_b32 v11, 0x7f00, v52, 0.5
	v_and_or_b32 v10, 0x7f00, v51, 0.5
	v_and_or_b32 v8, v54, s1, 0x70000000
	v_dual_lshlrev_b32 v4, 17, v51 :: v_dual_lshrrev_b32 v51, 16, v21
	v_cmp_gt_u32_e64 s0, 0x8000000, v56
	s_delay_alu instid0(VALU_DEP_4) | instskip(NEXT) | instid1(VALU_DEP_4)
	v_pk_add_f32 v[10:11], v[10:11], -0.5 op_sel_hi:[1,0]
	v_pk_mul_f32 v[8:9], v[8:9], s[8:9] op_sel_hi:[1,0]
	s_delay_alu instid0(VALU_DEP_4)
	v_cmp_gt_u32_e32 vcc_lo, 0x8000000, v4
	v_lshlrev_b16 v23, 8, v1
	v_dual_lshlrev_b32 v15, 13, v1 :: v_dual_lshlrev_b32 v25, 16, v1
	v_and_or_b32 v13, v13, s1, 0x70000000
	v_and_or_b32 v12, v12, s1, 0x70000000
	v_dual_lshrrev_b32 v4, 4, v14 :: v_dual_cndmask_b32 v52, v9, v11, s0
	v_cndmask_b32_e32 v54, v8, v10, vcc_lo
	v_and_or_b32 v9, 0x7f00, v51, 0.5
	v_and_or_b32 v8, 0x7f00, v2, 0.5
	v_dual_lshlrev_b32 v2, 17, v2 :: v_dual_lshlrev_b32 v51, 17, v51
	v_dual_lshlrev_b32 v28, 17, v16 :: v_dual_lshlrev_b32 v29, 25, v16
	v_and_or_b32 v3, 0x7f00, v1, 0.5
	v_and_or_b32 v11, v15, s1, 0x70000000
	v_or_b32_e32 v10, 0x70000000, v4
	v_pk_add_f32 v[8:9], v[8:9], -0.5 op_sel_hi:[1,0]
	v_pk_mul_f32 v[12:13], v[12:13], s[8:9] op_sel_hi:[1,0]
	v_cmp_gt_u32_e32 vcc_lo, 0x8000000, v2
	v_and_or_b32 v2, 0x7f00, v23, 0.5
	v_cmp_gt_u32_e64 s0, 0x8000000, v51
	v_lshlrev_b16 v24, 8, v16
	v_dual_lshlrev_b32 v30, 13, v16 :: v_dual_lshlrev_b32 v31, 16, v16
	v_dual_lshlrev_b32 v38, 17, v17 :: v_dual_lshlrev_b32 v39, 25, v17
	s_delay_alu instid0(VALU_DEP_4)
	v_dual_cndmask_b32 v13, v13, v9, s0 :: v_dual_cndmask_b32 v12, v12, v8, vcc_lo
	v_pk_add_f32 v[2:3], v[2:3], -0.5 op_sel_hi:[1,0]
	v_pk_mul_f32 v[8:9], v[10:11], s[8:9] op_sel_hi:[1,0]
	v_dual_lshlrev_b32 v10, 17, v19 :: v_dual_lshrrev_b32 v11, 4, v29
	v_cmp_gt_u32_e32 vcc_lo, 0x8000000, v14
	v_cmp_gt_u32_e64 s0, 0x8000000, v6
	v_and_or_b32 v5, 0x7f00, v16, 0.5
	v_lshlrev_b16 v34, 8, v17
	v_dual_lshlrev_b32 v40, 13, v17 :: v_dual_lshlrev_b32 v41, 16, v17
	s_delay_alu instid0(VALU_DEP_4)
	v_dual_cndmask_b32 v59, v9, v3, s0 :: v_dual_cndmask_b32 v60, v8, v2, vcc_lo
	v_lshrrev_b32_e32 v6, 4, v39
	v_and_or_b32 v3, v30, s1, 0x70000000
	v_and_or_b32 v4, 0x7f00, v24, 0.5
	v_or_b32_e32 v2, 0x70000000, v11
	v_dual_lshlrev_b32 v44, 17, v18 :: v_dual_lshlrev_b32 v45, 25, v18
	v_and_or_b32 v7, 0x7f00, v17, 0.5
	v_and_or_b32 v9, v40, s1, 0x70000000
	v_pk_add_f32 v[4:5], v[4:5], -0.5 op_sel_hi:[1,0]
	v_pk_mul_f32 v[2:3], v[2:3], s[8:9] op_sel_hi:[1,0]
	v_cmp_gt_u32_e32 vcc_lo, 0x8000000, v29
	v_lshlrev_b32_e32 v29, 17, v20
	v_or_b32_e32 v8, 0x70000000, v6
	v_and_or_b32 v6, 0x7f00, v34, 0.5
	v_cmp_gt_u32_e64 s0, 0x8000000, v28
	v_lshlrev_b16 v35, 8, v18
	v_dual_lshlrev_b32 v46, 13, v18 :: v_dual_lshlrev_b32 v47, 16, v18
	s_delay_alu instid0(VALU_DEP_3)
	v_dual_cndmask_b32 v30, v2, v4, vcc_lo :: v_dual_cndmask_b32 v28, v3, v5, s0
	v_dual_lshrrev_b32 v2, 4, v45 :: v_dual_lshlrev_b32 v40, 25, v20
	v_pk_add_f32 v[4:5], v[6:7], -0.5 op_sel_hi:[1,0]
	v_pk_mul_f32 v[6:7], v[8:9], s[8:9] op_sel_hi:[1,0]
	v_cmp_gt_u32_e32 vcc_lo, 0x8000000, v38
	v_and_or_b32 v15, 0x7f00, v18, 0.5
	v_dual_lshlrev_b32 v61, 25, v19 :: v_dual_lshlrev_b32 v11, 13, v19
	v_and_or_b32 v3, v46, s1, 0x70000000
	v_or_b32_e32 v2, 0x70000000, v2
	v_dual_lshlrev_b32 v8, 13, v20 :: v_dual_cndmask_b32 v38, v7, v5, vcc_lo
	v_and_or_b32 v14, 0x7f00, v35, 0.5
	v_cmp_gt_u32_e32 vcc_lo, 0x8000000, v39
	v_lshlrev_b16 v51, 8, v19
	v_pk_mul_f32 v[2:3], v[2:3], s[8:9] op_sel_hi:[1,0]
	v_cmp_gt_u32_e64 s0, 0x8000000, v44
	v_lshlrev_b16 v56, 8, v20
	v_cndmask_b32_e32 v39, v6, v4, vcc_lo
	v_pk_add_f32 v[6:7], v[14:15], -0.5 op_sel_hi:[1,0]
	v_cmp_gt_u32_e32 vcc_lo, 0x8000000, v45
	v_lshrrev_b32_e32 v14, 4, v61
	v_and_or_b32 v5, 0x7f00, v19, 0.5
	v_and_or_b32 v4, 0x7f00, v51, 0.5
	v_dual_cndmask_b32 v15, v3, v7, s0 :: v_dual_cndmask_b32 v44, v2, v6, vcc_lo
	v_lshrrev_b32_e32 v6, 4, v40
	v_and_or_b32 v3, v11, s1, 0x70000000
	v_or_b32_e32 v2, 0x70000000, v14
	v_and_or_b32 v9, 0x7f00, v20, 0.5
	v_and_or_b32 v7, v8, s1, 0x70000000
	v_lshlrev_b32_e32 v11, 25, v22
	v_or_b32_e32 v6, 0x70000000, v6
	v_and_or_b32 v8, 0x7f00, v56, 0.5
	v_pk_add_f32 v[4:5], v[4:5], -0.5 op_sel_hi:[1,0]
	v_pk_mul_f32 v[2:3], v[2:3], s[8:9] op_sel_hi:[1,0]
	v_cmp_gt_u32_e32 vcc_lo, 0x8000000, v61
	v_pk_mul_f32 v[6:7], v[6:7], s[8:9] op_sel_hi:[1,0]
	v_pk_add_f32 v[8:9], v[8:9], -0.5 op_sel_hi:[1,0]
	v_lshlrev_b16 v45, 8, v22
	v_cmp_gt_u32_e64 s0, 0x8000000, v10
	v_dual_cndmask_b32 v46, v2, v4 :: v_dual_lshlrev_b32 v61, 25, v21
	v_cmp_gt_u32_e32 vcc_lo, 0x8000000, v29
	s_delay_alu instid0(VALU_DEP_3)
	v_dual_lshlrev_b32 v14, 13, v22 :: v_dual_cndmask_b32 v10, v3, v5, s0
	v_dual_lshlrev_b32 v62, 13, v21 :: v_dual_lshrrev_b32 v4, 4, v11
	v_cndmask_b32_e32 v29, v7, v9, vcc_lo
	v_cmp_gt_u32_e32 vcc_lo, 0x8000000, v40
	v_dual_lshlrev_b32 v32, 8, v1 :: v_dual_lshlrev_b32 v33, 8, v16
	v_and_or_b32 v3, 0x7f00, v22, 0.5
	v_and_or_b32 v5, v14, s1, 0x70000000
	v_dual_cndmask_b32 v40, v6, v8, vcc_lo :: v_dual_lshrrev_b32 v6, 4, v61
	v_lshlrev_b32_e32 v8, 8, v18
	v_and_or_b32 v2, 0x7f00, v45, 0.5
	v_or_b32_e32 v4, 0x70000000, v4
	v_lshlrev_b32_e32 v9, 8, v19
	v_and_or_b32 v16, 0x80000000, v16, v26
	v_lshlrev_b16 v26, 8, v21
	v_and_or_b32 v37, 0x80000000, v48, v37
	v_lshlrev_b32_e32 v48, 17, v22
	v_and_or_b32 v7, v62, s1, 0x70000000
	v_or_b32_e32 v6, 0x70000000, v6
	v_pk_add_f32 v[2:3], v[2:3], -0.5 op_sel_hi:[1,0]
	v_pk_mul_f32 v[4:5], v[4:5], s[8:9] op_sel_hi:[1,0]
	v_cmp_gt_u32_e32 vcc_lo, 0x8000000, v11
	v_and_or_b32 v1, 0x80000000, v1, v57
	v_and_or_b32 v33, 0x80000000, v33, v50
	v_lshlrev_b32_e32 v50, 8, v20
	v_and_or_b32 v17, 0x80000000, v17, v36
	v_lshlrev_b32_e32 v36, 16, v22
	;; [unrolled: 2-line block ×3, first 2 shown]
	v_and_or_b32 v49, 0x80000000, v9, v49
	v_and_or_b32 v9, 0x7f00, v21, 0.5
	v_and_or_b32 v8, 0x7f00, v26, 0.5
	v_cmp_gt_u32_e64 s0, 0x8000000, v48
	v_and_or_b32 v18, 0x80000000, v18, v27
	v_lshlrev_b32_e32 v27, 16, v21
	v_pk_mul_f32 v[6:7], v[6:7], s[8:9] op_sel_hi:[1,0]
	v_pk_add_f32 v[8:9], v[8:9], -0.5 op_sel_hi:[1,0]
	v_dual_cndmask_b32 v3, v5, v3, s0 :: v_dual_cndmask_b32 v2, v4, v2, vcc_lo
	v_cmp_gt_u32_e32 vcc_lo, 0x8000000, v57
	v_and_or_b32 v14, 0x80000000, v32, v58
	v_bfe_i32 v26, v26, 0, 16
	v_dual_lshlrev_b32 v11, 16, v19 :: v_dual_lshlrev_b32 v32, 16, v20
	v_cndmask_b32_e32 v7, v7, v9, vcc_lo
	v_cmp_gt_u32_e32 vcc_lo, 0x8000000, v61
	v_lshlrev_b32_e32 v58, 8, v22
	v_and_or_b32 v19, 0x80000000, v19, v43
	v_lshlrev_b32_e32 v43, 8, v21
	v_bfe_i32 v23, v23, 0, 16
	v_cndmask_b32_e32 v6, v6, v8, vcc_lo
	v_cmp_eq_f32_e32 vcc_lo, v14, v33
	v_and_or_b32 v7, 0x80000000, v27, v7
	v_bfe_i32 v24, v24, 0, 16
	v_and_or_b32 v8, 0x80000000, v43, v12
	v_and_or_b32 v6, 0x80000000, v26, v6
	v_cndmask_b32_e64 v26, 0, 1, vcc_lo
	v_cmp_neq_f32_e32 vcc_lo, v14, v33
	v_and_or_b32 v9, 0x80000000, v21, v13
	v_and_or_b32 v12, 0x80000000, v23, v60
	v_and_or_b32 v21, 0x80000000, v24, v30
	v_and_or_b32 v5, 0x80000000, v22, v52
	v_cndmask_b32_e64 v14, 0, 1, vcc_lo
	v_cmp_eq_f32_e32 vcc_lo, v1, v16
	v_and_or_b32 v13, 0x80000000, v25, v59
	v_cmp_eq_f32_e64 s0, v12, v21
	v_and_or_b32 v22, 0x80000000, v31, v28
	v_bfe_i32 v34, v34, 0, 16
	v_cndmask_b32_e64 v27, 0, 1, vcc_lo
	v_cmp_neq_f32_e32 vcc_lo, v1, v16
	v_bfe_i32 v35, v35, 0, 16
	v_and_or_b32 v24, 0x80000000, v41, v38
	v_and_or_b32 v23, 0x80000000, v34, v39
	;; [unrolled: 1-line block ×3, first 2 shown]
	v_cndmask_b32_e64 v1, 0, 1, vcc_lo
	v_cmp_eq_f32_e32 vcc_lo, v37, v42
	v_and_or_b32 v25, 0x80000000, v35, v44
	v_and_or_b32 v50, 0x80000000, v50, v55
	;; [unrolled: 1-line block ×3, first 2 shown]
	v_bfe_i32 v51, v51, 0, 16
	v_cndmask_b32_e64 v16, 0, 1, vcc_lo
	v_cmp_neq_f32_e32 vcc_lo, v37, v42
	v_bfe_i32 v53, v56, 0, 16
	v_and_or_b32 v10, 0x80000000, v11, v10
	v_and_or_b32 v28, 0x80000000, v51, v46
	;; [unrolled: 1-line block ×3, first 2 shown]
	v_cndmask_b32_e64 v30, 0, 1, vcc_lo
	v_cmp_eq_f32_e32 vcc_lo, v17, v18
	v_and_or_b32 v11, 0x80000000, v53, v40
	v_and_or_b32 v3, 0x80000000, v36, v3
	;; [unrolled: 1-line block ×3, first 2 shown]
	v_bfe_i32 v45, v45, 0, 16
	v_cndmask_b32_e64 v31, 0, 1, vcc_lo
	v_cmp_neq_f32_e32 vcc_lo, v17, v18
	v_cndmask_b32_e64 v18, 0, 1, s0
	v_cmp_neq_f32_e64 s0, v12, v21
	v_and_or_b32 v2, 0x80000000, v45, v2
	v_cndmask_b32_e64 v17, 0, 1, vcc_lo
	s_cselect_b32 vcc_lo, -1, 0
	v_cndmask_b32_e64 v12, 0, 1, s0
	v_cmp_eq_f32_e64 s0, v13, v22
	v_dual_cndmask_b32 v14, v14, v26 :: v_dual_cndmask_b32 v1, v1, v27
	v_dual_cndmask_b32 v16, v30, v16 :: v_dual_cndmask_b32 v17, v17, v31
	s_delay_alu instid0(VALU_DEP_3) | instskip(SKIP_1) | instid1(VALU_DEP_4)
	v_cndmask_b32_e64 v21, 0, 1, s0
	v_cmp_neq_f32_e64 s0, v13, v22
	v_and_b32_e32 v1, 1, v1
	s_delay_alu instid0(VALU_DEP_2) | instskip(SKIP_2) | instid1(VALU_DEP_4)
	v_cndmask_b32_e64 v13, 0, 1, s0
	v_cmp_eq_f32_e64 s0, v23, v25
	v_cndmask_b32_e32 v12, v12, v18, vcc_lo
	v_lshlrev_b16 v1, 8, v1
	s_delay_alu instid0(VALU_DEP_4) | instskip(NEXT) | instid1(VALU_DEP_4)
	v_cndmask_b32_e32 v13, v13, v21, vcc_lo
	v_cndmask_b32_e64 v22, 0, 1, s0
	v_cmp_neq_f32_e64 s0, v23, v25
	s_delay_alu instid0(VALU_DEP_4) | instskip(NEXT) | instid1(VALU_DEP_2)
	v_bitop3_b16 v1, v14, v1, 1 bitop3:0xec
	v_cndmask_b32_e64 v23, 0, 1, s0
	v_cmp_eq_f32_e64 s0, v24, v15
	s_delay_alu instid0(VALU_DEP_2) | instskip(NEXT) | instid1(VALU_DEP_2)
	v_dual_cndmask_b32 v18, v23, v22 :: v_dual_lshlrev_b32 v1, 16, v1
	v_cndmask_b32_e64 v25, 0, 1, s0
	v_cmp_neq_f32_e64 s0, v24, v15
	s_delay_alu instid0(VALU_DEP_1) | instskip(SKIP_1) | instid1(VALU_DEP_2)
	v_cndmask_b32_e64 v15, 0, 1, s0
	v_cmp_eq_f32_e64 s0, v49, v50
	v_cndmask_b32_e32 v15, v15, v25, vcc_lo
	s_delay_alu instid0(VALU_DEP_2) | instskip(SKIP_1) | instid1(VALU_DEP_1)
	v_cndmask_b32_e64 v21, 0, 1, s0
	v_cmp_eq_f32_e64 s0, v28, v11
	v_cndmask_b32_e64 v22, 0, 1, s0
	v_cmp_neq_f32_e64 s0, v28, v11
	s_delay_alu instid0(VALU_DEP_1) | instskip(SKIP_1) | instid1(VALU_DEP_2)
	v_cndmask_b32_e64 v11, 0, 1, s0
	v_cmp_eq_f32_e64 s0, v10, v29
	v_cndmask_b32_e32 v11, v11, v22, vcc_lo
	s_delay_alu instid0(VALU_DEP_2) | instskip(SKIP_1) | instid1(VALU_DEP_1)
	v_cndmask_b32_e64 v23, 0, 1, s0
	v_cmp_neq_f32_e64 s0, v10, v29
	v_cndmask_b32_e64 v10, 0, 1, s0
	v_cmp_neq_f32_e64 s0, v49, v50
	s_delay_alu instid0(VALU_DEP_2) | instskip(NEXT) | instid1(VALU_DEP_2)
	v_cndmask_b32_e32 v10, v10, v23, vcc_lo
	v_cndmask_b32_e64 v24, 0, 1, s0
	v_cmp_eq_f32_e64 s0, v19, v20
	s_delay_alu instid0(VALU_DEP_1) | instskip(SKIP_1) | instid1(VALU_DEP_1)
	v_cndmask_b32_e64 v25, 0, 1, s0
	v_cmp_eq_f32_e64 s0, v5, v9
	v_cndmask_b32_e64 v22, 0, 1, s0
	v_cmp_neq_f32_e64 s0, v5, v9
	s_delay_alu instid0(VALU_DEP_1) | instskip(SKIP_1) | instid1(VALU_DEP_2)
	v_cndmask_b32_e64 v5, 0, 1, s0
	v_cmp_eq_f32_e64 s0, v3, v7
	v_cndmask_b32_e32 v5, v5, v22, vcc_lo
	s_delay_alu instid0(VALU_DEP_2) | instskip(SKIP_1) | instid1(VALU_DEP_1)
	v_cndmask_b32_e64 v9, 0, 1, s0
	v_cmp_neq_f32_e64 s0, v3, v7
	v_cndmask_b32_e64 v3, 0, 1, s0
	v_cmp_eq_f32_e64 s0, v4, v8
	s_delay_alu instid0(VALU_DEP_2) | instskip(NEXT) | instid1(VALU_DEP_2)
	v_cndmask_b32_e32 v3, v3, v9, vcc_lo
	v_cndmask_b32_e64 v7, 0, 1, s0
	v_cmp_neq_f32_e64 s0, v4, v8
	v_and_b32_e32 v9, 1, v17
	s_delay_alu instid0(VALU_DEP_2) | instskip(SKIP_2) | instid1(VALU_DEP_4)
	v_cndmask_b32_e64 v4, 0, 1, s0
	v_cmp_eq_f32_e64 s0, v2, v6
	v_and_b32_e32 v5, 1, v5
	v_lshlrev_b16 v9, 8, v9
	s_delay_alu instid0(VALU_DEP_4) | instskip(NEXT) | instid1(VALU_DEP_4)
	v_cndmask_b32_e32 v4, v4, v7, vcc_lo
	v_cndmask_b32_e64 v8, 0, 1, s0
	v_cmp_neq_f32_e64 s0, v2, v6
	v_and_b32_e32 v6, 1, v10
	v_and_b32_e32 v3, 1, v3
	v_lshlrev_b16 v5, 8, v5
	v_bitop3_b16 v9, v16, v9, 1 bitop3:0xec
	v_cndmask_b32_e64 v2, 0, 1, s0
	v_cmp_neq_f32_e64 s0, v19, v20
	v_lshlrev_b16 v3, 8, v3
	v_lshlrev_b16 v6, 8, v6
	s_delay_alu instid0(VALU_DEP_4) | instskip(NEXT) | instid1(VALU_DEP_4)
	v_cndmask_b32_e32 v2, v2, v8, vcc_lo
	v_cndmask_b32_e64 v7, 0, 1, s0
	v_and_b32_e32 v8, 1, v13
	s_delay_alu instid0(VALU_DEP_3) | instskip(SKIP_4) | instid1(VALU_DEP_4)
	v_bitop3_b16 v2, v2, v3, 1 bitop3:0xec
	v_bitop3_b16 v3, v4, v5, 1 bitop3:0xec
	;; [unrolled: 1-line block ×3, first 2 shown]
	v_dual_cndmask_b32 v6, v7, v25, vcc_lo :: v_dual_bitop2_b32 v7, 1, v15 bitop3:0x40
	v_lshlrev_b16 v8, 8, v8
	v_dual_lshlrev_b32 v3, 16, v3 :: v_dual_cndmask_b32 v5, v24, v21, vcc_lo
	s_delay_alu instid0(VALU_DEP_3) | instskip(NEXT) | instid1(VALU_DEP_4)
	v_and_b32_e32 v6, 1, v6
	v_lshlrev_b16 v7, 8, v7
	s_delay_alu instid0(VALU_DEP_4) | instskip(SKIP_4) | instid1(VALU_DEP_4)
	v_bitop3_b16 v8, v12, v8, 1 bitop3:0xec
	v_and_b32_e32 v2, 0xffff, v2
	v_and_b32_e32 v4, 0xffff, v4
	v_lshlrev_b16 v6, 8, v6
	v_bitop3_b16 v7, v18, v7, 1 bitop3:0xec
	v_or_b32_e32 v2, v2, v3
	s_delay_alu instid0(VALU_DEP_3) | instskip(NEXT) | instid1(VALU_DEP_3)
	v_bitop3_b16 v5, v5, v6, 1 bitop3:0xec
	v_and_b32_e32 v6, 0xffff, v7
	v_and_b32_e32 v7, 0xffff, v8
	v_lshlrev_b32_e32 v8, 16, v9
	s_delay_alu instid0(VALU_DEP_4) | instskip(NEXT) | instid1(VALU_DEP_3)
	v_lshlrev_b32_e32 v5, 16, v5
	v_or_b32_e32 v1, v7, v1
	s_delay_alu instid0(VALU_DEP_3) | instskip(NEXT) | instid1(VALU_DEP_3)
	v_or_b32_e32 v3, v6, v8
	v_or_b32_e32 v4, v4, v5
	s_clause 0x3
	global_store_b32 v0, v1, s[10:11] scale_offset
	global_store_b32 v0, v3, s[10:11] offset:1024 scale_offset
	global_store_b32 v0, v4, s[10:11] offset:2048 scale_offset
	;; [unrolled: 1-line block ×3, first 2 shown]
	s_cbranch_execnz .LBB227_2
.LBB227_4:
	s_wait_xcnt 0x0
	v_dual_mov_b32 v31, v0 :: v_dual_mov_b32 v0, s9
	v_dual_mov_b32 v1, s4 :: v_dual_mov_b32 v2, s5
	;; [unrolled: 1-line block ×4, first 2 shown]
	v_mov_b32_e32 v7, s14
	s_get_pc_i64 s[0:1]
	s_add_nc_u64 s[0:1], s[0:1], _ZN2at6native25elementwise_kernel_helperILb0ENS0_13BinaryFunctorIN3c1011Float8_e5m2ES4_bNS0_12_GLOBAL__N_116CompareEqFunctorIS4_EEEENS0_6memory8policies11unroll_baseILi256ESt5arrayIPcLm3EE23TrivialOffsetCalculatorILi2EjESF_ILi1EjENS9_15LoadWithoutCastENS9_16StoreWithoutCastELi16ELi1EEEEEvT0_T1_@rel64+4
	s_delay_alu instid0(SALU_CYCLE_1)
	s_swap_pc_i64 s[30:31], s[0:1]
	s_endpgm
	.section	.rodata,"a",@progbits
	.p2align	6, 0x0
	.amdhsa_kernel _ZN2at6native29vectorized_elementwise_kernelILi4ENS0_13BinaryFunctorIN3c1011Float8_e5m2ES4_bNS0_12_GLOBAL__N_116CompareEqFunctorIS4_EEEESt5arrayIPcLm3EEEEviT0_T1_
		.amdhsa_group_segment_fixed_size 0
		.amdhsa_private_segment_fixed_size 0
		.amdhsa_kernarg_size 32
		.amdhsa_user_sgpr_count 2
		.amdhsa_user_sgpr_dispatch_ptr 0
		.amdhsa_user_sgpr_queue_ptr 0
		.amdhsa_user_sgpr_kernarg_segment_ptr 1
		.amdhsa_user_sgpr_dispatch_id 0
		.amdhsa_user_sgpr_kernarg_preload_length 0
		.amdhsa_user_sgpr_kernarg_preload_offset 0
		.amdhsa_user_sgpr_private_segment_size 0
		.amdhsa_wavefront_size32 1
		.amdhsa_uses_dynamic_stack 0
		.amdhsa_enable_private_segment 0
		.amdhsa_system_sgpr_workgroup_id_x 1
		.amdhsa_system_sgpr_workgroup_id_y 0
		.amdhsa_system_sgpr_workgroup_id_z 0
		.amdhsa_system_sgpr_workgroup_info 0
		.amdhsa_system_vgpr_workitem_id 0
		.amdhsa_next_free_vgpr 67
		.amdhsa_next_free_sgpr 33
		.amdhsa_named_barrier_count 0
		.amdhsa_reserve_vcc 1
		.amdhsa_float_round_mode_32 0
		.amdhsa_float_round_mode_16_64 0
		.amdhsa_float_denorm_mode_32 3
		.amdhsa_float_denorm_mode_16_64 3
		.amdhsa_fp16_overflow 0
		.amdhsa_memory_ordered 1
		.amdhsa_forward_progress 1
		.amdhsa_inst_pref_size 31
		.amdhsa_round_robin_scheduling 0
		.amdhsa_exception_fp_ieee_invalid_op 0
		.amdhsa_exception_fp_denorm_src 0
		.amdhsa_exception_fp_ieee_div_zero 0
		.amdhsa_exception_fp_ieee_overflow 0
		.amdhsa_exception_fp_ieee_underflow 0
		.amdhsa_exception_fp_ieee_inexact 0
		.amdhsa_exception_int_div_zero 0
	.end_amdhsa_kernel
	.section	.text._ZN2at6native29vectorized_elementwise_kernelILi4ENS0_13BinaryFunctorIN3c1011Float8_e5m2ES4_bNS0_12_GLOBAL__N_116CompareEqFunctorIS4_EEEESt5arrayIPcLm3EEEEviT0_T1_,"axG",@progbits,_ZN2at6native29vectorized_elementwise_kernelILi4ENS0_13BinaryFunctorIN3c1011Float8_e5m2ES4_bNS0_12_GLOBAL__N_116CompareEqFunctorIS4_EEEESt5arrayIPcLm3EEEEviT0_T1_,comdat
.Lfunc_end227:
	.size	_ZN2at6native29vectorized_elementwise_kernelILi4ENS0_13BinaryFunctorIN3c1011Float8_e5m2ES4_bNS0_12_GLOBAL__N_116CompareEqFunctorIS4_EEEESt5arrayIPcLm3EEEEviT0_T1_, .Lfunc_end227-_ZN2at6native29vectorized_elementwise_kernelILi4ENS0_13BinaryFunctorIN3c1011Float8_e5m2ES4_bNS0_12_GLOBAL__N_116CompareEqFunctorIS4_EEEESt5arrayIPcLm3EEEEviT0_T1_
                                        ; -- End function
	.set _ZN2at6native29vectorized_elementwise_kernelILi4ENS0_13BinaryFunctorIN3c1011Float8_e5m2ES4_bNS0_12_GLOBAL__N_116CompareEqFunctorIS4_EEEESt5arrayIPcLm3EEEEviT0_T1_.num_vgpr, max(63, .L_ZN2at6native25elementwise_kernel_helperILb0ENS0_13BinaryFunctorIN3c1011Float8_e5m2ES4_bNS0_12_GLOBAL__N_116CompareEqFunctorIS4_EEEENS0_6memory8policies11unroll_baseILi256ESt5arrayIPcLm3EE23TrivialOffsetCalculatorILi2EjESF_ILi1EjENS9_15LoadWithoutCastENS9_16StoreWithoutCastELi16ELi1EEEEEvT0_T1_.num_vgpr)
	.set _ZN2at6native29vectorized_elementwise_kernelILi4ENS0_13BinaryFunctorIN3c1011Float8_e5m2ES4_bNS0_12_GLOBAL__N_116CompareEqFunctorIS4_EEEESt5arrayIPcLm3EEEEviT0_T1_.num_agpr, max(0, .L_ZN2at6native25elementwise_kernel_helperILb0ENS0_13BinaryFunctorIN3c1011Float8_e5m2ES4_bNS0_12_GLOBAL__N_116CompareEqFunctorIS4_EEEENS0_6memory8policies11unroll_baseILi256ESt5arrayIPcLm3EE23TrivialOffsetCalculatorILi2EjESF_ILi1EjENS9_15LoadWithoutCastENS9_16StoreWithoutCastELi16ELi1EEEEEvT0_T1_.num_agpr)
	.set _ZN2at6native29vectorized_elementwise_kernelILi4ENS0_13BinaryFunctorIN3c1011Float8_e5m2ES4_bNS0_12_GLOBAL__N_116CompareEqFunctorIS4_EEEESt5arrayIPcLm3EEEEviT0_T1_.numbered_sgpr, max(33, .L_ZN2at6native25elementwise_kernel_helperILb0ENS0_13BinaryFunctorIN3c1011Float8_e5m2ES4_bNS0_12_GLOBAL__N_116CompareEqFunctorIS4_EEEENS0_6memory8policies11unroll_baseILi256ESt5arrayIPcLm3EE23TrivialOffsetCalculatorILi2EjESF_ILi1EjENS9_15LoadWithoutCastENS9_16StoreWithoutCastELi16ELi1EEEEEvT0_T1_.numbered_sgpr)
	.set _ZN2at6native29vectorized_elementwise_kernelILi4ENS0_13BinaryFunctorIN3c1011Float8_e5m2ES4_bNS0_12_GLOBAL__N_116CompareEqFunctorIS4_EEEESt5arrayIPcLm3EEEEviT0_T1_.num_named_barrier, max(0, .L_ZN2at6native25elementwise_kernel_helperILb0ENS0_13BinaryFunctorIN3c1011Float8_e5m2ES4_bNS0_12_GLOBAL__N_116CompareEqFunctorIS4_EEEENS0_6memory8policies11unroll_baseILi256ESt5arrayIPcLm3EE23TrivialOffsetCalculatorILi2EjESF_ILi1EjENS9_15LoadWithoutCastENS9_16StoreWithoutCastELi16ELi1EEEEEvT0_T1_.num_named_barrier)
	.set _ZN2at6native29vectorized_elementwise_kernelILi4ENS0_13BinaryFunctorIN3c1011Float8_e5m2ES4_bNS0_12_GLOBAL__N_116CompareEqFunctorIS4_EEEESt5arrayIPcLm3EEEEviT0_T1_.private_seg_size, 0+max(.L_ZN2at6native25elementwise_kernel_helperILb0ENS0_13BinaryFunctorIN3c1011Float8_e5m2ES4_bNS0_12_GLOBAL__N_116CompareEqFunctorIS4_EEEENS0_6memory8policies11unroll_baseILi256ESt5arrayIPcLm3EE23TrivialOffsetCalculatorILi2EjESF_ILi1EjENS9_15LoadWithoutCastENS9_16StoreWithoutCastELi16ELi1EEEEEvT0_T1_.private_seg_size)
	.set _ZN2at6native29vectorized_elementwise_kernelILi4ENS0_13BinaryFunctorIN3c1011Float8_e5m2ES4_bNS0_12_GLOBAL__N_116CompareEqFunctorIS4_EEEESt5arrayIPcLm3EEEEviT0_T1_.uses_vcc, or(1, .L_ZN2at6native25elementwise_kernel_helperILb0ENS0_13BinaryFunctorIN3c1011Float8_e5m2ES4_bNS0_12_GLOBAL__N_116CompareEqFunctorIS4_EEEENS0_6memory8policies11unroll_baseILi256ESt5arrayIPcLm3EE23TrivialOffsetCalculatorILi2EjESF_ILi1EjENS9_15LoadWithoutCastENS9_16StoreWithoutCastELi16ELi1EEEEEvT0_T1_.uses_vcc)
	.set _ZN2at6native29vectorized_elementwise_kernelILi4ENS0_13BinaryFunctorIN3c1011Float8_e5m2ES4_bNS0_12_GLOBAL__N_116CompareEqFunctorIS4_EEEESt5arrayIPcLm3EEEEviT0_T1_.uses_flat_scratch, or(0, .L_ZN2at6native25elementwise_kernel_helperILb0ENS0_13BinaryFunctorIN3c1011Float8_e5m2ES4_bNS0_12_GLOBAL__N_116CompareEqFunctorIS4_EEEENS0_6memory8policies11unroll_baseILi256ESt5arrayIPcLm3EE23TrivialOffsetCalculatorILi2EjESF_ILi1EjENS9_15LoadWithoutCastENS9_16StoreWithoutCastELi16ELi1EEEEEvT0_T1_.uses_flat_scratch)
	.set _ZN2at6native29vectorized_elementwise_kernelILi4ENS0_13BinaryFunctorIN3c1011Float8_e5m2ES4_bNS0_12_GLOBAL__N_116CompareEqFunctorIS4_EEEESt5arrayIPcLm3EEEEviT0_T1_.has_dyn_sized_stack, or(0, .L_ZN2at6native25elementwise_kernel_helperILb0ENS0_13BinaryFunctorIN3c1011Float8_e5m2ES4_bNS0_12_GLOBAL__N_116CompareEqFunctorIS4_EEEENS0_6memory8policies11unroll_baseILi256ESt5arrayIPcLm3EE23TrivialOffsetCalculatorILi2EjESF_ILi1EjENS9_15LoadWithoutCastENS9_16StoreWithoutCastELi16ELi1EEEEEvT0_T1_.has_dyn_sized_stack)
	.set _ZN2at6native29vectorized_elementwise_kernelILi4ENS0_13BinaryFunctorIN3c1011Float8_e5m2ES4_bNS0_12_GLOBAL__N_116CompareEqFunctorIS4_EEEESt5arrayIPcLm3EEEEviT0_T1_.has_recursion, or(0, .L_ZN2at6native25elementwise_kernel_helperILb0ENS0_13BinaryFunctorIN3c1011Float8_e5m2ES4_bNS0_12_GLOBAL__N_116CompareEqFunctorIS4_EEEENS0_6memory8policies11unroll_baseILi256ESt5arrayIPcLm3EE23TrivialOffsetCalculatorILi2EjESF_ILi1EjENS9_15LoadWithoutCastENS9_16StoreWithoutCastELi16ELi1EEEEEvT0_T1_.has_recursion)
	.set _ZN2at6native29vectorized_elementwise_kernelILi4ENS0_13BinaryFunctorIN3c1011Float8_e5m2ES4_bNS0_12_GLOBAL__N_116CompareEqFunctorIS4_EEEESt5arrayIPcLm3EEEEviT0_T1_.has_indirect_call, or(0, .L_ZN2at6native25elementwise_kernel_helperILb0ENS0_13BinaryFunctorIN3c1011Float8_e5m2ES4_bNS0_12_GLOBAL__N_116CompareEqFunctorIS4_EEEENS0_6memory8policies11unroll_baseILi256ESt5arrayIPcLm3EE23TrivialOffsetCalculatorILi2EjESF_ILi1EjENS9_15LoadWithoutCastENS9_16StoreWithoutCastELi16ELi1EEEEEvT0_T1_.has_indirect_call)
	.section	.AMDGPU.csdata,"",@progbits
; Kernel info:
; codeLenInByte = 3856
; TotalNumSgprs: 35
; NumVgprs: 67
; ScratchSize: 0
; MemoryBound: 0
; FloatMode: 240
; IeeeMode: 1
; LDSByteSize: 0 bytes/workgroup (compile time only)
; SGPRBlocks: 0
; VGPRBlocks: 4
; NumSGPRsForWavesPerEU: 35
; NumVGPRsForWavesPerEU: 67
; NamedBarCnt: 0
; Occupancy: 12
; WaveLimiterHint : 1
; COMPUTE_PGM_RSRC2:SCRATCH_EN: 0
; COMPUTE_PGM_RSRC2:USER_SGPR: 2
; COMPUTE_PGM_RSRC2:TRAP_HANDLER: 0
; COMPUTE_PGM_RSRC2:TGID_X_EN: 1
; COMPUTE_PGM_RSRC2:TGID_Y_EN: 0
; COMPUTE_PGM_RSRC2:TGID_Z_EN: 0
; COMPUTE_PGM_RSRC2:TIDIG_COMP_CNT: 0
	.section	.text._ZN2at6native29vectorized_elementwise_kernelILi2ENS0_13BinaryFunctorIN3c1011Float8_e5m2ES4_bNS0_12_GLOBAL__N_116CompareEqFunctorIS4_EEEESt5arrayIPcLm3EEEEviT0_T1_,"axG",@progbits,_ZN2at6native29vectorized_elementwise_kernelILi2ENS0_13BinaryFunctorIN3c1011Float8_e5m2ES4_bNS0_12_GLOBAL__N_116CompareEqFunctorIS4_EEEESt5arrayIPcLm3EEEEviT0_T1_,comdat
	.globl	_ZN2at6native29vectorized_elementwise_kernelILi2ENS0_13BinaryFunctorIN3c1011Float8_e5m2ES4_bNS0_12_GLOBAL__N_116CompareEqFunctorIS4_EEEESt5arrayIPcLm3EEEEviT0_T1_ ; -- Begin function _ZN2at6native29vectorized_elementwise_kernelILi2ENS0_13BinaryFunctorIN3c1011Float8_e5m2ES4_bNS0_12_GLOBAL__N_116CompareEqFunctorIS4_EEEESt5arrayIPcLm3EEEEviT0_T1_
	.p2align	8
	.type	_ZN2at6native29vectorized_elementwise_kernelILi2ENS0_13BinaryFunctorIN3c1011Float8_e5m2ES4_bNS0_12_GLOBAL__N_116CompareEqFunctorIS4_EEEESt5arrayIPcLm3EEEEviT0_T1_,@function
_ZN2at6native29vectorized_elementwise_kernelILi2ENS0_13BinaryFunctorIN3c1011Float8_e5m2ES4_bNS0_12_GLOBAL__N_116CompareEqFunctorIS4_EEEESt5arrayIPcLm3EEEEviT0_T1_: ; @_ZN2at6native29vectorized_elementwise_kernelILi2ENS0_13BinaryFunctorIN3c1011Float8_e5m2ES4_bNS0_12_GLOBAL__N_116CompareEqFunctorIS4_EEEESt5arrayIPcLm3EEEEviT0_T1_
; %bb.0:
	s_clause 0x2
	s_load_b64 s[8:9], s[0:1], 0x0
	s_load_b128 s[4:7], s[0:1], 0x8
	s_load_b64 s[2:3], s[0:1], 0x18
	s_wait_xcnt 0x0
	s_bfe_u32 s0, ttmp6, 0x4000c
	s_and_b32 s1, ttmp6, 15
	s_add_co_i32 s0, s0, 1
	s_getreg_b32 s10, hwreg(HW_REG_IB_STS2, 6, 4)
	s_mul_i32 s0, ttmp9, s0
	s_mov_b32 s32, 0
	s_add_co_i32 s1, s1, s0
	s_cmp_eq_u32 s10, 0
	s_cselect_b32 s0, ttmp9, s1
	s_delay_alu instid0(SALU_CYCLE_1) | instskip(SKIP_3) | instid1(SALU_CYCLE_1)
	s_lshl_b32 s10, s0, 12
	s_mov_b32 s0, -1
	s_wait_kmcnt 0x0
	s_sub_co_i32 s1, s8, s10
	s_cmp_gt_i32 s1, 0xfff
	s_cbranch_scc1 .LBB228_3
; %bb.1:
	s_and_not1_b32 vcc_lo, exec_lo, s0
	s_cbranch_vccz .LBB228_4
.LBB228_2:
	s_sendmsg sendmsg(MSG_DEALLOC_VGPRS)
	s_endpgm
.LBB228_3:
	s_ashr_i32 s11, s10, 31
	s_mov_b32 s8, 0x7800000
	s_add_nc_u64 s[12:13], s[6:7], s[10:11]
	s_add_nc_u64 s[14:15], s[2:3], s[10:11]
	s_clause 0xf
	global_load_u16 v1, v0, s[12:13] scale_offset
	global_load_u16 v2, v0, s[12:13] offset:512 scale_offset
	global_load_u16 v3, v0, s[14:15] scale_offset
	global_load_u16 v4, v0, s[14:15] offset:512 scale_offset
	global_load_u16 v5, v0, s[12:13] offset:1024 scale_offset
	;; [unrolled: 1-line block ×12, first 2 shown]
	; meta instruction
	global_load_u16 v16, v0, s[14:15] offset:3072 scale_offset
	s_cmp_eq_u32 s9, 0
	s_add_nc_u64 s[10:11], s[4:5], s[10:11]
	s_wait_loadcnt 0xf
	v_pk_lshlrev_b16 v18, 0xff000008, v1
	s_wait_loadcnt 0xe
	v_pk_lshlrev_b16 v19, 0xff000008, v2 op_sel_hi:[1,0]
	v_and_b32_e32 v22, 0x7f00, v2
	s_wait_loadcnt 0xd
	v_pk_lshlrev_b16 v20, 0xff000008, v3
	s_wait_loadcnt 0xb
	v_pk_lshlrev_b16 v25, 0xff000008, v5
	v_and_b32_e32 v29, 0x7f00, v5
	s_wait_loadcnt 0x9
	v_pk_lshlrev_b16 v27, 0xff000008, v7
	v_and_b32_e32 v31, 0x7f00, v7
	v_bfe_i32 v53, v5, 0, 16
	v_bfe_i32 v55, v7, 0, 16
	v_dual_lshlrev_b32 v5, 17, v19 :: v_dual_lshlrev_b32 v7, 17, v22
	v_and_b32_e32 v17, 0x7f00, v1
	v_and_b32_e32 v23, 0x7f00, v3
	s_wait_loadcnt 0x6
	v_pk_lshlrev_b16 v34, 0xff000008, v10 op_sel_hi:[1,0]
	s_wait_loadcnt 0x5
	v_pk_lshlrev_b16 v35, 0xff000008, v11
	v_and_b32_e32 v38, 0x7f00, v10
	v_and_b32_e32 v39, 0x7f00, v11
	v_bfe_i32 v51, v3, 0, 16
	v_bfe_i32 v56, v10, 0, 16
	;; [unrolled: 1-line block ×3, first 2 shown]
	v_and_b32_e32 v3, 0xffff, v22
	v_dual_lshrrev_b32 v10, 4, v5 :: v_dual_lshrrev_b32 v11, 4, v7
	v_pk_lshlrev_b16 v28, 0xff000008, v8 op_sel_hi:[1,0]
	v_pk_lshlrev_b16 v33, 0xff000008, v9
	v_and_b32_e32 v37, 0x7f00, v9
	s_wait_loadcnt 0x3
	v_pk_lshlrev_b16 v41, 0xff000008, v13 op_sel_hi:[1,0]
	v_and_b32_e32 v42, 0x7f00, v13
	v_bfe_i32 v49, v2, 0, 16
	v_bfe_i32 v57, v9, 0, 16
	;; [unrolled: 1-line block ×3, first 2 shown]
	v_dual_lshlrev_b32 v9, 17, v17 :: v_dual_lshlrev_b32 v13, 17, v18
	v_and_or_b32 v2, 0x7f00, v19, 0.5
	v_dual_lshlrev_b32 v69, 17, v28 :: v_dual_bitop2_b32 v3, 0.5, v3 bitop3:0x54
	v_or_b32_e32 v10, 0x70000000, v10
	v_or_b32_e32 v11, 0x70000000, v11
	v_pk_lshlrev_b16 v21, 0xff000008, v4 op_sel_hi:[1,0]
	v_and_b32_e32 v24, 0x7f00, v4
	s_wait_loadcnt 0x1
	v_pk_lshlrev_b16 v45, 0xff000008, v15 op_sel_hi:[1,0]
	v_and_b32_e32 v46, 0x7f00, v15
	v_bfe_i32 v62, v15, 0, 16
	v_and_b32_e32 v15, 0xffff, v17
	v_pk_add_f32 v[2:3], v[2:3], -0.5 op_sel_hi:[1,0]
	v_pk_mul_f32 v[10:11], v[10:11], s[8:9] op_sel_hi:[1,0]
	v_cmp_gt_u32_e32 vcc_lo, 0x8000000, v5
	v_lshrrev_b32_e32 v71, 4, v9
	v_cmp_gt_u32_e64 s0, 0x8000000, v7
	v_lshrrev_b32_e32 v70, 4, v13
	s_wait_loadcnt 0x0
	v_and_b32_e32 v47, 0x7f00, v16
	v_pk_lshlrev_b16 v48, 0xff000008, v16
	v_bfe_i32 v50, v4, 0, 16
	v_bfe_i32 v63, v16, 0, 16
	v_and_or_b32 v4, 0x7f00, v18, 0.5
	v_dual_lshlrev_b32 v16, 17, v21 :: v_dual_lshlrev_b32 v17, 17, v24
	v_dual_cndmask_b32 v72, v11, v3, s0 :: v_dual_cndmask_b32 v73, v10, v2, vcc_lo
	v_or_b32_e32 v5, 0.5, v15
	v_or_b32_e32 v3, 0x70000000, v71
	v_or_b32_e32 v2, 0x70000000, v70
	v_dual_lshlrev_b32 v22, 17, v23 :: v_dual_lshlrev_b32 v64, 17, v20
	v_and_b32_e32 v24, 0xffff, v24
	v_dual_lshlrev_b32 v70, 17, v27 :: v_dual_lshrrev_b32 v11, 4, v16
	s_delay_alu instid0(VALU_DEP_4)
	v_pk_mul_f32 v[2:3], v[2:3], s[8:9] op_sel_hi:[1,0]
	v_lshrrev_b32_e32 v10, 4, v17
	v_pk_add_f32 v[4:5], v[4:5], -0.5 op_sel_hi:[1,0]
	v_cmp_gt_u32_e32 vcc_lo, 0x8000000, v13
	v_cmp_gt_u32_e64 s0, 0x8000000, v9
	v_pk_lshlrev_b16 v26, 0xff000008, v6 op_sel_hi:[1,0]
	v_and_b32_e32 v30, 0x7f00, v6
	v_bfe_i32 v52, v6, 0, 16
	v_and_b32_e32 v23, 0xffff, v23
	v_and_or_b32 v6, 0x7f00, v21, 0.5
	v_dual_cndmask_b32 v71, v3, v5, s0 :: v_dual_cndmask_b32 v76, v2, v4, vcc_lo
	v_dual_lshrrev_b32 v3, 4, v22 :: v_dual_bitop2_b32 v7, 0.5, v24 bitop3:0x54
	v_or_b32_e32 v4, 0x70000000, v11
	v_or_b32_e32 v5, 0x70000000, v10
	v_dual_lshrrev_b32 v10, 4, v64 :: v_dual_bitop2_b32 v9, 0.5, v23 bitop3:0x54
	v_and_b32_e32 v32, 0x7f00, v8
	v_bfe_i32 v54, v8, 0, 16
	v_and_or_b32 v8, 0x7f00, v20, 0.5
	v_or_b32_e32 v11, 0x70000000, v3
	v_pk_add_f32 v[6:7], v[6:7], -0.5 op_sel_hi:[1,0]
	v_pk_mul_f32 v[4:5], v[4:5], s[8:9] op_sel_hi:[1,0]
	v_or_b32_e32 v10, 0x70000000, v10
	v_cmp_gt_u32_e32 vcc_lo, 0x8000000, v16
	v_cmp_gt_u32_e64 s0, 0x8000000, v17
	v_dual_lshlrev_b32 v65, 17, v26 :: v_dual_lshlrev_b32 v67, 17, v29
	v_dual_lshlrev_b32 v66, 17, v30 :: v_dual_lshlrev_b32 v68, 17, v25
	s_delay_alu instid0(VALU_DEP_3)
	v_dual_cndmask_b32 v23, v5, v7, s0 :: v_dual_cndmask_b32 v24, v4, v6, vcc_lo
	v_pk_add_f32 v[4:5], v[8:9], -0.5 op_sel_hi:[1,0]
	v_pk_mul_f32 v[6:7], v[10:11], s[8:9] op_sel_hi:[1,0]
	v_cmp_gt_u32_e64 s0, 0x8000000, v22
	v_and_b32_e32 v30, 0xffff, v30
	v_cmp_gt_u32_e32 vcc_lo, 0x8000000, v64
	v_lshrrev_b32_e32 v3, 4, v65
	v_pk_lshlrev_b16 v36, 0xff000008, v12 op_sel_hi:[1,0]
	v_dual_cndmask_b32 v22, v7, v5, s0 :: v_dual_lshrrev_b32 v5, 4, v66
	v_and_b32_e32 v40, 0x7f00, v12
	v_bfe_i32 v58, v12, 0, 16
	v_and_b32_e32 v29, 0xffff, v29
	v_and_or_b32 v12, 0x7f00, v26, 0.5
	v_dual_cndmask_b32 v80, v6, v4, vcc_lo :: v_dual_lshrrev_b32 v6, 4, v67
	v_or_b32_e32 v13, 0.5, v30
	v_or_b32_e32 v4, 0x70000000, v3
	v_or_b32_e32 v5, 0x70000000, v5
	v_dual_lshrrev_b32 v3, 4, v68 :: v_dual_bitop2_b32 v15, 0.5, v29 bitop3:0x54
	v_and_b32_e32 v43, 0x7f00, v14
	v_pk_lshlrev_b16 v44, 0xff000008, v14
	v_bfe_i32 v61, v14, 0, 16
	v_and_or_b32 v14, 0x7f00, v25, 0.5
	v_or_b32_e32 v7, 0x70000000, v6
	v_pk_add_f32 v[8:9], v[12:13], -0.5 op_sel_hi:[1,0]
	v_pk_mul_f32 v[4:5], v[4:5], s[8:9] op_sel_hi:[1,0]
	v_or_b32_e32 v6, 0x70000000, v3
	v_cmp_gt_u32_e32 vcc_lo, 0x8000000, v65
	v_cmp_gt_u32_e64 s0, 0x8000000, v66
	v_dual_lshlrev_b32 v74, 17, v32 :: v_dual_lshlrev_b32 v75, 17, v31
	s_delay_alu instid0(VALU_DEP_4) | instskip(NEXT) | instid1(VALU_DEP_3)
	v_pk_mul_f32 v[6:7], v[6:7], s[8:9] op_sel_hi:[1,0]
	v_dual_cndmask_b32 v30, v4, v8, vcc_lo :: v_dual_cndmask_b32 v29, v5, v9, s0
	v_pk_add_f32 v[8:9], v[14:15], -0.5 op_sel_hi:[1,0]
	v_cmp_gt_u32_e32 vcc_lo, 0x8000000, v68
	v_cmp_gt_u32_e64 s0, 0x8000000, v67
	v_and_b32_e32 v32, 0xffff, v32
	v_dual_lshlrev_b32 v78, 17, v38 :: v_dual_lshlrev_b32 v64, 17, v33
	v_and_b32_e32 v11, 0xffff, v38
	s_delay_alu instid0(VALU_DEP_4)
	v_dual_lshlrev_b32 v14, 17, v36 :: v_dual_cndmask_b32 v38, v7, v9, s0
	v_dual_cndmask_b32 v65, v6, v8 :: v_dual_lshrrev_b32 v6, 4, v69
	v_dual_lshrrev_b32 v7, 4, v74 :: v_dual_bitop2_b32 v3, 0.5, v32 bitop3:0x54
	v_and_b32_e32 v31, 0xffff, v31
	v_and_or_b32 v2, 0x7f00, v28, 0.5
	v_dual_lshlrev_b32 v15, 17, v40 :: v_dual_lshrrev_b32 v5, 4, v75
	s_delay_alu instid0(VALU_DEP_3)
	v_dual_lshrrev_b32 v8, 4, v70 :: v_dual_bitop2_b32 v17, 0.5, v31 bitop3:0x54
	v_or_b32_e32 v6, 0x70000000, v6
	v_or_b32_e32 v7, 0x70000000, v7
	v_and_or_b32 v16, 0x7f00, v27, 0.5
	v_or_b32_e32 v9, 0x70000000, v5
	v_or_b32_e32 v8, 0x70000000, v8
	v_pk_add_f32 v[2:3], v[2:3], -0.5 op_sel_hi:[1,0]
	v_pk_mul_f32 v[6:7], v[6:7], s[8:9] op_sel_hi:[1,0]
	v_cmp_gt_u32_e32 vcc_lo, 0x8000000, v69
	v_cmp_gt_u32_e64 s0, 0x8000000, v74
	v_dual_lshlrev_b32 v77, 17, v34 :: v_dual_lshlrev_b32 v79, 17, v37
	s_delay_alu instid0(VALU_DEP_4) | instskip(SKIP_1) | instid1(VALU_DEP_4)
	v_dual_cndmask_b32 v66, v6, v2 :: v_dual_lshlrev_b32 v31, 17, v39
	v_and_b32_e32 v13, 0xffff, v40
	v_dual_cndmask_b32 v40, v7, v3, s0 :: v_dual_lshrrev_b32 v3, 4, v78
	v_pk_add_f32 v[6:7], v[16:17], -0.5 op_sel_hi:[1,0]
	v_pk_mul_f32 v[8:9], v[8:9], s[8:9] op_sel_hi:[1,0]
	v_cmp_gt_u32_e32 vcc_lo, 0x8000000, v70
	v_cmp_gt_u32_e64 s0, 0x8000000, v75
	v_lshlrev_b32_e32 v32, 17, v35
	v_and_b32_e32 v16, 0xffff, v39
	v_and_b32_e32 v37, 0xffff, v37
	s_delay_alu instid0(VALU_DEP_4) | instskip(SKIP_4) | instid1(VALU_DEP_4)
	v_dual_cndmask_b32 v39, v8, v6, vcc_lo :: v_dual_cndmask_b32 v17, v9, v7, s0
	v_lshrrev_b32_e32 v6, 4, v77
	v_and_or_b32 v10, 0x7f00, v34, 0.5
	v_dual_lshrrev_b32 v8, 4, v79 :: v_dual_lshrrev_b32 v67, 4, v64
	v_or_b32_e32 v11, 0.5, v11
	v_or_b32_e32 v6, 0x70000000, v6
	v_or_b32_e32 v7, 0x70000000, v3
	v_and_or_b32 v4, 0x7f00, v33, 0.5
	v_or_b32_e32 v5, 0.5, v37
	v_or_b32_e32 v9, 0x70000000, v8
	v_or_b32_e32 v8, 0x70000000, v67
	v_lshlrev_b32_e32 v37, 17, v41
	v_pk_add_f32 v[10:11], v[10:11], -0.5 op_sel_hi:[1,0]
	v_pk_mul_f32 v[6:7], v[6:7], s[8:9] op_sel_hi:[1,0]
	v_cmp_gt_u32_e32 vcc_lo, 0x8000000, v77
	v_cmp_gt_u32_e64 s0, 0x8000000, v78
	v_lshlrev_b32_e32 v67, 17, v42
	v_pk_add_f32 v[4:5], v[4:5], -0.5 op_sel_hi:[1,0]
	v_pk_mul_f32 v[8:9], v[8:9], s[8:9] op_sel_hi:[1,0]
	s_delay_alu instid0(VALU_DEP_4) | instskip(SKIP_4) | instid1(VALU_DEP_3)
	v_dual_cndmask_b32 v69, v6, v10, vcc_lo :: v_dual_cndmask_b32 v68, v7, v11, s0
	v_cmp_gt_u32_e32 vcc_lo, 0x8000000, v64
	v_cmp_gt_u32_e64 s0, 0x8000000, v79
	v_and_or_b32 v2, 0x7f00, v36, 0.5
	v_dual_lshrrev_b32 v7, 4, v31 :: v_dual_bitop2_b32 v3, 0.5, v13 bitop3:0x54
	v_dual_cndmask_b32 v75, v8, v4, vcc_lo :: v_dual_cndmask_b32 v74, v9, v5, s0
	v_dual_lshrrev_b32 v4, 4, v14 :: v_dual_lshrrev_b32 v5, 4, v15
	s_delay_alu instid0(VALU_DEP_3) | instskip(SKIP_2) | instid1(VALU_DEP_4)
	v_pk_add_f32 v[2:3], v[2:3], -0.5 op_sel_hi:[1,0]
	v_cmp_gt_u32_e64 s0, 0x8000000, v15
	v_and_or_b32 v12, 0x7f00, v35, 0.5
	v_or_b32_e32 v4, 0x70000000, v4
	v_or_b32_e32 v5, 0x70000000, v5
	;; [unrolled: 1-line block ×3, first 2 shown]
	v_cmp_gt_u32_e32 vcc_lo, 0x8000000, v14
	v_and_b32_e32 v42, 0xffff, v42
	v_lshlrev_b32_e32 v77, 17, v47
	v_pk_mul_f32 v[4:5], v[4:5], s[8:9] op_sel_hi:[1,0]
	v_lshrrev_b32_e32 v8, 4, v32
	v_or_b32_e32 v13, 0.5, v16
	v_and_or_b32 v6, 0x7f00, v41, 0.5
	v_dual_lshlrev_b32 v70, 17, v43 :: v_dual_lshlrev_b32 v64, 17, v44
	v_cndmask_b32_e64 v14, v5, v3, s0
	v_or_b32_e32 v8, 0x70000000, v8
	v_cndmask_b32_e32 v15, v4, v2, vcc_lo
	v_pk_add_f32 v[2:3], v[12:13], -0.5 op_sel_hi:[1,0]
	v_cmp_gt_u32_e64 s0, 0x8000000, v31
	v_cmp_gt_u32_e32 vcc_lo, 0x8000000, v32
	v_pk_mul_f32 v[4:5], v[8:9], s[8:9] op_sel_hi:[1,0]
	v_dual_lshrrev_b32 v8, 4, v37 :: v_dual_lshlrev_b32 v78, 17, v48
	v_dual_lshrrev_b32 v9, 4, v64 :: v_dual_bitop2_b32 v7, 0.5, v42 bitop3:0x54
	s_delay_alu instid0(VALU_DEP_3) | instskip(SKIP_1) | instid1(VALU_DEP_4)
	v_dual_cndmask_b32 v31, v5, v3, s0 :: v_dual_cndmask_b32 v32, v4, v2, vcc_lo
	v_lshrrev_b32_e32 v3, 4, v67
	v_or_b32_e32 v2, 0x70000000, v8
	v_and_b32_e32 v11, 0xffff, v43
	v_dual_lshlrev_b32 v16, 17, v45 :: v_dual_lshlrev_b32 v43, 17, v46
	s_delay_alu instid0(VALU_DEP_4) | instskip(NEXT) | instid1(VALU_DEP_3)
	v_or_b32_e32 v3, 0x70000000, v3
	v_dual_lshrrev_b32 v8, 4, v70 :: v_dual_bitop2_b32 v11, 0.5, v11 bitop3:0x54
	v_pk_add_f32 v[4:5], v[6:7], -0.5 op_sel_hi:[1,0]
	v_cmp_gt_u32_e32 vcc_lo, 0x8000000, v37
	s_delay_alu instid0(VALU_DEP_4) | instskip(SKIP_4) | instid1(VALU_DEP_4)
	v_pk_mul_f32 v[2:3], v[2:3], s[8:9] op_sel_hi:[1,0]
	v_cmp_gt_u32_e64 s0, 0x8000000, v67
	v_and_or_b32 v10, 0x7f00, v44, 0.5
	v_and_b32_e32 v46, 0xffff, v46
	v_dual_lshrrev_b32 v6, 4, v16 :: v_dual_lshrrev_b32 v7, 4, v43
	v_dual_cndmask_b32 v37, v3, v5, s0 :: v_dual_cndmask_b32 v42, v2, v4, vcc_lo
	v_or_b32_e32 v3, 0x70000000, v8
	v_or_b32_e32 v2, 0x70000000, v9
	s_delay_alu instid0(VALU_DEP_4)
	v_or_b32_e32 v4, 0x70000000, v6
	v_or_b32_e32 v5, 0x70000000, v7
	v_dual_lshlrev_b32 v19, 16, v19 :: v_dual_bitop2_b32 v9, 0.5, v46 bitop3:0x54
	v_and_or_b32 v8, 0x7f00, v45, 0.5
	v_pk_add_f32 v[10:11], v[10:11], -0.5 op_sel_hi:[1,0]
	v_pk_mul_f32 v[2:3], v[2:3], s[8:9] op_sel_hi:[1,0]
	v_cmp_gt_u32_e32 vcc_lo, 0x8000000, v64
	v_cmp_gt_u32_e64 s0, 0x8000000, v70
	v_and_b32_e32 v12, 0xffff, v47
	v_dual_lshrrev_b32 v13, 4, v77 :: v_dual_lshrrev_b32 v47, 4, v78
	v_pk_add_f32 v[8:9], v[8:9], -0.5 op_sel_hi:[1,0]
	v_pk_mul_f32 v[4:5], v[4:5], s[8:9] op_sel_hi:[1,0]
	v_dual_cndmask_b32 v3, v3, v11, s0 :: v_dual_cndmask_b32 v2, v2, v10, vcc_lo
	v_cmp_gt_u32_e32 vcc_lo, 0x8000000, v43
	v_or_b32_e32 v7, 0x70000000, v13
	v_or_b32_e32 v6, 0x70000000, v47
	v_dual_lshlrev_b32 v18, 16, v18 :: v_dual_bitop2_b32 v13, 0.5, v12 bitop3:0x54
	v_and_or_b32 v12, 0x7f00, v48, 0.5
	v_cndmask_b32_e32 v5, v5, v9, vcc_lo
	v_cmp_gt_u32_e32 vcc_lo, 0x8000000, v16
	v_dual_lshlrev_b32 v20, 16, v20 :: v_dual_lshlrev_b32 v21, 16, v21
	s_delay_alu instid0(VALU_DEP_4)
	v_pk_add_f32 v[12:13], v[12:13], -0.5 op_sel_hi:[1,0]
	v_pk_mul_f32 v[6:7], v[6:7], s[8:9] op_sel_hi:[1,0]
	v_cndmask_b32_e32 v4, v4, v8, vcc_lo
	v_cmp_gt_u32_e32 vcc_lo, 0x8000000, v77
	v_and_or_b32 v8, 0x80000000, v18, v76
	v_and_or_b32 v11, 0x80000000, v20, v80
	v_bfe_i32 v1, v1, 0, 16
	v_dual_lshlrev_b32 v26, 16, v26 :: v_dual_lshlrev_b32 v25, 16, v25
	v_cndmask_b32_e32 v7, v7, v13, vcc_lo
	v_cmp_gt_u32_e32 vcc_lo, 0x8000000, v78
	v_dual_lshlrev_b32 v34, 16, v34 :: v_dual_lshlrev_b32 v33, 16, v33
	v_and_or_b32 v1, 0x80000000, v1, v71
	v_and_or_b32 v18, 0x80000000, v25, v65
	v_cndmask_b32_e32 v6, v6, v12, vcc_lo
	v_cmp_eq_f32_e32 vcc_lo, v8, v11
	v_and_or_b32 v12, 0x80000000, v51, v22
	v_and_or_b32 v25, 0x80000000, v33, v75
	;; [unrolled: 1-line block ×4, first 2 shown]
	v_cndmask_b32_e64 v33, 0, 1, vcc_lo
	v_cmp_neq_f32_e32 vcc_lo, v8, v11
	v_and_or_b32 v10, 0x80000000, v49, v72
	v_and_or_b32 v16, 0x80000000, v50, v23
	v_dual_lshlrev_b32 v28, 16, v28 :: v_dual_lshlrev_b32 v27, 16, v27
	v_cndmask_b32_e64 v8, 0, 1, vcc_lo
	v_cmp_eq_f32_e32 vcc_lo, v1, v12
	s_delay_alu instid0(VALU_DEP_4)
	v_cmp_eq_f32_e64 s0, v10, v16
	v_and_or_b32 v19, 0x80000000, v53, v38
	v_and_or_b32 v22, 0x80000000, v27, v39
	;; [unrolled: 1-line block ×3, first 2 shown]
	v_cndmask_b32_e64 v11, 0, 1, vcc_lo
	v_cmp_neq_f32_e32 vcc_lo, v1, v12
	v_and_or_b32 v20, 0x80000000, v26, v30
	v_and_or_b32 v23, 0x80000000, v28, v66
	;; [unrolled: 1-line block ×4, first 2 shown]
	v_cndmask_b32_e64 v1, 0, 1, vcc_lo
	v_cmp_eq_f32_e32 vcc_lo, v9, v13
	v_dual_lshlrev_b32 v36, 16, v36 :: v_dual_lshlrev_b32 v35, 16, v35
	v_and_or_b32 v27, 0x80000000, v34, v69
	v_and_or_b32 v28, 0x80000000, v56, v68
	v_cndmask_b32_e64 v12, 0, 1, vcc_lo
	v_cmp_neq_f32_e32 vcc_lo, v9, v13
	v_and_or_b32 v29, 0x80000000, v35, v32
	v_and_or_b32 v15, 0x80000000, v36, v15
	;; [unrolled: 1-line block ×4, first 2 shown]
	v_cndmask_b32_e64 v9, 0, 1, vcc_lo
	s_cselect_b32 vcc_lo, -1, 0
	v_and_or_b32 v30, 0x80000000, v59, v31
	v_dual_cndmask_b32 v8, v8, v33 :: v_dual_cndmask_b32 v1, v1, v11
	v_cndmask_b32_e64 v11, 0, 1, s0
	v_cmp_neq_f32_e64 s0, v10, v16
	v_and_or_b32 v3, 0x80000000, v61, v3
	v_and_or_b32 v7, 0x80000000, v63, v7
	;; [unrolled: 1-line block ×4, first 2 shown]
	v_cndmask_b32_e64 v10, 0, 1, s0
	v_cmp_eq_f32_e64 s0, v18, v22
	v_dual_cndmask_b32 v9, v9, v12, vcc_lo :: v_dual_lshlrev_b32 v41, 16, v41
	s_delay_alu instid0(VALU_DEP_3) | instskip(NEXT) | instid1(VALU_DEP_3)
	v_dual_lshlrev_b32 v44, 16, v44 :: v_dual_cndmask_b32 v10, v10, v11, vcc_lo
	v_cndmask_b32_e64 v12, 0, 1, s0
	v_cmp_neq_f32_e64 s0, v18, v22
	v_dual_lshlrev_b32 v45, 16, v45 :: v_dual_lshlrev_b32 v46, 16, v48
	s_delay_alu instid0(VALU_DEP_4) | instskip(SKIP_1) | instid1(VALU_DEP_4)
	v_and_or_b32 v2, 0x80000000, v44, v2
	v_and_or_b32 v31, 0x80000000, v41, v42
	v_cndmask_b32_e64 v13, 0, 1, s0
	v_cmp_eq_f32_e64 s0, v19, v17
	v_and_or_b32 v6, 0x80000000, v46, v6
	v_and_or_b32 v4, 0x80000000, v45, v4
	v_and_b32_e32 v1, 1, v1
	s_delay_alu instid0(VALU_DEP_4) | instskip(SKIP_1) | instid1(VALU_DEP_3)
	v_cndmask_b32_e64 v16, 0, 1, s0
	v_cmp_neq_f32_e64 s0, v19, v17
	v_lshlrev_b16 v1, 8, v1
	s_delay_alu instid0(VALU_DEP_2) | instskip(SKIP_1) | instid1(VALU_DEP_3)
	v_cndmask_b32_e64 v17, 0, 1, s0
	v_cmp_eq_f32_e64 s0, v20, v23
	v_bitop3_b16 v1, v8, v1, 1 bitop3:0xec
	s_delay_alu instid0(VALU_DEP_2) | instskip(SKIP_1) | instid1(VALU_DEP_1)
	v_cndmask_b32_e64 v18, 0, 1, s0
	v_cmp_neq_f32_e64 s0, v20, v23
	v_cndmask_b32_e64 v19, 0, 1, s0
	v_cmp_eq_f32_e64 s0, v21, v24
	v_cndmask_b32_e32 v11, v13, v12, vcc_lo
	s_delay_alu instid0(VALU_DEP_3) | instskip(NEXT) | instid1(VALU_DEP_3)
	v_dual_cndmask_b32 v12, v17, v16 :: v_dual_cndmask_b32 v13, v19, v18
	v_cndmask_b32_e64 v20, 0, 1, s0
	v_cmp_neq_f32_e64 s0, v21, v24
	s_delay_alu instid0(VALU_DEP_1) | instskip(SKIP_1) | instid1(VALU_DEP_2)
	v_cndmask_b32_e64 v21, 0, 1, s0
	v_cmp_eq_f32_e64 s0, v25, v29
	v_cndmask_b32_e32 v16, v21, v20, vcc_lo
	s_delay_alu instid0(VALU_DEP_2) | instskip(SKIP_1) | instid1(VALU_DEP_1)
	v_cndmask_b32_e64 v17, 0, 1, s0
	v_cmp_neq_f32_e64 s0, v25, v29
	v_cndmask_b32_e64 v18, 0, 1, s0
	v_cmp_eq_f32_e64 s0, v27, v15
	s_delay_alu instid0(VALU_DEP_1) | instskip(SKIP_1) | instid1(VALU_DEP_1)
	v_cndmask_b32_e64 v19, 0, 1, s0
	v_cmp_neq_f32_e64 s0, v27, v15
	v_cndmask_b32_e64 v15, 0, 1, s0
	v_cmp_eq_f32_e64 s0, v28, v14
	s_delay_alu instid0(VALU_DEP_2) | instskip(NEXT) | instid1(VALU_DEP_2)
	v_cndmask_b32_e32 v15, v15, v19, vcc_lo
	v_cndmask_b32_e64 v20, 0, 1, s0
	v_cmp_neq_f32_e64 s0, v28, v14
	s_delay_alu instid0(VALU_DEP_1) | instskip(SKIP_1) | instid1(VALU_DEP_2)
	v_cndmask_b32_e64 v14, 0, 1, s0
	v_cmp_eq_f32_e64 s0, v26, v30
	v_cndmask_b32_e32 v14, v14, v20, vcc_lo
	s_delay_alu instid0(VALU_DEP_2) | instskip(SKIP_1) | instid1(VALU_DEP_1)
	v_cndmask_b32_e64 v21, 0, 1, s0
	v_cmp_neq_f32_e64 s0, v26, v30
	v_cndmask_b32_e64 v22, 0, 1, s0
	v_cmp_eq_f32_e64 s0, v3, v7
	s_delay_alu instid0(VALU_DEP_1) | instskip(SKIP_1) | instid1(VALU_DEP_1)
	v_cndmask_b32_e64 v19, 0, 1, s0
	v_cmp_neq_f32_e64 s0, v3, v7
	v_cndmask_b32_e64 v3, 0, 1, s0
	v_cmp_eq_f32_e64 s0, v32, v5
	s_delay_alu instid0(VALU_DEP_1) | instskip(SKIP_1) | instid1(VALU_DEP_1)
	v_cndmask_b32_e64 v7, 0, 1, s0
	v_cmp_neq_f32_e64 s0, v32, v5
	v_cndmask_b32_e64 v5, 0, 1, s0
	v_cmp_eq_f32_e64 s0, v2, v6
	s_delay_alu instid0(VALU_DEP_2) | instskip(NEXT) | instid1(VALU_DEP_2)
	v_dual_cndmask_b32 v5, v5, v7, vcc_lo :: v_dual_bitop2_b32 v7, 1, v14 bitop3:0x40
	v_cndmask_b32_e64 v20, 0, 1, s0
	v_cmp_neq_f32_e64 s0, v2, v6
	s_delay_alu instid0(VALU_DEP_3) | instskip(NEXT) | instid1(VALU_DEP_2)
	v_dual_cndmask_b32 v3, v3, v19, vcc_lo :: v_dual_bitop2_b32 v5, 1, v5 bitop3:0x40
	v_cndmask_b32_e64 v2, 0, 1, s0
	v_cmp_eq_f32_e64 s0, v31, v4
	s_delay_alu instid0(VALU_DEP_3) | instskip(NEXT) | instid1(VALU_DEP_4)
	v_and_b32_e32 v3, 1, v3
	v_lshlrev_b16 v5, 8, v5
	s_delay_alu instid0(VALU_DEP_4) | instskip(NEXT) | instid1(VALU_DEP_4)
	v_cndmask_b32_e32 v2, v2, v20, vcc_lo
	v_cndmask_b32_e64 v6, 0, 1, s0
	v_cmp_neq_f32_e64 s0, v31, v4
	v_lshlrev_b16 v3, 8, v3
	s_delay_alu instid0(VALU_DEP_2) | instskip(NEXT) | instid1(VALU_DEP_2)
	v_cndmask_b32_e64 v4, 0, 1, s0
	v_bitop3_b16 v2, v2, v3, 1 bitop3:0xec
	s_delay_alu instid0(VALU_DEP_2) | instskip(SKIP_3) | instid1(VALU_DEP_4)
	v_cndmask_b32_e32 v4, v4, v6, vcc_lo
	v_lshlrev_b16 v6, 8, v7
	v_cndmask_b32_e32 v7, v22, v21, vcc_lo
	v_cndmask_b32_e32 v14, v18, v17, vcc_lo
	v_bitop3_b16 v4, v4, v5, 1 bitop3:0xec
	s_delay_alu instid0(VALU_DEP_4) | instskip(NEXT) | instid1(VALU_DEP_4)
	v_bitop3_b16 v3, v15, v6, 1 bitop3:0xec
	v_and_b32_e32 v5, 1, v7
	v_and_b32_e32 v7, 1, v10
	;; [unrolled: 1-line block ×4, first 2 shown]
	s_delay_alu instid0(VALU_DEP_4) | instskip(NEXT) | instid1(VALU_DEP_4)
	v_lshlrev_b16 v5, 8, v5
	v_lshlrev_b16 v7, 8, v7
	s_delay_alu instid0(VALU_DEP_4) | instskip(NEXT) | instid1(VALU_DEP_4)
	v_lshlrev_b16 v10, 8, v10
	v_lshlrev_b16 v6, 8, v6
	s_delay_alu instid0(VALU_DEP_4) | instskip(NEXT) | instid1(VALU_DEP_4)
	v_bitop3_b16 v5, v14, v5, 1 bitop3:0xec
	v_bitop3_b16 v7, v9, v7, 1 bitop3:0xec
	s_delay_alu instid0(VALU_DEP_4) | instskip(NEXT) | instid1(VALU_DEP_4)
	v_bitop3_b16 v8, v11, v10, 1 bitop3:0xec
	v_bitop3_b16 v6, v13, v6, 1 bitop3:0xec
	s_clause 0x7
	global_store_b16 v0, v1, s[10:11] scale_offset
	global_store_b16 v0, v7, s[10:11] offset:512 scale_offset
	global_store_b16 v0, v8, s[10:11] offset:1024 scale_offset
	;; [unrolled: 1-line block ×7, first 2 shown]
	s_cbranch_execnz .LBB228_2
.LBB228_4:
	s_wait_xcnt 0x0
	v_dual_mov_b32 v31, v0 :: v_dual_mov_b32 v0, s9
	v_dual_mov_b32 v1, s4 :: v_dual_mov_b32 v2, s5
	;; [unrolled: 1-line block ×4, first 2 shown]
	v_mov_b32_e32 v7, s1
	s_get_pc_i64 s[10:11]
	s_add_nc_u64 s[10:11], s[10:11], _ZN2at6native25elementwise_kernel_helperILb0ENS0_13BinaryFunctorIN3c1011Float8_e5m2ES4_bNS0_12_GLOBAL__N_116CompareEqFunctorIS4_EEEENS0_6memory8policies11unroll_baseILi256ESt5arrayIPcLm3EE23TrivialOffsetCalculatorILi2EjESF_ILi1EjENS9_15LoadWithoutCastENS9_16StoreWithoutCastELi16ELi1EEEEEvT0_T1_@rel64+4
	s_delay_alu instid0(SALU_CYCLE_1)
	s_swap_pc_i64 s[30:31], s[10:11]
	s_endpgm
	.section	.rodata,"a",@progbits
	.p2align	6, 0x0
	.amdhsa_kernel _ZN2at6native29vectorized_elementwise_kernelILi2ENS0_13BinaryFunctorIN3c1011Float8_e5m2ES4_bNS0_12_GLOBAL__N_116CompareEqFunctorIS4_EEEESt5arrayIPcLm3EEEEviT0_T1_
		.amdhsa_group_segment_fixed_size 0
		.amdhsa_private_segment_fixed_size 0
		.amdhsa_kernarg_size 32
		.amdhsa_user_sgpr_count 2
		.amdhsa_user_sgpr_dispatch_ptr 0
		.amdhsa_user_sgpr_queue_ptr 0
		.amdhsa_user_sgpr_kernarg_segment_ptr 1
		.amdhsa_user_sgpr_dispatch_id 0
		.amdhsa_user_sgpr_kernarg_preload_length 0
		.amdhsa_user_sgpr_kernarg_preload_offset 0
		.amdhsa_user_sgpr_private_segment_size 0
		.amdhsa_wavefront_size32 1
		.amdhsa_uses_dynamic_stack 0
		.amdhsa_enable_private_segment 0
		.amdhsa_system_sgpr_workgroup_id_x 1
		.amdhsa_system_sgpr_workgroup_id_y 0
		.amdhsa_system_sgpr_workgroup_id_z 0
		.amdhsa_system_sgpr_workgroup_info 0
		.amdhsa_system_vgpr_workitem_id 0
		.amdhsa_next_free_vgpr 81
		.amdhsa_next_free_sgpr 33
		.amdhsa_named_barrier_count 0
		.amdhsa_reserve_vcc 1
		.amdhsa_float_round_mode_32 0
		.amdhsa_float_round_mode_16_64 0
		.amdhsa_float_denorm_mode_32 3
		.amdhsa_float_denorm_mode_16_64 3
		.amdhsa_fp16_overflow 0
		.amdhsa_memory_ordered 1
		.amdhsa_forward_progress 1
		.amdhsa_inst_pref_size 33
		.amdhsa_round_robin_scheduling 0
		.amdhsa_exception_fp_ieee_invalid_op 0
		.amdhsa_exception_fp_denorm_src 0
		.amdhsa_exception_fp_ieee_div_zero 0
		.amdhsa_exception_fp_ieee_overflow 0
		.amdhsa_exception_fp_ieee_underflow 0
		.amdhsa_exception_fp_ieee_inexact 0
		.amdhsa_exception_int_div_zero 0
	.end_amdhsa_kernel
	.section	.text._ZN2at6native29vectorized_elementwise_kernelILi2ENS0_13BinaryFunctorIN3c1011Float8_e5m2ES4_bNS0_12_GLOBAL__N_116CompareEqFunctorIS4_EEEESt5arrayIPcLm3EEEEviT0_T1_,"axG",@progbits,_ZN2at6native29vectorized_elementwise_kernelILi2ENS0_13BinaryFunctorIN3c1011Float8_e5m2ES4_bNS0_12_GLOBAL__N_116CompareEqFunctorIS4_EEEESt5arrayIPcLm3EEEEviT0_T1_,comdat
.Lfunc_end228:
	.size	_ZN2at6native29vectorized_elementwise_kernelILi2ENS0_13BinaryFunctorIN3c1011Float8_e5m2ES4_bNS0_12_GLOBAL__N_116CompareEqFunctorIS4_EEEESt5arrayIPcLm3EEEEviT0_T1_, .Lfunc_end228-_ZN2at6native29vectorized_elementwise_kernelILi2ENS0_13BinaryFunctorIN3c1011Float8_e5m2ES4_bNS0_12_GLOBAL__N_116CompareEqFunctorIS4_EEEESt5arrayIPcLm3EEEEviT0_T1_
                                        ; -- End function
	.set _ZN2at6native29vectorized_elementwise_kernelILi2ENS0_13BinaryFunctorIN3c1011Float8_e5m2ES4_bNS0_12_GLOBAL__N_116CompareEqFunctorIS4_EEEESt5arrayIPcLm3EEEEviT0_T1_.num_vgpr, max(81, .L_ZN2at6native25elementwise_kernel_helperILb0ENS0_13BinaryFunctorIN3c1011Float8_e5m2ES4_bNS0_12_GLOBAL__N_116CompareEqFunctorIS4_EEEENS0_6memory8policies11unroll_baseILi256ESt5arrayIPcLm3EE23TrivialOffsetCalculatorILi2EjESF_ILi1EjENS9_15LoadWithoutCastENS9_16StoreWithoutCastELi16ELi1EEEEEvT0_T1_.num_vgpr)
	.set _ZN2at6native29vectorized_elementwise_kernelILi2ENS0_13BinaryFunctorIN3c1011Float8_e5m2ES4_bNS0_12_GLOBAL__N_116CompareEqFunctorIS4_EEEESt5arrayIPcLm3EEEEviT0_T1_.num_agpr, max(0, .L_ZN2at6native25elementwise_kernel_helperILb0ENS0_13BinaryFunctorIN3c1011Float8_e5m2ES4_bNS0_12_GLOBAL__N_116CompareEqFunctorIS4_EEEENS0_6memory8policies11unroll_baseILi256ESt5arrayIPcLm3EE23TrivialOffsetCalculatorILi2EjESF_ILi1EjENS9_15LoadWithoutCastENS9_16StoreWithoutCastELi16ELi1EEEEEvT0_T1_.num_agpr)
	.set _ZN2at6native29vectorized_elementwise_kernelILi2ENS0_13BinaryFunctorIN3c1011Float8_e5m2ES4_bNS0_12_GLOBAL__N_116CompareEqFunctorIS4_EEEESt5arrayIPcLm3EEEEviT0_T1_.numbered_sgpr, max(33, .L_ZN2at6native25elementwise_kernel_helperILb0ENS0_13BinaryFunctorIN3c1011Float8_e5m2ES4_bNS0_12_GLOBAL__N_116CompareEqFunctorIS4_EEEENS0_6memory8policies11unroll_baseILi256ESt5arrayIPcLm3EE23TrivialOffsetCalculatorILi2EjESF_ILi1EjENS9_15LoadWithoutCastENS9_16StoreWithoutCastELi16ELi1EEEEEvT0_T1_.numbered_sgpr)
	.set _ZN2at6native29vectorized_elementwise_kernelILi2ENS0_13BinaryFunctorIN3c1011Float8_e5m2ES4_bNS0_12_GLOBAL__N_116CompareEqFunctorIS4_EEEESt5arrayIPcLm3EEEEviT0_T1_.num_named_barrier, max(0, .L_ZN2at6native25elementwise_kernel_helperILb0ENS0_13BinaryFunctorIN3c1011Float8_e5m2ES4_bNS0_12_GLOBAL__N_116CompareEqFunctorIS4_EEEENS0_6memory8policies11unroll_baseILi256ESt5arrayIPcLm3EE23TrivialOffsetCalculatorILi2EjESF_ILi1EjENS9_15LoadWithoutCastENS9_16StoreWithoutCastELi16ELi1EEEEEvT0_T1_.num_named_barrier)
	.set _ZN2at6native29vectorized_elementwise_kernelILi2ENS0_13BinaryFunctorIN3c1011Float8_e5m2ES4_bNS0_12_GLOBAL__N_116CompareEqFunctorIS4_EEEESt5arrayIPcLm3EEEEviT0_T1_.private_seg_size, 0+max(.L_ZN2at6native25elementwise_kernel_helperILb0ENS0_13BinaryFunctorIN3c1011Float8_e5m2ES4_bNS0_12_GLOBAL__N_116CompareEqFunctorIS4_EEEENS0_6memory8policies11unroll_baseILi256ESt5arrayIPcLm3EE23TrivialOffsetCalculatorILi2EjESF_ILi1EjENS9_15LoadWithoutCastENS9_16StoreWithoutCastELi16ELi1EEEEEvT0_T1_.private_seg_size)
	.set _ZN2at6native29vectorized_elementwise_kernelILi2ENS0_13BinaryFunctorIN3c1011Float8_e5m2ES4_bNS0_12_GLOBAL__N_116CompareEqFunctorIS4_EEEESt5arrayIPcLm3EEEEviT0_T1_.uses_vcc, or(1, .L_ZN2at6native25elementwise_kernel_helperILb0ENS0_13BinaryFunctorIN3c1011Float8_e5m2ES4_bNS0_12_GLOBAL__N_116CompareEqFunctorIS4_EEEENS0_6memory8policies11unroll_baseILi256ESt5arrayIPcLm3EE23TrivialOffsetCalculatorILi2EjESF_ILi1EjENS9_15LoadWithoutCastENS9_16StoreWithoutCastELi16ELi1EEEEEvT0_T1_.uses_vcc)
	.set _ZN2at6native29vectorized_elementwise_kernelILi2ENS0_13BinaryFunctorIN3c1011Float8_e5m2ES4_bNS0_12_GLOBAL__N_116CompareEqFunctorIS4_EEEESt5arrayIPcLm3EEEEviT0_T1_.uses_flat_scratch, or(0, .L_ZN2at6native25elementwise_kernel_helperILb0ENS0_13BinaryFunctorIN3c1011Float8_e5m2ES4_bNS0_12_GLOBAL__N_116CompareEqFunctorIS4_EEEENS0_6memory8policies11unroll_baseILi256ESt5arrayIPcLm3EE23TrivialOffsetCalculatorILi2EjESF_ILi1EjENS9_15LoadWithoutCastENS9_16StoreWithoutCastELi16ELi1EEEEEvT0_T1_.uses_flat_scratch)
	.set _ZN2at6native29vectorized_elementwise_kernelILi2ENS0_13BinaryFunctorIN3c1011Float8_e5m2ES4_bNS0_12_GLOBAL__N_116CompareEqFunctorIS4_EEEESt5arrayIPcLm3EEEEviT0_T1_.has_dyn_sized_stack, or(0, .L_ZN2at6native25elementwise_kernel_helperILb0ENS0_13BinaryFunctorIN3c1011Float8_e5m2ES4_bNS0_12_GLOBAL__N_116CompareEqFunctorIS4_EEEENS0_6memory8policies11unroll_baseILi256ESt5arrayIPcLm3EE23TrivialOffsetCalculatorILi2EjESF_ILi1EjENS9_15LoadWithoutCastENS9_16StoreWithoutCastELi16ELi1EEEEEvT0_T1_.has_dyn_sized_stack)
	.set _ZN2at6native29vectorized_elementwise_kernelILi2ENS0_13BinaryFunctorIN3c1011Float8_e5m2ES4_bNS0_12_GLOBAL__N_116CompareEqFunctorIS4_EEEESt5arrayIPcLm3EEEEviT0_T1_.has_recursion, or(0, .L_ZN2at6native25elementwise_kernel_helperILb0ENS0_13BinaryFunctorIN3c1011Float8_e5m2ES4_bNS0_12_GLOBAL__N_116CompareEqFunctorIS4_EEEENS0_6memory8policies11unroll_baseILi256ESt5arrayIPcLm3EE23TrivialOffsetCalculatorILi2EjESF_ILi1EjENS9_15LoadWithoutCastENS9_16StoreWithoutCastELi16ELi1EEEEEvT0_T1_.has_recursion)
	.set _ZN2at6native29vectorized_elementwise_kernelILi2ENS0_13BinaryFunctorIN3c1011Float8_e5m2ES4_bNS0_12_GLOBAL__N_116CompareEqFunctorIS4_EEEESt5arrayIPcLm3EEEEviT0_T1_.has_indirect_call, or(0, .L_ZN2at6native25elementwise_kernel_helperILb0ENS0_13BinaryFunctorIN3c1011Float8_e5m2ES4_bNS0_12_GLOBAL__N_116CompareEqFunctorIS4_EEEENS0_6memory8policies11unroll_baseILi256ESt5arrayIPcLm3EE23TrivialOffsetCalculatorILi2EjESF_ILi1EjENS9_15LoadWithoutCastENS9_16StoreWithoutCastELi16ELi1EEEEEvT0_T1_.has_indirect_call)
	.section	.AMDGPU.csdata,"",@progbits
; Kernel info:
; codeLenInByte = 4140
; TotalNumSgprs: 35
; NumVgprs: 81
; ScratchSize: 0
; MemoryBound: 0
; FloatMode: 240
; IeeeMode: 1
; LDSByteSize: 0 bytes/workgroup (compile time only)
; SGPRBlocks: 0
; VGPRBlocks: 5
; NumSGPRsForWavesPerEU: 35
; NumVGPRsForWavesPerEU: 81
; NamedBarCnt: 0
; Occupancy: 10
; WaveLimiterHint : 1
; COMPUTE_PGM_RSRC2:SCRATCH_EN: 0
; COMPUTE_PGM_RSRC2:USER_SGPR: 2
; COMPUTE_PGM_RSRC2:TRAP_HANDLER: 0
; COMPUTE_PGM_RSRC2:TGID_X_EN: 1
; COMPUTE_PGM_RSRC2:TGID_Y_EN: 0
; COMPUTE_PGM_RSRC2:TGID_Z_EN: 0
; COMPUTE_PGM_RSRC2:TIDIG_COMP_CNT: 0
	.section	.text._ZN2at6native27unrolled_elementwise_kernelINS0_13BinaryFunctorIN3c1011Float8_e5m2ES4_bNS0_12_GLOBAL__N_116CompareEqFunctorIS4_EEEESt5arrayIPcLm3EELi4E23TrivialOffsetCalculatorILi2EjESC_ILi1EjENS0_6memory15LoadWithoutCastENSF_16StoreWithoutCastEEEviT_T0_T2_T3_T4_T5_,"axG",@progbits,_ZN2at6native27unrolled_elementwise_kernelINS0_13BinaryFunctorIN3c1011Float8_e5m2ES4_bNS0_12_GLOBAL__N_116CompareEqFunctorIS4_EEEESt5arrayIPcLm3EELi4E23TrivialOffsetCalculatorILi2EjESC_ILi1EjENS0_6memory15LoadWithoutCastENSF_16StoreWithoutCastEEEviT_T0_T2_T3_T4_T5_,comdat
	.globl	_ZN2at6native27unrolled_elementwise_kernelINS0_13BinaryFunctorIN3c1011Float8_e5m2ES4_bNS0_12_GLOBAL__N_116CompareEqFunctorIS4_EEEESt5arrayIPcLm3EELi4E23TrivialOffsetCalculatorILi2EjESC_ILi1EjENS0_6memory15LoadWithoutCastENSF_16StoreWithoutCastEEEviT_T0_T2_T3_T4_T5_ ; -- Begin function _ZN2at6native27unrolled_elementwise_kernelINS0_13BinaryFunctorIN3c1011Float8_e5m2ES4_bNS0_12_GLOBAL__N_116CompareEqFunctorIS4_EEEESt5arrayIPcLm3EELi4E23TrivialOffsetCalculatorILi2EjESC_ILi1EjENS0_6memory15LoadWithoutCastENSF_16StoreWithoutCastEEEviT_T0_T2_T3_T4_T5_
	.p2align	8
	.type	_ZN2at6native27unrolled_elementwise_kernelINS0_13BinaryFunctorIN3c1011Float8_e5m2ES4_bNS0_12_GLOBAL__N_116CompareEqFunctorIS4_EEEESt5arrayIPcLm3EELi4E23TrivialOffsetCalculatorILi2EjESC_ILi1EjENS0_6memory15LoadWithoutCastENSF_16StoreWithoutCastEEEviT_T0_T2_T3_T4_T5_,@function
_ZN2at6native27unrolled_elementwise_kernelINS0_13BinaryFunctorIN3c1011Float8_e5m2ES4_bNS0_12_GLOBAL__N_116CompareEqFunctorIS4_EEEESt5arrayIPcLm3EELi4E23TrivialOffsetCalculatorILi2EjESC_ILi1EjENS0_6memory15LoadWithoutCastENSF_16StoreWithoutCastEEEviT_T0_T2_T3_T4_T5_: ; @_ZN2at6native27unrolled_elementwise_kernelINS0_13BinaryFunctorIN3c1011Float8_e5m2ES4_bNS0_12_GLOBAL__N_116CompareEqFunctorIS4_EEEESt5arrayIPcLm3EELi4E23TrivialOffsetCalculatorILi2EjESC_ILi1EjENS0_6memory15LoadWithoutCastENSF_16StoreWithoutCastEEEviT_T0_T2_T3_T4_T5_
; %bb.0:
	s_load_b64 s[2:3], s[0:1], 0x0
	s_bfe_u32 s11, ttmp6, 0x4000c
	s_clause 0x1
	s_load_b128 s[4:7], s[0:1], 0x8
	s_load_b64 s[8:9], s[0:1], 0x18
	s_add_co_i32 s11, s11, 1
	s_and_b32 s10, ttmp6, 15
	s_wait_xcnt 0x0
	s_mul_i32 s0, ttmp9, s11
	s_getreg_b32 s12, hwreg(HW_REG_IB_STS2, 6, 4)
	s_add_co_i32 s10, s10, s0
	s_cmp_eq_u32 s12, 0
	v_dual_mov_b32 v5, 0 :: v_dual_mov_b32 v1, 0
	s_cselect_b32 s0, ttmp9, s10
	v_dual_mov_b32 v4, 0 :: v_dual_mov_b32 v6, 0
	s_lshl_b32 s10, s0, 10
	v_dual_mov_b32 v7, 0 :: v_dual_mov_b32 v8, 0
	v_dual_mov_b32 v9, 0 :: v_dual_bitop2_b32 v3, s10, v0 bitop3:0x54
	v_or_b32_e32 v2, 0x100, v0
	s_wait_kmcnt 0x0
	s_sub_co_i32 s2, s2, s10
	v_mov_b32_e32 v10, 0
	v_cmp_gt_i32_e32 vcc_lo, s2, v0
	s_and_saveexec_b32 s1, vcc_lo
	s_cbranch_execz .LBB229_8
; %bb.1:
	s_clause 0x1
	global_load_u8 v10, v3, s[8:9]
	global_load_u8 v9, v3, s[6:7]
	v_or_b32_e32 v11, 0x100, v0
	v_dual_mov_b32 v7, 0 :: v_dual_mov_b32 v4, 0
	v_dual_mov_b32 v8, 0 :: v_dual_mov_b32 v5, 0
	v_mov_b32_e32 v6, 0
	s_mov_b32 s11, exec_lo
	s_wait_xcnt 0x0
	v_cmpx_gt_u32_e64 s2, v11
	s_cbranch_execz .LBB229_7
; %bb.2:
	v_dual_mov_b32 v5, 0 :: v_dual_add_nc_u32 v4, s10, v11
	v_or_b32_e32 v11, 0x200, v0
	s_mov_b32 s12, exec_lo
	s_clause 0x1
	global_load_u8 v8, v4, s[8:9]
	global_load_u8 v7, v4, s[6:7]
	s_wait_xcnt 0x0
	v_dual_mov_b32 v4, 0 :: v_dual_mov_b32 v6, 0
	v_cmpx_gt_u32_e64 s2, v11
	s_cbranch_execz .LBB229_6
; %bb.3:
	v_add_nc_u32_e32 v4, s10, v11
	v_or_b32_e32 v11, 0x300, v0
	s_mov_b32 s13, exec_lo
	s_clause 0x1
	global_load_u8 v6, v4, s[8:9]
	global_load_u8 v5, v4, s[6:7]
	s_wait_xcnt 0x0
	v_mov_b32_e32 v4, 0
	v_cmpx_gt_u32_e64 s2, v11
	s_cbranch_execz .LBB229_5
; %bb.4:
	v_add_nc_u32_e32 v4, s10, v11
	s_clause 0x1
	global_load_u8 v11, v4, s[6:7]
	global_load_u8 v12, v4, s[8:9]
	s_wait_loadcnt 0x0
	v_perm_b32 v4, v12, v11, 0x5040100
	s_delay_alu instid0(VALU_DEP_1)
	v_pk_lshlrev_b16 v4, 8, v4 op_sel_hi:[0,1]
.LBB229_5:
	s_or_b32 exec_lo, exec_lo, s13
.LBB229_6:
	s_delay_alu instid0(SALU_CYCLE_1)
	s_or_b32 exec_lo, exec_lo, s12
.LBB229_7:
	s_delay_alu instid0(SALU_CYCLE_1)
	s_or_b32 exec_lo, exec_lo, s11
.LBB229_8:
	s_delay_alu instid0(SALU_CYCLE_1)
	s_or_b32 exec_lo, exec_lo, s1
	s_cmp_eq_u32 s3, 0
	s_cselect_b32 s0, -1, 0
	s_and_saveexec_b32 s3, vcc_lo
	s_cbranch_execz .LBB229_10
; %bb.9:
	s_wait_loadcnt 0x0
	v_perm_b32 v1, v10, v9, 0x5040100
	v_dual_lshlrev_b32 v14, 25, v10 :: v_dual_lshlrev_b32 v9, 25, v9
	s_movk_i32 s1, 0x7f00
	s_mov_b32 s6, 0x7800000
	s_delay_alu instid0(VALU_DEP_2) | instskip(NEXT) | instid1(VALU_DEP_2)
	v_pk_lshlrev_b16 v1, 8, v1 op_sel_hi:[0,1]
	v_dual_lshrrev_b32 v11, 4, v14 :: v_dual_lshrrev_b32 v12, 4, v9
	s_delay_alu instid0(VALU_DEP_2) | instskip(SKIP_1) | instid1(VALU_DEP_3)
	v_and_b32_e32 v10, 0x7f007f00, v1
	v_bitop3_b32 v13, v1, s1, 0x7f007f00 bitop3:0x80
	v_or_b32_e32 v11, 0x70000000, v11
	v_cmp_gt_u32_e64 s1, 0x8000000, v14
	s_delay_alu instid0(VALU_DEP_4) | instskip(SKIP_2) | instid1(VALU_DEP_3)
	v_lshrrev_b32_e32 v15, 16, v10
	v_or_b32_e32 v10, 0x70000000, v12
	v_or_b32_e32 v12, 0.5, v13
	v_dual_ashrrev_i32 v15, 16, v1 :: v_dual_bitop2_b32 v13, 0.5, v15 bitop3:0x54
	s_delay_alu instid0(VALU_DEP_3) | instskip(SKIP_1) | instid1(VALU_DEP_3)
	v_pk_mul_f32 v[10:11], v[10:11], s[6:7] op_sel_hi:[1,0]
	v_bfe_i32 v1, v1, 0, 16
	v_pk_add_f32 v[12:13], v[12:13], -0.5 op_sel_hi:[1,0]
	s_delay_alu instid0(VALU_DEP_4) | instskip(NEXT) | instid1(VALU_DEP_3)
	v_and_b32_e32 v15, 0x80000000, v15
	v_and_b32_e32 v1, 0x80000000, v1
	s_delay_alu instid0(VALU_DEP_3) | instskip(SKIP_1) | instid1(VALU_DEP_1)
	v_cndmask_b32_e64 v11, v11, v13, s1
	v_cmp_gt_u32_e64 s1, 0x8000000, v9
	v_dual_cndmask_b32 v9, v10, v12, s1 :: v_dual_bitop2_b32 v10, v15, v11 bitop3:0x54
	s_delay_alu instid0(VALU_DEP_1) | instskip(NEXT) | instid1(VALU_DEP_1)
	v_or_b32_e32 v1, v1, v9
	v_cmp_eq_f32_e64 s1, v1, v10
	s_delay_alu instid0(VALU_DEP_1) | instskip(SKIP_1) | instid1(VALU_DEP_1)
	v_cndmask_b32_e64 v9, 0, 1, s1
	v_cmp_neq_f32_e64 s1, v1, v10
	v_cndmask_b32_e64 v1, 0, 1, s1
	s_delay_alu instid0(VALU_DEP_1) | instskip(NEXT) | instid1(VALU_DEP_1)
	v_cndmask_b32_e64 v1, v1, v9, s0
	v_and_b32_e32 v1, 1, v1
.LBB229_10:
	s_or_b32 exec_lo, exec_lo, s3
	s_delay_alu instid0(SALU_CYCLE_1)
	s_mov_b32 s3, exec_lo
	v_cmpx_gt_i32_e64 s2, v2
	s_cbranch_execz .LBB229_12
; %bb.11:
	s_wait_loadcnt 0x0
	v_perm_b32 v9, v8, v7, 0x5040100
	v_dual_lshlrev_b32 v13, 25, v8 :: v_dual_lshlrev_b32 v7, 25, v7
	s_movk_i32 s1, 0x7f00
	s_mov_b32 s6, 0x7800000
	s_delay_alu instid0(VALU_DEP_2) | instskip(NEXT) | instid1(VALU_DEP_2)
	v_pk_lshlrev_b16 v12, 8, v9 op_sel_hi:[0,1]
	v_dual_lshrrev_b32 v9, 4, v13 :: v_dual_lshrrev_b32 v10, 4, v7
	s_delay_alu instid0(VALU_DEP_2) | instskip(SKIP_1) | instid1(VALU_DEP_3)
	v_and_b32_e32 v8, 0x7f007f00, v12
	v_bitop3_b32 v11, v12, s1, 0x7f007f00 bitop3:0x80
	v_or_b32_e32 v9, 0x70000000, v9
	v_cmp_gt_u32_e64 s1, 0x8000000, v13
	s_delay_alu instid0(VALU_DEP_4) | instskip(SKIP_2) | instid1(VALU_DEP_3)
	v_lshrrev_b32_e32 v14, 16, v8
	v_or_b32_e32 v8, 0x70000000, v10
	v_or_b32_e32 v10, 0.5, v11
	v_dual_ashrrev_i32 v14, 16, v12 :: v_dual_bitop2_b32 v11, 0.5, v14 bitop3:0x54
	s_delay_alu instid0(VALU_DEP_3) | instskip(SKIP_1) | instid1(VALU_DEP_3)
	v_pk_mul_f32 v[8:9], v[8:9], s[6:7] op_sel_hi:[1,0]
	v_bfe_i32 v12, v12, 0, 16
	v_pk_add_f32 v[10:11], v[10:11], -0.5 op_sel_hi:[1,0]
	s_delay_alu instid0(VALU_DEP_4) | instskip(NEXT) | instid1(VALU_DEP_3)
	v_and_b32_e32 v14, 0x80000000, v14
	v_and_b32_e32 v12, 0x80000000, v12
	s_delay_alu instid0(VALU_DEP_3) | instskip(SKIP_1) | instid1(VALU_DEP_1)
	v_cndmask_b32_e64 v9, v9, v11, s1
	v_cmp_gt_u32_e64 s1, 0x8000000, v7
	v_dual_cndmask_b32 v7, v8, v10, s1 :: v_dual_bitop2_b32 v8, v14, v9 bitop3:0x54
	s_delay_alu instid0(VALU_DEP_1) | instskip(NEXT) | instid1(VALU_DEP_1)
	v_or_b32_e32 v7, v12, v7
	v_cmp_eq_f32_e64 s1, v7, v8
	s_delay_alu instid0(VALU_DEP_1) | instskip(SKIP_1) | instid1(VALU_DEP_1)
	v_cndmask_b32_e64 v9, 0, 1, s1
	v_cmp_neq_f32_e64 s1, v7, v8
	v_cndmask_b32_e64 v7, 0, 1, s1
	s_delay_alu instid0(VALU_DEP_1) | instskip(NEXT) | instid1(VALU_DEP_1)
	v_cndmask_b32_e64 v7, v7, v9, s0
	v_and_b32_e32 v7, 1, v7
	s_delay_alu instid0(VALU_DEP_1) | instskip(NEXT) | instid1(VALU_DEP_1)
	v_lshlrev_b16 v7, 8, v7
	v_or_b32_e32 v1, v1, v7
	s_delay_alu instid0(VALU_DEP_1)
	v_and_b32_e32 v1, 0xffff, v1
.LBB229_12:
	s_or_b32 exec_lo, exec_lo, s3
	s_wait_loadcnt 0x0
	v_or_b32_e32 v7, 0x200, v0
	s_mov_b32 s3, exec_lo
	s_delay_alu instid0(VALU_DEP_1)
	v_cmpx_gt_i32_e64 s2, v7
	s_cbranch_execz .LBB229_14
; %bb.13:
	v_perm_b32 v7, v6, v5, 0x5040100
	v_dual_lshlrev_b32 v11, 25, v6 :: v_dual_lshlrev_b32 v5, 25, v5
	s_movk_i32 s1, 0x7f00
	s_mov_b32 s6, 0x7800000
	s_delay_alu instid0(VALU_DEP_2) | instskip(NEXT) | instid1(VALU_DEP_2)
	v_pk_lshlrev_b16 v10, 8, v7 op_sel_hi:[0,1]
	v_dual_lshrrev_b32 v7, 4, v11 :: v_dual_lshrrev_b32 v8, 4, v5
	s_delay_alu instid0(VALU_DEP_2) | instskip(SKIP_1) | instid1(VALU_DEP_3)
	v_and_b32_e32 v6, 0x7f007f00, v10
	v_bitop3_b32 v9, v10, s1, 0x7f007f00 bitop3:0x80
	v_or_b32_e32 v7, 0x70000000, v7
	v_cmp_gt_u32_e64 s1, 0x8000000, v11
	s_delay_alu instid0(VALU_DEP_4) | instskip(SKIP_2) | instid1(VALU_DEP_3)
	v_lshrrev_b32_e32 v12, 16, v6
	v_or_b32_e32 v6, 0x70000000, v8
	v_or_b32_e32 v8, 0.5, v9
	v_dual_ashrrev_i32 v12, 16, v10 :: v_dual_bitop2_b32 v9, 0.5, v12 bitop3:0x54
	s_delay_alu instid0(VALU_DEP_3) | instskip(SKIP_1) | instid1(VALU_DEP_3)
	v_pk_mul_f32 v[6:7], v[6:7], s[6:7] op_sel_hi:[1,0]
	v_bfe_i32 v10, v10, 0, 16
	v_pk_add_f32 v[8:9], v[8:9], -0.5 op_sel_hi:[1,0]
	s_delay_alu instid0(VALU_DEP_4) | instskip(NEXT) | instid1(VALU_DEP_3)
	v_and_b32_e32 v12, 0x80000000, v12
	v_and_b32_e32 v10, 0x80000000, v10
	s_delay_alu instid0(VALU_DEP_3) | instskip(SKIP_1) | instid1(VALU_DEP_1)
	v_cndmask_b32_e64 v7, v7, v9, s1
	v_cmp_gt_u32_e64 s1, 0x8000000, v5
	v_dual_cndmask_b32 v5, v6, v8, s1 :: v_dual_bitop2_b32 v6, v12, v7 bitop3:0x54
	s_delay_alu instid0(VALU_DEP_1) | instskip(NEXT) | instid1(VALU_DEP_1)
	v_or_b32_e32 v5, v10, v5
	v_cmp_eq_f32_e64 s1, v5, v6
	s_delay_alu instid0(VALU_DEP_1) | instskip(SKIP_1) | instid1(VALU_DEP_1)
	v_cndmask_b32_e64 v7, 0, 1, s1
	v_cmp_neq_f32_e64 s1, v5, v6
	v_cndmask_b32_e64 v5, 0, 1, s1
	s_delay_alu instid0(VALU_DEP_1) | instskip(NEXT) | instid1(VALU_DEP_1)
	v_cndmask_b32_e64 v5, v5, v7, s0
	v_and_b32_e32 v5, 1, v5
	s_delay_alu instid0(VALU_DEP_1)
	v_lshl_or_b32 v1, v5, 16, v1
.LBB229_14:
	s_or_b32 exec_lo, exec_lo, s3
	v_or_b32_e32 v5, 0x300, v0
	s_mov_b32 s3, exec_lo
	s_delay_alu instid0(VALU_DEP_1)
	v_cmpx_gt_i32_e64 s2, v5
	s_cbranch_execnz .LBB229_20
; %bb.15:
	s_or_b32 exec_lo, exec_lo, s3
	s_and_saveexec_b32 s0, vcc_lo
	s_delay_alu instid0(SALU_CYCLE_1)
	s_xor_b32 s0, exec_lo, s0
	s_cbranch_execnz .LBB229_21
.LBB229_16:
	s_or_b32 exec_lo, exec_lo, s0
	s_delay_alu instid0(SALU_CYCLE_1)
	s_mov_b32 s0, exec_lo
	v_cmpx_gt_i32_e64 s2, v0
	s_cbranch_execnz .LBB229_22
.LBB229_17:
	s_or_b32 exec_lo, exec_lo, s0
	s_delay_alu instid0(SALU_CYCLE_1)
	s_mov_b32 s0, exec_lo
	v_cmpx_gt_i32_e64 s2, v0
	s_cbranch_execnz .LBB229_23
.LBB229_18:
	s_or_b32 exec_lo, exec_lo, s0
	s_delay_alu instid0(SALU_CYCLE_1)
	s_mov_b32 s0, exec_lo
	v_cmpx_gt_i32_e64 s2, v0
	s_cbranch_execnz .LBB229_24
.LBB229_19:
	s_endpgm
.LBB229_20:
	v_dual_lshrrev_b32 v5, 16, v4 :: v_dual_lshlrev_b32 v10, 17, v4
	v_and_b32_e32 v6, 0x7f007f00, v4
	s_movk_i32 s1, 0x7f00
	s_mov_b32 s6, 0x7800000
	s_delay_alu instid0(VALU_DEP_2) | instskip(SKIP_3) | instid1(VALU_DEP_4)
	v_dual_lshlrev_b32 v11, 17, v5 :: v_dual_lshrrev_b32 v7, 4, v10
	v_bitop3_b32 v5, v4, s1, 0x7f007f00 bitop3:0x80
	v_lshrrev_b32_e32 v9, 16, v6
	v_bfe_i32 v13, v4, 0, 16
	v_lshrrev_b32_e32 v12, 4, v11
	v_or_b32_e32 v8, 0x70000000, v7
	v_or_b32_e32 v6, 0.5, v5
	v_or_b32_e32 v7, 0.5, v9
	v_cmp_gt_u32_e64 s1, 0x8000000, v11
	v_or_b32_e32 v9, 0x70000000, v12
	v_ashrrev_i32_e32 v12, 16, v4
	s_delay_alu instid0(VALU_DEP_4) | instskip(NEXT) | instid1(VALU_DEP_3)
	v_pk_add_f32 v[4:5], v[6:7], -0.5 op_sel_hi:[1,0]
	v_pk_mul_f32 v[6:7], v[8:9], s[6:7] op_sel_hi:[1,0]
	v_and_b32_e32 v9, 0x80000000, v13
	s_delay_alu instid0(VALU_DEP_4) | instskip(NEXT) | instid1(VALU_DEP_3)
	v_and_b32_e32 v8, 0x80000000, v12
	v_cndmask_b32_e64 v5, v7, v5, s1
	v_cmp_gt_u32_e64 s1, 0x8000000, v10
	s_delay_alu instid0(VALU_DEP_1) | instskip(NEXT) | instid1(VALU_DEP_1)
	v_cndmask_b32_e64 v4, v6, v4, s1
	v_or_b32_e32 v4, v9, v4
	s_delay_alu instid0(VALU_DEP_4) | instskip(NEXT) | instid1(VALU_DEP_1)
	v_or_b32_e32 v5, v8, v5
	v_cmp_eq_f32_e64 s1, v4, v5
	s_delay_alu instid0(VALU_DEP_1) | instskip(SKIP_2) | instid1(VALU_DEP_2)
	v_cndmask_b32_e64 v6, 0, 1, s1
	v_cmp_neq_f32_e64 s1, v4, v5
	v_lshrrev_b32_e32 v5, 16, v1
	v_cndmask_b32_e64 v4, 0, 1, s1
	s_delay_alu instid0(VALU_DEP_1) | instskip(NEXT) | instid1(VALU_DEP_1)
	v_cndmask_b32_e64 v4, v4, v6, s0
	v_and_b32_e32 v4, 1, v4
	s_delay_alu instid0(VALU_DEP_1) | instskip(NEXT) | instid1(VALU_DEP_1)
	v_lshlrev_b16 v4, 8, v4
	v_or_b32_e32 v4, v5, v4
	s_delay_alu instid0(VALU_DEP_1) | instskip(NEXT) | instid1(VALU_DEP_1)
	v_lshlrev_b32_e32 v4, 16, v4
	v_and_or_b32 v1, 0xffff, v1, v4
	s_or_b32 exec_lo, exec_lo, s3
	s_and_saveexec_b32 s0, vcc_lo
	s_delay_alu instid0(SALU_CYCLE_1)
	s_xor_b32 s0, exec_lo, s0
	s_cbranch_execz .LBB229_16
.LBB229_21:
	v_mov_b32_e32 v0, v2
	global_store_b8 v3, v1, s[4:5]
	s_wait_xcnt 0x0
	s_or_b32 exec_lo, exec_lo, s0
	s_delay_alu instid0(SALU_CYCLE_1)
	s_mov_b32 s0, exec_lo
	v_cmpx_gt_i32_e64 s2, v0
	s_cbranch_execz .LBB229_17
.LBB229_22:
	v_add_nc_u32_e32 v2, 0x100, v0
	v_dual_add_nc_u32 v3, s10, v0 :: v_dual_lshrrev_b32 v4, 8, v1
	s_delay_alu instid0(VALU_DEP_2) | instskip(SKIP_3) | instid1(SALU_CYCLE_1)
	v_mov_b32_e32 v0, v2
	global_store_b8 v3, v4, s[4:5]
	s_wait_xcnt 0x0
	s_or_b32 exec_lo, exec_lo, s0
	s_mov_b32 s0, exec_lo
	v_cmpx_gt_i32_e64 s2, v0
	s_cbranch_execz .LBB229_18
.LBB229_23:
	v_add_nc_u32_e32 v2, 0x100, v0
	s_delay_alu instid0(VALU_DEP_1) | instskip(SKIP_3) | instid1(SALU_CYCLE_1)
	v_dual_mov_b32 v0, v2 :: v_dual_add_nc_u32 v3, s10, v0
	global_store_d16_hi_b8 v3, v1, s[4:5]
	s_wait_xcnt 0x0
	s_or_b32 exec_lo, exec_lo, s0
	s_mov_b32 s0, exec_lo
	v_cmpx_gt_i32_e64 s2, v0
	s_cbranch_execz .LBB229_19
.LBB229_24:
	v_dual_add_nc_u32 v0, s10, v0 :: v_dual_lshrrev_b32 v1, 24, v1
	global_store_b8 v0, v1, s[4:5]
	s_endpgm
	.section	.rodata,"a",@progbits
	.p2align	6, 0x0
	.amdhsa_kernel _ZN2at6native27unrolled_elementwise_kernelINS0_13BinaryFunctorIN3c1011Float8_e5m2ES4_bNS0_12_GLOBAL__N_116CompareEqFunctorIS4_EEEESt5arrayIPcLm3EELi4E23TrivialOffsetCalculatorILi2EjESC_ILi1EjENS0_6memory15LoadWithoutCastENSF_16StoreWithoutCastEEEviT_T0_T2_T3_T4_T5_
		.amdhsa_group_segment_fixed_size 0
		.amdhsa_private_segment_fixed_size 0
		.amdhsa_kernarg_size 36
		.amdhsa_user_sgpr_count 2
		.amdhsa_user_sgpr_dispatch_ptr 0
		.amdhsa_user_sgpr_queue_ptr 0
		.amdhsa_user_sgpr_kernarg_segment_ptr 1
		.amdhsa_user_sgpr_dispatch_id 0
		.amdhsa_user_sgpr_kernarg_preload_length 0
		.amdhsa_user_sgpr_kernarg_preload_offset 0
		.amdhsa_user_sgpr_private_segment_size 0
		.amdhsa_wavefront_size32 1
		.amdhsa_uses_dynamic_stack 0
		.amdhsa_enable_private_segment 0
		.amdhsa_system_sgpr_workgroup_id_x 1
		.amdhsa_system_sgpr_workgroup_id_y 0
		.amdhsa_system_sgpr_workgroup_id_z 0
		.amdhsa_system_sgpr_workgroup_info 0
		.amdhsa_system_vgpr_workitem_id 0
		.amdhsa_next_free_vgpr 16
		.amdhsa_next_free_sgpr 14
		.amdhsa_named_barrier_count 0
		.amdhsa_reserve_vcc 1
		.amdhsa_float_round_mode_32 0
		.amdhsa_float_round_mode_16_64 0
		.amdhsa_float_denorm_mode_32 3
		.amdhsa_float_denorm_mode_16_64 3
		.amdhsa_fp16_overflow 0
		.amdhsa_memory_ordered 1
		.amdhsa_forward_progress 1
		.amdhsa_inst_pref_size 16
		.amdhsa_round_robin_scheduling 0
		.amdhsa_exception_fp_ieee_invalid_op 0
		.amdhsa_exception_fp_denorm_src 0
		.amdhsa_exception_fp_ieee_div_zero 0
		.amdhsa_exception_fp_ieee_overflow 0
		.amdhsa_exception_fp_ieee_underflow 0
		.amdhsa_exception_fp_ieee_inexact 0
		.amdhsa_exception_int_div_zero 0
	.end_amdhsa_kernel
	.section	.text._ZN2at6native27unrolled_elementwise_kernelINS0_13BinaryFunctorIN3c1011Float8_e5m2ES4_bNS0_12_GLOBAL__N_116CompareEqFunctorIS4_EEEESt5arrayIPcLm3EELi4E23TrivialOffsetCalculatorILi2EjESC_ILi1EjENS0_6memory15LoadWithoutCastENSF_16StoreWithoutCastEEEviT_T0_T2_T3_T4_T5_,"axG",@progbits,_ZN2at6native27unrolled_elementwise_kernelINS0_13BinaryFunctorIN3c1011Float8_e5m2ES4_bNS0_12_GLOBAL__N_116CompareEqFunctorIS4_EEEESt5arrayIPcLm3EELi4E23TrivialOffsetCalculatorILi2EjESC_ILi1EjENS0_6memory15LoadWithoutCastENSF_16StoreWithoutCastEEEviT_T0_T2_T3_T4_T5_,comdat
.Lfunc_end229:
	.size	_ZN2at6native27unrolled_elementwise_kernelINS0_13BinaryFunctorIN3c1011Float8_e5m2ES4_bNS0_12_GLOBAL__N_116CompareEqFunctorIS4_EEEESt5arrayIPcLm3EELi4E23TrivialOffsetCalculatorILi2EjESC_ILi1EjENS0_6memory15LoadWithoutCastENSF_16StoreWithoutCastEEEviT_T0_T2_T3_T4_T5_, .Lfunc_end229-_ZN2at6native27unrolled_elementwise_kernelINS0_13BinaryFunctorIN3c1011Float8_e5m2ES4_bNS0_12_GLOBAL__N_116CompareEqFunctorIS4_EEEESt5arrayIPcLm3EELi4E23TrivialOffsetCalculatorILi2EjESC_ILi1EjENS0_6memory15LoadWithoutCastENSF_16StoreWithoutCastEEEviT_T0_T2_T3_T4_T5_
                                        ; -- End function
	.set _ZN2at6native27unrolled_elementwise_kernelINS0_13BinaryFunctorIN3c1011Float8_e5m2ES4_bNS0_12_GLOBAL__N_116CompareEqFunctorIS4_EEEESt5arrayIPcLm3EELi4E23TrivialOffsetCalculatorILi2EjESC_ILi1EjENS0_6memory15LoadWithoutCastENSF_16StoreWithoutCastEEEviT_T0_T2_T3_T4_T5_.num_vgpr, 16
	.set _ZN2at6native27unrolled_elementwise_kernelINS0_13BinaryFunctorIN3c1011Float8_e5m2ES4_bNS0_12_GLOBAL__N_116CompareEqFunctorIS4_EEEESt5arrayIPcLm3EELi4E23TrivialOffsetCalculatorILi2EjESC_ILi1EjENS0_6memory15LoadWithoutCastENSF_16StoreWithoutCastEEEviT_T0_T2_T3_T4_T5_.num_agpr, 0
	.set _ZN2at6native27unrolled_elementwise_kernelINS0_13BinaryFunctorIN3c1011Float8_e5m2ES4_bNS0_12_GLOBAL__N_116CompareEqFunctorIS4_EEEESt5arrayIPcLm3EELi4E23TrivialOffsetCalculatorILi2EjESC_ILi1EjENS0_6memory15LoadWithoutCastENSF_16StoreWithoutCastEEEviT_T0_T2_T3_T4_T5_.numbered_sgpr, 14
	.set _ZN2at6native27unrolled_elementwise_kernelINS0_13BinaryFunctorIN3c1011Float8_e5m2ES4_bNS0_12_GLOBAL__N_116CompareEqFunctorIS4_EEEESt5arrayIPcLm3EELi4E23TrivialOffsetCalculatorILi2EjESC_ILi1EjENS0_6memory15LoadWithoutCastENSF_16StoreWithoutCastEEEviT_T0_T2_T3_T4_T5_.num_named_barrier, 0
	.set _ZN2at6native27unrolled_elementwise_kernelINS0_13BinaryFunctorIN3c1011Float8_e5m2ES4_bNS0_12_GLOBAL__N_116CompareEqFunctorIS4_EEEESt5arrayIPcLm3EELi4E23TrivialOffsetCalculatorILi2EjESC_ILi1EjENS0_6memory15LoadWithoutCastENSF_16StoreWithoutCastEEEviT_T0_T2_T3_T4_T5_.private_seg_size, 0
	.set _ZN2at6native27unrolled_elementwise_kernelINS0_13BinaryFunctorIN3c1011Float8_e5m2ES4_bNS0_12_GLOBAL__N_116CompareEqFunctorIS4_EEEESt5arrayIPcLm3EELi4E23TrivialOffsetCalculatorILi2EjESC_ILi1EjENS0_6memory15LoadWithoutCastENSF_16StoreWithoutCastEEEviT_T0_T2_T3_T4_T5_.uses_vcc, 1
	.set _ZN2at6native27unrolled_elementwise_kernelINS0_13BinaryFunctorIN3c1011Float8_e5m2ES4_bNS0_12_GLOBAL__N_116CompareEqFunctorIS4_EEEESt5arrayIPcLm3EELi4E23TrivialOffsetCalculatorILi2EjESC_ILi1EjENS0_6memory15LoadWithoutCastENSF_16StoreWithoutCastEEEviT_T0_T2_T3_T4_T5_.uses_flat_scratch, 0
	.set _ZN2at6native27unrolled_elementwise_kernelINS0_13BinaryFunctorIN3c1011Float8_e5m2ES4_bNS0_12_GLOBAL__N_116CompareEqFunctorIS4_EEEESt5arrayIPcLm3EELi4E23TrivialOffsetCalculatorILi2EjESC_ILi1EjENS0_6memory15LoadWithoutCastENSF_16StoreWithoutCastEEEviT_T0_T2_T3_T4_T5_.has_dyn_sized_stack, 0
	.set _ZN2at6native27unrolled_elementwise_kernelINS0_13BinaryFunctorIN3c1011Float8_e5m2ES4_bNS0_12_GLOBAL__N_116CompareEqFunctorIS4_EEEESt5arrayIPcLm3EELi4E23TrivialOffsetCalculatorILi2EjESC_ILi1EjENS0_6memory15LoadWithoutCastENSF_16StoreWithoutCastEEEviT_T0_T2_T3_T4_T5_.has_recursion, 0
	.set _ZN2at6native27unrolled_elementwise_kernelINS0_13BinaryFunctorIN3c1011Float8_e5m2ES4_bNS0_12_GLOBAL__N_116CompareEqFunctorIS4_EEEESt5arrayIPcLm3EELi4E23TrivialOffsetCalculatorILi2EjESC_ILi1EjENS0_6memory15LoadWithoutCastENSF_16StoreWithoutCastEEEviT_T0_T2_T3_T4_T5_.has_indirect_call, 0
	.section	.AMDGPU.csdata,"",@progbits
; Kernel info:
; codeLenInByte = 2048
; TotalNumSgprs: 16
; NumVgprs: 16
; ScratchSize: 0
; MemoryBound: 0
; FloatMode: 240
; IeeeMode: 1
; LDSByteSize: 0 bytes/workgroup (compile time only)
; SGPRBlocks: 0
; VGPRBlocks: 0
; NumSGPRsForWavesPerEU: 16
; NumVGPRsForWavesPerEU: 16
; NamedBarCnt: 0
; Occupancy: 16
; WaveLimiterHint : 0
; COMPUTE_PGM_RSRC2:SCRATCH_EN: 0
; COMPUTE_PGM_RSRC2:USER_SGPR: 2
; COMPUTE_PGM_RSRC2:TRAP_HANDLER: 0
; COMPUTE_PGM_RSRC2:TGID_X_EN: 1
; COMPUTE_PGM_RSRC2:TGID_Y_EN: 0
; COMPUTE_PGM_RSRC2:TGID_Z_EN: 0
; COMPUTE_PGM_RSRC2:TIDIG_COMP_CNT: 0
	.section	.text._ZN2at6native32elementwise_kernel_manual_unrollILi128ELi8EZNS0_22gpu_kernel_impl_nocastINS0_13BinaryFunctorIN3c1011Float8_e5m2ES5_bNS0_12_GLOBAL__N_116CompareEqFunctorIS5_EEEEEEvRNS_18TensorIteratorBaseERKT_EUlibE_EEviT1_,"axG",@progbits,_ZN2at6native32elementwise_kernel_manual_unrollILi128ELi8EZNS0_22gpu_kernel_impl_nocastINS0_13BinaryFunctorIN3c1011Float8_e5m2ES5_bNS0_12_GLOBAL__N_116CompareEqFunctorIS5_EEEEEEvRNS_18TensorIteratorBaseERKT_EUlibE_EEviT1_,comdat
	.globl	_ZN2at6native32elementwise_kernel_manual_unrollILi128ELi8EZNS0_22gpu_kernel_impl_nocastINS0_13BinaryFunctorIN3c1011Float8_e5m2ES5_bNS0_12_GLOBAL__N_116CompareEqFunctorIS5_EEEEEEvRNS_18TensorIteratorBaseERKT_EUlibE_EEviT1_ ; -- Begin function _ZN2at6native32elementwise_kernel_manual_unrollILi128ELi8EZNS0_22gpu_kernel_impl_nocastINS0_13BinaryFunctorIN3c1011Float8_e5m2ES5_bNS0_12_GLOBAL__N_116CompareEqFunctorIS5_EEEEEEvRNS_18TensorIteratorBaseERKT_EUlibE_EEviT1_
	.p2align	8
	.type	_ZN2at6native32elementwise_kernel_manual_unrollILi128ELi8EZNS0_22gpu_kernel_impl_nocastINS0_13BinaryFunctorIN3c1011Float8_e5m2ES5_bNS0_12_GLOBAL__N_116CompareEqFunctorIS5_EEEEEEvRNS_18TensorIteratorBaseERKT_EUlibE_EEviT1_,@function
_ZN2at6native32elementwise_kernel_manual_unrollILi128ELi8EZNS0_22gpu_kernel_impl_nocastINS0_13BinaryFunctorIN3c1011Float8_e5m2ES5_bNS0_12_GLOBAL__N_116CompareEqFunctorIS5_EEEEEEvRNS_18TensorIteratorBaseERKT_EUlibE_EEviT1_: ; @_ZN2at6native32elementwise_kernel_manual_unrollILi128ELi8EZNS0_22gpu_kernel_impl_nocastINS0_13BinaryFunctorIN3c1011Float8_e5m2ES5_bNS0_12_GLOBAL__N_116CompareEqFunctorIS5_EEEEEEvRNS_18TensorIteratorBaseERKT_EUlibE_EEviT1_
; %bb.0:
	s_clause 0x1
	s_load_b32 s26, s[0:1], 0x8
	s_load_b32 s33, s[0:1], 0x0
	s_bfe_u32 s2, ttmp6, 0x4000c
	s_and_b32 s3, ttmp6, 15
	s_add_co_i32 s2, s2, 1
	s_getreg_b32 s4, hwreg(HW_REG_IB_STS2, 6, 4)
	s_mul_i32 s2, ttmp9, s2
	s_add_nc_u64 s[20:21], s[0:1], 8
	s_add_co_i32 s3, s3, s2
	s_cmp_eq_u32 s4, 0
	s_wait_xcnt 0x0
	s_mov_b32 s0, exec_lo
	s_cselect_b32 s2, ttmp9, s3
	s_mov_b32 s3, 0
	v_lshl_or_b32 v0, s2, 10, v0
	s_delay_alu instid0(VALU_DEP_1) | instskip(SKIP_2) | instid1(SALU_CYCLE_1)
	v_or_b32_e32 v8, 0x380, v0
	s_wait_kmcnt 0x0
	s_add_co_i32 s27, s26, -1
	s_cmp_gt_u32 s27, 1
	s_cselect_b32 s28, -1, 0
	v_cmpx_le_i32_e64 s33, v8
	s_xor_b32 s29, exec_lo, s0
	s_cbranch_execz .LBB230_106
; %bb.1:
	s_clause 0x5
	s_load_b128 s[8:11], s[20:21], 0x4
	s_load_b64 s[0:1], s[20:21], 0x14
	s_load_b96 s[16:18], s[20:21], 0x198
	s_load_b128 s[12:15], s[20:21], 0xc4
	s_load_b64 s[22:23], s[20:21], 0xd4
	s_load_b128 s[4:7], s[20:21], 0x188
	s_cmp_lg_u32 s26, 0
	s_mov_b32 s25, s3
	s_cselect_b32 s34, -1, 0
	s_min_u32 s31, s27, 15
	s_cmp_gt_u32 s26, 1
	s_cselect_b32 s30, -1, 0
	s_wait_kmcnt 0x0
	s_mov_b32 s2, s9
	s_mov_b32 s24, s0
	s_cmp_eq_u32 s18, 0
	s_mov_b32 s9, exec_lo
	s_cselect_b32 s0, -1, 0
	v_cmpx_gt_i32_e64 s33, v0
	s_cbranch_execnz .LBB230_9
; %bb.2:
	s_or_b32 exec_lo, exec_lo, s9
	s_delay_alu instid0(SALU_CYCLE_1)
	s_mov_b32 s9, exec_lo
	v_cmpx_gt_i32_e64 s33, v0
	s_cbranch_execnz .LBB230_21
.LBB230_3:
	s_or_b32 exec_lo, exec_lo, s9
	s_delay_alu instid0(SALU_CYCLE_1)
	s_mov_b32 s9, exec_lo
	v_cmpx_gt_i32_e64 s33, v0
	s_cbranch_execnz .LBB230_33
.LBB230_4:
	s_or_b32 exec_lo, exec_lo, s9
	s_delay_alu instid0(SALU_CYCLE_1)
	s_mov_b32 s9, exec_lo
	v_cmpx_gt_i32_e64 s33, v0
	s_cbranch_execnz .LBB230_45
.LBB230_5:
	s_or_b32 exec_lo, exec_lo, s9
	s_delay_alu instid0(SALU_CYCLE_1)
	s_mov_b32 s9, exec_lo
	v_cmpx_gt_i32_e64 s33, v0
	s_cbranch_execnz .LBB230_57
.LBB230_6:
	s_or_b32 exec_lo, exec_lo, s9
	s_delay_alu instid0(SALU_CYCLE_1)
	s_mov_b32 s9, exec_lo
	v_cmpx_gt_i32_e64 s33, v0
	s_cbranch_execnz .LBB230_69
.LBB230_7:
	s_or_b32 exec_lo, exec_lo, s9
	s_delay_alu instid0(SALU_CYCLE_1)
	s_mov_b32 s9, exec_lo
	v_cmpx_gt_i32_e64 s33, v0
	s_cbranch_execnz .LBB230_81
.LBB230_8:
	s_or_b32 exec_lo, exec_lo, s9
	s_delay_alu instid0(SALU_CYCLE_1)
	s_mov_b32 s9, exec_lo
	v_cmpx_gt_i32_e64 s33, v0
	s_cbranch_execnz .LBB230_93
	s_branch .LBB230_105
.LBB230_9:
	s_and_not1_b32 vcc_lo, exec_lo, s28
	s_cbranch_vccnz .LBB230_15
; %bb.10:
	s_and_not1_b32 vcc_lo, exec_lo, s34
	s_cbranch_vccnz .LBB230_16
; %bb.11:
	v_dual_mov_b32 v4, 0 :: v_dual_mov_b32 v1, v0
	v_dual_mov_b32 v6, 0 :: v_dual_mov_b32 v5, 0
	s_add_co_i32 s35, s31, 1
	s_mov_b64 s[18:19], 0xffffffffffffffe8
	s_and_b32 s35, s35, 30
	s_add_nc_u64 s[18:19], s[20:21], s[18:19]
.LBB230_12:                             ; =>This Inner Loop Header: Depth=1
	s_clause 0x1
	s_load_b128 s[36:39], s[18:19], 0x1c
	s_load_b64 s[44:45], s[18:19], 0x2c
	s_add_co_i32 s35, s35, -2
	s_delay_alu instid0(SALU_CYCLE_1) | instskip(SKIP_2) | instid1(VALU_DEP_1)
	s_cmp_lg_u32 s35, 0
	s_wait_kmcnt 0x0
	v_mul_hi_u32 v2, s37, v1
	v_add_nc_u32_e32 v2, v1, v2
	s_delay_alu instid0(VALU_DEP_1) | instskip(NEXT) | instid1(VALU_DEP_1)
	v_lshrrev_b32_e32 v2, s38, v2
	v_mul_hi_u32 v3, s44, v2
	v_mul_lo_u32 v7, v2, s36
	s_clause 0x1
	s_load_b128 s[40:43], s[18:19], 0xdc
	s_load_b64 s[36:37], s[18:19], 0xec
	s_wait_xcnt 0x0
	s_add_nc_u64 s[18:19], s[18:19], 24
	s_delay_alu instid0(VALU_DEP_2) | instskip(NEXT) | instid1(VALU_DEP_2)
	v_add_nc_u32_e32 v3, v2, v3
	v_sub_nc_u32_e32 v7, v1, v7
	s_delay_alu instid0(VALU_DEP_2) | instskip(SKIP_1) | instid1(VALU_DEP_2)
	v_lshrrev_b32_e32 v1, s45, v3
	s_wait_kmcnt 0x0
	v_mad_u32 v4, v7, s40, v4
	s_delay_alu instid0(VALU_DEP_2) | instskip(SKIP_2) | instid1(VALU_DEP_3)
	v_mul_lo_u32 v3, v1, s39
	v_mad_u32 v5, v7, s42, v5
	v_mad_u32 v6, v7, s41, v6
	v_sub_nc_u32_e32 v2, v2, v3
	s_delay_alu instid0(VALU_DEP_1) | instskip(NEXT) | instid1(VALU_DEP_4)
	v_mad_u32 v4, v2, s43, v4
	v_mad_u32 v5, v2, s37, v5
	s_delay_alu instid0(VALU_DEP_4)
	v_mad_u32 v6, v2, s36, v6
	s_cbranch_scc1 .LBB230_12
; %bb.13:
	s_bitcmp1_b32 s31, 0
	s_cselect_b32 s35, -1, 0
	s_delay_alu instid0(SALU_CYCLE_1)
	s_and_b32 vcc_lo, exec_lo, s35
	s_cbranch_vccnz .LBB230_17
; %bb.14:
	s_clause 0x1
	s_load_b96 s[36:38], s[18:19], 0x1c
	s_load_b96 s[40:42], s[18:19], 0xdc
	s_wait_xcnt 0x0
	s_wait_kmcnt 0x0
	v_mul_hi_u32 v2, s37, v1
	s_delay_alu instid0(VALU_DEP_1) | instskip(NEXT) | instid1(VALU_DEP_1)
	v_add_nc_u32_e32 v2, v1, v2
	v_lshrrev_b32_e32 v2, s38, v2
	s_delay_alu instid0(VALU_DEP_1) | instskip(NEXT) | instid1(VALU_DEP_1)
	v_mul_lo_u32 v2, v2, s36
	v_sub_nc_u32_e32 v1, v1, v2
	s_delay_alu instid0(VALU_DEP_1)
	v_mad_u32 v4, v1, s40, v4
	v_mad_u32 v6, v1, s41, v6
	;; [unrolled: 1-line block ×3, first 2 shown]
	s_cbranch_execz .LBB230_18
	s_branch .LBB230_20
.LBB230_15:
                                        ; implicit-def: $vgpr5
                                        ; implicit-def: $vgpr6
                                        ; implicit-def: $vgpr4
	s_branch .LBB230_18
.LBB230_16:
	v_dual_mov_b32 v5, 0 :: v_dual_mov_b32 v6, 0
	v_mov_b32_e32 v4, 0
.LBB230_17:
	s_cbranch_execnz .LBB230_20
.LBB230_18:
	v_mov_b32_e32 v1, 0
	s_and_not1_b32 vcc_lo, exec_lo, s30
	s_delay_alu instid0(VALU_DEP_1) | instskip(NEXT) | instid1(VALU_DEP_1)
	v_mul_u64_e32 v[2:3], s[2:3], v[0:1]
	v_add_nc_u32_e32 v2, v0, v3
	s_delay_alu instid0(VALU_DEP_1) | instskip(NEXT) | instid1(VALU_DEP_1)
	v_lshrrev_b32_e32 v2, s10, v2
	v_mul_lo_u32 v3, v2, s8
	s_delay_alu instid0(VALU_DEP_1) | instskip(NEXT) | instid1(VALU_DEP_1)
	v_sub_nc_u32_e32 v3, v0, v3
	v_mul_lo_u32 v4, v3, s12
	v_mul_lo_u32 v5, v3, s14
	;; [unrolled: 1-line block ×3, first 2 shown]
	s_cbranch_vccnz .LBB230_20
; %bb.19:
	v_mov_b32_e32 v3, v1
	s_delay_alu instid0(VALU_DEP_1) | instskip(NEXT) | instid1(VALU_DEP_1)
	v_mul_u64_e32 v[8:9], s[24:25], v[2:3]
	v_add_nc_u32_e32 v1, v2, v9
	s_delay_alu instid0(VALU_DEP_1) | instskip(NEXT) | instid1(VALU_DEP_1)
	v_lshrrev_b32_e32 v1, s1, v1
	v_mul_lo_u32 v1, v1, s11
	s_delay_alu instid0(VALU_DEP_1) | instskip(NEXT) | instid1(VALU_DEP_1)
	v_sub_nc_u32_e32 v1, v2, v1
	v_mad_u32 v4, v1, s15, v4
	v_mad_u32 v6, v1, s22, v6
	;; [unrolled: 1-line block ×3, first 2 shown]
.LBB230_20:
	global_load_u8 v1, v6, s[6:7]
	global_load_u8 v2, v5, s[16:17]
	s_movk_i32 s18, 0x7f00
	v_add_nc_u32_e32 v0, 0x80, v0
	s_wait_loadcnt 0x0
	v_perm_b32 v3, v2, v1, 0x5040100
	v_dual_lshlrev_b32 v8, 25, v2 :: v_dual_lshlrev_b32 v1, 25, v1
	s_delay_alu instid0(VALU_DEP_2) | instskip(NEXT) | instid1(VALU_DEP_2)
	v_pk_lshlrev_b16 v5, 8, v3 op_sel_hi:[0,1]
	v_dual_lshrrev_b32 v3, 4, v8 :: v_dual_lshrrev_b32 v6, 4, v1
	v_cmp_gt_u32_e32 vcc_lo, 0x8000000, v8
	s_delay_alu instid0(VALU_DEP_3) | instskip(SKIP_1) | instid1(VALU_DEP_4)
	v_and_b32_e32 v2, 0x7f007f00, v5
	v_bitop3_b32 v7, v5, s18, 0x7f007f00 bitop3:0x80
	v_or_b32_e32 v3, 0x70000000, v3
	s_mov_b32 s18, 0x7800000
	s_delay_alu instid0(VALU_DEP_3) | instskip(SKIP_2) | instid1(VALU_DEP_2)
	v_lshrrev_b32_e32 v9, 16, v2
	v_or_b32_e32 v2, 0x70000000, v6
	v_or_b32_e32 v6, 0.5, v7
	v_pk_mul_f32 v[2:3], v[2:3], s[18:19] op_sel_hi:[1,0]
	s_delay_alu instid0(VALU_DEP_4) | instskip(NEXT) | instid1(VALU_DEP_1)
	v_or_b32_e32 v7, 0.5, v9
	v_pk_add_f32 v[6:7], v[6:7], -0.5 op_sel_hi:[1,0]
	v_ashrrev_i32_e32 v9, 16, v5
	v_bfe_i32 v5, v5, 0, 16
	s_delay_alu instid0(VALU_DEP_3) | instskip(SKIP_1) | instid1(VALU_DEP_4)
	v_cndmask_b32_e32 v3, v3, v7, vcc_lo
	v_cmp_gt_u32_e32 vcc_lo, 0x8000000, v1
	v_and_b32_e32 v9, 0x80000000, v9
	s_delay_alu instid0(VALU_DEP_4) | instskip(NEXT) | instid1(VALU_DEP_2)
	v_and_b32_e32 v5, 0x80000000, v5
	v_dual_cndmask_b32 v1, v2, v6, vcc_lo :: v_dual_bitop2_b32 v2, v9, v3 bitop3:0x54
	s_delay_alu instid0(VALU_DEP_1) | instskip(NEXT) | instid1(VALU_DEP_1)
	v_or_b32_e32 v1, v5, v1
	v_cmp_eq_f32_e32 vcc_lo, v1, v2
	v_cndmask_b32_e64 v3, 0, 1, vcc_lo
	v_cmp_neq_f32_e32 vcc_lo, v1, v2
	v_cndmask_b32_e64 v1, 0, 1, vcc_lo
	s_delay_alu instid0(VALU_DEP_1) | instskip(NEXT) | instid1(VALU_DEP_1)
	v_cndmask_b32_e64 v1, v1, v3, s0
	v_and_b32_e32 v1, 1, v1
	global_store_b8 v4, v1, s[4:5]
	s_wait_xcnt 0x0
	s_or_b32 exec_lo, exec_lo, s9
	s_delay_alu instid0(SALU_CYCLE_1)
	s_mov_b32 s9, exec_lo
	v_cmpx_gt_i32_e64 s33, v0
	s_cbranch_execz .LBB230_3
.LBB230_21:
	s_and_not1_b32 vcc_lo, exec_lo, s28
	s_cbranch_vccnz .LBB230_27
; %bb.22:
	s_and_not1_b32 vcc_lo, exec_lo, s34
	s_cbranch_vccnz .LBB230_28
; %bb.23:
	v_dual_mov_b32 v4, 0 :: v_dual_mov_b32 v1, v0
	v_dual_mov_b32 v6, 0 :: v_dual_mov_b32 v5, 0
	s_add_co_i32 s35, s31, 1
	s_mov_b64 s[18:19], 0xffffffffffffffe8
	s_and_b32 s35, s35, 30
	s_add_nc_u64 s[18:19], s[20:21], s[18:19]
.LBB230_24:                             ; =>This Inner Loop Header: Depth=1
	s_clause 0x1
	s_load_b128 s[36:39], s[18:19], 0x1c
	s_load_b64 s[44:45], s[18:19], 0x2c
	s_add_co_i32 s35, s35, -2
	s_delay_alu instid0(SALU_CYCLE_1) | instskip(SKIP_2) | instid1(VALU_DEP_1)
	s_cmp_eq_u32 s35, 0
	s_wait_kmcnt 0x0
	v_mul_hi_u32 v2, s37, v1
	v_add_nc_u32_e32 v2, v1, v2
	s_delay_alu instid0(VALU_DEP_1) | instskip(NEXT) | instid1(VALU_DEP_1)
	v_lshrrev_b32_e32 v2, s38, v2
	v_mul_hi_u32 v3, s44, v2
	v_mul_lo_u32 v7, v2, s36
	s_clause 0x1
	s_load_b128 s[40:43], s[18:19], 0xdc
	s_load_b64 s[36:37], s[18:19], 0xec
	s_wait_xcnt 0x0
	s_add_nc_u64 s[18:19], s[18:19], 24
	s_delay_alu instid0(VALU_DEP_2) | instskip(NEXT) | instid1(VALU_DEP_2)
	v_add_nc_u32_e32 v3, v2, v3
	v_sub_nc_u32_e32 v7, v1, v7
	s_delay_alu instid0(VALU_DEP_2) | instskip(SKIP_1) | instid1(VALU_DEP_2)
	v_lshrrev_b32_e32 v1, s45, v3
	s_wait_kmcnt 0x0
	v_mad_u32 v4, v7, s40, v4
	s_delay_alu instid0(VALU_DEP_2) | instskip(SKIP_2) | instid1(VALU_DEP_3)
	v_mul_lo_u32 v3, v1, s39
	v_mad_u32 v5, v7, s42, v5
	v_mad_u32 v6, v7, s41, v6
	v_sub_nc_u32_e32 v2, v2, v3
	s_delay_alu instid0(VALU_DEP_1) | instskip(NEXT) | instid1(VALU_DEP_4)
	v_mad_u32 v4, v2, s43, v4
	v_mad_u32 v5, v2, s37, v5
	s_delay_alu instid0(VALU_DEP_4)
	v_mad_u32 v6, v2, s36, v6
	s_cbranch_scc0 .LBB230_24
; %bb.25:
	s_bitcmp1_b32 s31, 0
	s_cselect_b32 s35, -1, 0
	s_delay_alu instid0(SALU_CYCLE_1)
	s_and_b32 vcc_lo, exec_lo, s35
	s_cbranch_vccnz .LBB230_29
; %bb.26:
	s_clause 0x1
	s_load_b96 s[36:38], s[18:19], 0x1c
	s_load_b96 s[40:42], s[18:19], 0xdc
	s_wait_kmcnt 0x0
	v_mul_hi_u32 v2, s37, v1
	s_delay_alu instid0(VALU_DEP_1) | instskip(NEXT) | instid1(VALU_DEP_1)
	v_add_nc_u32_e32 v2, v1, v2
	v_lshrrev_b32_e32 v2, s38, v2
	s_delay_alu instid0(VALU_DEP_1) | instskip(NEXT) | instid1(VALU_DEP_1)
	v_mul_lo_u32 v2, v2, s36
	v_sub_nc_u32_e32 v1, v1, v2
	s_delay_alu instid0(VALU_DEP_1)
	v_mad_u32 v4, v1, s40, v4
	v_mad_u32 v6, v1, s41, v6
	;; [unrolled: 1-line block ×3, first 2 shown]
	s_branch .LBB230_29
.LBB230_27:
                                        ; implicit-def: $vgpr5
                                        ; implicit-def: $vgpr6
                                        ; implicit-def: $vgpr4
	s_branch .LBB230_30
.LBB230_28:
	v_dual_mov_b32 v5, 0 :: v_dual_mov_b32 v6, 0
	v_mov_b32_e32 v4, 0
.LBB230_29:
	s_cbranch_execnz .LBB230_32
.LBB230_30:
	v_mov_b32_e32 v1, 0
	s_and_not1_b32 vcc_lo, exec_lo, s30
	s_delay_alu instid0(VALU_DEP_1) | instskip(NEXT) | instid1(VALU_DEP_1)
	v_mul_u64_e32 v[2:3], s[2:3], v[0:1]
	v_add_nc_u32_e32 v2, v0, v3
	s_delay_alu instid0(VALU_DEP_1) | instskip(NEXT) | instid1(VALU_DEP_1)
	v_lshrrev_b32_e32 v2, s10, v2
	v_mul_lo_u32 v3, v2, s8
	s_delay_alu instid0(VALU_DEP_1) | instskip(NEXT) | instid1(VALU_DEP_1)
	v_sub_nc_u32_e32 v3, v0, v3
	v_mul_lo_u32 v4, v3, s12
	v_mul_lo_u32 v5, v3, s14
	;; [unrolled: 1-line block ×3, first 2 shown]
	s_cbranch_vccnz .LBB230_32
; %bb.31:
	v_mov_b32_e32 v3, v1
	s_delay_alu instid0(VALU_DEP_1) | instskip(NEXT) | instid1(VALU_DEP_1)
	v_mul_u64_e32 v[8:9], s[24:25], v[2:3]
	v_add_nc_u32_e32 v1, v2, v9
	s_delay_alu instid0(VALU_DEP_1) | instskip(NEXT) | instid1(VALU_DEP_1)
	v_lshrrev_b32_e32 v1, s1, v1
	v_mul_lo_u32 v1, v1, s11
	s_delay_alu instid0(VALU_DEP_1) | instskip(NEXT) | instid1(VALU_DEP_1)
	v_sub_nc_u32_e32 v1, v2, v1
	v_mad_u32 v4, v1, s15, v4
	v_mad_u32 v6, v1, s22, v6
	;; [unrolled: 1-line block ×3, first 2 shown]
.LBB230_32:
	global_load_u8 v1, v6, s[6:7]
	global_load_u8 v2, v5, s[16:17]
	s_movk_i32 s18, 0x7f00
	v_add_nc_u32_e32 v0, 0x80, v0
	s_wait_loadcnt 0x0
	v_perm_b32 v3, v2, v1, 0x5040100
	v_dual_lshlrev_b32 v8, 25, v2 :: v_dual_lshlrev_b32 v1, 25, v1
	s_wait_xcnt 0x0
	s_delay_alu instid0(VALU_DEP_2) | instskip(NEXT) | instid1(VALU_DEP_2)
	v_pk_lshlrev_b16 v5, 8, v3 op_sel_hi:[0,1]
	v_dual_lshrrev_b32 v3, 4, v8 :: v_dual_lshrrev_b32 v6, 4, v1
	v_cmp_gt_u32_e32 vcc_lo, 0x8000000, v8
	s_delay_alu instid0(VALU_DEP_3) | instskip(SKIP_1) | instid1(VALU_DEP_4)
	v_and_b32_e32 v2, 0x7f007f00, v5
	v_bitop3_b32 v7, v5, s18, 0x7f007f00 bitop3:0x80
	v_or_b32_e32 v3, 0x70000000, v3
	s_mov_b32 s18, 0x7800000
	s_delay_alu instid0(VALU_DEP_3) | instskip(SKIP_2) | instid1(VALU_DEP_2)
	v_lshrrev_b32_e32 v9, 16, v2
	v_or_b32_e32 v2, 0x70000000, v6
	v_or_b32_e32 v6, 0.5, v7
	v_pk_mul_f32 v[2:3], v[2:3], s[18:19] op_sel_hi:[1,0]
	s_delay_alu instid0(VALU_DEP_4) | instskip(NEXT) | instid1(VALU_DEP_1)
	v_or_b32_e32 v7, 0.5, v9
	v_pk_add_f32 v[6:7], v[6:7], -0.5 op_sel_hi:[1,0]
	v_ashrrev_i32_e32 v9, 16, v5
	v_bfe_i32 v5, v5, 0, 16
	s_delay_alu instid0(VALU_DEP_3) | instskip(SKIP_1) | instid1(VALU_DEP_4)
	v_cndmask_b32_e32 v3, v3, v7, vcc_lo
	v_cmp_gt_u32_e32 vcc_lo, 0x8000000, v1
	v_and_b32_e32 v9, 0x80000000, v9
	s_delay_alu instid0(VALU_DEP_4) | instskip(NEXT) | instid1(VALU_DEP_2)
	v_and_b32_e32 v5, 0x80000000, v5
	v_dual_cndmask_b32 v1, v2, v6, vcc_lo :: v_dual_bitop2_b32 v2, v9, v3 bitop3:0x54
	s_delay_alu instid0(VALU_DEP_1) | instskip(NEXT) | instid1(VALU_DEP_1)
	v_or_b32_e32 v1, v5, v1
	v_cmp_eq_f32_e32 vcc_lo, v1, v2
	v_cndmask_b32_e64 v3, 0, 1, vcc_lo
	v_cmp_neq_f32_e32 vcc_lo, v1, v2
	v_cndmask_b32_e64 v1, 0, 1, vcc_lo
	s_delay_alu instid0(VALU_DEP_1) | instskip(NEXT) | instid1(VALU_DEP_1)
	v_cndmask_b32_e64 v1, v1, v3, s0
	v_and_b32_e32 v1, 1, v1
	global_store_b8 v4, v1, s[4:5]
	s_wait_xcnt 0x0
	s_or_b32 exec_lo, exec_lo, s9
	s_delay_alu instid0(SALU_CYCLE_1)
	s_mov_b32 s9, exec_lo
	v_cmpx_gt_i32_e64 s33, v0
	s_cbranch_execz .LBB230_4
.LBB230_33:
	s_and_not1_b32 vcc_lo, exec_lo, s28
	s_cbranch_vccnz .LBB230_39
; %bb.34:
	s_and_not1_b32 vcc_lo, exec_lo, s34
	s_cbranch_vccnz .LBB230_40
; %bb.35:
	v_dual_mov_b32 v4, 0 :: v_dual_mov_b32 v1, v0
	v_dual_mov_b32 v6, 0 :: v_dual_mov_b32 v5, 0
	s_add_co_i32 s35, s31, 1
	s_mov_b64 s[18:19], 0xffffffffffffffe8
	s_and_b32 s35, s35, 30
	s_add_nc_u64 s[18:19], s[20:21], s[18:19]
.LBB230_36:                             ; =>This Inner Loop Header: Depth=1
	s_clause 0x1
	s_load_b128 s[36:39], s[18:19], 0x1c
	s_load_b64 s[44:45], s[18:19], 0x2c
	s_add_co_i32 s35, s35, -2
	s_delay_alu instid0(SALU_CYCLE_1) | instskip(SKIP_2) | instid1(VALU_DEP_1)
	s_cmp_eq_u32 s35, 0
	s_wait_kmcnt 0x0
	v_mul_hi_u32 v2, s37, v1
	v_add_nc_u32_e32 v2, v1, v2
	s_delay_alu instid0(VALU_DEP_1) | instskip(NEXT) | instid1(VALU_DEP_1)
	v_lshrrev_b32_e32 v2, s38, v2
	v_mul_hi_u32 v3, s44, v2
	v_mul_lo_u32 v7, v2, s36
	s_clause 0x1
	s_load_b128 s[40:43], s[18:19], 0xdc
	s_load_b64 s[36:37], s[18:19], 0xec
	s_wait_xcnt 0x0
	s_add_nc_u64 s[18:19], s[18:19], 24
	s_delay_alu instid0(VALU_DEP_2) | instskip(NEXT) | instid1(VALU_DEP_2)
	v_add_nc_u32_e32 v3, v2, v3
	v_sub_nc_u32_e32 v7, v1, v7
	s_delay_alu instid0(VALU_DEP_2) | instskip(SKIP_1) | instid1(VALU_DEP_2)
	v_lshrrev_b32_e32 v1, s45, v3
	s_wait_kmcnt 0x0
	v_mad_u32 v4, v7, s40, v4
	s_delay_alu instid0(VALU_DEP_2) | instskip(SKIP_2) | instid1(VALU_DEP_3)
	v_mul_lo_u32 v3, v1, s39
	v_mad_u32 v5, v7, s42, v5
	v_mad_u32 v6, v7, s41, v6
	v_sub_nc_u32_e32 v2, v2, v3
	s_delay_alu instid0(VALU_DEP_1) | instskip(NEXT) | instid1(VALU_DEP_4)
	v_mad_u32 v4, v2, s43, v4
	v_mad_u32 v5, v2, s37, v5
	s_delay_alu instid0(VALU_DEP_4)
	v_mad_u32 v6, v2, s36, v6
	s_cbranch_scc0 .LBB230_36
; %bb.37:
	s_bitcmp1_b32 s31, 0
	s_cselect_b32 s35, -1, 0
	s_delay_alu instid0(SALU_CYCLE_1)
	s_and_b32 vcc_lo, exec_lo, s35
	s_cbranch_vccnz .LBB230_41
; %bb.38:
	s_clause 0x1
	s_load_b96 s[36:38], s[18:19], 0x1c
	s_load_b96 s[40:42], s[18:19], 0xdc
	s_wait_kmcnt 0x0
	v_mul_hi_u32 v2, s37, v1
	s_delay_alu instid0(VALU_DEP_1) | instskip(NEXT) | instid1(VALU_DEP_1)
	v_add_nc_u32_e32 v2, v1, v2
	v_lshrrev_b32_e32 v2, s38, v2
	s_delay_alu instid0(VALU_DEP_1) | instskip(NEXT) | instid1(VALU_DEP_1)
	v_mul_lo_u32 v2, v2, s36
	v_sub_nc_u32_e32 v1, v1, v2
	s_delay_alu instid0(VALU_DEP_1)
	v_mad_u32 v4, v1, s40, v4
	v_mad_u32 v6, v1, s41, v6
	;; [unrolled: 1-line block ×3, first 2 shown]
	s_branch .LBB230_41
.LBB230_39:
                                        ; implicit-def: $vgpr5
                                        ; implicit-def: $vgpr6
                                        ; implicit-def: $vgpr4
	s_branch .LBB230_42
.LBB230_40:
	v_dual_mov_b32 v5, 0 :: v_dual_mov_b32 v6, 0
	v_mov_b32_e32 v4, 0
.LBB230_41:
	s_cbranch_execnz .LBB230_44
.LBB230_42:
	v_mov_b32_e32 v1, 0
	s_and_not1_b32 vcc_lo, exec_lo, s30
	s_delay_alu instid0(VALU_DEP_1) | instskip(NEXT) | instid1(VALU_DEP_1)
	v_mul_u64_e32 v[2:3], s[2:3], v[0:1]
	v_add_nc_u32_e32 v2, v0, v3
	s_delay_alu instid0(VALU_DEP_1) | instskip(NEXT) | instid1(VALU_DEP_1)
	v_lshrrev_b32_e32 v2, s10, v2
	v_mul_lo_u32 v3, v2, s8
	s_delay_alu instid0(VALU_DEP_1) | instskip(NEXT) | instid1(VALU_DEP_1)
	v_sub_nc_u32_e32 v3, v0, v3
	v_mul_lo_u32 v4, v3, s12
	v_mul_lo_u32 v5, v3, s14
	;; [unrolled: 1-line block ×3, first 2 shown]
	s_cbranch_vccnz .LBB230_44
; %bb.43:
	v_mov_b32_e32 v3, v1
	s_delay_alu instid0(VALU_DEP_1) | instskip(NEXT) | instid1(VALU_DEP_1)
	v_mul_u64_e32 v[8:9], s[24:25], v[2:3]
	v_add_nc_u32_e32 v1, v2, v9
	s_delay_alu instid0(VALU_DEP_1) | instskip(NEXT) | instid1(VALU_DEP_1)
	v_lshrrev_b32_e32 v1, s1, v1
	v_mul_lo_u32 v1, v1, s11
	s_delay_alu instid0(VALU_DEP_1) | instskip(NEXT) | instid1(VALU_DEP_1)
	v_sub_nc_u32_e32 v1, v2, v1
	v_mad_u32 v4, v1, s15, v4
	v_mad_u32 v6, v1, s22, v6
	;; [unrolled: 1-line block ×3, first 2 shown]
.LBB230_44:
	global_load_u8 v1, v6, s[6:7]
	global_load_u8 v2, v5, s[16:17]
	s_movk_i32 s18, 0x7f00
	v_add_nc_u32_e32 v0, 0x80, v0
	s_wait_loadcnt 0x0
	v_perm_b32 v3, v2, v1, 0x5040100
	v_dual_lshlrev_b32 v8, 25, v2 :: v_dual_lshlrev_b32 v1, 25, v1
	s_wait_xcnt 0x0
	s_delay_alu instid0(VALU_DEP_2) | instskip(NEXT) | instid1(VALU_DEP_2)
	v_pk_lshlrev_b16 v5, 8, v3 op_sel_hi:[0,1]
	v_dual_lshrrev_b32 v3, 4, v8 :: v_dual_lshrrev_b32 v6, 4, v1
	v_cmp_gt_u32_e32 vcc_lo, 0x8000000, v8
	s_delay_alu instid0(VALU_DEP_3) | instskip(SKIP_1) | instid1(VALU_DEP_4)
	v_and_b32_e32 v2, 0x7f007f00, v5
	v_bitop3_b32 v7, v5, s18, 0x7f007f00 bitop3:0x80
	v_or_b32_e32 v3, 0x70000000, v3
	s_mov_b32 s18, 0x7800000
	s_delay_alu instid0(VALU_DEP_3) | instskip(SKIP_2) | instid1(VALU_DEP_2)
	v_lshrrev_b32_e32 v9, 16, v2
	v_or_b32_e32 v2, 0x70000000, v6
	v_or_b32_e32 v6, 0.5, v7
	v_pk_mul_f32 v[2:3], v[2:3], s[18:19] op_sel_hi:[1,0]
	s_delay_alu instid0(VALU_DEP_4) | instskip(NEXT) | instid1(VALU_DEP_1)
	v_or_b32_e32 v7, 0.5, v9
	v_pk_add_f32 v[6:7], v[6:7], -0.5 op_sel_hi:[1,0]
	v_ashrrev_i32_e32 v9, 16, v5
	v_bfe_i32 v5, v5, 0, 16
	s_delay_alu instid0(VALU_DEP_3) | instskip(SKIP_1) | instid1(VALU_DEP_4)
	v_cndmask_b32_e32 v3, v3, v7, vcc_lo
	v_cmp_gt_u32_e32 vcc_lo, 0x8000000, v1
	v_and_b32_e32 v9, 0x80000000, v9
	s_delay_alu instid0(VALU_DEP_4) | instskip(NEXT) | instid1(VALU_DEP_2)
	v_and_b32_e32 v5, 0x80000000, v5
	v_dual_cndmask_b32 v1, v2, v6, vcc_lo :: v_dual_bitop2_b32 v2, v9, v3 bitop3:0x54
	s_delay_alu instid0(VALU_DEP_1) | instskip(NEXT) | instid1(VALU_DEP_1)
	v_or_b32_e32 v1, v5, v1
	v_cmp_eq_f32_e32 vcc_lo, v1, v2
	v_cndmask_b32_e64 v3, 0, 1, vcc_lo
	v_cmp_neq_f32_e32 vcc_lo, v1, v2
	v_cndmask_b32_e64 v1, 0, 1, vcc_lo
	s_delay_alu instid0(VALU_DEP_1) | instskip(NEXT) | instid1(VALU_DEP_1)
	v_cndmask_b32_e64 v1, v1, v3, s0
	v_and_b32_e32 v1, 1, v1
	global_store_b8 v4, v1, s[4:5]
	s_wait_xcnt 0x0
	s_or_b32 exec_lo, exec_lo, s9
	s_delay_alu instid0(SALU_CYCLE_1)
	s_mov_b32 s9, exec_lo
	v_cmpx_gt_i32_e64 s33, v0
	s_cbranch_execz .LBB230_5
.LBB230_45:
	s_and_not1_b32 vcc_lo, exec_lo, s28
	s_cbranch_vccnz .LBB230_51
; %bb.46:
	s_and_not1_b32 vcc_lo, exec_lo, s34
	s_cbranch_vccnz .LBB230_52
; %bb.47:
	v_dual_mov_b32 v4, 0 :: v_dual_mov_b32 v1, v0
	v_dual_mov_b32 v6, 0 :: v_dual_mov_b32 v5, 0
	s_add_co_i32 s35, s31, 1
	s_mov_b64 s[18:19], 0xffffffffffffffe8
	s_and_b32 s35, s35, 30
	s_add_nc_u64 s[18:19], s[20:21], s[18:19]
.LBB230_48:                             ; =>This Inner Loop Header: Depth=1
	s_clause 0x1
	s_load_b128 s[36:39], s[18:19], 0x1c
	s_load_b64 s[44:45], s[18:19], 0x2c
	s_add_co_i32 s35, s35, -2
	s_delay_alu instid0(SALU_CYCLE_1) | instskip(SKIP_2) | instid1(VALU_DEP_1)
	s_cmp_eq_u32 s35, 0
	s_wait_kmcnt 0x0
	v_mul_hi_u32 v2, s37, v1
	v_add_nc_u32_e32 v2, v1, v2
	s_delay_alu instid0(VALU_DEP_1) | instskip(NEXT) | instid1(VALU_DEP_1)
	v_lshrrev_b32_e32 v2, s38, v2
	v_mul_hi_u32 v3, s44, v2
	v_mul_lo_u32 v7, v2, s36
	s_clause 0x1
	s_load_b128 s[40:43], s[18:19], 0xdc
	s_load_b64 s[36:37], s[18:19], 0xec
	s_wait_xcnt 0x0
	s_add_nc_u64 s[18:19], s[18:19], 24
	s_delay_alu instid0(VALU_DEP_2) | instskip(NEXT) | instid1(VALU_DEP_2)
	v_add_nc_u32_e32 v3, v2, v3
	v_sub_nc_u32_e32 v7, v1, v7
	s_delay_alu instid0(VALU_DEP_2) | instskip(SKIP_1) | instid1(VALU_DEP_2)
	v_lshrrev_b32_e32 v1, s45, v3
	s_wait_kmcnt 0x0
	v_mad_u32 v4, v7, s40, v4
	s_delay_alu instid0(VALU_DEP_2) | instskip(SKIP_2) | instid1(VALU_DEP_3)
	v_mul_lo_u32 v3, v1, s39
	v_mad_u32 v5, v7, s42, v5
	v_mad_u32 v6, v7, s41, v6
	v_sub_nc_u32_e32 v2, v2, v3
	s_delay_alu instid0(VALU_DEP_1) | instskip(NEXT) | instid1(VALU_DEP_4)
	v_mad_u32 v4, v2, s43, v4
	v_mad_u32 v5, v2, s37, v5
	s_delay_alu instid0(VALU_DEP_4)
	v_mad_u32 v6, v2, s36, v6
	s_cbranch_scc0 .LBB230_48
; %bb.49:
	s_bitcmp1_b32 s31, 0
	s_cselect_b32 s35, -1, 0
	s_delay_alu instid0(SALU_CYCLE_1)
	s_and_b32 vcc_lo, exec_lo, s35
	s_cbranch_vccnz .LBB230_53
; %bb.50:
	s_clause 0x1
	s_load_b96 s[36:38], s[18:19], 0x1c
	s_load_b96 s[40:42], s[18:19], 0xdc
	s_wait_kmcnt 0x0
	v_mul_hi_u32 v2, s37, v1
	s_delay_alu instid0(VALU_DEP_1) | instskip(NEXT) | instid1(VALU_DEP_1)
	v_add_nc_u32_e32 v2, v1, v2
	v_lshrrev_b32_e32 v2, s38, v2
	s_delay_alu instid0(VALU_DEP_1) | instskip(NEXT) | instid1(VALU_DEP_1)
	v_mul_lo_u32 v2, v2, s36
	v_sub_nc_u32_e32 v1, v1, v2
	s_delay_alu instid0(VALU_DEP_1)
	v_mad_u32 v4, v1, s40, v4
	v_mad_u32 v6, v1, s41, v6
	;; [unrolled: 1-line block ×3, first 2 shown]
	s_branch .LBB230_53
.LBB230_51:
                                        ; implicit-def: $vgpr5
                                        ; implicit-def: $vgpr6
                                        ; implicit-def: $vgpr4
	s_branch .LBB230_54
.LBB230_52:
	v_dual_mov_b32 v5, 0 :: v_dual_mov_b32 v6, 0
	v_mov_b32_e32 v4, 0
.LBB230_53:
	s_cbranch_execnz .LBB230_56
.LBB230_54:
	v_mov_b32_e32 v1, 0
	s_and_not1_b32 vcc_lo, exec_lo, s30
	s_delay_alu instid0(VALU_DEP_1) | instskip(NEXT) | instid1(VALU_DEP_1)
	v_mul_u64_e32 v[2:3], s[2:3], v[0:1]
	v_add_nc_u32_e32 v2, v0, v3
	s_delay_alu instid0(VALU_DEP_1) | instskip(NEXT) | instid1(VALU_DEP_1)
	v_lshrrev_b32_e32 v2, s10, v2
	v_mul_lo_u32 v3, v2, s8
	s_delay_alu instid0(VALU_DEP_1) | instskip(NEXT) | instid1(VALU_DEP_1)
	v_sub_nc_u32_e32 v3, v0, v3
	v_mul_lo_u32 v4, v3, s12
	v_mul_lo_u32 v5, v3, s14
	v_mul_lo_u32 v6, v3, s13
	s_cbranch_vccnz .LBB230_56
; %bb.55:
	v_mov_b32_e32 v3, v1
	s_delay_alu instid0(VALU_DEP_1) | instskip(NEXT) | instid1(VALU_DEP_1)
	v_mul_u64_e32 v[8:9], s[24:25], v[2:3]
	v_add_nc_u32_e32 v1, v2, v9
	s_delay_alu instid0(VALU_DEP_1) | instskip(NEXT) | instid1(VALU_DEP_1)
	v_lshrrev_b32_e32 v1, s1, v1
	v_mul_lo_u32 v1, v1, s11
	s_delay_alu instid0(VALU_DEP_1) | instskip(NEXT) | instid1(VALU_DEP_1)
	v_sub_nc_u32_e32 v1, v2, v1
	v_mad_u32 v4, v1, s15, v4
	v_mad_u32 v6, v1, s22, v6
	v_mad_u32 v5, v1, s23, v5
.LBB230_56:
	global_load_u8 v1, v6, s[6:7]
	global_load_u8 v2, v5, s[16:17]
	s_movk_i32 s18, 0x7f00
	v_add_nc_u32_e32 v0, 0x80, v0
	s_wait_loadcnt 0x0
	v_perm_b32 v3, v2, v1, 0x5040100
	v_dual_lshlrev_b32 v8, 25, v2 :: v_dual_lshlrev_b32 v1, 25, v1
	s_wait_xcnt 0x0
	s_delay_alu instid0(VALU_DEP_2) | instskip(NEXT) | instid1(VALU_DEP_2)
	v_pk_lshlrev_b16 v5, 8, v3 op_sel_hi:[0,1]
	v_dual_lshrrev_b32 v3, 4, v8 :: v_dual_lshrrev_b32 v6, 4, v1
	v_cmp_gt_u32_e32 vcc_lo, 0x8000000, v8
	s_delay_alu instid0(VALU_DEP_3) | instskip(SKIP_1) | instid1(VALU_DEP_4)
	v_and_b32_e32 v2, 0x7f007f00, v5
	v_bitop3_b32 v7, v5, s18, 0x7f007f00 bitop3:0x80
	v_or_b32_e32 v3, 0x70000000, v3
	s_mov_b32 s18, 0x7800000
	s_delay_alu instid0(VALU_DEP_3) | instskip(SKIP_2) | instid1(VALU_DEP_2)
	v_lshrrev_b32_e32 v9, 16, v2
	v_or_b32_e32 v2, 0x70000000, v6
	v_or_b32_e32 v6, 0.5, v7
	v_pk_mul_f32 v[2:3], v[2:3], s[18:19] op_sel_hi:[1,0]
	s_delay_alu instid0(VALU_DEP_4) | instskip(NEXT) | instid1(VALU_DEP_1)
	v_or_b32_e32 v7, 0.5, v9
	v_pk_add_f32 v[6:7], v[6:7], -0.5 op_sel_hi:[1,0]
	v_ashrrev_i32_e32 v9, 16, v5
	v_bfe_i32 v5, v5, 0, 16
	s_delay_alu instid0(VALU_DEP_3) | instskip(SKIP_1) | instid1(VALU_DEP_4)
	v_cndmask_b32_e32 v3, v3, v7, vcc_lo
	v_cmp_gt_u32_e32 vcc_lo, 0x8000000, v1
	v_and_b32_e32 v9, 0x80000000, v9
	s_delay_alu instid0(VALU_DEP_4) | instskip(NEXT) | instid1(VALU_DEP_2)
	v_and_b32_e32 v5, 0x80000000, v5
	v_dual_cndmask_b32 v1, v2, v6, vcc_lo :: v_dual_bitop2_b32 v2, v9, v3 bitop3:0x54
	s_delay_alu instid0(VALU_DEP_1) | instskip(NEXT) | instid1(VALU_DEP_1)
	v_or_b32_e32 v1, v5, v1
	v_cmp_eq_f32_e32 vcc_lo, v1, v2
	v_cndmask_b32_e64 v3, 0, 1, vcc_lo
	v_cmp_neq_f32_e32 vcc_lo, v1, v2
	v_cndmask_b32_e64 v1, 0, 1, vcc_lo
	s_delay_alu instid0(VALU_DEP_1) | instskip(NEXT) | instid1(VALU_DEP_1)
	v_cndmask_b32_e64 v1, v1, v3, s0
	v_and_b32_e32 v1, 1, v1
	global_store_b8 v4, v1, s[4:5]
	s_wait_xcnt 0x0
	s_or_b32 exec_lo, exec_lo, s9
	s_delay_alu instid0(SALU_CYCLE_1)
	s_mov_b32 s9, exec_lo
	v_cmpx_gt_i32_e64 s33, v0
	s_cbranch_execz .LBB230_6
.LBB230_57:
	s_and_not1_b32 vcc_lo, exec_lo, s28
	s_cbranch_vccnz .LBB230_63
; %bb.58:
	s_and_not1_b32 vcc_lo, exec_lo, s34
	s_cbranch_vccnz .LBB230_64
; %bb.59:
	v_dual_mov_b32 v4, 0 :: v_dual_mov_b32 v1, v0
	v_dual_mov_b32 v6, 0 :: v_dual_mov_b32 v5, 0
	s_add_co_i32 s35, s31, 1
	s_mov_b64 s[18:19], 0xffffffffffffffe8
	s_and_b32 s35, s35, 30
	s_add_nc_u64 s[18:19], s[20:21], s[18:19]
.LBB230_60:                             ; =>This Inner Loop Header: Depth=1
	s_clause 0x1
	s_load_b128 s[36:39], s[18:19], 0x1c
	s_load_b64 s[44:45], s[18:19], 0x2c
	s_add_co_i32 s35, s35, -2
	s_delay_alu instid0(SALU_CYCLE_1) | instskip(SKIP_2) | instid1(VALU_DEP_1)
	s_cmp_eq_u32 s35, 0
	s_wait_kmcnt 0x0
	v_mul_hi_u32 v2, s37, v1
	v_add_nc_u32_e32 v2, v1, v2
	s_delay_alu instid0(VALU_DEP_1) | instskip(NEXT) | instid1(VALU_DEP_1)
	v_lshrrev_b32_e32 v2, s38, v2
	v_mul_hi_u32 v3, s44, v2
	v_mul_lo_u32 v7, v2, s36
	s_clause 0x1
	s_load_b128 s[40:43], s[18:19], 0xdc
	s_load_b64 s[36:37], s[18:19], 0xec
	s_wait_xcnt 0x0
	s_add_nc_u64 s[18:19], s[18:19], 24
	s_delay_alu instid0(VALU_DEP_2) | instskip(NEXT) | instid1(VALU_DEP_2)
	v_add_nc_u32_e32 v3, v2, v3
	v_sub_nc_u32_e32 v7, v1, v7
	s_delay_alu instid0(VALU_DEP_2) | instskip(SKIP_1) | instid1(VALU_DEP_2)
	v_lshrrev_b32_e32 v1, s45, v3
	s_wait_kmcnt 0x0
	v_mad_u32 v4, v7, s40, v4
	s_delay_alu instid0(VALU_DEP_2) | instskip(SKIP_2) | instid1(VALU_DEP_3)
	v_mul_lo_u32 v3, v1, s39
	v_mad_u32 v5, v7, s42, v5
	v_mad_u32 v6, v7, s41, v6
	v_sub_nc_u32_e32 v2, v2, v3
	s_delay_alu instid0(VALU_DEP_1) | instskip(NEXT) | instid1(VALU_DEP_4)
	v_mad_u32 v4, v2, s43, v4
	v_mad_u32 v5, v2, s37, v5
	s_delay_alu instid0(VALU_DEP_4)
	v_mad_u32 v6, v2, s36, v6
	s_cbranch_scc0 .LBB230_60
; %bb.61:
	s_bitcmp1_b32 s31, 0
	s_cselect_b32 s35, -1, 0
	s_delay_alu instid0(SALU_CYCLE_1)
	s_and_b32 vcc_lo, exec_lo, s35
	s_cbranch_vccnz .LBB230_65
; %bb.62:
	s_clause 0x1
	s_load_b96 s[36:38], s[18:19], 0x1c
	s_load_b96 s[40:42], s[18:19], 0xdc
	s_wait_kmcnt 0x0
	v_mul_hi_u32 v2, s37, v1
	s_delay_alu instid0(VALU_DEP_1) | instskip(NEXT) | instid1(VALU_DEP_1)
	v_add_nc_u32_e32 v2, v1, v2
	v_lshrrev_b32_e32 v2, s38, v2
	s_delay_alu instid0(VALU_DEP_1) | instskip(NEXT) | instid1(VALU_DEP_1)
	v_mul_lo_u32 v2, v2, s36
	v_sub_nc_u32_e32 v1, v1, v2
	s_delay_alu instid0(VALU_DEP_1)
	v_mad_u32 v4, v1, s40, v4
	v_mad_u32 v6, v1, s41, v6
	;; [unrolled: 1-line block ×3, first 2 shown]
	s_branch .LBB230_65
.LBB230_63:
                                        ; implicit-def: $vgpr5
                                        ; implicit-def: $vgpr6
                                        ; implicit-def: $vgpr4
	s_branch .LBB230_66
.LBB230_64:
	v_dual_mov_b32 v5, 0 :: v_dual_mov_b32 v6, 0
	v_mov_b32_e32 v4, 0
.LBB230_65:
	s_cbranch_execnz .LBB230_68
.LBB230_66:
	v_mov_b32_e32 v1, 0
	s_and_not1_b32 vcc_lo, exec_lo, s30
	s_delay_alu instid0(VALU_DEP_1) | instskip(NEXT) | instid1(VALU_DEP_1)
	v_mul_u64_e32 v[2:3], s[2:3], v[0:1]
	v_add_nc_u32_e32 v2, v0, v3
	s_delay_alu instid0(VALU_DEP_1) | instskip(NEXT) | instid1(VALU_DEP_1)
	v_lshrrev_b32_e32 v2, s10, v2
	v_mul_lo_u32 v3, v2, s8
	s_delay_alu instid0(VALU_DEP_1) | instskip(NEXT) | instid1(VALU_DEP_1)
	v_sub_nc_u32_e32 v3, v0, v3
	v_mul_lo_u32 v4, v3, s12
	v_mul_lo_u32 v5, v3, s14
	;; [unrolled: 1-line block ×3, first 2 shown]
	s_cbranch_vccnz .LBB230_68
; %bb.67:
	v_mov_b32_e32 v3, v1
	s_delay_alu instid0(VALU_DEP_1) | instskip(NEXT) | instid1(VALU_DEP_1)
	v_mul_u64_e32 v[8:9], s[24:25], v[2:3]
	v_add_nc_u32_e32 v1, v2, v9
	s_delay_alu instid0(VALU_DEP_1) | instskip(NEXT) | instid1(VALU_DEP_1)
	v_lshrrev_b32_e32 v1, s1, v1
	v_mul_lo_u32 v1, v1, s11
	s_delay_alu instid0(VALU_DEP_1) | instskip(NEXT) | instid1(VALU_DEP_1)
	v_sub_nc_u32_e32 v1, v2, v1
	v_mad_u32 v4, v1, s15, v4
	v_mad_u32 v6, v1, s22, v6
	;; [unrolled: 1-line block ×3, first 2 shown]
.LBB230_68:
	global_load_u8 v1, v6, s[6:7]
	global_load_u8 v2, v5, s[16:17]
	s_movk_i32 s18, 0x7f00
	v_add_nc_u32_e32 v0, 0x80, v0
	s_wait_loadcnt 0x0
	v_perm_b32 v3, v2, v1, 0x5040100
	v_dual_lshlrev_b32 v8, 25, v2 :: v_dual_lshlrev_b32 v1, 25, v1
	s_wait_xcnt 0x0
	s_delay_alu instid0(VALU_DEP_2) | instskip(NEXT) | instid1(VALU_DEP_2)
	v_pk_lshlrev_b16 v5, 8, v3 op_sel_hi:[0,1]
	v_dual_lshrrev_b32 v3, 4, v8 :: v_dual_lshrrev_b32 v6, 4, v1
	v_cmp_gt_u32_e32 vcc_lo, 0x8000000, v8
	s_delay_alu instid0(VALU_DEP_3) | instskip(SKIP_1) | instid1(VALU_DEP_4)
	v_and_b32_e32 v2, 0x7f007f00, v5
	v_bitop3_b32 v7, v5, s18, 0x7f007f00 bitop3:0x80
	v_or_b32_e32 v3, 0x70000000, v3
	s_mov_b32 s18, 0x7800000
	s_delay_alu instid0(VALU_DEP_3) | instskip(SKIP_2) | instid1(VALU_DEP_2)
	v_lshrrev_b32_e32 v9, 16, v2
	v_or_b32_e32 v2, 0x70000000, v6
	v_or_b32_e32 v6, 0.5, v7
	v_pk_mul_f32 v[2:3], v[2:3], s[18:19] op_sel_hi:[1,0]
	s_delay_alu instid0(VALU_DEP_4) | instskip(NEXT) | instid1(VALU_DEP_1)
	v_or_b32_e32 v7, 0.5, v9
	v_pk_add_f32 v[6:7], v[6:7], -0.5 op_sel_hi:[1,0]
	v_ashrrev_i32_e32 v9, 16, v5
	v_bfe_i32 v5, v5, 0, 16
	s_delay_alu instid0(VALU_DEP_3) | instskip(SKIP_1) | instid1(VALU_DEP_4)
	v_cndmask_b32_e32 v3, v3, v7, vcc_lo
	v_cmp_gt_u32_e32 vcc_lo, 0x8000000, v1
	v_and_b32_e32 v9, 0x80000000, v9
	s_delay_alu instid0(VALU_DEP_4) | instskip(NEXT) | instid1(VALU_DEP_2)
	v_and_b32_e32 v5, 0x80000000, v5
	v_dual_cndmask_b32 v1, v2, v6, vcc_lo :: v_dual_bitop2_b32 v2, v9, v3 bitop3:0x54
	s_delay_alu instid0(VALU_DEP_1) | instskip(NEXT) | instid1(VALU_DEP_1)
	v_or_b32_e32 v1, v5, v1
	v_cmp_eq_f32_e32 vcc_lo, v1, v2
	v_cndmask_b32_e64 v3, 0, 1, vcc_lo
	v_cmp_neq_f32_e32 vcc_lo, v1, v2
	v_cndmask_b32_e64 v1, 0, 1, vcc_lo
	s_delay_alu instid0(VALU_DEP_1) | instskip(NEXT) | instid1(VALU_DEP_1)
	v_cndmask_b32_e64 v1, v1, v3, s0
	v_and_b32_e32 v1, 1, v1
	global_store_b8 v4, v1, s[4:5]
	s_wait_xcnt 0x0
	s_or_b32 exec_lo, exec_lo, s9
	s_delay_alu instid0(SALU_CYCLE_1)
	s_mov_b32 s9, exec_lo
	v_cmpx_gt_i32_e64 s33, v0
	s_cbranch_execz .LBB230_7
.LBB230_69:
	s_and_not1_b32 vcc_lo, exec_lo, s28
	s_cbranch_vccnz .LBB230_75
; %bb.70:
	s_and_not1_b32 vcc_lo, exec_lo, s34
	s_cbranch_vccnz .LBB230_76
; %bb.71:
	v_dual_mov_b32 v4, 0 :: v_dual_mov_b32 v1, v0
	v_dual_mov_b32 v6, 0 :: v_dual_mov_b32 v5, 0
	s_add_co_i32 s35, s31, 1
	s_mov_b64 s[18:19], 0xffffffffffffffe8
	s_and_b32 s35, s35, 30
	s_add_nc_u64 s[18:19], s[20:21], s[18:19]
.LBB230_72:                             ; =>This Inner Loop Header: Depth=1
	s_clause 0x1
	s_load_b128 s[36:39], s[18:19], 0x1c
	s_load_b64 s[44:45], s[18:19], 0x2c
	s_add_co_i32 s35, s35, -2
	s_delay_alu instid0(SALU_CYCLE_1) | instskip(SKIP_2) | instid1(VALU_DEP_1)
	s_cmp_eq_u32 s35, 0
	s_wait_kmcnt 0x0
	v_mul_hi_u32 v2, s37, v1
	v_add_nc_u32_e32 v2, v1, v2
	s_delay_alu instid0(VALU_DEP_1) | instskip(NEXT) | instid1(VALU_DEP_1)
	v_lshrrev_b32_e32 v2, s38, v2
	v_mul_hi_u32 v3, s44, v2
	v_mul_lo_u32 v7, v2, s36
	s_clause 0x1
	s_load_b128 s[40:43], s[18:19], 0xdc
	s_load_b64 s[36:37], s[18:19], 0xec
	s_wait_xcnt 0x0
	s_add_nc_u64 s[18:19], s[18:19], 24
	s_delay_alu instid0(VALU_DEP_2) | instskip(NEXT) | instid1(VALU_DEP_2)
	v_add_nc_u32_e32 v3, v2, v3
	v_sub_nc_u32_e32 v7, v1, v7
	s_delay_alu instid0(VALU_DEP_2) | instskip(SKIP_1) | instid1(VALU_DEP_2)
	v_lshrrev_b32_e32 v1, s45, v3
	s_wait_kmcnt 0x0
	v_mad_u32 v4, v7, s40, v4
	s_delay_alu instid0(VALU_DEP_2) | instskip(SKIP_2) | instid1(VALU_DEP_3)
	v_mul_lo_u32 v3, v1, s39
	v_mad_u32 v5, v7, s42, v5
	v_mad_u32 v6, v7, s41, v6
	v_sub_nc_u32_e32 v2, v2, v3
	s_delay_alu instid0(VALU_DEP_1) | instskip(NEXT) | instid1(VALU_DEP_4)
	v_mad_u32 v4, v2, s43, v4
	v_mad_u32 v5, v2, s37, v5
	s_delay_alu instid0(VALU_DEP_4)
	v_mad_u32 v6, v2, s36, v6
	s_cbranch_scc0 .LBB230_72
; %bb.73:
	s_bitcmp1_b32 s31, 0
	s_cselect_b32 s35, -1, 0
	s_delay_alu instid0(SALU_CYCLE_1)
	s_and_b32 vcc_lo, exec_lo, s35
	s_cbranch_vccnz .LBB230_77
; %bb.74:
	s_clause 0x1
	s_load_b96 s[36:38], s[18:19], 0x1c
	s_load_b96 s[40:42], s[18:19], 0xdc
	s_wait_kmcnt 0x0
	v_mul_hi_u32 v2, s37, v1
	s_delay_alu instid0(VALU_DEP_1) | instskip(NEXT) | instid1(VALU_DEP_1)
	v_add_nc_u32_e32 v2, v1, v2
	v_lshrrev_b32_e32 v2, s38, v2
	s_delay_alu instid0(VALU_DEP_1) | instskip(NEXT) | instid1(VALU_DEP_1)
	v_mul_lo_u32 v2, v2, s36
	v_sub_nc_u32_e32 v1, v1, v2
	s_delay_alu instid0(VALU_DEP_1)
	v_mad_u32 v4, v1, s40, v4
	v_mad_u32 v6, v1, s41, v6
	;; [unrolled: 1-line block ×3, first 2 shown]
	s_branch .LBB230_77
.LBB230_75:
                                        ; implicit-def: $vgpr5
                                        ; implicit-def: $vgpr6
                                        ; implicit-def: $vgpr4
	s_branch .LBB230_78
.LBB230_76:
	v_dual_mov_b32 v5, 0 :: v_dual_mov_b32 v6, 0
	v_mov_b32_e32 v4, 0
.LBB230_77:
	s_cbranch_execnz .LBB230_80
.LBB230_78:
	v_mov_b32_e32 v1, 0
	s_and_not1_b32 vcc_lo, exec_lo, s30
	s_delay_alu instid0(VALU_DEP_1) | instskip(NEXT) | instid1(VALU_DEP_1)
	v_mul_u64_e32 v[2:3], s[2:3], v[0:1]
	v_add_nc_u32_e32 v2, v0, v3
	s_delay_alu instid0(VALU_DEP_1) | instskip(NEXT) | instid1(VALU_DEP_1)
	v_lshrrev_b32_e32 v2, s10, v2
	v_mul_lo_u32 v3, v2, s8
	s_delay_alu instid0(VALU_DEP_1) | instskip(NEXT) | instid1(VALU_DEP_1)
	v_sub_nc_u32_e32 v3, v0, v3
	v_mul_lo_u32 v4, v3, s12
	v_mul_lo_u32 v5, v3, s14
	v_mul_lo_u32 v6, v3, s13
	s_cbranch_vccnz .LBB230_80
; %bb.79:
	v_mov_b32_e32 v3, v1
	s_delay_alu instid0(VALU_DEP_1) | instskip(NEXT) | instid1(VALU_DEP_1)
	v_mul_u64_e32 v[8:9], s[24:25], v[2:3]
	v_add_nc_u32_e32 v1, v2, v9
	s_delay_alu instid0(VALU_DEP_1) | instskip(NEXT) | instid1(VALU_DEP_1)
	v_lshrrev_b32_e32 v1, s1, v1
	v_mul_lo_u32 v1, v1, s11
	s_delay_alu instid0(VALU_DEP_1) | instskip(NEXT) | instid1(VALU_DEP_1)
	v_sub_nc_u32_e32 v1, v2, v1
	v_mad_u32 v4, v1, s15, v4
	v_mad_u32 v6, v1, s22, v6
	;; [unrolled: 1-line block ×3, first 2 shown]
.LBB230_80:
	global_load_u8 v1, v6, s[6:7]
	global_load_u8 v2, v5, s[16:17]
	s_movk_i32 s18, 0x7f00
	v_add_nc_u32_e32 v0, 0x80, v0
	s_wait_loadcnt 0x0
	v_perm_b32 v3, v2, v1, 0x5040100
	v_dual_lshlrev_b32 v8, 25, v2 :: v_dual_lshlrev_b32 v1, 25, v1
	s_wait_xcnt 0x0
	s_delay_alu instid0(VALU_DEP_2) | instskip(NEXT) | instid1(VALU_DEP_2)
	v_pk_lshlrev_b16 v5, 8, v3 op_sel_hi:[0,1]
	v_dual_lshrrev_b32 v3, 4, v8 :: v_dual_lshrrev_b32 v6, 4, v1
	v_cmp_gt_u32_e32 vcc_lo, 0x8000000, v8
	s_delay_alu instid0(VALU_DEP_3) | instskip(SKIP_1) | instid1(VALU_DEP_4)
	v_and_b32_e32 v2, 0x7f007f00, v5
	v_bitop3_b32 v7, v5, s18, 0x7f007f00 bitop3:0x80
	v_or_b32_e32 v3, 0x70000000, v3
	s_mov_b32 s18, 0x7800000
	s_delay_alu instid0(VALU_DEP_3) | instskip(SKIP_2) | instid1(VALU_DEP_2)
	v_lshrrev_b32_e32 v9, 16, v2
	v_or_b32_e32 v2, 0x70000000, v6
	v_or_b32_e32 v6, 0.5, v7
	v_pk_mul_f32 v[2:3], v[2:3], s[18:19] op_sel_hi:[1,0]
	s_delay_alu instid0(VALU_DEP_4) | instskip(NEXT) | instid1(VALU_DEP_1)
	v_or_b32_e32 v7, 0.5, v9
	v_pk_add_f32 v[6:7], v[6:7], -0.5 op_sel_hi:[1,0]
	v_ashrrev_i32_e32 v9, 16, v5
	v_bfe_i32 v5, v5, 0, 16
	s_delay_alu instid0(VALU_DEP_3) | instskip(SKIP_1) | instid1(VALU_DEP_4)
	v_cndmask_b32_e32 v3, v3, v7, vcc_lo
	v_cmp_gt_u32_e32 vcc_lo, 0x8000000, v1
	v_and_b32_e32 v9, 0x80000000, v9
	s_delay_alu instid0(VALU_DEP_4) | instskip(NEXT) | instid1(VALU_DEP_2)
	v_and_b32_e32 v5, 0x80000000, v5
	v_dual_cndmask_b32 v1, v2, v6, vcc_lo :: v_dual_bitop2_b32 v2, v9, v3 bitop3:0x54
	s_delay_alu instid0(VALU_DEP_1) | instskip(NEXT) | instid1(VALU_DEP_1)
	v_or_b32_e32 v1, v5, v1
	v_cmp_eq_f32_e32 vcc_lo, v1, v2
	v_cndmask_b32_e64 v3, 0, 1, vcc_lo
	v_cmp_neq_f32_e32 vcc_lo, v1, v2
	v_cndmask_b32_e64 v1, 0, 1, vcc_lo
	s_delay_alu instid0(VALU_DEP_1) | instskip(NEXT) | instid1(VALU_DEP_1)
	v_cndmask_b32_e64 v1, v1, v3, s0
	v_and_b32_e32 v1, 1, v1
	global_store_b8 v4, v1, s[4:5]
	s_wait_xcnt 0x0
	s_or_b32 exec_lo, exec_lo, s9
	s_delay_alu instid0(SALU_CYCLE_1)
	s_mov_b32 s9, exec_lo
	v_cmpx_gt_i32_e64 s33, v0
	s_cbranch_execz .LBB230_8
.LBB230_81:
	s_and_not1_b32 vcc_lo, exec_lo, s28
	s_cbranch_vccnz .LBB230_87
; %bb.82:
	s_and_not1_b32 vcc_lo, exec_lo, s34
	s_cbranch_vccnz .LBB230_88
; %bb.83:
	v_dual_mov_b32 v4, 0 :: v_dual_mov_b32 v1, v0
	v_dual_mov_b32 v6, 0 :: v_dual_mov_b32 v5, 0
	s_add_co_i32 s35, s31, 1
	s_mov_b64 s[18:19], 0xffffffffffffffe8
	s_and_b32 s35, s35, 30
	s_add_nc_u64 s[18:19], s[20:21], s[18:19]
.LBB230_84:                             ; =>This Inner Loop Header: Depth=1
	s_clause 0x1
	s_load_b128 s[36:39], s[18:19], 0x1c
	s_load_b64 s[44:45], s[18:19], 0x2c
	s_add_co_i32 s35, s35, -2
	s_delay_alu instid0(SALU_CYCLE_1) | instskip(SKIP_2) | instid1(VALU_DEP_1)
	s_cmp_eq_u32 s35, 0
	s_wait_kmcnt 0x0
	v_mul_hi_u32 v2, s37, v1
	v_add_nc_u32_e32 v2, v1, v2
	s_delay_alu instid0(VALU_DEP_1) | instskip(NEXT) | instid1(VALU_DEP_1)
	v_lshrrev_b32_e32 v2, s38, v2
	v_mul_hi_u32 v3, s44, v2
	v_mul_lo_u32 v7, v2, s36
	s_clause 0x1
	s_load_b128 s[40:43], s[18:19], 0xdc
	s_load_b64 s[36:37], s[18:19], 0xec
	s_wait_xcnt 0x0
	s_add_nc_u64 s[18:19], s[18:19], 24
	s_delay_alu instid0(VALU_DEP_2) | instskip(NEXT) | instid1(VALU_DEP_2)
	v_add_nc_u32_e32 v3, v2, v3
	v_sub_nc_u32_e32 v7, v1, v7
	s_delay_alu instid0(VALU_DEP_2) | instskip(SKIP_1) | instid1(VALU_DEP_2)
	v_lshrrev_b32_e32 v1, s45, v3
	s_wait_kmcnt 0x0
	v_mad_u32 v4, v7, s40, v4
	s_delay_alu instid0(VALU_DEP_2) | instskip(SKIP_2) | instid1(VALU_DEP_3)
	v_mul_lo_u32 v3, v1, s39
	v_mad_u32 v5, v7, s42, v5
	v_mad_u32 v6, v7, s41, v6
	v_sub_nc_u32_e32 v2, v2, v3
	s_delay_alu instid0(VALU_DEP_1) | instskip(NEXT) | instid1(VALU_DEP_4)
	v_mad_u32 v4, v2, s43, v4
	v_mad_u32 v5, v2, s37, v5
	s_delay_alu instid0(VALU_DEP_4)
	v_mad_u32 v6, v2, s36, v6
	s_cbranch_scc0 .LBB230_84
; %bb.85:
	s_bitcmp1_b32 s31, 0
	s_cselect_b32 s35, -1, 0
	s_delay_alu instid0(SALU_CYCLE_1)
	s_and_b32 vcc_lo, exec_lo, s35
	s_cbranch_vccnz .LBB230_89
; %bb.86:
	s_clause 0x1
	s_load_b96 s[36:38], s[18:19], 0x1c
	s_load_b96 s[40:42], s[18:19], 0xdc
	s_wait_kmcnt 0x0
	v_mul_hi_u32 v2, s37, v1
	s_delay_alu instid0(VALU_DEP_1) | instskip(NEXT) | instid1(VALU_DEP_1)
	v_add_nc_u32_e32 v2, v1, v2
	v_lshrrev_b32_e32 v2, s38, v2
	s_delay_alu instid0(VALU_DEP_1) | instskip(NEXT) | instid1(VALU_DEP_1)
	v_mul_lo_u32 v2, v2, s36
	v_sub_nc_u32_e32 v1, v1, v2
	s_delay_alu instid0(VALU_DEP_1)
	v_mad_u32 v4, v1, s40, v4
	v_mad_u32 v6, v1, s41, v6
	v_mad_u32 v5, v1, s42, v5
	s_branch .LBB230_89
.LBB230_87:
                                        ; implicit-def: $vgpr5
                                        ; implicit-def: $vgpr6
                                        ; implicit-def: $vgpr4
	s_branch .LBB230_90
.LBB230_88:
	v_dual_mov_b32 v5, 0 :: v_dual_mov_b32 v6, 0
	v_mov_b32_e32 v4, 0
.LBB230_89:
	s_cbranch_execnz .LBB230_92
.LBB230_90:
	v_mov_b32_e32 v1, 0
	s_and_not1_b32 vcc_lo, exec_lo, s30
	s_delay_alu instid0(VALU_DEP_1) | instskip(NEXT) | instid1(VALU_DEP_1)
	v_mul_u64_e32 v[2:3], s[2:3], v[0:1]
	v_add_nc_u32_e32 v2, v0, v3
	s_delay_alu instid0(VALU_DEP_1) | instskip(NEXT) | instid1(VALU_DEP_1)
	v_lshrrev_b32_e32 v2, s10, v2
	v_mul_lo_u32 v3, v2, s8
	s_delay_alu instid0(VALU_DEP_1) | instskip(NEXT) | instid1(VALU_DEP_1)
	v_sub_nc_u32_e32 v3, v0, v3
	v_mul_lo_u32 v4, v3, s12
	v_mul_lo_u32 v5, v3, s14
	;; [unrolled: 1-line block ×3, first 2 shown]
	s_cbranch_vccnz .LBB230_92
; %bb.91:
	v_mov_b32_e32 v3, v1
	s_delay_alu instid0(VALU_DEP_1) | instskip(NEXT) | instid1(VALU_DEP_1)
	v_mul_u64_e32 v[8:9], s[24:25], v[2:3]
	v_add_nc_u32_e32 v1, v2, v9
	s_delay_alu instid0(VALU_DEP_1) | instskip(NEXT) | instid1(VALU_DEP_1)
	v_lshrrev_b32_e32 v1, s1, v1
	v_mul_lo_u32 v1, v1, s11
	s_delay_alu instid0(VALU_DEP_1) | instskip(NEXT) | instid1(VALU_DEP_1)
	v_sub_nc_u32_e32 v1, v2, v1
	v_mad_u32 v4, v1, s15, v4
	v_mad_u32 v6, v1, s22, v6
	;; [unrolled: 1-line block ×3, first 2 shown]
.LBB230_92:
	global_load_u8 v1, v6, s[6:7]
	global_load_u8 v2, v5, s[16:17]
	s_movk_i32 s18, 0x7f00
	v_add_nc_u32_e32 v0, 0x80, v0
	s_wait_loadcnt 0x0
	v_perm_b32 v3, v2, v1, 0x5040100
	v_dual_lshlrev_b32 v8, 25, v2 :: v_dual_lshlrev_b32 v1, 25, v1
	s_wait_xcnt 0x0
	s_delay_alu instid0(VALU_DEP_2) | instskip(NEXT) | instid1(VALU_DEP_2)
	v_pk_lshlrev_b16 v5, 8, v3 op_sel_hi:[0,1]
	v_dual_lshrrev_b32 v3, 4, v8 :: v_dual_lshrrev_b32 v6, 4, v1
	v_cmp_gt_u32_e32 vcc_lo, 0x8000000, v8
	s_delay_alu instid0(VALU_DEP_3) | instskip(SKIP_1) | instid1(VALU_DEP_4)
	v_and_b32_e32 v2, 0x7f007f00, v5
	v_bitop3_b32 v7, v5, s18, 0x7f007f00 bitop3:0x80
	v_or_b32_e32 v3, 0x70000000, v3
	s_mov_b32 s18, 0x7800000
	s_delay_alu instid0(VALU_DEP_3) | instskip(SKIP_2) | instid1(VALU_DEP_2)
	v_lshrrev_b32_e32 v9, 16, v2
	v_or_b32_e32 v2, 0x70000000, v6
	v_or_b32_e32 v6, 0.5, v7
	v_pk_mul_f32 v[2:3], v[2:3], s[18:19] op_sel_hi:[1,0]
	s_delay_alu instid0(VALU_DEP_4) | instskip(NEXT) | instid1(VALU_DEP_1)
	v_or_b32_e32 v7, 0.5, v9
	v_pk_add_f32 v[6:7], v[6:7], -0.5 op_sel_hi:[1,0]
	v_ashrrev_i32_e32 v9, 16, v5
	v_bfe_i32 v5, v5, 0, 16
	s_delay_alu instid0(VALU_DEP_3) | instskip(SKIP_1) | instid1(VALU_DEP_4)
	v_cndmask_b32_e32 v3, v3, v7, vcc_lo
	v_cmp_gt_u32_e32 vcc_lo, 0x8000000, v1
	v_and_b32_e32 v9, 0x80000000, v9
	s_delay_alu instid0(VALU_DEP_4) | instskip(NEXT) | instid1(VALU_DEP_2)
	v_and_b32_e32 v5, 0x80000000, v5
	v_dual_cndmask_b32 v1, v2, v6, vcc_lo :: v_dual_bitop2_b32 v2, v9, v3 bitop3:0x54
	s_delay_alu instid0(VALU_DEP_1) | instskip(NEXT) | instid1(VALU_DEP_1)
	v_or_b32_e32 v1, v5, v1
	v_cmp_eq_f32_e32 vcc_lo, v1, v2
	v_cndmask_b32_e64 v3, 0, 1, vcc_lo
	v_cmp_neq_f32_e32 vcc_lo, v1, v2
	v_cndmask_b32_e64 v1, 0, 1, vcc_lo
	s_delay_alu instid0(VALU_DEP_1) | instskip(NEXT) | instid1(VALU_DEP_1)
	v_cndmask_b32_e64 v1, v1, v3, s0
	v_and_b32_e32 v1, 1, v1
	global_store_b8 v4, v1, s[4:5]
	s_wait_xcnt 0x0
	s_or_b32 exec_lo, exec_lo, s9
	s_delay_alu instid0(SALU_CYCLE_1)
	s_mov_b32 s9, exec_lo
	v_cmpx_gt_i32_e64 s33, v0
	s_cbranch_execz .LBB230_105
.LBB230_93:
	s_and_not1_b32 vcc_lo, exec_lo, s28
	s_cbranch_vccnz .LBB230_99
; %bb.94:
	s_and_not1_b32 vcc_lo, exec_lo, s34
	s_cbranch_vccnz .LBB230_100
; %bb.95:
	v_dual_mov_b32 v4, 0 :: v_dual_mov_b32 v1, v0
	v_dual_mov_b32 v6, 0 :: v_dual_mov_b32 v5, 0
	s_add_co_i32 s33, s31, 1
	s_mov_b64 s[18:19], 0xffffffffffffffe8
	s_and_b32 s33, s33, 30
	s_add_nc_u64 s[18:19], s[20:21], s[18:19]
.LBB230_96:                             ; =>This Inner Loop Header: Depth=1
	s_clause 0x1
	s_load_b128 s[36:39], s[18:19], 0x1c
	s_load_b64 s[34:35], s[18:19], 0x2c
	s_add_co_i32 s33, s33, -2
	s_delay_alu instid0(SALU_CYCLE_1) | instskip(SKIP_2) | instid1(VALU_DEP_1)
	s_cmp_eq_u32 s33, 0
	s_wait_kmcnt 0x0
	v_mul_hi_u32 v2, s37, v1
	v_add_nc_u32_e32 v2, v1, v2
	s_delay_alu instid0(VALU_DEP_1) | instskip(NEXT) | instid1(VALU_DEP_1)
	v_lshrrev_b32_e32 v2, s38, v2
	v_mul_hi_u32 v3, s34, v2
	v_mul_lo_u32 v7, v2, s36
	s_clause 0x1
	s_load_b128 s[40:43], s[18:19], 0xdc
	s_load_b64 s[36:37], s[18:19], 0xec
	s_wait_xcnt 0x0
	s_add_nc_u64 s[18:19], s[18:19], 24
	s_delay_alu instid0(VALU_DEP_2) | instskip(NEXT) | instid1(VALU_DEP_2)
	v_add_nc_u32_e32 v3, v2, v3
	v_sub_nc_u32_e32 v7, v1, v7
	s_delay_alu instid0(VALU_DEP_2) | instskip(SKIP_1) | instid1(VALU_DEP_2)
	v_lshrrev_b32_e32 v1, s35, v3
	s_wait_kmcnt 0x0
	v_mad_u32 v4, v7, s40, v4
	s_delay_alu instid0(VALU_DEP_2) | instskip(SKIP_2) | instid1(VALU_DEP_3)
	v_mul_lo_u32 v3, v1, s39
	v_mad_u32 v5, v7, s42, v5
	v_mad_u32 v6, v7, s41, v6
	v_sub_nc_u32_e32 v2, v2, v3
	s_delay_alu instid0(VALU_DEP_1) | instskip(NEXT) | instid1(VALU_DEP_4)
	v_mad_u32 v4, v2, s43, v4
	v_mad_u32 v5, v2, s37, v5
	s_delay_alu instid0(VALU_DEP_4)
	v_mad_u32 v6, v2, s36, v6
	s_cbranch_scc0 .LBB230_96
; %bb.97:
	s_bitcmp1_b32 s31, 0
	s_cselect_b32 s31, -1, 0
	s_delay_alu instid0(SALU_CYCLE_1)
	s_and_b32 vcc_lo, exec_lo, s31
	s_cbranch_vccnz .LBB230_101
; %bb.98:
	s_clause 0x1
	s_load_b96 s[36:38], s[18:19], 0x1c
	s_load_b96 s[40:42], s[18:19], 0xdc
	s_wait_kmcnt 0x0
	v_mul_hi_u32 v2, s37, v1
	s_delay_alu instid0(VALU_DEP_1) | instskip(NEXT) | instid1(VALU_DEP_1)
	v_add_nc_u32_e32 v2, v1, v2
	v_lshrrev_b32_e32 v2, s38, v2
	s_delay_alu instid0(VALU_DEP_1) | instskip(NEXT) | instid1(VALU_DEP_1)
	v_mul_lo_u32 v2, v2, s36
	v_sub_nc_u32_e32 v1, v1, v2
	s_delay_alu instid0(VALU_DEP_1)
	v_mad_u32 v4, v1, s40, v4
	v_mad_u32 v6, v1, s41, v6
	;; [unrolled: 1-line block ×3, first 2 shown]
	s_branch .LBB230_101
.LBB230_99:
                                        ; implicit-def: $vgpr5
                                        ; implicit-def: $vgpr6
                                        ; implicit-def: $vgpr4
	s_branch .LBB230_102
.LBB230_100:
	v_dual_mov_b32 v5, 0 :: v_dual_mov_b32 v6, 0
	v_mov_b32_e32 v4, 0
.LBB230_101:
	s_cbranch_execnz .LBB230_104
.LBB230_102:
	v_mov_b32_e32 v1, 0
	s_and_not1_b32 vcc_lo, exec_lo, s30
	s_delay_alu instid0(VALU_DEP_1) | instskip(NEXT) | instid1(VALU_DEP_1)
	v_mul_u64_e32 v[2:3], s[2:3], v[0:1]
	v_add_nc_u32_e32 v2, v0, v3
	s_delay_alu instid0(VALU_DEP_1) | instskip(NEXT) | instid1(VALU_DEP_1)
	v_lshrrev_b32_e32 v2, s10, v2
	v_mul_lo_u32 v3, v2, s8
	s_delay_alu instid0(VALU_DEP_1) | instskip(NEXT) | instid1(VALU_DEP_1)
	v_sub_nc_u32_e32 v0, v0, v3
	v_mul_lo_u32 v4, v0, s12
	v_mul_lo_u32 v5, v0, s14
	v_mul_lo_u32 v6, v0, s13
	s_cbranch_vccnz .LBB230_104
; %bb.103:
	v_mov_b32_e32 v3, v1
	s_delay_alu instid0(VALU_DEP_1) | instskip(NEXT) | instid1(VALU_DEP_1)
	v_mul_u64_e32 v[0:1], s[24:25], v[2:3]
	v_add_nc_u32_e32 v0, v2, v1
	s_delay_alu instid0(VALU_DEP_1) | instskip(NEXT) | instid1(VALU_DEP_1)
	v_lshrrev_b32_e32 v0, s1, v0
	v_mul_lo_u32 v0, v0, s11
	s_delay_alu instid0(VALU_DEP_1) | instskip(NEXT) | instid1(VALU_DEP_1)
	v_sub_nc_u32_e32 v0, v2, v0
	v_mad_u32 v4, v0, s15, v4
	v_mad_u32 v6, v0, s22, v6
	;; [unrolled: 1-line block ×3, first 2 shown]
.LBB230_104:
	global_load_u8 v0, v6, s[6:7]
	global_load_u8 v1, v5, s[16:17]
	s_movk_i32 s1, 0x7f00
	s_mov_b32 s2, 0x7800000
	s_wait_loadcnt 0x0
	s_wait_xcnt 0x1
	v_dual_lshlrev_b32 v7, 25, v0 :: v_dual_lshlrev_b32 v6, 25, v1
	v_perm_b32 v2, v1, v0, 0x5040100
	s_delay_alu instid0(VALU_DEP_2) | instskip(SKIP_1) | instid1(VALU_DEP_2)
	v_lshrrev_b32_e32 v1, 4, v6
	s_wait_xcnt 0x0
	v_pk_lshlrev_b16 v5, 8, v2 op_sel_hi:[0,1]
	v_lshrrev_b32_e32 v2, 4, v7
	v_cmp_gt_u32_e32 vcc_lo, 0x8000000, v6
	v_or_b32_e32 v1, 0x70000000, v1
	s_delay_alu instid0(VALU_DEP_4) | instskip(SKIP_1) | instid1(VALU_DEP_2)
	v_and_b32_e32 v0, 0x7f007f00, v5
	v_bitop3_b32 v3, v5, s1, 0x7f007f00 bitop3:0x80
	v_lshrrev_b32_e32 v8, 16, v0
	v_or_b32_e32 v0, 0x70000000, v2
	s_delay_alu instid0(VALU_DEP_3) | instskip(NEXT) | instid1(VALU_DEP_3)
	v_or_b32_e32 v2, 0.5, v3
	v_dual_ashrrev_i32 v8, 16, v5 :: v_dual_bitop2_b32 v3, 0.5, v8 bitop3:0x54
	s_delay_alu instid0(VALU_DEP_3) | instskip(SKIP_1) | instid1(VALU_DEP_3)
	v_pk_mul_f32 v[0:1], v[0:1], s[2:3] op_sel_hi:[1,0]
	v_bfe_i32 v5, v5, 0, 16
	v_pk_add_f32 v[2:3], v[2:3], -0.5 op_sel_hi:[1,0]
	s_delay_alu instid0(VALU_DEP_4) | instskip(NEXT) | instid1(VALU_DEP_3)
	v_and_b32_e32 v8, 0x80000000, v8
	v_and_b32_e32 v5, 0x80000000, v5
	s_delay_alu instid0(VALU_DEP_3) | instskip(SKIP_2) | instid1(VALU_DEP_3)
	v_cndmask_b32_e32 v1, v1, v3, vcc_lo
	v_cmp_gt_u32_e32 vcc_lo, 0x8000000, v7
	v_cndmask_b32_e32 v0, v0, v2, vcc_lo
	v_or_b32_e32 v1, v8, v1
	s_delay_alu instid0(VALU_DEP_2) | instskip(NEXT) | instid1(VALU_DEP_1)
	v_or_b32_e32 v0, v5, v0
	v_cmp_eq_f32_e32 vcc_lo, v0, v1
	v_cndmask_b32_e64 v2, 0, 1, vcc_lo
	v_cmp_neq_f32_e32 vcc_lo, v0, v1
	v_cndmask_b32_e64 v0, 0, 1, vcc_lo
	s_delay_alu instid0(VALU_DEP_1) | instskip(NEXT) | instid1(VALU_DEP_1)
	v_cndmask_b32_e64 v0, v0, v2, s0
	v_and_b32_e32 v0, 1, v0
	global_store_b8 v4, v0, s[4:5]
.LBB230_105:
	s_wait_xcnt 0x0
	s_or_b32 exec_lo, exec_lo, s9
                                        ; implicit-def: $vgpr8
                                        ; implicit-def: $vgpr0
.LBB230_106:
	s_and_not1_saveexec_b32 s0, s29
	s_cbranch_execz .LBB230_113
; %bb.107:
	v_cndmask_b32_e64 v12, 0, 1, s28
	s_and_not1_b32 vcc_lo, exec_lo, s28
	s_cbranch_vccnz .LBB230_114
; %bb.108:
	s_cmp_lg_u32 s26, 0
	s_mov_b32 s2, 0
	s_cbranch_scc0 .LBB230_118
; %bb.109:
	s_min_u32 s3, s27, 15
	v_dual_mov_b32 v1, 0 :: v_dual_mov_b32 v2, v0
	v_dual_mov_b32 v3, 0 :: v_dual_mov_b32 v4, 0
	s_add_co_i32 s4, s3, 1
	s_mov_b64 s[0:1], 0xffffffffffffffe8
	s_and_b32 s4, s4, 30
	s_add_nc_u64 s[0:1], s[20:21], s[0:1]
.LBB230_110:                            ; =>This Inner Loop Header: Depth=1
	s_clause 0x1
	s_load_b128 s[8:11], s[0:1], 0x1c
	s_load_b64 s[6:7], s[0:1], 0x2c
	s_add_co_i32 s4, s4, -2
	s_delay_alu instid0(SALU_CYCLE_1) | instskip(SKIP_2) | instid1(VALU_DEP_1)
	s_cmp_lg_u32 s4, 0
	s_wait_kmcnt 0x0
	v_mul_hi_u32 v5, s9, v2
	v_add_nc_u32_e32 v5, v2, v5
	s_delay_alu instid0(VALU_DEP_1) | instskip(NEXT) | instid1(VALU_DEP_1)
	v_lshrrev_b32_e32 v5, s10, v5
	v_mul_hi_u32 v6, s6, v5
	v_mul_lo_u32 v7, v5, s8
	s_clause 0x1
	s_load_b128 s[12:15], s[0:1], 0xdc
	s_load_b64 s[8:9], s[0:1], 0xec
	s_wait_xcnt 0x0
	s_add_nc_u64 s[0:1], s[0:1], 24
	s_delay_alu instid0(VALU_DEP_1) | instskip(NEXT) | instid1(VALU_DEP_1)
	v_dual_add_nc_u32 v6, v5, v6 :: v_dual_sub_nc_u32 v7, v2, v7
	v_lshrrev_b32_e32 v2, s7, v6
	s_wait_kmcnt 0x0
	s_delay_alu instid0(VALU_DEP_2) | instskip(NEXT) | instid1(VALU_DEP_2)
	v_mad_u32 v1, v7, s12, v1
	v_mul_lo_u32 v6, v2, s11
	v_mad_u32 v4, v7, s14, v4
	v_mad_u32 v3, v7, s13, v3
	s_delay_alu instid0(VALU_DEP_3) | instskip(NEXT) | instid1(VALU_DEP_1)
	v_sub_nc_u32_e32 v5, v5, v6
	v_mad_u32 v1, v5, s15, v1
	s_delay_alu instid0(VALU_DEP_4) | instskip(NEXT) | instid1(VALU_DEP_4)
	v_mad_u32 v4, v5, s9, v4
	v_mad_u32 v3, v5, s8, v3
	s_cbranch_scc1 .LBB230_110
; %bb.111:
	s_bitcmp1_b32 s3, 0
	s_cselect_b32 s3, -1, 0
	s_delay_alu instid0(SALU_CYCLE_1)
	s_and_b32 vcc_lo, exec_lo, s3
	s_cbranch_vccnz .LBB230_115
; %bb.112:
	s_clause 0x1
	s_load_b96 s[4:6], s[0:1], 0x1c
	s_load_b96 s[8:10], s[0:1], 0xdc
	s_wait_kmcnt 0x0
	v_mul_hi_u32 v5, s5, v2
	s_delay_alu instid0(VALU_DEP_1) | instskip(NEXT) | instid1(VALU_DEP_1)
	v_add_nc_u32_e32 v5, v2, v5
	v_lshrrev_b32_e32 v5, s6, v5
	s_delay_alu instid0(VALU_DEP_1) | instskip(NEXT) | instid1(VALU_DEP_1)
	v_mul_lo_u32 v5, v5, s4
	v_sub_nc_u32_e32 v2, v2, v5
	s_delay_alu instid0(VALU_DEP_1)
	v_mad_u32 v1, v2, s8, v1
	v_mad_u32 v3, v2, s9, v3
	;; [unrolled: 1-line block ×3, first 2 shown]
	s_and_not1_b32 vcc_lo, exec_lo, s2
	s_cbranch_vccz .LBB230_116
	s_branch .LBB230_119
.LBB230_113:
	s_endpgm
.LBB230_114:
	s_mov_b32 s2, -1
                                        ; implicit-def: $vgpr4
                                        ; implicit-def: $vgpr3
                                        ; implicit-def: $vgpr1
.LBB230_115:
	s_delay_alu instid0(SALU_CYCLE_1)
	s_and_not1_b32 vcc_lo, exec_lo, s2
	s_cbranch_vccnz .LBB230_119
.LBB230_116:
	s_clause 0x1
	s_load_b96 s[0:2], s[20:21], 0x4
	s_load_b96 s[4:6], s[20:21], 0xc4
	s_cmp_lt_u32 s26, 2
	s_wait_kmcnt 0x0
	v_mul_hi_u32 v1, s1, v0
	s_delay_alu instid0(VALU_DEP_1) | instskip(NEXT) | instid1(VALU_DEP_1)
	v_add_nc_u32_e32 v1, v0, v1
	v_lshrrev_b32_e32 v2, s2, v1
	s_delay_alu instid0(VALU_DEP_1) | instskip(NEXT) | instid1(VALU_DEP_1)
	v_mul_lo_u32 v1, v2, s0
	v_sub_nc_u32_e32 v3, v0, v1
	s_delay_alu instid0(VALU_DEP_1)
	v_mul_lo_u32 v1, v3, s4
	v_mul_lo_u32 v4, v3, s6
	;; [unrolled: 1-line block ×3, first 2 shown]
	s_cbranch_scc1 .LBB230_119
; %bb.117:
	s_clause 0x1
	s_load_b96 s[0:2], s[20:21], 0x10
	s_load_b96 s[4:6], s[20:21], 0xd0
	s_wait_kmcnt 0x0
	v_mul_hi_u32 v5, s1, v2
	s_delay_alu instid0(VALU_DEP_1) | instskip(NEXT) | instid1(VALU_DEP_1)
	v_add_nc_u32_e32 v5, v2, v5
	v_lshrrev_b32_e32 v5, s2, v5
	s_delay_alu instid0(VALU_DEP_1) | instskip(NEXT) | instid1(VALU_DEP_1)
	v_mul_lo_u32 v5, v5, s0
	v_sub_nc_u32_e32 v2, v2, v5
	s_delay_alu instid0(VALU_DEP_1)
	v_mad_u32 v1, v2, s4, v1
	v_mad_u32 v3, v2, s5, v3
	;; [unrolled: 1-line block ×3, first 2 shown]
	s_branch .LBB230_119
.LBB230_118:
	v_dual_mov_b32 v4, 0 :: v_dual_mov_b32 v3, 0
	v_mov_b32_e32 v1, 0
	s_and_not1_b32 vcc_lo, exec_lo, s2
	s_cbranch_vccz .LBB230_116
.LBB230_119:
	v_cmp_ne_u32_e32 vcc_lo, 1, v12
	v_add_nc_u32_e32 v5, 0x80, v0
	s_cbranch_vccnz .LBB230_125
; %bb.120:
	s_cmp_lg_u32 s26, 0
	s_mov_b32 s2, 0
	s_cbranch_scc0 .LBB230_129
; %bb.121:
	s_min_u32 s3, s27, 15
	v_dual_mov_b32 v2, 0 :: v_dual_mov_b32 v9, v5
	v_dual_mov_b32 v7, 0 :: v_dual_mov_b32 v6, 0
	s_add_co_i32 s4, s3, 1
	s_mov_b64 s[0:1], 0xffffffffffffffe8
	s_and_b32 s4, s4, 30
	s_add_nc_u64 s[0:1], s[20:21], s[0:1]
.LBB230_122:                            ; =>This Inner Loop Header: Depth=1
	s_clause 0x1
	s_load_b128 s[8:11], s[0:1], 0x1c
	s_load_b64 s[6:7], s[0:1], 0x2c
	s_add_co_i32 s4, s4, -2
	s_delay_alu instid0(SALU_CYCLE_1) | instskip(SKIP_2) | instid1(VALU_DEP_1)
	s_cmp_lg_u32 s4, 0
	s_wait_kmcnt 0x0
	v_mul_hi_u32 v10, s9, v9
	v_add_nc_u32_e32 v10, v9, v10
	s_delay_alu instid0(VALU_DEP_1) | instskip(NEXT) | instid1(VALU_DEP_1)
	v_lshrrev_b32_e32 v10, s10, v10
	v_mul_hi_u32 v11, s6, v10
	v_mul_lo_u32 v13, v10, s8
	s_clause 0x1
	s_load_b128 s[12:15], s[0:1], 0xdc
	s_load_b64 s[8:9], s[0:1], 0xec
	s_wait_xcnt 0x0
	s_add_nc_u64 s[0:1], s[0:1], 24
	s_delay_alu instid0(VALU_DEP_1) | instskip(NEXT) | instid1(VALU_DEP_1)
	v_dual_add_nc_u32 v11, v10, v11 :: v_dual_sub_nc_u32 v13, v9, v13
	v_lshrrev_b32_e32 v9, s7, v11
	s_wait_kmcnt 0x0
	s_delay_alu instid0(VALU_DEP_2) | instskip(NEXT) | instid1(VALU_DEP_2)
	v_mad_u32 v2, v13, s12, v2
	v_mul_lo_u32 v11, v9, s11
	v_mad_u32 v6, v13, s14, v6
	v_mad_u32 v7, v13, s13, v7
	s_delay_alu instid0(VALU_DEP_3) | instskip(NEXT) | instid1(VALU_DEP_1)
	v_sub_nc_u32_e32 v10, v10, v11
	v_mad_u32 v2, v10, s15, v2
	s_delay_alu instid0(VALU_DEP_4) | instskip(NEXT) | instid1(VALU_DEP_4)
	v_mad_u32 v6, v10, s9, v6
	v_mad_u32 v7, v10, s8, v7
	s_cbranch_scc1 .LBB230_122
; %bb.123:
	s_bitcmp1_b32 s3, 0
	s_cselect_b32 s3, -1, 0
	s_delay_alu instid0(SALU_CYCLE_1)
	s_and_b32 vcc_lo, exec_lo, s3
	s_cbranch_vccnz .LBB230_126
; %bb.124:
	s_clause 0x1
	s_load_b96 s[4:6], s[0:1], 0x1c
	s_load_b96 s[8:10], s[0:1], 0xdc
	s_wait_kmcnt 0x0
	v_mul_hi_u32 v10, s5, v9
	s_delay_alu instid0(VALU_DEP_1) | instskip(NEXT) | instid1(VALU_DEP_1)
	v_add_nc_u32_e32 v10, v9, v10
	v_lshrrev_b32_e32 v10, s6, v10
	s_delay_alu instid0(VALU_DEP_1) | instskip(NEXT) | instid1(VALU_DEP_1)
	v_mul_lo_u32 v10, v10, s4
	v_sub_nc_u32_e32 v9, v9, v10
	s_delay_alu instid0(VALU_DEP_1)
	v_mad_u32 v2, v9, s8, v2
	v_mad_u32 v7, v9, s9, v7
	;; [unrolled: 1-line block ×3, first 2 shown]
	s_and_not1_b32 vcc_lo, exec_lo, s2
	s_cbranch_vccz .LBB230_127
	s_branch .LBB230_130
.LBB230_125:
	s_mov_b32 s2, -1
                                        ; implicit-def: $vgpr6
                                        ; implicit-def: $vgpr7
                                        ; implicit-def: $vgpr2
.LBB230_126:
	s_delay_alu instid0(SALU_CYCLE_1)
	s_and_not1_b32 vcc_lo, exec_lo, s2
	s_cbranch_vccnz .LBB230_130
.LBB230_127:
	s_clause 0x1
	s_load_b96 s[0:2], s[20:21], 0x4
	s_load_b96 s[4:6], s[20:21], 0xc4
	s_cmp_lt_u32 s26, 2
	s_wait_kmcnt 0x0
	v_mul_hi_u32 v2, s1, v5
	s_delay_alu instid0(VALU_DEP_1) | instskip(NEXT) | instid1(VALU_DEP_1)
	v_add_nc_u32_e32 v2, v5, v2
	v_lshrrev_b32_e32 v9, s2, v2
	s_delay_alu instid0(VALU_DEP_1) | instskip(NEXT) | instid1(VALU_DEP_1)
	v_mul_lo_u32 v2, v9, s0
	v_sub_nc_u32_e32 v5, v5, v2
	s_delay_alu instid0(VALU_DEP_1)
	v_mul_lo_u32 v2, v5, s4
	v_mul_lo_u32 v6, v5, s6
	;; [unrolled: 1-line block ×3, first 2 shown]
	s_cbranch_scc1 .LBB230_130
; %bb.128:
	s_clause 0x1
	s_load_b96 s[0:2], s[20:21], 0x10
	s_load_b96 s[4:6], s[20:21], 0xd0
	s_wait_kmcnt 0x0
	v_mul_hi_u32 v5, s1, v9
	s_delay_alu instid0(VALU_DEP_1) | instskip(NEXT) | instid1(VALU_DEP_1)
	v_add_nc_u32_e32 v5, v9, v5
	v_lshrrev_b32_e32 v5, s2, v5
	s_delay_alu instid0(VALU_DEP_1) | instskip(NEXT) | instid1(VALU_DEP_1)
	v_mul_lo_u32 v5, v5, s0
	v_sub_nc_u32_e32 v5, v9, v5
	s_delay_alu instid0(VALU_DEP_1)
	v_mad_u32 v2, v5, s4, v2
	v_mad_u32 v7, v5, s5, v7
	;; [unrolled: 1-line block ×3, first 2 shown]
	s_branch .LBB230_130
.LBB230_129:
	v_dual_mov_b32 v6, 0 :: v_dual_mov_b32 v7, 0
	v_mov_b32_e32 v2, 0
	s_and_not1_b32 vcc_lo, exec_lo, s2
	s_cbranch_vccz .LBB230_127
.LBB230_130:
	v_cmp_ne_u32_e32 vcc_lo, 1, v12
	v_add_nc_u32_e32 v9, 0x100, v0
	s_cbranch_vccnz .LBB230_136
; %bb.131:
	s_cmp_lg_u32 s26, 0
	s_mov_b32 s2, 0
	s_cbranch_scc0 .LBB230_140
; %bb.132:
	s_min_u32 s3, s27, 15
	v_dual_mov_b32 v5, 0 :: v_dual_mov_b32 v13, v9
	v_dual_mov_b32 v11, 0 :: v_dual_mov_b32 v10, 0
	s_add_co_i32 s4, s3, 1
	s_mov_b64 s[0:1], 0xffffffffffffffe8
	s_and_b32 s4, s4, 30
	s_add_nc_u64 s[0:1], s[20:21], s[0:1]
.LBB230_133:                            ; =>This Inner Loop Header: Depth=1
	s_clause 0x1
	s_load_b128 s[8:11], s[0:1], 0x1c
	s_load_b64 s[6:7], s[0:1], 0x2c
	s_add_co_i32 s4, s4, -2
	s_delay_alu instid0(SALU_CYCLE_1) | instskip(SKIP_2) | instid1(VALU_DEP_1)
	s_cmp_lg_u32 s4, 0
	s_wait_kmcnt 0x0
	v_mul_hi_u32 v14, s9, v13
	v_add_nc_u32_e32 v14, v13, v14
	s_delay_alu instid0(VALU_DEP_1) | instskip(NEXT) | instid1(VALU_DEP_1)
	v_lshrrev_b32_e32 v14, s10, v14
	v_mul_hi_u32 v15, s6, v14
	v_mul_lo_u32 v16, v14, s8
	s_clause 0x1
	s_load_b128 s[12:15], s[0:1], 0xdc
	s_load_b64 s[8:9], s[0:1], 0xec
	s_wait_xcnt 0x0
	s_add_nc_u64 s[0:1], s[0:1], 24
	s_delay_alu instid0(VALU_DEP_1) | instskip(NEXT) | instid1(VALU_DEP_1)
	v_dual_add_nc_u32 v15, v14, v15 :: v_dual_sub_nc_u32 v16, v13, v16
	v_lshrrev_b32_e32 v13, s7, v15
	s_wait_kmcnt 0x0
	s_delay_alu instid0(VALU_DEP_2) | instskip(NEXT) | instid1(VALU_DEP_2)
	v_mad_u32 v5, v16, s12, v5
	v_mul_lo_u32 v15, v13, s11
	v_mad_u32 v10, v16, s14, v10
	v_mad_u32 v11, v16, s13, v11
	s_delay_alu instid0(VALU_DEP_3) | instskip(NEXT) | instid1(VALU_DEP_1)
	v_sub_nc_u32_e32 v14, v14, v15
	v_mad_u32 v5, v14, s15, v5
	s_delay_alu instid0(VALU_DEP_4) | instskip(NEXT) | instid1(VALU_DEP_4)
	v_mad_u32 v10, v14, s9, v10
	v_mad_u32 v11, v14, s8, v11
	s_cbranch_scc1 .LBB230_133
; %bb.134:
	s_bitcmp1_b32 s3, 0
	s_cselect_b32 s3, -1, 0
	s_delay_alu instid0(SALU_CYCLE_1)
	s_and_b32 vcc_lo, exec_lo, s3
	s_cbranch_vccnz .LBB230_137
; %bb.135:
	s_clause 0x1
	s_load_b96 s[4:6], s[0:1], 0x1c
	s_load_b96 s[8:10], s[0:1], 0xdc
	s_wait_kmcnt 0x0
	v_mul_hi_u32 v14, s5, v13
	s_delay_alu instid0(VALU_DEP_1) | instskip(NEXT) | instid1(VALU_DEP_1)
	v_add_nc_u32_e32 v14, v13, v14
	v_lshrrev_b32_e32 v14, s6, v14
	s_delay_alu instid0(VALU_DEP_1) | instskip(NEXT) | instid1(VALU_DEP_1)
	v_mul_lo_u32 v14, v14, s4
	v_sub_nc_u32_e32 v13, v13, v14
	s_delay_alu instid0(VALU_DEP_1)
	v_mad_u32 v5, v13, s8, v5
	v_mad_u32 v11, v13, s9, v11
	;; [unrolled: 1-line block ×3, first 2 shown]
	s_and_not1_b32 vcc_lo, exec_lo, s2
	s_cbranch_vccz .LBB230_138
	s_branch .LBB230_141
.LBB230_136:
	s_mov_b32 s2, -1
                                        ; implicit-def: $vgpr10
                                        ; implicit-def: $vgpr11
                                        ; implicit-def: $vgpr5
.LBB230_137:
	s_delay_alu instid0(SALU_CYCLE_1)
	s_and_not1_b32 vcc_lo, exec_lo, s2
	s_cbranch_vccnz .LBB230_141
.LBB230_138:
	s_clause 0x1
	s_load_b96 s[0:2], s[20:21], 0x4
	s_load_b96 s[4:6], s[20:21], 0xc4
	s_cmp_lt_u32 s26, 2
	s_wait_kmcnt 0x0
	v_mul_hi_u32 v5, s1, v9
	s_delay_alu instid0(VALU_DEP_1) | instskip(NEXT) | instid1(VALU_DEP_1)
	v_add_nc_u32_e32 v5, v9, v5
	v_lshrrev_b32_e32 v13, s2, v5
	s_delay_alu instid0(VALU_DEP_1) | instskip(NEXT) | instid1(VALU_DEP_1)
	v_mul_lo_u32 v5, v13, s0
	v_sub_nc_u32_e32 v9, v9, v5
	s_delay_alu instid0(VALU_DEP_1)
	v_mul_lo_u32 v5, v9, s4
	v_mul_lo_u32 v10, v9, s6
	;; [unrolled: 1-line block ×3, first 2 shown]
	s_cbranch_scc1 .LBB230_141
; %bb.139:
	s_clause 0x1
	s_load_b96 s[0:2], s[20:21], 0x10
	s_load_b96 s[4:6], s[20:21], 0xd0
	s_wait_kmcnt 0x0
	v_mul_hi_u32 v9, s1, v13
	s_delay_alu instid0(VALU_DEP_1) | instskip(NEXT) | instid1(VALU_DEP_1)
	v_add_nc_u32_e32 v9, v13, v9
	v_lshrrev_b32_e32 v9, s2, v9
	s_delay_alu instid0(VALU_DEP_1) | instskip(NEXT) | instid1(VALU_DEP_1)
	v_mul_lo_u32 v9, v9, s0
	v_sub_nc_u32_e32 v9, v13, v9
	s_delay_alu instid0(VALU_DEP_1)
	v_mad_u32 v5, v9, s4, v5
	v_mad_u32 v11, v9, s5, v11
	;; [unrolled: 1-line block ×3, first 2 shown]
	s_branch .LBB230_141
.LBB230_140:
	v_dual_mov_b32 v10, 0 :: v_dual_mov_b32 v11, 0
	v_mov_b32_e32 v5, 0
	s_and_not1_b32 vcc_lo, exec_lo, s2
	s_cbranch_vccz .LBB230_138
.LBB230_141:
	v_cmp_ne_u32_e32 vcc_lo, 1, v12
	v_add_nc_u32_e32 v13, 0x180, v0
	s_cbranch_vccnz .LBB230_147
; %bb.142:
	s_cmp_lg_u32 s26, 0
	s_mov_b32 s2, 0
	s_cbranch_scc0 .LBB230_151
; %bb.143:
	s_min_u32 s3, s27, 15
	v_dual_mov_b32 v9, 0 :: v_dual_mov_b32 v16, v13
	v_dual_mov_b32 v14, 0 :: v_dual_mov_b32 v15, 0
	s_add_co_i32 s4, s3, 1
	s_mov_b64 s[0:1], 0xffffffffffffffe8
	s_and_b32 s4, s4, 30
	s_add_nc_u64 s[0:1], s[20:21], s[0:1]
.LBB230_144:                            ; =>This Inner Loop Header: Depth=1
	s_clause 0x1
	s_load_b128 s[8:11], s[0:1], 0x1c
	s_load_b64 s[6:7], s[0:1], 0x2c
	s_add_co_i32 s4, s4, -2
	s_delay_alu instid0(SALU_CYCLE_1) | instskip(SKIP_2) | instid1(VALU_DEP_1)
	s_cmp_lg_u32 s4, 0
	s_wait_kmcnt 0x0
	v_mul_hi_u32 v17, s9, v16
	v_add_nc_u32_e32 v17, v16, v17
	s_delay_alu instid0(VALU_DEP_1) | instskip(NEXT) | instid1(VALU_DEP_1)
	v_lshrrev_b32_e32 v17, s10, v17
	v_mul_hi_u32 v18, s6, v17
	v_mul_lo_u32 v19, v17, s8
	s_clause 0x1
	s_load_b128 s[12:15], s[0:1], 0xdc
	s_load_b64 s[8:9], s[0:1], 0xec
	s_wait_xcnt 0x0
	s_add_nc_u64 s[0:1], s[0:1], 24
	s_delay_alu instid0(VALU_DEP_1) | instskip(NEXT) | instid1(VALU_DEP_1)
	v_dual_add_nc_u32 v18, v17, v18 :: v_dual_sub_nc_u32 v19, v16, v19
	v_lshrrev_b32_e32 v16, s7, v18
	s_wait_kmcnt 0x0
	s_delay_alu instid0(VALU_DEP_2) | instskip(NEXT) | instid1(VALU_DEP_2)
	v_mad_u32 v9, v19, s12, v9
	v_mul_lo_u32 v18, v16, s11
	v_mad_u32 v15, v19, s14, v15
	v_mad_u32 v14, v19, s13, v14
	s_delay_alu instid0(VALU_DEP_3) | instskip(NEXT) | instid1(VALU_DEP_1)
	v_sub_nc_u32_e32 v17, v17, v18
	v_mad_u32 v9, v17, s15, v9
	s_delay_alu instid0(VALU_DEP_4) | instskip(NEXT) | instid1(VALU_DEP_4)
	v_mad_u32 v15, v17, s9, v15
	v_mad_u32 v14, v17, s8, v14
	s_cbranch_scc1 .LBB230_144
; %bb.145:
	s_bitcmp1_b32 s3, 0
	s_cselect_b32 s3, -1, 0
	s_delay_alu instid0(SALU_CYCLE_1)
	s_and_b32 vcc_lo, exec_lo, s3
	s_cbranch_vccnz .LBB230_148
; %bb.146:
	s_clause 0x1
	s_load_b96 s[4:6], s[0:1], 0x1c
	s_load_b96 s[8:10], s[0:1], 0xdc
	s_wait_kmcnt 0x0
	v_mul_hi_u32 v17, s5, v16
	s_delay_alu instid0(VALU_DEP_1) | instskip(NEXT) | instid1(VALU_DEP_1)
	v_add_nc_u32_e32 v17, v16, v17
	v_lshrrev_b32_e32 v17, s6, v17
	s_delay_alu instid0(VALU_DEP_1) | instskip(NEXT) | instid1(VALU_DEP_1)
	v_mul_lo_u32 v17, v17, s4
	v_sub_nc_u32_e32 v16, v16, v17
	s_delay_alu instid0(VALU_DEP_1)
	v_mad_u32 v9, v16, s8, v9
	v_mad_u32 v14, v16, s9, v14
	v_mad_u32 v15, v16, s10, v15
	s_and_not1_b32 vcc_lo, exec_lo, s2
	s_cbranch_vccz .LBB230_149
	s_branch .LBB230_152
.LBB230_147:
	s_mov_b32 s2, -1
                                        ; implicit-def: $vgpr15
                                        ; implicit-def: $vgpr14
                                        ; implicit-def: $vgpr9
.LBB230_148:
	s_delay_alu instid0(SALU_CYCLE_1)
	s_and_not1_b32 vcc_lo, exec_lo, s2
	s_cbranch_vccnz .LBB230_152
.LBB230_149:
	s_clause 0x1
	s_load_b96 s[0:2], s[20:21], 0x4
	s_load_b96 s[4:6], s[20:21], 0xc4
	s_cmp_lt_u32 s26, 2
	s_wait_kmcnt 0x0
	v_mul_hi_u32 v9, s1, v13
	s_delay_alu instid0(VALU_DEP_1) | instskip(NEXT) | instid1(VALU_DEP_1)
	v_add_nc_u32_e32 v9, v13, v9
	v_lshrrev_b32_e32 v16, s2, v9
	s_delay_alu instid0(VALU_DEP_1) | instskip(NEXT) | instid1(VALU_DEP_1)
	v_mul_lo_u32 v9, v16, s0
	v_sub_nc_u32_e32 v13, v13, v9
	s_delay_alu instid0(VALU_DEP_1)
	v_mul_lo_u32 v9, v13, s4
	v_mul_lo_u32 v15, v13, s6
	;; [unrolled: 1-line block ×3, first 2 shown]
	s_cbranch_scc1 .LBB230_152
; %bb.150:
	s_clause 0x1
	s_load_b96 s[0:2], s[20:21], 0x10
	s_load_b96 s[4:6], s[20:21], 0xd0
	s_wait_kmcnt 0x0
	v_mul_hi_u32 v13, s1, v16
	s_delay_alu instid0(VALU_DEP_1) | instskip(NEXT) | instid1(VALU_DEP_1)
	v_add_nc_u32_e32 v13, v16, v13
	v_lshrrev_b32_e32 v13, s2, v13
	s_delay_alu instid0(VALU_DEP_1) | instskip(NEXT) | instid1(VALU_DEP_1)
	v_mul_lo_u32 v13, v13, s0
	v_sub_nc_u32_e32 v13, v16, v13
	s_delay_alu instid0(VALU_DEP_1)
	v_mad_u32 v9, v13, s4, v9
	v_mad_u32 v14, v13, s5, v14
	;; [unrolled: 1-line block ×3, first 2 shown]
	s_branch .LBB230_152
.LBB230_151:
	v_dual_mov_b32 v15, 0 :: v_dual_mov_b32 v14, 0
	v_mov_b32_e32 v9, 0
	s_and_not1_b32 vcc_lo, exec_lo, s2
	s_cbranch_vccz .LBB230_149
.LBB230_152:
	v_cmp_ne_u32_e32 vcc_lo, 1, v12
	v_add_nc_u32_e32 v16, 0x200, v0
	s_cbranch_vccnz .LBB230_158
; %bb.153:
	s_cmp_lg_u32 s26, 0
	s_mov_b32 s2, 0
	s_cbranch_scc0 .LBB230_162
; %bb.154:
	s_min_u32 s3, s27, 15
	v_dual_mov_b32 v13, 0 :: v_dual_mov_b32 v19, v16
	v_dual_mov_b32 v18, 0 :: v_dual_mov_b32 v17, 0
	s_add_co_i32 s4, s3, 1
	s_mov_b64 s[0:1], 0xffffffffffffffe8
	s_and_b32 s4, s4, 30
	s_add_nc_u64 s[0:1], s[20:21], s[0:1]
.LBB230_155:                            ; =>This Inner Loop Header: Depth=1
	s_clause 0x1
	s_load_b128 s[8:11], s[0:1], 0x1c
	s_load_b64 s[6:7], s[0:1], 0x2c
	s_add_co_i32 s4, s4, -2
	s_delay_alu instid0(SALU_CYCLE_1) | instskip(SKIP_2) | instid1(VALU_DEP_1)
	s_cmp_lg_u32 s4, 0
	s_wait_kmcnt 0x0
	v_mul_hi_u32 v20, s9, v19
	v_add_nc_u32_e32 v20, v19, v20
	s_delay_alu instid0(VALU_DEP_1) | instskip(NEXT) | instid1(VALU_DEP_1)
	v_lshrrev_b32_e32 v20, s10, v20
	v_mul_hi_u32 v21, s6, v20
	v_mul_lo_u32 v22, v20, s8
	s_clause 0x1
	s_load_b128 s[12:15], s[0:1], 0xdc
	s_load_b64 s[8:9], s[0:1], 0xec
	s_wait_xcnt 0x0
	s_add_nc_u64 s[0:1], s[0:1], 24
	s_delay_alu instid0(VALU_DEP_1) | instskip(NEXT) | instid1(VALU_DEP_1)
	v_dual_add_nc_u32 v21, v20, v21 :: v_dual_sub_nc_u32 v22, v19, v22
	v_lshrrev_b32_e32 v19, s7, v21
	s_wait_kmcnt 0x0
	s_delay_alu instid0(VALU_DEP_2) | instskip(NEXT) | instid1(VALU_DEP_2)
	v_mad_u32 v13, v22, s12, v13
	v_mul_lo_u32 v21, v19, s11
	v_mad_u32 v17, v22, s14, v17
	v_mad_u32 v18, v22, s13, v18
	s_delay_alu instid0(VALU_DEP_3) | instskip(NEXT) | instid1(VALU_DEP_1)
	v_sub_nc_u32_e32 v20, v20, v21
	v_mad_u32 v13, v20, s15, v13
	s_delay_alu instid0(VALU_DEP_4) | instskip(NEXT) | instid1(VALU_DEP_4)
	v_mad_u32 v17, v20, s9, v17
	v_mad_u32 v18, v20, s8, v18
	s_cbranch_scc1 .LBB230_155
; %bb.156:
	s_bitcmp1_b32 s3, 0
	s_cselect_b32 s3, -1, 0
	s_delay_alu instid0(SALU_CYCLE_1)
	s_and_b32 vcc_lo, exec_lo, s3
	s_cbranch_vccnz .LBB230_159
; %bb.157:
	s_clause 0x1
	s_load_b96 s[4:6], s[0:1], 0x1c
	s_load_b96 s[8:10], s[0:1], 0xdc
	s_wait_kmcnt 0x0
	v_mul_hi_u32 v20, s5, v19
	s_delay_alu instid0(VALU_DEP_1) | instskip(NEXT) | instid1(VALU_DEP_1)
	v_add_nc_u32_e32 v20, v19, v20
	v_lshrrev_b32_e32 v20, s6, v20
	s_delay_alu instid0(VALU_DEP_1) | instskip(NEXT) | instid1(VALU_DEP_1)
	v_mul_lo_u32 v20, v20, s4
	v_sub_nc_u32_e32 v19, v19, v20
	s_delay_alu instid0(VALU_DEP_1)
	v_mad_u32 v13, v19, s8, v13
	v_mad_u32 v18, v19, s9, v18
	;; [unrolled: 1-line block ×3, first 2 shown]
	s_and_not1_b32 vcc_lo, exec_lo, s2
	s_cbranch_vccz .LBB230_160
	s_branch .LBB230_163
.LBB230_158:
	s_mov_b32 s2, -1
                                        ; implicit-def: $vgpr17
                                        ; implicit-def: $vgpr18
                                        ; implicit-def: $vgpr13
.LBB230_159:
	s_delay_alu instid0(SALU_CYCLE_1)
	s_and_not1_b32 vcc_lo, exec_lo, s2
	s_cbranch_vccnz .LBB230_163
.LBB230_160:
	s_clause 0x1
	s_load_b96 s[0:2], s[20:21], 0x4
	s_load_b96 s[4:6], s[20:21], 0xc4
	s_cmp_lt_u32 s26, 2
	s_wait_kmcnt 0x0
	v_mul_hi_u32 v13, s1, v16
	s_delay_alu instid0(VALU_DEP_1) | instskip(NEXT) | instid1(VALU_DEP_1)
	v_add_nc_u32_e32 v13, v16, v13
	v_lshrrev_b32_e32 v19, s2, v13
	s_delay_alu instid0(VALU_DEP_1) | instskip(NEXT) | instid1(VALU_DEP_1)
	v_mul_lo_u32 v13, v19, s0
	v_sub_nc_u32_e32 v16, v16, v13
	s_delay_alu instid0(VALU_DEP_1)
	v_mul_lo_u32 v13, v16, s4
	v_mul_lo_u32 v17, v16, s6
	;; [unrolled: 1-line block ×3, first 2 shown]
	s_cbranch_scc1 .LBB230_163
; %bb.161:
	s_clause 0x1
	s_load_b96 s[0:2], s[20:21], 0x10
	s_load_b96 s[4:6], s[20:21], 0xd0
	s_wait_kmcnt 0x0
	v_mul_hi_u32 v16, s1, v19
	s_delay_alu instid0(VALU_DEP_1) | instskip(NEXT) | instid1(VALU_DEP_1)
	v_add_nc_u32_e32 v16, v19, v16
	v_lshrrev_b32_e32 v16, s2, v16
	s_delay_alu instid0(VALU_DEP_1) | instskip(NEXT) | instid1(VALU_DEP_1)
	v_mul_lo_u32 v16, v16, s0
	v_sub_nc_u32_e32 v16, v19, v16
	s_delay_alu instid0(VALU_DEP_1)
	v_mad_u32 v13, v16, s4, v13
	v_mad_u32 v18, v16, s5, v18
	;; [unrolled: 1-line block ×3, first 2 shown]
	s_branch .LBB230_163
.LBB230_162:
	v_dual_mov_b32 v17, 0 :: v_dual_mov_b32 v18, 0
	v_mov_b32_e32 v13, 0
	s_and_not1_b32 vcc_lo, exec_lo, s2
	s_cbranch_vccz .LBB230_160
.LBB230_163:
	v_cmp_ne_u32_e32 vcc_lo, 1, v12
	v_add_nc_u32_e32 v21, 0x280, v0
	s_cbranch_vccnz .LBB230_169
; %bb.164:
	s_cmp_lg_u32 s26, 0
	s_mov_b32 s2, 0
	s_cbranch_scc0 .LBB230_173
; %bb.165:
	s_min_u32 s3, s27, 15
	v_dual_mov_b32 v16, 0 :: v_dual_mov_b32 v22, v21
	v_dual_mov_b32 v20, 0 :: v_dual_mov_b32 v19, 0
	s_add_co_i32 s4, s3, 1
	s_mov_b64 s[0:1], 0xffffffffffffffe8
	s_and_b32 s4, s4, 30
	s_add_nc_u64 s[0:1], s[20:21], s[0:1]
.LBB230_166:                            ; =>This Inner Loop Header: Depth=1
	s_clause 0x1
	s_load_b128 s[8:11], s[0:1], 0x1c
	s_load_b64 s[6:7], s[0:1], 0x2c
	s_add_co_i32 s4, s4, -2
	s_delay_alu instid0(SALU_CYCLE_1) | instskip(SKIP_2) | instid1(VALU_DEP_1)
	s_cmp_lg_u32 s4, 0
	s_wait_kmcnt 0x0
	v_mul_hi_u32 v23, s9, v22
	v_add_nc_u32_e32 v23, v22, v23
	s_delay_alu instid0(VALU_DEP_1) | instskip(NEXT) | instid1(VALU_DEP_1)
	v_lshrrev_b32_e32 v23, s10, v23
	v_mul_hi_u32 v24, s6, v23
	v_mul_lo_u32 v25, v23, s8
	s_clause 0x1
	s_load_b128 s[12:15], s[0:1], 0xdc
	s_load_b64 s[8:9], s[0:1], 0xec
	s_wait_xcnt 0x0
	s_add_nc_u64 s[0:1], s[0:1], 24
	s_delay_alu instid0(VALU_DEP_1) | instskip(NEXT) | instid1(VALU_DEP_1)
	v_dual_add_nc_u32 v24, v23, v24 :: v_dual_sub_nc_u32 v25, v22, v25
	v_lshrrev_b32_e32 v22, s7, v24
	s_wait_kmcnt 0x0
	s_delay_alu instid0(VALU_DEP_2) | instskip(NEXT) | instid1(VALU_DEP_2)
	v_mad_u32 v16, v25, s12, v16
	v_mul_lo_u32 v24, v22, s11
	v_mad_u32 v19, v25, s14, v19
	v_mad_u32 v20, v25, s13, v20
	s_delay_alu instid0(VALU_DEP_3) | instskip(NEXT) | instid1(VALU_DEP_1)
	v_sub_nc_u32_e32 v23, v23, v24
	v_mad_u32 v16, v23, s15, v16
	s_delay_alu instid0(VALU_DEP_4) | instskip(NEXT) | instid1(VALU_DEP_4)
	v_mad_u32 v19, v23, s9, v19
	v_mad_u32 v20, v23, s8, v20
	s_cbranch_scc1 .LBB230_166
; %bb.167:
	s_bitcmp1_b32 s3, 0
	s_cselect_b32 s3, -1, 0
	s_delay_alu instid0(SALU_CYCLE_1)
	s_and_b32 vcc_lo, exec_lo, s3
	s_cbranch_vccnz .LBB230_170
; %bb.168:
	s_clause 0x1
	s_load_b96 s[4:6], s[0:1], 0x1c
	s_load_b96 s[8:10], s[0:1], 0xdc
	s_wait_kmcnt 0x0
	v_mul_hi_u32 v23, s5, v22
	s_delay_alu instid0(VALU_DEP_1) | instskip(NEXT) | instid1(VALU_DEP_1)
	v_add_nc_u32_e32 v23, v22, v23
	v_lshrrev_b32_e32 v23, s6, v23
	s_delay_alu instid0(VALU_DEP_1) | instskip(NEXT) | instid1(VALU_DEP_1)
	v_mul_lo_u32 v23, v23, s4
	v_sub_nc_u32_e32 v22, v22, v23
	s_delay_alu instid0(VALU_DEP_1)
	v_mad_u32 v16, v22, s8, v16
	v_mad_u32 v20, v22, s9, v20
	;; [unrolled: 1-line block ×3, first 2 shown]
	s_and_not1_b32 vcc_lo, exec_lo, s2
	s_cbranch_vccz .LBB230_171
	s_branch .LBB230_174
.LBB230_169:
	s_mov_b32 s2, -1
                                        ; implicit-def: $vgpr19
                                        ; implicit-def: $vgpr20
                                        ; implicit-def: $vgpr16
.LBB230_170:
	s_delay_alu instid0(SALU_CYCLE_1)
	s_and_not1_b32 vcc_lo, exec_lo, s2
	s_cbranch_vccnz .LBB230_174
.LBB230_171:
	s_clause 0x1
	s_load_b96 s[0:2], s[20:21], 0x4
	s_load_b96 s[4:6], s[20:21], 0xc4
	s_cmp_lt_u32 s26, 2
	s_wait_kmcnt 0x0
	v_mul_hi_u32 v16, s1, v21
	s_delay_alu instid0(VALU_DEP_1) | instskip(NEXT) | instid1(VALU_DEP_1)
	v_add_nc_u32_e32 v16, v21, v16
	v_lshrrev_b32_e32 v22, s2, v16
	s_delay_alu instid0(VALU_DEP_1) | instskip(NEXT) | instid1(VALU_DEP_1)
	v_mul_lo_u32 v16, v22, s0
	v_sub_nc_u32_e32 v20, v21, v16
	s_delay_alu instid0(VALU_DEP_1)
	v_mul_lo_u32 v16, v20, s4
	v_mul_lo_u32 v19, v20, s6
	;; [unrolled: 1-line block ×3, first 2 shown]
	s_cbranch_scc1 .LBB230_174
; %bb.172:
	s_clause 0x1
	s_load_b96 s[0:2], s[20:21], 0x10
	s_load_b96 s[4:6], s[20:21], 0xd0
	s_wait_kmcnt 0x0
	v_mul_hi_u32 v21, s1, v22
	s_delay_alu instid0(VALU_DEP_1) | instskip(NEXT) | instid1(VALU_DEP_1)
	v_add_nc_u32_e32 v21, v22, v21
	v_lshrrev_b32_e32 v21, s2, v21
	s_delay_alu instid0(VALU_DEP_1) | instskip(NEXT) | instid1(VALU_DEP_1)
	v_mul_lo_u32 v21, v21, s0
	v_sub_nc_u32_e32 v21, v22, v21
	s_delay_alu instid0(VALU_DEP_1)
	v_mad_u32 v16, v21, s4, v16
	v_mad_u32 v20, v21, s5, v20
	;; [unrolled: 1-line block ×3, first 2 shown]
	s_branch .LBB230_174
.LBB230_173:
	v_dual_mov_b32 v19, 0 :: v_dual_mov_b32 v20, 0
	v_mov_b32_e32 v16, 0
	s_and_not1_b32 vcc_lo, exec_lo, s2
	s_cbranch_vccz .LBB230_171
.LBB230_174:
	v_cmp_ne_u32_e32 vcc_lo, 1, v12
	v_add_nc_u32_e32 v23, 0x300, v0
	s_cbranch_vccnz .LBB230_180
; %bb.175:
	s_cmp_lg_u32 s26, 0
	s_mov_b32 s2, 0
	s_cbranch_scc0 .LBB230_184
; %bb.176:
	s_min_u32 s3, s27, 15
	v_dual_mov_b32 v0, 0 :: v_dual_mov_b32 v24, v23
	v_dual_mov_b32 v21, 0 :: v_dual_mov_b32 v22, 0
	s_add_co_i32 s4, s3, 1
	s_mov_b64 s[0:1], 0xffffffffffffffe8
	s_and_b32 s4, s4, 30
	s_add_nc_u64 s[0:1], s[20:21], s[0:1]
.LBB230_177:                            ; =>This Inner Loop Header: Depth=1
	s_clause 0x1
	s_load_b128 s[8:11], s[0:1], 0x1c
	s_load_b64 s[6:7], s[0:1], 0x2c
	s_add_co_i32 s4, s4, -2
	s_delay_alu instid0(SALU_CYCLE_1) | instskip(SKIP_2) | instid1(VALU_DEP_1)
	s_cmp_lg_u32 s4, 0
	s_wait_kmcnt 0x0
	v_mul_hi_u32 v25, s9, v24
	v_add_nc_u32_e32 v25, v24, v25
	s_delay_alu instid0(VALU_DEP_1) | instskip(NEXT) | instid1(VALU_DEP_1)
	v_lshrrev_b32_e32 v25, s10, v25
	v_mul_hi_u32 v26, s6, v25
	v_mul_lo_u32 v27, v25, s8
	s_clause 0x1
	s_load_b128 s[12:15], s[0:1], 0xdc
	s_load_b64 s[8:9], s[0:1], 0xec
	s_wait_xcnt 0x0
	s_add_nc_u64 s[0:1], s[0:1], 24
	s_delay_alu instid0(VALU_DEP_1) | instskip(NEXT) | instid1(VALU_DEP_1)
	v_dual_add_nc_u32 v26, v25, v26 :: v_dual_sub_nc_u32 v27, v24, v27
	v_lshrrev_b32_e32 v24, s7, v26
	s_wait_kmcnt 0x0
	s_delay_alu instid0(VALU_DEP_2) | instskip(NEXT) | instid1(VALU_DEP_2)
	v_mad_u32 v0, v27, s12, v0
	v_mul_lo_u32 v26, v24, s11
	v_mad_u32 v22, v27, s14, v22
	v_mad_u32 v21, v27, s13, v21
	s_delay_alu instid0(VALU_DEP_3) | instskip(NEXT) | instid1(VALU_DEP_1)
	v_sub_nc_u32_e32 v25, v25, v26
	v_mad_u32 v0, v25, s15, v0
	s_delay_alu instid0(VALU_DEP_4) | instskip(NEXT) | instid1(VALU_DEP_4)
	v_mad_u32 v22, v25, s9, v22
	v_mad_u32 v21, v25, s8, v21
	s_cbranch_scc1 .LBB230_177
; %bb.178:
	s_bitcmp1_b32 s3, 0
	s_cselect_b32 s3, -1, 0
	s_delay_alu instid0(SALU_CYCLE_1)
	s_and_b32 vcc_lo, exec_lo, s3
	s_cbranch_vccnz .LBB230_181
; %bb.179:
	s_clause 0x1
	s_load_b96 s[4:6], s[0:1], 0x1c
	s_load_b96 s[8:10], s[0:1], 0xdc
	s_wait_kmcnt 0x0
	v_mul_hi_u32 v25, s5, v24
	s_delay_alu instid0(VALU_DEP_1) | instskip(NEXT) | instid1(VALU_DEP_1)
	v_add_nc_u32_e32 v25, v24, v25
	v_lshrrev_b32_e32 v25, s6, v25
	s_delay_alu instid0(VALU_DEP_1) | instskip(NEXT) | instid1(VALU_DEP_1)
	v_mul_lo_u32 v25, v25, s4
	v_sub_nc_u32_e32 v24, v24, v25
	s_delay_alu instid0(VALU_DEP_1)
	v_mad_u32 v0, v24, s8, v0
	v_mad_u32 v21, v24, s9, v21
	;; [unrolled: 1-line block ×3, first 2 shown]
	s_and_not1_b32 vcc_lo, exec_lo, s2
	s_cbranch_vccz .LBB230_182
	s_branch .LBB230_185
.LBB230_180:
	s_mov_b32 s2, -1
                                        ; implicit-def: $vgpr22
                                        ; implicit-def: $vgpr21
                                        ; implicit-def: $vgpr0
.LBB230_181:
	s_delay_alu instid0(SALU_CYCLE_1)
	s_and_not1_b32 vcc_lo, exec_lo, s2
	s_cbranch_vccnz .LBB230_185
.LBB230_182:
	s_clause 0x1
	s_load_b96 s[0:2], s[20:21], 0x4
	s_load_b96 s[4:6], s[20:21], 0xc4
	s_cmp_lt_u32 s26, 2
	s_wait_kmcnt 0x0
	v_mul_hi_u32 v0, s1, v23
	s_delay_alu instid0(VALU_DEP_1) | instskip(NEXT) | instid1(VALU_DEP_1)
	v_add_nc_u32_e32 v0, v23, v0
	v_lshrrev_b32_e32 v24, s2, v0
	s_delay_alu instid0(VALU_DEP_1) | instskip(NEXT) | instid1(VALU_DEP_1)
	v_mul_lo_u32 v0, v24, s0
	v_sub_nc_u32_e32 v21, v23, v0
	s_delay_alu instid0(VALU_DEP_1)
	v_mul_lo_u32 v0, v21, s4
	v_mul_lo_u32 v22, v21, s6
	;; [unrolled: 1-line block ×3, first 2 shown]
	s_cbranch_scc1 .LBB230_185
; %bb.183:
	s_clause 0x1
	s_load_b96 s[0:2], s[20:21], 0x10
	s_load_b96 s[4:6], s[20:21], 0xd0
	s_wait_kmcnt 0x0
	v_mul_hi_u32 v23, s1, v24
	s_delay_alu instid0(VALU_DEP_1) | instskip(NEXT) | instid1(VALU_DEP_1)
	v_add_nc_u32_e32 v23, v24, v23
	v_lshrrev_b32_e32 v23, s2, v23
	s_delay_alu instid0(VALU_DEP_1) | instskip(NEXT) | instid1(VALU_DEP_1)
	v_mul_lo_u32 v23, v23, s0
	v_sub_nc_u32_e32 v23, v24, v23
	s_delay_alu instid0(VALU_DEP_1)
	v_mad_u32 v0, v23, s4, v0
	v_mad_u32 v21, v23, s5, v21
	;; [unrolled: 1-line block ×3, first 2 shown]
	s_branch .LBB230_185
.LBB230_184:
	v_dual_mov_b32 v22, 0 :: v_dual_mov_b32 v21, 0
	v_mov_b32_e32 v0, 0
	s_and_not1_b32 vcc_lo, exec_lo, s2
	s_cbranch_vccz .LBB230_182
.LBB230_185:
	v_cmp_ne_u32_e32 vcc_lo, 1, v12
	s_cbranch_vccnz .LBB230_191
; %bb.186:
	s_cmp_lg_u32 s26, 0
	s_mov_b32 s2, 0
	s_cbranch_scc0 .LBB230_195
; %bb.187:
	s_min_u32 s3, s27, 15
	v_dual_mov_b32 v12, 0 :: v_dual_mov_b32 v25, v8
	v_dual_mov_b32 v24, 0 :: v_dual_mov_b32 v23, 0
	s_add_co_i32 s4, s3, 1
	s_mov_b64 s[0:1], 0xffffffffffffffe8
	s_and_b32 s4, s4, 30
	s_add_nc_u64 s[0:1], s[20:21], s[0:1]
.LBB230_188:                            ; =>This Inner Loop Header: Depth=1
	s_clause 0x1
	s_load_b128 s[8:11], s[0:1], 0x1c
	s_load_b64 s[6:7], s[0:1], 0x2c
	s_add_co_i32 s4, s4, -2
	s_delay_alu instid0(SALU_CYCLE_1) | instskip(SKIP_2) | instid1(VALU_DEP_1)
	s_cmp_lg_u32 s4, 0
	s_wait_kmcnt 0x0
	v_mul_hi_u32 v26, s9, v25
	v_add_nc_u32_e32 v26, v25, v26
	s_delay_alu instid0(VALU_DEP_1) | instskip(NEXT) | instid1(VALU_DEP_1)
	v_lshrrev_b32_e32 v26, s10, v26
	v_mul_hi_u32 v27, s6, v26
	v_mul_lo_u32 v28, v26, s8
	s_clause 0x1
	s_load_b128 s[12:15], s[0:1], 0xdc
	s_load_b64 s[8:9], s[0:1], 0xec
	s_wait_xcnt 0x0
	s_add_nc_u64 s[0:1], s[0:1], 24
	s_delay_alu instid0(VALU_DEP_1) | instskip(NEXT) | instid1(VALU_DEP_1)
	v_dual_add_nc_u32 v27, v26, v27 :: v_dual_sub_nc_u32 v28, v25, v28
	v_lshrrev_b32_e32 v25, s7, v27
	s_wait_kmcnt 0x0
	s_delay_alu instid0(VALU_DEP_2) | instskip(NEXT) | instid1(VALU_DEP_2)
	v_mad_u32 v12, v28, s12, v12
	v_mul_lo_u32 v27, v25, s11
	v_mad_u32 v23, v28, s14, v23
	v_mad_u32 v24, v28, s13, v24
	s_delay_alu instid0(VALU_DEP_3) | instskip(NEXT) | instid1(VALU_DEP_1)
	v_sub_nc_u32_e32 v26, v26, v27
	v_mad_u32 v12, v26, s15, v12
	s_delay_alu instid0(VALU_DEP_4) | instskip(NEXT) | instid1(VALU_DEP_4)
	v_mad_u32 v23, v26, s9, v23
	v_mad_u32 v24, v26, s8, v24
	s_cbranch_scc1 .LBB230_188
; %bb.189:
	s_bitcmp1_b32 s3, 0
	s_cselect_b32 s3, -1, 0
	s_delay_alu instid0(SALU_CYCLE_1)
	s_and_b32 vcc_lo, exec_lo, s3
	s_cbranch_vccnz .LBB230_192
; %bb.190:
	s_clause 0x1
	s_load_b96 s[4:6], s[0:1], 0x1c
	s_load_b96 s[8:10], s[0:1], 0xdc
	s_wait_kmcnt 0x0
	v_mul_hi_u32 v26, s5, v25
	s_delay_alu instid0(VALU_DEP_1) | instskip(NEXT) | instid1(VALU_DEP_1)
	v_add_nc_u32_e32 v26, v25, v26
	v_lshrrev_b32_e32 v26, s6, v26
	s_delay_alu instid0(VALU_DEP_1) | instskip(NEXT) | instid1(VALU_DEP_1)
	v_mul_lo_u32 v26, v26, s4
	v_sub_nc_u32_e32 v25, v25, v26
	s_delay_alu instid0(VALU_DEP_1)
	v_mad_u32 v12, v25, s8, v12
	v_mad_u32 v24, v25, s9, v24
	;; [unrolled: 1-line block ×3, first 2 shown]
	s_and_not1_b32 vcc_lo, exec_lo, s2
	s_cbranch_vccz .LBB230_193
	s_branch .LBB230_196
.LBB230_191:
	s_mov_b32 s2, -1
                                        ; implicit-def: $vgpr23
                                        ; implicit-def: $vgpr24
                                        ; implicit-def: $vgpr12
.LBB230_192:
	s_delay_alu instid0(SALU_CYCLE_1)
	s_and_not1_b32 vcc_lo, exec_lo, s2
	s_cbranch_vccnz .LBB230_196
.LBB230_193:
	s_clause 0x1
	s_load_b96 s[0:2], s[20:21], 0x4
	s_load_b96 s[4:6], s[20:21], 0xc4
	s_cmp_lt_u32 s26, 2
	s_wait_kmcnt 0x0
	v_mul_hi_u32 v12, s1, v8
	s_delay_alu instid0(VALU_DEP_1) | instskip(NEXT) | instid1(VALU_DEP_1)
	v_add_nc_u32_e32 v12, v8, v12
	v_lshrrev_b32_e32 v25, s2, v12
	s_delay_alu instid0(VALU_DEP_1) | instskip(NEXT) | instid1(VALU_DEP_1)
	v_mul_lo_u32 v12, v25, s0
	v_sub_nc_u32_e32 v8, v8, v12
	s_delay_alu instid0(VALU_DEP_1)
	v_mul_lo_u32 v12, v8, s4
	v_mul_lo_u32 v23, v8, s6
	;; [unrolled: 1-line block ×3, first 2 shown]
	s_cbranch_scc1 .LBB230_196
; %bb.194:
	s_clause 0x1
	s_load_b96 s[0:2], s[20:21], 0x10
	s_load_b96 s[4:6], s[20:21], 0xd0
	s_wait_kmcnt 0x0
	v_mul_hi_u32 v8, s1, v25
	s_delay_alu instid0(VALU_DEP_1) | instskip(NEXT) | instid1(VALU_DEP_1)
	v_add_nc_u32_e32 v8, v25, v8
	v_lshrrev_b32_e32 v8, s2, v8
	s_delay_alu instid0(VALU_DEP_1) | instskip(NEXT) | instid1(VALU_DEP_1)
	v_mul_lo_u32 v8, v8, s0
	v_sub_nc_u32_e32 v8, v25, v8
	s_delay_alu instid0(VALU_DEP_1)
	v_mad_u32 v12, v8, s4, v12
	v_mad_u32 v24, v8, s5, v24
	;; [unrolled: 1-line block ×3, first 2 shown]
	s_branch .LBB230_196
.LBB230_195:
	v_dual_mov_b32 v23, 0 :: v_dual_mov_b32 v24, 0
	v_mov_b32_e32 v12, 0
	s_and_not1_b32 vcc_lo, exec_lo, s2
	s_cbranch_vccz .LBB230_193
.LBB230_196:
	s_clause 0x1
	s_load_b128 s[4:7], s[20:21], 0x188
	s_load_b96 s[0:2], s[20:21], 0x198
	s_wait_kmcnt 0x0
	global_load_u8 v8, v3, s[6:7]
	global_load_u8 v25, v4, s[0:1]
	;; [unrolled: 1-line block ×15, first 2 shown]
                                        ; kill: killed $vgpr22
                                        ; kill: killed $vgpr18
                                        ; kill: killed $vgpr15
                                        ; kill: killed $vgpr7
                                        ; kill: killed $vgpr20
                                        ; kill: killed $vgpr4
                                        ; kill: killed $vgpr17
                                        ; kill: killed $vgpr11
                                        ; kill: killed $sgpr6_sgpr7
                                        ; kill: killed $vgpr21
                                        ; kill: killed $vgpr6
                                        ; kill: killed $vgpr19
                                        ; kill: killed $vgpr14
                                        ; kill: killed $vgpr24
                                        ; kill: killed $vgpr10
                                        ; kill: killed $vgpr3
	global_load_u8 v3, v23, s[0:1]
	s_wait_xcnt 0x0
	s_movk_i32 s1, 0x7f00
	s_mov_b32 s6, 0x7800000
	s_cmp_eq_u32 s2, 0
	s_wait_loadcnt 0xe
	v_perm_b32 v4, v25, v8, 0x5040100
	v_dual_lshlrev_b32 v8, 25, v8 :: v_dual_lshlrev_b32 v17, 25, v25
	s_wait_loadcnt 0xc
	v_perm_b32 v6, v27, v26, 0x5040100
	s_wait_loadcnt 0xa
	v_perm_b32 v7, v29, v28, 0x5040100
	v_pk_lshlrev_b16 v4, 8, v4 op_sel_hi:[0,1]
	v_dual_lshlrev_b32 v24, 25, v26 :: v_dual_lshlrev_b32 v25, 25, v27
	v_dual_lshlrev_b32 v26, 25, v28 :: v_dual_lshlrev_b32 v27, 25, v29
	v_dual_lshrrev_b32 v19, 4, v17 :: v_dual_lshrrev_b32 v20, 4, v8
	v_pk_lshlrev_b16 v21, 8, v6 op_sel_hi:[0,1]
	v_pk_lshlrev_b16 v28, 8, v7 op_sel_hi:[0,1]
	s_wait_loadcnt 0x8
	v_perm_b32 v10, v31, v30, 0x5040100
	v_dual_lshlrev_b32 v39, 25, v30 :: v_dual_lshlrev_b32 v40, 25, v31
	s_wait_loadcnt 0x6
	v_perm_b32 v11, v33, v32, 0x5040100
	v_dual_lshlrev_b32 v32, 25, v32 :: v_dual_lshlrev_b32 v33, 25, v33
	v_or_b32_e32 v6, 0x70000000, v20
	v_bitop3_b32 v20, v4, s1, 0x7f007f00 bitop3:0x80
	v_dual_ashrrev_i32 v55, 16, v4 :: v_dual_ashrrev_i32 v58, 16, v21
	v_and_b32_e32 v56, 0x7f007f00, v21
	v_bitop3_b32 v57, v21, s1, 0x7f007f00 bitop3:0x80
	v_bfe_i32 v59, v21, 0, 16
	s_wait_loadcnt 0x4
	v_perm_b32 v14, v35, v34, 0x5040100
	s_wait_loadcnt 0x2
	v_perm_b32 v15, v37, v36, 0x5040100
	v_dual_lshrrev_b32 v22, 4, v25 :: v_dual_lshrrev_b32 v23, 4, v24
	s_wait_loadcnt 0x0
	v_perm_b32 v18, v3, v38, 0x5040100
	v_dual_lshrrev_b32 v29, 4, v27 :: v_dual_lshrrev_b32 v30, 4, v26
	v_pk_lshlrev_b16 v31, 8, v10 op_sel_hi:[0,1]
	v_dual_lshrrev_b32 v41, 4, v40 :: v_dual_lshrrev_b32 v42, 4, v39
	s_delay_alu instid0(VALU_DEP_4) | instskip(SKIP_4) | instid1(VALU_DEP_4)
	v_pk_lshlrev_b16 v52, 8, v18 op_sel_hi:[0,1]
	v_and_b32_e32 v18, 0x7f007f00, v4
	v_dual_ashrrev_i32 v60, 16, v28 :: v_dual_lshrrev_b32 v44, 4, v33
	v_lshrrev_b32_e32 v45, 4, v32
	v_or_b32_e32 v7, 0x70000000, v19
	v_dual_lshrrev_b32 v21, 16, v18 :: v_dual_bitop2_b32 v20, 0.5, v20 bitop3:0x54
	v_pk_lshlrev_b16 v43, 8, v11 op_sel_hi:[0,1]
	v_pk_lshlrev_b16 v46, 8, v14 op_sel_hi:[0,1]
	;; [unrolled: 1-line block ×3, first 2 shown]
	s_delay_alu instid0(VALU_DEP_4)
	v_or_b32_e32 v21, 0.5, v21
	v_or_b32_e32 v11, 0x70000000, v22
	v_or_b32_e32 v10, 0x70000000, v23
	v_or_b32_e32 v15, 0x70000000, v29
	v_or_b32_e32 v14, 0x70000000, v30
	v_and_b32_e32 v29, 0x7f007f00, v28
	v_bitop3_b32 v30, v28, s1, 0x7f007f00 bitop3:0x80
	v_bfe_i32 v61, v28, 0, 16
	v_or_b32_e32 v19, 0x70000000, v41
	v_or_b32_e32 v18, 0x70000000, v42
	v_and_b32_e32 v28, 0x7f007f00, v31
	v_bitop3_b32 v41, v31, s1, 0x7f007f00 bitop3:0x80
	v_or_b32_e32 v23, 0x70000000, v44
	v_ashrrev_i32_e32 v42, 16, v31
	v_bfe_i32 v44, v31, 0, 16
	v_pk_mul_f32 v[6:7], v[6:7], s[6:7] op_sel_hi:[1,0]
	v_cmp_gt_u32_e32 vcc_lo, 0x8000000, v8
	v_lshrrev_b32_e32 v31, 16, v56
	v_pk_add_f32 v[20:21], v[20:21], -0.5 op_sel_hi:[1,0]
	v_cmp_gt_u32_e64 s0, 0x8000000, v17
	v_dual_lshlrev_b32 v34, 25, v34 :: v_dual_lshlrev_b32 v35, 25, v35
	v_or_b32_e32 v22, 0x70000000, v45
	s_delay_alu instid0(VALU_DEP_3)
	v_dual_cndmask_b32 v45, v6, v20, vcc_lo :: v_dual_cndmask_b32 v17, v7, v21, s0
	v_dual_ashrrev_i32 v62, 16, v43 :: v_dual_bitop2_b32 v6, 0.5, v57 bitop3:0x54
	v_pk_mul_f32 v[10:11], v[10:11], s[6:7] op_sel_hi:[1,0]
	v_cmp_gt_u32_e32 vcc_lo, 0x8000000, v24
	v_or_b32_e32 v7, 0.5, v31
	v_dual_lshrrev_b32 v47, 4, v35 :: v_dual_lshrrev_b32 v48, 4, v34
	v_cmp_gt_u32_e64 s0, 0x8000000, v25
	v_dual_lshlrev_b32 v36, 25, v36 :: v_dual_lshlrev_b32 v37, 25, v37
	s_delay_alu instid0(VALU_DEP_4) | instskip(NEXT) | instid1(VALU_DEP_4)
	v_pk_add_f32 v[6:7], v[6:7], -0.5 op_sel_hi:[1,0]
	v_or_b32_e32 v20, 0x70000000, v48
	v_dual_lshlrev_b32 v38, 25, v38 :: v_dual_lshlrev_b32 v3, 25, v3
	s_delay_alu instid0(VALU_DEP_4) | instskip(NEXT) | instid1(VALU_DEP_4)
	v_dual_lshrrev_b32 v50, 4, v37 :: v_dual_lshrrev_b32 v51, 4, v36
	v_dual_cndmask_b32 v48, v11, v7, s0 :: v_dual_ashrrev_i32 v63, 16, v46
	v_dual_lshrrev_b32 v11, 16, v29 :: v_dual_cndmask_b32 v57, v10, v6, vcc_lo
	s_delay_alu instid0(VALU_DEP_4) | instskip(NEXT) | instid1(VALU_DEP_2)
	v_dual_lshrrev_b32 v53, 4, v3 :: v_dual_bitop2_b32 v10, 0.5, v30 bitop3:0x54
	v_dual_lshrrev_b32 v54, 4, v38 :: v_dual_bitop2_b32 v11, 0.5, v11 bitop3:0x54
	v_and_b32_e32 v8, 0x7f007f00, v43
	v_or_b32_e32 v7, 0x70000000, v50
	v_pk_mul_f32 v[14:15], v[14:15], s[6:7] op_sel_hi:[1,0]
	v_cmp_gt_u32_e32 vcc_lo, 0x8000000, v26
	v_ashrrev_i32_e32 v50, 16, v49
	v_pk_add_f32 v[10:11], v[10:11], -0.5 op_sel_hi:[1,0]
	v_cmp_gt_u32_e64 s0, 0x8000000, v27
	v_lshrrev_b32_e32 v26, 16, v28
	v_bitop3_b32 v56, v43, s1, 0x7f007f00 bitop3:0x80
	v_and_b32_e32 v31, 0x7f007f00, v46
	v_or_b32_e32 v6, 0x70000000, v51
	v_or_b32_e32 v25, 0x70000000, v53
	v_dual_cndmask_b32 v51, v15, v11, s0 :: v_dual_cndmask_b32 v53, v14, v10, vcc_lo
	v_dual_lshrrev_b32 v8, 16, v8 :: v_dual_bitop2_b32 v10, 0.5, v41 bitop3:0x54
	v_or_b32_e32 v11, 0.5, v26
	v_and_b32_e32 v29, 0x7f007f00, v49
	v_bitop3_b32 v30, v49, s1, 0x7f007f00 bitop3:0x80
	v_and_b32_e32 v27, 0x7f007f00, v52
	v_dual_lshrrev_b32 v28, 16, v31 :: v_dual_bitop2_b32 v14, 0.5, v56 bitop3:0x54
	v_pk_mul_f32 v[18:19], v[18:19], s[6:7] op_sel_hi:[1,0]
	v_pk_add_f32 v[10:11], v[10:11], -0.5 op_sel_hi:[1,0]
	v_cmp_gt_u32_e32 vcc_lo, 0x8000000, v40
	v_dual_lshrrev_b32 v29, 16, v29 :: v_dual_bitop2_b32 v15, 0.5, v8 bitop3:0x54
	v_dual_lshrrev_b32 v8, 16, v27 :: v_dual_bitop2_b32 v27, 0.5, v28 bitop3:0x54
	s_delay_alu instid0(VALU_DEP_4)
	v_dual_cndmask_b32 v11, v19, v11, vcc_lo :: v_dual_bitop2_b32 v28, 0.5, v30 bitop3:0x54
	v_cmp_gt_u32_e32 vcc_lo, 0x8000000, v39
	v_or_b32_e32 v21, 0x70000000, v47
	v_bitop3_b32 v47, v46, s1, 0x7f007f00 bitop3:0x80
	v_or_b32_e32 v24, 0x70000000, v54
	v_bitop3_b32 v54, v52, s1, 0x7f007f00 bitop3:0x80
	v_dual_cndmask_b32 v10, v18, v10, vcc_lo :: v_dual_bitop2_b32 v29, 0.5, v29 bitop3:0x54
	v_pk_mul_f32 v[22:23], v[22:23], s[6:7] op_sel_hi:[1,0]
	v_pk_add_f32 v[14:15], v[14:15], -0.5 op_sel_hi:[1,0]
	v_cmp_gt_u32_e32 vcc_lo, 0x8000000, v33
	v_or_b32_e32 v26, 0.5, v47
	v_or_b32_e32 v30, 0.5, v54
	v_pk_mul_f32 v[20:21], v[20:21], s[6:7] op_sel_hi:[1,0]
	v_pk_mul_f32 v[6:7], v[6:7], s[6:7] op_sel_hi:[1,0]
	v_cndmask_b32_e32 v15, v23, v15, vcc_lo
	v_cmp_gt_u32_e32 vcc_lo, 0x8000000, v32
	v_or_b32_e32 v31, 0.5, v8
	v_ashrrev_i32_e32 v8, 16, v52
	v_pk_add_f32 v[26:27], v[26:27], -0.5 op_sel_hi:[1,0]
	v_pk_add_f32 v[28:29], v[28:29], -0.5 op_sel_hi:[1,0]
	v_cndmask_b32_e32 v14, v22, v14, vcc_lo
	v_cmp_gt_u32_e32 vcc_lo, 0x8000000, v35
	v_bfe_i32 v4, v4, 0, 16
	v_and_b32_e32 v47, 0x80000000, v55
	v_pk_mul_f32 v[24:25], v[24:25], s[6:7] op_sel_hi:[1,0]
	v_pk_add_f32 v[30:31], v[30:31], -0.5 op_sel_hi:[1,0]
	v_cndmask_b32_e32 v18, v21, v27, vcc_lo
	v_cmp_gt_u32_e32 vcc_lo, 0x8000000, v34
	v_and_b32_e32 v4, 0x80000000, v4
	v_bfe_i32 v41, v52, 0, 16
	v_or_b32_e32 v17, v47, v17
	v_and_b32_e32 v52, 0x80000000, v58
	v_cndmask_b32_e32 v19, v20, v26, vcc_lo
	v_cmp_gt_u32_e32 vcc_lo, 0x8000000, v37
	v_or_b32_e32 v4, v4, v45
	v_and_b32_e32 v54, 0x80000000, v59
	v_and_b32_e32 v8, 0x80000000, v8
	;; [unrolled: 1-line block ×3, first 2 shown]
	v_cndmask_b32_e32 v7, v7, v29, vcc_lo
	v_cmp_gt_u32_e32 vcc_lo, 0x8000000, v36
	v_or_b32_e32 v21, v52, v48
	v_or_b32_e32 v22, v54, v57
	v_and_b32_e32 v55, 0x80000000, v60
	v_and_b32_e32 v56, 0x80000000, v61
	v_cndmask_b32_e32 v6, v6, v28, vcc_lo
	v_cmp_gt_u32_e32 vcc_lo, 0x8000000, v3
	v_and_b32_e32 v42, 0x80000000, v42
	v_and_b32_e32 v44, 0x80000000, v44
	v_bfe_i32 v43, v43, 0, 16
	v_and_b32_e32 v58, 0x80000000, v62
	v_cndmask_b32_e32 v3, v25, v31, vcc_lo
	v_cmp_gt_u32_e32 vcc_lo, 0x8000000, v38
	v_or_b32_e32 v11, v42, v11
	v_or_b32_e32 v10, v44, v10
	v_and_b32_e32 v43, 0x80000000, v43
	v_bfe_i32 v46, v46, 0, 16
	v_cndmask_b32_e32 v20, v24, v30, vcc_lo
	v_cmp_eq_f32_e32 vcc_lo, v4, v17
	v_or_b32_e32 v3, v8, v3
	v_or_b32_e32 v24, v56, v53
	;; [unrolled: 1-line block ×4, first 2 shown]
	v_cndmask_b32_e64 v20, 0, 1, vcc_lo
	v_cmp_neq_f32_e32 vcc_lo, v4, v17
	v_and_b32_e32 v59, 0x80000000, v63
	v_and_b32_e32 v46, 0x80000000, v46
	v_bfe_i32 v49, v49, 0, 16
	v_and_b32_e32 v50, 0x80000000, v50
	v_cndmask_b32_e64 v4, 0, 1, vcc_lo
	v_cmp_eq_f32_e32 vcc_lo, v22, v21
	v_or_b32_e32 v18, v59, v18
	v_or_b32_e32 v19, v46, v19
	v_and_b32_e32 v49, 0x80000000, v49
	v_or_b32_e32 v7, v50, v7
	v_cndmask_b32_e64 v17, 0, 1, vcc_lo
	v_cmp_neq_f32_e32 vcc_lo, v22, v21
	s_delay_alu instid0(VALU_DEP_4) | instskip(SKIP_2) | instid1(VALU_DEP_1)
	v_or_b32_e32 v6, v49, v6
	v_cndmask_b32_e64 v21, 0, 1, vcc_lo
	v_or_b32_e32 v23, v55, v51
	v_cmp_eq_f32_e32 vcc_lo, v24, v23
	v_cndmask_b32_e64 v22, 0, 1, vcc_lo
	v_cmp_neq_f32_e32 vcc_lo, v24, v23
	v_cndmask_b32_e64 v23, 0, 1, vcc_lo
	v_cmp_eq_f32_e32 vcc_lo, v10, v11
	v_cndmask_b32_e64 v24, 0, 1, vcc_lo
	v_cmp_neq_f32_e32 vcc_lo, v10, v11
	v_cndmask_b32_e64 v10, 0, 1, vcc_lo
	v_or_b32_e32 v14, v43, v14
	s_delay_alu instid0(VALU_DEP_1)
	v_cmp_eq_f32_e32 vcc_lo, v14, v15
	v_cndmask_b32_e64 v11, 0, 1, vcc_lo
	v_cmp_neq_f32_e32 vcc_lo, v14, v15
	v_cndmask_b32_e64 v14, 0, 1, vcc_lo
	v_cmp_eq_f32_e32 vcc_lo, v19, v18
	v_cndmask_b32_e64 v15, 0, 1, vcc_lo
	v_cmp_neq_f32_e32 vcc_lo, v19, v18
	v_cndmask_b32_e64 v18, 0, 1, vcc_lo
	;; [unrolled: 4-line block ×4, first 2 shown]
	s_cselect_b32 vcc_lo, -1, 0
	s_delay_alu instid0(SALU_CYCLE_1)
	v_dual_cndmask_b32 v4, v4, v20, vcc_lo :: v_dual_cndmask_b32 v8, v21, v17, vcc_lo
	v_dual_cndmask_b32 v17, v23, v22 :: v_dual_cndmask_b32 v10, v10, v24
	v_cndmask_b32_e32 v11, v14, v11, vcc_lo
	v_cndmask_b32_e32 v14, v18, v15, vcc_lo
	;; [unrolled: 1-line block ×3, first 2 shown]
	v_dual_cndmask_b32 v3, v3, v7, vcc_lo :: v_dual_bitop2_b32 v4, 1, v4 bitop3:0x40
	v_and_b32_e32 v7, 1, v8
	v_and_b32_e32 v8, 1, v17
	;; [unrolled: 1-line block ×7, first 2 shown]
	s_clause 0x7
	global_store_b8 v1, v4, s[4:5]
	global_store_b8 v2, v7, s[4:5]
	;; [unrolled: 1-line block ×8, first 2 shown]
	s_endpgm
	.section	.rodata,"a",@progbits
	.p2align	6, 0x0
	.amdhsa_kernel _ZN2at6native32elementwise_kernel_manual_unrollILi128ELi8EZNS0_22gpu_kernel_impl_nocastINS0_13BinaryFunctorIN3c1011Float8_e5m2ES5_bNS0_12_GLOBAL__N_116CompareEqFunctorIS5_EEEEEEvRNS_18TensorIteratorBaseERKT_EUlibE_EEviT1_
		.amdhsa_group_segment_fixed_size 0
		.amdhsa_private_segment_fixed_size 0
		.amdhsa_kernarg_size 432
		.amdhsa_user_sgpr_count 2
		.amdhsa_user_sgpr_dispatch_ptr 0
		.amdhsa_user_sgpr_queue_ptr 0
		.amdhsa_user_sgpr_kernarg_segment_ptr 1
		.amdhsa_user_sgpr_dispatch_id 0
		.amdhsa_user_sgpr_kernarg_preload_length 0
		.amdhsa_user_sgpr_kernarg_preload_offset 0
		.amdhsa_user_sgpr_private_segment_size 0
		.amdhsa_wavefront_size32 1
		.amdhsa_uses_dynamic_stack 0
		.amdhsa_enable_private_segment 0
		.amdhsa_system_sgpr_workgroup_id_x 1
		.amdhsa_system_sgpr_workgroup_id_y 0
		.amdhsa_system_sgpr_workgroup_id_z 0
		.amdhsa_system_sgpr_workgroup_info 0
		.amdhsa_system_vgpr_workitem_id 0
		.amdhsa_next_free_vgpr 64
		.amdhsa_next_free_sgpr 46
		.amdhsa_named_barrier_count 0
		.amdhsa_reserve_vcc 1
		.amdhsa_float_round_mode_32 0
		.amdhsa_float_round_mode_16_64 0
		.amdhsa_float_denorm_mode_32 3
		.amdhsa_float_denorm_mode_16_64 3
		.amdhsa_fp16_overflow 0
		.amdhsa_memory_ordered 1
		.amdhsa_forward_progress 1
		.amdhsa_inst_pref_size 111
		.amdhsa_round_robin_scheduling 0
		.amdhsa_exception_fp_ieee_invalid_op 0
		.amdhsa_exception_fp_denorm_src 0
		.amdhsa_exception_fp_ieee_div_zero 0
		.amdhsa_exception_fp_ieee_overflow 0
		.amdhsa_exception_fp_ieee_underflow 0
		.amdhsa_exception_fp_ieee_inexact 0
		.amdhsa_exception_int_div_zero 0
	.end_amdhsa_kernel
	.section	.text._ZN2at6native32elementwise_kernel_manual_unrollILi128ELi8EZNS0_22gpu_kernel_impl_nocastINS0_13BinaryFunctorIN3c1011Float8_e5m2ES5_bNS0_12_GLOBAL__N_116CompareEqFunctorIS5_EEEEEEvRNS_18TensorIteratorBaseERKT_EUlibE_EEviT1_,"axG",@progbits,_ZN2at6native32elementwise_kernel_manual_unrollILi128ELi8EZNS0_22gpu_kernel_impl_nocastINS0_13BinaryFunctorIN3c1011Float8_e5m2ES5_bNS0_12_GLOBAL__N_116CompareEqFunctorIS5_EEEEEEvRNS_18TensorIteratorBaseERKT_EUlibE_EEviT1_,comdat
.Lfunc_end230:
	.size	_ZN2at6native32elementwise_kernel_manual_unrollILi128ELi8EZNS0_22gpu_kernel_impl_nocastINS0_13BinaryFunctorIN3c1011Float8_e5m2ES5_bNS0_12_GLOBAL__N_116CompareEqFunctorIS5_EEEEEEvRNS_18TensorIteratorBaseERKT_EUlibE_EEviT1_, .Lfunc_end230-_ZN2at6native32elementwise_kernel_manual_unrollILi128ELi8EZNS0_22gpu_kernel_impl_nocastINS0_13BinaryFunctorIN3c1011Float8_e5m2ES5_bNS0_12_GLOBAL__N_116CompareEqFunctorIS5_EEEEEEvRNS_18TensorIteratorBaseERKT_EUlibE_EEviT1_
                                        ; -- End function
	.set _ZN2at6native32elementwise_kernel_manual_unrollILi128ELi8EZNS0_22gpu_kernel_impl_nocastINS0_13BinaryFunctorIN3c1011Float8_e5m2ES5_bNS0_12_GLOBAL__N_116CompareEqFunctorIS5_EEEEEEvRNS_18TensorIteratorBaseERKT_EUlibE_EEviT1_.num_vgpr, 64
	.set _ZN2at6native32elementwise_kernel_manual_unrollILi128ELi8EZNS0_22gpu_kernel_impl_nocastINS0_13BinaryFunctorIN3c1011Float8_e5m2ES5_bNS0_12_GLOBAL__N_116CompareEqFunctorIS5_EEEEEEvRNS_18TensorIteratorBaseERKT_EUlibE_EEviT1_.num_agpr, 0
	.set _ZN2at6native32elementwise_kernel_manual_unrollILi128ELi8EZNS0_22gpu_kernel_impl_nocastINS0_13BinaryFunctorIN3c1011Float8_e5m2ES5_bNS0_12_GLOBAL__N_116CompareEqFunctorIS5_EEEEEEvRNS_18TensorIteratorBaseERKT_EUlibE_EEviT1_.numbered_sgpr, 46
	.set _ZN2at6native32elementwise_kernel_manual_unrollILi128ELi8EZNS0_22gpu_kernel_impl_nocastINS0_13BinaryFunctorIN3c1011Float8_e5m2ES5_bNS0_12_GLOBAL__N_116CompareEqFunctorIS5_EEEEEEvRNS_18TensorIteratorBaseERKT_EUlibE_EEviT1_.num_named_barrier, 0
	.set _ZN2at6native32elementwise_kernel_manual_unrollILi128ELi8EZNS0_22gpu_kernel_impl_nocastINS0_13BinaryFunctorIN3c1011Float8_e5m2ES5_bNS0_12_GLOBAL__N_116CompareEqFunctorIS5_EEEEEEvRNS_18TensorIteratorBaseERKT_EUlibE_EEviT1_.private_seg_size, 0
	.set _ZN2at6native32elementwise_kernel_manual_unrollILi128ELi8EZNS0_22gpu_kernel_impl_nocastINS0_13BinaryFunctorIN3c1011Float8_e5m2ES5_bNS0_12_GLOBAL__N_116CompareEqFunctorIS5_EEEEEEvRNS_18TensorIteratorBaseERKT_EUlibE_EEviT1_.uses_vcc, 1
	.set _ZN2at6native32elementwise_kernel_manual_unrollILi128ELi8EZNS0_22gpu_kernel_impl_nocastINS0_13BinaryFunctorIN3c1011Float8_e5m2ES5_bNS0_12_GLOBAL__N_116CompareEqFunctorIS5_EEEEEEvRNS_18TensorIteratorBaseERKT_EUlibE_EEviT1_.uses_flat_scratch, 0
	.set _ZN2at6native32elementwise_kernel_manual_unrollILi128ELi8EZNS0_22gpu_kernel_impl_nocastINS0_13BinaryFunctorIN3c1011Float8_e5m2ES5_bNS0_12_GLOBAL__N_116CompareEqFunctorIS5_EEEEEEvRNS_18TensorIteratorBaseERKT_EUlibE_EEviT1_.has_dyn_sized_stack, 0
	.set _ZN2at6native32elementwise_kernel_manual_unrollILi128ELi8EZNS0_22gpu_kernel_impl_nocastINS0_13BinaryFunctorIN3c1011Float8_e5m2ES5_bNS0_12_GLOBAL__N_116CompareEqFunctorIS5_EEEEEEvRNS_18TensorIteratorBaseERKT_EUlibE_EEviT1_.has_recursion, 0
	.set _ZN2at6native32elementwise_kernel_manual_unrollILi128ELi8EZNS0_22gpu_kernel_impl_nocastINS0_13BinaryFunctorIN3c1011Float8_e5m2ES5_bNS0_12_GLOBAL__N_116CompareEqFunctorIS5_EEEEEEvRNS_18TensorIteratorBaseERKT_EUlibE_EEviT1_.has_indirect_call, 0
	.section	.AMDGPU.csdata,"",@progbits
; Kernel info:
; codeLenInByte = 14208
; TotalNumSgprs: 48
; NumVgprs: 64
; ScratchSize: 0
; MemoryBound: 0
; FloatMode: 240
; IeeeMode: 1
; LDSByteSize: 0 bytes/workgroup (compile time only)
; SGPRBlocks: 0
; VGPRBlocks: 3
; NumSGPRsForWavesPerEU: 48
; NumVGPRsForWavesPerEU: 64
; NamedBarCnt: 0
; Occupancy: 16
; WaveLimiterHint : 1
; COMPUTE_PGM_RSRC2:SCRATCH_EN: 0
; COMPUTE_PGM_RSRC2:USER_SGPR: 2
; COMPUTE_PGM_RSRC2:TRAP_HANDLER: 0
; COMPUTE_PGM_RSRC2:TGID_X_EN: 1
; COMPUTE_PGM_RSRC2:TGID_Y_EN: 0
; COMPUTE_PGM_RSRC2:TGID_Z_EN: 0
; COMPUTE_PGM_RSRC2:TIDIG_COMP_CNT: 0
	.text
	.p2align	2                               ; -- Begin function _ZN2at6native6invokeINS0_13BinaryFunctorIN3c1011Float8_e5m2ES4_bNS0_12_GLOBAL__N_116CompareEqFunctorIS4_EEEEi15function_traitsIS8_EEENT1_11result_typeERKT_PrKPcPKT0_PKNS3_10ScalarTypeEi
	.type	_ZN2at6native6invokeINS0_13BinaryFunctorIN3c1011Float8_e5m2ES4_bNS0_12_GLOBAL__N_116CompareEqFunctorIS4_EEEEi15function_traitsIS8_EEENT1_11result_typeERKT_PrKPcPKT0_PKNS3_10ScalarTypeEi,@function
_ZN2at6native6invokeINS0_13BinaryFunctorIN3c1011Float8_e5m2ES4_bNS0_12_GLOBAL__N_116CompareEqFunctorIS4_EEEEi15function_traitsIS8_EEENT1_11result_typeERKT_PrKPcPKT0_PKNS3_10ScalarTypeEi: ; @_ZN2at6native6invokeINS0_13BinaryFunctorIN3c1011Float8_e5m2ES4_bNS0_12_GLOBAL__N_116CompareEqFunctorIS4_EEEEi15function_traitsIS8_EEENT1_11result_typeERKT_PrKPcPKT0_PKNS3_10ScalarTypeEi
; %bb.0:
	s_wait_loadcnt_dscnt 0x0
	s_wait_kmcnt 0x0
	v_dual_mov_b32 v9, v6 :: v_dual_mov_b32 v8, v5
	v_dual_mov_b32 v5, v4 :: v_dual_mov_b32 v4, v3
	;; [unrolled: 1-line block ×3, first 2 shown]
	flat_load_b32 v1, v[4:5]
	flat_load_b64 v[10:11], v[2:3]
	flat_load_u8 v6, v[8:9]
	s_mov_b32 s3, 0
	s_mov_b32 s0, 0
	s_mov_b32 s1, exec_lo
	s_wait_loadcnt_dscnt 0x202
	v_mul_lo_u32 v12, v1, v7
                                        ; implicit-def: $vgpr1
	s_delay_alu instid0(VALU_DEP_1) | instskip(SKIP_1) | instid1(VALU_DEP_1)
	v_ashrrev_i32_e32 v13, 31, v12
	s_wait_loadcnt_dscnt 0x101
	v_add_nc_u64_e32 v[10:11], v[10:11], v[12:13]
	s_wait_loadcnt_dscnt 0x0
	v_cmpx_lt_i16_e32 10, v6
	s_xor_b32 s1, exec_lo, s1
	s_cbranch_execz .LBB231_95
; %bb.1:
	s_mov_b32 s4, 0
	s_mov_b32 s2, exec_lo
                                        ; implicit-def: $vgpr1
	v_cmpx_lt_i16_e32 25, v6
	s_xor_b32 s2, exec_lo, s2
	s_cbranch_execz .LBB231_457
; %bb.2:
	s_mov_b32 s5, 0
	s_mov_b32 s3, exec_lo
                                        ; implicit-def: $vgpr1
	v_cmpx_lt_i16_e32 28, v6
	s_xor_b32 s3, exec_lo, s3
	s_cbranch_execz .LBB231_42
; %bb.3:
	s_mov_b32 s6, 0
	s_mov_b32 s7, 0
	s_mov_b32 s4, exec_lo
                                        ; implicit-def: $vgpr1
	v_cmpx_lt_i16_e32 43, v6
	s_xor_b32 s4, exec_lo, s4
	s_cbranch_execz .LBB231_29
; %bb.4:
	s_mov_b32 s7, exec_lo
                                        ; implicit-def: $vgpr1
	v_cmpx_lt_i16_e32 45, v6
	s_xor_b32 s7, exec_lo, s7
	s_cbranch_execz .LBB231_16
; %bb.5:
	s_mov_b32 s8, -1
	s_mov_b32 s5, exec_lo
                                        ; implicit-def: $vgpr1
	v_cmpx_eq_u16_e32 46, v6
	s_cbranch_execz .LBB231_15
; %bb.6:
	flat_load_b32 v1, v[10:11]
	s_mov_b32 s6, exec_lo
                                        ; implicit-def: $vgpr6
	s_wait_loadcnt_dscnt 0x0
	v_lshlrev_b32_e32 v1, 16, v1
	s_delay_alu instid0(VALU_DEP_1) | instskip(SKIP_1) | instid1(VALU_DEP_1)
	v_and_b32_e32 v12, 0x7fffffff, v1
	s_wait_xcnt 0x0
	v_cmpx_gt_u32_e32 0x47800000, v12
	s_xor_b32 s6, exec_lo, s6
	s_cbranch_execz .LBB231_12
; %bb.7:
	s_mov_b32 s8, exec_lo
                                        ; implicit-def: $vgpr6
	v_cmpx_lt_u32_e32 0x387fffff, v12
	s_xor_b32 s8, exec_lo, s8
; %bb.8:
	v_bfe_u32 v6, v1, 21, 1
	s_delay_alu instid0(VALU_DEP_1) | instskip(NEXT) | instid1(VALU_DEP_1)
	v_add3_u32 v6, v1, v6, 0x80fffff
	v_lshrrev_b32_e32 v6, 21, v6
; %bb.9:
	s_and_not1_saveexec_b32 s8, s8
; %bb.10:
	v_add_f32_e64 v6, 0x43000000, |v1|
; %bb.11:
	s_or_b32 exec_lo, exec_lo, s8
                                        ; implicit-def: $vgpr12
.LBB231_12:
	s_and_not1_saveexec_b32 s6, s6
; %bb.13:
	v_mov_b32_e32 v6, 0x7f
	v_cmp_lt_u32_e32 vcc_lo, 0x7f800000, v12
	s_delay_alu instid0(VALU_DEP_2)
	v_cndmask_b32_e32 v6, 0x7c, v6, vcc_lo
; %bb.14:
	s_or_b32 exec_lo, exec_lo, s6
	v_lshrrev_b32_e32 v1, 24, v1
	s_mov_b32 s6, exec_lo
	s_xor_b32 s8, exec_lo, -1
	s_delay_alu instid0(VALU_DEP_1)
	v_and_or_b32 v1, 0x80, v1, v6
.LBB231_15:
	s_or_b32 exec_lo, exec_lo, s5
	s_delay_alu instid0(SALU_CYCLE_1)
	s_and_b32 s6, s6, exec_lo
	s_and_b32 s5, s8, exec_lo
                                        ; implicit-def: $vgpr6
.LBB231_16:
	s_and_not1_saveexec_b32 s7, s7
	s_cbranch_execz .LBB231_28
; %bb.17:
	s_mov_b32 s9, -1
	s_mov_b32 s10, s6
	s_mov_b32 s8, exec_lo
                                        ; implicit-def: $vgpr1
	v_cmpx_eq_u16_e32 44, v6
	s_cbranch_execz .LBB231_27
; %bb.18:
	flat_load_u8 v1, v[10:11]
	s_mov_b32 s9, exec_lo
	s_wait_loadcnt_dscnt 0x0
	v_lshlrev_b32_e32 v6, 23, v1
	v_cmp_ne_u32_e32 vcc_lo, 0xff, v1
	s_delay_alu instid0(VALU_DEP_2) | instskip(SKIP_1) | instid1(VALU_DEP_2)
	v_cndmask_b32_e32 v6, 0x7f800001, v6, vcc_lo
	v_cmp_ne_u32_e32 vcc_lo, 0, v1
                                        ; implicit-def: $vgpr1
	v_cndmask_b32_e32 v6, 0x400000, v6, vcc_lo
	s_wait_xcnt 0x0
	s_delay_alu instid0(VALU_DEP_1)
	v_cmpx_gt_u32_e32 0x47800000, v6
	s_xor_b32 s9, exec_lo, s9
	s_cbranch_execz .LBB231_24
; %bb.19:
	s_mov_b32 s10, exec_lo
                                        ; implicit-def: $vgpr1
	v_cmpx_lt_u32_e32 0x387fffff, v6
	s_xor_b32 s10, exec_lo, s10
; %bb.20:
	v_bfe_u32 v1, v6, 21, 1
	s_delay_alu instid0(VALU_DEP_1) | instskip(NEXT) | instid1(VALU_DEP_1)
	v_add3_u32 v1, v6, v1, 0x80fffff
                                        ; implicit-def: $vgpr6
	v_lshrrev_b32_e32 v1, 21, v1
; %bb.21:
	s_and_not1_saveexec_b32 s10, s10
; %bb.22:
	v_add_f32_e32 v1, 0x43000000, v6
; %bb.23:
	s_or_b32 exec_lo, exec_lo, s10
                                        ; implicit-def: $vgpr6
.LBB231_24:
	s_and_not1_saveexec_b32 s9, s9
; %bb.25:
	v_mov_b32_e32 v1, 0x7f
	v_cmp_lt_u32_e32 vcc_lo, 0x7f800000, v6
	s_delay_alu instid0(VALU_DEP_2)
	v_cndmask_b32_e32 v1, 0x7c, v1, vcc_lo
; %bb.26:
	s_or_b32 exec_lo, exec_lo, s9
	s_delay_alu instid0(SALU_CYCLE_1)
	s_or_b32 s10, s6, exec_lo
	s_xor_b32 s9, exec_lo, -1
.LBB231_27:
	s_or_b32 exec_lo, exec_lo, s8
	s_delay_alu instid0(SALU_CYCLE_1)
	s_and_not1_b32 s6, s6, exec_lo
	s_and_b32 s8, s10, exec_lo
	s_and_not1_b32 s5, s5, exec_lo
	s_and_b32 s9, s9, exec_lo
	s_or_b32 s6, s6, s8
	s_or_b32 s5, s5, s9
.LBB231_28:
	s_or_b32 exec_lo, exec_lo, s7
	s_delay_alu instid0(SALU_CYCLE_1)
	s_and_b32 s7, s6, exec_lo
	s_and_b32 s6, s5, exec_lo
                                        ; implicit-def: $vgpr6
.LBB231_29:
	s_and_not1_saveexec_b32 s4, s4
	s_cbranch_execz .LBB231_41
; %bb.30:
	s_mov_b32 s8, -1
	s_mov_b32 s9, s7
	s_mov_b32 s5, exec_lo
                                        ; implicit-def: $vgpr1
	v_cmpx_eq_u16_e32 29, v6
	s_cbranch_execz .LBB231_40
; %bb.31:
	flat_load_b64 v[12:13], v[10:11]
	s_mov_b32 s8, exec_lo
	s_wait_loadcnt_dscnt 0x0
	v_clz_i32_u32_e32 v1, v13
	s_delay_alu instid0(VALU_DEP_1) | instskip(NEXT) | instid1(VALU_DEP_1)
	v_min_u32_e32 v1, 32, v1
	v_lshlrev_b64_e32 v[12:13], v1, v[12:13]
	v_sub_nc_u32_e32 v1, 32, v1
	s_delay_alu instid0(VALU_DEP_2) | instskip(NEXT) | instid1(VALU_DEP_1)
	v_min_u32_e32 v6, 1, v12
	v_or_b32_e32 v6, v13, v6
	s_delay_alu instid0(VALU_DEP_1) | instskip(NEXT) | instid1(VALU_DEP_1)
	v_cvt_f32_u32_e32 v6, v6
	v_ldexp_f32 v6, v6, v1
                                        ; implicit-def: $vgpr1
	s_wait_xcnt 0x0
	s_delay_alu instid0(VALU_DEP_1)
	v_cmpx_gt_u32_e32 0x47800000, v6
	s_xor_b32 s8, exec_lo, s8
	s_cbranch_execz .LBB231_37
; %bb.32:
	s_mov_b32 s9, exec_lo
                                        ; implicit-def: $vgpr1
	v_cmpx_lt_u32_e32 0x387fffff, v6
	s_xor_b32 s9, exec_lo, s9
; %bb.33:
	v_bfe_u32 v1, v6, 21, 1
	s_delay_alu instid0(VALU_DEP_1) | instskip(NEXT) | instid1(VALU_DEP_1)
	v_add3_u32 v1, v6, v1, 0x80fffff
                                        ; implicit-def: $vgpr6
	v_lshrrev_b32_e32 v1, 21, v1
; %bb.34:
	s_and_not1_saveexec_b32 s9, s9
; %bb.35:
	v_add_f32_e32 v1, 0x43000000, v6
; %bb.36:
	s_or_b32 exec_lo, exec_lo, s9
                                        ; implicit-def: $vgpr6
.LBB231_37:
	s_and_not1_saveexec_b32 s8, s8
; %bb.38:
	v_mov_b32_e32 v1, 0x7f
	v_cmp_lt_u32_e32 vcc_lo, 0x7f800000, v6
	s_delay_alu instid0(VALU_DEP_2)
	v_cndmask_b32_e32 v1, 0x7c, v1, vcc_lo
; %bb.39:
	s_or_b32 exec_lo, exec_lo, s8
	s_delay_alu instid0(SALU_CYCLE_1)
	s_or_b32 s9, s7, exec_lo
	s_xor_b32 s8, exec_lo, -1
.LBB231_40:
	s_or_b32 exec_lo, exec_lo, s5
	s_delay_alu instid0(SALU_CYCLE_1)
	s_and_not1_b32 s5, s7, exec_lo
	s_and_b32 s7, s9, exec_lo
	s_and_not1_b32 s6, s6, exec_lo
	s_and_b32 s8, s8, exec_lo
	s_or_b32 s7, s5, s7
	s_or_b32 s6, s6, s8
.LBB231_41:
	s_or_b32 exec_lo, exec_lo, s4
	s_delay_alu instid0(SALU_CYCLE_1)
	s_and_b32 s5, s7, exec_lo
	s_and_b32 s4, s6, exec_lo
                                        ; implicit-def: $vgpr6
.LBB231_42:
	s_and_not1_saveexec_b32 s3, s3
	s_cbranch_execz .LBB231_82
; %bb.43:
	s_mov_b32 s6, exec_lo
                                        ; implicit-def: $vgpr1
	v_cmpx_lt_i16_e32 26, v6
	s_xor_b32 s6, exec_lo, s6
	s_cbranch_execz .LBB231_65
; %bb.44:
	s_mov_b32 s7, exec_lo
                                        ; implicit-def: $vgpr1
	v_cmpx_lt_i16_e32 27, v6
	s_xor_b32 s7, exec_lo, s7
	s_cbranch_execz .LBB231_54
; %bb.45:
	flat_load_b32 v1, v[10:11]
	s_mov_b32 s8, exec_lo
	s_wait_loadcnt_dscnt 0x0
	v_cvt_f32_u32_e32 v6, v1
                                        ; implicit-def: $vgpr1
	s_wait_xcnt 0x0
	s_delay_alu instid0(VALU_DEP_1)
	v_cmpx_gt_u32_e32 0x47800000, v6
	s_xor_b32 s8, exec_lo, s8
	s_cbranch_execz .LBB231_51
; %bb.46:
	s_mov_b32 s9, exec_lo
                                        ; implicit-def: $vgpr1
	v_cmpx_lt_u32_e32 0x387fffff, v6
	s_xor_b32 s9, exec_lo, s9
; %bb.47:
	v_bfe_u32 v1, v6, 21, 1
	s_delay_alu instid0(VALU_DEP_1) | instskip(NEXT) | instid1(VALU_DEP_1)
	v_add3_u32 v1, v6, v1, 0x80fffff
                                        ; implicit-def: $vgpr6
	v_lshrrev_b32_e32 v1, 21, v1
; %bb.48:
	s_and_not1_saveexec_b32 s9, s9
; %bb.49:
	v_add_f32_e32 v1, 0x43000000, v6
; %bb.50:
	s_or_b32 exec_lo, exec_lo, s9
                                        ; implicit-def: $vgpr6
.LBB231_51:
	s_and_not1_saveexec_b32 s8, s8
; %bb.52:
	v_mov_b32_e32 v1, 0x7f
	v_cmp_lt_u32_e32 vcc_lo, 0x7f800000, v6
	s_delay_alu instid0(VALU_DEP_2)
	v_cndmask_b32_e32 v1, 0x7c, v1, vcc_lo
; %bb.53:
	s_or_b32 exec_lo, exec_lo, s8
.LBB231_54:
	s_and_not1_saveexec_b32 s7, s7
	s_cbranch_execz .LBB231_64
; %bb.55:
	flat_load_u16 v1, v[10:11]
	s_mov_b32 s8, exec_lo
	s_wait_loadcnt_dscnt 0x0
	v_cvt_f32_u32_e32 v6, v1
                                        ; implicit-def: $vgpr1
	s_wait_xcnt 0x0
	s_delay_alu instid0(VALU_DEP_1)
	v_cmpx_gt_u32_e32 0x47800000, v6
	s_xor_b32 s8, exec_lo, s8
	s_cbranch_execz .LBB231_61
; %bb.56:
	s_mov_b32 s9, exec_lo
                                        ; implicit-def: $vgpr1
	v_cmpx_lt_u32_e32 0x387fffff, v6
	s_xor_b32 s9, exec_lo, s9
; %bb.57:
	v_bfe_u32 v1, v6, 21, 1
	s_delay_alu instid0(VALU_DEP_1) | instskip(NEXT) | instid1(VALU_DEP_1)
	v_add3_u32 v1, v6, v1, 0x80fffff
                                        ; implicit-def: $vgpr6
	v_lshrrev_b32_e32 v1, 21, v1
; %bb.58:
	s_and_not1_saveexec_b32 s9, s9
; %bb.59:
	v_add_f32_e32 v1, 0x43000000, v6
; %bb.60:
	s_or_b32 exec_lo, exec_lo, s9
                                        ; implicit-def: $vgpr6
.LBB231_61:
	s_and_not1_saveexec_b32 s8, s8
; %bb.62:
	v_mov_b32_e32 v1, 0x7f
	v_cmp_lt_u32_e32 vcc_lo, 0x7f800000, v6
	s_delay_alu instid0(VALU_DEP_2)
	v_cndmask_b32_e32 v1, 0x7c, v1, vcc_lo
; %bb.63:
	s_or_b32 exec_lo, exec_lo, s8
.LBB231_64:
	s_delay_alu instid0(SALU_CYCLE_1)
	s_or_b32 exec_lo, exec_lo, s7
.LBB231_65:
	s_and_not1_saveexec_b32 s6, s6
	s_cbranch_execz .LBB231_81
; %bb.66:
	flat_load_u8 v6, v[10:11]
	s_mov_b32 s7, 0
	s_mov_b32 s8, exec_lo
	s_wait_loadcnt_dscnt 0x0
	v_cmpx_lt_i16_e32 0x7f, v6
	s_xor_b32 s8, exec_lo, s8
	s_cbranch_execz .LBB231_559
; %bb.67:
	s_mov_b32 s7, -1
	s_mov_b32 s9, exec_lo
	v_cmpx_eq_u16_e32 0x80, v6
; %bb.68:
	s_xor_b32 s7, exec_lo, -1
; %bb.69:
	s_or_b32 exec_lo, exec_lo, s9
	s_delay_alu instid0(SALU_CYCLE_1)
	s_and_b32 s7, s7, exec_lo
	s_or_saveexec_b32 s8, s8
	v_mov_b32_e32 v1, 0x7f800001
	s_xor_b32 exec_lo, exec_lo, s8
	s_cbranch_execnz .LBB231_560
.LBB231_70:
	s_or_b32 exec_lo, exec_lo, s8
	s_and_saveexec_b32 s8, s7
	s_cbranch_execz .LBB231_72
.LBB231_71:
	v_and_b32_e32 v1, 0xffff, v6
	s_delay_alu instid0(VALU_DEP_1) | instskip(SKIP_1) | instid1(VALU_DEP_2)
	v_dual_lshlrev_b32 v6, 24, v6 :: v_dual_bitop2_b32 v12, 7, v1 bitop3:0x40
	v_bfe_u32 v15, v1, 3, 4
	v_and_b32_e32 v6, 0x80000000, v6
	s_delay_alu instid0(VALU_DEP_3) | instskip(NEXT) | instid1(VALU_DEP_3)
	v_clz_i32_u32_e32 v13, v12
	v_cmp_eq_u32_e32 vcc_lo, 0, v15
	s_delay_alu instid0(VALU_DEP_2) | instskip(NEXT) | instid1(VALU_DEP_1)
	v_min_u32_e32 v13, 32, v13
	v_subrev_nc_u32_e32 v14, 28, v13
	v_sub_nc_u32_e32 v13, 29, v13
	s_delay_alu instid0(VALU_DEP_2) | instskip(NEXT) | instid1(VALU_DEP_2)
	v_lshlrev_b32_e32 v1, v14, v1
	v_cndmask_b32_e32 v13, v15, v13, vcc_lo
	s_delay_alu instid0(VALU_DEP_2) | instskip(NEXT) | instid1(VALU_DEP_1)
	v_and_b32_e32 v1, 7, v1
	v_cndmask_b32_e32 v1, v12, v1, vcc_lo
	s_delay_alu instid0(VALU_DEP_3) | instskip(NEXT) | instid1(VALU_DEP_2)
	v_lshl_add_u32 v12, v13, 23, 0x3b800000
	v_lshlrev_b32_e32 v1, 20, v1
	s_delay_alu instid0(VALU_DEP_1)
	v_or3_b32 v1, v6, v12, v1
.LBB231_72:
	s_or_b32 exec_lo, exec_lo, s8
	s_delay_alu instid0(VALU_DEP_1) | instskip(SKIP_1) | instid1(VALU_DEP_1)
	v_and_b32_e32 v12, 0x7fffffff, v1
	s_mov_b32 s7, exec_lo
                                        ; implicit-def: $vgpr6
	v_cmpx_gt_u32_e32 0x47800000, v12
	s_xor_b32 s7, exec_lo, s7
	s_cbranch_execz .LBB231_78
; %bb.73:
	s_mov_b32 s8, exec_lo
                                        ; implicit-def: $vgpr6
	v_cmpx_lt_u32_e32 0x387fffff, v12
	s_xor_b32 s8, exec_lo, s8
; %bb.74:
	v_bfe_u32 v6, v1, 21, 1
	s_delay_alu instid0(VALU_DEP_1) | instskip(NEXT) | instid1(VALU_DEP_1)
	v_add3_u32 v6, v1, v6, 0x80fffff
	v_lshrrev_b32_e32 v6, 21, v6
; %bb.75:
	s_and_not1_saveexec_b32 s8, s8
; %bb.76:
	v_add_f32_e64 v6, 0x43000000, |v1|
; %bb.77:
	s_or_b32 exec_lo, exec_lo, s8
                                        ; implicit-def: $vgpr12
.LBB231_78:
	s_and_not1_saveexec_b32 s7, s7
; %bb.79:
	v_mov_b32_e32 v6, 0x7f
	v_cmp_lt_u32_e32 vcc_lo, 0x7f800000, v12
	s_delay_alu instid0(VALU_DEP_2)
	v_cndmask_b32_e32 v6, 0x7c, v6, vcc_lo
; %bb.80:
	s_or_b32 exec_lo, exec_lo, s7
	v_lshrrev_b32_e32 v1, 24, v1
	s_delay_alu instid0(VALU_DEP_1)
	v_and_or_b32 v1, 0x80, v1, v6
.LBB231_81:
	s_or_b32 exec_lo, exec_lo, s6
	s_delay_alu instid0(SALU_CYCLE_1)
	s_or_b32 s5, s5, exec_lo
.LBB231_82:
	s_or_b32 exec_lo, exec_lo, s3
	s_delay_alu instid0(SALU_CYCLE_1)
	s_and_b32 s3, s5, exec_lo
	s_and_b32 s4, s4, exec_lo
                                        ; implicit-def: $vgpr6
	s_and_not1_saveexec_b32 s2, s2
	s_cbranch_execnz .LBB231_458
.LBB231_83:
	s_or_b32 exec_lo, exec_lo, s2
	s_mov_b32 s2, 0
	s_and_saveexec_b32 s5, s4
	s_cbranch_execnz .LBB231_507
.LBB231_84:
	s_or_b32 exec_lo, exec_lo, s5
	s_and_saveexec_b32 s4, s0
	s_cbranch_execz .LBB231_94
.LBB231_85:
	s_wait_loadcnt_dscnt 0x0
	flat_load_u8 v1, v[10:11]
	s_mov_b32 s0, exec_lo
	s_wait_loadcnt_dscnt 0x0
	v_cmp_ne_u16_e32 vcc_lo, 0, v1
                                        ; implicit-def: $vgpr1
	v_cndmask_b32_e64 v6, 0, 1.0, vcc_lo
	s_wait_xcnt 0x0
	s_delay_alu instid0(VALU_DEP_1)
	v_cmpx_gt_u32_e32 0x47800000, v6
	s_xor_b32 s0, exec_lo, s0
	s_cbranch_execz .LBB231_91
; %bb.86:
	s_mov_b32 s5, exec_lo
                                        ; implicit-def: $vgpr1
	v_cmpx_lt_u32_e32 0x387fffff, v6
	s_xor_b32 s5, exec_lo, s5
; %bb.87:
	v_bfe_u32 v1, v6, 21, 1
	s_delay_alu instid0(VALU_DEP_1) | instskip(NEXT) | instid1(VALU_DEP_1)
	v_add3_u32 v1, v6, v1, 0x80fffff
                                        ; implicit-def: $vgpr6
	v_lshrrev_b32_e32 v1, 21, v1
; %bb.88:
	s_and_not1_saveexec_b32 s5, s5
; %bb.89:
	v_add_f32_e32 v1, 0x43000000, v6
; %bb.90:
	s_or_b32 exec_lo, exec_lo, s5
                                        ; implicit-def: $vgpr6
.LBB231_91:
	s_and_not1_saveexec_b32 s0, s0
; %bb.92:
	v_mov_b32_e32 v1, 0x7f
	v_cmp_lt_u32_e32 vcc_lo, 0x7f800000, v6
	s_delay_alu instid0(VALU_DEP_2)
	v_cndmask_b32_e32 v1, 0x7c, v1, vcc_lo
; %bb.93:
	s_or_b32 exec_lo, exec_lo, s0
	s_delay_alu instid0(SALU_CYCLE_1)
	s_or_b32 s3, s3, exec_lo
.LBB231_94:
	s_or_b32 exec_lo, exec_lo, s4
	s_delay_alu instid0(SALU_CYCLE_1)
	s_and_b32 s0, s2, exec_lo
	s_and_b32 s3, s3, exec_lo
                                        ; implicit-def: $vgpr6
                                        ; implicit-def: $vgpr10_vgpr11
.LBB231_95:
	s_and_not1_saveexec_b32 s1, s1
	s_cbranch_execz .LBB231_225
; %bb.96:
	s_mov_b32 s2, exec_lo
                                        ; implicit-def: $vgpr1
	v_cmpx_lt_i16_e32 4, v6
	s_xor_b32 s2, exec_lo, s2
	s_cbranch_execz .LBB231_166
; %bb.97:
	s_mov_b32 s4, exec_lo
                                        ; implicit-def: $vgpr1
	v_cmpx_lt_i16_e32 7, v6
	s_xor_b32 s4, exec_lo, s4
	s_cbranch_execz .LBB231_131
; %bb.98:
	s_mov_b32 s5, exec_lo
                                        ; implicit-def: $vgpr1
	v_cmpx_lt_i16_e32 8, v6
	s_xor_b32 s5, exec_lo, s5
	s_cbranch_execz .LBB231_120
; %bb.99:
	s_mov_b32 s6, exec_lo
                                        ; implicit-def: $vgpr1
	v_cmpx_lt_i16_e32 9, v6
	s_xor_b32 s6, exec_lo, s6
	s_cbranch_execz .LBB231_109
; %bb.100:
	flat_load_b64 v[10:11], v[10:11]
	s_mov_b32 s7, exec_lo
                                        ; implicit-def: $vgpr6
	s_wait_loadcnt_dscnt 0x0
	v_cvt_f32_f64_e32 v1, v[10:11]
	s_wait_xcnt 0x0
	s_delay_alu instid0(VALU_DEP_1) | instskip(NEXT) | instid1(VALU_DEP_1)
	v_and_b32_e32 v10, 0x7fffffff, v1
	v_cmpx_gt_u32_e32 0x47800000, v10
	s_xor_b32 s7, exec_lo, s7
	s_cbranch_execz .LBB231_106
; %bb.101:
	s_mov_b32 s8, exec_lo
                                        ; implicit-def: $vgpr6
	v_cmpx_lt_u32_e32 0x387fffff, v10
	s_xor_b32 s8, exec_lo, s8
; %bb.102:
	v_bfe_u32 v6, v1, 21, 1
	s_delay_alu instid0(VALU_DEP_1) | instskip(NEXT) | instid1(VALU_DEP_1)
	v_add3_u32 v6, v1, v6, 0x80fffff
	v_lshrrev_b32_e32 v6, 21, v6
; %bb.103:
	s_and_not1_saveexec_b32 s8, s8
; %bb.104:
	v_add_f32_e64 v6, 0x43000000, |v1|
; %bb.105:
	s_or_b32 exec_lo, exec_lo, s8
                                        ; implicit-def: $vgpr10
.LBB231_106:
	s_and_not1_saveexec_b32 s7, s7
; %bb.107:
	v_mov_b32_e32 v6, 0x7f
	v_cmp_lt_u32_e32 vcc_lo, 0x7f800000, v10
	s_delay_alu instid0(VALU_DEP_2)
	v_cndmask_b32_e32 v6, 0x7c, v6, vcc_lo
; %bb.108:
	s_or_b32 exec_lo, exec_lo, s7
	v_lshrrev_b32_e32 v1, 24, v1
                                        ; implicit-def: $vgpr10_vgpr11
	s_delay_alu instid0(VALU_DEP_1)
	v_and_or_b32 v1, 0x80, v1, v6
.LBB231_109:
	s_and_not1_saveexec_b32 s6, s6
	s_cbranch_execz .LBB231_119
; %bb.110:
	s_wait_loadcnt_dscnt 0x0
	flat_load_b32 v1, v[10:11]
	s_mov_b32 s7, exec_lo
                                        ; implicit-def: $vgpr6
	s_wait_loadcnt_dscnt 0x0
	v_and_b32_e32 v10, 0x7fffffff, v1
	s_delay_alu instid0(VALU_DEP_1)
	v_cmpx_gt_u32_e32 0x47800000, v10
	s_xor_b32 s7, exec_lo, s7
	s_cbranch_execz .LBB231_116
; %bb.111:
	s_mov_b32 s8, exec_lo
                                        ; implicit-def: $vgpr6
	v_cmpx_lt_u32_e32 0x387fffff, v10
	s_xor_b32 s8, exec_lo, s8
; %bb.112:
	v_bfe_u32 v6, v1, 21, 1
	s_delay_alu instid0(VALU_DEP_1) | instskip(NEXT) | instid1(VALU_DEP_1)
	v_add3_u32 v6, v1, v6, 0x80fffff
	v_lshrrev_b32_e32 v6, 21, v6
; %bb.113:
	s_and_not1_saveexec_b32 s8, s8
; %bb.114:
	v_add_f32_e64 v6, 0x43000000, |v1|
; %bb.115:
	s_or_b32 exec_lo, exec_lo, s8
                                        ; implicit-def: $vgpr10
.LBB231_116:
	s_and_not1_saveexec_b32 s7, s7
; %bb.117:
	v_mov_b32_e32 v6, 0x7f
	v_cmp_lt_u32_e32 vcc_lo, 0x7f800000, v10
	s_delay_alu instid0(VALU_DEP_2)
	v_cndmask_b32_e32 v6, 0x7c, v6, vcc_lo
; %bb.118:
	s_or_b32 exec_lo, exec_lo, s7
	v_lshrrev_b32_e32 v1, 24, v1
	s_delay_alu instid0(VALU_DEP_1)
	v_and_or_b32 v1, 0x80, v1, v6
.LBB231_119:
	s_or_b32 exec_lo, exec_lo, s6
                                        ; implicit-def: $vgpr10_vgpr11
.LBB231_120:
	s_and_not1_saveexec_b32 s5, s5
	s_cbranch_execz .LBB231_130
; %bb.121:
	s_wait_loadcnt_dscnt 0x0
	flat_load_b32 v1, v[10:11]
	s_mov_b32 s6, exec_lo
                                        ; implicit-def: $vgpr6
	s_wait_loadcnt_dscnt 0x0
	v_cvt_f32_f16_e32 v1, v1
	s_wait_xcnt 0x0
	s_delay_alu instid0(VALU_DEP_1) | instskip(NEXT) | instid1(VALU_DEP_1)
	v_and_b32_e32 v10, 0x7fffffff, v1
	v_cmpx_gt_u32_e32 0x47800000, v10
	s_xor_b32 s6, exec_lo, s6
	s_cbranch_execz .LBB231_127
; %bb.122:
	s_mov_b32 s7, exec_lo
                                        ; implicit-def: $vgpr6
	v_cmpx_lt_u32_e32 0x387fffff, v10
	s_xor_b32 s7, exec_lo, s7
; %bb.123:
	v_bfe_u32 v6, v1, 21, 1
	s_delay_alu instid0(VALU_DEP_1) | instskip(NEXT) | instid1(VALU_DEP_1)
	v_add3_u32 v6, v1, v6, 0x80fffff
	v_lshrrev_b32_e32 v6, 21, v6
; %bb.124:
	s_and_not1_saveexec_b32 s7, s7
; %bb.125:
	v_add_f32_e64 v6, 0x43000000, |v1|
; %bb.126:
	s_or_b32 exec_lo, exec_lo, s7
                                        ; implicit-def: $vgpr10
.LBB231_127:
	s_and_not1_saveexec_b32 s6, s6
; %bb.128:
	v_mov_b32_e32 v6, 0x7f
	v_cmp_lt_u32_e32 vcc_lo, 0x7f800000, v10
	s_delay_alu instid0(VALU_DEP_2)
	v_cndmask_b32_e32 v6, 0x7c, v6, vcc_lo
; %bb.129:
	s_or_b32 exec_lo, exec_lo, s6
	v_lshrrev_b32_e32 v1, 24, v1
	s_delay_alu instid0(VALU_DEP_1)
	v_and_or_b32 v1, 0x80, v1, v6
.LBB231_130:
	s_or_b32 exec_lo, exec_lo, s5
                                        ; implicit-def: $vgpr6
                                        ; implicit-def: $vgpr10_vgpr11
.LBB231_131:
	s_and_not1_saveexec_b32 s4, s4
	s_cbranch_execz .LBB231_165
; %bb.132:
	s_mov_b32 s5, exec_lo
                                        ; implicit-def: $vgpr1
	v_cmpx_lt_i16_e32 5, v6
	s_xor_b32 s5, exec_lo, s5
	s_cbranch_execz .LBB231_154
; %bb.133:
	s_mov_b32 s6, exec_lo
                                        ; implicit-def: $vgpr1
	v_cmpx_lt_i16_e32 6, v6
	s_xor_b32 s6, exec_lo, s6
	s_cbranch_execz .LBB231_143
; %bb.134:
	flat_load_b64 v[10:11], v[10:11]
	s_mov_b32 s7, exec_lo
                                        ; implicit-def: $vgpr6
	s_wait_loadcnt_dscnt 0x0
	v_cvt_f32_f64_e32 v1, v[10:11]
	s_wait_xcnt 0x0
	s_delay_alu instid0(VALU_DEP_1) | instskip(NEXT) | instid1(VALU_DEP_1)
	v_and_b32_e32 v10, 0x7fffffff, v1
	v_cmpx_gt_u32_e32 0x47800000, v10
	s_xor_b32 s7, exec_lo, s7
	s_cbranch_execz .LBB231_140
; %bb.135:
	s_mov_b32 s8, exec_lo
                                        ; implicit-def: $vgpr6
	v_cmpx_lt_u32_e32 0x387fffff, v10
	s_xor_b32 s8, exec_lo, s8
; %bb.136:
	v_bfe_u32 v6, v1, 21, 1
	s_delay_alu instid0(VALU_DEP_1) | instskip(NEXT) | instid1(VALU_DEP_1)
	v_add3_u32 v6, v1, v6, 0x80fffff
	v_lshrrev_b32_e32 v6, 21, v6
; %bb.137:
	s_and_not1_saveexec_b32 s8, s8
; %bb.138:
	v_add_f32_e64 v6, 0x43000000, |v1|
; %bb.139:
	s_or_b32 exec_lo, exec_lo, s8
                                        ; implicit-def: $vgpr10
.LBB231_140:
	s_and_not1_saveexec_b32 s7, s7
; %bb.141:
	v_mov_b32_e32 v6, 0x7f
	v_cmp_lt_u32_e32 vcc_lo, 0x7f800000, v10
	s_delay_alu instid0(VALU_DEP_2)
	v_cndmask_b32_e32 v6, 0x7c, v6, vcc_lo
; %bb.142:
	s_or_b32 exec_lo, exec_lo, s7
	v_lshrrev_b32_e32 v1, 24, v1
                                        ; implicit-def: $vgpr10_vgpr11
	s_delay_alu instid0(VALU_DEP_1)
	v_and_or_b32 v1, 0x80, v1, v6
.LBB231_143:
	s_and_not1_saveexec_b32 s6, s6
	s_cbranch_execz .LBB231_153
; %bb.144:
	s_wait_loadcnt_dscnt 0x0
	flat_load_b32 v1, v[10:11]
	s_mov_b32 s7, exec_lo
                                        ; implicit-def: $vgpr6
	s_wait_loadcnt_dscnt 0x0
	v_and_b32_e32 v10, 0x7fffffff, v1
	s_delay_alu instid0(VALU_DEP_1)
	v_cmpx_gt_u32_e32 0x47800000, v10
	s_xor_b32 s7, exec_lo, s7
	s_cbranch_execz .LBB231_150
; %bb.145:
	s_mov_b32 s8, exec_lo
                                        ; implicit-def: $vgpr6
	v_cmpx_lt_u32_e32 0x387fffff, v10
	s_xor_b32 s8, exec_lo, s8
; %bb.146:
	v_bfe_u32 v6, v1, 21, 1
	s_delay_alu instid0(VALU_DEP_1) | instskip(NEXT) | instid1(VALU_DEP_1)
	v_add3_u32 v6, v1, v6, 0x80fffff
	v_lshrrev_b32_e32 v6, 21, v6
; %bb.147:
	s_and_not1_saveexec_b32 s8, s8
; %bb.148:
	v_add_f32_e64 v6, 0x43000000, |v1|
; %bb.149:
	s_or_b32 exec_lo, exec_lo, s8
                                        ; implicit-def: $vgpr10
.LBB231_150:
	s_and_not1_saveexec_b32 s7, s7
; %bb.151:
	v_mov_b32_e32 v6, 0x7f
	v_cmp_lt_u32_e32 vcc_lo, 0x7f800000, v10
	s_delay_alu instid0(VALU_DEP_2)
	v_cndmask_b32_e32 v6, 0x7c, v6, vcc_lo
; %bb.152:
	s_or_b32 exec_lo, exec_lo, s7
	v_lshrrev_b32_e32 v1, 24, v1
	s_delay_alu instid0(VALU_DEP_1)
	v_and_or_b32 v1, 0x80, v1, v6
.LBB231_153:
	s_or_b32 exec_lo, exec_lo, s6
                                        ; implicit-def: $vgpr10_vgpr11
.LBB231_154:
	s_and_not1_saveexec_b32 s5, s5
	s_cbranch_execz .LBB231_164
; %bb.155:
	s_wait_loadcnt_dscnt 0x0
	flat_load_u16 v1, v[10:11]
	s_mov_b32 s6, exec_lo
                                        ; implicit-def: $vgpr6
	s_wait_loadcnt_dscnt 0x0
	v_cvt_f32_f16_e32 v1, v1
	s_wait_xcnt 0x0
	s_delay_alu instid0(VALU_DEP_1) | instskip(NEXT) | instid1(VALU_DEP_1)
	v_and_b32_e32 v10, 0x7fffffff, v1
	v_cmpx_gt_u32_e32 0x47800000, v10
	s_xor_b32 s6, exec_lo, s6
	s_cbranch_execz .LBB231_161
; %bb.156:
	s_mov_b32 s7, exec_lo
                                        ; implicit-def: $vgpr6
	v_cmpx_lt_u32_e32 0x387fffff, v10
	s_xor_b32 s7, exec_lo, s7
; %bb.157:
	v_bfe_u32 v6, v1, 21, 1
	s_delay_alu instid0(VALU_DEP_1) | instskip(NEXT) | instid1(VALU_DEP_1)
	v_add3_u32 v6, v1, v6, 0x80fffff
	v_lshrrev_b32_e32 v6, 21, v6
; %bb.158:
	s_and_not1_saveexec_b32 s7, s7
; %bb.159:
	v_add_f32_e64 v6, 0x43000000, |v1|
; %bb.160:
	s_or_b32 exec_lo, exec_lo, s7
                                        ; implicit-def: $vgpr10
.LBB231_161:
	s_and_not1_saveexec_b32 s6, s6
; %bb.162:
	v_mov_b32_e32 v6, 0x7f
	v_cmp_lt_u32_e32 vcc_lo, 0x7f800000, v10
	s_delay_alu instid0(VALU_DEP_2)
	v_cndmask_b32_e32 v6, 0x7c, v6, vcc_lo
; %bb.163:
	s_or_b32 exec_lo, exec_lo, s6
	v_lshrrev_b32_e32 v1, 24, v1
	s_delay_alu instid0(VALU_DEP_1)
	v_and_or_b32 v1, 0x80, v1, v6
.LBB231_164:
	s_or_b32 exec_lo, exec_lo, s5
.LBB231_165:
	s_delay_alu instid0(SALU_CYCLE_1)
	s_or_b32 exec_lo, exec_lo, s4
                                        ; implicit-def: $vgpr6
                                        ; implicit-def: $vgpr10_vgpr11
.LBB231_166:
	s_and_not1_saveexec_b32 s2, s2
	s_cbranch_execz .LBB231_224
; %bb.167:
	s_mov_b32 s4, exec_lo
                                        ; implicit-def: $vgpr1
	v_cmpx_lt_i16_e32 1, v6
	s_xor_b32 s4, exec_lo, s4
	s_cbranch_execz .LBB231_201
; %bb.168:
	s_mov_b32 s5, exec_lo
                                        ; implicit-def: $vgpr1
	v_cmpx_lt_i16_e32 2, v6
	s_xor_b32 s5, exec_lo, s5
	;; [unrolled: 6-line block ×3, first 2 shown]
	s_cbranch_execz .LBB231_179
; %bb.170:
	flat_load_b64 v[10:11], v[10:11]
	s_mov_b32 s7, exec_lo
	s_wait_loadcnt_dscnt 0x0
	v_xor_b32_e32 v1, v10, v11
	v_cls_i32_e32 v6, v11
	s_delay_alu instid0(VALU_DEP_2) | instskip(NEXT) | instid1(VALU_DEP_1)
	v_ashrrev_i32_e32 v1, 31, v1
	v_add_nc_u32_e32 v1, 32, v1
	s_delay_alu instid0(VALU_DEP_1) | instskip(SKIP_1) | instid1(VALU_DEP_1)
	v_add_min_u32_e64 v1, v6, -1, v1
	s_wait_xcnt 0x0
	v_lshlrev_b64_e32 v[10:11], v1, v[10:11]
	v_sub_nc_u32_e32 v1, 32, v1
	s_delay_alu instid0(VALU_DEP_2) | instskip(NEXT) | instid1(VALU_DEP_1)
	v_min_u32_e32 v6, 1, v10
	v_or_b32_e32 v6, v11, v6
	s_delay_alu instid0(VALU_DEP_1) | instskip(NEXT) | instid1(VALU_DEP_1)
	v_cvt_f32_i32_e32 v6, v6
	v_ldexp_f32 v1, v6, v1
                                        ; implicit-def: $vgpr6
	s_delay_alu instid0(VALU_DEP_1) | instskip(NEXT) | instid1(VALU_DEP_1)
	v_and_b32_e32 v10, 0x7fffffff, v1
	v_cmpx_gt_u32_e32 0x47800000, v10
	s_xor_b32 s7, exec_lo, s7
	s_cbranch_execz .LBB231_176
; %bb.171:
	s_mov_b32 s8, exec_lo
                                        ; implicit-def: $vgpr6
	v_cmpx_lt_u32_e32 0x387fffff, v10
	s_xor_b32 s8, exec_lo, s8
; %bb.172:
	v_bfe_u32 v6, v1, 21, 1
	s_delay_alu instid0(VALU_DEP_1) | instskip(NEXT) | instid1(VALU_DEP_1)
	v_add3_u32 v6, v1, v6, 0x80fffff
	v_lshrrev_b32_e32 v6, 21, v6
; %bb.173:
	s_and_not1_saveexec_b32 s8, s8
; %bb.174:
	v_add_f32_e64 v6, 0x43000000, |v1|
; %bb.175:
	s_or_b32 exec_lo, exec_lo, s8
                                        ; implicit-def: $vgpr10
.LBB231_176:
	s_and_not1_saveexec_b32 s7, s7
; %bb.177:
	v_mov_b32_e32 v6, 0x7f
	v_cmp_lt_u32_e32 vcc_lo, 0x7f800000, v10
	s_delay_alu instid0(VALU_DEP_2)
	v_cndmask_b32_e32 v6, 0x7c, v6, vcc_lo
; %bb.178:
	s_or_b32 exec_lo, exec_lo, s7
	v_lshrrev_b32_e32 v1, 24, v1
                                        ; implicit-def: $vgpr10_vgpr11
	s_delay_alu instid0(VALU_DEP_1)
	v_and_or_b32 v1, 0x80, v1, v6
.LBB231_179:
	s_and_not1_saveexec_b32 s6, s6
	s_cbranch_execz .LBB231_189
; %bb.180:
	s_wait_loadcnt_dscnt 0x0
	flat_load_b32 v1, v[10:11]
	s_mov_b32 s7, exec_lo
                                        ; implicit-def: $vgpr6
	s_wait_loadcnt_dscnt 0x0
	v_cvt_f32_i32_e32 v1, v1
	s_wait_xcnt 0x0
	s_delay_alu instid0(VALU_DEP_1) | instskip(NEXT) | instid1(VALU_DEP_1)
	v_and_b32_e32 v10, 0x7fffffff, v1
	v_cmpx_gt_u32_e32 0x47800000, v10
	s_xor_b32 s7, exec_lo, s7
	s_cbranch_execz .LBB231_186
; %bb.181:
	s_mov_b32 s8, exec_lo
                                        ; implicit-def: $vgpr6
	v_cmpx_lt_u32_e32 0x387fffff, v10
	s_xor_b32 s8, exec_lo, s8
; %bb.182:
	v_bfe_u32 v6, v1, 21, 1
	s_delay_alu instid0(VALU_DEP_1) | instskip(NEXT) | instid1(VALU_DEP_1)
	v_add3_u32 v6, v1, v6, 0x80fffff
	v_lshrrev_b32_e32 v6, 21, v6
; %bb.183:
	s_and_not1_saveexec_b32 s8, s8
; %bb.184:
	v_add_f32_e64 v6, 0x43000000, |v1|
; %bb.185:
	s_or_b32 exec_lo, exec_lo, s8
                                        ; implicit-def: $vgpr10
.LBB231_186:
	s_and_not1_saveexec_b32 s7, s7
; %bb.187:
	v_mov_b32_e32 v6, 0x7f
	v_cmp_lt_u32_e32 vcc_lo, 0x7f800000, v10
	s_delay_alu instid0(VALU_DEP_2)
	v_cndmask_b32_e32 v6, 0x7c, v6, vcc_lo
; %bb.188:
	s_or_b32 exec_lo, exec_lo, s7
	v_lshrrev_b32_e32 v1, 24, v1
	s_delay_alu instid0(VALU_DEP_1)
	v_and_or_b32 v1, 0x80, v1, v6
.LBB231_189:
	s_or_b32 exec_lo, exec_lo, s6
                                        ; implicit-def: $vgpr10_vgpr11
.LBB231_190:
	s_and_not1_saveexec_b32 s5, s5
	s_cbranch_execz .LBB231_200
; %bb.191:
	s_wait_loadcnt_dscnt 0x0
	flat_load_i16 v1, v[10:11]
	s_mov_b32 s6, exec_lo
                                        ; implicit-def: $vgpr6
	s_wait_loadcnt_dscnt 0x0
	v_cvt_f32_i32_e32 v1, v1
	s_wait_xcnt 0x0
	s_delay_alu instid0(VALU_DEP_1) | instskip(NEXT) | instid1(VALU_DEP_1)
	v_and_b32_e32 v10, 0x7fffffff, v1
	v_cmpx_gt_u32_e32 0x47800000, v10
	s_xor_b32 s6, exec_lo, s6
	s_cbranch_execz .LBB231_197
; %bb.192:
	s_mov_b32 s7, exec_lo
                                        ; implicit-def: $vgpr6
	v_cmpx_lt_u32_e32 0x387fffff, v10
	s_xor_b32 s7, exec_lo, s7
; %bb.193:
	v_bfe_u32 v6, v1, 21, 1
	s_delay_alu instid0(VALU_DEP_1) | instskip(NEXT) | instid1(VALU_DEP_1)
	v_add3_u32 v6, v1, v6, 0x80fffff
	v_lshrrev_b32_e32 v6, 21, v6
; %bb.194:
	s_and_not1_saveexec_b32 s7, s7
; %bb.195:
	v_add_f32_e64 v6, 0x43000000, |v1|
; %bb.196:
	s_or_b32 exec_lo, exec_lo, s7
                                        ; implicit-def: $vgpr10
.LBB231_197:
	s_and_not1_saveexec_b32 s6, s6
; %bb.198:
	v_mov_b32_e32 v6, 0x7f
	v_cmp_lt_u32_e32 vcc_lo, 0x7f800000, v10
	s_delay_alu instid0(VALU_DEP_2)
	v_cndmask_b32_e32 v6, 0x7c, v6, vcc_lo
; %bb.199:
	s_or_b32 exec_lo, exec_lo, s6
	v_lshrrev_b32_e32 v1, 24, v1
	s_delay_alu instid0(VALU_DEP_1)
	v_and_or_b32 v1, 0x80, v1, v6
.LBB231_200:
	s_or_b32 exec_lo, exec_lo, s5
                                        ; implicit-def: $vgpr6
                                        ; implicit-def: $vgpr10_vgpr11
.LBB231_201:
	s_and_not1_saveexec_b32 s4, s4
	s_cbranch_execz .LBB231_223
; %bb.202:
	s_mov_b32 s5, exec_lo
                                        ; implicit-def: $vgpr1
	v_cmpx_lt_i16_e32 0, v6
	s_xor_b32 s5, exec_lo, s5
	s_cbranch_execz .LBB231_212
; %bb.203:
	s_wait_loadcnt_dscnt 0x0
	flat_load_i8 v1, v[10:11]
	s_mov_b32 s6, exec_lo
                                        ; implicit-def: $vgpr6
	s_wait_loadcnt_dscnt 0x0
	v_cvt_f32_i32_e32 v1, v1
	s_wait_xcnt 0x0
	s_delay_alu instid0(VALU_DEP_1) | instskip(NEXT) | instid1(VALU_DEP_1)
	v_and_b32_e32 v10, 0x7fffffff, v1
	v_cmpx_gt_u32_e32 0x47800000, v10
	s_xor_b32 s6, exec_lo, s6
	s_cbranch_execz .LBB231_209
; %bb.204:
	s_mov_b32 s7, exec_lo
                                        ; implicit-def: $vgpr6
	v_cmpx_lt_u32_e32 0x387fffff, v10
	s_xor_b32 s7, exec_lo, s7
; %bb.205:
	v_bfe_u32 v6, v1, 21, 1
	s_delay_alu instid0(VALU_DEP_1) | instskip(NEXT) | instid1(VALU_DEP_1)
	v_add3_u32 v6, v1, v6, 0x80fffff
	v_lshrrev_b32_e32 v6, 21, v6
; %bb.206:
	s_and_not1_saveexec_b32 s7, s7
; %bb.207:
	v_add_f32_e64 v6, 0x43000000, |v1|
; %bb.208:
	s_or_b32 exec_lo, exec_lo, s7
                                        ; implicit-def: $vgpr10
.LBB231_209:
	s_and_not1_saveexec_b32 s6, s6
; %bb.210:
	v_mov_b32_e32 v6, 0x7f
	v_cmp_lt_u32_e32 vcc_lo, 0x7f800000, v10
	s_delay_alu instid0(VALU_DEP_2)
	v_cndmask_b32_e32 v6, 0x7c, v6, vcc_lo
; %bb.211:
	s_or_b32 exec_lo, exec_lo, s6
	v_lshrrev_b32_e32 v1, 24, v1
                                        ; implicit-def: $vgpr10_vgpr11
	s_delay_alu instid0(VALU_DEP_1)
	v_and_or_b32 v1, 0x80, v1, v6
.LBB231_212:
	s_and_not1_saveexec_b32 s5, s5
	s_cbranch_execz .LBB231_222
; %bb.213:
	s_wait_loadcnt_dscnt 0x0
	flat_load_u8 v1, v[10:11]
	s_mov_b32 s6, exec_lo
	s_wait_loadcnt_dscnt 0x0
	v_cvt_f32_ubyte0_e32 v6, v1
                                        ; implicit-def: $vgpr1
	s_wait_xcnt 0x0
	s_delay_alu instid0(VALU_DEP_1)
	v_cmpx_gt_u32_e32 0x47800000, v6
	s_xor_b32 s6, exec_lo, s6
	s_cbranch_execz .LBB231_219
; %bb.214:
	s_mov_b32 s7, exec_lo
                                        ; implicit-def: $vgpr1
	v_cmpx_lt_u32_e32 0x387fffff, v6
	s_xor_b32 s7, exec_lo, s7
; %bb.215:
	v_bfe_u32 v1, v6, 21, 1
	s_delay_alu instid0(VALU_DEP_1) | instskip(NEXT) | instid1(VALU_DEP_1)
	v_add3_u32 v1, v6, v1, 0x80fffff
                                        ; implicit-def: $vgpr6
	v_lshrrev_b32_e32 v1, 21, v1
; %bb.216:
	s_and_not1_saveexec_b32 s7, s7
; %bb.217:
	v_add_f32_e32 v1, 0x43000000, v6
; %bb.218:
	s_or_b32 exec_lo, exec_lo, s7
                                        ; implicit-def: $vgpr6
.LBB231_219:
	s_and_not1_saveexec_b32 s6, s6
; %bb.220:
	v_mov_b32_e32 v1, 0x7f
	v_cmp_lt_u32_e32 vcc_lo, 0x7f800000, v6
	s_delay_alu instid0(VALU_DEP_2)
	v_cndmask_b32_e32 v1, 0x7c, v1, vcc_lo
; %bb.221:
	s_or_b32 exec_lo, exec_lo, s6
.LBB231_222:
	s_delay_alu instid0(SALU_CYCLE_1)
	s_or_b32 exec_lo, exec_lo, s5
.LBB231_223:
	s_delay_alu instid0(SALU_CYCLE_1)
	s_or_b32 exec_lo, exec_lo, s4
.LBB231_224:
	s_delay_alu instid0(SALU_CYCLE_1) | instskip(NEXT) | instid1(SALU_CYCLE_1)
	s_or_b32 exec_lo, exec_lo, s2
	s_or_b32 s3, s3, exec_lo
.LBB231_225:
	s_or_b32 exec_lo, exec_lo, s1
	s_mov_b32 s5, 0
	s_mov_b32 s4, 0
	;; [unrolled: 1-line block ×3, first 2 shown]
                                        ; implicit-def: $vgpr6
                                        ; implicit-def: $vgpr10_vgpr11
                                        ; implicit-def: $vgpr12
	s_and_saveexec_b32 s1, s3
	s_cbranch_execz .LBB231_324
; %bb.226:
	flat_load_b32 v12, v[4:5] offset:4
	flat_load_b64 v[10:11], v[2:3] offset:8
	flat_load_u8 v6, v[8:9] offset:1
	s_mov_b32 s4, -1
	s_mov_b32 s3, 0
	s_mov_b32 s5, s0
	;; [unrolled: 1-line block ×3, first 2 shown]
	s_mov_b32 s2, exec_lo
	s_wait_loadcnt_dscnt 0x202
	s_wait_xcnt 0x1
	v_mul_lo_u32 v2, v12, v7
                                        ; implicit-def: $vgpr12
	s_delay_alu instid0(VALU_DEP_1) | instskip(SKIP_1) | instid1(VALU_DEP_1)
	v_ashrrev_i32_e32 v3, 31, v2
	s_wait_loadcnt_dscnt 0x101
	v_add_nc_u64_e32 v[10:11], v[10:11], v[2:3]
	s_wait_loadcnt_dscnt 0x0
	v_cmpx_lt_i16_e32 10, v6
	s_cbranch_execz .LBB231_311
; %bb.227:
	s_mov_b32 s5, 0
	s_mov_b32 s4, exec_lo
                                        ; implicit-def: $vgpr12
	v_cmpx_lt_i16_e32 25, v6
	s_xor_b32 s4, exec_lo, s4
	s_cbranch_execz .LBB231_508
; %bb.228:
	s_mov_b32 s7, 0
	s_mov_b32 s5, exec_lo
                                        ; implicit-def: $vgpr12
	v_cmpx_lt_i16_e32 28, v6
	s_xor_b32 s5, exec_lo, s5
	s_cbranch_execz .LBB231_268
; %bb.229:
	s_mov_b32 s8, 0
	s_mov_b32 s9, 0
	s_mov_b32 s6, exec_lo
                                        ; implicit-def: $vgpr12
	v_cmpx_lt_i16_e32 43, v6
	s_xor_b32 s6, exec_lo, s6
	s_cbranch_execz .LBB231_255
; %bb.230:
	s_mov_b32 s9, exec_lo
                                        ; implicit-def: $vgpr12
	v_cmpx_lt_i16_e32 45, v6
	s_xor_b32 s9, exec_lo, s9
	s_cbranch_execz .LBB231_242
; %bb.231:
	s_mov_b32 s10, -1
	s_mov_b32 s7, exec_lo
                                        ; implicit-def: $vgpr12
	v_cmpx_eq_u16_e32 46, v6
	s_cbranch_execz .LBB231_241
; %bb.232:
	flat_load_b32 v2, v[10:11]
	s_mov_b32 s8, exec_lo
                                        ; implicit-def: $vgpr3
	s_wait_loadcnt_dscnt 0x0
	v_lshlrev_b32_e32 v2, 16, v2
	s_delay_alu instid0(VALU_DEP_1) | instskip(SKIP_1) | instid1(VALU_DEP_1)
	v_and_b32_e32 v4, 0x7fffffff, v2
	s_wait_xcnt 0x0
	v_cmpx_gt_u32_e32 0x47800000, v4
	s_xor_b32 s8, exec_lo, s8
	s_cbranch_execz .LBB231_238
; %bb.233:
	s_mov_b32 s10, exec_lo
                                        ; implicit-def: $vgpr3
	v_cmpx_lt_u32_e32 0x387fffff, v4
	s_xor_b32 s10, exec_lo, s10
; %bb.234:
	v_bfe_u32 v3, v2, 21, 1
	s_delay_alu instid0(VALU_DEP_1) | instskip(NEXT) | instid1(VALU_DEP_1)
	v_add3_u32 v3, v2, v3, 0x80fffff
	v_lshrrev_b32_e32 v3, 21, v3
; %bb.235:
	s_and_not1_saveexec_b32 s10, s10
; %bb.236:
	v_add_f32_e64 v3, 0x43000000, |v2|
; %bb.237:
	s_or_b32 exec_lo, exec_lo, s10
                                        ; implicit-def: $vgpr4
.LBB231_238:
	s_and_not1_saveexec_b32 s8, s8
; %bb.239:
	v_mov_b32_e32 v3, 0x7f
	v_cmp_lt_u32_e32 vcc_lo, 0x7f800000, v4
	s_delay_alu instid0(VALU_DEP_2)
	v_cndmask_b32_e32 v3, 0x7c, v3, vcc_lo
; %bb.240:
	s_or_b32 exec_lo, exec_lo, s8
	v_lshrrev_b32_e32 v2, 24, v2
	s_mov_b32 s8, exec_lo
	s_xor_b32 s10, exec_lo, -1
	s_delay_alu instid0(VALU_DEP_1)
	v_and_or_b32 v12, 0x80, v2, v3
.LBB231_241:
	s_or_b32 exec_lo, exec_lo, s7
	s_delay_alu instid0(SALU_CYCLE_1)
	s_and_b32 s8, s8, exec_lo
	s_and_b32 s7, s10, exec_lo
.LBB231_242:
	s_and_not1_saveexec_b32 s9, s9
	s_cbranch_execz .LBB231_254
; %bb.243:
	s_mov_b32 s11, -1
	s_mov_b32 s12, s8
	s_mov_b32 s10, exec_lo
                                        ; implicit-def: $vgpr12
	v_cmpx_eq_u16_e32 44, v6
	s_cbranch_execz .LBB231_253
; %bb.244:
	flat_load_u8 v2, v[10:11]
	s_mov_b32 s11, exec_lo
                                        ; implicit-def: $vgpr12
	s_wait_loadcnt_dscnt 0x0
	v_lshlrev_b32_e32 v3, 23, v2
	v_cmp_ne_u32_e32 vcc_lo, 0xff, v2
	s_delay_alu instid0(VALU_DEP_2) | instskip(SKIP_1) | instid1(VALU_DEP_2)
	v_cndmask_b32_e32 v3, 0x7f800001, v3, vcc_lo
	v_cmp_ne_u32_e32 vcc_lo, 0, v2
	v_cndmask_b32_e32 v2, 0x400000, v3, vcc_lo
	s_wait_xcnt 0x0
	s_delay_alu instid0(VALU_DEP_1)
	v_cmpx_gt_u32_e32 0x47800000, v2
	s_xor_b32 s11, exec_lo, s11
	s_cbranch_execz .LBB231_250
; %bb.245:
	s_mov_b32 s12, exec_lo
                                        ; implicit-def: $vgpr12
	v_cmpx_lt_u32_e32 0x387fffff, v2
	s_xor_b32 s12, exec_lo, s12
; %bb.246:
	v_bfe_u32 v3, v2, 21, 1
	s_delay_alu instid0(VALU_DEP_1) | instskip(NEXT) | instid1(VALU_DEP_1)
	v_add3_u32 v2, v2, v3, 0x80fffff
	v_lshrrev_b32_e32 v12, 21, v2
                                        ; implicit-def: $vgpr2
; %bb.247:
	s_and_not1_saveexec_b32 s12, s12
; %bb.248:
	v_add_f32_e32 v12, 0x43000000, v2
; %bb.249:
	s_or_b32 exec_lo, exec_lo, s12
                                        ; implicit-def: $vgpr2
.LBB231_250:
	s_and_not1_saveexec_b32 s11, s11
; %bb.251:
	v_mov_b32_e32 v3, 0x7f
	v_cmp_lt_u32_e32 vcc_lo, 0x7f800000, v2
	s_delay_alu instid0(VALU_DEP_2)
	v_cndmask_b32_e32 v12, 0x7c, v3, vcc_lo
; %bb.252:
	s_or_b32 exec_lo, exec_lo, s11
	s_delay_alu instid0(SALU_CYCLE_1)
	s_or_b32 s12, s8, exec_lo
	s_xor_b32 s11, exec_lo, -1
.LBB231_253:
	s_or_b32 exec_lo, exec_lo, s10
	s_delay_alu instid0(SALU_CYCLE_1)
	s_and_not1_b32 s8, s8, exec_lo
	s_and_b32 s10, s12, exec_lo
	s_and_not1_b32 s7, s7, exec_lo
	s_and_b32 s11, s11, exec_lo
	s_or_b32 s8, s8, s10
	s_or_b32 s7, s7, s11
.LBB231_254:
	s_or_b32 exec_lo, exec_lo, s9
	s_delay_alu instid0(SALU_CYCLE_1)
	s_and_b32 s9, s8, exec_lo
	s_and_b32 s8, s7, exec_lo
.LBB231_255:
	s_and_not1_saveexec_b32 s6, s6
	s_cbranch_execz .LBB231_267
; %bb.256:
	s_mov_b32 s10, -1
	s_mov_b32 s11, s9
	s_mov_b32 s7, exec_lo
                                        ; implicit-def: $vgpr12
	v_cmpx_eq_u16_e32 29, v6
	s_cbranch_execz .LBB231_266
; %bb.257:
	flat_load_b64 v[2:3], v[10:11]
	s_mov_b32 s10, exec_lo
                                        ; implicit-def: $vgpr12
	s_wait_loadcnt_dscnt 0x0
	v_clz_i32_u32_e32 v4, v3
	s_delay_alu instid0(VALU_DEP_1) | instskip(NEXT) | instid1(VALU_DEP_1)
	v_min_u32_e32 v4, 32, v4
	v_lshlrev_b64_e32 v[2:3], v4, v[2:3]
	s_delay_alu instid0(VALU_DEP_1) | instskip(NEXT) | instid1(VALU_DEP_1)
	v_min_u32_e32 v2, 1, v2
	v_dual_sub_nc_u32 v3, 32, v4 :: v_dual_bitop2_b32 v2, v3, v2 bitop3:0x54
	s_delay_alu instid0(VALU_DEP_1) | instskip(NEXT) | instid1(VALU_DEP_1)
	v_cvt_f32_u32_e32 v2, v2
	v_ldexp_f32 v2, v2, v3
	s_wait_xcnt 0x0
	s_delay_alu instid0(VALU_DEP_1)
	v_cmpx_gt_u32_e32 0x47800000, v2
	s_xor_b32 s10, exec_lo, s10
	s_cbranch_execz .LBB231_263
; %bb.258:
	s_mov_b32 s11, exec_lo
                                        ; implicit-def: $vgpr12
	v_cmpx_lt_u32_e32 0x387fffff, v2
	s_xor_b32 s11, exec_lo, s11
; %bb.259:
	v_bfe_u32 v3, v2, 21, 1
	s_delay_alu instid0(VALU_DEP_1) | instskip(NEXT) | instid1(VALU_DEP_1)
	v_add3_u32 v2, v2, v3, 0x80fffff
	v_lshrrev_b32_e32 v12, 21, v2
                                        ; implicit-def: $vgpr2
; %bb.260:
	s_and_not1_saveexec_b32 s11, s11
; %bb.261:
	v_add_f32_e32 v12, 0x43000000, v2
; %bb.262:
	s_or_b32 exec_lo, exec_lo, s11
                                        ; implicit-def: $vgpr2
.LBB231_263:
	s_and_not1_saveexec_b32 s10, s10
; %bb.264:
	v_mov_b32_e32 v3, 0x7f
	v_cmp_lt_u32_e32 vcc_lo, 0x7f800000, v2
	s_delay_alu instid0(VALU_DEP_2)
	v_cndmask_b32_e32 v12, 0x7c, v3, vcc_lo
; %bb.265:
	s_or_b32 exec_lo, exec_lo, s10
	s_delay_alu instid0(SALU_CYCLE_1)
	s_or_b32 s11, s9, exec_lo
	s_xor_b32 s10, exec_lo, -1
.LBB231_266:
	s_or_b32 exec_lo, exec_lo, s7
	s_delay_alu instid0(SALU_CYCLE_1)
	s_and_not1_b32 s7, s9, exec_lo
	s_and_b32 s9, s11, exec_lo
	s_and_not1_b32 s8, s8, exec_lo
	s_and_b32 s10, s10, exec_lo
	s_or_b32 s9, s7, s9
	s_or_b32 s8, s8, s10
.LBB231_267:
	s_or_b32 exec_lo, exec_lo, s6
	s_delay_alu instid0(SALU_CYCLE_1)
	s_and_b32 s7, s9, exec_lo
	s_and_b32 s6, s8, exec_lo
.LBB231_268:
	s_and_not1_saveexec_b32 s5, s5
	s_cbranch_execz .LBB231_308
; %bb.269:
	s_mov_b32 s8, exec_lo
                                        ; implicit-def: $vgpr12
	v_cmpx_lt_i16_e32 26, v6
	s_xor_b32 s8, exec_lo, s8
	s_cbranch_execz .LBB231_291
; %bb.270:
	s_mov_b32 s9, exec_lo
                                        ; implicit-def: $vgpr12
	v_cmpx_lt_i16_e32 27, v6
	s_xor_b32 s9, exec_lo, s9
	s_cbranch_execz .LBB231_280
; %bb.271:
	flat_load_b32 v2, v[10:11]
	s_mov_b32 s10, exec_lo
                                        ; implicit-def: $vgpr12
	s_wait_loadcnt_dscnt 0x0
	v_cvt_f32_u32_e32 v2, v2
	s_wait_xcnt 0x0
	s_delay_alu instid0(VALU_DEP_1)
	v_cmpx_gt_u32_e32 0x47800000, v2
	s_xor_b32 s10, exec_lo, s10
	s_cbranch_execz .LBB231_277
; %bb.272:
	s_mov_b32 s11, exec_lo
                                        ; implicit-def: $vgpr12
	v_cmpx_lt_u32_e32 0x387fffff, v2
	s_xor_b32 s11, exec_lo, s11
; %bb.273:
	v_bfe_u32 v3, v2, 21, 1
	s_delay_alu instid0(VALU_DEP_1) | instskip(NEXT) | instid1(VALU_DEP_1)
	v_add3_u32 v2, v2, v3, 0x80fffff
	v_lshrrev_b32_e32 v12, 21, v2
                                        ; implicit-def: $vgpr2
; %bb.274:
	s_and_not1_saveexec_b32 s11, s11
; %bb.275:
	v_add_f32_e32 v12, 0x43000000, v2
; %bb.276:
	s_or_b32 exec_lo, exec_lo, s11
                                        ; implicit-def: $vgpr2
.LBB231_277:
	s_and_not1_saveexec_b32 s10, s10
; %bb.278:
	v_mov_b32_e32 v3, 0x7f
	v_cmp_lt_u32_e32 vcc_lo, 0x7f800000, v2
	s_delay_alu instid0(VALU_DEP_2)
	v_cndmask_b32_e32 v12, 0x7c, v3, vcc_lo
; %bb.279:
	s_or_b32 exec_lo, exec_lo, s10
.LBB231_280:
	s_and_not1_saveexec_b32 s9, s9
	s_cbranch_execz .LBB231_290
; %bb.281:
	flat_load_u16 v2, v[10:11]
	s_mov_b32 s10, exec_lo
                                        ; implicit-def: $vgpr12
	s_wait_loadcnt_dscnt 0x0
	v_cvt_f32_u32_e32 v2, v2
	s_wait_xcnt 0x0
	s_delay_alu instid0(VALU_DEP_1)
	v_cmpx_gt_u32_e32 0x47800000, v2
	s_xor_b32 s10, exec_lo, s10
	s_cbranch_execz .LBB231_287
; %bb.282:
	s_mov_b32 s11, exec_lo
                                        ; implicit-def: $vgpr12
	v_cmpx_lt_u32_e32 0x387fffff, v2
	s_xor_b32 s11, exec_lo, s11
; %bb.283:
	v_bfe_u32 v3, v2, 21, 1
	s_delay_alu instid0(VALU_DEP_1) | instskip(NEXT) | instid1(VALU_DEP_1)
	v_add3_u32 v2, v2, v3, 0x80fffff
	v_lshrrev_b32_e32 v12, 21, v2
                                        ; implicit-def: $vgpr2
; %bb.284:
	s_and_not1_saveexec_b32 s11, s11
; %bb.285:
	v_add_f32_e32 v12, 0x43000000, v2
; %bb.286:
	s_or_b32 exec_lo, exec_lo, s11
                                        ; implicit-def: $vgpr2
.LBB231_287:
	s_and_not1_saveexec_b32 s10, s10
; %bb.288:
	v_mov_b32_e32 v3, 0x7f
	v_cmp_lt_u32_e32 vcc_lo, 0x7f800000, v2
	s_delay_alu instid0(VALU_DEP_2)
	v_cndmask_b32_e32 v12, 0x7c, v3, vcc_lo
; %bb.289:
	s_or_b32 exec_lo, exec_lo, s10
.LBB231_290:
	s_delay_alu instid0(SALU_CYCLE_1)
	s_or_b32 exec_lo, exec_lo, s9
.LBB231_291:
	s_and_not1_saveexec_b32 s8, s8
	s_cbranch_execz .LBB231_307
; %bb.292:
	flat_load_u8 v3, v[10:11]
	s_mov_b32 s9, 0
	s_mov_b32 s10, exec_lo
	s_wait_loadcnt_dscnt 0x0
	v_cmpx_lt_i16_e32 0x7f, v3
	s_xor_b32 s10, exec_lo, s10
	s_cbranch_execz .LBB231_561
; %bb.293:
	s_mov_b32 s9, -1
	s_mov_b32 s11, exec_lo
	v_cmpx_eq_u16_e32 0x80, v3
; %bb.294:
	s_xor_b32 s9, exec_lo, -1
; %bb.295:
	s_or_b32 exec_lo, exec_lo, s11
	s_delay_alu instid0(SALU_CYCLE_1)
	s_and_b32 s9, s9, exec_lo
	s_or_saveexec_b32 s10, s10
	v_mov_b32_e32 v2, 0x7f800001
	s_xor_b32 exec_lo, exec_lo, s10
	s_cbranch_execnz .LBB231_562
.LBB231_296:
	s_or_b32 exec_lo, exec_lo, s10
	s_and_saveexec_b32 s10, s9
	s_cbranch_execz .LBB231_298
.LBB231_297:
	v_and_b32_e32 v2, 0xffff, v3
	s_delay_alu instid0(VALU_DEP_1) | instskip(SKIP_1) | instid1(VALU_DEP_2)
	v_and_b32_e32 v4, 7, v2
	v_bfe_u32 v8, v2, 3, 4
	v_clz_i32_u32_e32 v5, v4
	s_delay_alu instid0(VALU_DEP_2) | instskip(NEXT) | instid1(VALU_DEP_2)
	v_cmp_eq_u32_e32 vcc_lo, 0, v8
	v_min_u32_e32 v5, 32, v5
	s_delay_alu instid0(VALU_DEP_1) | instskip(NEXT) | instid1(VALU_DEP_1)
	v_subrev_nc_u32_e32 v7, 28, v5
	v_dual_lshlrev_b32 v2, v7, v2 :: v_dual_sub_nc_u32 v5, 29, v5
	s_delay_alu instid0(VALU_DEP_1) | instskip(NEXT) | instid1(VALU_DEP_2)
	v_dual_lshlrev_b32 v3, 24, v3 :: v_dual_bitop2_b32 v2, 7, v2 bitop3:0x40
	v_cndmask_b32_e32 v5, v8, v5, vcc_lo
	s_delay_alu instid0(VALU_DEP_2) | instskip(NEXT) | instid1(VALU_DEP_3)
	v_cndmask_b32_e32 v2, v4, v2, vcc_lo
	v_and_b32_e32 v3, 0x80000000, v3
	s_delay_alu instid0(VALU_DEP_3) | instskip(NEXT) | instid1(VALU_DEP_3)
	v_lshl_add_u32 v4, v5, 23, 0x3b800000
	v_lshlrev_b32_e32 v2, 20, v2
	s_delay_alu instid0(VALU_DEP_1)
	v_or3_b32 v2, v3, v4, v2
.LBB231_298:
	s_or_b32 exec_lo, exec_lo, s10
	s_delay_alu instid0(VALU_DEP_1) | instskip(SKIP_1) | instid1(VALU_DEP_1)
	v_and_b32_e32 v4, 0x7fffffff, v2
	s_mov_b32 s9, exec_lo
                                        ; implicit-def: $vgpr3
	v_cmpx_gt_u32_e32 0x47800000, v4
	s_xor_b32 s9, exec_lo, s9
	s_cbranch_execz .LBB231_304
; %bb.299:
	s_mov_b32 s10, exec_lo
                                        ; implicit-def: $vgpr3
	v_cmpx_lt_u32_e32 0x387fffff, v4
	s_xor_b32 s10, exec_lo, s10
; %bb.300:
	v_bfe_u32 v3, v2, 21, 1
	s_delay_alu instid0(VALU_DEP_1) | instskip(NEXT) | instid1(VALU_DEP_1)
	v_add3_u32 v3, v2, v3, 0x80fffff
	v_lshrrev_b32_e32 v3, 21, v3
; %bb.301:
	s_and_not1_saveexec_b32 s10, s10
; %bb.302:
	v_add_f32_e64 v3, 0x43000000, |v2|
; %bb.303:
	s_or_b32 exec_lo, exec_lo, s10
                                        ; implicit-def: $vgpr4
.LBB231_304:
	s_and_not1_saveexec_b32 s9, s9
; %bb.305:
	v_mov_b32_e32 v3, 0x7f
	v_cmp_lt_u32_e32 vcc_lo, 0x7f800000, v4
	s_delay_alu instid0(VALU_DEP_2)
	v_cndmask_b32_e32 v3, 0x7c, v3, vcc_lo
; %bb.306:
	s_or_b32 exec_lo, exec_lo, s9
	v_lshrrev_b32_e32 v2, 24, v2
	s_delay_alu instid0(VALU_DEP_1)
	v_and_or_b32 v12, 0x80, v2, v3
.LBB231_307:
	s_or_b32 exec_lo, exec_lo, s8
	s_delay_alu instid0(SALU_CYCLE_1)
	s_or_b32 s7, s7, exec_lo
.LBB231_308:
	s_or_b32 exec_lo, exec_lo, s5
	s_delay_alu instid0(SALU_CYCLE_1)
	s_and_b32 s5, s7, exec_lo
	s_and_b32 s6, s6, exec_lo
	s_and_not1_saveexec_b32 s4, s4
	s_cbranch_execnz .LBB231_509
.LBB231_309:
	s_or_b32 exec_lo, exec_lo, s4
	s_mov_b32 s7, s0
	s_and_saveexec_b32 s4, s6
	s_cbranch_execnz .LBB231_558
.LBB231_310:
	s_or_b32 exec_lo, exec_lo, s4
	s_delay_alu instid0(SALU_CYCLE_1)
	s_and_b32 s6, s5, exec_lo
	s_and_not1_b32 s5, s0, exec_lo
	s_and_b32 s7, s7, exec_lo
	s_xor_b32 s4, exec_lo, -1
	s_and_b32 s3, s3, exec_lo
	s_or_b32 s5, s5, s7
.LBB231_311:
	s_or_b32 exec_lo, exec_lo, s2
	s_delay_alu instid0(SALU_CYCLE_1)
	s_and_b32 s2, s6, exec_lo
	s_and_not1_b32 s0, s0, exec_lo
	s_and_b32 s6, s5, exec_lo
	s_and_b32 s4, s4, exec_lo
	s_and_b32 s5, s3, exec_lo
	s_or_b32 s0, s0, s6
	s_or_b32 exec_lo, exec_lo, s1
	s_and_saveexec_b32 s1, s0
	s_cbranch_execnz .LBB231_325
.LBB231_312:
	s_or_b32 exec_lo, exec_lo, s1
	s_and_saveexec_b32 s0, s5
	s_cbranch_execz .LBB231_326
.LBB231_313:
	flat_load_u8 v2, v[10:11]
	s_mov_b32 s1, exec_lo
                                        ; implicit-def: $vgpr12
	s_wait_loadcnt_dscnt 0x0
	v_cmp_ne_u16_e32 vcc_lo, 0, v2
	v_cndmask_b32_e64 v2, 0, 1.0, vcc_lo
	s_wait_xcnt 0x0
	s_delay_alu instid0(VALU_DEP_1)
	v_cmpx_gt_u32_e32 0x47800000, v2
	s_xor_b32 s1, exec_lo, s1
	s_cbranch_execz .LBB231_319
; %bb.314:
	s_mov_b32 s3, exec_lo
                                        ; implicit-def: $vgpr12
	v_cmpx_lt_u32_e32 0x387fffff, v2
	s_xor_b32 s3, exec_lo, s3
; %bb.315:
	v_bfe_u32 v3, v2, 21, 1
	s_delay_alu instid0(VALU_DEP_1) | instskip(NEXT) | instid1(VALU_DEP_1)
	v_add3_u32 v2, v2, v3, 0x80fffff
	v_lshrrev_b32_e32 v12, 21, v2
                                        ; implicit-def: $vgpr2
; %bb.316:
	s_and_not1_saveexec_b32 s3, s3
; %bb.317:
	v_add_f32_e32 v12, 0x43000000, v2
; %bb.318:
	s_or_b32 exec_lo, exec_lo, s3
                                        ; implicit-def: $vgpr2
.LBB231_319:
	s_and_not1_saveexec_b32 s1, s1
; %bb.320:
	v_mov_b32_e32 v3, 0x7f
	v_cmp_lt_u32_e32 vcc_lo, 0x7f800000, v2
	s_delay_alu instid0(VALU_DEP_2)
	v_cndmask_b32_e32 v12, 0x7c, v3, vcc_lo
; %bb.321:
	s_or_b32 exec_lo, exec_lo, s1
	s_delay_alu instid0(SALU_CYCLE_1)
	s_or_b32 s2, s2, exec_lo
	s_or_b32 exec_lo, exec_lo, s0
	s_and_saveexec_b32 s0, s4
	s_cbranch_execnz .LBB231_327
.LBB231_322:
	s_or_b32 exec_lo, exec_lo, s0
                                        ; implicit-def: $sgpr1
	s_and_saveexec_b32 s0, s2
	s_cbranch_execz .LBB231_456
.LBB231_323:
	s_wait_loadcnt_dscnt 0x0
	v_perm_b32 v2, v12, v1, 0x5040100
	v_dual_lshlrev_b32 v7, 25, v12 :: v_dual_lshlrev_b32 v1, 25, v1
	s_movk_i32 s1, 0x7f00
	s_mov_b32 s2, 0x7800000
	s_delay_alu instid0(VALU_DEP_2) | instskip(NEXT) | instid1(VALU_DEP_2)
	v_pk_lshlrev_b16 v6, 8, v2 op_sel_hi:[0,1]
	v_dual_lshrrev_b32 v3, 4, v7 :: v_dual_lshrrev_b32 v4, 4, v1
	v_cmp_gt_u32_e32 vcc_lo, 0x8000000, v7
	s_delay_alu instid0(VALU_DEP_3) | instskip(SKIP_1) | instid1(VALU_DEP_4)
	v_and_b32_e32 v2, 0x7f007f00, v6
	v_bitop3_b32 v5, v6, s1, 0x7f007f00 bitop3:0x80
	v_or_b32_e32 v3, 0x70000000, v3
	s_delay_alu instid0(VALU_DEP_3) | instskip(SKIP_1) | instid1(VALU_DEP_4)
	v_lshrrev_b32_e32 v8, 16, v2
	v_or_b32_e32 v2, 0x70000000, v4
	v_or_b32_e32 v4, 0.5, v5
	s_delay_alu instid0(VALU_DEP_3) | instskip(NEXT) | instid1(VALU_DEP_3)
	v_dual_ashrrev_i32 v8, 16, v6 :: v_dual_bitop2_b32 v5, 0.5, v8 bitop3:0x54
	v_pk_mul_f32 v[2:3], v[2:3], s[2:3] op_sel_hi:[1,0]
	v_bfe_i32 v6, v6, 0, 16
	s_delay_alu instid0(VALU_DEP_3) | instskip(NEXT) | instid1(VALU_DEP_4)
	v_pk_add_f32 v[4:5], v[4:5], -0.5 op_sel_hi:[1,0]
	v_and_b32_e32 v8, 0x80000000, v8
	s_delay_alu instid0(VALU_DEP_3) | instskip(NEXT) | instid1(VALU_DEP_3)
	v_and_b32_e32 v6, 0x80000000, v6
	v_cndmask_b32_e32 v3, v3, v5, vcc_lo
	v_cmp_gt_u32_e32 vcc_lo, 0x8000000, v1
	s_delay_alu instid0(VALU_DEP_2) | instskip(NEXT) | instid1(VALU_DEP_1)
	v_dual_cndmask_b32 v1, v2, v4, vcc_lo :: v_dual_bitop2_b32 v2, v8, v3 bitop3:0x54
	v_or_b32_e32 v1, v6, v1
	s_delay_alu instid0(VALU_DEP_1) | instskip(SKIP_4) | instid1(VALU_DEP_2)
	v_cmp_eq_f32_e32 vcc_lo, v1, v2
	v_cndmask_b32_e64 v3, 0, 1, vcc_lo
	v_cmp_neq_f32_e32 vcc_lo, v1, v2
	v_cndmask_b32_e64 v1, 0, 1, vcc_lo
	v_cmp_eq_u32_e32 vcc_lo, 0, v0
	v_cndmask_b32_e32 v0, v1, v3, vcc_lo
	s_delay_alu instid0(VALU_DEP_1) | instskip(NEXT) | instid1(VALU_DEP_1)
	v_and_b32_e32 v0, 1, v0
	v_cmp_eq_u32_e64 s1, 1, v0
	s_or_b32 exec_lo, exec_lo, s0
	v_cndmask_b32_e64 v0, 0, 1, s1
	s_set_pc_i64 s[30:31]
.LBB231_324:
	s_or_b32 exec_lo, exec_lo, s1
	s_and_saveexec_b32 s1, s0
	s_cbranch_execz .LBB231_312
.LBB231_325:
	; divergent unreachable
	s_or_b32 exec_lo, exec_lo, s1
	s_and_saveexec_b32 s0, s5
	s_cbranch_execnz .LBB231_313
.LBB231_326:
	s_or_b32 exec_lo, exec_lo, s0
	s_and_saveexec_b32 s0, s4
	s_cbranch_execz .LBB231_322
.LBB231_327:
	s_mov_b32 s1, exec_lo
                                        ; implicit-def: $vgpr12
	v_cmpx_lt_i16_e32 4, v6
	s_xor_b32 s1, exec_lo, s1
	s_cbranch_execz .LBB231_397
; %bb.328:
	s_mov_b32 s3, exec_lo
                                        ; implicit-def: $vgpr12
	v_cmpx_lt_i16_e32 7, v6
	s_xor_b32 s3, exec_lo, s3
	s_cbranch_execz .LBB231_362
; %bb.329:
	;; [unrolled: 6-line block ×4, first 2 shown]
	flat_load_b64 v[2:3], v[10:11]
	s_mov_b32 s6, exec_lo
	s_wait_loadcnt_dscnt 0x0
	v_cvt_f32_f64_e32 v2, v[2:3]
                                        ; implicit-def: $vgpr3
	s_delay_alu instid0(VALU_DEP_1) | instskip(SKIP_1) | instid1(VALU_DEP_1)
	v_and_b32_e32 v4, 0x7fffffff, v2
	s_wait_xcnt 0x0
	v_cmpx_gt_u32_e32 0x47800000, v4
	s_xor_b32 s6, exec_lo, s6
	s_cbranch_execz .LBB231_337
; %bb.332:
	s_mov_b32 s7, exec_lo
                                        ; implicit-def: $vgpr3
	v_cmpx_lt_u32_e32 0x387fffff, v4
	s_xor_b32 s7, exec_lo, s7
; %bb.333:
	v_bfe_u32 v3, v2, 21, 1
	s_delay_alu instid0(VALU_DEP_1) | instskip(NEXT) | instid1(VALU_DEP_1)
	v_add3_u32 v3, v2, v3, 0x80fffff
	v_lshrrev_b32_e32 v3, 21, v3
; %bb.334:
	s_and_not1_saveexec_b32 s7, s7
; %bb.335:
	v_add_f32_e64 v3, 0x43000000, |v2|
; %bb.336:
	s_or_b32 exec_lo, exec_lo, s7
                                        ; implicit-def: $vgpr4
.LBB231_337:
	s_and_not1_saveexec_b32 s6, s6
; %bb.338:
	v_mov_b32_e32 v3, 0x7f
	v_cmp_lt_u32_e32 vcc_lo, 0x7f800000, v4
	s_delay_alu instid0(VALU_DEP_2)
	v_cndmask_b32_e32 v3, 0x7c, v3, vcc_lo
; %bb.339:
	s_or_b32 exec_lo, exec_lo, s6
	v_lshrrev_b32_e32 v2, 24, v2
                                        ; implicit-def: $vgpr10_vgpr11
	s_delay_alu instid0(VALU_DEP_1)
	v_and_or_b32 v12, 0x80, v2, v3
.LBB231_340:
	s_and_not1_saveexec_b32 s5, s5
	s_cbranch_execz .LBB231_350
; %bb.341:
	flat_load_b32 v2, v[10:11]
	s_mov_b32 s6, exec_lo
                                        ; implicit-def: $vgpr3
	s_wait_loadcnt_dscnt 0x0
	v_and_b32_e32 v4, 0x7fffffff, v2
	s_wait_xcnt 0x0
	s_delay_alu instid0(VALU_DEP_1)
	v_cmpx_gt_u32_e32 0x47800000, v4
	s_xor_b32 s6, exec_lo, s6
	s_cbranch_execz .LBB231_347
; %bb.342:
	s_mov_b32 s7, exec_lo
                                        ; implicit-def: $vgpr3
	v_cmpx_lt_u32_e32 0x387fffff, v4
	s_xor_b32 s7, exec_lo, s7
; %bb.343:
	v_bfe_u32 v3, v2, 21, 1
	s_delay_alu instid0(VALU_DEP_1) | instskip(NEXT) | instid1(VALU_DEP_1)
	v_add3_u32 v3, v2, v3, 0x80fffff
	v_lshrrev_b32_e32 v3, 21, v3
; %bb.344:
	s_and_not1_saveexec_b32 s7, s7
; %bb.345:
	v_add_f32_e64 v3, 0x43000000, |v2|
; %bb.346:
	s_or_b32 exec_lo, exec_lo, s7
                                        ; implicit-def: $vgpr4
.LBB231_347:
	s_and_not1_saveexec_b32 s6, s6
; %bb.348:
	v_mov_b32_e32 v3, 0x7f
	v_cmp_lt_u32_e32 vcc_lo, 0x7f800000, v4
	s_delay_alu instid0(VALU_DEP_2)
	v_cndmask_b32_e32 v3, 0x7c, v3, vcc_lo
; %bb.349:
	s_or_b32 exec_lo, exec_lo, s6
	v_lshrrev_b32_e32 v2, 24, v2
	s_delay_alu instid0(VALU_DEP_1)
	v_and_or_b32 v12, 0x80, v2, v3
.LBB231_350:
	s_or_b32 exec_lo, exec_lo, s5
                                        ; implicit-def: $vgpr10_vgpr11
.LBB231_351:
	s_and_not1_saveexec_b32 s4, s4
	s_cbranch_execz .LBB231_361
; %bb.352:
	flat_load_b32 v2, v[10:11]
	s_mov_b32 s5, exec_lo
                                        ; implicit-def: $vgpr3
	s_wait_loadcnt_dscnt 0x0
	v_cvt_f32_f16_e32 v2, v2
	s_delay_alu instid0(VALU_DEP_1) | instskip(SKIP_1) | instid1(VALU_DEP_1)
	v_and_b32_e32 v4, 0x7fffffff, v2
	s_wait_xcnt 0x0
	v_cmpx_gt_u32_e32 0x47800000, v4
	s_xor_b32 s5, exec_lo, s5
	s_cbranch_execz .LBB231_358
; %bb.353:
	s_mov_b32 s6, exec_lo
                                        ; implicit-def: $vgpr3
	v_cmpx_lt_u32_e32 0x387fffff, v4
	s_xor_b32 s6, exec_lo, s6
; %bb.354:
	v_bfe_u32 v3, v2, 21, 1
	s_delay_alu instid0(VALU_DEP_1) | instskip(NEXT) | instid1(VALU_DEP_1)
	v_add3_u32 v3, v2, v3, 0x80fffff
	v_lshrrev_b32_e32 v3, 21, v3
; %bb.355:
	s_and_not1_saveexec_b32 s6, s6
; %bb.356:
	v_add_f32_e64 v3, 0x43000000, |v2|
; %bb.357:
	s_or_b32 exec_lo, exec_lo, s6
                                        ; implicit-def: $vgpr4
.LBB231_358:
	s_and_not1_saveexec_b32 s5, s5
; %bb.359:
	v_mov_b32_e32 v3, 0x7f
	v_cmp_lt_u32_e32 vcc_lo, 0x7f800000, v4
	s_delay_alu instid0(VALU_DEP_2)
	v_cndmask_b32_e32 v3, 0x7c, v3, vcc_lo
; %bb.360:
	s_or_b32 exec_lo, exec_lo, s5
	v_lshrrev_b32_e32 v2, 24, v2
	s_delay_alu instid0(VALU_DEP_1)
	v_and_or_b32 v12, 0x80, v2, v3
.LBB231_361:
	s_or_b32 exec_lo, exec_lo, s4
                                        ; implicit-def: $vgpr10_vgpr11
.LBB231_362:
	s_and_not1_saveexec_b32 s3, s3
	s_cbranch_execz .LBB231_396
; %bb.363:
	s_mov_b32 s4, exec_lo
                                        ; implicit-def: $vgpr12
	v_cmpx_lt_i16_e32 5, v6
	s_xor_b32 s4, exec_lo, s4
	s_cbranch_execz .LBB231_385
; %bb.364:
	s_mov_b32 s5, exec_lo
                                        ; implicit-def: $vgpr12
	v_cmpx_lt_i16_e32 6, v6
	s_xor_b32 s5, exec_lo, s5
	s_cbranch_execz .LBB231_374
; %bb.365:
	flat_load_b64 v[2:3], v[10:11]
	s_mov_b32 s6, exec_lo
	s_wait_loadcnt_dscnt 0x0
	v_cvt_f32_f64_e32 v2, v[2:3]
                                        ; implicit-def: $vgpr3
	s_delay_alu instid0(VALU_DEP_1) | instskip(SKIP_1) | instid1(VALU_DEP_1)
	v_and_b32_e32 v4, 0x7fffffff, v2
	s_wait_xcnt 0x0
	v_cmpx_gt_u32_e32 0x47800000, v4
	s_xor_b32 s6, exec_lo, s6
	s_cbranch_execz .LBB231_371
; %bb.366:
	s_mov_b32 s7, exec_lo
                                        ; implicit-def: $vgpr3
	v_cmpx_lt_u32_e32 0x387fffff, v4
	s_xor_b32 s7, exec_lo, s7
; %bb.367:
	v_bfe_u32 v3, v2, 21, 1
	s_delay_alu instid0(VALU_DEP_1) | instskip(NEXT) | instid1(VALU_DEP_1)
	v_add3_u32 v3, v2, v3, 0x80fffff
	v_lshrrev_b32_e32 v3, 21, v3
; %bb.368:
	s_and_not1_saveexec_b32 s7, s7
; %bb.369:
	v_add_f32_e64 v3, 0x43000000, |v2|
; %bb.370:
	s_or_b32 exec_lo, exec_lo, s7
                                        ; implicit-def: $vgpr4
.LBB231_371:
	s_and_not1_saveexec_b32 s6, s6
; %bb.372:
	v_mov_b32_e32 v3, 0x7f
	v_cmp_lt_u32_e32 vcc_lo, 0x7f800000, v4
	s_delay_alu instid0(VALU_DEP_2)
	v_cndmask_b32_e32 v3, 0x7c, v3, vcc_lo
; %bb.373:
	s_or_b32 exec_lo, exec_lo, s6
	v_lshrrev_b32_e32 v2, 24, v2
                                        ; implicit-def: $vgpr10_vgpr11
	s_delay_alu instid0(VALU_DEP_1)
	v_and_or_b32 v12, 0x80, v2, v3
.LBB231_374:
	s_and_not1_saveexec_b32 s5, s5
	s_cbranch_execz .LBB231_384
; %bb.375:
	flat_load_b32 v2, v[10:11]
	s_mov_b32 s6, exec_lo
                                        ; implicit-def: $vgpr3
	s_wait_loadcnt_dscnt 0x0
	v_and_b32_e32 v4, 0x7fffffff, v2
	s_wait_xcnt 0x0
	s_delay_alu instid0(VALU_DEP_1)
	v_cmpx_gt_u32_e32 0x47800000, v4
	s_xor_b32 s6, exec_lo, s6
	s_cbranch_execz .LBB231_381
; %bb.376:
	s_mov_b32 s7, exec_lo
                                        ; implicit-def: $vgpr3
	v_cmpx_lt_u32_e32 0x387fffff, v4
	s_xor_b32 s7, exec_lo, s7
; %bb.377:
	v_bfe_u32 v3, v2, 21, 1
	s_delay_alu instid0(VALU_DEP_1) | instskip(NEXT) | instid1(VALU_DEP_1)
	v_add3_u32 v3, v2, v3, 0x80fffff
	v_lshrrev_b32_e32 v3, 21, v3
; %bb.378:
	s_and_not1_saveexec_b32 s7, s7
; %bb.379:
	v_add_f32_e64 v3, 0x43000000, |v2|
; %bb.380:
	s_or_b32 exec_lo, exec_lo, s7
                                        ; implicit-def: $vgpr4
.LBB231_381:
	s_and_not1_saveexec_b32 s6, s6
; %bb.382:
	v_mov_b32_e32 v3, 0x7f
	v_cmp_lt_u32_e32 vcc_lo, 0x7f800000, v4
	s_delay_alu instid0(VALU_DEP_2)
	v_cndmask_b32_e32 v3, 0x7c, v3, vcc_lo
; %bb.383:
	s_or_b32 exec_lo, exec_lo, s6
	v_lshrrev_b32_e32 v2, 24, v2
	s_delay_alu instid0(VALU_DEP_1)
	v_and_or_b32 v12, 0x80, v2, v3
.LBB231_384:
	s_or_b32 exec_lo, exec_lo, s5
                                        ; implicit-def: $vgpr10_vgpr11
.LBB231_385:
	s_and_not1_saveexec_b32 s4, s4
	s_cbranch_execz .LBB231_395
; %bb.386:
	flat_load_u16 v2, v[10:11]
	s_mov_b32 s5, exec_lo
                                        ; implicit-def: $vgpr3
	s_wait_loadcnt_dscnt 0x0
	v_cvt_f32_f16_e32 v2, v2
	s_delay_alu instid0(VALU_DEP_1) | instskip(SKIP_1) | instid1(VALU_DEP_1)
	v_and_b32_e32 v4, 0x7fffffff, v2
	s_wait_xcnt 0x0
	v_cmpx_gt_u32_e32 0x47800000, v4
	s_xor_b32 s5, exec_lo, s5
	s_cbranch_execz .LBB231_392
; %bb.387:
	s_mov_b32 s6, exec_lo
                                        ; implicit-def: $vgpr3
	v_cmpx_lt_u32_e32 0x387fffff, v4
	s_xor_b32 s6, exec_lo, s6
; %bb.388:
	v_bfe_u32 v3, v2, 21, 1
	s_delay_alu instid0(VALU_DEP_1) | instskip(NEXT) | instid1(VALU_DEP_1)
	v_add3_u32 v3, v2, v3, 0x80fffff
	v_lshrrev_b32_e32 v3, 21, v3
; %bb.389:
	s_and_not1_saveexec_b32 s6, s6
; %bb.390:
	v_add_f32_e64 v3, 0x43000000, |v2|
; %bb.391:
	s_or_b32 exec_lo, exec_lo, s6
                                        ; implicit-def: $vgpr4
.LBB231_392:
	s_and_not1_saveexec_b32 s5, s5
; %bb.393:
	v_mov_b32_e32 v3, 0x7f
	v_cmp_lt_u32_e32 vcc_lo, 0x7f800000, v4
	s_delay_alu instid0(VALU_DEP_2)
	v_cndmask_b32_e32 v3, 0x7c, v3, vcc_lo
; %bb.394:
	s_or_b32 exec_lo, exec_lo, s5
	v_lshrrev_b32_e32 v2, 24, v2
	s_delay_alu instid0(VALU_DEP_1)
	v_and_or_b32 v12, 0x80, v2, v3
.LBB231_395:
	s_or_b32 exec_lo, exec_lo, s4
.LBB231_396:
	s_delay_alu instid0(SALU_CYCLE_1)
	s_or_b32 exec_lo, exec_lo, s3
                                        ; implicit-def: $vgpr10_vgpr11
.LBB231_397:
	s_and_not1_saveexec_b32 s1, s1
	s_cbranch_execz .LBB231_455
; %bb.398:
	s_mov_b32 s3, exec_lo
                                        ; implicit-def: $vgpr12
	v_cmpx_lt_i16_e32 1, v6
	s_xor_b32 s3, exec_lo, s3
	s_cbranch_execz .LBB231_432
; %bb.399:
	s_mov_b32 s4, exec_lo
                                        ; implicit-def: $vgpr12
	v_cmpx_lt_i16_e32 2, v6
	s_xor_b32 s4, exec_lo, s4
	;; [unrolled: 6-line block ×3, first 2 shown]
	s_cbranch_execz .LBB231_410
; %bb.401:
	flat_load_b64 v[2:3], v[10:11]
	s_mov_b32 s6, exec_lo
	s_wait_loadcnt_dscnt 0x0
	v_xor_b32_e32 v4, v2, v3
	v_cls_i32_e32 v5, v3
	s_delay_alu instid0(VALU_DEP_2) | instskip(NEXT) | instid1(VALU_DEP_1)
	v_ashrrev_i32_e32 v4, 31, v4
	v_add_nc_u32_e32 v4, 32, v4
	s_delay_alu instid0(VALU_DEP_1) | instskip(NEXT) | instid1(VALU_DEP_1)
	v_add_min_u32_e64 v4, v5, -1, v4
	v_lshlrev_b64_e32 v[2:3], v4, v[2:3]
	s_delay_alu instid0(VALU_DEP_1) | instskip(NEXT) | instid1(VALU_DEP_1)
	v_min_u32_e32 v2, 1, v2
	v_dual_sub_nc_u32 v3, 32, v4 :: v_dual_bitop2_b32 v2, v3, v2 bitop3:0x54
	s_delay_alu instid0(VALU_DEP_1) | instskip(NEXT) | instid1(VALU_DEP_1)
	v_cvt_f32_i32_e32 v2, v2
	v_ldexp_f32 v2, v2, v3
                                        ; implicit-def: $vgpr3
	s_delay_alu instid0(VALU_DEP_1) | instskip(SKIP_1) | instid1(VALU_DEP_1)
	v_and_b32_e32 v4, 0x7fffffff, v2
	s_wait_xcnt 0x0
	v_cmpx_gt_u32_e32 0x47800000, v4
	s_xor_b32 s6, exec_lo, s6
	s_cbranch_execz .LBB231_407
; %bb.402:
	s_mov_b32 s7, exec_lo
                                        ; implicit-def: $vgpr3
	v_cmpx_lt_u32_e32 0x387fffff, v4
	s_xor_b32 s7, exec_lo, s7
; %bb.403:
	v_bfe_u32 v3, v2, 21, 1
	s_delay_alu instid0(VALU_DEP_1) | instskip(NEXT) | instid1(VALU_DEP_1)
	v_add3_u32 v3, v2, v3, 0x80fffff
	v_lshrrev_b32_e32 v3, 21, v3
; %bb.404:
	s_and_not1_saveexec_b32 s7, s7
; %bb.405:
	v_add_f32_e64 v3, 0x43000000, |v2|
; %bb.406:
	s_or_b32 exec_lo, exec_lo, s7
                                        ; implicit-def: $vgpr4
.LBB231_407:
	s_and_not1_saveexec_b32 s6, s6
; %bb.408:
	v_mov_b32_e32 v3, 0x7f
	v_cmp_lt_u32_e32 vcc_lo, 0x7f800000, v4
	s_delay_alu instid0(VALU_DEP_2)
	v_cndmask_b32_e32 v3, 0x7c, v3, vcc_lo
; %bb.409:
	s_or_b32 exec_lo, exec_lo, s6
	v_lshrrev_b32_e32 v2, 24, v2
                                        ; implicit-def: $vgpr10_vgpr11
	s_delay_alu instid0(VALU_DEP_1)
	v_and_or_b32 v12, 0x80, v2, v3
.LBB231_410:
	s_and_not1_saveexec_b32 s5, s5
	s_cbranch_execz .LBB231_420
; %bb.411:
	flat_load_b32 v2, v[10:11]
	s_mov_b32 s6, exec_lo
                                        ; implicit-def: $vgpr3
	s_wait_loadcnt_dscnt 0x0
	v_cvt_f32_i32_e32 v2, v2
	s_delay_alu instid0(VALU_DEP_1) | instskip(SKIP_1) | instid1(VALU_DEP_1)
	v_and_b32_e32 v4, 0x7fffffff, v2
	s_wait_xcnt 0x0
	v_cmpx_gt_u32_e32 0x47800000, v4
	s_xor_b32 s6, exec_lo, s6
	s_cbranch_execz .LBB231_417
; %bb.412:
	s_mov_b32 s7, exec_lo
                                        ; implicit-def: $vgpr3
	v_cmpx_lt_u32_e32 0x387fffff, v4
	s_xor_b32 s7, exec_lo, s7
; %bb.413:
	v_bfe_u32 v3, v2, 21, 1
	s_delay_alu instid0(VALU_DEP_1) | instskip(NEXT) | instid1(VALU_DEP_1)
	v_add3_u32 v3, v2, v3, 0x80fffff
	v_lshrrev_b32_e32 v3, 21, v3
; %bb.414:
	s_and_not1_saveexec_b32 s7, s7
; %bb.415:
	v_add_f32_e64 v3, 0x43000000, |v2|
; %bb.416:
	s_or_b32 exec_lo, exec_lo, s7
                                        ; implicit-def: $vgpr4
.LBB231_417:
	s_and_not1_saveexec_b32 s6, s6
; %bb.418:
	v_mov_b32_e32 v3, 0x7f
	v_cmp_lt_u32_e32 vcc_lo, 0x7f800000, v4
	s_delay_alu instid0(VALU_DEP_2)
	v_cndmask_b32_e32 v3, 0x7c, v3, vcc_lo
; %bb.419:
	s_or_b32 exec_lo, exec_lo, s6
	v_lshrrev_b32_e32 v2, 24, v2
	s_delay_alu instid0(VALU_DEP_1)
	v_and_or_b32 v12, 0x80, v2, v3
.LBB231_420:
	s_or_b32 exec_lo, exec_lo, s5
                                        ; implicit-def: $vgpr10_vgpr11
.LBB231_421:
	s_and_not1_saveexec_b32 s4, s4
	s_cbranch_execz .LBB231_431
; %bb.422:
	flat_load_i16 v2, v[10:11]
	s_mov_b32 s5, exec_lo
                                        ; implicit-def: $vgpr3
	s_wait_loadcnt_dscnt 0x0
	v_cvt_f32_i32_e32 v2, v2
	s_delay_alu instid0(VALU_DEP_1) | instskip(SKIP_1) | instid1(VALU_DEP_1)
	v_and_b32_e32 v4, 0x7fffffff, v2
	s_wait_xcnt 0x0
	v_cmpx_gt_u32_e32 0x47800000, v4
	s_xor_b32 s5, exec_lo, s5
	s_cbranch_execz .LBB231_428
; %bb.423:
	s_mov_b32 s6, exec_lo
                                        ; implicit-def: $vgpr3
	v_cmpx_lt_u32_e32 0x387fffff, v4
	s_xor_b32 s6, exec_lo, s6
; %bb.424:
	v_bfe_u32 v3, v2, 21, 1
	s_delay_alu instid0(VALU_DEP_1) | instskip(NEXT) | instid1(VALU_DEP_1)
	v_add3_u32 v3, v2, v3, 0x80fffff
	v_lshrrev_b32_e32 v3, 21, v3
; %bb.425:
	s_and_not1_saveexec_b32 s6, s6
; %bb.426:
	v_add_f32_e64 v3, 0x43000000, |v2|
; %bb.427:
	s_or_b32 exec_lo, exec_lo, s6
                                        ; implicit-def: $vgpr4
.LBB231_428:
	s_and_not1_saveexec_b32 s5, s5
; %bb.429:
	v_mov_b32_e32 v3, 0x7f
	v_cmp_lt_u32_e32 vcc_lo, 0x7f800000, v4
	s_delay_alu instid0(VALU_DEP_2)
	v_cndmask_b32_e32 v3, 0x7c, v3, vcc_lo
; %bb.430:
	s_or_b32 exec_lo, exec_lo, s5
	v_lshrrev_b32_e32 v2, 24, v2
	s_delay_alu instid0(VALU_DEP_1)
	v_and_or_b32 v12, 0x80, v2, v3
.LBB231_431:
	s_or_b32 exec_lo, exec_lo, s4
                                        ; implicit-def: $vgpr10_vgpr11
.LBB231_432:
	s_and_not1_saveexec_b32 s3, s3
	s_cbranch_execz .LBB231_454
; %bb.433:
	s_mov_b32 s4, exec_lo
                                        ; implicit-def: $vgpr12
	v_cmpx_lt_i16_e32 0, v6
	s_xor_b32 s4, exec_lo, s4
	s_cbranch_execz .LBB231_443
; %bb.434:
	flat_load_i8 v2, v[10:11]
	s_mov_b32 s5, exec_lo
                                        ; implicit-def: $vgpr3
	s_wait_loadcnt_dscnt 0x0
	v_cvt_f32_i32_e32 v2, v2
	s_delay_alu instid0(VALU_DEP_1) | instskip(SKIP_1) | instid1(VALU_DEP_1)
	v_and_b32_e32 v4, 0x7fffffff, v2
	s_wait_xcnt 0x0
	v_cmpx_gt_u32_e32 0x47800000, v4
	s_xor_b32 s5, exec_lo, s5
	s_cbranch_execz .LBB231_440
; %bb.435:
	s_mov_b32 s6, exec_lo
                                        ; implicit-def: $vgpr3
	v_cmpx_lt_u32_e32 0x387fffff, v4
	s_xor_b32 s6, exec_lo, s6
; %bb.436:
	v_bfe_u32 v3, v2, 21, 1
	s_delay_alu instid0(VALU_DEP_1) | instskip(NEXT) | instid1(VALU_DEP_1)
	v_add3_u32 v3, v2, v3, 0x80fffff
	v_lshrrev_b32_e32 v3, 21, v3
; %bb.437:
	s_and_not1_saveexec_b32 s6, s6
; %bb.438:
	v_add_f32_e64 v3, 0x43000000, |v2|
; %bb.439:
	s_or_b32 exec_lo, exec_lo, s6
                                        ; implicit-def: $vgpr4
.LBB231_440:
	s_and_not1_saveexec_b32 s5, s5
; %bb.441:
	v_mov_b32_e32 v3, 0x7f
	v_cmp_lt_u32_e32 vcc_lo, 0x7f800000, v4
	s_delay_alu instid0(VALU_DEP_2)
	v_cndmask_b32_e32 v3, 0x7c, v3, vcc_lo
; %bb.442:
	s_or_b32 exec_lo, exec_lo, s5
	v_lshrrev_b32_e32 v2, 24, v2
                                        ; implicit-def: $vgpr10_vgpr11
	s_delay_alu instid0(VALU_DEP_1)
	v_and_or_b32 v12, 0x80, v2, v3
.LBB231_443:
	s_and_not1_saveexec_b32 s4, s4
	s_cbranch_execz .LBB231_453
; %bb.444:
	flat_load_u8 v2, v[10:11]
	s_mov_b32 s5, exec_lo
                                        ; implicit-def: $vgpr12
	s_wait_loadcnt_dscnt 0x0
	v_cvt_f32_ubyte0_e32 v2, v2
	s_wait_xcnt 0x0
	s_delay_alu instid0(VALU_DEP_1)
	v_cmpx_gt_u32_e32 0x47800000, v2
	s_xor_b32 s5, exec_lo, s5
	s_cbranch_execz .LBB231_450
; %bb.445:
	s_mov_b32 s6, exec_lo
                                        ; implicit-def: $vgpr12
	v_cmpx_lt_u32_e32 0x387fffff, v2
	s_xor_b32 s6, exec_lo, s6
; %bb.446:
	v_bfe_u32 v3, v2, 21, 1
	s_delay_alu instid0(VALU_DEP_1) | instskip(NEXT) | instid1(VALU_DEP_1)
	v_add3_u32 v2, v2, v3, 0x80fffff
	v_lshrrev_b32_e32 v12, 21, v2
                                        ; implicit-def: $vgpr2
; %bb.447:
	s_and_not1_saveexec_b32 s6, s6
; %bb.448:
	v_add_f32_e32 v12, 0x43000000, v2
; %bb.449:
	s_or_b32 exec_lo, exec_lo, s6
                                        ; implicit-def: $vgpr2
.LBB231_450:
	s_and_not1_saveexec_b32 s5, s5
; %bb.451:
	v_mov_b32_e32 v3, 0x7f
	v_cmp_lt_u32_e32 vcc_lo, 0x7f800000, v2
	s_delay_alu instid0(VALU_DEP_2)
	v_cndmask_b32_e32 v12, 0x7c, v3, vcc_lo
; %bb.452:
	s_or_b32 exec_lo, exec_lo, s5
.LBB231_453:
	s_delay_alu instid0(SALU_CYCLE_1)
	s_or_b32 exec_lo, exec_lo, s4
.LBB231_454:
	s_delay_alu instid0(SALU_CYCLE_1)
	s_or_b32 exec_lo, exec_lo, s3
.LBB231_455:
	s_delay_alu instid0(SALU_CYCLE_1) | instskip(NEXT) | instid1(SALU_CYCLE_1)
	s_or_b32 exec_lo, exec_lo, s1
	s_or_b32 s2, s2, exec_lo
	s_or_b32 exec_lo, exec_lo, s0
                                        ; implicit-def: $sgpr1
	s_and_saveexec_b32 s0, s2
	s_cbranch_execnz .LBB231_323
.LBB231_456:
	s_or_b32 exec_lo, exec_lo, s0
	v_cndmask_b32_e64 v0, 0, 1, s1
	s_wait_loadcnt_dscnt 0x0
	s_set_pc_i64 s[30:31]
.LBB231_457:
	s_and_not1_saveexec_b32 s2, s2
	s_cbranch_execz .LBB231_83
.LBB231_458:
	s_mov_b32 s5, s3
	s_mov_b32 s0, exec_lo
                                        ; implicit-def: $vgpr1
	v_cmpx_lt_i16_e32 22, v6
	s_xor_b32 s0, exec_lo, s0
	s_cbranch_execz .LBB231_490
; %bb.459:
	s_mov_b32 s5, exec_lo
                                        ; implicit-def: $vgpr1
	v_cmpx_lt_i16_e32 23, v6
	s_xor_b32 s5, exec_lo, s5
	s_cbranch_execz .LBB231_487
; %bb.460:
	;; [unrolled: 6-line block ×3, first 2 shown]
	flat_load_u8 v6, v[10:11]
	s_mov_b32 s7, 0
	s_mov_b32 s8, exec_lo
	s_wait_loadcnt_dscnt 0x0
	v_cmpx_lt_i16_e32 0x7f, v6
	s_xor_b32 s8, exec_lo, s8
	s_cbranch_execz .LBB231_563
; %bb.462:
	s_mov_b32 s7, -1
	s_mov_b32 s9, exec_lo
	v_cmpx_eq_u16_e32 0x80, v6
; %bb.463:
	s_xor_b32 s7, exec_lo, -1
; %bb.464:
	s_or_b32 exec_lo, exec_lo, s9
	s_delay_alu instid0(SALU_CYCLE_1)
	s_and_b32 s7, s7, exec_lo
	s_or_saveexec_b32 s8, s8
	v_mov_b32_e32 v1, 0x7f800001
	s_xor_b32 exec_lo, exec_lo, s8
	s_cbranch_execnz .LBB231_564
.LBB231_465:
	s_or_b32 exec_lo, exec_lo, s8
	s_and_saveexec_b32 s8, s7
	s_cbranch_execz .LBB231_467
.LBB231_466:
	v_and_b32_e32 v1, 0xffff, v6
	s_delay_alu instid0(VALU_DEP_1) | instskip(SKIP_1) | instid1(VALU_DEP_2)
	v_dual_lshlrev_b32 v6, 24, v6 :: v_dual_bitop2_b32 v12, 3, v1 bitop3:0x40
	v_bfe_u32 v15, v1, 2, 5
	v_and_b32_e32 v6, 0x80000000, v6
	s_delay_alu instid0(VALU_DEP_3) | instskip(NEXT) | instid1(VALU_DEP_3)
	v_clz_i32_u32_e32 v13, v12
	v_cmp_eq_u32_e32 vcc_lo, 0, v15
	s_delay_alu instid0(VALU_DEP_2) | instskip(NEXT) | instid1(VALU_DEP_1)
	v_min_u32_e32 v13, 32, v13
	v_subrev_nc_u32_e32 v14, 29, v13
	v_sub_nc_u32_e32 v13, 30, v13
	s_delay_alu instid0(VALU_DEP_2) | instskip(NEXT) | instid1(VALU_DEP_2)
	v_lshlrev_b32_e32 v1, v14, v1
	v_cndmask_b32_e32 v13, v15, v13, vcc_lo
	s_delay_alu instid0(VALU_DEP_2) | instskip(NEXT) | instid1(VALU_DEP_1)
	v_and_b32_e32 v1, 3, v1
	v_cndmask_b32_e32 v1, v12, v1, vcc_lo
	s_delay_alu instid0(VALU_DEP_3) | instskip(NEXT) | instid1(VALU_DEP_2)
	v_lshl_add_u32 v12, v13, 23, 0x37800000
	v_lshlrev_b32_e32 v1, 21, v1
	s_delay_alu instid0(VALU_DEP_1)
	v_or3_b32 v1, v6, v12, v1
.LBB231_467:
	s_or_b32 exec_lo, exec_lo, s8
	s_delay_alu instid0(VALU_DEP_1) | instskip(SKIP_1) | instid1(VALU_DEP_1)
	v_and_b32_e32 v12, 0x7fffffff, v1
	s_mov_b32 s7, exec_lo
                                        ; implicit-def: $vgpr6
	v_cmpx_gt_u32_e32 0x47800000, v12
	s_xor_b32 s7, exec_lo, s7
	s_cbranch_execz .LBB231_473
; %bb.468:
	s_mov_b32 s8, exec_lo
                                        ; implicit-def: $vgpr6
	v_cmpx_lt_u32_e32 0x387fffff, v12
	s_xor_b32 s8, exec_lo, s8
; %bb.469:
	v_bfe_u32 v6, v1, 21, 1
	s_delay_alu instid0(VALU_DEP_1) | instskip(NEXT) | instid1(VALU_DEP_1)
	v_add3_u32 v6, v1, v6, 0x80fffff
	v_lshrrev_b32_e32 v6, 21, v6
; %bb.470:
	s_and_not1_saveexec_b32 s8, s8
; %bb.471:
	v_add_f32_e64 v6, 0x43000000, |v1|
; %bb.472:
	s_or_b32 exec_lo, exec_lo, s8
                                        ; implicit-def: $vgpr12
.LBB231_473:
	s_and_not1_saveexec_b32 s7, s7
; %bb.474:
	v_mov_b32_e32 v6, 0x7f
	v_cmp_lt_u32_e32 vcc_lo, 0x7f800000, v12
	s_delay_alu instid0(VALU_DEP_2)
	v_cndmask_b32_e32 v6, 0x7c, v6, vcc_lo
; %bb.475:
	s_or_b32 exec_lo, exec_lo, s7
	v_lshrrev_b32_e32 v1, 24, v1
	s_delay_alu instid0(VALU_DEP_1)
	v_and_or_b32 v1, 0x80, v1, v6
.LBB231_476:
	s_and_not1_saveexec_b32 s6, s6
	s_cbranch_execz .LBB231_486
; %bb.477:
	flat_load_u8 v1, v[10:11]
	s_mov_b32 s7, exec_lo
	s_wait_loadcnt_dscnt 0x0
	v_lshlrev_b32_e32 v1, 24, v1
	s_delay_alu instid0(VALU_DEP_1) | instskip(NEXT) | instid1(VALU_DEP_1)
	v_and_b32_e32 v6, 0x7f000000, v1
	v_clz_i32_u32_e32 v12, v6
	v_cmp_ne_u32_e32 vcc_lo, 0, v6
	v_add_nc_u32_e32 v14, 0x1000000, v6
	s_delay_alu instid0(VALU_DEP_3) | instskip(NEXT) | instid1(VALU_DEP_1)
	v_min_u32_e32 v12, 32, v12
	v_sub_nc_u32_e64 v12, v12, 4 clamp
	s_delay_alu instid0(VALU_DEP_1) | instskip(NEXT) | instid1(VALU_DEP_1)
	v_lshlrev_b32_e32 v13, v12, v6
                                        ; implicit-def: $vgpr6
	v_dual_lshlrev_b32 v12, 23, v12 :: v_dual_lshrrev_b32 v13, 4, v13
	s_delay_alu instid0(VALU_DEP_1) | instskip(NEXT) | instid1(VALU_DEP_1)
	v_dual_sub_nc_u32 v12, v13, v12 :: v_dual_ashrrev_i32 v13, 8, v14
	v_add_nc_u32_e32 v12, 0x3c000000, v12
	s_delay_alu instid0(VALU_DEP_1) | instskip(NEXT) | instid1(VALU_DEP_1)
	v_and_or_b32 v12, 0x7f800000, v13, v12
	v_cndmask_b32_e32 v13, 0, v12, vcc_lo
	s_delay_alu instid0(VALU_DEP_1) | instskip(NEXT) | instid1(VALU_DEP_1)
	v_and_or_b32 v1, 0x80000000, v1, v13
	v_and_b32_e32 v12, 0x7fffffff, v1
	s_wait_xcnt 0x0
	s_delay_alu instid0(VALU_DEP_1)
	v_cmpx_gt_u32_e32 0x47800000, v12
	s_xor_b32 s7, exec_lo, s7
	s_cbranch_execz .LBB231_483
; %bb.478:
	s_mov_b32 s8, exec_lo
                                        ; implicit-def: $vgpr6
	v_cmpx_lt_u32_e32 0x387fffff, v12
	s_xor_b32 s8, exec_lo, s8
; %bb.479:
	v_bfe_u32 v6, v13, 21, 1
	s_delay_alu instid0(VALU_DEP_1) | instskip(NEXT) | instid1(VALU_DEP_1)
	v_add3_u32 v6, v1, v6, 0x80fffff
	v_lshrrev_b32_e32 v6, 21, v6
; %bb.480:
	s_and_not1_saveexec_b32 s8, s8
; %bb.481:
	v_add_f32_e64 v6, 0x43000000, |v1|
; %bb.482:
	s_or_b32 exec_lo, exec_lo, s8
                                        ; implicit-def: $vgpr12
.LBB231_483:
	s_and_not1_saveexec_b32 s7, s7
; %bb.484:
	v_mov_b32_e32 v6, 0x7f
	v_cmp_lt_u32_e32 vcc_lo, 0x7f800000, v12
	s_delay_alu instid0(VALU_DEP_2)
	v_cndmask_b32_e32 v6, 0x7c, v6, vcc_lo
; %bb.485:
	s_or_b32 exec_lo, exec_lo, s7
	v_lshrrev_b32_e32 v1, 24, v1
	s_delay_alu instid0(VALU_DEP_1)
	v_and_or_b32 v1, 0x80, v1, v6
.LBB231_486:
	s_or_b32 exec_lo, exec_lo, s6
.LBB231_487:
	s_and_not1_saveexec_b32 s5, s5
	s_cbranch_execz .LBB231_489
; %bb.488:
	flat_load_u8 v1, v[10:11]
.LBB231_489:
	s_wait_xcnt 0x0
	s_or_b32 exec_lo, exec_lo, s5
	s_delay_alu instid0(SALU_CYCLE_1)
	s_or_b32 s5, s3, exec_lo
                                        ; implicit-def: $vgpr6
.LBB231_490:
	s_or_saveexec_b32 s0, s0
	s_mov_b32 s6, 0
	s_mov_b32 s7, s4
	s_xor_b32 exec_lo, exec_lo, s0
	s_cbranch_execz .LBB231_506
; %bb.491:
	s_mov_b32 s7, s4
	s_mov_b32 s8, s5
	s_mov_b32 s6, exec_lo
                                        ; implicit-def: $vgpr1
	v_cmpx_lt_i16_e32 14, v6
	s_xor_b32 s6, exec_lo, s6
	s_cbranch_execz .LBB231_503
; %bb.492:
	s_mov_b32 s8, -1
	s_mov_b32 s9, s5
	s_mov_b32 s7, exec_lo
                                        ; implicit-def: $vgpr1
	v_cmpx_eq_u16_e32 15, v6
	s_cbranch_execz .LBB231_502
; %bb.493:
	s_wait_loadcnt_dscnt 0x0
	flat_load_u16 v1, v[10:11]
	s_mov_b32 s8, exec_lo
                                        ; implicit-def: $vgpr6
	s_wait_loadcnt_dscnt 0x0
	v_lshlrev_b32_e32 v12, 16, v1
	s_delay_alu instid0(VALU_DEP_1) | instskip(SKIP_1) | instid1(VALU_DEP_1)
	v_and_b32_e32 v13, 0x7fffffff, v12
	s_wait_xcnt 0x0
	v_cmpx_gt_u32_e32 0x47800000, v13
	s_xor_b32 s8, exec_lo, s8
	s_cbranch_execz .LBB231_499
; %bb.494:
	s_mov_b32 s9, exec_lo
                                        ; implicit-def: $vgpr6
	v_cmpx_lt_u32_e32 0x387fffff, v13
	s_xor_b32 s9, exec_lo, s9
; %bb.495:
	v_bfe_u32 v6, v1, 5, 1
	s_delay_alu instid0(VALU_DEP_1) | instskip(NEXT) | instid1(VALU_DEP_1)
	v_add3_u32 v6, v12, v6, 0x80fffff
                                        ; implicit-def: $vgpr12
	v_lshrrev_b32_e32 v6, 21, v6
; %bb.496:
	s_and_not1_saveexec_b32 s9, s9
; %bb.497:
	v_add_f32_e64 v6, 0x43000000, |v12|
; %bb.498:
	s_or_b32 exec_lo, exec_lo, s9
                                        ; implicit-def: $vgpr13
.LBB231_499:
	s_and_not1_saveexec_b32 s8, s8
; %bb.500:
	v_mov_b32_e32 v6, 0x7f
	v_cmp_lt_u32_e32 vcc_lo, 0x7f800000, v13
	s_delay_alu instid0(VALU_DEP_2)
	v_cndmask_b32_e32 v6, 0x7c, v6, vcc_lo
; %bb.501:
	s_or_b32 exec_lo, exec_lo, s8
	v_lshrrev_b32_e32 v1, 8, v1
	s_or_b32 s9, s5, exec_lo
	s_xor_b32 s8, exec_lo, -1
	s_delay_alu instid0(VALU_DEP_1)
	v_and_or_b32 v1, 0x80, v1, v6
.LBB231_502:
	s_or_b32 exec_lo, exec_lo, s7
	s_delay_alu instid0(SALU_CYCLE_1)
	s_and_not1_b32 s7, s5, exec_lo
	s_and_b32 s9, s9, exec_lo
	s_and_not1_b32 s10, s4, exec_lo
	s_and_b32 s11, s8, exec_lo
	s_or_b32 s8, s7, s9
	s_or_b32 s7, s10, s11
                                        ; implicit-def: $vgpr6
.LBB231_503:
	s_or_saveexec_b32 s6, s6
	s_mov_b32 s9, 0
	s_xor_b32 exec_lo, exec_lo, s6
; %bb.504:
	v_cmp_ne_u16_e32 vcc_lo, 11, v6
	s_and_not1_b32 s7, s7, exec_lo
	s_mov_b32 s9, exec_lo
	s_and_b32 s10, vcc_lo, exec_lo
	s_delay_alu instid0(SALU_CYCLE_1)
	s_or_b32 s7, s7, s10
; %bb.505:
	s_or_b32 exec_lo, exec_lo, s6
	s_delay_alu instid0(SALU_CYCLE_1)
	s_and_not1_b32 s5, s5, exec_lo
	s_and_b32 s6, s8, exec_lo
	s_and_not1_b32 s8, s4, exec_lo
	s_and_b32 s7, s7, exec_lo
	s_or_b32 s5, s5, s6
	s_and_b32 s6, s9, exec_lo
	s_or_b32 s7, s8, s7
.LBB231_506:
	s_or_b32 exec_lo, exec_lo, s0
	s_delay_alu instid0(SALU_CYCLE_1)
	s_and_not1_b32 s0, s3, exec_lo
	s_and_b32 s3, s5, exec_lo
	s_and_not1_b32 s4, s4, exec_lo
	s_and_b32 s5, s7, exec_lo
	s_or_b32 s3, s0, s3
	s_and_b32 s0, s6, exec_lo
	s_or_b32 s4, s4, s5
	s_or_b32 exec_lo, exec_lo, s2
	s_mov_b32 s2, 0
	s_and_saveexec_b32 s5, s4
	s_cbranch_execz .LBB231_84
.LBB231_507:
	s_mov_b32 s2, exec_lo
	s_and_not1_b32 s0, s0, exec_lo
	s_trap 2
	s_or_b32 exec_lo, exec_lo, s5
	s_and_saveexec_b32 s4, s0
	s_cbranch_execnz .LBB231_85
	s_branch .LBB231_94
.LBB231_508:
	s_and_not1_saveexec_b32 s4, s4
	s_cbranch_execz .LBB231_309
.LBB231_509:
	s_mov_b32 s7, s5
	s_mov_b32 s3, exec_lo
                                        ; implicit-def: $vgpr12
	v_cmpx_lt_i16_e32 22, v6
	s_xor_b32 s3, exec_lo, s3
	s_cbranch_execz .LBB231_541
; %bb.510:
	s_mov_b32 s7, exec_lo
                                        ; implicit-def: $vgpr12
	v_cmpx_lt_i16_e32 23, v6
	s_xor_b32 s7, exec_lo, s7
	s_cbranch_execz .LBB231_538
; %bb.511:
	;; [unrolled: 6-line block ×3, first 2 shown]
	flat_load_u8 v3, v[10:11]
	s_mov_b32 s9, 0
	s_mov_b32 s10, exec_lo
	s_wait_loadcnt_dscnt 0x0
	v_cmpx_lt_i16_e32 0x7f, v3
	s_xor_b32 s10, exec_lo, s10
	s_cbranch_execz .LBB231_565
; %bb.513:
	s_mov_b32 s9, -1
	s_mov_b32 s11, exec_lo
	v_cmpx_eq_u16_e32 0x80, v3
; %bb.514:
	s_xor_b32 s9, exec_lo, -1
; %bb.515:
	s_or_b32 exec_lo, exec_lo, s11
	s_delay_alu instid0(SALU_CYCLE_1)
	s_and_b32 s9, s9, exec_lo
	s_or_saveexec_b32 s10, s10
	v_mov_b32_e32 v2, 0x7f800001
	s_xor_b32 exec_lo, exec_lo, s10
	s_cbranch_execnz .LBB231_566
.LBB231_516:
	s_or_b32 exec_lo, exec_lo, s10
	s_and_saveexec_b32 s10, s9
	s_cbranch_execz .LBB231_518
.LBB231_517:
	v_and_b32_e32 v2, 0xffff, v3
	s_delay_alu instid0(VALU_DEP_1) | instskip(SKIP_1) | instid1(VALU_DEP_2)
	v_and_b32_e32 v4, 3, v2
	v_bfe_u32 v8, v2, 2, 5
	v_clz_i32_u32_e32 v5, v4
	s_delay_alu instid0(VALU_DEP_2) | instskip(NEXT) | instid1(VALU_DEP_2)
	v_cmp_eq_u32_e32 vcc_lo, 0, v8
	v_min_u32_e32 v5, 32, v5
	s_delay_alu instid0(VALU_DEP_1) | instskip(NEXT) | instid1(VALU_DEP_1)
	v_subrev_nc_u32_e32 v7, 29, v5
	v_dual_lshlrev_b32 v2, v7, v2 :: v_dual_sub_nc_u32 v5, 30, v5
	s_delay_alu instid0(VALU_DEP_1) | instskip(NEXT) | instid1(VALU_DEP_2)
	v_dual_lshlrev_b32 v3, 24, v3 :: v_dual_bitop2_b32 v2, 3, v2 bitop3:0x40
	v_cndmask_b32_e32 v5, v8, v5, vcc_lo
	s_delay_alu instid0(VALU_DEP_2) | instskip(NEXT) | instid1(VALU_DEP_3)
	v_cndmask_b32_e32 v2, v4, v2, vcc_lo
	v_and_b32_e32 v3, 0x80000000, v3
	s_delay_alu instid0(VALU_DEP_3) | instskip(NEXT) | instid1(VALU_DEP_3)
	v_lshl_add_u32 v4, v5, 23, 0x37800000
	v_lshlrev_b32_e32 v2, 21, v2
	s_delay_alu instid0(VALU_DEP_1)
	v_or3_b32 v2, v3, v4, v2
.LBB231_518:
	s_or_b32 exec_lo, exec_lo, s10
	s_delay_alu instid0(VALU_DEP_1) | instskip(SKIP_1) | instid1(VALU_DEP_1)
	v_and_b32_e32 v4, 0x7fffffff, v2
	s_mov_b32 s9, exec_lo
                                        ; implicit-def: $vgpr3
	v_cmpx_gt_u32_e32 0x47800000, v4
	s_xor_b32 s9, exec_lo, s9
	s_cbranch_execz .LBB231_524
; %bb.519:
	s_mov_b32 s10, exec_lo
                                        ; implicit-def: $vgpr3
	v_cmpx_lt_u32_e32 0x387fffff, v4
	s_xor_b32 s10, exec_lo, s10
; %bb.520:
	v_bfe_u32 v3, v2, 21, 1
	s_delay_alu instid0(VALU_DEP_1) | instskip(NEXT) | instid1(VALU_DEP_1)
	v_add3_u32 v3, v2, v3, 0x80fffff
	v_lshrrev_b32_e32 v3, 21, v3
; %bb.521:
	s_and_not1_saveexec_b32 s10, s10
; %bb.522:
	v_add_f32_e64 v3, 0x43000000, |v2|
; %bb.523:
	s_or_b32 exec_lo, exec_lo, s10
                                        ; implicit-def: $vgpr4
.LBB231_524:
	s_and_not1_saveexec_b32 s9, s9
; %bb.525:
	v_mov_b32_e32 v3, 0x7f
	v_cmp_lt_u32_e32 vcc_lo, 0x7f800000, v4
	s_delay_alu instid0(VALU_DEP_2)
	v_cndmask_b32_e32 v3, 0x7c, v3, vcc_lo
; %bb.526:
	s_or_b32 exec_lo, exec_lo, s9
	v_lshrrev_b32_e32 v2, 24, v2
	s_delay_alu instid0(VALU_DEP_1)
	v_and_or_b32 v12, 0x80, v2, v3
.LBB231_527:
	s_and_not1_saveexec_b32 s8, s8
	s_cbranch_execz .LBB231_537
; %bb.528:
	flat_load_u8 v2, v[10:11]
	s_mov_b32 s9, exec_lo
	s_wait_loadcnt_dscnt 0x0
	v_lshlrev_b32_e32 v2, 24, v2
	s_delay_alu instid0(VALU_DEP_1) | instskip(NEXT) | instid1(VALU_DEP_1)
	v_and_b32_e32 v3, 0x7f000000, v2
	v_clz_i32_u32_e32 v4, v3
	v_add_nc_u32_e32 v7, 0x1000000, v3
	v_cmp_ne_u32_e32 vcc_lo, 0, v3
	s_delay_alu instid0(VALU_DEP_3) | instskip(NEXT) | instid1(VALU_DEP_1)
	v_min_u32_e32 v4, 32, v4
	v_sub_nc_u32_e64 v4, v4, 4 clamp
	s_delay_alu instid0(VALU_DEP_1) | instskip(NEXT) | instid1(VALU_DEP_1)
	v_lshlrev_b32_e32 v5, v4, v3
                                        ; implicit-def: $vgpr3
	v_dual_lshlrev_b32 v4, 23, v4 :: v_dual_lshrrev_b32 v5, 4, v5
	s_delay_alu instid0(VALU_DEP_1) | instskip(NEXT) | instid1(VALU_DEP_1)
	v_dual_sub_nc_u32 v4, v5, v4 :: v_dual_ashrrev_i32 v5, 8, v7
	v_add_nc_u32_e32 v4, 0x3c000000, v4
	s_delay_alu instid0(VALU_DEP_1) | instskip(NEXT) | instid1(VALU_DEP_1)
	v_and_or_b32 v4, 0x7f800000, v5, v4
	v_cndmask_b32_e32 v5, 0, v4, vcc_lo
	s_delay_alu instid0(VALU_DEP_1) | instskip(NEXT) | instid1(VALU_DEP_1)
	v_and_or_b32 v2, 0x80000000, v2, v5
	v_and_b32_e32 v4, 0x7fffffff, v2
	s_wait_xcnt 0x0
	s_delay_alu instid0(VALU_DEP_1)
	v_cmpx_gt_u32_e32 0x47800000, v4
	s_xor_b32 s9, exec_lo, s9
	s_cbranch_execz .LBB231_534
; %bb.529:
	s_mov_b32 s10, exec_lo
                                        ; implicit-def: $vgpr3
	v_cmpx_lt_u32_e32 0x387fffff, v4
	s_xor_b32 s10, exec_lo, s10
; %bb.530:
	v_bfe_u32 v3, v5, 21, 1
	s_delay_alu instid0(VALU_DEP_1) | instskip(NEXT) | instid1(VALU_DEP_1)
	v_add3_u32 v3, v2, v3, 0x80fffff
	v_lshrrev_b32_e32 v3, 21, v3
; %bb.531:
	s_and_not1_saveexec_b32 s10, s10
; %bb.532:
	v_add_f32_e64 v3, 0x43000000, |v2|
; %bb.533:
	s_or_b32 exec_lo, exec_lo, s10
                                        ; implicit-def: $vgpr4
.LBB231_534:
	s_and_not1_saveexec_b32 s9, s9
; %bb.535:
	v_mov_b32_e32 v3, 0x7f
	v_cmp_lt_u32_e32 vcc_lo, 0x7f800000, v4
	s_delay_alu instid0(VALU_DEP_2)
	v_cndmask_b32_e32 v3, 0x7c, v3, vcc_lo
; %bb.536:
	s_or_b32 exec_lo, exec_lo, s9
	v_lshrrev_b32_e32 v2, 24, v2
	s_delay_alu instid0(VALU_DEP_1)
	v_and_or_b32 v12, 0x80, v2, v3
.LBB231_537:
	s_or_b32 exec_lo, exec_lo, s8
.LBB231_538:
	s_and_not1_saveexec_b32 s7, s7
	s_cbranch_execz .LBB231_540
; %bb.539:
	flat_load_u8 v12, v[10:11]
.LBB231_540:
	s_wait_xcnt 0x0
	s_or_b32 exec_lo, exec_lo, s7
	s_delay_alu instid0(SALU_CYCLE_1)
	s_or_b32 s7, s5, exec_lo
.LBB231_541:
	s_or_saveexec_b32 s3, s3
	s_mov_b32 s8, 0
	s_mov_b32 s9, s6
	s_xor_b32 exec_lo, exec_lo, s3
	s_cbranch_execz .LBB231_557
; %bb.542:
	s_mov_b32 s9, s6
	s_mov_b32 s10, s7
	s_mov_b32 s8, exec_lo
                                        ; implicit-def: $vgpr12
	v_cmpx_lt_i16_e32 14, v6
	s_xor_b32 s8, exec_lo, s8
	s_cbranch_execz .LBB231_554
; %bb.543:
	s_mov_b32 s10, -1
	s_mov_b32 s11, s7
	s_mov_b32 s9, exec_lo
                                        ; implicit-def: $vgpr12
	v_cmpx_eq_u16_e32 15, v6
	s_cbranch_execz .LBB231_553
; %bb.544:
	flat_load_u16 v2, v[10:11]
	s_mov_b32 s10, exec_lo
                                        ; implicit-def: $vgpr3
	s_wait_loadcnt_dscnt 0x0
	v_lshlrev_b32_e32 v4, 16, v2
	s_delay_alu instid0(VALU_DEP_1) | instskip(SKIP_1) | instid1(VALU_DEP_1)
	v_and_b32_e32 v5, 0x7fffffff, v4
	s_wait_xcnt 0x0
	v_cmpx_gt_u32_e32 0x47800000, v5
	s_xor_b32 s10, exec_lo, s10
	s_cbranch_execz .LBB231_550
; %bb.545:
	s_mov_b32 s11, exec_lo
                                        ; implicit-def: $vgpr3
	v_cmpx_lt_u32_e32 0x387fffff, v5
	s_xor_b32 s11, exec_lo, s11
; %bb.546:
	v_bfe_u32 v3, v2, 5, 1
	s_delay_alu instid0(VALU_DEP_1) | instskip(NEXT) | instid1(VALU_DEP_1)
	v_add3_u32 v3, v4, v3, 0x80fffff
                                        ; implicit-def: $vgpr4
	v_lshrrev_b32_e32 v3, 21, v3
; %bb.547:
	s_and_not1_saveexec_b32 s11, s11
; %bb.548:
	v_add_f32_e64 v3, 0x43000000, |v4|
; %bb.549:
	s_or_b32 exec_lo, exec_lo, s11
                                        ; implicit-def: $vgpr5
.LBB231_550:
	s_and_not1_saveexec_b32 s10, s10
; %bb.551:
	v_mov_b32_e32 v3, 0x7f
	v_cmp_lt_u32_e32 vcc_lo, 0x7f800000, v5
	s_delay_alu instid0(VALU_DEP_2)
	v_cndmask_b32_e32 v3, 0x7c, v3, vcc_lo
; %bb.552:
	s_or_b32 exec_lo, exec_lo, s10
	v_lshrrev_b32_e32 v2, 8, v2
	s_or_b32 s11, s7, exec_lo
	s_xor_b32 s10, exec_lo, -1
	s_delay_alu instid0(VALU_DEP_1)
	v_and_or_b32 v12, 0x80, v2, v3
.LBB231_553:
	s_or_b32 exec_lo, exec_lo, s9
	s_delay_alu instid0(SALU_CYCLE_1)
	s_and_not1_b32 s9, s7, exec_lo
	s_and_b32 s11, s11, exec_lo
	s_and_not1_b32 s12, s6, exec_lo
	s_and_b32 s13, s10, exec_lo
	s_or_b32 s10, s9, s11
	s_or_b32 s9, s12, s13
.LBB231_554:
	s_or_saveexec_b32 s11, s8
	s_mov_b32 s8, 0
	s_xor_b32 exec_lo, exec_lo, s11
; %bb.555:
	v_cmp_ne_u16_e32 vcc_lo, 11, v6
	s_and_not1_b32 s9, s9, exec_lo
	s_mov_b32 s8, exec_lo
	s_and_b32 s12, vcc_lo, exec_lo
	s_delay_alu instid0(SALU_CYCLE_1)
	s_or_b32 s9, s9, s12
; %bb.556:
	s_or_b32 exec_lo, exec_lo, s11
	s_delay_alu instid0(SALU_CYCLE_1)
	s_and_not1_b32 s7, s7, exec_lo
	s_and_b32 s10, s10, exec_lo
	s_and_b32 s9, s9, exec_lo
	s_or_b32 s7, s7, s10
	s_and_not1_b32 s10, s6, exec_lo
	s_and_b32 s8, s8, exec_lo
	s_or_b32 s9, s10, s9
.LBB231_557:
	s_or_b32 exec_lo, exec_lo, s3
	s_delay_alu instid0(SALU_CYCLE_1)
	s_and_not1_b32 s3, s5, exec_lo
	s_and_b32 s5, s7, exec_lo
	s_and_not1_b32 s6, s6, exec_lo
	s_and_b32 s7, s9, exec_lo
	s_or_b32 s5, s3, s5
	s_and_b32 s3, s8, exec_lo
	s_or_b32 s6, s6, s7
	s_or_b32 exec_lo, exec_lo, s4
	s_mov_b32 s7, s0
	s_and_saveexec_b32 s4, s6
	s_cbranch_execz .LBB231_310
.LBB231_558:
	s_and_not1_b32 s3, s3, exec_lo
	s_or_b32 s7, s0, exec_lo
	s_trap 2
	s_branch .LBB231_310
.LBB231_559:
	s_or_saveexec_b32 s8, s8
	v_mov_b32_e32 v1, 0x7f800001
	s_xor_b32 exec_lo, exec_lo, s8
	s_cbranch_execz .LBB231_70
.LBB231_560:
	v_cmp_ne_u16_e32 vcc_lo, 0, v6
	v_mov_b32_e32 v1, 0
	s_and_not1_b32 s7, s7, exec_lo
	s_and_b32 s9, vcc_lo, exec_lo
	s_delay_alu instid0(SALU_CYCLE_1)
	s_or_b32 s7, s7, s9
	s_or_b32 exec_lo, exec_lo, s8
	s_and_saveexec_b32 s8, s7
	s_cbranch_execnz .LBB231_71
	s_branch .LBB231_72
.LBB231_561:
	s_or_saveexec_b32 s10, s10
	v_mov_b32_e32 v2, 0x7f800001
	s_xor_b32 exec_lo, exec_lo, s10
	s_cbranch_execz .LBB231_296
.LBB231_562:
	v_cmp_ne_u16_e32 vcc_lo, 0, v3
	v_mov_b32_e32 v2, 0
	s_and_not1_b32 s9, s9, exec_lo
	s_and_b32 s11, vcc_lo, exec_lo
	s_delay_alu instid0(SALU_CYCLE_1)
	s_or_b32 s9, s9, s11
	s_or_b32 exec_lo, exec_lo, s10
	s_and_saveexec_b32 s10, s9
	s_cbranch_execnz .LBB231_297
	s_branch .LBB231_298
.LBB231_563:
	s_or_saveexec_b32 s8, s8
	v_mov_b32_e32 v1, 0x7f800001
	s_xor_b32 exec_lo, exec_lo, s8
	s_cbranch_execz .LBB231_465
.LBB231_564:
	v_cmp_ne_u16_e32 vcc_lo, 0, v6
	v_mov_b32_e32 v1, 0
	s_and_not1_b32 s7, s7, exec_lo
	s_and_b32 s9, vcc_lo, exec_lo
	s_delay_alu instid0(SALU_CYCLE_1)
	s_or_b32 s7, s7, s9
	s_or_b32 exec_lo, exec_lo, s8
	s_and_saveexec_b32 s8, s7
	s_cbranch_execnz .LBB231_466
	s_branch .LBB231_467
.LBB231_565:
	s_or_saveexec_b32 s10, s10
	v_mov_b32_e32 v2, 0x7f800001
	s_xor_b32 exec_lo, exec_lo, s10
	s_cbranch_execz .LBB231_516
.LBB231_566:
	v_cmp_ne_u16_e32 vcc_lo, 0, v3
	v_mov_b32_e32 v2, 0
	s_and_not1_b32 s9, s9, exec_lo
	s_and_b32 s11, vcc_lo, exec_lo
	s_delay_alu instid0(SALU_CYCLE_1)
	s_or_b32 s9, s9, s11
	s_or_b32 exec_lo, exec_lo, s10
	s_and_saveexec_b32 s10, s9
	s_cbranch_execnz .LBB231_517
	s_branch .LBB231_518
.Lfunc_end231:
	.size	_ZN2at6native6invokeINS0_13BinaryFunctorIN3c1011Float8_e5m2ES4_bNS0_12_GLOBAL__N_116CompareEqFunctorIS4_EEEEi15function_traitsIS8_EEENT1_11result_typeERKT_PrKPcPKT0_PKNS3_10ScalarTypeEi, .Lfunc_end231-_ZN2at6native6invokeINS0_13BinaryFunctorIN3c1011Float8_e5m2ES4_bNS0_12_GLOBAL__N_116CompareEqFunctorIS4_EEEEi15function_traitsIS8_EEENT1_11result_typeERKT_PrKPcPKT0_PKNS3_10ScalarTypeEi
                                        ; -- End function
	.set .L_ZN2at6native6invokeINS0_13BinaryFunctorIN3c1011Float8_e5m2ES4_bNS0_12_GLOBAL__N_116CompareEqFunctorIS4_EEEEi15function_traitsIS8_EEENT1_11result_typeERKT_PrKPcPKT0_PKNS3_10ScalarTypeEi.num_vgpr, 16
	.set .L_ZN2at6native6invokeINS0_13BinaryFunctorIN3c1011Float8_e5m2ES4_bNS0_12_GLOBAL__N_116CompareEqFunctorIS4_EEEEi15function_traitsIS8_EEENT1_11result_typeERKT_PrKPcPKT0_PKNS3_10ScalarTypeEi.num_agpr, 0
	.set .L_ZN2at6native6invokeINS0_13BinaryFunctorIN3c1011Float8_e5m2ES4_bNS0_12_GLOBAL__N_116CompareEqFunctorIS4_EEEEi15function_traitsIS8_EEENT1_11result_typeERKT_PrKPcPKT0_PKNS3_10ScalarTypeEi.numbered_sgpr, 32
	.set .L_ZN2at6native6invokeINS0_13BinaryFunctorIN3c1011Float8_e5m2ES4_bNS0_12_GLOBAL__N_116CompareEqFunctorIS4_EEEEi15function_traitsIS8_EEENT1_11result_typeERKT_PrKPcPKT0_PKNS3_10ScalarTypeEi.num_named_barrier, 0
	.set .L_ZN2at6native6invokeINS0_13BinaryFunctorIN3c1011Float8_e5m2ES4_bNS0_12_GLOBAL__N_116CompareEqFunctorIS4_EEEEi15function_traitsIS8_EEENT1_11result_typeERKT_PrKPcPKT0_PKNS3_10ScalarTypeEi.private_seg_size, 0
	.set .L_ZN2at6native6invokeINS0_13BinaryFunctorIN3c1011Float8_e5m2ES4_bNS0_12_GLOBAL__N_116CompareEqFunctorIS4_EEEEi15function_traitsIS8_EEENT1_11result_typeERKT_PrKPcPKT0_PKNS3_10ScalarTypeEi.uses_vcc, 1
	.set .L_ZN2at6native6invokeINS0_13BinaryFunctorIN3c1011Float8_e5m2ES4_bNS0_12_GLOBAL__N_116CompareEqFunctorIS4_EEEEi15function_traitsIS8_EEENT1_11result_typeERKT_PrKPcPKT0_PKNS3_10ScalarTypeEi.uses_flat_scratch, 0
	.set .L_ZN2at6native6invokeINS0_13BinaryFunctorIN3c1011Float8_e5m2ES4_bNS0_12_GLOBAL__N_116CompareEqFunctorIS4_EEEEi15function_traitsIS8_EEENT1_11result_typeERKT_PrKPcPKT0_PKNS3_10ScalarTypeEi.has_dyn_sized_stack, 0
	.set .L_ZN2at6native6invokeINS0_13BinaryFunctorIN3c1011Float8_e5m2ES4_bNS0_12_GLOBAL__N_116CompareEqFunctorIS4_EEEEi15function_traitsIS8_EEENT1_11result_typeERKT_PrKPcPKT0_PKNS3_10ScalarTypeEi.has_recursion, 0
	.set .L_ZN2at6native6invokeINS0_13BinaryFunctorIN3c1011Float8_e5m2ES4_bNS0_12_GLOBAL__N_116CompareEqFunctorIS4_EEEEi15function_traitsIS8_EEENT1_11result_typeERKT_PrKPcPKT0_PKNS3_10ScalarTypeEi.has_indirect_call, 0
	.section	.AMDGPU.csdata,"",@progbits
; Function info:
; codeLenInByte = 11564
; TotalNumSgprs: 34
; NumVgprs: 16
; ScratchSize: 0
; MemoryBound: 0
	.section	.text._ZN2at6native32elementwise_kernel_manual_unrollILi128ELi4EZNS0_15gpu_kernel_implINS0_13BinaryFunctorIN3c1011Float8_e5m2ES5_bNS0_12_GLOBAL__N_116CompareEqFunctorIS5_EEEEEEvRNS_18TensorIteratorBaseERKT_EUlibE_EEviT1_,"axG",@progbits,_ZN2at6native32elementwise_kernel_manual_unrollILi128ELi4EZNS0_15gpu_kernel_implINS0_13BinaryFunctorIN3c1011Float8_e5m2ES5_bNS0_12_GLOBAL__N_116CompareEqFunctorIS5_EEEEEEvRNS_18TensorIteratorBaseERKT_EUlibE_EEviT1_,comdat
	.globl	_ZN2at6native32elementwise_kernel_manual_unrollILi128ELi4EZNS0_15gpu_kernel_implINS0_13BinaryFunctorIN3c1011Float8_e5m2ES5_bNS0_12_GLOBAL__N_116CompareEqFunctorIS5_EEEEEEvRNS_18TensorIteratorBaseERKT_EUlibE_EEviT1_ ; -- Begin function _ZN2at6native32elementwise_kernel_manual_unrollILi128ELi4EZNS0_15gpu_kernel_implINS0_13BinaryFunctorIN3c1011Float8_e5m2ES5_bNS0_12_GLOBAL__N_116CompareEqFunctorIS5_EEEEEEvRNS_18TensorIteratorBaseERKT_EUlibE_EEviT1_
	.p2align	8
	.type	_ZN2at6native32elementwise_kernel_manual_unrollILi128ELi4EZNS0_15gpu_kernel_implINS0_13BinaryFunctorIN3c1011Float8_e5m2ES5_bNS0_12_GLOBAL__N_116CompareEqFunctorIS5_EEEEEEvRNS_18TensorIteratorBaseERKT_EUlibE_EEviT1_,@function
_ZN2at6native32elementwise_kernel_manual_unrollILi128ELi4EZNS0_15gpu_kernel_implINS0_13BinaryFunctorIN3c1011Float8_e5m2ES5_bNS0_12_GLOBAL__N_116CompareEqFunctorIS5_EEEEEEvRNS_18TensorIteratorBaseERKT_EUlibE_EEviT1_: ; @_ZN2at6native32elementwise_kernel_manual_unrollILi128ELi4EZNS0_15gpu_kernel_implINS0_13BinaryFunctorIN3c1011Float8_e5m2ES5_bNS0_12_GLOBAL__N_116CompareEqFunctorIS5_EEEEEEvRNS_18TensorIteratorBaseERKT_EUlibE_EEviT1_
; %bb.0:
	s_clause 0x2
	s_load_b256 s[4:11], s[0:1], 0x8
	s_load_b128 s[12:15], s[0:1], 0x28
	s_load_b32 s17, s[0:1], 0x0
	s_bfe_u32 s2, ttmp6, 0x4000c
	s_wait_xcnt 0x0
	s_and_b32 s0, ttmp6, 15
	s_add_co_i32 s2, s2, 1
	s_mov_b32 s16, 0
	s_mul_i32 s1, ttmp9, s2
	s_getreg_b32 s2, hwreg(HW_REG_IB_STS2, 6, 4)
	s_add_co_i32 s0, s0, s1
	s_cmp_eq_u32 s2, 0
	s_mov_b32 s32, 64
	s_cselect_b32 s0, ttmp9, s0
	s_delay_alu instid0(SALU_CYCLE_1) | instskip(SKIP_2) | instid1(VALU_DEP_2)
	v_lshl_or_b32 v16, s0, 9, v0
	v_mbcnt_lo_u32_b32 v0, -1, 0
	s_mov_b32 s0, exec_lo
	v_or_b32_e32 v1, 0x180, v16
	s_wait_kmcnt 0x0
	v_mov_b64_e32 v[10:11], s[12:13]
	v_mov_b64_e32 v[2:3], s[4:5]
	;; [unrolled: 1-line block ×6, first 2 shown]
	s_mov_b32 s14, 0
	s_clause 0x2
	scratch_store_b128 off, v[2:5], off
	scratch_store_b128 off, v[6:9], off offset:16
	scratch_store_b128 off, v[10:13], off offset:32
	s_wait_xcnt 0x0
	v_cmpx_le_i32_e64 s17, v1
	s_xor_b32 s15, exec_lo, s0
	s_cbranch_execz .LBB232_394
; %bb.1:
	s_clause 0x3
	scratch_load_b64 v[18:19], off, off
	scratch_load_b32 v26, off, off offset:24
	scratch_load_b32 v17, off, off offset:36
	scratch_load_u8 v27, off, off offset:40
	v_dual_mov_b32 v0, 0 :: v_dual_lshlrev_b32 v1, 20, v0
	s_mov_b32 s19, 0
	s_mov_b32 s0, -1
	s_mov_b32 s18, exec_lo
	s_delay_alu instid0(VALU_DEP_1) | instskip(NEXT) | instid1(VALU_DEP_1)
	v_add_nc_u64_e32 v[0:1], src_flat_scratch_base_lo, v[0:1]
	v_add_nc_u64_e32 v[24:25], 8, v[0:1]
	v_add_nc_u64_e32 v[22:23], 28, v[0:1]
	;; [unrolled: 1-line block ×3, first 2 shown]
	s_wait_xcnt 0x0
	v_cmpx_gt_i32_e64 s17, v16
	s_cbranch_execz .LBB232_87
; %bb.2:
	s_wait_loadcnt 0x1
	v_dual_mov_b32 v0, v17 :: v_dual_mov_b32 v1, v24
	v_dual_mov_b32 v2, v25 :: v_dual_mov_b32 v3, v22
	;; [unrolled: 1-line block ×4, first 2 shown]
	s_get_pc_i64 s[0:1]
	s_add_nc_u64 s[0:1], s[0:1], _ZN2at6native6invokeINS0_13BinaryFunctorIN3c1011Float8_e5m2ES4_bNS0_12_GLOBAL__N_116CompareEqFunctorIS4_EEEEi15function_traitsIS8_EEENT1_11result_typeERKT_PrKPcPKT0_PKNS3_10ScalarTypeEi@rel64+4
	s_delay_alu instid0(SALU_CYCLE_1)
	s_swap_pc_i64 s[30:31], s[0:1]
	v_and_b32_e32 v0, 1, v0
	v_and_b32_e32 v2, 0xff, v27
	s_mov_b32 s1, 0
	s_mov_b32 s3, 0
	s_mov_b32 s2, exec_lo
	v_cmp_eq_u32_e32 vcc_lo, 1, v0
	v_mul_lo_u32 v0, v26, v16
	s_delay_alu instid0(VALU_DEP_1) | instskip(NEXT) | instid1(VALU_DEP_1)
	v_ashrrev_i32_e32 v1, 31, v0
	v_add_nc_u64_e32 v[0:1], v[18:19], v[0:1]
	v_cmpx_lt_i16_e32 10, v2
	s_xor_b32 s2, exec_lo, s2
	s_cbranch_execz .LBB232_2096
; %bb.3:
	s_mov_b32 s4, exec_lo
	v_cmpx_lt_i16_e32 25, v2
	s_xor_b32 s4, exec_lo, s4
	s_cbranch_execz .LBB232_39
; %bb.4:
	s_mov_b32 s5, 0
	s_mov_b32 s3, exec_lo
	v_cmpx_lt_i16_e32 28, v2
	s_xor_b32 s3, exec_lo, s3
	s_cbranch_execz .LBB232_22
; %bb.5:
	s_mov_b32 s7, 0
	;; [unrolled: 6-line block ×3, first 2 shown]
	s_mov_b32 s1, exec_lo
	v_cmpx_lt_i16_e32 45, v2
	s_xor_b32 s1, exec_lo, s1
	s_cbranch_execz .LBB232_10
; %bb.7:
	s_mov_b32 s8, -1
	s_mov_b32 s7, exec_lo
	v_cmpx_eq_u16_e32 46, v2
	s_cbranch_execz .LBB232_9
; %bb.8:
	v_cndmask_b32_e64 v2, 0, 1.0, vcc_lo
	s_mov_b32 s6, exec_lo
	s_xor_b32 s8, exec_lo, -1
	s_delay_alu instid0(VALU_DEP_1) | instskip(NEXT) | instid1(VALU_DEP_1)
	v_bfe_u32 v3, v2, 16, 1
	v_add3_u32 v2, v2, v3, 0x7fff
	s_delay_alu instid0(VALU_DEP_1)
	v_lshrrev_b32_e32 v2, 16, v2
	flat_store_b32 v[0:1], v2
.LBB232_9:
	s_wait_xcnt 0x0
	s_or_b32 exec_lo, exec_lo, s7
	s_delay_alu instid0(SALU_CYCLE_1)
	s_and_b32 s7, s8, exec_lo
	s_and_b32 s6, s6, exec_lo
                                        ; implicit-def: $vgpr2
                                        ; implicit-def: $vgpr0_vgpr1
.LBB232_10:
	s_and_not1_saveexec_b32 s8, s1
	s_cbranch_execz .LBB232_16
; %bb.11:
	s_mov_b32 s10, -1
	s_mov_b32 s1, s6
	s_mov_b32 s9, exec_lo
	v_cmpx_eq_u16_e32 44, v2
	s_cbranch_execz .LBB232_15
; %bb.12:
	v_cndmask_b32_e64 v4, 0, 1.0, vcc_lo
	s_mov_b32 s10, exec_lo
	s_delay_alu instid0(VALU_DEP_1) | instskip(NEXT) | instid1(VALU_DEP_1)
	v_dual_mov_b32 v3, 0xff :: v_dual_lshrrev_b32 v2, 23, v4
	v_cmpx_ne_u32_e32 0xff, v2
; %bb.13:
	v_and_b32_e32 v3, 0x400000, v4
	v_and_or_b32 v4, 0x3fffff, v4, v2
	s_delay_alu instid0(VALU_DEP_2) | instskip(NEXT) | instid1(VALU_DEP_2)
	v_cmp_ne_u32_e64 s0, 0, v3
	v_cmp_ne_u32_e64 s1, 0, v4
	s_and_b32 s0, s0, s1
	s_delay_alu instid0(SALU_CYCLE_1) | instskip(NEXT) | instid1(VALU_DEP_1)
	v_cndmask_b32_e64 v3, 0, 1, s0
	v_add_nc_u32_e32 v3, v2, v3
; %bb.14:
	s_or_b32 exec_lo, exec_lo, s10
	s_delay_alu instid0(SALU_CYCLE_1)
	s_xor_b32 s10, exec_lo, -1
	s_or_b32 s1, s6, exec_lo
	flat_store_b8 v[0:1], v3
.LBB232_15:
	s_wait_xcnt 0x0
	s_or_b32 exec_lo, exec_lo, s9
	s_delay_alu instid0(SALU_CYCLE_1)
	s_and_not1_b32 s0, s7, exec_lo
	s_and_b32 s7, s10, exec_lo
	s_and_not1_b32 s6, s6, exec_lo
	s_and_b32 s1, s1, exec_lo
	s_or_b32 s7, s0, s7
	s_or_b32 s6, s6, s1
.LBB232_16:
	s_or_b32 exec_lo, exec_lo, s8
	s_delay_alu instid0(SALU_CYCLE_1)
	s_and_b32 s7, s7, exec_lo
	s_and_b32 s1, s6, exec_lo
                                        ; implicit-def: $vgpr2
                                        ; implicit-def: $vgpr0_vgpr1
.LBB232_17:
	s_and_not1_saveexec_b32 s5, s5
	s_cbranch_execz .LBB232_21
; %bb.18:
	s_mov_b32 s9, -1
	s_mov_b32 s6, s1
	s_mov_b32 s8, exec_lo
	v_cmpx_eq_u16_e32 29, v2
	s_cbranch_execz .LBB232_20
; %bb.19:
	s_mov_b32 s0, 0
	v_cndmask_b32_e64 v2, 0, 1, vcc_lo
	v_mov_b32_e32 v3, s0
	s_xor_b32 s9, exec_lo, -1
	s_or_b32 s6, s1, exec_lo
	flat_store_b64 v[0:1], v[2:3]
.LBB232_20:
	s_wait_xcnt 0x0
	s_or_b32 exec_lo, exec_lo, s8
	s_delay_alu instid0(SALU_CYCLE_1)
	s_and_not1_b32 s0, s7, exec_lo
	s_and_b32 s7, s9, exec_lo
	s_and_not1_b32 s1, s1, exec_lo
	s_and_b32 s6, s6, exec_lo
	s_or_b32 s7, s0, s7
	s_or_b32 s1, s1, s6
.LBB232_21:
	s_or_b32 exec_lo, exec_lo, s5
	s_delay_alu instid0(SALU_CYCLE_1)
	s_and_b32 s5, s7, exec_lo
	s_and_b32 s1, s1, exec_lo
                                        ; implicit-def: $vgpr0_vgpr1
                                        ; implicit-def: $vgpr2
.LBB232_22:
	s_and_not1_saveexec_b32 s3, s3
	s_cbranch_execz .LBB232_38
; %bb.23:
	s_mov_b32 s6, exec_lo
	v_cmpx_lt_i16_e32 26, v2
	s_xor_b32 s6, exec_lo, s6
	s_cbranch_execz .LBB232_29
; %bb.24:
	v_cmp_lt_i16_e64 s0, 27, v2
	s_and_saveexec_b32 s7, s0
	s_delay_alu instid0(SALU_CYCLE_1)
	s_xor_b32 s0, exec_lo, s7
	s_cbranch_execz .LBB232_26
; %bb.25:
	v_cndmask_b32_e64 v2, 0, 1, vcc_lo
	flat_store_b32 v[0:1], v2
                                        ; implicit-def: $vgpr0_vgpr1
.LBB232_26:
	s_wait_xcnt 0x0
	s_and_not1_saveexec_b32 s0, s0
	s_cbranch_execz .LBB232_28
; %bb.27:
	v_cndmask_b32_e64 v2, 0, 1, vcc_lo
	flat_store_b16 v[0:1], v2
.LBB232_28:
	s_wait_xcnt 0x0
	s_or_b32 exec_lo, exec_lo, s0
                                        ; implicit-def: $vgpr0_vgpr1
.LBB232_29:
	s_and_not1_saveexec_b32 s6, s6
	s_cbranch_execz .LBB232_37
; %bb.30:
	v_cndmask_b32_e64 v3, 0, 1.0, vcc_lo
	v_mov_b32_e32 v4, 0x80
	s_mov_b32 s7, exec_lo
	s_delay_alu instid0(VALU_DEP_2)
	v_cmpx_gt_u32_e32 0x43800000, v3
	s_cbranch_execz .LBB232_36
; %bb.31:
	v_cmp_lt_u32_e64 s0, 0x3bffffff, v3
	s_mov_b32 s8, 0
                                        ; implicit-def: $vgpr2
	s_and_saveexec_b32 s9, s0
	s_delay_alu instid0(SALU_CYCLE_1)
	s_xor_b32 s0, exec_lo, s9
	s_cbranch_execz .LBB232_2483
; %bb.32:
	v_bfe_u32 v2, v3, 20, 1
	s_mov_b32 s8, exec_lo
	s_delay_alu instid0(VALU_DEP_1) | instskip(NEXT) | instid1(VALU_DEP_1)
	v_add3_u32 v2, v3, v2, 0x487ffff
                                        ; implicit-def: $vgpr3
	v_lshrrev_b32_e32 v2, 20, v2
	s_and_not1_saveexec_b32 s9, s0
	s_cbranch_execnz .LBB232_2484
.LBB232_33:
	s_or_b32 exec_lo, exec_lo, s9
	v_mov_b32_e32 v4, 0
	s_and_saveexec_b32 s0, s8
.LBB232_34:
	v_mov_b32_e32 v4, v2
.LBB232_35:
	s_or_b32 exec_lo, exec_lo, s0
.LBB232_36:
	s_delay_alu instid0(SALU_CYCLE_1)
	s_or_b32 exec_lo, exec_lo, s7
	flat_store_b8 v[0:1], v4
.LBB232_37:
	s_wait_xcnt 0x0
	s_or_b32 exec_lo, exec_lo, s6
	s_delay_alu instid0(SALU_CYCLE_1)
	s_or_b32 s1, s1, exec_lo
.LBB232_38:
	s_or_b32 exec_lo, exec_lo, s3
	s_delay_alu instid0(SALU_CYCLE_1)
	s_and_b32 s3, s5, exec_lo
	s_and_b32 s1, s1, exec_lo
                                        ; implicit-def: $vgpr2
                                        ; implicit-def: $vgpr0_vgpr1
.LBB232_39:
	s_and_not1_saveexec_b32 s4, s4
	s_cbranch_execz .LBB232_83
; %bb.40:
	s_mov_b32 s6, s1
	s_mov_b32 s5, exec_lo
	v_cmpx_lt_i16_e32 22, v2
	s_xor_b32 s5, exec_lo, s5
	s_cbranch_execz .LBB232_72
; %bb.41:
	s_mov_b32 s6, exec_lo
	v_cmpx_lt_i16_e32 23, v2
	s_xor_b32 s6, exec_lo, s6
	s_cbranch_execz .LBB232_61
; %bb.42:
	;; [unrolled: 5-line block ×3, first 2 shown]
	v_cndmask_b32_e64 v3, 0, 1.0, vcc_lo
	v_mov_b32_e32 v4, 0x80
	s_mov_b32 s8, exec_lo
	s_delay_alu instid0(VALU_DEP_2)
	v_cmpx_gt_u32_e32 0x47800000, v3
	s_cbranch_execz .LBB232_49
; %bb.44:
	v_cmp_lt_u32_e64 s0, 0x37ffffff, v3
	s_mov_b32 s9, 0
                                        ; implicit-def: $vgpr2
	s_and_saveexec_b32 s10, s0
	s_delay_alu instid0(SALU_CYCLE_1)
	s_xor_b32 s0, exec_lo, s10
	s_cbranch_execz .LBB232_2540
; %bb.45:
	v_bfe_u32 v2, v3, 21, 1
	s_mov_b32 s9, exec_lo
	s_delay_alu instid0(VALU_DEP_1) | instskip(NEXT) | instid1(VALU_DEP_1)
	v_add3_u32 v2, v3, v2, 0x88fffff
                                        ; implicit-def: $vgpr3
	v_lshrrev_b32_e32 v2, 21, v2
	s_and_not1_saveexec_b32 s10, s0
	s_cbranch_execnz .LBB232_2541
.LBB232_46:
	s_or_b32 exec_lo, exec_lo, s10
	v_mov_b32_e32 v4, 0
	s_and_saveexec_b32 s0, s9
.LBB232_47:
	v_mov_b32_e32 v4, v2
.LBB232_48:
	s_or_b32 exec_lo, exec_lo, s0
.LBB232_49:
	s_delay_alu instid0(SALU_CYCLE_1)
	s_or_b32 exec_lo, exec_lo, s8
	flat_store_b8 v[0:1], v4
                                        ; implicit-def: $vgpr0_vgpr1
.LBB232_50:
	s_wait_xcnt 0x0
	s_and_not1_saveexec_b32 s7, s7
	s_cbranch_execz .LBB232_60
; %bb.51:
	v_cndmask_b32_e64 v3, 0, 1.0, vcc_lo
	s_mov_b32 s8, exec_lo
                                        ; implicit-def: $vgpr2
	s_delay_alu instid0(VALU_DEP_1)
	v_cmpx_gt_u32_e32 0x43f00000, v3
	s_xor_b32 s8, exec_lo, s8
	s_cbranch_execz .LBB232_57
; %bb.52:
	s_mov_b32 s9, exec_lo
                                        ; implicit-def: $vgpr2
	v_cmpx_lt_u32_e32 0x3c7fffff, v3
	s_xor_b32 s9, exec_lo, s9
; %bb.53:
	v_bfe_u32 v2, v3, 20, 1
	s_delay_alu instid0(VALU_DEP_1) | instskip(NEXT) | instid1(VALU_DEP_1)
	v_add3_u32 v2, v3, v2, 0x407ffff
	v_and_b32_e32 v3, 0xff00000, v2
	v_lshrrev_b32_e32 v2, 20, v2
	s_delay_alu instid0(VALU_DEP_2) | instskip(NEXT) | instid1(VALU_DEP_1)
	v_cmp_ne_u32_e64 s0, 0x7f00000, v3
                                        ; implicit-def: $vgpr3
	v_cndmask_b32_e64 v2, 0x7e, v2, s0
; %bb.54:
	s_and_not1_saveexec_b32 s0, s9
; %bb.55:
	v_add_f32_e32 v2, 0x46800000, v3
; %bb.56:
	s_or_b32 exec_lo, exec_lo, s0
                                        ; implicit-def: $vgpr3
.LBB232_57:
	s_and_not1_saveexec_b32 s8, s8
; %bb.58:
	v_mov_b32_e32 v2, 0x7f
	v_cmp_lt_u32_e64 s0, 0x7f800000, v3
	s_delay_alu instid0(VALU_DEP_1)
	v_cndmask_b32_e64 v2, 0x7e, v2, s0
; %bb.59:
	s_or_b32 exec_lo, exec_lo, s8
	flat_store_b8 v[0:1], v2
.LBB232_60:
	s_wait_xcnt 0x0
	s_or_b32 exec_lo, exec_lo, s7
                                        ; implicit-def: $vgpr0_vgpr1
.LBB232_61:
	s_and_not1_saveexec_b32 s6, s6
	s_cbranch_execz .LBB232_71
; %bb.62:
	v_cndmask_b32_e64 v3, 0, 1.0, vcc_lo
	s_mov_b32 s7, exec_lo
                                        ; implicit-def: $vgpr2
	s_delay_alu instid0(VALU_DEP_1)
	v_cmpx_gt_u32_e32 0x47800000, v3
	s_xor_b32 s7, exec_lo, s7
	s_cbranch_execz .LBB232_68
; %bb.63:
	v_cmp_lt_u32_e64 s0, 0x387fffff, v3
                                        ; implicit-def: $vgpr2
	s_and_saveexec_b32 s8, s0
	s_delay_alu instid0(SALU_CYCLE_1)
	s_xor_b32 s0, exec_lo, s8
; %bb.64:
	v_bfe_u32 v2, v3, 21, 1
	s_delay_alu instid0(VALU_DEP_1) | instskip(NEXT) | instid1(VALU_DEP_1)
	v_add3_u32 v2, v3, v2, 0x80fffff
                                        ; implicit-def: $vgpr3
	v_lshrrev_b32_e32 v2, 21, v2
; %bb.65:
	s_and_not1_saveexec_b32 s0, s0
; %bb.66:
	v_add_f32_e32 v2, 0x43000000, v3
; %bb.67:
	s_or_b32 exec_lo, exec_lo, s0
                                        ; implicit-def: $vgpr3
.LBB232_68:
	s_and_not1_saveexec_b32 s7, s7
; %bb.69:
	v_mov_b32_e32 v2, 0x7f
	v_cmp_lt_u32_e64 s0, 0x7f800000, v3
	s_delay_alu instid0(VALU_DEP_1)
	v_cndmask_b32_e64 v2, 0x7c, v2, s0
; %bb.70:
	s_or_b32 exec_lo, exec_lo, s7
	flat_store_b8 v[0:1], v2
.LBB232_71:
	s_wait_xcnt 0x0
	s_or_b32 exec_lo, exec_lo, s6
	s_delay_alu instid0(SALU_CYCLE_1)
	s_or_b32 s6, s1, exec_lo
                                        ; implicit-def: $vgpr2
                                        ; implicit-def: $vgpr0_vgpr1
.LBB232_72:
	s_or_saveexec_b32 s5, s5
	s_mov_b32 s0, s3
	s_xor_b32 exec_lo, exec_lo, s5
	s_cbranch_execz .LBB232_82
; %bb.73:
	s_mov_b32 s7, s6
	s_mov_b32 s8, s3
	s_mov_b32 s9, exec_lo
	v_cmpx_lt_i16_e32 14, v2
	s_xor_b32 s9, exec_lo, s9
	s_cbranch_execz .LBB232_77
; %bb.74:
	s_mov_b32 s8, -1
	s_mov_b32 s7, s6
	s_mov_b32 s10, exec_lo
	v_cmpx_eq_u16_e32 15, v2
	s_cbranch_execz .LBB232_76
; %bb.75:
	v_cndmask_b32_e64 v2, 0, 1.0, vcc_lo
	s_xor_b32 s8, exec_lo, -1
	s_or_b32 s7, s6, exec_lo
	s_delay_alu instid0(VALU_DEP_1) | instskip(NEXT) | instid1(VALU_DEP_1)
	v_bfe_u32 v3, v2, 16, 1
	v_add3_u32 v2, v2, v3, 0x7fff
	flat_store_d16_hi_b16 v[0:1], v2
.LBB232_76:
	s_wait_xcnt 0x0
	s_or_b32 exec_lo, exec_lo, s10
	s_delay_alu instid0(SALU_CYCLE_1)
	s_and_not1_b32 s0, s3, exec_lo
	s_and_b32 s8, s8, exec_lo
	s_and_not1_b32 s10, s6, exec_lo
	s_and_b32 s7, s7, exec_lo
	s_or_b32 s8, s0, s8
	s_or_b32 s7, s10, s7
                                        ; implicit-def: $vgpr2
                                        ; implicit-def: $vgpr0_vgpr1
.LBB232_77:
	s_and_not1_saveexec_b32 s9, s9
	s_cbranch_execz .LBB232_81
; %bb.78:
	s_mov_b32 s11, -1
	s_mov_b32 s10, s7
	s_mov_b32 s12, exec_lo
	v_cmpx_eq_u16_e32 11, v2
	s_cbranch_execz .LBB232_80
; %bb.79:
	v_cndmask_b32_e64 v2, 0, 1, vcc_lo
	s_xor_b32 s11, exec_lo, -1
	s_or_b32 s10, s7, exec_lo
	flat_store_b8 v[0:1], v2
.LBB232_80:
	s_wait_xcnt 0x0
	s_or_b32 exec_lo, exec_lo, s12
	s_delay_alu instid0(SALU_CYCLE_1)
	s_and_not1_b32 s0, s8, exec_lo
	s_and_b32 s8, s11, exec_lo
	s_and_not1_b32 s7, s7, exec_lo
	s_and_b32 s10, s10, exec_lo
	s_or_b32 s8, s0, s8
	s_or_b32 s7, s7, s10
.LBB232_81:
	s_or_b32 exec_lo, exec_lo, s9
	s_delay_alu instid0(SALU_CYCLE_1)
	s_and_not1_b32 s0, s3, exec_lo
	s_and_b32 s8, s8, exec_lo
	s_and_not1_b32 s6, s6, exec_lo
	s_and_b32 s7, s7, exec_lo
	s_or_b32 s0, s0, s8
	s_or_b32 s6, s6, s7
.LBB232_82:
	s_or_b32 exec_lo, exec_lo, s5
	s_delay_alu instid0(SALU_CYCLE_1)
	s_and_not1_b32 s3, s3, exec_lo
	s_and_b32 s0, s0, exec_lo
	s_and_not1_b32 s1, s1, exec_lo
	s_and_b32 s5, s6, exec_lo
	s_or_b32 s3, s3, s0
	s_or_b32 s1, s1, s5
.LBB232_83:
	s_or_b32 exec_lo, exec_lo, s4
	s_delay_alu instid0(SALU_CYCLE_1)
	s_and_b32 s3, s3, exec_lo
	s_and_b32 s1, s1, exec_lo
                                        ; implicit-def: $vgpr2
                                        ; implicit-def: $vgpr0_vgpr1
	s_and_not1_saveexec_b32 s2, s2
	s_cbranch_execnz .LBB232_2097
.LBB232_84:
	s_or_b32 exec_lo, exec_lo, s2
	s_mov_b32 s0, 0
	s_and_saveexec_b32 s2, s1
.LBB232_85:
	v_add_nc_u32_e32 v16, 0x80, v16
	s_mov_b32 s0, exec_lo
.LBB232_86:
	s_or_b32 exec_lo, exec_lo, s2
	s_delay_alu instid0(SALU_CYCLE_1)
	s_and_b32 s14, s3, exec_lo
	s_or_not1_b32 s0, s0, exec_lo
.LBB232_87:
	s_or_b32 exec_lo, exec_lo, s18
	s_mov_b32 s2, 0
                                        ; implicit-def: $sgpr1
                                        ; implicit-def: $vgpr2
                                        ; implicit-def: $vgpr0_vgpr1
	s_and_saveexec_b32 s18, s0
	s_cbranch_execz .LBB232_349
; %bb.88:
	s_mov_b32 s3, -1
	s_mov_b32 s19, s14
	s_mov_b32 s20, exec_lo
	v_cmpx_gt_i32_e64 s17, v16
	s_cbranch_execz .LBB232_174
; %bb.89:
	s_wait_loadcnt 0x1
	v_dual_mov_b32 v0, v17 :: v_dual_mov_b32 v1, v24
	v_dual_mov_b32 v2, v25 :: v_dual_mov_b32 v3, v22
	;; [unrolled: 1-line block ×4, first 2 shown]
	s_get_pc_i64 s[0:1]
	s_add_nc_u64 s[0:1], s[0:1], _ZN2at6native6invokeINS0_13BinaryFunctorIN3c1011Float8_e5m2ES4_bNS0_12_GLOBAL__N_116CompareEqFunctorIS4_EEEEi15function_traitsIS8_EEENT1_11result_typeERKT_PrKPcPKT0_PKNS3_10ScalarTypeEi@rel64+4
	s_delay_alu instid0(SALU_CYCLE_1)
	s_swap_pc_i64 s[30:31], s[0:1]
	v_and_b32_e32 v0, 1, v0
	v_and_b32_e32 v2, 0xff, v27
	s_mov_b32 s1, 0
	s_mov_b32 s3, s14
	s_mov_b32 s2, exec_lo
	v_cmp_eq_u32_e32 vcc_lo, 1, v0
	v_mul_lo_u32 v0, v26, v16
	s_delay_alu instid0(VALU_DEP_1) | instskip(NEXT) | instid1(VALU_DEP_1)
	v_ashrrev_i32_e32 v1, 31, v0
	v_add_nc_u64_e32 v[0:1], v[18:19], v[0:1]
	v_cmpx_lt_i16_e32 10, v2
	s_xor_b32 s2, exec_lo, s2
	s_cbranch_execz .LBB232_2189
; %bb.90:
	s_mov_b32 s3, s14
	s_mov_b32 s4, exec_lo
	v_cmpx_lt_i16_e32 25, v2
	s_xor_b32 s4, exec_lo, s4
	s_cbranch_execz .LBB232_126
; %bb.91:
	s_mov_b32 s5, s14
	s_mov_b32 s3, exec_lo
	;; [unrolled: 6-line block ×3, first 2 shown]
	v_cmpx_lt_i16_e32 43, v2
	s_xor_b32 s5, exec_lo, s5
	s_cbranch_execz .LBB232_104
; %bb.93:
	s_mov_b32 s6, 0
	s_mov_b32 s7, s14
	s_mov_b32 s1, exec_lo
	v_cmpx_lt_i16_e32 45, v2
	s_xor_b32 s1, exec_lo, s1
	s_cbranch_execz .LBB232_97
; %bb.94:
	s_mov_b32 s8, -1
	s_mov_b32 s7, exec_lo
	v_cmpx_eq_u16_e32 46, v2
	s_cbranch_execz .LBB232_96
; %bb.95:
	v_cndmask_b32_e64 v2, 0, 1.0, vcc_lo
	s_mov_b32 s6, exec_lo
	s_xor_b32 s8, exec_lo, -1
	s_delay_alu instid0(VALU_DEP_1) | instskip(NEXT) | instid1(VALU_DEP_1)
	v_bfe_u32 v3, v2, 16, 1
	v_add3_u32 v2, v2, v3, 0x7fff
	s_delay_alu instid0(VALU_DEP_1)
	v_lshrrev_b32_e32 v2, 16, v2
	flat_store_b32 v[0:1], v2
.LBB232_96:
	s_wait_xcnt 0x0
	s_or_b32 exec_lo, exec_lo, s7
	s_delay_alu instid0(SALU_CYCLE_1)
	s_and_not1_b32 s0, s14, exec_lo
	s_and_b32 s7, s8, exec_lo
	s_and_b32 s6, s6, exec_lo
	s_or_b32 s7, s0, s7
                                        ; implicit-def: $vgpr2
                                        ; implicit-def: $vgpr0_vgpr1
.LBB232_97:
	s_and_not1_saveexec_b32 s8, s1
	s_cbranch_execz .LBB232_103
; %bb.98:
	s_mov_b32 s10, -1
	s_mov_b32 s1, s6
	s_mov_b32 s9, exec_lo
	v_cmpx_eq_u16_e32 44, v2
	s_cbranch_execz .LBB232_102
; %bb.99:
	v_cndmask_b32_e64 v4, 0, 1.0, vcc_lo
	s_mov_b32 s10, exec_lo
	s_delay_alu instid0(VALU_DEP_1) | instskip(NEXT) | instid1(VALU_DEP_1)
	v_dual_mov_b32 v3, 0xff :: v_dual_lshrrev_b32 v2, 23, v4
	v_cmpx_ne_u32_e32 0xff, v2
; %bb.100:
	v_and_b32_e32 v3, 0x400000, v4
	v_and_or_b32 v4, 0x3fffff, v4, v2
	s_delay_alu instid0(VALU_DEP_2) | instskip(NEXT) | instid1(VALU_DEP_2)
	v_cmp_ne_u32_e64 s0, 0, v3
	v_cmp_ne_u32_e64 s1, 0, v4
	s_and_b32 s0, s0, s1
	s_delay_alu instid0(SALU_CYCLE_1) | instskip(NEXT) | instid1(VALU_DEP_1)
	v_cndmask_b32_e64 v3, 0, 1, s0
	v_add_nc_u32_e32 v3, v2, v3
; %bb.101:
	s_or_b32 exec_lo, exec_lo, s10
	s_delay_alu instid0(SALU_CYCLE_1)
	s_xor_b32 s10, exec_lo, -1
	s_or_b32 s1, s6, exec_lo
	flat_store_b8 v[0:1], v3
.LBB232_102:
	s_wait_xcnt 0x0
	s_or_b32 exec_lo, exec_lo, s9
	s_delay_alu instid0(SALU_CYCLE_1)
	s_and_not1_b32 s0, s7, exec_lo
	s_and_b32 s7, s10, exec_lo
	s_and_not1_b32 s6, s6, exec_lo
	s_and_b32 s1, s1, exec_lo
	s_or_b32 s7, s0, s7
	s_or_b32 s6, s6, s1
.LBB232_103:
	s_or_b32 exec_lo, exec_lo, s8
	s_delay_alu instid0(SALU_CYCLE_1) | instskip(SKIP_1) | instid1(SALU_CYCLE_1)
	s_and_not1_b32 s0, s14, exec_lo
	s_and_b32 s1, s7, exec_lo
                                        ; implicit-def: $vgpr2
                                        ; implicit-def: $vgpr0_vgpr1
	s_or_b32 s7, s0, s1
	s_and_b32 s1, s6, exec_lo
.LBB232_104:
	s_and_not1_saveexec_b32 s5, s5
	s_cbranch_execz .LBB232_108
; %bb.105:
	s_mov_b32 s9, -1
	s_mov_b32 s6, s1
	s_mov_b32 s8, exec_lo
	v_cmpx_eq_u16_e32 29, v2
	s_cbranch_execz .LBB232_107
; %bb.106:
	s_mov_b32 s0, 0
	v_cndmask_b32_e64 v2, 0, 1, vcc_lo
	v_mov_b32_e32 v3, s0
	s_xor_b32 s9, exec_lo, -1
	s_or_b32 s6, s1, exec_lo
	flat_store_b64 v[0:1], v[2:3]
.LBB232_107:
	s_wait_xcnt 0x0
	s_or_b32 exec_lo, exec_lo, s8
	s_delay_alu instid0(SALU_CYCLE_1)
	s_and_not1_b32 s0, s7, exec_lo
	s_and_b32 s7, s9, exec_lo
	s_and_not1_b32 s1, s1, exec_lo
	s_and_b32 s6, s6, exec_lo
	s_or_b32 s7, s0, s7
	s_or_b32 s1, s1, s6
.LBB232_108:
	s_or_b32 exec_lo, exec_lo, s5
	s_delay_alu instid0(SALU_CYCLE_1)
	s_and_not1_b32 s0, s14, exec_lo
	s_and_b32 s5, s7, exec_lo
	s_and_b32 s1, s1, exec_lo
	s_or_b32 s5, s0, s5
                                        ; implicit-def: $vgpr0_vgpr1
                                        ; implicit-def: $vgpr2
.LBB232_109:
	s_and_not1_saveexec_b32 s3, s3
	s_cbranch_execz .LBB232_125
; %bb.110:
	s_mov_b32 s6, exec_lo
	v_cmpx_lt_i16_e32 26, v2
	s_xor_b32 s6, exec_lo, s6
	s_cbranch_execz .LBB232_116
; %bb.111:
	v_cmp_lt_i16_e64 s0, 27, v2
	s_and_saveexec_b32 s7, s0
	s_delay_alu instid0(SALU_CYCLE_1)
	s_xor_b32 s0, exec_lo, s7
	s_cbranch_execz .LBB232_113
; %bb.112:
	v_cndmask_b32_e64 v2, 0, 1, vcc_lo
	flat_store_b32 v[0:1], v2
                                        ; implicit-def: $vgpr0_vgpr1
.LBB232_113:
	s_wait_xcnt 0x0
	s_and_not1_saveexec_b32 s0, s0
	s_cbranch_execz .LBB232_115
; %bb.114:
	v_cndmask_b32_e64 v2, 0, 1, vcc_lo
	flat_store_b16 v[0:1], v2
.LBB232_115:
	s_wait_xcnt 0x0
	s_or_b32 exec_lo, exec_lo, s0
                                        ; implicit-def: $vgpr0_vgpr1
.LBB232_116:
	s_and_not1_saveexec_b32 s6, s6
	s_cbranch_execz .LBB232_124
; %bb.117:
	v_cndmask_b32_e64 v3, 0, 1.0, vcc_lo
	v_mov_b32_e32 v4, 0x80
	s_mov_b32 s7, exec_lo
	s_delay_alu instid0(VALU_DEP_2)
	v_cmpx_gt_u32_e32 0x43800000, v3
	s_cbranch_execz .LBB232_123
; %bb.118:
	v_cmp_lt_u32_e64 s0, 0x3bffffff, v3
	s_mov_b32 s8, 0
                                        ; implicit-def: $vgpr2
	s_and_saveexec_b32 s9, s0
	s_delay_alu instid0(SALU_CYCLE_1)
	s_xor_b32 s0, exec_lo, s9
	s_cbranch_execz .LBB232_2542
; %bb.119:
	v_bfe_u32 v2, v3, 20, 1
	s_mov_b32 s8, exec_lo
	s_delay_alu instid0(VALU_DEP_1) | instskip(NEXT) | instid1(VALU_DEP_1)
	v_add3_u32 v2, v3, v2, 0x487ffff
                                        ; implicit-def: $vgpr3
	v_lshrrev_b32_e32 v2, 20, v2
	s_and_not1_saveexec_b32 s9, s0
	s_cbranch_execnz .LBB232_2543
.LBB232_120:
	s_or_b32 exec_lo, exec_lo, s9
	v_mov_b32_e32 v4, 0
	s_and_saveexec_b32 s0, s8
.LBB232_121:
	v_mov_b32_e32 v4, v2
.LBB232_122:
	s_or_b32 exec_lo, exec_lo, s0
.LBB232_123:
	s_delay_alu instid0(SALU_CYCLE_1)
	s_or_b32 exec_lo, exec_lo, s7
	flat_store_b8 v[0:1], v4
.LBB232_124:
	s_wait_xcnt 0x0
	s_or_b32 exec_lo, exec_lo, s6
	s_delay_alu instid0(SALU_CYCLE_1)
	s_or_b32 s1, s1, exec_lo
.LBB232_125:
	s_or_b32 exec_lo, exec_lo, s3
	s_delay_alu instid0(SALU_CYCLE_1)
	s_and_not1_b32 s0, s14, exec_lo
	s_and_b32 s3, s5, exec_lo
	s_and_b32 s1, s1, exec_lo
	s_or_b32 s3, s0, s3
                                        ; implicit-def: $vgpr2
                                        ; implicit-def: $vgpr0_vgpr1
.LBB232_126:
	s_and_not1_saveexec_b32 s4, s4
	s_cbranch_execz .LBB232_170
; %bb.127:
	s_mov_b32 s6, s1
	s_mov_b32 s5, exec_lo
	v_cmpx_lt_i16_e32 22, v2
	s_xor_b32 s5, exec_lo, s5
	s_cbranch_execz .LBB232_159
; %bb.128:
	s_mov_b32 s6, exec_lo
	v_cmpx_lt_i16_e32 23, v2
	s_xor_b32 s6, exec_lo, s6
	s_cbranch_execz .LBB232_148
; %bb.129:
	;; [unrolled: 5-line block ×3, first 2 shown]
	v_cndmask_b32_e64 v3, 0, 1.0, vcc_lo
	v_mov_b32_e32 v4, 0x80
	s_mov_b32 s8, exec_lo
	s_delay_alu instid0(VALU_DEP_2)
	v_cmpx_gt_u32_e32 0x47800000, v3
	s_cbranch_execz .LBB232_136
; %bb.131:
	v_cmp_lt_u32_e64 s0, 0x37ffffff, v3
	s_mov_b32 s9, 0
                                        ; implicit-def: $vgpr2
	s_and_saveexec_b32 s10, s0
	s_delay_alu instid0(SALU_CYCLE_1)
	s_xor_b32 s0, exec_lo, s10
	s_cbranch_execz .LBB232_2591
; %bb.132:
	v_bfe_u32 v2, v3, 21, 1
	s_mov_b32 s9, exec_lo
	s_delay_alu instid0(VALU_DEP_1) | instskip(NEXT) | instid1(VALU_DEP_1)
	v_add3_u32 v2, v3, v2, 0x88fffff
                                        ; implicit-def: $vgpr3
	v_lshrrev_b32_e32 v2, 21, v2
	s_and_not1_saveexec_b32 s10, s0
	s_cbranch_execnz .LBB232_2592
.LBB232_133:
	s_or_b32 exec_lo, exec_lo, s10
	v_mov_b32_e32 v4, 0
	s_and_saveexec_b32 s0, s9
.LBB232_134:
	v_mov_b32_e32 v4, v2
.LBB232_135:
	s_or_b32 exec_lo, exec_lo, s0
.LBB232_136:
	s_delay_alu instid0(SALU_CYCLE_1)
	s_or_b32 exec_lo, exec_lo, s8
	flat_store_b8 v[0:1], v4
                                        ; implicit-def: $vgpr0_vgpr1
.LBB232_137:
	s_wait_xcnt 0x0
	s_and_not1_saveexec_b32 s7, s7
	s_cbranch_execz .LBB232_147
; %bb.138:
	v_cndmask_b32_e64 v3, 0, 1.0, vcc_lo
	s_mov_b32 s8, exec_lo
                                        ; implicit-def: $vgpr2
	s_delay_alu instid0(VALU_DEP_1)
	v_cmpx_gt_u32_e32 0x43f00000, v3
	s_xor_b32 s8, exec_lo, s8
	s_cbranch_execz .LBB232_144
; %bb.139:
	s_mov_b32 s9, exec_lo
                                        ; implicit-def: $vgpr2
	v_cmpx_lt_u32_e32 0x3c7fffff, v3
	s_xor_b32 s9, exec_lo, s9
; %bb.140:
	v_bfe_u32 v2, v3, 20, 1
	s_delay_alu instid0(VALU_DEP_1) | instskip(NEXT) | instid1(VALU_DEP_1)
	v_add3_u32 v2, v3, v2, 0x407ffff
	v_and_b32_e32 v3, 0xff00000, v2
	v_lshrrev_b32_e32 v2, 20, v2
	s_delay_alu instid0(VALU_DEP_2) | instskip(NEXT) | instid1(VALU_DEP_1)
	v_cmp_ne_u32_e64 s0, 0x7f00000, v3
                                        ; implicit-def: $vgpr3
	v_cndmask_b32_e64 v2, 0x7e, v2, s0
; %bb.141:
	s_and_not1_saveexec_b32 s0, s9
; %bb.142:
	v_add_f32_e32 v2, 0x46800000, v3
; %bb.143:
	s_or_b32 exec_lo, exec_lo, s0
                                        ; implicit-def: $vgpr3
.LBB232_144:
	s_and_not1_saveexec_b32 s8, s8
; %bb.145:
	v_mov_b32_e32 v2, 0x7f
	v_cmp_lt_u32_e64 s0, 0x7f800000, v3
	s_delay_alu instid0(VALU_DEP_1)
	v_cndmask_b32_e64 v2, 0x7e, v2, s0
; %bb.146:
	s_or_b32 exec_lo, exec_lo, s8
	flat_store_b8 v[0:1], v2
.LBB232_147:
	s_wait_xcnt 0x0
	s_or_b32 exec_lo, exec_lo, s7
                                        ; implicit-def: $vgpr0_vgpr1
.LBB232_148:
	s_and_not1_saveexec_b32 s6, s6
	s_cbranch_execz .LBB232_158
; %bb.149:
	v_cndmask_b32_e64 v3, 0, 1.0, vcc_lo
	s_mov_b32 s7, exec_lo
                                        ; implicit-def: $vgpr2
	s_delay_alu instid0(VALU_DEP_1)
	v_cmpx_gt_u32_e32 0x47800000, v3
	s_xor_b32 s7, exec_lo, s7
	s_cbranch_execz .LBB232_155
; %bb.150:
	v_cmp_lt_u32_e64 s0, 0x387fffff, v3
                                        ; implicit-def: $vgpr2
	s_and_saveexec_b32 s8, s0
	s_delay_alu instid0(SALU_CYCLE_1)
	s_xor_b32 s0, exec_lo, s8
; %bb.151:
	v_bfe_u32 v2, v3, 21, 1
	s_delay_alu instid0(VALU_DEP_1) | instskip(NEXT) | instid1(VALU_DEP_1)
	v_add3_u32 v2, v3, v2, 0x80fffff
                                        ; implicit-def: $vgpr3
	v_lshrrev_b32_e32 v2, 21, v2
; %bb.152:
	s_and_not1_saveexec_b32 s0, s0
; %bb.153:
	v_add_f32_e32 v2, 0x43000000, v3
; %bb.154:
	s_or_b32 exec_lo, exec_lo, s0
                                        ; implicit-def: $vgpr3
.LBB232_155:
	s_and_not1_saveexec_b32 s7, s7
; %bb.156:
	v_mov_b32_e32 v2, 0x7f
	v_cmp_lt_u32_e64 s0, 0x7f800000, v3
	s_delay_alu instid0(VALU_DEP_1)
	v_cndmask_b32_e64 v2, 0x7c, v2, s0
; %bb.157:
	s_or_b32 exec_lo, exec_lo, s7
	flat_store_b8 v[0:1], v2
.LBB232_158:
	s_wait_xcnt 0x0
	s_or_b32 exec_lo, exec_lo, s6
	s_delay_alu instid0(SALU_CYCLE_1)
	s_or_b32 s6, s1, exec_lo
                                        ; implicit-def: $vgpr2
                                        ; implicit-def: $vgpr0_vgpr1
.LBB232_159:
	s_or_saveexec_b32 s5, s5
	s_mov_b32 s0, s3
	s_xor_b32 exec_lo, exec_lo, s5
	s_cbranch_execz .LBB232_169
; %bb.160:
	s_mov_b32 s7, s6
	s_mov_b32 s8, s3
	s_mov_b32 s9, exec_lo
	v_cmpx_lt_i16_e32 14, v2
	s_xor_b32 s9, exec_lo, s9
	s_cbranch_execz .LBB232_164
; %bb.161:
	s_mov_b32 s8, -1
	s_mov_b32 s7, s6
	s_mov_b32 s10, exec_lo
	v_cmpx_eq_u16_e32 15, v2
	s_cbranch_execz .LBB232_163
; %bb.162:
	v_cndmask_b32_e64 v2, 0, 1.0, vcc_lo
	s_xor_b32 s8, exec_lo, -1
	s_or_b32 s7, s6, exec_lo
	s_delay_alu instid0(VALU_DEP_1) | instskip(NEXT) | instid1(VALU_DEP_1)
	v_bfe_u32 v3, v2, 16, 1
	v_add3_u32 v2, v2, v3, 0x7fff
	flat_store_d16_hi_b16 v[0:1], v2
.LBB232_163:
	s_wait_xcnt 0x0
	s_or_b32 exec_lo, exec_lo, s10
	s_delay_alu instid0(SALU_CYCLE_1)
	s_and_not1_b32 s0, s3, exec_lo
	s_and_b32 s8, s8, exec_lo
	s_and_not1_b32 s10, s6, exec_lo
	s_and_b32 s7, s7, exec_lo
	s_or_b32 s8, s0, s8
	s_or_b32 s7, s10, s7
                                        ; implicit-def: $vgpr2
                                        ; implicit-def: $vgpr0_vgpr1
.LBB232_164:
	s_and_not1_saveexec_b32 s9, s9
	s_cbranch_execz .LBB232_168
; %bb.165:
	s_mov_b32 s11, -1
	s_mov_b32 s10, s7
	s_mov_b32 s12, exec_lo
	v_cmpx_eq_u16_e32 11, v2
	s_cbranch_execz .LBB232_167
; %bb.166:
	v_cndmask_b32_e64 v2, 0, 1, vcc_lo
	s_xor_b32 s11, exec_lo, -1
	s_or_b32 s10, s7, exec_lo
	flat_store_b8 v[0:1], v2
.LBB232_167:
	s_wait_xcnt 0x0
	s_or_b32 exec_lo, exec_lo, s12
	s_delay_alu instid0(SALU_CYCLE_1)
	s_and_not1_b32 s0, s8, exec_lo
	s_and_b32 s8, s11, exec_lo
	s_and_not1_b32 s7, s7, exec_lo
	s_and_b32 s10, s10, exec_lo
	s_or_b32 s8, s0, s8
	s_or_b32 s7, s7, s10
.LBB232_168:
	s_or_b32 exec_lo, exec_lo, s9
	s_delay_alu instid0(SALU_CYCLE_1)
	s_and_not1_b32 s0, s3, exec_lo
	s_and_b32 s8, s8, exec_lo
	s_and_not1_b32 s6, s6, exec_lo
	s_and_b32 s7, s7, exec_lo
	s_or_b32 s0, s0, s8
	s_or_b32 s6, s6, s7
.LBB232_169:
	s_or_b32 exec_lo, exec_lo, s5
	s_delay_alu instid0(SALU_CYCLE_1)
	s_and_not1_b32 s3, s3, exec_lo
	s_and_b32 s0, s0, exec_lo
	s_and_not1_b32 s1, s1, exec_lo
	s_and_b32 s5, s6, exec_lo
	s_or_b32 s3, s3, s0
	s_or_b32 s1, s1, s5
.LBB232_170:
	s_or_b32 exec_lo, exec_lo, s4
	s_delay_alu instid0(SALU_CYCLE_1)
	s_and_not1_b32 s0, s14, exec_lo
	s_and_b32 s3, s3, exec_lo
	s_and_b32 s1, s1, exec_lo
	s_or_b32 s3, s0, s3
                                        ; implicit-def: $vgpr2
                                        ; implicit-def: $vgpr0_vgpr1
	s_and_not1_saveexec_b32 s2, s2
	s_cbranch_execnz .LBB232_2190
.LBB232_171:
	s_or_b32 exec_lo, exec_lo, s2
	s_mov_b32 s0, 0
	s_and_saveexec_b32 s2, s1
.LBB232_172:
	v_add_nc_u32_e32 v16, 0x80, v16
	s_mov_b32 s0, exec_lo
.LBB232_173:
	s_or_b32 exec_lo, exec_lo, s2
	s_delay_alu instid0(SALU_CYCLE_1)
	s_and_not1_b32 s1, s14, exec_lo
	s_and_b32 s2, s3, exec_lo
	s_or_not1_b32 s3, s0, exec_lo
	s_or_b32 s19, s1, s2
.LBB232_174:
	s_or_b32 exec_lo, exec_lo, s20
	s_mov_b32 s0, 0
	s_mov_b32 s2, 0
                                        ; implicit-def: $sgpr1
                                        ; implicit-def: $vgpr2
                                        ; implicit-def: $vgpr0_vgpr1
	s_and_saveexec_b32 s20, s3
	s_cbranch_execz .LBB232_346
; %bb.175:
	s_mov_b32 s3, -1
	s_mov_b32 s22, s19
	s_mov_b32 s21, exec_lo
	v_cmpx_gt_i32_e64 s17, v16
	s_cbranch_execz .LBB232_261
; %bb.176:
	s_wait_loadcnt 0x1
	v_dual_mov_b32 v0, v17 :: v_dual_mov_b32 v1, v24
	v_dual_mov_b32 v2, v25 :: v_dual_mov_b32 v3, v22
	;; [unrolled: 1-line block ×4, first 2 shown]
	s_get_pc_i64 s[0:1]
	s_add_nc_u64 s[0:1], s[0:1], _ZN2at6native6invokeINS0_13BinaryFunctorIN3c1011Float8_e5m2ES4_bNS0_12_GLOBAL__N_116CompareEqFunctorIS4_EEEEi15function_traitsIS8_EEENT1_11result_typeERKT_PrKPcPKT0_PKNS3_10ScalarTypeEi@rel64+4
	s_delay_alu instid0(SALU_CYCLE_1)
	s_swap_pc_i64 s[30:31], s[0:1]
	v_and_b32_e32 v0, 1, v0
	v_and_b32_e32 v2, 0xff, v27
	s_mov_b32 s1, 0
	s_mov_b32 s3, s19
	s_mov_b32 s2, exec_lo
	v_cmp_eq_u32_e32 vcc_lo, 1, v0
	v_mul_lo_u32 v0, v26, v16
	s_delay_alu instid0(VALU_DEP_1) | instskip(NEXT) | instid1(VALU_DEP_1)
	v_ashrrev_i32_e32 v1, 31, v0
	v_add_nc_u64_e32 v[0:1], v[18:19], v[0:1]
	v_cmpx_lt_i16_e32 10, v2
	s_xor_b32 s2, exec_lo, s2
	s_cbranch_execz .LBB232_2282
; %bb.177:
	s_mov_b32 s3, s19
	s_mov_b32 s4, exec_lo
	v_cmpx_lt_i16_e32 25, v2
	s_xor_b32 s4, exec_lo, s4
	s_cbranch_execz .LBB232_213
; %bb.178:
	s_mov_b32 s5, s19
	s_mov_b32 s3, exec_lo
	;; [unrolled: 6-line block ×3, first 2 shown]
	v_cmpx_lt_i16_e32 43, v2
	s_xor_b32 s5, exec_lo, s5
	s_cbranch_execz .LBB232_191
; %bb.180:
	s_mov_b32 s6, 0
	s_mov_b32 s7, s19
	s_mov_b32 s1, exec_lo
	v_cmpx_lt_i16_e32 45, v2
	s_xor_b32 s1, exec_lo, s1
	s_cbranch_execz .LBB232_184
; %bb.181:
	s_mov_b32 s8, -1
	s_mov_b32 s7, exec_lo
	v_cmpx_eq_u16_e32 46, v2
	s_cbranch_execz .LBB232_183
; %bb.182:
	v_cndmask_b32_e64 v2, 0, 1.0, vcc_lo
	s_mov_b32 s6, exec_lo
	s_xor_b32 s8, exec_lo, -1
	s_delay_alu instid0(VALU_DEP_1) | instskip(NEXT) | instid1(VALU_DEP_1)
	v_bfe_u32 v3, v2, 16, 1
	v_add3_u32 v2, v2, v3, 0x7fff
	s_delay_alu instid0(VALU_DEP_1)
	v_lshrrev_b32_e32 v2, 16, v2
	flat_store_b32 v[0:1], v2
.LBB232_183:
	s_wait_xcnt 0x0
	s_or_b32 exec_lo, exec_lo, s7
	s_delay_alu instid0(SALU_CYCLE_1)
	s_and_not1_b32 s0, s19, exec_lo
	s_and_b32 s7, s8, exec_lo
	s_and_b32 s6, s6, exec_lo
	s_or_b32 s7, s0, s7
                                        ; implicit-def: $vgpr2
                                        ; implicit-def: $vgpr0_vgpr1
.LBB232_184:
	s_and_not1_saveexec_b32 s8, s1
	s_cbranch_execz .LBB232_190
; %bb.185:
	s_mov_b32 s10, -1
	s_mov_b32 s1, s6
	s_mov_b32 s9, exec_lo
	v_cmpx_eq_u16_e32 44, v2
	s_cbranch_execz .LBB232_189
; %bb.186:
	v_cndmask_b32_e64 v4, 0, 1.0, vcc_lo
	s_mov_b32 s10, exec_lo
	s_delay_alu instid0(VALU_DEP_1) | instskip(NEXT) | instid1(VALU_DEP_1)
	v_dual_mov_b32 v3, 0xff :: v_dual_lshrrev_b32 v2, 23, v4
	v_cmpx_ne_u32_e32 0xff, v2
; %bb.187:
	v_and_b32_e32 v3, 0x400000, v4
	v_and_or_b32 v4, 0x3fffff, v4, v2
	s_delay_alu instid0(VALU_DEP_2) | instskip(NEXT) | instid1(VALU_DEP_2)
	v_cmp_ne_u32_e64 s0, 0, v3
	v_cmp_ne_u32_e64 s1, 0, v4
	s_and_b32 s0, s0, s1
	s_delay_alu instid0(SALU_CYCLE_1) | instskip(NEXT) | instid1(VALU_DEP_1)
	v_cndmask_b32_e64 v3, 0, 1, s0
	v_add_nc_u32_e32 v3, v2, v3
; %bb.188:
	s_or_b32 exec_lo, exec_lo, s10
	s_delay_alu instid0(SALU_CYCLE_1)
	s_xor_b32 s10, exec_lo, -1
	s_or_b32 s1, s6, exec_lo
	flat_store_b8 v[0:1], v3
.LBB232_189:
	s_wait_xcnt 0x0
	s_or_b32 exec_lo, exec_lo, s9
	s_delay_alu instid0(SALU_CYCLE_1)
	s_and_not1_b32 s0, s7, exec_lo
	s_and_b32 s7, s10, exec_lo
	s_and_not1_b32 s6, s6, exec_lo
	s_and_b32 s1, s1, exec_lo
	s_or_b32 s7, s0, s7
	s_or_b32 s6, s6, s1
.LBB232_190:
	s_or_b32 exec_lo, exec_lo, s8
	s_delay_alu instid0(SALU_CYCLE_1) | instskip(SKIP_1) | instid1(SALU_CYCLE_1)
	s_and_not1_b32 s0, s19, exec_lo
	s_and_b32 s1, s7, exec_lo
                                        ; implicit-def: $vgpr2
                                        ; implicit-def: $vgpr0_vgpr1
	s_or_b32 s7, s0, s1
	s_and_b32 s1, s6, exec_lo
.LBB232_191:
	s_and_not1_saveexec_b32 s5, s5
	s_cbranch_execz .LBB232_195
; %bb.192:
	s_mov_b32 s9, -1
	s_mov_b32 s6, s1
	s_mov_b32 s8, exec_lo
	v_cmpx_eq_u16_e32 29, v2
	s_cbranch_execz .LBB232_194
; %bb.193:
	s_mov_b32 s0, 0
	v_cndmask_b32_e64 v2, 0, 1, vcc_lo
	v_mov_b32_e32 v3, s0
	s_xor_b32 s9, exec_lo, -1
	s_or_b32 s6, s1, exec_lo
	flat_store_b64 v[0:1], v[2:3]
.LBB232_194:
	s_wait_xcnt 0x0
	s_or_b32 exec_lo, exec_lo, s8
	s_delay_alu instid0(SALU_CYCLE_1)
	s_and_not1_b32 s0, s7, exec_lo
	s_and_b32 s7, s9, exec_lo
	s_and_not1_b32 s1, s1, exec_lo
	s_and_b32 s6, s6, exec_lo
	s_or_b32 s7, s0, s7
	s_or_b32 s1, s1, s6
.LBB232_195:
	s_or_b32 exec_lo, exec_lo, s5
	s_delay_alu instid0(SALU_CYCLE_1)
	s_and_not1_b32 s0, s19, exec_lo
	s_and_b32 s5, s7, exec_lo
	s_and_b32 s1, s1, exec_lo
	s_or_b32 s5, s0, s5
                                        ; implicit-def: $vgpr0_vgpr1
                                        ; implicit-def: $vgpr2
.LBB232_196:
	s_and_not1_saveexec_b32 s3, s3
	s_cbranch_execz .LBB232_212
; %bb.197:
	s_mov_b32 s6, exec_lo
	v_cmpx_lt_i16_e32 26, v2
	s_xor_b32 s6, exec_lo, s6
	s_cbranch_execz .LBB232_203
; %bb.198:
	v_cmp_lt_i16_e64 s0, 27, v2
	s_and_saveexec_b32 s7, s0
	s_delay_alu instid0(SALU_CYCLE_1)
	s_xor_b32 s0, exec_lo, s7
	s_cbranch_execz .LBB232_200
; %bb.199:
	v_cndmask_b32_e64 v2, 0, 1, vcc_lo
	flat_store_b32 v[0:1], v2
                                        ; implicit-def: $vgpr0_vgpr1
.LBB232_200:
	s_wait_xcnt 0x0
	s_and_not1_saveexec_b32 s0, s0
	s_cbranch_execz .LBB232_202
; %bb.201:
	v_cndmask_b32_e64 v2, 0, 1, vcc_lo
	flat_store_b16 v[0:1], v2
.LBB232_202:
	s_wait_xcnt 0x0
	s_or_b32 exec_lo, exec_lo, s0
                                        ; implicit-def: $vgpr0_vgpr1
.LBB232_203:
	s_and_not1_saveexec_b32 s6, s6
	s_cbranch_execz .LBB232_211
; %bb.204:
	v_cndmask_b32_e64 v3, 0, 1.0, vcc_lo
	v_mov_b32_e32 v4, 0x80
	s_mov_b32 s7, exec_lo
	s_delay_alu instid0(VALU_DEP_2)
	v_cmpx_gt_u32_e32 0x43800000, v3
	s_cbranch_execz .LBB232_210
; %bb.205:
	v_cmp_lt_u32_e64 s0, 0x3bffffff, v3
	s_mov_b32 s8, 0
                                        ; implicit-def: $vgpr2
	s_and_saveexec_b32 s9, s0
	s_delay_alu instid0(SALU_CYCLE_1)
	s_xor_b32 s0, exec_lo, s9
	s_cbranch_execz .LBB232_2593
; %bb.206:
	v_bfe_u32 v2, v3, 20, 1
	s_mov_b32 s8, exec_lo
	s_delay_alu instid0(VALU_DEP_1) | instskip(NEXT) | instid1(VALU_DEP_1)
	v_add3_u32 v2, v3, v2, 0x487ffff
                                        ; implicit-def: $vgpr3
	v_lshrrev_b32_e32 v2, 20, v2
	s_and_not1_saveexec_b32 s9, s0
	s_cbranch_execnz .LBB232_2594
.LBB232_207:
	s_or_b32 exec_lo, exec_lo, s9
	v_mov_b32_e32 v4, 0
	s_and_saveexec_b32 s0, s8
.LBB232_208:
	v_mov_b32_e32 v4, v2
.LBB232_209:
	s_or_b32 exec_lo, exec_lo, s0
.LBB232_210:
	s_delay_alu instid0(SALU_CYCLE_1)
	s_or_b32 exec_lo, exec_lo, s7
	flat_store_b8 v[0:1], v4
.LBB232_211:
	s_wait_xcnt 0x0
	s_or_b32 exec_lo, exec_lo, s6
	s_delay_alu instid0(SALU_CYCLE_1)
	s_or_b32 s1, s1, exec_lo
.LBB232_212:
	s_or_b32 exec_lo, exec_lo, s3
	s_delay_alu instid0(SALU_CYCLE_1)
	s_and_not1_b32 s0, s19, exec_lo
	s_and_b32 s3, s5, exec_lo
	s_and_b32 s1, s1, exec_lo
	s_or_b32 s3, s0, s3
                                        ; implicit-def: $vgpr2
                                        ; implicit-def: $vgpr0_vgpr1
.LBB232_213:
	s_and_not1_saveexec_b32 s4, s4
	s_cbranch_execz .LBB232_257
; %bb.214:
	s_mov_b32 s6, s1
	s_mov_b32 s5, exec_lo
	v_cmpx_lt_i16_e32 22, v2
	s_xor_b32 s5, exec_lo, s5
	s_cbranch_execz .LBB232_246
; %bb.215:
	s_mov_b32 s6, exec_lo
	v_cmpx_lt_i16_e32 23, v2
	s_xor_b32 s6, exec_lo, s6
	s_cbranch_execz .LBB232_235
; %bb.216:
	;; [unrolled: 5-line block ×3, first 2 shown]
	v_cndmask_b32_e64 v3, 0, 1.0, vcc_lo
	v_mov_b32_e32 v4, 0x80
	s_mov_b32 s8, exec_lo
	s_delay_alu instid0(VALU_DEP_2)
	v_cmpx_gt_u32_e32 0x47800000, v3
	s_cbranch_execz .LBB232_223
; %bb.218:
	v_cmp_lt_u32_e64 s0, 0x37ffffff, v3
	s_mov_b32 s9, 0
                                        ; implicit-def: $vgpr2
	s_and_saveexec_b32 s10, s0
	s_delay_alu instid0(SALU_CYCLE_1)
	s_xor_b32 s0, exec_lo, s10
	s_cbranch_execz .LBB232_2642
; %bb.219:
	v_bfe_u32 v2, v3, 21, 1
	s_mov_b32 s9, exec_lo
	s_delay_alu instid0(VALU_DEP_1) | instskip(NEXT) | instid1(VALU_DEP_1)
	v_add3_u32 v2, v3, v2, 0x88fffff
                                        ; implicit-def: $vgpr3
	v_lshrrev_b32_e32 v2, 21, v2
	s_and_not1_saveexec_b32 s10, s0
	s_cbranch_execnz .LBB232_2643
.LBB232_220:
	s_or_b32 exec_lo, exec_lo, s10
	v_mov_b32_e32 v4, 0
	s_and_saveexec_b32 s0, s9
.LBB232_221:
	v_mov_b32_e32 v4, v2
.LBB232_222:
	s_or_b32 exec_lo, exec_lo, s0
.LBB232_223:
	s_delay_alu instid0(SALU_CYCLE_1)
	s_or_b32 exec_lo, exec_lo, s8
	flat_store_b8 v[0:1], v4
                                        ; implicit-def: $vgpr0_vgpr1
.LBB232_224:
	s_wait_xcnt 0x0
	s_and_not1_saveexec_b32 s7, s7
	s_cbranch_execz .LBB232_234
; %bb.225:
	v_cndmask_b32_e64 v3, 0, 1.0, vcc_lo
	s_mov_b32 s8, exec_lo
                                        ; implicit-def: $vgpr2
	s_delay_alu instid0(VALU_DEP_1)
	v_cmpx_gt_u32_e32 0x43f00000, v3
	s_xor_b32 s8, exec_lo, s8
	s_cbranch_execz .LBB232_231
; %bb.226:
	s_mov_b32 s9, exec_lo
                                        ; implicit-def: $vgpr2
	v_cmpx_lt_u32_e32 0x3c7fffff, v3
	s_xor_b32 s9, exec_lo, s9
; %bb.227:
	v_bfe_u32 v2, v3, 20, 1
	s_delay_alu instid0(VALU_DEP_1) | instskip(NEXT) | instid1(VALU_DEP_1)
	v_add3_u32 v2, v3, v2, 0x407ffff
	v_and_b32_e32 v3, 0xff00000, v2
	v_lshrrev_b32_e32 v2, 20, v2
	s_delay_alu instid0(VALU_DEP_2) | instskip(NEXT) | instid1(VALU_DEP_1)
	v_cmp_ne_u32_e64 s0, 0x7f00000, v3
                                        ; implicit-def: $vgpr3
	v_cndmask_b32_e64 v2, 0x7e, v2, s0
; %bb.228:
	s_and_not1_saveexec_b32 s0, s9
; %bb.229:
	v_add_f32_e32 v2, 0x46800000, v3
; %bb.230:
	s_or_b32 exec_lo, exec_lo, s0
                                        ; implicit-def: $vgpr3
.LBB232_231:
	s_and_not1_saveexec_b32 s8, s8
; %bb.232:
	v_mov_b32_e32 v2, 0x7f
	v_cmp_lt_u32_e64 s0, 0x7f800000, v3
	s_delay_alu instid0(VALU_DEP_1)
	v_cndmask_b32_e64 v2, 0x7e, v2, s0
; %bb.233:
	s_or_b32 exec_lo, exec_lo, s8
	flat_store_b8 v[0:1], v2
.LBB232_234:
	s_wait_xcnt 0x0
	s_or_b32 exec_lo, exec_lo, s7
                                        ; implicit-def: $vgpr0_vgpr1
.LBB232_235:
	s_and_not1_saveexec_b32 s6, s6
	s_cbranch_execz .LBB232_245
; %bb.236:
	v_cndmask_b32_e64 v3, 0, 1.0, vcc_lo
	s_mov_b32 s7, exec_lo
                                        ; implicit-def: $vgpr2
	s_delay_alu instid0(VALU_DEP_1)
	v_cmpx_gt_u32_e32 0x47800000, v3
	s_xor_b32 s7, exec_lo, s7
	s_cbranch_execz .LBB232_242
; %bb.237:
	v_cmp_lt_u32_e64 s0, 0x387fffff, v3
                                        ; implicit-def: $vgpr2
	s_and_saveexec_b32 s8, s0
	s_delay_alu instid0(SALU_CYCLE_1)
	s_xor_b32 s0, exec_lo, s8
; %bb.238:
	v_bfe_u32 v2, v3, 21, 1
	s_delay_alu instid0(VALU_DEP_1) | instskip(NEXT) | instid1(VALU_DEP_1)
	v_add3_u32 v2, v3, v2, 0x80fffff
                                        ; implicit-def: $vgpr3
	v_lshrrev_b32_e32 v2, 21, v2
; %bb.239:
	s_and_not1_saveexec_b32 s0, s0
; %bb.240:
	v_add_f32_e32 v2, 0x43000000, v3
; %bb.241:
	s_or_b32 exec_lo, exec_lo, s0
                                        ; implicit-def: $vgpr3
.LBB232_242:
	s_and_not1_saveexec_b32 s7, s7
; %bb.243:
	v_mov_b32_e32 v2, 0x7f
	v_cmp_lt_u32_e64 s0, 0x7f800000, v3
	s_delay_alu instid0(VALU_DEP_1)
	v_cndmask_b32_e64 v2, 0x7c, v2, s0
; %bb.244:
	s_or_b32 exec_lo, exec_lo, s7
	flat_store_b8 v[0:1], v2
.LBB232_245:
	s_wait_xcnt 0x0
	s_or_b32 exec_lo, exec_lo, s6
	s_delay_alu instid0(SALU_CYCLE_1)
	s_or_b32 s6, s1, exec_lo
                                        ; implicit-def: $vgpr2
                                        ; implicit-def: $vgpr0_vgpr1
.LBB232_246:
	s_or_saveexec_b32 s5, s5
	s_mov_b32 s0, s3
	s_xor_b32 exec_lo, exec_lo, s5
	s_cbranch_execz .LBB232_256
; %bb.247:
	s_mov_b32 s7, s6
	s_mov_b32 s8, s3
	s_mov_b32 s9, exec_lo
	v_cmpx_lt_i16_e32 14, v2
	s_xor_b32 s9, exec_lo, s9
	s_cbranch_execz .LBB232_251
; %bb.248:
	s_mov_b32 s8, -1
	s_mov_b32 s7, s6
	s_mov_b32 s10, exec_lo
	v_cmpx_eq_u16_e32 15, v2
	s_cbranch_execz .LBB232_250
; %bb.249:
	v_cndmask_b32_e64 v2, 0, 1.0, vcc_lo
	s_xor_b32 s8, exec_lo, -1
	s_or_b32 s7, s6, exec_lo
	s_delay_alu instid0(VALU_DEP_1) | instskip(NEXT) | instid1(VALU_DEP_1)
	v_bfe_u32 v3, v2, 16, 1
	v_add3_u32 v2, v2, v3, 0x7fff
	flat_store_d16_hi_b16 v[0:1], v2
.LBB232_250:
	s_wait_xcnt 0x0
	s_or_b32 exec_lo, exec_lo, s10
	s_delay_alu instid0(SALU_CYCLE_1)
	s_and_not1_b32 s0, s3, exec_lo
	s_and_b32 s8, s8, exec_lo
	s_and_not1_b32 s10, s6, exec_lo
	s_and_b32 s7, s7, exec_lo
	s_or_b32 s8, s0, s8
	s_or_b32 s7, s10, s7
                                        ; implicit-def: $vgpr2
                                        ; implicit-def: $vgpr0_vgpr1
.LBB232_251:
	s_and_not1_saveexec_b32 s9, s9
	s_cbranch_execz .LBB232_255
; %bb.252:
	s_mov_b32 s11, -1
	s_mov_b32 s10, s7
	s_mov_b32 s12, exec_lo
	v_cmpx_eq_u16_e32 11, v2
	s_cbranch_execz .LBB232_254
; %bb.253:
	v_cndmask_b32_e64 v2, 0, 1, vcc_lo
	s_xor_b32 s11, exec_lo, -1
	s_or_b32 s10, s7, exec_lo
	flat_store_b8 v[0:1], v2
.LBB232_254:
	s_wait_xcnt 0x0
	s_or_b32 exec_lo, exec_lo, s12
	s_delay_alu instid0(SALU_CYCLE_1)
	s_and_not1_b32 s0, s8, exec_lo
	s_and_b32 s8, s11, exec_lo
	s_and_not1_b32 s7, s7, exec_lo
	s_and_b32 s10, s10, exec_lo
	s_or_b32 s8, s0, s8
	s_or_b32 s7, s7, s10
.LBB232_255:
	s_or_b32 exec_lo, exec_lo, s9
	s_delay_alu instid0(SALU_CYCLE_1)
	s_and_not1_b32 s0, s3, exec_lo
	s_and_b32 s8, s8, exec_lo
	s_and_not1_b32 s6, s6, exec_lo
	s_and_b32 s7, s7, exec_lo
	s_or_b32 s0, s0, s8
	s_or_b32 s6, s6, s7
.LBB232_256:
	s_or_b32 exec_lo, exec_lo, s5
	s_delay_alu instid0(SALU_CYCLE_1)
	s_and_not1_b32 s3, s3, exec_lo
	s_and_b32 s0, s0, exec_lo
	s_and_not1_b32 s1, s1, exec_lo
	s_and_b32 s5, s6, exec_lo
	s_or_b32 s3, s3, s0
	s_or_b32 s1, s1, s5
.LBB232_257:
	s_or_b32 exec_lo, exec_lo, s4
	s_delay_alu instid0(SALU_CYCLE_1)
	s_and_not1_b32 s0, s19, exec_lo
	s_and_b32 s3, s3, exec_lo
	s_and_b32 s1, s1, exec_lo
	s_or_b32 s3, s0, s3
                                        ; implicit-def: $vgpr2
                                        ; implicit-def: $vgpr0_vgpr1
	s_and_not1_saveexec_b32 s2, s2
	s_cbranch_execnz .LBB232_2283
.LBB232_258:
	s_or_b32 exec_lo, exec_lo, s2
	s_mov_b32 s0, 0
	s_and_saveexec_b32 s2, s1
.LBB232_259:
	v_add_nc_u32_e32 v16, 0x80, v16
	s_mov_b32 s0, exec_lo
.LBB232_260:
	s_or_b32 exec_lo, exec_lo, s2
	s_delay_alu instid0(SALU_CYCLE_1)
	s_and_not1_b32 s1, s19, exec_lo
	s_and_b32 s2, s3, exec_lo
	s_or_not1_b32 s3, s0, exec_lo
	s_or_b32 s22, s1, s2
.LBB232_261:
	s_or_b32 exec_lo, exec_lo, s21
	s_mov_b32 s0, 0
	s_mov_b32 s2, 0
                                        ; implicit-def: $sgpr1
                                        ; implicit-def: $vgpr2
                                        ; implicit-def: $vgpr0_vgpr1
	s_and_saveexec_b32 s21, s3
	s_cbranch_execz .LBB232_345
; %bb.262:
	v_cmp_gt_i32_e32 vcc_lo, s17, v16
	s_mov_b32 s3, s22
                                        ; implicit-def: $sgpr1
                                        ; implicit-def: $vgpr2
                                        ; implicit-def: $vgpr0_vgpr1
	s_and_saveexec_b32 s17, vcc_lo
	s_cbranch_execz .LBB232_344
; %bb.263:
	s_wait_loadcnt 0x1
	v_dual_mov_b32 v0, v17 :: v_dual_mov_b32 v1, v24
	v_dual_mov_b32 v2, v25 :: v_dual_mov_b32 v3, v22
	;; [unrolled: 1-line block ×4, first 2 shown]
	s_get_pc_i64 s[0:1]
	s_add_nc_u64 s[0:1], s[0:1], _ZN2at6native6invokeINS0_13BinaryFunctorIN3c1011Float8_e5m2ES4_bNS0_12_GLOBAL__N_116CompareEqFunctorIS4_EEEEi15function_traitsIS8_EEENT1_11result_typeERKT_PrKPcPKT0_PKNS3_10ScalarTypeEi@rel64+4
	s_delay_alu instid0(SALU_CYCLE_1)
	s_swap_pc_i64 s[30:31], s[0:1]
	v_and_b32_e32 v0, 1, v0
	v_and_b32_e32 v2, 0xff, v27
	s_mov_b32 s0, 0
	s_mov_b32 s3, -1
	s_mov_b32 s4, s22
	v_cmp_eq_u32_e64 s1, 1, v0
	v_mul_lo_u32 v0, v26, v16
	s_mov_b32 s2, exec_lo
	s_delay_alu instid0(VALU_DEP_1) | instskip(NEXT) | instid1(VALU_DEP_1)
	v_ashrrev_i32_e32 v1, 31, v0
	v_add_nc_u64_e32 v[0:1], v[18:19], v[0:1]
	v_cmpx_lt_i16_e32 10, v2
	s_cbranch_execz .LBB232_343
; %bb.264:
	s_mov_b32 s0, s22
	s_mov_b32 s3, exec_lo
	v_cmpx_lt_i16_e32 25, v2
	s_xor_b32 s3, exec_lo, s3
	s_cbranch_execz .LBB232_300
; %bb.265:
	s_mov_b32 s0, s22
	s_mov_b32 s4, exec_lo
	v_cmpx_lt_i16_e32 28, v2
	s_xor_b32 s4, exec_lo, s4
	;; [unrolled: 6-line block ×4, first 2 shown]
	s_cbranch_execz .LBB232_271
; %bb.268:
	s_mov_b32 s7, -1
	s_mov_b32 s6, exec_lo
	v_cmpx_eq_u16_e32 46, v2
	s_cbranch_execz .LBB232_270
; %bb.269:
	v_cndmask_b32_e64 v3, 0, 1.0, s1
	s_xor_b32 s7, exec_lo, -1
	s_delay_alu instid0(VALU_DEP_1) | instskip(NEXT) | instid1(VALU_DEP_1)
	v_bfe_u32 v4, v3, 16, 1
	v_add3_u32 v3, v3, v4, 0x7fff
	s_delay_alu instid0(VALU_DEP_1)
	v_lshrrev_b32_e32 v3, 16, v3
	flat_store_b32 v[0:1], v3
.LBB232_270:
	s_wait_xcnt 0x0
	s_or_b32 exec_lo, exec_lo, s6
	s_delay_alu instid0(SALU_CYCLE_1) | instskip(SKIP_1) | instid1(SALU_CYCLE_1)
	s_and_not1_b32 s6, s22, exec_lo
	s_and_b32 s7, s7, exec_lo
	s_or_b32 s6, s6, s7
.LBB232_271:
	s_and_not1_saveexec_b32 s7, s0
	s_cbranch_execz .LBB232_277
; %bb.272:
	s_mov_b32 s0, -1
	s_mov_b32 s8, exec_lo
	v_cmpx_eq_u16_e32 44, v2
	s_cbranch_execz .LBB232_276
; %bb.273:
	v_cndmask_b32_e64 v5, 0, 1.0, s1
	s_mov_b32 s9, exec_lo
	s_delay_alu instid0(VALU_DEP_1) | instskip(NEXT) | instid1(VALU_DEP_1)
	v_dual_mov_b32 v4, 0xff :: v_dual_lshrrev_b32 v3, 23, v5
	v_cmpx_ne_u32_e32 0xff, v3
; %bb.274:
	v_and_b32_e32 v4, 0x400000, v5
	v_and_or_b32 v5, 0x3fffff, v5, v3
	s_delay_alu instid0(VALU_DEP_2) | instskip(NEXT) | instid1(VALU_DEP_2)
	v_cmp_ne_u32_e32 vcc_lo, 0, v4
	v_cmp_ne_u32_e64 s0, 0, v5
	s_and_b32 s0, vcc_lo, s0
	s_delay_alu instid0(SALU_CYCLE_1) | instskip(NEXT) | instid1(VALU_DEP_1)
	v_cndmask_b32_e64 v4, 0, 1, s0
	v_add_nc_u32_e32 v4, v3, v4
; %bb.275:
	s_or_b32 exec_lo, exec_lo, s9
	s_delay_alu instid0(SALU_CYCLE_1)
	s_xor_b32 s0, exec_lo, -1
	flat_store_b8 v[0:1], v4
.LBB232_276:
	s_wait_xcnt 0x0
	s_or_b32 exec_lo, exec_lo, s8
	s_delay_alu instid0(SALU_CYCLE_1) | instskip(SKIP_1) | instid1(SALU_CYCLE_1)
	s_and_not1_b32 s6, s6, exec_lo
	s_and_b32 s0, s0, exec_lo
	s_or_b32 s6, s6, s0
.LBB232_277:
	s_or_b32 exec_lo, exec_lo, s7
	s_delay_alu instid0(SALU_CYCLE_1) | instskip(SKIP_1) | instid1(SALU_CYCLE_1)
	s_and_not1_b32 s0, s22, exec_lo
	s_and_b32 s6, s6, exec_lo
	s_or_b32 s0, s0, s6
.LBB232_278:
	s_and_not1_saveexec_b32 s5, s5
	s_cbranch_execz .LBB232_282
; %bb.279:
	s_mov_b32 s7, -1
	s_mov_b32 s6, exec_lo
	v_cmpx_eq_u16_e32 29, v2
	s_cbranch_execz .LBB232_281
; %bb.280:
	s_mov_b32 s7, 0
	v_cndmask_b32_e64 v4, 0, 1, s1
	v_mov_b32_e32 v5, s7
	s_xor_b32 s7, exec_lo, -1
	flat_store_b64 v[0:1], v[4:5]
.LBB232_281:
	s_wait_xcnt 0x0
	s_or_b32 exec_lo, exec_lo, s6
	s_delay_alu instid0(SALU_CYCLE_1) | instskip(SKIP_1) | instid1(SALU_CYCLE_1)
	s_and_not1_b32 s0, s0, exec_lo
	s_and_b32 s6, s7, exec_lo
	s_or_b32 s0, s0, s6
.LBB232_282:
	s_or_b32 exec_lo, exec_lo, s5
	s_delay_alu instid0(SALU_CYCLE_1) | instskip(SKIP_1) | instid1(SALU_CYCLE_1)
	s_and_not1_b32 s5, s22, exec_lo
	s_and_b32 s0, s0, exec_lo
	s_or_b32 s0, s5, s0
.LBB232_283:
	s_and_not1_saveexec_b32 s4, s4
	s_cbranch_execz .LBB232_299
; %bb.284:
	s_mov_b32 s5, exec_lo
	v_cmpx_lt_i16_e32 26, v2
	s_xor_b32 s5, exec_lo, s5
	s_cbranch_execz .LBB232_290
; %bb.285:
	v_cndmask_b32_e64 v3, 0, 1, s1
	s_mov_b32 s6, exec_lo
	v_cmpx_lt_i16_e32 27, v2
	s_xor_b32 s6, exec_lo, s6
	s_cbranch_execz .LBB232_287
; %bb.286:
	flat_store_b32 v[0:1], v3
                                        ; implicit-def: $vgpr3
.LBB232_287:
	s_wait_xcnt 0x0
	s_and_not1_saveexec_b32 s6, s6
	s_cbranch_execz .LBB232_289
; %bb.288:
	flat_store_b16 v[0:1], v3
.LBB232_289:
	s_wait_xcnt 0x0
	s_or_b32 exec_lo, exec_lo, s6
.LBB232_290:
	s_and_not1_saveexec_b32 s5, s5
	s_cbranch_execz .LBB232_298
; %bb.291:
	v_cndmask_b32_e64 v4, 0, 1.0, s1
	v_mov_b32_e32 v5, 0x80
	s_mov_b32 s6, exec_lo
	s_delay_alu instid0(VALU_DEP_2)
	v_cmpx_gt_u32_e32 0x43800000, v4
	s_cbranch_execz .LBB232_297
; %bb.292:
	s_mov_b32 s7, 0
	s_mov_b32 s8, exec_lo
                                        ; implicit-def: $vgpr3
	v_cmpx_lt_u32_e32 0x3bffffff, v4
	s_xor_b32 s8, exec_lo, s8
	s_cbranch_execz .LBB232_2644
; %bb.293:
	v_bfe_u32 v3, v4, 20, 1
	s_mov_b32 s7, exec_lo
	s_delay_alu instid0(VALU_DEP_1) | instskip(NEXT) | instid1(VALU_DEP_1)
	v_add3_u32 v3, v4, v3, 0x487ffff
                                        ; implicit-def: $vgpr4
	v_lshrrev_b32_e32 v3, 20, v3
	s_and_not1_saveexec_b32 s8, s8
	s_cbranch_execnz .LBB232_2645
.LBB232_294:
	s_or_b32 exec_lo, exec_lo, s8
	v_mov_b32_e32 v5, 0
	s_and_saveexec_b32 s8, s7
.LBB232_295:
	v_mov_b32_e32 v5, v3
.LBB232_296:
	s_or_b32 exec_lo, exec_lo, s8
.LBB232_297:
	s_delay_alu instid0(SALU_CYCLE_1)
	s_or_b32 exec_lo, exec_lo, s6
	flat_store_b8 v[0:1], v5
.LBB232_298:
	s_wait_xcnt 0x0
	s_or_b32 exec_lo, exec_lo, s5
.LBB232_299:
	s_delay_alu instid0(SALU_CYCLE_1) | instskip(NEXT) | instid1(SALU_CYCLE_1)
	s_or_b32 exec_lo, exec_lo, s4
	s_and_not1_b32 s4, s22, exec_lo
	s_and_b32 s0, s0, exec_lo
	s_delay_alu instid0(SALU_CYCLE_1)
	s_or_b32 s0, s4, s0
.LBB232_300:
	s_or_saveexec_b32 s3, s3
	s_mov_b32 s4, 0
	s_xor_b32 exec_lo, exec_lo, s3
	s_cbranch_execz .LBB232_342
; %bb.301:
	s_mov_b32 s4, exec_lo
	v_cmpx_lt_i16_e32 22, v2
	s_xor_b32 s4, exec_lo, s4
	s_cbranch_execz .LBB232_333
; %bb.302:
	s_mov_b32 s5, exec_lo
	v_cmpx_lt_i16_e32 23, v2
	s_xor_b32 s5, exec_lo, s5
	;; [unrolled: 5-line block ×3, first 2 shown]
	s_cbranch_execz .LBB232_311
; %bb.304:
	v_cndmask_b32_e64 v4, 0, 1.0, s1
	v_mov_b32_e32 v5, 0x80
	s_mov_b32 s7, exec_lo
	s_delay_alu instid0(VALU_DEP_2)
	v_cmpx_gt_u32_e32 0x47800000, v4
	s_cbranch_execz .LBB232_310
; %bb.305:
	s_mov_b32 s8, 0
	s_mov_b32 s9, exec_lo
                                        ; implicit-def: $vgpr3
	v_cmpx_lt_u32_e32 0x37ffffff, v4
	s_xor_b32 s9, exec_lo, s9
	s_cbranch_execz .LBB232_2693
; %bb.306:
	v_bfe_u32 v3, v4, 21, 1
	s_mov_b32 s8, exec_lo
	s_delay_alu instid0(VALU_DEP_1) | instskip(NEXT) | instid1(VALU_DEP_1)
	v_add3_u32 v3, v4, v3, 0x88fffff
                                        ; implicit-def: $vgpr4
	v_lshrrev_b32_e32 v3, 21, v3
	s_and_not1_saveexec_b32 s9, s9
	s_cbranch_execnz .LBB232_2694
.LBB232_307:
	s_or_b32 exec_lo, exec_lo, s9
	v_mov_b32_e32 v5, 0
	s_and_saveexec_b32 s9, s8
.LBB232_308:
	v_mov_b32_e32 v5, v3
.LBB232_309:
	s_or_b32 exec_lo, exec_lo, s9
.LBB232_310:
	s_delay_alu instid0(SALU_CYCLE_1)
	s_or_b32 exec_lo, exec_lo, s7
	flat_store_b8 v[0:1], v5
.LBB232_311:
	s_wait_xcnt 0x0
	s_and_not1_saveexec_b32 s6, s6
	s_cbranch_execz .LBB232_321
; %bb.312:
	v_cndmask_b32_e64 v4, 0, 1.0, s1
	s_mov_b32 s7, exec_lo
                                        ; implicit-def: $vgpr3
	s_delay_alu instid0(VALU_DEP_1)
	v_cmpx_gt_u32_e32 0x43f00000, v4
	s_xor_b32 s7, exec_lo, s7
	s_cbranch_execz .LBB232_318
; %bb.313:
	s_mov_b32 s8, exec_lo
                                        ; implicit-def: $vgpr3
	v_cmpx_lt_u32_e32 0x3c7fffff, v4
	s_xor_b32 s8, exec_lo, s8
; %bb.314:
	v_bfe_u32 v3, v4, 20, 1
	s_delay_alu instid0(VALU_DEP_1) | instskip(NEXT) | instid1(VALU_DEP_1)
	v_add3_u32 v3, v4, v3, 0x407ffff
	v_and_b32_e32 v4, 0xff00000, v3
	v_lshrrev_b32_e32 v3, 20, v3
	s_delay_alu instid0(VALU_DEP_2) | instskip(NEXT) | instid1(VALU_DEP_2)
	v_cmp_ne_u32_e32 vcc_lo, 0x7f00000, v4
                                        ; implicit-def: $vgpr4
	v_cndmask_b32_e32 v3, 0x7e, v3, vcc_lo
; %bb.315:
	s_and_not1_saveexec_b32 s8, s8
; %bb.316:
	v_add_f32_e32 v3, 0x46800000, v4
; %bb.317:
	s_or_b32 exec_lo, exec_lo, s8
                                        ; implicit-def: $vgpr4
.LBB232_318:
	s_and_not1_saveexec_b32 s7, s7
; %bb.319:
	v_mov_b32_e32 v3, 0x7f
	v_cmp_lt_u32_e32 vcc_lo, 0x7f800000, v4
	s_delay_alu instid0(VALU_DEP_2)
	v_cndmask_b32_e32 v3, 0x7e, v3, vcc_lo
; %bb.320:
	s_or_b32 exec_lo, exec_lo, s7
	flat_store_b8 v[0:1], v3
.LBB232_321:
	s_wait_xcnt 0x0
	s_or_b32 exec_lo, exec_lo, s6
.LBB232_322:
	s_and_not1_saveexec_b32 s5, s5
	s_cbranch_execz .LBB232_332
; %bb.323:
	v_cndmask_b32_e64 v4, 0, 1.0, s1
	s_mov_b32 s6, exec_lo
                                        ; implicit-def: $vgpr3
	s_delay_alu instid0(VALU_DEP_1)
	v_cmpx_gt_u32_e32 0x47800000, v4
	s_xor_b32 s6, exec_lo, s6
	s_cbranch_execz .LBB232_329
; %bb.324:
	s_mov_b32 s7, exec_lo
                                        ; implicit-def: $vgpr3
	v_cmpx_lt_u32_e32 0x387fffff, v4
	s_xor_b32 s7, exec_lo, s7
; %bb.325:
	v_bfe_u32 v3, v4, 21, 1
	s_delay_alu instid0(VALU_DEP_1) | instskip(NEXT) | instid1(VALU_DEP_1)
	v_add3_u32 v3, v4, v3, 0x80fffff
                                        ; implicit-def: $vgpr4
	v_lshrrev_b32_e32 v3, 21, v3
; %bb.326:
	s_and_not1_saveexec_b32 s7, s7
; %bb.327:
	v_add_f32_e32 v3, 0x43000000, v4
; %bb.328:
	s_or_b32 exec_lo, exec_lo, s7
                                        ; implicit-def: $vgpr4
.LBB232_329:
	s_and_not1_saveexec_b32 s6, s6
; %bb.330:
	v_mov_b32_e32 v3, 0x7f
	v_cmp_lt_u32_e32 vcc_lo, 0x7f800000, v4
	s_delay_alu instid0(VALU_DEP_2)
	v_cndmask_b32_e32 v3, 0x7c, v3, vcc_lo
; %bb.331:
	s_or_b32 exec_lo, exec_lo, s6
	flat_store_b8 v[0:1], v3
.LBB232_332:
	s_wait_xcnt 0x0
	s_or_b32 exec_lo, exec_lo, s5
.LBB232_333:
	s_or_saveexec_b32 s4, s4
	s_mov_b32 s5, 0
	s_mov_b32 s6, s0
	s_xor_b32 exec_lo, exec_lo, s4
	s_cbranch_execz .LBB232_341
; %bb.334:
	s_mov_b32 s5, s0
	s_mov_b32 s6, exec_lo
	v_cmpx_lt_i16_e32 14, v2
	s_xor_b32 s6, exec_lo, s6
	s_cbranch_execz .LBB232_338
; %bb.335:
	s_mov_b32 s7, -1
	s_mov_b32 s5, exec_lo
	v_cmpx_eq_u16_e32 15, v2
	s_cbranch_execz .LBB232_337
; %bb.336:
	v_cndmask_b32_e64 v3, 0, 1.0, s1
	s_xor_b32 s7, exec_lo, -1
	s_delay_alu instid0(VALU_DEP_1) | instskip(NEXT) | instid1(VALU_DEP_1)
	v_bfe_u32 v4, v3, 16, 1
	v_add3_u32 v3, v3, v4, 0x7fff
	flat_store_d16_hi_b16 v[0:1], v3
.LBB232_337:
	s_wait_xcnt 0x0
	s_or_b32 exec_lo, exec_lo, s5
	s_delay_alu instid0(SALU_CYCLE_1) | instskip(SKIP_1) | instid1(SALU_CYCLE_1)
	s_and_not1_b32 s5, s0, exec_lo
	s_and_b32 s7, s7, exec_lo
	s_or_b32 s5, s5, s7
.LBB232_338:
	s_or_saveexec_b32 s6, s6
	s_mov_b32 s7, 0
	s_xor_b32 exec_lo, exec_lo, s6
; %bb.339:
	v_cmp_ne_u16_e32 vcc_lo, 11, v2
	s_and_not1_b32 s5, s5, exec_lo
	s_mov_b32 s7, exec_lo
	s_and_b32 s8, vcc_lo, exec_lo
	s_delay_alu instid0(SALU_CYCLE_1)
	s_or_b32 s5, s5, s8
; %bb.340:
	s_or_b32 exec_lo, exec_lo, s6
	s_delay_alu instid0(SALU_CYCLE_1)
	s_and_not1_b32 s6, s0, exec_lo
	s_and_b32 s8, s5, exec_lo
	s_and_b32 s5, s7, exec_lo
	s_or_b32 s6, s6, s8
.LBB232_341:
	s_or_b32 exec_lo, exec_lo, s4
	s_delay_alu instid0(SALU_CYCLE_1)
	s_and_not1_b32 s0, s0, exec_lo
	s_and_b32 s6, s6, exec_lo
	s_and_b32 s4, s5, exec_lo
	s_or_b32 s0, s0, s6
.LBB232_342:
	s_or_b32 exec_lo, exec_lo, s3
	s_delay_alu instid0(SALU_CYCLE_1)
	s_and_not1_b32 s5, s22, exec_lo
	s_and_b32 s6, s0, exec_lo
	s_xor_b32 s3, exec_lo, -1
	s_and_b32 s0, s4, exec_lo
	s_or_b32 s4, s5, s6
.LBB232_343:
	s_or_b32 exec_lo, exec_lo, s2
	s_delay_alu instid0(SALU_CYCLE_1)
	s_and_b32 s2, s3, exec_lo
	s_and_not1_b32 s3, s22, exec_lo
	s_and_b32 s4, s4, exec_lo
	s_and_b32 s0, s0, exec_lo
	s_or_b32 s3, s3, s4
.LBB232_344:
	s_or_b32 exec_lo, exec_lo, s17
	s_delay_alu instid0(SALU_CYCLE_1)
	s_and_not1_b32 s4, s22, exec_lo
	s_and_b32 s3, s3, exec_lo
	s_and_b32 s2, s2, exec_lo
	s_and_b32 s0, s0, exec_lo
	s_or_b32 s22, s4, s3
.LBB232_345:
	s_or_b32 exec_lo, exec_lo, s21
	s_delay_alu instid0(SALU_CYCLE_1)
	s_and_not1_b32 s3, s19, exec_lo
	s_and_b32 s4, s22, exec_lo
	s_and_b32 s2, s2, exec_lo
	;; [unrolled: 1-line block ×3, first 2 shown]
	s_or_b32 s19, s3, s4
.LBB232_346:
	s_or_b32 exec_lo, exec_lo, s20
	s_delay_alu instid0(SALU_CYCLE_1)
	s_and_not1_b32 s3, s14, exec_lo
	s_and_b32 s4, s19, exec_lo
	s_and_b32 s2, s2, exec_lo
	;; [unrolled: 1-line block ×3, first 2 shown]
	s_or_b32 s14, s3, s4
	s_or_b32 exec_lo, exec_lo, s18
	s_mov_b32 s0, 0
	s_and_saveexec_b32 s3, s14
	s_cbranch_execz .LBB232_350
.LBB232_347:
	s_mov_b32 s0, exec_lo
	s_and_not1_b32 s19, s19, exec_lo
	s_trap 2
	s_or_b32 exec_lo, exec_lo, s3
	s_and_saveexec_b32 s3, s19
	s_delay_alu instid0(SALU_CYCLE_1)
	s_xor_b32 s3, exec_lo, s3
	s_cbranch_execnz .LBB232_351
.LBB232_348:
	s_or_b32 exec_lo, exec_lo, s3
	s_and_saveexec_b32 s3, s2
	s_delay_alu instid0(SALU_CYCLE_1)
	s_xor_b32 s2, exec_lo, s3
	s_cbranch_execnz .LBB232_352
	s_branch .LBB232_393
.LBB232_349:
	s_or_b32 exec_lo, exec_lo, s18
	s_mov_b32 s0, 0
	s_and_saveexec_b32 s3, s14
	s_cbranch_execnz .LBB232_347
.LBB232_350:
	s_or_b32 exec_lo, exec_lo, s3
	s_and_saveexec_b32 s3, s19
	s_delay_alu instid0(SALU_CYCLE_1)
	s_xor_b32 s3, exec_lo, s3
	s_cbranch_execz .LBB232_348
.LBB232_351:
	v_cndmask_b32_e64 v3, 0, 1, s1
	flat_store_b8 v[0:1], v3
	s_wait_xcnt 0x0
	s_or_b32 exec_lo, exec_lo, s3
	s_and_saveexec_b32 s3, s2
	s_delay_alu instid0(SALU_CYCLE_1)
	s_xor_b32 s2, exec_lo, s3
	s_cbranch_execz .LBB232_393
.LBB232_352:
	s_mov_b32 s3, exec_lo
	v_cmpx_lt_i16_e32 4, v2
	s_xor_b32 s3, exec_lo, s3
	s_cbranch_execz .LBB232_374
; %bb.353:
	s_mov_b32 s4, exec_lo
	v_cmpx_lt_i16_e32 7, v2
	s_xor_b32 s4, exec_lo, s4
	s_cbranch_execz .LBB232_363
; %bb.354:
	;; [unrolled: 5-line block ×4, first 2 shown]
	v_cndmask_b32_e64 v3, 0, 1, s1
	v_mov_b32_e32 v6, 0
	s_delay_alu instid0(VALU_DEP_2) | instskip(NEXT) | instid1(VALU_DEP_2)
	v_cvt_f64_u32_e32 v[4:5], v3
	v_mov_b32_e32 v7, v6
	flat_store_b128 v[0:1], v[4:7]
.LBB232_357:
	s_wait_xcnt 0x0
	s_and_not1_saveexec_b32 s6, s6
	s_cbranch_execz .LBB232_359
; %bb.358:
	v_cndmask_b32_e64 v4, 0, 1.0, s1
	v_mov_b32_e32 v5, 0
	flat_store_b64 v[0:1], v[4:5]
.LBB232_359:
	s_wait_xcnt 0x0
	s_or_b32 exec_lo, exec_lo, s6
.LBB232_360:
	s_and_not1_saveexec_b32 s5, s5
	s_cbranch_execz .LBB232_362
; %bb.361:
	v_cndmask_b32_e64 v3, 0, 1.0, s1
	s_delay_alu instid0(VALU_DEP_1) | instskip(NEXT) | instid1(VALU_DEP_1)
	v_cvt_f16_f32_e32 v3, v3
	v_and_b32_e32 v3, 0xffff, v3
	flat_store_b32 v[0:1], v3
.LBB232_362:
	s_wait_xcnt 0x0
	s_or_b32 exec_lo, exec_lo, s5
.LBB232_363:
	s_and_not1_saveexec_b32 s4, s4
	s_cbranch_execz .LBB232_373
; %bb.364:
	s_mov_b32 s5, exec_lo
	v_cmpx_lt_i16_e32 5, v2
	s_xor_b32 s5, exec_lo, s5
	s_cbranch_execz .LBB232_370
; %bb.365:
	s_mov_b32 s6, exec_lo
	v_cmpx_lt_i16_e32 6, v2
	s_xor_b32 s6, exec_lo, s6
	s_cbranch_execz .LBB232_367
; %bb.366:
	v_cndmask_b32_e64 v3, 0, 1, s1
	s_delay_alu instid0(VALU_DEP_1)
	v_cvt_f64_u32_e32 v[4:5], v3
	flat_store_b64 v[0:1], v[4:5]
.LBB232_367:
	s_wait_xcnt 0x0
	s_and_not1_saveexec_b32 s6, s6
	s_cbranch_execz .LBB232_369
; %bb.368:
	v_cndmask_b32_e64 v3, 0, 1.0, s1
	flat_store_b32 v[0:1], v3
.LBB232_369:
	s_wait_xcnt 0x0
	s_or_b32 exec_lo, exec_lo, s6
.LBB232_370:
	s_and_not1_saveexec_b32 s5, s5
	s_cbranch_execz .LBB232_372
; %bb.371:
	v_cndmask_b32_e64 v3, 0, 1.0, s1
	s_delay_alu instid0(VALU_DEP_1)
	v_cvt_f16_f32_e32 v3, v3
	flat_store_b16 v[0:1], v3
.LBB232_372:
	s_wait_xcnt 0x0
	s_or_b32 exec_lo, exec_lo, s5
.LBB232_373:
	s_delay_alu instid0(SALU_CYCLE_1)
	s_or_b32 exec_lo, exec_lo, s4
.LBB232_374:
	s_and_not1_saveexec_b32 s3, s3
	s_cbranch_execz .LBB232_392
; %bb.375:
	s_mov_b32 s4, exec_lo
	v_cmpx_lt_i16_e32 1, v2
	s_xor_b32 s4, exec_lo, s4
	s_cbranch_execz .LBB232_385
; %bb.376:
	s_mov_b32 s5, exec_lo
	v_cmpx_lt_i16_e32 2, v2
	s_xor_b32 s5, exec_lo, s5
	;; [unrolled: 5-line block ×3, first 2 shown]
	s_cbranch_execz .LBB232_379
; %bb.378:
	s_mov_b32 s7, 0
	v_cndmask_b32_e64 v4, 0, 1, s1
	v_mov_b32_e32 v5, s7
	flat_store_b64 v[0:1], v[4:5]
                                        ; implicit-def: $vgpr0_vgpr1
.LBB232_379:
	s_wait_xcnt 0x0
	s_and_not1_saveexec_b32 s6, s6
	s_cbranch_execz .LBB232_381
; %bb.380:
	v_cndmask_b32_e64 v3, 0, 1, s1
	flat_store_b32 v[0:1], v3
.LBB232_381:
	s_wait_xcnt 0x0
	s_or_b32 exec_lo, exec_lo, s6
                                        ; implicit-def: $vgpr0_vgpr1
.LBB232_382:
	s_and_not1_saveexec_b32 s5, s5
	s_cbranch_execz .LBB232_384
; %bb.383:
	v_cndmask_b32_e64 v3, 0, 1, s1
	flat_store_b16 v[0:1], v3
.LBB232_384:
	s_wait_xcnt 0x0
	s_or_b32 exec_lo, exec_lo, s5
                                        ; implicit-def: $vgpr0_vgpr1
.LBB232_385:
	s_and_not1_saveexec_b32 s4, s4
	s_cbranch_execz .LBB232_391
; %bb.386:
	v_cmp_lt_i16_e32 vcc_lo, 0, v2
	v_cndmask_b32_e64 v2, 0, 1, s1
	s_and_saveexec_b32 s1, vcc_lo
	s_delay_alu instid0(SALU_CYCLE_1)
	s_xor_b32 s1, exec_lo, s1
	s_cbranch_execz .LBB232_388
; %bb.387:
	flat_store_b8 v[0:1], v2
                                        ; implicit-def: $vgpr0_vgpr1
                                        ; implicit-def: $vgpr2
.LBB232_388:
	s_wait_xcnt 0x0
	s_and_not1_saveexec_b32 s1, s1
	s_cbranch_execz .LBB232_390
; %bb.389:
	flat_store_b8 v[0:1], v2
.LBB232_390:
	s_wait_xcnt 0x0
	s_or_b32 exec_lo, exec_lo, s1
.LBB232_391:
	s_delay_alu instid0(SALU_CYCLE_1)
	s_or_b32 exec_lo, exec_lo, s4
.LBB232_392:
	s_delay_alu instid0(SALU_CYCLE_1)
	s_or_b32 exec_lo, exec_lo, s3
.LBB232_393:
	s_delay_alu instid0(SALU_CYCLE_1) | instskip(NEXT) | instid1(SALU_CYCLE_1)
	s_or_b32 exec_lo, exec_lo, s2
	s_and_b32 s14, s0, exec_lo
                                        ; implicit-def: $vgpr16
                                        ; implicit-def: $vgpr0
.LBB232_394:
	s_or_saveexec_b32 s15, s15
	s_mov_b32 s0, 0
                                        ; implicit-def: $sgpr1
                                        ; implicit-def: $vgpr12_vgpr13
                                        ; implicit-def: $vgpr9
	s_xor_b32 exec_lo, exec_lo, s15
	s_cbranch_execz .LBB232_2054
; %bb.395:
	s_wait_loadcnt 0x1
	scratch_load_b32 v17, off, off offset:36
	s_mov_b32 s17, 8
	s_delay_alu instid0(SALU_CYCLE_1)
	v_dual_mov_b32 v0, s17 :: v_dual_lshlrev_b32 v1, 20, v0
	s_mov_b32 s18, 28
	s_mov_b32 s19, 41
	s_get_pc_i64 s[0:1]
	s_add_nc_u64 s[0:1], s[0:1], _ZN2at6native6invokeINS0_13BinaryFunctorIN3c1011Float8_e5m2ES4_bNS0_12_GLOBAL__N_116CompareEqFunctorIS4_EEEEi15function_traitsIS8_EEENT1_11result_typeERKT_PrKPcPKT0_PKNS3_10ScalarTypeEi@rel64+4
	v_add_nc_u64_e32 v[2:3], src_flat_scratch_base_lo, v[0:1]
	v_mov_b32_e32 v0, s18
	s_delay_alu instid0(VALU_DEP_1) | instskip(SKIP_1) | instid1(VALU_DEP_1)
	v_add_nc_u64_e32 v[4:5], src_flat_scratch_base_lo, v[0:1]
	v_mov_b32_e32 v0, s19
	v_add_nc_u64_e32 v[6:7], src_flat_scratch_base_lo, v[0:1]
	v_dual_mov_b32 v1, v2 :: v_dual_mov_b32 v2, v3
	s_delay_alu instid0(VALU_DEP_4) | instskip(NEXT) | instid1(VALU_DEP_3)
	v_dual_mov_b32 v3, v4 :: v_dual_mov_b32 v4, v5
	v_dual_mov_b32 v5, v6 :: v_dual_mov_b32 v6, v7
	s_wait_loadcnt 0x0
	v_dual_mov_b32 v7, v16 :: v_dual_mov_b32 v0, v17
	s_swap_pc_i64 s[30:31], s[0:1]
	s_delay_alu instid0(VALU_DEP_1) | instskip(SKIP_3) | instid1(VALU_DEP_2)
	v_and_b32_e32 v0, 1, v0
	v_add_nc_u32_e32 v8, 0x80, v16
	s_mov_b32 s3, s14
	s_mov_b32 s1, exec_lo
                                        ; implicit-def: $vgpr15
	v_cmp_eq_u32_e32 vcc_lo, 1, v0
	s_clause 0x2
	scratch_load_b32 v21, off, s18
	scratch_load_b64 v[4:5], off, s17
	scratch_load_u8 v20, off, s19
                                        ; kill: killed $sgpr18
                                        ; kill: killed $sgpr19
                                        ; kill: killed $sgpr17
	s_clause 0x1
	scratch_load_b64 v[0:1], off, off
	scratch_load_b32 v14, off, off offset:24
	s_wait_loadcnt 0x4
	v_mul_lo_u32 v6, v21, v8
	s_delay_alu instid0(VALU_DEP_1) | instskip(SKIP_1) | instid1(VALU_DEP_1)
	v_ashrrev_i32_e32 v7, 31, v6
	s_wait_loadcnt 0x3
	v_add_nc_u64_e32 v[2:3], v[4:5], v[6:7]
	s_wait_loadcnt 0x2
	s_wait_xcnt 0x0
	v_cmpx_lt_i16_e32 10, v20
	s_xor_b32 s1, exec_lo, s1
	s_cbranch_execz .LBB232_490
; %bb.396:
	s_mov_b32 s2, 0
	s_mov_b32 s5, 0
	s_mov_b32 s4, 0
	s_mov_b32 s3, exec_lo
                                        ; implicit-def: $vgpr15
	v_cmpx_lt_i16_e32 25, v20
	s_xor_b32 s3, exec_lo, s3
	s_cbranch_execz .LBB232_2138
; %bb.397:
	s_mov_b32 s6, 0
	s_mov_b32 s4, exec_lo
                                        ; implicit-def: $vgpr15
	v_cmpx_lt_i16_e32 28, v20
	s_xor_b32 s4, exec_lo, s4
	s_cbranch_execz .LBB232_437
; %bb.398:
	s_mov_b32 s7, 0
	s_mov_b32 s8, 0
	s_mov_b32 s5, exec_lo
                                        ; implicit-def: $vgpr15
	v_cmpx_lt_i16_e32 43, v20
	s_xor_b32 s5, exec_lo, s5
	s_cbranch_execz .LBB232_424
; %bb.399:
	s_mov_b32 s8, exec_lo
                                        ; implicit-def: $vgpr15
	v_cmpx_lt_i16_e32 45, v20
	s_xor_b32 s8, exec_lo, s8
	s_cbranch_execz .LBB232_411
; %bb.400:
	s_mov_b32 s9, -1
	s_mov_b32 s6, exec_lo
                                        ; implicit-def: $vgpr15
	v_cmpx_eq_u16_e32 46, v20
	s_cbranch_execz .LBB232_410
; %bb.401:
	flat_load_b32 v7, v[2:3]
	s_mov_b32 s7, exec_lo
                                        ; implicit-def: $vgpr9
	s_wait_loadcnt_dscnt 0x0
	v_lshlrev_b32_e32 v7, 16, v7
	s_delay_alu instid0(VALU_DEP_1) | instskip(SKIP_1) | instid1(VALU_DEP_1)
	v_and_b32_e32 v10, 0x7fffffff, v7
	s_wait_xcnt 0x0
	v_cmpx_gt_u32_e32 0x47800000, v10
	s_xor_b32 s7, exec_lo, s7
	s_cbranch_execz .LBB232_407
; %bb.402:
	v_cmp_lt_u32_e64 s0, 0x387fffff, v10
                                        ; implicit-def: $vgpr9
	s_and_saveexec_b32 s9, s0
	s_delay_alu instid0(SALU_CYCLE_1)
	s_xor_b32 s0, exec_lo, s9
; %bb.403:
	v_bfe_u32 v9, v7, 21, 1
	s_delay_alu instid0(VALU_DEP_1) | instskip(NEXT) | instid1(VALU_DEP_1)
	v_add3_u32 v9, v7, v9, 0x80fffff
	v_lshrrev_b32_e32 v9, 21, v9
; %bb.404:
	s_and_not1_saveexec_b32 s0, s0
; %bb.405:
	v_add_f32_e64 v9, 0x43000000, |v7|
; %bb.406:
	s_or_b32 exec_lo, exec_lo, s0
                                        ; implicit-def: $vgpr10
.LBB232_407:
	s_and_not1_saveexec_b32 s7, s7
; %bb.408:
	v_mov_b32_e32 v9, 0x7f
	v_cmp_lt_u32_e64 s0, 0x7f800000, v10
	s_delay_alu instid0(VALU_DEP_1)
	v_cndmask_b32_e64 v9, 0x7c, v9, s0
; %bb.409:
	s_or_b32 exec_lo, exec_lo, s7
	v_lshrrev_b32_e32 v7, 24, v7
	s_mov_b32 s7, exec_lo
	s_xor_b32 s9, exec_lo, -1
	s_delay_alu instid0(VALU_DEP_1)
	v_and_or_b32 v15, 0x80, v7, v9
.LBB232_410:
	s_or_b32 exec_lo, exec_lo, s6
	s_delay_alu instid0(SALU_CYCLE_1)
	s_and_b32 s7, s7, exec_lo
	s_and_b32 s6, s9, exec_lo
.LBB232_411:
	s_and_not1_saveexec_b32 s8, s8
	s_cbranch_execz .LBB232_423
; %bb.412:
	s_mov_b32 s10, -1
	s_mov_b32 s11, s7
	s_mov_b32 s9, exec_lo
                                        ; implicit-def: $vgpr15
	v_cmpx_eq_u16_e32 44, v20
	s_cbranch_execz .LBB232_422
; %bb.413:
	flat_load_u8 v7, v[2:3]
	s_mov_b32 s10, exec_lo
                                        ; implicit-def: $vgpr15
	s_wait_loadcnt_dscnt 0x0
	v_lshlrev_b32_e32 v9, 23, v7
	v_cmp_ne_u32_e64 s0, 0xff, v7
	s_delay_alu instid0(VALU_DEP_1) | instskip(SKIP_1) | instid1(VALU_DEP_1)
	v_cndmask_b32_e64 v9, 0x7f800001, v9, s0
	v_cmp_ne_u32_e64 s0, 0, v7
	v_cndmask_b32_e64 v7, 0x400000, v9, s0
	s_wait_xcnt 0x0
	s_delay_alu instid0(VALU_DEP_1)
	v_cmpx_gt_u32_e32 0x47800000, v7
	s_xor_b32 s10, exec_lo, s10
	s_cbranch_execz .LBB232_419
; %bb.414:
	v_cmp_lt_u32_e64 s0, 0x387fffff, v7
                                        ; implicit-def: $vgpr15
	s_and_saveexec_b32 s11, s0
	s_delay_alu instid0(SALU_CYCLE_1)
	s_xor_b32 s0, exec_lo, s11
; %bb.415:
	v_bfe_u32 v9, v7, 21, 1
	s_delay_alu instid0(VALU_DEP_1) | instskip(NEXT) | instid1(VALU_DEP_1)
	v_add3_u32 v7, v7, v9, 0x80fffff
	v_lshrrev_b32_e32 v15, 21, v7
                                        ; implicit-def: $vgpr7
; %bb.416:
	s_and_not1_saveexec_b32 s0, s0
; %bb.417:
	v_add_f32_e32 v15, 0x43000000, v7
; %bb.418:
	s_or_b32 exec_lo, exec_lo, s0
                                        ; implicit-def: $vgpr7
.LBB232_419:
	s_and_not1_saveexec_b32 s10, s10
; %bb.420:
	v_mov_b32_e32 v9, 0x7f
	v_cmp_lt_u32_e64 s0, 0x7f800000, v7
	s_delay_alu instid0(VALU_DEP_1)
	v_cndmask_b32_e64 v15, 0x7c, v9, s0
; %bb.421:
	s_or_b32 exec_lo, exec_lo, s10
	s_delay_alu instid0(SALU_CYCLE_1)
	s_or_b32 s11, s7, exec_lo
	s_xor_b32 s10, exec_lo, -1
.LBB232_422:
	s_or_b32 exec_lo, exec_lo, s9
	s_delay_alu instid0(SALU_CYCLE_1)
	s_and_not1_b32 s0, s7, exec_lo
	s_and_b32 s7, s11, exec_lo
	s_and_not1_b32 s6, s6, exec_lo
	s_and_b32 s9, s10, exec_lo
	s_or_b32 s7, s0, s7
	s_or_b32 s6, s6, s9
.LBB232_423:
	s_or_b32 exec_lo, exec_lo, s8
	s_delay_alu instid0(SALU_CYCLE_1)
	s_and_b32 s8, s7, exec_lo
	s_and_b32 s7, s6, exec_lo
.LBB232_424:
	s_and_not1_saveexec_b32 s5, s5
	s_cbranch_execz .LBB232_436
; %bb.425:
	s_mov_b32 s9, -1
	s_mov_b32 s10, s8
	s_mov_b32 s6, exec_lo
                                        ; implicit-def: $vgpr15
	v_cmpx_eq_u16_e32 29, v20
	s_cbranch_execz .LBB232_435
; %bb.426:
	flat_load_b64 v[10:11], v[2:3]
	s_mov_b32 s9, exec_lo
                                        ; implicit-def: $vgpr15
	s_wait_loadcnt_dscnt 0x0
	v_clz_i32_u32_e32 v7, v11
	s_delay_alu instid0(VALU_DEP_1) | instskip(NEXT) | instid1(VALU_DEP_1)
	v_min_u32_e32 v7, 32, v7
	v_lshlrev_b64_e32 v[10:11], v7, v[10:11]
	v_sub_nc_u32_e32 v7, 32, v7
	s_delay_alu instid0(VALU_DEP_2) | instskip(NEXT) | instid1(VALU_DEP_1)
	v_min_u32_e32 v9, 1, v10
	v_or_b32_e32 v9, v11, v9
	s_delay_alu instid0(VALU_DEP_1) | instskip(NEXT) | instid1(VALU_DEP_1)
	v_cvt_f32_u32_e32 v9, v9
	v_ldexp_f32 v7, v9, v7
	s_wait_xcnt 0x0
	s_delay_alu instid0(VALU_DEP_1)
	v_cmpx_gt_u32_e32 0x47800000, v7
	s_xor_b32 s9, exec_lo, s9
	s_cbranch_execz .LBB232_432
; %bb.427:
	v_cmp_lt_u32_e64 s0, 0x387fffff, v7
                                        ; implicit-def: $vgpr15
	s_and_saveexec_b32 s10, s0
	s_delay_alu instid0(SALU_CYCLE_1)
	s_xor_b32 s0, exec_lo, s10
; %bb.428:
	v_bfe_u32 v9, v7, 21, 1
	s_delay_alu instid0(VALU_DEP_1) | instskip(NEXT) | instid1(VALU_DEP_1)
	v_add3_u32 v7, v7, v9, 0x80fffff
	v_lshrrev_b32_e32 v15, 21, v7
                                        ; implicit-def: $vgpr7
; %bb.429:
	s_and_not1_saveexec_b32 s0, s0
; %bb.430:
	v_add_f32_e32 v15, 0x43000000, v7
; %bb.431:
	s_or_b32 exec_lo, exec_lo, s0
                                        ; implicit-def: $vgpr7
.LBB232_432:
	s_and_not1_saveexec_b32 s9, s9
; %bb.433:
	v_mov_b32_e32 v9, 0x7f
	v_cmp_lt_u32_e64 s0, 0x7f800000, v7
	s_delay_alu instid0(VALU_DEP_1)
	v_cndmask_b32_e64 v15, 0x7c, v9, s0
; %bb.434:
	s_or_b32 exec_lo, exec_lo, s9
	s_delay_alu instid0(SALU_CYCLE_1)
	s_or_b32 s10, s8, exec_lo
	s_xor_b32 s9, exec_lo, -1
.LBB232_435:
	s_or_b32 exec_lo, exec_lo, s6
	s_delay_alu instid0(SALU_CYCLE_1)
	s_and_not1_b32 s0, s8, exec_lo
	s_and_b32 s6, s10, exec_lo
	s_and_not1_b32 s7, s7, exec_lo
	s_and_b32 s9, s9, exec_lo
	s_or_b32 s8, s0, s6
	s_or_b32 s7, s7, s9
.LBB232_436:
	s_or_b32 exec_lo, exec_lo, s5
	s_delay_alu instid0(SALU_CYCLE_1)
	s_and_b32 s6, s8, exec_lo
	s_and_b32 s5, s7, exec_lo
.LBB232_437:
	s_and_not1_saveexec_b32 s4, s4
	s_cbranch_execz .LBB232_477
; %bb.438:
	s_mov_b32 s7, exec_lo
                                        ; implicit-def: $vgpr15
	v_cmpx_lt_i16_e32 26, v20
	s_xor_b32 s7, exec_lo, s7
	s_cbranch_execz .LBB232_460
; %bb.439:
	s_mov_b32 s8, exec_lo
                                        ; implicit-def: $vgpr15
	v_cmpx_lt_i16_e32 27, v20
	s_xor_b32 s8, exec_lo, s8
	s_cbranch_execz .LBB232_449
; %bb.440:
	flat_load_b32 v7, v[2:3]
	s_mov_b32 s9, exec_lo
                                        ; implicit-def: $vgpr15
	s_wait_loadcnt_dscnt 0x0
	v_cvt_f32_u32_e32 v7, v7
	s_wait_xcnt 0x0
	s_delay_alu instid0(VALU_DEP_1)
	v_cmpx_gt_u32_e32 0x47800000, v7
	s_xor_b32 s9, exec_lo, s9
	s_cbranch_execz .LBB232_446
; %bb.441:
	v_cmp_lt_u32_e64 s0, 0x387fffff, v7
                                        ; implicit-def: $vgpr15
	s_and_saveexec_b32 s10, s0
	s_delay_alu instid0(SALU_CYCLE_1)
	s_xor_b32 s0, exec_lo, s10
; %bb.442:
	v_bfe_u32 v9, v7, 21, 1
	s_delay_alu instid0(VALU_DEP_1) | instskip(NEXT) | instid1(VALU_DEP_1)
	v_add3_u32 v7, v7, v9, 0x80fffff
	v_lshrrev_b32_e32 v15, 21, v7
                                        ; implicit-def: $vgpr7
; %bb.443:
	s_and_not1_saveexec_b32 s0, s0
; %bb.444:
	v_add_f32_e32 v15, 0x43000000, v7
; %bb.445:
	s_or_b32 exec_lo, exec_lo, s0
                                        ; implicit-def: $vgpr7
.LBB232_446:
	s_and_not1_saveexec_b32 s9, s9
; %bb.447:
	v_mov_b32_e32 v9, 0x7f
	v_cmp_lt_u32_e64 s0, 0x7f800000, v7
	s_delay_alu instid0(VALU_DEP_1)
	v_cndmask_b32_e64 v15, 0x7c, v9, s0
; %bb.448:
	s_or_b32 exec_lo, exec_lo, s9
.LBB232_449:
	s_and_not1_saveexec_b32 s8, s8
	s_cbranch_execz .LBB232_459
; %bb.450:
	flat_load_u16 v7, v[2:3]
	s_mov_b32 s9, exec_lo
                                        ; implicit-def: $vgpr15
	s_wait_loadcnt_dscnt 0x0
	v_cvt_f32_u32_e32 v7, v7
	s_wait_xcnt 0x0
	s_delay_alu instid0(VALU_DEP_1)
	v_cmpx_gt_u32_e32 0x47800000, v7
	s_xor_b32 s9, exec_lo, s9
	s_cbranch_execz .LBB232_456
; %bb.451:
	v_cmp_lt_u32_e64 s0, 0x387fffff, v7
                                        ; implicit-def: $vgpr15
	s_and_saveexec_b32 s10, s0
	s_delay_alu instid0(SALU_CYCLE_1)
	s_xor_b32 s0, exec_lo, s10
; %bb.452:
	v_bfe_u32 v9, v7, 21, 1
	s_delay_alu instid0(VALU_DEP_1) | instskip(NEXT) | instid1(VALU_DEP_1)
	v_add3_u32 v7, v7, v9, 0x80fffff
	v_lshrrev_b32_e32 v15, 21, v7
                                        ; implicit-def: $vgpr7
; %bb.453:
	s_and_not1_saveexec_b32 s0, s0
; %bb.454:
	v_add_f32_e32 v15, 0x43000000, v7
; %bb.455:
	s_or_b32 exec_lo, exec_lo, s0
                                        ; implicit-def: $vgpr7
.LBB232_456:
	s_and_not1_saveexec_b32 s9, s9
; %bb.457:
	v_mov_b32_e32 v9, 0x7f
	v_cmp_lt_u32_e64 s0, 0x7f800000, v7
	s_delay_alu instid0(VALU_DEP_1)
	v_cndmask_b32_e64 v15, 0x7c, v9, s0
; %bb.458:
	s_or_b32 exec_lo, exec_lo, s9
.LBB232_459:
	s_delay_alu instid0(SALU_CYCLE_1)
	s_or_b32 exec_lo, exec_lo, s8
.LBB232_460:
	s_and_not1_saveexec_b32 s7, s7
	s_cbranch_execz .LBB232_476
; %bb.461:
	flat_load_u8 v9, v[2:3]
	s_mov_b32 s8, 0
	s_mov_b32 s9, exec_lo
	s_wait_loadcnt_dscnt 0x0
	v_cmpx_lt_i16_e32 0x7f, v9
	s_xor_b32 s9, exec_lo, s9
	s_cbranch_execz .LBB232_2375
; %bb.462:
	s_mov_b32 s8, -1
	s_mov_b32 s10, exec_lo
	v_cmpx_eq_u16_e32 0x80, v9
; %bb.463:
	s_xor_b32 s8, exec_lo, -1
; %bb.464:
	s_or_b32 exec_lo, exec_lo, s10
	s_delay_alu instid0(SALU_CYCLE_1)
	s_and_b32 s8, s8, exec_lo
	s_or_saveexec_b32 s9, s9
	v_mov_b32_e32 v7, 0x7f800001
	s_xor_b32 exec_lo, exec_lo, s9
	s_cbranch_execnz .LBB232_2376
.LBB232_465:
	s_or_b32 exec_lo, exec_lo, s9
	s_and_saveexec_b32 s9, s8
	s_cbranch_execz .LBB232_467
.LBB232_466:
	v_and_b32_e32 v7, 0xffff, v9
	s_delay_alu instid0(VALU_DEP_1) | instskip(SKIP_1) | instid1(VALU_DEP_2)
	v_dual_lshlrev_b32 v9, 24, v9 :: v_dual_bitop2_b32 v10, 7, v7 bitop3:0x40
	v_bfe_u32 v13, v7, 3, 4
	v_and_b32_e32 v9, 0x80000000, v9
	s_delay_alu instid0(VALU_DEP_3) | instskip(NEXT) | instid1(VALU_DEP_3)
	v_clz_i32_u32_e32 v11, v10
	v_cmp_eq_u32_e64 s0, 0, v13
	s_delay_alu instid0(VALU_DEP_2) | instskip(NEXT) | instid1(VALU_DEP_1)
	v_min_u32_e32 v11, 32, v11
	v_subrev_nc_u32_e32 v12, 28, v11
	v_sub_nc_u32_e32 v11, 29, v11
	s_delay_alu instid0(VALU_DEP_2) | instskip(NEXT) | instid1(VALU_DEP_2)
	v_lshlrev_b32_e32 v7, v12, v7
	v_cndmask_b32_e64 v11, v13, v11, s0
	s_delay_alu instid0(VALU_DEP_2) | instskip(NEXT) | instid1(VALU_DEP_1)
	v_and_b32_e32 v7, 7, v7
	v_cndmask_b32_e64 v7, v10, v7, s0
	s_delay_alu instid0(VALU_DEP_3) | instskip(NEXT) | instid1(VALU_DEP_2)
	v_lshl_add_u32 v10, v11, 23, 0x3b800000
	v_lshlrev_b32_e32 v7, 20, v7
	s_delay_alu instid0(VALU_DEP_1)
	v_or3_b32 v7, v9, v10, v7
.LBB232_467:
	s_or_b32 exec_lo, exec_lo, s9
	s_delay_alu instid0(VALU_DEP_1) | instskip(SKIP_1) | instid1(VALU_DEP_1)
	v_and_b32_e32 v10, 0x7fffffff, v7
	s_mov_b32 s8, exec_lo
                                        ; implicit-def: $vgpr9
	v_cmpx_gt_u32_e32 0x47800000, v10
	s_xor_b32 s8, exec_lo, s8
	s_cbranch_execz .LBB232_473
; %bb.468:
	v_cmp_lt_u32_e64 s0, 0x387fffff, v10
                                        ; implicit-def: $vgpr9
	s_and_saveexec_b32 s9, s0
	s_delay_alu instid0(SALU_CYCLE_1)
	s_xor_b32 s0, exec_lo, s9
; %bb.469:
	v_bfe_u32 v9, v7, 21, 1
	s_delay_alu instid0(VALU_DEP_1) | instskip(NEXT) | instid1(VALU_DEP_1)
	v_add3_u32 v9, v7, v9, 0x80fffff
	v_lshrrev_b32_e32 v9, 21, v9
; %bb.470:
	s_and_not1_saveexec_b32 s0, s0
; %bb.471:
	v_add_f32_e64 v9, 0x43000000, |v7|
; %bb.472:
	s_or_b32 exec_lo, exec_lo, s0
                                        ; implicit-def: $vgpr10
.LBB232_473:
	s_and_not1_saveexec_b32 s8, s8
; %bb.474:
	v_mov_b32_e32 v9, 0x7f
	v_cmp_lt_u32_e64 s0, 0x7f800000, v10
	s_delay_alu instid0(VALU_DEP_1)
	v_cndmask_b32_e64 v9, 0x7c, v9, s0
; %bb.475:
	s_or_b32 exec_lo, exec_lo, s8
	v_lshrrev_b32_e32 v7, 24, v7
	s_delay_alu instid0(VALU_DEP_1)
	v_and_or_b32 v15, 0x80, v7, v9
.LBB232_476:
	s_or_b32 exec_lo, exec_lo, s7
	s_delay_alu instid0(SALU_CYCLE_1)
	s_or_b32 s6, s6, exec_lo
.LBB232_477:
	s_or_b32 exec_lo, exec_lo, s4
	s_delay_alu instid0(SALU_CYCLE_1)
	s_and_b32 s4, s6, exec_lo
	s_and_b32 s5, s5, exec_lo
	s_and_not1_saveexec_b32 s3, s3
	s_cbranch_execnz .LBB232_2139
.LBB232_478:
	s_or_b32 exec_lo, exec_lo, s3
	s_mov_b32 s3, s14
	s_and_saveexec_b32 s0, s5
	s_cbranch_execnz .LBB232_2188
.LBB232_479:
	s_or_b32 exec_lo, exec_lo, s0
	s_and_saveexec_b32 s5, s2
	s_cbranch_execz .LBB232_489
.LBB232_480:
	flat_load_u8 v2, v[2:3]
	s_mov_b32 s2, exec_lo
                                        ; implicit-def: $vgpr15
	s_wait_loadcnt_dscnt 0x0
	v_cmp_ne_u16_e64 s0, 0, v2
	s_wait_xcnt 0x0
	s_delay_alu instid0(VALU_DEP_1) | instskip(NEXT) | instid1(VALU_DEP_1)
	v_cndmask_b32_e64 v2, 0, 1.0, s0
	v_cmpx_gt_u32_e32 0x47800000, v2
	s_xor_b32 s2, exec_lo, s2
	s_cbranch_execz .LBB232_486
; %bb.481:
	v_cmp_lt_u32_e64 s0, 0x387fffff, v2
                                        ; implicit-def: $vgpr15
	s_and_saveexec_b32 s6, s0
	s_delay_alu instid0(SALU_CYCLE_1)
	s_xor_b32 s0, exec_lo, s6
; %bb.482:
	v_bfe_u32 v3, v2, 21, 1
	s_delay_alu instid0(VALU_DEP_1) | instskip(NEXT) | instid1(VALU_DEP_1)
	v_add3_u32 v2, v2, v3, 0x80fffff
	v_lshrrev_b32_e32 v15, 21, v2
                                        ; implicit-def: $vgpr2
; %bb.483:
	s_and_not1_saveexec_b32 s0, s0
; %bb.484:
	v_add_f32_e32 v15, 0x43000000, v2
; %bb.485:
	s_or_b32 exec_lo, exec_lo, s0
                                        ; implicit-def: $vgpr2
.LBB232_486:
	s_and_not1_saveexec_b32 s2, s2
; %bb.487:
	v_mov_b32_e32 v3, 0x7f
	v_cmp_lt_u32_e64 s0, 0x7f800000, v2
	s_delay_alu instid0(VALU_DEP_1)
	v_cndmask_b32_e64 v15, 0x7c, v3, s0
; %bb.488:
	s_or_b32 exec_lo, exec_lo, s2
	s_delay_alu instid0(SALU_CYCLE_1)
	s_or_b32 s4, s4, exec_lo
.LBB232_489:
	s_or_b32 exec_lo, exec_lo, s5
	s_delay_alu instid0(SALU_CYCLE_1)
	s_and_not1_b32 s0, s14, exec_lo
	s_and_b32 s2, s3, exec_lo
	s_and_b32 s16, s4, exec_lo
	s_or_b32 s3, s0, s2
                                        ; implicit-def: $vgpr2_vgpr3
.LBB232_490:
	s_and_not1_saveexec_b32 s1, s1
	s_cbranch_execz .LBB232_620
; %bb.491:
	s_mov_b32 s2, exec_lo
                                        ; implicit-def: $vgpr15
	v_cmpx_lt_i16_e32 4, v20
	s_xor_b32 s2, exec_lo, s2
	s_cbranch_execz .LBB232_561
; %bb.492:
	s_mov_b32 s4, exec_lo
                                        ; implicit-def: $vgpr15
	v_cmpx_lt_i16_e32 7, v20
	s_xor_b32 s4, exec_lo, s4
	;; [unrolled: 6-line block ×4, first 2 shown]
	s_cbranch_execz .LBB232_504
; %bb.495:
	flat_load_b64 v[2:3], v[2:3]
	s_mov_b32 s7, exec_lo
	s_wait_loadcnt_dscnt 0x0
	v_cvt_f32_f64_e32 v2, v[2:3]
                                        ; implicit-def: $vgpr3
	s_delay_alu instid0(VALU_DEP_1) | instskip(NEXT) | instid1(VALU_DEP_1)
	v_and_b32_e32 v7, 0x7fffffff, v2
	v_cmpx_gt_u32_e32 0x47800000, v7
	s_xor_b32 s7, exec_lo, s7
	s_cbranch_execz .LBB232_501
; %bb.496:
	v_cmp_lt_u32_e64 s0, 0x387fffff, v7
                                        ; implicit-def: $vgpr3
	s_and_saveexec_b32 s8, s0
	s_delay_alu instid0(SALU_CYCLE_1)
	s_xor_b32 s0, exec_lo, s8
; %bb.497:
	v_bfe_u32 v3, v2, 21, 1
	s_delay_alu instid0(VALU_DEP_1) | instskip(NEXT) | instid1(VALU_DEP_1)
	v_add3_u32 v3, v2, v3, 0x80fffff
	v_lshrrev_b32_e32 v3, 21, v3
; %bb.498:
	s_and_not1_saveexec_b32 s0, s0
; %bb.499:
	v_add_f32_e64 v3, 0x43000000, |v2|
; %bb.500:
	s_or_b32 exec_lo, exec_lo, s0
                                        ; implicit-def: $vgpr7
.LBB232_501:
	s_and_not1_saveexec_b32 s7, s7
; %bb.502:
	v_mov_b32_e32 v3, 0x7f
	v_cmp_lt_u32_e64 s0, 0x7f800000, v7
	s_delay_alu instid0(VALU_DEP_1)
	v_cndmask_b32_e64 v3, 0x7c, v3, s0
; %bb.503:
	s_or_b32 exec_lo, exec_lo, s7
	v_lshrrev_b32_e32 v2, 24, v2
	s_delay_alu instid0(VALU_DEP_1)
	v_and_or_b32 v15, 0x80, v2, v3
                                        ; implicit-def: $vgpr2_vgpr3
.LBB232_504:
	s_and_not1_saveexec_b32 s6, s6
	s_cbranch_execz .LBB232_514
; %bb.505:
	flat_load_b32 v2, v[2:3]
	s_mov_b32 s7, exec_lo
                                        ; implicit-def: $vgpr3
	s_wait_loadcnt_dscnt 0x0
	v_and_b32_e32 v7, 0x7fffffff, v2
	s_wait_xcnt 0x0
	s_delay_alu instid0(VALU_DEP_1)
	v_cmpx_gt_u32_e32 0x47800000, v7
	s_xor_b32 s7, exec_lo, s7
	s_cbranch_execz .LBB232_511
; %bb.506:
	v_cmp_lt_u32_e64 s0, 0x387fffff, v7
                                        ; implicit-def: $vgpr3
	s_and_saveexec_b32 s8, s0
	s_delay_alu instid0(SALU_CYCLE_1)
	s_xor_b32 s0, exec_lo, s8
; %bb.507:
	v_bfe_u32 v3, v2, 21, 1
	s_delay_alu instid0(VALU_DEP_1) | instskip(NEXT) | instid1(VALU_DEP_1)
	v_add3_u32 v3, v2, v3, 0x80fffff
	v_lshrrev_b32_e32 v3, 21, v3
; %bb.508:
	s_and_not1_saveexec_b32 s0, s0
; %bb.509:
	v_add_f32_e64 v3, 0x43000000, |v2|
; %bb.510:
	s_or_b32 exec_lo, exec_lo, s0
                                        ; implicit-def: $vgpr7
.LBB232_511:
	s_and_not1_saveexec_b32 s7, s7
; %bb.512:
	v_mov_b32_e32 v3, 0x7f
	v_cmp_lt_u32_e64 s0, 0x7f800000, v7
	s_delay_alu instid0(VALU_DEP_1)
	v_cndmask_b32_e64 v3, 0x7c, v3, s0
; %bb.513:
	s_or_b32 exec_lo, exec_lo, s7
	v_lshrrev_b32_e32 v2, 24, v2
	s_delay_alu instid0(VALU_DEP_1)
	v_and_or_b32 v15, 0x80, v2, v3
.LBB232_514:
	s_or_b32 exec_lo, exec_lo, s6
                                        ; implicit-def: $vgpr2_vgpr3
.LBB232_515:
	s_and_not1_saveexec_b32 s5, s5
	s_cbranch_execz .LBB232_525
; %bb.516:
	flat_load_b32 v2, v[2:3]
	s_mov_b32 s6, exec_lo
                                        ; implicit-def: $vgpr3
	s_wait_loadcnt_dscnt 0x0
	v_cvt_f32_f16_e32 v2, v2
	s_delay_alu instid0(VALU_DEP_1) | instskip(NEXT) | instid1(VALU_DEP_1)
	v_and_b32_e32 v7, 0x7fffffff, v2
	v_cmpx_gt_u32_e32 0x47800000, v7
	s_xor_b32 s6, exec_lo, s6
	s_cbranch_execz .LBB232_522
; %bb.517:
	v_cmp_lt_u32_e64 s0, 0x387fffff, v7
                                        ; implicit-def: $vgpr3
	s_and_saveexec_b32 s7, s0
	s_delay_alu instid0(SALU_CYCLE_1)
	s_xor_b32 s0, exec_lo, s7
; %bb.518:
	v_bfe_u32 v3, v2, 21, 1
	s_delay_alu instid0(VALU_DEP_1) | instskip(NEXT) | instid1(VALU_DEP_1)
	v_add3_u32 v3, v2, v3, 0x80fffff
	v_lshrrev_b32_e32 v3, 21, v3
; %bb.519:
	s_and_not1_saveexec_b32 s0, s0
; %bb.520:
	v_add_f32_e64 v3, 0x43000000, |v2|
; %bb.521:
	s_or_b32 exec_lo, exec_lo, s0
                                        ; implicit-def: $vgpr7
.LBB232_522:
	s_and_not1_saveexec_b32 s6, s6
; %bb.523:
	v_mov_b32_e32 v3, 0x7f
	v_cmp_lt_u32_e64 s0, 0x7f800000, v7
	s_delay_alu instid0(VALU_DEP_1)
	v_cndmask_b32_e64 v3, 0x7c, v3, s0
; %bb.524:
	s_or_b32 exec_lo, exec_lo, s6
	v_lshrrev_b32_e32 v2, 24, v2
	s_delay_alu instid0(VALU_DEP_1)
	v_and_or_b32 v15, 0x80, v2, v3
.LBB232_525:
	s_or_b32 exec_lo, exec_lo, s5
                                        ; implicit-def: $vgpr2_vgpr3
.LBB232_526:
	s_and_not1_saveexec_b32 s4, s4
	s_cbranch_execz .LBB232_560
; %bb.527:
	s_mov_b32 s5, exec_lo
                                        ; implicit-def: $vgpr15
	v_cmpx_lt_i16_e32 5, v20
	s_xor_b32 s5, exec_lo, s5
	s_cbranch_execz .LBB232_549
; %bb.528:
	s_mov_b32 s6, exec_lo
                                        ; implicit-def: $vgpr15
	v_cmpx_lt_i16_e32 6, v20
	s_xor_b32 s6, exec_lo, s6
	s_cbranch_execz .LBB232_538
; %bb.529:
	flat_load_b64 v[2:3], v[2:3]
	s_mov_b32 s7, exec_lo
	s_wait_loadcnt_dscnt 0x0
	v_cvt_f32_f64_e32 v2, v[2:3]
                                        ; implicit-def: $vgpr3
	s_delay_alu instid0(VALU_DEP_1) | instskip(NEXT) | instid1(VALU_DEP_1)
	v_and_b32_e32 v7, 0x7fffffff, v2
	v_cmpx_gt_u32_e32 0x47800000, v7
	s_xor_b32 s7, exec_lo, s7
	s_cbranch_execz .LBB232_535
; %bb.530:
	v_cmp_lt_u32_e64 s0, 0x387fffff, v7
                                        ; implicit-def: $vgpr3
	s_and_saveexec_b32 s8, s0
	s_delay_alu instid0(SALU_CYCLE_1)
	s_xor_b32 s0, exec_lo, s8
; %bb.531:
	v_bfe_u32 v3, v2, 21, 1
	s_delay_alu instid0(VALU_DEP_1) | instskip(NEXT) | instid1(VALU_DEP_1)
	v_add3_u32 v3, v2, v3, 0x80fffff
	v_lshrrev_b32_e32 v3, 21, v3
; %bb.532:
	s_and_not1_saveexec_b32 s0, s0
; %bb.533:
	v_add_f32_e64 v3, 0x43000000, |v2|
; %bb.534:
	s_or_b32 exec_lo, exec_lo, s0
                                        ; implicit-def: $vgpr7
.LBB232_535:
	s_and_not1_saveexec_b32 s7, s7
; %bb.536:
	v_mov_b32_e32 v3, 0x7f
	v_cmp_lt_u32_e64 s0, 0x7f800000, v7
	s_delay_alu instid0(VALU_DEP_1)
	v_cndmask_b32_e64 v3, 0x7c, v3, s0
; %bb.537:
	s_or_b32 exec_lo, exec_lo, s7
	v_lshrrev_b32_e32 v2, 24, v2
	s_delay_alu instid0(VALU_DEP_1)
	v_and_or_b32 v15, 0x80, v2, v3
                                        ; implicit-def: $vgpr2_vgpr3
.LBB232_538:
	s_and_not1_saveexec_b32 s6, s6
	s_cbranch_execz .LBB232_548
; %bb.539:
	flat_load_b32 v2, v[2:3]
	s_mov_b32 s7, exec_lo
                                        ; implicit-def: $vgpr3
	s_wait_loadcnt_dscnt 0x0
	v_and_b32_e32 v7, 0x7fffffff, v2
	s_wait_xcnt 0x0
	s_delay_alu instid0(VALU_DEP_1)
	v_cmpx_gt_u32_e32 0x47800000, v7
	s_xor_b32 s7, exec_lo, s7
	s_cbranch_execz .LBB232_545
; %bb.540:
	v_cmp_lt_u32_e64 s0, 0x387fffff, v7
                                        ; implicit-def: $vgpr3
	s_and_saveexec_b32 s8, s0
	s_delay_alu instid0(SALU_CYCLE_1)
	s_xor_b32 s0, exec_lo, s8
; %bb.541:
	v_bfe_u32 v3, v2, 21, 1
	s_delay_alu instid0(VALU_DEP_1) | instskip(NEXT) | instid1(VALU_DEP_1)
	v_add3_u32 v3, v2, v3, 0x80fffff
	v_lshrrev_b32_e32 v3, 21, v3
; %bb.542:
	s_and_not1_saveexec_b32 s0, s0
; %bb.543:
	v_add_f32_e64 v3, 0x43000000, |v2|
; %bb.544:
	s_or_b32 exec_lo, exec_lo, s0
                                        ; implicit-def: $vgpr7
.LBB232_545:
	s_and_not1_saveexec_b32 s7, s7
; %bb.546:
	v_mov_b32_e32 v3, 0x7f
	v_cmp_lt_u32_e64 s0, 0x7f800000, v7
	s_delay_alu instid0(VALU_DEP_1)
	v_cndmask_b32_e64 v3, 0x7c, v3, s0
; %bb.547:
	s_or_b32 exec_lo, exec_lo, s7
	v_lshrrev_b32_e32 v2, 24, v2
	s_delay_alu instid0(VALU_DEP_1)
	v_and_or_b32 v15, 0x80, v2, v3
.LBB232_548:
	s_or_b32 exec_lo, exec_lo, s6
                                        ; implicit-def: $vgpr2_vgpr3
.LBB232_549:
	s_and_not1_saveexec_b32 s5, s5
	s_cbranch_execz .LBB232_559
; %bb.550:
	flat_load_u16 v2, v[2:3]
	s_mov_b32 s6, exec_lo
                                        ; implicit-def: $vgpr3
	s_wait_loadcnt_dscnt 0x0
	v_cvt_f32_f16_e32 v2, v2
	s_delay_alu instid0(VALU_DEP_1) | instskip(NEXT) | instid1(VALU_DEP_1)
	v_and_b32_e32 v7, 0x7fffffff, v2
	v_cmpx_gt_u32_e32 0x47800000, v7
	s_xor_b32 s6, exec_lo, s6
	s_cbranch_execz .LBB232_556
; %bb.551:
	v_cmp_lt_u32_e64 s0, 0x387fffff, v7
                                        ; implicit-def: $vgpr3
	s_and_saveexec_b32 s7, s0
	s_delay_alu instid0(SALU_CYCLE_1)
	s_xor_b32 s0, exec_lo, s7
; %bb.552:
	v_bfe_u32 v3, v2, 21, 1
	s_delay_alu instid0(VALU_DEP_1) | instskip(NEXT) | instid1(VALU_DEP_1)
	v_add3_u32 v3, v2, v3, 0x80fffff
	v_lshrrev_b32_e32 v3, 21, v3
; %bb.553:
	s_and_not1_saveexec_b32 s0, s0
; %bb.554:
	v_add_f32_e64 v3, 0x43000000, |v2|
; %bb.555:
	s_or_b32 exec_lo, exec_lo, s0
                                        ; implicit-def: $vgpr7
.LBB232_556:
	s_and_not1_saveexec_b32 s6, s6
; %bb.557:
	v_mov_b32_e32 v3, 0x7f
	v_cmp_lt_u32_e64 s0, 0x7f800000, v7
	s_delay_alu instid0(VALU_DEP_1)
	v_cndmask_b32_e64 v3, 0x7c, v3, s0
; %bb.558:
	s_or_b32 exec_lo, exec_lo, s6
	v_lshrrev_b32_e32 v2, 24, v2
	s_delay_alu instid0(VALU_DEP_1)
	v_and_or_b32 v15, 0x80, v2, v3
.LBB232_559:
	s_or_b32 exec_lo, exec_lo, s5
.LBB232_560:
	s_delay_alu instid0(SALU_CYCLE_1)
	s_or_b32 exec_lo, exec_lo, s4
                                        ; implicit-def: $vgpr2_vgpr3
.LBB232_561:
	s_and_not1_saveexec_b32 s2, s2
	s_cbranch_execz .LBB232_619
; %bb.562:
	s_mov_b32 s4, exec_lo
                                        ; implicit-def: $vgpr15
	v_cmpx_lt_i16_e32 1, v20
	s_xor_b32 s4, exec_lo, s4
	s_cbranch_execz .LBB232_596
; %bb.563:
	s_mov_b32 s5, exec_lo
                                        ; implicit-def: $vgpr15
	v_cmpx_lt_i16_e32 2, v20
	s_xor_b32 s5, exec_lo, s5
	;; [unrolled: 6-line block ×3, first 2 shown]
	s_cbranch_execz .LBB232_574
; %bb.565:
	flat_load_b64 v[2:3], v[2:3]
	s_mov_b32 s7, exec_lo
	s_wait_loadcnt_dscnt 0x0
	v_xor_b32_e32 v7, v2, v3
	v_cls_i32_e32 v9, v3
	s_delay_alu instid0(VALU_DEP_2) | instskip(NEXT) | instid1(VALU_DEP_1)
	v_ashrrev_i32_e32 v7, 31, v7
	v_add_nc_u32_e32 v7, 32, v7
	s_delay_alu instid0(VALU_DEP_1) | instskip(SKIP_1) | instid1(VALU_DEP_1)
	v_add_min_u32_e64 v7, v9, -1, v7
	s_wait_xcnt 0x0
	v_lshlrev_b64_e32 v[2:3], v7, v[2:3]
	s_delay_alu instid0(VALU_DEP_1) | instskip(NEXT) | instid1(VALU_DEP_1)
	v_min_u32_e32 v2, 1, v2
	v_dual_sub_nc_u32 v3, 32, v7 :: v_dual_bitop2_b32 v2, v3, v2 bitop3:0x54
	s_delay_alu instid0(VALU_DEP_1) | instskip(NEXT) | instid1(VALU_DEP_1)
	v_cvt_f32_i32_e32 v2, v2
	v_ldexp_f32 v2, v2, v3
                                        ; implicit-def: $vgpr3
	s_delay_alu instid0(VALU_DEP_1) | instskip(NEXT) | instid1(VALU_DEP_1)
	v_and_b32_e32 v7, 0x7fffffff, v2
	v_cmpx_gt_u32_e32 0x47800000, v7
	s_xor_b32 s7, exec_lo, s7
	s_cbranch_execz .LBB232_571
; %bb.566:
	v_cmp_lt_u32_e64 s0, 0x387fffff, v7
                                        ; implicit-def: $vgpr3
	s_and_saveexec_b32 s8, s0
	s_delay_alu instid0(SALU_CYCLE_1)
	s_xor_b32 s0, exec_lo, s8
; %bb.567:
	v_bfe_u32 v3, v2, 21, 1
	s_delay_alu instid0(VALU_DEP_1) | instskip(NEXT) | instid1(VALU_DEP_1)
	v_add3_u32 v3, v2, v3, 0x80fffff
	v_lshrrev_b32_e32 v3, 21, v3
; %bb.568:
	s_and_not1_saveexec_b32 s0, s0
; %bb.569:
	v_add_f32_e64 v3, 0x43000000, |v2|
; %bb.570:
	s_or_b32 exec_lo, exec_lo, s0
                                        ; implicit-def: $vgpr7
.LBB232_571:
	s_and_not1_saveexec_b32 s7, s7
; %bb.572:
	v_mov_b32_e32 v3, 0x7f
	v_cmp_lt_u32_e64 s0, 0x7f800000, v7
	s_delay_alu instid0(VALU_DEP_1)
	v_cndmask_b32_e64 v3, 0x7c, v3, s0
; %bb.573:
	s_or_b32 exec_lo, exec_lo, s7
	v_lshrrev_b32_e32 v2, 24, v2
	s_delay_alu instid0(VALU_DEP_1)
	v_and_or_b32 v15, 0x80, v2, v3
                                        ; implicit-def: $vgpr2_vgpr3
.LBB232_574:
	s_and_not1_saveexec_b32 s6, s6
	s_cbranch_execz .LBB232_584
; %bb.575:
	flat_load_b32 v2, v[2:3]
	s_mov_b32 s7, exec_lo
                                        ; implicit-def: $vgpr3
	s_wait_loadcnt_dscnt 0x0
	v_cvt_f32_i32_e32 v2, v2
	s_delay_alu instid0(VALU_DEP_1) | instskip(NEXT) | instid1(VALU_DEP_1)
	v_and_b32_e32 v7, 0x7fffffff, v2
	v_cmpx_gt_u32_e32 0x47800000, v7
	s_xor_b32 s7, exec_lo, s7
	s_cbranch_execz .LBB232_581
; %bb.576:
	v_cmp_lt_u32_e64 s0, 0x387fffff, v7
                                        ; implicit-def: $vgpr3
	s_and_saveexec_b32 s8, s0
	s_delay_alu instid0(SALU_CYCLE_1)
	s_xor_b32 s0, exec_lo, s8
; %bb.577:
	v_bfe_u32 v3, v2, 21, 1
	s_delay_alu instid0(VALU_DEP_1) | instskip(NEXT) | instid1(VALU_DEP_1)
	v_add3_u32 v3, v2, v3, 0x80fffff
	v_lshrrev_b32_e32 v3, 21, v3
; %bb.578:
	s_and_not1_saveexec_b32 s0, s0
; %bb.579:
	v_add_f32_e64 v3, 0x43000000, |v2|
; %bb.580:
	s_or_b32 exec_lo, exec_lo, s0
                                        ; implicit-def: $vgpr7
.LBB232_581:
	s_and_not1_saveexec_b32 s7, s7
; %bb.582:
	v_mov_b32_e32 v3, 0x7f
	v_cmp_lt_u32_e64 s0, 0x7f800000, v7
	s_delay_alu instid0(VALU_DEP_1)
	v_cndmask_b32_e64 v3, 0x7c, v3, s0
; %bb.583:
	s_or_b32 exec_lo, exec_lo, s7
	v_lshrrev_b32_e32 v2, 24, v2
	s_delay_alu instid0(VALU_DEP_1)
	v_and_or_b32 v15, 0x80, v2, v3
.LBB232_584:
	s_or_b32 exec_lo, exec_lo, s6
                                        ; implicit-def: $vgpr2_vgpr3
.LBB232_585:
	s_and_not1_saveexec_b32 s5, s5
	s_cbranch_execz .LBB232_595
; %bb.586:
	flat_load_i16 v2, v[2:3]
	s_mov_b32 s6, exec_lo
                                        ; implicit-def: $vgpr3
	s_wait_loadcnt_dscnt 0x0
	v_cvt_f32_i32_e32 v2, v2
	s_delay_alu instid0(VALU_DEP_1) | instskip(NEXT) | instid1(VALU_DEP_1)
	v_and_b32_e32 v7, 0x7fffffff, v2
	v_cmpx_gt_u32_e32 0x47800000, v7
	s_xor_b32 s6, exec_lo, s6
	s_cbranch_execz .LBB232_592
; %bb.587:
	v_cmp_lt_u32_e64 s0, 0x387fffff, v7
                                        ; implicit-def: $vgpr3
	s_and_saveexec_b32 s7, s0
	s_delay_alu instid0(SALU_CYCLE_1)
	s_xor_b32 s0, exec_lo, s7
; %bb.588:
	v_bfe_u32 v3, v2, 21, 1
	s_delay_alu instid0(VALU_DEP_1) | instskip(NEXT) | instid1(VALU_DEP_1)
	v_add3_u32 v3, v2, v3, 0x80fffff
	v_lshrrev_b32_e32 v3, 21, v3
; %bb.589:
	s_and_not1_saveexec_b32 s0, s0
; %bb.590:
	v_add_f32_e64 v3, 0x43000000, |v2|
; %bb.591:
	s_or_b32 exec_lo, exec_lo, s0
                                        ; implicit-def: $vgpr7
.LBB232_592:
	s_and_not1_saveexec_b32 s6, s6
; %bb.593:
	v_mov_b32_e32 v3, 0x7f
	v_cmp_lt_u32_e64 s0, 0x7f800000, v7
	s_delay_alu instid0(VALU_DEP_1)
	v_cndmask_b32_e64 v3, 0x7c, v3, s0
; %bb.594:
	s_or_b32 exec_lo, exec_lo, s6
	v_lshrrev_b32_e32 v2, 24, v2
	s_delay_alu instid0(VALU_DEP_1)
	v_and_or_b32 v15, 0x80, v2, v3
.LBB232_595:
	s_or_b32 exec_lo, exec_lo, s5
                                        ; implicit-def: $vgpr2_vgpr3
.LBB232_596:
	s_and_not1_saveexec_b32 s4, s4
	s_cbranch_execz .LBB232_618
; %bb.597:
	s_mov_b32 s5, exec_lo
                                        ; implicit-def: $vgpr15
	v_cmpx_lt_i16_e32 0, v20
	s_xor_b32 s5, exec_lo, s5
	s_cbranch_execz .LBB232_607
; %bb.598:
	flat_load_i8 v2, v[2:3]
	s_mov_b32 s6, exec_lo
                                        ; implicit-def: $vgpr3
	s_wait_loadcnt_dscnt 0x0
	v_cvt_f32_i32_e32 v2, v2
	s_delay_alu instid0(VALU_DEP_1) | instskip(NEXT) | instid1(VALU_DEP_1)
	v_and_b32_e32 v7, 0x7fffffff, v2
	v_cmpx_gt_u32_e32 0x47800000, v7
	s_xor_b32 s6, exec_lo, s6
	s_cbranch_execz .LBB232_604
; %bb.599:
	v_cmp_lt_u32_e64 s0, 0x387fffff, v7
                                        ; implicit-def: $vgpr3
	s_and_saveexec_b32 s7, s0
	s_delay_alu instid0(SALU_CYCLE_1)
	s_xor_b32 s0, exec_lo, s7
; %bb.600:
	v_bfe_u32 v3, v2, 21, 1
	s_delay_alu instid0(VALU_DEP_1) | instskip(NEXT) | instid1(VALU_DEP_1)
	v_add3_u32 v3, v2, v3, 0x80fffff
	v_lshrrev_b32_e32 v3, 21, v3
; %bb.601:
	s_and_not1_saveexec_b32 s0, s0
; %bb.602:
	v_add_f32_e64 v3, 0x43000000, |v2|
; %bb.603:
	s_or_b32 exec_lo, exec_lo, s0
                                        ; implicit-def: $vgpr7
.LBB232_604:
	s_and_not1_saveexec_b32 s6, s6
; %bb.605:
	v_mov_b32_e32 v3, 0x7f
	v_cmp_lt_u32_e64 s0, 0x7f800000, v7
	s_delay_alu instid0(VALU_DEP_1)
	v_cndmask_b32_e64 v3, 0x7c, v3, s0
; %bb.606:
	s_or_b32 exec_lo, exec_lo, s6
	v_lshrrev_b32_e32 v2, 24, v2
	s_delay_alu instid0(VALU_DEP_1)
	v_and_or_b32 v15, 0x80, v2, v3
                                        ; implicit-def: $vgpr2_vgpr3
.LBB232_607:
	s_and_not1_saveexec_b32 s5, s5
	s_cbranch_execz .LBB232_617
; %bb.608:
	flat_load_u8 v2, v[2:3]
	s_mov_b32 s6, exec_lo
                                        ; implicit-def: $vgpr15
	s_wait_loadcnt_dscnt 0x0
	v_cvt_f32_ubyte0_e32 v2, v2
	s_delay_alu instid0(VALU_DEP_1)
	v_cmpx_gt_u32_e32 0x47800000, v2
	s_xor_b32 s6, exec_lo, s6
	s_cbranch_execz .LBB232_614
; %bb.609:
	v_cmp_lt_u32_e64 s0, 0x387fffff, v2
                                        ; implicit-def: $vgpr15
	s_and_saveexec_b32 s7, s0
	s_delay_alu instid0(SALU_CYCLE_1)
	s_xor_b32 s0, exec_lo, s7
; %bb.610:
	v_bfe_u32 v3, v2, 21, 1
	s_delay_alu instid0(VALU_DEP_1) | instskip(NEXT) | instid1(VALU_DEP_1)
	v_add3_u32 v2, v2, v3, 0x80fffff
	v_lshrrev_b32_e32 v15, 21, v2
                                        ; implicit-def: $vgpr2
; %bb.611:
	s_and_not1_saveexec_b32 s0, s0
; %bb.612:
	v_add_f32_e32 v15, 0x43000000, v2
; %bb.613:
	s_or_b32 exec_lo, exec_lo, s0
                                        ; implicit-def: $vgpr2
.LBB232_614:
	s_and_not1_saveexec_b32 s6, s6
; %bb.615:
	v_mov_b32_e32 v3, 0x7f
	v_cmp_lt_u32_e64 s0, 0x7f800000, v2
	s_delay_alu instid0(VALU_DEP_1)
	v_cndmask_b32_e64 v15, 0x7c, v3, s0
; %bb.616:
	s_or_b32 exec_lo, exec_lo, s6
.LBB232_617:
	s_delay_alu instid0(SALU_CYCLE_1)
	s_or_b32 exec_lo, exec_lo, s5
.LBB232_618:
	s_delay_alu instid0(SALU_CYCLE_1)
	s_or_b32 exec_lo, exec_lo, s4
.LBB232_619:
	s_delay_alu instid0(SALU_CYCLE_1) | instskip(NEXT) | instid1(SALU_CYCLE_1)
	s_or_b32 exec_lo, exec_lo, s2
	s_or_b32 s16, s16, exec_lo
.LBB232_620:
	s_or_b32 exec_lo, exec_lo, s1
	s_mov_b32 s2, 0
	s_mov_b32 s6, 0
                                        ; implicit-def: $sgpr1
                                        ; implicit-def: $vgpr12_vgpr13
                                        ; implicit-def: $vgpr9
	s_and_saveexec_b32 s4, s16
	s_cbranch_execz .LBB232_2051
; %bb.621:
	s_clause 0x2
	scratch_load_b32 v22, off, off offset:32
	scratch_load_b64 v[2:3], off, off offset:16
	scratch_load_u8 v19, off, off offset:42
	s_mov_b32 s5, s3
	s_mov_b32 s1, exec_lo
                                        ; implicit-def: $vgpr18
	s_wait_loadcnt 0x2
	v_mul_lo_u32 v8, v22, v8
	s_delay_alu instid0(VALU_DEP_1) | instskip(SKIP_1) | instid1(VALU_DEP_1)
	v_ashrrev_i32_e32 v9, 31, v8
	s_wait_loadcnt 0x1
	v_add_nc_u64_e32 v[10:11], v[2:3], v[8:9]
	s_wait_loadcnt 0x0
	v_cmpx_lt_i16_e32 10, v19
	s_xor_b32 s1, exec_lo, s1
	s_cbranch_execz .LBB232_716
; %bb.622:
	s_mov_b32 s7, 0
	s_mov_b32 s5, exec_lo
                                        ; implicit-def: $vgpr18
	v_cmpx_lt_i16_e32 25, v19
	s_xor_b32 s5, exec_lo, s5
	s_cbranch_execz .LBB232_2231
; %bb.623:
	s_mov_b32 s8, 0
	s_mov_b32 s6, exec_lo
                                        ; implicit-def: $vgpr18
	v_cmpx_lt_i16_e32 28, v19
	s_xor_b32 s6, exec_lo, s6
	s_cbranch_execz .LBB232_663
; %bb.624:
	s_mov_b32 s9, 0
	s_mov_b32 s10, 0
	s_mov_b32 s7, exec_lo
                                        ; implicit-def: $vgpr18
	v_cmpx_lt_i16_e32 43, v19
	s_xor_b32 s7, exec_lo, s7
	s_cbranch_execz .LBB232_650
; %bb.625:
	s_mov_b32 s10, exec_lo
                                        ; implicit-def: $vgpr18
	v_cmpx_lt_i16_e32 45, v19
	s_xor_b32 s10, exec_lo, s10
	s_cbranch_execz .LBB232_637
; %bb.626:
	s_mov_b32 s11, -1
	s_mov_b32 s8, exec_lo
                                        ; implicit-def: $vgpr18
	v_cmpx_eq_u16_e32 46, v19
	s_cbranch_execz .LBB232_636
; %bb.627:
	flat_load_b32 v7, v[10:11]
	s_mov_b32 s9, exec_lo
                                        ; implicit-def: $vgpr9
	s_wait_loadcnt_dscnt 0x0
	v_lshlrev_b32_e32 v7, 16, v7
	s_delay_alu instid0(VALU_DEP_1) | instskip(SKIP_1) | instid1(VALU_DEP_1)
	v_and_b32_e32 v12, 0x7fffffff, v7
	s_wait_xcnt 0x0
	v_cmpx_gt_u32_e32 0x47800000, v12
	s_xor_b32 s9, exec_lo, s9
	s_cbranch_execz .LBB232_633
; %bb.628:
	v_cmp_lt_u32_e64 s0, 0x387fffff, v12
                                        ; implicit-def: $vgpr9
	s_and_saveexec_b32 s11, s0
	s_delay_alu instid0(SALU_CYCLE_1)
	s_xor_b32 s0, exec_lo, s11
; %bb.629:
	v_bfe_u32 v9, v7, 21, 1
	s_delay_alu instid0(VALU_DEP_1) | instskip(NEXT) | instid1(VALU_DEP_1)
	v_add3_u32 v9, v7, v9, 0x80fffff
	v_lshrrev_b32_e32 v9, 21, v9
; %bb.630:
	s_and_not1_saveexec_b32 s0, s0
; %bb.631:
	v_add_f32_e64 v9, 0x43000000, |v7|
; %bb.632:
	s_or_b32 exec_lo, exec_lo, s0
                                        ; implicit-def: $vgpr12
.LBB232_633:
	s_and_not1_saveexec_b32 s9, s9
; %bb.634:
	v_mov_b32_e32 v9, 0x7f
	v_cmp_lt_u32_e64 s0, 0x7f800000, v12
	s_delay_alu instid0(VALU_DEP_1)
	v_cndmask_b32_e64 v9, 0x7c, v9, s0
; %bb.635:
	s_or_b32 exec_lo, exec_lo, s9
	v_lshrrev_b32_e32 v7, 24, v7
	s_mov_b32 s9, exec_lo
	s_xor_b32 s11, exec_lo, -1
	s_delay_alu instid0(VALU_DEP_1)
	v_and_or_b32 v18, 0x80, v7, v9
.LBB232_636:
	s_or_b32 exec_lo, exec_lo, s8
	s_delay_alu instid0(SALU_CYCLE_1)
	s_and_b32 s9, s9, exec_lo
	s_and_b32 s8, s11, exec_lo
.LBB232_637:
	s_and_not1_saveexec_b32 s10, s10
	s_cbranch_execz .LBB232_649
; %bb.638:
	s_mov_b32 s12, -1
	s_mov_b32 s13, s9
	s_mov_b32 s11, exec_lo
                                        ; implicit-def: $vgpr18
	v_cmpx_eq_u16_e32 44, v19
	s_cbranch_execz .LBB232_648
; %bb.639:
	flat_load_u8 v7, v[10:11]
	s_mov_b32 s12, exec_lo
                                        ; implicit-def: $vgpr18
	s_wait_loadcnt_dscnt 0x0
	v_lshlrev_b32_e32 v9, 23, v7
	v_cmp_ne_u32_e64 s0, 0xff, v7
	s_delay_alu instid0(VALU_DEP_1) | instskip(SKIP_1) | instid1(VALU_DEP_1)
	v_cndmask_b32_e64 v9, 0x7f800001, v9, s0
	v_cmp_ne_u32_e64 s0, 0, v7
	v_cndmask_b32_e64 v7, 0x400000, v9, s0
	s_wait_xcnt 0x0
	s_delay_alu instid0(VALU_DEP_1)
	v_cmpx_gt_u32_e32 0x47800000, v7
	s_xor_b32 s12, exec_lo, s12
	s_cbranch_execz .LBB232_645
; %bb.640:
	v_cmp_lt_u32_e64 s0, 0x387fffff, v7
                                        ; implicit-def: $vgpr18
	s_and_saveexec_b32 s13, s0
	s_delay_alu instid0(SALU_CYCLE_1)
	s_xor_b32 s0, exec_lo, s13
; %bb.641:
	v_bfe_u32 v9, v7, 21, 1
	s_delay_alu instid0(VALU_DEP_1) | instskip(NEXT) | instid1(VALU_DEP_1)
	v_add3_u32 v7, v7, v9, 0x80fffff
	v_lshrrev_b32_e32 v18, 21, v7
                                        ; implicit-def: $vgpr7
; %bb.642:
	s_and_not1_saveexec_b32 s0, s0
; %bb.643:
	v_add_f32_e32 v18, 0x43000000, v7
; %bb.644:
	s_or_b32 exec_lo, exec_lo, s0
                                        ; implicit-def: $vgpr7
.LBB232_645:
	s_and_not1_saveexec_b32 s12, s12
; %bb.646:
	v_mov_b32_e32 v9, 0x7f
	v_cmp_lt_u32_e64 s0, 0x7f800000, v7
	s_delay_alu instid0(VALU_DEP_1)
	v_cndmask_b32_e64 v18, 0x7c, v9, s0
; %bb.647:
	s_or_b32 exec_lo, exec_lo, s12
	s_delay_alu instid0(SALU_CYCLE_1)
	s_or_b32 s13, s9, exec_lo
	s_xor_b32 s12, exec_lo, -1
.LBB232_648:
	s_or_b32 exec_lo, exec_lo, s11
	s_delay_alu instid0(SALU_CYCLE_1)
	s_and_not1_b32 s0, s9, exec_lo
	s_and_b32 s9, s13, exec_lo
	s_and_not1_b32 s8, s8, exec_lo
	s_and_b32 s11, s12, exec_lo
	s_or_b32 s9, s0, s9
	s_or_b32 s8, s8, s11
.LBB232_649:
	s_or_b32 exec_lo, exec_lo, s10
	s_delay_alu instid0(SALU_CYCLE_1)
	s_and_b32 s10, s9, exec_lo
	s_and_b32 s9, s8, exec_lo
.LBB232_650:
	s_and_not1_saveexec_b32 s7, s7
	s_cbranch_execz .LBB232_662
; %bb.651:
	s_mov_b32 s11, -1
	s_mov_b32 s12, s10
	s_mov_b32 s8, exec_lo
                                        ; implicit-def: $vgpr18
	v_cmpx_eq_u16_e32 29, v19
	s_cbranch_execz .LBB232_661
; %bb.652:
	flat_load_b64 v[12:13], v[10:11]
	s_mov_b32 s11, exec_lo
                                        ; implicit-def: $vgpr18
	s_wait_loadcnt_dscnt 0x0
	v_clz_i32_u32_e32 v7, v13
	s_delay_alu instid0(VALU_DEP_1) | instskip(NEXT) | instid1(VALU_DEP_1)
	v_min_u32_e32 v7, 32, v7
	v_lshlrev_b64_e32 v[12:13], v7, v[12:13]
	v_sub_nc_u32_e32 v7, 32, v7
	s_delay_alu instid0(VALU_DEP_2) | instskip(NEXT) | instid1(VALU_DEP_1)
	v_min_u32_e32 v9, 1, v12
	v_or_b32_e32 v9, v13, v9
	s_delay_alu instid0(VALU_DEP_1) | instskip(NEXT) | instid1(VALU_DEP_1)
	v_cvt_f32_u32_e32 v9, v9
	v_ldexp_f32 v7, v9, v7
	s_wait_xcnt 0x0
	s_delay_alu instid0(VALU_DEP_1)
	v_cmpx_gt_u32_e32 0x47800000, v7
	s_xor_b32 s11, exec_lo, s11
	s_cbranch_execz .LBB232_658
; %bb.653:
	v_cmp_lt_u32_e64 s0, 0x387fffff, v7
                                        ; implicit-def: $vgpr18
	s_and_saveexec_b32 s12, s0
	s_delay_alu instid0(SALU_CYCLE_1)
	s_xor_b32 s0, exec_lo, s12
; %bb.654:
	v_bfe_u32 v9, v7, 21, 1
	s_delay_alu instid0(VALU_DEP_1) | instskip(NEXT) | instid1(VALU_DEP_1)
	v_add3_u32 v7, v7, v9, 0x80fffff
	v_lshrrev_b32_e32 v18, 21, v7
                                        ; implicit-def: $vgpr7
; %bb.655:
	s_and_not1_saveexec_b32 s0, s0
; %bb.656:
	v_add_f32_e32 v18, 0x43000000, v7
; %bb.657:
	s_or_b32 exec_lo, exec_lo, s0
                                        ; implicit-def: $vgpr7
.LBB232_658:
	s_and_not1_saveexec_b32 s11, s11
; %bb.659:
	v_mov_b32_e32 v9, 0x7f
	v_cmp_lt_u32_e64 s0, 0x7f800000, v7
	s_delay_alu instid0(VALU_DEP_1)
	v_cndmask_b32_e64 v18, 0x7c, v9, s0
; %bb.660:
	s_or_b32 exec_lo, exec_lo, s11
	s_delay_alu instid0(SALU_CYCLE_1)
	s_or_b32 s12, s10, exec_lo
	s_xor_b32 s11, exec_lo, -1
.LBB232_661:
	s_or_b32 exec_lo, exec_lo, s8
	s_delay_alu instid0(SALU_CYCLE_1)
	s_and_not1_b32 s0, s10, exec_lo
	s_and_b32 s8, s12, exec_lo
	s_and_not1_b32 s9, s9, exec_lo
	s_and_b32 s11, s11, exec_lo
	s_or_b32 s10, s0, s8
	s_or_b32 s9, s9, s11
.LBB232_662:
	s_or_b32 exec_lo, exec_lo, s7
	s_delay_alu instid0(SALU_CYCLE_1)
	s_and_b32 s8, s10, exec_lo
	s_and_b32 s7, s9, exec_lo
.LBB232_663:
	s_and_not1_saveexec_b32 s6, s6
	s_cbranch_execz .LBB232_703
; %bb.664:
	s_mov_b32 s9, exec_lo
                                        ; implicit-def: $vgpr18
	v_cmpx_lt_i16_e32 26, v19
	s_xor_b32 s9, exec_lo, s9
	s_cbranch_execz .LBB232_686
; %bb.665:
	s_mov_b32 s10, exec_lo
                                        ; implicit-def: $vgpr18
	v_cmpx_lt_i16_e32 27, v19
	s_xor_b32 s10, exec_lo, s10
	s_cbranch_execz .LBB232_675
; %bb.666:
	flat_load_b32 v7, v[10:11]
	s_mov_b32 s11, exec_lo
                                        ; implicit-def: $vgpr18
	s_wait_loadcnt_dscnt 0x0
	v_cvt_f32_u32_e32 v7, v7
	s_wait_xcnt 0x0
	s_delay_alu instid0(VALU_DEP_1)
	v_cmpx_gt_u32_e32 0x47800000, v7
	s_xor_b32 s11, exec_lo, s11
	s_cbranch_execz .LBB232_672
; %bb.667:
	v_cmp_lt_u32_e64 s0, 0x387fffff, v7
                                        ; implicit-def: $vgpr18
	s_and_saveexec_b32 s12, s0
	s_delay_alu instid0(SALU_CYCLE_1)
	s_xor_b32 s0, exec_lo, s12
; %bb.668:
	v_bfe_u32 v9, v7, 21, 1
	s_delay_alu instid0(VALU_DEP_1) | instskip(NEXT) | instid1(VALU_DEP_1)
	v_add3_u32 v7, v7, v9, 0x80fffff
	v_lshrrev_b32_e32 v18, 21, v7
                                        ; implicit-def: $vgpr7
; %bb.669:
	s_and_not1_saveexec_b32 s0, s0
; %bb.670:
	v_add_f32_e32 v18, 0x43000000, v7
; %bb.671:
	s_or_b32 exec_lo, exec_lo, s0
                                        ; implicit-def: $vgpr7
.LBB232_672:
	s_and_not1_saveexec_b32 s11, s11
; %bb.673:
	v_mov_b32_e32 v9, 0x7f
	v_cmp_lt_u32_e64 s0, 0x7f800000, v7
	s_delay_alu instid0(VALU_DEP_1)
	v_cndmask_b32_e64 v18, 0x7c, v9, s0
; %bb.674:
	s_or_b32 exec_lo, exec_lo, s11
.LBB232_675:
	s_and_not1_saveexec_b32 s10, s10
	s_cbranch_execz .LBB232_685
; %bb.676:
	flat_load_u16 v7, v[10:11]
	s_mov_b32 s11, exec_lo
                                        ; implicit-def: $vgpr18
	s_wait_loadcnt_dscnt 0x0
	v_cvt_f32_u32_e32 v7, v7
	s_wait_xcnt 0x0
	s_delay_alu instid0(VALU_DEP_1)
	v_cmpx_gt_u32_e32 0x47800000, v7
	s_xor_b32 s11, exec_lo, s11
	s_cbranch_execz .LBB232_682
; %bb.677:
	v_cmp_lt_u32_e64 s0, 0x387fffff, v7
                                        ; implicit-def: $vgpr18
	s_and_saveexec_b32 s12, s0
	s_delay_alu instid0(SALU_CYCLE_1)
	s_xor_b32 s0, exec_lo, s12
; %bb.678:
	v_bfe_u32 v9, v7, 21, 1
	s_delay_alu instid0(VALU_DEP_1) | instskip(NEXT) | instid1(VALU_DEP_1)
	v_add3_u32 v7, v7, v9, 0x80fffff
	v_lshrrev_b32_e32 v18, 21, v7
                                        ; implicit-def: $vgpr7
; %bb.679:
	s_and_not1_saveexec_b32 s0, s0
; %bb.680:
	v_add_f32_e32 v18, 0x43000000, v7
; %bb.681:
	s_or_b32 exec_lo, exec_lo, s0
                                        ; implicit-def: $vgpr7
.LBB232_682:
	s_and_not1_saveexec_b32 s11, s11
; %bb.683:
	v_mov_b32_e32 v9, 0x7f
	v_cmp_lt_u32_e64 s0, 0x7f800000, v7
	s_delay_alu instid0(VALU_DEP_1)
	v_cndmask_b32_e64 v18, 0x7c, v9, s0
; %bb.684:
	s_or_b32 exec_lo, exec_lo, s11
.LBB232_685:
	s_delay_alu instid0(SALU_CYCLE_1)
	s_or_b32 exec_lo, exec_lo, s10
.LBB232_686:
	s_and_not1_saveexec_b32 s9, s9
	s_cbranch_execz .LBB232_702
; %bb.687:
	flat_load_u8 v9, v[10:11]
	s_mov_b32 s10, 0
	s_mov_b32 s11, exec_lo
	s_wait_loadcnt_dscnt 0x0
	v_cmpx_lt_i16_e32 0x7f, v9
	s_xor_b32 s11, exec_lo, s11
	s_cbranch_execz .LBB232_2428
; %bb.688:
	s_mov_b32 s10, -1
	s_mov_b32 s12, exec_lo
	v_cmpx_eq_u16_e32 0x80, v9
; %bb.689:
	s_xor_b32 s10, exec_lo, -1
; %bb.690:
	s_or_b32 exec_lo, exec_lo, s12
	s_delay_alu instid0(SALU_CYCLE_1)
	s_and_b32 s10, s10, exec_lo
	s_or_saveexec_b32 s11, s11
	v_mov_b32_e32 v7, 0x7f800001
	s_xor_b32 exec_lo, exec_lo, s11
	s_cbranch_execnz .LBB232_2429
.LBB232_691:
	s_or_b32 exec_lo, exec_lo, s11
	s_and_saveexec_b32 s11, s10
	s_cbranch_execz .LBB232_693
.LBB232_692:
	v_and_b32_e32 v7, 0xffff, v9
	s_delay_alu instid0(VALU_DEP_1) | instskip(SKIP_1) | instid1(VALU_DEP_2)
	v_and_b32_e32 v12, 7, v7
	v_bfe_u32 v23, v7, 3, 4
	v_clz_i32_u32_e32 v13, v12
	s_delay_alu instid0(VALU_DEP_2) | instskip(NEXT) | instid1(VALU_DEP_2)
	v_cmp_eq_u32_e64 s0, 0, v23
	v_min_u32_e32 v13, 32, v13
	s_delay_alu instid0(VALU_DEP_1) | instskip(NEXT) | instid1(VALU_DEP_1)
	v_subrev_nc_u32_e32 v18, 28, v13
	v_dual_lshlrev_b32 v7, v18, v7 :: v_dual_sub_nc_u32 v13, 29, v13
	s_delay_alu instid0(VALU_DEP_1) | instskip(NEXT) | instid1(VALU_DEP_1)
	v_dual_lshlrev_b32 v9, 24, v9 :: v_dual_bitop2_b32 v7, 7, v7 bitop3:0x40
	v_dual_cndmask_b32 v7, v12, v7, s0 :: v_dual_cndmask_b32 v13, v23, v13, s0
	s_delay_alu instid0(VALU_DEP_2) | instskip(NEXT) | instid1(VALU_DEP_2)
	v_and_b32_e32 v9, 0x80000000, v9
	v_lshlrev_b32_e32 v7, 20, v7
	s_delay_alu instid0(VALU_DEP_3) | instskip(NEXT) | instid1(VALU_DEP_1)
	v_lshl_add_u32 v12, v13, 23, 0x3b800000
	v_or3_b32 v7, v9, v12, v7
.LBB232_693:
	s_or_b32 exec_lo, exec_lo, s11
	s_delay_alu instid0(VALU_DEP_1) | instskip(SKIP_1) | instid1(VALU_DEP_1)
	v_and_b32_e32 v12, 0x7fffffff, v7
	s_mov_b32 s10, exec_lo
                                        ; implicit-def: $vgpr9
	v_cmpx_gt_u32_e32 0x47800000, v12
	s_xor_b32 s10, exec_lo, s10
	s_cbranch_execz .LBB232_699
; %bb.694:
	v_cmp_lt_u32_e64 s0, 0x387fffff, v12
                                        ; implicit-def: $vgpr9
	s_and_saveexec_b32 s11, s0
	s_delay_alu instid0(SALU_CYCLE_1)
	s_xor_b32 s0, exec_lo, s11
; %bb.695:
	v_bfe_u32 v9, v7, 21, 1
	s_delay_alu instid0(VALU_DEP_1) | instskip(NEXT) | instid1(VALU_DEP_1)
	v_add3_u32 v9, v7, v9, 0x80fffff
	v_lshrrev_b32_e32 v9, 21, v9
; %bb.696:
	s_and_not1_saveexec_b32 s0, s0
; %bb.697:
	v_add_f32_e64 v9, 0x43000000, |v7|
; %bb.698:
	s_or_b32 exec_lo, exec_lo, s0
                                        ; implicit-def: $vgpr12
.LBB232_699:
	s_and_not1_saveexec_b32 s10, s10
; %bb.700:
	v_mov_b32_e32 v9, 0x7f
	v_cmp_lt_u32_e64 s0, 0x7f800000, v12
	s_delay_alu instid0(VALU_DEP_1)
	v_cndmask_b32_e64 v9, 0x7c, v9, s0
; %bb.701:
	s_or_b32 exec_lo, exec_lo, s10
	v_lshrrev_b32_e32 v7, 24, v7
	s_delay_alu instid0(VALU_DEP_1)
	v_and_or_b32 v18, 0x80, v7, v9
.LBB232_702:
	s_or_b32 exec_lo, exec_lo, s9
	s_delay_alu instid0(SALU_CYCLE_1)
	s_or_b32 s8, s8, exec_lo
.LBB232_703:
	s_or_b32 exec_lo, exec_lo, s6
	s_delay_alu instid0(SALU_CYCLE_1)
	s_and_b32 s6, s8, exec_lo
	s_and_b32 s7, s7, exec_lo
	s_and_not1_saveexec_b32 s5, s5
	s_cbranch_execnz .LBB232_2232
.LBB232_704:
	s_or_b32 exec_lo, exec_lo, s5
	s_mov_b32 s5, s3
	s_and_saveexec_b32 s0, s7
	s_cbranch_execnz .LBB232_2281
.LBB232_705:
	s_or_b32 exec_lo, exec_lo, s0
	s_and_saveexec_b32 s7, s2
	s_cbranch_execz .LBB232_715
.LBB232_706:
	flat_load_u8 v7, v[10:11]
	s_mov_b32 s2, exec_lo
                                        ; implicit-def: $vgpr18
	s_wait_loadcnt_dscnt 0x0
	v_cmp_ne_u16_e64 s0, 0, v7
	s_delay_alu instid0(VALU_DEP_1) | instskip(SKIP_1) | instid1(VALU_DEP_1)
	v_cndmask_b32_e64 v7, 0, 1.0, s0
	s_wait_xcnt 0x0
	v_cmpx_gt_u32_e32 0x47800000, v7
	s_xor_b32 s2, exec_lo, s2
	s_cbranch_execz .LBB232_712
; %bb.707:
	v_cmp_lt_u32_e64 s0, 0x387fffff, v7
                                        ; implicit-def: $vgpr18
	s_and_saveexec_b32 s8, s0
	s_delay_alu instid0(SALU_CYCLE_1)
	s_xor_b32 s0, exec_lo, s8
; %bb.708:
	v_bfe_u32 v9, v7, 21, 1
	s_delay_alu instid0(VALU_DEP_1) | instskip(NEXT) | instid1(VALU_DEP_1)
	v_add3_u32 v7, v7, v9, 0x80fffff
	v_lshrrev_b32_e32 v18, 21, v7
                                        ; implicit-def: $vgpr7
; %bb.709:
	s_and_not1_saveexec_b32 s0, s0
; %bb.710:
	v_add_f32_e32 v18, 0x43000000, v7
; %bb.711:
	s_or_b32 exec_lo, exec_lo, s0
                                        ; implicit-def: $vgpr7
.LBB232_712:
	s_and_not1_saveexec_b32 s2, s2
; %bb.713:
	v_mov_b32_e32 v9, 0x7f
	v_cmp_lt_u32_e64 s0, 0x7f800000, v7
	s_delay_alu instid0(VALU_DEP_1)
	v_cndmask_b32_e64 v18, 0x7c, v9, s0
; %bb.714:
	s_or_b32 exec_lo, exec_lo, s2
	s_delay_alu instid0(SALU_CYCLE_1)
	s_or_b32 s6, s6, exec_lo
.LBB232_715:
	s_or_b32 exec_lo, exec_lo, s7
	s_delay_alu instid0(SALU_CYCLE_1) | instskip(SKIP_1) | instid1(SALU_CYCLE_1)
	s_and_not1_b32 s0, s3, exec_lo
	s_and_b32 s2, s5, exec_lo
                                        ; implicit-def: $vgpr10_vgpr11
	s_or_b32 s5, s0, s2
	s_and_b32 s2, s6, exec_lo
.LBB232_716:
	s_and_not1_saveexec_b32 s1, s1
	s_cbranch_execz .LBB232_846
; %bb.717:
	s_mov_b32 s6, exec_lo
                                        ; implicit-def: $vgpr18
	v_cmpx_lt_i16_e32 4, v19
	s_xor_b32 s6, exec_lo, s6
	s_cbranch_execz .LBB232_787
; %bb.718:
	s_mov_b32 s7, exec_lo
                                        ; implicit-def: $vgpr18
	v_cmpx_lt_i16_e32 7, v19
	s_xor_b32 s7, exec_lo, s7
	;; [unrolled: 6-line block ×4, first 2 shown]
	s_cbranch_execz .LBB232_730
; %bb.721:
	flat_load_b64 v[10:11], v[10:11]
	s_mov_b32 s10, exec_lo
                                        ; implicit-def: $vgpr9
	s_wait_loadcnt_dscnt 0x0
	v_cvt_f32_f64_e32 v7, v[10:11]
	s_wait_xcnt 0x0
	s_delay_alu instid0(VALU_DEP_1) | instskip(NEXT) | instid1(VALU_DEP_1)
	v_and_b32_e32 v10, 0x7fffffff, v7
	v_cmpx_gt_u32_e32 0x47800000, v10
	s_xor_b32 s10, exec_lo, s10
	s_cbranch_execz .LBB232_727
; %bb.722:
	v_cmp_lt_u32_e64 s0, 0x387fffff, v10
                                        ; implicit-def: $vgpr9
	s_and_saveexec_b32 s11, s0
	s_delay_alu instid0(SALU_CYCLE_1)
	s_xor_b32 s0, exec_lo, s11
; %bb.723:
	v_bfe_u32 v9, v7, 21, 1
	s_delay_alu instid0(VALU_DEP_1) | instskip(NEXT) | instid1(VALU_DEP_1)
	v_add3_u32 v9, v7, v9, 0x80fffff
	v_lshrrev_b32_e32 v9, 21, v9
; %bb.724:
	s_and_not1_saveexec_b32 s0, s0
; %bb.725:
	v_add_f32_e64 v9, 0x43000000, |v7|
; %bb.726:
	s_or_b32 exec_lo, exec_lo, s0
                                        ; implicit-def: $vgpr10
.LBB232_727:
	s_and_not1_saveexec_b32 s10, s10
; %bb.728:
	v_mov_b32_e32 v9, 0x7f
	v_cmp_lt_u32_e64 s0, 0x7f800000, v10
	s_delay_alu instid0(VALU_DEP_1)
	v_cndmask_b32_e64 v9, 0x7c, v9, s0
; %bb.729:
	s_or_b32 exec_lo, exec_lo, s10
	v_lshrrev_b32_e32 v7, 24, v7
                                        ; implicit-def: $vgpr10_vgpr11
	s_delay_alu instid0(VALU_DEP_1)
	v_and_or_b32 v18, 0x80, v7, v9
.LBB232_730:
	s_and_not1_saveexec_b32 s9, s9
	s_cbranch_execz .LBB232_740
; %bb.731:
	flat_load_b32 v7, v[10:11]
	s_mov_b32 s10, exec_lo
                                        ; implicit-def: $vgpr9
	s_wait_loadcnt_dscnt 0x0
	v_and_b32_e32 v10, 0x7fffffff, v7
	s_delay_alu instid0(VALU_DEP_1)
	v_cmpx_gt_u32_e32 0x47800000, v10
	s_xor_b32 s10, exec_lo, s10
	s_cbranch_execz .LBB232_737
; %bb.732:
	v_cmp_lt_u32_e64 s0, 0x387fffff, v10
                                        ; implicit-def: $vgpr9
	s_and_saveexec_b32 s11, s0
	s_delay_alu instid0(SALU_CYCLE_1)
	s_xor_b32 s0, exec_lo, s11
; %bb.733:
	v_bfe_u32 v9, v7, 21, 1
	s_delay_alu instid0(VALU_DEP_1) | instskip(NEXT) | instid1(VALU_DEP_1)
	v_add3_u32 v9, v7, v9, 0x80fffff
	v_lshrrev_b32_e32 v9, 21, v9
; %bb.734:
	s_and_not1_saveexec_b32 s0, s0
; %bb.735:
	v_add_f32_e64 v9, 0x43000000, |v7|
; %bb.736:
	s_or_b32 exec_lo, exec_lo, s0
                                        ; implicit-def: $vgpr10
.LBB232_737:
	s_and_not1_saveexec_b32 s10, s10
; %bb.738:
	v_mov_b32_e32 v9, 0x7f
	v_cmp_lt_u32_e64 s0, 0x7f800000, v10
	s_delay_alu instid0(VALU_DEP_1)
	v_cndmask_b32_e64 v9, 0x7c, v9, s0
; %bb.739:
	s_or_b32 exec_lo, exec_lo, s10
	v_lshrrev_b32_e32 v7, 24, v7
	s_delay_alu instid0(VALU_DEP_1)
	v_and_or_b32 v18, 0x80, v7, v9
.LBB232_740:
	s_or_b32 exec_lo, exec_lo, s9
                                        ; implicit-def: $vgpr10_vgpr11
.LBB232_741:
	s_and_not1_saveexec_b32 s8, s8
	s_cbranch_execz .LBB232_751
; %bb.742:
	flat_load_b32 v7, v[10:11]
	s_mov_b32 s9, exec_lo
                                        ; implicit-def: $vgpr9
	s_wait_loadcnt_dscnt 0x0
	v_cvt_f32_f16_e32 v7, v7
	s_wait_xcnt 0x0
	s_delay_alu instid0(VALU_DEP_1) | instskip(NEXT) | instid1(VALU_DEP_1)
	v_and_b32_e32 v10, 0x7fffffff, v7
	v_cmpx_gt_u32_e32 0x47800000, v10
	s_xor_b32 s9, exec_lo, s9
	s_cbranch_execz .LBB232_748
; %bb.743:
	v_cmp_lt_u32_e64 s0, 0x387fffff, v10
                                        ; implicit-def: $vgpr9
	s_and_saveexec_b32 s10, s0
	s_delay_alu instid0(SALU_CYCLE_1)
	s_xor_b32 s0, exec_lo, s10
; %bb.744:
	v_bfe_u32 v9, v7, 21, 1
	s_delay_alu instid0(VALU_DEP_1) | instskip(NEXT) | instid1(VALU_DEP_1)
	v_add3_u32 v9, v7, v9, 0x80fffff
	v_lshrrev_b32_e32 v9, 21, v9
; %bb.745:
	s_and_not1_saveexec_b32 s0, s0
; %bb.746:
	v_add_f32_e64 v9, 0x43000000, |v7|
; %bb.747:
	s_or_b32 exec_lo, exec_lo, s0
                                        ; implicit-def: $vgpr10
.LBB232_748:
	s_and_not1_saveexec_b32 s9, s9
; %bb.749:
	v_mov_b32_e32 v9, 0x7f
	v_cmp_lt_u32_e64 s0, 0x7f800000, v10
	s_delay_alu instid0(VALU_DEP_1)
	v_cndmask_b32_e64 v9, 0x7c, v9, s0
; %bb.750:
	s_or_b32 exec_lo, exec_lo, s9
	v_lshrrev_b32_e32 v7, 24, v7
	s_delay_alu instid0(VALU_DEP_1)
	v_and_or_b32 v18, 0x80, v7, v9
.LBB232_751:
	s_or_b32 exec_lo, exec_lo, s8
                                        ; implicit-def: $vgpr10_vgpr11
.LBB232_752:
	s_and_not1_saveexec_b32 s7, s7
	s_cbranch_execz .LBB232_786
; %bb.753:
	s_mov_b32 s8, exec_lo
                                        ; implicit-def: $vgpr18
	v_cmpx_lt_i16_e32 5, v19
	s_xor_b32 s8, exec_lo, s8
	s_cbranch_execz .LBB232_775
; %bb.754:
	s_mov_b32 s9, exec_lo
                                        ; implicit-def: $vgpr18
	v_cmpx_lt_i16_e32 6, v19
	s_xor_b32 s9, exec_lo, s9
	s_cbranch_execz .LBB232_764
; %bb.755:
	flat_load_b64 v[10:11], v[10:11]
	s_mov_b32 s10, exec_lo
                                        ; implicit-def: $vgpr9
	s_wait_loadcnt_dscnt 0x0
	v_cvt_f32_f64_e32 v7, v[10:11]
	s_wait_xcnt 0x0
	s_delay_alu instid0(VALU_DEP_1) | instskip(NEXT) | instid1(VALU_DEP_1)
	v_and_b32_e32 v10, 0x7fffffff, v7
	v_cmpx_gt_u32_e32 0x47800000, v10
	s_xor_b32 s10, exec_lo, s10
	s_cbranch_execz .LBB232_761
; %bb.756:
	v_cmp_lt_u32_e64 s0, 0x387fffff, v10
                                        ; implicit-def: $vgpr9
	s_and_saveexec_b32 s11, s0
	s_delay_alu instid0(SALU_CYCLE_1)
	s_xor_b32 s0, exec_lo, s11
; %bb.757:
	v_bfe_u32 v9, v7, 21, 1
	s_delay_alu instid0(VALU_DEP_1) | instskip(NEXT) | instid1(VALU_DEP_1)
	v_add3_u32 v9, v7, v9, 0x80fffff
	v_lshrrev_b32_e32 v9, 21, v9
; %bb.758:
	s_and_not1_saveexec_b32 s0, s0
; %bb.759:
	v_add_f32_e64 v9, 0x43000000, |v7|
; %bb.760:
	s_or_b32 exec_lo, exec_lo, s0
                                        ; implicit-def: $vgpr10
.LBB232_761:
	s_and_not1_saveexec_b32 s10, s10
; %bb.762:
	v_mov_b32_e32 v9, 0x7f
	v_cmp_lt_u32_e64 s0, 0x7f800000, v10
	s_delay_alu instid0(VALU_DEP_1)
	v_cndmask_b32_e64 v9, 0x7c, v9, s0
; %bb.763:
	s_or_b32 exec_lo, exec_lo, s10
	v_lshrrev_b32_e32 v7, 24, v7
                                        ; implicit-def: $vgpr10_vgpr11
	s_delay_alu instid0(VALU_DEP_1)
	v_and_or_b32 v18, 0x80, v7, v9
.LBB232_764:
	s_and_not1_saveexec_b32 s9, s9
	s_cbranch_execz .LBB232_774
; %bb.765:
	flat_load_b32 v7, v[10:11]
	s_mov_b32 s10, exec_lo
                                        ; implicit-def: $vgpr9
	s_wait_loadcnt_dscnt 0x0
	v_and_b32_e32 v10, 0x7fffffff, v7
	s_delay_alu instid0(VALU_DEP_1)
	v_cmpx_gt_u32_e32 0x47800000, v10
	s_xor_b32 s10, exec_lo, s10
	s_cbranch_execz .LBB232_771
; %bb.766:
	v_cmp_lt_u32_e64 s0, 0x387fffff, v10
                                        ; implicit-def: $vgpr9
	s_and_saveexec_b32 s11, s0
	s_delay_alu instid0(SALU_CYCLE_1)
	s_xor_b32 s0, exec_lo, s11
; %bb.767:
	v_bfe_u32 v9, v7, 21, 1
	s_delay_alu instid0(VALU_DEP_1) | instskip(NEXT) | instid1(VALU_DEP_1)
	v_add3_u32 v9, v7, v9, 0x80fffff
	v_lshrrev_b32_e32 v9, 21, v9
; %bb.768:
	s_and_not1_saveexec_b32 s0, s0
; %bb.769:
	v_add_f32_e64 v9, 0x43000000, |v7|
; %bb.770:
	s_or_b32 exec_lo, exec_lo, s0
                                        ; implicit-def: $vgpr10
.LBB232_771:
	s_and_not1_saveexec_b32 s10, s10
; %bb.772:
	v_mov_b32_e32 v9, 0x7f
	v_cmp_lt_u32_e64 s0, 0x7f800000, v10
	s_delay_alu instid0(VALU_DEP_1)
	v_cndmask_b32_e64 v9, 0x7c, v9, s0
; %bb.773:
	s_or_b32 exec_lo, exec_lo, s10
	v_lshrrev_b32_e32 v7, 24, v7
	s_delay_alu instid0(VALU_DEP_1)
	v_and_or_b32 v18, 0x80, v7, v9
.LBB232_774:
	s_or_b32 exec_lo, exec_lo, s9
                                        ; implicit-def: $vgpr10_vgpr11
.LBB232_775:
	s_and_not1_saveexec_b32 s8, s8
	s_cbranch_execz .LBB232_785
; %bb.776:
	flat_load_u16 v7, v[10:11]
	s_mov_b32 s9, exec_lo
                                        ; implicit-def: $vgpr9
	s_wait_loadcnt_dscnt 0x0
	v_cvt_f32_f16_e32 v7, v7
	s_wait_xcnt 0x0
	s_delay_alu instid0(VALU_DEP_1) | instskip(NEXT) | instid1(VALU_DEP_1)
	v_and_b32_e32 v10, 0x7fffffff, v7
	v_cmpx_gt_u32_e32 0x47800000, v10
	s_xor_b32 s9, exec_lo, s9
	s_cbranch_execz .LBB232_782
; %bb.777:
	v_cmp_lt_u32_e64 s0, 0x387fffff, v10
                                        ; implicit-def: $vgpr9
	s_and_saveexec_b32 s10, s0
	s_delay_alu instid0(SALU_CYCLE_1)
	s_xor_b32 s0, exec_lo, s10
; %bb.778:
	v_bfe_u32 v9, v7, 21, 1
	s_delay_alu instid0(VALU_DEP_1) | instskip(NEXT) | instid1(VALU_DEP_1)
	v_add3_u32 v9, v7, v9, 0x80fffff
	v_lshrrev_b32_e32 v9, 21, v9
; %bb.779:
	s_and_not1_saveexec_b32 s0, s0
; %bb.780:
	v_add_f32_e64 v9, 0x43000000, |v7|
; %bb.781:
	s_or_b32 exec_lo, exec_lo, s0
                                        ; implicit-def: $vgpr10
.LBB232_782:
	s_and_not1_saveexec_b32 s9, s9
; %bb.783:
	v_mov_b32_e32 v9, 0x7f
	v_cmp_lt_u32_e64 s0, 0x7f800000, v10
	s_delay_alu instid0(VALU_DEP_1)
	v_cndmask_b32_e64 v9, 0x7c, v9, s0
; %bb.784:
	s_or_b32 exec_lo, exec_lo, s9
	v_lshrrev_b32_e32 v7, 24, v7
	s_delay_alu instid0(VALU_DEP_1)
	v_and_or_b32 v18, 0x80, v7, v9
.LBB232_785:
	s_or_b32 exec_lo, exec_lo, s8
.LBB232_786:
	s_delay_alu instid0(SALU_CYCLE_1)
	s_or_b32 exec_lo, exec_lo, s7
                                        ; implicit-def: $vgpr10_vgpr11
.LBB232_787:
	s_and_not1_saveexec_b32 s6, s6
	s_cbranch_execz .LBB232_845
; %bb.788:
	s_mov_b32 s7, exec_lo
                                        ; implicit-def: $vgpr18
	v_cmpx_lt_i16_e32 1, v19
	s_xor_b32 s7, exec_lo, s7
	s_cbranch_execz .LBB232_822
; %bb.789:
	s_mov_b32 s8, exec_lo
                                        ; implicit-def: $vgpr18
	v_cmpx_lt_i16_e32 2, v19
	s_xor_b32 s8, exec_lo, s8
	;; [unrolled: 6-line block ×3, first 2 shown]
	s_cbranch_execz .LBB232_800
; %bb.791:
	flat_load_b64 v[10:11], v[10:11]
	s_mov_b32 s10, exec_lo
	s_wait_loadcnt_dscnt 0x0
	v_xor_b32_e32 v7, v10, v11
	v_cls_i32_e32 v9, v11
	s_delay_alu instid0(VALU_DEP_2) | instskip(NEXT) | instid1(VALU_DEP_1)
	v_ashrrev_i32_e32 v7, 31, v7
	v_add_nc_u32_e32 v7, 32, v7
	s_delay_alu instid0(VALU_DEP_1) | instskip(SKIP_1) | instid1(VALU_DEP_1)
	v_add_min_u32_e64 v7, v9, -1, v7
	s_wait_xcnt 0x0
	v_lshlrev_b64_e32 v[10:11], v7, v[10:11]
	v_sub_nc_u32_e32 v7, 32, v7
	s_delay_alu instid0(VALU_DEP_2) | instskip(NEXT) | instid1(VALU_DEP_1)
	v_min_u32_e32 v9, 1, v10
	v_or_b32_e32 v9, v11, v9
	s_delay_alu instid0(VALU_DEP_1) | instskip(NEXT) | instid1(VALU_DEP_1)
	v_cvt_f32_i32_e32 v9, v9
	v_ldexp_f32 v7, v9, v7
                                        ; implicit-def: $vgpr9
	s_delay_alu instid0(VALU_DEP_1) | instskip(NEXT) | instid1(VALU_DEP_1)
	v_and_b32_e32 v10, 0x7fffffff, v7
	v_cmpx_gt_u32_e32 0x47800000, v10
	s_xor_b32 s10, exec_lo, s10
	s_cbranch_execz .LBB232_797
; %bb.792:
	v_cmp_lt_u32_e64 s0, 0x387fffff, v10
                                        ; implicit-def: $vgpr9
	s_and_saveexec_b32 s11, s0
	s_delay_alu instid0(SALU_CYCLE_1)
	s_xor_b32 s0, exec_lo, s11
; %bb.793:
	v_bfe_u32 v9, v7, 21, 1
	s_delay_alu instid0(VALU_DEP_1) | instskip(NEXT) | instid1(VALU_DEP_1)
	v_add3_u32 v9, v7, v9, 0x80fffff
	v_lshrrev_b32_e32 v9, 21, v9
; %bb.794:
	s_and_not1_saveexec_b32 s0, s0
; %bb.795:
	v_add_f32_e64 v9, 0x43000000, |v7|
; %bb.796:
	s_or_b32 exec_lo, exec_lo, s0
                                        ; implicit-def: $vgpr10
.LBB232_797:
	s_and_not1_saveexec_b32 s10, s10
; %bb.798:
	v_mov_b32_e32 v9, 0x7f
	v_cmp_lt_u32_e64 s0, 0x7f800000, v10
	s_delay_alu instid0(VALU_DEP_1)
	v_cndmask_b32_e64 v9, 0x7c, v9, s0
; %bb.799:
	s_or_b32 exec_lo, exec_lo, s10
	v_lshrrev_b32_e32 v7, 24, v7
                                        ; implicit-def: $vgpr10_vgpr11
	s_delay_alu instid0(VALU_DEP_1)
	v_and_or_b32 v18, 0x80, v7, v9
.LBB232_800:
	s_and_not1_saveexec_b32 s9, s9
	s_cbranch_execz .LBB232_810
; %bb.801:
	flat_load_b32 v7, v[10:11]
	s_mov_b32 s10, exec_lo
                                        ; implicit-def: $vgpr9
	s_wait_loadcnt_dscnt 0x0
	v_cvt_f32_i32_e32 v7, v7
	s_wait_xcnt 0x0
	s_delay_alu instid0(VALU_DEP_1) | instskip(NEXT) | instid1(VALU_DEP_1)
	v_and_b32_e32 v10, 0x7fffffff, v7
	v_cmpx_gt_u32_e32 0x47800000, v10
	s_xor_b32 s10, exec_lo, s10
	s_cbranch_execz .LBB232_807
; %bb.802:
	v_cmp_lt_u32_e64 s0, 0x387fffff, v10
                                        ; implicit-def: $vgpr9
	s_and_saveexec_b32 s11, s0
	s_delay_alu instid0(SALU_CYCLE_1)
	s_xor_b32 s0, exec_lo, s11
; %bb.803:
	v_bfe_u32 v9, v7, 21, 1
	s_delay_alu instid0(VALU_DEP_1) | instskip(NEXT) | instid1(VALU_DEP_1)
	v_add3_u32 v9, v7, v9, 0x80fffff
	v_lshrrev_b32_e32 v9, 21, v9
; %bb.804:
	s_and_not1_saveexec_b32 s0, s0
; %bb.805:
	v_add_f32_e64 v9, 0x43000000, |v7|
; %bb.806:
	s_or_b32 exec_lo, exec_lo, s0
                                        ; implicit-def: $vgpr10
.LBB232_807:
	s_and_not1_saveexec_b32 s10, s10
; %bb.808:
	v_mov_b32_e32 v9, 0x7f
	v_cmp_lt_u32_e64 s0, 0x7f800000, v10
	s_delay_alu instid0(VALU_DEP_1)
	v_cndmask_b32_e64 v9, 0x7c, v9, s0
; %bb.809:
	s_or_b32 exec_lo, exec_lo, s10
	v_lshrrev_b32_e32 v7, 24, v7
	s_delay_alu instid0(VALU_DEP_1)
	v_and_or_b32 v18, 0x80, v7, v9
.LBB232_810:
	s_or_b32 exec_lo, exec_lo, s9
                                        ; implicit-def: $vgpr10_vgpr11
.LBB232_811:
	s_and_not1_saveexec_b32 s8, s8
	s_cbranch_execz .LBB232_821
; %bb.812:
	flat_load_i16 v7, v[10:11]
	s_mov_b32 s9, exec_lo
                                        ; implicit-def: $vgpr9
	s_wait_loadcnt_dscnt 0x0
	v_cvt_f32_i32_e32 v7, v7
	s_wait_xcnt 0x0
	s_delay_alu instid0(VALU_DEP_1) | instskip(NEXT) | instid1(VALU_DEP_1)
	v_and_b32_e32 v10, 0x7fffffff, v7
	v_cmpx_gt_u32_e32 0x47800000, v10
	s_xor_b32 s9, exec_lo, s9
	s_cbranch_execz .LBB232_818
; %bb.813:
	v_cmp_lt_u32_e64 s0, 0x387fffff, v10
                                        ; implicit-def: $vgpr9
	s_and_saveexec_b32 s10, s0
	s_delay_alu instid0(SALU_CYCLE_1)
	s_xor_b32 s0, exec_lo, s10
; %bb.814:
	v_bfe_u32 v9, v7, 21, 1
	s_delay_alu instid0(VALU_DEP_1) | instskip(NEXT) | instid1(VALU_DEP_1)
	v_add3_u32 v9, v7, v9, 0x80fffff
	v_lshrrev_b32_e32 v9, 21, v9
; %bb.815:
	s_and_not1_saveexec_b32 s0, s0
; %bb.816:
	v_add_f32_e64 v9, 0x43000000, |v7|
; %bb.817:
	s_or_b32 exec_lo, exec_lo, s0
                                        ; implicit-def: $vgpr10
.LBB232_818:
	s_and_not1_saveexec_b32 s9, s9
; %bb.819:
	v_mov_b32_e32 v9, 0x7f
	v_cmp_lt_u32_e64 s0, 0x7f800000, v10
	s_delay_alu instid0(VALU_DEP_1)
	v_cndmask_b32_e64 v9, 0x7c, v9, s0
; %bb.820:
	s_or_b32 exec_lo, exec_lo, s9
	v_lshrrev_b32_e32 v7, 24, v7
	s_delay_alu instid0(VALU_DEP_1)
	v_and_or_b32 v18, 0x80, v7, v9
.LBB232_821:
	s_or_b32 exec_lo, exec_lo, s8
                                        ; implicit-def: $vgpr10_vgpr11
.LBB232_822:
	s_and_not1_saveexec_b32 s7, s7
	s_cbranch_execz .LBB232_844
; %bb.823:
	s_mov_b32 s8, exec_lo
                                        ; implicit-def: $vgpr18
	v_cmpx_lt_i16_e32 0, v19
	s_xor_b32 s8, exec_lo, s8
	s_cbranch_execz .LBB232_833
; %bb.824:
	flat_load_i8 v7, v[10:11]
	s_mov_b32 s9, exec_lo
                                        ; implicit-def: $vgpr9
	s_wait_loadcnt_dscnt 0x0
	v_cvt_f32_i32_e32 v7, v7
	s_wait_xcnt 0x0
	s_delay_alu instid0(VALU_DEP_1) | instskip(NEXT) | instid1(VALU_DEP_1)
	v_and_b32_e32 v10, 0x7fffffff, v7
	v_cmpx_gt_u32_e32 0x47800000, v10
	s_xor_b32 s9, exec_lo, s9
	s_cbranch_execz .LBB232_830
; %bb.825:
	v_cmp_lt_u32_e64 s0, 0x387fffff, v10
                                        ; implicit-def: $vgpr9
	s_and_saveexec_b32 s10, s0
	s_delay_alu instid0(SALU_CYCLE_1)
	s_xor_b32 s0, exec_lo, s10
; %bb.826:
	v_bfe_u32 v9, v7, 21, 1
	s_delay_alu instid0(VALU_DEP_1) | instskip(NEXT) | instid1(VALU_DEP_1)
	v_add3_u32 v9, v7, v9, 0x80fffff
	v_lshrrev_b32_e32 v9, 21, v9
; %bb.827:
	s_and_not1_saveexec_b32 s0, s0
; %bb.828:
	v_add_f32_e64 v9, 0x43000000, |v7|
; %bb.829:
	s_or_b32 exec_lo, exec_lo, s0
                                        ; implicit-def: $vgpr10
.LBB232_830:
	s_and_not1_saveexec_b32 s9, s9
; %bb.831:
	v_mov_b32_e32 v9, 0x7f
	v_cmp_lt_u32_e64 s0, 0x7f800000, v10
	s_delay_alu instid0(VALU_DEP_1)
	v_cndmask_b32_e64 v9, 0x7c, v9, s0
; %bb.832:
	s_or_b32 exec_lo, exec_lo, s9
	v_lshrrev_b32_e32 v7, 24, v7
                                        ; implicit-def: $vgpr10_vgpr11
	s_delay_alu instid0(VALU_DEP_1)
	v_and_or_b32 v18, 0x80, v7, v9
.LBB232_833:
	s_and_not1_saveexec_b32 s8, s8
	s_cbranch_execz .LBB232_843
; %bb.834:
	flat_load_u8 v7, v[10:11]
	s_mov_b32 s9, exec_lo
                                        ; implicit-def: $vgpr18
	s_wait_loadcnt_dscnt 0x0
	v_cvt_f32_ubyte0_e32 v7, v7
	s_wait_xcnt 0x0
	s_delay_alu instid0(VALU_DEP_1)
	v_cmpx_gt_u32_e32 0x47800000, v7
	s_xor_b32 s9, exec_lo, s9
	s_cbranch_execz .LBB232_840
; %bb.835:
	v_cmp_lt_u32_e64 s0, 0x387fffff, v7
                                        ; implicit-def: $vgpr18
	s_and_saveexec_b32 s10, s0
	s_delay_alu instid0(SALU_CYCLE_1)
	s_xor_b32 s0, exec_lo, s10
; %bb.836:
	v_bfe_u32 v9, v7, 21, 1
	s_delay_alu instid0(VALU_DEP_1) | instskip(NEXT) | instid1(VALU_DEP_1)
	v_add3_u32 v7, v7, v9, 0x80fffff
	v_lshrrev_b32_e32 v18, 21, v7
                                        ; implicit-def: $vgpr7
; %bb.837:
	s_and_not1_saveexec_b32 s0, s0
; %bb.838:
	v_add_f32_e32 v18, 0x43000000, v7
; %bb.839:
	s_or_b32 exec_lo, exec_lo, s0
                                        ; implicit-def: $vgpr7
.LBB232_840:
	s_and_not1_saveexec_b32 s9, s9
; %bb.841:
	v_mov_b32_e32 v9, 0x7f
	v_cmp_lt_u32_e64 s0, 0x7f800000, v7
	s_delay_alu instid0(VALU_DEP_1)
	v_cndmask_b32_e64 v18, 0x7c, v9, s0
; %bb.842:
	s_or_b32 exec_lo, exec_lo, s9
.LBB232_843:
	s_delay_alu instid0(SALU_CYCLE_1)
	s_or_b32 exec_lo, exec_lo, s8
.LBB232_844:
	s_delay_alu instid0(SALU_CYCLE_1)
	s_or_b32 exec_lo, exec_lo, s7
.LBB232_845:
	s_delay_alu instid0(SALU_CYCLE_1) | instskip(NEXT) | instid1(SALU_CYCLE_1)
	s_or_b32 exec_lo, exec_lo, s6
	s_or_b32 s2, s2, exec_lo
.LBB232_846:
	s_or_b32 exec_lo, exec_lo, s1
	s_mov_b32 s0, 0
	s_mov_b32 s8, 0
                                        ; implicit-def: $sgpr1
                                        ; implicit-def: $vgpr12_vgpr13
                                        ; implicit-def: $vgpr9
	s_and_saveexec_b32 s6, s2
	s_cbranch_execz .LBB232_2050
; %bb.847:
	v_lshlrev_b32_e32 v23, 7, v21
	s_mov_b32 s2, 0
	s_mov_b32 s7, s5
	s_mov_b32 s1, exec_lo
	s_delay_alu instid0(VALU_DEP_1) | instskip(NEXT) | instid1(VALU_DEP_1)
	v_add_nc_u32_e32 v10, v6, v23
	v_ashrrev_i32_e32 v11, 31, v10
	s_delay_alu instid0(VALU_DEP_1)
	v_add_nc_u64_e32 v[6:7], v[4:5], v[10:11]
                                        ; implicit-def: $vgpr11
	v_cmpx_lt_i16_e32 10, v20
	s_xor_b32 s1, exec_lo, s1
	s_cbranch_execz .LBB232_942
; %bb.848:
	s_mov_b32 s9, 0
	s_mov_b32 s7, exec_lo
                                        ; implicit-def: $vgpr11
	v_cmpx_lt_i16_e32 25, v20
	s_xor_b32 s7, exec_lo, s7
	s_cbranch_execz .LBB232_2324
; %bb.849:
	s_mov_b32 s10, 0
	s_mov_b32 s8, exec_lo
                                        ; implicit-def: $vgpr11
	v_cmpx_lt_i16_e32 28, v20
	s_xor_b32 s8, exec_lo, s8
	s_cbranch_execz .LBB232_889
; %bb.850:
	s_mov_b32 s11, 0
	s_mov_b32 s12, 0
	s_mov_b32 s9, exec_lo
                                        ; implicit-def: $vgpr11
	v_cmpx_lt_i16_e32 43, v20
	s_xor_b32 s9, exec_lo, s9
	s_cbranch_execz .LBB232_876
; %bb.851:
	s_mov_b32 s12, exec_lo
                                        ; implicit-def: $vgpr11
	v_cmpx_lt_i16_e32 45, v20
	s_xor_b32 s12, exec_lo, s12
	s_cbranch_execz .LBB232_863
; %bb.852:
	s_mov_b32 s13, -1
	s_mov_b32 s10, exec_lo
                                        ; implicit-def: $vgpr11
	v_cmpx_eq_u16_e32 46, v20
	s_cbranch_execz .LBB232_862
; %bb.853:
	flat_load_b32 v9, v[6:7]
	s_mov_b32 s11, exec_lo
                                        ; implicit-def: $vgpr11
	s_wait_loadcnt_dscnt 0x0
	v_lshlrev_b32_e32 v9, 16, v9
	s_delay_alu instid0(VALU_DEP_1) | instskip(SKIP_1) | instid1(VALU_DEP_1)
	v_and_b32_e32 v12, 0x7fffffff, v9
	s_wait_xcnt 0x0
	v_cmpx_gt_u32_e32 0x47800000, v12
	s_xor_b32 s11, exec_lo, s11
	s_cbranch_execz .LBB232_859
; %bb.854:
	v_cmp_lt_u32_e64 s0, 0x387fffff, v12
                                        ; implicit-def: $vgpr11
	s_and_saveexec_b32 s13, s0
	s_delay_alu instid0(SALU_CYCLE_1)
	s_xor_b32 s0, exec_lo, s13
; %bb.855:
	v_bfe_u32 v11, v9, 21, 1
	s_delay_alu instid0(VALU_DEP_1) | instskip(NEXT) | instid1(VALU_DEP_1)
	v_add3_u32 v11, v9, v11, 0x80fffff
	v_lshrrev_b32_e32 v11, 21, v11
; %bb.856:
	s_and_not1_saveexec_b32 s0, s0
; %bb.857:
	v_add_f32_e64 v11, 0x43000000, |v9|
; %bb.858:
	s_or_b32 exec_lo, exec_lo, s0
                                        ; implicit-def: $vgpr12
.LBB232_859:
	s_and_not1_saveexec_b32 s11, s11
; %bb.860:
	v_mov_b32_e32 v11, 0x7f
	v_cmp_lt_u32_e64 s0, 0x7f800000, v12
	s_delay_alu instid0(VALU_DEP_1)
	v_cndmask_b32_e64 v11, 0x7c, v11, s0
; %bb.861:
	s_or_b32 exec_lo, exec_lo, s11
	v_lshrrev_b32_e32 v9, 24, v9
	s_mov_b32 s11, exec_lo
	s_xor_b32 s13, exec_lo, -1
	s_delay_alu instid0(VALU_DEP_1)
	v_and_or_b32 v11, 0x80, v9, v11
.LBB232_862:
	s_or_b32 exec_lo, exec_lo, s10
	s_delay_alu instid0(SALU_CYCLE_1)
	s_and_b32 s11, s11, exec_lo
	s_and_b32 s10, s13, exec_lo
.LBB232_863:
	s_and_not1_saveexec_b32 s12, s12
	s_cbranch_execz .LBB232_875
; %bb.864:
	s_mov_b32 s16, -1
	s_mov_b32 s17, s11
	s_mov_b32 s13, exec_lo
                                        ; implicit-def: $vgpr11
	v_cmpx_eq_u16_e32 44, v20
	s_cbranch_execz .LBB232_874
; %bb.865:
	flat_load_u8 v9, v[6:7]
	s_mov_b32 s16, exec_lo
	s_wait_loadcnt_dscnt 0x0
	v_lshlrev_b32_e32 v11, 23, v9
	v_cmp_ne_u32_e64 s0, 0xff, v9
	s_delay_alu instid0(VALU_DEP_1) | instskip(SKIP_1) | instid1(VALU_DEP_1)
	v_cndmask_b32_e64 v11, 0x7f800001, v11, s0
	v_cmp_ne_u32_e64 s0, 0, v9
	v_cndmask_b32_e64 v9, 0x400000, v11, s0
                                        ; implicit-def: $vgpr11
	s_wait_xcnt 0x0
	s_delay_alu instid0(VALU_DEP_1)
	v_cmpx_gt_u32_e32 0x47800000, v9
	s_xor_b32 s16, exec_lo, s16
	s_cbranch_execz .LBB232_871
; %bb.866:
	v_cmp_lt_u32_e64 s0, 0x387fffff, v9
                                        ; implicit-def: $vgpr11
	s_and_saveexec_b32 s17, s0
	s_delay_alu instid0(SALU_CYCLE_1)
	s_xor_b32 s0, exec_lo, s17
; %bb.867:
	v_bfe_u32 v11, v9, 21, 1
	s_delay_alu instid0(VALU_DEP_1) | instskip(NEXT) | instid1(VALU_DEP_1)
	v_add3_u32 v9, v9, v11, 0x80fffff
	v_lshrrev_b32_e32 v11, 21, v9
                                        ; implicit-def: $vgpr9
; %bb.868:
	s_and_not1_saveexec_b32 s0, s0
; %bb.869:
	v_add_f32_e32 v11, 0x43000000, v9
; %bb.870:
	s_or_b32 exec_lo, exec_lo, s0
                                        ; implicit-def: $vgpr9
.LBB232_871:
	s_and_not1_saveexec_b32 s16, s16
; %bb.872:
	v_mov_b32_e32 v11, 0x7f
	v_cmp_lt_u32_e64 s0, 0x7f800000, v9
	s_delay_alu instid0(VALU_DEP_1)
	v_cndmask_b32_e64 v11, 0x7c, v11, s0
; %bb.873:
	s_or_b32 exec_lo, exec_lo, s16
	s_delay_alu instid0(SALU_CYCLE_1)
	s_or_b32 s17, s11, exec_lo
	s_xor_b32 s16, exec_lo, -1
.LBB232_874:
	s_or_b32 exec_lo, exec_lo, s13
	s_delay_alu instid0(SALU_CYCLE_1)
	s_and_not1_b32 s0, s11, exec_lo
	s_and_b32 s11, s17, exec_lo
	s_and_not1_b32 s10, s10, exec_lo
	s_and_b32 s13, s16, exec_lo
	s_or_b32 s11, s0, s11
	s_or_b32 s10, s10, s13
.LBB232_875:
	s_or_b32 exec_lo, exec_lo, s12
	s_delay_alu instid0(SALU_CYCLE_1)
	s_and_b32 s12, s11, exec_lo
	s_and_b32 s11, s10, exec_lo
.LBB232_876:
	s_and_not1_saveexec_b32 s9, s9
	s_cbranch_execz .LBB232_888
; %bb.877:
	s_mov_b32 s13, -1
	s_mov_b32 s16, s12
	s_mov_b32 s10, exec_lo
                                        ; implicit-def: $vgpr11
	v_cmpx_eq_u16_e32 29, v20
	s_cbranch_execz .LBB232_887
; %bb.878:
	flat_load_b64 v[12:13], v[6:7]
	s_mov_b32 s13, exec_lo
	s_wait_loadcnt_dscnt 0x0
	v_clz_i32_u32_e32 v9, v13
	s_delay_alu instid0(VALU_DEP_1) | instskip(NEXT) | instid1(VALU_DEP_1)
	v_min_u32_e32 v9, 32, v9
	v_lshlrev_b64_e32 v[12:13], v9, v[12:13]
	v_sub_nc_u32_e32 v9, 32, v9
	s_delay_alu instid0(VALU_DEP_2) | instskip(NEXT) | instid1(VALU_DEP_1)
	v_min_u32_e32 v11, 1, v12
	v_or_b32_e32 v11, v13, v11
	s_delay_alu instid0(VALU_DEP_1) | instskip(NEXT) | instid1(VALU_DEP_1)
	v_cvt_f32_u32_e32 v11, v11
	v_ldexp_f32 v9, v11, v9
                                        ; implicit-def: $vgpr11
	s_wait_xcnt 0x0
	s_delay_alu instid0(VALU_DEP_1)
	v_cmpx_gt_u32_e32 0x47800000, v9
	s_xor_b32 s13, exec_lo, s13
	s_cbranch_execz .LBB232_884
; %bb.879:
	v_cmp_lt_u32_e64 s0, 0x387fffff, v9
                                        ; implicit-def: $vgpr11
	s_and_saveexec_b32 s16, s0
	s_delay_alu instid0(SALU_CYCLE_1)
	s_xor_b32 s0, exec_lo, s16
; %bb.880:
	v_bfe_u32 v11, v9, 21, 1
	s_delay_alu instid0(VALU_DEP_1) | instskip(NEXT) | instid1(VALU_DEP_1)
	v_add3_u32 v9, v9, v11, 0x80fffff
	v_lshrrev_b32_e32 v11, 21, v9
                                        ; implicit-def: $vgpr9
; %bb.881:
	s_and_not1_saveexec_b32 s0, s0
; %bb.882:
	v_add_f32_e32 v11, 0x43000000, v9
; %bb.883:
	s_or_b32 exec_lo, exec_lo, s0
                                        ; implicit-def: $vgpr9
.LBB232_884:
	s_and_not1_saveexec_b32 s13, s13
; %bb.885:
	v_mov_b32_e32 v11, 0x7f
	v_cmp_lt_u32_e64 s0, 0x7f800000, v9
	s_delay_alu instid0(VALU_DEP_1)
	v_cndmask_b32_e64 v11, 0x7c, v11, s0
; %bb.886:
	s_or_b32 exec_lo, exec_lo, s13
	s_delay_alu instid0(SALU_CYCLE_1)
	s_or_b32 s16, s12, exec_lo
	s_xor_b32 s13, exec_lo, -1
.LBB232_887:
	s_or_b32 exec_lo, exec_lo, s10
	s_delay_alu instid0(SALU_CYCLE_1)
	s_and_not1_b32 s0, s12, exec_lo
	s_and_b32 s10, s16, exec_lo
	s_and_not1_b32 s11, s11, exec_lo
	s_and_b32 s13, s13, exec_lo
	s_or_b32 s12, s0, s10
	s_or_b32 s11, s11, s13
.LBB232_888:
	s_or_b32 exec_lo, exec_lo, s9
	s_delay_alu instid0(SALU_CYCLE_1)
	s_and_b32 s10, s12, exec_lo
	s_and_b32 s9, s11, exec_lo
.LBB232_889:
	s_and_not1_saveexec_b32 s8, s8
	s_cbranch_execz .LBB232_929
; %bb.890:
	s_mov_b32 s11, exec_lo
                                        ; implicit-def: $vgpr11
	v_cmpx_lt_i16_e32 26, v20
	s_xor_b32 s11, exec_lo, s11
	s_cbranch_execz .LBB232_912
; %bb.891:
	s_mov_b32 s12, exec_lo
                                        ; implicit-def: $vgpr11
	v_cmpx_lt_i16_e32 27, v20
	s_xor_b32 s12, exec_lo, s12
	s_cbranch_execz .LBB232_901
; %bb.892:
	flat_load_b32 v9, v[6:7]
	s_mov_b32 s13, exec_lo
                                        ; implicit-def: $vgpr11
	s_wait_loadcnt_dscnt 0x0
	v_cvt_f32_u32_e32 v9, v9
	s_wait_xcnt 0x0
	s_delay_alu instid0(VALU_DEP_1)
	v_cmpx_gt_u32_e32 0x47800000, v9
	s_xor_b32 s13, exec_lo, s13
	s_cbranch_execz .LBB232_898
; %bb.893:
	v_cmp_lt_u32_e64 s0, 0x387fffff, v9
                                        ; implicit-def: $vgpr11
	s_and_saveexec_b32 s16, s0
	s_delay_alu instid0(SALU_CYCLE_1)
	s_xor_b32 s0, exec_lo, s16
; %bb.894:
	v_bfe_u32 v11, v9, 21, 1
	s_delay_alu instid0(VALU_DEP_1) | instskip(NEXT) | instid1(VALU_DEP_1)
	v_add3_u32 v9, v9, v11, 0x80fffff
	v_lshrrev_b32_e32 v11, 21, v9
                                        ; implicit-def: $vgpr9
; %bb.895:
	s_and_not1_saveexec_b32 s0, s0
; %bb.896:
	v_add_f32_e32 v11, 0x43000000, v9
; %bb.897:
	s_or_b32 exec_lo, exec_lo, s0
                                        ; implicit-def: $vgpr9
.LBB232_898:
	s_and_not1_saveexec_b32 s13, s13
; %bb.899:
	v_mov_b32_e32 v11, 0x7f
	v_cmp_lt_u32_e64 s0, 0x7f800000, v9
	s_delay_alu instid0(VALU_DEP_1)
	v_cndmask_b32_e64 v11, 0x7c, v11, s0
; %bb.900:
	s_or_b32 exec_lo, exec_lo, s13
.LBB232_901:
	s_and_not1_saveexec_b32 s12, s12
	s_cbranch_execz .LBB232_911
; %bb.902:
	flat_load_u16 v9, v[6:7]
	s_mov_b32 s13, exec_lo
                                        ; implicit-def: $vgpr11
	s_wait_loadcnt_dscnt 0x0
	v_cvt_f32_u32_e32 v9, v9
	s_wait_xcnt 0x0
	s_delay_alu instid0(VALU_DEP_1)
	v_cmpx_gt_u32_e32 0x47800000, v9
	s_xor_b32 s13, exec_lo, s13
	s_cbranch_execz .LBB232_908
; %bb.903:
	v_cmp_lt_u32_e64 s0, 0x387fffff, v9
                                        ; implicit-def: $vgpr11
	s_and_saveexec_b32 s16, s0
	s_delay_alu instid0(SALU_CYCLE_1)
	s_xor_b32 s0, exec_lo, s16
; %bb.904:
	v_bfe_u32 v11, v9, 21, 1
	s_delay_alu instid0(VALU_DEP_1) | instskip(NEXT) | instid1(VALU_DEP_1)
	v_add3_u32 v9, v9, v11, 0x80fffff
	v_lshrrev_b32_e32 v11, 21, v9
                                        ; implicit-def: $vgpr9
; %bb.905:
	s_and_not1_saveexec_b32 s0, s0
; %bb.906:
	v_add_f32_e32 v11, 0x43000000, v9
; %bb.907:
	s_or_b32 exec_lo, exec_lo, s0
                                        ; implicit-def: $vgpr9
.LBB232_908:
	s_and_not1_saveexec_b32 s13, s13
; %bb.909:
	v_mov_b32_e32 v11, 0x7f
	v_cmp_lt_u32_e64 s0, 0x7f800000, v9
	s_delay_alu instid0(VALU_DEP_1)
	v_cndmask_b32_e64 v11, 0x7c, v11, s0
; %bb.910:
	s_or_b32 exec_lo, exec_lo, s13
.LBB232_911:
	s_delay_alu instid0(SALU_CYCLE_1)
	s_or_b32 exec_lo, exec_lo, s12
.LBB232_912:
	s_and_not1_saveexec_b32 s11, s11
	s_cbranch_execz .LBB232_928
; %bb.913:
	flat_load_u8 v11, v[6:7]
	s_mov_b32 s12, 0
	s_mov_b32 s13, exec_lo
	s_wait_loadcnt_dscnt 0x0
	v_cmpx_lt_i16_e32 0x7f, v11
	s_xor_b32 s13, exec_lo, s13
	s_cbranch_execz .LBB232_2485
; %bb.914:
	s_mov_b32 s12, -1
	s_mov_b32 s16, exec_lo
	v_cmpx_eq_u16_e32 0x80, v11
; %bb.915:
	s_xor_b32 s12, exec_lo, -1
; %bb.916:
	s_or_b32 exec_lo, exec_lo, s16
	s_delay_alu instid0(SALU_CYCLE_1)
	s_and_b32 s12, s12, exec_lo
	s_or_saveexec_b32 s13, s13
	v_mov_b32_e32 v9, 0x7f800001
	s_xor_b32 exec_lo, exec_lo, s13
	s_cbranch_execnz .LBB232_2486
.LBB232_917:
	s_or_b32 exec_lo, exec_lo, s13
	s_and_saveexec_b32 s13, s12
	s_cbranch_execz .LBB232_919
.LBB232_918:
	v_and_b32_e32 v9, 0xffff, v11
	s_delay_alu instid0(VALU_DEP_1) | instskip(SKIP_1) | instid1(VALU_DEP_2)
	v_dual_lshlrev_b32 v11, 24, v11 :: v_dual_bitop2_b32 v12, 7, v9 bitop3:0x40
	v_bfe_u32 v24, v9, 3, 4
	v_and_b32_e32 v11, 0x80000000, v11
	s_delay_alu instid0(VALU_DEP_3) | instskip(NEXT) | instid1(VALU_DEP_3)
	v_clz_i32_u32_e32 v13, v12
	v_cmp_eq_u32_e64 s0, 0, v24
	s_delay_alu instid0(VALU_DEP_2) | instskip(NEXT) | instid1(VALU_DEP_1)
	v_min_u32_e32 v13, 32, v13
	v_subrev_nc_u32_e32 v21, 28, v13
	v_sub_nc_u32_e32 v13, 29, v13
	s_delay_alu instid0(VALU_DEP_2) | instskip(NEXT) | instid1(VALU_DEP_2)
	v_lshlrev_b32_e32 v9, v21, v9
	v_cndmask_b32_e64 v13, v24, v13, s0
	s_delay_alu instid0(VALU_DEP_2) | instskip(NEXT) | instid1(VALU_DEP_1)
	v_and_b32_e32 v9, 7, v9
	v_cndmask_b32_e64 v9, v12, v9, s0
	s_delay_alu instid0(VALU_DEP_3) | instskip(NEXT) | instid1(VALU_DEP_2)
	v_lshl_add_u32 v12, v13, 23, 0x3b800000
	v_lshlrev_b32_e32 v9, 20, v9
	s_delay_alu instid0(VALU_DEP_1)
	v_or3_b32 v9, v11, v12, v9
.LBB232_919:
	s_or_b32 exec_lo, exec_lo, s13
	s_delay_alu instid0(VALU_DEP_1) | instskip(SKIP_1) | instid1(VALU_DEP_1)
	v_and_b32_e32 v12, 0x7fffffff, v9
	s_mov_b32 s12, exec_lo
                                        ; implicit-def: $vgpr11
	v_cmpx_gt_u32_e32 0x47800000, v12
	s_xor_b32 s12, exec_lo, s12
	s_cbranch_execz .LBB232_925
; %bb.920:
	v_cmp_lt_u32_e64 s0, 0x387fffff, v12
                                        ; implicit-def: $vgpr11
	s_and_saveexec_b32 s13, s0
	s_delay_alu instid0(SALU_CYCLE_1)
	s_xor_b32 s0, exec_lo, s13
; %bb.921:
	v_bfe_u32 v11, v9, 21, 1
	s_delay_alu instid0(VALU_DEP_1) | instskip(NEXT) | instid1(VALU_DEP_1)
	v_add3_u32 v11, v9, v11, 0x80fffff
	v_lshrrev_b32_e32 v11, 21, v11
; %bb.922:
	s_and_not1_saveexec_b32 s0, s0
; %bb.923:
	v_add_f32_e64 v11, 0x43000000, |v9|
; %bb.924:
	s_or_b32 exec_lo, exec_lo, s0
                                        ; implicit-def: $vgpr12
.LBB232_925:
	s_and_not1_saveexec_b32 s12, s12
; %bb.926:
	v_mov_b32_e32 v11, 0x7f
	v_cmp_lt_u32_e64 s0, 0x7f800000, v12
	s_delay_alu instid0(VALU_DEP_1)
	v_cndmask_b32_e64 v11, 0x7c, v11, s0
; %bb.927:
	s_or_b32 exec_lo, exec_lo, s12
	v_lshrrev_b32_e32 v9, 24, v9
	s_delay_alu instid0(VALU_DEP_1)
	v_and_or_b32 v11, 0x80, v9, v11
.LBB232_928:
	s_or_b32 exec_lo, exec_lo, s11
	s_delay_alu instid0(SALU_CYCLE_1)
	s_or_b32 s10, s10, exec_lo
.LBB232_929:
	s_or_b32 exec_lo, exec_lo, s8
	s_delay_alu instid0(SALU_CYCLE_1)
	s_and_b32 s8, s10, exec_lo
	s_and_b32 s9, s9, exec_lo
	s_and_not1_saveexec_b32 s7, s7
	s_cbranch_execnz .LBB232_2325
.LBB232_930:
	s_or_b32 exec_lo, exec_lo, s7
	s_mov_b32 s7, s5
	s_and_saveexec_b32 s0, s9
	s_cbranch_execnz .LBB232_2374
.LBB232_931:
	s_or_b32 exec_lo, exec_lo, s0
	s_and_saveexec_b32 s9, s2
	s_cbranch_execz .LBB232_941
.LBB232_932:
	flat_load_u8 v6, v[6:7]
	s_mov_b32 s2, exec_lo
                                        ; implicit-def: $vgpr11
	s_wait_loadcnt_dscnt 0x0
	v_cmp_ne_u16_e64 s0, 0, v6
	s_wait_xcnt 0x0
	s_delay_alu instid0(VALU_DEP_1) | instskip(NEXT) | instid1(VALU_DEP_1)
	v_cndmask_b32_e64 v6, 0, 1.0, s0
	v_cmpx_gt_u32_e32 0x47800000, v6
	s_xor_b32 s2, exec_lo, s2
	s_cbranch_execz .LBB232_938
; %bb.933:
	v_cmp_lt_u32_e64 s0, 0x387fffff, v6
                                        ; implicit-def: $vgpr11
	s_and_saveexec_b32 s10, s0
	s_delay_alu instid0(SALU_CYCLE_1)
	s_xor_b32 s0, exec_lo, s10
; %bb.934:
	v_bfe_u32 v7, v6, 21, 1
	s_delay_alu instid0(VALU_DEP_1) | instskip(NEXT) | instid1(VALU_DEP_1)
	v_add3_u32 v6, v6, v7, 0x80fffff
	v_lshrrev_b32_e32 v11, 21, v6
                                        ; implicit-def: $vgpr6
; %bb.935:
	s_and_not1_saveexec_b32 s0, s0
; %bb.936:
	v_add_f32_e32 v11, 0x43000000, v6
; %bb.937:
	s_or_b32 exec_lo, exec_lo, s0
                                        ; implicit-def: $vgpr6
.LBB232_938:
	s_and_not1_saveexec_b32 s2, s2
; %bb.939:
	v_mov_b32_e32 v7, 0x7f
	v_cmp_lt_u32_e64 s0, 0x7f800000, v6
	s_delay_alu instid0(VALU_DEP_1)
	v_cndmask_b32_e64 v11, 0x7c, v7, s0
; %bb.940:
	s_or_b32 exec_lo, exec_lo, s2
	s_delay_alu instid0(SALU_CYCLE_1)
	s_or_b32 s8, s8, exec_lo
.LBB232_941:
	s_or_b32 exec_lo, exec_lo, s9
	s_delay_alu instid0(SALU_CYCLE_1) | instskip(SKIP_1) | instid1(SALU_CYCLE_1)
	s_and_not1_b32 s0, s5, exec_lo
	s_and_b32 s2, s7, exec_lo
                                        ; implicit-def: $vgpr6_vgpr7
	s_or_b32 s7, s0, s2
	s_and_b32 s2, s8, exec_lo
.LBB232_942:
	s_and_not1_saveexec_b32 s1, s1
	s_cbranch_execz .LBB232_1072
; %bb.943:
	s_mov_b32 s8, exec_lo
                                        ; implicit-def: $vgpr11
	v_cmpx_lt_i16_e32 4, v20
	s_xor_b32 s8, exec_lo, s8
	s_cbranch_execz .LBB232_1013
; %bb.944:
	s_mov_b32 s9, exec_lo
                                        ; implicit-def: $vgpr11
	v_cmpx_lt_i16_e32 7, v20
	s_xor_b32 s9, exec_lo, s9
	;; [unrolled: 6-line block ×4, first 2 shown]
	s_cbranch_execz .LBB232_956
; %bb.947:
	flat_load_b64 v[6:7], v[6:7]
	s_mov_b32 s12, exec_lo
	s_wait_loadcnt_dscnt 0x0
	v_cvt_f32_f64_e32 v6, v[6:7]
                                        ; implicit-def: $vgpr7
	s_delay_alu instid0(VALU_DEP_1) | instskip(NEXT) | instid1(VALU_DEP_1)
	v_and_b32_e32 v9, 0x7fffffff, v6
	v_cmpx_gt_u32_e32 0x47800000, v9
	s_xor_b32 s12, exec_lo, s12
	s_cbranch_execz .LBB232_953
; %bb.948:
	v_cmp_lt_u32_e64 s0, 0x387fffff, v9
                                        ; implicit-def: $vgpr7
	s_and_saveexec_b32 s13, s0
	s_delay_alu instid0(SALU_CYCLE_1)
	s_xor_b32 s0, exec_lo, s13
; %bb.949:
	v_bfe_u32 v7, v6, 21, 1
	s_delay_alu instid0(VALU_DEP_1) | instskip(NEXT) | instid1(VALU_DEP_1)
	v_add3_u32 v7, v6, v7, 0x80fffff
	v_lshrrev_b32_e32 v7, 21, v7
; %bb.950:
	s_and_not1_saveexec_b32 s0, s0
; %bb.951:
	v_add_f32_e64 v7, 0x43000000, |v6|
; %bb.952:
	s_or_b32 exec_lo, exec_lo, s0
                                        ; implicit-def: $vgpr9
.LBB232_953:
	s_and_not1_saveexec_b32 s12, s12
; %bb.954:
	v_mov_b32_e32 v7, 0x7f
	v_cmp_lt_u32_e64 s0, 0x7f800000, v9
	s_delay_alu instid0(VALU_DEP_1)
	v_cndmask_b32_e64 v7, 0x7c, v7, s0
; %bb.955:
	s_or_b32 exec_lo, exec_lo, s12
	v_lshrrev_b32_e32 v6, 24, v6
	s_delay_alu instid0(VALU_DEP_1)
	v_and_or_b32 v11, 0x80, v6, v7
                                        ; implicit-def: $vgpr6_vgpr7
.LBB232_956:
	s_and_not1_saveexec_b32 s11, s11
	s_cbranch_execz .LBB232_966
; %bb.957:
	flat_load_b32 v6, v[6:7]
	s_mov_b32 s12, exec_lo
                                        ; implicit-def: $vgpr7
	s_wait_loadcnt_dscnt 0x0
	v_and_b32_e32 v9, 0x7fffffff, v6
	s_wait_xcnt 0x0
	s_delay_alu instid0(VALU_DEP_1)
	v_cmpx_gt_u32_e32 0x47800000, v9
	s_xor_b32 s12, exec_lo, s12
	s_cbranch_execz .LBB232_963
; %bb.958:
	v_cmp_lt_u32_e64 s0, 0x387fffff, v9
                                        ; implicit-def: $vgpr7
	s_and_saveexec_b32 s13, s0
	s_delay_alu instid0(SALU_CYCLE_1)
	s_xor_b32 s0, exec_lo, s13
; %bb.959:
	v_bfe_u32 v7, v6, 21, 1
	s_delay_alu instid0(VALU_DEP_1) | instskip(NEXT) | instid1(VALU_DEP_1)
	v_add3_u32 v7, v6, v7, 0x80fffff
	v_lshrrev_b32_e32 v7, 21, v7
; %bb.960:
	s_and_not1_saveexec_b32 s0, s0
; %bb.961:
	v_add_f32_e64 v7, 0x43000000, |v6|
; %bb.962:
	s_or_b32 exec_lo, exec_lo, s0
                                        ; implicit-def: $vgpr9
.LBB232_963:
	s_and_not1_saveexec_b32 s12, s12
; %bb.964:
	v_mov_b32_e32 v7, 0x7f
	v_cmp_lt_u32_e64 s0, 0x7f800000, v9
	s_delay_alu instid0(VALU_DEP_1)
	v_cndmask_b32_e64 v7, 0x7c, v7, s0
; %bb.965:
	s_or_b32 exec_lo, exec_lo, s12
	v_lshrrev_b32_e32 v6, 24, v6
	s_delay_alu instid0(VALU_DEP_1)
	v_and_or_b32 v11, 0x80, v6, v7
.LBB232_966:
	s_or_b32 exec_lo, exec_lo, s11
                                        ; implicit-def: $vgpr6_vgpr7
.LBB232_967:
	s_and_not1_saveexec_b32 s10, s10
	s_cbranch_execz .LBB232_977
; %bb.968:
	flat_load_b32 v6, v[6:7]
	s_mov_b32 s11, exec_lo
                                        ; implicit-def: $vgpr7
	s_wait_loadcnt_dscnt 0x0
	v_cvt_f32_f16_e32 v6, v6
	s_delay_alu instid0(VALU_DEP_1) | instskip(NEXT) | instid1(VALU_DEP_1)
	v_and_b32_e32 v9, 0x7fffffff, v6
	v_cmpx_gt_u32_e32 0x47800000, v9
	s_xor_b32 s11, exec_lo, s11
	s_cbranch_execz .LBB232_974
; %bb.969:
	v_cmp_lt_u32_e64 s0, 0x387fffff, v9
                                        ; implicit-def: $vgpr7
	s_and_saveexec_b32 s12, s0
	s_delay_alu instid0(SALU_CYCLE_1)
	s_xor_b32 s0, exec_lo, s12
; %bb.970:
	v_bfe_u32 v7, v6, 21, 1
	s_delay_alu instid0(VALU_DEP_1) | instskip(NEXT) | instid1(VALU_DEP_1)
	v_add3_u32 v7, v6, v7, 0x80fffff
	v_lshrrev_b32_e32 v7, 21, v7
; %bb.971:
	s_and_not1_saveexec_b32 s0, s0
; %bb.972:
	v_add_f32_e64 v7, 0x43000000, |v6|
; %bb.973:
	s_or_b32 exec_lo, exec_lo, s0
                                        ; implicit-def: $vgpr9
.LBB232_974:
	s_and_not1_saveexec_b32 s11, s11
; %bb.975:
	v_mov_b32_e32 v7, 0x7f
	v_cmp_lt_u32_e64 s0, 0x7f800000, v9
	s_delay_alu instid0(VALU_DEP_1)
	v_cndmask_b32_e64 v7, 0x7c, v7, s0
; %bb.976:
	s_or_b32 exec_lo, exec_lo, s11
	v_lshrrev_b32_e32 v6, 24, v6
	s_delay_alu instid0(VALU_DEP_1)
	v_and_or_b32 v11, 0x80, v6, v7
.LBB232_977:
	s_or_b32 exec_lo, exec_lo, s10
                                        ; implicit-def: $vgpr6_vgpr7
.LBB232_978:
	s_and_not1_saveexec_b32 s9, s9
	s_cbranch_execz .LBB232_1012
; %bb.979:
	s_mov_b32 s10, exec_lo
                                        ; implicit-def: $vgpr11
	v_cmpx_lt_i16_e32 5, v20
	s_xor_b32 s10, exec_lo, s10
	s_cbranch_execz .LBB232_1001
; %bb.980:
	s_mov_b32 s11, exec_lo
                                        ; implicit-def: $vgpr11
	v_cmpx_lt_i16_e32 6, v20
	s_xor_b32 s11, exec_lo, s11
	s_cbranch_execz .LBB232_990
; %bb.981:
	flat_load_b64 v[6:7], v[6:7]
	s_mov_b32 s12, exec_lo
	s_wait_loadcnt_dscnt 0x0
	v_cvt_f32_f64_e32 v6, v[6:7]
                                        ; implicit-def: $vgpr7
	s_delay_alu instid0(VALU_DEP_1) | instskip(NEXT) | instid1(VALU_DEP_1)
	v_and_b32_e32 v9, 0x7fffffff, v6
	v_cmpx_gt_u32_e32 0x47800000, v9
	s_xor_b32 s12, exec_lo, s12
	s_cbranch_execz .LBB232_987
; %bb.982:
	v_cmp_lt_u32_e64 s0, 0x387fffff, v9
                                        ; implicit-def: $vgpr7
	s_and_saveexec_b32 s13, s0
	s_delay_alu instid0(SALU_CYCLE_1)
	s_xor_b32 s0, exec_lo, s13
; %bb.983:
	v_bfe_u32 v7, v6, 21, 1
	s_delay_alu instid0(VALU_DEP_1) | instskip(NEXT) | instid1(VALU_DEP_1)
	v_add3_u32 v7, v6, v7, 0x80fffff
	v_lshrrev_b32_e32 v7, 21, v7
; %bb.984:
	s_and_not1_saveexec_b32 s0, s0
; %bb.985:
	v_add_f32_e64 v7, 0x43000000, |v6|
; %bb.986:
	s_or_b32 exec_lo, exec_lo, s0
                                        ; implicit-def: $vgpr9
.LBB232_987:
	s_and_not1_saveexec_b32 s12, s12
; %bb.988:
	v_mov_b32_e32 v7, 0x7f
	v_cmp_lt_u32_e64 s0, 0x7f800000, v9
	s_delay_alu instid0(VALU_DEP_1)
	v_cndmask_b32_e64 v7, 0x7c, v7, s0
; %bb.989:
	s_or_b32 exec_lo, exec_lo, s12
	v_lshrrev_b32_e32 v6, 24, v6
	s_delay_alu instid0(VALU_DEP_1)
	v_and_or_b32 v11, 0x80, v6, v7
                                        ; implicit-def: $vgpr6_vgpr7
.LBB232_990:
	s_and_not1_saveexec_b32 s11, s11
	s_cbranch_execz .LBB232_1000
; %bb.991:
	flat_load_b32 v6, v[6:7]
	s_mov_b32 s12, exec_lo
                                        ; implicit-def: $vgpr7
	s_wait_loadcnt_dscnt 0x0
	v_and_b32_e32 v9, 0x7fffffff, v6
	s_wait_xcnt 0x0
	s_delay_alu instid0(VALU_DEP_1)
	v_cmpx_gt_u32_e32 0x47800000, v9
	s_xor_b32 s12, exec_lo, s12
	s_cbranch_execz .LBB232_997
; %bb.992:
	v_cmp_lt_u32_e64 s0, 0x387fffff, v9
                                        ; implicit-def: $vgpr7
	s_and_saveexec_b32 s13, s0
	s_delay_alu instid0(SALU_CYCLE_1)
	s_xor_b32 s0, exec_lo, s13
; %bb.993:
	v_bfe_u32 v7, v6, 21, 1
	s_delay_alu instid0(VALU_DEP_1) | instskip(NEXT) | instid1(VALU_DEP_1)
	v_add3_u32 v7, v6, v7, 0x80fffff
	v_lshrrev_b32_e32 v7, 21, v7
; %bb.994:
	s_and_not1_saveexec_b32 s0, s0
; %bb.995:
	v_add_f32_e64 v7, 0x43000000, |v6|
; %bb.996:
	s_or_b32 exec_lo, exec_lo, s0
                                        ; implicit-def: $vgpr9
.LBB232_997:
	s_and_not1_saveexec_b32 s12, s12
; %bb.998:
	v_mov_b32_e32 v7, 0x7f
	v_cmp_lt_u32_e64 s0, 0x7f800000, v9
	s_delay_alu instid0(VALU_DEP_1)
	v_cndmask_b32_e64 v7, 0x7c, v7, s0
; %bb.999:
	s_or_b32 exec_lo, exec_lo, s12
	v_lshrrev_b32_e32 v6, 24, v6
	s_delay_alu instid0(VALU_DEP_1)
	v_and_or_b32 v11, 0x80, v6, v7
.LBB232_1000:
	s_or_b32 exec_lo, exec_lo, s11
                                        ; implicit-def: $vgpr6_vgpr7
.LBB232_1001:
	s_and_not1_saveexec_b32 s10, s10
	s_cbranch_execz .LBB232_1011
; %bb.1002:
	flat_load_u16 v6, v[6:7]
	s_mov_b32 s11, exec_lo
                                        ; implicit-def: $vgpr7
	s_wait_loadcnt_dscnt 0x0
	v_cvt_f32_f16_e32 v6, v6
	s_delay_alu instid0(VALU_DEP_1) | instskip(NEXT) | instid1(VALU_DEP_1)
	v_and_b32_e32 v9, 0x7fffffff, v6
	v_cmpx_gt_u32_e32 0x47800000, v9
	s_xor_b32 s11, exec_lo, s11
	s_cbranch_execz .LBB232_1008
; %bb.1003:
	v_cmp_lt_u32_e64 s0, 0x387fffff, v9
                                        ; implicit-def: $vgpr7
	s_and_saveexec_b32 s12, s0
	s_delay_alu instid0(SALU_CYCLE_1)
	s_xor_b32 s0, exec_lo, s12
; %bb.1004:
	v_bfe_u32 v7, v6, 21, 1
	s_delay_alu instid0(VALU_DEP_1) | instskip(NEXT) | instid1(VALU_DEP_1)
	v_add3_u32 v7, v6, v7, 0x80fffff
	v_lshrrev_b32_e32 v7, 21, v7
; %bb.1005:
	s_and_not1_saveexec_b32 s0, s0
; %bb.1006:
	v_add_f32_e64 v7, 0x43000000, |v6|
; %bb.1007:
	s_or_b32 exec_lo, exec_lo, s0
                                        ; implicit-def: $vgpr9
.LBB232_1008:
	s_and_not1_saveexec_b32 s11, s11
; %bb.1009:
	v_mov_b32_e32 v7, 0x7f
	v_cmp_lt_u32_e64 s0, 0x7f800000, v9
	s_delay_alu instid0(VALU_DEP_1)
	v_cndmask_b32_e64 v7, 0x7c, v7, s0
; %bb.1010:
	s_or_b32 exec_lo, exec_lo, s11
	v_lshrrev_b32_e32 v6, 24, v6
	s_delay_alu instid0(VALU_DEP_1)
	v_and_or_b32 v11, 0x80, v6, v7
.LBB232_1011:
	s_or_b32 exec_lo, exec_lo, s10
.LBB232_1012:
	s_delay_alu instid0(SALU_CYCLE_1)
	s_or_b32 exec_lo, exec_lo, s9
                                        ; implicit-def: $vgpr6_vgpr7
.LBB232_1013:
	s_and_not1_saveexec_b32 s8, s8
	s_cbranch_execz .LBB232_1071
; %bb.1014:
	s_mov_b32 s9, exec_lo
                                        ; implicit-def: $vgpr11
	v_cmpx_lt_i16_e32 1, v20
	s_xor_b32 s9, exec_lo, s9
	s_cbranch_execz .LBB232_1048
; %bb.1015:
	s_mov_b32 s10, exec_lo
                                        ; implicit-def: $vgpr11
	v_cmpx_lt_i16_e32 2, v20
	s_xor_b32 s10, exec_lo, s10
	;; [unrolled: 6-line block ×3, first 2 shown]
	s_cbranch_execz .LBB232_1026
; %bb.1017:
	flat_load_b64 v[6:7], v[6:7]
	s_mov_b32 s12, exec_lo
	s_wait_loadcnt_dscnt 0x0
	v_xor_b32_e32 v9, v6, v7
	v_cls_i32_e32 v11, v7
	s_delay_alu instid0(VALU_DEP_2) | instskip(NEXT) | instid1(VALU_DEP_1)
	v_ashrrev_i32_e32 v9, 31, v9
	v_add_nc_u32_e32 v9, 32, v9
	s_delay_alu instid0(VALU_DEP_1) | instskip(SKIP_1) | instid1(VALU_DEP_1)
	v_add_min_u32_e64 v9, v11, -1, v9
	s_wait_xcnt 0x0
	v_lshlrev_b64_e32 v[6:7], v9, v[6:7]
	s_delay_alu instid0(VALU_DEP_1) | instskip(NEXT) | instid1(VALU_DEP_1)
	v_min_u32_e32 v6, 1, v6
	v_dual_sub_nc_u32 v7, 32, v9 :: v_dual_bitop2_b32 v6, v7, v6 bitop3:0x54
	s_delay_alu instid0(VALU_DEP_1) | instskip(NEXT) | instid1(VALU_DEP_1)
	v_cvt_f32_i32_e32 v6, v6
	v_ldexp_f32 v6, v6, v7
                                        ; implicit-def: $vgpr7
	s_delay_alu instid0(VALU_DEP_1) | instskip(NEXT) | instid1(VALU_DEP_1)
	v_and_b32_e32 v9, 0x7fffffff, v6
	v_cmpx_gt_u32_e32 0x47800000, v9
	s_xor_b32 s12, exec_lo, s12
	s_cbranch_execz .LBB232_1023
; %bb.1018:
	v_cmp_lt_u32_e64 s0, 0x387fffff, v9
                                        ; implicit-def: $vgpr7
	s_and_saveexec_b32 s13, s0
	s_delay_alu instid0(SALU_CYCLE_1)
	s_xor_b32 s0, exec_lo, s13
; %bb.1019:
	v_bfe_u32 v7, v6, 21, 1
	s_delay_alu instid0(VALU_DEP_1) | instskip(NEXT) | instid1(VALU_DEP_1)
	v_add3_u32 v7, v6, v7, 0x80fffff
	v_lshrrev_b32_e32 v7, 21, v7
; %bb.1020:
	s_and_not1_saveexec_b32 s0, s0
; %bb.1021:
	v_add_f32_e64 v7, 0x43000000, |v6|
; %bb.1022:
	s_or_b32 exec_lo, exec_lo, s0
                                        ; implicit-def: $vgpr9
.LBB232_1023:
	s_and_not1_saveexec_b32 s12, s12
; %bb.1024:
	v_mov_b32_e32 v7, 0x7f
	v_cmp_lt_u32_e64 s0, 0x7f800000, v9
	s_delay_alu instid0(VALU_DEP_1)
	v_cndmask_b32_e64 v7, 0x7c, v7, s0
; %bb.1025:
	s_or_b32 exec_lo, exec_lo, s12
	v_lshrrev_b32_e32 v6, 24, v6
	s_delay_alu instid0(VALU_DEP_1)
	v_and_or_b32 v11, 0x80, v6, v7
                                        ; implicit-def: $vgpr6_vgpr7
.LBB232_1026:
	s_and_not1_saveexec_b32 s11, s11
	s_cbranch_execz .LBB232_1036
; %bb.1027:
	flat_load_b32 v6, v[6:7]
	s_mov_b32 s12, exec_lo
                                        ; implicit-def: $vgpr7
	s_wait_loadcnt_dscnt 0x0
	v_cvt_f32_i32_e32 v6, v6
	s_delay_alu instid0(VALU_DEP_1) | instskip(NEXT) | instid1(VALU_DEP_1)
	v_and_b32_e32 v9, 0x7fffffff, v6
	v_cmpx_gt_u32_e32 0x47800000, v9
	s_xor_b32 s12, exec_lo, s12
	s_cbranch_execz .LBB232_1033
; %bb.1028:
	v_cmp_lt_u32_e64 s0, 0x387fffff, v9
                                        ; implicit-def: $vgpr7
	s_and_saveexec_b32 s13, s0
	s_delay_alu instid0(SALU_CYCLE_1)
	s_xor_b32 s0, exec_lo, s13
; %bb.1029:
	v_bfe_u32 v7, v6, 21, 1
	s_delay_alu instid0(VALU_DEP_1) | instskip(NEXT) | instid1(VALU_DEP_1)
	v_add3_u32 v7, v6, v7, 0x80fffff
	v_lshrrev_b32_e32 v7, 21, v7
; %bb.1030:
	s_and_not1_saveexec_b32 s0, s0
; %bb.1031:
	v_add_f32_e64 v7, 0x43000000, |v6|
; %bb.1032:
	s_or_b32 exec_lo, exec_lo, s0
                                        ; implicit-def: $vgpr9
.LBB232_1033:
	s_and_not1_saveexec_b32 s12, s12
; %bb.1034:
	v_mov_b32_e32 v7, 0x7f
	v_cmp_lt_u32_e64 s0, 0x7f800000, v9
	s_delay_alu instid0(VALU_DEP_1)
	v_cndmask_b32_e64 v7, 0x7c, v7, s0
; %bb.1035:
	s_or_b32 exec_lo, exec_lo, s12
	v_lshrrev_b32_e32 v6, 24, v6
	s_delay_alu instid0(VALU_DEP_1)
	v_and_or_b32 v11, 0x80, v6, v7
.LBB232_1036:
	s_or_b32 exec_lo, exec_lo, s11
                                        ; implicit-def: $vgpr6_vgpr7
.LBB232_1037:
	s_and_not1_saveexec_b32 s10, s10
	s_cbranch_execz .LBB232_1047
; %bb.1038:
	flat_load_i16 v6, v[6:7]
	s_mov_b32 s11, exec_lo
                                        ; implicit-def: $vgpr7
	s_wait_loadcnt_dscnt 0x0
	v_cvt_f32_i32_e32 v6, v6
	s_delay_alu instid0(VALU_DEP_1) | instskip(NEXT) | instid1(VALU_DEP_1)
	v_and_b32_e32 v9, 0x7fffffff, v6
	v_cmpx_gt_u32_e32 0x47800000, v9
	s_xor_b32 s11, exec_lo, s11
	s_cbranch_execz .LBB232_1044
; %bb.1039:
	v_cmp_lt_u32_e64 s0, 0x387fffff, v9
                                        ; implicit-def: $vgpr7
	s_and_saveexec_b32 s12, s0
	s_delay_alu instid0(SALU_CYCLE_1)
	s_xor_b32 s0, exec_lo, s12
; %bb.1040:
	v_bfe_u32 v7, v6, 21, 1
	s_delay_alu instid0(VALU_DEP_1) | instskip(NEXT) | instid1(VALU_DEP_1)
	v_add3_u32 v7, v6, v7, 0x80fffff
	v_lshrrev_b32_e32 v7, 21, v7
; %bb.1041:
	s_and_not1_saveexec_b32 s0, s0
; %bb.1042:
	v_add_f32_e64 v7, 0x43000000, |v6|
; %bb.1043:
	s_or_b32 exec_lo, exec_lo, s0
                                        ; implicit-def: $vgpr9
.LBB232_1044:
	s_and_not1_saveexec_b32 s11, s11
; %bb.1045:
	v_mov_b32_e32 v7, 0x7f
	v_cmp_lt_u32_e64 s0, 0x7f800000, v9
	s_delay_alu instid0(VALU_DEP_1)
	v_cndmask_b32_e64 v7, 0x7c, v7, s0
; %bb.1046:
	s_or_b32 exec_lo, exec_lo, s11
	v_lshrrev_b32_e32 v6, 24, v6
	s_delay_alu instid0(VALU_DEP_1)
	v_and_or_b32 v11, 0x80, v6, v7
.LBB232_1047:
	s_or_b32 exec_lo, exec_lo, s10
                                        ; implicit-def: $vgpr6_vgpr7
.LBB232_1048:
	s_and_not1_saveexec_b32 s9, s9
	s_cbranch_execz .LBB232_1070
; %bb.1049:
	s_mov_b32 s10, exec_lo
                                        ; implicit-def: $vgpr11
	v_cmpx_lt_i16_e32 0, v20
	s_xor_b32 s10, exec_lo, s10
	s_cbranch_execz .LBB232_1059
; %bb.1050:
	flat_load_i8 v6, v[6:7]
	s_mov_b32 s11, exec_lo
                                        ; implicit-def: $vgpr7
	s_wait_loadcnt_dscnt 0x0
	v_cvt_f32_i32_e32 v6, v6
	s_delay_alu instid0(VALU_DEP_1) | instskip(NEXT) | instid1(VALU_DEP_1)
	v_and_b32_e32 v9, 0x7fffffff, v6
	v_cmpx_gt_u32_e32 0x47800000, v9
	s_xor_b32 s11, exec_lo, s11
	s_cbranch_execz .LBB232_1056
; %bb.1051:
	v_cmp_lt_u32_e64 s0, 0x387fffff, v9
                                        ; implicit-def: $vgpr7
	s_and_saveexec_b32 s12, s0
	s_delay_alu instid0(SALU_CYCLE_1)
	s_xor_b32 s0, exec_lo, s12
; %bb.1052:
	v_bfe_u32 v7, v6, 21, 1
	s_delay_alu instid0(VALU_DEP_1) | instskip(NEXT) | instid1(VALU_DEP_1)
	v_add3_u32 v7, v6, v7, 0x80fffff
	v_lshrrev_b32_e32 v7, 21, v7
; %bb.1053:
	s_and_not1_saveexec_b32 s0, s0
; %bb.1054:
	v_add_f32_e64 v7, 0x43000000, |v6|
; %bb.1055:
	s_or_b32 exec_lo, exec_lo, s0
                                        ; implicit-def: $vgpr9
.LBB232_1056:
	s_and_not1_saveexec_b32 s11, s11
; %bb.1057:
	v_mov_b32_e32 v7, 0x7f
	v_cmp_lt_u32_e64 s0, 0x7f800000, v9
	s_delay_alu instid0(VALU_DEP_1)
	v_cndmask_b32_e64 v7, 0x7c, v7, s0
; %bb.1058:
	s_or_b32 exec_lo, exec_lo, s11
	v_lshrrev_b32_e32 v6, 24, v6
	s_delay_alu instid0(VALU_DEP_1)
	v_and_or_b32 v11, 0x80, v6, v7
                                        ; implicit-def: $vgpr6_vgpr7
.LBB232_1059:
	s_and_not1_saveexec_b32 s10, s10
	s_cbranch_execz .LBB232_1069
; %bb.1060:
	flat_load_u8 v6, v[6:7]
	s_mov_b32 s11, exec_lo
                                        ; implicit-def: $vgpr11
	s_wait_loadcnt_dscnt 0x0
	v_cvt_f32_ubyte0_e32 v6, v6
	s_delay_alu instid0(VALU_DEP_1)
	v_cmpx_gt_u32_e32 0x47800000, v6
	s_xor_b32 s11, exec_lo, s11
	s_cbranch_execz .LBB232_1066
; %bb.1061:
	v_cmp_lt_u32_e64 s0, 0x387fffff, v6
                                        ; implicit-def: $vgpr11
	s_and_saveexec_b32 s12, s0
	s_delay_alu instid0(SALU_CYCLE_1)
	s_xor_b32 s0, exec_lo, s12
; %bb.1062:
	v_bfe_u32 v7, v6, 21, 1
	s_delay_alu instid0(VALU_DEP_1) | instskip(NEXT) | instid1(VALU_DEP_1)
	v_add3_u32 v6, v6, v7, 0x80fffff
	v_lshrrev_b32_e32 v11, 21, v6
                                        ; implicit-def: $vgpr6
; %bb.1063:
	s_and_not1_saveexec_b32 s0, s0
; %bb.1064:
	v_add_f32_e32 v11, 0x43000000, v6
; %bb.1065:
	s_or_b32 exec_lo, exec_lo, s0
                                        ; implicit-def: $vgpr6
.LBB232_1066:
	s_and_not1_saveexec_b32 s11, s11
; %bb.1067:
	v_mov_b32_e32 v7, 0x7f
	v_cmp_lt_u32_e64 s0, 0x7f800000, v6
	s_delay_alu instid0(VALU_DEP_1)
	v_cndmask_b32_e64 v11, 0x7c, v7, s0
; %bb.1068:
	s_or_b32 exec_lo, exec_lo, s11
.LBB232_1069:
	s_delay_alu instid0(SALU_CYCLE_1)
	s_or_b32 exec_lo, exec_lo, s10
.LBB232_1070:
	s_delay_alu instid0(SALU_CYCLE_1)
	s_or_b32 exec_lo, exec_lo, s9
.LBB232_1071:
	s_delay_alu instid0(SALU_CYCLE_1) | instskip(NEXT) | instid1(SALU_CYCLE_1)
	s_or_b32 exec_lo, exec_lo, s8
	s_or_b32 s2, s2, exec_lo
.LBB232_1072:
	s_or_b32 exec_lo, exec_lo, s1
	s_mov_b32 s0, 0
	s_mov_b32 s10, 0
                                        ; implicit-def: $sgpr1
                                        ; implicit-def: $vgpr12_vgpr13
                                        ; implicit-def: $vgpr9
	s_and_saveexec_b32 s8, s2
	s_cbranch_execz .LBB232_2049
; %bb.1073:
	v_lshlrev_b32_e32 v21, 7, v22
	s_mov_b32 s2, 0
	s_mov_b32 s9, s7
	s_mov_b32 s1, exec_lo
	s_delay_alu instid0(VALU_DEP_1) | instskip(NEXT) | instid1(VALU_DEP_1)
	v_add_nc_u32_e32 v6, v8, v21
	v_ashrrev_i32_e32 v7, 31, v6
	s_delay_alu instid0(VALU_DEP_1)
	v_add_nc_u64_e32 v[8:9], v[2:3], v[6:7]
                                        ; implicit-def: $vgpr7
	v_cmpx_lt_i16_e32 10, v19
	s_xor_b32 s1, exec_lo, s1
	s_cbranch_execz .LBB232_1168
; %bb.1074:
	s_mov_b32 s11, 0
	s_mov_b32 s9, exec_lo
                                        ; implicit-def: $vgpr7
	v_cmpx_lt_i16_e32 25, v19
	s_xor_b32 s9, exec_lo, s9
	s_cbranch_execz .LBB232_2377
; %bb.1075:
	s_mov_b32 s12, 0
	s_mov_b32 s10, exec_lo
                                        ; implicit-def: $vgpr7
	v_cmpx_lt_i16_e32 28, v19
	s_xor_b32 s10, exec_lo, s10
	s_cbranch_execz .LBB232_1115
; %bb.1076:
	s_mov_b32 s13, 0
	s_mov_b32 s16, 0
	s_mov_b32 s11, exec_lo
                                        ; implicit-def: $vgpr7
	v_cmpx_lt_i16_e32 43, v19
	s_xor_b32 s11, exec_lo, s11
	s_cbranch_execz .LBB232_1102
; %bb.1077:
	s_mov_b32 s16, exec_lo
                                        ; implicit-def: $vgpr7
	v_cmpx_lt_i16_e32 45, v19
	s_xor_b32 s16, exec_lo, s16
	s_cbranch_execz .LBB232_1089
; %bb.1078:
	s_mov_b32 s17, -1
	s_mov_b32 s12, exec_lo
                                        ; implicit-def: $vgpr7
	v_cmpx_eq_u16_e32 46, v19
	s_cbranch_execz .LBB232_1088
; %bb.1079:
	flat_load_b32 v7, v[8:9]
	s_mov_b32 s13, exec_lo
                                        ; implicit-def: $vgpr12
	s_wait_loadcnt_dscnt 0x0
	v_lshlrev_b32_e32 v7, 16, v7
	s_delay_alu instid0(VALU_DEP_1) | instskip(SKIP_1) | instid1(VALU_DEP_1)
	v_and_b32_e32 v13, 0x7fffffff, v7
	s_wait_xcnt 0x0
	v_cmpx_gt_u32_e32 0x47800000, v13
	s_xor_b32 s13, exec_lo, s13
	s_cbranch_execz .LBB232_1085
; %bb.1080:
	v_cmp_lt_u32_e64 s0, 0x387fffff, v13
                                        ; implicit-def: $vgpr12
	s_and_saveexec_b32 s17, s0
	s_delay_alu instid0(SALU_CYCLE_1)
	s_xor_b32 s0, exec_lo, s17
; %bb.1081:
	v_bfe_u32 v12, v7, 21, 1
	s_delay_alu instid0(VALU_DEP_1) | instskip(NEXT) | instid1(VALU_DEP_1)
	v_add3_u32 v12, v7, v12, 0x80fffff
	v_lshrrev_b32_e32 v12, 21, v12
; %bb.1082:
	s_and_not1_saveexec_b32 s0, s0
; %bb.1083:
	v_add_f32_e64 v12, 0x43000000, |v7|
; %bb.1084:
	s_or_b32 exec_lo, exec_lo, s0
                                        ; implicit-def: $vgpr13
.LBB232_1085:
	s_and_not1_saveexec_b32 s13, s13
; %bb.1086:
	v_mov_b32_e32 v12, 0x7f
	v_cmp_lt_u32_e64 s0, 0x7f800000, v13
	s_delay_alu instid0(VALU_DEP_1)
	v_cndmask_b32_e64 v12, 0x7c, v12, s0
; %bb.1087:
	s_or_b32 exec_lo, exec_lo, s13
	v_lshrrev_b32_e32 v7, 24, v7
	s_mov_b32 s13, exec_lo
	s_xor_b32 s17, exec_lo, -1
	s_delay_alu instid0(VALU_DEP_1)
	v_and_or_b32 v7, 0x80, v7, v12
.LBB232_1088:
	s_or_b32 exec_lo, exec_lo, s12
	s_delay_alu instid0(SALU_CYCLE_1)
	s_and_b32 s13, s13, exec_lo
	s_and_b32 s12, s17, exec_lo
.LBB232_1089:
	s_and_not1_saveexec_b32 s16, s16
	s_cbranch_execz .LBB232_1101
; %bb.1090:
	s_mov_b32 s18, -1
	s_mov_b32 s19, s13
	s_mov_b32 s17, exec_lo
                                        ; implicit-def: $vgpr7
	v_cmpx_eq_u16_e32 44, v19
	s_cbranch_execz .LBB232_1100
; %bb.1091:
	flat_load_u8 v7, v[8:9]
	s_mov_b32 s18, exec_lo
	s_wait_loadcnt_dscnt 0x0
	v_lshlrev_b32_e32 v12, 23, v7
	v_cmp_ne_u32_e64 s0, 0xff, v7
	s_delay_alu instid0(VALU_DEP_1) | instskip(SKIP_1) | instid1(VALU_DEP_1)
	v_cndmask_b32_e64 v12, 0x7f800001, v12, s0
	v_cmp_ne_u32_e64 s0, 0, v7
                                        ; implicit-def: $vgpr7
	v_cndmask_b32_e64 v12, 0x400000, v12, s0
	s_wait_xcnt 0x0
	s_delay_alu instid0(VALU_DEP_1)
	v_cmpx_gt_u32_e32 0x47800000, v12
	s_xor_b32 s18, exec_lo, s18
	s_cbranch_execz .LBB232_1097
; %bb.1092:
	v_cmp_lt_u32_e64 s0, 0x387fffff, v12
                                        ; implicit-def: $vgpr7
	s_and_saveexec_b32 s19, s0
	s_delay_alu instid0(SALU_CYCLE_1)
	s_xor_b32 s0, exec_lo, s19
; %bb.1093:
	v_bfe_u32 v7, v12, 21, 1
	s_delay_alu instid0(VALU_DEP_1) | instskip(NEXT) | instid1(VALU_DEP_1)
	v_add3_u32 v7, v12, v7, 0x80fffff
                                        ; implicit-def: $vgpr12
	v_lshrrev_b32_e32 v7, 21, v7
; %bb.1094:
	s_and_not1_saveexec_b32 s0, s0
; %bb.1095:
	v_add_f32_e32 v7, 0x43000000, v12
; %bb.1096:
	s_or_b32 exec_lo, exec_lo, s0
                                        ; implicit-def: $vgpr12
.LBB232_1097:
	s_and_not1_saveexec_b32 s18, s18
; %bb.1098:
	v_mov_b32_e32 v7, 0x7f
	v_cmp_lt_u32_e64 s0, 0x7f800000, v12
	s_delay_alu instid0(VALU_DEP_1)
	v_cndmask_b32_e64 v7, 0x7c, v7, s0
; %bb.1099:
	s_or_b32 exec_lo, exec_lo, s18
	s_delay_alu instid0(SALU_CYCLE_1)
	s_or_b32 s19, s13, exec_lo
	s_xor_b32 s18, exec_lo, -1
.LBB232_1100:
	s_or_b32 exec_lo, exec_lo, s17
	s_delay_alu instid0(SALU_CYCLE_1)
	s_and_not1_b32 s0, s13, exec_lo
	s_and_b32 s13, s19, exec_lo
	s_and_not1_b32 s12, s12, exec_lo
	s_and_b32 s17, s18, exec_lo
	s_or_b32 s13, s0, s13
	s_or_b32 s12, s12, s17
.LBB232_1101:
	s_or_b32 exec_lo, exec_lo, s16
	s_delay_alu instid0(SALU_CYCLE_1)
	s_and_b32 s16, s13, exec_lo
	s_and_b32 s13, s12, exec_lo
.LBB232_1102:
	s_and_not1_saveexec_b32 s11, s11
	s_cbranch_execz .LBB232_1114
; %bb.1103:
	s_mov_b32 s17, -1
	s_mov_b32 s18, s16
	s_mov_b32 s12, exec_lo
                                        ; implicit-def: $vgpr7
	v_cmpx_eq_u16_e32 29, v19
	s_cbranch_execz .LBB232_1113
; %bb.1104:
	flat_load_b64 v[12:13], v[8:9]
	s_mov_b32 s17, exec_lo
	s_wait_loadcnt_dscnt 0x0
	v_clz_i32_u32_e32 v7, v13
	s_delay_alu instid0(VALU_DEP_1) | instskip(NEXT) | instid1(VALU_DEP_1)
	v_min_u32_e32 v7, 32, v7
	v_lshlrev_b64_e32 v[12:13], v7, v[12:13]
	v_sub_nc_u32_e32 v7, 32, v7
	s_delay_alu instid0(VALU_DEP_2) | instskip(NEXT) | instid1(VALU_DEP_1)
	v_min_u32_e32 v12, 1, v12
	v_or_b32_e32 v12, v13, v12
	s_delay_alu instid0(VALU_DEP_1) | instskip(NEXT) | instid1(VALU_DEP_1)
	v_cvt_f32_u32_e32 v12, v12
	v_ldexp_f32 v12, v12, v7
                                        ; implicit-def: $vgpr7
	s_wait_xcnt 0x0
	s_delay_alu instid0(VALU_DEP_1)
	v_cmpx_gt_u32_e32 0x47800000, v12
	s_xor_b32 s17, exec_lo, s17
	s_cbranch_execz .LBB232_1110
; %bb.1105:
	v_cmp_lt_u32_e64 s0, 0x387fffff, v12
                                        ; implicit-def: $vgpr7
	s_and_saveexec_b32 s18, s0
	s_delay_alu instid0(SALU_CYCLE_1)
	s_xor_b32 s0, exec_lo, s18
; %bb.1106:
	v_bfe_u32 v7, v12, 21, 1
	s_delay_alu instid0(VALU_DEP_1) | instskip(NEXT) | instid1(VALU_DEP_1)
	v_add3_u32 v7, v12, v7, 0x80fffff
                                        ; implicit-def: $vgpr12
	v_lshrrev_b32_e32 v7, 21, v7
; %bb.1107:
	s_and_not1_saveexec_b32 s0, s0
; %bb.1108:
	v_add_f32_e32 v7, 0x43000000, v12
; %bb.1109:
	s_or_b32 exec_lo, exec_lo, s0
                                        ; implicit-def: $vgpr12
.LBB232_1110:
	s_and_not1_saveexec_b32 s17, s17
; %bb.1111:
	v_mov_b32_e32 v7, 0x7f
	v_cmp_lt_u32_e64 s0, 0x7f800000, v12
	s_delay_alu instid0(VALU_DEP_1)
	v_cndmask_b32_e64 v7, 0x7c, v7, s0
; %bb.1112:
	s_or_b32 exec_lo, exec_lo, s17
	s_delay_alu instid0(SALU_CYCLE_1)
	s_or_b32 s18, s16, exec_lo
	s_xor_b32 s17, exec_lo, -1
.LBB232_1113:
	s_or_b32 exec_lo, exec_lo, s12
	s_delay_alu instid0(SALU_CYCLE_1)
	s_and_not1_b32 s0, s16, exec_lo
	s_and_b32 s12, s18, exec_lo
	s_and_not1_b32 s13, s13, exec_lo
	s_and_b32 s17, s17, exec_lo
	s_or_b32 s16, s0, s12
	s_or_b32 s13, s13, s17
.LBB232_1114:
	s_or_b32 exec_lo, exec_lo, s11
	s_delay_alu instid0(SALU_CYCLE_1)
	s_and_b32 s12, s16, exec_lo
	s_and_b32 s11, s13, exec_lo
.LBB232_1115:
	s_and_not1_saveexec_b32 s10, s10
	s_cbranch_execz .LBB232_1155
; %bb.1116:
	s_mov_b32 s13, exec_lo
                                        ; implicit-def: $vgpr7
	v_cmpx_lt_i16_e32 26, v19
	s_xor_b32 s13, exec_lo, s13
	s_cbranch_execz .LBB232_1138
; %bb.1117:
	s_mov_b32 s16, exec_lo
                                        ; implicit-def: $vgpr7
	v_cmpx_lt_i16_e32 27, v19
	s_xor_b32 s16, exec_lo, s16
	s_cbranch_execz .LBB232_1127
; %bb.1118:
	flat_load_b32 v7, v[8:9]
	s_mov_b32 s17, exec_lo
	s_wait_loadcnt_dscnt 0x0
	v_cvt_f32_u32_e32 v12, v7
                                        ; implicit-def: $vgpr7
	s_wait_xcnt 0x0
	s_delay_alu instid0(VALU_DEP_1)
	v_cmpx_gt_u32_e32 0x47800000, v12
	s_xor_b32 s17, exec_lo, s17
	s_cbranch_execz .LBB232_1124
; %bb.1119:
	v_cmp_lt_u32_e64 s0, 0x387fffff, v12
                                        ; implicit-def: $vgpr7
	s_and_saveexec_b32 s18, s0
	s_delay_alu instid0(SALU_CYCLE_1)
	s_xor_b32 s0, exec_lo, s18
; %bb.1120:
	v_bfe_u32 v7, v12, 21, 1
	s_delay_alu instid0(VALU_DEP_1) | instskip(NEXT) | instid1(VALU_DEP_1)
	v_add3_u32 v7, v12, v7, 0x80fffff
                                        ; implicit-def: $vgpr12
	v_lshrrev_b32_e32 v7, 21, v7
; %bb.1121:
	s_and_not1_saveexec_b32 s0, s0
; %bb.1122:
	v_add_f32_e32 v7, 0x43000000, v12
; %bb.1123:
	s_or_b32 exec_lo, exec_lo, s0
                                        ; implicit-def: $vgpr12
.LBB232_1124:
	s_and_not1_saveexec_b32 s17, s17
; %bb.1125:
	v_mov_b32_e32 v7, 0x7f
	v_cmp_lt_u32_e64 s0, 0x7f800000, v12
	s_delay_alu instid0(VALU_DEP_1)
	v_cndmask_b32_e64 v7, 0x7c, v7, s0
; %bb.1126:
	s_or_b32 exec_lo, exec_lo, s17
.LBB232_1127:
	s_and_not1_saveexec_b32 s16, s16
	s_cbranch_execz .LBB232_1137
; %bb.1128:
	flat_load_u16 v7, v[8:9]
	s_mov_b32 s17, exec_lo
	s_wait_loadcnt_dscnt 0x0
	v_cvt_f32_u32_e32 v12, v7
                                        ; implicit-def: $vgpr7
	s_wait_xcnt 0x0
	s_delay_alu instid0(VALU_DEP_1)
	v_cmpx_gt_u32_e32 0x47800000, v12
	s_xor_b32 s17, exec_lo, s17
	s_cbranch_execz .LBB232_1134
; %bb.1129:
	v_cmp_lt_u32_e64 s0, 0x387fffff, v12
                                        ; implicit-def: $vgpr7
	s_and_saveexec_b32 s18, s0
	s_delay_alu instid0(SALU_CYCLE_1)
	s_xor_b32 s0, exec_lo, s18
; %bb.1130:
	v_bfe_u32 v7, v12, 21, 1
	s_delay_alu instid0(VALU_DEP_1) | instskip(NEXT) | instid1(VALU_DEP_1)
	v_add3_u32 v7, v12, v7, 0x80fffff
                                        ; implicit-def: $vgpr12
	v_lshrrev_b32_e32 v7, 21, v7
; %bb.1131:
	s_and_not1_saveexec_b32 s0, s0
; %bb.1132:
	v_add_f32_e32 v7, 0x43000000, v12
; %bb.1133:
	s_or_b32 exec_lo, exec_lo, s0
                                        ; implicit-def: $vgpr12
.LBB232_1134:
	s_and_not1_saveexec_b32 s17, s17
; %bb.1135:
	v_mov_b32_e32 v7, 0x7f
	v_cmp_lt_u32_e64 s0, 0x7f800000, v12
	s_delay_alu instid0(VALU_DEP_1)
	v_cndmask_b32_e64 v7, 0x7c, v7, s0
; %bb.1136:
	s_or_b32 exec_lo, exec_lo, s17
.LBB232_1137:
	s_delay_alu instid0(SALU_CYCLE_1)
	s_or_b32 exec_lo, exec_lo, s16
.LBB232_1138:
	s_and_not1_saveexec_b32 s13, s13
	s_cbranch_execz .LBB232_1154
; %bb.1139:
	flat_load_u8 v12, v[8:9]
	s_mov_b32 s16, 0
	s_mov_b32 s17, exec_lo
	s_wait_loadcnt_dscnt 0x0
	v_cmpx_lt_i16_e32 0x7f, v12
	s_xor_b32 s17, exec_lo, s17
	s_cbranch_execz .LBB232_2544
; %bb.1140:
	s_mov_b32 s16, -1
	s_mov_b32 s18, exec_lo
	v_cmpx_eq_u16_e32 0x80, v12
; %bb.1141:
	s_xor_b32 s16, exec_lo, -1
; %bb.1142:
	s_or_b32 exec_lo, exec_lo, s18
	s_delay_alu instid0(SALU_CYCLE_1)
	s_and_b32 s16, s16, exec_lo
	s_or_saveexec_b32 s17, s17
	v_mov_b32_e32 v7, 0x7f800001
	s_xor_b32 exec_lo, exec_lo, s17
	s_cbranch_execnz .LBB232_2545
.LBB232_1143:
	s_or_b32 exec_lo, exec_lo, s17
	s_and_saveexec_b32 s17, s16
	s_cbranch_execz .LBB232_1145
.LBB232_1144:
	v_and_b32_e32 v7, 0xffff, v12
	s_delay_alu instid0(VALU_DEP_1) | instskip(SKIP_1) | instid1(VALU_DEP_2)
	v_and_b32_e32 v13, 7, v7
	v_bfe_u32 v25, v7, 3, 4
	v_clz_i32_u32_e32 v22, v13
	s_delay_alu instid0(VALU_DEP_2) | instskip(NEXT) | instid1(VALU_DEP_2)
	v_cmp_eq_u32_e64 s0, 0, v25
	v_min_u32_e32 v22, 32, v22
	s_delay_alu instid0(VALU_DEP_1) | instskip(NEXT) | instid1(VALU_DEP_1)
	v_subrev_nc_u32_e32 v24, 28, v22
	v_dual_lshlrev_b32 v7, v24, v7 :: v_dual_sub_nc_u32 v22, 29, v22
	s_delay_alu instid0(VALU_DEP_1) | instskip(NEXT) | instid1(VALU_DEP_2)
	v_dual_lshlrev_b32 v12, 24, v12 :: v_dual_bitop2_b32 v7, 7, v7 bitop3:0x40
	v_cndmask_b32_e64 v22, v25, v22, s0
	s_delay_alu instid0(VALU_DEP_2) | instskip(NEXT) | instid1(VALU_DEP_3)
	v_cndmask_b32_e64 v7, v13, v7, s0
	v_and_b32_e32 v12, 0x80000000, v12
	s_delay_alu instid0(VALU_DEP_3) | instskip(NEXT) | instid1(VALU_DEP_3)
	v_lshl_add_u32 v13, v22, 23, 0x3b800000
	v_lshlrev_b32_e32 v7, 20, v7
	s_delay_alu instid0(VALU_DEP_1)
	v_or3_b32 v7, v12, v13, v7
.LBB232_1145:
	s_or_b32 exec_lo, exec_lo, s17
	s_delay_alu instid0(VALU_DEP_1) | instskip(SKIP_1) | instid1(VALU_DEP_1)
	v_and_b32_e32 v13, 0x7fffffff, v7
	s_mov_b32 s16, exec_lo
                                        ; implicit-def: $vgpr12
	v_cmpx_gt_u32_e32 0x47800000, v13
	s_xor_b32 s16, exec_lo, s16
	s_cbranch_execz .LBB232_1151
; %bb.1146:
	v_cmp_lt_u32_e64 s0, 0x387fffff, v13
                                        ; implicit-def: $vgpr12
	s_and_saveexec_b32 s17, s0
	s_delay_alu instid0(SALU_CYCLE_1)
	s_xor_b32 s0, exec_lo, s17
; %bb.1147:
	v_bfe_u32 v12, v7, 21, 1
	s_delay_alu instid0(VALU_DEP_1) | instskip(NEXT) | instid1(VALU_DEP_1)
	v_add3_u32 v12, v7, v12, 0x80fffff
	v_lshrrev_b32_e32 v12, 21, v12
; %bb.1148:
	s_and_not1_saveexec_b32 s0, s0
; %bb.1149:
	v_add_f32_e64 v12, 0x43000000, |v7|
; %bb.1150:
	s_or_b32 exec_lo, exec_lo, s0
                                        ; implicit-def: $vgpr13
.LBB232_1151:
	s_and_not1_saveexec_b32 s16, s16
; %bb.1152:
	v_mov_b32_e32 v12, 0x7f
	v_cmp_lt_u32_e64 s0, 0x7f800000, v13
	s_delay_alu instid0(VALU_DEP_1)
	v_cndmask_b32_e64 v12, 0x7c, v12, s0
; %bb.1153:
	s_or_b32 exec_lo, exec_lo, s16
	v_lshrrev_b32_e32 v7, 24, v7
	s_delay_alu instid0(VALU_DEP_1)
	v_and_or_b32 v7, 0x80, v7, v12
.LBB232_1154:
	s_or_b32 exec_lo, exec_lo, s13
	s_delay_alu instid0(SALU_CYCLE_1)
	s_or_b32 s12, s12, exec_lo
.LBB232_1155:
	s_or_b32 exec_lo, exec_lo, s10
	s_delay_alu instid0(SALU_CYCLE_1)
	s_and_b32 s10, s12, exec_lo
	s_and_b32 s11, s11, exec_lo
	s_and_not1_saveexec_b32 s9, s9
	s_cbranch_execnz .LBB232_2378
.LBB232_1156:
	s_or_b32 exec_lo, exec_lo, s9
	s_mov_b32 s9, s7
	s_and_saveexec_b32 s0, s11
	s_cbranch_execnz .LBB232_2427
.LBB232_1157:
	s_or_b32 exec_lo, exec_lo, s0
	s_and_saveexec_b32 s11, s2
	s_cbranch_execz .LBB232_1167
.LBB232_1158:
	s_wait_loadcnt_dscnt 0x0
	flat_load_u8 v7, v[8:9]
	s_mov_b32 s2, exec_lo
	s_wait_loadcnt_dscnt 0x0
	v_cmp_ne_u16_e64 s0, 0, v7
                                        ; implicit-def: $vgpr7
	s_wait_xcnt 0x0
	s_delay_alu instid0(VALU_DEP_1) | instskip(NEXT) | instid1(VALU_DEP_1)
	v_cndmask_b32_e64 v8, 0, 1.0, s0
	v_cmpx_gt_u32_e32 0x47800000, v8
	s_xor_b32 s2, exec_lo, s2
	s_cbranch_execz .LBB232_1164
; %bb.1159:
	v_cmp_lt_u32_e64 s0, 0x387fffff, v8
                                        ; implicit-def: $vgpr7
	s_and_saveexec_b32 s12, s0
	s_delay_alu instid0(SALU_CYCLE_1)
	s_xor_b32 s0, exec_lo, s12
; %bb.1160:
	v_bfe_u32 v7, v8, 21, 1
	s_delay_alu instid0(VALU_DEP_1) | instskip(NEXT) | instid1(VALU_DEP_1)
	v_add3_u32 v7, v8, v7, 0x80fffff
                                        ; implicit-def: $vgpr8
	v_lshrrev_b32_e32 v7, 21, v7
; %bb.1161:
	s_and_not1_saveexec_b32 s0, s0
; %bb.1162:
	v_add_f32_e32 v7, 0x43000000, v8
; %bb.1163:
	s_or_b32 exec_lo, exec_lo, s0
                                        ; implicit-def: $vgpr8
.LBB232_1164:
	s_and_not1_saveexec_b32 s2, s2
; %bb.1165:
	v_mov_b32_e32 v7, 0x7f
	v_cmp_lt_u32_e64 s0, 0x7f800000, v8
	s_delay_alu instid0(VALU_DEP_1)
	v_cndmask_b32_e64 v7, 0x7c, v7, s0
; %bb.1166:
	s_or_b32 exec_lo, exec_lo, s2
	s_delay_alu instid0(SALU_CYCLE_1)
	s_or_b32 s10, s10, exec_lo
.LBB232_1167:
	s_or_b32 exec_lo, exec_lo, s11
	s_delay_alu instid0(SALU_CYCLE_1) | instskip(SKIP_1) | instid1(SALU_CYCLE_1)
	s_and_not1_b32 s0, s7, exec_lo
	s_and_b32 s2, s9, exec_lo
                                        ; implicit-def: $vgpr8_vgpr9
	s_or_b32 s9, s0, s2
	s_and_b32 s2, s10, exec_lo
.LBB232_1168:
	s_and_not1_saveexec_b32 s1, s1
	s_cbranch_execz .LBB232_1298
; %bb.1169:
	s_mov_b32 s10, exec_lo
                                        ; implicit-def: $vgpr7
	v_cmpx_lt_i16_e32 4, v19
	s_xor_b32 s10, exec_lo, s10
	s_cbranch_execz .LBB232_1239
; %bb.1170:
	s_mov_b32 s11, exec_lo
                                        ; implicit-def: $vgpr7
	v_cmpx_lt_i16_e32 7, v19
	s_xor_b32 s11, exec_lo, s11
	;; [unrolled: 6-line block ×4, first 2 shown]
	s_cbranch_execz .LBB232_1182
; %bb.1173:
	flat_load_b64 v[8:9], v[8:9]
	s_mov_b32 s16, exec_lo
	s_wait_loadcnt_dscnt 0x0
	v_cvt_f32_f64_e32 v7, v[8:9]
                                        ; implicit-def: $vgpr8
	s_wait_xcnt 0x0
	s_delay_alu instid0(VALU_DEP_1) | instskip(NEXT) | instid1(VALU_DEP_1)
	v_and_b32_e32 v9, 0x7fffffff, v7
	v_cmpx_gt_u32_e32 0x47800000, v9
	s_xor_b32 s16, exec_lo, s16
	s_cbranch_execz .LBB232_1179
; %bb.1174:
	v_cmp_lt_u32_e64 s0, 0x387fffff, v9
                                        ; implicit-def: $vgpr8
	s_and_saveexec_b32 s17, s0
	s_delay_alu instid0(SALU_CYCLE_1)
	s_xor_b32 s0, exec_lo, s17
; %bb.1175:
	v_bfe_u32 v8, v7, 21, 1
	s_delay_alu instid0(VALU_DEP_1) | instskip(NEXT) | instid1(VALU_DEP_1)
	v_add3_u32 v8, v7, v8, 0x80fffff
	v_lshrrev_b32_e32 v8, 21, v8
; %bb.1176:
	s_and_not1_saveexec_b32 s0, s0
; %bb.1177:
	v_add_f32_e64 v8, 0x43000000, |v7|
; %bb.1178:
	s_or_b32 exec_lo, exec_lo, s0
                                        ; implicit-def: $vgpr9
.LBB232_1179:
	s_and_not1_saveexec_b32 s16, s16
; %bb.1180:
	v_mov_b32_e32 v8, 0x7f
	v_cmp_lt_u32_e64 s0, 0x7f800000, v9
	s_delay_alu instid0(VALU_DEP_1)
	v_cndmask_b32_e64 v8, 0x7c, v8, s0
; %bb.1181:
	s_or_b32 exec_lo, exec_lo, s16
	v_lshrrev_b32_e32 v7, 24, v7
	s_delay_alu instid0(VALU_DEP_1)
	v_and_or_b32 v7, 0x80, v7, v8
                                        ; implicit-def: $vgpr8_vgpr9
.LBB232_1182:
	s_and_not1_saveexec_b32 s13, s13
	s_cbranch_execz .LBB232_1192
; %bb.1183:
	s_wait_loadcnt_dscnt 0x0
	flat_load_b32 v7, v[8:9]
	s_mov_b32 s16, exec_lo
                                        ; implicit-def: $vgpr8
	s_wait_loadcnt_dscnt 0x0
	v_and_b32_e32 v9, 0x7fffffff, v7
	s_delay_alu instid0(VALU_DEP_1)
	v_cmpx_gt_u32_e32 0x47800000, v9
	s_xor_b32 s16, exec_lo, s16
	s_cbranch_execz .LBB232_1189
; %bb.1184:
	v_cmp_lt_u32_e64 s0, 0x387fffff, v9
                                        ; implicit-def: $vgpr8
	s_and_saveexec_b32 s17, s0
	s_delay_alu instid0(SALU_CYCLE_1)
	s_xor_b32 s0, exec_lo, s17
; %bb.1185:
	v_bfe_u32 v8, v7, 21, 1
	s_delay_alu instid0(VALU_DEP_1) | instskip(NEXT) | instid1(VALU_DEP_1)
	v_add3_u32 v8, v7, v8, 0x80fffff
	v_lshrrev_b32_e32 v8, 21, v8
; %bb.1186:
	s_and_not1_saveexec_b32 s0, s0
; %bb.1187:
	v_add_f32_e64 v8, 0x43000000, |v7|
; %bb.1188:
	s_or_b32 exec_lo, exec_lo, s0
                                        ; implicit-def: $vgpr9
.LBB232_1189:
	s_and_not1_saveexec_b32 s16, s16
; %bb.1190:
	v_mov_b32_e32 v8, 0x7f
	v_cmp_lt_u32_e64 s0, 0x7f800000, v9
	s_delay_alu instid0(VALU_DEP_1)
	v_cndmask_b32_e64 v8, 0x7c, v8, s0
; %bb.1191:
	s_or_b32 exec_lo, exec_lo, s16
	v_lshrrev_b32_e32 v7, 24, v7
	s_delay_alu instid0(VALU_DEP_1)
	v_and_or_b32 v7, 0x80, v7, v8
.LBB232_1192:
	s_or_b32 exec_lo, exec_lo, s13
                                        ; implicit-def: $vgpr8_vgpr9
.LBB232_1193:
	s_and_not1_saveexec_b32 s12, s12
	s_cbranch_execz .LBB232_1203
; %bb.1194:
	s_wait_loadcnt_dscnt 0x0
	flat_load_b32 v7, v[8:9]
	s_mov_b32 s13, exec_lo
                                        ; implicit-def: $vgpr8
	s_wait_loadcnt_dscnt 0x0
	v_cvt_f32_f16_e32 v7, v7
	s_wait_xcnt 0x0
	s_delay_alu instid0(VALU_DEP_1) | instskip(NEXT) | instid1(VALU_DEP_1)
	v_and_b32_e32 v9, 0x7fffffff, v7
	v_cmpx_gt_u32_e32 0x47800000, v9
	s_xor_b32 s13, exec_lo, s13
	s_cbranch_execz .LBB232_1200
; %bb.1195:
	v_cmp_lt_u32_e64 s0, 0x387fffff, v9
                                        ; implicit-def: $vgpr8
	s_and_saveexec_b32 s16, s0
	s_delay_alu instid0(SALU_CYCLE_1)
	s_xor_b32 s0, exec_lo, s16
; %bb.1196:
	v_bfe_u32 v8, v7, 21, 1
	s_delay_alu instid0(VALU_DEP_1) | instskip(NEXT) | instid1(VALU_DEP_1)
	v_add3_u32 v8, v7, v8, 0x80fffff
	v_lshrrev_b32_e32 v8, 21, v8
; %bb.1197:
	s_and_not1_saveexec_b32 s0, s0
; %bb.1198:
	v_add_f32_e64 v8, 0x43000000, |v7|
; %bb.1199:
	s_or_b32 exec_lo, exec_lo, s0
                                        ; implicit-def: $vgpr9
.LBB232_1200:
	s_and_not1_saveexec_b32 s13, s13
; %bb.1201:
	v_mov_b32_e32 v8, 0x7f
	v_cmp_lt_u32_e64 s0, 0x7f800000, v9
	s_delay_alu instid0(VALU_DEP_1)
	v_cndmask_b32_e64 v8, 0x7c, v8, s0
; %bb.1202:
	s_or_b32 exec_lo, exec_lo, s13
	v_lshrrev_b32_e32 v7, 24, v7
	s_delay_alu instid0(VALU_DEP_1)
	v_and_or_b32 v7, 0x80, v7, v8
.LBB232_1203:
	s_or_b32 exec_lo, exec_lo, s12
                                        ; implicit-def: $vgpr8_vgpr9
.LBB232_1204:
	s_and_not1_saveexec_b32 s11, s11
	s_cbranch_execz .LBB232_1238
; %bb.1205:
	s_mov_b32 s12, exec_lo
                                        ; implicit-def: $vgpr7
	v_cmpx_lt_i16_e32 5, v19
	s_xor_b32 s12, exec_lo, s12
	s_cbranch_execz .LBB232_1227
; %bb.1206:
	s_mov_b32 s13, exec_lo
                                        ; implicit-def: $vgpr7
	v_cmpx_lt_i16_e32 6, v19
	s_xor_b32 s13, exec_lo, s13
	s_cbranch_execz .LBB232_1216
; %bb.1207:
	flat_load_b64 v[8:9], v[8:9]
	s_mov_b32 s16, exec_lo
	s_wait_loadcnt_dscnt 0x0
	v_cvt_f32_f64_e32 v7, v[8:9]
                                        ; implicit-def: $vgpr8
	s_wait_xcnt 0x0
	s_delay_alu instid0(VALU_DEP_1) | instskip(NEXT) | instid1(VALU_DEP_1)
	v_and_b32_e32 v9, 0x7fffffff, v7
	v_cmpx_gt_u32_e32 0x47800000, v9
	s_xor_b32 s16, exec_lo, s16
	s_cbranch_execz .LBB232_1213
; %bb.1208:
	v_cmp_lt_u32_e64 s0, 0x387fffff, v9
                                        ; implicit-def: $vgpr8
	s_and_saveexec_b32 s17, s0
	s_delay_alu instid0(SALU_CYCLE_1)
	s_xor_b32 s0, exec_lo, s17
; %bb.1209:
	v_bfe_u32 v8, v7, 21, 1
	s_delay_alu instid0(VALU_DEP_1) | instskip(NEXT) | instid1(VALU_DEP_1)
	v_add3_u32 v8, v7, v8, 0x80fffff
	v_lshrrev_b32_e32 v8, 21, v8
; %bb.1210:
	s_and_not1_saveexec_b32 s0, s0
; %bb.1211:
	v_add_f32_e64 v8, 0x43000000, |v7|
; %bb.1212:
	s_or_b32 exec_lo, exec_lo, s0
                                        ; implicit-def: $vgpr9
.LBB232_1213:
	s_and_not1_saveexec_b32 s16, s16
; %bb.1214:
	v_mov_b32_e32 v8, 0x7f
	v_cmp_lt_u32_e64 s0, 0x7f800000, v9
	s_delay_alu instid0(VALU_DEP_1)
	v_cndmask_b32_e64 v8, 0x7c, v8, s0
; %bb.1215:
	s_or_b32 exec_lo, exec_lo, s16
	v_lshrrev_b32_e32 v7, 24, v7
	s_delay_alu instid0(VALU_DEP_1)
	v_and_or_b32 v7, 0x80, v7, v8
                                        ; implicit-def: $vgpr8_vgpr9
.LBB232_1216:
	s_and_not1_saveexec_b32 s13, s13
	s_cbranch_execz .LBB232_1226
; %bb.1217:
	s_wait_loadcnt_dscnt 0x0
	flat_load_b32 v7, v[8:9]
	s_mov_b32 s16, exec_lo
                                        ; implicit-def: $vgpr8
	s_wait_loadcnt_dscnt 0x0
	v_and_b32_e32 v9, 0x7fffffff, v7
	s_delay_alu instid0(VALU_DEP_1)
	v_cmpx_gt_u32_e32 0x47800000, v9
	s_xor_b32 s16, exec_lo, s16
	s_cbranch_execz .LBB232_1223
; %bb.1218:
	v_cmp_lt_u32_e64 s0, 0x387fffff, v9
                                        ; implicit-def: $vgpr8
	s_and_saveexec_b32 s17, s0
	s_delay_alu instid0(SALU_CYCLE_1)
	s_xor_b32 s0, exec_lo, s17
; %bb.1219:
	v_bfe_u32 v8, v7, 21, 1
	s_delay_alu instid0(VALU_DEP_1) | instskip(NEXT) | instid1(VALU_DEP_1)
	v_add3_u32 v8, v7, v8, 0x80fffff
	v_lshrrev_b32_e32 v8, 21, v8
; %bb.1220:
	s_and_not1_saveexec_b32 s0, s0
; %bb.1221:
	v_add_f32_e64 v8, 0x43000000, |v7|
; %bb.1222:
	s_or_b32 exec_lo, exec_lo, s0
                                        ; implicit-def: $vgpr9
.LBB232_1223:
	s_and_not1_saveexec_b32 s16, s16
; %bb.1224:
	v_mov_b32_e32 v8, 0x7f
	v_cmp_lt_u32_e64 s0, 0x7f800000, v9
	s_delay_alu instid0(VALU_DEP_1)
	v_cndmask_b32_e64 v8, 0x7c, v8, s0
; %bb.1225:
	s_or_b32 exec_lo, exec_lo, s16
	v_lshrrev_b32_e32 v7, 24, v7
	s_delay_alu instid0(VALU_DEP_1)
	v_and_or_b32 v7, 0x80, v7, v8
.LBB232_1226:
	s_or_b32 exec_lo, exec_lo, s13
                                        ; implicit-def: $vgpr8_vgpr9
.LBB232_1227:
	s_and_not1_saveexec_b32 s12, s12
	s_cbranch_execz .LBB232_1237
; %bb.1228:
	s_wait_loadcnt_dscnt 0x0
	flat_load_u16 v7, v[8:9]
	s_mov_b32 s13, exec_lo
                                        ; implicit-def: $vgpr8
	s_wait_loadcnt_dscnt 0x0
	v_cvt_f32_f16_e32 v7, v7
	s_wait_xcnt 0x0
	s_delay_alu instid0(VALU_DEP_1) | instskip(NEXT) | instid1(VALU_DEP_1)
	v_and_b32_e32 v9, 0x7fffffff, v7
	v_cmpx_gt_u32_e32 0x47800000, v9
	s_xor_b32 s13, exec_lo, s13
	s_cbranch_execz .LBB232_1234
; %bb.1229:
	v_cmp_lt_u32_e64 s0, 0x387fffff, v9
                                        ; implicit-def: $vgpr8
	s_and_saveexec_b32 s16, s0
	s_delay_alu instid0(SALU_CYCLE_1)
	s_xor_b32 s0, exec_lo, s16
; %bb.1230:
	v_bfe_u32 v8, v7, 21, 1
	s_delay_alu instid0(VALU_DEP_1) | instskip(NEXT) | instid1(VALU_DEP_1)
	v_add3_u32 v8, v7, v8, 0x80fffff
	v_lshrrev_b32_e32 v8, 21, v8
; %bb.1231:
	s_and_not1_saveexec_b32 s0, s0
; %bb.1232:
	v_add_f32_e64 v8, 0x43000000, |v7|
; %bb.1233:
	s_or_b32 exec_lo, exec_lo, s0
                                        ; implicit-def: $vgpr9
.LBB232_1234:
	s_and_not1_saveexec_b32 s13, s13
; %bb.1235:
	v_mov_b32_e32 v8, 0x7f
	v_cmp_lt_u32_e64 s0, 0x7f800000, v9
	s_delay_alu instid0(VALU_DEP_1)
	v_cndmask_b32_e64 v8, 0x7c, v8, s0
; %bb.1236:
	s_or_b32 exec_lo, exec_lo, s13
	v_lshrrev_b32_e32 v7, 24, v7
	s_delay_alu instid0(VALU_DEP_1)
	v_and_or_b32 v7, 0x80, v7, v8
.LBB232_1237:
	s_or_b32 exec_lo, exec_lo, s12
.LBB232_1238:
	s_delay_alu instid0(SALU_CYCLE_1)
	s_or_b32 exec_lo, exec_lo, s11
                                        ; implicit-def: $vgpr8_vgpr9
.LBB232_1239:
	s_and_not1_saveexec_b32 s10, s10
	s_cbranch_execz .LBB232_1297
; %bb.1240:
	s_mov_b32 s11, exec_lo
                                        ; implicit-def: $vgpr7
	v_cmpx_lt_i16_e32 1, v19
	s_xor_b32 s11, exec_lo, s11
	s_cbranch_execz .LBB232_1274
; %bb.1241:
	s_mov_b32 s12, exec_lo
                                        ; implicit-def: $vgpr7
	v_cmpx_lt_i16_e32 2, v19
	s_xor_b32 s12, exec_lo, s12
	;; [unrolled: 6-line block ×3, first 2 shown]
	s_cbranch_execz .LBB232_1252
; %bb.1243:
	flat_load_b64 v[8:9], v[8:9]
	s_mov_b32 s16, exec_lo
	s_wait_loadcnt_dscnt 0x0
	v_xor_b32_e32 v7, v8, v9
	v_cls_i32_e32 v12, v9
	s_delay_alu instid0(VALU_DEP_2) | instskip(NEXT) | instid1(VALU_DEP_1)
	v_ashrrev_i32_e32 v7, 31, v7
	v_add_nc_u32_e32 v7, 32, v7
	s_delay_alu instid0(VALU_DEP_1) | instskip(SKIP_1) | instid1(VALU_DEP_1)
	v_add_min_u32_e64 v7, v12, -1, v7
	s_wait_xcnt 0x0
	v_lshlrev_b64_e32 v[8:9], v7, v[8:9]
	v_sub_nc_u32_e32 v7, 32, v7
	s_delay_alu instid0(VALU_DEP_2) | instskip(NEXT) | instid1(VALU_DEP_1)
	v_min_u32_e32 v8, 1, v8
	v_or_b32_e32 v8, v9, v8
	s_delay_alu instid0(VALU_DEP_1) | instskip(NEXT) | instid1(VALU_DEP_1)
	v_cvt_f32_i32_e32 v8, v8
	v_ldexp_f32 v7, v8, v7
                                        ; implicit-def: $vgpr8
	s_delay_alu instid0(VALU_DEP_1) | instskip(NEXT) | instid1(VALU_DEP_1)
	v_and_b32_e32 v9, 0x7fffffff, v7
	v_cmpx_gt_u32_e32 0x47800000, v9
	s_xor_b32 s16, exec_lo, s16
	s_cbranch_execz .LBB232_1249
; %bb.1244:
	v_cmp_lt_u32_e64 s0, 0x387fffff, v9
                                        ; implicit-def: $vgpr8
	s_and_saveexec_b32 s17, s0
	s_delay_alu instid0(SALU_CYCLE_1)
	s_xor_b32 s0, exec_lo, s17
; %bb.1245:
	v_bfe_u32 v8, v7, 21, 1
	s_delay_alu instid0(VALU_DEP_1) | instskip(NEXT) | instid1(VALU_DEP_1)
	v_add3_u32 v8, v7, v8, 0x80fffff
	v_lshrrev_b32_e32 v8, 21, v8
; %bb.1246:
	s_and_not1_saveexec_b32 s0, s0
; %bb.1247:
	v_add_f32_e64 v8, 0x43000000, |v7|
; %bb.1248:
	s_or_b32 exec_lo, exec_lo, s0
                                        ; implicit-def: $vgpr9
.LBB232_1249:
	s_and_not1_saveexec_b32 s16, s16
; %bb.1250:
	v_mov_b32_e32 v8, 0x7f
	v_cmp_lt_u32_e64 s0, 0x7f800000, v9
	s_delay_alu instid0(VALU_DEP_1)
	v_cndmask_b32_e64 v8, 0x7c, v8, s0
; %bb.1251:
	s_or_b32 exec_lo, exec_lo, s16
	v_lshrrev_b32_e32 v7, 24, v7
	s_delay_alu instid0(VALU_DEP_1)
	v_and_or_b32 v7, 0x80, v7, v8
                                        ; implicit-def: $vgpr8_vgpr9
.LBB232_1252:
	s_and_not1_saveexec_b32 s13, s13
	s_cbranch_execz .LBB232_1262
; %bb.1253:
	s_wait_loadcnt_dscnt 0x0
	flat_load_b32 v7, v[8:9]
	s_mov_b32 s16, exec_lo
                                        ; implicit-def: $vgpr8
	s_wait_loadcnt_dscnt 0x0
	v_cvt_f32_i32_e32 v7, v7
	s_wait_xcnt 0x0
	s_delay_alu instid0(VALU_DEP_1) | instskip(NEXT) | instid1(VALU_DEP_1)
	v_and_b32_e32 v9, 0x7fffffff, v7
	v_cmpx_gt_u32_e32 0x47800000, v9
	s_xor_b32 s16, exec_lo, s16
	s_cbranch_execz .LBB232_1259
; %bb.1254:
	v_cmp_lt_u32_e64 s0, 0x387fffff, v9
                                        ; implicit-def: $vgpr8
	s_and_saveexec_b32 s17, s0
	s_delay_alu instid0(SALU_CYCLE_1)
	s_xor_b32 s0, exec_lo, s17
; %bb.1255:
	v_bfe_u32 v8, v7, 21, 1
	s_delay_alu instid0(VALU_DEP_1) | instskip(NEXT) | instid1(VALU_DEP_1)
	v_add3_u32 v8, v7, v8, 0x80fffff
	v_lshrrev_b32_e32 v8, 21, v8
; %bb.1256:
	s_and_not1_saveexec_b32 s0, s0
; %bb.1257:
	v_add_f32_e64 v8, 0x43000000, |v7|
; %bb.1258:
	s_or_b32 exec_lo, exec_lo, s0
                                        ; implicit-def: $vgpr9
.LBB232_1259:
	s_and_not1_saveexec_b32 s16, s16
; %bb.1260:
	v_mov_b32_e32 v8, 0x7f
	v_cmp_lt_u32_e64 s0, 0x7f800000, v9
	s_delay_alu instid0(VALU_DEP_1)
	v_cndmask_b32_e64 v8, 0x7c, v8, s0
; %bb.1261:
	s_or_b32 exec_lo, exec_lo, s16
	v_lshrrev_b32_e32 v7, 24, v7
	s_delay_alu instid0(VALU_DEP_1)
	v_and_or_b32 v7, 0x80, v7, v8
.LBB232_1262:
	s_or_b32 exec_lo, exec_lo, s13
                                        ; implicit-def: $vgpr8_vgpr9
.LBB232_1263:
	s_and_not1_saveexec_b32 s12, s12
	s_cbranch_execz .LBB232_1273
; %bb.1264:
	s_wait_loadcnt_dscnt 0x0
	flat_load_i16 v7, v[8:9]
	s_mov_b32 s13, exec_lo
                                        ; implicit-def: $vgpr8
	s_wait_loadcnt_dscnt 0x0
	v_cvt_f32_i32_e32 v7, v7
	s_wait_xcnt 0x0
	s_delay_alu instid0(VALU_DEP_1) | instskip(NEXT) | instid1(VALU_DEP_1)
	v_and_b32_e32 v9, 0x7fffffff, v7
	v_cmpx_gt_u32_e32 0x47800000, v9
	s_xor_b32 s13, exec_lo, s13
	s_cbranch_execz .LBB232_1270
; %bb.1265:
	v_cmp_lt_u32_e64 s0, 0x387fffff, v9
                                        ; implicit-def: $vgpr8
	s_and_saveexec_b32 s16, s0
	s_delay_alu instid0(SALU_CYCLE_1)
	s_xor_b32 s0, exec_lo, s16
; %bb.1266:
	v_bfe_u32 v8, v7, 21, 1
	s_delay_alu instid0(VALU_DEP_1) | instskip(NEXT) | instid1(VALU_DEP_1)
	v_add3_u32 v8, v7, v8, 0x80fffff
	v_lshrrev_b32_e32 v8, 21, v8
; %bb.1267:
	s_and_not1_saveexec_b32 s0, s0
; %bb.1268:
	v_add_f32_e64 v8, 0x43000000, |v7|
; %bb.1269:
	s_or_b32 exec_lo, exec_lo, s0
                                        ; implicit-def: $vgpr9
.LBB232_1270:
	s_and_not1_saveexec_b32 s13, s13
; %bb.1271:
	v_mov_b32_e32 v8, 0x7f
	v_cmp_lt_u32_e64 s0, 0x7f800000, v9
	s_delay_alu instid0(VALU_DEP_1)
	v_cndmask_b32_e64 v8, 0x7c, v8, s0
; %bb.1272:
	s_or_b32 exec_lo, exec_lo, s13
	v_lshrrev_b32_e32 v7, 24, v7
	s_delay_alu instid0(VALU_DEP_1)
	v_and_or_b32 v7, 0x80, v7, v8
.LBB232_1273:
	s_or_b32 exec_lo, exec_lo, s12
                                        ; implicit-def: $vgpr8_vgpr9
.LBB232_1274:
	s_and_not1_saveexec_b32 s11, s11
	s_cbranch_execz .LBB232_1296
; %bb.1275:
	s_mov_b32 s12, exec_lo
                                        ; implicit-def: $vgpr7
	v_cmpx_lt_i16_e32 0, v19
	s_xor_b32 s12, exec_lo, s12
	s_cbranch_execz .LBB232_1285
; %bb.1276:
	s_wait_loadcnt_dscnt 0x0
	flat_load_i8 v7, v[8:9]
	s_mov_b32 s13, exec_lo
                                        ; implicit-def: $vgpr8
	s_wait_loadcnt_dscnt 0x0
	v_cvt_f32_i32_e32 v7, v7
	s_wait_xcnt 0x0
	s_delay_alu instid0(VALU_DEP_1) | instskip(NEXT) | instid1(VALU_DEP_1)
	v_and_b32_e32 v9, 0x7fffffff, v7
	v_cmpx_gt_u32_e32 0x47800000, v9
	s_xor_b32 s13, exec_lo, s13
	s_cbranch_execz .LBB232_1282
; %bb.1277:
	v_cmp_lt_u32_e64 s0, 0x387fffff, v9
                                        ; implicit-def: $vgpr8
	s_and_saveexec_b32 s16, s0
	s_delay_alu instid0(SALU_CYCLE_1)
	s_xor_b32 s0, exec_lo, s16
; %bb.1278:
	v_bfe_u32 v8, v7, 21, 1
	s_delay_alu instid0(VALU_DEP_1) | instskip(NEXT) | instid1(VALU_DEP_1)
	v_add3_u32 v8, v7, v8, 0x80fffff
	v_lshrrev_b32_e32 v8, 21, v8
; %bb.1279:
	s_and_not1_saveexec_b32 s0, s0
; %bb.1280:
	v_add_f32_e64 v8, 0x43000000, |v7|
; %bb.1281:
	s_or_b32 exec_lo, exec_lo, s0
                                        ; implicit-def: $vgpr9
.LBB232_1282:
	s_and_not1_saveexec_b32 s13, s13
; %bb.1283:
	v_mov_b32_e32 v8, 0x7f
	v_cmp_lt_u32_e64 s0, 0x7f800000, v9
	s_delay_alu instid0(VALU_DEP_1)
	v_cndmask_b32_e64 v8, 0x7c, v8, s0
; %bb.1284:
	s_or_b32 exec_lo, exec_lo, s13
	v_lshrrev_b32_e32 v7, 24, v7
	s_delay_alu instid0(VALU_DEP_1)
	v_and_or_b32 v7, 0x80, v7, v8
                                        ; implicit-def: $vgpr8_vgpr9
.LBB232_1285:
	s_and_not1_saveexec_b32 s12, s12
	s_cbranch_execz .LBB232_1295
; %bb.1286:
	s_wait_loadcnt_dscnt 0x0
	flat_load_u8 v7, v[8:9]
	s_mov_b32 s13, exec_lo
	s_wait_loadcnt_dscnt 0x0
	v_cvt_f32_ubyte0_e32 v8, v7
                                        ; implicit-def: $vgpr7
	s_delay_alu instid0(VALU_DEP_1)
	v_cmpx_gt_u32_e32 0x47800000, v8
	s_xor_b32 s13, exec_lo, s13
	s_cbranch_execz .LBB232_1292
; %bb.1287:
	v_cmp_lt_u32_e64 s0, 0x387fffff, v8
                                        ; implicit-def: $vgpr7
	s_and_saveexec_b32 s16, s0
	s_delay_alu instid0(SALU_CYCLE_1)
	s_xor_b32 s0, exec_lo, s16
; %bb.1288:
	v_bfe_u32 v7, v8, 21, 1
	s_delay_alu instid0(VALU_DEP_1) | instskip(NEXT) | instid1(VALU_DEP_1)
	v_add3_u32 v7, v8, v7, 0x80fffff
                                        ; implicit-def: $vgpr8
	v_lshrrev_b32_e32 v7, 21, v7
; %bb.1289:
	s_and_not1_saveexec_b32 s0, s0
; %bb.1290:
	v_add_f32_e32 v7, 0x43000000, v8
; %bb.1291:
	s_or_b32 exec_lo, exec_lo, s0
                                        ; implicit-def: $vgpr8
.LBB232_1292:
	s_and_not1_saveexec_b32 s13, s13
; %bb.1293:
	v_mov_b32_e32 v7, 0x7f
	v_cmp_lt_u32_e64 s0, 0x7f800000, v8
	s_delay_alu instid0(VALU_DEP_1)
	v_cndmask_b32_e64 v7, 0x7c, v7, s0
; %bb.1294:
	s_or_b32 exec_lo, exec_lo, s13
.LBB232_1295:
	s_delay_alu instid0(SALU_CYCLE_1)
	s_or_b32 exec_lo, exec_lo, s12
.LBB232_1296:
	s_delay_alu instid0(SALU_CYCLE_1)
	s_or_b32 exec_lo, exec_lo, s11
.LBB232_1297:
	s_delay_alu instid0(SALU_CYCLE_1) | instskip(NEXT) | instid1(SALU_CYCLE_1)
	s_or_b32 exec_lo, exec_lo, s10
	s_or_b32 s2, s2, exec_lo
.LBB232_1298:
	s_or_b32 exec_lo, exec_lo, s1
	s_mov_b32 s0, 0
	s_mov_b32 s12, 0
                                        ; implicit-def: $sgpr1
                                        ; implicit-def: $vgpr12_vgpr13
                                        ; implicit-def: $vgpr9
	s_and_saveexec_b32 s10, s2
	s_cbranch_execz .LBB232_2048
; %bb.1299:
	v_add_nc_u32_e32 v8, v10, v23
	s_mov_b32 s2, 0
	s_mov_b32 s11, s9
	s_mov_b32 s1, exec_lo
	s_delay_alu instid0(VALU_DEP_1) | instskip(NEXT) | instid1(VALU_DEP_1)
	v_ashrrev_i32_e32 v9, 31, v8
	v_add_nc_u64_e32 v[4:5], v[4:5], v[8:9]
                                        ; implicit-def: $vgpr8
	v_cmpx_lt_i16_e32 10, v20
	s_xor_b32 s1, exec_lo, s1
	s_cbranch_execz .LBB232_1394
; %bb.1300:
	s_mov_b32 s13, 0
	s_mov_b32 s11, exec_lo
                                        ; implicit-def: $vgpr8
	v_cmpx_lt_i16_e32 25, v20
	s_xor_b32 s11, exec_lo, s11
	s_cbranch_execz .LBB232_2430
; %bb.1301:
	s_mov_b32 s16, 0
	s_mov_b32 s12, exec_lo
                                        ; implicit-def: $vgpr8
	v_cmpx_lt_i16_e32 28, v20
	s_xor_b32 s12, exec_lo, s12
	s_cbranch_execz .LBB232_1341
; %bb.1302:
	s_mov_b32 s17, 0
	s_mov_b32 s18, 0
	s_mov_b32 s13, exec_lo
                                        ; implicit-def: $vgpr8
	v_cmpx_lt_i16_e32 43, v20
	s_xor_b32 s13, exec_lo, s13
	s_cbranch_execz .LBB232_1328
; %bb.1303:
	s_mov_b32 s18, exec_lo
                                        ; implicit-def: $vgpr8
	v_cmpx_lt_i16_e32 45, v20
	s_xor_b32 s18, exec_lo, s18
	s_cbranch_execz .LBB232_1315
; %bb.1304:
	s_mov_b32 s19, -1
	s_mov_b32 s16, exec_lo
                                        ; implicit-def: $vgpr8
	v_cmpx_eq_u16_e32 46, v20
	s_cbranch_execz .LBB232_1314
; %bb.1305:
	flat_load_b32 v8, v[4:5]
	s_mov_b32 s17, exec_lo
                                        ; implicit-def: $vgpr9
	s_wait_loadcnt_dscnt 0x0
	v_lshlrev_b32_e32 v8, 16, v8
	s_delay_alu instid0(VALU_DEP_1) | instskip(SKIP_1) | instid1(VALU_DEP_1)
	v_and_b32_e32 v10, 0x7fffffff, v8
	s_wait_xcnt 0x0
	v_cmpx_gt_u32_e32 0x47800000, v10
	s_xor_b32 s17, exec_lo, s17
	s_cbranch_execz .LBB232_1311
; %bb.1306:
	v_cmp_lt_u32_e64 s0, 0x387fffff, v10
                                        ; implicit-def: $vgpr9
	s_and_saveexec_b32 s19, s0
	s_delay_alu instid0(SALU_CYCLE_1)
	s_xor_b32 s0, exec_lo, s19
; %bb.1307:
	v_bfe_u32 v9, v8, 21, 1
	s_delay_alu instid0(VALU_DEP_1) | instskip(NEXT) | instid1(VALU_DEP_1)
	v_add3_u32 v9, v8, v9, 0x80fffff
	v_lshrrev_b32_e32 v9, 21, v9
; %bb.1308:
	s_and_not1_saveexec_b32 s0, s0
; %bb.1309:
	v_add_f32_e64 v9, 0x43000000, |v8|
; %bb.1310:
	s_or_b32 exec_lo, exec_lo, s0
                                        ; implicit-def: $vgpr10
.LBB232_1311:
	s_and_not1_saveexec_b32 s17, s17
; %bb.1312:
	v_mov_b32_e32 v9, 0x7f
	v_cmp_lt_u32_e64 s0, 0x7f800000, v10
	s_delay_alu instid0(VALU_DEP_1)
	v_cndmask_b32_e64 v9, 0x7c, v9, s0
; %bb.1313:
	s_or_b32 exec_lo, exec_lo, s17
	v_lshrrev_b32_e32 v8, 24, v8
	s_mov_b32 s17, exec_lo
	s_xor_b32 s19, exec_lo, -1
	s_delay_alu instid0(VALU_DEP_1)
	v_and_or_b32 v8, 0x80, v8, v9
.LBB232_1314:
	s_or_b32 exec_lo, exec_lo, s16
	s_delay_alu instid0(SALU_CYCLE_1)
	s_and_b32 s17, s17, exec_lo
	s_and_b32 s16, s19, exec_lo
                                        ; implicit-def: $vgpr20
.LBB232_1315:
	s_and_not1_saveexec_b32 s18, s18
	s_cbranch_execz .LBB232_1327
; %bb.1316:
	s_mov_b32 s20, -1
	s_mov_b32 s21, s17
	s_mov_b32 s19, exec_lo
                                        ; implicit-def: $vgpr8
	v_cmpx_eq_u16_e32 44, v20
	s_cbranch_execz .LBB232_1326
; %bb.1317:
	flat_load_u8 v8, v[4:5]
	s_mov_b32 s20, exec_lo
	s_wait_loadcnt_dscnt 0x0
	v_lshlrev_b32_e32 v9, 23, v8
	v_cmp_ne_u32_e64 s0, 0xff, v8
	s_delay_alu instid0(VALU_DEP_1) | instskip(SKIP_1) | instid1(VALU_DEP_1)
	v_cndmask_b32_e64 v9, 0x7f800001, v9, s0
	v_cmp_ne_u32_e64 s0, 0, v8
                                        ; implicit-def: $vgpr8
	v_cndmask_b32_e64 v9, 0x400000, v9, s0
	s_wait_xcnt 0x0
	s_delay_alu instid0(VALU_DEP_1)
	v_cmpx_gt_u32_e32 0x47800000, v9
	s_xor_b32 s20, exec_lo, s20
	s_cbranch_execz .LBB232_1323
; %bb.1318:
	v_cmp_lt_u32_e64 s0, 0x387fffff, v9
                                        ; implicit-def: $vgpr8
	s_and_saveexec_b32 s21, s0
	s_delay_alu instid0(SALU_CYCLE_1)
	s_xor_b32 s0, exec_lo, s21
; %bb.1319:
	v_bfe_u32 v8, v9, 21, 1
	s_delay_alu instid0(VALU_DEP_1) | instskip(NEXT) | instid1(VALU_DEP_1)
	v_add3_u32 v8, v9, v8, 0x80fffff
                                        ; implicit-def: $vgpr9
	v_lshrrev_b32_e32 v8, 21, v8
; %bb.1320:
	s_and_not1_saveexec_b32 s0, s0
; %bb.1321:
	v_add_f32_e32 v8, 0x43000000, v9
; %bb.1322:
	s_or_b32 exec_lo, exec_lo, s0
                                        ; implicit-def: $vgpr9
.LBB232_1323:
	s_and_not1_saveexec_b32 s20, s20
; %bb.1324:
	v_mov_b32_e32 v8, 0x7f
	v_cmp_lt_u32_e64 s0, 0x7f800000, v9
	s_delay_alu instid0(VALU_DEP_1)
	v_cndmask_b32_e64 v8, 0x7c, v8, s0
; %bb.1325:
	s_or_b32 exec_lo, exec_lo, s20
	s_delay_alu instid0(SALU_CYCLE_1)
	s_or_b32 s21, s17, exec_lo
	s_xor_b32 s20, exec_lo, -1
.LBB232_1326:
	s_or_b32 exec_lo, exec_lo, s19
	s_delay_alu instid0(SALU_CYCLE_1)
	s_and_not1_b32 s0, s17, exec_lo
	s_and_b32 s17, s21, exec_lo
	s_and_not1_b32 s16, s16, exec_lo
	s_and_b32 s19, s20, exec_lo
	s_or_b32 s17, s0, s17
	s_or_b32 s16, s16, s19
.LBB232_1327:
	s_or_b32 exec_lo, exec_lo, s18
	s_delay_alu instid0(SALU_CYCLE_1)
	s_and_b32 s18, s17, exec_lo
	s_and_b32 s17, s16, exec_lo
                                        ; implicit-def: $vgpr20
.LBB232_1328:
	s_and_not1_saveexec_b32 s13, s13
	s_cbranch_execz .LBB232_1340
; %bb.1329:
	s_mov_b32 s19, -1
	s_mov_b32 s20, s18
	s_mov_b32 s16, exec_lo
                                        ; implicit-def: $vgpr8
	v_cmpx_eq_u16_e32 29, v20
	s_cbranch_execz .LBB232_1339
; %bb.1330:
	flat_load_b64 v[8:9], v[4:5]
	s_mov_b32 s19, exec_lo
	s_wait_loadcnt_dscnt 0x0
	v_clz_i32_u32_e32 v10, v9
	s_delay_alu instid0(VALU_DEP_1) | instskip(NEXT) | instid1(VALU_DEP_1)
	v_min_u32_e32 v10, 32, v10
	v_lshlrev_b64_e32 v[8:9], v10, v[8:9]
	s_delay_alu instid0(VALU_DEP_1) | instskip(NEXT) | instid1(VALU_DEP_1)
	v_min_u32_e32 v8, 1, v8
	v_dual_sub_nc_u32 v9, 32, v10 :: v_dual_bitop2_b32 v8, v9, v8 bitop3:0x54
	s_delay_alu instid0(VALU_DEP_1) | instskip(NEXT) | instid1(VALU_DEP_1)
	v_cvt_f32_u32_e32 v8, v8
	v_ldexp_f32 v9, v8, v9
                                        ; implicit-def: $vgpr8
	s_wait_xcnt 0x0
	s_delay_alu instid0(VALU_DEP_1)
	v_cmpx_gt_u32_e32 0x47800000, v9
	s_xor_b32 s19, exec_lo, s19
	s_cbranch_execz .LBB232_1336
; %bb.1331:
	v_cmp_lt_u32_e64 s0, 0x387fffff, v9
                                        ; implicit-def: $vgpr8
	s_and_saveexec_b32 s20, s0
	s_delay_alu instid0(SALU_CYCLE_1)
	s_xor_b32 s0, exec_lo, s20
; %bb.1332:
	v_bfe_u32 v8, v9, 21, 1
	s_delay_alu instid0(VALU_DEP_1) | instskip(NEXT) | instid1(VALU_DEP_1)
	v_add3_u32 v8, v9, v8, 0x80fffff
                                        ; implicit-def: $vgpr9
	v_lshrrev_b32_e32 v8, 21, v8
; %bb.1333:
	s_and_not1_saveexec_b32 s0, s0
; %bb.1334:
	v_add_f32_e32 v8, 0x43000000, v9
; %bb.1335:
	s_or_b32 exec_lo, exec_lo, s0
                                        ; implicit-def: $vgpr9
.LBB232_1336:
	s_and_not1_saveexec_b32 s19, s19
; %bb.1337:
	v_mov_b32_e32 v8, 0x7f
	v_cmp_lt_u32_e64 s0, 0x7f800000, v9
	s_delay_alu instid0(VALU_DEP_1)
	v_cndmask_b32_e64 v8, 0x7c, v8, s0
; %bb.1338:
	s_or_b32 exec_lo, exec_lo, s19
	s_delay_alu instid0(SALU_CYCLE_1)
	s_or_b32 s20, s18, exec_lo
	s_xor_b32 s19, exec_lo, -1
.LBB232_1339:
	s_or_b32 exec_lo, exec_lo, s16
	s_delay_alu instid0(SALU_CYCLE_1)
	s_and_not1_b32 s0, s18, exec_lo
	s_and_b32 s16, s20, exec_lo
	s_and_not1_b32 s17, s17, exec_lo
	s_and_b32 s19, s19, exec_lo
	s_or_b32 s18, s0, s16
	s_or_b32 s17, s17, s19
.LBB232_1340:
	s_or_b32 exec_lo, exec_lo, s13
	s_delay_alu instid0(SALU_CYCLE_1)
	s_and_b32 s16, s18, exec_lo
	s_and_b32 s13, s17, exec_lo
                                        ; implicit-def: $vgpr20
.LBB232_1341:
	s_and_not1_saveexec_b32 s12, s12
	s_cbranch_execz .LBB232_1381
; %bb.1342:
	s_mov_b32 s17, exec_lo
                                        ; implicit-def: $vgpr8
	v_cmpx_lt_i16_e32 26, v20
	s_xor_b32 s17, exec_lo, s17
	s_cbranch_execz .LBB232_1364
; %bb.1343:
	s_mov_b32 s18, exec_lo
                                        ; implicit-def: $vgpr8
	v_cmpx_lt_i16_e32 27, v20
	s_xor_b32 s18, exec_lo, s18
	s_cbranch_execz .LBB232_1353
; %bb.1344:
	flat_load_b32 v8, v[4:5]
	s_mov_b32 s19, exec_lo
	s_wait_loadcnt_dscnt 0x0
	v_cvt_f32_u32_e32 v9, v8
                                        ; implicit-def: $vgpr8
	s_wait_xcnt 0x0
	s_delay_alu instid0(VALU_DEP_1)
	v_cmpx_gt_u32_e32 0x47800000, v9
	s_xor_b32 s19, exec_lo, s19
	s_cbranch_execz .LBB232_1350
; %bb.1345:
	v_cmp_lt_u32_e64 s0, 0x387fffff, v9
                                        ; implicit-def: $vgpr8
	s_and_saveexec_b32 s20, s0
	s_delay_alu instid0(SALU_CYCLE_1)
	s_xor_b32 s0, exec_lo, s20
; %bb.1346:
	v_bfe_u32 v8, v9, 21, 1
	s_delay_alu instid0(VALU_DEP_1) | instskip(NEXT) | instid1(VALU_DEP_1)
	v_add3_u32 v8, v9, v8, 0x80fffff
                                        ; implicit-def: $vgpr9
	v_lshrrev_b32_e32 v8, 21, v8
; %bb.1347:
	s_and_not1_saveexec_b32 s0, s0
; %bb.1348:
	v_add_f32_e32 v8, 0x43000000, v9
; %bb.1349:
	s_or_b32 exec_lo, exec_lo, s0
                                        ; implicit-def: $vgpr9
.LBB232_1350:
	s_and_not1_saveexec_b32 s19, s19
; %bb.1351:
	v_mov_b32_e32 v8, 0x7f
	v_cmp_lt_u32_e64 s0, 0x7f800000, v9
	s_delay_alu instid0(VALU_DEP_1)
	v_cndmask_b32_e64 v8, 0x7c, v8, s0
; %bb.1352:
	s_or_b32 exec_lo, exec_lo, s19
.LBB232_1353:
	s_and_not1_saveexec_b32 s18, s18
	s_cbranch_execz .LBB232_1363
; %bb.1354:
	flat_load_u16 v8, v[4:5]
	s_mov_b32 s19, exec_lo
	s_wait_loadcnt_dscnt 0x0
	v_cvt_f32_u32_e32 v9, v8
                                        ; implicit-def: $vgpr8
	s_wait_xcnt 0x0
	s_delay_alu instid0(VALU_DEP_1)
	v_cmpx_gt_u32_e32 0x47800000, v9
	s_xor_b32 s19, exec_lo, s19
	s_cbranch_execz .LBB232_1360
; %bb.1355:
	v_cmp_lt_u32_e64 s0, 0x387fffff, v9
                                        ; implicit-def: $vgpr8
	s_and_saveexec_b32 s20, s0
	s_delay_alu instid0(SALU_CYCLE_1)
	s_xor_b32 s0, exec_lo, s20
; %bb.1356:
	v_bfe_u32 v8, v9, 21, 1
	s_delay_alu instid0(VALU_DEP_1) | instskip(NEXT) | instid1(VALU_DEP_1)
	v_add3_u32 v8, v9, v8, 0x80fffff
                                        ; implicit-def: $vgpr9
	v_lshrrev_b32_e32 v8, 21, v8
; %bb.1357:
	s_and_not1_saveexec_b32 s0, s0
; %bb.1358:
	v_add_f32_e32 v8, 0x43000000, v9
; %bb.1359:
	s_or_b32 exec_lo, exec_lo, s0
                                        ; implicit-def: $vgpr9
.LBB232_1360:
	s_and_not1_saveexec_b32 s19, s19
; %bb.1361:
	v_mov_b32_e32 v8, 0x7f
	v_cmp_lt_u32_e64 s0, 0x7f800000, v9
	s_delay_alu instid0(VALU_DEP_1)
	v_cndmask_b32_e64 v8, 0x7c, v8, s0
; %bb.1362:
	s_or_b32 exec_lo, exec_lo, s19
.LBB232_1363:
	s_delay_alu instid0(SALU_CYCLE_1)
	s_or_b32 exec_lo, exec_lo, s18
.LBB232_1364:
	s_and_not1_saveexec_b32 s17, s17
	s_cbranch_execz .LBB232_1380
; %bb.1365:
	flat_load_u8 v9, v[4:5]
	s_mov_b32 s18, 0
	s_mov_b32 s19, exec_lo
	s_wait_loadcnt_dscnt 0x0
	v_cmpx_lt_i16_e32 0x7f, v9
	s_xor_b32 s19, exec_lo, s19
	s_cbranch_execz .LBB232_2595
; %bb.1366:
	s_mov_b32 s18, -1
	s_mov_b32 s20, exec_lo
	v_cmpx_eq_u16_e32 0x80, v9
; %bb.1367:
	s_xor_b32 s18, exec_lo, -1
; %bb.1368:
	s_or_b32 exec_lo, exec_lo, s20
	s_delay_alu instid0(SALU_CYCLE_1)
	s_and_b32 s18, s18, exec_lo
	s_or_saveexec_b32 s19, s19
	v_mov_b32_e32 v8, 0x7f800001
	s_xor_b32 exec_lo, exec_lo, s19
	s_cbranch_execnz .LBB232_2596
.LBB232_1369:
	s_or_b32 exec_lo, exec_lo, s19
	s_and_saveexec_b32 s19, s18
	s_cbranch_execz .LBB232_1371
.LBB232_1370:
	v_and_b32_e32 v8, 0xffff, v9
	s_delay_alu instid0(VALU_DEP_1) | instskip(SKIP_1) | instid1(VALU_DEP_2)
	v_dual_lshlrev_b32 v9, 24, v9 :: v_dual_bitop2_b32 v10, 7, v8 bitop3:0x40
	v_bfe_u32 v20, v8, 3, 4
	v_and_b32_e32 v9, 0x80000000, v9
	s_delay_alu instid0(VALU_DEP_3) | instskip(NEXT) | instid1(VALU_DEP_3)
	v_clz_i32_u32_e32 v12, v10
	v_cmp_eq_u32_e64 s0, 0, v20
	s_delay_alu instid0(VALU_DEP_2) | instskip(NEXT) | instid1(VALU_DEP_1)
	v_min_u32_e32 v12, 32, v12
	v_subrev_nc_u32_e32 v13, 28, v12
	v_sub_nc_u32_e32 v12, 29, v12
	s_delay_alu instid0(VALU_DEP_2) | instskip(NEXT) | instid1(VALU_DEP_2)
	v_lshlrev_b32_e32 v8, v13, v8
	v_cndmask_b32_e64 v12, v20, v12, s0
	s_delay_alu instid0(VALU_DEP_2) | instskip(NEXT) | instid1(VALU_DEP_1)
	v_and_b32_e32 v8, 7, v8
	v_cndmask_b32_e64 v8, v10, v8, s0
	s_delay_alu instid0(VALU_DEP_3) | instskip(NEXT) | instid1(VALU_DEP_2)
	v_lshl_add_u32 v10, v12, 23, 0x3b800000
	v_lshlrev_b32_e32 v8, 20, v8
	s_delay_alu instid0(VALU_DEP_1)
	v_or3_b32 v8, v9, v10, v8
.LBB232_1371:
	s_or_b32 exec_lo, exec_lo, s19
	s_delay_alu instid0(VALU_DEP_1) | instskip(SKIP_1) | instid1(VALU_DEP_1)
	v_and_b32_e32 v10, 0x7fffffff, v8
	s_mov_b32 s18, exec_lo
                                        ; implicit-def: $vgpr9
	v_cmpx_gt_u32_e32 0x47800000, v10
	s_xor_b32 s18, exec_lo, s18
	s_cbranch_execz .LBB232_1377
; %bb.1372:
	v_cmp_lt_u32_e64 s0, 0x387fffff, v10
                                        ; implicit-def: $vgpr9
	s_and_saveexec_b32 s19, s0
	s_delay_alu instid0(SALU_CYCLE_1)
	s_xor_b32 s0, exec_lo, s19
; %bb.1373:
	v_bfe_u32 v9, v8, 21, 1
	s_delay_alu instid0(VALU_DEP_1) | instskip(NEXT) | instid1(VALU_DEP_1)
	v_add3_u32 v9, v8, v9, 0x80fffff
	v_lshrrev_b32_e32 v9, 21, v9
; %bb.1374:
	s_and_not1_saveexec_b32 s0, s0
; %bb.1375:
	v_add_f32_e64 v9, 0x43000000, |v8|
; %bb.1376:
	s_or_b32 exec_lo, exec_lo, s0
                                        ; implicit-def: $vgpr10
.LBB232_1377:
	s_and_not1_saveexec_b32 s18, s18
; %bb.1378:
	v_mov_b32_e32 v9, 0x7f
	v_cmp_lt_u32_e64 s0, 0x7f800000, v10
	s_delay_alu instid0(VALU_DEP_1)
	v_cndmask_b32_e64 v9, 0x7c, v9, s0
; %bb.1379:
	s_or_b32 exec_lo, exec_lo, s18
	v_lshrrev_b32_e32 v8, 24, v8
	s_delay_alu instid0(VALU_DEP_1)
	v_and_or_b32 v8, 0x80, v8, v9
.LBB232_1380:
	s_or_b32 exec_lo, exec_lo, s17
	s_delay_alu instid0(SALU_CYCLE_1)
	s_or_b32 s16, s16, exec_lo
.LBB232_1381:
	s_or_b32 exec_lo, exec_lo, s12
	s_delay_alu instid0(SALU_CYCLE_1)
	s_and_b32 s12, s16, exec_lo
	s_and_b32 s13, s13, exec_lo
                                        ; implicit-def: $vgpr20
	s_and_not1_saveexec_b32 s11, s11
	s_cbranch_execnz .LBB232_2431
.LBB232_1382:
	s_or_b32 exec_lo, exec_lo, s11
	s_mov_b32 s11, s9
	s_and_saveexec_b32 s0, s13
	s_cbranch_execnz .LBB232_2480
.LBB232_1383:
	s_or_b32 exec_lo, exec_lo, s0
	s_and_saveexec_b32 s13, s2
	s_cbranch_execz .LBB232_1393
.LBB232_1384:
	flat_load_u8 v4, v[4:5]
	s_mov_b32 s2, exec_lo
                                        ; implicit-def: $vgpr8
	s_wait_loadcnt_dscnt 0x0
	v_cmp_ne_u16_e64 s0, 0, v4
	s_wait_xcnt 0x0
	s_delay_alu instid0(VALU_DEP_1) | instskip(NEXT) | instid1(VALU_DEP_1)
	v_cndmask_b32_e64 v4, 0, 1.0, s0
	v_cmpx_gt_u32_e32 0x47800000, v4
	s_xor_b32 s2, exec_lo, s2
	s_cbranch_execz .LBB232_1390
; %bb.1385:
	v_cmp_lt_u32_e64 s0, 0x387fffff, v4
                                        ; implicit-def: $vgpr8
	s_and_saveexec_b32 s16, s0
	s_delay_alu instid0(SALU_CYCLE_1)
	s_xor_b32 s0, exec_lo, s16
; %bb.1386:
	v_bfe_u32 v5, v4, 21, 1
	s_delay_alu instid0(VALU_DEP_1) | instskip(NEXT) | instid1(VALU_DEP_1)
	v_add3_u32 v4, v4, v5, 0x80fffff
	v_lshrrev_b32_e32 v8, 21, v4
                                        ; implicit-def: $vgpr4
; %bb.1387:
	s_and_not1_saveexec_b32 s0, s0
; %bb.1388:
	v_add_f32_e32 v8, 0x43000000, v4
; %bb.1389:
	s_or_b32 exec_lo, exec_lo, s0
                                        ; implicit-def: $vgpr4
.LBB232_1390:
	s_and_not1_saveexec_b32 s2, s2
; %bb.1391:
	v_mov_b32_e32 v5, 0x7f
	v_cmp_lt_u32_e64 s0, 0x7f800000, v4
	s_delay_alu instid0(VALU_DEP_1)
	v_cndmask_b32_e64 v8, 0x7c, v5, s0
; %bb.1392:
	s_or_b32 exec_lo, exec_lo, s2
	s_delay_alu instid0(SALU_CYCLE_1)
	s_or_b32 s12, s12, exec_lo
.LBB232_1393:
	s_or_b32 exec_lo, exec_lo, s13
	s_delay_alu instid0(SALU_CYCLE_1) | instskip(SKIP_1) | instid1(SALU_CYCLE_1)
	s_and_not1_b32 s0, s9, exec_lo
	s_and_b32 s2, s11, exec_lo
                                        ; implicit-def: $vgpr20
                                        ; implicit-def: $vgpr4_vgpr5
	s_or_b32 s11, s0, s2
	s_and_b32 s2, s12, exec_lo
.LBB232_1394:
	s_and_not1_saveexec_b32 s1, s1
	s_cbranch_execz .LBB232_1524
; %bb.1395:
	s_mov_b32 s12, exec_lo
                                        ; implicit-def: $vgpr8
	v_cmpx_lt_i16_e32 4, v20
	s_xor_b32 s12, exec_lo, s12
	s_cbranch_execz .LBB232_1465
; %bb.1396:
	s_mov_b32 s13, exec_lo
                                        ; implicit-def: $vgpr8
	v_cmpx_lt_i16_e32 7, v20
	s_xor_b32 s13, exec_lo, s13
	;; [unrolled: 6-line block ×4, first 2 shown]
	s_cbranch_execz .LBB232_1408
; %bb.1399:
	flat_load_b64 v[4:5], v[4:5]
	s_mov_b32 s18, exec_lo
	s_wait_loadcnt_dscnt 0x0
	v_cvt_f32_f64_e32 v4, v[4:5]
                                        ; implicit-def: $vgpr5
	s_delay_alu instid0(VALU_DEP_1) | instskip(NEXT) | instid1(VALU_DEP_1)
	v_and_b32_e32 v8, 0x7fffffff, v4
	v_cmpx_gt_u32_e32 0x47800000, v8
	s_xor_b32 s18, exec_lo, s18
	s_cbranch_execz .LBB232_1405
; %bb.1400:
	v_cmp_lt_u32_e64 s0, 0x387fffff, v8
                                        ; implicit-def: $vgpr5
	s_and_saveexec_b32 s19, s0
	s_delay_alu instid0(SALU_CYCLE_1)
	s_xor_b32 s0, exec_lo, s19
; %bb.1401:
	v_bfe_u32 v5, v4, 21, 1
	s_delay_alu instid0(VALU_DEP_1) | instskip(NEXT) | instid1(VALU_DEP_1)
	v_add3_u32 v5, v4, v5, 0x80fffff
	v_lshrrev_b32_e32 v5, 21, v5
; %bb.1402:
	s_and_not1_saveexec_b32 s0, s0
; %bb.1403:
	v_add_f32_e64 v5, 0x43000000, |v4|
; %bb.1404:
	s_or_b32 exec_lo, exec_lo, s0
                                        ; implicit-def: $vgpr8
.LBB232_1405:
	s_and_not1_saveexec_b32 s18, s18
; %bb.1406:
	v_mov_b32_e32 v5, 0x7f
	v_cmp_lt_u32_e64 s0, 0x7f800000, v8
	s_delay_alu instid0(VALU_DEP_1)
	v_cndmask_b32_e64 v5, 0x7c, v5, s0
; %bb.1407:
	s_or_b32 exec_lo, exec_lo, s18
	v_lshrrev_b32_e32 v4, 24, v4
	s_delay_alu instid0(VALU_DEP_1)
	v_and_or_b32 v8, 0x80, v4, v5
                                        ; implicit-def: $vgpr4_vgpr5
.LBB232_1408:
	s_and_not1_saveexec_b32 s17, s17
	s_cbranch_execz .LBB232_1418
; %bb.1409:
	flat_load_b32 v4, v[4:5]
	s_mov_b32 s18, exec_lo
                                        ; implicit-def: $vgpr5
	s_wait_loadcnt_dscnt 0x0
	v_and_b32_e32 v8, 0x7fffffff, v4
	s_wait_xcnt 0x0
	s_delay_alu instid0(VALU_DEP_1)
	v_cmpx_gt_u32_e32 0x47800000, v8
	s_xor_b32 s18, exec_lo, s18
	s_cbranch_execz .LBB232_1415
; %bb.1410:
	v_cmp_lt_u32_e64 s0, 0x387fffff, v8
                                        ; implicit-def: $vgpr5
	s_and_saveexec_b32 s19, s0
	s_delay_alu instid0(SALU_CYCLE_1)
	s_xor_b32 s0, exec_lo, s19
; %bb.1411:
	v_bfe_u32 v5, v4, 21, 1
	s_delay_alu instid0(VALU_DEP_1) | instskip(NEXT) | instid1(VALU_DEP_1)
	v_add3_u32 v5, v4, v5, 0x80fffff
	v_lshrrev_b32_e32 v5, 21, v5
; %bb.1412:
	s_and_not1_saveexec_b32 s0, s0
; %bb.1413:
	v_add_f32_e64 v5, 0x43000000, |v4|
; %bb.1414:
	s_or_b32 exec_lo, exec_lo, s0
                                        ; implicit-def: $vgpr8
.LBB232_1415:
	s_and_not1_saveexec_b32 s18, s18
; %bb.1416:
	v_mov_b32_e32 v5, 0x7f
	v_cmp_lt_u32_e64 s0, 0x7f800000, v8
	s_delay_alu instid0(VALU_DEP_1)
	v_cndmask_b32_e64 v5, 0x7c, v5, s0
; %bb.1417:
	s_or_b32 exec_lo, exec_lo, s18
	v_lshrrev_b32_e32 v4, 24, v4
	s_delay_alu instid0(VALU_DEP_1)
	v_and_or_b32 v8, 0x80, v4, v5
.LBB232_1418:
	s_or_b32 exec_lo, exec_lo, s17
                                        ; implicit-def: $vgpr4_vgpr5
.LBB232_1419:
	s_and_not1_saveexec_b32 s16, s16
	s_cbranch_execz .LBB232_1429
; %bb.1420:
	flat_load_b32 v4, v[4:5]
	s_mov_b32 s17, exec_lo
                                        ; implicit-def: $vgpr5
	s_wait_loadcnt_dscnt 0x0
	v_cvt_f32_f16_e32 v4, v4
	s_delay_alu instid0(VALU_DEP_1) | instskip(NEXT) | instid1(VALU_DEP_1)
	v_and_b32_e32 v8, 0x7fffffff, v4
	v_cmpx_gt_u32_e32 0x47800000, v8
	s_xor_b32 s17, exec_lo, s17
	s_cbranch_execz .LBB232_1426
; %bb.1421:
	v_cmp_lt_u32_e64 s0, 0x387fffff, v8
                                        ; implicit-def: $vgpr5
	s_and_saveexec_b32 s18, s0
	s_delay_alu instid0(SALU_CYCLE_1)
	s_xor_b32 s0, exec_lo, s18
; %bb.1422:
	v_bfe_u32 v5, v4, 21, 1
	s_delay_alu instid0(VALU_DEP_1) | instskip(NEXT) | instid1(VALU_DEP_1)
	v_add3_u32 v5, v4, v5, 0x80fffff
	v_lshrrev_b32_e32 v5, 21, v5
; %bb.1423:
	s_and_not1_saveexec_b32 s0, s0
; %bb.1424:
	v_add_f32_e64 v5, 0x43000000, |v4|
; %bb.1425:
	s_or_b32 exec_lo, exec_lo, s0
                                        ; implicit-def: $vgpr8
.LBB232_1426:
	s_and_not1_saveexec_b32 s17, s17
; %bb.1427:
	v_mov_b32_e32 v5, 0x7f
	v_cmp_lt_u32_e64 s0, 0x7f800000, v8
	s_delay_alu instid0(VALU_DEP_1)
	v_cndmask_b32_e64 v5, 0x7c, v5, s0
; %bb.1428:
	s_or_b32 exec_lo, exec_lo, s17
	v_lshrrev_b32_e32 v4, 24, v4
	s_delay_alu instid0(VALU_DEP_1)
	v_and_or_b32 v8, 0x80, v4, v5
.LBB232_1429:
	s_or_b32 exec_lo, exec_lo, s16
                                        ; implicit-def: $vgpr20
                                        ; implicit-def: $vgpr4_vgpr5
.LBB232_1430:
	s_and_not1_saveexec_b32 s13, s13
	s_cbranch_execz .LBB232_1464
; %bb.1431:
	s_mov_b32 s16, exec_lo
                                        ; implicit-def: $vgpr8
	v_cmpx_lt_i16_e32 5, v20
	s_xor_b32 s16, exec_lo, s16
	s_cbranch_execz .LBB232_1453
; %bb.1432:
	s_mov_b32 s17, exec_lo
                                        ; implicit-def: $vgpr8
	v_cmpx_lt_i16_e32 6, v20
	s_xor_b32 s17, exec_lo, s17
	s_cbranch_execz .LBB232_1442
; %bb.1433:
	flat_load_b64 v[4:5], v[4:5]
	s_mov_b32 s18, exec_lo
	s_wait_loadcnt_dscnt 0x0
	v_cvt_f32_f64_e32 v4, v[4:5]
                                        ; implicit-def: $vgpr5
	s_delay_alu instid0(VALU_DEP_1) | instskip(NEXT) | instid1(VALU_DEP_1)
	v_and_b32_e32 v8, 0x7fffffff, v4
	v_cmpx_gt_u32_e32 0x47800000, v8
	s_xor_b32 s18, exec_lo, s18
	s_cbranch_execz .LBB232_1439
; %bb.1434:
	v_cmp_lt_u32_e64 s0, 0x387fffff, v8
                                        ; implicit-def: $vgpr5
	s_and_saveexec_b32 s19, s0
	s_delay_alu instid0(SALU_CYCLE_1)
	s_xor_b32 s0, exec_lo, s19
; %bb.1435:
	v_bfe_u32 v5, v4, 21, 1
	s_delay_alu instid0(VALU_DEP_1) | instskip(NEXT) | instid1(VALU_DEP_1)
	v_add3_u32 v5, v4, v5, 0x80fffff
	v_lshrrev_b32_e32 v5, 21, v5
; %bb.1436:
	s_and_not1_saveexec_b32 s0, s0
; %bb.1437:
	v_add_f32_e64 v5, 0x43000000, |v4|
; %bb.1438:
	s_or_b32 exec_lo, exec_lo, s0
                                        ; implicit-def: $vgpr8
.LBB232_1439:
	s_and_not1_saveexec_b32 s18, s18
; %bb.1440:
	v_mov_b32_e32 v5, 0x7f
	v_cmp_lt_u32_e64 s0, 0x7f800000, v8
	s_delay_alu instid0(VALU_DEP_1)
	v_cndmask_b32_e64 v5, 0x7c, v5, s0
; %bb.1441:
	s_or_b32 exec_lo, exec_lo, s18
	v_lshrrev_b32_e32 v4, 24, v4
	s_delay_alu instid0(VALU_DEP_1)
	v_and_or_b32 v8, 0x80, v4, v5
                                        ; implicit-def: $vgpr4_vgpr5
.LBB232_1442:
	s_and_not1_saveexec_b32 s17, s17
	s_cbranch_execz .LBB232_1452
; %bb.1443:
	flat_load_b32 v4, v[4:5]
	s_mov_b32 s18, exec_lo
                                        ; implicit-def: $vgpr5
	s_wait_loadcnt_dscnt 0x0
	v_and_b32_e32 v8, 0x7fffffff, v4
	s_wait_xcnt 0x0
	s_delay_alu instid0(VALU_DEP_1)
	v_cmpx_gt_u32_e32 0x47800000, v8
	s_xor_b32 s18, exec_lo, s18
	s_cbranch_execz .LBB232_1449
; %bb.1444:
	v_cmp_lt_u32_e64 s0, 0x387fffff, v8
                                        ; implicit-def: $vgpr5
	s_and_saveexec_b32 s19, s0
	s_delay_alu instid0(SALU_CYCLE_1)
	s_xor_b32 s0, exec_lo, s19
; %bb.1445:
	v_bfe_u32 v5, v4, 21, 1
	s_delay_alu instid0(VALU_DEP_1) | instskip(NEXT) | instid1(VALU_DEP_1)
	v_add3_u32 v5, v4, v5, 0x80fffff
	v_lshrrev_b32_e32 v5, 21, v5
; %bb.1446:
	s_and_not1_saveexec_b32 s0, s0
; %bb.1447:
	v_add_f32_e64 v5, 0x43000000, |v4|
; %bb.1448:
	s_or_b32 exec_lo, exec_lo, s0
                                        ; implicit-def: $vgpr8
.LBB232_1449:
	s_and_not1_saveexec_b32 s18, s18
; %bb.1450:
	v_mov_b32_e32 v5, 0x7f
	v_cmp_lt_u32_e64 s0, 0x7f800000, v8
	s_delay_alu instid0(VALU_DEP_1)
	v_cndmask_b32_e64 v5, 0x7c, v5, s0
; %bb.1451:
	s_or_b32 exec_lo, exec_lo, s18
	v_lshrrev_b32_e32 v4, 24, v4
	s_delay_alu instid0(VALU_DEP_1)
	v_and_or_b32 v8, 0x80, v4, v5
.LBB232_1452:
	s_or_b32 exec_lo, exec_lo, s17
                                        ; implicit-def: $vgpr4_vgpr5
.LBB232_1453:
	s_and_not1_saveexec_b32 s16, s16
	s_cbranch_execz .LBB232_1463
; %bb.1454:
	flat_load_u16 v4, v[4:5]
	s_mov_b32 s17, exec_lo
                                        ; implicit-def: $vgpr5
	s_wait_loadcnt_dscnt 0x0
	v_cvt_f32_f16_e32 v4, v4
	s_delay_alu instid0(VALU_DEP_1) | instskip(NEXT) | instid1(VALU_DEP_1)
	v_and_b32_e32 v8, 0x7fffffff, v4
	v_cmpx_gt_u32_e32 0x47800000, v8
	s_xor_b32 s17, exec_lo, s17
	s_cbranch_execz .LBB232_1460
; %bb.1455:
	v_cmp_lt_u32_e64 s0, 0x387fffff, v8
                                        ; implicit-def: $vgpr5
	s_and_saveexec_b32 s18, s0
	s_delay_alu instid0(SALU_CYCLE_1)
	s_xor_b32 s0, exec_lo, s18
; %bb.1456:
	v_bfe_u32 v5, v4, 21, 1
	s_delay_alu instid0(VALU_DEP_1) | instskip(NEXT) | instid1(VALU_DEP_1)
	v_add3_u32 v5, v4, v5, 0x80fffff
	v_lshrrev_b32_e32 v5, 21, v5
; %bb.1457:
	s_and_not1_saveexec_b32 s0, s0
; %bb.1458:
	v_add_f32_e64 v5, 0x43000000, |v4|
; %bb.1459:
	s_or_b32 exec_lo, exec_lo, s0
                                        ; implicit-def: $vgpr8
.LBB232_1460:
	s_and_not1_saveexec_b32 s17, s17
; %bb.1461:
	v_mov_b32_e32 v5, 0x7f
	v_cmp_lt_u32_e64 s0, 0x7f800000, v8
	s_delay_alu instid0(VALU_DEP_1)
	v_cndmask_b32_e64 v5, 0x7c, v5, s0
; %bb.1462:
	s_or_b32 exec_lo, exec_lo, s17
	v_lshrrev_b32_e32 v4, 24, v4
	s_delay_alu instid0(VALU_DEP_1)
	v_and_or_b32 v8, 0x80, v4, v5
.LBB232_1463:
	s_or_b32 exec_lo, exec_lo, s16
.LBB232_1464:
	s_delay_alu instid0(SALU_CYCLE_1)
	s_or_b32 exec_lo, exec_lo, s13
                                        ; implicit-def: $vgpr20
                                        ; implicit-def: $vgpr4_vgpr5
.LBB232_1465:
	s_and_not1_saveexec_b32 s12, s12
	s_cbranch_execz .LBB232_1523
; %bb.1466:
	s_mov_b32 s13, exec_lo
                                        ; implicit-def: $vgpr8
	v_cmpx_lt_i16_e32 1, v20
	s_xor_b32 s13, exec_lo, s13
	s_cbranch_execz .LBB232_1500
; %bb.1467:
	s_mov_b32 s16, exec_lo
                                        ; implicit-def: $vgpr8
	v_cmpx_lt_i16_e32 2, v20
	s_xor_b32 s16, exec_lo, s16
	;; [unrolled: 6-line block ×3, first 2 shown]
	s_cbranch_execz .LBB232_1478
; %bb.1469:
	flat_load_b64 v[4:5], v[4:5]
	s_mov_b32 s18, exec_lo
	s_wait_loadcnt_dscnt 0x0
	v_xor_b32_e32 v8, v4, v5
	v_cls_i32_e32 v9, v5
	s_delay_alu instid0(VALU_DEP_2) | instskip(NEXT) | instid1(VALU_DEP_1)
	v_ashrrev_i32_e32 v8, 31, v8
	v_add_nc_u32_e32 v8, 32, v8
	s_delay_alu instid0(VALU_DEP_1) | instskip(SKIP_1) | instid1(VALU_DEP_1)
	v_add_min_u32_e64 v8, v9, -1, v8
	s_wait_xcnt 0x0
	v_lshlrev_b64_e32 v[4:5], v8, v[4:5]
	s_delay_alu instid0(VALU_DEP_1) | instskip(NEXT) | instid1(VALU_DEP_1)
	v_min_u32_e32 v4, 1, v4
	v_or_b32_e32 v4, v5, v4
	v_sub_nc_u32_e32 v5, 32, v8
	s_delay_alu instid0(VALU_DEP_2) | instskip(NEXT) | instid1(VALU_DEP_1)
	v_cvt_f32_i32_e32 v4, v4
	v_ldexp_f32 v4, v4, v5
                                        ; implicit-def: $vgpr5
	s_delay_alu instid0(VALU_DEP_1) | instskip(NEXT) | instid1(VALU_DEP_1)
	v_and_b32_e32 v8, 0x7fffffff, v4
	v_cmpx_gt_u32_e32 0x47800000, v8
	s_xor_b32 s18, exec_lo, s18
	s_cbranch_execz .LBB232_1475
; %bb.1470:
	v_cmp_lt_u32_e64 s0, 0x387fffff, v8
                                        ; implicit-def: $vgpr5
	s_and_saveexec_b32 s19, s0
	s_delay_alu instid0(SALU_CYCLE_1)
	s_xor_b32 s0, exec_lo, s19
; %bb.1471:
	v_bfe_u32 v5, v4, 21, 1
	s_delay_alu instid0(VALU_DEP_1) | instskip(NEXT) | instid1(VALU_DEP_1)
	v_add3_u32 v5, v4, v5, 0x80fffff
	v_lshrrev_b32_e32 v5, 21, v5
; %bb.1472:
	s_and_not1_saveexec_b32 s0, s0
; %bb.1473:
	v_add_f32_e64 v5, 0x43000000, |v4|
; %bb.1474:
	s_or_b32 exec_lo, exec_lo, s0
                                        ; implicit-def: $vgpr8
.LBB232_1475:
	s_and_not1_saveexec_b32 s18, s18
; %bb.1476:
	v_mov_b32_e32 v5, 0x7f
	v_cmp_lt_u32_e64 s0, 0x7f800000, v8
	s_delay_alu instid0(VALU_DEP_1)
	v_cndmask_b32_e64 v5, 0x7c, v5, s0
; %bb.1477:
	s_or_b32 exec_lo, exec_lo, s18
	v_lshrrev_b32_e32 v4, 24, v4
	s_delay_alu instid0(VALU_DEP_1)
	v_and_or_b32 v8, 0x80, v4, v5
                                        ; implicit-def: $vgpr4_vgpr5
.LBB232_1478:
	s_and_not1_saveexec_b32 s17, s17
	s_cbranch_execz .LBB232_1488
; %bb.1479:
	flat_load_b32 v4, v[4:5]
	s_mov_b32 s18, exec_lo
                                        ; implicit-def: $vgpr5
	s_wait_loadcnt_dscnt 0x0
	v_cvt_f32_i32_e32 v4, v4
	s_delay_alu instid0(VALU_DEP_1) | instskip(NEXT) | instid1(VALU_DEP_1)
	v_and_b32_e32 v8, 0x7fffffff, v4
	v_cmpx_gt_u32_e32 0x47800000, v8
	s_xor_b32 s18, exec_lo, s18
	s_cbranch_execz .LBB232_1485
; %bb.1480:
	v_cmp_lt_u32_e64 s0, 0x387fffff, v8
                                        ; implicit-def: $vgpr5
	s_and_saveexec_b32 s19, s0
	s_delay_alu instid0(SALU_CYCLE_1)
	s_xor_b32 s0, exec_lo, s19
; %bb.1481:
	v_bfe_u32 v5, v4, 21, 1
	s_delay_alu instid0(VALU_DEP_1) | instskip(NEXT) | instid1(VALU_DEP_1)
	v_add3_u32 v5, v4, v5, 0x80fffff
	v_lshrrev_b32_e32 v5, 21, v5
; %bb.1482:
	s_and_not1_saveexec_b32 s0, s0
; %bb.1483:
	v_add_f32_e64 v5, 0x43000000, |v4|
; %bb.1484:
	s_or_b32 exec_lo, exec_lo, s0
                                        ; implicit-def: $vgpr8
.LBB232_1485:
	s_and_not1_saveexec_b32 s18, s18
; %bb.1486:
	v_mov_b32_e32 v5, 0x7f
	v_cmp_lt_u32_e64 s0, 0x7f800000, v8
	s_delay_alu instid0(VALU_DEP_1)
	v_cndmask_b32_e64 v5, 0x7c, v5, s0
; %bb.1487:
	s_or_b32 exec_lo, exec_lo, s18
	v_lshrrev_b32_e32 v4, 24, v4
	s_delay_alu instid0(VALU_DEP_1)
	v_and_or_b32 v8, 0x80, v4, v5
.LBB232_1488:
	s_or_b32 exec_lo, exec_lo, s17
                                        ; implicit-def: $vgpr4_vgpr5
.LBB232_1489:
	s_and_not1_saveexec_b32 s16, s16
	s_cbranch_execz .LBB232_1499
; %bb.1490:
	flat_load_i16 v4, v[4:5]
	s_mov_b32 s17, exec_lo
                                        ; implicit-def: $vgpr5
	s_wait_loadcnt_dscnt 0x0
	v_cvt_f32_i32_e32 v4, v4
	s_delay_alu instid0(VALU_DEP_1) | instskip(NEXT) | instid1(VALU_DEP_1)
	v_and_b32_e32 v8, 0x7fffffff, v4
	v_cmpx_gt_u32_e32 0x47800000, v8
	s_xor_b32 s17, exec_lo, s17
	s_cbranch_execz .LBB232_1496
; %bb.1491:
	v_cmp_lt_u32_e64 s0, 0x387fffff, v8
                                        ; implicit-def: $vgpr5
	s_and_saveexec_b32 s18, s0
	s_delay_alu instid0(SALU_CYCLE_1)
	s_xor_b32 s0, exec_lo, s18
; %bb.1492:
	v_bfe_u32 v5, v4, 21, 1
	s_delay_alu instid0(VALU_DEP_1) | instskip(NEXT) | instid1(VALU_DEP_1)
	v_add3_u32 v5, v4, v5, 0x80fffff
	v_lshrrev_b32_e32 v5, 21, v5
; %bb.1493:
	s_and_not1_saveexec_b32 s0, s0
; %bb.1494:
	v_add_f32_e64 v5, 0x43000000, |v4|
; %bb.1495:
	s_or_b32 exec_lo, exec_lo, s0
                                        ; implicit-def: $vgpr8
.LBB232_1496:
	s_and_not1_saveexec_b32 s17, s17
; %bb.1497:
	v_mov_b32_e32 v5, 0x7f
	v_cmp_lt_u32_e64 s0, 0x7f800000, v8
	s_delay_alu instid0(VALU_DEP_1)
	v_cndmask_b32_e64 v5, 0x7c, v5, s0
; %bb.1498:
	s_or_b32 exec_lo, exec_lo, s17
	v_lshrrev_b32_e32 v4, 24, v4
	s_delay_alu instid0(VALU_DEP_1)
	v_and_or_b32 v8, 0x80, v4, v5
.LBB232_1499:
	s_or_b32 exec_lo, exec_lo, s16
                                        ; implicit-def: $vgpr20
                                        ; implicit-def: $vgpr4_vgpr5
.LBB232_1500:
	s_and_not1_saveexec_b32 s13, s13
	s_cbranch_execz .LBB232_1522
; %bb.1501:
	s_mov_b32 s16, exec_lo
                                        ; implicit-def: $vgpr8
	v_cmpx_lt_i16_e32 0, v20
	s_xor_b32 s16, exec_lo, s16
	s_cbranch_execz .LBB232_1511
; %bb.1502:
	flat_load_i8 v4, v[4:5]
	s_mov_b32 s17, exec_lo
                                        ; implicit-def: $vgpr5
	s_wait_loadcnt_dscnt 0x0
	v_cvt_f32_i32_e32 v4, v4
	s_delay_alu instid0(VALU_DEP_1) | instskip(NEXT) | instid1(VALU_DEP_1)
	v_and_b32_e32 v8, 0x7fffffff, v4
	v_cmpx_gt_u32_e32 0x47800000, v8
	s_xor_b32 s17, exec_lo, s17
	s_cbranch_execz .LBB232_1508
; %bb.1503:
	v_cmp_lt_u32_e64 s0, 0x387fffff, v8
                                        ; implicit-def: $vgpr5
	s_and_saveexec_b32 s18, s0
	s_delay_alu instid0(SALU_CYCLE_1)
	s_xor_b32 s0, exec_lo, s18
; %bb.1504:
	v_bfe_u32 v5, v4, 21, 1
	s_delay_alu instid0(VALU_DEP_1) | instskip(NEXT) | instid1(VALU_DEP_1)
	v_add3_u32 v5, v4, v5, 0x80fffff
	v_lshrrev_b32_e32 v5, 21, v5
; %bb.1505:
	s_and_not1_saveexec_b32 s0, s0
; %bb.1506:
	v_add_f32_e64 v5, 0x43000000, |v4|
; %bb.1507:
	s_or_b32 exec_lo, exec_lo, s0
                                        ; implicit-def: $vgpr8
.LBB232_1508:
	s_and_not1_saveexec_b32 s17, s17
; %bb.1509:
	v_mov_b32_e32 v5, 0x7f
	v_cmp_lt_u32_e64 s0, 0x7f800000, v8
	s_delay_alu instid0(VALU_DEP_1)
	v_cndmask_b32_e64 v5, 0x7c, v5, s0
; %bb.1510:
	s_or_b32 exec_lo, exec_lo, s17
	v_lshrrev_b32_e32 v4, 24, v4
	s_delay_alu instid0(VALU_DEP_1)
	v_and_or_b32 v8, 0x80, v4, v5
                                        ; implicit-def: $vgpr4_vgpr5
.LBB232_1511:
	s_and_not1_saveexec_b32 s16, s16
	s_cbranch_execz .LBB232_1521
; %bb.1512:
	flat_load_u8 v4, v[4:5]
	s_mov_b32 s17, exec_lo
                                        ; implicit-def: $vgpr8
	s_wait_loadcnt_dscnt 0x0
	v_cvt_f32_ubyte0_e32 v4, v4
	s_delay_alu instid0(VALU_DEP_1)
	v_cmpx_gt_u32_e32 0x47800000, v4
	s_xor_b32 s17, exec_lo, s17
	s_cbranch_execz .LBB232_1518
; %bb.1513:
	v_cmp_lt_u32_e64 s0, 0x387fffff, v4
                                        ; implicit-def: $vgpr8
	s_and_saveexec_b32 s18, s0
	s_delay_alu instid0(SALU_CYCLE_1)
	s_xor_b32 s0, exec_lo, s18
; %bb.1514:
	v_bfe_u32 v5, v4, 21, 1
	s_delay_alu instid0(VALU_DEP_1) | instskip(NEXT) | instid1(VALU_DEP_1)
	v_add3_u32 v4, v4, v5, 0x80fffff
	v_lshrrev_b32_e32 v8, 21, v4
                                        ; implicit-def: $vgpr4
; %bb.1515:
	s_and_not1_saveexec_b32 s0, s0
; %bb.1516:
	v_add_f32_e32 v8, 0x43000000, v4
; %bb.1517:
	s_or_b32 exec_lo, exec_lo, s0
                                        ; implicit-def: $vgpr4
.LBB232_1518:
	s_and_not1_saveexec_b32 s17, s17
; %bb.1519:
	v_mov_b32_e32 v5, 0x7f
	v_cmp_lt_u32_e64 s0, 0x7f800000, v4
	s_delay_alu instid0(VALU_DEP_1)
	v_cndmask_b32_e64 v8, 0x7c, v5, s0
; %bb.1520:
	s_or_b32 exec_lo, exec_lo, s17
.LBB232_1521:
	s_delay_alu instid0(SALU_CYCLE_1)
	s_or_b32 exec_lo, exec_lo, s16
.LBB232_1522:
	s_delay_alu instid0(SALU_CYCLE_1)
	s_or_b32 exec_lo, exec_lo, s13
.LBB232_1523:
	s_delay_alu instid0(SALU_CYCLE_1) | instskip(NEXT) | instid1(SALU_CYCLE_1)
	s_or_b32 exec_lo, exec_lo, s12
	s_or_b32 s2, s2, exec_lo
.LBB232_1524:
	s_or_b32 exec_lo, exec_lo, s1
	s_mov_b32 s0, 0
	s_mov_b32 s16, 0
                                        ; implicit-def: $sgpr1
                                        ; implicit-def: $vgpr12_vgpr13
                                        ; implicit-def: $vgpr9
	s_and_saveexec_b32 s12, s2
	s_cbranch_execz .LBB232_2047
; %bb.1525:
	v_add_nc_u32_e32 v4, v6, v21
	s_mov_b32 s2, 0
	s_mov_b32 s13, s11
	s_mov_b32 s1, exec_lo
                                        ; implicit-def: $vgpr6
	s_delay_alu instid0(VALU_DEP_1) | instskip(NEXT) | instid1(VALU_DEP_1)
	v_ashrrev_i32_e32 v5, 31, v4
	v_add_nc_u64_e32 v[2:3], v[2:3], v[4:5]
	v_cmpx_lt_i16_e32 10, v19
	s_xor_b32 s1, exec_lo, s1
	s_cbranch_execz .LBB232_1620
; %bb.1526:
	s_mov_b32 s17, 0
	s_mov_b32 s13, exec_lo
                                        ; implicit-def: $vgpr6
	v_cmpx_lt_i16_e32 25, v19
	s_xor_b32 s13, exec_lo, s13
	s_cbranch_execz .LBB232_2487
; %bb.1527:
	s_mov_b32 s18, 0
	s_mov_b32 s16, exec_lo
                                        ; implicit-def: $vgpr6
	v_cmpx_lt_i16_e32 28, v19
	s_xor_b32 s16, exec_lo, s16
	s_cbranch_execz .LBB232_1567
; %bb.1528:
	s_mov_b32 s19, 0
	s_mov_b32 s20, 0
	s_mov_b32 s17, exec_lo
                                        ; implicit-def: $vgpr6
	v_cmpx_lt_i16_e32 43, v19
	s_xor_b32 s17, exec_lo, s17
	s_cbranch_execz .LBB232_1554
; %bb.1529:
	s_mov_b32 s20, exec_lo
                                        ; implicit-def: $vgpr6
	v_cmpx_lt_i16_e32 45, v19
	s_xor_b32 s20, exec_lo, s20
	s_cbranch_execz .LBB232_1541
; %bb.1530:
	s_mov_b32 s21, -1
	s_mov_b32 s18, exec_lo
                                        ; implicit-def: $vgpr6
	v_cmpx_eq_u16_e32 46, v19
	s_cbranch_execz .LBB232_1540
; %bb.1531:
	flat_load_b32 v4, v[2:3]
	s_mov_b32 s19, exec_lo
                                        ; implicit-def: $vgpr5
	s_wait_loadcnt_dscnt 0x0
	v_lshlrev_b32_e32 v4, 16, v4
	s_delay_alu instid0(VALU_DEP_1) | instskip(SKIP_1) | instid1(VALU_DEP_1)
	v_and_b32_e32 v6, 0x7fffffff, v4
	s_wait_xcnt 0x0
	v_cmpx_gt_u32_e32 0x47800000, v6
	s_xor_b32 s19, exec_lo, s19
	s_cbranch_execz .LBB232_1537
; %bb.1532:
	v_cmp_lt_u32_e64 s0, 0x387fffff, v6
                                        ; implicit-def: $vgpr5
	s_and_saveexec_b32 s21, s0
	s_delay_alu instid0(SALU_CYCLE_1)
	s_xor_b32 s0, exec_lo, s21
; %bb.1533:
	v_bfe_u32 v5, v4, 21, 1
	s_delay_alu instid0(VALU_DEP_1) | instskip(NEXT) | instid1(VALU_DEP_1)
	v_add3_u32 v5, v4, v5, 0x80fffff
	v_lshrrev_b32_e32 v5, 21, v5
; %bb.1534:
	s_and_not1_saveexec_b32 s0, s0
; %bb.1535:
	v_add_f32_e64 v5, 0x43000000, |v4|
; %bb.1536:
	s_or_b32 exec_lo, exec_lo, s0
                                        ; implicit-def: $vgpr6
.LBB232_1537:
	s_and_not1_saveexec_b32 s19, s19
; %bb.1538:
	v_mov_b32_e32 v5, 0x7f
	v_cmp_lt_u32_e64 s0, 0x7f800000, v6
	s_delay_alu instid0(VALU_DEP_1)
	v_cndmask_b32_e64 v5, 0x7c, v5, s0
; %bb.1539:
	s_or_b32 exec_lo, exec_lo, s19
	v_lshrrev_b32_e32 v4, 24, v4
	s_mov_b32 s19, exec_lo
	s_xor_b32 s21, exec_lo, -1
	s_delay_alu instid0(VALU_DEP_1)
	v_and_or_b32 v6, 0x80, v4, v5
.LBB232_1540:
	s_or_b32 exec_lo, exec_lo, s18
	s_delay_alu instid0(SALU_CYCLE_1)
	s_and_b32 s19, s19, exec_lo
	s_and_b32 s18, s21, exec_lo
                                        ; implicit-def: $vgpr19
.LBB232_1541:
	s_and_not1_saveexec_b32 s20, s20
	s_cbranch_execz .LBB232_1553
; %bb.1542:
	s_mov_b32 s22, -1
	s_mov_b32 s23, s19
	s_mov_b32 s21, exec_lo
                                        ; implicit-def: $vgpr6
	v_cmpx_eq_u16_e32 44, v19
	s_cbranch_execz .LBB232_1552
; %bb.1543:
	flat_load_u8 v4, v[2:3]
	s_mov_b32 s22, exec_lo
                                        ; implicit-def: $vgpr6
	s_wait_loadcnt_dscnt 0x0
	v_lshlrev_b32_e32 v5, 23, v4
	v_cmp_ne_u32_e64 s0, 0xff, v4
	s_delay_alu instid0(VALU_DEP_1) | instskip(SKIP_1) | instid1(VALU_DEP_1)
	v_cndmask_b32_e64 v5, 0x7f800001, v5, s0
	v_cmp_ne_u32_e64 s0, 0, v4
	v_cndmask_b32_e64 v4, 0x400000, v5, s0
	s_wait_xcnt 0x0
	s_delay_alu instid0(VALU_DEP_1)
	v_cmpx_gt_u32_e32 0x47800000, v4
	s_xor_b32 s22, exec_lo, s22
	s_cbranch_execz .LBB232_1549
; %bb.1544:
	v_cmp_lt_u32_e64 s0, 0x387fffff, v4
                                        ; implicit-def: $vgpr6
	s_and_saveexec_b32 s23, s0
	s_delay_alu instid0(SALU_CYCLE_1)
	s_xor_b32 s0, exec_lo, s23
; %bb.1545:
	v_bfe_u32 v5, v4, 21, 1
	s_delay_alu instid0(VALU_DEP_1) | instskip(NEXT) | instid1(VALU_DEP_1)
	v_add3_u32 v4, v4, v5, 0x80fffff
	v_lshrrev_b32_e32 v6, 21, v4
                                        ; implicit-def: $vgpr4
; %bb.1546:
	s_and_not1_saveexec_b32 s0, s0
; %bb.1547:
	v_add_f32_e32 v6, 0x43000000, v4
; %bb.1548:
	s_or_b32 exec_lo, exec_lo, s0
                                        ; implicit-def: $vgpr4
.LBB232_1549:
	s_and_not1_saveexec_b32 s22, s22
; %bb.1550:
	v_mov_b32_e32 v5, 0x7f
	v_cmp_lt_u32_e64 s0, 0x7f800000, v4
	s_delay_alu instid0(VALU_DEP_1)
	v_cndmask_b32_e64 v6, 0x7c, v5, s0
; %bb.1551:
	s_or_b32 exec_lo, exec_lo, s22
	s_delay_alu instid0(SALU_CYCLE_1)
	s_or_b32 s23, s19, exec_lo
	s_xor_b32 s22, exec_lo, -1
.LBB232_1552:
	s_or_b32 exec_lo, exec_lo, s21
	s_delay_alu instid0(SALU_CYCLE_1)
	s_and_not1_b32 s0, s19, exec_lo
	s_and_b32 s19, s23, exec_lo
	s_and_not1_b32 s18, s18, exec_lo
	s_and_b32 s21, s22, exec_lo
	s_or_b32 s19, s0, s19
	s_or_b32 s18, s18, s21
.LBB232_1553:
	s_or_b32 exec_lo, exec_lo, s20
	s_delay_alu instid0(SALU_CYCLE_1)
	s_and_b32 s20, s19, exec_lo
	s_and_b32 s19, s18, exec_lo
                                        ; implicit-def: $vgpr19
.LBB232_1554:
	s_and_not1_saveexec_b32 s17, s17
	s_cbranch_execz .LBB232_1566
; %bb.1555:
	s_mov_b32 s21, -1
	s_mov_b32 s22, s20
	s_mov_b32 s18, exec_lo
                                        ; implicit-def: $vgpr6
	v_cmpx_eq_u16_e32 29, v19
	s_cbranch_execz .LBB232_1565
; %bb.1556:
	flat_load_b64 v[4:5], v[2:3]
	s_mov_b32 s21, exec_lo
	s_wait_loadcnt_dscnt 0x0
	v_clz_i32_u32_e32 v6, v5
	s_delay_alu instid0(VALU_DEP_1) | instskip(NEXT) | instid1(VALU_DEP_1)
	v_min_u32_e32 v6, 32, v6
	v_lshlrev_b64_e32 v[4:5], v6, v[4:5]
	s_delay_alu instid0(VALU_DEP_1) | instskip(NEXT) | instid1(VALU_DEP_1)
	v_min_u32_e32 v4, 1, v4
	v_dual_sub_nc_u32 v5, 32, v6 :: v_dual_bitop2_b32 v4, v5, v4 bitop3:0x54
                                        ; implicit-def: $vgpr6
	s_delay_alu instid0(VALU_DEP_1) | instskip(NEXT) | instid1(VALU_DEP_1)
	v_cvt_f32_u32_e32 v4, v4
	v_ldexp_f32 v4, v4, v5
	s_wait_xcnt 0x0
	s_delay_alu instid0(VALU_DEP_1)
	v_cmpx_gt_u32_e32 0x47800000, v4
	s_xor_b32 s21, exec_lo, s21
	s_cbranch_execz .LBB232_1562
; %bb.1557:
	v_cmp_lt_u32_e64 s0, 0x387fffff, v4
                                        ; implicit-def: $vgpr6
	s_and_saveexec_b32 s22, s0
	s_delay_alu instid0(SALU_CYCLE_1)
	s_xor_b32 s0, exec_lo, s22
; %bb.1558:
	v_bfe_u32 v5, v4, 21, 1
	s_delay_alu instid0(VALU_DEP_1) | instskip(NEXT) | instid1(VALU_DEP_1)
	v_add3_u32 v4, v4, v5, 0x80fffff
	v_lshrrev_b32_e32 v6, 21, v4
                                        ; implicit-def: $vgpr4
; %bb.1559:
	s_and_not1_saveexec_b32 s0, s0
; %bb.1560:
	v_add_f32_e32 v6, 0x43000000, v4
; %bb.1561:
	s_or_b32 exec_lo, exec_lo, s0
                                        ; implicit-def: $vgpr4
.LBB232_1562:
	s_and_not1_saveexec_b32 s21, s21
; %bb.1563:
	v_mov_b32_e32 v5, 0x7f
	v_cmp_lt_u32_e64 s0, 0x7f800000, v4
	s_delay_alu instid0(VALU_DEP_1)
	v_cndmask_b32_e64 v6, 0x7c, v5, s0
; %bb.1564:
	s_or_b32 exec_lo, exec_lo, s21
	s_delay_alu instid0(SALU_CYCLE_1)
	s_or_b32 s22, s20, exec_lo
	s_xor_b32 s21, exec_lo, -1
.LBB232_1565:
	s_or_b32 exec_lo, exec_lo, s18
	s_delay_alu instid0(SALU_CYCLE_1)
	s_and_not1_b32 s0, s20, exec_lo
	s_and_b32 s18, s22, exec_lo
	s_and_not1_b32 s19, s19, exec_lo
	s_and_b32 s21, s21, exec_lo
	s_or_b32 s20, s0, s18
	s_or_b32 s19, s19, s21
.LBB232_1566:
	s_or_b32 exec_lo, exec_lo, s17
	s_delay_alu instid0(SALU_CYCLE_1)
	s_and_b32 s18, s20, exec_lo
	s_and_b32 s17, s19, exec_lo
                                        ; implicit-def: $vgpr19
.LBB232_1567:
	s_and_not1_saveexec_b32 s16, s16
	s_cbranch_execz .LBB232_1607
; %bb.1568:
	s_mov_b32 s19, exec_lo
                                        ; implicit-def: $vgpr6
	v_cmpx_lt_i16_e32 26, v19
	s_xor_b32 s19, exec_lo, s19
	s_cbranch_execz .LBB232_1590
; %bb.1569:
	s_mov_b32 s20, exec_lo
                                        ; implicit-def: $vgpr6
	v_cmpx_lt_i16_e32 27, v19
	s_xor_b32 s20, exec_lo, s20
	s_cbranch_execz .LBB232_1579
; %bb.1570:
	flat_load_b32 v4, v[2:3]
	s_mov_b32 s21, exec_lo
                                        ; implicit-def: $vgpr6
	s_wait_loadcnt_dscnt 0x0
	v_cvt_f32_u32_e32 v4, v4
	s_wait_xcnt 0x0
	s_delay_alu instid0(VALU_DEP_1)
	v_cmpx_gt_u32_e32 0x47800000, v4
	s_xor_b32 s21, exec_lo, s21
	s_cbranch_execz .LBB232_1576
; %bb.1571:
	v_cmp_lt_u32_e64 s0, 0x387fffff, v4
                                        ; implicit-def: $vgpr6
	s_and_saveexec_b32 s22, s0
	s_delay_alu instid0(SALU_CYCLE_1)
	s_xor_b32 s0, exec_lo, s22
; %bb.1572:
	v_bfe_u32 v5, v4, 21, 1
	s_delay_alu instid0(VALU_DEP_1) | instskip(NEXT) | instid1(VALU_DEP_1)
	v_add3_u32 v4, v4, v5, 0x80fffff
	v_lshrrev_b32_e32 v6, 21, v4
                                        ; implicit-def: $vgpr4
; %bb.1573:
	s_and_not1_saveexec_b32 s0, s0
; %bb.1574:
	v_add_f32_e32 v6, 0x43000000, v4
; %bb.1575:
	s_or_b32 exec_lo, exec_lo, s0
                                        ; implicit-def: $vgpr4
.LBB232_1576:
	s_and_not1_saveexec_b32 s21, s21
; %bb.1577:
	v_mov_b32_e32 v5, 0x7f
	v_cmp_lt_u32_e64 s0, 0x7f800000, v4
	s_delay_alu instid0(VALU_DEP_1)
	v_cndmask_b32_e64 v6, 0x7c, v5, s0
; %bb.1578:
	s_or_b32 exec_lo, exec_lo, s21
.LBB232_1579:
	s_and_not1_saveexec_b32 s20, s20
	s_cbranch_execz .LBB232_1589
; %bb.1580:
	flat_load_u16 v4, v[2:3]
	s_mov_b32 s21, exec_lo
                                        ; implicit-def: $vgpr6
	s_wait_loadcnt_dscnt 0x0
	v_cvt_f32_u32_e32 v4, v4
	s_wait_xcnt 0x0
	s_delay_alu instid0(VALU_DEP_1)
	v_cmpx_gt_u32_e32 0x47800000, v4
	s_xor_b32 s21, exec_lo, s21
	s_cbranch_execz .LBB232_1586
; %bb.1581:
	v_cmp_lt_u32_e64 s0, 0x387fffff, v4
                                        ; implicit-def: $vgpr6
	s_and_saveexec_b32 s22, s0
	s_delay_alu instid0(SALU_CYCLE_1)
	s_xor_b32 s0, exec_lo, s22
; %bb.1582:
	v_bfe_u32 v5, v4, 21, 1
	s_delay_alu instid0(VALU_DEP_1) | instskip(NEXT) | instid1(VALU_DEP_1)
	v_add3_u32 v4, v4, v5, 0x80fffff
	v_lshrrev_b32_e32 v6, 21, v4
                                        ; implicit-def: $vgpr4
; %bb.1583:
	s_and_not1_saveexec_b32 s0, s0
; %bb.1584:
	v_add_f32_e32 v6, 0x43000000, v4
; %bb.1585:
	s_or_b32 exec_lo, exec_lo, s0
                                        ; implicit-def: $vgpr4
.LBB232_1586:
	s_and_not1_saveexec_b32 s21, s21
; %bb.1587:
	v_mov_b32_e32 v5, 0x7f
	v_cmp_lt_u32_e64 s0, 0x7f800000, v4
	s_delay_alu instid0(VALU_DEP_1)
	v_cndmask_b32_e64 v6, 0x7c, v5, s0
; %bb.1588:
	s_or_b32 exec_lo, exec_lo, s21
.LBB232_1589:
	s_delay_alu instid0(SALU_CYCLE_1)
	s_or_b32 exec_lo, exec_lo, s20
.LBB232_1590:
	s_and_not1_saveexec_b32 s19, s19
	s_cbranch_execz .LBB232_1606
; %bb.1591:
	flat_load_u8 v5, v[2:3]
	s_mov_b32 s20, 0
	s_mov_b32 s21, exec_lo
	s_wait_loadcnt_dscnt 0x0
	v_cmpx_lt_i16_e32 0x7f, v5
	s_xor_b32 s21, exec_lo, s21
	s_cbranch_execz .LBB232_2646
; %bb.1592:
	s_mov_b32 s20, -1
	s_mov_b32 s22, exec_lo
	v_cmpx_eq_u16_e32 0x80, v5
; %bb.1593:
	s_xor_b32 s20, exec_lo, -1
; %bb.1594:
	s_or_b32 exec_lo, exec_lo, s22
	s_delay_alu instid0(SALU_CYCLE_1)
	s_and_b32 s20, s20, exec_lo
	s_or_saveexec_b32 s21, s21
	v_mov_b32_e32 v4, 0x7f800001
	s_xor_b32 exec_lo, exec_lo, s21
	s_cbranch_execnz .LBB232_2647
.LBB232_1595:
	s_or_b32 exec_lo, exec_lo, s21
	s_and_saveexec_b32 s21, s20
	s_cbranch_execz .LBB232_1597
.LBB232_1596:
	v_and_b32_e32 v4, 0xffff, v5
	s_delay_alu instid0(VALU_DEP_1) | instskip(SKIP_1) | instid1(VALU_DEP_2)
	v_and_b32_e32 v6, 7, v4
	v_bfe_u32 v12, v4, 3, 4
	v_clz_i32_u32_e32 v9, v6
	s_delay_alu instid0(VALU_DEP_2) | instskip(NEXT) | instid1(VALU_DEP_2)
	v_cmp_eq_u32_e64 s0, 0, v12
	v_min_u32_e32 v9, 32, v9
	s_delay_alu instid0(VALU_DEP_1) | instskip(NEXT) | instid1(VALU_DEP_1)
	v_subrev_nc_u32_e32 v10, 28, v9
	v_dual_lshlrev_b32 v4, v10, v4 :: v_dual_sub_nc_u32 v9, 29, v9
	s_delay_alu instid0(VALU_DEP_1) | instskip(NEXT) | instid1(VALU_DEP_1)
	v_dual_lshlrev_b32 v5, 24, v5 :: v_dual_bitop2_b32 v4, 7, v4 bitop3:0x40
	v_dual_cndmask_b32 v4, v6, v4, s0 :: v_dual_cndmask_b32 v9, v12, v9, s0
	s_delay_alu instid0(VALU_DEP_2) | instskip(NEXT) | instid1(VALU_DEP_2)
	v_and_b32_e32 v5, 0x80000000, v5
	v_lshlrev_b32_e32 v4, 20, v4
	s_delay_alu instid0(VALU_DEP_3) | instskip(NEXT) | instid1(VALU_DEP_1)
	v_lshl_add_u32 v6, v9, 23, 0x3b800000
	v_or3_b32 v4, v5, v6, v4
.LBB232_1597:
	s_or_b32 exec_lo, exec_lo, s21
	s_delay_alu instid0(VALU_DEP_1) | instskip(SKIP_1) | instid1(VALU_DEP_1)
	v_and_b32_e32 v6, 0x7fffffff, v4
	s_mov_b32 s20, exec_lo
                                        ; implicit-def: $vgpr5
	v_cmpx_gt_u32_e32 0x47800000, v6
	s_xor_b32 s20, exec_lo, s20
	s_cbranch_execz .LBB232_1603
; %bb.1598:
	v_cmp_lt_u32_e64 s0, 0x387fffff, v6
                                        ; implicit-def: $vgpr5
	s_and_saveexec_b32 s21, s0
	s_delay_alu instid0(SALU_CYCLE_1)
	s_xor_b32 s0, exec_lo, s21
; %bb.1599:
	v_bfe_u32 v5, v4, 21, 1
	s_delay_alu instid0(VALU_DEP_1) | instskip(NEXT) | instid1(VALU_DEP_1)
	v_add3_u32 v5, v4, v5, 0x80fffff
	v_lshrrev_b32_e32 v5, 21, v5
; %bb.1600:
	s_and_not1_saveexec_b32 s0, s0
; %bb.1601:
	v_add_f32_e64 v5, 0x43000000, |v4|
; %bb.1602:
	s_or_b32 exec_lo, exec_lo, s0
                                        ; implicit-def: $vgpr6
.LBB232_1603:
	s_and_not1_saveexec_b32 s20, s20
; %bb.1604:
	v_mov_b32_e32 v5, 0x7f
	v_cmp_lt_u32_e64 s0, 0x7f800000, v6
	s_delay_alu instid0(VALU_DEP_1)
	v_cndmask_b32_e64 v5, 0x7c, v5, s0
; %bb.1605:
	s_or_b32 exec_lo, exec_lo, s20
	v_lshrrev_b32_e32 v4, 24, v4
	s_delay_alu instid0(VALU_DEP_1)
	v_and_or_b32 v6, 0x80, v4, v5
.LBB232_1606:
	s_or_b32 exec_lo, exec_lo, s19
	s_delay_alu instid0(SALU_CYCLE_1)
	s_or_b32 s18, s18, exec_lo
.LBB232_1607:
	s_or_b32 exec_lo, exec_lo, s16
	s_delay_alu instid0(SALU_CYCLE_1)
	s_and_b32 s16, s18, exec_lo
	s_and_b32 s17, s17, exec_lo
                                        ; implicit-def: $vgpr19
	s_and_not1_saveexec_b32 s13, s13
	s_cbranch_execnz .LBB232_2488
.LBB232_1608:
	s_or_b32 exec_lo, exec_lo, s13
	s_mov_b32 s13, s11
	s_and_saveexec_b32 s0, s17
	s_cbranch_execnz .LBB232_2537
.LBB232_1609:
	s_or_b32 exec_lo, exec_lo, s0
	s_and_saveexec_b32 s17, s2
	s_cbranch_execz .LBB232_1619
.LBB232_1610:
	flat_load_u8 v2, v[2:3]
	s_mov_b32 s2, exec_lo
                                        ; implicit-def: $vgpr6
	s_wait_loadcnt_dscnt 0x0
	v_cmp_ne_u16_e64 s0, 0, v2
	s_wait_xcnt 0x0
	s_delay_alu instid0(VALU_DEP_1) | instskip(NEXT) | instid1(VALU_DEP_1)
	v_cndmask_b32_e64 v2, 0, 1.0, s0
	v_cmpx_gt_u32_e32 0x47800000, v2
	s_xor_b32 s2, exec_lo, s2
	s_cbranch_execz .LBB232_1616
; %bb.1611:
	v_cmp_lt_u32_e64 s0, 0x387fffff, v2
                                        ; implicit-def: $vgpr6
	s_and_saveexec_b32 s18, s0
	s_delay_alu instid0(SALU_CYCLE_1)
	s_xor_b32 s0, exec_lo, s18
; %bb.1612:
	v_bfe_u32 v3, v2, 21, 1
	s_delay_alu instid0(VALU_DEP_1) | instskip(NEXT) | instid1(VALU_DEP_1)
	v_add3_u32 v2, v2, v3, 0x80fffff
	v_lshrrev_b32_e32 v6, 21, v2
                                        ; implicit-def: $vgpr2
; %bb.1613:
	s_and_not1_saveexec_b32 s0, s0
; %bb.1614:
	v_add_f32_e32 v6, 0x43000000, v2
; %bb.1615:
	s_or_b32 exec_lo, exec_lo, s0
                                        ; implicit-def: $vgpr2
.LBB232_1616:
	s_and_not1_saveexec_b32 s2, s2
; %bb.1617:
	v_mov_b32_e32 v3, 0x7f
	v_cmp_lt_u32_e64 s0, 0x7f800000, v2
	s_delay_alu instid0(VALU_DEP_1)
	v_cndmask_b32_e64 v6, 0x7c, v3, s0
; %bb.1618:
	s_or_b32 exec_lo, exec_lo, s2
	s_delay_alu instid0(SALU_CYCLE_1)
	s_or_b32 s16, s16, exec_lo
.LBB232_1619:
	s_or_b32 exec_lo, exec_lo, s17
	s_delay_alu instid0(SALU_CYCLE_1) | instskip(SKIP_1) | instid1(SALU_CYCLE_1)
	s_and_not1_b32 s0, s11, exec_lo
	s_and_b32 s2, s13, exec_lo
                                        ; implicit-def: $vgpr19
                                        ; implicit-def: $vgpr2_vgpr3
	s_or_b32 s13, s0, s2
	s_and_b32 s2, s16, exec_lo
.LBB232_1620:
	s_and_not1_saveexec_b32 s1, s1
	s_cbranch_execz .LBB232_1750
; %bb.1621:
	s_mov_b32 s16, exec_lo
                                        ; implicit-def: $vgpr6
	v_cmpx_lt_i16_e32 4, v19
	s_xor_b32 s16, exec_lo, s16
	s_cbranch_execz .LBB232_1691
; %bb.1622:
	s_mov_b32 s17, exec_lo
                                        ; implicit-def: $vgpr6
	v_cmpx_lt_i16_e32 7, v19
	s_xor_b32 s17, exec_lo, s17
	;; [unrolled: 6-line block ×4, first 2 shown]
	s_cbranch_execz .LBB232_1634
; %bb.1625:
	flat_load_b64 v[2:3], v[2:3]
	s_mov_b32 s20, exec_lo
	s_wait_loadcnt_dscnt 0x0
	v_cvt_f32_f64_e32 v2, v[2:3]
                                        ; implicit-def: $vgpr3
	s_delay_alu instid0(VALU_DEP_1) | instskip(NEXT) | instid1(VALU_DEP_1)
	v_and_b32_e32 v4, 0x7fffffff, v2
	v_cmpx_gt_u32_e32 0x47800000, v4
	s_xor_b32 s20, exec_lo, s20
	s_cbranch_execz .LBB232_1631
; %bb.1626:
	v_cmp_lt_u32_e64 s0, 0x387fffff, v4
                                        ; implicit-def: $vgpr3
	s_and_saveexec_b32 s21, s0
	s_delay_alu instid0(SALU_CYCLE_1)
	s_xor_b32 s0, exec_lo, s21
; %bb.1627:
	v_bfe_u32 v3, v2, 21, 1
	s_delay_alu instid0(VALU_DEP_1) | instskip(NEXT) | instid1(VALU_DEP_1)
	v_add3_u32 v3, v2, v3, 0x80fffff
	v_lshrrev_b32_e32 v3, 21, v3
; %bb.1628:
	s_and_not1_saveexec_b32 s0, s0
; %bb.1629:
	v_add_f32_e64 v3, 0x43000000, |v2|
; %bb.1630:
	s_or_b32 exec_lo, exec_lo, s0
                                        ; implicit-def: $vgpr4
.LBB232_1631:
	s_and_not1_saveexec_b32 s20, s20
; %bb.1632:
	v_mov_b32_e32 v3, 0x7f
	v_cmp_lt_u32_e64 s0, 0x7f800000, v4
	s_delay_alu instid0(VALU_DEP_1)
	v_cndmask_b32_e64 v3, 0x7c, v3, s0
; %bb.1633:
	s_or_b32 exec_lo, exec_lo, s20
	v_lshrrev_b32_e32 v2, 24, v2
	s_delay_alu instid0(VALU_DEP_1)
	v_and_or_b32 v6, 0x80, v2, v3
                                        ; implicit-def: $vgpr2_vgpr3
.LBB232_1634:
	s_and_not1_saveexec_b32 s19, s19
	s_cbranch_execz .LBB232_1644
; %bb.1635:
	flat_load_b32 v2, v[2:3]
	s_mov_b32 s20, exec_lo
                                        ; implicit-def: $vgpr3
	s_wait_loadcnt_dscnt 0x0
	v_and_b32_e32 v4, 0x7fffffff, v2
	s_wait_xcnt 0x0
	s_delay_alu instid0(VALU_DEP_1)
	v_cmpx_gt_u32_e32 0x47800000, v4
	s_xor_b32 s20, exec_lo, s20
	s_cbranch_execz .LBB232_1641
; %bb.1636:
	v_cmp_lt_u32_e64 s0, 0x387fffff, v4
                                        ; implicit-def: $vgpr3
	s_and_saveexec_b32 s21, s0
	s_delay_alu instid0(SALU_CYCLE_1)
	s_xor_b32 s0, exec_lo, s21
; %bb.1637:
	v_bfe_u32 v3, v2, 21, 1
	s_delay_alu instid0(VALU_DEP_1) | instskip(NEXT) | instid1(VALU_DEP_1)
	v_add3_u32 v3, v2, v3, 0x80fffff
	v_lshrrev_b32_e32 v3, 21, v3
; %bb.1638:
	s_and_not1_saveexec_b32 s0, s0
; %bb.1639:
	v_add_f32_e64 v3, 0x43000000, |v2|
; %bb.1640:
	s_or_b32 exec_lo, exec_lo, s0
                                        ; implicit-def: $vgpr4
.LBB232_1641:
	s_and_not1_saveexec_b32 s20, s20
; %bb.1642:
	v_mov_b32_e32 v3, 0x7f
	v_cmp_lt_u32_e64 s0, 0x7f800000, v4
	s_delay_alu instid0(VALU_DEP_1)
	v_cndmask_b32_e64 v3, 0x7c, v3, s0
; %bb.1643:
	s_or_b32 exec_lo, exec_lo, s20
	v_lshrrev_b32_e32 v2, 24, v2
	s_delay_alu instid0(VALU_DEP_1)
	v_and_or_b32 v6, 0x80, v2, v3
.LBB232_1644:
	s_or_b32 exec_lo, exec_lo, s19
                                        ; implicit-def: $vgpr2_vgpr3
.LBB232_1645:
	s_and_not1_saveexec_b32 s18, s18
	s_cbranch_execz .LBB232_1655
; %bb.1646:
	flat_load_b32 v2, v[2:3]
	s_mov_b32 s19, exec_lo
                                        ; implicit-def: $vgpr3
	s_wait_loadcnt_dscnt 0x0
	v_cvt_f32_f16_e32 v2, v2
	s_delay_alu instid0(VALU_DEP_1) | instskip(NEXT) | instid1(VALU_DEP_1)
	v_and_b32_e32 v4, 0x7fffffff, v2
	v_cmpx_gt_u32_e32 0x47800000, v4
	s_xor_b32 s19, exec_lo, s19
	s_cbranch_execz .LBB232_1652
; %bb.1647:
	v_cmp_lt_u32_e64 s0, 0x387fffff, v4
                                        ; implicit-def: $vgpr3
	s_and_saveexec_b32 s20, s0
	s_delay_alu instid0(SALU_CYCLE_1)
	s_xor_b32 s0, exec_lo, s20
; %bb.1648:
	v_bfe_u32 v3, v2, 21, 1
	s_delay_alu instid0(VALU_DEP_1) | instskip(NEXT) | instid1(VALU_DEP_1)
	v_add3_u32 v3, v2, v3, 0x80fffff
	v_lshrrev_b32_e32 v3, 21, v3
; %bb.1649:
	s_and_not1_saveexec_b32 s0, s0
; %bb.1650:
	v_add_f32_e64 v3, 0x43000000, |v2|
; %bb.1651:
	s_or_b32 exec_lo, exec_lo, s0
                                        ; implicit-def: $vgpr4
.LBB232_1652:
	s_and_not1_saveexec_b32 s19, s19
; %bb.1653:
	v_mov_b32_e32 v3, 0x7f
	v_cmp_lt_u32_e64 s0, 0x7f800000, v4
	s_delay_alu instid0(VALU_DEP_1)
	v_cndmask_b32_e64 v3, 0x7c, v3, s0
; %bb.1654:
	s_or_b32 exec_lo, exec_lo, s19
	v_lshrrev_b32_e32 v2, 24, v2
	s_delay_alu instid0(VALU_DEP_1)
	v_and_or_b32 v6, 0x80, v2, v3
.LBB232_1655:
	s_or_b32 exec_lo, exec_lo, s18
                                        ; implicit-def: $vgpr19
                                        ; implicit-def: $vgpr2_vgpr3
.LBB232_1656:
	s_and_not1_saveexec_b32 s17, s17
	s_cbranch_execz .LBB232_1690
; %bb.1657:
	s_mov_b32 s18, exec_lo
                                        ; implicit-def: $vgpr6
	v_cmpx_lt_i16_e32 5, v19
	s_xor_b32 s18, exec_lo, s18
	s_cbranch_execz .LBB232_1679
; %bb.1658:
	s_mov_b32 s19, exec_lo
                                        ; implicit-def: $vgpr6
	v_cmpx_lt_i16_e32 6, v19
	s_xor_b32 s19, exec_lo, s19
	s_cbranch_execz .LBB232_1668
; %bb.1659:
	flat_load_b64 v[2:3], v[2:3]
	s_mov_b32 s20, exec_lo
	s_wait_loadcnt_dscnt 0x0
	v_cvt_f32_f64_e32 v2, v[2:3]
                                        ; implicit-def: $vgpr3
	s_delay_alu instid0(VALU_DEP_1) | instskip(NEXT) | instid1(VALU_DEP_1)
	v_and_b32_e32 v4, 0x7fffffff, v2
	v_cmpx_gt_u32_e32 0x47800000, v4
	s_xor_b32 s20, exec_lo, s20
	s_cbranch_execz .LBB232_1665
; %bb.1660:
	v_cmp_lt_u32_e64 s0, 0x387fffff, v4
                                        ; implicit-def: $vgpr3
	s_and_saveexec_b32 s21, s0
	s_delay_alu instid0(SALU_CYCLE_1)
	s_xor_b32 s0, exec_lo, s21
; %bb.1661:
	v_bfe_u32 v3, v2, 21, 1
	s_delay_alu instid0(VALU_DEP_1) | instskip(NEXT) | instid1(VALU_DEP_1)
	v_add3_u32 v3, v2, v3, 0x80fffff
	v_lshrrev_b32_e32 v3, 21, v3
; %bb.1662:
	s_and_not1_saveexec_b32 s0, s0
; %bb.1663:
	v_add_f32_e64 v3, 0x43000000, |v2|
; %bb.1664:
	s_or_b32 exec_lo, exec_lo, s0
                                        ; implicit-def: $vgpr4
.LBB232_1665:
	s_and_not1_saveexec_b32 s20, s20
; %bb.1666:
	v_mov_b32_e32 v3, 0x7f
	v_cmp_lt_u32_e64 s0, 0x7f800000, v4
	s_delay_alu instid0(VALU_DEP_1)
	v_cndmask_b32_e64 v3, 0x7c, v3, s0
; %bb.1667:
	s_or_b32 exec_lo, exec_lo, s20
	v_lshrrev_b32_e32 v2, 24, v2
	s_delay_alu instid0(VALU_DEP_1)
	v_and_or_b32 v6, 0x80, v2, v3
                                        ; implicit-def: $vgpr2_vgpr3
.LBB232_1668:
	s_and_not1_saveexec_b32 s19, s19
	s_cbranch_execz .LBB232_1678
; %bb.1669:
	flat_load_b32 v2, v[2:3]
	s_mov_b32 s20, exec_lo
                                        ; implicit-def: $vgpr3
	s_wait_loadcnt_dscnt 0x0
	v_and_b32_e32 v4, 0x7fffffff, v2
	s_wait_xcnt 0x0
	s_delay_alu instid0(VALU_DEP_1)
	v_cmpx_gt_u32_e32 0x47800000, v4
	s_xor_b32 s20, exec_lo, s20
	s_cbranch_execz .LBB232_1675
; %bb.1670:
	v_cmp_lt_u32_e64 s0, 0x387fffff, v4
                                        ; implicit-def: $vgpr3
	s_and_saveexec_b32 s21, s0
	s_delay_alu instid0(SALU_CYCLE_1)
	s_xor_b32 s0, exec_lo, s21
; %bb.1671:
	v_bfe_u32 v3, v2, 21, 1
	s_delay_alu instid0(VALU_DEP_1) | instskip(NEXT) | instid1(VALU_DEP_1)
	v_add3_u32 v3, v2, v3, 0x80fffff
	v_lshrrev_b32_e32 v3, 21, v3
; %bb.1672:
	s_and_not1_saveexec_b32 s0, s0
; %bb.1673:
	v_add_f32_e64 v3, 0x43000000, |v2|
; %bb.1674:
	s_or_b32 exec_lo, exec_lo, s0
                                        ; implicit-def: $vgpr4
.LBB232_1675:
	s_and_not1_saveexec_b32 s20, s20
; %bb.1676:
	v_mov_b32_e32 v3, 0x7f
	v_cmp_lt_u32_e64 s0, 0x7f800000, v4
	s_delay_alu instid0(VALU_DEP_1)
	v_cndmask_b32_e64 v3, 0x7c, v3, s0
; %bb.1677:
	s_or_b32 exec_lo, exec_lo, s20
	v_lshrrev_b32_e32 v2, 24, v2
	s_delay_alu instid0(VALU_DEP_1)
	v_and_or_b32 v6, 0x80, v2, v3
.LBB232_1678:
	s_or_b32 exec_lo, exec_lo, s19
                                        ; implicit-def: $vgpr2_vgpr3
.LBB232_1679:
	s_and_not1_saveexec_b32 s18, s18
	s_cbranch_execz .LBB232_1689
; %bb.1680:
	flat_load_u16 v2, v[2:3]
	s_mov_b32 s19, exec_lo
                                        ; implicit-def: $vgpr3
	s_wait_loadcnt_dscnt 0x0
	v_cvt_f32_f16_e32 v2, v2
	s_delay_alu instid0(VALU_DEP_1) | instskip(NEXT) | instid1(VALU_DEP_1)
	v_and_b32_e32 v4, 0x7fffffff, v2
	v_cmpx_gt_u32_e32 0x47800000, v4
	s_xor_b32 s19, exec_lo, s19
	s_cbranch_execz .LBB232_1686
; %bb.1681:
	v_cmp_lt_u32_e64 s0, 0x387fffff, v4
                                        ; implicit-def: $vgpr3
	s_and_saveexec_b32 s20, s0
	s_delay_alu instid0(SALU_CYCLE_1)
	s_xor_b32 s0, exec_lo, s20
; %bb.1682:
	v_bfe_u32 v3, v2, 21, 1
	s_delay_alu instid0(VALU_DEP_1) | instskip(NEXT) | instid1(VALU_DEP_1)
	v_add3_u32 v3, v2, v3, 0x80fffff
	v_lshrrev_b32_e32 v3, 21, v3
; %bb.1683:
	s_and_not1_saveexec_b32 s0, s0
; %bb.1684:
	v_add_f32_e64 v3, 0x43000000, |v2|
; %bb.1685:
	s_or_b32 exec_lo, exec_lo, s0
                                        ; implicit-def: $vgpr4
.LBB232_1686:
	s_and_not1_saveexec_b32 s19, s19
; %bb.1687:
	v_mov_b32_e32 v3, 0x7f
	v_cmp_lt_u32_e64 s0, 0x7f800000, v4
	s_delay_alu instid0(VALU_DEP_1)
	v_cndmask_b32_e64 v3, 0x7c, v3, s0
; %bb.1688:
	s_or_b32 exec_lo, exec_lo, s19
	v_lshrrev_b32_e32 v2, 24, v2
	s_delay_alu instid0(VALU_DEP_1)
	v_and_or_b32 v6, 0x80, v2, v3
.LBB232_1689:
	s_or_b32 exec_lo, exec_lo, s18
.LBB232_1690:
	s_delay_alu instid0(SALU_CYCLE_1)
	s_or_b32 exec_lo, exec_lo, s17
                                        ; implicit-def: $vgpr19
                                        ; implicit-def: $vgpr2_vgpr3
.LBB232_1691:
	s_and_not1_saveexec_b32 s16, s16
	s_cbranch_execz .LBB232_1749
; %bb.1692:
	s_mov_b32 s17, exec_lo
                                        ; implicit-def: $vgpr6
	v_cmpx_lt_i16_e32 1, v19
	s_xor_b32 s17, exec_lo, s17
	s_cbranch_execz .LBB232_1726
; %bb.1693:
	s_mov_b32 s18, exec_lo
                                        ; implicit-def: $vgpr6
	v_cmpx_lt_i16_e32 2, v19
	s_xor_b32 s18, exec_lo, s18
	;; [unrolled: 6-line block ×3, first 2 shown]
	s_cbranch_execz .LBB232_1704
; %bb.1695:
	flat_load_b64 v[2:3], v[2:3]
	s_mov_b32 s20, exec_lo
	s_wait_loadcnt_dscnt 0x0
	v_xor_b32_e32 v4, v2, v3
	v_cls_i32_e32 v5, v3
	s_delay_alu instid0(VALU_DEP_2) | instskip(NEXT) | instid1(VALU_DEP_1)
	v_ashrrev_i32_e32 v4, 31, v4
	v_add_nc_u32_e32 v4, 32, v4
	s_delay_alu instid0(VALU_DEP_1) | instskip(SKIP_1) | instid1(VALU_DEP_1)
	v_add_min_u32_e64 v4, v5, -1, v4
	s_wait_xcnt 0x0
	v_lshlrev_b64_e32 v[2:3], v4, v[2:3]
	s_delay_alu instid0(VALU_DEP_1) | instskip(NEXT) | instid1(VALU_DEP_1)
	v_min_u32_e32 v2, 1, v2
	v_dual_sub_nc_u32 v3, 32, v4 :: v_dual_bitop2_b32 v2, v3, v2 bitop3:0x54
	s_delay_alu instid0(VALU_DEP_1) | instskip(NEXT) | instid1(VALU_DEP_1)
	v_cvt_f32_i32_e32 v2, v2
	v_ldexp_f32 v2, v2, v3
                                        ; implicit-def: $vgpr3
	s_delay_alu instid0(VALU_DEP_1) | instskip(NEXT) | instid1(VALU_DEP_1)
	v_and_b32_e32 v4, 0x7fffffff, v2
	v_cmpx_gt_u32_e32 0x47800000, v4
	s_xor_b32 s20, exec_lo, s20
	s_cbranch_execz .LBB232_1701
; %bb.1696:
	v_cmp_lt_u32_e64 s0, 0x387fffff, v4
                                        ; implicit-def: $vgpr3
	s_and_saveexec_b32 s21, s0
	s_delay_alu instid0(SALU_CYCLE_1)
	s_xor_b32 s0, exec_lo, s21
; %bb.1697:
	v_bfe_u32 v3, v2, 21, 1
	s_delay_alu instid0(VALU_DEP_1) | instskip(NEXT) | instid1(VALU_DEP_1)
	v_add3_u32 v3, v2, v3, 0x80fffff
	v_lshrrev_b32_e32 v3, 21, v3
; %bb.1698:
	s_and_not1_saveexec_b32 s0, s0
; %bb.1699:
	v_add_f32_e64 v3, 0x43000000, |v2|
; %bb.1700:
	s_or_b32 exec_lo, exec_lo, s0
                                        ; implicit-def: $vgpr4
.LBB232_1701:
	s_and_not1_saveexec_b32 s20, s20
; %bb.1702:
	v_mov_b32_e32 v3, 0x7f
	v_cmp_lt_u32_e64 s0, 0x7f800000, v4
	s_delay_alu instid0(VALU_DEP_1)
	v_cndmask_b32_e64 v3, 0x7c, v3, s0
; %bb.1703:
	s_or_b32 exec_lo, exec_lo, s20
	v_lshrrev_b32_e32 v2, 24, v2
	s_delay_alu instid0(VALU_DEP_1)
	v_and_or_b32 v6, 0x80, v2, v3
                                        ; implicit-def: $vgpr2_vgpr3
.LBB232_1704:
	s_and_not1_saveexec_b32 s19, s19
	s_cbranch_execz .LBB232_1714
; %bb.1705:
	flat_load_b32 v2, v[2:3]
	s_mov_b32 s20, exec_lo
                                        ; implicit-def: $vgpr3
	s_wait_loadcnt_dscnt 0x0
	v_cvt_f32_i32_e32 v2, v2
	s_delay_alu instid0(VALU_DEP_1) | instskip(NEXT) | instid1(VALU_DEP_1)
	v_and_b32_e32 v4, 0x7fffffff, v2
	v_cmpx_gt_u32_e32 0x47800000, v4
	s_xor_b32 s20, exec_lo, s20
	s_cbranch_execz .LBB232_1711
; %bb.1706:
	v_cmp_lt_u32_e64 s0, 0x387fffff, v4
                                        ; implicit-def: $vgpr3
	s_and_saveexec_b32 s21, s0
	s_delay_alu instid0(SALU_CYCLE_1)
	s_xor_b32 s0, exec_lo, s21
; %bb.1707:
	v_bfe_u32 v3, v2, 21, 1
	s_delay_alu instid0(VALU_DEP_1) | instskip(NEXT) | instid1(VALU_DEP_1)
	v_add3_u32 v3, v2, v3, 0x80fffff
	v_lshrrev_b32_e32 v3, 21, v3
; %bb.1708:
	s_and_not1_saveexec_b32 s0, s0
; %bb.1709:
	v_add_f32_e64 v3, 0x43000000, |v2|
; %bb.1710:
	s_or_b32 exec_lo, exec_lo, s0
                                        ; implicit-def: $vgpr4
.LBB232_1711:
	s_and_not1_saveexec_b32 s20, s20
; %bb.1712:
	v_mov_b32_e32 v3, 0x7f
	v_cmp_lt_u32_e64 s0, 0x7f800000, v4
	s_delay_alu instid0(VALU_DEP_1)
	v_cndmask_b32_e64 v3, 0x7c, v3, s0
; %bb.1713:
	s_or_b32 exec_lo, exec_lo, s20
	v_lshrrev_b32_e32 v2, 24, v2
	s_delay_alu instid0(VALU_DEP_1)
	v_and_or_b32 v6, 0x80, v2, v3
.LBB232_1714:
	s_or_b32 exec_lo, exec_lo, s19
                                        ; implicit-def: $vgpr2_vgpr3
.LBB232_1715:
	s_and_not1_saveexec_b32 s18, s18
	s_cbranch_execz .LBB232_1725
; %bb.1716:
	flat_load_i16 v2, v[2:3]
	s_mov_b32 s19, exec_lo
                                        ; implicit-def: $vgpr3
	s_wait_loadcnt_dscnt 0x0
	v_cvt_f32_i32_e32 v2, v2
	s_delay_alu instid0(VALU_DEP_1) | instskip(NEXT) | instid1(VALU_DEP_1)
	v_and_b32_e32 v4, 0x7fffffff, v2
	v_cmpx_gt_u32_e32 0x47800000, v4
	s_xor_b32 s19, exec_lo, s19
	s_cbranch_execz .LBB232_1722
; %bb.1717:
	v_cmp_lt_u32_e64 s0, 0x387fffff, v4
                                        ; implicit-def: $vgpr3
	s_and_saveexec_b32 s20, s0
	s_delay_alu instid0(SALU_CYCLE_1)
	s_xor_b32 s0, exec_lo, s20
; %bb.1718:
	v_bfe_u32 v3, v2, 21, 1
	s_delay_alu instid0(VALU_DEP_1) | instskip(NEXT) | instid1(VALU_DEP_1)
	v_add3_u32 v3, v2, v3, 0x80fffff
	v_lshrrev_b32_e32 v3, 21, v3
; %bb.1719:
	s_and_not1_saveexec_b32 s0, s0
; %bb.1720:
	v_add_f32_e64 v3, 0x43000000, |v2|
; %bb.1721:
	s_or_b32 exec_lo, exec_lo, s0
                                        ; implicit-def: $vgpr4
.LBB232_1722:
	s_and_not1_saveexec_b32 s19, s19
; %bb.1723:
	v_mov_b32_e32 v3, 0x7f
	v_cmp_lt_u32_e64 s0, 0x7f800000, v4
	s_delay_alu instid0(VALU_DEP_1)
	v_cndmask_b32_e64 v3, 0x7c, v3, s0
; %bb.1724:
	s_or_b32 exec_lo, exec_lo, s19
	v_lshrrev_b32_e32 v2, 24, v2
	s_delay_alu instid0(VALU_DEP_1)
	v_and_or_b32 v6, 0x80, v2, v3
.LBB232_1725:
	s_or_b32 exec_lo, exec_lo, s18
                                        ; implicit-def: $vgpr19
                                        ; implicit-def: $vgpr2_vgpr3
.LBB232_1726:
	s_and_not1_saveexec_b32 s17, s17
	s_cbranch_execz .LBB232_1748
; %bb.1727:
	s_mov_b32 s18, exec_lo
                                        ; implicit-def: $vgpr6
	v_cmpx_lt_i16_e32 0, v19
	s_xor_b32 s18, exec_lo, s18
	s_cbranch_execz .LBB232_1737
; %bb.1728:
	flat_load_i8 v2, v[2:3]
	s_mov_b32 s19, exec_lo
                                        ; implicit-def: $vgpr3
	s_wait_loadcnt_dscnt 0x0
	v_cvt_f32_i32_e32 v2, v2
	s_delay_alu instid0(VALU_DEP_1) | instskip(NEXT) | instid1(VALU_DEP_1)
	v_and_b32_e32 v4, 0x7fffffff, v2
	v_cmpx_gt_u32_e32 0x47800000, v4
	s_xor_b32 s19, exec_lo, s19
	s_cbranch_execz .LBB232_1734
; %bb.1729:
	v_cmp_lt_u32_e64 s0, 0x387fffff, v4
                                        ; implicit-def: $vgpr3
	s_and_saveexec_b32 s20, s0
	s_delay_alu instid0(SALU_CYCLE_1)
	s_xor_b32 s0, exec_lo, s20
; %bb.1730:
	v_bfe_u32 v3, v2, 21, 1
	s_delay_alu instid0(VALU_DEP_1) | instskip(NEXT) | instid1(VALU_DEP_1)
	v_add3_u32 v3, v2, v3, 0x80fffff
	v_lshrrev_b32_e32 v3, 21, v3
; %bb.1731:
	s_and_not1_saveexec_b32 s0, s0
; %bb.1732:
	v_add_f32_e64 v3, 0x43000000, |v2|
; %bb.1733:
	s_or_b32 exec_lo, exec_lo, s0
                                        ; implicit-def: $vgpr4
.LBB232_1734:
	s_and_not1_saveexec_b32 s19, s19
; %bb.1735:
	v_mov_b32_e32 v3, 0x7f
	v_cmp_lt_u32_e64 s0, 0x7f800000, v4
	s_delay_alu instid0(VALU_DEP_1)
	v_cndmask_b32_e64 v3, 0x7c, v3, s0
; %bb.1736:
	s_or_b32 exec_lo, exec_lo, s19
	v_lshrrev_b32_e32 v2, 24, v2
	s_delay_alu instid0(VALU_DEP_1)
	v_and_or_b32 v6, 0x80, v2, v3
                                        ; implicit-def: $vgpr2_vgpr3
.LBB232_1737:
	s_and_not1_saveexec_b32 s18, s18
	s_cbranch_execz .LBB232_1747
; %bb.1738:
	flat_load_u8 v2, v[2:3]
	s_mov_b32 s19, exec_lo
                                        ; implicit-def: $vgpr6
	s_wait_loadcnt_dscnt 0x0
	v_cvt_f32_ubyte0_e32 v2, v2
	s_delay_alu instid0(VALU_DEP_1)
	v_cmpx_gt_u32_e32 0x47800000, v2
	s_xor_b32 s19, exec_lo, s19
	s_cbranch_execz .LBB232_1744
; %bb.1739:
	v_cmp_lt_u32_e64 s0, 0x387fffff, v2
                                        ; implicit-def: $vgpr6
	s_and_saveexec_b32 s20, s0
	s_delay_alu instid0(SALU_CYCLE_1)
	s_xor_b32 s0, exec_lo, s20
; %bb.1740:
	v_bfe_u32 v3, v2, 21, 1
	s_delay_alu instid0(VALU_DEP_1) | instskip(NEXT) | instid1(VALU_DEP_1)
	v_add3_u32 v2, v2, v3, 0x80fffff
	v_lshrrev_b32_e32 v6, 21, v2
                                        ; implicit-def: $vgpr2
; %bb.1741:
	s_and_not1_saveexec_b32 s0, s0
; %bb.1742:
	v_add_f32_e32 v6, 0x43000000, v2
; %bb.1743:
	s_or_b32 exec_lo, exec_lo, s0
                                        ; implicit-def: $vgpr2
.LBB232_1744:
	s_and_not1_saveexec_b32 s19, s19
; %bb.1745:
	v_mov_b32_e32 v3, 0x7f
	v_cmp_lt_u32_e64 s0, 0x7f800000, v2
	s_delay_alu instid0(VALU_DEP_1)
	v_cndmask_b32_e64 v6, 0x7c, v3, s0
; %bb.1746:
	s_or_b32 exec_lo, exec_lo, s19
.LBB232_1747:
	s_delay_alu instid0(SALU_CYCLE_1)
	s_or_b32 exec_lo, exec_lo, s18
.LBB232_1748:
	s_delay_alu instid0(SALU_CYCLE_1)
	s_or_b32 exec_lo, exec_lo, s17
.LBB232_1749:
	s_delay_alu instid0(SALU_CYCLE_1) | instskip(NEXT) | instid1(SALU_CYCLE_1)
	s_or_b32 exec_lo, exec_lo, s16
	s_or_b32 s2, s2, exec_lo
.LBB232_1750:
	s_or_b32 exec_lo, exec_lo, s1
	s_mov_b32 s0, 0
	s_mov_b32 s18, 0
                                        ; implicit-def: $sgpr1
                                        ; implicit-def: $vgpr12_vgpr13
                                        ; implicit-def: $vgpr9
	s_and_saveexec_b32 s16, s2
	s_cbranch_execz .LBB232_2046
; %bb.1751:
	scratch_load_u8 v9, off, off offset:40
	v_mul_lo_u32 v2, v14, v16
	s_mov_b32 s19, 0
	s_mov_b32 s17, s13
	s_mov_b32 s1, exec_lo
	s_delay_alu instid0(VALU_DEP_1) | instskip(NEXT) | instid1(VALU_DEP_1)
	v_ashrrev_i32_e32 v3, 31, v2
	v_add_nc_u64_e32 v[4:5], v[0:1], v[2:3]
	s_wait_loadcnt 0x0
	v_cmpx_lt_i16_e32 10, v9
	s_xor_b32 s2, exec_lo, s1
	s_cbranch_execz .LBB232_1792
; %bb.1752:
	s_mov_b32 s17, 0
	s_mov_b32 s1, 0
	s_mov_b32 s19, exec_lo
	v_cmpx_lt_i16_e32 25, v9
	s_xor_b32 s19, exec_lo, s19
	s_cbranch_execz .LBB232_2546
; %bb.1753:
	s_mov_b32 s20, 0
	s_mov_b32 s17, exec_lo
	v_cmpx_lt_i16_e32 28, v9
	s_xor_b32 s17, exec_lo, s17
	s_cbranch_execz .LBB232_1771
; %bb.1754:
	;; [unrolled: 6-line block ×4, first 2 shown]
	s_mov_b32 s23, -1
	s_mov_b32 s22, exec_lo
	v_cmpx_eq_u16_e32 46, v9
	s_cbranch_execz .LBB232_1758
; %bb.1757:
	v_cndmask_b32_e64 v3, 0, 1.0, vcc_lo
	s_mov_b32 s21, exec_lo
	s_xor_b32 s23, exec_lo, -1
	s_delay_alu instid0(VALU_DEP_1) | instskip(NEXT) | instid1(VALU_DEP_1)
	v_bfe_u32 v10, v3, 16, 1
	v_add3_u32 v3, v3, v10, 0x7fff
	s_delay_alu instid0(VALU_DEP_1)
	v_lshrrev_b32_e32 v3, 16, v3
	flat_store_b32 v[4:5], v3
.LBB232_1758:
	s_wait_xcnt 0x0
	s_or_b32 exec_lo, exec_lo, s22
	s_delay_alu instid0(SALU_CYCLE_1)
	s_and_b32 s22, s21, exec_lo
	s_and_b32 s21, s23, exec_lo
.LBB232_1759:
	s_and_not1_saveexec_b32 s23, s1
	s_cbranch_execz .LBB232_1765
; %bb.1760:
	s_mov_b32 s1, -1
	s_mov_b32 s25, s22
	s_mov_b32 s24, exec_lo
	v_cmpx_eq_u16_e32 44, v9
	s_cbranch_execz .LBB232_1764
; %bb.1761:
	v_cndmask_b32_e64 v12, 0, 1.0, vcc_lo
	s_mov_b32 s25, exec_lo
	s_delay_alu instid0(VALU_DEP_1) | instskip(NEXT) | instid1(VALU_DEP_1)
	v_dual_mov_b32 v10, 0xff :: v_dual_lshrrev_b32 v3, 23, v12
	v_cmpx_ne_u32_e32 0xff, v3
; %bb.1762:
	v_and_b32_e32 v10, 0x400000, v12
	v_and_or_b32 v12, 0x3fffff, v12, v3
	s_delay_alu instid0(VALU_DEP_2) | instskip(NEXT) | instid1(VALU_DEP_2)
	v_cmp_ne_u32_e64 s0, 0, v10
	v_cmp_ne_u32_e64 s1, 0, v12
	s_and_b32 s0, s0, s1
	s_delay_alu instid0(SALU_CYCLE_1) | instskip(NEXT) | instid1(VALU_DEP_1)
	v_cndmask_b32_e64 v10, 0, 1, s0
	v_add_nc_u32_e32 v10, v3, v10
; %bb.1763:
	s_or_b32 exec_lo, exec_lo, s25
	s_delay_alu instid0(SALU_CYCLE_1)
	s_or_b32 s25, s22, exec_lo
	s_xor_b32 s1, exec_lo, -1
	flat_store_b8 v[4:5], v10
.LBB232_1764:
	s_wait_xcnt 0x0
	s_or_b32 exec_lo, exec_lo, s24
	s_delay_alu instid0(SALU_CYCLE_1)
	s_and_not1_b32 s0, s22, exec_lo
	s_and_b32 s22, s25, exec_lo
	s_and_not1_b32 s21, s21, exec_lo
	s_and_b32 s1, s1, exec_lo
	s_or_b32 s22, s0, s22
	s_or_b32 s21, s21, s1
.LBB232_1765:
	s_or_b32 exec_lo, exec_lo, s23
	s_delay_alu instid0(SALU_CYCLE_1)
	s_and_b32 s1, s22, exec_lo
	s_and_b32 s21, s21, exec_lo
.LBB232_1766:
	s_and_not1_saveexec_b32 s20, s20
	s_cbranch_execz .LBB232_1770
; %bb.1767:
	s_mov_b32 s22, -1
	s_mov_b32 s24, s1
	s_mov_b32 s23, exec_lo
	v_cmpx_eq_u16_e32 29, v9
	s_cbranch_execz .LBB232_1769
; %bb.1768:
	s_mov_b32 s0, 0
	v_cndmask_b32_e64 v12, 0, 1, vcc_lo
	v_mov_b32_e32 v13, s0
	s_or_b32 s24, s1, exec_lo
	s_xor_b32 s22, exec_lo, -1
	flat_store_b64 v[4:5], v[12:13]
.LBB232_1769:
	s_wait_xcnt 0x0
	s_or_b32 exec_lo, exec_lo, s23
	s_delay_alu instid0(SALU_CYCLE_1)
	s_and_not1_b32 s0, s1, exec_lo
	s_and_b32 s1, s24, exec_lo
	s_and_not1_b32 s21, s21, exec_lo
	s_and_b32 s22, s22, exec_lo
	s_or_b32 s1, s0, s1
	s_or_b32 s21, s21, s22
.LBB232_1770:
	s_or_b32 exec_lo, exec_lo, s20
	s_delay_alu instid0(SALU_CYCLE_1)
	s_and_b32 s1, s1, exec_lo
	s_and_b32 s20, s21, exec_lo
.LBB232_1771:
	s_and_not1_saveexec_b32 s17, s17
	s_cbranch_execz .LBB232_1787
; %bb.1772:
	s_mov_b32 s21, exec_lo
	v_cmpx_lt_i16_e32 26, v9
	s_xor_b32 s21, exec_lo, s21
	s_cbranch_execz .LBB232_1778
; %bb.1773:
	v_cmp_lt_i16_e64 s0, 27, v9
	s_and_saveexec_b32 s22, s0
	s_delay_alu instid0(SALU_CYCLE_1)
	s_xor_b32 s0, exec_lo, s22
	s_cbranch_execz .LBB232_1775
; %bb.1774:
	v_cndmask_b32_e64 v3, 0, 1, vcc_lo
	flat_store_b32 v[4:5], v3
.LBB232_1775:
	s_wait_xcnt 0x0
	s_and_not1_saveexec_b32 s0, s0
	s_cbranch_execz .LBB232_1777
; %bb.1776:
	v_cndmask_b32_e64 v3, 0, 1, vcc_lo
	flat_store_b16 v[4:5], v3
.LBB232_1777:
	s_wait_xcnt 0x0
	s_or_b32 exec_lo, exec_lo, s0
.LBB232_1778:
	s_and_not1_saveexec_b32 s21, s21
	s_cbranch_execz .LBB232_1786
; %bb.1779:
	v_cndmask_b32_e64 v10, 0, 1.0, vcc_lo
	v_mov_b32_e32 v12, 0x80
	s_mov_b32 s22, exec_lo
	s_delay_alu instid0(VALU_DEP_2)
	v_cmpx_gt_u32_e32 0x43800000, v10
	s_cbranch_execz .LBB232_1785
; %bb.1780:
	v_cmp_lt_u32_e64 s0, 0x3bffffff, v10
	s_mov_b32 s23, 0
                                        ; implicit-def: $vgpr3
	s_and_saveexec_b32 s24, s0
	s_delay_alu instid0(SALU_CYCLE_1)
	s_xor_b32 s0, exec_lo, s24
	s_cbranch_execz .LBB232_2740
; %bb.1781:
	v_bfe_u32 v3, v10, 20, 1
	s_mov_b32 s23, exec_lo
	s_delay_alu instid0(VALU_DEP_1) | instskip(NEXT) | instid1(VALU_DEP_1)
	v_add3_u32 v3, v10, v3, 0x487ffff
                                        ; implicit-def: $vgpr10
	v_lshrrev_b32_e32 v3, 20, v3
	s_and_not1_saveexec_b32 s24, s0
	s_cbranch_execnz .LBB232_2741
.LBB232_1782:
	s_or_b32 exec_lo, exec_lo, s24
	v_mov_b32_e32 v12, 0
	s_and_saveexec_b32 s0, s23
.LBB232_1783:
	v_mov_b32_e32 v12, v3
.LBB232_1784:
	s_or_b32 exec_lo, exec_lo, s0
.LBB232_1785:
	s_delay_alu instid0(SALU_CYCLE_1)
	s_or_b32 exec_lo, exec_lo, s22
	flat_store_b8 v[4:5], v12
.LBB232_1786:
	s_wait_xcnt 0x0
	s_or_b32 exec_lo, exec_lo, s21
	s_delay_alu instid0(SALU_CYCLE_1)
	s_or_b32 s1, s1, exec_lo
.LBB232_1787:
	s_or_b32 exec_lo, exec_lo, s17
	s_delay_alu instid0(SALU_CYCLE_1)
	s_and_b32 s1, s1, exec_lo
	s_and_b32 s17, s20, exec_lo
	s_and_not1_saveexec_b32 s19, s19
	s_cbranch_execnz .LBB232_2547
.LBB232_1788:
	s_or_b32 exec_lo, exec_lo, s19
	s_mov_b32 s0, s13
	s_and_saveexec_b32 s19, s17
	s_cbranch_execnz .LBB232_2588
.LBB232_1789:
	s_or_b32 exec_lo, exec_lo, s19
	s_and_saveexec_b32 s17, s18
	s_delay_alu instid0(SALU_CYCLE_1)
	s_xor_b32 s17, exec_lo, s17
	s_cbranch_execz .LBB232_1791
.LBB232_1790:
	v_cndmask_b32_e64 v3, 0, 1, vcc_lo
	s_or_b32 s1, s1, exec_lo
	flat_store_b8 v[4:5], v3
.LBB232_1791:
	s_wait_xcnt 0x0
	s_or_b32 exec_lo, exec_lo, s17
	s_delay_alu instid0(SALU_CYCLE_1)
	s_and_not1_b32 s17, s13, exec_lo
	s_and_b32 s0, s0, exec_lo
	s_and_b32 s19, s1, exec_lo
	s_or_b32 s17, s17, s0
                                        ; implicit-def: $vgpr4_vgpr5
.LBB232_1792:
	s_and_not1_saveexec_b32 s1, s2
	s_cbranch_execz .LBB232_1834
; %bb.1793:
	s_mov_b32 s2, exec_lo
	v_cmpx_lt_i16_e32 4, v9
	s_xor_b32 s2, exec_lo, s2
	s_cbranch_execz .LBB232_1815
; %bb.1794:
	s_mov_b32 s18, exec_lo
	v_cmpx_lt_i16_e32 7, v9
	s_xor_b32 s18, exec_lo, s18
	;; [unrolled: 5-line block ×3, first 2 shown]
	s_cbranch_execz .LBB232_1801
; %bb.1796:
	v_cmp_lt_i16_e64 s0, 9, v9
	s_and_saveexec_b32 s21, s0
	s_delay_alu instid0(SALU_CYCLE_1)
	s_xor_b32 s0, exec_lo, s21
	s_cbranch_execz .LBB232_1798
; %bb.1797:
	v_cndmask_b32_e64 v3, 0, 1, vcc_lo
	v_mov_b32_e32 v22, 0
	s_delay_alu instid0(VALU_DEP_2) | instskip(NEXT) | instid1(VALU_DEP_2)
	v_cvt_f64_u32_e32 v[20:21], v3
	v_mov_b32_e32 v23, v22
	flat_store_b128 v[4:5], v[20:23]
                                        ; implicit-def: $vgpr4_vgpr5
.LBB232_1798:
	s_wait_xcnt 0x0
	s_and_not1_saveexec_b32 s0, s0
	s_cbranch_execz .LBB232_1800
; %bb.1799:
	v_cndmask_b32_e64 v12, 0, 1.0, vcc_lo
	v_mov_b32_e32 v13, 0
	flat_store_b64 v[4:5], v[12:13]
.LBB232_1800:
	s_wait_xcnt 0x0
	s_or_b32 exec_lo, exec_lo, s0
                                        ; implicit-def: $vgpr4_vgpr5
.LBB232_1801:
	s_and_not1_saveexec_b32 s0, s20
	s_cbranch_execz .LBB232_1803
; %bb.1802:
	v_cndmask_b32_e64 v3, 0, 1.0, vcc_lo
	s_delay_alu instid0(VALU_DEP_1) | instskip(NEXT) | instid1(VALU_DEP_1)
	v_cvt_f16_f32_e32 v3, v3
	v_and_b32_e32 v3, 0xffff, v3
	flat_store_b32 v[4:5], v3
.LBB232_1803:
	s_wait_xcnt 0x0
	s_or_b32 exec_lo, exec_lo, s0
                                        ; implicit-def: $vgpr4_vgpr5
.LBB232_1804:
	s_and_not1_saveexec_b32 s18, s18
	s_cbranch_execz .LBB232_1814
; %bb.1805:
	s_mov_b32 s20, exec_lo
	v_cmpx_lt_i16_e32 5, v9
	s_xor_b32 s20, exec_lo, s20
	s_cbranch_execz .LBB232_1811
; %bb.1806:
	v_cmp_lt_i16_e64 s0, 6, v9
	s_and_saveexec_b32 s21, s0
	s_delay_alu instid0(SALU_CYCLE_1)
	s_xor_b32 s0, exec_lo, s21
	s_cbranch_execz .LBB232_1808
; %bb.1807:
	v_cndmask_b32_e64 v3, 0, 1, vcc_lo
	s_delay_alu instid0(VALU_DEP_1)
	v_cvt_f64_u32_e32 v[12:13], v3
	flat_store_b64 v[4:5], v[12:13]
                                        ; implicit-def: $vgpr4_vgpr5
.LBB232_1808:
	s_wait_xcnt 0x0
	s_and_not1_saveexec_b32 s0, s0
	s_cbranch_execz .LBB232_1810
; %bb.1809:
	v_cndmask_b32_e64 v3, 0, 1.0, vcc_lo
	flat_store_b32 v[4:5], v3
.LBB232_1810:
	s_wait_xcnt 0x0
	s_or_b32 exec_lo, exec_lo, s0
                                        ; implicit-def: $vgpr4_vgpr5
.LBB232_1811:
	s_and_not1_saveexec_b32 s0, s20
	s_cbranch_execz .LBB232_1813
; %bb.1812:
	v_cndmask_b32_e64 v3, 0, 1.0, vcc_lo
	s_delay_alu instid0(VALU_DEP_1)
	v_cvt_f16_f32_e32 v3, v3
	flat_store_b16 v[4:5], v3
.LBB232_1813:
	s_wait_xcnt 0x0
	s_or_b32 exec_lo, exec_lo, s0
.LBB232_1814:
	s_delay_alu instid0(SALU_CYCLE_1)
	s_or_b32 exec_lo, exec_lo, s18
                                        ; implicit-def: $vgpr4_vgpr5
.LBB232_1815:
	s_and_not1_saveexec_b32 s2, s2
	s_cbranch_execz .LBB232_1833
; %bb.1816:
	s_mov_b32 s18, exec_lo
	v_cmpx_lt_i16_e32 1, v9
	s_xor_b32 s18, exec_lo, s18
	s_cbranch_execz .LBB232_1826
; %bb.1817:
	s_mov_b32 s20, exec_lo
	v_cmpx_lt_i16_e32 2, v9
	s_xor_b32 s20, exec_lo, s20
	s_cbranch_execz .LBB232_1823
; %bb.1818:
	v_cmp_lt_i16_e64 s0, 3, v9
	s_and_saveexec_b32 s21, s0
	s_delay_alu instid0(SALU_CYCLE_1)
	s_xor_b32 s0, exec_lo, s21
	s_cbranch_execz .LBB232_1820
; %bb.1819:
	s_mov_b32 s21, 0
	v_cndmask_b32_e64 v12, 0, 1, vcc_lo
	v_mov_b32_e32 v13, s21
	flat_store_b64 v[4:5], v[12:13]
                                        ; implicit-def: $vgpr4_vgpr5
.LBB232_1820:
	s_wait_xcnt 0x0
	s_and_not1_saveexec_b32 s0, s0
	s_cbranch_execz .LBB232_1822
; %bb.1821:
	v_cndmask_b32_e64 v3, 0, 1, vcc_lo
	flat_store_b32 v[4:5], v3
.LBB232_1822:
	s_wait_xcnt 0x0
	s_or_b32 exec_lo, exec_lo, s0
                                        ; implicit-def: $vgpr4_vgpr5
.LBB232_1823:
	s_and_not1_saveexec_b32 s0, s20
	s_cbranch_execz .LBB232_1825
; %bb.1824:
	v_cndmask_b32_e64 v3, 0, 1, vcc_lo
	flat_store_b16 v[4:5], v3
.LBB232_1825:
	s_wait_xcnt 0x0
	s_or_b32 exec_lo, exec_lo, s0
                                        ; implicit-def: $vgpr4_vgpr5
.LBB232_1826:
	s_and_not1_saveexec_b32 s18, s18
	s_cbranch_execz .LBB232_1832
; %bb.1827:
	v_cmp_lt_i16_e64 s0, 0, v9
	v_cndmask_b32_e64 v3, 0, 1, vcc_lo
	s_and_saveexec_b32 s20, s0
	s_delay_alu instid0(SALU_CYCLE_1)
	s_xor_b32 s0, exec_lo, s20
	s_cbranch_execz .LBB232_1829
; %bb.1828:
	flat_store_b8 v[4:5], v3
                                        ; implicit-def: $vgpr4_vgpr5
                                        ; implicit-def: $vgpr3
.LBB232_1829:
	s_wait_xcnt 0x0
	s_and_not1_saveexec_b32 s0, s0
	s_cbranch_execz .LBB232_1831
; %bb.1830:
	flat_store_b8 v[4:5], v3
.LBB232_1831:
	s_wait_xcnt 0x0
	s_or_b32 exec_lo, exec_lo, s0
.LBB232_1832:
	s_delay_alu instid0(SALU_CYCLE_1)
	s_or_b32 exec_lo, exec_lo, s18
.LBB232_1833:
	s_delay_alu instid0(SALU_CYCLE_1) | instskip(NEXT) | instid1(SALU_CYCLE_1)
	s_or_b32 exec_lo, exec_lo, s2
	s_or_b32 s19, s19, exec_lo
.LBB232_1834:
	s_or_b32 exec_lo, exec_lo, s1
	s_mov_b32 s0, 0
	s_mov_b32 s2, 0
                                        ; implicit-def: $sgpr1
                                        ; implicit-def: $vgpr12_vgpr13
	s_and_saveexec_b32 s18, s19
	s_cbranch_execz .LBB232_2045
; %bb.1835:
	s_wait_dscnt 0x0
	v_perm_b32 v3, v18, v15, 0x5040100
	v_dual_lshlrev_b32 v10, 25, v18 :: v_dual_lshlrev_b32 v15, 25, v15
	s_movk_i32 s0, 0x7f00
	s_mov_b32 s19, s17
	s_delay_alu instid0(VALU_DEP_2) | instskip(NEXT) | instid1(VALU_DEP_2)
	v_pk_lshlrev_b16 v3, 8, v3 op_sel_hi:[0,1]
	v_dual_lshrrev_b32 v5, 4, v10 :: v_dual_lshrrev_b32 v12, 4, v15
	v_cmp_gt_u32_e32 vcc_lo, 0x8000000, v10
	s_mov_b32 s20, exec_lo
	s_delay_alu instid0(VALU_DEP_3) | instskip(SKIP_3) | instid1(VALU_DEP_3)
	v_and_b32_e32 v4, 0x7f007f00, v3
	v_bitop3_b32 v13, v3, s0, 0x7f007f00 bitop3:0x80
	v_or_b32_e32 v5, 0x70000000, v5
	s_mov_b32 s0, 0x7800000
	v_dual_lshlrev_b32 v10, 7, v14 :: v_dual_lshrrev_b32 v16, 16, v4
	v_or_b32_e32 v4, 0x70000000, v12
	s_delay_alu instid0(VALU_DEP_2) | instskip(NEXT) | instid1(VALU_DEP_3)
	v_dual_add_nc_u32 v2, v2, v10 :: v_dual_bitop2_b32 v12, 0.5, v13 bitop3:0x54
	v_dual_ashrrev_i32 v16, 16, v3 :: v_dual_bitop2_b32 v13, 0.5, v16 bitop3:0x54
	s_delay_alu instid0(VALU_DEP_3) | instskip(SKIP_1) | instid1(VALU_DEP_3)
	v_pk_mul_f32 v[4:5], v[4:5], s[0:1] op_sel_hi:[1,0]
	v_bfe_i32 v3, v3, 0, 16
	v_pk_add_f32 v[12:13], v[12:13], -0.5 op_sel_hi:[1,0]
	s_delay_alu instid0(VALU_DEP_4) | instskip(NEXT) | instid1(VALU_DEP_3)
	v_and_b32_e32 v16, 0x80000000, v16
	v_and_b32_e32 v3, 0x80000000, v3
	s_delay_alu instid0(VALU_DEP_3) | instskip(SKIP_2) | instid1(VALU_DEP_3)
	v_cndmask_b32_e32 v5, v5, v13, vcc_lo
	v_cmp_gt_u32_e32 vcc_lo, 0x8000000, v15
	v_cndmask_b32_e32 v4, v4, v12, vcc_lo
	v_or_b32_e32 v5, v16, v5
	s_delay_alu instid0(VALU_DEP_2) | instskip(NEXT) | instid1(VALU_DEP_1)
	v_or_b32_e32 v3, v3, v4
	v_cmp_eq_f32_e32 vcc_lo, v3, v5
	v_cndmask_b32_e64 v4, 0, 1, vcc_lo
	v_cmp_neq_f32_e32 vcc_lo, v3, v5
	v_cndmask_b32_e64 v3, 0, 1, vcc_lo
	v_cmp_eq_u32_e32 vcc_lo, 0, v17
	s_delay_alu instid0(VALU_DEP_2) | instskip(NEXT) | instid1(VALU_DEP_1)
	v_dual_cndmask_b32 v4, v3, v4 :: v_dual_ashrrev_i32 v3, 31, v2
	v_and_b32_e32 v12, 1, v4
	s_delay_alu instid0(VALU_DEP_2) | instskip(NEXT) | instid1(VALU_DEP_2)
	v_add_nc_u64_e32 v[4:5], v[0:1], v[2:3]
	v_cmp_eq_u32_e64 s0, 1, v12
	v_cmpx_lt_i16_e32 10, v9
	s_xor_b32 s20, exec_lo, s20
	s_cbranch_execz .LBB232_1876
; %bb.1836:
	s_mov_b32 s21, 0
	s_mov_b32 s19, 0
	s_mov_b32 s22, exec_lo
	v_cmpx_lt_i16_e32 25, v9
	s_xor_b32 s22, exec_lo, s22
	s_cbranch_execz .LBB232_2597
; %bb.1837:
	s_mov_b32 s23, 0
	s_mov_b32 s19, exec_lo
	v_cmpx_lt_i16_e32 28, v9
	s_xor_b32 s19, exec_lo, s19
	s_cbranch_execz .LBB232_1855
; %bb.1838:
	;; [unrolled: 6-line block ×4, first 2 shown]
	s_mov_b32 s26, -1
	s_mov_b32 s25, exec_lo
	v_cmpx_eq_u16_e32 46, v9
	s_cbranch_execz .LBB232_1842
; %bb.1841:
	v_cndmask_b32_e64 v3, 0, 1.0, s0
	s_mov_b32 s24, exec_lo
	s_xor_b32 s26, exec_lo, -1
	s_delay_alu instid0(VALU_DEP_1) | instskip(NEXT) | instid1(VALU_DEP_1)
	v_bfe_u32 v12, v3, 16, 1
	v_add3_u32 v3, v3, v12, 0x7fff
	s_delay_alu instid0(VALU_DEP_1)
	v_lshrrev_b32_e32 v3, 16, v3
	flat_store_b32 v[4:5], v3
.LBB232_1842:
	s_wait_xcnt 0x0
	s_or_b32 exec_lo, exec_lo, s25
	s_delay_alu instid0(SALU_CYCLE_1)
	s_and_b32 s25, s24, exec_lo
	s_and_b32 s24, s26, exec_lo
.LBB232_1843:
	s_and_not1_saveexec_b32 s26, s2
	s_cbranch_execz .LBB232_1849
; %bb.1844:
	s_mov_b32 s2, -1
	s_mov_b32 s28, s25
	s_mov_b32 s27, exec_lo
	v_cmpx_eq_u16_e32 44, v9
	s_cbranch_execz .LBB232_1848
; %bb.1845:
	v_cndmask_b32_e64 v13, 0, 1.0, s0
	s_mov_b32 s28, exec_lo
	s_delay_alu instid0(VALU_DEP_1) | instskip(NEXT) | instid1(VALU_DEP_1)
	v_dual_mov_b32 v12, 0xff :: v_dual_lshrrev_b32 v3, 23, v13
	v_cmpx_ne_u32_e32 0xff, v3
; %bb.1846:
	v_and_b32_e32 v12, 0x400000, v13
	v_and_or_b32 v13, 0x3fffff, v13, v3
	s_delay_alu instid0(VALU_DEP_2) | instskip(NEXT) | instid1(VALU_DEP_2)
	v_cmp_ne_u32_e64 s1, 0, v12
	v_cmp_ne_u32_e64 s2, 0, v13
	s_and_b32 s1, s1, s2
	s_delay_alu instid0(SALU_CYCLE_1) | instskip(NEXT) | instid1(VALU_DEP_1)
	v_cndmask_b32_e64 v12, 0, 1, s1
	v_add_nc_u32_e32 v12, v3, v12
; %bb.1847:
	s_or_b32 exec_lo, exec_lo, s28
	s_delay_alu instid0(SALU_CYCLE_1)
	s_or_b32 s28, s25, exec_lo
	s_xor_b32 s2, exec_lo, -1
	flat_store_b8 v[4:5], v12
.LBB232_1848:
	s_wait_xcnt 0x0
	s_or_b32 exec_lo, exec_lo, s27
	s_delay_alu instid0(SALU_CYCLE_1)
	s_and_not1_b32 s1, s25, exec_lo
	s_and_b32 s25, s28, exec_lo
	s_and_not1_b32 s24, s24, exec_lo
	s_and_b32 s2, s2, exec_lo
	s_or_b32 s25, s1, s25
	s_or_b32 s24, s24, s2
.LBB232_1849:
	s_or_b32 exec_lo, exec_lo, s26
	s_delay_alu instid0(SALU_CYCLE_1)
	s_and_b32 s2, s25, exec_lo
	s_and_b32 s24, s24, exec_lo
.LBB232_1850:
	s_and_not1_saveexec_b32 s23, s23
	s_cbranch_execz .LBB232_1854
; %bb.1851:
	s_mov_b32 s25, -1
	s_mov_b32 s27, s2
	s_mov_b32 s26, exec_lo
	v_cmpx_eq_u16_e32 29, v9
	s_cbranch_execz .LBB232_1853
; %bb.1852:
	s_mov_b32 s1, 0
	v_cndmask_b32_e64 v12, 0, 1, s0
	v_mov_b32_e32 v13, s1
	s_or_b32 s27, s2, exec_lo
	s_xor_b32 s25, exec_lo, -1
	flat_store_b64 v[4:5], v[12:13]
.LBB232_1853:
	s_wait_xcnt 0x0
	s_or_b32 exec_lo, exec_lo, s26
	s_delay_alu instid0(SALU_CYCLE_1)
	s_and_not1_b32 s1, s2, exec_lo
	s_and_b32 s2, s27, exec_lo
	s_and_not1_b32 s24, s24, exec_lo
	s_and_b32 s25, s25, exec_lo
	s_or_b32 s2, s1, s2
	s_or_b32 s24, s24, s25
.LBB232_1854:
	s_or_b32 exec_lo, exec_lo, s23
	s_delay_alu instid0(SALU_CYCLE_1)
	s_and_b32 s2, s2, exec_lo
	s_and_b32 s23, s24, exec_lo
.LBB232_1855:
	s_and_not1_saveexec_b32 s19, s19
	s_cbranch_execz .LBB232_1871
; %bb.1856:
	s_mov_b32 s24, exec_lo
	v_cmpx_lt_i16_e32 26, v9
	s_xor_b32 s24, exec_lo, s24
	s_cbranch_execz .LBB232_1862
; %bb.1857:
	v_cmp_lt_i16_e64 s1, 27, v9
	s_and_saveexec_b32 s25, s1
	s_delay_alu instid0(SALU_CYCLE_1)
	s_xor_b32 s1, exec_lo, s25
	s_cbranch_execz .LBB232_1859
; %bb.1858:
	v_cndmask_b32_e64 v3, 0, 1, s0
	flat_store_b32 v[4:5], v3
.LBB232_1859:
	s_wait_xcnt 0x0
	s_and_not1_saveexec_b32 s1, s1
	s_cbranch_execz .LBB232_1861
; %bb.1860:
	v_cndmask_b32_e64 v3, 0, 1, s0
	flat_store_b16 v[4:5], v3
.LBB232_1861:
	s_wait_xcnt 0x0
	s_or_b32 exec_lo, exec_lo, s1
.LBB232_1862:
	s_and_not1_saveexec_b32 s24, s24
	s_cbranch_execz .LBB232_1870
; %bb.1863:
	v_cndmask_b32_e64 v12, 0, 1.0, s0
	v_mov_b32_e32 v13, 0x80
	s_mov_b32 s25, exec_lo
	s_delay_alu instid0(VALU_DEP_2)
	v_cmpx_gt_u32_e32 0x43800000, v12
	s_cbranch_execz .LBB232_1869
; %bb.1864:
	v_cmp_lt_u32_e64 s1, 0x3bffffff, v12
	s_mov_b32 s26, 0
                                        ; implicit-def: $vgpr3
	s_and_saveexec_b32 s27, s1
	s_delay_alu instid0(SALU_CYCLE_1)
	s_xor_b32 s1, exec_lo, s27
	s_cbranch_execz .LBB232_2742
; %bb.1865:
	v_bfe_u32 v3, v12, 20, 1
	s_mov_b32 s26, exec_lo
	s_delay_alu instid0(VALU_DEP_1) | instskip(NEXT) | instid1(VALU_DEP_1)
	v_add3_u32 v3, v12, v3, 0x487ffff
                                        ; implicit-def: $vgpr12
	v_lshrrev_b32_e32 v3, 20, v3
	s_and_not1_saveexec_b32 s27, s1
	s_cbranch_execnz .LBB232_2743
.LBB232_1866:
	s_or_b32 exec_lo, exec_lo, s27
	v_mov_b32_e32 v13, 0
	s_and_saveexec_b32 s1, s26
.LBB232_1867:
	v_mov_b32_e32 v13, v3
.LBB232_1868:
	s_or_b32 exec_lo, exec_lo, s1
.LBB232_1869:
	s_delay_alu instid0(SALU_CYCLE_1)
	s_or_b32 exec_lo, exec_lo, s25
	flat_store_b8 v[4:5], v13
.LBB232_1870:
	s_wait_xcnt 0x0
	s_or_b32 exec_lo, exec_lo, s24
	s_delay_alu instid0(SALU_CYCLE_1)
	s_or_b32 s2, s2, exec_lo
.LBB232_1871:
	s_or_b32 exec_lo, exec_lo, s19
	s_delay_alu instid0(SALU_CYCLE_1)
	s_and_b32 s2, s2, exec_lo
	s_and_b32 s19, s23, exec_lo
	s_and_not1_saveexec_b32 s22, s22
	s_cbranch_execnz .LBB232_2598
.LBB232_1872:
	s_or_b32 exec_lo, exec_lo, s22
	s_mov_b32 s1, s17
	s_and_saveexec_b32 s22, s19
	s_cbranch_execnz .LBB232_2639
.LBB232_1873:
	s_or_b32 exec_lo, exec_lo, s22
	s_and_saveexec_b32 s19, s21
	s_delay_alu instid0(SALU_CYCLE_1)
	s_xor_b32 s19, exec_lo, s19
	s_cbranch_execz .LBB232_1875
.LBB232_1874:
	v_cndmask_b32_e64 v3, 0, 1, s0
	s_or_b32 s2, s2, exec_lo
	flat_store_b8 v[4:5], v3
.LBB232_1875:
	s_wait_xcnt 0x0
	s_or_b32 exec_lo, exec_lo, s19
	s_delay_alu instid0(SALU_CYCLE_1)
	s_and_not1_b32 s19, s17, exec_lo
	s_and_b32 s1, s1, exec_lo
	s_and_b32 s2, s2, exec_lo
	s_or_b32 s19, s19, s1
                                        ; implicit-def: $vgpr4_vgpr5
.LBB232_1876:
	s_and_not1_saveexec_b32 s20, s20
	s_cbranch_execz .LBB232_1918
; %bb.1877:
	s_mov_b32 s21, exec_lo
	v_cmpx_lt_i16_e32 4, v9
	s_xor_b32 s21, exec_lo, s21
	s_cbranch_execz .LBB232_1899
; %bb.1878:
	s_mov_b32 s22, exec_lo
	v_cmpx_lt_i16_e32 7, v9
	s_xor_b32 s22, exec_lo, s22
	;; [unrolled: 5-line block ×3, first 2 shown]
	s_cbranch_execz .LBB232_1885
; %bb.1880:
	v_cmp_lt_i16_e64 s1, 9, v9
	s_and_saveexec_b32 s24, s1
	s_delay_alu instid0(SALU_CYCLE_1)
	s_xor_b32 s1, exec_lo, s24
	s_cbranch_execz .LBB232_1882
; %bb.1881:
	v_cndmask_b32_e64 v3, 0, 1, s0
	v_mov_b32_e32 v14, 0
	s_delay_alu instid0(VALU_DEP_2) | instskip(NEXT) | instid1(VALU_DEP_2)
	v_cvt_f64_u32_e32 v[12:13], v3
	v_mov_b32_e32 v15, v14
	flat_store_b128 v[4:5], v[12:15]
                                        ; implicit-def: $vgpr4_vgpr5
.LBB232_1882:
	s_wait_xcnt 0x0
	s_and_not1_saveexec_b32 s1, s1
	s_cbranch_execz .LBB232_1884
; %bb.1883:
	v_cndmask_b32_e64 v12, 0, 1.0, s0
	v_mov_b32_e32 v13, 0
	flat_store_b64 v[4:5], v[12:13]
.LBB232_1884:
	s_wait_xcnt 0x0
	s_or_b32 exec_lo, exec_lo, s1
                                        ; implicit-def: $vgpr4_vgpr5
.LBB232_1885:
	s_and_not1_saveexec_b32 s1, s23
	s_cbranch_execz .LBB232_1887
; %bb.1886:
	v_cndmask_b32_e64 v3, 0, 1.0, s0
	s_delay_alu instid0(VALU_DEP_1) | instskip(NEXT) | instid1(VALU_DEP_1)
	v_cvt_f16_f32_e32 v3, v3
	v_and_b32_e32 v3, 0xffff, v3
	flat_store_b32 v[4:5], v3
.LBB232_1887:
	s_wait_xcnt 0x0
	s_or_b32 exec_lo, exec_lo, s1
                                        ; implicit-def: $vgpr4_vgpr5
.LBB232_1888:
	s_and_not1_saveexec_b32 s22, s22
	s_cbranch_execz .LBB232_1898
; %bb.1889:
	s_mov_b32 s23, exec_lo
	v_cmpx_lt_i16_e32 5, v9
	s_xor_b32 s23, exec_lo, s23
	s_cbranch_execz .LBB232_1895
; %bb.1890:
	v_cmp_lt_i16_e64 s1, 6, v9
	s_and_saveexec_b32 s24, s1
	s_delay_alu instid0(SALU_CYCLE_1)
	s_xor_b32 s1, exec_lo, s24
	s_cbranch_execz .LBB232_1892
; %bb.1891:
	v_cndmask_b32_e64 v3, 0, 1, s0
	s_delay_alu instid0(VALU_DEP_1)
	v_cvt_f64_u32_e32 v[12:13], v3
	flat_store_b64 v[4:5], v[12:13]
                                        ; implicit-def: $vgpr4_vgpr5
.LBB232_1892:
	s_wait_xcnt 0x0
	s_and_not1_saveexec_b32 s1, s1
	s_cbranch_execz .LBB232_1894
; %bb.1893:
	v_cndmask_b32_e64 v3, 0, 1.0, s0
	flat_store_b32 v[4:5], v3
.LBB232_1894:
	s_wait_xcnt 0x0
	s_or_b32 exec_lo, exec_lo, s1
                                        ; implicit-def: $vgpr4_vgpr5
.LBB232_1895:
	s_and_not1_saveexec_b32 s1, s23
	s_cbranch_execz .LBB232_1897
; %bb.1896:
	v_cndmask_b32_e64 v3, 0, 1.0, s0
	s_delay_alu instid0(VALU_DEP_1)
	v_cvt_f16_f32_e32 v3, v3
	flat_store_b16 v[4:5], v3
.LBB232_1897:
	s_wait_xcnt 0x0
	s_or_b32 exec_lo, exec_lo, s1
.LBB232_1898:
	s_delay_alu instid0(SALU_CYCLE_1)
	s_or_b32 exec_lo, exec_lo, s22
                                        ; implicit-def: $vgpr4_vgpr5
.LBB232_1899:
	s_and_not1_saveexec_b32 s21, s21
	s_cbranch_execz .LBB232_1917
; %bb.1900:
	s_mov_b32 s22, exec_lo
	v_cmpx_lt_i16_e32 1, v9
	s_xor_b32 s22, exec_lo, s22
	s_cbranch_execz .LBB232_1910
; %bb.1901:
	s_mov_b32 s23, exec_lo
	v_cmpx_lt_i16_e32 2, v9
	s_xor_b32 s23, exec_lo, s23
	s_cbranch_execz .LBB232_1907
; %bb.1902:
	v_cmp_lt_i16_e64 s1, 3, v9
	s_and_saveexec_b32 s24, s1
	s_delay_alu instid0(SALU_CYCLE_1)
	s_xor_b32 s1, exec_lo, s24
	s_cbranch_execz .LBB232_1904
; %bb.1903:
	s_mov_b32 s24, 0
	v_cndmask_b32_e64 v12, 0, 1, s0
	v_mov_b32_e32 v13, s24
	flat_store_b64 v[4:5], v[12:13]
                                        ; implicit-def: $vgpr4_vgpr5
.LBB232_1904:
	s_wait_xcnt 0x0
	s_and_not1_saveexec_b32 s1, s1
	s_cbranch_execz .LBB232_1906
; %bb.1905:
	v_cndmask_b32_e64 v3, 0, 1, s0
	flat_store_b32 v[4:5], v3
.LBB232_1906:
	s_wait_xcnt 0x0
	s_or_b32 exec_lo, exec_lo, s1
                                        ; implicit-def: $vgpr4_vgpr5
.LBB232_1907:
	s_and_not1_saveexec_b32 s1, s23
	s_cbranch_execz .LBB232_1909
; %bb.1908:
	v_cndmask_b32_e64 v3, 0, 1, s0
	flat_store_b16 v[4:5], v3
.LBB232_1909:
	s_wait_xcnt 0x0
	s_or_b32 exec_lo, exec_lo, s1
                                        ; implicit-def: $vgpr4_vgpr5
.LBB232_1910:
	s_and_not1_saveexec_b32 s22, s22
	s_cbranch_execz .LBB232_1916
; %bb.1911:
	v_cndmask_b32_e64 v3, 0, 1, s0
	s_mov_b32 s0, exec_lo
	v_cmpx_lt_i16_e32 0, v9
	s_xor_b32 s0, exec_lo, s0
	s_cbranch_execz .LBB232_1913
; %bb.1912:
	flat_store_b8 v[4:5], v3
                                        ; implicit-def: $vgpr4_vgpr5
                                        ; implicit-def: $vgpr3
.LBB232_1913:
	s_wait_xcnt 0x0
	s_and_not1_saveexec_b32 s0, s0
	s_cbranch_execz .LBB232_1915
; %bb.1914:
	flat_store_b8 v[4:5], v3
.LBB232_1915:
	s_wait_xcnt 0x0
	s_or_b32 exec_lo, exec_lo, s0
.LBB232_1916:
	s_delay_alu instid0(SALU_CYCLE_1)
	s_or_b32 exec_lo, exec_lo, s22
.LBB232_1917:
	s_delay_alu instid0(SALU_CYCLE_1) | instskip(NEXT) | instid1(SALU_CYCLE_1)
	s_or_b32 exec_lo, exec_lo, s21
	s_or_b32 s2, s2, exec_lo
.LBB232_1918:
	s_or_b32 exec_lo, exec_lo, s20
	s_mov_b32 s0, 0
	s_mov_b32 s21, 0
                                        ; implicit-def: $sgpr1
                                        ; implicit-def: $vgpr12_vgpr13
	s_and_saveexec_b32 s20, s2
	s_cbranch_execz .LBB232_2044
; %bb.1919:
	v_perm_b32 v3, v7, v11, 0x5040100
	s_movk_i32 s0, 0x7f00
	s_mov_b32 s22, 0
	s_mov_b32 s2, s19
	s_mov_b32 s21, exec_lo
	v_pk_lshlrev_b16 v3, 8, v3 op_sel_hi:[0,1]
	v_add_nc_u32_e32 v2, v2, v10
	s_delay_alu instid0(VALU_DEP_2) | instskip(SKIP_4) | instid1(VALU_DEP_3)
	v_and_b32_e32 v4, 0x7f007f00, v3
	v_lshlrev_b32_e32 v7, 25, v7
	v_bitop3_b32 v13, v3, s0, 0x7f007f00 bitop3:0x80
	v_lshlrev_b32_e32 v11, 25, v11
	s_mov_b32 s0, 0x7800000
	v_dual_lshrrev_b32 v14, 16, v4 :: v_dual_lshrrev_b32 v5, 4, v7
	s_delay_alu instid0(VALU_DEP_2) | instskip(NEXT) | instid1(VALU_DEP_1)
	v_lshrrev_b32_e32 v12, 4, v11
	v_or_b32_e32 v4, 0x70000000, v12
	v_or_b32_e32 v12, 0.5, v13
	s_delay_alu instid0(VALU_DEP_4) | instskip(SKIP_1) | instid1(VALU_DEP_2)
	v_or_b32_e32 v13, 0.5, v14
	v_or_b32_e32 v5, 0x70000000, v5
	v_pk_add_f32 v[12:13], v[12:13], -0.5 op_sel_hi:[1,0]
	s_delay_alu instid0(VALU_DEP_2) | instskip(SKIP_1) | instid1(VALU_DEP_1)
	v_pk_mul_f32 v[4:5], v[4:5], s[0:1] op_sel_hi:[1,0]
	v_cmp_gt_u32_e64 s0, 0x8000000, v7
	v_cndmask_b32_e64 v5, v5, v13, s0
	v_cmp_gt_u32_e64 s0, 0x8000000, v11
	v_ashrrev_i32_e32 v14, 16, v3
	v_bfe_i32 v3, v3, 0, 16
	s_delay_alu instid0(VALU_DEP_3) | instskip(NEXT) | instid1(VALU_DEP_3)
	v_cndmask_b32_e64 v4, v4, v12, s0
	v_and_b32_e32 v14, 0x80000000, v14
	s_delay_alu instid0(VALU_DEP_3) | instskip(NEXT) | instid1(VALU_DEP_2)
	v_and_b32_e32 v3, 0x80000000, v3
	v_or_b32_e32 v5, v14, v5
	s_delay_alu instid0(VALU_DEP_2) | instskip(NEXT) | instid1(VALU_DEP_1)
	v_or_b32_e32 v3, v3, v4
	v_cmp_eq_f32_e64 s0, v3, v5
	s_delay_alu instid0(VALU_DEP_1) | instskip(SKIP_1) | instid1(VALU_DEP_1)
	v_cndmask_b32_e64 v4, 0, 1, s0
	v_cmp_neq_f32_e64 s0, v3, v5
	v_cndmask_b32_e64 v3, 0, 1, s0
	s_delay_alu instid0(VALU_DEP_1) | instskip(NEXT) | instid1(VALU_DEP_1)
	v_dual_cndmask_b32 v4, v3, v4 :: v_dual_ashrrev_i32 v3, 31, v2
	v_and_b32_e32 v7, 1, v4
	s_delay_alu instid0(VALU_DEP_2) | instskip(NEXT) | instid1(VALU_DEP_2)
	v_add_nc_u64_e32 v[4:5], v[0:1], v[2:3]
	v_cmp_eq_u32_e64 s0, 1, v7
	v_cmpx_lt_i16_e32 10, v9
	s_xor_b32 s21, exec_lo, s21
	s_cbranch_execz .LBB232_1960
; %bb.1920:
	s_mov_b32 s23, 0
	s_mov_b32 s2, 0
	s_mov_b32 s24, exec_lo
	v_cmpx_lt_i16_e32 25, v9
	s_xor_b32 s24, exec_lo, s24
	s_cbranch_execz .LBB232_2648
; %bb.1921:
	s_mov_b32 s25, 0
	s_mov_b32 s22, exec_lo
	v_cmpx_lt_i16_e32 28, v9
	s_xor_b32 s22, exec_lo, s22
	s_cbranch_execz .LBB232_1939
; %bb.1922:
	;; [unrolled: 6-line block ×4, first 2 shown]
	s_mov_b32 s28, -1
	s_mov_b32 s27, exec_lo
	v_cmpx_eq_u16_e32 46, v9
	s_cbranch_execz .LBB232_1926
; %bb.1925:
	v_cndmask_b32_e64 v3, 0, 1.0, s0
	s_mov_b32 s26, exec_lo
	s_xor_b32 s28, exec_lo, -1
	s_delay_alu instid0(VALU_DEP_1) | instskip(NEXT) | instid1(VALU_DEP_1)
	v_bfe_u32 v7, v3, 16, 1
	v_add3_u32 v3, v3, v7, 0x7fff
	s_delay_alu instid0(VALU_DEP_1)
	v_lshrrev_b32_e32 v3, 16, v3
	flat_store_b32 v[4:5], v3
.LBB232_1926:
	s_wait_xcnt 0x0
	s_or_b32 exec_lo, exec_lo, s27
	s_delay_alu instid0(SALU_CYCLE_1)
	s_and_b32 s27, s26, exec_lo
	s_and_b32 s26, s28, exec_lo
.LBB232_1927:
	s_and_not1_saveexec_b32 s28, s2
	s_cbranch_execz .LBB232_1933
; %bb.1928:
	s_mov_b32 s2, -1
	s_mov_b32 s30, s27
	s_mov_b32 s29, exec_lo
	v_cmpx_eq_u16_e32 44, v9
	s_cbranch_execz .LBB232_1932
; %bb.1929:
	v_cndmask_b32_e64 v11, 0, 1.0, s0
	v_mov_b32_e32 v7, 0xff
	s_mov_b32 s30, exec_lo
	s_delay_alu instid0(VALU_DEP_2) | instskip(NEXT) | instid1(VALU_DEP_1)
	v_lshrrev_b32_e32 v3, 23, v11
	v_cmpx_ne_u32_e32 0xff, v3
; %bb.1930:
	v_and_b32_e32 v7, 0x400000, v11
	v_and_or_b32 v11, 0x3fffff, v11, v3
	s_delay_alu instid0(VALU_DEP_2) | instskip(NEXT) | instid1(VALU_DEP_2)
	v_cmp_ne_u32_e64 s1, 0, v7
	v_cmp_ne_u32_e64 s2, 0, v11
	s_and_b32 s1, s1, s2
	s_delay_alu instid0(SALU_CYCLE_1) | instskip(NEXT) | instid1(VALU_DEP_1)
	v_cndmask_b32_e64 v7, 0, 1, s1
	v_add_nc_u32_e32 v7, v3, v7
; %bb.1931:
	s_or_b32 exec_lo, exec_lo, s30
	s_delay_alu instid0(SALU_CYCLE_1)
	s_or_b32 s30, s27, exec_lo
	s_xor_b32 s2, exec_lo, -1
	flat_store_b8 v[4:5], v7
.LBB232_1932:
	s_wait_xcnt 0x0
	s_or_b32 exec_lo, exec_lo, s29
	s_delay_alu instid0(SALU_CYCLE_1)
	s_and_not1_b32 s1, s27, exec_lo
	s_and_b32 s27, s30, exec_lo
	s_and_not1_b32 s26, s26, exec_lo
	s_and_b32 s2, s2, exec_lo
	s_or_b32 s27, s1, s27
	s_or_b32 s26, s26, s2
.LBB232_1933:
	s_or_b32 exec_lo, exec_lo, s28
	s_delay_alu instid0(SALU_CYCLE_1)
	s_and_b32 s27, s27, exec_lo
	s_and_b32 s2, s26, exec_lo
.LBB232_1934:
	s_and_not1_saveexec_b32 s25, s25
	s_cbranch_execz .LBB232_1938
; %bb.1935:
	s_mov_b32 s26, -1
	s_mov_b32 s29, s27
	s_mov_b32 s28, exec_lo
	v_cmpx_eq_u16_e32 29, v9
	s_cbranch_execz .LBB232_1937
; %bb.1936:
	s_mov_b32 s1, 0
	v_cndmask_b32_e64 v12, 0, 1, s0
	v_mov_b32_e32 v13, s1
	s_or_b32 s29, s27, exec_lo
	s_xor_b32 s26, exec_lo, -1
	flat_store_b64 v[4:5], v[12:13]
.LBB232_1937:
	s_wait_xcnt 0x0
	s_or_b32 exec_lo, exec_lo, s28
	s_delay_alu instid0(SALU_CYCLE_1)
	s_and_not1_b32 s1, s27, exec_lo
	s_and_b32 s27, s29, exec_lo
	s_and_not1_b32 s2, s2, exec_lo
	s_and_b32 s26, s26, exec_lo
	s_or_b32 s27, s1, s27
	s_or_b32 s2, s2, s26
.LBB232_1938:
	s_or_b32 exec_lo, exec_lo, s25
	s_delay_alu instid0(SALU_CYCLE_1)
	s_and_b32 s25, s27, exec_lo
	s_and_b32 s2, s2, exec_lo
.LBB232_1939:
	s_and_not1_saveexec_b32 s22, s22
	s_cbranch_execz .LBB232_1955
; %bb.1940:
	s_mov_b32 s26, exec_lo
	v_cmpx_lt_i16_e32 26, v9
	s_xor_b32 s26, exec_lo, s26
	s_cbranch_execz .LBB232_1946
; %bb.1941:
	v_cmp_lt_i16_e64 s1, 27, v9
	s_and_saveexec_b32 s27, s1
	s_delay_alu instid0(SALU_CYCLE_1)
	s_xor_b32 s1, exec_lo, s27
	s_cbranch_execz .LBB232_1943
; %bb.1942:
	v_cndmask_b32_e64 v3, 0, 1, s0
	flat_store_b32 v[4:5], v3
.LBB232_1943:
	s_wait_xcnt 0x0
	s_and_not1_saveexec_b32 s1, s1
	s_cbranch_execz .LBB232_1945
; %bb.1944:
	v_cndmask_b32_e64 v3, 0, 1, s0
	flat_store_b16 v[4:5], v3
.LBB232_1945:
	s_wait_xcnt 0x0
	s_or_b32 exec_lo, exec_lo, s1
.LBB232_1946:
	s_and_not1_saveexec_b32 s26, s26
	s_cbranch_execz .LBB232_1954
; %bb.1947:
	v_cndmask_b32_e64 v7, 0, 1.0, s0
	v_mov_b32_e32 v11, 0x80
	s_mov_b32 s27, exec_lo
	s_delay_alu instid0(VALU_DEP_2)
	v_cmpx_gt_u32_e32 0x43800000, v7
	s_cbranch_execz .LBB232_1953
; %bb.1948:
	v_cmp_lt_u32_e64 s1, 0x3bffffff, v7
	s_mov_b32 s28, 0
                                        ; implicit-def: $vgpr3
	s_and_saveexec_b32 s29, s1
	s_delay_alu instid0(SALU_CYCLE_1)
	s_xor_b32 s1, exec_lo, s29
	s_cbranch_execz .LBB232_2746
; %bb.1949:
	v_bfe_u32 v3, v7, 20, 1
	s_mov_b32 s28, exec_lo
	s_delay_alu instid0(VALU_DEP_1) | instskip(NEXT) | instid1(VALU_DEP_1)
	v_add3_u32 v3, v7, v3, 0x487ffff
                                        ; implicit-def: $vgpr7
	v_lshrrev_b32_e32 v3, 20, v3
	s_and_not1_saveexec_b32 s29, s1
	s_cbranch_execnz .LBB232_2747
.LBB232_1950:
	s_or_b32 exec_lo, exec_lo, s29
	v_mov_b32_e32 v11, 0
	s_and_saveexec_b32 s1, s28
.LBB232_1951:
	v_mov_b32_e32 v11, v3
.LBB232_1952:
	s_or_b32 exec_lo, exec_lo, s1
.LBB232_1953:
	s_delay_alu instid0(SALU_CYCLE_1)
	s_or_b32 exec_lo, exec_lo, s27
	flat_store_b8 v[4:5], v11
.LBB232_1954:
	s_wait_xcnt 0x0
	s_or_b32 exec_lo, exec_lo, s26
	s_delay_alu instid0(SALU_CYCLE_1)
	s_or_b32 s25, s25, exec_lo
.LBB232_1955:
	s_or_b32 exec_lo, exec_lo, s22
	s_delay_alu instid0(SALU_CYCLE_1)
	s_and_b32 s22, s25, exec_lo
	s_and_b32 s2, s2, exec_lo
	s_and_not1_saveexec_b32 s24, s24
	s_cbranch_execnz .LBB232_2649
.LBB232_1956:
	s_or_b32 exec_lo, exec_lo, s24
	s_mov_b32 s1, s19
	s_and_saveexec_b32 s24, s2
	s_cbranch_execnz .LBB232_2690
.LBB232_1957:
	s_or_b32 exec_lo, exec_lo, s24
	s_and_saveexec_b32 s2, s23
	s_delay_alu instid0(SALU_CYCLE_1)
	s_xor_b32 s2, exec_lo, s2
	s_cbranch_execz .LBB232_1959
.LBB232_1958:
	v_cndmask_b32_e64 v3, 0, 1, s0
	s_or_b32 s22, s22, exec_lo
	flat_store_b8 v[4:5], v3
.LBB232_1959:
	s_wait_xcnt 0x0
	s_or_b32 exec_lo, exec_lo, s2
	s_delay_alu instid0(SALU_CYCLE_1)
	s_and_not1_b32 s2, s19, exec_lo
	s_and_b32 s1, s1, exec_lo
	s_and_b32 s22, s22, exec_lo
	s_or_b32 s2, s2, s1
                                        ; implicit-def: $vgpr4_vgpr5
.LBB232_1960:
	s_and_not1_saveexec_b32 s21, s21
	s_cbranch_execz .LBB232_2002
; %bb.1961:
	s_mov_b32 s23, exec_lo
	v_cmpx_lt_i16_e32 4, v9
	s_xor_b32 s23, exec_lo, s23
	s_cbranch_execz .LBB232_1983
; %bb.1962:
	s_mov_b32 s24, exec_lo
	v_cmpx_lt_i16_e32 7, v9
	s_xor_b32 s24, exec_lo, s24
	;; [unrolled: 5-line block ×3, first 2 shown]
	s_cbranch_execz .LBB232_1969
; %bb.1964:
	v_cmp_lt_i16_e64 s1, 9, v9
	s_and_saveexec_b32 s26, s1
	s_delay_alu instid0(SALU_CYCLE_1)
	s_xor_b32 s1, exec_lo, s26
	s_cbranch_execz .LBB232_1966
; %bb.1965:
	v_cndmask_b32_e64 v3, 0, 1, s0
	v_mov_b32_e32 v14, 0
	s_delay_alu instid0(VALU_DEP_2) | instskip(NEXT) | instid1(VALU_DEP_2)
	v_cvt_f64_u32_e32 v[12:13], v3
	v_mov_b32_e32 v15, v14
	flat_store_b128 v[4:5], v[12:15]
                                        ; implicit-def: $vgpr4_vgpr5
.LBB232_1966:
	s_wait_xcnt 0x0
	s_and_not1_saveexec_b32 s1, s1
	s_cbranch_execz .LBB232_1968
; %bb.1967:
	v_cndmask_b32_e64 v12, 0, 1.0, s0
	v_mov_b32_e32 v13, 0
	flat_store_b64 v[4:5], v[12:13]
.LBB232_1968:
	s_wait_xcnt 0x0
	s_or_b32 exec_lo, exec_lo, s1
                                        ; implicit-def: $vgpr4_vgpr5
.LBB232_1969:
	s_and_not1_saveexec_b32 s1, s25
	s_cbranch_execz .LBB232_1971
; %bb.1970:
	v_cndmask_b32_e64 v3, 0, 1.0, s0
	s_delay_alu instid0(VALU_DEP_1) | instskip(NEXT) | instid1(VALU_DEP_1)
	v_cvt_f16_f32_e32 v3, v3
	v_and_b32_e32 v3, 0xffff, v3
	flat_store_b32 v[4:5], v3
.LBB232_1971:
	s_wait_xcnt 0x0
	s_or_b32 exec_lo, exec_lo, s1
                                        ; implicit-def: $vgpr4_vgpr5
.LBB232_1972:
	s_and_not1_saveexec_b32 s24, s24
	s_cbranch_execz .LBB232_1982
; %bb.1973:
	s_mov_b32 s25, exec_lo
	v_cmpx_lt_i16_e32 5, v9
	s_xor_b32 s25, exec_lo, s25
	s_cbranch_execz .LBB232_1979
; %bb.1974:
	v_cmp_lt_i16_e64 s1, 6, v9
	s_and_saveexec_b32 s26, s1
	s_delay_alu instid0(SALU_CYCLE_1)
	s_xor_b32 s1, exec_lo, s26
	s_cbranch_execz .LBB232_1976
; %bb.1975:
	v_cndmask_b32_e64 v3, 0, 1, s0
	s_delay_alu instid0(VALU_DEP_1)
	v_cvt_f64_u32_e32 v[12:13], v3
	flat_store_b64 v[4:5], v[12:13]
                                        ; implicit-def: $vgpr4_vgpr5
.LBB232_1976:
	s_wait_xcnt 0x0
	s_and_not1_saveexec_b32 s1, s1
	s_cbranch_execz .LBB232_1978
; %bb.1977:
	v_cndmask_b32_e64 v3, 0, 1.0, s0
	flat_store_b32 v[4:5], v3
.LBB232_1978:
	s_wait_xcnt 0x0
	s_or_b32 exec_lo, exec_lo, s1
                                        ; implicit-def: $vgpr4_vgpr5
.LBB232_1979:
	s_and_not1_saveexec_b32 s1, s25
	s_cbranch_execz .LBB232_1981
; %bb.1980:
	v_cndmask_b32_e64 v3, 0, 1.0, s0
	s_delay_alu instid0(VALU_DEP_1)
	v_cvt_f16_f32_e32 v3, v3
	flat_store_b16 v[4:5], v3
.LBB232_1981:
	s_wait_xcnt 0x0
	s_or_b32 exec_lo, exec_lo, s1
.LBB232_1982:
	s_delay_alu instid0(SALU_CYCLE_1)
	s_or_b32 exec_lo, exec_lo, s24
                                        ; implicit-def: $vgpr4_vgpr5
.LBB232_1983:
	s_and_not1_saveexec_b32 s23, s23
	s_cbranch_execz .LBB232_2001
; %bb.1984:
	s_mov_b32 s24, exec_lo
	v_cmpx_lt_i16_e32 1, v9
	s_xor_b32 s24, exec_lo, s24
	s_cbranch_execz .LBB232_1994
; %bb.1985:
	s_mov_b32 s25, exec_lo
	v_cmpx_lt_i16_e32 2, v9
	s_xor_b32 s25, exec_lo, s25
	s_cbranch_execz .LBB232_1991
; %bb.1986:
	v_cmp_lt_i16_e64 s1, 3, v9
	s_and_saveexec_b32 s26, s1
	s_delay_alu instid0(SALU_CYCLE_1)
	s_xor_b32 s1, exec_lo, s26
	s_cbranch_execz .LBB232_1988
; %bb.1987:
	s_mov_b32 s26, 0
	v_cndmask_b32_e64 v12, 0, 1, s0
	v_mov_b32_e32 v13, s26
	flat_store_b64 v[4:5], v[12:13]
                                        ; implicit-def: $vgpr4_vgpr5
.LBB232_1988:
	s_wait_xcnt 0x0
	s_and_not1_saveexec_b32 s1, s1
	s_cbranch_execz .LBB232_1990
; %bb.1989:
	v_cndmask_b32_e64 v3, 0, 1, s0
	flat_store_b32 v[4:5], v3
.LBB232_1990:
	s_wait_xcnt 0x0
	s_or_b32 exec_lo, exec_lo, s1
                                        ; implicit-def: $vgpr4_vgpr5
.LBB232_1991:
	s_and_not1_saveexec_b32 s1, s25
	s_cbranch_execz .LBB232_1993
; %bb.1992:
	v_cndmask_b32_e64 v3, 0, 1, s0
	flat_store_b16 v[4:5], v3
.LBB232_1993:
	s_wait_xcnt 0x0
	s_or_b32 exec_lo, exec_lo, s1
                                        ; implicit-def: $vgpr4_vgpr5
.LBB232_1994:
	s_and_not1_saveexec_b32 s24, s24
	s_cbranch_execz .LBB232_2000
; %bb.1995:
	v_cndmask_b32_e64 v3, 0, 1, s0
	s_mov_b32 s0, exec_lo
	v_cmpx_lt_i16_e32 0, v9
	s_xor_b32 s0, exec_lo, s0
	s_cbranch_execz .LBB232_1997
; %bb.1996:
	flat_store_b8 v[4:5], v3
                                        ; implicit-def: $vgpr4_vgpr5
                                        ; implicit-def: $vgpr3
.LBB232_1997:
	s_wait_xcnt 0x0
	s_and_not1_saveexec_b32 s0, s0
	s_cbranch_execz .LBB232_1999
; %bb.1998:
	flat_store_b8 v[4:5], v3
.LBB232_1999:
	s_wait_xcnt 0x0
	s_or_b32 exec_lo, exec_lo, s0
.LBB232_2000:
	s_delay_alu instid0(SALU_CYCLE_1)
	s_or_b32 exec_lo, exec_lo, s24
.LBB232_2001:
	s_delay_alu instid0(SALU_CYCLE_1) | instskip(NEXT) | instid1(SALU_CYCLE_1)
	s_or_b32 exec_lo, exec_lo, s23
	s_or_b32 s22, s22, exec_lo
.LBB232_2002:
	s_or_b32 exec_lo, exec_lo, s21
	s_mov_b32 s0, 0
	s_mov_b32 s23, 0
                                        ; implicit-def: $sgpr1
                                        ; implicit-def: $vgpr12_vgpr13
	s_and_saveexec_b32 s21, s22
	s_cbranch_execz .LBB232_2043
; %bb.2003:
	v_perm_b32 v3, v6, v8, 0x5040100
	v_dual_lshlrev_b32 v11, 25, v6 :: v_dual_lshlrev_b32 v8, 25, v8
	s_movk_i32 s0, 0x7f00
	s_mov_b32 s23, -1
	s_delay_alu instid0(VALU_DEP_2) | instskip(NEXT) | instid1(VALU_DEP_2)
	v_pk_lshlrev_b16 v3, 8, v3 op_sel_hi:[0,1]
	v_dual_lshrrev_b32 v5, 4, v11 :: v_dual_lshrrev_b32 v6, 4, v8
	s_mov_b32 s24, s2
	s_mov_b32 s22, exec_lo
	s_delay_alu instid0(VALU_DEP_2) | instskip(SKIP_3) | instid1(VALU_DEP_3)
	v_and_b32_e32 v4, 0x7f007f00, v3
	v_bitop3_b32 v7, v3, s0, 0x7f007f00 bitop3:0x80
	v_or_b32_e32 v5, 0x70000000, v5
	s_mov_b32 s0, 0x7800000
	v_dual_add_nc_u32 v2, v2, v10 :: v_dual_lshrrev_b32 v12, 16, v4
	v_or_b32_e32 v4, 0x70000000, v6
	v_or_b32_e32 v6, 0.5, v7
	s_delay_alu instid0(VALU_DEP_3) | instskip(NEXT) | instid1(VALU_DEP_3)
	v_dual_ashrrev_i32 v12, 16, v3 :: v_dual_bitop2_b32 v7, 0.5, v12 bitop3:0x54
	v_pk_mul_f32 v[4:5], v[4:5], s[0:1] op_sel_hi:[1,0]
	v_cmp_gt_u32_e64 s0, 0x8000000, v11
	v_bfe_i32 v3, v3, 0, 16
	s_delay_alu instid0(VALU_DEP_4) | instskip(SKIP_1) | instid1(VALU_DEP_3)
	v_pk_add_f32 v[6:7], v[6:7], -0.5 op_sel_hi:[1,0]
	v_and_b32_e32 v12, 0x80000000, v12
	v_and_b32_e32 v3, 0x80000000, v3
	s_delay_alu instid0(VALU_DEP_3) | instskip(SKIP_1) | instid1(VALU_DEP_1)
	v_cndmask_b32_e64 v5, v5, v7, s0
	v_cmp_gt_u32_e64 s0, 0x8000000, v8
	v_cndmask_b32_e64 v4, v4, v6, s0
	s_delay_alu instid0(VALU_DEP_3) | instskip(NEXT) | instid1(VALU_DEP_2)
	v_or_b32_e32 v5, v12, v5
	v_or_b32_e32 v3, v3, v4
	s_delay_alu instid0(VALU_DEP_1) | instskip(NEXT) | instid1(VALU_DEP_1)
	v_cmp_eq_f32_e64 s0, v3, v5
	v_cndmask_b32_e64 v4, 0, 1, s0
	v_cmp_neq_f32_e64 s0, v3, v5
	s_delay_alu instid0(VALU_DEP_1) | instskip(SKIP_1) | instid1(VALU_DEP_1)
	v_cndmask_b32_e64 v3, 0, 1, s0
	s_mov_b32 s0, 0
	v_dual_cndmask_b32 v4, v3, v4 :: v_dual_ashrrev_i32 v3, 31, v2
	s_delay_alu instid0(VALU_DEP_1) | instskip(NEXT) | instid1(VALU_DEP_2)
	v_and_b32_e32 v4, 1, v4
	v_add_nc_u64_e32 v[12:13], v[0:1], v[2:3]
	s_delay_alu instid0(VALU_DEP_2)
	v_cmp_eq_u32_e64 s1, 1, v4
	v_cmpx_lt_i16_e32 10, v9
	s_cbranch_execz .LBB232_2042
; %bb.2004:
	s_mov_b32 s24, 0
	s_mov_b32 s23, exec_lo
	v_cmpx_lt_i16_e32 25, v9
	s_xor_b32 s23, exec_lo, s23
	s_cbranch_execz .LBB232_2695
; %bb.2005:
	s_mov_b32 s25, exec_lo
	v_cmpx_lt_i16_e32 28, v9
	s_xor_b32 s25, exec_lo, s25
	s_cbranch_execz .LBB232_2023
; %bb.2006:
	;; [unrolled: 5-line block ×3, first 2 shown]
	s_mov_b32 s27, 0
	s_mov_b32 s0, exec_lo
	v_cmpx_lt_i16_e32 45, v9
	s_xor_b32 s0, exec_lo, s0
	s_cbranch_execz .LBB232_2011
; %bb.2008:
	s_mov_b32 s28, -1
	s_mov_b32 s27, exec_lo
	v_cmpx_eq_u16_e32 46, v9
	s_cbranch_execz .LBB232_2010
; %bb.2009:
	v_cndmask_b32_e64 v0, 0, 1.0, s1
	s_xor_b32 s28, exec_lo, -1
	s_delay_alu instid0(VALU_DEP_1) | instskip(NEXT) | instid1(VALU_DEP_1)
	v_bfe_u32 v1, v0, 16, 1
	v_add3_u32 v0, v0, v1, 0x7fff
	s_delay_alu instid0(VALU_DEP_1)
	v_lshrrev_b32_e32 v0, 16, v0
	flat_store_b32 v[12:13], v0
.LBB232_2010:
	s_wait_xcnt 0x0
	s_or_b32 exec_lo, exec_lo, s27
	s_delay_alu instid0(SALU_CYCLE_1)
	s_and_b32 s27, s28, exec_lo
.LBB232_2011:
	s_and_not1_saveexec_b32 s28, s0
	s_cbranch_execz .LBB232_2017
; %bb.2012:
	s_mov_b32 s0, -1
	s_mov_b32 s29, exec_lo
	v_cmpx_eq_u16_e32 44, v9
	s_cbranch_execz .LBB232_2016
; %bb.2013:
	v_cndmask_b32_e64 v2, 0, 1.0, s1
	s_mov_b32 s30, exec_lo
	s_delay_alu instid0(VALU_DEP_1) | instskip(NEXT) | instid1(VALU_DEP_1)
	v_dual_mov_b32 v1, 0xff :: v_dual_lshrrev_b32 v0, 23, v2
	v_cmpx_ne_u32_e32 0xff, v0
; %bb.2014:
	v_and_b32_e32 v1, 0x400000, v2
	v_and_or_b32 v2, 0x3fffff, v2, v0
	s_delay_alu instid0(VALU_DEP_2) | instskip(NEXT) | instid1(VALU_DEP_2)
	v_cmp_ne_u32_e32 vcc_lo, 0, v1
	v_cmp_ne_u32_e64 s0, 0, v2
	s_and_b32 s0, vcc_lo, s0
	s_delay_alu instid0(SALU_CYCLE_1) | instskip(NEXT) | instid1(VALU_DEP_1)
	v_cndmask_b32_e64 v1, 0, 1, s0
	v_add_nc_u32_e32 v1, v0, v1
; %bb.2015:
	s_or_b32 exec_lo, exec_lo, s30
	s_delay_alu instid0(SALU_CYCLE_1)
	s_xor_b32 s0, exec_lo, -1
	flat_store_b8 v[12:13], v1
.LBB232_2016:
	s_wait_xcnt 0x0
	s_or_b32 exec_lo, exec_lo, s29
	s_delay_alu instid0(SALU_CYCLE_1) | instskip(SKIP_1) | instid1(SALU_CYCLE_1)
	s_and_not1_b32 s27, s27, exec_lo
	s_and_b32 s0, s0, exec_lo
	s_or_b32 s27, s27, s0
.LBB232_2017:
	s_or_b32 exec_lo, exec_lo, s28
	s_delay_alu instid0(SALU_CYCLE_1)
	s_and_b32 s0, s27, exec_lo
.LBB232_2018:
	s_and_not1_saveexec_b32 s26, s26
	s_cbranch_execz .LBB232_2022
; %bb.2019:
	s_mov_b32 s28, -1
	s_mov_b32 s27, exec_lo
	v_cmpx_eq_u16_e32 29, v9
	s_cbranch_execz .LBB232_2021
; %bb.2020:
	s_mov_b32 s28, 0
	v_cndmask_b32_e64 v0, 0, 1, s1
	v_mov_b32_e32 v1, s28
	s_xor_b32 s28, exec_lo, -1
	flat_store_b64 v[12:13], v[0:1]
.LBB232_2021:
	s_wait_xcnt 0x0
	s_or_b32 exec_lo, exec_lo, s27
	s_delay_alu instid0(SALU_CYCLE_1) | instskip(SKIP_1) | instid1(SALU_CYCLE_1)
	s_and_not1_b32 s0, s0, exec_lo
	s_and_b32 s27, s28, exec_lo
	s_or_b32 s0, s0, s27
.LBB232_2022:
	s_or_b32 exec_lo, exec_lo, s26
	s_delay_alu instid0(SALU_CYCLE_1)
	s_and_b32 s0, s0, exec_lo
.LBB232_2023:
	s_and_not1_saveexec_b32 s25, s25
	s_cbranch_execz .LBB232_2039
; %bb.2024:
	s_mov_b32 s26, exec_lo
	v_cmpx_lt_i16_e32 26, v9
	s_xor_b32 s26, exec_lo, s26
	s_cbranch_execz .LBB232_2030
; %bb.2025:
	v_cndmask_b32_e64 v0, 0, 1, s1
	s_mov_b32 s27, exec_lo
	v_cmpx_lt_i16_e32 27, v9
	s_xor_b32 s27, exec_lo, s27
	s_cbranch_execz .LBB232_2027
; %bb.2026:
	flat_store_b32 v[12:13], v0
                                        ; implicit-def: $vgpr0
.LBB232_2027:
	s_wait_xcnt 0x0
	s_and_not1_saveexec_b32 s27, s27
	s_cbranch_execz .LBB232_2029
; %bb.2028:
	flat_store_b16 v[12:13], v0
.LBB232_2029:
	s_wait_xcnt 0x0
	s_or_b32 exec_lo, exec_lo, s27
.LBB232_2030:
	s_and_not1_saveexec_b32 s26, s26
	s_cbranch_execz .LBB232_2038
; %bb.2031:
	v_cndmask_b32_e64 v1, 0, 1.0, s1
	v_mov_b32_e32 v2, 0x80
	s_mov_b32 s27, exec_lo
	s_delay_alu instid0(VALU_DEP_2)
	v_cmpx_gt_u32_e32 0x43800000, v1
	s_cbranch_execz .LBB232_2037
; %bb.2032:
	s_mov_b32 s28, 0
	s_mov_b32 s29, exec_lo
                                        ; implicit-def: $vgpr0
	v_cmpx_lt_u32_e32 0x3bffffff, v1
	s_xor_b32 s29, exec_lo, s29
	s_cbranch_execz .LBB232_2750
; %bb.2033:
	v_bfe_u32 v0, v1, 20, 1
	s_mov_b32 s28, exec_lo
	s_delay_alu instid0(VALU_DEP_1) | instskip(NEXT) | instid1(VALU_DEP_1)
	v_add3_u32 v0, v1, v0, 0x487ffff
                                        ; implicit-def: $vgpr1
	v_lshrrev_b32_e32 v0, 20, v0
	s_and_not1_saveexec_b32 s29, s29
	s_cbranch_execnz .LBB232_2751
.LBB232_2034:
	s_or_b32 exec_lo, exec_lo, s29
	v_mov_b32_e32 v2, 0
	s_and_saveexec_b32 s29, s28
.LBB232_2035:
	v_mov_b32_e32 v2, v0
.LBB232_2036:
	s_or_b32 exec_lo, exec_lo, s29
.LBB232_2037:
	s_delay_alu instid0(SALU_CYCLE_1)
	s_or_b32 exec_lo, exec_lo, s27
	flat_store_b8 v[12:13], v2
.LBB232_2038:
	s_wait_xcnt 0x0
	s_or_b32 exec_lo, exec_lo, s26
.LBB232_2039:
	s_delay_alu instid0(SALU_CYCLE_1) | instskip(NEXT) | instid1(SALU_CYCLE_1)
	s_or_b32 exec_lo, exec_lo, s25
	s_and_b32 s0, s0, exec_lo
	s_and_not1_saveexec_b32 s23, s23
	s_cbranch_execnz .LBB232_2696
.LBB232_2040:
	s_or_b32 exec_lo, exec_lo, s23
	s_mov_b32 s25, s2
	s_and_saveexec_b32 s23, s0
	s_cbranch_execnz .LBB232_2737
.LBB232_2041:
	s_or_b32 exec_lo, exec_lo, s23
	s_delay_alu instid0(SALU_CYCLE_1)
	s_and_not1_b32 s26, s2, exec_lo
	s_and_b32 s25, s25, exec_lo
	s_xor_b32 s23, exec_lo, -1
	s_and_b32 s0, s24, exec_lo
	s_or_b32 s24, s26, s25
.LBB232_2042:
	s_or_b32 exec_lo, exec_lo, s22
	s_delay_alu instid0(SALU_CYCLE_1)
	s_and_not1_b32 s2, s2, exec_lo
	s_and_b32 s22, s24, exec_lo
	s_and_b32 s23, s23, exec_lo
	;; [unrolled: 1-line block ×3, first 2 shown]
	s_or_b32 s2, s2, s22
.LBB232_2043:
	s_or_b32 exec_lo, exec_lo, s21
	s_delay_alu instid0(SALU_CYCLE_1)
	s_and_not1_b32 s19, s19, exec_lo
	s_and_b32 s2, s2, exec_lo
	s_and_b32 s21, s23, exec_lo
	;; [unrolled: 1-line block ×3, first 2 shown]
	s_or_b32 s19, s19, s2
.LBB232_2044:
	s_or_b32 exec_lo, exec_lo, s20
	s_delay_alu instid0(SALU_CYCLE_1)
	s_and_not1_b32 s17, s17, exec_lo
	s_and_b32 s19, s19, exec_lo
	s_and_b32 s2, s21, exec_lo
	;; [unrolled: 1-line block ×3, first 2 shown]
	s_or_b32 s17, s17, s19
.LBB232_2045:
	s_or_b32 exec_lo, exec_lo, s18
	s_delay_alu instid0(SALU_CYCLE_1)
	s_and_b32 s18, s2, exec_lo
	s_and_not1_b32 s2, s13, exec_lo
	s_and_b32 s13, s17, exec_lo
	s_and_b32 s0, s0, exec_lo
	s_or_b32 s13, s2, s13
.LBB232_2046:
	s_or_b32 exec_lo, exec_lo, s16
	s_delay_alu instid0(SALU_CYCLE_1)
	s_and_not1_b32 s2, s11, exec_lo
	s_and_b32 s11, s13, exec_lo
	s_and_b32 s16, s18, exec_lo
	s_and_b32 s0, s0, exec_lo
	s_or_b32 s11, s2, s11
.LBB232_2047:
	s_or_b32 exec_lo, exec_lo, s12
	s_delay_alu instid0(SALU_CYCLE_1)
	s_and_not1_b32 s2, s9, exec_lo
	s_and_b32 s9, s11, exec_lo
	s_and_b32 s12, s16, exec_lo
	;; [unrolled: 1-line block ×3, first 2 shown]
	s_or_b32 s9, s2, s9
.LBB232_2048:
	s_or_b32 exec_lo, exec_lo, s10
	s_delay_alu instid0(SALU_CYCLE_1)
	s_and_not1_b32 s2, s7, exec_lo
	s_and_b32 s7, s9, exec_lo
	s_and_b32 s10, s12, exec_lo
	;; [unrolled: 1-line block ×3, first 2 shown]
	s_or_b32 s7, s2, s7
.LBB232_2049:
	s_or_b32 exec_lo, exec_lo, s8
	s_delay_alu instid0(SALU_CYCLE_1)
	s_and_not1_b32 s2, s5, exec_lo
	s_and_b32 s5, s7, exec_lo
	s_and_b32 s8, s10, exec_lo
	;; [unrolled: 1-line block ×3, first 2 shown]
	s_or_b32 s5, s2, s5
.LBB232_2050:
	s_or_b32 exec_lo, exec_lo, s6
	s_delay_alu instid0(SALU_CYCLE_1)
	s_and_not1_b32 s3, s3, exec_lo
	s_and_b32 s5, s5, exec_lo
	s_and_b32 s6, s8, exec_lo
	;; [unrolled: 1-line block ×3, first 2 shown]
	s_or_b32 s3, s3, s5
.LBB232_2051:
	s_or_b32 exec_lo, exec_lo, s4
	s_delay_alu instid0(SALU_CYCLE_1)
	s_and_not1_b32 s4, s14, exec_lo
	s_and_b32 s3, s3, exec_lo
	s_and_b32 s0, s6, exec_lo
	s_and_b32 s16, s2, exec_lo
	s_or_b32 s14, s4, s3
	s_or_b32 exec_lo, exec_lo, s15
	s_and_saveexec_b32 s2, s14
	s_cbranch_execnz .LBB232_2055
.LBB232_2052:
	s_or_b32 exec_lo, exec_lo, s2
	s_and_saveexec_b32 s2, s16
	s_delay_alu instid0(SALU_CYCLE_1)
	s_xor_b32 s2, exec_lo, s2
	s_cbranch_execz .LBB232_2056
.LBB232_2053:
	s_wait_loadcnt 0x1
	v_cndmask_b32_e64 v0, 0, 1, s1
	flat_store_b8 v[12:13], v0
	s_wait_xcnt 0x0
	s_or_b32 exec_lo, exec_lo, s2
	s_and_saveexec_b32 s2, s0
	s_cbranch_execz .LBB232_2095
	s_branch .LBB232_2057
.LBB232_2054:
	s_or_b32 exec_lo, exec_lo, s15
	s_and_saveexec_b32 s2, s14
	s_cbranch_execz .LBB232_2052
.LBB232_2055:
	; divergent unreachable
	s_or_b32 exec_lo, exec_lo, s2
	s_and_saveexec_b32 s2, s16
	s_delay_alu instid0(SALU_CYCLE_1)
	s_xor_b32 s2, exec_lo, s2
	s_cbranch_execnz .LBB232_2053
.LBB232_2056:
	s_or_b32 exec_lo, exec_lo, s2
	s_and_saveexec_b32 s2, s0
	s_cbranch_execz .LBB232_2095
.LBB232_2057:
	s_mov_b32 s0, exec_lo
	v_cmpx_lt_i16_e32 4, v9
	s_xor_b32 s0, exec_lo, s0
	s_cbranch_execz .LBB232_2079
; %bb.2058:
	s_mov_b32 s2, s1
	s_mov_b32 s3, exec_lo
	v_cmpx_lt_i16_e32 7, v9
	s_xor_b32 s3, exec_lo, s3
	s_cbranch_execz .LBB232_2068
; %bb.2059:
	s_mov_b32 s4, s1
	s_mov_b32 s2, exec_lo
	v_cmpx_lt_i16_e32 8, v9
	s_xor_b32 s2, exec_lo, s2
	s_cbranch_execz .LBB232_2065
; %bb.2060:
	s_mov_b32 s4, exec_lo
	v_cmpx_lt_i16_e32 9, v9
	s_xor_b32 s4, exec_lo, s4
	s_cbranch_execz .LBB232_2062
; %bb.2061:
	s_wait_loadcnt 0x1
	v_cndmask_b32_e64 v0, 0, 1, s1
	v_mov_b32_e32 v2, 0
	s_delay_alu instid0(VALU_DEP_2) | instskip(NEXT) | instid1(VALU_DEP_2)
	v_cvt_f64_u32_e32 v[0:1], v0
	v_mov_b32_e32 v3, v2
	flat_store_b128 v[12:13], v[0:3]
.LBB232_2062:
	s_wait_xcnt 0x0
	s_and_not1_saveexec_b32 s4, s4
	s_cbranch_execz .LBB232_2064
; %bb.2063:
	s_wait_loadcnt 0x1
	v_cndmask_b32_e64 v0, 0, 1.0, s1
	v_mov_b32_e32 v1, 0
	flat_store_b64 v[12:13], v[0:1]
.LBB232_2064:
	s_wait_xcnt 0x0
	s_or_b32 exec_lo, exec_lo, s4
	s_delay_alu instid0(SALU_CYCLE_1) | instskip(SKIP_1) | instid1(SALU_CYCLE_1)
	s_and_not1_b32 s4, s1, exec_lo
	s_and_b32 s5, s1, exec_lo
	s_or_b32 s4, s4, s5
.LBB232_2065:
	s_and_not1_saveexec_b32 s2, s2
	s_cbranch_execz .LBB232_2067
; %bb.2066:
	s_wait_loadcnt 0x1
	v_cndmask_b32_e64 v0, 0, 1.0, s4
	s_delay_alu instid0(VALU_DEP_1) | instskip(NEXT) | instid1(VALU_DEP_1)
	v_cvt_f16_f32_e32 v0, v0
	v_and_b32_e32 v0, 0xffff, v0
	flat_store_b32 v[12:13], v0
.LBB232_2067:
	s_wait_xcnt 0x0
	s_or_b32 exec_lo, exec_lo, s2
	s_delay_alu instid0(SALU_CYCLE_1) | instskip(SKIP_1) | instid1(SALU_CYCLE_1)
	s_and_not1_b32 s2, s1, exec_lo
	s_and_b32 s4, s4, exec_lo
	s_or_b32 s2, s2, s4
.LBB232_2068:
	s_and_not1_saveexec_b32 s3, s3
	s_cbranch_execz .LBB232_2078
; %bb.2069:
	s_mov_b32 s5, s2
	s_mov_b32 s4, exec_lo
	v_cmpx_lt_i16_e32 5, v9
	s_xor_b32 s4, exec_lo, s4
	s_cbranch_execz .LBB232_2075
; %bb.2070:
	s_mov_b32 s5, exec_lo
	v_cmpx_lt_i16_e32 6, v9
	s_xor_b32 s5, exec_lo, s5
	s_cbranch_execz .LBB232_2072
; %bb.2071:
	s_wait_loadcnt 0x1
	v_cndmask_b32_e64 v0, 0, 1, s2
	s_delay_alu instid0(VALU_DEP_1)
	v_cvt_f64_u32_e32 v[0:1], v0
	flat_store_b64 v[12:13], v[0:1]
.LBB232_2072:
	s_wait_xcnt 0x0
	s_and_not1_saveexec_b32 s5, s5
	s_cbranch_execz .LBB232_2074
; %bb.2073:
	s_wait_loadcnt 0x1
	v_cndmask_b32_e64 v0, 0, 1.0, s2
	flat_store_b32 v[12:13], v0
.LBB232_2074:
	s_wait_xcnt 0x0
	s_or_b32 exec_lo, exec_lo, s5
	s_delay_alu instid0(SALU_CYCLE_1) | instskip(SKIP_1) | instid1(SALU_CYCLE_1)
	s_and_not1_b32 s5, s2, exec_lo
	s_and_b32 s6, s2, exec_lo
	s_or_b32 s5, s5, s6
.LBB232_2075:
	s_and_not1_saveexec_b32 s4, s4
	s_cbranch_execz .LBB232_2077
; %bb.2076:
	s_wait_loadcnt 0x1
	v_cndmask_b32_e64 v0, 0, 1.0, s5
	s_delay_alu instid0(VALU_DEP_1)
	v_cvt_f16_f32_e32 v0, v0
	flat_store_b16 v[12:13], v0
.LBB232_2077:
	s_wait_xcnt 0x0
	s_or_b32 exec_lo, exec_lo, s4
	s_delay_alu instid0(SALU_CYCLE_1) | instskip(SKIP_1) | instid1(SALU_CYCLE_1)
	s_and_not1_b32 s2, s2, exec_lo
	s_and_b32 s4, s5, exec_lo
	s_or_b32 s2, s2, s4
.LBB232_2078:
	s_or_b32 exec_lo, exec_lo, s3
	s_delay_alu instid0(SALU_CYCLE_1) | instskip(SKIP_1) | instid1(SALU_CYCLE_1)
	s_and_not1_b32 s1, s1, exec_lo
	s_and_b32 s2, s2, exec_lo
	s_or_b32 s1, s1, s2
.LBB232_2079:
	s_and_not1_saveexec_b32 s0, s0
	s_cbranch_execz .LBB232_2095
; %bb.2080:
	s_mov_b32 s0, exec_lo
	v_cmpx_lt_i16_e32 1, v9
	s_xor_b32 s0, exec_lo, s0
	s_cbranch_execz .LBB232_2090
; %bb.2081:
	s_mov_b32 s3, s1
	s_mov_b32 s2, exec_lo
	v_cmpx_lt_i16_e32 2, v9
	s_xor_b32 s2, exec_lo, s2
	s_cbranch_execz .LBB232_2087
; %bb.2082:
	s_wait_loadcnt 0x1
	v_cndmask_b32_e64 v0, 0, 1, s1
	s_mov_b32 s3, exec_lo
	v_cmpx_lt_i16_e32 3, v9
	s_xor_b32 s3, exec_lo, s3
	s_cbranch_execz .LBB232_2084
; %bb.2083:
	s_mov_b32 s4, 0
	s_delay_alu instid0(SALU_CYCLE_1)
	v_mov_b32_e32 v1, s4
	flat_store_b64 v[12:13], v[0:1]
                                        ; implicit-def: $vgpr12_vgpr13
                                        ; implicit-def: $vgpr0
.LBB232_2084:
	s_wait_xcnt 0x0
	s_and_not1_saveexec_b32 s3, s3
	s_cbranch_execz .LBB232_2086
; %bb.2085:
	flat_store_b32 v[12:13], v0
.LBB232_2086:
	s_wait_xcnt 0x0
	s_or_b32 exec_lo, exec_lo, s3
	s_delay_alu instid0(SALU_CYCLE_1) | instskip(SKIP_1) | instid1(SALU_CYCLE_1)
	s_and_not1_b32 s3, s1, exec_lo
	s_and_b32 s4, s1, exec_lo
                                        ; implicit-def: $vgpr12_vgpr13
	s_or_b32 s3, s3, s4
.LBB232_2087:
	s_and_not1_saveexec_b32 s2, s2
	s_cbranch_execz .LBB232_2089
; %bb.2088:
	s_wait_loadcnt 0x1
	v_cndmask_b32_e64 v0, 0, 1, s3
	flat_store_b16 v[12:13], v0
.LBB232_2089:
	s_wait_xcnt 0x0
	s_or_b32 exec_lo, exec_lo, s2
	s_delay_alu instid0(SALU_CYCLE_1) | instskip(SKIP_1) | instid1(SALU_CYCLE_1)
	s_and_not1_b32 s1, s1, exec_lo
	s_and_b32 s2, s3, exec_lo
                                        ; implicit-def: $vgpr12_vgpr13
	s_or_b32 s1, s1, s2
.LBB232_2090:
	s_and_not1_saveexec_b32 s0, s0
	s_cbranch_execz .LBB232_2095
; %bb.2091:
	s_wait_loadcnt 0x1
	v_cndmask_b32_e64 v0, 0, 1, s1
	s_mov_b32 s0, exec_lo
	v_cmpx_lt_i16_e32 0, v9
	s_xor_b32 s0, exec_lo, s0
	s_cbranch_execz .LBB232_2093
; %bb.2092:
	flat_store_b8 v[12:13], v0
                                        ; implicit-def: $vgpr12_vgpr13
                                        ; implicit-def: $vgpr0
.LBB232_2093:
	s_wait_xcnt 0x0
	s_and_not1_saveexec_b32 s0, s0
	s_cbranch_execz .LBB232_2095
; %bb.2094:
	flat_store_b8 v[12:13], v0
	s_endpgm
.LBB232_2095:
	s_endpgm
.LBB232_2096:
	s_and_not1_saveexec_b32 s2, s2
	s_cbranch_execz .LBB232_84
.LBB232_2097:
	s_mov_b32 s4, exec_lo
	v_cmpx_lt_i16_e32 4, v2
	s_xor_b32 s4, exec_lo, s4
	s_cbranch_execz .LBB232_2119
; %bb.2098:
	s_mov_b32 s5, exec_lo
	v_cmpx_lt_i16_e32 7, v2
	s_xor_b32 s5, exec_lo, s5
	s_cbranch_execz .LBB232_2108
; %bb.2099:
	;; [unrolled: 5-line block ×3, first 2 shown]
	v_cmp_lt_i16_e64 s0, 9, v2
	s_and_saveexec_b32 s7, s0
	s_delay_alu instid0(SALU_CYCLE_1)
	s_xor_b32 s0, exec_lo, s7
	s_cbranch_execz .LBB232_2102
; %bb.2101:
	v_cndmask_b32_e64 v2, 0, 1, vcc_lo
	v_mov_b32_e32 v4, 0
	s_delay_alu instid0(VALU_DEP_2) | instskip(NEXT) | instid1(VALU_DEP_2)
	v_cvt_f64_u32_e32 v[2:3], v2
	v_mov_b32_e32 v5, v4
	flat_store_b128 v[0:1], v[2:5]
                                        ; implicit-def: $vgpr0_vgpr1
.LBB232_2102:
	s_wait_xcnt 0x0
	s_and_not1_saveexec_b32 s0, s0
	s_cbranch_execz .LBB232_2104
; %bb.2103:
	v_cndmask_b32_e64 v2, 0, 1.0, vcc_lo
	v_mov_b32_e32 v3, 0
	flat_store_b64 v[0:1], v[2:3]
.LBB232_2104:
	s_wait_xcnt 0x0
	s_or_b32 exec_lo, exec_lo, s0
                                        ; implicit-def: $vgpr0_vgpr1
.LBB232_2105:
	s_and_not1_saveexec_b32 s0, s6
	s_cbranch_execz .LBB232_2107
; %bb.2106:
	v_cndmask_b32_e64 v2, 0, 1.0, vcc_lo
	s_delay_alu instid0(VALU_DEP_1) | instskip(NEXT) | instid1(VALU_DEP_1)
	v_cvt_f16_f32_e32 v2, v2
	v_and_b32_e32 v2, 0xffff, v2
	flat_store_b32 v[0:1], v2
.LBB232_2107:
	s_wait_xcnt 0x0
	s_or_b32 exec_lo, exec_lo, s0
                                        ; implicit-def: $vgpr0_vgpr1
                                        ; implicit-def: $vgpr2
.LBB232_2108:
	s_and_not1_saveexec_b32 s5, s5
	s_cbranch_execz .LBB232_2118
; %bb.2109:
	s_mov_b32 s6, exec_lo
	v_cmpx_lt_i16_e32 5, v2
	s_xor_b32 s6, exec_lo, s6
	s_cbranch_execz .LBB232_2115
; %bb.2110:
	v_cmp_lt_i16_e64 s0, 6, v2
	s_and_saveexec_b32 s7, s0
	s_delay_alu instid0(SALU_CYCLE_1)
	s_xor_b32 s0, exec_lo, s7
	s_cbranch_execz .LBB232_2112
; %bb.2111:
	v_cndmask_b32_e64 v2, 0, 1, vcc_lo
	s_delay_alu instid0(VALU_DEP_1)
	v_cvt_f64_u32_e32 v[2:3], v2
	flat_store_b64 v[0:1], v[2:3]
                                        ; implicit-def: $vgpr0_vgpr1
.LBB232_2112:
	s_wait_xcnt 0x0
	s_and_not1_saveexec_b32 s0, s0
	s_cbranch_execz .LBB232_2114
; %bb.2113:
	v_cndmask_b32_e64 v2, 0, 1.0, vcc_lo
	flat_store_b32 v[0:1], v2
.LBB232_2114:
	s_wait_xcnt 0x0
	s_or_b32 exec_lo, exec_lo, s0
                                        ; implicit-def: $vgpr0_vgpr1
.LBB232_2115:
	s_and_not1_saveexec_b32 s0, s6
	s_cbranch_execz .LBB232_2117
; %bb.2116:
	v_cndmask_b32_e64 v2, 0, 1.0, vcc_lo
	s_delay_alu instid0(VALU_DEP_1)
	v_cvt_f16_f32_e32 v2, v2
	flat_store_b16 v[0:1], v2
.LBB232_2117:
	s_wait_xcnt 0x0
	s_or_b32 exec_lo, exec_lo, s0
.LBB232_2118:
	s_delay_alu instid0(SALU_CYCLE_1)
	s_or_b32 exec_lo, exec_lo, s5
                                        ; implicit-def: $vgpr2
                                        ; implicit-def: $vgpr0_vgpr1
.LBB232_2119:
	s_and_not1_saveexec_b32 s4, s4
	s_cbranch_execz .LBB232_2137
; %bb.2120:
	s_mov_b32 s5, exec_lo
	v_cmpx_lt_i16_e32 1, v2
	s_xor_b32 s5, exec_lo, s5
	s_cbranch_execz .LBB232_2130
; %bb.2121:
	s_mov_b32 s6, exec_lo
	v_cmpx_lt_i16_e32 2, v2
	s_xor_b32 s6, exec_lo, s6
	s_cbranch_execz .LBB232_2127
; %bb.2122:
	v_cmp_lt_i16_e64 s0, 3, v2
	s_and_saveexec_b32 s7, s0
	s_delay_alu instid0(SALU_CYCLE_1)
	s_xor_b32 s0, exec_lo, s7
	s_cbranch_execz .LBB232_2124
; %bb.2123:
	s_mov_b32 s7, 0
	v_cndmask_b32_e64 v2, 0, 1, vcc_lo
	v_mov_b32_e32 v3, s7
	flat_store_b64 v[0:1], v[2:3]
                                        ; implicit-def: $vgpr0_vgpr1
.LBB232_2124:
	s_wait_xcnt 0x0
	s_and_not1_saveexec_b32 s0, s0
	s_cbranch_execz .LBB232_2126
; %bb.2125:
	v_cndmask_b32_e64 v2, 0, 1, vcc_lo
	flat_store_b32 v[0:1], v2
.LBB232_2126:
	s_wait_xcnt 0x0
	s_or_b32 exec_lo, exec_lo, s0
                                        ; implicit-def: $vgpr0_vgpr1
.LBB232_2127:
	s_and_not1_saveexec_b32 s0, s6
	s_cbranch_execz .LBB232_2129
; %bb.2128:
	v_cndmask_b32_e64 v2, 0, 1, vcc_lo
	flat_store_b16 v[0:1], v2
.LBB232_2129:
	s_wait_xcnt 0x0
	s_or_b32 exec_lo, exec_lo, s0
                                        ; implicit-def: $vgpr0_vgpr1
                                        ; implicit-def: $vgpr2
.LBB232_2130:
	s_and_not1_saveexec_b32 s5, s5
	s_cbranch_execz .LBB232_2136
; %bb.2131:
	v_cmp_lt_i16_e64 s0, 0, v2
	v_cndmask_b32_e64 v2, 0, 1, vcc_lo
	s_and_saveexec_b32 s6, s0
	s_delay_alu instid0(SALU_CYCLE_1)
	s_xor_b32 s0, exec_lo, s6
	s_cbranch_execz .LBB232_2133
; %bb.2132:
	flat_store_b8 v[0:1], v2
                                        ; implicit-def: $vgpr0_vgpr1
                                        ; implicit-def: $vgpr2
.LBB232_2133:
	s_wait_xcnt 0x0
	s_and_not1_saveexec_b32 s0, s0
	s_cbranch_execz .LBB232_2135
; %bb.2134:
	flat_store_b8 v[0:1], v2
.LBB232_2135:
	s_wait_xcnt 0x0
	s_or_b32 exec_lo, exec_lo, s0
.LBB232_2136:
	s_delay_alu instid0(SALU_CYCLE_1)
	s_or_b32 exec_lo, exec_lo, s5
.LBB232_2137:
	s_delay_alu instid0(SALU_CYCLE_1) | instskip(NEXT) | instid1(SALU_CYCLE_1)
	s_or_b32 exec_lo, exec_lo, s4
	s_or_b32 s1, s1, exec_lo
	s_or_b32 exec_lo, exec_lo, s2
	s_mov_b32 s0, 0
	s_and_saveexec_b32 s2, s1
	s_cbranch_execnz .LBB232_85
	s_branch .LBB232_86
.LBB232_2138:
	s_and_not1_saveexec_b32 s3, s3
	s_cbranch_execz .LBB232_478
.LBB232_2139:
	s_mov_b32 s6, s4
	s_mov_b32 s2, exec_lo
                                        ; implicit-def: $vgpr15
	v_cmpx_lt_i16_e32 22, v20
	s_xor_b32 s2, exec_lo, s2
	s_cbranch_execz .LBB232_2171
; %bb.2140:
	s_mov_b32 s6, exec_lo
                                        ; implicit-def: $vgpr15
	v_cmpx_lt_i16_e32 23, v20
	s_xor_b32 s6, exec_lo, s6
	s_cbranch_execz .LBB232_2168
; %bb.2141:
	;; [unrolled: 6-line block ×3, first 2 shown]
	flat_load_u8 v9, v[2:3]
	s_mov_b32 s8, 0
	s_mov_b32 s9, exec_lo
	s_wait_loadcnt_dscnt 0x0
	v_cmpx_lt_i16_e32 0x7f, v9
	s_xor_b32 s9, exec_lo, s9
	s_cbranch_execz .LBB232_2481
; %bb.2143:
	s_mov_b32 s8, -1
	s_mov_b32 s10, exec_lo
	v_cmpx_eq_u16_e32 0x80, v9
; %bb.2144:
	s_xor_b32 s8, exec_lo, -1
; %bb.2145:
	s_or_b32 exec_lo, exec_lo, s10
	s_delay_alu instid0(SALU_CYCLE_1)
	s_and_b32 s8, s8, exec_lo
	s_or_saveexec_b32 s9, s9
	v_mov_b32_e32 v7, 0x7f800001
	s_xor_b32 exec_lo, exec_lo, s9
	s_cbranch_execnz .LBB232_2482
.LBB232_2146:
	s_or_b32 exec_lo, exec_lo, s9
	s_and_saveexec_b32 s9, s8
	s_cbranch_execz .LBB232_2148
.LBB232_2147:
	v_and_b32_e32 v7, 0xffff, v9
	s_delay_alu instid0(VALU_DEP_1) | instskip(SKIP_1) | instid1(VALU_DEP_2)
	v_dual_lshlrev_b32 v9, 24, v9 :: v_dual_bitop2_b32 v10, 3, v7 bitop3:0x40
	v_bfe_u32 v13, v7, 2, 5
	v_and_b32_e32 v9, 0x80000000, v9
	s_delay_alu instid0(VALU_DEP_3) | instskip(NEXT) | instid1(VALU_DEP_3)
	v_clz_i32_u32_e32 v11, v10
	v_cmp_eq_u32_e64 s0, 0, v13
	s_delay_alu instid0(VALU_DEP_2) | instskip(NEXT) | instid1(VALU_DEP_1)
	v_min_u32_e32 v11, 32, v11
	v_subrev_nc_u32_e32 v12, 29, v11
	v_sub_nc_u32_e32 v11, 30, v11
	s_delay_alu instid0(VALU_DEP_2) | instskip(NEXT) | instid1(VALU_DEP_2)
	v_lshlrev_b32_e32 v7, v12, v7
	v_cndmask_b32_e64 v11, v13, v11, s0
	s_delay_alu instid0(VALU_DEP_2) | instskip(NEXT) | instid1(VALU_DEP_1)
	v_and_b32_e32 v7, 3, v7
	v_cndmask_b32_e64 v7, v10, v7, s0
	s_delay_alu instid0(VALU_DEP_3) | instskip(NEXT) | instid1(VALU_DEP_2)
	v_lshl_add_u32 v10, v11, 23, 0x37800000
	v_lshlrev_b32_e32 v7, 21, v7
	s_delay_alu instid0(VALU_DEP_1)
	v_or3_b32 v7, v9, v10, v7
.LBB232_2148:
	s_or_b32 exec_lo, exec_lo, s9
	s_delay_alu instid0(VALU_DEP_1) | instskip(SKIP_1) | instid1(VALU_DEP_1)
	v_and_b32_e32 v10, 0x7fffffff, v7
	s_mov_b32 s8, exec_lo
                                        ; implicit-def: $vgpr9
	v_cmpx_gt_u32_e32 0x47800000, v10
	s_xor_b32 s8, exec_lo, s8
	s_cbranch_execz .LBB232_2154
; %bb.2149:
	v_cmp_lt_u32_e64 s0, 0x387fffff, v10
                                        ; implicit-def: $vgpr9
	s_and_saveexec_b32 s9, s0
	s_delay_alu instid0(SALU_CYCLE_1)
	s_xor_b32 s0, exec_lo, s9
; %bb.2150:
	v_bfe_u32 v9, v7, 21, 1
	s_delay_alu instid0(VALU_DEP_1) | instskip(NEXT) | instid1(VALU_DEP_1)
	v_add3_u32 v9, v7, v9, 0x80fffff
	v_lshrrev_b32_e32 v9, 21, v9
; %bb.2151:
	s_and_not1_saveexec_b32 s0, s0
; %bb.2152:
	v_add_f32_e64 v9, 0x43000000, |v7|
; %bb.2153:
	s_or_b32 exec_lo, exec_lo, s0
                                        ; implicit-def: $vgpr10
.LBB232_2154:
	s_and_not1_saveexec_b32 s8, s8
; %bb.2155:
	v_mov_b32_e32 v9, 0x7f
	v_cmp_lt_u32_e64 s0, 0x7f800000, v10
	s_delay_alu instid0(VALU_DEP_1)
	v_cndmask_b32_e64 v9, 0x7c, v9, s0
; %bb.2156:
	s_or_b32 exec_lo, exec_lo, s8
	v_lshrrev_b32_e32 v7, 24, v7
	s_delay_alu instid0(VALU_DEP_1)
	v_and_or_b32 v15, 0x80, v7, v9
.LBB232_2157:
	s_and_not1_saveexec_b32 s7, s7
	s_cbranch_execz .LBB232_2167
; %bb.2158:
	flat_load_u8 v7, v[2:3]
	s_mov_b32 s8, exec_lo
	s_wait_loadcnt_dscnt 0x0
	v_lshlrev_b32_e32 v7, 24, v7
	s_delay_alu instid0(VALU_DEP_1) | instskip(NEXT) | instid1(VALU_DEP_1)
	v_and_b32_e32 v9, 0x7f000000, v7
	v_clz_i32_u32_e32 v10, v9
	v_add_nc_u32_e32 v12, 0x1000000, v9
	v_cmp_ne_u32_e64 s0, 0, v9
	s_delay_alu instid0(VALU_DEP_3) | instskip(NEXT) | instid1(VALU_DEP_1)
	v_min_u32_e32 v10, 32, v10
	v_sub_nc_u32_e64 v10, v10, 4 clamp
	s_delay_alu instid0(VALU_DEP_1) | instskip(NEXT) | instid1(VALU_DEP_1)
	v_lshlrev_b32_e32 v11, v10, v9
                                        ; implicit-def: $vgpr9
	v_dual_lshlrev_b32 v10, 23, v10 :: v_dual_lshrrev_b32 v11, 4, v11
	s_delay_alu instid0(VALU_DEP_1) | instskip(NEXT) | instid1(VALU_DEP_1)
	v_dual_sub_nc_u32 v10, v11, v10 :: v_dual_ashrrev_i32 v11, 8, v12
	v_add_nc_u32_e32 v10, 0x3c000000, v10
	s_delay_alu instid0(VALU_DEP_1) | instskip(NEXT) | instid1(VALU_DEP_1)
	v_and_or_b32 v10, 0x7f800000, v11, v10
	v_cndmask_b32_e64 v11, 0, v10, s0
	s_delay_alu instid0(VALU_DEP_1) | instskip(NEXT) | instid1(VALU_DEP_1)
	v_and_or_b32 v7, 0x80000000, v7, v11
	v_and_b32_e32 v10, 0x7fffffff, v7
	s_wait_xcnt 0x0
	s_delay_alu instid0(VALU_DEP_1)
	v_cmpx_gt_u32_e32 0x47800000, v10
	s_xor_b32 s8, exec_lo, s8
	s_cbranch_execz .LBB232_2164
; %bb.2159:
	v_cmp_lt_u32_e64 s0, 0x387fffff, v10
                                        ; implicit-def: $vgpr9
	s_and_saveexec_b32 s9, s0
	s_delay_alu instid0(SALU_CYCLE_1)
	s_xor_b32 s0, exec_lo, s9
; %bb.2160:
	v_bfe_u32 v9, v11, 21, 1
	s_delay_alu instid0(VALU_DEP_1) | instskip(NEXT) | instid1(VALU_DEP_1)
	v_add3_u32 v9, v7, v9, 0x80fffff
	v_lshrrev_b32_e32 v9, 21, v9
; %bb.2161:
	s_and_not1_saveexec_b32 s0, s0
; %bb.2162:
	v_add_f32_e64 v9, 0x43000000, |v7|
; %bb.2163:
	s_or_b32 exec_lo, exec_lo, s0
                                        ; implicit-def: $vgpr10
.LBB232_2164:
	s_and_not1_saveexec_b32 s8, s8
; %bb.2165:
	v_mov_b32_e32 v9, 0x7f
	v_cmp_lt_u32_e64 s0, 0x7f800000, v10
	s_delay_alu instid0(VALU_DEP_1)
	v_cndmask_b32_e64 v9, 0x7c, v9, s0
; %bb.2166:
	s_or_b32 exec_lo, exec_lo, s8
	v_lshrrev_b32_e32 v7, 24, v7
	s_delay_alu instid0(VALU_DEP_1)
	v_and_or_b32 v15, 0x80, v7, v9
.LBB232_2167:
	s_or_b32 exec_lo, exec_lo, s7
.LBB232_2168:
	s_and_not1_saveexec_b32 s0, s6
	s_cbranch_execz .LBB232_2170
; %bb.2169:
	flat_load_u8 v15, v[2:3]
.LBB232_2170:
	s_wait_xcnt 0x0
	s_or_b32 exec_lo, exec_lo, s0
	s_delay_alu instid0(SALU_CYCLE_1)
	s_or_b32 s6, s4, exec_lo
.LBB232_2171:
	s_or_saveexec_b32 s2, s2
	s_mov_b32 s0, 0
	s_mov_b32 s7, s5
	s_xor_b32 exec_lo, exec_lo, s2
	s_cbranch_execz .LBB232_2187
; %bb.2172:
	s_mov_b32 s8, s5
	s_mov_b32 s9, s6
	s_mov_b32 s7, exec_lo
                                        ; implicit-def: $vgpr15
	v_cmpx_lt_i16_e32 14, v20
	s_xor_b32 s7, exec_lo, s7
	s_cbranch_execz .LBB232_2184
; %bb.2173:
	s_mov_b32 s9, -1
	s_mov_b32 s10, s6
	s_mov_b32 s8, exec_lo
                                        ; implicit-def: $vgpr15
	v_cmpx_eq_u16_e32 15, v20
	s_cbranch_execz .LBB232_2183
; %bb.2174:
	flat_load_u16 v7, v[2:3]
	s_mov_b32 s9, exec_lo
                                        ; implicit-def: $vgpr9
	s_wait_loadcnt_dscnt 0x0
	v_lshlrev_b32_e32 v10, 16, v7
	s_delay_alu instid0(VALU_DEP_1) | instskip(SKIP_1) | instid1(VALU_DEP_1)
	v_and_b32_e32 v11, 0x7fffffff, v10
	s_wait_xcnt 0x0
	v_cmpx_gt_u32_e32 0x47800000, v11
	s_xor_b32 s9, exec_lo, s9
	s_cbranch_execz .LBB232_2180
; %bb.2175:
	v_cmp_lt_u32_e64 s0, 0x387fffff, v11
                                        ; implicit-def: $vgpr9
	s_and_saveexec_b32 s10, s0
	s_delay_alu instid0(SALU_CYCLE_1)
	s_xor_b32 s0, exec_lo, s10
; %bb.2176:
	v_bfe_u32 v9, v7, 5, 1
	s_delay_alu instid0(VALU_DEP_1) | instskip(NEXT) | instid1(VALU_DEP_1)
	v_add3_u32 v9, v10, v9, 0x80fffff
                                        ; implicit-def: $vgpr10
	v_lshrrev_b32_e32 v9, 21, v9
; %bb.2177:
	s_and_not1_saveexec_b32 s0, s0
; %bb.2178:
	v_add_f32_e64 v9, 0x43000000, |v10|
; %bb.2179:
	s_or_b32 exec_lo, exec_lo, s0
                                        ; implicit-def: $vgpr11
.LBB232_2180:
	s_and_not1_saveexec_b32 s9, s9
; %bb.2181:
	v_mov_b32_e32 v9, 0x7f
	v_cmp_lt_u32_e64 s0, 0x7f800000, v11
	s_delay_alu instid0(VALU_DEP_1)
	v_cndmask_b32_e64 v9, 0x7c, v9, s0
; %bb.2182:
	s_or_b32 exec_lo, exec_lo, s9
	v_lshrrev_b32_e32 v7, 8, v7
	s_or_b32 s10, s6, exec_lo
	s_xor_b32 s9, exec_lo, -1
	s_delay_alu instid0(VALU_DEP_1)
	v_and_or_b32 v15, 0x80, v7, v9
.LBB232_2183:
	s_or_b32 exec_lo, exec_lo, s8
	s_delay_alu instid0(SALU_CYCLE_1)
	s_and_not1_b32 s0, s6, exec_lo
	s_and_b32 s8, s10, exec_lo
	s_and_not1_b32 s10, s5, exec_lo
	s_and_b32 s11, s9, exec_lo
	s_or_b32 s9, s0, s8
	s_or_b32 s8, s10, s11
.LBB232_2184:
	s_or_saveexec_b32 s10, s7
	s_mov_b32 s7, 0
	s_xor_b32 exec_lo, exec_lo, s10
; %bb.2185:
	v_cmp_ne_u16_e64 s0, 11, v20
	s_and_not1_b32 s8, s8, exec_lo
	s_mov_b32 s7, exec_lo
	s_and_b32 s0, s0, exec_lo
	s_delay_alu instid0(SALU_CYCLE_1)
	s_or_b32 s8, s8, s0
; %bb.2186:
	s_or_b32 exec_lo, exec_lo, s10
	s_delay_alu instid0(SALU_CYCLE_1)
	s_and_not1_b32 s0, s6, exec_lo
	s_and_b32 s6, s9, exec_lo
	s_and_not1_b32 s9, s5, exec_lo
	s_and_b32 s8, s8, exec_lo
	s_or_b32 s6, s0, s6
	s_and_b32 s0, s7, exec_lo
	s_or_b32 s7, s9, s8
.LBB232_2187:
	s_or_b32 exec_lo, exec_lo, s2
	s_delay_alu instid0(SALU_CYCLE_1)
	s_and_not1_b32 s2, s4, exec_lo
	s_and_b32 s4, s6, exec_lo
	s_and_not1_b32 s5, s5, exec_lo
	s_and_b32 s6, s7, exec_lo
	s_or_b32 s4, s2, s4
	s_and_b32 s2, s0, exec_lo
	s_or_b32 s5, s5, s6
	s_or_b32 exec_lo, exec_lo, s3
	s_mov_b32 s3, s14
	s_and_saveexec_b32 s0, s5
	s_cbranch_execz .LBB232_479
.LBB232_2188:
	s_or_b32 s3, s14, exec_lo
	s_and_not1_b32 s2, s2, exec_lo
	s_trap 2
	s_or_b32 exec_lo, exec_lo, s0
	s_and_saveexec_b32 s5, s2
	s_cbranch_execnz .LBB232_480
	s_branch .LBB232_489
.LBB232_2189:
	s_and_not1_saveexec_b32 s2, s2
	s_cbranch_execz .LBB232_171
.LBB232_2190:
	s_mov_b32 s4, exec_lo
	v_cmpx_lt_i16_e32 4, v2
	s_xor_b32 s4, exec_lo, s4
	s_cbranch_execz .LBB232_2212
; %bb.2191:
	s_mov_b32 s5, exec_lo
	v_cmpx_lt_i16_e32 7, v2
	s_xor_b32 s5, exec_lo, s5
	s_cbranch_execz .LBB232_2201
; %bb.2192:
	;; [unrolled: 5-line block ×3, first 2 shown]
	v_cmp_lt_i16_e64 s0, 9, v2
	s_and_saveexec_b32 s7, s0
	s_delay_alu instid0(SALU_CYCLE_1)
	s_xor_b32 s0, exec_lo, s7
	s_cbranch_execz .LBB232_2195
; %bb.2194:
	v_cndmask_b32_e64 v2, 0, 1, vcc_lo
	v_mov_b32_e32 v4, 0
	s_delay_alu instid0(VALU_DEP_2) | instskip(NEXT) | instid1(VALU_DEP_2)
	v_cvt_f64_u32_e32 v[2:3], v2
	v_mov_b32_e32 v5, v4
	flat_store_b128 v[0:1], v[2:5]
                                        ; implicit-def: $vgpr0_vgpr1
.LBB232_2195:
	s_wait_xcnt 0x0
	s_and_not1_saveexec_b32 s0, s0
	s_cbranch_execz .LBB232_2197
; %bb.2196:
	v_cndmask_b32_e64 v2, 0, 1.0, vcc_lo
	v_mov_b32_e32 v3, 0
	flat_store_b64 v[0:1], v[2:3]
.LBB232_2197:
	s_wait_xcnt 0x0
	s_or_b32 exec_lo, exec_lo, s0
                                        ; implicit-def: $vgpr0_vgpr1
.LBB232_2198:
	s_and_not1_saveexec_b32 s0, s6
	s_cbranch_execz .LBB232_2200
; %bb.2199:
	v_cndmask_b32_e64 v2, 0, 1.0, vcc_lo
	s_delay_alu instid0(VALU_DEP_1) | instskip(NEXT) | instid1(VALU_DEP_1)
	v_cvt_f16_f32_e32 v2, v2
	v_and_b32_e32 v2, 0xffff, v2
	flat_store_b32 v[0:1], v2
.LBB232_2200:
	s_wait_xcnt 0x0
	s_or_b32 exec_lo, exec_lo, s0
                                        ; implicit-def: $vgpr0_vgpr1
                                        ; implicit-def: $vgpr2
.LBB232_2201:
	s_and_not1_saveexec_b32 s5, s5
	s_cbranch_execz .LBB232_2211
; %bb.2202:
	s_mov_b32 s6, exec_lo
	v_cmpx_lt_i16_e32 5, v2
	s_xor_b32 s6, exec_lo, s6
	s_cbranch_execz .LBB232_2208
; %bb.2203:
	v_cmp_lt_i16_e64 s0, 6, v2
	s_and_saveexec_b32 s7, s0
	s_delay_alu instid0(SALU_CYCLE_1)
	s_xor_b32 s0, exec_lo, s7
	s_cbranch_execz .LBB232_2205
; %bb.2204:
	v_cndmask_b32_e64 v2, 0, 1, vcc_lo
	s_delay_alu instid0(VALU_DEP_1)
	v_cvt_f64_u32_e32 v[2:3], v2
	flat_store_b64 v[0:1], v[2:3]
                                        ; implicit-def: $vgpr0_vgpr1
.LBB232_2205:
	s_wait_xcnt 0x0
	s_and_not1_saveexec_b32 s0, s0
	s_cbranch_execz .LBB232_2207
; %bb.2206:
	v_cndmask_b32_e64 v2, 0, 1.0, vcc_lo
	flat_store_b32 v[0:1], v2
.LBB232_2207:
	s_wait_xcnt 0x0
	s_or_b32 exec_lo, exec_lo, s0
                                        ; implicit-def: $vgpr0_vgpr1
.LBB232_2208:
	s_and_not1_saveexec_b32 s0, s6
	s_cbranch_execz .LBB232_2210
; %bb.2209:
	v_cndmask_b32_e64 v2, 0, 1.0, vcc_lo
	s_delay_alu instid0(VALU_DEP_1)
	v_cvt_f16_f32_e32 v2, v2
	flat_store_b16 v[0:1], v2
.LBB232_2210:
	s_wait_xcnt 0x0
	s_or_b32 exec_lo, exec_lo, s0
.LBB232_2211:
	s_delay_alu instid0(SALU_CYCLE_1)
	s_or_b32 exec_lo, exec_lo, s5
                                        ; implicit-def: $vgpr2
                                        ; implicit-def: $vgpr0_vgpr1
.LBB232_2212:
	s_and_not1_saveexec_b32 s4, s4
	s_cbranch_execz .LBB232_2230
; %bb.2213:
	s_mov_b32 s5, exec_lo
	v_cmpx_lt_i16_e32 1, v2
	s_xor_b32 s5, exec_lo, s5
	s_cbranch_execz .LBB232_2223
; %bb.2214:
	s_mov_b32 s6, exec_lo
	v_cmpx_lt_i16_e32 2, v2
	s_xor_b32 s6, exec_lo, s6
	s_cbranch_execz .LBB232_2220
; %bb.2215:
	v_cmp_lt_i16_e64 s0, 3, v2
	s_and_saveexec_b32 s7, s0
	s_delay_alu instid0(SALU_CYCLE_1)
	s_xor_b32 s0, exec_lo, s7
	s_cbranch_execz .LBB232_2217
; %bb.2216:
	s_mov_b32 s7, 0
	v_cndmask_b32_e64 v2, 0, 1, vcc_lo
	v_mov_b32_e32 v3, s7
	flat_store_b64 v[0:1], v[2:3]
                                        ; implicit-def: $vgpr0_vgpr1
.LBB232_2217:
	s_wait_xcnt 0x0
	s_and_not1_saveexec_b32 s0, s0
	s_cbranch_execz .LBB232_2219
; %bb.2218:
	v_cndmask_b32_e64 v2, 0, 1, vcc_lo
	flat_store_b32 v[0:1], v2
.LBB232_2219:
	s_wait_xcnt 0x0
	s_or_b32 exec_lo, exec_lo, s0
                                        ; implicit-def: $vgpr0_vgpr1
.LBB232_2220:
	s_and_not1_saveexec_b32 s0, s6
	s_cbranch_execz .LBB232_2222
; %bb.2221:
	v_cndmask_b32_e64 v2, 0, 1, vcc_lo
	flat_store_b16 v[0:1], v2
.LBB232_2222:
	s_wait_xcnt 0x0
	s_or_b32 exec_lo, exec_lo, s0
                                        ; implicit-def: $vgpr0_vgpr1
                                        ; implicit-def: $vgpr2
.LBB232_2223:
	s_and_not1_saveexec_b32 s5, s5
	s_cbranch_execz .LBB232_2229
; %bb.2224:
	v_cmp_lt_i16_e64 s0, 0, v2
	v_cndmask_b32_e64 v2, 0, 1, vcc_lo
	s_and_saveexec_b32 s6, s0
	s_delay_alu instid0(SALU_CYCLE_1)
	s_xor_b32 s0, exec_lo, s6
	s_cbranch_execz .LBB232_2226
; %bb.2225:
	flat_store_b8 v[0:1], v2
                                        ; implicit-def: $vgpr0_vgpr1
                                        ; implicit-def: $vgpr2
.LBB232_2226:
	s_wait_xcnt 0x0
	s_and_not1_saveexec_b32 s0, s0
	s_cbranch_execz .LBB232_2228
; %bb.2227:
	flat_store_b8 v[0:1], v2
.LBB232_2228:
	s_wait_xcnt 0x0
	s_or_b32 exec_lo, exec_lo, s0
.LBB232_2229:
	s_delay_alu instid0(SALU_CYCLE_1)
	s_or_b32 exec_lo, exec_lo, s5
.LBB232_2230:
	s_delay_alu instid0(SALU_CYCLE_1) | instskip(NEXT) | instid1(SALU_CYCLE_1)
	s_or_b32 exec_lo, exec_lo, s4
	s_or_b32 s1, s1, exec_lo
	s_or_b32 exec_lo, exec_lo, s2
	s_mov_b32 s0, 0
	s_and_saveexec_b32 s2, s1
	s_cbranch_execnz .LBB232_172
	s_branch .LBB232_173
.LBB232_2231:
	s_and_not1_saveexec_b32 s5, s5
	s_cbranch_execz .LBB232_704
.LBB232_2232:
	s_mov_b32 s8, s6
	s_mov_b32 s2, exec_lo
                                        ; implicit-def: $vgpr18
	v_cmpx_lt_i16_e32 22, v19
	s_xor_b32 s2, exec_lo, s2
	s_cbranch_execz .LBB232_2264
; %bb.2233:
	s_mov_b32 s8, exec_lo
                                        ; implicit-def: $vgpr18
	v_cmpx_lt_i16_e32 23, v19
	s_xor_b32 s8, exec_lo, s8
	s_cbranch_execz .LBB232_2261
; %bb.2234:
	;; [unrolled: 6-line block ×3, first 2 shown]
	flat_load_u8 v9, v[10:11]
	s_mov_b32 s10, 0
	s_mov_b32 s11, exec_lo
	s_wait_loadcnt_dscnt 0x0
	v_cmpx_lt_i16_e32 0x7f, v9
	s_xor_b32 s11, exec_lo, s11
	s_cbranch_execz .LBB232_2538
; %bb.2236:
	s_mov_b32 s10, -1
	s_mov_b32 s12, exec_lo
	v_cmpx_eq_u16_e32 0x80, v9
; %bb.2237:
	s_xor_b32 s10, exec_lo, -1
; %bb.2238:
	s_or_b32 exec_lo, exec_lo, s12
	s_delay_alu instid0(SALU_CYCLE_1)
	s_and_b32 s10, s10, exec_lo
	s_or_saveexec_b32 s11, s11
	v_mov_b32_e32 v7, 0x7f800001
	s_xor_b32 exec_lo, exec_lo, s11
	s_cbranch_execnz .LBB232_2539
.LBB232_2239:
	s_or_b32 exec_lo, exec_lo, s11
	s_and_saveexec_b32 s11, s10
	s_cbranch_execz .LBB232_2241
.LBB232_2240:
	v_and_b32_e32 v7, 0xffff, v9
	s_delay_alu instid0(VALU_DEP_1) | instskip(SKIP_1) | instid1(VALU_DEP_2)
	v_and_b32_e32 v12, 3, v7
	v_bfe_u32 v23, v7, 2, 5
	v_clz_i32_u32_e32 v13, v12
	s_delay_alu instid0(VALU_DEP_2) | instskip(NEXT) | instid1(VALU_DEP_2)
	v_cmp_eq_u32_e64 s0, 0, v23
	v_min_u32_e32 v13, 32, v13
	s_delay_alu instid0(VALU_DEP_1) | instskip(NEXT) | instid1(VALU_DEP_1)
	v_subrev_nc_u32_e32 v18, 29, v13
	v_dual_lshlrev_b32 v7, v18, v7 :: v_dual_sub_nc_u32 v13, 30, v13
	s_delay_alu instid0(VALU_DEP_1) | instskip(NEXT) | instid1(VALU_DEP_1)
	v_dual_lshlrev_b32 v9, 24, v9 :: v_dual_bitop2_b32 v7, 3, v7 bitop3:0x40
	v_dual_cndmask_b32 v7, v12, v7, s0 :: v_dual_cndmask_b32 v13, v23, v13, s0
	s_delay_alu instid0(VALU_DEP_2) | instskip(NEXT) | instid1(VALU_DEP_2)
	v_and_b32_e32 v9, 0x80000000, v9
	v_lshlrev_b32_e32 v7, 21, v7
	s_delay_alu instid0(VALU_DEP_3) | instskip(NEXT) | instid1(VALU_DEP_1)
	v_lshl_add_u32 v12, v13, 23, 0x37800000
	v_or3_b32 v7, v9, v12, v7
.LBB232_2241:
	s_or_b32 exec_lo, exec_lo, s11
	s_delay_alu instid0(VALU_DEP_1) | instskip(SKIP_1) | instid1(VALU_DEP_1)
	v_and_b32_e32 v12, 0x7fffffff, v7
	s_mov_b32 s10, exec_lo
                                        ; implicit-def: $vgpr9
	v_cmpx_gt_u32_e32 0x47800000, v12
	s_xor_b32 s10, exec_lo, s10
	s_cbranch_execz .LBB232_2247
; %bb.2242:
	v_cmp_lt_u32_e64 s0, 0x387fffff, v12
                                        ; implicit-def: $vgpr9
	s_and_saveexec_b32 s11, s0
	s_delay_alu instid0(SALU_CYCLE_1)
	s_xor_b32 s0, exec_lo, s11
; %bb.2243:
	v_bfe_u32 v9, v7, 21, 1
	s_delay_alu instid0(VALU_DEP_1) | instskip(NEXT) | instid1(VALU_DEP_1)
	v_add3_u32 v9, v7, v9, 0x80fffff
	v_lshrrev_b32_e32 v9, 21, v9
; %bb.2244:
	s_and_not1_saveexec_b32 s0, s0
; %bb.2245:
	v_add_f32_e64 v9, 0x43000000, |v7|
; %bb.2246:
	s_or_b32 exec_lo, exec_lo, s0
                                        ; implicit-def: $vgpr12
.LBB232_2247:
	s_and_not1_saveexec_b32 s10, s10
; %bb.2248:
	v_mov_b32_e32 v9, 0x7f
	v_cmp_lt_u32_e64 s0, 0x7f800000, v12
	s_delay_alu instid0(VALU_DEP_1)
	v_cndmask_b32_e64 v9, 0x7c, v9, s0
; %bb.2249:
	s_or_b32 exec_lo, exec_lo, s10
	v_lshrrev_b32_e32 v7, 24, v7
	s_delay_alu instid0(VALU_DEP_1)
	v_and_or_b32 v18, 0x80, v7, v9
.LBB232_2250:
	s_and_not1_saveexec_b32 s9, s9
	s_cbranch_execz .LBB232_2260
; %bb.2251:
	flat_load_u8 v7, v[10:11]
	s_mov_b32 s10, exec_lo
	s_wait_loadcnt_dscnt 0x0
	v_lshlrev_b32_e32 v7, 24, v7
	s_delay_alu instid0(VALU_DEP_1) | instskip(NEXT) | instid1(VALU_DEP_1)
	v_and_b32_e32 v9, 0x7f000000, v7
	v_clz_i32_u32_e32 v12, v9
	v_add_nc_u32_e32 v18, 0x1000000, v9
	v_cmp_ne_u32_e64 s0, 0, v9
	s_delay_alu instid0(VALU_DEP_3) | instskip(NEXT) | instid1(VALU_DEP_1)
	v_min_u32_e32 v12, 32, v12
	v_sub_nc_u32_e64 v12, v12, 4 clamp
	s_delay_alu instid0(VALU_DEP_1) | instskip(NEXT) | instid1(VALU_DEP_1)
	v_lshlrev_b32_e32 v13, v12, v9
                                        ; implicit-def: $vgpr9
	v_dual_lshlrev_b32 v12, 23, v12 :: v_dual_lshrrev_b32 v13, 4, v13
	s_delay_alu instid0(VALU_DEP_1) | instskip(NEXT) | instid1(VALU_DEP_1)
	v_dual_sub_nc_u32 v12, v13, v12 :: v_dual_ashrrev_i32 v13, 8, v18
	v_add_nc_u32_e32 v12, 0x3c000000, v12
	s_delay_alu instid0(VALU_DEP_1) | instskip(NEXT) | instid1(VALU_DEP_1)
	v_and_or_b32 v12, 0x7f800000, v13, v12
	v_cndmask_b32_e64 v13, 0, v12, s0
	s_delay_alu instid0(VALU_DEP_1) | instskip(NEXT) | instid1(VALU_DEP_1)
	v_and_or_b32 v7, 0x80000000, v7, v13
	v_and_b32_e32 v12, 0x7fffffff, v7
	s_wait_xcnt 0x0
	s_delay_alu instid0(VALU_DEP_1)
	v_cmpx_gt_u32_e32 0x47800000, v12
	s_xor_b32 s10, exec_lo, s10
	s_cbranch_execz .LBB232_2257
; %bb.2252:
	v_cmp_lt_u32_e64 s0, 0x387fffff, v12
                                        ; implicit-def: $vgpr9
	s_and_saveexec_b32 s11, s0
	s_delay_alu instid0(SALU_CYCLE_1)
	s_xor_b32 s0, exec_lo, s11
; %bb.2253:
	v_bfe_u32 v9, v13, 21, 1
	s_delay_alu instid0(VALU_DEP_1) | instskip(NEXT) | instid1(VALU_DEP_1)
	v_add3_u32 v9, v7, v9, 0x80fffff
	v_lshrrev_b32_e32 v9, 21, v9
; %bb.2254:
	s_and_not1_saveexec_b32 s0, s0
; %bb.2255:
	v_add_f32_e64 v9, 0x43000000, |v7|
; %bb.2256:
	s_or_b32 exec_lo, exec_lo, s0
                                        ; implicit-def: $vgpr12
.LBB232_2257:
	s_and_not1_saveexec_b32 s10, s10
; %bb.2258:
	v_mov_b32_e32 v9, 0x7f
	v_cmp_lt_u32_e64 s0, 0x7f800000, v12
	s_delay_alu instid0(VALU_DEP_1)
	v_cndmask_b32_e64 v9, 0x7c, v9, s0
; %bb.2259:
	s_or_b32 exec_lo, exec_lo, s10
	v_lshrrev_b32_e32 v7, 24, v7
	s_delay_alu instid0(VALU_DEP_1)
	v_and_or_b32 v18, 0x80, v7, v9
.LBB232_2260:
	s_or_b32 exec_lo, exec_lo, s9
.LBB232_2261:
	s_and_not1_saveexec_b32 s0, s8
	s_cbranch_execz .LBB232_2263
; %bb.2262:
	flat_load_u8 v18, v[10:11]
.LBB232_2263:
	s_wait_xcnt 0x0
	s_or_b32 exec_lo, exec_lo, s0
	s_delay_alu instid0(SALU_CYCLE_1)
	s_or_b32 s8, s6, exec_lo
.LBB232_2264:
	s_or_saveexec_b32 s2, s2
	s_mov_b32 s0, 0
	s_mov_b32 s9, s7
	s_xor_b32 exec_lo, exec_lo, s2
	s_cbranch_execz .LBB232_2280
; %bb.2265:
	s_mov_b32 s10, s7
	s_mov_b32 s11, s8
	s_mov_b32 s9, exec_lo
                                        ; implicit-def: $vgpr18
	v_cmpx_lt_i16_e32 14, v19
	s_xor_b32 s9, exec_lo, s9
	s_cbranch_execz .LBB232_2277
; %bb.2266:
	s_mov_b32 s11, -1
	s_mov_b32 s12, s8
	s_mov_b32 s10, exec_lo
                                        ; implicit-def: $vgpr18
	v_cmpx_eq_u16_e32 15, v19
	s_cbranch_execz .LBB232_2276
; %bb.2267:
	flat_load_u16 v7, v[10:11]
	s_mov_b32 s11, exec_lo
                                        ; implicit-def: $vgpr9
	s_wait_loadcnt_dscnt 0x0
	v_lshlrev_b32_e32 v12, 16, v7
	s_delay_alu instid0(VALU_DEP_1) | instskip(SKIP_1) | instid1(VALU_DEP_1)
	v_and_b32_e32 v13, 0x7fffffff, v12
	s_wait_xcnt 0x0
	v_cmpx_gt_u32_e32 0x47800000, v13
	s_xor_b32 s11, exec_lo, s11
	s_cbranch_execz .LBB232_2273
; %bb.2268:
	v_cmp_lt_u32_e64 s0, 0x387fffff, v13
                                        ; implicit-def: $vgpr9
	s_and_saveexec_b32 s12, s0
	s_delay_alu instid0(SALU_CYCLE_1)
	s_xor_b32 s0, exec_lo, s12
; %bb.2269:
	v_bfe_u32 v9, v7, 5, 1
	s_delay_alu instid0(VALU_DEP_1) | instskip(NEXT) | instid1(VALU_DEP_1)
	v_add3_u32 v9, v12, v9, 0x80fffff
                                        ; implicit-def: $vgpr12
	v_lshrrev_b32_e32 v9, 21, v9
; %bb.2270:
	s_and_not1_saveexec_b32 s0, s0
; %bb.2271:
	v_add_f32_e64 v9, 0x43000000, |v12|
; %bb.2272:
	s_or_b32 exec_lo, exec_lo, s0
                                        ; implicit-def: $vgpr13
.LBB232_2273:
	s_and_not1_saveexec_b32 s11, s11
; %bb.2274:
	v_mov_b32_e32 v9, 0x7f
	v_cmp_lt_u32_e64 s0, 0x7f800000, v13
	s_delay_alu instid0(VALU_DEP_1)
	v_cndmask_b32_e64 v9, 0x7c, v9, s0
; %bb.2275:
	s_or_b32 exec_lo, exec_lo, s11
	v_lshrrev_b32_e32 v7, 8, v7
	s_or_b32 s12, s8, exec_lo
	s_xor_b32 s11, exec_lo, -1
	s_delay_alu instid0(VALU_DEP_1)
	v_and_or_b32 v18, 0x80, v7, v9
.LBB232_2276:
	s_or_b32 exec_lo, exec_lo, s10
	s_delay_alu instid0(SALU_CYCLE_1)
	s_and_not1_b32 s0, s8, exec_lo
	s_and_b32 s10, s12, exec_lo
	s_and_not1_b32 s12, s7, exec_lo
	s_and_b32 s13, s11, exec_lo
	s_or_b32 s11, s0, s10
	s_or_b32 s10, s12, s13
.LBB232_2277:
	s_or_saveexec_b32 s12, s9
	s_mov_b32 s9, 0
	s_xor_b32 exec_lo, exec_lo, s12
; %bb.2278:
	v_cmp_ne_u16_e64 s0, 11, v19
	s_and_not1_b32 s10, s10, exec_lo
	s_mov_b32 s9, exec_lo
	s_and_b32 s0, s0, exec_lo
	s_delay_alu instid0(SALU_CYCLE_1)
	s_or_b32 s10, s10, s0
; %bb.2279:
	s_or_b32 exec_lo, exec_lo, s12
	s_delay_alu instid0(SALU_CYCLE_1)
	s_and_not1_b32 s0, s8, exec_lo
	s_and_b32 s8, s11, exec_lo
	s_and_not1_b32 s11, s7, exec_lo
	s_and_b32 s10, s10, exec_lo
	s_or_b32 s8, s0, s8
	s_and_b32 s0, s9, exec_lo
	s_or_b32 s9, s11, s10
.LBB232_2280:
	s_or_b32 exec_lo, exec_lo, s2
	s_delay_alu instid0(SALU_CYCLE_1)
	s_and_not1_b32 s2, s6, exec_lo
	s_and_b32 s6, s8, exec_lo
	s_and_not1_b32 s7, s7, exec_lo
	s_and_b32 s8, s9, exec_lo
	s_or_b32 s6, s2, s6
	s_and_b32 s2, s0, exec_lo
	s_or_b32 s7, s7, s8
	s_or_b32 exec_lo, exec_lo, s5
	s_mov_b32 s5, s3
	s_and_saveexec_b32 s0, s7
	s_cbranch_execz .LBB232_705
.LBB232_2281:
	s_or_b32 s5, s3, exec_lo
	s_and_not1_b32 s2, s2, exec_lo
	s_trap 2
	s_or_b32 exec_lo, exec_lo, s0
	s_and_saveexec_b32 s7, s2
	s_cbranch_execnz .LBB232_706
	s_branch .LBB232_715
.LBB232_2282:
	s_and_not1_saveexec_b32 s2, s2
	s_cbranch_execz .LBB232_258
.LBB232_2283:
	s_mov_b32 s4, exec_lo
	v_cmpx_lt_i16_e32 4, v2
	s_xor_b32 s4, exec_lo, s4
	s_cbranch_execz .LBB232_2305
; %bb.2284:
	s_mov_b32 s5, exec_lo
	v_cmpx_lt_i16_e32 7, v2
	s_xor_b32 s5, exec_lo, s5
	s_cbranch_execz .LBB232_2294
; %bb.2285:
	;; [unrolled: 5-line block ×3, first 2 shown]
	v_cmp_lt_i16_e64 s0, 9, v2
	s_and_saveexec_b32 s7, s0
	s_delay_alu instid0(SALU_CYCLE_1)
	s_xor_b32 s0, exec_lo, s7
	s_cbranch_execz .LBB232_2288
; %bb.2287:
	v_cndmask_b32_e64 v2, 0, 1, vcc_lo
	v_mov_b32_e32 v4, 0
	s_delay_alu instid0(VALU_DEP_2) | instskip(NEXT) | instid1(VALU_DEP_2)
	v_cvt_f64_u32_e32 v[2:3], v2
	v_mov_b32_e32 v5, v4
	flat_store_b128 v[0:1], v[2:5]
                                        ; implicit-def: $vgpr0_vgpr1
.LBB232_2288:
	s_wait_xcnt 0x0
	s_and_not1_saveexec_b32 s0, s0
	s_cbranch_execz .LBB232_2290
; %bb.2289:
	v_cndmask_b32_e64 v2, 0, 1.0, vcc_lo
	v_mov_b32_e32 v3, 0
	flat_store_b64 v[0:1], v[2:3]
.LBB232_2290:
	s_wait_xcnt 0x0
	s_or_b32 exec_lo, exec_lo, s0
                                        ; implicit-def: $vgpr0_vgpr1
.LBB232_2291:
	s_and_not1_saveexec_b32 s0, s6
	s_cbranch_execz .LBB232_2293
; %bb.2292:
	v_cndmask_b32_e64 v2, 0, 1.0, vcc_lo
	s_delay_alu instid0(VALU_DEP_1) | instskip(NEXT) | instid1(VALU_DEP_1)
	v_cvt_f16_f32_e32 v2, v2
	v_and_b32_e32 v2, 0xffff, v2
	flat_store_b32 v[0:1], v2
.LBB232_2293:
	s_wait_xcnt 0x0
	s_or_b32 exec_lo, exec_lo, s0
                                        ; implicit-def: $vgpr0_vgpr1
                                        ; implicit-def: $vgpr2
.LBB232_2294:
	s_and_not1_saveexec_b32 s5, s5
	s_cbranch_execz .LBB232_2304
; %bb.2295:
	s_mov_b32 s6, exec_lo
	v_cmpx_lt_i16_e32 5, v2
	s_xor_b32 s6, exec_lo, s6
	s_cbranch_execz .LBB232_2301
; %bb.2296:
	v_cmp_lt_i16_e64 s0, 6, v2
	s_and_saveexec_b32 s7, s0
	s_delay_alu instid0(SALU_CYCLE_1)
	s_xor_b32 s0, exec_lo, s7
	s_cbranch_execz .LBB232_2298
; %bb.2297:
	v_cndmask_b32_e64 v2, 0, 1, vcc_lo
	s_delay_alu instid0(VALU_DEP_1)
	v_cvt_f64_u32_e32 v[2:3], v2
	flat_store_b64 v[0:1], v[2:3]
                                        ; implicit-def: $vgpr0_vgpr1
.LBB232_2298:
	s_wait_xcnt 0x0
	s_and_not1_saveexec_b32 s0, s0
	s_cbranch_execz .LBB232_2300
; %bb.2299:
	v_cndmask_b32_e64 v2, 0, 1.0, vcc_lo
	flat_store_b32 v[0:1], v2
.LBB232_2300:
	s_wait_xcnt 0x0
	s_or_b32 exec_lo, exec_lo, s0
                                        ; implicit-def: $vgpr0_vgpr1
.LBB232_2301:
	s_and_not1_saveexec_b32 s0, s6
	s_cbranch_execz .LBB232_2303
; %bb.2302:
	v_cndmask_b32_e64 v2, 0, 1.0, vcc_lo
	s_delay_alu instid0(VALU_DEP_1)
	v_cvt_f16_f32_e32 v2, v2
	flat_store_b16 v[0:1], v2
.LBB232_2303:
	s_wait_xcnt 0x0
	s_or_b32 exec_lo, exec_lo, s0
.LBB232_2304:
	s_delay_alu instid0(SALU_CYCLE_1)
	s_or_b32 exec_lo, exec_lo, s5
                                        ; implicit-def: $vgpr2
                                        ; implicit-def: $vgpr0_vgpr1
.LBB232_2305:
	s_and_not1_saveexec_b32 s4, s4
	s_cbranch_execz .LBB232_2323
; %bb.2306:
	s_mov_b32 s5, exec_lo
	v_cmpx_lt_i16_e32 1, v2
	s_xor_b32 s5, exec_lo, s5
	s_cbranch_execz .LBB232_2316
; %bb.2307:
	s_mov_b32 s6, exec_lo
	v_cmpx_lt_i16_e32 2, v2
	s_xor_b32 s6, exec_lo, s6
	s_cbranch_execz .LBB232_2313
; %bb.2308:
	v_cmp_lt_i16_e64 s0, 3, v2
	s_and_saveexec_b32 s7, s0
	s_delay_alu instid0(SALU_CYCLE_1)
	s_xor_b32 s0, exec_lo, s7
	s_cbranch_execz .LBB232_2310
; %bb.2309:
	s_mov_b32 s7, 0
	v_cndmask_b32_e64 v2, 0, 1, vcc_lo
	v_mov_b32_e32 v3, s7
	flat_store_b64 v[0:1], v[2:3]
                                        ; implicit-def: $vgpr0_vgpr1
.LBB232_2310:
	s_wait_xcnt 0x0
	s_and_not1_saveexec_b32 s0, s0
	s_cbranch_execz .LBB232_2312
; %bb.2311:
	v_cndmask_b32_e64 v2, 0, 1, vcc_lo
	flat_store_b32 v[0:1], v2
.LBB232_2312:
	s_wait_xcnt 0x0
	s_or_b32 exec_lo, exec_lo, s0
                                        ; implicit-def: $vgpr0_vgpr1
.LBB232_2313:
	s_and_not1_saveexec_b32 s0, s6
	s_cbranch_execz .LBB232_2315
; %bb.2314:
	v_cndmask_b32_e64 v2, 0, 1, vcc_lo
	flat_store_b16 v[0:1], v2
.LBB232_2315:
	s_wait_xcnt 0x0
	s_or_b32 exec_lo, exec_lo, s0
                                        ; implicit-def: $vgpr0_vgpr1
                                        ; implicit-def: $vgpr2
.LBB232_2316:
	s_and_not1_saveexec_b32 s5, s5
	s_cbranch_execz .LBB232_2322
; %bb.2317:
	v_cmp_lt_i16_e64 s0, 0, v2
	v_cndmask_b32_e64 v2, 0, 1, vcc_lo
	s_and_saveexec_b32 s6, s0
	s_delay_alu instid0(SALU_CYCLE_1)
	s_xor_b32 s0, exec_lo, s6
	s_cbranch_execz .LBB232_2319
; %bb.2318:
	flat_store_b8 v[0:1], v2
                                        ; implicit-def: $vgpr0_vgpr1
                                        ; implicit-def: $vgpr2
.LBB232_2319:
	s_wait_xcnt 0x0
	s_and_not1_saveexec_b32 s0, s0
	s_cbranch_execz .LBB232_2321
; %bb.2320:
	flat_store_b8 v[0:1], v2
.LBB232_2321:
	s_wait_xcnt 0x0
	s_or_b32 exec_lo, exec_lo, s0
.LBB232_2322:
	s_delay_alu instid0(SALU_CYCLE_1)
	s_or_b32 exec_lo, exec_lo, s5
.LBB232_2323:
	s_delay_alu instid0(SALU_CYCLE_1) | instskip(NEXT) | instid1(SALU_CYCLE_1)
	s_or_b32 exec_lo, exec_lo, s4
	s_or_b32 s1, s1, exec_lo
	s_or_b32 exec_lo, exec_lo, s2
	s_mov_b32 s0, 0
	s_and_saveexec_b32 s2, s1
	s_cbranch_execnz .LBB232_259
	s_branch .LBB232_260
.LBB232_2324:
	s_and_not1_saveexec_b32 s7, s7
	s_cbranch_execz .LBB232_930
.LBB232_2325:
	s_mov_b32 s10, s8
	s_mov_b32 s2, exec_lo
                                        ; implicit-def: $vgpr11
	v_cmpx_lt_i16_e32 22, v20
	s_xor_b32 s2, exec_lo, s2
	s_cbranch_execz .LBB232_2357
; %bb.2326:
	s_mov_b32 s10, exec_lo
                                        ; implicit-def: $vgpr11
	v_cmpx_lt_i16_e32 23, v20
	s_xor_b32 s10, exec_lo, s10
	s_cbranch_execz .LBB232_2354
; %bb.2327:
	;; [unrolled: 6-line block ×3, first 2 shown]
	flat_load_u8 v11, v[6:7]
	s_mov_b32 s12, 0
	s_mov_b32 s13, exec_lo
	s_wait_loadcnt_dscnt 0x0
	v_cmpx_lt_i16_e32 0x7f, v11
	s_xor_b32 s13, exec_lo, s13
	s_cbranch_execz .LBB232_2589
; %bb.2329:
	s_mov_b32 s12, -1
	s_mov_b32 s16, exec_lo
	v_cmpx_eq_u16_e32 0x80, v11
; %bb.2330:
	s_xor_b32 s12, exec_lo, -1
; %bb.2331:
	s_or_b32 exec_lo, exec_lo, s16
	s_delay_alu instid0(SALU_CYCLE_1)
	s_and_b32 s12, s12, exec_lo
	s_or_saveexec_b32 s13, s13
	v_mov_b32_e32 v9, 0x7f800001
	s_xor_b32 exec_lo, exec_lo, s13
	s_cbranch_execnz .LBB232_2590
.LBB232_2332:
	s_or_b32 exec_lo, exec_lo, s13
	s_and_saveexec_b32 s13, s12
	s_cbranch_execz .LBB232_2334
.LBB232_2333:
	v_and_b32_e32 v9, 0xffff, v11
	s_delay_alu instid0(VALU_DEP_1) | instskip(SKIP_1) | instid1(VALU_DEP_2)
	v_dual_lshlrev_b32 v11, 24, v11 :: v_dual_bitop2_b32 v12, 3, v9 bitop3:0x40
	v_bfe_u32 v24, v9, 2, 5
	v_and_b32_e32 v11, 0x80000000, v11
	s_delay_alu instid0(VALU_DEP_3) | instskip(NEXT) | instid1(VALU_DEP_3)
	v_clz_i32_u32_e32 v13, v12
	v_cmp_eq_u32_e64 s0, 0, v24
	s_delay_alu instid0(VALU_DEP_2) | instskip(NEXT) | instid1(VALU_DEP_1)
	v_min_u32_e32 v13, 32, v13
	v_subrev_nc_u32_e32 v21, 29, v13
	v_sub_nc_u32_e32 v13, 30, v13
	s_delay_alu instid0(VALU_DEP_2) | instskip(NEXT) | instid1(VALU_DEP_2)
	v_lshlrev_b32_e32 v9, v21, v9
	v_cndmask_b32_e64 v13, v24, v13, s0
	s_delay_alu instid0(VALU_DEP_2) | instskip(NEXT) | instid1(VALU_DEP_1)
	v_and_b32_e32 v9, 3, v9
	v_cndmask_b32_e64 v9, v12, v9, s0
	s_delay_alu instid0(VALU_DEP_3) | instskip(NEXT) | instid1(VALU_DEP_2)
	v_lshl_add_u32 v12, v13, 23, 0x37800000
	v_lshlrev_b32_e32 v9, 21, v9
	s_delay_alu instid0(VALU_DEP_1)
	v_or3_b32 v9, v11, v12, v9
.LBB232_2334:
	s_or_b32 exec_lo, exec_lo, s13
	s_delay_alu instid0(VALU_DEP_1) | instskip(SKIP_1) | instid1(VALU_DEP_1)
	v_and_b32_e32 v12, 0x7fffffff, v9
	s_mov_b32 s12, exec_lo
                                        ; implicit-def: $vgpr11
	v_cmpx_gt_u32_e32 0x47800000, v12
	s_xor_b32 s12, exec_lo, s12
	s_cbranch_execz .LBB232_2340
; %bb.2335:
	v_cmp_lt_u32_e64 s0, 0x387fffff, v12
                                        ; implicit-def: $vgpr11
	s_and_saveexec_b32 s13, s0
	s_delay_alu instid0(SALU_CYCLE_1)
	s_xor_b32 s0, exec_lo, s13
; %bb.2336:
	v_bfe_u32 v11, v9, 21, 1
	s_delay_alu instid0(VALU_DEP_1) | instskip(NEXT) | instid1(VALU_DEP_1)
	v_add3_u32 v11, v9, v11, 0x80fffff
	v_lshrrev_b32_e32 v11, 21, v11
; %bb.2337:
	s_and_not1_saveexec_b32 s0, s0
; %bb.2338:
	v_add_f32_e64 v11, 0x43000000, |v9|
; %bb.2339:
	s_or_b32 exec_lo, exec_lo, s0
                                        ; implicit-def: $vgpr12
.LBB232_2340:
	s_and_not1_saveexec_b32 s12, s12
; %bb.2341:
	v_mov_b32_e32 v11, 0x7f
	v_cmp_lt_u32_e64 s0, 0x7f800000, v12
	s_delay_alu instid0(VALU_DEP_1)
	v_cndmask_b32_e64 v11, 0x7c, v11, s0
; %bb.2342:
	s_or_b32 exec_lo, exec_lo, s12
	v_lshrrev_b32_e32 v9, 24, v9
	s_delay_alu instid0(VALU_DEP_1)
	v_and_or_b32 v11, 0x80, v9, v11
.LBB232_2343:
	s_and_not1_saveexec_b32 s11, s11
	s_cbranch_execz .LBB232_2353
; %bb.2344:
	flat_load_u8 v9, v[6:7]
	s_mov_b32 s12, exec_lo
	s_wait_loadcnt_dscnt 0x0
	v_lshlrev_b32_e32 v9, 24, v9
	s_delay_alu instid0(VALU_DEP_1) | instskip(NEXT) | instid1(VALU_DEP_1)
	v_and_b32_e32 v11, 0x7f000000, v9
	v_clz_i32_u32_e32 v12, v11
	v_add_nc_u32_e32 v21, 0x1000000, v11
	v_cmp_ne_u32_e64 s0, 0, v11
	s_delay_alu instid0(VALU_DEP_3) | instskip(NEXT) | instid1(VALU_DEP_1)
	v_min_u32_e32 v12, 32, v12
	v_sub_nc_u32_e64 v12, v12, 4 clamp
	s_delay_alu instid0(VALU_DEP_1) | instskip(NEXT) | instid1(VALU_DEP_1)
	v_lshlrev_b32_e32 v13, v12, v11
                                        ; implicit-def: $vgpr11
	v_dual_lshlrev_b32 v12, 23, v12 :: v_dual_lshrrev_b32 v13, 4, v13
	s_delay_alu instid0(VALU_DEP_1) | instskip(NEXT) | instid1(VALU_DEP_1)
	v_dual_sub_nc_u32 v12, v13, v12 :: v_dual_ashrrev_i32 v13, 8, v21
	v_add_nc_u32_e32 v12, 0x3c000000, v12
	s_delay_alu instid0(VALU_DEP_1) | instskip(NEXT) | instid1(VALU_DEP_1)
	v_and_or_b32 v12, 0x7f800000, v13, v12
	v_cndmask_b32_e64 v13, 0, v12, s0
	s_delay_alu instid0(VALU_DEP_1) | instskip(NEXT) | instid1(VALU_DEP_1)
	v_and_or_b32 v9, 0x80000000, v9, v13
	v_and_b32_e32 v12, 0x7fffffff, v9
	s_wait_xcnt 0x0
	s_delay_alu instid0(VALU_DEP_1)
	v_cmpx_gt_u32_e32 0x47800000, v12
	s_xor_b32 s12, exec_lo, s12
	s_cbranch_execz .LBB232_2350
; %bb.2345:
	v_cmp_lt_u32_e64 s0, 0x387fffff, v12
                                        ; implicit-def: $vgpr11
	s_and_saveexec_b32 s13, s0
	s_delay_alu instid0(SALU_CYCLE_1)
	s_xor_b32 s0, exec_lo, s13
; %bb.2346:
	v_bfe_u32 v11, v13, 21, 1
	s_delay_alu instid0(VALU_DEP_1) | instskip(NEXT) | instid1(VALU_DEP_1)
	v_add3_u32 v11, v9, v11, 0x80fffff
	v_lshrrev_b32_e32 v11, 21, v11
; %bb.2347:
	s_and_not1_saveexec_b32 s0, s0
; %bb.2348:
	v_add_f32_e64 v11, 0x43000000, |v9|
; %bb.2349:
	s_or_b32 exec_lo, exec_lo, s0
                                        ; implicit-def: $vgpr12
.LBB232_2350:
	s_and_not1_saveexec_b32 s12, s12
; %bb.2351:
	v_mov_b32_e32 v11, 0x7f
	v_cmp_lt_u32_e64 s0, 0x7f800000, v12
	s_delay_alu instid0(VALU_DEP_1)
	v_cndmask_b32_e64 v11, 0x7c, v11, s0
; %bb.2352:
	s_or_b32 exec_lo, exec_lo, s12
	v_lshrrev_b32_e32 v9, 24, v9
	s_delay_alu instid0(VALU_DEP_1)
	v_and_or_b32 v11, 0x80, v9, v11
.LBB232_2353:
	s_or_b32 exec_lo, exec_lo, s11
.LBB232_2354:
	s_and_not1_saveexec_b32 s0, s10
	s_cbranch_execz .LBB232_2356
; %bb.2355:
	flat_load_u8 v11, v[6:7]
.LBB232_2356:
	s_wait_xcnt 0x0
	s_or_b32 exec_lo, exec_lo, s0
	s_delay_alu instid0(SALU_CYCLE_1)
	s_or_b32 s10, s8, exec_lo
.LBB232_2357:
	s_or_saveexec_b32 s2, s2
	s_mov_b32 s0, 0
	s_mov_b32 s11, s9
	s_xor_b32 exec_lo, exec_lo, s2
	s_cbranch_execz .LBB232_2373
; %bb.2358:
	s_mov_b32 s12, s9
	s_mov_b32 s13, s10
	s_mov_b32 s11, exec_lo
                                        ; implicit-def: $vgpr11
	v_cmpx_lt_i16_e32 14, v20
	s_xor_b32 s11, exec_lo, s11
	s_cbranch_execz .LBB232_2370
; %bb.2359:
	s_mov_b32 s13, -1
	s_mov_b32 s16, s10
	s_mov_b32 s12, exec_lo
                                        ; implicit-def: $vgpr11
	v_cmpx_eq_u16_e32 15, v20
	s_cbranch_execz .LBB232_2369
; %bb.2360:
	flat_load_u16 v9, v[6:7]
	s_mov_b32 s13, exec_lo
                                        ; implicit-def: $vgpr11
	s_wait_loadcnt_dscnt 0x0
	v_lshlrev_b32_e32 v12, 16, v9
	s_delay_alu instid0(VALU_DEP_1) | instskip(SKIP_1) | instid1(VALU_DEP_1)
	v_and_b32_e32 v13, 0x7fffffff, v12
	s_wait_xcnt 0x0
	v_cmpx_gt_u32_e32 0x47800000, v13
	s_xor_b32 s13, exec_lo, s13
	s_cbranch_execz .LBB232_2366
; %bb.2361:
	v_cmp_lt_u32_e64 s0, 0x387fffff, v13
                                        ; implicit-def: $vgpr11
	s_and_saveexec_b32 s16, s0
	s_delay_alu instid0(SALU_CYCLE_1)
	s_xor_b32 s0, exec_lo, s16
; %bb.2362:
	v_bfe_u32 v11, v9, 5, 1
	s_delay_alu instid0(VALU_DEP_1) | instskip(NEXT) | instid1(VALU_DEP_1)
	v_add3_u32 v11, v12, v11, 0x80fffff
                                        ; implicit-def: $vgpr12
	v_lshrrev_b32_e32 v11, 21, v11
; %bb.2363:
	s_and_not1_saveexec_b32 s0, s0
; %bb.2364:
	v_add_f32_e64 v11, 0x43000000, |v12|
; %bb.2365:
	s_or_b32 exec_lo, exec_lo, s0
                                        ; implicit-def: $vgpr13
.LBB232_2366:
	s_and_not1_saveexec_b32 s13, s13
; %bb.2367:
	v_mov_b32_e32 v11, 0x7f
	v_cmp_lt_u32_e64 s0, 0x7f800000, v13
	s_delay_alu instid0(VALU_DEP_1)
	v_cndmask_b32_e64 v11, 0x7c, v11, s0
; %bb.2368:
	s_or_b32 exec_lo, exec_lo, s13
	v_lshrrev_b32_e32 v9, 8, v9
	s_or_b32 s16, s10, exec_lo
	s_xor_b32 s13, exec_lo, -1
	s_delay_alu instid0(VALU_DEP_1)
	v_and_or_b32 v11, 0x80, v9, v11
.LBB232_2369:
	s_or_b32 exec_lo, exec_lo, s12
	s_delay_alu instid0(SALU_CYCLE_1)
	s_and_not1_b32 s0, s10, exec_lo
	s_and_b32 s12, s16, exec_lo
	s_and_not1_b32 s16, s9, exec_lo
	s_and_b32 s17, s13, exec_lo
	s_or_b32 s13, s0, s12
	s_or_b32 s12, s16, s17
.LBB232_2370:
	s_or_saveexec_b32 s16, s11
	s_mov_b32 s11, 0
	s_xor_b32 exec_lo, exec_lo, s16
; %bb.2371:
	v_cmp_ne_u16_e64 s0, 11, v20
	s_and_not1_b32 s12, s12, exec_lo
	s_mov_b32 s11, exec_lo
	s_and_b32 s0, s0, exec_lo
	s_delay_alu instid0(SALU_CYCLE_1)
	s_or_b32 s12, s12, s0
; %bb.2372:
	s_or_b32 exec_lo, exec_lo, s16
	s_delay_alu instid0(SALU_CYCLE_1)
	s_and_not1_b32 s0, s10, exec_lo
	s_and_b32 s10, s13, exec_lo
	s_and_not1_b32 s13, s9, exec_lo
	s_and_b32 s12, s12, exec_lo
	s_or_b32 s10, s0, s10
	s_and_b32 s0, s11, exec_lo
	s_or_b32 s11, s13, s12
.LBB232_2373:
	s_or_b32 exec_lo, exec_lo, s2
	s_delay_alu instid0(SALU_CYCLE_1)
	s_and_not1_b32 s2, s8, exec_lo
	s_and_b32 s8, s10, exec_lo
	s_and_not1_b32 s9, s9, exec_lo
	s_and_b32 s10, s11, exec_lo
	s_or_b32 s8, s2, s8
	s_and_b32 s2, s0, exec_lo
	s_or_b32 s9, s9, s10
	s_or_b32 exec_lo, exec_lo, s7
	s_mov_b32 s7, s5
	s_and_saveexec_b32 s0, s9
	s_cbranch_execz .LBB232_931
.LBB232_2374:
	s_or_b32 s7, s5, exec_lo
	s_and_not1_b32 s2, s2, exec_lo
	s_trap 2
	s_or_b32 exec_lo, exec_lo, s0
	s_and_saveexec_b32 s9, s2
	s_cbranch_execnz .LBB232_932
	s_branch .LBB232_941
.LBB232_2375:
	s_or_saveexec_b32 s9, s9
	v_mov_b32_e32 v7, 0x7f800001
	s_xor_b32 exec_lo, exec_lo, s9
	s_cbranch_execz .LBB232_465
.LBB232_2376:
	v_cmp_ne_u16_e64 s0, 0, v9
	v_mov_b32_e32 v7, 0
	s_and_not1_b32 s8, s8, exec_lo
	s_and_b32 s0, s0, exec_lo
	s_delay_alu instid0(SALU_CYCLE_1)
	s_or_b32 s8, s8, s0
	s_or_b32 exec_lo, exec_lo, s9
	s_and_saveexec_b32 s9, s8
	s_cbranch_execnz .LBB232_466
	s_branch .LBB232_467
.LBB232_2377:
	s_and_not1_saveexec_b32 s9, s9
	s_cbranch_execz .LBB232_1156
.LBB232_2378:
	s_mov_b32 s12, s10
	s_mov_b32 s2, exec_lo
                                        ; implicit-def: $vgpr7
	v_cmpx_lt_i16_e32 22, v19
	s_xor_b32 s2, exec_lo, s2
	s_cbranch_execz .LBB232_2410
; %bb.2379:
	s_mov_b32 s12, exec_lo
                                        ; implicit-def: $vgpr7
	v_cmpx_lt_i16_e32 23, v19
	s_xor_b32 s12, exec_lo, s12
	s_cbranch_execz .LBB232_2407
; %bb.2380:
	;; [unrolled: 6-line block ×3, first 2 shown]
	flat_load_u8 v12, v[8:9]
	s_mov_b32 s16, 0
	s_mov_b32 s17, exec_lo
	s_wait_loadcnt_dscnt 0x0
	v_cmpx_lt_i16_e32 0x7f, v12
	s_xor_b32 s17, exec_lo, s17
	s_cbranch_execz .LBB232_2640
; %bb.2382:
	s_mov_b32 s16, -1
	s_mov_b32 s18, exec_lo
	v_cmpx_eq_u16_e32 0x80, v12
; %bb.2383:
	s_xor_b32 s16, exec_lo, -1
; %bb.2384:
	s_or_b32 exec_lo, exec_lo, s18
	s_delay_alu instid0(SALU_CYCLE_1)
	s_and_b32 s16, s16, exec_lo
	s_or_saveexec_b32 s17, s17
	v_mov_b32_e32 v7, 0x7f800001
	s_xor_b32 exec_lo, exec_lo, s17
	s_cbranch_execnz .LBB232_2641
.LBB232_2385:
	s_or_b32 exec_lo, exec_lo, s17
	s_and_saveexec_b32 s17, s16
	s_cbranch_execz .LBB232_2387
.LBB232_2386:
	v_and_b32_e32 v7, 0xffff, v12
	s_delay_alu instid0(VALU_DEP_1) | instskip(SKIP_1) | instid1(VALU_DEP_2)
	v_and_b32_e32 v13, 3, v7
	v_bfe_u32 v25, v7, 2, 5
	v_clz_i32_u32_e32 v22, v13
	s_delay_alu instid0(VALU_DEP_2) | instskip(NEXT) | instid1(VALU_DEP_2)
	v_cmp_eq_u32_e64 s0, 0, v25
	v_min_u32_e32 v22, 32, v22
	s_delay_alu instid0(VALU_DEP_1) | instskip(NEXT) | instid1(VALU_DEP_1)
	v_subrev_nc_u32_e32 v24, 29, v22
	v_dual_lshlrev_b32 v7, v24, v7 :: v_dual_sub_nc_u32 v22, 30, v22
	s_delay_alu instid0(VALU_DEP_1) | instskip(NEXT) | instid1(VALU_DEP_2)
	v_dual_lshlrev_b32 v12, 24, v12 :: v_dual_bitop2_b32 v7, 3, v7 bitop3:0x40
	v_cndmask_b32_e64 v22, v25, v22, s0
	s_delay_alu instid0(VALU_DEP_2) | instskip(NEXT) | instid1(VALU_DEP_3)
	v_cndmask_b32_e64 v7, v13, v7, s0
	v_and_b32_e32 v12, 0x80000000, v12
	s_delay_alu instid0(VALU_DEP_3) | instskip(NEXT) | instid1(VALU_DEP_3)
	v_lshl_add_u32 v13, v22, 23, 0x37800000
	v_lshlrev_b32_e32 v7, 21, v7
	s_delay_alu instid0(VALU_DEP_1)
	v_or3_b32 v7, v12, v13, v7
.LBB232_2387:
	s_or_b32 exec_lo, exec_lo, s17
	s_delay_alu instid0(VALU_DEP_1) | instskip(SKIP_1) | instid1(VALU_DEP_1)
	v_and_b32_e32 v13, 0x7fffffff, v7
	s_mov_b32 s16, exec_lo
                                        ; implicit-def: $vgpr12
	v_cmpx_gt_u32_e32 0x47800000, v13
	s_xor_b32 s16, exec_lo, s16
	s_cbranch_execz .LBB232_2393
; %bb.2388:
	v_cmp_lt_u32_e64 s0, 0x387fffff, v13
                                        ; implicit-def: $vgpr12
	s_and_saveexec_b32 s17, s0
	s_delay_alu instid0(SALU_CYCLE_1)
	s_xor_b32 s0, exec_lo, s17
; %bb.2389:
	v_bfe_u32 v12, v7, 21, 1
	s_delay_alu instid0(VALU_DEP_1) | instskip(NEXT) | instid1(VALU_DEP_1)
	v_add3_u32 v12, v7, v12, 0x80fffff
	v_lshrrev_b32_e32 v12, 21, v12
; %bb.2390:
	s_and_not1_saveexec_b32 s0, s0
; %bb.2391:
	v_add_f32_e64 v12, 0x43000000, |v7|
; %bb.2392:
	s_or_b32 exec_lo, exec_lo, s0
                                        ; implicit-def: $vgpr13
.LBB232_2393:
	s_and_not1_saveexec_b32 s16, s16
; %bb.2394:
	v_mov_b32_e32 v12, 0x7f
	v_cmp_lt_u32_e64 s0, 0x7f800000, v13
	s_delay_alu instid0(VALU_DEP_1)
	v_cndmask_b32_e64 v12, 0x7c, v12, s0
; %bb.2395:
	s_or_b32 exec_lo, exec_lo, s16
	v_lshrrev_b32_e32 v7, 24, v7
	s_delay_alu instid0(VALU_DEP_1)
	v_and_or_b32 v7, 0x80, v7, v12
.LBB232_2396:
	s_and_not1_saveexec_b32 s13, s13
	s_cbranch_execz .LBB232_2406
; %bb.2397:
	flat_load_u8 v7, v[8:9]
	s_mov_b32 s16, exec_lo
	s_wait_loadcnt_dscnt 0x0
	v_lshlrev_b32_e32 v7, 24, v7
	s_delay_alu instid0(VALU_DEP_1) | instskip(NEXT) | instid1(VALU_DEP_1)
	v_and_b32_e32 v12, 0x7f000000, v7
	v_clz_i32_u32_e32 v13, v12
	v_add_nc_u32_e32 v24, 0x1000000, v12
	v_cmp_ne_u32_e64 s0, 0, v12
	s_delay_alu instid0(VALU_DEP_3) | instskip(NEXT) | instid1(VALU_DEP_1)
	v_min_u32_e32 v13, 32, v13
	v_sub_nc_u32_e64 v13, v13, 4 clamp
	s_delay_alu instid0(VALU_DEP_1) | instskip(NEXT) | instid1(VALU_DEP_1)
	v_lshlrev_b32_e32 v22, v13, v12
                                        ; implicit-def: $vgpr12
	v_dual_lshlrev_b32 v13, 23, v13 :: v_dual_lshrrev_b32 v22, 4, v22
	s_delay_alu instid0(VALU_DEP_1) | instskip(NEXT) | instid1(VALU_DEP_1)
	v_dual_sub_nc_u32 v13, v22, v13 :: v_dual_ashrrev_i32 v22, 8, v24
	v_add_nc_u32_e32 v13, 0x3c000000, v13
	s_delay_alu instid0(VALU_DEP_1) | instskip(NEXT) | instid1(VALU_DEP_1)
	v_and_or_b32 v13, 0x7f800000, v22, v13
	v_cndmask_b32_e64 v22, 0, v13, s0
	s_delay_alu instid0(VALU_DEP_1) | instskip(NEXT) | instid1(VALU_DEP_1)
	v_and_or_b32 v7, 0x80000000, v7, v22
	v_and_b32_e32 v13, 0x7fffffff, v7
	s_wait_xcnt 0x0
	s_delay_alu instid0(VALU_DEP_1)
	v_cmpx_gt_u32_e32 0x47800000, v13
	s_xor_b32 s16, exec_lo, s16
	s_cbranch_execz .LBB232_2403
; %bb.2398:
	v_cmp_lt_u32_e64 s0, 0x387fffff, v13
                                        ; implicit-def: $vgpr12
	s_and_saveexec_b32 s17, s0
	s_delay_alu instid0(SALU_CYCLE_1)
	s_xor_b32 s0, exec_lo, s17
; %bb.2399:
	v_bfe_u32 v12, v22, 21, 1
	s_delay_alu instid0(VALU_DEP_1) | instskip(NEXT) | instid1(VALU_DEP_1)
	v_add3_u32 v12, v7, v12, 0x80fffff
	v_lshrrev_b32_e32 v12, 21, v12
; %bb.2400:
	s_and_not1_saveexec_b32 s0, s0
; %bb.2401:
	v_add_f32_e64 v12, 0x43000000, |v7|
; %bb.2402:
	s_or_b32 exec_lo, exec_lo, s0
                                        ; implicit-def: $vgpr13
.LBB232_2403:
	s_and_not1_saveexec_b32 s16, s16
; %bb.2404:
	v_mov_b32_e32 v12, 0x7f
	v_cmp_lt_u32_e64 s0, 0x7f800000, v13
	s_delay_alu instid0(VALU_DEP_1)
	v_cndmask_b32_e64 v12, 0x7c, v12, s0
; %bb.2405:
	s_or_b32 exec_lo, exec_lo, s16
	v_lshrrev_b32_e32 v7, 24, v7
	s_delay_alu instid0(VALU_DEP_1)
	v_and_or_b32 v7, 0x80, v7, v12
.LBB232_2406:
	s_or_b32 exec_lo, exec_lo, s13
.LBB232_2407:
	s_and_not1_saveexec_b32 s0, s12
	s_cbranch_execz .LBB232_2409
; %bb.2408:
	flat_load_u8 v7, v[8:9]
.LBB232_2409:
	s_wait_xcnt 0x0
	s_or_b32 exec_lo, exec_lo, s0
	s_delay_alu instid0(SALU_CYCLE_1)
	s_or_b32 s12, s10, exec_lo
.LBB232_2410:
	s_or_saveexec_b32 s2, s2
	s_mov_b32 s0, 0
	s_mov_b32 s13, s11
	s_xor_b32 exec_lo, exec_lo, s2
	s_cbranch_execz .LBB232_2426
; %bb.2411:
	s_mov_b32 s16, s11
	s_mov_b32 s17, s12
	s_mov_b32 s13, exec_lo
                                        ; implicit-def: $vgpr7
	v_cmpx_lt_i16_e32 14, v19
	s_xor_b32 s13, exec_lo, s13
	s_cbranch_execz .LBB232_2423
; %bb.2412:
	s_mov_b32 s17, -1
	s_mov_b32 s18, s12
	s_mov_b32 s16, exec_lo
                                        ; implicit-def: $vgpr7
	v_cmpx_eq_u16_e32 15, v19
	s_cbranch_execz .LBB232_2422
; %bb.2413:
	s_wait_loadcnt_dscnt 0x0
	flat_load_u16 v7, v[8:9]
	s_mov_b32 s17, exec_lo
                                        ; implicit-def: $vgpr12
	s_wait_loadcnt_dscnt 0x0
	v_lshlrev_b32_e32 v13, 16, v7
	s_delay_alu instid0(VALU_DEP_1) | instskip(SKIP_1) | instid1(VALU_DEP_1)
	v_and_b32_e32 v22, 0x7fffffff, v13
	s_wait_xcnt 0x0
	v_cmpx_gt_u32_e32 0x47800000, v22
	s_xor_b32 s17, exec_lo, s17
	s_cbranch_execz .LBB232_2419
; %bb.2414:
	v_cmp_lt_u32_e64 s0, 0x387fffff, v22
                                        ; implicit-def: $vgpr12
	s_and_saveexec_b32 s18, s0
	s_delay_alu instid0(SALU_CYCLE_1)
	s_xor_b32 s0, exec_lo, s18
; %bb.2415:
	v_bfe_u32 v12, v7, 5, 1
	s_delay_alu instid0(VALU_DEP_1) | instskip(NEXT) | instid1(VALU_DEP_1)
	v_add3_u32 v12, v13, v12, 0x80fffff
                                        ; implicit-def: $vgpr13
	v_lshrrev_b32_e32 v12, 21, v12
; %bb.2416:
	s_and_not1_saveexec_b32 s0, s0
; %bb.2417:
	v_add_f32_e64 v12, 0x43000000, |v13|
; %bb.2418:
	s_or_b32 exec_lo, exec_lo, s0
                                        ; implicit-def: $vgpr22
.LBB232_2419:
	s_and_not1_saveexec_b32 s17, s17
; %bb.2420:
	v_mov_b32_e32 v12, 0x7f
	v_cmp_lt_u32_e64 s0, 0x7f800000, v22
	s_delay_alu instid0(VALU_DEP_1)
	v_cndmask_b32_e64 v12, 0x7c, v12, s0
; %bb.2421:
	s_or_b32 exec_lo, exec_lo, s17
	v_lshrrev_b32_e32 v7, 8, v7
	s_or_b32 s18, s12, exec_lo
	s_xor_b32 s17, exec_lo, -1
	s_delay_alu instid0(VALU_DEP_1)
	v_and_or_b32 v7, 0x80, v7, v12
.LBB232_2422:
	s_or_b32 exec_lo, exec_lo, s16
	s_delay_alu instid0(SALU_CYCLE_1)
	s_and_not1_b32 s0, s12, exec_lo
	s_and_b32 s16, s18, exec_lo
	s_and_not1_b32 s18, s11, exec_lo
	s_and_b32 s19, s17, exec_lo
	s_or_b32 s17, s0, s16
	s_or_b32 s16, s18, s19
.LBB232_2423:
	s_or_saveexec_b32 s18, s13
	s_mov_b32 s13, 0
	s_xor_b32 exec_lo, exec_lo, s18
; %bb.2424:
	v_cmp_ne_u16_e64 s0, 11, v19
	s_and_not1_b32 s16, s16, exec_lo
	s_mov_b32 s13, exec_lo
	s_and_b32 s0, s0, exec_lo
	s_delay_alu instid0(SALU_CYCLE_1)
	s_or_b32 s16, s16, s0
; %bb.2425:
	s_or_b32 exec_lo, exec_lo, s18
	s_delay_alu instid0(SALU_CYCLE_1)
	s_and_not1_b32 s0, s12, exec_lo
	s_and_b32 s12, s17, exec_lo
	s_and_not1_b32 s17, s11, exec_lo
	s_and_b32 s16, s16, exec_lo
	s_or_b32 s12, s0, s12
	s_and_b32 s0, s13, exec_lo
	s_or_b32 s13, s17, s16
.LBB232_2426:
	s_or_b32 exec_lo, exec_lo, s2
	s_delay_alu instid0(SALU_CYCLE_1)
	s_and_not1_b32 s2, s10, exec_lo
	s_and_b32 s10, s12, exec_lo
	s_and_not1_b32 s11, s11, exec_lo
	s_and_b32 s12, s13, exec_lo
	s_or_b32 s10, s2, s10
	s_and_b32 s2, s0, exec_lo
	s_or_b32 s11, s11, s12
	s_or_b32 exec_lo, exec_lo, s9
	s_mov_b32 s9, s7
	s_and_saveexec_b32 s0, s11
	s_cbranch_execz .LBB232_1157
.LBB232_2427:
	s_or_b32 s9, s7, exec_lo
	s_and_not1_b32 s2, s2, exec_lo
	s_trap 2
	s_or_b32 exec_lo, exec_lo, s0
	s_and_saveexec_b32 s11, s2
	s_cbranch_execnz .LBB232_1158
	s_branch .LBB232_1167
.LBB232_2428:
	s_or_saveexec_b32 s11, s11
	v_mov_b32_e32 v7, 0x7f800001
	s_xor_b32 exec_lo, exec_lo, s11
	s_cbranch_execz .LBB232_691
.LBB232_2429:
	v_cmp_ne_u16_e64 s0, 0, v9
	v_mov_b32_e32 v7, 0
	s_and_not1_b32 s10, s10, exec_lo
	s_and_b32 s0, s0, exec_lo
	s_delay_alu instid0(SALU_CYCLE_1)
	s_or_b32 s10, s10, s0
	s_or_b32 exec_lo, exec_lo, s11
	s_and_saveexec_b32 s11, s10
	s_cbranch_execnz .LBB232_692
	s_branch .LBB232_693
.LBB232_2430:
	s_and_not1_saveexec_b32 s11, s11
	s_cbranch_execz .LBB232_1382
.LBB232_2431:
	s_mov_b32 s16, s12
	s_mov_b32 s2, exec_lo
                                        ; implicit-def: $vgpr8
	v_cmpx_lt_i16_e32 22, v20
	s_xor_b32 s2, exec_lo, s2
	s_cbranch_execz .LBB232_2463
; %bb.2432:
	s_mov_b32 s16, exec_lo
                                        ; implicit-def: $vgpr8
	v_cmpx_lt_i16_e32 23, v20
	s_xor_b32 s16, exec_lo, s16
	s_cbranch_execz .LBB232_2460
; %bb.2433:
	;; [unrolled: 6-line block ×3, first 2 shown]
	flat_load_u8 v9, v[4:5]
	s_mov_b32 s18, 0
	s_mov_b32 s19, exec_lo
	s_wait_loadcnt_dscnt 0x0
	v_cmpx_lt_i16_e32 0x7f, v9
	s_xor_b32 s19, exec_lo, s19
	s_cbranch_execz .LBB232_2691
; %bb.2435:
	s_mov_b32 s18, -1
	s_mov_b32 s20, exec_lo
	v_cmpx_eq_u16_e32 0x80, v9
; %bb.2436:
	s_xor_b32 s18, exec_lo, -1
; %bb.2437:
	s_or_b32 exec_lo, exec_lo, s20
	s_delay_alu instid0(SALU_CYCLE_1)
	s_and_b32 s18, s18, exec_lo
	s_or_saveexec_b32 s19, s19
	v_mov_b32_e32 v8, 0x7f800001
	s_xor_b32 exec_lo, exec_lo, s19
	s_cbranch_execnz .LBB232_2692
.LBB232_2438:
	s_or_b32 exec_lo, exec_lo, s19
	s_and_saveexec_b32 s19, s18
	s_cbranch_execz .LBB232_2440
.LBB232_2439:
	v_and_b32_e32 v8, 0xffff, v9
	s_delay_alu instid0(VALU_DEP_1) | instskip(SKIP_1) | instid1(VALU_DEP_2)
	v_dual_lshlrev_b32 v9, 24, v9 :: v_dual_bitop2_b32 v10, 3, v8 bitop3:0x40
	v_bfe_u32 v20, v8, 2, 5
	v_and_b32_e32 v9, 0x80000000, v9
	s_delay_alu instid0(VALU_DEP_3) | instskip(NEXT) | instid1(VALU_DEP_3)
	v_clz_i32_u32_e32 v12, v10
	v_cmp_eq_u32_e64 s0, 0, v20
	s_delay_alu instid0(VALU_DEP_2) | instskip(NEXT) | instid1(VALU_DEP_1)
	v_min_u32_e32 v12, 32, v12
	v_subrev_nc_u32_e32 v13, 29, v12
	v_sub_nc_u32_e32 v12, 30, v12
	s_delay_alu instid0(VALU_DEP_2) | instskip(NEXT) | instid1(VALU_DEP_2)
	v_lshlrev_b32_e32 v8, v13, v8
	v_cndmask_b32_e64 v12, v20, v12, s0
	s_delay_alu instid0(VALU_DEP_2) | instskip(NEXT) | instid1(VALU_DEP_1)
	v_and_b32_e32 v8, 3, v8
	v_cndmask_b32_e64 v8, v10, v8, s0
	s_delay_alu instid0(VALU_DEP_3) | instskip(NEXT) | instid1(VALU_DEP_2)
	v_lshl_add_u32 v10, v12, 23, 0x37800000
	v_lshlrev_b32_e32 v8, 21, v8
	s_delay_alu instid0(VALU_DEP_1)
	v_or3_b32 v8, v9, v10, v8
.LBB232_2440:
	s_or_b32 exec_lo, exec_lo, s19
	s_delay_alu instid0(VALU_DEP_1) | instskip(SKIP_1) | instid1(VALU_DEP_1)
	v_and_b32_e32 v10, 0x7fffffff, v8
	s_mov_b32 s18, exec_lo
                                        ; implicit-def: $vgpr9
	v_cmpx_gt_u32_e32 0x47800000, v10
	s_xor_b32 s18, exec_lo, s18
	s_cbranch_execz .LBB232_2446
; %bb.2441:
	v_cmp_lt_u32_e64 s0, 0x387fffff, v10
                                        ; implicit-def: $vgpr9
	s_and_saveexec_b32 s19, s0
	s_delay_alu instid0(SALU_CYCLE_1)
	s_xor_b32 s0, exec_lo, s19
; %bb.2442:
	v_bfe_u32 v9, v8, 21, 1
	s_delay_alu instid0(VALU_DEP_1) | instskip(NEXT) | instid1(VALU_DEP_1)
	v_add3_u32 v9, v8, v9, 0x80fffff
	v_lshrrev_b32_e32 v9, 21, v9
; %bb.2443:
	s_and_not1_saveexec_b32 s0, s0
; %bb.2444:
	v_add_f32_e64 v9, 0x43000000, |v8|
; %bb.2445:
	s_or_b32 exec_lo, exec_lo, s0
                                        ; implicit-def: $vgpr10
.LBB232_2446:
	s_and_not1_saveexec_b32 s18, s18
; %bb.2447:
	v_mov_b32_e32 v9, 0x7f
	v_cmp_lt_u32_e64 s0, 0x7f800000, v10
	s_delay_alu instid0(VALU_DEP_1)
	v_cndmask_b32_e64 v9, 0x7c, v9, s0
; %bb.2448:
	s_or_b32 exec_lo, exec_lo, s18
	v_lshrrev_b32_e32 v8, 24, v8
	s_delay_alu instid0(VALU_DEP_1)
	v_and_or_b32 v8, 0x80, v8, v9
.LBB232_2449:
	s_and_not1_saveexec_b32 s17, s17
	s_cbranch_execz .LBB232_2459
; %bb.2450:
	flat_load_u8 v8, v[4:5]
	s_mov_b32 s18, exec_lo
	s_wait_loadcnt_dscnt 0x0
	v_lshlrev_b32_e32 v8, 24, v8
	s_delay_alu instid0(VALU_DEP_1) | instskip(NEXT) | instid1(VALU_DEP_1)
	v_and_b32_e32 v9, 0x7f000000, v8
	v_clz_i32_u32_e32 v10, v9
	v_add_nc_u32_e32 v13, 0x1000000, v9
	v_cmp_ne_u32_e64 s0, 0, v9
	s_delay_alu instid0(VALU_DEP_3) | instskip(NEXT) | instid1(VALU_DEP_1)
	v_min_u32_e32 v10, 32, v10
	v_sub_nc_u32_e64 v10, v10, 4 clamp
	s_delay_alu instid0(VALU_DEP_1) | instskip(NEXT) | instid1(VALU_DEP_1)
	v_lshlrev_b32_e32 v12, v10, v9
                                        ; implicit-def: $vgpr9
	v_dual_lshlrev_b32 v10, 23, v10 :: v_dual_lshrrev_b32 v12, 4, v12
	s_delay_alu instid0(VALU_DEP_1) | instskip(NEXT) | instid1(VALU_DEP_1)
	v_dual_sub_nc_u32 v10, v12, v10 :: v_dual_ashrrev_i32 v12, 8, v13
	v_add_nc_u32_e32 v10, 0x3c000000, v10
	s_delay_alu instid0(VALU_DEP_1) | instskip(NEXT) | instid1(VALU_DEP_1)
	v_and_or_b32 v10, 0x7f800000, v12, v10
	v_cndmask_b32_e64 v12, 0, v10, s0
	s_delay_alu instid0(VALU_DEP_1) | instskip(NEXT) | instid1(VALU_DEP_1)
	v_and_or_b32 v8, 0x80000000, v8, v12
	v_and_b32_e32 v10, 0x7fffffff, v8
	s_wait_xcnt 0x0
	s_delay_alu instid0(VALU_DEP_1)
	v_cmpx_gt_u32_e32 0x47800000, v10
	s_xor_b32 s18, exec_lo, s18
	s_cbranch_execz .LBB232_2456
; %bb.2451:
	v_cmp_lt_u32_e64 s0, 0x387fffff, v10
                                        ; implicit-def: $vgpr9
	s_and_saveexec_b32 s19, s0
	s_delay_alu instid0(SALU_CYCLE_1)
	s_xor_b32 s0, exec_lo, s19
; %bb.2452:
	v_bfe_u32 v9, v12, 21, 1
	s_delay_alu instid0(VALU_DEP_1) | instskip(NEXT) | instid1(VALU_DEP_1)
	v_add3_u32 v9, v8, v9, 0x80fffff
	v_lshrrev_b32_e32 v9, 21, v9
; %bb.2453:
	s_and_not1_saveexec_b32 s0, s0
; %bb.2454:
	v_add_f32_e64 v9, 0x43000000, |v8|
; %bb.2455:
	s_or_b32 exec_lo, exec_lo, s0
                                        ; implicit-def: $vgpr10
.LBB232_2456:
	s_and_not1_saveexec_b32 s18, s18
; %bb.2457:
	v_mov_b32_e32 v9, 0x7f
	v_cmp_lt_u32_e64 s0, 0x7f800000, v10
	s_delay_alu instid0(VALU_DEP_1)
	v_cndmask_b32_e64 v9, 0x7c, v9, s0
; %bb.2458:
	s_or_b32 exec_lo, exec_lo, s18
	v_lshrrev_b32_e32 v8, 24, v8
	s_delay_alu instid0(VALU_DEP_1)
	v_and_or_b32 v8, 0x80, v8, v9
.LBB232_2459:
	s_or_b32 exec_lo, exec_lo, s17
.LBB232_2460:
	s_and_not1_saveexec_b32 s0, s16
	s_cbranch_execz .LBB232_2462
; %bb.2461:
	flat_load_u8 v8, v[4:5]
.LBB232_2462:
	s_wait_xcnt 0x0
	s_or_b32 exec_lo, exec_lo, s0
	s_delay_alu instid0(SALU_CYCLE_1)
	s_or_b32 s16, s12, exec_lo
                                        ; implicit-def: $vgpr20
.LBB232_2463:
	s_or_saveexec_b32 s2, s2
	s_mov_b32 s0, 0
	s_mov_b32 s17, s13
	s_xor_b32 exec_lo, exec_lo, s2
	s_cbranch_execz .LBB232_2479
; %bb.2464:
	s_mov_b32 s18, s13
	s_mov_b32 s19, s16
	s_mov_b32 s17, exec_lo
                                        ; implicit-def: $vgpr8
	v_cmpx_lt_i16_e32 14, v20
	s_xor_b32 s17, exec_lo, s17
	s_cbranch_execz .LBB232_2476
; %bb.2465:
	s_mov_b32 s19, -1
	s_mov_b32 s20, s16
	s_mov_b32 s18, exec_lo
                                        ; implicit-def: $vgpr8
	v_cmpx_eq_u16_e32 15, v20
	s_cbranch_execz .LBB232_2475
; %bb.2466:
	s_wait_loadcnt_dscnt 0x0
	flat_load_u16 v8, v[4:5]
	s_mov_b32 s19, exec_lo
                                        ; implicit-def: $vgpr9
	s_wait_loadcnt_dscnt 0x0
	v_lshlrev_b32_e32 v10, 16, v8
	s_delay_alu instid0(VALU_DEP_1) | instskip(SKIP_1) | instid1(VALU_DEP_1)
	v_and_b32_e32 v12, 0x7fffffff, v10
	s_wait_xcnt 0x0
	v_cmpx_gt_u32_e32 0x47800000, v12
	s_xor_b32 s19, exec_lo, s19
	s_cbranch_execz .LBB232_2472
; %bb.2467:
	v_cmp_lt_u32_e64 s0, 0x387fffff, v12
                                        ; implicit-def: $vgpr9
	s_and_saveexec_b32 s20, s0
	s_delay_alu instid0(SALU_CYCLE_1)
	s_xor_b32 s0, exec_lo, s20
; %bb.2468:
	v_bfe_u32 v9, v8, 5, 1
	s_delay_alu instid0(VALU_DEP_1) | instskip(NEXT) | instid1(VALU_DEP_1)
	v_add3_u32 v9, v10, v9, 0x80fffff
                                        ; implicit-def: $vgpr10
	v_lshrrev_b32_e32 v9, 21, v9
; %bb.2469:
	s_and_not1_saveexec_b32 s0, s0
; %bb.2470:
	v_add_f32_e64 v9, 0x43000000, |v10|
; %bb.2471:
	s_or_b32 exec_lo, exec_lo, s0
                                        ; implicit-def: $vgpr12
.LBB232_2472:
	s_and_not1_saveexec_b32 s19, s19
; %bb.2473:
	v_mov_b32_e32 v9, 0x7f
	v_cmp_lt_u32_e64 s0, 0x7f800000, v12
	s_delay_alu instid0(VALU_DEP_1)
	v_cndmask_b32_e64 v9, 0x7c, v9, s0
; %bb.2474:
	s_or_b32 exec_lo, exec_lo, s19
	v_lshrrev_b32_e32 v8, 8, v8
	s_or_b32 s20, s16, exec_lo
	s_xor_b32 s19, exec_lo, -1
	s_delay_alu instid0(VALU_DEP_1)
	v_and_or_b32 v8, 0x80, v8, v9
.LBB232_2475:
	s_or_b32 exec_lo, exec_lo, s18
	s_delay_alu instid0(SALU_CYCLE_1)
	s_and_not1_b32 s0, s16, exec_lo
	s_and_b32 s18, s20, exec_lo
	s_and_not1_b32 s20, s13, exec_lo
	s_and_b32 s21, s19, exec_lo
	s_or_b32 s19, s0, s18
	s_or_b32 s18, s20, s21
                                        ; implicit-def: $vgpr20
.LBB232_2476:
	s_or_saveexec_b32 s17, s17
	s_mov_b32 s20, 0
	s_xor_b32 exec_lo, exec_lo, s17
; %bb.2477:
	v_cmp_ne_u16_e64 s0, 11, v20
	s_and_not1_b32 s18, s18, exec_lo
	s_mov_b32 s20, exec_lo
	s_and_b32 s0, s0, exec_lo
	s_delay_alu instid0(SALU_CYCLE_1)
	s_or_b32 s18, s18, s0
; %bb.2478:
	s_or_b32 exec_lo, exec_lo, s17
	s_delay_alu instid0(SALU_CYCLE_1)
	s_and_not1_b32 s0, s16, exec_lo
	s_and_b32 s16, s19, exec_lo
	s_and_not1_b32 s17, s13, exec_lo
	s_and_b32 s18, s18, exec_lo
	s_or_b32 s16, s0, s16
	s_and_b32 s0, s20, exec_lo
	s_or_b32 s17, s17, s18
.LBB232_2479:
	s_or_b32 exec_lo, exec_lo, s2
	s_delay_alu instid0(SALU_CYCLE_1)
	s_and_not1_b32 s2, s12, exec_lo
	s_and_b32 s12, s16, exec_lo
	s_and_not1_b32 s13, s13, exec_lo
	s_and_b32 s16, s17, exec_lo
	s_or_b32 s12, s2, s12
	s_and_b32 s2, s0, exec_lo
	s_or_b32 s13, s13, s16
	s_or_b32 exec_lo, exec_lo, s11
	s_mov_b32 s11, s9
	s_and_saveexec_b32 s0, s13
	s_cbranch_execz .LBB232_1383
.LBB232_2480:
	s_or_b32 s11, s9, exec_lo
	s_and_not1_b32 s2, s2, exec_lo
	s_trap 2
	s_or_b32 exec_lo, exec_lo, s0
	s_and_saveexec_b32 s13, s2
	s_cbranch_execnz .LBB232_1384
	s_branch .LBB232_1393
.LBB232_2481:
	s_or_saveexec_b32 s9, s9
	v_mov_b32_e32 v7, 0x7f800001
	s_xor_b32 exec_lo, exec_lo, s9
	s_cbranch_execz .LBB232_2146
.LBB232_2482:
	v_cmp_ne_u16_e64 s0, 0, v9
	v_mov_b32_e32 v7, 0
	s_and_not1_b32 s8, s8, exec_lo
	s_and_b32 s0, s0, exec_lo
	s_delay_alu instid0(SALU_CYCLE_1)
	s_or_b32 s8, s8, s0
	s_or_b32 exec_lo, exec_lo, s9
	s_and_saveexec_b32 s9, s8
	s_cbranch_execnz .LBB232_2147
	s_branch .LBB232_2148
.LBB232_2483:
	s_and_not1_saveexec_b32 s9, s0
	s_cbranch_execz .LBB232_33
.LBB232_2484:
	v_add_f32_e32 v2, 0x46000000, v3
	s_and_not1_b32 s8, s8, exec_lo
	s_delay_alu instid0(VALU_DEP_1) | instskip(NEXT) | instid1(VALU_DEP_1)
	v_and_b32_e32 v2, 0xff, v2
	v_cmp_ne_u32_e64 s0, 0, v2
	s_and_b32 s0, s0, exec_lo
	s_delay_alu instid0(SALU_CYCLE_1)
	s_or_b32 s8, s8, s0
	s_or_b32 exec_lo, exec_lo, s9
	v_mov_b32_e32 v4, 0
	s_and_saveexec_b32 s0, s8
	s_cbranch_execnz .LBB232_34
	s_branch .LBB232_35
.LBB232_2485:
	s_or_saveexec_b32 s13, s13
	v_mov_b32_e32 v9, 0x7f800001
	s_xor_b32 exec_lo, exec_lo, s13
	s_cbranch_execz .LBB232_917
.LBB232_2486:
	v_cmp_ne_u16_e64 s0, 0, v11
	v_mov_b32_e32 v9, 0
	s_and_not1_b32 s12, s12, exec_lo
	s_and_b32 s0, s0, exec_lo
	s_delay_alu instid0(SALU_CYCLE_1)
	s_or_b32 s12, s12, s0
	s_or_b32 exec_lo, exec_lo, s13
	s_and_saveexec_b32 s13, s12
	s_cbranch_execnz .LBB232_918
	s_branch .LBB232_919
.LBB232_2487:
	s_and_not1_saveexec_b32 s13, s13
	s_cbranch_execz .LBB232_1608
.LBB232_2488:
	s_mov_b32 s18, s16
	s_mov_b32 s2, exec_lo
                                        ; implicit-def: $vgpr6
	v_cmpx_lt_i16_e32 22, v19
	s_xor_b32 s2, exec_lo, s2
	s_cbranch_execz .LBB232_2520
; %bb.2489:
	s_mov_b32 s18, exec_lo
                                        ; implicit-def: $vgpr6
	v_cmpx_lt_i16_e32 23, v19
	s_xor_b32 s18, exec_lo, s18
	s_cbranch_execz .LBB232_2517
; %bb.2490:
	;; [unrolled: 6-line block ×3, first 2 shown]
	flat_load_u8 v5, v[2:3]
	s_mov_b32 s20, 0
	s_mov_b32 s21, exec_lo
	s_wait_loadcnt_dscnt 0x0
	v_cmpx_lt_i16_e32 0x7f, v5
	s_xor_b32 s21, exec_lo, s21
	s_cbranch_execz .LBB232_2738
; %bb.2492:
	s_mov_b32 s20, -1
	s_mov_b32 s22, exec_lo
	v_cmpx_eq_u16_e32 0x80, v5
; %bb.2493:
	s_xor_b32 s20, exec_lo, -1
; %bb.2494:
	s_or_b32 exec_lo, exec_lo, s22
	s_delay_alu instid0(SALU_CYCLE_1)
	s_and_b32 s20, s20, exec_lo
	s_or_saveexec_b32 s21, s21
	v_mov_b32_e32 v4, 0x7f800001
	s_xor_b32 exec_lo, exec_lo, s21
	s_cbranch_execnz .LBB232_2739
.LBB232_2495:
	s_or_b32 exec_lo, exec_lo, s21
	s_and_saveexec_b32 s21, s20
	s_cbranch_execz .LBB232_2497
.LBB232_2496:
	v_and_b32_e32 v4, 0xffff, v5
	s_delay_alu instid0(VALU_DEP_1) | instskip(SKIP_1) | instid1(VALU_DEP_2)
	v_and_b32_e32 v6, 3, v4
	v_bfe_u32 v12, v4, 2, 5
	v_clz_i32_u32_e32 v9, v6
	s_delay_alu instid0(VALU_DEP_2) | instskip(NEXT) | instid1(VALU_DEP_2)
	v_cmp_eq_u32_e64 s0, 0, v12
	v_min_u32_e32 v9, 32, v9
	s_delay_alu instid0(VALU_DEP_1) | instskip(NEXT) | instid1(VALU_DEP_1)
	v_subrev_nc_u32_e32 v10, 29, v9
	v_dual_lshlrev_b32 v4, v10, v4 :: v_dual_sub_nc_u32 v9, 30, v9
	s_delay_alu instid0(VALU_DEP_1) | instskip(NEXT) | instid1(VALU_DEP_1)
	v_dual_lshlrev_b32 v5, 24, v5 :: v_dual_bitop2_b32 v4, 3, v4 bitop3:0x40
	v_dual_cndmask_b32 v4, v6, v4, s0 :: v_dual_cndmask_b32 v9, v12, v9, s0
	s_delay_alu instid0(VALU_DEP_2) | instskip(NEXT) | instid1(VALU_DEP_2)
	v_and_b32_e32 v5, 0x80000000, v5
	v_lshlrev_b32_e32 v4, 21, v4
	s_delay_alu instid0(VALU_DEP_3) | instskip(NEXT) | instid1(VALU_DEP_1)
	v_lshl_add_u32 v6, v9, 23, 0x37800000
	v_or3_b32 v4, v5, v6, v4
.LBB232_2497:
	s_or_b32 exec_lo, exec_lo, s21
	s_delay_alu instid0(VALU_DEP_1) | instskip(SKIP_1) | instid1(VALU_DEP_1)
	v_and_b32_e32 v6, 0x7fffffff, v4
	s_mov_b32 s20, exec_lo
                                        ; implicit-def: $vgpr5
	v_cmpx_gt_u32_e32 0x47800000, v6
	s_xor_b32 s20, exec_lo, s20
	s_cbranch_execz .LBB232_2503
; %bb.2498:
	v_cmp_lt_u32_e64 s0, 0x387fffff, v6
                                        ; implicit-def: $vgpr5
	s_and_saveexec_b32 s21, s0
	s_delay_alu instid0(SALU_CYCLE_1)
	s_xor_b32 s0, exec_lo, s21
; %bb.2499:
	v_bfe_u32 v5, v4, 21, 1
	s_delay_alu instid0(VALU_DEP_1) | instskip(NEXT) | instid1(VALU_DEP_1)
	v_add3_u32 v5, v4, v5, 0x80fffff
	v_lshrrev_b32_e32 v5, 21, v5
; %bb.2500:
	s_and_not1_saveexec_b32 s0, s0
; %bb.2501:
	v_add_f32_e64 v5, 0x43000000, |v4|
; %bb.2502:
	s_or_b32 exec_lo, exec_lo, s0
                                        ; implicit-def: $vgpr6
.LBB232_2503:
	s_and_not1_saveexec_b32 s20, s20
; %bb.2504:
	v_mov_b32_e32 v5, 0x7f
	v_cmp_lt_u32_e64 s0, 0x7f800000, v6
	s_delay_alu instid0(VALU_DEP_1)
	v_cndmask_b32_e64 v5, 0x7c, v5, s0
; %bb.2505:
	s_or_b32 exec_lo, exec_lo, s20
	v_lshrrev_b32_e32 v4, 24, v4
	s_delay_alu instid0(VALU_DEP_1)
	v_and_or_b32 v6, 0x80, v4, v5
.LBB232_2506:
	s_and_not1_saveexec_b32 s19, s19
	s_cbranch_execz .LBB232_2516
; %bb.2507:
	flat_load_u8 v4, v[2:3]
	s_mov_b32 s20, exec_lo
	s_wait_loadcnt_dscnt 0x0
	v_lshlrev_b32_e32 v4, 24, v4
	s_delay_alu instid0(VALU_DEP_1) | instskip(NEXT) | instid1(VALU_DEP_1)
	v_and_b32_e32 v5, 0x7f000000, v4
	v_clz_i32_u32_e32 v6, v5
	v_add_nc_u32_e32 v10, 0x1000000, v5
	v_cmp_ne_u32_e64 s0, 0, v5
	s_delay_alu instid0(VALU_DEP_3) | instskip(NEXT) | instid1(VALU_DEP_1)
	v_min_u32_e32 v6, 32, v6
	v_sub_nc_u32_e64 v6, v6, 4 clamp
	s_delay_alu instid0(VALU_DEP_1) | instskip(NEXT) | instid1(VALU_DEP_1)
	v_lshlrev_b32_e32 v9, v6, v5
                                        ; implicit-def: $vgpr5
	v_dual_lshlrev_b32 v6, 23, v6 :: v_dual_lshrrev_b32 v9, 4, v9
	s_delay_alu instid0(VALU_DEP_1) | instskip(SKIP_1) | instid1(VALU_DEP_2)
	v_sub_nc_u32_e32 v6, v9, v6
	v_ashrrev_i32_e32 v9, 8, v10
	v_add_nc_u32_e32 v6, 0x3c000000, v6
	s_delay_alu instid0(VALU_DEP_1) | instskip(NEXT) | instid1(VALU_DEP_1)
	v_and_or_b32 v6, 0x7f800000, v9, v6
	v_cndmask_b32_e64 v9, 0, v6, s0
	s_delay_alu instid0(VALU_DEP_1) | instskip(NEXT) | instid1(VALU_DEP_1)
	v_and_or_b32 v4, 0x80000000, v4, v9
	v_and_b32_e32 v6, 0x7fffffff, v4
	s_wait_xcnt 0x0
	s_delay_alu instid0(VALU_DEP_1)
	v_cmpx_gt_u32_e32 0x47800000, v6
	s_xor_b32 s20, exec_lo, s20
	s_cbranch_execz .LBB232_2513
; %bb.2508:
	v_cmp_lt_u32_e64 s0, 0x387fffff, v6
                                        ; implicit-def: $vgpr5
	s_and_saveexec_b32 s21, s0
	s_delay_alu instid0(SALU_CYCLE_1)
	s_xor_b32 s0, exec_lo, s21
; %bb.2509:
	v_bfe_u32 v5, v9, 21, 1
	s_delay_alu instid0(VALU_DEP_1) | instskip(NEXT) | instid1(VALU_DEP_1)
	v_add3_u32 v5, v4, v5, 0x80fffff
	v_lshrrev_b32_e32 v5, 21, v5
; %bb.2510:
	s_and_not1_saveexec_b32 s0, s0
; %bb.2511:
	v_add_f32_e64 v5, 0x43000000, |v4|
; %bb.2512:
	s_or_b32 exec_lo, exec_lo, s0
                                        ; implicit-def: $vgpr6
.LBB232_2513:
	s_and_not1_saveexec_b32 s20, s20
; %bb.2514:
	v_mov_b32_e32 v5, 0x7f
	v_cmp_lt_u32_e64 s0, 0x7f800000, v6
	s_delay_alu instid0(VALU_DEP_1)
	v_cndmask_b32_e64 v5, 0x7c, v5, s0
; %bb.2515:
	s_or_b32 exec_lo, exec_lo, s20
	v_lshrrev_b32_e32 v4, 24, v4
	s_delay_alu instid0(VALU_DEP_1)
	v_and_or_b32 v6, 0x80, v4, v5
.LBB232_2516:
	s_or_b32 exec_lo, exec_lo, s19
.LBB232_2517:
	s_and_not1_saveexec_b32 s0, s18
	s_cbranch_execz .LBB232_2519
; %bb.2518:
	flat_load_u8 v6, v[2:3]
.LBB232_2519:
	s_wait_xcnt 0x0
	s_or_b32 exec_lo, exec_lo, s0
	s_delay_alu instid0(SALU_CYCLE_1)
	s_or_b32 s18, s16, exec_lo
                                        ; implicit-def: $vgpr19
.LBB232_2520:
	s_or_saveexec_b32 s2, s2
	s_mov_b32 s0, 0
	s_mov_b32 s19, s17
	s_xor_b32 exec_lo, exec_lo, s2
	s_cbranch_execz .LBB232_2536
; %bb.2521:
	s_mov_b32 s20, s17
	s_mov_b32 s21, s18
	s_mov_b32 s19, exec_lo
                                        ; implicit-def: $vgpr6
	v_cmpx_lt_i16_e32 14, v19
	s_xor_b32 s19, exec_lo, s19
	s_cbranch_execz .LBB232_2533
; %bb.2522:
	s_mov_b32 s21, -1
	s_mov_b32 s22, s18
	s_mov_b32 s20, exec_lo
                                        ; implicit-def: $vgpr6
	v_cmpx_eq_u16_e32 15, v19
	s_cbranch_execz .LBB232_2532
; %bb.2523:
	flat_load_u16 v4, v[2:3]
	s_mov_b32 s21, exec_lo
                                        ; implicit-def: $vgpr5
	s_wait_loadcnt_dscnt 0x0
	v_lshlrev_b32_e32 v6, 16, v4
	s_delay_alu instid0(VALU_DEP_1) | instskip(SKIP_1) | instid1(VALU_DEP_1)
	v_and_b32_e32 v9, 0x7fffffff, v6
	s_wait_xcnt 0x0
	v_cmpx_gt_u32_e32 0x47800000, v9
	s_xor_b32 s21, exec_lo, s21
	s_cbranch_execz .LBB232_2529
; %bb.2524:
	v_cmp_lt_u32_e64 s0, 0x387fffff, v9
                                        ; implicit-def: $vgpr5
	s_and_saveexec_b32 s22, s0
	s_delay_alu instid0(SALU_CYCLE_1)
	s_xor_b32 s0, exec_lo, s22
; %bb.2525:
	v_bfe_u32 v5, v4, 5, 1
	s_delay_alu instid0(VALU_DEP_1) | instskip(NEXT) | instid1(VALU_DEP_1)
	v_add3_u32 v5, v6, v5, 0x80fffff
                                        ; implicit-def: $vgpr6
	v_lshrrev_b32_e32 v5, 21, v5
; %bb.2526:
	s_and_not1_saveexec_b32 s0, s0
; %bb.2527:
	v_add_f32_e64 v5, 0x43000000, |v6|
; %bb.2528:
	s_or_b32 exec_lo, exec_lo, s0
                                        ; implicit-def: $vgpr9
.LBB232_2529:
	s_and_not1_saveexec_b32 s21, s21
; %bb.2530:
	v_mov_b32_e32 v5, 0x7f
	v_cmp_lt_u32_e64 s0, 0x7f800000, v9
	s_delay_alu instid0(VALU_DEP_1)
	v_cndmask_b32_e64 v5, 0x7c, v5, s0
; %bb.2531:
	s_or_b32 exec_lo, exec_lo, s21
	v_lshrrev_b32_e32 v4, 8, v4
	s_or_b32 s22, s18, exec_lo
	s_xor_b32 s21, exec_lo, -1
	s_delay_alu instid0(VALU_DEP_1)
	v_and_or_b32 v6, 0x80, v4, v5
.LBB232_2532:
	s_or_b32 exec_lo, exec_lo, s20
	s_delay_alu instid0(SALU_CYCLE_1)
	s_and_not1_b32 s0, s18, exec_lo
	s_and_b32 s20, s22, exec_lo
	s_and_not1_b32 s22, s17, exec_lo
	s_and_b32 s23, s21, exec_lo
	s_or_b32 s21, s0, s20
	s_or_b32 s20, s22, s23
                                        ; implicit-def: $vgpr19
.LBB232_2533:
	s_or_saveexec_b32 s19, s19
	s_mov_b32 s22, 0
	s_xor_b32 exec_lo, exec_lo, s19
; %bb.2534:
	v_cmp_ne_u16_e64 s0, 11, v19
	s_and_not1_b32 s20, s20, exec_lo
	s_mov_b32 s22, exec_lo
	s_and_b32 s0, s0, exec_lo
	s_delay_alu instid0(SALU_CYCLE_1)
	s_or_b32 s20, s20, s0
; %bb.2535:
	s_or_b32 exec_lo, exec_lo, s19
	s_delay_alu instid0(SALU_CYCLE_1)
	s_and_not1_b32 s0, s18, exec_lo
	s_and_b32 s18, s21, exec_lo
	s_and_not1_b32 s19, s17, exec_lo
	s_and_b32 s20, s20, exec_lo
	s_or_b32 s18, s0, s18
	s_and_b32 s0, s22, exec_lo
	s_or_b32 s19, s19, s20
.LBB232_2536:
	s_or_b32 exec_lo, exec_lo, s2
	s_delay_alu instid0(SALU_CYCLE_1)
	s_and_not1_b32 s2, s16, exec_lo
	s_and_b32 s16, s18, exec_lo
	s_and_not1_b32 s17, s17, exec_lo
	s_and_b32 s18, s19, exec_lo
	s_or_b32 s16, s2, s16
	s_and_b32 s2, s0, exec_lo
	s_or_b32 s17, s17, s18
	s_or_b32 exec_lo, exec_lo, s13
	s_mov_b32 s13, s11
	s_and_saveexec_b32 s0, s17
	s_cbranch_execz .LBB232_1609
.LBB232_2537:
	s_or_b32 s13, s11, exec_lo
	s_and_not1_b32 s2, s2, exec_lo
	s_trap 2
	s_or_b32 exec_lo, exec_lo, s0
	s_and_saveexec_b32 s17, s2
	s_cbranch_execnz .LBB232_1610
	s_branch .LBB232_1619
.LBB232_2538:
	s_or_saveexec_b32 s11, s11
	v_mov_b32_e32 v7, 0x7f800001
	s_xor_b32 exec_lo, exec_lo, s11
	s_cbranch_execz .LBB232_2239
.LBB232_2539:
	v_cmp_ne_u16_e64 s0, 0, v9
	v_mov_b32_e32 v7, 0
	s_and_not1_b32 s10, s10, exec_lo
	s_and_b32 s0, s0, exec_lo
	s_delay_alu instid0(SALU_CYCLE_1)
	s_or_b32 s10, s10, s0
	s_or_b32 exec_lo, exec_lo, s11
	s_and_saveexec_b32 s11, s10
	s_cbranch_execnz .LBB232_2240
	s_branch .LBB232_2241
.LBB232_2540:
	s_and_not1_saveexec_b32 s10, s0
	s_cbranch_execz .LBB232_46
.LBB232_2541:
	v_add_f32_e32 v2, 0x42800000, v3
	s_and_not1_b32 s9, s9, exec_lo
	s_delay_alu instid0(VALU_DEP_1) | instskip(NEXT) | instid1(VALU_DEP_1)
	v_and_b32_e32 v2, 0xff, v2
	v_cmp_ne_u32_e64 s0, 0, v2
	s_and_b32 s0, s0, exec_lo
	s_delay_alu instid0(SALU_CYCLE_1)
	s_or_b32 s9, s9, s0
	s_or_b32 exec_lo, exec_lo, s10
	v_mov_b32_e32 v4, 0
	s_and_saveexec_b32 s0, s9
	s_cbranch_execnz .LBB232_47
	s_branch .LBB232_48
.LBB232_2542:
	s_and_not1_saveexec_b32 s9, s0
	s_cbranch_execz .LBB232_120
.LBB232_2543:
	v_add_f32_e32 v2, 0x46000000, v3
	s_and_not1_b32 s8, s8, exec_lo
	s_delay_alu instid0(VALU_DEP_1) | instskip(NEXT) | instid1(VALU_DEP_1)
	v_and_b32_e32 v2, 0xff, v2
	v_cmp_ne_u32_e64 s0, 0, v2
	s_and_b32 s0, s0, exec_lo
	s_delay_alu instid0(SALU_CYCLE_1)
	s_or_b32 s8, s8, s0
	s_or_b32 exec_lo, exec_lo, s9
	v_mov_b32_e32 v4, 0
	s_and_saveexec_b32 s0, s8
	s_cbranch_execnz .LBB232_121
	s_branch .LBB232_122
.LBB232_2544:
	s_or_saveexec_b32 s17, s17
	v_mov_b32_e32 v7, 0x7f800001
	s_xor_b32 exec_lo, exec_lo, s17
	s_cbranch_execz .LBB232_1143
.LBB232_2545:
	v_cmp_ne_u16_e64 s0, 0, v12
	v_mov_b32_e32 v7, 0
	s_and_not1_b32 s16, s16, exec_lo
	s_and_b32 s0, s0, exec_lo
	s_delay_alu instid0(SALU_CYCLE_1)
	s_or_b32 s16, s16, s0
	s_or_b32 exec_lo, exec_lo, s17
	s_and_saveexec_b32 s17, s16
	s_cbranch_execnz .LBB232_1144
	s_branch .LBB232_1145
.LBB232_2546:
	s_and_not1_saveexec_b32 s19, s19
	s_cbranch_execz .LBB232_1788
.LBB232_2547:
	s_mov_b32 s20, s1
	s_mov_b32 s18, exec_lo
	v_cmpx_lt_i16_e32 22, v9
	s_xor_b32 s18, exec_lo, s18
	s_cbranch_execz .LBB232_2579
; %bb.2548:
	s_mov_b32 s20, exec_lo
	v_cmpx_lt_i16_e32 23, v9
	s_xor_b32 s20, exec_lo, s20
	s_cbranch_execz .LBB232_2568
; %bb.2549:
	s_mov_b32 s21, exec_lo
	v_cmpx_lt_i16_e32 24, v9
	s_xor_b32 s21, exec_lo, s21
	s_cbranch_execz .LBB232_2557
; %bb.2550:
	v_cndmask_b32_e64 v10, 0, 1.0, vcc_lo
	v_mov_b32_e32 v12, 0x80
	s_mov_b32 s22, exec_lo
	s_delay_alu instid0(VALU_DEP_2)
	v_cmpx_gt_u32_e32 0x47800000, v10
	s_cbranch_execz .LBB232_2556
; %bb.2551:
	v_cmp_lt_u32_e64 s0, 0x37ffffff, v10
	s_mov_b32 s23, 0
                                        ; implicit-def: $vgpr3
	s_and_saveexec_b32 s24, s0
	s_delay_alu instid0(SALU_CYCLE_1)
	s_xor_b32 s0, exec_lo, s24
	s_cbranch_execz .LBB232_2744
; %bb.2552:
	v_bfe_u32 v3, v10, 21, 1
	s_mov_b32 s23, exec_lo
	s_delay_alu instid0(VALU_DEP_1) | instskip(NEXT) | instid1(VALU_DEP_1)
	v_add3_u32 v3, v10, v3, 0x88fffff
                                        ; implicit-def: $vgpr10
	v_lshrrev_b32_e32 v3, 21, v3
	s_and_not1_saveexec_b32 s24, s0
	s_cbranch_execnz .LBB232_2745
.LBB232_2553:
	s_or_b32 exec_lo, exec_lo, s24
	v_mov_b32_e32 v12, 0
	s_and_saveexec_b32 s0, s23
.LBB232_2554:
	v_mov_b32_e32 v12, v3
.LBB232_2555:
	s_or_b32 exec_lo, exec_lo, s0
.LBB232_2556:
	s_delay_alu instid0(SALU_CYCLE_1)
	s_or_b32 exec_lo, exec_lo, s22
	flat_store_b8 v[4:5], v12
.LBB232_2557:
	s_wait_xcnt 0x0
	s_and_not1_saveexec_b32 s21, s21
	s_cbranch_execz .LBB232_2567
; %bb.2558:
	v_cndmask_b32_e64 v10, 0, 1.0, vcc_lo
	s_mov_b32 s22, exec_lo
                                        ; implicit-def: $vgpr3
	s_delay_alu instid0(VALU_DEP_1)
	v_cmpx_gt_u32_e32 0x43f00000, v10
	s_xor_b32 s22, exec_lo, s22
	s_cbranch_execz .LBB232_2564
; %bb.2559:
	s_mov_b32 s23, exec_lo
                                        ; implicit-def: $vgpr3
	v_cmpx_lt_u32_e32 0x3c7fffff, v10
	s_xor_b32 s23, exec_lo, s23
; %bb.2560:
	v_bfe_u32 v3, v10, 20, 1
	s_delay_alu instid0(VALU_DEP_1) | instskip(NEXT) | instid1(VALU_DEP_1)
	v_add3_u32 v3, v10, v3, 0x407ffff
	v_and_b32_e32 v10, 0xff00000, v3
	v_lshrrev_b32_e32 v3, 20, v3
	s_delay_alu instid0(VALU_DEP_2) | instskip(NEXT) | instid1(VALU_DEP_1)
	v_cmp_ne_u32_e64 s0, 0x7f00000, v10
                                        ; implicit-def: $vgpr10
	v_cndmask_b32_e64 v3, 0x7e, v3, s0
; %bb.2561:
	s_and_not1_saveexec_b32 s0, s23
; %bb.2562:
	v_add_f32_e32 v3, 0x46800000, v10
; %bb.2563:
	s_or_b32 exec_lo, exec_lo, s0
                                        ; implicit-def: $vgpr10
.LBB232_2564:
	s_and_not1_saveexec_b32 s22, s22
; %bb.2565:
	v_mov_b32_e32 v3, 0x7f
	v_cmp_lt_u32_e64 s0, 0x7f800000, v10
	s_delay_alu instid0(VALU_DEP_1)
	v_cndmask_b32_e64 v3, 0x7e, v3, s0
; %bb.2566:
	s_or_b32 exec_lo, exec_lo, s22
	flat_store_b8 v[4:5], v3
.LBB232_2567:
	s_wait_xcnt 0x0
	s_or_b32 exec_lo, exec_lo, s21
.LBB232_2568:
	s_and_not1_saveexec_b32 s20, s20
	s_cbranch_execz .LBB232_2578
; %bb.2569:
	v_cndmask_b32_e64 v10, 0, 1.0, vcc_lo
	s_mov_b32 s21, exec_lo
                                        ; implicit-def: $vgpr3
	s_delay_alu instid0(VALU_DEP_1)
	v_cmpx_gt_u32_e32 0x47800000, v10
	s_xor_b32 s21, exec_lo, s21
	s_cbranch_execz .LBB232_2575
; %bb.2570:
	v_cmp_lt_u32_e64 s0, 0x387fffff, v10
                                        ; implicit-def: $vgpr3
	s_and_saveexec_b32 s22, s0
	s_delay_alu instid0(SALU_CYCLE_1)
	s_xor_b32 s0, exec_lo, s22
; %bb.2571:
	v_bfe_u32 v3, v10, 21, 1
	s_delay_alu instid0(VALU_DEP_1) | instskip(NEXT) | instid1(VALU_DEP_1)
	v_add3_u32 v3, v10, v3, 0x80fffff
                                        ; implicit-def: $vgpr10
	v_lshrrev_b32_e32 v3, 21, v3
; %bb.2572:
	s_and_not1_saveexec_b32 s0, s0
; %bb.2573:
	v_add_f32_e32 v3, 0x43000000, v10
; %bb.2574:
	s_or_b32 exec_lo, exec_lo, s0
                                        ; implicit-def: $vgpr10
.LBB232_2575:
	s_and_not1_saveexec_b32 s21, s21
; %bb.2576:
	v_mov_b32_e32 v3, 0x7f
	v_cmp_lt_u32_e64 s0, 0x7f800000, v10
	s_delay_alu instid0(VALU_DEP_1)
	v_cndmask_b32_e64 v3, 0x7c, v3, s0
; %bb.2577:
	s_or_b32 exec_lo, exec_lo, s21
	flat_store_b8 v[4:5], v3
.LBB232_2578:
	s_wait_xcnt 0x0
	s_or_b32 exec_lo, exec_lo, s20
	s_delay_alu instid0(SALU_CYCLE_1)
	s_or_b32 s20, s1, exec_lo
.LBB232_2579:
	s_or_saveexec_b32 s18, s18
	s_mov_b32 s0, 0
	s_mov_b32 s21, s17
	s_xor_b32 exec_lo, exec_lo, s18
	s_cbranch_execz .LBB232_2587
; %bb.2580:
	s_mov_b32 s21, s17
	s_mov_b32 s23, s20
	s_mov_b32 s22, exec_lo
	v_cmpx_lt_i16_e32 14, v9
	s_xor_b32 s22, exec_lo, s22
	s_cbranch_execz .LBB232_2584
; %bb.2581:
	s_mov_b32 s21, -1
	s_mov_b32 s24, s20
	s_mov_b32 s23, exec_lo
	v_cmpx_eq_u16_e32 15, v9
	s_cbranch_execz .LBB232_2583
; %bb.2582:
	v_cndmask_b32_e64 v3, 0, 1.0, vcc_lo
	s_or_b32 s24, s20, exec_lo
	s_xor_b32 s21, exec_lo, -1
	s_delay_alu instid0(VALU_DEP_1) | instskip(NEXT) | instid1(VALU_DEP_1)
	v_bfe_u32 v10, v3, 16, 1
	v_add3_u32 v3, v3, v10, 0x7fff
	flat_store_d16_hi_b16 v[4:5], v3
.LBB232_2583:
	s_wait_xcnt 0x0
	s_or_b32 exec_lo, exec_lo, s23
	s_delay_alu instid0(SALU_CYCLE_1)
	s_and_not1_b32 s0, s20, exec_lo
	s_and_b32 s23, s24, exec_lo
	s_and_not1_b32 s24, s17, exec_lo
	s_and_b32 s21, s21, exec_lo
	s_or_b32 s23, s0, s23
	s_or_b32 s21, s24, s21
.LBB232_2584:
	s_or_saveexec_b32 s24, s22
	s_mov_b32 s22, 0
	s_xor_b32 exec_lo, exec_lo, s24
; %bb.2585:
	v_cmp_ne_u16_e64 s0, 11, v9
	s_and_not1_b32 s21, s21, exec_lo
	s_mov_b32 s22, exec_lo
	s_and_b32 s0, s0, exec_lo
	s_delay_alu instid0(SALU_CYCLE_1)
	s_or_b32 s21, s21, s0
; %bb.2586:
	s_or_b32 exec_lo, exec_lo, s24
	s_delay_alu instid0(SALU_CYCLE_1)
	s_and_not1_b32 s0, s20, exec_lo
	s_and_b32 s20, s23, exec_lo
	s_and_not1_b32 s23, s17, exec_lo
	s_and_b32 s21, s21, exec_lo
	s_or_b32 s20, s0, s20
	s_and_b32 s0, s22, exec_lo
	s_or_b32 s21, s23, s21
.LBB232_2587:
	s_or_b32 exec_lo, exec_lo, s18
	s_delay_alu instid0(SALU_CYCLE_1)
	s_and_not1_b32 s1, s1, exec_lo
	s_and_b32 s18, s20, exec_lo
	s_and_not1_b32 s17, s17, exec_lo
	s_and_b32 s20, s21, exec_lo
	s_or_b32 s1, s1, s18
	s_and_b32 s18, s0, exec_lo
	s_or_b32 s17, s17, s20
	s_or_b32 exec_lo, exec_lo, s19
	s_mov_b32 s0, s13
	s_and_saveexec_b32 s19, s17
	s_cbranch_execz .LBB232_1789
.LBB232_2588:
	s_or_b32 s0, s13, exec_lo
	s_and_not1_b32 s18, s18, exec_lo
	s_trap 2
	s_or_b32 exec_lo, exec_lo, s19
	s_and_saveexec_b32 s17, s18
	s_delay_alu instid0(SALU_CYCLE_1)
	s_xor_b32 s17, exec_lo, s17
	s_cbranch_execnz .LBB232_1790
	s_branch .LBB232_1791
.LBB232_2589:
	s_or_saveexec_b32 s13, s13
	v_mov_b32_e32 v9, 0x7f800001
	s_xor_b32 exec_lo, exec_lo, s13
	s_cbranch_execz .LBB232_2332
.LBB232_2590:
	v_cmp_ne_u16_e64 s0, 0, v11
	v_mov_b32_e32 v9, 0
	s_and_not1_b32 s12, s12, exec_lo
	s_and_b32 s0, s0, exec_lo
	s_delay_alu instid0(SALU_CYCLE_1)
	s_or_b32 s12, s12, s0
	s_or_b32 exec_lo, exec_lo, s13
	s_and_saveexec_b32 s13, s12
	s_cbranch_execnz .LBB232_2333
	s_branch .LBB232_2334
.LBB232_2591:
	s_and_not1_saveexec_b32 s10, s0
	s_cbranch_execz .LBB232_133
.LBB232_2592:
	v_add_f32_e32 v2, 0x42800000, v3
	s_and_not1_b32 s9, s9, exec_lo
	s_delay_alu instid0(VALU_DEP_1) | instskip(NEXT) | instid1(VALU_DEP_1)
	v_and_b32_e32 v2, 0xff, v2
	v_cmp_ne_u32_e64 s0, 0, v2
	s_and_b32 s0, s0, exec_lo
	s_delay_alu instid0(SALU_CYCLE_1)
	s_or_b32 s9, s9, s0
	s_or_b32 exec_lo, exec_lo, s10
	v_mov_b32_e32 v4, 0
	s_and_saveexec_b32 s0, s9
	s_cbranch_execnz .LBB232_134
	s_branch .LBB232_135
.LBB232_2593:
	s_and_not1_saveexec_b32 s9, s0
	s_cbranch_execz .LBB232_207
.LBB232_2594:
	v_add_f32_e32 v2, 0x46000000, v3
	s_and_not1_b32 s8, s8, exec_lo
	s_delay_alu instid0(VALU_DEP_1) | instskip(NEXT) | instid1(VALU_DEP_1)
	v_and_b32_e32 v2, 0xff, v2
	v_cmp_ne_u32_e64 s0, 0, v2
	s_and_b32 s0, s0, exec_lo
	s_delay_alu instid0(SALU_CYCLE_1)
	s_or_b32 s8, s8, s0
	s_or_b32 exec_lo, exec_lo, s9
	v_mov_b32_e32 v4, 0
	s_and_saveexec_b32 s0, s8
	s_cbranch_execnz .LBB232_208
	s_branch .LBB232_209
.LBB232_2595:
	s_or_saveexec_b32 s19, s19
	v_mov_b32_e32 v8, 0x7f800001
	s_xor_b32 exec_lo, exec_lo, s19
	s_cbranch_execz .LBB232_1369
.LBB232_2596:
	v_cmp_ne_u16_e64 s0, 0, v9
	v_mov_b32_e32 v8, 0
	s_and_not1_b32 s18, s18, exec_lo
	s_and_b32 s0, s0, exec_lo
	s_delay_alu instid0(SALU_CYCLE_1)
	s_or_b32 s18, s18, s0
	s_or_b32 exec_lo, exec_lo, s19
	s_and_saveexec_b32 s19, s18
	s_cbranch_execnz .LBB232_1370
	s_branch .LBB232_1371
.LBB232_2597:
	s_and_not1_saveexec_b32 s22, s22
	s_cbranch_execz .LBB232_1872
.LBB232_2598:
	s_mov_b32 s23, s2
	s_mov_b32 s21, exec_lo
	v_cmpx_lt_i16_e32 22, v9
	s_xor_b32 s21, exec_lo, s21
	s_cbranch_execz .LBB232_2630
; %bb.2599:
	s_mov_b32 s23, exec_lo
	v_cmpx_lt_i16_e32 23, v9
	s_xor_b32 s23, exec_lo, s23
	s_cbranch_execz .LBB232_2619
; %bb.2600:
	;; [unrolled: 5-line block ×3, first 2 shown]
	v_cndmask_b32_e64 v12, 0, 1.0, s0
	v_mov_b32_e32 v13, 0x80
	s_mov_b32 s25, exec_lo
	s_delay_alu instid0(VALU_DEP_2)
	v_cmpx_gt_u32_e32 0x47800000, v12
	s_cbranch_execz .LBB232_2607
; %bb.2602:
	v_cmp_lt_u32_e64 s1, 0x37ffffff, v12
	s_mov_b32 s26, 0
                                        ; implicit-def: $vgpr3
	s_and_saveexec_b32 s27, s1
	s_delay_alu instid0(SALU_CYCLE_1)
	s_xor_b32 s1, exec_lo, s27
	s_cbranch_execz .LBB232_2748
; %bb.2603:
	v_bfe_u32 v3, v12, 21, 1
	s_mov_b32 s26, exec_lo
	s_delay_alu instid0(VALU_DEP_1) | instskip(NEXT) | instid1(VALU_DEP_1)
	v_add3_u32 v3, v12, v3, 0x88fffff
                                        ; implicit-def: $vgpr12
	v_lshrrev_b32_e32 v3, 21, v3
	s_and_not1_saveexec_b32 s27, s1
	s_cbranch_execnz .LBB232_2749
.LBB232_2604:
	s_or_b32 exec_lo, exec_lo, s27
	v_mov_b32_e32 v13, 0
	s_and_saveexec_b32 s1, s26
.LBB232_2605:
	v_mov_b32_e32 v13, v3
.LBB232_2606:
	s_or_b32 exec_lo, exec_lo, s1
.LBB232_2607:
	s_delay_alu instid0(SALU_CYCLE_1)
	s_or_b32 exec_lo, exec_lo, s25
	flat_store_b8 v[4:5], v13
.LBB232_2608:
	s_wait_xcnt 0x0
	s_and_not1_saveexec_b32 s24, s24
	s_cbranch_execz .LBB232_2618
; %bb.2609:
	v_cndmask_b32_e64 v12, 0, 1.0, s0
	s_mov_b32 s25, exec_lo
                                        ; implicit-def: $vgpr3
	s_delay_alu instid0(VALU_DEP_1)
	v_cmpx_gt_u32_e32 0x43f00000, v12
	s_xor_b32 s25, exec_lo, s25
	s_cbranch_execz .LBB232_2615
; %bb.2610:
	s_mov_b32 s26, exec_lo
                                        ; implicit-def: $vgpr3
	v_cmpx_lt_u32_e32 0x3c7fffff, v12
	s_xor_b32 s26, exec_lo, s26
; %bb.2611:
	v_bfe_u32 v3, v12, 20, 1
	s_delay_alu instid0(VALU_DEP_1) | instskip(NEXT) | instid1(VALU_DEP_1)
	v_add3_u32 v3, v12, v3, 0x407ffff
	v_and_b32_e32 v12, 0xff00000, v3
	v_lshrrev_b32_e32 v3, 20, v3
	s_delay_alu instid0(VALU_DEP_2) | instskip(NEXT) | instid1(VALU_DEP_1)
	v_cmp_ne_u32_e64 s1, 0x7f00000, v12
                                        ; implicit-def: $vgpr12
	v_cndmask_b32_e64 v3, 0x7e, v3, s1
; %bb.2612:
	s_and_not1_saveexec_b32 s1, s26
; %bb.2613:
	v_add_f32_e32 v3, 0x46800000, v12
; %bb.2614:
	s_or_b32 exec_lo, exec_lo, s1
                                        ; implicit-def: $vgpr12
.LBB232_2615:
	s_and_not1_saveexec_b32 s25, s25
; %bb.2616:
	v_mov_b32_e32 v3, 0x7f
	v_cmp_lt_u32_e64 s1, 0x7f800000, v12
	s_delay_alu instid0(VALU_DEP_1)
	v_cndmask_b32_e64 v3, 0x7e, v3, s1
; %bb.2617:
	s_or_b32 exec_lo, exec_lo, s25
	flat_store_b8 v[4:5], v3
.LBB232_2618:
	s_wait_xcnt 0x0
	s_or_b32 exec_lo, exec_lo, s24
.LBB232_2619:
	s_and_not1_saveexec_b32 s23, s23
	s_cbranch_execz .LBB232_2629
; %bb.2620:
	v_cndmask_b32_e64 v12, 0, 1.0, s0
	s_mov_b32 s24, exec_lo
                                        ; implicit-def: $vgpr3
	s_delay_alu instid0(VALU_DEP_1)
	v_cmpx_gt_u32_e32 0x47800000, v12
	s_xor_b32 s24, exec_lo, s24
	s_cbranch_execz .LBB232_2626
; %bb.2621:
	v_cmp_lt_u32_e64 s1, 0x387fffff, v12
                                        ; implicit-def: $vgpr3
	s_and_saveexec_b32 s25, s1
	s_delay_alu instid0(SALU_CYCLE_1)
	s_xor_b32 s1, exec_lo, s25
; %bb.2622:
	v_bfe_u32 v3, v12, 21, 1
	s_delay_alu instid0(VALU_DEP_1) | instskip(NEXT) | instid1(VALU_DEP_1)
	v_add3_u32 v3, v12, v3, 0x80fffff
                                        ; implicit-def: $vgpr12
	v_lshrrev_b32_e32 v3, 21, v3
; %bb.2623:
	s_and_not1_saveexec_b32 s1, s1
; %bb.2624:
	v_add_f32_e32 v3, 0x43000000, v12
; %bb.2625:
	s_or_b32 exec_lo, exec_lo, s1
                                        ; implicit-def: $vgpr12
.LBB232_2626:
	s_and_not1_saveexec_b32 s24, s24
; %bb.2627:
	v_mov_b32_e32 v3, 0x7f
	v_cmp_lt_u32_e64 s1, 0x7f800000, v12
	s_delay_alu instid0(VALU_DEP_1)
	v_cndmask_b32_e64 v3, 0x7c, v3, s1
; %bb.2628:
	s_or_b32 exec_lo, exec_lo, s24
	flat_store_b8 v[4:5], v3
.LBB232_2629:
	s_wait_xcnt 0x0
	s_or_b32 exec_lo, exec_lo, s23
	s_delay_alu instid0(SALU_CYCLE_1)
	s_or_b32 s23, s2, exec_lo
.LBB232_2630:
	s_or_saveexec_b32 s21, s21
	s_mov_b32 s1, 0
	s_mov_b32 s24, s19
	s_xor_b32 exec_lo, exec_lo, s21
	s_cbranch_execz .LBB232_2638
; %bb.2631:
	s_mov_b32 s24, s19
	s_mov_b32 s26, s23
	s_mov_b32 s25, exec_lo
	v_cmpx_lt_i16_e32 14, v9
	s_xor_b32 s25, exec_lo, s25
	s_cbranch_execz .LBB232_2635
; %bb.2632:
	s_mov_b32 s24, -1
	s_mov_b32 s27, s23
	s_mov_b32 s26, exec_lo
	v_cmpx_eq_u16_e32 15, v9
	s_cbranch_execz .LBB232_2634
; %bb.2633:
	v_cndmask_b32_e64 v3, 0, 1.0, s0
	s_or_b32 s27, s23, exec_lo
	s_xor_b32 s24, exec_lo, -1
	s_delay_alu instid0(VALU_DEP_1) | instskip(NEXT) | instid1(VALU_DEP_1)
	v_bfe_u32 v12, v3, 16, 1
	v_add3_u32 v3, v3, v12, 0x7fff
	flat_store_d16_hi_b16 v[4:5], v3
.LBB232_2634:
	s_wait_xcnt 0x0
	s_or_b32 exec_lo, exec_lo, s26
	s_delay_alu instid0(SALU_CYCLE_1)
	s_and_not1_b32 s1, s23, exec_lo
	s_and_b32 s26, s27, exec_lo
	s_and_not1_b32 s27, s19, exec_lo
	s_and_b32 s24, s24, exec_lo
	s_or_b32 s26, s1, s26
	s_or_b32 s24, s27, s24
.LBB232_2635:
	s_or_saveexec_b32 s27, s25
	s_mov_b32 s25, 0
	s_xor_b32 exec_lo, exec_lo, s27
; %bb.2636:
	v_cmp_ne_u16_e64 s1, 11, v9
	s_and_not1_b32 s24, s24, exec_lo
	s_mov_b32 s25, exec_lo
	s_and_b32 s1, s1, exec_lo
	s_delay_alu instid0(SALU_CYCLE_1)
	s_or_b32 s24, s24, s1
; %bb.2637:
	s_or_b32 exec_lo, exec_lo, s27
	s_delay_alu instid0(SALU_CYCLE_1)
	s_and_not1_b32 s1, s23, exec_lo
	s_and_b32 s23, s26, exec_lo
	s_and_not1_b32 s26, s19, exec_lo
	s_and_b32 s24, s24, exec_lo
	s_or_b32 s23, s1, s23
	s_and_b32 s1, s25, exec_lo
	s_or_b32 s24, s26, s24
.LBB232_2638:
	s_or_b32 exec_lo, exec_lo, s21
	s_delay_alu instid0(SALU_CYCLE_1)
	s_and_not1_b32 s2, s2, exec_lo
	s_and_b32 s21, s23, exec_lo
	s_and_not1_b32 s19, s19, exec_lo
	s_and_b32 s23, s24, exec_lo
	s_or_b32 s2, s2, s21
	s_and_b32 s21, s1, exec_lo
	s_or_b32 s19, s19, s23
	s_or_b32 exec_lo, exec_lo, s22
	s_mov_b32 s1, s17
	s_and_saveexec_b32 s22, s19
	s_cbranch_execz .LBB232_1873
.LBB232_2639:
	s_or_b32 s1, s17, exec_lo
	s_and_not1_b32 s21, s21, exec_lo
	s_trap 2
	s_or_b32 exec_lo, exec_lo, s22
	s_and_saveexec_b32 s19, s21
	s_delay_alu instid0(SALU_CYCLE_1)
	s_xor_b32 s19, exec_lo, s19
	s_cbranch_execnz .LBB232_1874
	s_branch .LBB232_1875
.LBB232_2640:
	s_or_saveexec_b32 s17, s17
	v_mov_b32_e32 v7, 0x7f800001
	s_xor_b32 exec_lo, exec_lo, s17
	s_cbranch_execz .LBB232_2385
.LBB232_2641:
	v_cmp_ne_u16_e64 s0, 0, v12
	v_mov_b32_e32 v7, 0
	s_and_not1_b32 s16, s16, exec_lo
	s_and_b32 s0, s0, exec_lo
	s_delay_alu instid0(SALU_CYCLE_1)
	s_or_b32 s16, s16, s0
	s_or_b32 exec_lo, exec_lo, s17
	s_and_saveexec_b32 s17, s16
	s_cbranch_execnz .LBB232_2386
	s_branch .LBB232_2387
.LBB232_2642:
	s_and_not1_saveexec_b32 s10, s0
	s_cbranch_execz .LBB232_220
.LBB232_2643:
	v_add_f32_e32 v2, 0x42800000, v3
	s_and_not1_b32 s9, s9, exec_lo
	s_delay_alu instid0(VALU_DEP_1) | instskip(NEXT) | instid1(VALU_DEP_1)
	v_and_b32_e32 v2, 0xff, v2
	v_cmp_ne_u32_e64 s0, 0, v2
	s_and_b32 s0, s0, exec_lo
	s_delay_alu instid0(SALU_CYCLE_1)
	s_or_b32 s9, s9, s0
	s_or_b32 exec_lo, exec_lo, s10
	v_mov_b32_e32 v4, 0
	s_and_saveexec_b32 s0, s9
	s_cbranch_execnz .LBB232_221
	s_branch .LBB232_222
.LBB232_2644:
	s_and_not1_saveexec_b32 s8, s8
	s_cbranch_execz .LBB232_294
.LBB232_2645:
	v_add_f32_e32 v3, 0x46000000, v4
	s_and_not1_b32 s7, s7, exec_lo
	s_delay_alu instid0(VALU_DEP_1) | instskip(NEXT) | instid1(VALU_DEP_1)
	v_and_b32_e32 v3, 0xff, v3
	v_cmp_ne_u32_e32 vcc_lo, 0, v3
	s_and_b32 s9, vcc_lo, exec_lo
	s_delay_alu instid0(SALU_CYCLE_1)
	s_or_b32 s7, s7, s9
	s_or_b32 exec_lo, exec_lo, s8
	v_mov_b32_e32 v5, 0
	s_and_saveexec_b32 s8, s7
	s_cbranch_execnz .LBB232_295
	s_branch .LBB232_296
.LBB232_2646:
	s_or_saveexec_b32 s21, s21
	v_mov_b32_e32 v4, 0x7f800001
	s_xor_b32 exec_lo, exec_lo, s21
	s_cbranch_execz .LBB232_1595
.LBB232_2647:
	v_cmp_ne_u16_e64 s0, 0, v5
	v_mov_b32_e32 v4, 0
	s_and_not1_b32 s20, s20, exec_lo
	s_and_b32 s0, s0, exec_lo
	s_delay_alu instid0(SALU_CYCLE_1)
	s_or_b32 s20, s20, s0
	s_or_b32 exec_lo, exec_lo, s21
	s_and_saveexec_b32 s21, s20
	s_cbranch_execnz .LBB232_1596
	s_branch .LBB232_1597
.LBB232_2648:
	s_and_not1_saveexec_b32 s24, s24
	s_cbranch_execz .LBB232_1956
.LBB232_2649:
	s_mov_b32 s25, s22
	s_mov_b32 s23, exec_lo
	v_cmpx_lt_i16_e32 22, v9
	s_xor_b32 s23, exec_lo, s23
	s_cbranch_execz .LBB232_2681
; %bb.2650:
	s_mov_b32 s25, exec_lo
	v_cmpx_lt_i16_e32 23, v9
	s_xor_b32 s25, exec_lo, s25
	s_cbranch_execz .LBB232_2670
; %bb.2651:
	;; [unrolled: 5-line block ×3, first 2 shown]
	v_cndmask_b32_e64 v7, 0, 1.0, s0
	v_mov_b32_e32 v11, 0x80
	s_mov_b32 s27, exec_lo
	s_delay_alu instid0(VALU_DEP_2)
	v_cmpx_gt_u32_e32 0x47800000, v7
	s_cbranch_execz .LBB232_2658
; %bb.2653:
	v_cmp_lt_u32_e64 s1, 0x37ffffff, v7
	s_mov_b32 s28, 0
                                        ; implicit-def: $vgpr3
	s_and_saveexec_b32 s29, s1
	s_delay_alu instid0(SALU_CYCLE_1)
	s_xor_b32 s1, exec_lo, s29
	s_cbranch_execz .LBB232_2752
; %bb.2654:
	v_bfe_u32 v3, v7, 21, 1
	s_mov_b32 s28, exec_lo
	s_delay_alu instid0(VALU_DEP_1) | instskip(NEXT) | instid1(VALU_DEP_1)
	v_add3_u32 v3, v7, v3, 0x88fffff
                                        ; implicit-def: $vgpr7
	v_lshrrev_b32_e32 v3, 21, v3
	s_and_not1_saveexec_b32 s29, s1
	s_cbranch_execnz .LBB232_2753
.LBB232_2655:
	s_or_b32 exec_lo, exec_lo, s29
	v_mov_b32_e32 v11, 0
	s_and_saveexec_b32 s1, s28
.LBB232_2656:
	v_mov_b32_e32 v11, v3
.LBB232_2657:
	s_or_b32 exec_lo, exec_lo, s1
.LBB232_2658:
	s_delay_alu instid0(SALU_CYCLE_1)
	s_or_b32 exec_lo, exec_lo, s27
	flat_store_b8 v[4:5], v11
.LBB232_2659:
	s_wait_xcnt 0x0
	s_and_not1_saveexec_b32 s26, s26
	s_cbranch_execz .LBB232_2669
; %bb.2660:
	v_cndmask_b32_e64 v7, 0, 1.0, s0
	s_mov_b32 s27, exec_lo
                                        ; implicit-def: $vgpr3
	s_delay_alu instid0(VALU_DEP_1)
	v_cmpx_gt_u32_e32 0x43f00000, v7
	s_xor_b32 s27, exec_lo, s27
	s_cbranch_execz .LBB232_2666
; %bb.2661:
	s_mov_b32 s28, exec_lo
                                        ; implicit-def: $vgpr3
	v_cmpx_lt_u32_e32 0x3c7fffff, v7
	s_xor_b32 s28, exec_lo, s28
; %bb.2662:
	v_bfe_u32 v3, v7, 20, 1
	s_delay_alu instid0(VALU_DEP_1) | instskip(NEXT) | instid1(VALU_DEP_1)
	v_add3_u32 v3, v7, v3, 0x407ffff
	v_and_b32_e32 v7, 0xff00000, v3
	v_lshrrev_b32_e32 v3, 20, v3
	s_delay_alu instid0(VALU_DEP_2) | instskip(NEXT) | instid1(VALU_DEP_1)
	v_cmp_ne_u32_e64 s1, 0x7f00000, v7
                                        ; implicit-def: $vgpr7
	v_cndmask_b32_e64 v3, 0x7e, v3, s1
; %bb.2663:
	s_and_not1_saveexec_b32 s1, s28
; %bb.2664:
	v_add_f32_e32 v3, 0x46800000, v7
; %bb.2665:
	s_or_b32 exec_lo, exec_lo, s1
                                        ; implicit-def: $vgpr7
.LBB232_2666:
	s_and_not1_saveexec_b32 s27, s27
; %bb.2667:
	v_mov_b32_e32 v3, 0x7f
	v_cmp_lt_u32_e64 s1, 0x7f800000, v7
	s_delay_alu instid0(VALU_DEP_1)
	v_cndmask_b32_e64 v3, 0x7e, v3, s1
; %bb.2668:
	s_or_b32 exec_lo, exec_lo, s27
	flat_store_b8 v[4:5], v3
.LBB232_2669:
	s_wait_xcnt 0x0
	s_or_b32 exec_lo, exec_lo, s26
.LBB232_2670:
	s_and_not1_saveexec_b32 s25, s25
	s_cbranch_execz .LBB232_2680
; %bb.2671:
	v_cndmask_b32_e64 v7, 0, 1.0, s0
	s_mov_b32 s26, exec_lo
                                        ; implicit-def: $vgpr3
	s_delay_alu instid0(VALU_DEP_1)
	v_cmpx_gt_u32_e32 0x47800000, v7
	s_xor_b32 s26, exec_lo, s26
	s_cbranch_execz .LBB232_2677
; %bb.2672:
	v_cmp_lt_u32_e64 s1, 0x387fffff, v7
                                        ; implicit-def: $vgpr3
	s_and_saveexec_b32 s27, s1
	s_delay_alu instid0(SALU_CYCLE_1)
	s_xor_b32 s1, exec_lo, s27
; %bb.2673:
	v_bfe_u32 v3, v7, 21, 1
	s_delay_alu instid0(VALU_DEP_1) | instskip(NEXT) | instid1(VALU_DEP_1)
	v_add3_u32 v3, v7, v3, 0x80fffff
                                        ; implicit-def: $vgpr7
	v_lshrrev_b32_e32 v3, 21, v3
; %bb.2674:
	s_and_not1_saveexec_b32 s1, s1
; %bb.2675:
	v_add_f32_e32 v3, 0x43000000, v7
; %bb.2676:
	s_or_b32 exec_lo, exec_lo, s1
                                        ; implicit-def: $vgpr7
.LBB232_2677:
	s_and_not1_saveexec_b32 s26, s26
; %bb.2678:
	v_mov_b32_e32 v3, 0x7f
	v_cmp_lt_u32_e64 s1, 0x7f800000, v7
	s_delay_alu instid0(VALU_DEP_1)
	v_cndmask_b32_e64 v3, 0x7c, v3, s1
; %bb.2679:
	s_or_b32 exec_lo, exec_lo, s26
	flat_store_b8 v[4:5], v3
.LBB232_2680:
	s_wait_xcnt 0x0
	s_or_b32 exec_lo, exec_lo, s25
	s_delay_alu instid0(SALU_CYCLE_1)
	s_or_b32 s25, s22, exec_lo
.LBB232_2681:
	s_or_saveexec_b32 s23, s23
	s_mov_b32 s1, 0
	s_mov_b32 s26, s2
	s_xor_b32 exec_lo, exec_lo, s23
	s_cbranch_execz .LBB232_2689
; %bb.2682:
	s_mov_b32 s26, s2
	s_mov_b32 s28, s25
	s_mov_b32 s27, exec_lo
	v_cmpx_lt_i16_e32 14, v9
	s_xor_b32 s27, exec_lo, s27
	s_cbranch_execz .LBB232_2686
; %bb.2683:
	s_mov_b32 s26, -1
	s_mov_b32 s29, s25
	s_mov_b32 s28, exec_lo
	v_cmpx_eq_u16_e32 15, v9
	s_cbranch_execz .LBB232_2685
; %bb.2684:
	v_cndmask_b32_e64 v3, 0, 1.0, s0
	s_or_b32 s29, s25, exec_lo
	s_xor_b32 s26, exec_lo, -1
	s_delay_alu instid0(VALU_DEP_1) | instskip(NEXT) | instid1(VALU_DEP_1)
	v_bfe_u32 v7, v3, 16, 1
	v_add3_u32 v3, v3, v7, 0x7fff
	flat_store_d16_hi_b16 v[4:5], v3
.LBB232_2685:
	s_wait_xcnt 0x0
	s_or_b32 exec_lo, exec_lo, s28
	s_delay_alu instid0(SALU_CYCLE_1)
	s_and_not1_b32 s1, s25, exec_lo
	s_and_b32 s28, s29, exec_lo
	s_and_not1_b32 s29, s2, exec_lo
	s_and_b32 s26, s26, exec_lo
	s_or_b32 s28, s1, s28
	s_or_b32 s26, s29, s26
.LBB232_2686:
	s_or_saveexec_b32 s29, s27
	s_mov_b32 s27, 0
	s_xor_b32 exec_lo, exec_lo, s29
; %bb.2687:
	v_cmp_ne_u16_e64 s1, 11, v9
	s_and_not1_b32 s26, s26, exec_lo
	s_mov_b32 s27, exec_lo
	s_and_b32 s1, s1, exec_lo
	s_delay_alu instid0(SALU_CYCLE_1)
	s_or_b32 s26, s26, s1
; %bb.2688:
	s_or_b32 exec_lo, exec_lo, s29
	s_delay_alu instid0(SALU_CYCLE_1)
	s_and_not1_b32 s1, s25, exec_lo
	s_and_b32 s25, s28, exec_lo
	s_and_not1_b32 s28, s2, exec_lo
	s_and_b32 s26, s26, exec_lo
	s_or_b32 s25, s1, s25
	s_and_b32 s1, s27, exec_lo
	s_or_b32 s26, s28, s26
.LBB232_2689:
	s_or_b32 exec_lo, exec_lo, s23
	s_delay_alu instid0(SALU_CYCLE_1)
	s_and_not1_b32 s22, s22, exec_lo
	s_and_b32 s23, s25, exec_lo
	s_and_not1_b32 s2, s2, exec_lo
	s_and_b32 s25, s26, exec_lo
	s_or_b32 s22, s22, s23
	s_and_b32 s23, s1, exec_lo
	s_or_b32 s2, s2, s25
	s_or_b32 exec_lo, exec_lo, s24
	s_mov_b32 s1, s19
	s_and_saveexec_b32 s24, s2
	s_cbranch_execz .LBB232_1957
.LBB232_2690:
	s_or_b32 s1, s19, exec_lo
	s_and_not1_b32 s23, s23, exec_lo
	s_trap 2
	s_or_b32 exec_lo, exec_lo, s24
	s_and_saveexec_b32 s2, s23
	s_delay_alu instid0(SALU_CYCLE_1)
	s_xor_b32 s2, exec_lo, s2
	s_cbranch_execnz .LBB232_1958
	s_branch .LBB232_1959
.LBB232_2691:
	s_or_saveexec_b32 s19, s19
	v_mov_b32_e32 v8, 0x7f800001
	s_xor_b32 exec_lo, exec_lo, s19
	s_cbranch_execz .LBB232_2438
.LBB232_2692:
	v_cmp_ne_u16_e64 s0, 0, v9
	v_mov_b32_e32 v8, 0
	s_and_not1_b32 s18, s18, exec_lo
	s_and_b32 s0, s0, exec_lo
	s_delay_alu instid0(SALU_CYCLE_1)
	s_or_b32 s18, s18, s0
	s_or_b32 exec_lo, exec_lo, s19
	s_and_saveexec_b32 s19, s18
	s_cbranch_execnz .LBB232_2439
	s_branch .LBB232_2440
.LBB232_2693:
	s_and_not1_saveexec_b32 s9, s9
	s_cbranch_execz .LBB232_307
.LBB232_2694:
	v_add_f32_e32 v3, 0x42800000, v4
	s_and_not1_b32 s8, s8, exec_lo
	s_delay_alu instid0(VALU_DEP_1) | instskip(NEXT) | instid1(VALU_DEP_1)
	v_and_b32_e32 v3, 0xff, v3
	v_cmp_ne_u32_e32 vcc_lo, 0, v3
	s_and_b32 s10, vcc_lo, exec_lo
	s_delay_alu instid0(SALU_CYCLE_1)
	s_or_b32 s8, s8, s10
	s_or_b32 exec_lo, exec_lo, s9
	v_mov_b32_e32 v5, 0
	s_and_saveexec_b32 s9, s8
	s_cbranch_execnz .LBB232_308
	s_branch .LBB232_309
.LBB232_2695:
	s_and_not1_saveexec_b32 s23, s23
	s_cbranch_execz .LBB232_2040
.LBB232_2696:
	s_mov_b32 s24, exec_lo
	v_cmpx_lt_i16_e32 22, v9
	s_xor_b32 s24, exec_lo, s24
	s_cbranch_execz .LBB232_2728
; %bb.2697:
	s_mov_b32 s25, exec_lo
	v_cmpx_lt_i16_e32 23, v9
	s_xor_b32 s25, exec_lo, s25
	s_cbranch_execz .LBB232_2717
; %bb.2698:
	;; [unrolled: 5-line block ×3, first 2 shown]
	v_cndmask_b32_e64 v1, 0, 1.0, s1
	v_mov_b32_e32 v2, 0x80
	s_mov_b32 s27, exec_lo
	s_delay_alu instid0(VALU_DEP_2)
	v_cmpx_gt_u32_e32 0x47800000, v1
	s_cbranch_execz .LBB232_2705
; %bb.2700:
	s_mov_b32 s28, 0
	s_mov_b32 s29, exec_lo
                                        ; implicit-def: $vgpr0
	v_cmpx_lt_u32_e32 0x37ffffff, v1
	s_xor_b32 s29, exec_lo, s29
	s_cbranch_execz .LBB232_2754
; %bb.2701:
	v_bfe_u32 v0, v1, 21, 1
	s_mov_b32 s28, exec_lo
	s_delay_alu instid0(VALU_DEP_1) | instskip(NEXT) | instid1(VALU_DEP_1)
	v_add3_u32 v0, v1, v0, 0x88fffff
                                        ; implicit-def: $vgpr1
	v_lshrrev_b32_e32 v0, 21, v0
	s_and_not1_saveexec_b32 s29, s29
	s_cbranch_execnz .LBB232_2755
.LBB232_2702:
	s_or_b32 exec_lo, exec_lo, s29
	v_mov_b32_e32 v2, 0
	s_and_saveexec_b32 s29, s28
.LBB232_2703:
	v_mov_b32_e32 v2, v0
.LBB232_2704:
	s_or_b32 exec_lo, exec_lo, s29
.LBB232_2705:
	s_delay_alu instid0(SALU_CYCLE_1)
	s_or_b32 exec_lo, exec_lo, s27
	flat_store_b8 v[12:13], v2
.LBB232_2706:
	s_wait_xcnt 0x0
	s_and_not1_saveexec_b32 s26, s26
	s_cbranch_execz .LBB232_2716
; %bb.2707:
	v_cndmask_b32_e64 v1, 0, 1.0, s1
	s_mov_b32 s27, exec_lo
                                        ; implicit-def: $vgpr0
	s_delay_alu instid0(VALU_DEP_1)
	v_cmpx_gt_u32_e32 0x43f00000, v1
	s_xor_b32 s27, exec_lo, s27
	s_cbranch_execz .LBB232_2713
; %bb.2708:
	s_mov_b32 s28, exec_lo
                                        ; implicit-def: $vgpr0
	v_cmpx_lt_u32_e32 0x3c7fffff, v1
	s_xor_b32 s28, exec_lo, s28
; %bb.2709:
	v_bfe_u32 v0, v1, 20, 1
	s_delay_alu instid0(VALU_DEP_1) | instskip(NEXT) | instid1(VALU_DEP_1)
	v_add3_u32 v0, v1, v0, 0x407ffff
	v_and_b32_e32 v1, 0xff00000, v0
	v_lshrrev_b32_e32 v0, 20, v0
	s_delay_alu instid0(VALU_DEP_2) | instskip(NEXT) | instid1(VALU_DEP_2)
	v_cmp_ne_u32_e32 vcc_lo, 0x7f00000, v1
                                        ; implicit-def: $vgpr1
	v_cndmask_b32_e32 v0, 0x7e, v0, vcc_lo
; %bb.2710:
	s_and_not1_saveexec_b32 s28, s28
; %bb.2711:
	v_add_f32_e32 v0, 0x46800000, v1
; %bb.2712:
	s_or_b32 exec_lo, exec_lo, s28
                                        ; implicit-def: $vgpr1
.LBB232_2713:
	s_and_not1_saveexec_b32 s27, s27
; %bb.2714:
	v_mov_b32_e32 v0, 0x7f
	v_cmp_lt_u32_e32 vcc_lo, 0x7f800000, v1
	s_delay_alu instid0(VALU_DEP_2)
	v_cndmask_b32_e32 v0, 0x7e, v0, vcc_lo
; %bb.2715:
	s_or_b32 exec_lo, exec_lo, s27
	flat_store_b8 v[12:13], v0
.LBB232_2716:
	s_wait_xcnt 0x0
	s_or_b32 exec_lo, exec_lo, s26
.LBB232_2717:
	s_and_not1_saveexec_b32 s25, s25
	s_cbranch_execz .LBB232_2727
; %bb.2718:
	v_cndmask_b32_e64 v1, 0, 1.0, s1
	s_mov_b32 s26, exec_lo
                                        ; implicit-def: $vgpr0
	s_delay_alu instid0(VALU_DEP_1)
	v_cmpx_gt_u32_e32 0x47800000, v1
	s_xor_b32 s26, exec_lo, s26
	s_cbranch_execz .LBB232_2724
; %bb.2719:
	s_mov_b32 s27, exec_lo
                                        ; implicit-def: $vgpr0
	v_cmpx_lt_u32_e32 0x387fffff, v1
	s_xor_b32 s27, exec_lo, s27
; %bb.2720:
	v_bfe_u32 v0, v1, 21, 1
	s_delay_alu instid0(VALU_DEP_1) | instskip(NEXT) | instid1(VALU_DEP_1)
	v_add3_u32 v0, v1, v0, 0x80fffff
                                        ; implicit-def: $vgpr1
	v_lshrrev_b32_e32 v0, 21, v0
; %bb.2721:
	s_and_not1_saveexec_b32 s27, s27
; %bb.2722:
	v_add_f32_e32 v0, 0x43000000, v1
; %bb.2723:
	s_or_b32 exec_lo, exec_lo, s27
                                        ; implicit-def: $vgpr1
.LBB232_2724:
	s_and_not1_saveexec_b32 s26, s26
; %bb.2725:
	v_mov_b32_e32 v0, 0x7f
	v_cmp_lt_u32_e32 vcc_lo, 0x7f800000, v1
	s_delay_alu instid0(VALU_DEP_2)
	v_cndmask_b32_e32 v0, 0x7c, v0, vcc_lo
; %bb.2726:
	s_or_b32 exec_lo, exec_lo, s26
	flat_store_b8 v[12:13], v0
.LBB232_2727:
	s_wait_xcnt 0x0
	s_or_b32 exec_lo, exec_lo, s25
.LBB232_2728:
	s_or_saveexec_b32 s24, s24
	s_mov_b32 s25, 0
	s_mov_b32 s26, s0
	s_xor_b32 exec_lo, exec_lo, s24
	s_cbranch_execz .LBB232_2736
; %bb.2729:
	s_mov_b32 s25, s0
	s_mov_b32 s26, exec_lo
	v_cmpx_lt_i16_e32 14, v9
	s_xor_b32 s26, exec_lo, s26
	s_cbranch_execz .LBB232_2733
; %bb.2730:
	s_mov_b32 s27, -1
	s_mov_b32 s25, exec_lo
	v_cmpx_eq_u16_e32 15, v9
	s_cbranch_execz .LBB232_2732
; %bb.2731:
	v_cndmask_b32_e64 v0, 0, 1.0, s1
	s_xor_b32 s27, exec_lo, -1
	s_delay_alu instid0(VALU_DEP_1) | instskip(NEXT) | instid1(VALU_DEP_1)
	v_bfe_u32 v1, v0, 16, 1
	v_add3_u32 v0, v0, v1, 0x7fff
	flat_store_d16_hi_b16 v[12:13], v0
.LBB232_2732:
	s_wait_xcnt 0x0
	s_or_b32 exec_lo, exec_lo, s25
	s_delay_alu instid0(SALU_CYCLE_1) | instskip(SKIP_1) | instid1(SALU_CYCLE_1)
	s_and_not1_b32 s25, s0, exec_lo
	s_and_b32 s27, s27, exec_lo
	s_or_b32 s25, s25, s27
.LBB232_2733:
	s_or_saveexec_b32 s26, s26
	s_mov_b32 s27, 0
	s_xor_b32 exec_lo, exec_lo, s26
; %bb.2734:
	v_cmp_ne_u16_e32 vcc_lo, 11, v9
	s_and_not1_b32 s25, s25, exec_lo
	s_mov_b32 s27, exec_lo
	s_and_b32 s28, vcc_lo, exec_lo
	s_delay_alu instid0(SALU_CYCLE_1)
	s_or_b32 s25, s25, s28
; %bb.2735:
	s_or_b32 exec_lo, exec_lo, s26
	s_delay_alu instid0(SALU_CYCLE_1)
	s_and_not1_b32 s26, s0, exec_lo
	s_and_b32 s28, s25, exec_lo
	s_and_b32 s25, s27, exec_lo
	s_or_b32 s26, s26, s28
.LBB232_2736:
	s_or_b32 exec_lo, exec_lo, s24
	s_delay_alu instid0(SALU_CYCLE_1)
	s_and_not1_b32 s0, s0, exec_lo
	s_and_b32 s26, s26, exec_lo
	s_and_b32 s24, s25, exec_lo
	s_or_b32 s0, s0, s26
	s_or_b32 exec_lo, exec_lo, s23
	s_mov_b32 s25, s2
	s_and_saveexec_b32 s23, s0
	s_cbranch_execz .LBB232_2041
.LBB232_2737:
	s_and_not1_b32 s24, s24, exec_lo
	s_or_b32 s25, s2, exec_lo
	s_trap 2
	s_branch .LBB232_2041
.LBB232_2738:
	s_or_saveexec_b32 s21, s21
	v_mov_b32_e32 v4, 0x7f800001
	s_xor_b32 exec_lo, exec_lo, s21
	s_cbranch_execz .LBB232_2495
.LBB232_2739:
	v_cmp_ne_u16_e64 s0, 0, v5
	v_mov_b32_e32 v4, 0
	s_and_not1_b32 s20, s20, exec_lo
	s_and_b32 s0, s0, exec_lo
	s_delay_alu instid0(SALU_CYCLE_1)
	s_or_b32 s20, s20, s0
	s_or_b32 exec_lo, exec_lo, s21
	s_and_saveexec_b32 s21, s20
	s_cbranch_execnz .LBB232_2496
	s_branch .LBB232_2497
.LBB232_2740:
	s_and_not1_saveexec_b32 s24, s0
	s_cbranch_execz .LBB232_1782
.LBB232_2741:
	v_add_f32_e32 v3, 0x46000000, v10
	s_and_not1_b32 s23, s23, exec_lo
	s_delay_alu instid0(VALU_DEP_1) | instskip(NEXT) | instid1(VALU_DEP_1)
	v_and_b32_e32 v3, 0xff, v3
	v_cmp_ne_u32_e64 s0, 0, v3
	s_and_b32 s0, s0, exec_lo
	s_delay_alu instid0(SALU_CYCLE_1)
	s_or_b32 s23, s23, s0
	s_or_b32 exec_lo, exec_lo, s24
	v_mov_b32_e32 v12, 0
	s_and_saveexec_b32 s0, s23
	s_cbranch_execnz .LBB232_1783
	s_branch .LBB232_1784
.LBB232_2742:
	s_and_not1_saveexec_b32 s27, s1
	s_cbranch_execz .LBB232_1866
.LBB232_2743:
	v_add_f32_e32 v3, 0x46000000, v12
	s_and_not1_b32 s26, s26, exec_lo
	s_delay_alu instid0(VALU_DEP_1) | instskip(NEXT) | instid1(VALU_DEP_1)
	v_and_b32_e32 v3, 0xff, v3
	v_cmp_ne_u32_e64 s1, 0, v3
	s_and_b32 s1, s1, exec_lo
	s_delay_alu instid0(SALU_CYCLE_1)
	s_or_b32 s26, s26, s1
	s_or_b32 exec_lo, exec_lo, s27
	v_mov_b32_e32 v13, 0
	s_and_saveexec_b32 s1, s26
	s_cbranch_execnz .LBB232_1867
	s_branch .LBB232_1868
.LBB232_2744:
	s_and_not1_saveexec_b32 s24, s0
	s_cbranch_execz .LBB232_2553
.LBB232_2745:
	v_add_f32_e32 v3, 0x42800000, v10
	s_and_not1_b32 s23, s23, exec_lo
	s_delay_alu instid0(VALU_DEP_1) | instskip(NEXT) | instid1(VALU_DEP_1)
	v_and_b32_e32 v3, 0xff, v3
	v_cmp_ne_u32_e64 s0, 0, v3
	s_and_b32 s0, s0, exec_lo
	s_delay_alu instid0(SALU_CYCLE_1)
	s_or_b32 s23, s23, s0
	s_or_b32 exec_lo, exec_lo, s24
	v_mov_b32_e32 v12, 0
	s_and_saveexec_b32 s0, s23
	s_cbranch_execnz .LBB232_2554
	s_branch .LBB232_2555
.LBB232_2746:
	s_and_not1_saveexec_b32 s29, s1
	s_cbranch_execz .LBB232_1950
.LBB232_2747:
	v_add_f32_e32 v3, 0x46000000, v7
	s_and_not1_b32 s28, s28, exec_lo
	s_delay_alu instid0(VALU_DEP_1) | instskip(NEXT) | instid1(VALU_DEP_1)
	v_and_b32_e32 v3, 0xff, v3
	v_cmp_ne_u32_e64 s1, 0, v3
	s_and_b32 s1, s1, exec_lo
	s_delay_alu instid0(SALU_CYCLE_1)
	s_or_b32 s28, s28, s1
	s_or_b32 exec_lo, exec_lo, s29
	v_mov_b32_e32 v11, 0
	s_and_saveexec_b32 s1, s28
	s_cbranch_execnz .LBB232_1951
	s_branch .LBB232_1952
.LBB232_2748:
	s_and_not1_saveexec_b32 s27, s1
	s_cbranch_execz .LBB232_2604
.LBB232_2749:
	v_add_f32_e32 v3, 0x42800000, v12
	s_and_not1_b32 s26, s26, exec_lo
	s_delay_alu instid0(VALU_DEP_1) | instskip(NEXT) | instid1(VALU_DEP_1)
	v_and_b32_e32 v3, 0xff, v3
	v_cmp_ne_u32_e64 s1, 0, v3
	s_and_b32 s1, s1, exec_lo
	s_delay_alu instid0(SALU_CYCLE_1)
	s_or_b32 s26, s26, s1
	s_or_b32 exec_lo, exec_lo, s27
	v_mov_b32_e32 v13, 0
	s_and_saveexec_b32 s1, s26
	s_cbranch_execnz .LBB232_2605
	s_branch .LBB232_2606
.LBB232_2750:
	s_and_not1_saveexec_b32 s29, s29
	s_cbranch_execz .LBB232_2034
.LBB232_2751:
	v_add_f32_e32 v0, 0x46000000, v1
	s_and_not1_b32 s28, s28, exec_lo
	s_delay_alu instid0(VALU_DEP_1) | instskip(NEXT) | instid1(VALU_DEP_1)
	v_and_b32_e32 v0, 0xff, v0
	v_cmp_ne_u32_e32 vcc_lo, 0, v0
	s_and_b32 s30, vcc_lo, exec_lo
	s_delay_alu instid0(SALU_CYCLE_1)
	s_or_b32 s28, s28, s30
	s_or_b32 exec_lo, exec_lo, s29
	v_mov_b32_e32 v2, 0
	s_and_saveexec_b32 s29, s28
	s_cbranch_execnz .LBB232_2035
	s_branch .LBB232_2036
.LBB232_2752:
	s_and_not1_saveexec_b32 s29, s1
	s_cbranch_execz .LBB232_2655
.LBB232_2753:
	v_add_f32_e32 v3, 0x42800000, v7
	s_and_not1_b32 s28, s28, exec_lo
	s_delay_alu instid0(VALU_DEP_1) | instskip(NEXT) | instid1(VALU_DEP_1)
	v_and_b32_e32 v3, 0xff, v3
	v_cmp_ne_u32_e64 s1, 0, v3
	s_and_b32 s1, s1, exec_lo
	s_delay_alu instid0(SALU_CYCLE_1)
	s_or_b32 s28, s28, s1
	s_or_b32 exec_lo, exec_lo, s29
	v_mov_b32_e32 v11, 0
	s_and_saveexec_b32 s1, s28
	s_cbranch_execnz .LBB232_2656
	s_branch .LBB232_2657
.LBB232_2754:
	s_and_not1_saveexec_b32 s29, s29
	s_cbranch_execz .LBB232_2702
.LBB232_2755:
	v_add_f32_e32 v0, 0x42800000, v1
	s_and_not1_b32 s28, s28, exec_lo
	s_delay_alu instid0(VALU_DEP_1) | instskip(NEXT) | instid1(VALU_DEP_1)
	v_and_b32_e32 v0, 0xff, v0
	v_cmp_ne_u32_e32 vcc_lo, 0, v0
	s_and_b32 s30, vcc_lo, exec_lo
	s_delay_alu instid0(SALU_CYCLE_1)
	s_or_b32 s28, s28, s30
	s_or_b32 exec_lo, exec_lo, s29
	v_mov_b32_e32 v2, 0
	s_and_saveexec_b32 s29, s28
	s_cbranch_execnz .LBB232_2703
	s_branch .LBB232_2704
	.section	.rodata,"a",@progbits
	.p2align	6, 0x0
	.amdhsa_kernel _ZN2at6native32elementwise_kernel_manual_unrollILi128ELi4EZNS0_15gpu_kernel_implINS0_13BinaryFunctorIN3c1011Float8_e5m2ES5_bNS0_12_GLOBAL__N_116CompareEqFunctorIS5_EEEEEEvRNS_18TensorIteratorBaseERKT_EUlibE_EEviT1_
		.amdhsa_group_segment_fixed_size 0
		.amdhsa_private_segment_fixed_size 64
		.amdhsa_kernarg_size 56
		.amdhsa_user_sgpr_count 2
		.amdhsa_user_sgpr_dispatch_ptr 0
		.amdhsa_user_sgpr_queue_ptr 0
		.amdhsa_user_sgpr_kernarg_segment_ptr 1
		.amdhsa_user_sgpr_dispatch_id 0
		.amdhsa_user_sgpr_kernarg_preload_length 0
		.amdhsa_user_sgpr_kernarg_preload_offset 0
		.amdhsa_user_sgpr_private_segment_size 0
		.amdhsa_wavefront_size32 1
		.amdhsa_uses_dynamic_stack 0
		.amdhsa_enable_private_segment 1
		.amdhsa_system_sgpr_workgroup_id_x 1
		.amdhsa_system_sgpr_workgroup_id_y 0
		.amdhsa_system_sgpr_workgroup_id_z 0
		.amdhsa_system_sgpr_workgroup_info 0
		.amdhsa_system_vgpr_workitem_id 0
		.amdhsa_next_free_vgpr 28
		.amdhsa_next_free_sgpr 33
		.amdhsa_named_barrier_count 0
		.amdhsa_reserve_vcc 1
		.amdhsa_float_round_mode_32 0
		.amdhsa_float_round_mode_16_64 0
		.amdhsa_float_denorm_mode_32 3
		.amdhsa_float_denorm_mode_16_64 3
		.amdhsa_fp16_overflow 0
		.amdhsa_memory_ordered 1
		.amdhsa_forward_progress 1
		.amdhsa_inst_pref_size 255
		.amdhsa_round_robin_scheduling 0
		.amdhsa_exception_fp_ieee_invalid_op 0
		.amdhsa_exception_fp_denorm_src 0
		.amdhsa_exception_fp_ieee_div_zero 0
		.amdhsa_exception_fp_ieee_overflow 0
		.amdhsa_exception_fp_ieee_underflow 0
		.amdhsa_exception_fp_ieee_inexact 0
		.amdhsa_exception_int_div_zero 0
	.end_amdhsa_kernel
	.section	.text._ZN2at6native32elementwise_kernel_manual_unrollILi128ELi4EZNS0_15gpu_kernel_implINS0_13BinaryFunctorIN3c1011Float8_e5m2ES5_bNS0_12_GLOBAL__N_116CompareEqFunctorIS5_EEEEEEvRNS_18TensorIteratorBaseERKT_EUlibE_EEviT1_,"axG",@progbits,_ZN2at6native32elementwise_kernel_manual_unrollILi128ELi4EZNS0_15gpu_kernel_implINS0_13BinaryFunctorIN3c1011Float8_e5m2ES5_bNS0_12_GLOBAL__N_116CompareEqFunctorIS5_EEEEEEvRNS_18TensorIteratorBaseERKT_EUlibE_EEviT1_,comdat
.Lfunc_end232:
	.size	_ZN2at6native32elementwise_kernel_manual_unrollILi128ELi4EZNS0_15gpu_kernel_implINS0_13BinaryFunctorIN3c1011Float8_e5m2ES5_bNS0_12_GLOBAL__N_116CompareEqFunctorIS5_EEEEEEvRNS_18TensorIteratorBaseERKT_EUlibE_EEviT1_, .Lfunc_end232-_ZN2at6native32elementwise_kernel_manual_unrollILi128ELi4EZNS0_15gpu_kernel_implINS0_13BinaryFunctorIN3c1011Float8_e5m2ES5_bNS0_12_GLOBAL__N_116CompareEqFunctorIS5_EEEEEEvRNS_18TensorIteratorBaseERKT_EUlibE_EEviT1_
                                        ; -- End function
	.set _ZN2at6native32elementwise_kernel_manual_unrollILi128ELi4EZNS0_15gpu_kernel_implINS0_13BinaryFunctorIN3c1011Float8_e5m2ES5_bNS0_12_GLOBAL__N_116CompareEqFunctorIS5_EEEEEEvRNS_18TensorIteratorBaseERKT_EUlibE_EEviT1_.num_vgpr, max(28, .L_ZN2at6native6invokeINS0_13BinaryFunctorIN3c1011Float8_e5m2ES4_bNS0_12_GLOBAL__N_116CompareEqFunctorIS4_EEEEi15function_traitsIS8_EEENT1_11result_typeERKT_PrKPcPKT0_PKNS3_10ScalarTypeEi.num_vgpr)
	.set _ZN2at6native32elementwise_kernel_manual_unrollILi128ELi4EZNS0_15gpu_kernel_implINS0_13BinaryFunctorIN3c1011Float8_e5m2ES5_bNS0_12_GLOBAL__N_116CompareEqFunctorIS5_EEEEEEvRNS_18TensorIteratorBaseERKT_EUlibE_EEviT1_.num_agpr, max(0, .L_ZN2at6native6invokeINS0_13BinaryFunctorIN3c1011Float8_e5m2ES4_bNS0_12_GLOBAL__N_116CompareEqFunctorIS4_EEEEi15function_traitsIS8_EEENT1_11result_typeERKT_PrKPcPKT0_PKNS3_10ScalarTypeEi.num_agpr)
	.set _ZN2at6native32elementwise_kernel_manual_unrollILi128ELi4EZNS0_15gpu_kernel_implINS0_13BinaryFunctorIN3c1011Float8_e5m2ES5_bNS0_12_GLOBAL__N_116CompareEqFunctorIS5_EEEEEEvRNS_18TensorIteratorBaseERKT_EUlibE_EEviT1_.numbered_sgpr, max(33, .L_ZN2at6native6invokeINS0_13BinaryFunctorIN3c1011Float8_e5m2ES4_bNS0_12_GLOBAL__N_116CompareEqFunctorIS4_EEEEi15function_traitsIS8_EEENT1_11result_typeERKT_PrKPcPKT0_PKNS3_10ScalarTypeEi.numbered_sgpr)
	.set _ZN2at6native32elementwise_kernel_manual_unrollILi128ELi4EZNS0_15gpu_kernel_implINS0_13BinaryFunctorIN3c1011Float8_e5m2ES5_bNS0_12_GLOBAL__N_116CompareEqFunctorIS5_EEEEEEvRNS_18TensorIteratorBaseERKT_EUlibE_EEviT1_.num_named_barrier, max(0, .L_ZN2at6native6invokeINS0_13BinaryFunctorIN3c1011Float8_e5m2ES4_bNS0_12_GLOBAL__N_116CompareEqFunctorIS4_EEEEi15function_traitsIS8_EEENT1_11result_typeERKT_PrKPcPKT0_PKNS3_10ScalarTypeEi.num_named_barrier)
	.set _ZN2at6native32elementwise_kernel_manual_unrollILi128ELi4EZNS0_15gpu_kernel_implINS0_13BinaryFunctorIN3c1011Float8_e5m2ES5_bNS0_12_GLOBAL__N_116CompareEqFunctorIS5_EEEEEEvRNS_18TensorIteratorBaseERKT_EUlibE_EEviT1_.private_seg_size, 64+max(.L_ZN2at6native6invokeINS0_13BinaryFunctorIN3c1011Float8_e5m2ES4_bNS0_12_GLOBAL__N_116CompareEqFunctorIS4_EEEEi15function_traitsIS8_EEENT1_11result_typeERKT_PrKPcPKT0_PKNS3_10ScalarTypeEi.private_seg_size)
	.set _ZN2at6native32elementwise_kernel_manual_unrollILi128ELi4EZNS0_15gpu_kernel_implINS0_13BinaryFunctorIN3c1011Float8_e5m2ES5_bNS0_12_GLOBAL__N_116CompareEqFunctorIS5_EEEEEEvRNS_18TensorIteratorBaseERKT_EUlibE_EEviT1_.uses_vcc, or(1, .L_ZN2at6native6invokeINS0_13BinaryFunctorIN3c1011Float8_e5m2ES4_bNS0_12_GLOBAL__N_116CompareEqFunctorIS4_EEEEi15function_traitsIS8_EEENT1_11result_typeERKT_PrKPcPKT0_PKNS3_10ScalarTypeEi.uses_vcc)
	.set _ZN2at6native32elementwise_kernel_manual_unrollILi128ELi4EZNS0_15gpu_kernel_implINS0_13BinaryFunctorIN3c1011Float8_e5m2ES5_bNS0_12_GLOBAL__N_116CompareEqFunctorIS5_EEEEEEvRNS_18TensorIteratorBaseERKT_EUlibE_EEviT1_.uses_flat_scratch, or(1, .L_ZN2at6native6invokeINS0_13BinaryFunctorIN3c1011Float8_e5m2ES4_bNS0_12_GLOBAL__N_116CompareEqFunctorIS4_EEEEi15function_traitsIS8_EEENT1_11result_typeERKT_PrKPcPKT0_PKNS3_10ScalarTypeEi.uses_flat_scratch)
	.set _ZN2at6native32elementwise_kernel_manual_unrollILi128ELi4EZNS0_15gpu_kernel_implINS0_13BinaryFunctorIN3c1011Float8_e5m2ES5_bNS0_12_GLOBAL__N_116CompareEqFunctorIS5_EEEEEEvRNS_18TensorIteratorBaseERKT_EUlibE_EEviT1_.has_dyn_sized_stack, or(0, .L_ZN2at6native6invokeINS0_13BinaryFunctorIN3c1011Float8_e5m2ES4_bNS0_12_GLOBAL__N_116CompareEqFunctorIS4_EEEEi15function_traitsIS8_EEENT1_11result_typeERKT_PrKPcPKT0_PKNS3_10ScalarTypeEi.has_dyn_sized_stack)
	.set _ZN2at6native32elementwise_kernel_manual_unrollILi128ELi4EZNS0_15gpu_kernel_implINS0_13BinaryFunctorIN3c1011Float8_e5m2ES5_bNS0_12_GLOBAL__N_116CompareEqFunctorIS5_EEEEEEvRNS_18TensorIteratorBaseERKT_EUlibE_EEviT1_.has_recursion, or(0, .L_ZN2at6native6invokeINS0_13BinaryFunctorIN3c1011Float8_e5m2ES4_bNS0_12_GLOBAL__N_116CompareEqFunctorIS4_EEEEi15function_traitsIS8_EEENT1_11result_typeERKT_PrKPcPKT0_PKNS3_10ScalarTypeEi.has_recursion)
	.set _ZN2at6native32elementwise_kernel_manual_unrollILi128ELi4EZNS0_15gpu_kernel_implINS0_13BinaryFunctorIN3c1011Float8_e5m2ES5_bNS0_12_GLOBAL__N_116CompareEqFunctorIS5_EEEEEEvRNS_18TensorIteratorBaseERKT_EUlibE_EEviT1_.has_indirect_call, or(0, .L_ZN2at6native6invokeINS0_13BinaryFunctorIN3c1011Float8_e5m2ES4_bNS0_12_GLOBAL__N_116CompareEqFunctorIS4_EEEEi15function_traitsIS8_EEENT1_11result_typeERKT_PrKPcPKT0_PKNS3_10ScalarTypeEi.has_indirect_call)
	.section	.AMDGPU.csdata,"",@progbits
; Kernel info:
; codeLenInByte = 58492
; TotalNumSgprs: 35
; NumVgprs: 28
; ScratchSize: 64
; MemoryBound: 0
; FloatMode: 240
; IeeeMode: 1
; LDSByteSize: 0 bytes/workgroup (compile time only)
; SGPRBlocks: 0
; VGPRBlocks: 1
; NumSGPRsForWavesPerEU: 35
; NumVGPRsForWavesPerEU: 28
; NamedBarCnt: 0
; Occupancy: 16
; WaveLimiterHint : 1
; COMPUTE_PGM_RSRC2:SCRATCH_EN: 1
; COMPUTE_PGM_RSRC2:USER_SGPR: 2
; COMPUTE_PGM_RSRC2:TRAP_HANDLER: 0
; COMPUTE_PGM_RSRC2:TGID_X_EN: 1
; COMPUTE_PGM_RSRC2:TGID_Y_EN: 0
; COMPUTE_PGM_RSRC2:TGID_Z_EN: 0
; COMPUTE_PGM_RSRC2:TIDIG_COMP_CNT: 0
	.text
	.p2align	2                               ; -- Begin function _ZN2at6native6invokeINS0_13BinaryFunctorIN3c1011Float8_e5m2ES4_bNS0_12_GLOBAL__N_116CompareEqFunctorIS4_EEEEj15function_traitsIS8_EEENT1_11result_typeERKT_PrKPcPKT0_PKNS3_10ScalarTypeEi
	.type	_ZN2at6native6invokeINS0_13BinaryFunctorIN3c1011Float8_e5m2ES4_bNS0_12_GLOBAL__N_116CompareEqFunctorIS4_EEEEj15function_traitsIS8_EEENT1_11result_typeERKT_PrKPcPKT0_PKNS3_10ScalarTypeEi,@function
_ZN2at6native6invokeINS0_13BinaryFunctorIN3c1011Float8_e5m2ES4_bNS0_12_GLOBAL__N_116CompareEqFunctorIS4_EEEEj15function_traitsIS8_EEENT1_11result_typeERKT_PrKPcPKT0_PKNS3_10ScalarTypeEi: ; @_ZN2at6native6invokeINS0_13BinaryFunctorIN3c1011Float8_e5m2ES4_bNS0_12_GLOBAL__N_116CompareEqFunctorIS4_EEEEj15function_traitsIS8_EEENT1_11result_typeERKT_PrKPcPKT0_PKNS3_10ScalarTypeEi
; %bb.0:
	s_wait_loadcnt_dscnt 0x0
	s_wait_kmcnt 0x0
	v_dual_mov_b32 v7, v6 :: v_dual_mov_b32 v6, v5
	v_dual_mov_b32 v5, v4 :: v_dual_mov_b32 v4, v3
	;; [unrolled: 1-line block ×3, first 2 shown]
	flat_load_b64 v[8:9], v[2:3]
	flat_load_b32 v12, v[4:5]
	flat_load_u8 v10, v[6:7]
	v_mov_b32_e32 v13, 0
	s_mov_b32 s3, 0
	s_mov_b32 s0, 0
	s_mov_b32 s1, exec_lo
                                        ; implicit-def: $vgpr1
	s_wait_loadcnt_dscnt 0x101
	v_add_nc_u64_e32 v[8:9], v[8:9], v[12:13]
	s_wait_loadcnt_dscnt 0x0
	v_cmpx_lt_i16_e32 10, v10
	s_xor_b32 s1, exec_lo, s1
	s_cbranch_execz .LBB233_95
; %bb.1:
	s_mov_b32 s4, 0
	s_mov_b32 s2, exec_lo
                                        ; implicit-def: $vgpr1
	v_cmpx_lt_i16_e32 25, v10
	s_xor_b32 s2, exec_lo, s2
	s_cbranch_execz .LBB233_457
; %bb.2:
	s_mov_b32 s5, 0
	s_mov_b32 s3, exec_lo
                                        ; implicit-def: $vgpr1
	v_cmpx_lt_i16_e32 28, v10
	s_xor_b32 s3, exec_lo, s3
	s_cbranch_execz .LBB233_42
; %bb.3:
	s_mov_b32 s6, 0
	s_mov_b32 s7, 0
	s_mov_b32 s4, exec_lo
                                        ; implicit-def: $vgpr1
	v_cmpx_lt_i16_e32 43, v10
	s_xor_b32 s4, exec_lo, s4
	s_cbranch_execz .LBB233_29
; %bb.4:
	s_mov_b32 s7, exec_lo
                                        ; implicit-def: $vgpr1
	v_cmpx_lt_i16_e32 45, v10
	s_xor_b32 s7, exec_lo, s7
	s_cbranch_execz .LBB233_16
; %bb.5:
	s_mov_b32 s8, -1
	s_mov_b32 s5, exec_lo
                                        ; implicit-def: $vgpr1
	v_cmpx_eq_u16_e32 46, v10
	s_cbranch_execz .LBB233_15
; %bb.6:
	flat_load_b32 v1, v[8:9]
	s_mov_b32 s6, exec_lo
                                        ; implicit-def: $vgpr10
	s_wait_loadcnt_dscnt 0x0
	v_lshlrev_b32_e32 v1, 16, v1
	s_delay_alu instid0(VALU_DEP_1) | instskip(SKIP_1) | instid1(VALU_DEP_1)
	v_and_b32_e32 v11, 0x7fffffff, v1
	s_wait_xcnt 0x0
	v_cmpx_gt_u32_e32 0x47800000, v11
	s_xor_b32 s6, exec_lo, s6
	s_cbranch_execz .LBB233_12
; %bb.7:
	s_mov_b32 s8, exec_lo
                                        ; implicit-def: $vgpr10
	v_cmpx_lt_u32_e32 0x387fffff, v11
	s_xor_b32 s8, exec_lo, s8
; %bb.8:
	v_bfe_u32 v10, v1, 21, 1
	s_delay_alu instid0(VALU_DEP_1) | instskip(NEXT) | instid1(VALU_DEP_1)
	v_add3_u32 v10, v1, v10, 0x80fffff
	v_lshrrev_b32_e32 v10, 21, v10
; %bb.9:
	s_and_not1_saveexec_b32 s8, s8
; %bb.10:
	v_add_f32_e64 v10, 0x43000000, |v1|
; %bb.11:
	s_or_b32 exec_lo, exec_lo, s8
                                        ; implicit-def: $vgpr11
.LBB233_12:
	s_and_not1_saveexec_b32 s6, s6
; %bb.13:
	v_mov_b32_e32 v10, 0x7f
	v_cmp_lt_u32_e32 vcc_lo, 0x7f800000, v11
	s_delay_alu instid0(VALU_DEP_2)
	v_cndmask_b32_e32 v10, 0x7c, v10, vcc_lo
; %bb.14:
	s_or_b32 exec_lo, exec_lo, s6
	v_lshrrev_b32_e32 v1, 24, v1
	s_mov_b32 s6, exec_lo
	s_xor_b32 s8, exec_lo, -1
	s_delay_alu instid0(VALU_DEP_1)
	v_and_or_b32 v1, 0x80, v1, v10
.LBB233_15:
	s_or_b32 exec_lo, exec_lo, s5
	s_delay_alu instid0(SALU_CYCLE_1)
	s_and_b32 s6, s6, exec_lo
	s_and_b32 s5, s8, exec_lo
                                        ; implicit-def: $vgpr10
.LBB233_16:
	s_and_not1_saveexec_b32 s7, s7
	s_cbranch_execz .LBB233_28
; %bb.17:
	s_mov_b32 s9, -1
	s_mov_b32 s10, s6
	s_mov_b32 s8, exec_lo
                                        ; implicit-def: $vgpr1
	v_cmpx_eq_u16_e32 44, v10
	s_cbranch_execz .LBB233_27
; %bb.18:
	flat_load_u8 v1, v[8:9]
	s_mov_b32 s9, exec_lo
	s_wait_loadcnt_dscnt 0x0
	v_lshlrev_b32_e32 v10, 23, v1
	v_cmp_ne_u32_e32 vcc_lo, 0xff, v1
	s_delay_alu instid0(VALU_DEP_2) | instskip(SKIP_1) | instid1(VALU_DEP_2)
	v_cndmask_b32_e32 v10, 0x7f800001, v10, vcc_lo
	v_cmp_ne_u32_e32 vcc_lo, 0, v1
                                        ; implicit-def: $vgpr1
	v_cndmask_b32_e32 v10, 0x400000, v10, vcc_lo
	s_wait_xcnt 0x0
	s_delay_alu instid0(VALU_DEP_1)
	v_cmpx_gt_u32_e32 0x47800000, v10
	s_xor_b32 s9, exec_lo, s9
	s_cbranch_execz .LBB233_24
; %bb.19:
	s_mov_b32 s10, exec_lo
                                        ; implicit-def: $vgpr1
	v_cmpx_lt_u32_e32 0x387fffff, v10
	s_xor_b32 s10, exec_lo, s10
; %bb.20:
	v_bfe_u32 v1, v10, 21, 1
	s_delay_alu instid0(VALU_DEP_1) | instskip(NEXT) | instid1(VALU_DEP_1)
	v_add3_u32 v1, v10, v1, 0x80fffff
                                        ; implicit-def: $vgpr10
	v_lshrrev_b32_e32 v1, 21, v1
; %bb.21:
	s_and_not1_saveexec_b32 s10, s10
; %bb.22:
	v_add_f32_e32 v1, 0x43000000, v10
; %bb.23:
	s_or_b32 exec_lo, exec_lo, s10
                                        ; implicit-def: $vgpr10
.LBB233_24:
	s_and_not1_saveexec_b32 s9, s9
; %bb.25:
	v_mov_b32_e32 v1, 0x7f
	v_cmp_lt_u32_e32 vcc_lo, 0x7f800000, v10
	s_delay_alu instid0(VALU_DEP_2)
	v_cndmask_b32_e32 v1, 0x7c, v1, vcc_lo
; %bb.26:
	s_or_b32 exec_lo, exec_lo, s9
	s_delay_alu instid0(SALU_CYCLE_1)
	s_or_b32 s10, s6, exec_lo
	s_xor_b32 s9, exec_lo, -1
.LBB233_27:
	s_or_b32 exec_lo, exec_lo, s8
	s_delay_alu instid0(SALU_CYCLE_1)
	s_and_not1_b32 s6, s6, exec_lo
	s_and_b32 s8, s10, exec_lo
	s_and_not1_b32 s5, s5, exec_lo
	s_and_b32 s9, s9, exec_lo
	s_or_b32 s6, s6, s8
	s_or_b32 s5, s5, s9
.LBB233_28:
	s_or_b32 exec_lo, exec_lo, s7
	s_delay_alu instid0(SALU_CYCLE_1)
	s_and_b32 s7, s6, exec_lo
	s_and_b32 s6, s5, exec_lo
                                        ; implicit-def: $vgpr10
.LBB233_29:
	s_and_not1_saveexec_b32 s4, s4
	s_cbranch_execz .LBB233_41
; %bb.30:
	s_mov_b32 s8, -1
	s_mov_b32 s9, s7
	s_mov_b32 s5, exec_lo
                                        ; implicit-def: $vgpr1
	v_cmpx_eq_u16_e32 29, v10
	s_cbranch_execz .LBB233_40
; %bb.31:
	flat_load_b64 v[10:11], v[8:9]
	s_mov_b32 s8, exec_lo
	s_wait_loadcnt_dscnt 0x0
	v_clz_i32_u32_e32 v1, v11
	s_delay_alu instid0(VALU_DEP_1) | instskip(NEXT) | instid1(VALU_DEP_1)
	v_min_u32_e32 v1, 32, v1
	v_lshlrev_b64_e32 v[10:11], v1, v[10:11]
	v_sub_nc_u32_e32 v1, 32, v1
	s_delay_alu instid0(VALU_DEP_2) | instskip(NEXT) | instid1(VALU_DEP_1)
	v_min_u32_e32 v10, 1, v10
	v_or_b32_e32 v10, v11, v10
	s_delay_alu instid0(VALU_DEP_1) | instskip(NEXT) | instid1(VALU_DEP_1)
	v_cvt_f32_u32_e32 v10, v10
	v_ldexp_f32 v10, v10, v1
                                        ; implicit-def: $vgpr1
	s_wait_xcnt 0x0
	s_delay_alu instid0(VALU_DEP_1)
	v_cmpx_gt_u32_e32 0x47800000, v10
	s_xor_b32 s8, exec_lo, s8
	s_cbranch_execz .LBB233_37
; %bb.32:
	s_mov_b32 s9, exec_lo
                                        ; implicit-def: $vgpr1
	v_cmpx_lt_u32_e32 0x387fffff, v10
	s_xor_b32 s9, exec_lo, s9
; %bb.33:
	v_bfe_u32 v1, v10, 21, 1
	s_delay_alu instid0(VALU_DEP_1) | instskip(NEXT) | instid1(VALU_DEP_1)
	v_add3_u32 v1, v10, v1, 0x80fffff
                                        ; implicit-def: $vgpr10
	v_lshrrev_b32_e32 v1, 21, v1
; %bb.34:
	s_and_not1_saveexec_b32 s9, s9
; %bb.35:
	v_add_f32_e32 v1, 0x43000000, v10
; %bb.36:
	s_or_b32 exec_lo, exec_lo, s9
                                        ; implicit-def: $vgpr10
.LBB233_37:
	s_and_not1_saveexec_b32 s8, s8
; %bb.38:
	v_mov_b32_e32 v1, 0x7f
	v_cmp_lt_u32_e32 vcc_lo, 0x7f800000, v10
	s_delay_alu instid0(VALU_DEP_2)
	v_cndmask_b32_e32 v1, 0x7c, v1, vcc_lo
; %bb.39:
	s_or_b32 exec_lo, exec_lo, s8
	s_delay_alu instid0(SALU_CYCLE_1)
	s_or_b32 s9, s7, exec_lo
	s_xor_b32 s8, exec_lo, -1
.LBB233_40:
	s_or_b32 exec_lo, exec_lo, s5
	s_delay_alu instid0(SALU_CYCLE_1)
	s_and_not1_b32 s5, s7, exec_lo
	s_and_b32 s7, s9, exec_lo
	s_and_not1_b32 s6, s6, exec_lo
	s_and_b32 s8, s8, exec_lo
	s_or_b32 s7, s5, s7
	s_or_b32 s6, s6, s8
.LBB233_41:
	s_or_b32 exec_lo, exec_lo, s4
	s_delay_alu instid0(SALU_CYCLE_1)
	s_and_b32 s5, s7, exec_lo
	s_and_b32 s4, s6, exec_lo
                                        ; implicit-def: $vgpr10
.LBB233_42:
	s_and_not1_saveexec_b32 s3, s3
	s_cbranch_execz .LBB233_82
; %bb.43:
	s_mov_b32 s6, exec_lo
                                        ; implicit-def: $vgpr1
	v_cmpx_lt_i16_e32 26, v10
	s_xor_b32 s6, exec_lo, s6
	s_cbranch_execz .LBB233_65
; %bb.44:
	s_mov_b32 s7, exec_lo
                                        ; implicit-def: $vgpr1
	v_cmpx_lt_i16_e32 27, v10
	s_xor_b32 s7, exec_lo, s7
	s_cbranch_execz .LBB233_54
; %bb.45:
	flat_load_b32 v1, v[8:9]
	s_mov_b32 s8, exec_lo
	s_wait_loadcnt_dscnt 0x0
	v_cvt_f32_u32_e32 v10, v1
                                        ; implicit-def: $vgpr1
	s_wait_xcnt 0x0
	s_delay_alu instid0(VALU_DEP_1)
	v_cmpx_gt_u32_e32 0x47800000, v10
	s_xor_b32 s8, exec_lo, s8
	s_cbranch_execz .LBB233_51
; %bb.46:
	s_mov_b32 s9, exec_lo
                                        ; implicit-def: $vgpr1
	v_cmpx_lt_u32_e32 0x387fffff, v10
	s_xor_b32 s9, exec_lo, s9
; %bb.47:
	v_bfe_u32 v1, v10, 21, 1
	s_delay_alu instid0(VALU_DEP_1) | instskip(NEXT) | instid1(VALU_DEP_1)
	v_add3_u32 v1, v10, v1, 0x80fffff
                                        ; implicit-def: $vgpr10
	v_lshrrev_b32_e32 v1, 21, v1
; %bb.48:
	s_and_not1_saveexec_b32 s9, s9
; %bb.49:
	v_add_f32_e32 v1, 0x43000000, v10
; %bb.50:
	s_or_b32 exec_lo, exec_lo, s9
                                        ; implicit-def: $vgpr10
.LBB233_51:
	s_and_not1_saveexec_b32 s8, s8
; %bb.52:
	v_mov_b32_e32 v1, 0x7f
	v_cmp_lt_u32_e32 vcc_lo, 0x7f800000, v10
	s_delay_alu instid0(VALU_DEP_2)
	v_cndmask_b32_e32 v1, 0x7c, v1, vcc_lo
; %bb.53:
	s_or_b32 exec_lo, exec_lo, s8
.LBB233_54:
	s_and_not1_saveexec_b32 s7, s7
	s_cbranch_execz .LBB233_64
; %bb.55:
	flat_load_u16 v1, v[8:9]
	s_mov_b32 s8, exec_lo
	s_wait_loadcnt_dscnt 0x0
	v_cvt_f32_u32_e32 v10, v1
                                        ; implicit-def: $vgpr1
	s_wait_xcnt 0x0
	s_delay_alu instid0(VALU_DEP_1)
	v_cmpx_gt_u32_e32 0x47800000, v10
	s_xor_b32 s8, exec_lo, s8
	s_cbranch_execz .LBB233_61
; %bb.56:
	s_mov_b32 s9, exec_lo
                                        ; implicit-def: $vgpr1
	v_cmpx_lt_u32_e32 0x387fffff, v10
	s_xor_b32 s9, exec_lo, s9
; %bb.57:
	v_bfe_u32 v1, v10, 21, 1
	s_delay_alu instid0(VALU_DEP_1) | instskip(NEXT) | instid1(VALU_DEP_1)
	v_add3_u32 v1, v10, v1, 0x80fffff
                                        ; implicit-def: $vgpr10
	v_lshrrev_b32_e32 v1, 21, v1
; %bb.58:
	s_and_not1_saveexec_b32 s9, s9
; %bb.59:
	v_add_f32_e32 v1, 0x43000000, v10
; %bb.60:
	s_or_b32 exec_lo, exec_lo, s9
                                        ; implicit-def: $vgpr10
.LBB233_61:
	s_and_not1_saveexec_b32 s8, s8
; %bb.62:
	v_mov_b32_e32 v1, 0x7f
	v_cmp_lt_u32_e32 vcc_lo, 0x7f800000, v10
	s_delay_alu instid0(VALU_DEP_2)
	v_cndmask_b32_e32 v1, 0x7c, v1, vcc_lo
; %bb.63:
	s_or_b32 exec_lo, exec_lo, s8
.LBB233_64:
	s_delay_alu instid0(SALU_CYCLE_1)
	s_or_b32 exec_lo, exec_lo, s7
.LBB233_65:
	s_and_not1_saveexec_b32 s6, s6
	s_cbranch_execz .LBB233_81
; %bb.66:
	flat_load_u8 v10, v[8:9]
	s_mov_b32 s7, 0
	s_mov_b32 s8, exec_lo
	s_wait_loadcnt_dscnt 0x0
	v_cmpx_lt_i16_e32 0x7f, v10
	s_xor_b32 s8, exec_lo, s8
	s_cbranch_execz .LBB233_559
; %bb.67:
	s_mov_b32 s7, -1
	s_mov_b32 s9, exec_lo
	v_cmpx_eq_u16_e32 0x80, v10
; %bb.68:
	s_xor_b32 s7, exec_lo, -1
; %bb.69:
	s_or_b32 exec_lo, exec_lo, s9
	s_delay_alu instid0(SALU_CYCLE_1)
	s_and_b32 s7, s7, exec_lo
	s_or_saveexec_b32 s8, s8
	v_mov_b32_e32 v1, 0x7f800001
	s_xor_b32 exec_lo, exec_lo, s8
	s_cbranch_execnz .LBB233_560
.LBB233_70:
	s_or_b32 exec_lo, exec_lo, s8
	s_and_saveexec_b32 s8, s7
	s_cbranch_execz .LBB233_72
.LBB233_71:
	v_and_b32_e32 v1, 0xffff, v10
	s_delay_alu instid0(VALU_DEP_1) | instskip(SKIP_1) | instid1(VALU_DEP_2)
	v_and_b32_e32 v11, 7, v1
	v_bfe_u32 v14, v1, 3, 4
	v_clz_i32_u32_e32 v12, v11
	s_delay_alu instid0(VALU_DEP_2) | instskip(NEXT) | instid1(VALU_DEP_2)
	v_cmp_eq_u32_e32 vcc_lo, 0, v14
	v_min_u32_e32 v12, 32, v12
	s_delay_alu instid0(VALU_DEP_1) | instskip(NEXT) | instid1(VALU_DEP_1)
	v_subrev_nc_u32_e32 v13, 28, v12
	v_dual_lshlrev_b32 v1, v13, v1 :: v_dual_sub_nc_u32 v12, 29, v12
	s_delay_alu instid0(VALU_DEP_1) | instskip(NEXT) | instid1(VALU_DEP_1)
	v_dual_lshlrev_b32 v10, 24, v10 :: v_dual_bitop2_b32 v1, 7, v1 bitop3:0x40
	v_dual_cndmask_b32 v12, v14, v12 :: v_dual_cndmask_b32 v1, v11, v1
	s_delay_alu instid0(VALU_DEP_2) | instskip(NEXT) | instid1(VALU_DEP_2)
	v_and_b32_e32 v10, 0x80000000, v10
	v_lshl_add_u32 v11, v12, 23, 0x3b800000
	s_delay_alu instid0(VALU_DEP_3) | instskip(NEXT) | instid1(VALU_DEP_1)
	v_lshlrev_b32_e32 v1, 20, v1
	v_or3_b32 v1, v10, v11, v1
.LBB233_72:
	s_or_b32 exec_lo, exec_lo, s8
	s_delay_alu instid0(VALU_DEP_1) | instskip(SKIP_1) | instid1(VALU_DEP_1)
	v_and_b32_e32 v11, 0x7fffffff, v1
	s_mov_b32 s7, exec_lo
                                        ; implicit-def: $vgpr10
	v_cmpx_gt_u32_e32 0x47800000, v11
	s_xor_b32 s7, exec_lo, s7
	s_cbranch_execz .LBB233_78
; %bb.73:
	s_mov_b32 s8, exec_lo
                                        ; implicit-def: $vgpr10
	v_cmpx_lt_u32_e32 0x387fffff, v11
	s_xor_b32 s8, exec_lo, s8
; %bb.74:
	v_bfe_u32 v10, v1, 21, 1
	s_delay_alu instid0(VALU_DEP_1) | instskip(NEXT) | instid1(VALU_DEP_1)
	v_add3_u32 v10, v1, v10, 0x80fffff
	v_lshrrev_b32_e32 v10, 21, v10
; %bb.75:
	s_and_not1_saveexec_b32 s8, s8
; %bb.76:
	v_add_f32_e64 v10, 0x43000000, |v1|
; %bb.77:
	s_or_b32 exec_lo, exec_lo, s8
                                        ; implicit-def: $vgpr11
.LBB233_78:
	s_and_not1_saveexec_b32 s7, s7
; %bb.79:
	v_mov_b32_e32 v10, 0x7f
	v_cmp_lt_u32_e32 vcc_lo, 0x7f800000, v11
	s_delay_alu instid0(VALU_DEP_2)
	v_cndmask_b32_e32 v10, 0x7c, v10, vcc_lo
; %bb.80:
	s_or_b32 exec_lo, exec_lo, s7
	v_lshrrev_b32_e32 v1, 24, v1
	s_delay_alu instid0(VALU_DEP_1)
	v_and_or_b32 v1, 0x80, v1, v10
.LBB233_81:
	s_or_b32 exec_lo, exec_lo, s6
	s_delay_alu instid0(SALU_CYCLE_1)
	s_or_b32 s5, s5, exec_lo
.LBB233_82:
	s_or_b32 exec_lo, exec_lo, s3
	s_delay_alu instid0(SALU_CYCLE_1)
	s_and_b32 s3, s5, exec_lo
	s_and_b32 s4, s4, exec_lo
                                        ; implicit-def: $vgpr10
	s_and_not1_saveexec_b32 s2, s2
	s_cbranch_execnz .LBB233_458
.LBB233_83:
	s_or_b32 exec_lo, exec_lo, s2
	s_mov_b32 s2, 0
	s_and_saveexec_b32 s5, s4
	s_cbranch_execnz .LBB233_507
.LBB233_84:
	s_or_b32 exec_lo, exec_lo, s5
	s_and_saveexec_b32 s4, s0
	s_cbranch_execz .LBB233_94
.LBB233_85:
	s_wait_loadcnt_dscnt 0x0
	flat_load_u8 v1, v[8:9]
	s_mov_b32 s0, exec_lo
	s_wait_loadcnt_dscnt 0x0
	v_cmp_ne_u16_e32 vcc_lo, 0, v1
                                        ; implicit-def: $vgpr1
	s_wait_xcnt 0x0
	v_cndmask_b32_e64 v8, 0, 1.0, vcc_lo
	s_delay_alu instid0(VALU_DEP_1)
	v_cmpx_gt_u32_e32 0x47800000, v8
	s_xor_b32 s0, exec_lo, s0
	s_cbranch_execz .LBB233_91
; %bb.86:
	s_mov_b32 s5, exec_lo
                                        ; implicit-def: $vgpr1
	v_cmpx_lt_u32_e32 0x387fffff, v8
	s_xor_b32 s5, exec_lo, s5
; %bb.87:
	v_bfe_u32 v1, v8, 21, 1
	s_delay_alu instid0(VALU_DEP_1) | instskip(NEXT) | instid1(VALU_DEP_1)
	v_add3_u32 v1, v8, v1, 0x80fffff
                                        ; implicit-def: $vgpr8
	v_lshrrev_b32_e32 v1, 21, v1
; %bb.88:
	s_and_not1_saveexec_b32 s5, s5
; %bb.89:
	v_add_f32_e32 v1, 0x43000000, v8
; %bb.90:
	s_or_b32 exec_lo, exec_lo, s5
                                        ; implicit-def: $vgpr8
.LBB233_91:
	s_and_not1_saveexec_b32 s0, s0
; %bb.92:
	v_mov_b32_e32 v1, 0x7f
	v_cmp_lt_u32_e32 vcc_lo, 0x7f800000, v8
	s_delay_alu instid0(VALU_DEP_2)
	v_cndmask_b32_e32 v1, 0x7c, v1, vcc_lo
; %bb.93:
	s_or_b32 exec_lo, exec_lo, s0
	s_delay_alu instid0(SALU_CYCLE_1)
	s_or_b32 s3, s3, exec_lo
.LBB233_94:
	s_or_b32 exec_lo, exec_lo, s4
	s_delay_alu instid0(SALU_CYCLE_1)
	s_and_b32 s0, s2, exec_lo
	s_and_b32 s3, s3, exec_lo
                                        ; implicit-def: $vgpr10
                                        ; implicit-def: $vgpr8_vgpr9
.LBB233_95:
	s_and_not1_saveexec_b32 s1, s1
	s_cbranch_execz .LBB233_225
; %bb.96:
	s_mov_b32 s2, exec_lo
                                        ; implicit-def: $vgpr1
	v_cmpx_lt_i16_e32 4, v10
	s_xor_b32 s2, exec_lo, s2
	s_cbranch_execz .LBB233_166
; %bb.97:
	s_mov_b32 s4, exec_lo
                                        ; implicit-def: $vgpr1
	v_cmpx_lt_i16_e32 7, v10
	s_xor_b32 s4, exec_lo, s4
	;; [unrolled: 6-line block ×4, first 2 shown]
	s_cbranch_execz .LBB233_109
; %bb.100:
	flat_load_b64 v[8:9], v[8:9]
	s_mov_b32 s7, exec_lo
	s_wait_loadcnt_dscnt 0x0
	v_cvt_f32_f64_e32 v1, v[8:9]
                                        ; implicit-def: $vgpr8
	s_wait_xcnt 0x0
	s_delay_alu instid0(VALU_DEP_1) | instskip(NEXT) | instid1(VALU_DEP_1)
	v_and_b32_e32 v9, 0x7fffffff, v1
	v_cmpx_gt_u32_e32 0x47800000, v9
	s_xor_b32 s7, exec_lo, s7
	s_cbranch_execz .LBB233_106
; %bb.101:
	s_mov_b32 s8, exec_lo
                                        ; implicit-def: $vgpr8
	v_cmpx_lt_u32_e32 0x387fffff, v9
	s_xor_b32 s8, exec_lo, s8
; %bb.102:
	v_bfe_u32 v8, v1, 21, 1
	s_delay_alu instid0(VALU_DEP_1) | instskip(NEXT) | instid1(VALU_DEP_1)
	v_add3_u32 v8, v1, v8, 0x80fffff
	v_lshrrev_b32_e32 v8, 21, v8
; %bb.103:
	s_and_not1_saveexec_b32 s8, s8
; %bb.104:
	v_add_f32_e64 v8, 0x43000000, |v1|
; %bb.105:
	s_or_b32 exec_lo, exec_lo, s8
                                        ; implicit-def: $vgpr9
.LBB233_106:
	s_and_not1_saveexec_b32 s7, s7
; %bb.107:
	v_mov_b32_e32 v8, 0x7f
	v_cmp_lt_u32_e32 vcc_lo, 0x7f800000, v9
	s_delay_alu instid0(VALU_DEP_2)
	v_cndmask_b32_e32 v8, 0x7c, v8, vcc_lo
; %bb.108:
	s_or_b32 exec_lo, exec_lo, s7
	v_lshrrev_b32_e32 v1, 24, v1
	s_delay_alu instid0(VALU_DEP_1)
	v_and_or_b32 v1, 0x80, v1, v8
                                        ; implicit-def: $vgpr8_vgpr9
.LBB233_109:
	s_and_not1_saveexec_b32 s6, s6
	s_cbranch_execz .LBB233_119
; %bb.110:
	s_wait_loadcnt_dscnt 0x0
	flat_load_b32 v1, v[8:9]
	s_mov_b32 s7, exec_lo
                                        ; implicit-def: $vgpr8
	s_wait_loadcnt_dscnt 0x0
	v_and_b32_e32 v9, 0x7fffffff, v1
	s_delay_alu instid0(VALU_DEP_1)
	v_cmpx_gt_u32_e32 0x47800000, v9
	s_xor_b32 s7, exec_lo, s7
	s_cbranch_execz .LBB233_116
; %bb.111:
	s_mov_b32 s8, exec_lo
                                        ; implicit-def: $vgpr8
	v_cmpx_lt_u32_e32 0x387fffff, v9
	s_xor_b32 s8, exec_lo, s8
; %bb.112:
	v_bfe_u32 v8, v1, 21, 1
	s_delay_alu instid0(VALU_DEP_1) | instskip(NEXT) | instid1(VALU_DEP_1)
	v_add3_u32 v8, v1, v8, 0x80fffff
	v_lshrrev_b32_e32 v8, 21, v8
; %bb.113:
	s_and_not1_saveexec_b32 s8, s8
; %bb.114:
	v_add_f32_e64 v8, 0x43000000, |v1|
; %bb.115:
	s_or_b32 exec_lo, exec_lo, s8
                                        ; implicit-def: $vgpr9
.LBB233_116:
	s_and_not1_saveexec_b32 s7, s7
; %bb.117:
	v_mov_b32_e32 v8, 0x7f
	v_cmp_lt_u32_e32 vcc_lo, 0x7f800000, v9
	s_delay_alu instid0(VALU_DEP_2)
	v_cndmask_b32_e32 v8, 0x7c, v8, vcc_lo
; %bb.118:
	s_or_b32 exec_lo, exec_lo, s7
	v_lshrrev_b32_e32 v1, 24, v1
	s_delay_alu instid0(VALU_DEP_1)
	v_and_or_b32 v1, 0x80, v1, v8
.LBB233_119:
	s_or_b32 exec_lo, exec_lo, s6
                                        ; implicit-def: $vgpr8_vgpr9
.LBB233_120:
	s_and_not1_saveexec_b32 s5, s5
	s_cbranch_execz .LBB233_130
; %bb.121:
	s_wait_loadcnt_dscnt 0x0
	flat_load_b32 v1, v[8:9]
	s_mov_b32 s6, exec_lo
                                        ; implicit-def: $vgpr8
	s_wait_loadcnt_dscnt 0x0
	v_cvt_f32_f16_e32 v1, v1
	s_wait_xcnt 0x0
	s_delay_alu instid0(VALU_DEP_1) | instskip(NEXT) | instid1(VALU_DEP_1)
	v_and_b32_e32 v9, 0x7fffffff, v1
	v_cmpx_gt_u32_e32 0x47800000, v9
	s_xor_b32 s6, exec_lo, s6
	s_cbranch_execz .LBB233_127
; %bb.122:
	s_mov_b32 s7, exec_lo
                                        ; implicit-def: $vgpr8
	v_cmpx_lt_u32_e32 0x387fffff, v9
	s_xor_b32 s7, exec_lo, s7
; %bb.123:
	v_bfe_u32 v8, v1, 21, 1
	s_delay_alu instid0(VALU_DEP_1) | instskip(NEXT) | instid1(VALU_DEP_1)
	v_add3_u32 v8, v1, v8, 0x80fffff
	v_lshrrev_b32_e32 v8, 21, v8
; %bb.124:
	s_and_not1_saveexec_b32 s7, s7
; %bb.125:
	v_add_f32_e64 v8, 0x43000000, |v1|
; %bb.126:
	s_or_b32 exec_lo, exec_lo, s7
                                        ; implicit-def: $vgpr9
.LBB233_127:
	s_and_not1_saveexec_b32 s6, s6
; %bb.128:
	v_mov_b32_e32 v8, 0x7f
	v_cmp_lt_u32_e32 vcc_lo, 0x7f800000, v9
	s_delay_alu instid0(VALU_DEP_2)
	v_cndmask_b32_e32 v8, 0x7c, v8, vcc_lo
; %bb.129:
	s_or_b32 exec_lo, exec_lo, s6
	v_lshrrev_b32_e32 v1, 24, v1
	s_delay_alu instid0(VALU_DEP_1)
	v_and_or_b32 v1, 0x80, v1, v8
.LBB233_130:
	s_or_b32 exec_lo, exec_lo, s5
                                        ; implicit-def: $vgpr10
                                        ; implicit-def: $vgpr8_vgpr9
.LBB233_131:
	s_and_not1_saveexec_b32 s4, s4
	s_cbranch_execz .LBB233_165
; %bb.132:
	s_mov_b32 s5, exec_lo
                                        ; implicit-def: $vgpr1
	v_cmpx_lt_i16_e32 5, v10
	s_xor_b32 s5, exec_lo, s5
	s_cbranch_execz .LBB233_154
; %bb.133:
	s_mov_b32 s6, exec_lo
                                        ; implicit-def: $vgpr1
	v_cmpx_lt_i16_e32 6, v10
	s_xor_b32 s6, exec_lo, s6
	s_cbranch_execz .LBB233_143
; %bb.134:
	flat_load_b64 v[8:9], v[8:9]
	s_mov_b32 s7, exec_lo
	s_wait_loadcnt_dscnt 0x0
	v_cvt_f32_f64_e32 v1, v[8:9]
                                        ; implicit-def: $vgpr8
	s_wait_xcnt 0x0
	s_delay_alu instid0(VALU_DEP_1) | instskip(NEXT) | instid1(VALU_DEP_1)
	v_and_b32_e32 v9, 0x7fffffff, v1
	v_cmpx_gt_u32_e32 0x47800000, v9
	s_xor_b32 s7, exec_lo, s7
	s_cbranch_execz .LBB233_140
; %bb.135:
	s_mov_b32 s8, exec_lo
                                        ; implicit-def: $vgpr8
	v_cmpx_lt_u32_e32 0x387fffff, v9
	s_xor_b32 s8, exec_lo, s8
; %bb.136:
	v_bfe_u32 v8, v1, 21, 1
	s_delay_alu instid0(VALU_DEP_1) | instskip(NEXT) | instid1(VALU_DEP_1)
	v_add3_u32 v8, v1, v8, 0x80fffff
	v_lshrrev_b32_e32 v8, 21, v8
; %bb.137:
	s_and_not1_saveexec_b32 s8, s8
; %bb.138:
	v_add_f32_e64 v8, 0x43000000, |v1|
; %bb.139:
	s_or_b32 exec_lo, exec_lo, s8
                                        ; implicit-def: $vgpr9
.LBB233_140:
	s_and_not1_saveexec_b32 s7, s7
; %bb.141:
	v_mov_b32_e32 v8, 0x7f
	v_cmp_lt_u32_e32 vcc_lo, 0x7f800000, v9
	s_delay_alu instid0(VALU_DEP_2)
	v_cndmask_b32_e32 v8, 0x7c, v8, vcc_lo
; %bb.142:
	s_or_b32 exec_lo, exec_lo, s7
	v_lshrrev_b32_e32 v1, 24, v1
	s_delay_alu instid0(VALU_DEP_1)
	v_and_or_b32 v1, 0x80, v1, v8
                                        ; implicit-def: $vgpr8_vgpr9
.LBB233_143:
	s_and_not1_saveexec_b32 s6, s6
	s_cbranch_execz .LBB233_153
; %bb.144:
	s_wait_loadcnt_dscnt 0x0
	flat_load_b32 v1, v[8:9]
	s_mov_b32 s7, exec_lo
                                        ; implicit-def: $vgpr8
	s_wait_loadcnt_dscnt 0x0
	v_and_b32_e32 v9, 0x7fffffff, v1
	s_delay_alu instid0(VALU_DEP_1)
	v_cmpx_gt_u32_e32 0x47800000, v9
	s_xor_b32 s7, exec_lo, s7
	s_cbranch_execz .LBB233_150
; %bb.145:
	s_mov_b32 s8, exec_lo
                                        ; implicit-def: $vgpr8
	v_cmpx_lt_u32_e32 0x387fffff, v9
	s_xor_b32 s8, exec_lo, s8
; %bb.146:
	v_bfe_u32 v8, v1, 21, 1
	s_delay_alu instid0(VALU_DEP_1) | instskip(NEXT) | instid1(VALU_DEP_1)
	v_add3_u32 v8, v1, v8, 0x80fffff
	v_lshrrev_b32_e32 v8, 21, v8
; %bb.147:
	s_and_not1_saveexec_b32 s8, s8
; %bb.148:
	v_add_f32_e64 v8, 0x43000000, |v1|
; %bb.149:
	s_or_b32 exec_lo, exec_lo, s8
                                        ; implicit-def: $vgpr9
.LBB233_150:
	s_and_not1_saveexec_b32 s7, s7
; %bb.151:
	v_mov_b32_e32 v8, 0x7f
	v_cmp_lt_u32_e32 vcc_lo, 0x7f800000, v9
	s_delay_alu instid0(VALU_DEP_2)
	v_cndmask_b32_e32 v8, 0x7c, v8, vcc_lo
; %bb.152:
	s_or_b32 exec_lo, exec_lo, s7
	v_lshrrev_b32_e32 v1, 24, v1
	s_delay_alu instid0(VALU_DEP_1)
	v_and_or_b32 v1, 0x80, v1, v8
.LBB233_153:
	s_or_b32 exec_lo, exec_lo, s6
                                        ; implicit-def: $vgpr8_vgpr9
.LBB233_154:
	s_and_not1_saveexec_b32 s5, s5
	s_cbranch_execz .LBB233_164
; %bb.155:
	s_wait_loadcnt_dscnt 0x0
	flat_load_u16 v1, v[8:9]
	s_mov_b32 s6, exec_lo
                                        ; implicit-def: $vgpr8
	s_wait_loadcnt_dscnt 0x0
	v_cvt_f32_f16_e32 v1, v1
	s_wait_xcnt 0x0
	s_delay_alu instid0(VALU_DEP_1) | instskip(NEXT) | instid1(VALU_DEP_1)
	v_and_b32_e32 v9, 0x7fffffff, v1
	v_cmpx_gt_u32_e32 0x47800000, v9
	s_xor_b32 s6, exec_lo, s6
	s_cbranch_execz .LBB233_161
; %bb.156:
	s_mov_b32 s7, exec_lo
                                        ; implicit-def: $vgpr8
	v_cmpx_lt_u32_e32 0x387fffff, v9
	s_xor_b32 s7, exec_lo, s7
; %bb.157:
	v_bfe_u32 v8, v1, 21, 1
	s_delay_alu instid0(VALU_DEP_1) | instskip(NEXT) | instid1(VALU_DEP_1)
	v_add3_u32 v8, v1, v8, 0x80fffff
	v_lshrrev_b32_e32 v8, 21, v8
; %bb.158:
	s_and_not1_saveexec_b32 s7, s7
; %bb.159:
	v_add_f32_e64 v8, 0x43000000, |v1|
; %bb.160:
	s_or_b32 exec_lo, exec_lo, s7
                                        ; implicit-def: $vgpr9
.LBB233_161:
	s_and_not1_saveexec_b32 s6, s6
; %bb.162:
	v_mov_b32_e32 v8, 0x7f
	v_cmp_lt_u32_e32 vcc_lo, 0x7f800000, v9
	s_delay_alu instid0(VALU_DEP_2)
	v_cndmask_b32_e32 v8, 0x7c, v8, vcc_lo
; %bb.163:
	s_or_b32 exec_lo, exec_lo, s6
	v_lshrrev_b32_e32 v1, 24, v1
	s_delay_alu instid0(VALU_DEP_1)
	v_and_or_b32 v1, 0x80, v1, v8
.LBB233_164:
	s_or_b32 exec_lo, exec_lo, s5
.LBB233_165:
	s_delay_alu instid0(SALU_CYCLE_1)
	s_or_b32 exec_lo, exec_lo, s4
                                        ; implicit-def: $vgpr10
                                        ; implicit-def: $vgpr8_vgpr9
.LBB233_166:
	s_and_not1_saveexec_b32 s2, s2
	s_cbranch_execz .LBB233_224
; %bb.167:
	s_mov_b32 s4, exec_lo
                                        ; implicit-def: $vgpr1
	v_cmpx_lt_i16_e32 1, v10
	s_xor_b32 s4, exec_lo, s4
	s_cbranch_execz .LBB233_201
; %bb.168:
	s_mov_b32 s5, exec_lo
                                        ; implicit-def: $vgpr1
	v_cmpx_lt_i16_e32 2, v10
	s_xor_b32 s5, exec_lo, s5
	;; [unrolled: 6-line block ×3, first 2 shown]
	s_cbranch_execz .LBB233_179
; %bb.170:
	flat_load_b64 v[8:9], v[8:9]
	s_mov_b32 s7, exec_lo
	s_wait_loadcnt_dscnt 0x0
	v_xor_b32_e32 v1, v8, v9
	v_cls_i32_e32 v10, v9
	s_delay_alu instid0(VALU_DEP_2) | instskip(NEXT) | instid1(VALU_DEP_1)
	v_ashrrev_i32_e32 v1, 31, v1
	v_add_nc_u32_e32 v1, 32, v1
	s_delay_alu instid0(VALU_DEP_1) | instskip(SKIP_1) | instid1(VALU_DEP_1)
	v_add_min_u32_e64 v1, v10, -1, v1
	s_wait_xcnt 0x0
	v_lshlrev_b64_e32 v[8:9], v1, v[8:9]
	v_sub_nc_u32_e32 v1, 32, v1
	s_delay_alu instid0(VALU_DEP_2) | instskip(NEXT) | instid1(VALU_DEP_1)
	v_min_u32_e32 v8, 1, v8
	v_or_b32_e32 v8, v9, v8
	s_delay_alu instid0(VALU_DEP_1) | instskip(NEXT) | instid1(VALU_DEP_1)
	v_cvt_f32_i32_e32 v8, v8
	v_ldexp_f32 v1, v8, v1
                                        ; implicit-def: $vgpr8
	s_delay_alu instid0(VALU_DEP_1) | instskip(NEXT) | instid1(VALU_DEP_1)
	v_and_b32_e32 v9, 0x7fffffff, v1
	v_cmpx_gt_u32_e32 0x47800000, v9
	s_xor_b32 s7, exec_lo, s7
	s_cbranch_execz .LBB233_176
; %bb.171:
	s_mov_b32 s8, exec_lo
                                        ; implicit-def: $vgpr8
	v_cmpx_lt_u32_e32 0x387fffff, v9
	s_xor_b32 s8, exec_lo, s8
; %bb.172:
	v_bfe_u32 v8, v1, 21, 1
	s_delay_alu instid0(VALU_DEP_1) | instskip(NEXT) | instid1(VALU_DEP_1)
	v_add3_u32 v8, v1, v8, 0x80fffff
	v_lshrrev_b32_e32 v8, 21, v8
; %bb.173:
	s_and_not1_saveexec_b32 s8, s8
; %bb.174:
	v_add_f32_e64 v8, 0x43000000, |v1|
; %bb.175:
	s_or_b32 exec_lo, exec_lo, s8
                                        ; implicit-def: $vgpr9
.LBB233_176:
	s_and_not1_saveexec_b32 s7, s7
; %bb.177:
	v_mov_b32_e32 v8, 0x7f
	v_cmp_lt_u32_e32 vcc_lo, 0x7f800000, v9
	s_delay_alu instid0(VALU_DEP_2)
	v_cndmask_b32_e32 v8, 0x7c, v8, vcc_lo
; %bb.178:
	s_or_b32 exec_lo, exec_lo, s7
	v_lshrrev_b32_e32 v1, 24, v1
	s_delay_alu instid0(VALU_DEP_1)
	v_and_or_b32 v1, 0x80, v1, v8
                                        ; implicit-def: $vgpr8_vgpr9
.LBB233_179:
	s_and_not1_saveexec_b32 s6, s6
	s_cbranch_execz .LBB233_189
; %bb.180:
	s_wait_loadcnt_dscnt 0x0
	flat_load_b32 v1, v[8:9]
	s_mov_b32 s7, exec_lo
                                        ; implicit-def: $vgpr8
	s_wait_loadcnt_dscnt 0x0
	v_cvt_f32_i32_e32 v1, v1
	s_wait_xcnt 0x0
	s_delay_alu instid0(VALU_DEP_1) | instskip(NEXT) | instid1(VALU_DEP_1)
	v_and_b32_e32 v9, 0x7fffffff, v1
	v_cmpx_gt_u32_e32 0x47800000, v9
	s_xor_b32 s7, exec_lo, s7
	s_cbranch_execz .LBB233_186
; %bb.181:
	s_mov_b32 s8, exec_lo
                                        ; implicit-def: $vgpr8
	v_cmpx_lt_u32_e32 0x387fffff, v9
	s_xor_b32 s8, exec_lo, s8
; %bb.182:
	v_bfe_u32 v8, v1, 21, 1
	s_delay_alu instid0(VALU_DEP_1) | instskip(NEXT) | instid1(VALU_DEP_1)
	v_add3_u32 v8, v1, v8, 0x80fffff
	v_lshrrev_b32_e32 v8, 21, v8
; %bb.183:
	s_and_not1_saveexec_b32 s8, s8
; %bb.184:
	v_add_f32_e64 v8, 0x43000000, |v1|
; %bb.185:
	s_or_b32 exec_lo, exec_lo, s8
                                        ; implicit-def: $vgpr9
.LBB233_186:
	s_and_not1_saveexec_b32 s7, s7
; %bb.187:
	v_mov_b32_e32 v8, 0x7f
	v_cmp_lt_u32_e32 vcc_lo, 0x7f800000, v9
	s_delay_alu instid0(VALU_DEP_2)
	v_cndmask_b32_e32 v8, 0x7c, v8, vcc_lo
; %bb.188:
	s_or_b32 exec_lo, exec_lo, s7
	v_lshrrev_b32_e32 v1, 24, v1
	s_delay_alu instid0(VALU_DEP_1)
	v_and_or_b32 v1, 0x80, v1, v8
.LBB233_189:
	s_or_b32 exec_lo, exec_lo, s6
                                        ; implicit-def: $vgpr8_vgpr9
.LBB233_190:
	s_and_not1_saveexec_b32 s5, s5
	s_cbranch_execz .LBB233_200
; %bb.191:
	s_wait_loadcnt_dscnt 0x0
	flat_load_i16 v1, v[8:9]
	s_mov_b32 s6, exec_lo
                                        ; implicit-def: $vgpr8
	s_wait_loadcnt_dscnt 0x0
	v_cvt_f32_i32_e32 v1, v1
	s_wait_xcnt 0x0
	s_delay_alu instid0(VALU_DEP_1) | instskip(NEXT) | instid1(VALU_DEP_1)
	v_and_b32_e32 v9, 0x7fffffff, v1
	v_cmpx_gt_u32_e32 0x47800000, v9
	s_xor_b32 s6, exec_lo, s6
	s_cbranch_execz .LBB233_197
; %bb.192:
	s_mov_b32 s7, exec_lo
                                        ; implicit-def: $vgpr8
	v_cmpx_lt_u32_e32 0x387fffff, v9
	s_xor_b32 s7, exec_lo, s7
; %bb.193:
	v_bfe_u32 v8, v1, 21, 1
	s_delay_alu instid0(VALU_DEP_1) | instskip(NEXT) | instid1(VALU_DEP_1)
	v_add3_u32 v8, v1, v8, 0x80fffff
	v_lshrrev_b32_e32 v8, 21, v8
; %bb.194:
	s_and_not1_saveexec_b32 s7, s7
; %bb.195:
	v_add_f32_e64 v8, 0x43000000, |v1|
; %bb.196:
	s_or_b32 exec_lo, exec_lo, s7
                                        ; implicit-def: $vgpr9
.LBB233_197:
	s_and_not1_saveexec_b32 s6, s6
; %bb.198:
	v_mov_b32_e32 v8, 0x7f
	v_cmp_lt_u32_e32 vcc_lo, 0x7f800000, v9
	s_delay_alu instid0(VALU_DEP_2)
	v_cndmask_b32_e32 v8, 0x7c, v8, vcc_lo
; %bb.199:
	s_or_b32 exec_lo, exec_lo, s6
	v_lshrrev_b32_e32 v1, 24, v1
	s_delay_alu instid0(VALU_DEP_1)
	v_and_or_b32 v1, 0x80, v1, v8
.LBB233_200:
	s_or_b32 exec_lo, exec_lo, s5
                                        ; implicit-def: $vgpr10
                                        ; implicit-def: $vgpr8_vgpr9
.LBB233_201:
	s_and_not1_saveexec_b32 s4, s4
	s_cbranch_execz .LBB233_223
; %bb.202:
	s_mov_b32 s5, exec_lo
                                        ; implicit-def: $vgpr1
	v_cmpx_lt_i16_e32 0, v10
	s_xor_b32 s5, exec_lo, s5
	s_cbranch_execz .LBB233_212
; %bb.203:
	s_wait_loadcnt_dscnt 0x0
	flat_load_i8 v1, v[8:9]
	s_mov_b32 s6, exec_lo
                                        ; implicit-def: $vgpr8
	s_wait_loadcnt_dscnt 0x0
	v_cvt_f32_i32_e32 v1, v1
	s_wait_xcnt 0x0
	s_delay_alu instid0(VALU_DEP_1) | instskip(NEXT) | instid1(VALU_DEP_1)
	v_and_b32_e32 v9, 0x7fffffff, v1
	v_cmpx_gt_u32_e32 0x47800000, v9
	s_xor_b32 s6, exec_lo, s6
	s_cbranch_execz .LBB233_209
; %bb.204:
	s_mov_b32 s7, exec_lo
                                        ; implicit-def: $vgpr8
	v_cmpx_lt_u32_e32 0x387fffff, v9
	s_xor_b32 s7, exec_lo, s7
; %bb.205:
	v_bfe_u32 v8, v1, 21, 1
	s_delay_alu instid0(VALU_DEP_1) | instskip(NEXT) | instid1(VALU_DEP_1)
	v_add3_u32 v8, v1, v8, 0x80fffff
	v_lshrrev_b32_e32 v8, 21, v8
; %bb.206:
	s_and_not1_saveexec_b32 s7, s7
; %bb.207:
	v_add_f32_e64 v8, 0x43000000, |v1|
; %bb.208:
	s_or_b32 exec_lo, exec_lo, s7
                                        ; implicit-def: $vgpr9
.LBB233_209:
	s_and_not1_saveexec_b32 s6, s6
; %bb.210:
	v_mov_b32_e32 v8, 0x7f
	v_cmp_lt_u32_e32 vcc_lo, 0x7f800000, v9
	s_delay_alu instid0(VALU_DEP_2)
	v_cndmask_b32_e32 v8, 0x7c, v8, vcc_lo
; %bb.211:
	s_or_b32 exec_lo, exec_lo, s6
	v_lshrrev_b32_e32 v1, 24, v1
	s_delay_alu instid0(VALU_DEP_1)
	v_and_or_b32 v1, 0x80, v1, v8
                                        ; implicit-def: $vgpr8_vgpr9
.LBB233_212:
	s_and_not1_saveexec_b32 s5, s5
	s_cbranch_execz .LBB233_222
; %bb.213:
	s_wait_loadcnt_dscnt 0x0
	flat_load_u8 v1, v[8:9]
	s_mov_b32 s6, exec_lo
	s_wait_loadcnt_dscnt 0x0
	v_cvt_f32_ubyte0_e32 v8, v1
                                        ; implicit-def: $vgpr1
	s_delay_alu instid0(VALU_DEP_1)
	v_cmpx_gt_u32_e32 0x47800000, v8
	s_xor_b32 s6, exec_lo, s6
	s_cbranch_execz .LBB233_219
; %bb.214:
	s_mov_b32 s7, exec_lo
                                        ; implicit-def: $vgpr1
	v_cmpx_lt_u32_e32 0x387fffff, v8
	s_xor_b32 s7, exec_lo, s7
; %bb.215:
	v_bfe_u32 v1, v8, 21, 1
	s_delay_alu instid0(VALU_DEP_1) | instskip(NEXT) | instid1(VALU_DEP_1)
	v_add3_u32 v1, v8, v1, 0x80fffff
                                        ; implicit-def: $vgpr8
	v_lshrrev_b32_e32 v1, 21, v1
; %bb.216:
	s_and_not1_saveexec_b32 s7, s7
; %bb.217:
	v_add_f32_e32 v1, 0x43000000, v8
; %bb.218:
	s_or_b32 exec_lo, exec_lo, s7
                                        ; implicit-def: $vgpr8
.LBB233_219:
	s_and_not1_saveexec_b32 s6, s6
; %bb.220:
	v_mov_b32_e32 v1, 0x7f
	v_cmp_lt_u32_e32 vcc_lo, 0x7f800000, v8
	s_delay_alu instid0(VALU_DEP_2)
	v_cndmask_b32_e32 v1, 0x7c, v1, vcc_lo
; %bb.221:
	s_or_b32 exec_lo, exec_lo, s6
.LBB233_222:
	s_delay_alu instid0(SALU_CYCLE_1)
	s_or_b32 exec_lo, exec_lo, s5
.LBB233_223:
	s_delay_alu instid0(SALU_CYCLE_1)
	s_or_b32 exec_lo, exec_lo, s4
.LBB233_224:
	s_delay_alu instid0(SALU_CYCLE_1) | instskip(NEXT) | instid1(SALU_CYCLE_1)
	s_or_b32 exec_lo, exec_lo, s2
	s_or_b32 s3, s3, exec_lo
.LBB233_225:
	s_or_b32 exec_lo, exec_lo, s1
	s_mov_b32 s5, 0
	s_mov_b32 s4, 0
	;; [unrolled: 1-line block ×3, first 2 shown]
                                        ; implicit-def: $vgpr10
                                        ; implicit-def: $vgpr8_vgpr9
                                        ; implicit-def: $vgpr11
	s_and_saveexec_b32 s1, s3
	s_cbranch_execz .LBB233_324
; %bb.226:
	flat_load_b64 v[8:9], v[2:3] offset:8
	flat_load_b32 v12, v[4:5] offset:4
	flat_load_u8 v10, v[6:7] offset:1
	v_mov_b32_e32 v13, 0
	s_mov_b32 s4, -1
	s_mov_b32 s3, 0
	s_mov_b32 s5, s0
	;; [unrolled: 1-line block ×3, first 2 shown]
	s_mov_b32 s2, exec_lo
                                        ; implicit-def: $vgpr11
	s_wait_loadcnt_dscnt 0x101
	v_add_nc_u64_e32 v[8:9], v[8:9], v[12:13]
	s_wait_loadcnt_dscnt 0x0
	v_cmpx_lt_i16_e32 10, v10
	s_cbranch_execz .LBB233_311
; %bb.227:
	s_mov_b32 s5, 0
	s_mov_b32 s4, exec_lo
                                        ; implicit-def: $vgpr11
	v_cmpx_lt_i16_e32 25, v10
	s_xor_b32 s4, exec_lo, s4
	s_cbranch_execz .LBB233_508
; %bb.228:
	s_mov_b32 s7, 0
	s_mov_b32 s5, exec_lo
                                        ; implicit-def: $vgpr11
	v_cmpx_lt_i16_e32 28, v10
	s_xor_b32 s5, exec_lo, s5
	s_cbranch_execz .LBB233_268
; %bb.229:
	s_mov_b32 s8, 0
	s_mov_b32 s9, 0
	s_mov_b32 s6, exec_lo
                                        ; implicit-def: $vgpr11
	v_cmpx_lt_i16_e32 43, v10
	s_xor_b32 s6, exec_lo, s6
	s_cbranch_execz .LBB233_255
; %bb.230:
	s_mov_b32 s9, exec_lo
                                        ; implicit-def: $vgpr11
	v_cmpx_lt_i16_e32 45, v10
	s_xor_b32 s9, exec_lo, s9
	s_cbranch_execz .LBB233_242
; %bb.231:
	s_mov_b32 s10, -1
	s_mov_b32 s7, exec_lo
                                        ; implicit-def: $vgpr11
	v_cmpx_eq_u16_e32 46, v10
	s_cbranch_execz .LBB233_241
; %bb.232:
	flat_load_b32 v2, v[8:9]
	s_mov_b32 s8, exec_lo
                                        ; implicit-def: $vgpr3
	s_wait_loadcnt_dscnt 0x0
	v_lshlrev_b32_e32 v2, 16, v2
	s_delay_alu instid0(VALU_DEP_1) | instskip(SKIP_1) | instid1(VALU_DEP_1)
	v_and_b32_e32 v4, 0x7fffffff, v2
	s_wait_xcnt 0x0
	v_cmpx_gt_u32_e32 0x47800000, v4
	s_xor_b32 s8, exec_lo, s8
	s_cbranch_execz .LBB233_238
; %bb.233:
	s_mov_b32 s10, exec_lo
                                        ; implicit-def: $vgpr3
	v_cmpx_lt_u32_e32 0x387fffff, v4
	s_xor_b32 s10, exec_lo, s10
; %bb.234:
	v_bfe_u32 v3, v2, 21, 1
	s_delay_alu instid0(VALU_DEP_1) | instskip(NEXT) | instid1(VALU_DEP_1)
	v_add3_u32 v3, v2, v3, 0x80fffff
	v_lshrrev_b32_e32 v3, 21, v3
; %bb.235:
	s_and_not1_saveexec_b32 s10, s10
; %bb.236:
	v_add_f32_e64 v3, 0x43000000, |v2|
; %bb.237:
	s_or_b32 exec_lo, exec_lo, s10
                                        ; implicit-def: $vgpr4
.LBB233_238:
	s_and_not1_saveexec_b32 s8, s8
; %bb.239:
	v_mov_b32_e32 v3, 0x7f
	v_cmp_lt_u32_e32 vcc_lo, 0x7f800000, v4
	s_delay_alu instid0(VALU_DEP_2)
	v_cndmask_b32_e32 v3, 0x7c, v3, vcc_lo
; %bb.240:
	s_or_b32 exec_lo, exec_lo, s8
	v_lshrrev_b32_e32 v2, 24, v2
	s_mov_b32 s8, exec_lo
	s_xor_b32 s10, exec_lo, -1
	s_delay_alu instid0(VALU_DEP_1)
	v_and_or_b32 v11, 0x80, v2, v3
.LBB233_241:
	s_or_b32 exec_lo, exec_lo, s7
	s_delay_alu instid0(SALU_CYCLE_1)
	s_and_b32 s8, s8, exec_lo
	s_and_b32 s7, s10, exec_lo
.LBB233_242:
	s_and_not1_saveexec_b32 s9, s9
	s_cbranch_execz .LBB233_254
; %bb.243:
	s_mov_b32 s11, -1
	s_mov_b32 s12, s8
	s_mov_b32 s10, exec_lo
                                        ; implicit-def: $vgpr11
	v_cmpx_eq_u16_e32 44, v10
	s_cbranch_execz .LBB233_253
; %bb.244:
	flat_load_u8 v2, v[8:9]
	s_mov_b32 s11, exec_lo
                                        ; implicit-def: $vgpr11
	s_wait_loadcnt_dscnt 0x0
	v_lshlrev_b32_e32 v3, 23, v2
	v_cmp_ne_u32_e32 vcc_lo, 0xff, v2
	s_delay_alu instid0(VALU_DEP_2) | instskip(SKIP_1) | instid1(VALU_DEP_2)
	v_cndmask_b32_e32 v3, 0x7f800001, v3, vcc_lo
	v_cmp_ne_u32_e32 vcc_lo, 0, v2
	v_cndmask_b32_e32 v2, 0x400000, v3, vcc_lo
	s_wait_xcnt 0x0
	s_delay_alu instid0(VALU_DEP_1)
	v_cmpx_gt_u32_e32 0x47800000, v2
	s_xor_b32 s11, exec_lo, s11
	s_cbranch_execz .LBB233_250
; %bb.245:
	s_mov_b32 s12, exec_lo
                                        ; implicit-def: $vgpr11
	v_cmpx_lt_u32_e32 0x387fffff, v2
	s_xor_b32 s12, exec_lo, s12
; %bb.246:
	v_bfe_u32 v3, v2, 21, 1
	s_delay_alu instid0(VALU_DEP_1) | instskip(NEXT) | instid1(VALU_DEP_1)
	v_add3_u32 v2, v2, v3, 0x80fffff
	v_lshrrev_b32_e32 v11, 21, v2
                                        ; implicit-def: $vgpr2
; %bb.247:
	s_and_not1_saveexec_b32 s12, s12
; %bb.248:
	v_add_f32_e32 v11, 0x43000000, v2
; %bb.249:
	s_or_b32 exec_lo, exec_lo, s12
                                        ; implicit-def: $vgpr2
.LBB233_250:
	s_and_not1_saveexec_b32 s11, s11
; %bb.251:
	v_mov_b32_e32 v3, 0x7f
	v_cmp_lt_u32_e32 vcc_lo, 0x7f800000, v2
	s_delay_alu instid0(VALU_DEP_2)
	v_cndmask_b32_e32 v11, 0x7c, v3, vcc_lo
; %bb.252:
	s_or_b32 exec_lo, exec_lo, s11
	s_delay_alu instid0(SALU_CYCLE_1)
	s_or_b32 s12, s8, exec_lo
	s_xor_b32 s11, exec_lo, -1
.LBB233_253:
	s_or_b32 exec_lo, exec_lo, s10
	s_delay_alu instid0(SALU_CYCLE_1)
	s_and_not1_b32 s8, s8, exec_lo
	s_and_b32 s10, s12, exec_lo
	s_and_not1_b32 s7, s7, exec_lo
	s_and_b32 s11, s11, exec_lo
	s_or_b32 s8, s8, s10
	s_or_b32 s7, s7, s11
.LBB233_254:
	s_or_b32 exec_lo, exec_lo, s9
	s_delay_alu instid0(SALU_CYCLE_1)
	s_and_b32 s9, s8, exec_lo
	s_and_b32 s8, s7, exec_lo
.LBB233_255:
	s_and_not1_saveexec_b32 s6, s6
	s_cbranch_execz .LBB233_267
; %bb.256:
	s_mov_b32 s10, -1
	s_mov_b32 s11, s9
	s_mov_b32 s7, exec_lo
                                        ; implicit-def: $vgpr11
	v_cmpx_eq_u16_e32 29, v10
	s_cbranch_execz .LBB233_266
; %bb.257:
	flat_load_b64 v[2:3], v[8:9]
	s_mov_b32 s10, exec_lo
                                        ; implicit-def: $vgpr11
	s_wait_loadcnt_dscnt 0x0
	v_clz_i32_u32_e32 v4, v3
	s_delay_alu instid0(VALU_DEP_1) | instskip(NEXT) | instid1(VALU_DEP_1)
	v_min_u32_e32 v4, 32, v4
	v_lshlrev_b64_e32 v[2:3], v4, v[2:3]
	s_delay_alu instid0(VALU_DEP_1) | instskip(NEXT) | instid1(VALU_DEP_1)
	v_min_u32_e32 v2, 1, v2
	v_dual_sub_nc_u32 v3, 32, v4 :: v_dual_bitop2_b32 v2, v3, v2 bitop3:0x54
	s_delay_alu instid0(VALU_DEP_1) | instskip(NEXT) | instid1(VALU_DEP_1)
	v_cvt_f32_u32_e32 v2, v2
	v_ldexp_f32 v2, v2, v3
	s_wait_xcnt 0x0
	s_delay_alu instid0(VALU_DEP_1)
	v_cmpx_gt_u32_e32 0x47800000, v2
	s_xor_b32 s10, exec_lo, s10
	s_cbranch_execz .LBB233_263
; %bb.258:
	s_mov_b32 s11, exec_lo
                                        ; implicit-def: $vgpr11
	v_cmpx_lt_u32_e32 0x387fffff, v2
	s_xor_b32 s11, exec_lo, s11
; %bb.259:
	v_bfe_u32 v3, v2, 21, 1
	s_delay_alu instid0(VALU_DEP_1) | instskip(NEXT) | instid1(VALU_DEP_1)
	v_add3_u32 v2, v2, v3, 0x80fffff
	v_lshrrev_b32_e32 v11, 21, v2
                                        ; implicit-def: $vgpr2
; %bb.260:
	s_and_not1_saveexec_b32 s11, s11
; %bb.261:
	v_add_f32_e32 v11, 0x43000000, v2
; %bb.262:
	s_or_b32 exec_lo, exec_lo, s11
                                        ; implicit-def: $vgpr2
.LBB233_263:
	s_and_not1_saveexec_b32 s10, s10
; %bb.264:
	v_mov_b32_e32 v3, 0x7f
	v_cmp_lt_u32_e32 vcc_lo, 0x7f800000, v2
	s_delay_alu instid0(VALU_DEP_2)
	v_cndmask_b32_e32 v11, 0x7c, v3, vcc_lo
; %bb.265:
	s_or_b32 exec_lo, exec_lo, s10
	s_delay_alu instid0(SALU_CYCLE_1)
	s_or_b32 s11, s9, exec_lo
	s_xor_b32 s10, exec_lo, -1
.LBB233_266:
	s_or_b32 exec_lo, exec_lo, s7
	s_delay_alu instid0(SALU_CYCLE_1)
	s_and_not1_b32 s7, s9, exec_lo
	s_and_b32 s9, s11, exec_lo
	s_and_not1_b32 s8, s8, exec_lo
	s_and_b32 s10, s10, exec_lo
	s_or_b32 s9, s7, s9
	s_or_b32 s8, s8, s10
.LBB233_267:
	s_or_b32 exec_lo, exec_lo, s6
	s_delay_alu instid0(SALU_CYCLE_1)
	s_and_b32 s7, s9, exec_lo
	s_and_b32 s6, s8, exec_lo
.LBB233_268:
	s_and_not1_saveexec_b32 s5, s5
	s_cbranch_execz .LBB233_308
; %bb.269:
	s_mov_b32 s8, exec_lo
                                        ; implicit-def: $vgpr11
	v_cmpx_lt_i16_e32 26, v10
	s_xor_b32 s8, exec_lo, s8
	s_cbranch_execz .LBB233_291
; %bb.270:
	s_mov_b32 s9, exec_lo
                                        ; implicit-def: $vgpr11
	v_cmpx_lt_i16_e32 27, v10
	s_xor_b32 s9, exec_lo, s9
	s_cbranch_execz .LBB233_280
; %bb.271:
	flat_load_b32 v2, v[8:9]
	s_mov_b32 s10, exec_lo
                                        ; implicit-def: $vgpr11
	s_wait_loadcnt_dscnt 0x0
	v_cvt_f32_u32_e32 v2, v2
	s_wait_xcnt 0x0
	s_delay_alu instid0(VALU_DEP_1)
	v_cmpx_gt_u32_e32 0x47800000, v2
	s_xor_b32 s10, exec_lo, s10
	s_cbranch_execz .LBB233_277
; %bb.272:
	s_mov_b32 s11, exec_lo
                                        ; implicit-def: $vgpr11
	v_cmpx_lt_u32_e32 0x387fffff, v2
	s_xor_b32 s11, exec_lo, s11
; %bb.273:
	v_bfe_u32 v3, v2, 21, 1
	s_delay_alu instid0(VALU_DEP_1) | instskip(NEXT) | instid1(VALU_DEP_1)
	v_add3_u32 v2, v2, v3, 0x80fffff
	v_lshrrev_b32_e32 v11, 21, v2
                                        ; implicit-def: $vgpr2
; %bb.274:
	s_and_not1_saveexec_b32 s11, s11
; %bb.275:
	v_add_f32_e32 v11, 0x43000000, v2
; %bb.276:
	s_or_b32 exec_lo, exec_lo, s11
                                        ; implicit-def: $vgpr2
.LBB233_277:
	s_and_not1_saveexec_b32 s10, s10
; %bb.278:
	v_mov_b32_e32 v3, 0x7f
	v_cmp_lt_u32_e32 vcc_lo, 0x7f800000, v2
	s_delay_alu instid0(VALU_DEP_2)
	v_cndmask_b32_e32 v11, 0x7c, v3, vcc_lo
; %bb.279:
	s_or_b32 exec_lo, exec_lo, s10
.LBB233_280:
	s_and_not1_saveexec_b32 s9, s9
	s_cbranch_execz .LBB233_290
; %bb.281:
	flat_load_u16 v2, v[8:9]
	s_mov_b32 s10, exec_lo
                                        ; implicit-def: $vgpr11
	s_wait_loadcnt_dscnt 0x0
	v_cvt_f32_u32_e32 v2, v2
	s_wait_xcnt 0x0
	s_delay_alu instid0(VALU_DEP_1)
	v_cmpx_gt_u32_e32 0x47800000, v2
	s_xor_b32 s10, exec_lo, s10
	s_cbranch_execz .LBB233_287
; %bb.282:
	s_mov_b32 s11, exec_lo
                                        ; implicit-def: $vgpr11
	v_cmpx_lt_u32_e32 0x387fffff, v2
	s_xor_b32 s11, exec_lo, s11
; %bb.283:
	v_bfe_u32 v3, v2, 21, 1
	s_delay_alu instid0(VALU_DEP_1) | instskip(NEXT) | instid1(VALU_DEP_1)
	v_add3_u32 v2, v2, v3, 0x80fffff
	v_lshrrev_b32_e32 v11, 21, v2
                                        ; implicit-def: $vgpr2
; %bb.284:
	s_and_not1_saveexec_b32 s11, s11
; %bb.285:
	v_add_f32_e32 v11, 0x43000000, v2
; %bb.286:
	s_or_b32 exec_lo, exec_lo, s11
                                        ; implicit-def: $vgpr2
.LBB233_287:
	s_and_not1_saveexec_b32 s10, s10
; %bb.288:
	v_mov_b32_e32 v3, 0x7f
	v_cmp_lt_u32_e32 vcc_lo, 0x7f800000, v2
	s_delay_alu instid0(VALU_DEP_2)
	v_cndmask_b32_e32 v11, 0x7c, v3, vcc_lo
; %bb.289:
	s_or_b32 exec_lo, exec_lo, s10
.LBB233_290:
	s_delay_alu instid0(SALU_CYCLE_1)
	s_or_b32 exec_lo, exec_lo, s9
.LBB233_291:
	s_and_not1_saveexec_b32 s8, s8
	s_cbranch_execz .LBB233_307
; %bb.292:
	flat_load_u8 v3, v[8:9]
	s_mov_b32 s9, 0
	s_mov_b32 s10, exec_lo
	s_wait_loadcnt_dscnt 0x0
	v_cmpx_lt_i16_e32 0x7f, v3
	s_xor_b32 s10, exec_lo, s10
	s_cbranch_execz .LBB233_561
; %bb.293:
	s_mov_b32 s9, -1
	s_mov_b32 s11, exec_lo
	v_cmpx_eq_u16_e32 0x80, v3
; %bb.294:
	s_xor_b32 s9, exec_lo, -1
; %bb.295:
	s_or_b32 exec_lo, exec_lo, s11
	s_delay_alu instid0(SALU_CYCLE_1)
	s_and_b32 s9, s9, exec_lo
	s_or_saveexec_b32 s10, s10
	v_mov_b32_e32 v2, 0x7f800001
	s_xor_b32 exec_lo, exec_lo, s10
	s_cbranch_execnz .LBB233_562
.LBB233_296:
	s_or_b32 exec_lo, exec_lo, s10
	s_and_saveexec_b32 s10, s9
	s_cbranch_execz .LBB233_298
.LBB233_297:
	v_and_b32_e32 v2, 0xffff, v3
	s_delay_alu instid0(VALU_DEP_1) | instskip(SKIP_1) | instid1(VALU_DEP_2)
	v_and_b32_e32 v4, 7, v2
	v_bfe_u32 v7, v2, 3, 4
	v_clz_i32_u32_e32 v5, v4
	s_delay_alu instid0(VALU_DEP_2) | instskip(NEXT) | instid1(VALU_DEP_2)
	v_cmp_eq_u32_e32 vcc_lo, 0, v7
	v_min_u32_e32 v5, 32, v5
	s_delay_alu instid0(VALU_DEP_1) | instskip(NEXT) | instid1(VALU_DEP_1)
	v_subrev_nc_u32_e32 v6, 28, v5
	v_dual_lshlrev_b32 v2, v6, v2 :: v_dual_sub_nc_u32 v5, 29, v5
	s_delay_alu instid0(VALU_DEP_1) | instskip(NEXT) | instid1(VALU_DEP_1)
	v_dual_lshlrev_b32 v3, 24, v3 :: v_dual_bitop2_b32 v2, 7, v2 bitop3:0x40
	v_dual_cndmask_b32 v5, v7, v5 :: v_dual_cndmask_b32 v2, v4, v2
	s_delay_alu instid0(VALU_DEP_2) | instskip(NEXT) | instid1(VALU_DEP_2)
	v_and_b32_e32 v3, 0x80000000, v3
	v_lshl_add_u32 v4, v5, 23, 0x3b800000
	s_delay_alu instid0(VALU_DEP_3) | instskip(NEXT) | instid1(VALU_DEP_1)
	v_lshlrev_b32_e32 v2, 20, v2
	v_or3_b32 v2, v3, v4, v2
.LBB233_298:
	s_or_b32 exec_lo, exec_lo, s10
	s_delay_alu instid0(VALU_DEP_1) | instskip(SKIP_1) | instid1(VALU_DEP_1)
	v_and_b32_e32 v4, 0x7fffffff, v2
	s_mov_b32 s9, exec_lo
                                        ; implicit-def: $vgpr3
	v_cmpx_gt_u32_e32 0x47800000, v4
	s_xor_b32 s9, exec_lo, s9
	s_cbranch_execz .LBB233_304
; %bb.299:
	s_mov_b32 s10, exec_lo
                                        ; implicit-def: $vgpr3
	v_cmpx_lt_u32_e32 0x387fffff, v4
	s_xor_b32 s10, exec_lo, s10
; %bb.300:
	v_bfe_u32 v3, v2, 21, 1
	s_delay_alu instid0(VALU_DEP_1) | instskip(NEXT) | instid1(VALU_DEP_1)
	v_add3_u32 v3, v2, v3, 0x80fffff
	v_lshrrev_b32_e32 v3, 21, v3
; %bb.301:
	s_and_not1_saveexec_b32 s10, s10
; %bb.302:
	v_add_f32_e64 v3, 0x43000000, |v2|
; %bb.303:
	s_or_b32 exec_lo, exec_lo, s10
                                        ; implicit-def: $vgpr4
.LBB233_304:
	s_and_not1_saveexec_b32 s9, s9
; %bb.305:
	v_mov_b32_e32 v3, 0x7f
	v_cmp_lt_u32_e32 vcc_lo, 0x7f800000, v4
	s_delay_alu instid0(VALU_DEP_2)
	v_cndmask_b32_e32 v3, 0x7c, v3, vcc_lo
; %bb.306:
	s_or_b32 exec_lo, exec_lo, s9
	v_lshrrev_b32_e32 v2, 24, v2
	s_delay_alu instid0(VALU_DEP_1)
	v_and_or_b32 v11, 0x80, v2, v3
.LBB233_307:
	s_or_b32 exec_lo, exec_lo, s8
	s_delay_alu instid0(SALU_CYCLE_1)
	s_or_b32 s7, s7, exec_lo
.LBB233_308:
	s_or_b32 exec_lo, exec_lo, s5
	s_delay_alu instid0(SALU_CYCLE_1)
	s_and_b32 s5, s7, exec_lo
	s_and_b32 s6, s6, exec_lo
	s_and_not1_saveexec_b32 s4, s4
	s_cbranch_execnz .LBB233_509
.LBB233_309:
	s_or_b32 exec_lo, exec_lo, s4
	s_mov_b32 s7, s0
	s_and_saveexec_b32 s4, s6
	s_cbranch_execnz .LBB233_558
.LBB233_310:
	s_or_b32 exec_lo, exec_lo, s4
	s_delay_alu instid0(SALU_CYCLE_1)
	s_and_b32 s6, s5, exec_lo
	s_and_not1_b32 s5, s0, exec_lo
	s_and_b32 s7, s7, exec_lo
	s_xor_b32 s4, exec_lo, -1
	s_and_b32 s3, s3, exec_lo
	s_or_b32 s5, s5, s7
.LBB233_311:
	s_or_b32 exec_lo, exec_lo, s2
	s_delay_alu instid0(SALU_CYCLE_1)
	s_and_b32 s2, s6, exec_lo
	s_and_not1_b32 s0, s0, exec_lo
	s_and_b32 s6, s5, exec_lo
	s_and_b32 s4, s4, exec_lo
	;; [unrolled: 1-line block ×3, first 2 shown]
	s_or_b32 s0, s0, s6
	s_or_b32 exec_lo, exec_lo, s1
	s_and_saveexec_b32 s1, s0
	s_cbranch_execnz .LBB233_325
.LBB233_312:
	s_or_b32 exec_lo, exec_lo, s1
	s_and_saveexec_b32 s0, s5
	s_cbranch_execz .LBB233_326
.LBB233_313:
	flat_load_u8 v2, v[8:9]
	s_mov_b32 s1, exec_lo
                                        ; implicit-def: $vgpr11
	s_wait_loadcnt_dscnt 0x0
	v_cmp_ne_u16_e32 vcc_lo, 0, v2
	v_cndmask_b32_e64 v2, 0, 1.0, vcc_lo
	s_wait_xcnt 0x0
	s_delay_alu instid0(VALU_DEP_1)
	v_cmpx_gt_u32_e32 0x47800000, v2
	s_xor_b32 s1, exec_lo, s1
	s_cbranch_execz .LBB233_319
; %bb.314:
	s_mov_b32 s3, exec_lo
                                        ; implicit-def: $vgpr11
	v_cmpx_lt_u32_e32 0x387fffff, v2
	s_xor_b32 s3, exec_lo, s3
; %bb.315:
	v_bfe_u32 v3, v2, 21, 1
	s_delay_alu instid0(VALU_DEP_1) | instskip(NEXT) | instid1(VALU_DEP_1)
	v_add3_u32 v2, v2, v3, 0x80fffff
	v_lshrrev_b32_e32 v11, 21, v2
                                        ; implicit-def: $vgpr2
; %bb.316:
	s_and_not1_saveexec_b32 s3, s3
; %bb.317:
	v_add_f32_e32 v11, 0x43000000, v2
; %bb.318:
	s_or_b32 exec_lo, exec_lo, s3
                                        ; implicit-def: $vgpr2
.LBB233_319:
	s_and_not1_saveexec_b32 s1, s1
; %bb.320:
	v_mov_b32_e32 v3, 0x7f
	v_cmp_lt_u32_e32 vcc_lo, 0x7f800000, v2
	s_delay_alu instid0(VALU_DEP_2)
	v_cndmask_b32_e32 v11, 0x7c, v3, vcc_lo
; %bb.321:
	s_or_b32 exec_lo, exec_lo, s1
	s_delay_alu instid0(SALU_CYCLE_1)
	s_or_b32 s2, s2, exec_lo
	s_or_b32 exec_lo, exec_lo, s0
	s_and_saveexec_b32 s0, s4
	s_cbranch_execnz .LBB233_327
.LBB233_322:
	s_or_b32 exec_lo, exec_lo, s0
                                        ; implicit-def: $sgpr1
	s_and_saveexec_b32 s0, s2
	s_cbranch_execz .LBB233_456
.LBB233_323:
	s_wait_loadcnt_dscnt 0x0
	v_perm_b32 v2, v11, v1, 0x5040100
	v_dual_lshlrev_b32 v7, 25, v11 :: v_dual_lshlrev_b32 v1, 25, v1
	s_movk_i32 s1, 0x7f00
	s_mov_b32 s2, 0x7800000
	s_delay_alu instid0(VALU_DEP_2) | instskip(NEXT) | instid1(VALU_DEP_2)
	v_pk_lshlrev_b16 v6, 8, v2 op_sel_hi:[0,1]
	v_dual_lshrrev_b32 v3, 4, v7 :: v_dual_lshrrev_b32 v4, 4, v1
	v_cmp_gt_u32_e32 vcc_lo, 0x8000000, v7
	s_delay_alu instid0(VALU_DEP_3) | instskip(SKIP_1) | instid1(VALU_DEP_4)
	v_and_b32_e32 v2, 0x7f007f00, v6
	v_bitop3_b32 v5, v6, s1, 0x7f007f00 bitop3:0x80
	v_or_b32_e32 v3, 0x70000000, v3
	s_delay_alu instid0(VALU_DEP_3) | instskip(SKIP_1) | instid1(VALU_DEP_4)
	v_lshrrev_b32_e32 v8, 16, v2
	v_or_b32_e32 v2, 0x70000000, v4
	v_or_b32_e32 v4, 0.5, v5
	s_delay_alu instid0(VALU_DEP_3) | instskip(NEXT) | instid1(VALU_DEP_3)
	v_dual_ashrrev_i32 v8, 16, v6 :: v_dual_bitop2_b32 v5, 0.5, v8 bitop3:0x54
	v_pk_mul_f32 v[2:3], v[2:3], s[2:3] op_sel_hi:[1,0]
	v_bfe_i32 v6, v6, 0, 16
	s_delay_alu instid0(VALU_DEP_3) | instskip(NEXT) | instid1(VALU_DEP_4)
	v_pk_add_f32 v[4:5], v[4:5], -0.5 op_sel_hi:[1,0]
	v_and_b32_e32 v8, 0x80000000, v8
	s_delay_alu instid0(VALU_DEP_3) | instskip(NEXT) | instid1(VALU_DEP_3)
	v_and_b32_e32 v6, 0x80000000, v6
	v_cndmask_b32_e32 v3, v3, v5, vcc_lo
	v_cmp_gt_u32_e32 vcc_lo, 0x8000000, v1
	s_delay_alu instid0(VALU_DEP_2) | instskip(NEXT) | instid1(VALU_DEP_1)
	v_dual_cndmask_b32 v1, v2, v4, vcc_lo :: v_dual_bitop2_b32 v2, v8, v3 bitop3:0x54
	v_or_b32_e32 v1, v6, v1
	s_delay_alu instid0(VALU_DEP_1) | instskip(SKIP_4) | instid1(VALU_DEP_2)
	v_cmp_eq_f32_e32 vcc_lo, v1, v2
	v_cndmask_b32_e64 v3, 0, 1, vcc_lo
	v_cmp_neq_f32_e32 vcc_lo, v1, v2
	v_cndmask_b32_e64 v1, 0, 1, vcc_lo
	v_cmp_eq_u32_e32 vcc_lo, 0, v0
	v_cndmask_b32_e32 v0, v1, v3, vcc_lo
	s_delay_alu instid0(VALU_DEP_1) | instskip(NEXT) | instid1(VALU_DEP_1)
	v_and_b32_e32 v0, 1, v0
	v_cmp_eq_u32_e64 s1, 1, v0
	s_or_b32 exec_lo, exec_lo, s0
	v_cndmask_b32_e64 v0, 0, 1, s1
	s_set_pc_i64 s[30:31]
.LBB233_324:
	s_or_b32 exec_lo, exec_lo, s1
	s_and_saveexec_b32 s1, s0
	s_cbranch_execz .LBB233_312
.LBB233_325:
	; divergent unreachable
	s_or_b32 exec_lo, exec_lo, s1
	s_and_saveexec_b32 s0, s5
	s_cbranch_execnz .LBB233_313
.LBB233_326:
	s_or_b32 exec_lo, exec_lo, s0
	s_and_saveexec_b32 s0, s4
	s_cbranch_execz .LBB233_322
.LBB233_327:
	s_mov_b32 s1, exec_lo
                                        ; implicit-def: $vgpr11
	v_cmpx_lt_i16_e32 4, v10
	s_xor_b32 s1, exec_lo, s1
	s_cbranch_execz .LBB233_397
; %bb.328:
	s_mov_b32 s3, exec_lo
                                        ; implicit-def: $vgpr11
	v_cmpx_lt_i16_e32 7, v10
	s_xor_b32 s3, exec_lo, s3
	s_cbranch_execz .LBB233_362
; %bb.329:
	;; [unrolled: 6-line block ×4, first 2 shown]
	flat_load_b64 v[2:3], v[8:9]
	s_mov_b32 s6, exec_lo
	s_wait_loadcnt_dscnt 0x0
	v_cvt_f32_f64_e32 v2, v[2:3]
                                        ; implicit-def: $vgpr3
	s_delay_alu instid0(VALU_DEP_1) | instskip(SKIP_1) | instid1(VALU_DEP_1)
	v_and_b32_e32 v4, 0x7fffffff, v2
	s_wait_xcnt 0x0
	v_cmpx_gt_u32_e32 0x47800000, v4
	s_xor_b32 s6, exec_lo, s6
	s_cbranch_execz .LBB233_337
; %bb.332:
	s_mov_b32 s7, exec_lo
                                        ; implicit-def: $vgpr3
	v_cmpx_lt_u32_e32 0x387fffff, v4
	s_xor_b32 s7, exec_lo, s7
; %bb.333:
	v_bfe_u32 v3, v2, 21, 1
	s_delay_alu instid0(VALU_DEP_1) | instskip(NEXT) | instid1(VALU_DEP_1)
	v_add3_u32 v3, v2, v3, 0x80fffff
	v_lshrrev_b32_e32 v3, 21, v3
; %bb.334:
	s_and_not1_saveexec_b32 s7, s7
; %bb.335:
	v_add_f32_e64 v3, 0x43000000, |v2|
; %bb.336:
	s_or_b32 exec_lo, exec_lo, s7
                                        ; implicit-def: $vgpr4
.LBB233_337:
	s_and_not1_saveexec_b32 s6, s6
; %bb.338:
	v_mov_b32_e32 v3, 0x7f
	v_cmp_lt_u32_e32 vcc_lo, 0x7f800000, v4
	s_delay_alu instid0(VALU_DEP_2)
	v_cndmask_b32_e32 v3, 0x7c, v3, vcc_lo
; %bb.339:
	s_or_b32 exec_lo, exec_lo, s6
	v_lshrrev_b32_e32 v2, 24, v2
                                        ; implicit-def: $vgpr8_vgpr9
	s_delay_alu instid0(VALU_DEP_1)
	v_and_or_b32 v11, 0x80, v2, v3
.LBB233_340:
	s_and_not1_saveexec_b32 s5, s5
	s_cbranch_execz .LBB233_350
; %bb.341:
	flat_load_b32 v2, v[8:9]
	s_mov_b32 s6, exec_lo
                                        ; implicit-def: $vgpr3
	s_wait_loadcnt_dscnt 0x0
	v_and_b32_e32 v4, 0x7fffffff, v2
	s_wait_xcnt 0x0
	s_delay_alu instid0(VALU_DEP_1)
	v_cmpx_gt_u32_e32 0x47800000, v4
	s_xor_b32 s6, exec_lo, s6
	s_cbranch_execz .LBB233_347
; %bb.342:
	s_mov_b32 s7, exec_lo
                                        ; implicit-def: $vgpr3
	v_cmpx_lt_u32_e32 0x387fffff, v4
	s_xor_b32 s7, exec_lo, s7
; %bb.343:
	v_bfe_u32 v3, v2, 21, 1
	s_delay_alu instid0(VALU_DEP_1) | instskip(NEXT) | instid1(VALU_DEP_1)
	v_add3_u32 v3, v2, v3, 0x80fffff
	v_lshrrev_b32_e32 v3, 21, v3
; %bb.344:
	s_and_not1_saveexec_b32 s7, s7
; %bb.345:
	v_add_f32_e64 v3, 0x43000000, |v2|
; %bb.346:
	s_or_b32 exec_lo, exec_lo, s7
                                        ; implicit-def: $vgpr4
.LBB233_347:
	s_and_not1_saveexec_b32 s6, s6
; %bb.348:
	v_mov_b32_e32 v3, 0x7f
	v_cmp_lt_u32_e32 vcc_lo, 0x7f800000, v4
	s_delay_alu instid0(VALU_DEP_2)
	v_cndmask_b32_e32 v3, 0x7c, v3, vcc_lo
; %bb.349:
	s_or_b32 exec_lo, exec_lo, s6
	v_lshrrev_b32_e32 v2, 24, v2
	s_delay_alu instid0(VALU_DEP_1)
	v_and_or_b32 v11, 0x80, v2, v3
.LBB233_350:
	s_or_b32 exec_lo, exec_lo, s5
                                        ; implicit-def: $vgpr8_vgpr9
.LBB233_351:
	s_and_not1_saveexec_b32 s4, s4
	s_cbranch_execz .LBB233_361
; %bb.352:
	flat_load_b32 v2, v[8:9]
	s_mov_b32 s5, exec_lo
                                        ; implicit-def: $vgpr3
	s_wait_loadcnt_dscnt 0x0
	v_cvt_f32_f16_e32 v2, v2
	s_delay_alu instid0(VALU_DEP_1) | instskip(SKIP_1) | instid1(VALU_DEP_1)
	v_and_b32_e32 v4, 0x7fffffff, v2
	s_wait_xcnt 0x0
	v_cmpx_gt_u32_e32 0x47800000, v4
	s_xor_b32 s5, exec_lo, s5
	s_cbranch_execz .LBB233_358
; %bb.353:
	s_mov_b32 s6, exec_lo
                                        ; implicit-def: $vgpr3
	v_cmpx_lt_u32_e32 0x387fffff, v4
	s_xor_b32 s6, exec_lo, s6
; %bb.354:
	v_bfe_u32 v3, v2, 21, 1
	s_delay_alu instid0(VALU_DEP_1) | instskip(NEXT) | instid1(VALU_DEP_1)
	v_add3_u32 v3, v2, v3, 0x80fffff
	v_lshrrev_b32_e32 v3, 21, v3
; %bb.355:
	s_and_not1_saveexec_b32 s6, s6
; %bb.356:
	v_add_f32_e64 v3, 0x43000000, |v2|
; %bb.357:
	s_or_b32 exec_lo, exec_lo, s6
                                        ; implicit-def: $vgpr4
.LBB233_358:
	s_and_not1_saveexec_b32 s5, s5
; %bb.359:
	v_mov_b32_e32 v3, 0x7f
	v_cmp_lt_u32_e32 vcc_lo, 0x7f800000, v4
	s_delay_alu instid0(VALU_DEP_2)
	v_cndmask_b32_e32 v3, 0x7c, v3, vcc_lo
; %bb.360:
	s_or_b32 exec_lo, exec_lo, s5
	v_lshrrev_b32_e32 v2, 24, v2
	s_delay_alu instid0(VALU_DEP_1)
	v_and_or_b32 v11, 0x80, v2, v3
.LBB233_361:
	s_or_b32 exec_lo, exec_lo, s4
                                        ; implicit-def: $vgpr8_vgpr9
.LBB233_362:
	s_and_not1_saveexec_b32 s3, s3
	s_cbranch_execz .LBB233_396
; %bb.363:
	s_mov_b32 s4, exec_lo
                                        ; implicit-def: $vgpr11
	v_cmpx_lt_i16_e32 5, v10
	s_xor_b32 s4, exec_lo, s4
	s_cbranch_execz .LBB233_385
; %bb.364:
	s_mov_b32 s5, exec_lo
                                        ; implicit-def: $vgpr11
	v_cmpx_lt_i16_e32 6, v10
	s_xor_b32 s5, exec_lo, s5
	s_cbranch_execz .LBB233_374
; %bb.365:
	flat_load_b64 v[2:3], v[8:9]
	s_mov_b32 s6, exec_lo
	s_wait_loadcnt_dscnt 0x0
	v_cvt_f32_f64_e32 v2, v[2:3]
                                        ; implicit-def: $vgpr3
	s_delay_alu instid0(VALU_DEP_1) | instskip(SKIP_1) | instid1(VALU_DEP_1)
	v_and_b32_e32 v4, 0x7fffffff, v2
	s_wait_xcnt 0x0
	v_cmpx_gt_u32_e32 0x47800000, v4
	s_xor_b32 s6, exec_lo, s6
	s_cbranch_execz .LBB233_371
; %bb.366:
	s_mov_b32 s7, exec_lo
                                        ; implicit-def: $vgpr3
	v_cmpx_lt_u32_e32 0x387fffff, v4
	s_xor_b32 s7, exec_lo, s7
; %bb.367:
	v_bfe_u32 v3, v2, 21, 1
	s_delay_alu instid0(VALU_DEP_1) | instskip(NEXT) | instid1(VALU_DEP_1)
	v_add3_u32 v3, v2, v3, 0x80fffff
	v_lshrrev_b32_e32 v3, 21, v3
; %bb.368:
	s_and_not1_saveexec_b32 s7, s7
; %bb.369:
	v_add_f32_e64 v3, 0x43000000, |v2|
; %bb.370:
	s_or_b32 exec_lo, exec_lo, s7
                                        ; implicit-def: $vgpr4
.LBB233_371:
	s_and_not1_saveexec_b32 s6, s6
; %bb.372:
	v_mov_b32_e32 v3, 0x7f
	v_cmp_lt_u32_e32 vcc_lo, 0x7f800000, v4
	s_delay_alu instid0(VALU_DEP_2)
	v_cndmask_b32_e32 v3, 0x7c, v3, vcc_lo
; %bb.373:
	s_or_b32 exec_lo, exec_lo, s6
	v_lshrrev_b32_e32 v2, 24, v2
                                        ; implicit-def: $vgpr8_vgpr9
	s_delay_alu instid0(VALU_DEP_1)
	v_and_or_b32 v11, 0x80, v2, v3
.LBB233_374:
	s_and_not1_saveexec_b32 s5, s5
	s_cbranch_execz .LBB233_384
; %bb.375:
	flat_load_b32 v2, v[8:9]
	s_mov_b32 s6, exec_lo
                                        ; implicit-def: $vgpr3
	s_wait_loadcnt_dscnt 0x0
	v_and_b32_e32 v4, 0x7fffffff, v2
	s_wait_xcnt 0x0
	s_delay_alu instid0(VALU_DEP_1)
	v_cmpx_gt_u32_e32 0x47800000, v4
	s_xor_b32 s6, exec_lo, s6
	s_cbranch_execz .LBB233_381
; %bb.376:
	s_mov_b32 s7, exec_lo
                                        ; implicit-def: $vgpr3
	v_cmpx_lt_u32_e32 0x387fffff, v4
	s_xor_b32 s7, exec_lo, s7
; %bb.377:
	v_bfe_u32 v3, v2, 21, 1
	s_delay_alu instid0(VALU_DEP_1) | instskip(NEXT) | instid1(VALU_DEP_1)
	v_add3_u32 v3, v2, v3, 0x80fffff
	v_lshrrev_b32_e32 v3, 21, v3
; %bb.378:
	s_and_not1_saveexec_b32 s7, s7
; %bb.379:
	v_add_f32_e64 v3, 0x43000000, |v2|
; %bb.380:
	s_or_b32 exec_lo, exec_lo, s7
                                        ; implicit-def: $vgpr4
.LBB233_381:
	s_and_not1_saveexec_b32 s6, s6
; %bb.382:
	v_mov_b32_e32 v3, 0x7f
	v_cmp_lt_u32_e32 vcc_lo, 0x7f800000, v4
	s_delay_alu instid0(VALU_DEP_2)
	v_cndmask_b32_e32 v3, 0x7c, v3, vcc_lo
; %bb.383:
	s_or_b32 exec_lo, exec_lo, s6
	v_lshrrev_b32_e32 v2, 24, v2
	s_delay_alu instid0(VALU_DEP_1)
	v_and_or_b32 v11, 0x80, v2, v3
.LBB233_384:
	s_or_b32 exec_lo, exec_lo, s5
                                        ; implicit-def: $vgpr8_vgpr9
.LBB233_385:
	s_and_not1_saveexec_b32 s4, s4
	s_cbranch_execz .LBB233_395
; %bb.386:
	flat_load_u16 v2, v[8:9]
	s_mov_b32 s5, exec_lo
                                        ; implicit-def: $vgpr3
	s_wait_loadcnt_dscnt 0x0
	v_cvt_f32_f16_e32 v2, v2
	s_delay_alu instid0(VALU_DEP_1) | instskip(SKIP_1) | instid1(VALU_DEP_1)
	v_and_b32_e32 v4, 0x7fffffff, v2
	s_wait_xcnt 0x0
	v_cmpx_gt_u32_e32 0x47800000, v4
	s_xor_b32 s5, exec_lo, s5
	s_cbranch_execz .LBB233_392
; %bb.387:
	s_mov_b32 s6, exec_lo
                                        ; implicit-def: $vgpr3
	v_cmpx_lt_u32_e32 0x387fffff, v4
	s_xor_b32 s6, exec_lo, s6
; %bb.388:
	v_bfe_u32 v3, v2, 21, 1
	s_delay_alu instid0(VALU_DEP_1) | instskip(NEXT) | instid1(VALU_DEP_1)
	v_add3_u32 v3, v2, v3, 0x80fffff
	v_lshrrev_b32_e32 v3, 21, v3
; %bb.389:
	s_and_not1_saveexec_b32 s6, s6
; %bb.390:
	v_add_f32_e64 v3, 0x43000000, |v2|
; %bb.391:
	s_or_b32 exec_lo, exec_lo, s6
                                        ; implicit-def: $vgpr4
.LBB233_392:
	s_and_not1_saveexec_b32 s5, s5
; %bb.393:
	v_mov_b32_e32 v3, 0x7f
	v_cmp_lt_u32_e32 vcc_lo, 0x7f800000, v4
	s_delay_alu instid0(VALU_DEP_2)
	v_cndmask_b32_e32 v3, 0x7c, v3, vcc_lo
; %bb.394:
	s_or_b32 exec_lo, exec_lo, s5
	v_lshrrev_b32_e32 v2, 24, v2
	s_delay_alu instid0(VALU_DEP_1)
	v_and_or_b32 v11, 0x80, v2, v3
.LBB233_395:
	s_or_b32 exec_lo, exec_lo, s4
.LBB233_396:
	s_delay_alu instid0(SALU_CYCLE_1)
	s_or_b32 exec_lo, exec_lo, s3
                                        ; implicit-def: $vgpr8_vgpr9
.LBB233_397:
	s_and_not1_saveexec_b32 s1, s1
	s_cbranch_execz .LBB233_455
; %bb.398:
	s_mov_b32 s3, exec_lo
                                        ; implicit-def: $vgpr11
	v_cmpx_lt_i16_e32 1, v10
	s_xor_b32 s3, exec_lo, s3
	s_cbranch_execz .LBB233_432
; %bb.399:
	s_mov_b32 s4, exec_lo
                                        ; implicit-def: $vgpr11
	v_cmpx_lt_i16_e32 2, v10
	s_xor_b32 s4, exec_lo, s4
	;; [unrolled: 6-line block ×3, first 2 shown]
	s_cbranch_execz .LBB233_410
; %bb.401:
	flat_load_b64 v[2:3], v[8:9]
	s_mov_b32 s6, exec_lo
	s_wait_loadcnt_dscnt 0x0
	v_xor_b32_e32 v4, v2, v3
	v_cls_i32_e32 v5, v3
	s_delay_alu instid0(VALU_DEP_2) | instskip(NEXT) | instid1(VALU_DEP_1)
	v_ashrrev_i32_e32 v4, 31, v4
	v_add_nc_u32_e32 v4, 32, v4
	s_delay_alu instid0(VALU_DEP_1) | instskip(NEXT) | instid1(VALU_DEP_1)
	v_add_min_u32_e64 v4, v5, -1, v4
	v_lshlrev_b64_e32 v[2:3], v4, v[2:3]
	s_delay_alu instid0(VALU_DEP_1) | instskip(NEXT) | instid1(VALU_DEP_1)
	v_min_u32_e32 v2, 1, v2
	v_dual_sub_nc_u32 v3, 32, v4 :: v_dual_bitop2_b32 v2, v3, v2 bitop3:0x54
	s_delay_alu instid0(VALU_DEP_1) | instskip(NEXT) | instid1(VALU_DEP_1)
	v_cvt_f32_i32_e32 v2, v2
	v_ldexp_f32 v2, v2, v3
                                        ; implicit-def: $vgpr3
	s_delay_alu instid0(VALU_DEP_1) | instskip(SKIP_1) | instid1(VALU_DEP_1)
	v_and_b32_e32 v4, 0x7fffffff, v2
	s_wait_xcnt 0x0
	v_cmpx_gt_u32_e32 0x47800000, v4
	s_xor_b32 s6, exec_lo, s6
	s_cbranch_execz .LBB233_407
; %bb.402:
	s_mov_b32 s7, exec_lo
                                        ; implicit-def: $vgpr3
	v_cmpx_lt_u32_e32 0x387fffff, v4
	s_xor_b32 s7, exec_lo, s7
; %bb.403:
	v_bfe_u32 v3, v2, 21, 1
	s_delay_alu instid0(VALU_DEP_1) | instskip(NEXT) | instid1(VALU_DEP_1)
	v_add3_u32 v3, v2, v3, 0x80fffff
	v_lshrrev_b32_e32 v3, 21, v3
; %bb.404:
	s_and_not1_saveexec_b32 s7, s7
; %bb.405:
	v_add_f32_e64 v3, 0x43000000, |v2|
; %bb.406:
	s_or_b32 exec_lo, exec_lo, s7
                                        ; implicit-def: $vgpr4
.LBB233_407:
	s_and_not1_saveexec_b32 s6, s6
; %bb.408:
	v_mov_b32_e32 v3, 0x7f
	v_cmp_lt_u32_e32 vcc_lo, 0x7f800000, v4
	s_delay_alu instid0(VALU_DEP_2)
	v_cndmask_b32_e32 v3, 0x7c, v3, vcc_lo
; %bb.409:
	s_or_b32 exec_lo, exec_lo, s6
	v_lshrrev_b32_e32 v2, 24, v2
                                        ; implicit-def: $vgpr8_vgpr9
	s_delay_alu instid0(VALU_DEP_1)
	v_and_or_b32 v11, 0x80, v2, v3
.LBB233_410:
	s_and_not1_saveexec_b32 s5, s5
	s_cbranch_execz .LBB233_420
; %bb.411:
	flat_load_b32 v2, v[8:9]
	s_mov_b32 s6, exec_lo
                                        ; implicit-def: $vgpr3
	s_wait_loadcnt_dscnt 0x0
	v_cvt_f32_i32_e32 v2, v2
	s_delay_alu instid0(VALU_DEP_1) | instskip(SKIP_1) | instid1(VALU_DEP_1)
	v_and_b32_e32 v4, 0x7fffffff, v2
	s_wait_xcnt 0x0
	v_cmpx_gt_u32_e32 0x47800000, v4
	s_xor_b32 s6, exec_lo, s6
	s_cbranch_execz .LBB233_417
; %bb.412:
	s_mov_b32 s7, exec_lo
                                        ; implicit-def: $vgpr3
	v_cmpx_lt_u32_e32 0x387fffff, v4
	s_xor_b32 s7, exec_lo, s7
; %bb.413:
	v_bfe_u32 v3, v2, 21, 1
	s_delay_alu instid0(VALU_DEP_1) | instskip(NEXT) | instid1(VALU_DEP_1)
	v_add3_u32 v3, v2, v3, 0x80fffff
	v_lshrrev_b32_e32 v3, 21, v3
; %bb.414:
	s_and_not1_saveexec_b32 s7, s7
; %bb.415:
	v_add_f32_e64 v3, 0x43000000, |v2|
; %bb.416:
	s_or_b32 exec_lo, exec_lo, s7
                                        ; implicit-def: $vgpr4
.LBB233_417:
	s_and_not1_saveexec_b32 s6, s6
; %bb.418:
	v_mov_b32_e32 v3, 0x7f
	v_cmp_lt_u32_e32 vcc_lo, 0x7f800000, v4
	s_delay_alu instid0(VALU_DEP_2)
	v_cndmask_b32_e32 v3, 0x7c, v3, vcc_lo
; %bb.419:
	s_or_b32 exec_lo, exec_lo, s6
	v_lshrrev_b32_e32 v2, 24, v2
	s_delay_alu instid0(VALU_DEP_1)
	v_and_or_b32 v11, 0x80, v2, v3
.LBB233_420:
	s_or_b32 exec_lo, exec_lo, s5
                                        ; implicit-def: $vgpr8_vgpr9
.LBB233_421:
	s_and_not1_saveexec_b32 s4, s4
	s_cbranch_execz .LBB233_431
; %bb.422:
	flat_load_i16 v2, v[8:9]
	s_mov_b32 s5, exec_lo
                                        ; implicit-def: $vgpr3
	s_wait_loadcnt_dscnt 0x0
	v_cvt_f32_i32_e32 v2, v2
	s_delay_alu instid0(VALU_DEP_1) | instskip(SKIP_1) | instid1(VALU_DEP_1)
	v_and_b32_e32 v4, 0x7fffffff, v2
	s_wait_xcnt 0x0
	v_cmpx_gt_u32_e32 0x47800000, v4
	s_xor_b32 s5, exec_lo, s5
	s_cbranch_execz .LBB233_428
; %bb.423:
	s_mov_b32 s6, exec_lo
                                        ; implicit-def: $vgpr3
	v_cmpx_lt_u32_e32 0x387fffff, v4
	s_xor_b32 s6, exec_lo, s6
; %bb.424:
	v_bfe_u32 v3, v2, 21, 1
	s_delay_alu instid0(VALU_DEP_1) | instskip(NEXT) | instid1(VALU_DEP_1)
	v_add3_u32 v3, v2, v3, 0x80fffff
	v_lshrrev_b32_e32 v3, 21, v3
; %bb.425:
	s_and_not1_saveexec_b32 s6, s6
; %bb.426:
	v_add_f32_e64 v3, 0x43000000, |v2|
; %bb.427:
	s_or_b32 exec_lo, exec_lo, s6
                                        ; implicit-def: $vgpr4
.LBB233_428:
	s_and_not1_saveexec_b32 s5, s5
; %bb.429:
	v_mov_b32_e32 v3, 0x7f
	v_cmp_lt_u32_e32 vcc_lo, 0x7f800000, v4
	s_delay_alu instid0(VALU_DEP_2)
	v_cndmask_b32_e32 v3, 0x7c, v3, vcc_lo
; %bb.430:
	s_or_b32 exec_lo, exec_lo, s5
	v_lshrrev_b32_e32 v2, 24, v2
	s_delay_alu instid0(VALU_DEP_1)
	v_and_or_b32 v11, 0x80, v2, v3
.LBB233_431:
	s_or_b32 exec_lo, exec_lo, s4
                                        ; implicit-def: $vgpr8_vgpr9
.LBB233_432:
	s_and_not1_saveexec_b32 s3, s3
	s_cbranch_execz .LBB233_454
; %bb.433:
	s_mov_b32 s4, exec_lo
                                        ; implicit-def: $vgpr11
	v_cmpx_lt_i16_e32 0, v10
	s_xor_b32 s4, exec_lo, s4
	s_cbranch_execz .LBB233_443
; %bb.434:
	flat_load_i8 v2, v[8:9]
	s_mov_b32 s5, exec_lo
                                        ; implicit-def: $vgpr3
	s_wait_loadcnt_dscnt 0x0
	v_cvt_f32_i32_e32 v2, v2
	s_delay_alu instid0(VALU_DEP_1) | instskip(SKIP_1) | instid1(VALU_DEP_1)
	v_and_b32_e32 v4, 0x7fffffff, v2
	s_wait_xcnt 0x0
	v_cmpx_gt_u32_e32 0x47800000, v4
	s_xor_b32 s5, exec_lo, s5
	s_cbranch_execz .LBB233_440
; %bb.435:
	s_mov_b32 s6, exec_lo
                                        ; implicit-def: $vgpr3
	v_cmpx_lt_u32_e32 0x387fffff, v4
	s_xor_b32 s6, exec_lo, s6
; %bb.436:
	v_bfe_u32 v3, v2, 21, 1
	s_delay_alu instid0(VALU_DEP_1) | instskip(NEXT) | instid1(VALU_DEP_1)
	v_add3_u32 v3, v2, v3, 0x80fffff
	v_lshrrev_b32_e32 v3, 21, v3
; %bb.437:
	s_and_not1_saveexec_b32 s6, s6
; %bb.438:
	v_add_f32_e64 v3, 0x43000000, |v2|
; %bb.439:
	s_or_b32 exec_lo, exec_lo, s6
                                        ; implicit-def: $vgpr4
.LBB233_440:
	s_and_not1_saveexec_b32 s5, s5
; %bb.441:
	v_mov_b32_e32 v3, 0x7f
	v_cmp_lt_u32_e32 vcc_lo, 0x7f800000, v4
	s_delay_alu instid0(VALU_DEP_2)
	v_cndmask_b32_e32 v3, 0x7c, v3, vcc_lo
; %bb.442:
	s_or_b32 exec_lo, exec_lo, s5
	v_lshrrev_b32_e32 v2, 24, v2
                                        ; implicit-def: $vgpr8_vgpr9
	s_delay_alu instid0(VALU_DEP_1)
	v_and_or_b32 v11, 0x80, v2, v3
.LBB233_443:
	s_and_not1_saveexec_b32 s4, s4
	s_cbranch_execz .LBB233_453
; %bb.444:
	flat_load_u8 v2, v[8:9]
	s_mov_b32 s5, exec_lo
                                        ; implicit-def: $vgpr11
	s_wait_loadcnt_dscnt 0x0
	v_cvt_f32_ubyte0_e32 v2, v2
	s_wait_xcnt 0x0
	s_delay_alu instid0(VALU_DEP_1)
	v_cmpx_gt_u32_e32 0x47800000, v2
	s_xor_b32 s5, exec_lo, s5
	s_cbranch_execz .LBB233_450
; %bb.445:
	s_mov_b32 s6, exec_lo
                                        ; implicit-def: $vgpr11
	v_cmpx_lt_u32_e32 0x387fffff, v2
	s_xor_b32 s6, exec_lo, s6
; %bb.446:
	v_bfe_u32 v3, v2, 21, 1
	s_delay_alu instid0(VALU_DEP_1) | instskip(NEXT) | instid1(VALU_DEP_1)
	v_add3_u32 v2, v2, v3, 0x80fffff
	v_lshrrev_b32_e32 v11, 21, v2
                                        ; implicit-def: $vgpr2
; %bb.447:
	s_and_not1_saveexec_b32 s6, s6
; %bb.448:
	v_add_f32_e32 v11, 0x43000000, v2
; %bb.449:
	s_or_b32 exec_lo, exec_lo, s6
                                        ; implicit-def: $vgpr2
.LBB233_450:
	s_and_not1_saveexec_b32 s5, s5
; %bb.451:
	v_mov_b32_e32 v3, 0x7f
	v_cmp_lt_u32_e32 vcc_lo, 0x7f800000, v2
	s_delay_alu instid0(VALU_DEP_2)
	v_cndmask_b32_e32 v11, 0x7c, v3, vcc_lo
; %bb.452:
	s_or_b32 exec_lo, exec_lo, s5
.LBB233_453:
	s_delay_alu instid0(SALU_CYCLE_1)
	s_or_b32 exec_lo, exec_lo, s4
.LBB233_454:
	s_delay_alu instid0(SALU_CYCLE_1)
	s_or_b32 exec_lo, exec_lo, s3
.LBB233_455:
	s_delay_alu instid0(SALU_CYCLE_1) | instskip(NEXT) | instid1(SALU_CYCLE_1)
	s_or_b32 exec_lo, exec_lo, s1
	s_or_b32 s2, s2, exec_lo
	s_or_b32 exec_lo, exec_lo, s0
                                        ; implicit-def: $sgpr1
	s_and_saveexec_b32 s0, s2
	s_cbranch_execnz .LBB233_323
.LBB233_456:
	s_or_b32 exec_lo, exec_lo, s0
	v_cndmask_b32_e64 v0, 0, 1, s1
	s_wait_loadcnt_dscnt 0x0
	s_set_pc_i64 s[30:31]
.LBB233_457:
	s_and_not1_saveexec_b32 s2, s2
	s_cbranch_execz .LBB233_83
.LBB233_458:
	s_mov_b32 s5, s3
	s_mov_b32 s0, exec_lo
                                        ; implicit-def: $vgpr1
	v_cmpx_lt_i16_e32 22, v10
	s_xor_b32 s0, exec_lo, s0
	s_cbranch_execz .LBB233_490
; %bb.459:
	s_mov_b32 s5, exec_lo
                                        ; implicit-def: $vgpr1
	v_cmpx_lt_i16_e32 23, v10
	s_xor_b32 s5, exec_lo, s5
	s_cbranch_execz .LBB233_487
; %bb.460:
	s_mov_b32 s6, exec_lo
                                        ; implicit-def: $vgpr1
	v_cmpx_lt_i16_e32 24, v10
	s_xor_b32 s6, exec_lo, s6
	s_cbranch_execz .LBB233_476
; %bb.461:
	flat_load_u8 v10, v[8:9]
	s_mov_b32 s7, 0
	s_mov_b32 s8, exec_lo
	s_wait_loadcnt_dscnt 0x0
	v_cmpx_lt_i16_e32 0x7f, v10
	s_xor_b32 s8, exec_lo, s8
	s_cbranch_execz .LBB233_563
; %bb.462:
	s_mov_b32 s7, -1
	s_mov_b32 s9, exec_lo
	v_cmpx_eq_u16_e32 0x80, v10
; %bb.463:
	s_xor_b32 s7, exec_lo, -1
; %bb.464:
	s_or_b32 exec_lo, exec_lo, s9
	s_delay_alu instid0(SALU_CYCLE_1)
	s_and_b32 s7, s7, exec_lo
	s_or_saveexec_b32 s8, s8
	v_mov_b32_e32 v1, 0x7f800001
	s_xor_b32 exec_lo, exec_lo, s8
	s_cbranch_execnz .LBB233_564
.LBB233_465:
	s_or_b32 exec_lo, exec_lo, s8
	s_and_saveexec_b32 s8, s7
	s_cbranch_execz .LBB233_467
.LBB233_466:
	v_and_b32_e32 v1, 0xffff, v10
	s_delay_alu instid0(VALU_DEP_1) | instskip(SKIP_1) | instid1(VALU_DEP_2)
	v_and_b32_e32 v11, 3, v1
	v_bfe_u32 v14, v1, 2, 5
	v_clz_i32_u32_e32 v12, v11
	s_delay_alu instid0(VALU_DEP_2) | instskip(NEXT) | instid1(VALU_DEP_2)
	v_cmp_eq_u32_e32 vcc_lo, 0, v14
	v_min_u32_e32 v12, 32, v12
	s_delay_alu instid0(VALU_DEP_1) | instskip(NEXT) | instid1(VALU_DEP_1)
	v_subrev_nc_u32_e32 v13, 29, v12
	v_dual_lshlrev_b32 v1, v13, v1 :: v_dual_sub_nc_u32 v12, 30, v12
	s_delay_alu instid0(VALU_DEP_1) | instskip(NEXT) | instid1(VALU_DEP_1)
	v_dual_lshlrev_b32 v10, 24, v10 :: v_dual_bitop2_b32 v1, 3, v1 bitop3:0x40
	v_dual_cndmask_b32 v12, v14, v12 :: v_dual_cndmask_b32 v1, v11, v1
	s_delay_alu instid0(VALU_DEP_2) | instskip(NEXT) | instid1(VALU_DEP_2)
	v_and_b32_e32 v10, 0x80000000, v10
	v_lshl_add_u32 v11, v12, 23, 0x37800000
	s_delay_alu instid0(VALU_DEP_3) | instskip(NEXT) | instid1(VALU_DEP_1)
	v_lshlrev_b32_e32 v1, 21, v1
	v_or3_b32 v1, v10, v11, v1
.LBB233_467:
	s_or_b32 exec_lo, exec_lo, s8
	s_delay_alu instid0(VALU_DEP_1) | instskip(SKIP_1) | instid1(VALU_DEP_1)
	v_and_b32_e32 v11, 0x7fffffff, v1
	s_mov_b32 s7, exec_lo
                                        ; implicit-def: $vgpr10
	v_cmpx_gt_u32_e32 0x47800000, v11
	s_xor_b32 s7, exec_lo, s7
	s_cbranch_execz .LBB233_473
; %bb.468:
	s_mov_b32 s8, exec_lo
                                        ; implicit-def: $vgpr10
	v_cmpx_lt_u32_e32 0x387fffff, v11
	s_xor_b32 s8, exec_lo, s8
; %bb.469:
	v_bfe_u32 v10, v1, 21, 1
	s_delay_alu instid0(VALU_DEP_1) | instskip(NEXT) | instid1(VALU_DEP_1)
	v_add3_u32 v10, v1, v10, 0x80fffff
	v_lshrrev_b32_e32 v10, 21, v10
; %bb.470:
	s_and_not1_saveexec_b32 s8, s8
; %bb.471:
	v_add_f32_e64 v10, 0x43000000, |v1|
; %bb.472:
	s_or_b32 exec_lo, exec_lo, s8
                                        ; implicit-def: $vgpr11
.LBB233_473:
	s_and_not1_saveexec_b32 s7, s7
; %bb.474:
	v_mov_b32_e32 v10, 0x7f
	v_cmp_lt_u32_e32 vcc_lo, 0x7f800000, v11
	s_delay_alu instid0(VALU_DEP_2)
	v_cndmask_b32_e32 v10, 0x7c, v10, vcc_lo
; %bb.475:
	s_or_b32 exec_lo, exec_lo, s7
	v_lshrrev_b32_e32 v1, 24, v1
	s_delay_alu instid0(VALU_DEP_1)
	v_and_or_b32 v1, 0x80, v1, v10
.LBB233_476:
	s_and_not1_saveexec_b32 s6, s6
	s_cbranch_execz .LBB233_486
; %bb.477:
	flat_load_u8 v1, v[8:9]
	s_mov_b32 s7, exec_lo
	s_wait_loadcnt_dscnt 0x0
	v_lshlrev_b32_e32 v1, 24, v1
	s_delay_alu instid0(VALU_DEP_1) | instskip(NEXT) | instid1(VALU_DEP_1)
	v_and_b32_e32 v10, 0x7f000000, v1
	v_clz_i32_u32_e32 v11, v10
	v_cmp_ne_u32_e32 vcc_lo, 0, v10
	v_add_nc_u32_e32 v13, 0x1000000, v10
	s_delay_alu instid0(VALU_DEP_3) | instskip(NEXT) | instid1(VALU_DEP_1)
	v_min_u32_e32 v11, 32, v11
	v_sub_nc_u32_e64 v11, v11, 4 clamp
	s_delay_alu instid0(VALU_DEP_1) | instskip(NEXT) | instid1(VALU_DEP_1)
	v_lshlrev_b32_e32 v12, v11, v10
                                        ; implicit-def: $vgpr10
	v_dual_lshlrev_b32 v11, 23, v11 :: v_dual_lshrrev_b32 v12, 4, v12
	s_delay_alu instid0(VALU_DEP_1) | instskip(NEXT) | instid1(VALU_DEP_1)
	v_dual_sub_nc_u32 v11, v12, v11 :: v_dual_ashrrev_i32 v12, 8, v13
	v_add_nc_u32_e32 v11, 0x3c000000, v11
	s_delay_alu instid0(VALU_DEP_1) | instskip(NEXT) | instid1(VALU_DEP_1)
	v_and_or_b32 v11, 0x7f800000, v12, v11
	v_cndmask_b32_e32 v12, 0, v11, vcc_lo
	s_delay_alu instid0(VALU_DEP_1) | instskip(NEXT) | instid1(VALU_DEP_1)
	v_and_or_b32 v1, 0x80000000, v1, v12
	v_and_b32_e32 v11, 0x7fffffff, v1
	s_wait_xcnt 0x0
	s_delay_alu instid0(VALU_DEP_1)
	v_cmpx_gt_u32_e32 0x47800000, v11
	s_xor_b32 s7, exec_lo, s7
	s_cbranch_execz .LBB233_483
; %bb.478:
	s_mov_b32 s8, exec_lo
                                        ; implicit-def: $vgpr10
	v_cmpx_lt_u32_e32 0x387fffff, v11
	s_xor_b32 s8, exec_lo, s8
; %bb.479:
	v_bfe_u32 v10, v12, 21, 1
	s_delay_alu instid0(VALU_DEP_1) | instskip(NEXT) | instid1(VALU_DEP_1)
	v_add3_u32 v10, v1, v10, 0x80fffff
	v_lshrrev_b32_e32 v10, 21, v10
; %bb.480:
	s_and_not1_saveexec_b32 s8, s8
; %bb.481:
	v_add_f32_e64 v10, 0x43000000, |v1|
; %bb.482:
	s_or_b32 exec_lo, exec_lo, s8
                                        ; implicit-def: $vgpr11
.LBB233_483:
	s_and_not1_saveexec_b32 s7, s7
; %bb.484:
	v_mov_b32_e32 v10, 0x7f
	v_cmp_lt_u32_e32 vcc_lo, 0x7f800000, v11
	s_delay_alu instid0(VALU_DEP_2)
	v_cndmask_b32_e32 v10, 0x7c, v10, vcc_lo
; %bb.485:
	s_or_b32 exec_lo, exec_lo, s7
	v_lshrrev_b32_e32 v1, 24, v1
	s_delay_alu instid0(VALU_DEP_1)
	v_and_or_b32 v1, 0x80, v1, v10
.LBB233_486:
	s_or_b32 exec_lo, exec_lo, s6
.LBB233_487:
	s_and_not1_saveexec_b32 s5, s5
	s_cbranch_execz .LBB233_489
; %bb.488:
	flat_load_u8 v1, v[8:9]
.LBB233_489:
	s_wait_xcnt 0x0
	s_or_b32 exec_lo, exec_lo, s5
	s_delay_alu instid0(SALU_CYCLE_1)
	s_or_b32 s5, s3, exec_lo
                                        ; implicit-def: $vgpr10
.LBB233_490:
	s_or_saveexec_b32 s0, s0
	s_mov_b32 s6, 0
	s_mov_b32 s7, s4
	s_xor_b32 exec_lo, exec_lo, s0
	s_cbranch_execz .LBB233_506
; %bb.491:
	s_mov_b32 s7, s4
	s_mov_b32 s8, s5
	s_mov_b32 s6, exec_lo
                                        ; implicit-def: $vgpr1
	v_cmpx_lt_i16_e32 14, v10
	s_xor_b32 s6, exec_lo, s6
	s_cbranch_execz .LBB233_503
; %bb.492:
	s_mov_b32 s8, -1
	s_mov_b32 s9, s5
	s_mov_b32 s7, exec_lo
                                        ; implicit-def: $vgpr1
	v_cmpx_eq_u16_e32 15, v10
	s_cbranch_execz .LBB233_502
; %bb.493:
	s_wait_loadcnt_dscnt 0x0
	flat_load_u16 v1, v[8:9]
	s_mov_b32 s8, exec_lo
                                        ; implicit-def: $vgpr10
	s_wait_loadcnt_dscnt 0x0
	v_lshlrev_b32_e32 v11, 16, v1
	s_delay_alu instid0(VALU_DEP_1) | instskip(SKIP_1) | instid1(VALU_DEP_1)
	v_and_b32_e32 v12, 0x7fffffff, v11
	s_wait_xcnt 0x0
	v_cmpx_gt_u32_e32 0x47800000, v12
	s_xor_b32 s8, exec_lo, s8
	s_cbranch_execz .LBB233_499
; %bb.494:
	s_mov_b32 s9, exec_lo
                                        ; implicit-def: $vgpr10
	v_cmpx_lt_u32_e32 0x387fffff, v12
	s_xor_b32 s9, exec_lo, s9
; %bb.495:
	v_bfe_u32 v10, v1, 5, 1
	s_delay_alu instid0(VALU_DEP_1) | instskip(NEXT) | instid1(VALU_DEP_1)
	v_add3_u32 v10, v11, v10, 0x80fffff
                                        ; implicit-def: $vgpr11
	v_lshrrev_b32_e32 v10, 21, v10
; %bb.496:
	s_and_not1_saveexec_b32 s9, s9
; %bb.497:
	v_add_f32_e64 v10, 0x43000000, |v11|
; %bb.498:
	s_or_b32 exec_lo, exec_lo, s9
                                        ; implicit-def: $vgpr12
.LBB233_499:
	s_and_not1_saveexec_b32 s8, s8
; %bb.500:
	v_mov_b32_e32 v10, 0x7f
	v_cmp_lt_u32_e32 vcc_lo, 0x7f800000, v12
	s_delay_alu instid0(VALU_DEP_2)
	v_cndmask_b32_e32 v10, 0x7c, v10, vcc_lo
; %bb.501:
	s_or_b32 exec_lo, exec_lo, s8
	v_lshrrev_b32_e32 v1, 8, v1
	s_or_b32 s9, s5, exec_lo
	s_xor_b32 s8, exec_lo, -1
	s_delay_alu instid0(VALU_DEP_1)
	v_and_or_b32 v1, 0x80, v1, v10
.LBB233_502:
	s_or_b32 exec_lo, exec_lo, s7
	s_delay_alu instid0(SALU_CYCLE_1)
	s_and_not1_b32 s7, s5, exec_lo
	s_and_b32 s9, s9, exec_lo
	s_and_not1_b32 s10, s4, exec_lo
	s_and_b32 s11, s8, exec_lo
	s_or_b32 s8, s7, s9
	s_or_b32 s7, s10, s11
                                        ; implicit-def: $vgpr10
.LBB233_503:
	s_or_saveexec_b32 s6, s6
	s_mov_b32 s9, 0
	s_xor_b32 exec_lo, exec_lo, s6
; %bb.504:
	v_cmp_ne_u16_e32 vcc_lo, 11, v10
	s_and_not1_b32 s7, s7, exec_lo
	s_mov_b32 s9, exec_lo
	s_and_b32 s10, vcc_lo, exec_lo
	s_delay_alu instid0(SALU_CYCLE_1)
	s_or_b32 s7, s7, s10
; %bb.505:
	s_or_b32 exec_lo, exec_lo, s6
	s_delay_alu instid0(SALU_CYCLE_1)
	s_and_not1_b32 s5, s5, exec_lo
	s_and_b32 s6, s8, exec_lo
	s_and_not1_b32 s8, s4, exec_lo
	s_and_b32 s7, s7, exec_lo
	s_or_b32 s5, s5, s6
	s_and_b32 s6, s9, exec_lo
	s_or_b32 s7, s8, s7
.LBB233_506:
	s_or_b32 exec_lo, exec_lo, s0
	s_delay_alu instid0(SALU_CYCLE_1)
	s_and_not1_b32 s0, s3, exec_lo
	s_and_b32 s3, s5, exec_lo
	s_and_not1_b32 s4, s4, exec_lo
	s_and_b32 s5, s7, exec_lo
	s_or_b32 s3, s0, s3
	s_and_b32 s0, s6, exec_lo
	s_or_b32 s4, s4, s5
	s_or_b32 exec_lo, exec_lo, s2
	s_mov_b32 s2, 0
	s_and_saveexec_b32 s5, s4
	s_cbranch_execz .LBB233_84
.LBB233_507:
	s_mov_b32 s2, exec_lo
	s_and_not1_b32 s0, s0, exec_lo
	s_trap 2
	s_or_b32 exec_lo, exec_lo, s5
	s_and_saveexec_b32 s4, s0
	s_cbranch_execnz .LBB233_85
	s_branch .LBB233_94
.LBB233_508:
	s_and_not1_saveexec_b32 s4, s4
	s_cbranch_execz .LBB233_309
.LBB233_509:
	s_mov_b32 s7, s5
	s_mov_b32 s3, exec_lo
                                        ; implicit-def: $vgpr11
	v_cmpx_lt_i16_e32 22, v10
	s_xor_b32 s3, exec_lo, s3
	s_cbranch_execz .LBB233_541
; %bb.510:
	s_mov_b32 s7, exec_lo
                                        ; implicit-def: $vgpr11
	v_cmpx_lt_i16_e32 23, v10
	s_xor_b32 s7, exec_lo, s7
	s_cbranch_execz .LBB233_538
; %bb.511:
	;; [unrolled: 6-line block ×3, first 2 shown]
	flat_load_u8 v3, v[8:9]
	s_mov_b32 s9, 0
	s_mov_b32 s10, exec_lo
	s_wait_loadcnt_dscnt 0x0
	v_cmpx_lt_i16_e32 0x7f, v3
	s_xor_b32 s10, exec_lo, s10
	s_cbranch_execz .LBB233_565
; %bb.513:
	s_mov_b32 s9, -1
	s_mov_b32 s11, exec_lo
	v_cmpx_eq_u16_e32 0x80, v3
; %bb.514:
	s_xor_b32 s9, exec_lo, -1
; %bb.515:
	s_or_b32 exec_lo, exec_lo, s11
	s_delay_alu instid0(SALU_CYCLE_1)
	s_and_b32 s9, s9, exec_lo
	s_or_saveexec_b32 s10, s10
	v_mov_b32_e32 v2, 0x7f800001
	s_xor_b32 exec_lo, exec_lo, s10
	s_cbranch_execnz .LBB233_566
.LBB233_516:
	s_or_b32 exec_lo, exec_lo, s10
	s_and_saveexec_b32 s10, s9
	s_cbranch_execz .LBB233_518
.LBB233_517:
	v_and_b32_e32 v2, 0xffff, v3
	s_delay_alu instid0(VALU_DEP_1) | instskip(SKIP_1) | instid1(VALU_DEP_2)
	v_and_b32_e32 v4, 3, v2
	v_bfe_u32 v7, v2, 2, 5
	v_clz_i32_u32_e32 v5, v4
	s_delay_alu instid0(VALU_DEP_2) | instskip(NEXT) | instid1(VALU_DEP_2)
	v_cmp_eq_u32_e32 vcc_lo, 0, v7
	v_min_u32_e32 v5, 32, v5
	s_delay_alu instid0(VALU_DEP_1) | instskip(NEXT) | instid1(VALU_DEP_1)
	v_subrev_nc_u32_e32 v6, 29, v5
	v_dual_lshlrev_b32 v2, v6, v2 :: v_dual_sub_nc_u32 v5, 30, v5
	s_delay_alu instid0(VALU_DEP_1) | instskip(NEXT) | instid1(VALU_DEP_1)
	v_dual_lshlrev_b32 v3, 24, v3 :: v_dual_bitop2_b32 v2, 3, v2 bitop3:0x40
	v_dual_cndmask_b32 v5, v7, v5 :: v_dual_cndmask_b32 v2, v4, v2
	s_delay_alu instid0(VALU_DEP_2) | instskip(NEXT) | instid1(VALU_DEP_2)
	v_and_b32_e32 v3, 0x80000000, v3
	v_lshl_add_u32 v4, v5, 23, 0x37800000
	s_delay_alu instid0(VALU_DEP_3) | instskip(NEXT) | instid1(VALU_DEP_1)
	v_lshlrev_b32_e32 v2, 21, v2
	v_or3_b32 v2, v3, v4, v2
.LBB233_518:
	s_or_b32 exec_lo, exec_lo, s10
	s_delay_alu instid0(VALU_DEP_1) | instskip(SKIP_1) | instid1(VALU_DEP_1)
	v_and_b32_e32 v4, 0x7fffffff, v2
	s_mov_b32 s9, exec_lo
                                        ; implicit-def: $vgpr3
	v_cmpx_gt_u32_e32 0x47800000, v4
	s_xor_b32 s9, exec_lo, s9
	s_cbranch_execz .LBB233_524
; %bb.519:
	s_mov_b32 s10, exec_lo
                                        ; implicit-def: $vgpr3
	v_cmpx_lt_u32_e32 0x387fffff, v4
	s_xor_b32 s10, exec_lo, s10
; %bb.520:
	v_bfe_u32 v3, v2, 21, 1
	s_delay_alu instid0(VALU_DEP_1) | instskip(NEXT) | instid1(VALU_DEP_1)
	v_add3_u32 v3, v2, v3, 0x80fffff
	v_lshrrev_b32_e32 v3, 21, v3
; %bb.521:
	s_and_not1_saveexec_b32 s10, s10
; %bb.522:
	v_add_f32_e64 v3, 0x43000000, |v2|
; %bb.523:
	s_or_b32 exec_lo, exec_lo, s10
                                        ; implicit-def: $vgpr4
.LBB233_524:
	s_and_not1_saveexec_b32 s9, s9
; %bb.525:
	v_mov_b32_e32 v3, 0x7f
	v_cmp_lt_u32_e32 vcc_lo, 0x7f800000, v4
	s_delay_alu instid0(VALU_DEP_2)
	v_cndmask_b32_e32 v3, 0x7c, v3, vcc_lo
; %bb.526:
	s_or_b32 exec_lo, exec_lo, s9
	v_lshrrev_b32_e32 v2, 24, v2
	s_delay_alu instid0(VALU_DEP_1)
	v_and_or_b32 v11, 0x80, v2, v3
.LBB233_527:
	s_and_not1_saveexec_b32 s8, s8
	s_cbranch_execz .LBB233_537
; %bb.528:
	flat_load_u8 v2, v[8:9]
	s_mov_b32 s9, exec_lo
	s_wait_loadcnt_dscnt 0x0
	v_lshlrev_b32_e32 v2, 24, v2
	s_delay_alu instid0(VALU_DEP_1) | instskip(NEXT) | instid1(VALU_DEP_1)
	v_and_b32_e32 v3, 0x7f000000, v2
	v_clz_i32_u32_e32 v4, v3
	v_cmp_ne_u32_e32 vcc_lo, 0, v3
	v_add_nc_u32_e32 v6, 0x1000000, v3
	s_delay_alu instid0(VALU_DEP_3) | instskip(NEXT) | instid1(VALU_DEP_1)
	v_min_u32_e32 v4, 32, v4
	v_sub_nc_u32_e64 v4, v4, 4 clamp
	s_delay_alu instid0(VALU_DEP_1) | instskip(NEXT) | instid1(VALU_DEP_1)
	v_lshlrev_b32_e32 v5, v4, v3
                                        ; implicit-def: $vgpr3
	v_dual_lshlrev_b32 v4, 23, v4 :: v_dual_lshrrev_b32 v5, 4, v5
	s_delay_alu instid0(VALU_DEP_1) | instskip(NEXT) | instid1(VALU_DEP_1)
	v_dual_sub_nc_u32 v4, v5, v4 :: v_dual_ashrrev_i32 v5, 8, v6
	v_add_nc_u32_e32 v4, 0x3c000000, v4
	s_delay_alu instid0(VALU_DEP_1) | instskip(NEXT) | instid1(VALU_DEP_1)
	v_and_or_b32 v4, 0x7f800000, v5, v4
	v_cndmask_b32_e32 v5, 0, v4, vcc_lo
	s_delay_alu instid0(VALU_DEP_1) | instskip(NEXT) | instid1(VALU_DEP_1)
	v_and_or_b32 v2, 0x80000000, v2, v5
	v_and_b32_e32 v4, 0x7fffffff, v2
	s_wait_xcnt 0x0
	s_delay_alu instid0(VALU_DEP_1)
	v_cmpx_gt_u32_e32 0x47800000, v4
	s_xor_b32 s9, exec_lo, s9
	s_cbranch_execz .LBB233_534
; %bb.529:
	s_mov_b32 s10, exec_lo
                                        ; implicit-def: $vgpr3
	v_cmpx_lt_u32_e32 0x387fffff, v4
	s_xor_b32 s10, exec_lo, s10
; %bb.530:
	v_bfe_u32 v3, v5, 21, 1
	s_delay_alu instid0(VALU_DEP_1) | instskip(NEXT) | instid1(VALU_DEP_1)
	v_add3_u32 v3, v2, v3, 0x80fffff
	v_lshrrev_b32_e32 v3, 21, v3
; %bb.531:
	s_and_not1_saveexec_b32 s10, s10
; %bb.532:
	v_add_f32_e64 v3, 0x43000000, |v2|
; %bb.533:
	s_or_b32 exec_lo, exec_lo, s10
                                        ; implicit-def: $vgpr4
.LBB233_534:
	s_and_not1_saveexec_b32 s9, s9
; %bb.535:
	v_mov_b32_e32 v3, 0x7f
	v_cmp_lt_u32_e32 vcc_lo, 0x7f800000, v4
	s_delay_alu instid0(VALU_DEP_2)
	v_cndmask_b32_e32 v3, 0x7c, v3, vcc_lo
; %bb.536:
	s_or_b32 exec_lo, exec_lo, s9
	v_lshrrev_b32_e32 v2, 24, v2
	s_delay_alu instid0(VALU_DEP_1)
	v_and_or_b32 v11, 0x80, v2, v3
.LBB233_537:
	s_or_b32 exec_lo, exec_lo, s8
.LBB233_538:
	s_and_not1_saveexec_b32 s7, s7
	s_cbranch_execz .LBB233_540
; %bb.539:
	flat_load_u8 v11, v[8:9]
.LBB233_540:
	s_wait_xcnt 0x0
	s_or_b32 exec_lo, exec_lo, s7
	s_delay_alu instid0(SALU_CYCLE_1)
	s_or_b32 s7, s5, exec_lo
.LBB233_541:
	s_or_saveexec_b32 s3, s3
	s_mov_b32 s8, 0
	s_mov_b32 s9, s6
	s_xor_b32 exec_lo, exec_lo, s3
	s_cbranch_execz .LBB233_557
; %bb.542:
	s_mov_b32 s9, s6
	s_mov_b32 s10, s7
	s_mov_b32 s8, exec_lo
                                        ; implicit-def: $vgpr11
	v_cmpx_lt_i16_e32 14, v10
	s_xor_b32 s8, exec_lo, s8
	s_cbranch_execz .LBB233_554
; %bb.543:
	s_mov_b32 s10, -1
	s_mov_b32 s11, s7
	s_mov_b32 s9, exec_lo
                                        ; implicit-def: $vgpr11
	v_cmpx_eq_u16_e32 15, v10
	s_cbranch_execz .LBB233_553
; %bb.544:
	flat_load_u16 v2, v[8:9]
	s_mov_b32 s10, exec_lo
                                        ; implicit-def: $vgpr3
	s_wait_loadcnt_dscnt 0x0
	v_lshlrev_b32_e32 v4, 16, v2
	s_delay_alu instid0(VALU_DEP_1) | instskip(SKIP_1) | instid1(VALU_DEP_1)
	v_and_b32_e32 v5, 0x7fffffff, v4
	s_wait_xcnt 0x0
	v_cmpx_gt_u32_e32 0x47800000, v5
	s_xor_b32 s10, exec_lo, s10
	s_cbranch_execz .LBB233_550
; %bb.545:
	s_mov_b32 s11, exec_lo
                                        ; implicit-def: $vgpr3
	v_cmpx_lt_u32_e32 0x387fffff, v5
	s_xor_b32 s11, exec_lo, s11
; %bb.546:
	v_bfe_u32 v3, v2, 5, 1
	s_delay_alu instid0(VALU_DEP_1) | instskip(NEXT) | instid1(VALU_DEP_1)
	v_add3_u32 v3, v4, v3, 0x80fffff
                                        ; implicit-def: $vgpr4
	v_lshrrev_b32_e32 v3, 21, v3
; %bb.547:
	s_and_not1_saveexec_b32 s11, s11
; %bb.548:
	v_add_f32_e64 v3, 0x43000000, |v4|
; %bb.549:
	s_or_b32 exec_lo, exec_lo, s11
                                        ; implicit-def: $vgpr5
.LBB233_550:
	s_and_not1_saveexec_b32 s10, s10
; %bb.551:
	v_mov_b32_e32 v3, 0x7f
	v_cmp_lt_u32_e32 vcc_lo, 0x7f800000, v5
	s_delay_alu instid0(VALU_DEP_2)
	v_cndmask_b32_e32 v3, 0x7c, v3, vcc_lo
; %bb.552:
	s_or_b32 exec_lo, exec_lo, s10
	v_lshrrev_b32_e32 v2, 8, v2
	s_or_b32 s11, s7, exec_lo
	s_xor_b32 s10, exec_lo, -1
	s_delay_alu instid0(VALU_DEP_1)
	v_and_or_b32 v11, 0x80, v2, v3
.LBB233_553:
	s_or_b32 exec_lo, exec_lo, s9
	s_delay_alu instid0(SALU_CYCLE_1)
	s_and_not1_b32 s9, s7, exec_lo
	s_and_b32 s11, s11, exec_lo
	s_and_not1_b32 s12, s6, exec_lo
	s_and_b32 s13, s10, exec_lo
	s_or_b32 s10, s9, s11
	s_or_b32 s9, s12, s13
.LBB233_554:
	s_or_saveexec_b32 s11, s8
	s_mov_b32 s8, 0
	s_xor_b32 exec_lo, exec_lo, s11
; %bb.555:
	v_cmp_ne_u16_e32 vcc_lo, 11, v10
	s_and_not1_b32 s9, s9, exec_lo
	s_mov_b32 s8, exec_lo
	s_and_b32 s12, vcc_lo, exec_lo
	s_delay_alu instid0(SALU_CYCLE_1)
	s_or_b32 s9, s9, s12
; %bb.556:
	s_or_b32 exec_lo, exec_lo, s11
	s_delay_alu instid0(SALU_CYCLE_1)
	s_and_not1_b32 s7, s7, exec_lo
	s_and_b32 s10, s10, exec_lo
	s_and_b32 s9, s9, exec_lo
	s_or_b32 s7, s7, s10
	s_and_not1_b32 s10, s6, exec_lo
	s_and_b32 s8, s8, exec_lo
	s_or_b32 s9, s10, s9
.LBB233_557:
	s_or_b32 exec_lo, exec_lo, s3
	s_delay_alu instid0(SALU_CYCLE_1)
	s_and_not1_b32 s3, s5, exec_lo
	s_and_b32 s5, s7, exec_lo
	s_and_not1_b32 s6, s6, exec_lo
	s_and_b32 s7, s9, exec_lo
	s_or_b32 s5, s3, s5
	s_and_b32 s3, s8, exec_lo
	s_or_b32 s6, s6, s7
	s_or_b32 exec_lo, exec_lo, s4
	s_mov_b32 s7, s0
	s_and_saveexec_b32 s4, s6
	s_cbranch_execz .LBB233_310
.LBB233_558:
	s_and_not1_b32 s3, s3, exec_lo
	s_or_b32 s7, s0, exec_lo
	s_trap 2
	s_branch .LBB233_310
.LBB233_559:
	s_or_saveexec_b32 s8, s8
	v_mov_b32_e32 v1, 0x7f800001
	s_xor_b32 exec_lo, exec_lo, s8
	s_cbranch_execz .LBB233_70
.LBB233_560:
	v_cmp_ne_u16_e32 vcc_lo, 0, v10
	v_mov_b32_e32 v1, 0
	s_and_not1_b32 s7, s7, exec_lo
	s_and_b32 s9, vcc_lo, exec_lo
	s_delay_alu instid0(SALU_CYCLE_1)
	s_or_b32 s7, s7, s9
	s_or_b32 exec_lo, exec_lo, s8
	s_and_saveexec_b32 s8, s7
	s_cbranch_execnz .LBB233_71
	s_branch .LBB233_72
.LBB233_561:
	s_or_saveexec_b32 s10, s10
	v_mov_b32_e32 v2, 0x7f800001
	s_xor_b32 exec_lo, exec_lo, s10
	s_cbranch_execz .LBB233_296
.LBB233_562:
	v_cmp_ne_u16_e32 vcc_lo, 0, v3
	v_mov_b32_e32 v2, 0
	s_and_not1_b32 s9, s9, exec_lo
	s_and_b32 s11, vcc_lo, exec_lo
	s_delay_alu instid0(SALU_CYCLE_1)
	s_or_b32 s9, s9, s11
	s_or_b32 exec_lo, exec_lo, s10
	s_and_saveexec_b32 s10, s9
	s_cbranch_execnz .LBB233_297
	s_branch .LBB233_298
.LBB233_563:
	s_or_saveexec_b32 s8, s8
	v_mov_b32_e32 v1, 0x7f800001
	s_xor_b32 exec_lo, exec_lo, s8
	s_cbranch_execz .LBB233_465
.LBB233_564:
	v_cmp_ne_u16_e32 vcc_lo, 0, v10
	v_mov_b32_e32 v1, 0
	s_and_not1_b32 s7, s7, exec_lo
	s_and_b32 s9, vcc_lo, exec_lo
	s_delay_alu instid0(SALU_CYCLE_1)
	s_or_b32 s7, s7, s9
	s_or_b32 exec_lo, exec_lo, s8
	s_and_saveexec_b32 s8, s7
	s_cbranch_execnz .LBB233_466
	s_branch .LBB233_467
.LBB233_565:
	s_or_saveexec_b32 s10, s10
	v_mov_b32_e32 v2, 0x7f800001
	s_xor_b32 exec_lo, exec_lo, s10
	s_cbranch_execz .LBB233_516
.LBB233_566:
	v_cmp_ne_u16_e32 vcc_lo, 0, v3
	v_mov_b32_e32 v2, 0
	s_and_not1_b32 s9, s9, exec_lo
	s_and_b32 s11, vcc_lo, exec_lo
	s_delay_alu instid0(SALU_CYCLE_1)
	s_or_b32 s9, s9, s11
	s_or_b32 exec_lo, exec_lo, s10
	s_and_saveexec_b32 s10, s9
	s_cbranch_execnz .LBB233_517
	s_branch .LBB233_518
.Lfunc_end233:
	.size	_ZN2at6native6invokeINS0_13BinaryFunctorIN3c1011Float8_e5m2ES4_bNS0_12_GLOBAL__N_116CompareEqFunctorIS4_EEEEj15function_traitsIS8_EEENT1_11result_typeERKT_PrKPcPKT0_PKNS3_10ScalarTypeEi, .Lfunc_end233-_ZN2at6native6invokeINS0_13BinaryFunctorIN3c1011Float8_e5m2ES4_bNS0_12_GLOBAL__N_116CompareEqFunctorIS4_EEEEj15function_traitsIS8_EEENT1_11result_typeERKT_PrKPcPKT0_PKNS3_10ScalarTypeEi
                                        ; -- End function
	.set .L_ZN2at6native6invokeINS0_13BinaryFunctorIN3c1011Float8_e5m2ES4_bNS0_12_GLOBAL__N_116CompareEqFunctorIS4_EEEEj15function_traitsIS8_EEENT1_11result_typeERKT_PrKPcPKT0_PKNS3_10ScalarTypeEi.num_vgpr, 15
	.set .L_ZN2at6native6invokeINS0_13BinaryFunctorIN3c1011Float8_e5m2ES4_bNS0_12_GLOBAL__N_116CompareEqFunctorIS4_EEEEj15function_traitsIS8_EEENT1_11result_typeERKT_PrKPcPKT0_PKNS3_10ScalarTypeEi.num_agpr, 0
	.set .L_ZN2at6native6invokeINS0_13BinaryFunctorIN3c1011Float8_e5m2ES4_bNS0_12_GLOBAL__N_116CompareEqFunctorIS4_EEEEj15function_traitsIS8_EEENT1_11result_typeERKT_PrKPcPKT0_PKNS3_10ScalarTypeEi.numbered_sgpr, 32
	.set .L_ZN2at6native6invokeINS0_13BinaryFunctorIN3c1011Float8_e5m2ES4_bNS0_12_GLOBAL__N_116CompareEqFunctorIS4_EEEEj15function_traitsIS8_EEENT1_11result_typeERKT_PrKPcPKT0_PKNS3_10ScalarTypeEi.num_named_barrier, 0
	.set .L_ZN2at6native6invokeINS0_13BinaryFunctorIN3c1011Float8_e5m2ES4_bNS0_12_GLOBAL__N_116CompareEqFunctorIS4_EEEEj15function_traitsIS8_EEENT1_11result_typeERKT_PrKPcPKT0_PKNS3_10ScalarTypeEi.private_seg_size, 0
	.set .L_ZN2at6native6invokeINS0_13BinaryFunctorIN3c1011Float8_e5m2ES4_bNS0_12_GLOBAL__N_116CompareEqFunctorIS4_EEEEj15function_traitsIS8_EEENT1_11result_typeERKT_PrKPcPKT0_PKNS3_10ScalarTypeEi.uses_vcc, 1
	.set .L_ZN2at6native6invokeINS0_13BinaryFunctorIN3c1011Float8_e5m2ES4_bNS0_12_GLOBAL__N_116CompareEqFunctorIS4_EEEEj15function_traitsIS8_EEENT1_11result_typeERKT_PrKPcPKT0_PKNS3_10ScalarTypeEi.uses_flat_scratch, 0
	.set .L_ZN2at6native6invokeINS0_13BinaryFunctorIN3c1011Float8_e5m2ES4_bNS0_12_GLOBAL__N_116CompareEqFunctorIS4_EEEEj15function_traitsIS8_EEENT1_11result_typeERKT_PrKPcPKT0_PKNS3_10ScalarTypeEi.has_dyn_sized_stack, 0
	.set .L_ZN2at6native6invokeINS0_13BinaryFunctorIN3c1011Float8_e5m2ES4_bNS0_12_GLOBAL__N_116CompareEqFunctorIS4_EEEEj15function_traitsIS8_EEENT1_11result_typeERKT_PrKPcPKT0_PKNS3_10ScalarTypeEi.has_recursion, 0
	.set .L_ZN2at6native6invokeINS0_13BinaryFunctorIN3c1011Float8_e5m2ES4_bNS0_12_GLOBAL__N_116CompareEqFunctorIS4_EEEEj15function_traitsIS8_EEENT1_11result_typeERKT_PrKPcPKT0_PKNS3_10ScalarTypeEi.has_indirect_call, 0
	.section	.AMDGPU.csdata,"",@progbits
; Function info:
; codeLenInByte = 11516
; TotalNumSgprs: 34
; NumVgprs: 15
; ScratchSize: 0
; MemoryBound: 0
	.section	.text._ZN2at6native32elementwise_kernel_manual_unrollILi128ELi4EZNS0_15gpu_kernel_implINS0_13BinaryFunctorIN3c1011Float8_e5m2ES5_bNS0_12_GLOBAL__N_116CompareEqFunctorIS5_EEEEEEvRNS_18TensorIteratorBaseERKT_EUlibE0_EEviT1_,"axG",@progbits,_ZN2at6native32elementwise_kernel_manual_unrollILi128ELi4EZNS0_15gpu_kernel_implINS0_13BinaryFunctorIN3c1011Float8_e5m2ES5_bNS0_12_GLOBAL__N_116CompareEqFunctorIS5_EEEEEEvRNS_18TensorIteratorBaseERKT_EUlibE0_EEviT1_,comdat
	.globl	_ZN2at6native32elementwise_kernel_manual_unrollILi128ELi4EZNS0_15gpu_kernel_implINS0_13BinaryFunctorIN3c1011Float8_e5m2ES5_bNS0_12_GLOBAL__N_116CompareEqFunctorIS5_EEEEEEvRNS_18TensorIteratorBaseERKT_EUlibE0_EEviT1_ ; -- Begin function _ZN2at6native32elementwise_kernel_manual_unrollILi128ELi4EZNS0_15gpu_kernel_implINS0_13BinaryFunctorIN3c1011Float8_e5m2ES5_bNS0_12_GLOBAL__N_116CompareEqFunctorIS5_EEEEEEvRNS_18TensorIteratorBaseERKT_EUlibE0_EEviT1_
	.p2align	8
	.type	_ZN2at6native32elementwise_kernel_manual_unrollILi128ELi4EZNS0_15gpu_kernel_implINS0_13BinaryFunctorIN3c1011Float8_e5m2ES5_bNS0_12_GLOBAL__N_116CompareEqFunctorIS5_EEEEEEvRNS_18TensorIteratorBaseERKT_EUlibE0_EEviT1_,@function
_ZN2at6native32elementwise_kernel_manual_unrollILi128ELi4EZNS0_15gpu_kernel_implINS0_13BinaryFunctorIN3c1011Float8_e5m2ES5_bNS0_12_GLOBAL__N_116CompareEqFunctorIS5_EEEEEEvRNS_18TensorIteratorBaseERKT_EUlibE0_EEviT1_: ; @_ZN2at6native32elementwise_kernel_manual_unrollILi128ELi4EZNS0_15gpu_kernel_implINS0_13BinaryFunctorIN3c1011Float8_e5m2ES5_bNS0_12_GLOBAL__N_116CompareEqFunctorIS5_EEEEEEvRNS_18TensorIteratorBaseERKT_EUlibE0_EEviT1_
; %bb.0:
	s_clause 0xb
	s_load_b256 s[4:11], s[0:1], 0xa8
	s_load_b256 s[36:43], s[0:1], 0xc8
	;; [unrolled: 1-line block ×5, first 2 shown]
	s_load_b32 s28, s[0:1], 0x0
	s_load_b256 s[20:27], s[0:1], 0x8
	s_load_b256 s[68:75], s[0:1], 0x148
	;; [unrolled: 1-line block ×5, first 2 shown]
	s_load_b128 s[92:95], s[0:1], 0x1a0
	s_getreg_b32 s2, hwreg(HW_REG_IB_STS2, 6, 4)
	s_movk_i32 s32, 0x1d0
	s_wait_kmcnt 0x0
	v_mov_b64_e32 v[2:3], s[8:9]
	v_mov_b64_e32 v[6:7], s[36:37]
	;; [unrolled: 1-line block ×15, first 2 shown]
	s_clause 0x5
	scratch_store_b128 off, v[6:9], off offset:216
	scratch_store_b128 off, v[10:13], off offset:232
	;; [unrolled: 1-line block ×6, first 2 shown]
	s_wait_xcnt 0x5
	v_mov_b64_e32 v[6:7], s[64:65]
	v_mov_b64_e32 v[8:9], s[66:67]
	s_wait_xcnt 0x4
	v_mov_b64_e32 v[10:11], s[68:69]
	v_mov_b64_e32 v[12:13], s[70:71]
	s_wait_xcnt 0x3
	v_mov_b64_e32 v[14:15], s[72:73]
	s_load_b256 s[36:43], s[0:1], 0x48
	v_mov_b64_e32 v[16:17], s[74:75]
	v_mov_b64_e32 v[18:19], s[76:77]
	;; [unrolled: 1-line block ×5, first 2 shown]
	s_clause 0x5
	scratch_store_b128 off, v[30:33], off offset:312
	scratch_store_b128 off, v[6:9], off offset:328
	;; [unrolled: 1-line block ×6, first 2 shown]
	s_wait_xcnt 0x1
	v_mov_b64_e32 v[18:19], s[20:21]
	s_wait_xcnt 0x0
	v_mov_b64_e32 v[22:23], s[24:25]
	v_mov_b64_e32 v[20:21], s[22:23]
	;; [unrolled: 1-line block ×3, first 2 shown]
	s_clause 0x1
	s_load_b256 s[20:27], s[0:1], 0x68
	s_load_b256 s[44:51], s[0:1], 0x88
	v_mov_b64_e32 v[6:7], s[84:85]
	v_mov_b64_e32 v[8:9], s[86:87]
	;; [unrolled: 1-line block ×6, first 2 shown]
	s_clause 0x2
	scratch_store_b128 off, v[6:9], off offset:408
	scratch_store_b128 off, v[10:13], off offset:424
	;; [unrolled: 1-line block ×3, first 2 shown]
	s_wait_xcnt 0x2
	v_mov_b64_e32 v[6:7], s[12:13]
	v_mov_b64_e32 v[8:9], s[14:15]
	s_wait_xcnt 0x1
	v_mov_b64_e32 v[10:11], s[16:17]
	v_mov_b64_e32 v[12:13], s[18:19]
	s_wait_kmcnt 0x0
	v_mov_b64_e32 v[14:15], s[36:37]
	s_bfe_u32 s0, ttmp6, 0x4000c
	s_clause 0x1
	scratch_store_b128 off, v[18:21], off offset:24
	scratch_store_b128 off, v[22:25], off offset:40
	v_mov_b64_e32 v[16:17], s[38:39]
	s_wait_xcnt 0x1
	v_mov_b64_e32 v[18:19], s[40:41]
	v_mov_b64_e32 v[20:21], s[42:43]
	s_add_co_i32 s0, s0, 1
	s_and_b32 s1, ttmp6, 15
	s_mul_i32 s0, ttmp9, s0
	s_clause 0x1
	scratch_store_b128 off, v[6:9], off offset:56
	scratch_store_b128 off, v[10:13], off offset:72
	s_add_co_i32 s1, s1, s0
	s_wait_xcnt 0x1
	v_mov_b64_e32 v[6:7], s[20:21]
	s_cmp_eq_u32 s2, 0
	v_mov_b64_e32 v[8:9], s[22:23]
	s_wait_xcnt 0x0
	v_mov_b64_e32 v[10:11], s[24:25]
	s_clause 0x1
	scratch_store_b128 off, v[14:17], off offset:88
	scratch_store_b128 off, v[18:21], off offset:104
	v_mov_b64_e32 v[12:13], s[26:27]
	s_wait_xcnt 0x0
	v_mov_b64_e32 v[16:17], s[44:45]
	s_cselect_b32 s0, ttmp9, s1
	v_mov_b64_e32 v[18:19], s[46:47]
	v_mov_b64_e32 v[20:21], s[48:49]
	;; [unrolled: 1-line block ×3, first 2 shown]
	v_lshl_or_b32 v15, s0, 9, v0
	v_mov_b64_e32 v[4:5], s[10:11]
	s_clause 0x3
	scratch_store_b128 off, v[6:9], off offset:120
	scratch_store_b128 off, v[10:13], off offset:136
	scratch_store_b128 off, v[16:19], off offset:152
	scratch_store_b128 off, v[20:23], off offset:168
	s_wait_xcnt 0x3
	v_mov_b64_e32 v[8:9], s[6:7]
	v_mov_b64_e32 v[6:7], s[4:5]
	v_or_b32_e32 v1, 0x180, v15
	s_mov_b32 s16, 0
	s_mov_b32 s14, 0
	s_clause 0x1
	scratch_store_b128 off, v[2:5], off offset:200
	scratch_store_b128 off, v[6:9], off offset:184
	s_mov_b32 s0, exec_lo
	s_wait_xcnt 0x0
	v_cmpx_le_i32_e64 s28, v1
	s_xor_b32 s15, exec_lo, s0
	s_cbranch_execz .LBB234_442
; %bb.1:
	v_mbcnt_lo_u32_b32 v1, -1, 0
	v_mov_b32_e32 v0, 24
	s_mov_b32 s18, 0
	s_mov_b32 s2, -1
	s_mov_b32 s17, exec_lo
	v_lshlrev_b32_e32 v1, 20, v1
	s_delay_alu instid0(VALU_DEP_1) | instskip(SKIP_1) | instid1(VALU_DEP_1)
	v_add_nc_u64_e32 v[2:3], src_flat_scratch_base_lo, v[0:1]
	v_mov_b32_e32 v0, 0
	v_add_nc_u64_e32 v[0:1], src_flat_scratch_base_lo, v[0:1]
	s_delay_alu instid0(VALU_DEP_3) | instskip(SKIP_1) | instid1(VALU_DEP_3)
	v_add_nc_u64_e32 v[24:25], 0x190, v[2:3]
	v_add_nc_u64_e32 v[20:21], 0x1a5, v[2:3]
	;; [unrolled: 1-line block ×3, first 2 shown]
	v_cmpx_gt_i32_e64 s28, v15
	s_cbranch_execz .LBB234_99
; %bb.2:
	scratch_load_b32 v0, off, off offset:24
	s_mov_b32 s0, exec_lo
                                        ; implicit-def: $vgpr17
	s_wait_loadcnt 0x0
	v_add_nc_u32_e32 v1, -1, v0
	s_wait_xcnt 0x0
	s_delay_alu instid0(VALU_DEP_1)
	v_cmpx_lt_u32_e32 1, v1
	s_xor_b32 s0, exec_lo, s0
	s_cbranch_execz .LBB234_10
; %bb.3:
	v_dual_mov_b32 v17, 0 :: v_dual_mov_b32 v16, 0
	v_mov_b32_e32 v18, 0
	s_mov_b32 s1, exec_lo
	v_cmpx_ne_u32_e32 0, v0
	s_cbranch_execz .LBB234_9
; %bb.4:
	v_min_u32_e32 v1, 15, v1
	v_dual_mov_b32 v16, 0 :: v_dual_mov_b32 v17, 0
	s_sub_co_i32 s3, 24, 24
	s_mov_b32 s2, 0
	s_delay_alu instid0(VALU_DEP_2) | instskip(NEXT) | instid1(VALU_DEP_1)
	v_dual_add_nc_u32 v0, 1, v1 :: v_dual_mov_b32 v18, 0
	v_dual_mov_b32 v0, v15 :: v_dual_bitop2_b32 v2, 30, v0 bitop3:0x40
.LBB234_5:                              ; =>This Inner Loop Header: Depth=1
	s_clause 0x3
	scratch_load_b128 v[4:7], off, s3 offset:28
	scratch_load_b64 v[26:27], off, s3 offset:44
	scratch_load_b96 v[8:10], off, s3 offset:220
	scratch_load_b96 v[12:14], off, s3 offset:232
	s_wait_xcnt 0x0
	s_add_co_i32 s3, s3, 24
	v_add_nc_u32_e32 v2, -2, v2
	s_delay_alu instid0(VALU_DEP_1) | instskip(SKIP_3) | instid1(VALU_DEP_1)
	v_cmp_eq_u32_e32 vcc_lo, 0, v2
	s_or_b32 s2, vcc_lo, s2
	s_wait_loadcnt 0x3
	v_mul_hi_u32 v3, v5, v0
	v_add_nc_u32_e32 v3, v0, v3
	s_delay_alu instid0(VALU_DEP_1) | instskip(SKIP_1) | instid1(VALU_DEP_1)
	v_lshrrev_b32_e32 v3, v6, v3
	s_wait_loadcnt 0x2
	v_mul_hi_u32 v5, v26, v3
	v_mul_lo_u32 v4, v3, v4
	s_delay_alu instid0(VALU_DEP_1) | instskip(NEXT) | instid1(VALU_DEP_1)
	v_dual_add_nc_u32 v5, v3, v5 :: v_dual_sub_nc_u32 v4, v0, v4
	v_lshrrev_b32_e32 v0, v27, v5
	s_wait_loadcnt 0x1
	s_delay_alu instid0(VALU_DEP_2) | instskip(NEXT) | instid1(VALU_DEP_2)
	v_mad_u32 v6, v4, v9, v17
	v_mul_lo_u32 v5, v0, v7
	v_mad_u32 v7, v4, v8, v16
	v_mad_u32 v4, v4, v10, v18
	s_delay_alu instid0(VALU_DEP_3) | instskip(SKIP_1) | instid1(VALU_DEP_1)
	v_sub_nc_u32_e32 v3, v3, v5
	s_wait_loadcnt 0x0
	v_mad_u32 v17, v3, v13, v6
	s_delay_alu instid0(VALU_DEP_4) | instskip(NEXT) | instid1(VALU_DEP_4)
	v_mad_u32 v16, v3, v12, v7
	v_mad_u32 v18, v3, v14, v4
	v_mov_b32_e32 v3, s3
	s_and_not1_b32 exec_lo, exec_lo, s2
	s_cbranch_execnz .LBB234_5
; %bb.6:
	s_or_b32 exec_lo, exec_lo, s2
	v_and_b32_e32 v1, 1, v1
	s_mov_b32 s2, exec_lo
	s_delay_alu instid0(VALU_DEP_1)
	v_cmpx_eq_u32_e32 0, v1
	s_cbranch_execz .LBB234_8
; %bb.7:
	s_clause 0x1
	scratch_load_b96 v[4:6], v3, off offset:28
	scratch_load_b96 v[8:10], v3, off offset:220
	s_wait_loadcnt 0x1
	v_mul_hi_u32 v1, v5, v0
	s_delay_alu instid0(VALU_DEP_1) | instskip(NEXT) | instid1(VALU_DEP_1)
	v_add_nc_u32_e32 v1, v0, v1
	v_lshrrev_b32_e32 v1, v6, v1
	s_delay_alu instid0(VALU_DEP_1) | instskip(NEXT) | instid1(VALU_DEP_1)
	v_mul_lo_u32 v1, v1, v4
	v_sub_nc_u32_e32 v0, v0, v1
	s_wait_loadcnt 0x0
	s_delay_alu instid0(VALU_DEP_1)
	v_mad_u32 v16, v0, v8, v16
	v_mad_u32 v17, v0, v9, v17
	;; [unrolled: 1-line block ×3, first 2 shown]
.LBB234_8:
	s_wait_xcnt 0x0
	s_or_b32 exec_lo, exec_lo, s2
.LBB234_9:
	s_delay_alu instid0(SALU_CYCLE_1)
	s_or_b32 exec_lo, exec_lo, s1
                                        ; implicit-def: $vgpr0
.LBB234_10:
	s_and_not1_saveexec_b32 s0, s0
	s_cbranch_execz .LBB234_14
; %bb.11:
	s_clause 0x1
	scratch_load_b96 v[2:4], off, off offset:28
	scratch_load_b96 v[6:8], off, off offset:220
	s_mov_b32 s1, exec_lo
	s_wait_loadcnt 0x1
	v_mul_hi_u32 v1, v3, v15
	s_delay_alu instid0(VALU_DEP_1) | instskip(NEXT) | instid1(VALU_DEP_1)
	v_add_nc_u32_e32 v1, v15, v1
	v_lshrrev_b32_e32 v1, v4, v1
	s_delay_alu instid0(VALU_DEP_1) | instskip(NEXT) | instid1(VALU_DEP_1)
	v_mul_lo_u32 v2, v1, v2
	v_sub_nc_u32_e32 v2, v15, v2
	s_wait_loadcnt 0x0
	s_delay_alu instid0(VALU_DEP_1)
	v_mul_lo_u32 v17, v2, v7
	v_mul_lo_u32 v16, v2, v6
	;; [unrolled: 1-line block ×3, first 2 shown]
	s_wait_xcnt 0x0
	v_cmpx_lt_u32_e32 1, v0
	s_cbranch_execz .LBB234_13
; %bb.12:
	s_clause 0x1
	scratch_load_b96 v[2:4], off, off offset:40
	scratch_load_b96 v[6:8], off, off offset:232
	s_wait_loadcnt 0x1
	v_mul_hi_u32 v0, v3, v1
	s_delay_alu instid0(VALU_DEP_1) | instskip(NEXT) | instid1(VALU_DEP_1)
	v_add_nc_u32_e32 v0, v1, v0
	v_lshrrev_b32_e32 v0, v4, v0
	s_delay_alu instid0(VALU_DEP_1) | instskip(NEXT) | instid1(VALU_DEP_1)
	v_mul_lo_u32 v0, v0, v2
	v_sub_nc_u32_e32 v0, v1, v0
	s_wait_loadcnt 0x0
	s_delay_alu instid0(VALU_DEP_1)
	v_mad_u32 v16, v0, v6, v16
	v_mad_u32 v17, v0, v7, v17
	;; [unrolled: 1-line block ×3, first 2 shown]
.LBB234_13:
	s_wait_xcnt 0x0
	s_or_b32 exec_lo, exec_lo, s1
.LBB234_14:
	s_delay_alu instid0(SALU_CYCLE_1)
	s_or_b32 exec_lo, exec_lo, s0
	scratch_load_b32 v0, off, off offset:440
	v_dual_mov_b32 v1, v24 :: v_dual_mov_b32 v2, v25
	v_dual_mov_b32 v3, v22 :: v_dual_mov_b32 v4, v23
	;; [unrolled: 1-line block ×3, first 2 shown]
	s_get_pc_i64 s[0:1]
	s_add_nc_u64 s[0:1], s[0:1], _ZN2at6native6invokeINS0_13BinaryFunctorIN3c1011Float8_e5m2ES4_bNS0_12_GLOBAL__N_116CompareEqFunctorIS4_EEEEj15function_traitsIS8_EEENT1_11result_typeERKT_PrKPcPKT0_PKNS3_10ScalarTypeEi@rel64+4
	scratch_store_b96 off, v[16:18], off
	s_swap_pc_i64 s[30:31], s[0:1]
	s_wait_xcnt 0x0
	v_dual_mov_b32 v17, 0 :: v_dual_bitop2_b32 v0, 1, v0 bitop3:0x40
	s_mov_b32 s1, 0
	s_mov_b32 s3, 0
	s_mov_b32 s2, exec_lo
	s_delay_alu instid0(VALU_DEP_1)
	v_cmp_eq_u32_e32 vcc_lo, 1, v0
	s_clause 0x1
	scratch_load_b64 v[0:1], off, off offset:416
	scratch_load_u8 v2, off, off offset:444
	s_wait_loadcnt 0x1
	v_add_nc_u64_e32 v[0:1], v[0:1], v[16:17]
	s_wait_loadcnt 0x0
	v_cmpx_lt_i16_e32 10, v2
	s_xor_b32 s2, exec_lo, s2
	s_cbranch_execz .LBB234_2195
; %bb.15:
	s_mov_b32 s4, exec_lo
	v_cmpx_lt_i16_e32 25, v2
	s_xor_b32 s4, exec_lo, s4
	s_cbranch_execz .LBB234_51
; %bb.16:
	s_mov_b32 s5, 0
	s_mov_b32 s3, exec_lo
	v_cmpx_lt_i16_e32 28, v2
	s_xor_b32 s3, exec_lo, s3
	s_cbranch_execz .LBB234_34
; %bb.17:
	s_mov_b32 s7, 0
	;; [unrolled: 6-line block ×3, first 2 shown]
	s_mov_b32 s1, exec_lo
	v_cmpx_lt_i16_e32 45, v2
	s_xor_b32 s1, exec_lo, s1
	s_cbranch_execz .LBB234_22
; %bb.19:
	s_mov_b32 s8, -1
	s_mov_b32 s7, exec_lo
	v_cmpx_eq_u16_e32 46, v2
	s_cbranch_execz .LBB234_21
; %bb.20:
	v_cndmask_b32_e64 v2, 0, 1.0, vcc_lo
	s_mov_b32 s6, exec_lo
	s_xor_b32 s8, exec_lo, -1
	s_delay_alu instid0(VALU_DEP_1) | instskip(NEXT) | instid1(VALU_DEP_1)
	v_bfe_u32 v3, v2, 16, 1
	v_add3_u32 v2, v2, v3, 0x7fff
	s_delay_alu instid0(VALU_DEP_1)
	v_lshrrev_b32_e32 v2, 16, v2
	flat_store_b32 v[0:1], v2
.LBB234_21:
	s_wait_xcnt 0x0
	s_or_b32 exec_lo, exec_lo, s7
	s_delay_alu instid0(SALU_CYCLE_1)
	s_and_b32 s7, s8, exec_lo
	s_and_b32 s6, s6, exec_lo
                                        ; implicit-def: $vgpr2
                                        ; implicit-def: $vgpr0_vgpr1
.LBB234_22:
	s_and_not1_saveexec_b32 s8, s1
	s_cbranch_execz .LBB234_28
; %bb.23:
	s_mov_b32 s10, -1
	s_mov_b32 s1, s6
	s_mov_b32 s9, exec_lo
	v_cmpx_eq_u16_e32 44, v2
	s_cbranch_execz .LBB234_27
; %bb.24:
	v_cndmask_b32_e64 v4, 0, 1.0, vcc_lo
	s_mov_b32 s10, exec_lo
	s_delay_alu instid0(VALU_DEP_1) | instskip(NEXT) | instid1(VALU_DEP_1)
	v_dual_mov_b32 v3, 0xff :: v_dual_lshrrev_b32 v2, 23, v4
	v_cmpx_ne_u32_e32 0xff, v2
; %bb.25:
	v_and_b32_e32 v3, 0x400000, v4
	v_and_or_b32 v4, 0x3fffff, v4, v2
	s_delay_alu instid0(VALU_DEP_2) | instskip(NEXT) | instid1(VALU_DEP_2)
	v_cmp_ne_u32_e64 s0, 0, v3
	v_cmp_ne_u32_e64 s1, 0, v4
	s_and_b32 s0, s0, s1
	s_delay_alu instid0(SALU_CYCLE_1) | instskip(NEXT) | instid1(VALU_DEP_1)
	v_cndmask_b32_e64 v3, 0, 1, s0
	v_add_nc_u32_e32 v3, v2, v3
; %bb.26:
	s_or_b32 exec_lo, exec_lo, s10
	s_delay_alu instid0(SALU_CYCLE_1)
	s_xor_b32 s10, exec_lo, -1
	s_or_b32 s1, s6, exec_lo
	flat_store_b8 v[0:1], v3
.LBB234_27:
	s_wait_xcnt 0x0
	s_or_b32 exec_lo, exec_lo, s9
	s_delay_alu instid0(SALU_CYCLE_1)
	s_and_not1_b32 s0, s7, exec_lo
	s_and_b32 s7, s10, exec_lo
	s_and_not1_b32 s6, s6, exec_lo
	s_and_b32 s1, s1, exec_lo
	s_or_b32 s7, s0, s7
	s_or_b32 s6, s6, s1
.LBB234_28:
	s_or_b32 exec_lo, exec_lo, s8
	s_delay_alu instid0(SALU_CYCLE_1)
	s_and_b32 s7, s7, exec_lo
	s_and_b32 s1, s6, exec_lo
                                        ; implicit-def: $vgpr2
                                        ; implicit-def: $vgpr0_vgpr1
.LBB234_29:
	s_and_not1_saveexec_b32 s5, s5
	s_cbranch_execz .LBB234_33
; %bb.30:
	s_mov_b32 s9, -1
	s_mov_b32 s6, s1
	s_mov_b32 s8, exec_lo
	v_cmpx_eq_u16_e32 29, v2
	s_cbranch_execz .LBB234_32
; %bb.31:
	s_mov_b32 s0, 0
	v_cndmask_b32_e64 v2, 0, 1, vcc_lo
	v_mov_b32_e32 v3, s0
	s_xor_b32 s9, exec_lo, -1
	s_or_b32 s6, s1, exec_lo
	flat_store_b64 v[0:1], v[2:3]
.LBB234_32:
	s_wait_xcnt 0x0
	s_or_b32 exec_lo, exec_lo, s8
	s_delay_alu instid0(SALU_CYCLE_1)
	s_and_not1_b32 s0, s7, exec_lo
	s_and_b32 s7, s9, exec_lo
	s_and_not1_b32 s1, s1, exec_lo
	s_and_b32 s6, s6, exec_lo
	s_or_b32 s7, s0, s7
	s_or_b32 s1, s1, s6
.LBB234_33:
	s_or_b32 exec_lo, exec_lo, s5
	s_delay_alu instid0(SALU_CYCLE_1)
	s_and_b32 s5, s7, exec_lo
	s_and_b32 s1, s1, exec_lo
                                        ; implicit-def: $vgpr0_vgpr1
                                        ; implicit-def: $vgpr2
.LBB234_34:
	s_and_not1_saveexec_b32 s3, s3
	s_cbranch_execz .LBB234_50
; %bb.35:
	s_mov_b32 s6, exec_lo
	v_cmpx_lt_i16_e32 26, v2
	s_xor_b32 s6, exec_lo, s6
	s_cbranch_execz .LBB234_41
; %bb.36:
	v_cmp_lt_i16_e64 s0, 27, v2
	s_and_saveexec_b32 s7, s0
	s_delay_alu instid0(SALU_CYCLE_1)
	s_xor_b32 s0, exec_lo, s7
	s_cbranch_execz .LBB234_38
; %bb.37:
	v_cndmask_b32_e64 v2, 0, 1, vcc_lo
	flat_store_b32 v[0:1], v2
                                        ; implicit-def: $vgpr0_vgpr1
.LBB234_38:
	s_wait_xcnt 0x0
	s_and_not1_saveexec_b32 s0, s0
	s_cbranch_execz .LBB234_40
; %bb.39:
	v_cndmask_b32_e64 v2, 0, 1, vcc_lo
	flat_store_b16 v[0:1], v2
.LBB234_40:
	s_wait_xcnt 0x0
	s_or_b32 exec_lo, exec_lo, s0
                                        ; implicit-def: $vgpr0_vgpr1
.LBB234_41:
	s_and_not1_saveexec_b32 s6, s6
	s_cbranch_execz .LBB234_49
; %bb.42:
	v_cndmask_b32_e64 v3, 0, 1.0, vcc_lo
	v_mov_b32_e32 v4, 0x80
	s_mov_b32 s7, exec_lo
	s_delay_alu instid0(VALU_DEP_2)
	v_cmpx_gt_u32_e32 0x43800000, v3
	s_cbranch_execz .LBB234_48
; %bb.43:
	v_cmp_lt_u32_e64 s0, 0x3bffffff, v3
	s_mov_b32 s8, 0
                                        ; implicit-def: $vgpr2
	s_and_saveexec_b32 s9, s0
	s_delay_alu instid0(SALU_CYCLE_1)
	s_xor_b32 s0, exec_lo, s9
	s_cbranch_execz .LBB234_2582
; %bb.44:
	v_bfe_u32 v2, v3, 20, 1
	s_mov_b32 s8, exec_lo
	s_delay_alu instid0(VALU_DEP_1) | instskip(NEXT) | instid1(VALU_DEP_1)
	v_add3_u32 v2, v3, v2, 0x487ffff
                                        ; implicit-def: $vgpr3
	v_lshrrev_b32_e32 v2, 20, v2
	s_and_not1_saveexec_b32 s9, s0
	s_cbranch_execnz .LBB234_2583
.LBB234_45:
	s_or_b32 exec_lo, exec_lo, s9
	v_mov_b32_e32 v4, 0
	s_and_saveexec_b32 s0, s8
.LBB234_46:
	v_mov_b32_e32 v4, v2
.LBB234_47:
	s_or_b32 exec_lo, exec_lo, s0
.LBB234_48:
	s_delay_alu instid0(SALU_CYCLE_1)
	s_or_b32 exec_lo, exec_lo, s7
	flat_store_b8 v[0:1], v4
.LBB234_49:
	s_wait_xcnt 0x0
	s_or_b32 exec_lo, exec_lo, s6
	s_delay_alu instid0(SALU_CYCLE_1)
	s_or_b32 s1, s1, exec_lo
.LBB234_50:
	s_or_b32 exec_lo, exec_lo, s3
	s_delay_alu instid0(SALU_CYCLE_1)
	s_and_b32 s3, s5, exec_lo
	s_and_b32 s1, s1, exec_lo
                                        ; implicit-def: $vgpr2
                                        ; implicit-def: $vgpr0_vgpr1
.LBB234_51:
	s_and_not1_saveexec_b32 s4, s4
	s_cbranch_execz .LBB234_95
; %bb.52:
	s_mov_b32 s6, s1
	s_mov_b32 s5, exec_lo
	v_cmpx_lt_i16_e32 22, v2
	s_xor_b32 s5, exec_lo, s5
	s_cbranch_execz .LBB234_84
; %bb.53:
	s_mov_b32 s6, exec_lo
	v_cmpx_lt_i16_e32 23, v2
	s_xor_b32 s6, exec_lo, s6
	s_cbranch_execz .LBB234_73
; %bb.54:
	;; [unrolled: 5-line block ×3, first 2 shown]
	v_cndmask_b32_e64 v3, 0, 1.0, vcc_lo
	v_mov_b32_e32 v4, 0x80
	s_mov_b32 s8, exec_lo
	s_delay_alu instid0(VALU_DEP_2)
	v_cmpx_gt_u32_e32 0x47800000, v3
	s_cbranch_execz .LBB234_61
; %bb.56:
	v_cmp_lt_u32_e64 s0, 0x37ffffff, v3
	s_mov_b32 s9, 0
                                        ; implicit-def: $vgpr2
	s_and_saveexec_b32 s10, s0
	s_delay_alu instid0(SALU_CYCLE_1)
	s_xor_b32 s0, exec_lo, s10
	s_cbranch_execz .LBB234_2639
; %bb.57:
	v_bfe_u32 v2, v3, 21, 1
	s_mov_b32 s9, exec_lo
	s_delay_alu instid0(VALU_DEP_1) | instskip(NEXT) | instid1(VALU_DEP_1)
	v_add3_u32 v2, v3, v2, 0x88fffff
                                        ; implicit-def: $vgpr3
	v_lshrrev_b32_e32 v2, 21, v2
	s_and_not1_saveexec_b32 s10, s0
	s_cbranch_execnz .LBB234_2640
.LBB234_58:
	s_or_b32 exec_lo, exec_lo, s10
	v_mov_b32_e32 v4, 0
	s_and_saveexec_b32 s0, s9
.LBB234_59:
	v_mov_b32_e32 v4, v2
.LBB234_60:
	s_or_b32 exec_lo, exec_lo, s0
.LBB234_61:
	s_delay_alu instid0(SALU_CYCLE_1)
	s_or_b32 exec_lo, exec_lo, s8
	flat_store_b8 v[0:1], v4
                                        ; implicit-def: $vgpr0_vgpr1
.LBB234_62:
	s_wait_xcnt 0x0
	s_and_not1_saveexec_b32 s7, s7
	s_cbranch_execz .LBB234_72
; %bb.63:
	v_cndmask_b32_e64 v3, 0, 1.0, vcc_lo
	s_mov_b32 s8, exec_lo
                                        ; implicit-def: $vgpr2
	s_delay_alu instid0(VALU_DEP_1)
	v_cmpx_gt_u32_e32 0x43f00000, v3
	s_xor_b32 s8, exec_lo, s8
	s_cbranch_execz .LBB234_69
; %bb.64:
	s_mov_b32 s9, exec_lo
                                        ; implicit-def: $vgpr2
	v_cmpx_lt_u32_e32 0x3c7fffff, v3
	s_xor_b32 s9, exec_lo, s9
; %bb.65:
	v_bfe_u32 v2, v3, 20, 1
	s_delay_alu instid0(VALU_DEP_1) | instskip(NEXT) | instid1(VALU_DEP_1)
	v_add3_u32 v2, v3, v2, 0x407ffff
	v_and_b32_e32 v3, 0xff00000, v2
	v_lshrrev_b32_e32 v2, 20, v2
	s_delay_alu instid0(VALU_DEP_2) | instskip(NEXT) | instid1(VALU_DEP_1)
	v_cmp_ne_u32_e64 s0, 0x7f00000, v3
                                        ; implicit-def: $vgpr3
	v_cndmask_b32_e64 v2, 0x7e, v2, s0
; %bb.66:
	s_and_not1_saveexec_b32 s0, s9
; %bb.67:
	v_add_f32_e32 v2, 0x46800000, v3
; %bb.68:
	s_or_b32 exec_lo, exec_lo, s0
                                        ; implicit-def: $vgpr3
.LBB234_69:
	s_and_not1_saveexec_b32 s8, s8
; %bb.70:
	v_mov_b32_e32 v2, 0x7f
	v_cmp_lt_u32_e64 s0, 0x7f800000, v3
	s_delay_alu instid0(VALU_DEP_1)
	v_cndmask_b32_e64 v2, 0x7e, v2, s0
; %bb.71:
	s_or_b32 exec_lo, exec_lo, s8
	flat_store_b8 v[0:1], v2
.LBB234_72:
	s_wait_xcnt 0x0
	s_or_b32 exec_lo, exec_lo, s7
                                        ; implicit-def: $vgpr0_vgpr1
.LBB234_73:
	s_and_not1_saveexec_b32 s6, s6
	s_cbranch_execz .LBB234_83
; %bb.74:
	v_cndmask_b32_e64 v3, 0, 1.0, vcc_lo
	s_mov_b32 s7, exec_lo
                                        ; implicit-def: $vgpr2
	s_delay_alu instid0(VALU_DEP_1)
	v_cmpx_gt_u32_e32 0x47800000, v3
	s_xor_b32 s7, exec_lo, s7
	s_cbranch_execz .LBB234_80
; %bb.75:
	v_cmp_lt_u32_e64 s0, 0x387fffff, v3
                                        ; implicit-def: $vgpr2
	s_and_saveexec_b32 s8, s0
	s_delay_alu instid0(SALU_CYCLE_1)
	s_xor_b32 s0, exec_lo, s8
; %bb.76:
	v_bfe_u32 v2, v3, 21, 1
	s_delay_alu instid0(VALU_DEP_1) | instskip(NEXT) | instid1(VALU_DEP_1)
	v_add3_u32 v2, v3, v2, 0x80fffff
                                        ; implicit-def: $vgpr3
	v_lshrrev_b32_e32 v2, 21, v2
; %bb.77:
	s_and_not1_saveexec_b32 s0, s0
; %bb.78:
	v_add_f32_e32 v2, 0x43000000, v3
; %bb.79:
	s_or_b32 exec_lo, exec_lo, s0
                                        ; implicit-def: $vgpr3
.LBB234_80:
	s_and_not1_saveexec_b32 s7, s7
; %bb.81:
	v_mov_b32_e32 v2, 0x7f
	v_cmp_lt_u32_e64 s0, 0x7f800000, v3
	s_delay_alu instid0(VALU_DEP_1)
	v_cndmask_b32_e64 v2, 0x7c, v2, s0
; %bb.82:
	s_or_b32 exec_lo, exec_lo, s7
	flat_store_b8 v[0:1], v2
.LBB234_83:
	s_wait_xcnt 0x0
	s_or_b32 exec_lo, exec_lo, s6
	s_delay_alu instid0(SALU_CYCLE_1)
	s_or_b32 s6, s1, exec_lo
                                        ; implicit-def: $vgpr2
                                        ; implicit-def: $vgpr0_vgpr1
.LBB234_84:
	s_or_saveexec_b32 s5, s5
	s_mov_b32 s0, s3
	s_xor_b32 exec_lo, exec_lo, s5
	s_cbranch_execz .LBB234_94
; %bb.85:
	s_mov_b32 s7, s6
	s_mov_b32 s8, s3
	s_mov_b32 s9, exec_lo
	v_cmpx_lt_i16_e32 14, v2
	s_xor_b32 s9, exec_lo, s9
	s_cbranch_execz .LBB234_89
; %bb.86:
	s_mov_b32 s8, -1
	s_mov_b32 s7, s6
	s_mov_b32 s10, exec_lo
	v_cmpx_eq_u16_e32 15, v2
	s_cbranch_execz .LBB234_88
; %bb.87:
	v_cndmask_b32_e64 v2, 0, 1.0, vcc_lo
	s_xor_b32 s8, exec_lo, -1
	s_or_b32 s7, s6, exec_lo
	s_delay_alu instid0(VALU_DEP_1) | instskip(NEXT) | instid1(VALU_DEP_1)
	v_bfe_u32 v3, v2, 16, 1
	v_add3_u32 v2, v2, v3, 0x7fff
	flat_store_d16_hi_b16 v[0:1], v2
.LBB234_88:
	s_wait_xcnt 0x0
	s_or_b32 exec_lo, exec_lo, s10
	s_delay_alu instid0(SALU_CYCLE_1)
	s_and_not1_b32 s0, s3, exec_lo
	s_and_b32 s8, s8, exec_lo
	s_and_not1_b32 s10, s6, exec_lo
	s_and_b32 s7, s7, exec_lo
	s_or_b32 s8, s0, s8
	s_or_b32 s7, s10, s7
                                        ; implicit-def: $vgpr2
                                        ; implicit-def: $vgpr0_vgpr1
.LBB234_89:
	s_and_not1_saveexec_b32 s9, s9
	s_cbranch_execz .LBB234_93
; %bb.90:
	s_mov_b32 s11, -1
	s_mov_b32 s10, s7
	s_mov_b32 s12, exec_lo
	v_cmpx_eq_u16_e32 11, v2
	s_cbranch_execz .LBB234_92
; %bb.91:
	v_cndmask_b32_e64 v2, 0, 1, vcc_lo
	s_xor_b32 s11, exec_lo, -1
	s_or_b32 s10, s7, exec_lo
	flat_store_b8 v[0:1], v2
.LBB234_92:
	s_wait_xcnt 0x0
	s_or_b32 exec_lo, exec_lo, s12
	s_delay_alu instid0(SALU_CYCLE_1)
	s_and_not1_b32 s0, s8, exec_lo
	s_and_b32 s8, s11, exec_lo
	s_and_not1_b32 s7, s7, exec_lo
	s_and_b32 s10, s10, exec_lo
	s_or_b32 s8, s0, s8
	s_or_b32 s7, s7, s10
.LBB234_93:
	s_or_b32 exec_lo, exec_lo, s9
	s_delay_alu instid0(SALU_CYCLE_1)
	s_and_not1_b32 s0, s3, exec_lo
	s_and_b32 s8, s8, exec_lo
	s_and_not1_b32 s6, s6, exec_lo
	s_and_b32 s7, s7, exec_lo
	s_or_b32 s0, s0, s8
	s_or_b32 s6, s6, s7
.LBB234_94:
	s_or_b32 exec_lo, exec_lo, s5
	s_delay_alu instid0(SALU_CYCLE_1)
	s_and_not1_b32 s3, s3, exec_lo
	s_and_b32 s0, s0, exec_lo
	s_and_not1_b32 s1, s1, exec_lo
	s_and_b32 s5, s6, exec_lo
	s_or_b32 s3, s3, s0
	s_or_b32 s1, s1, s5
.LBB234_95:
	s_or_b32 exec_lo, exec_lo, s4
	s_delay_alu instid0(SALU_CYCLE_1)
	s_and_b32 s3, s3, exec_lo
	s_and_b32 s1, s1, exec_lo
                                        ; implicit-def: $vgpr2
                                        ; implicit-def: $vgpr0_vgpr1
	s_and_not1_saveexec_b32 s2, s2
	s_cbranch_execnz .LBB234_2196
.LBB234_96:
	s_or_b32 exec_lo, exec_lo, s2
	s_mov_b32 s0, 0
	s_and_saveexec_b32 s2, s1
.LBB234_97:
	v_add_nc_u32_e32 v15, 0x80, v15
	s_mov_b32 s0, exec_lo
.LBB234_98:
	s_or_b32 exec_lo, exec_lo, s2
	s_delay_alu instid0(SALU_CYCLE_1)
	s_and_b32 s14, s3, exec_lo
	s_or_not1_b32 s2, s0, exec_lo
.LBB234_99:
	s_or_b32 exec_lo, exec_lo, s17
	s_mov_b32 s4, 0
	s_mov_b32 s0, 0
                                        ; implicit-def: $sgpr1
                                        ; implicit-def: $vgpr4
                                        ; implicit-def: $vgpr0_vgpr1
	s_and_saveexec_b32 s17, s2
	s_cbranch_execz .LBB234_397
; %bb.100:
	s_mov_b32 s0, -1
	s_mov_b32 s18, s14
	s_mov_b32 s19, exec_lo
	v_cmpx_gt_i32_e64 s28, v15
	s_cbranch_execz .LBB234_198
; %bb.101:
	scratch_load_b32 v0, off, off offset:24
	s_mov_b32 s0, exec_lo
                                        ; implicit-def: $vgpr17
	s_wait_loadcnt 0x0
	v_add_nc_u32_e32 v1, -1, v0
	s_wait_xcnt 0x0
	s_delay_alu instid0(VALU_DEP_1)
	v_cmpx_lt_u32_e32 1, v1
	s_xor_b32 s0, exec_lo, s0
	s_cbranch_execz .LBB234_109
; %bb.102:
	v_dual_mov_b32 v17, 0 :: v_dual_mov_b32 v16, 0
	v_mov_b32_e32 v18, 0
	s_mov_b32 s1, exec_lo
	v_cmpx_ne_u32_e32 0, v0
	s_cbranch_execz .LBB234_108
; %bb.103:
	v_min_u32_e32 v1, 15, v1
	v_dual_mov_b32 v16, 0 :: v_dual_mov_b32 v17, 0
	s_sub_co_i32 s3, 24, 24
	s_mov_b32 s2, 0
	s_delay_alu instid0(VALU_DEP_2) | instskip(NEXT) | instid1(VALU_DEP_1)
	v_dual_add_nc_u32 v0, 1, v1 :: v_dual_mov_b32 v18, 0
	v_dual_mov_b32 v0, v15 :: v_dual_bitop2_b32 v2, 30, v0 bitop3:0x40
.LBB234_104:                            ; =>This Inner Loop Header: Depth=1
	s_clause 0x3
	scratch_load_b128 v[4:7], off, s3 offset:28
	scratch_load_b64 v[26:27], off, s3 offset:44
	scratch_load_b96 v[8:10], off, s3 offset:220
	scratch_load_b96 v[12:14], off, s3 offset:232
	s_wait_xcnt 0x0
	s_add_co_i32 s3, s3, 24
	v_add_nc_u32_e32 v2, -2, v2
	s_delay_alu instid0(VALU_DEP_1) | instskip(SKIP_3) | instid1(VALU_DEP_1)
	v_cmp_eq_u32_e32 vcc_lo, 0, v2
	s_or_b32 s2, vcc_lo, s2
	s_wait_loadcnt 0x3
	v_mul_hi_u32 v3, v5, v0
	v_add_nc_u32_e32 v3, v0, v3
	s_delay_alu instid0(VALU_DEP_1) | instskip(SKIP_1) | instid1(VALU_DEP_1)
	v_lshrrev_b32_e32 v3, v6, v3
	s_wait_loadcnt 0x2
	v_mul_hi_u32 v5, v26, v3
	v_mul_lo_u32 v4, v3, v4
	s_delay_alu instid0(VALU_DEP_1) | instskip(NEXT) | instid1(VALU_DEP_1)
	v_dual_add_nc_u32 v5, v3, v5 :: v_dual_sub_nc_u32 v4, v0, v4
	v_lshrrev_b32_e32 v0, v27, v5
	s_wait_loadcnt 0x1
	s_delay_alu instid0(VALU_DEP_2) | instskip(NEXT) | instid1(VALU_DEP_2)
	v_mad_u32 v6, v4, v9, v17
	v_mul_lo_u32 v5, v0, v7
	v_mad_u32 v7, v4, v8, v16
	v_mad_u32 v4, v4, v10, v18
	s_delay_alu instid0(VALU_DEP_3) | instskip(SKIP_1) | instid1(VALU_DEP_1)
	v_sub_nc_u32_e32 v3, v3, v5
	s_wait_loadcnt 0x0
	v_mad_u32 v17, v3, v13, v6
	s_delay_alu instid0(VALU_DEP_4) | instskip(NEXT) | instid1(VALU_DEP_4)
	v_mad_u32 v16, v3, v12, v7
	v_mad_u32 v18, v3, v14, v4
	v_mov_b32_e32 v3, s3
	s_and_not1_b32 exec_lo, exec_lo, s2
	s_cbranch_execnz .LBB234_104
; %bb.105:
	s_or_b32 exec_lo, exec_lo, s2
	v_and_b32_e32 v1, 1, v1
	s_mov_b32 s2, exec_lo
	s_delay_alu instid0(VALU_DEP_1)
	v_cmpx_eq_u32_e32 0, v1
	s_cbranch_execz .LBB234_107
; %bb.106:
	s_clause 0x1
	scratch_load_b96 v[4:6], v3, off offset:28
	scratch_load_b96 v[8:10], v3, off offset:220
	s_wait_loadcnt 0x1
	v_mul_hi_u32 v1, v5, v0
	s_delay_alu instid0(VALU_DEP_1) | instskip(NEXT) | instid1(VALU_DEP_1)
	v_add_nc_u32_e32 v1, v0, v1
	v_lshrrev_b32_e32 v1, v6, v1
	s_delay_alu instid0(VALU_DEP_1) | instskip(NEXT) | instid1(VALU_DEP_1)
	v_mul_lo_u32 v1, v1, v4
	v_sub_nc_u32_e32 v0, v0, v1
	s_wait_loadcnt 0x0
	s_delay_alu instid0(VALU_DEP_1)
	v_mad_u32 v16, v0, v8, v16
	v_mad_u32 v17, v0, v9, v17
	;; [unrolled: 1-line block ×3, first 2 shown]
.LBB234_107:
	s_wait_xcnt 0x0
	s_or_b32 exec_lo, exec_lo, s2
.LBB234_108:
	s_delay_alu instid0(SALU_CYCLE_1)
	s_or_b32 exec_lo, exec_lo, s1
                                        ; implicit-def: $vgpr0
.LBB234_109:
	s_and_not1_saveexec_b32 s0, s0
	s_cbranch_execz .LBB234_113
; %bb.110:
	s_clause 0x1
	scratch_load_b96 v[2:4], off, off offset:28
	scratch_load_b96 v[6:8], off, off offset:220
	s_mov_b32 s1, exec_lo
	s_wait_loadcnt 0x1
	v_mul_hi_u32 v1, v3, v15
	s_delay_alu instid0(VALU_DEP_1) | instskip(NEXT) | instid1(VALU_DEP_1)
	v_add_nc_u32_e32 v1, v15, v1
	v_lshrrev_b32_e32 v1, v4, v1
	s_delay_alu instid0(VALU_DEP_1) | instskip(NEXT) | instid1(VALU_DEP_1)
	v_mul_lo_u32 v2, v1, v2
	v_sub_nc_u32_e32 v2, v15, v2
	s_wait_loadcnt 0x0
	s_delay_alu instid0(VALU_DEP_1)
	v_mul_lo_u32 v17, v2, v7
	v_mul_lo_u32 v16, v2, v6
	;; [unrolled: 1-line block ×3, first 2 shown]
	s_wait_xcnt 0x0
	v_cmpx_lt_u32_e32 1, v0
	s_cbranch_execz .LBB234_112
; %bb.111:
	s_clause 0x1
	scratch_load_b96 v[2:4], off, off offset:40
	scratch_load_b96 v[6:8], off, off offset:232
	s_wait_loadcnt 0x1
	v_mul_hi_u32 v0, v3, v1
	s_delay_alu instid0(VALU_DEP_1) | instskip(NEXT) | instid1(VALU_DEP_1)
	v_add_nc_u32_e32 v0, v1, v0
	v_lshrrev_b32_e32 v0, v4, v0
	s_delay_alu instid0(VALU_DEP_1) | instskip(NEXT) | instid1(VALU_DEP_1)
	v_mul_lo_u32 v0, v0, v2
	v_sub_nc_u32_e32 v0, v1, v0
	s_wait_loadcnt 0x0
	s_delay_alu instid0(VALU_DEP_1)
	v_mad_u32 v16, v0, v6, v16
	v_mad_u32 v17, v0, v7, v17
	;; [unrolled: 1-line block ×3, first 2 shown]
.LBB234_112:
	s_wait_xcnt 0x0
	s_or_b32 exec_lo, exec_lo, s1
.LBB234_113:
	s_delay_alu instid0(SALU_CYCLE_1)
	s_or_b32 exec_lo, exec_lo, s0
	scratch_load_b32 v0, off, off offset:440
	v_dual_mov_b32 v1, v24 :: v_dual_mov_b32 v2, v25
	v_dual_mov_b32 v3, v22 :: v_dual_mov_b32 v4, v23
	;; [unrolled: 1-line block ×3, first 2 shown]
	s_get_pc_i64 s[0:1]
	s_add_nc_u64 s[0:1], s[0:1], _ZN2at6native6invokeINS0_13BinaryFunctorIN3c1011Float8_e5m2ES4_bNS0_12_GLOBAL__N_116CompareEqFunctorIS4_EEEEj15function_traitsIS8_EEENT1_11result_typeERKT_PrKPcPKT0_PKNS3_10ScalarTypeEi@rel64+4
	scratch_store_b96 off, v[16:18], off
	s_swap_pc_i64 s[30:31], s[0:1]
	s_wait_xcnt 0x0
	v_dual_mov_b32 v17, 0 :: v_dual_bitop2_b32 v0, 1, v0 bitop3:0x40
	s_mov_b32 s1, 0
	s_mov_b32 s3, s14
	s_mov_b32 s2, exec_lo
	s_delay_alu instid0(VALU_DEP_1)
	v_cmp_eq_u32_e32 vcc_lo, 1, v0
	s_clause 0x1
	scratch_load_b64 v[0:1], off, off offset:416
	scratch_load_u8 v2, off, off offset:444
	s_wait_loadcnt 0x1
	v_add_nc_u64_e32 v[0:1], v[0:1], v[16:17]
	s_wait_loadcnt 0x0
	v_cmpx_lt_i16_e32 10, v2
	s_xor_b32 s2, exec_lo, s2
	s_cbranch_execz .LBB234_2288
; %bb.114:
	s_mov_b32 s3, s14
	s_mov_b32 s4, exec_lo
	v_cmpx_lt_i16_e32 25, v2
	s_xor_b32 s4, exec_lo, s4
	s_cbranch_execz .LBB234_150
; %bb.115:
	s_mov_b32 s5, s14
	s_mov_b32 s3, exec_lo
	;; [unrolled: 6-line block ×3, first 2 shown]
	v_cmpx_lt_i16_e32 43, v2
	s_xor_b32 s5, exec_lo, s5
	s_cbranch_execz .LBB234_128
; %bb.117:
	s_mov_b32 s6, 0
	s_mov_b32 s7, s14
	s_mov_b32 s1, exec_lo
	v_cmpx_lt_i16_e32 45, v2
	s_xor_b32 s1, exec_lo, s1
	s_cbranch_execz .LBB234_121
; %bb.118:
	s_mov_b32 s8, -1
	s_mov_b32 s7, exec_lo
	v_cmpx_eq_u16_e32 46, v2
	s_cbranch_execz .LBB234_120
; %bb.119:
	v_cndmask_b32_e64 v2, 0, 1.0, vcc_lo
	s_mov_b32 s6, exec_lo
	s_xor_b32 s8, exec_lo, -1
	s_delay_alu instid0(VALU_DEP_1) | instskip(NEXT) | instid1(VALU_DEP_1)
	v_bfe_u32 v3, v2, 16, 1
	v_add3_u32 v2, v2, v3, 0x7fff
	s_delay_alu instid0(VALU_DEP_1)
	v_lshrrev_b32_e32 v2, 16, v2
	flat_store_b32 v[0:1], v2
.LBB234_120:
	s_wait_xcnt 0x0
	s_or_b32 exec_lo, exec_lo, s7
	s_delay_alu instid0(SALU_CYCLE_1)
	s_and_not1_b32 s0, s14, exec_lo
	s_and_b32 s7, s8, exec_lo
	s_and_b32 s6, s6, exec_lo
	s_or_b32 s7, s0, s7
                                        ; implicit-def: $vgpr2
                                        ; implicit-def: $vgpr0_vgpr1
.LBB234_121:
	s_and_not1_saveexec_b32 s8, s1
	s_cbranch_execz .LBB234_127
; %bb.122:
	s_mov_b32 s10, -1
	s_mov_b32 s1, s6
	s_mov_b32 s9, exec_lo
	v_cmpx_eq_u16_e32 44, v2
	s_cbranch_execz .LBB234_126
; %bb.123:
	v_cndmask_b32_e64 v4, 0, 1.0, vcc_lo
	s_mov_b32 s10, exec_lo
	s_delay_alu instid0(VALU_DEP_1) | instskip(NEXT) | instid1(VALU_DEP_1)
	v_dual_mov_b32 v3, 0xff :: v_dual_lshrrev_b32 v2, 23, v4
	v_cmpx_ne_u32_e32 0xff, v2
; %bb.124:
	v_and_b32_e32 v3, 0x400000, v4
	v_and_or_b32 v4, 0x3fffff, v4, v2
	s_delay_alu instid0(VALU_DEP_2) | instskip(NEXT) | instid1(VALU_DEP_2)
	v_cmp_ne_u32_e64 s0, 0, v3
	v_cmp_ne_u32_e64 s1, 0, v4
	s_and_b32 s0, s0, s1
	s_delay_alu instid0(SALU_CYCLE_1) | instskip(NEXT) | instid1(VALU_DEP_1)
	v_cndmask_b32_e64 v3, 0, 1, s0
	v_add_nc_u32_e32 v3, v2, v3
; %bb.125:
	s_or_b32 exec_lo, exec_lo, s10
	s_delay_alu instid0(SALU_CYCLE_1)
	s_xor_b32 s10, exec_lo, -1
	s_or_b32 s1, s6, exec_lo
	flat_store_b8 v[0:1], v3
.LBB234_126:
	s_wait_xcnt 0x0
	s_or_b32 exec_lo, exec_lo, s9
	s_delay_alu instid0(SALU_CYCLE_1)
	s_and_not1_b32 s0, s7, exec_lo
	s_and_b32 s7, s10, exec_lo
	s_and_not1_b32 s6, s6, exec_lo
	s_and_b32 s1, s1, exec_lo
	s_or_b32 s7, s0, s7
	s_or_b32 s6, s6, s1
.LBB234_127:
	s_or_b32 exec_lo, exec_lo, s8
	s_delay_alu instid0(SALU_CYCLE_1) | instskip(SKIP_1) | instid1(SALU_CYCLE_1)
	s_and_not1_b32 s0, s14, exec_lo
	s_and_b32 s1, s7, exec_lo
                                        ; implicit-def: $vgpr2
                                        ; implicit-def: $vgpr0_vgpr1
	s_or_b32 s7, s0, s1
	s_and_b32 s1, s6, exec_lo
.LBB234_128:
	s_and_not1_saveexec_b32 s5, s5
	s_cbranch_execz .LBB234_132
; %bb.129:
	s_mov_b32 s9, -1
	s_mov_b32 s6, s1
	s_mov_b32 s8, exec_lo
	v_cmpx_eq_u16_e32 29, v2
	s_cbranch_execz .LBB234_131
; %bb.130:
	s_mov_b32 s0, 0
	v_cndmask_b32_e64 v2, 0, 1, vcc_lo
	v_mov_b32_e32 v3, s0
	s_xor_b32 s9, exec_lo, -1
	s_or_b32 s6, s1, exec_lo
	flat_store_b64 v[0:1], v[2:3]
.LBB234_131:
	s_wait_xcnt 0x0
	s_or_b32 exec_lo, exec_lo, s8
	s_delay_alu instid0(SALU_CYCLE_1)
	s_and_not1_b32 s0, s7, exec_lo
	s_and_b32 s7, s9, exec_lo
	s_and_not1_b32 s1, s1, exec_lo
	s_and_b32 s6, s6, exec_lo
	s_or_b32 s7, s0, s7
	s_or_b32 s1, s1, s6
.LBB234_132:
	s_or_b32 exec_lo, exec_lo, s5
	s_delay_alu instid0(SALU_CYCLE_1)
	s_and_not1_b32 s0, s14, exec_lo
	s_and_b32 s5, s7, exec_lo
	s_and_b32 s1, s1, exec_lo
	s_or_b32 s5, s0, s5
                                        ; implicit-def: $vgpr0_vgpr1
                                        ; implicit-def: $vgpr2
.LBB234_133:
	s_and_not1_saveexec_b32 s3, s3
	s_cbranch_execz .LBB234_149
; %bb.134:
	s_mov_b32 s6, exec_lo
	v_cmpx_lt_i16_e32 26, v2
	s_xor_b32 s6, exec_lo, s6
	s_cbranch_execz .LBB234_140
; %bb.135:
	v_cmp_lt_i16_e64 s0, 27, v2
	s_and_saveexec_b32 s7, s0
	s_delay_alu instid0(SALU_CYCLE_1)
	s_xor_b32 s0, exec_lo, s7
	s_cbranch_execz .LBB234_137
; %bb.136:
	v_cndmask_b32_e64 v2, 0, 1, vcc_lo
	flat_store_b32 v[0:1], v2
                                        ; implicit-def: $vgpr0_vgpr1
.LBB234_137:
	s_wait_xcnt 0x0
	s_and_not1_saveexec_b32 s0, s0
	s_cbranch_execz .LBB234_139
; %bb.138:
	v_cndmask_b32_e64 v2, 0, 1, vcc_lo
	flat_store_b16 v[0:1], v2
.LBB234_139:
	s_wait_xcnt 0x0
	s_or_b32 exec_lo, exec_lo, s0
                                        ; implicit-def: $vgpr0_vgpr1
.LBB234_140:
	s_and_not1_saveexec_b32 s6, s6
	s_cbranch_execz .LBB234_148
; %bb.141:
	v_cndmask_b32_e64 v3, 0, 1.0, vcc_lo
	v_mov_b32_e32 v4, 0x80
	s_mov_b32 s7, exec_lo
	s_delay_alu instid0(VALU_DEP_2)
	v_cmpx_gt_u32_e32 0x43800000, v3
	s_cbranch_execz .LBB234_147
; %bb.142:
	v_cmp_lt_u32_e64 s0, 0x3bffffff, v3
	s_mov_b32 s8, 0
                                        ; implicit-def: $vgpr2
	s_and_saveexec_b32 s9, s0
	s_delay_alu instid0(SALU_CYCLE_1)
	s_xor_b32 s0, exec_lo, s9
	s_cbranch_execz .LBB234_2641
; %bb.143:
	v_bfe_u32 v2, v3, 20, 1
	s_mov_b32 s8, exec_lo
	s_delay_alu instid0(VALU_DEP_1) | instskip(NEXT) | instid1(VALU_DEP_1)
	v_add3_u32 v2, v3, v2, 0x487ffff
                                        ; implicit-def: $vgpr3
	v_lshrrev_b32_e32 v2, 20, v2
	s_and_not1_saveexec_b32 s9, s0
	s_cbranch_execnz .LBB234_2642
.LBB234_144:
	s_or_b32 exec_lo, exec_lo, s9
	v_mov_b32_e32 v4, 0
	s_and_saveexec_b32 s0, s8
.LBB234_145:
	v_mov_b32_e32 v4, v2
.LBB234_146:
	s_or_b32 exec_lo, exec_lo, s0
.LBB234_147:
	s_delay_alu instid0(SALU_CYCLE_1)
	s_or_b32 exec_lo, exec_lo, s7
	flat_store_b8 v[0:1], v4
.LBB234_148:
	s_wait_xcnt 0x0
	s_or_b32 exec_lo, exec_lo, s6
	s_delay_alu instid0(SALU_CYCLE_1)
	s_or_b32 s1, s1, exec_lo
.LBB234_149:
	s_or_b32 exec_lo, exec_lo, s3
	s_delay_alu instid0(SALU_CYCLE_1)
	s_and_not1_b32 s0, s14, exec_lo
	s_and_b32 s3, s5, exec_lo
	s_and_b32 s1, s1, exec_lo
	s_or_b32 s3, s0, s3
                                        ; implicit-def: $vgpr2
                                        ; implicit-def: $vgpr0_vgpr1
.LBB234_150:
	s_and_not1_saveexec_b32 s4, s4
	s_cbranch_execz .LBB234_194
; %bb.151:
	s_mov_b32 s6, s1
	s_mov_b32 s5, exec_lo
	v_cmpx_lt_i16_e32 22, v2
	s_xor_b32 s5, exec_lo, s5
	s_cbranch_execz .LBB234_183
; %bb.152:
	s_mov_b32 s6, exec_lo
	v_cmpx_lt_i16_e32 23, v2
	s_xor_b32 s6, exec_lo, s6
	s_cbranch_execz .LBB234_172
; %bb.153:
	;; [unrolled: 5-line block ×3, first 2 shown]
	v_cndmask_b32_e64 v3, 0, 1.0, vcc_lo
	v_mov_b32_e32 v4, 0x80
	s_mov_b32 s8, exec_lo
	s_delay_alu instid0(VALU_DEP_2)
	v_cmpx_gt_u32_e32 0x47800000, v3
	s_cbranch_execz .LBB234_160
; %bb.155:
	v_cmp_lt_u32_e64 s0, 0x37ffffff, v3
	s_mov_b32 s9, 0
                                        ; implicit-def: $vgpr2
	s_and_saveexec_b32 s10, s0
	s_delay_alu instid0(SALU_CYCLE_1)
	s_xor_b32 s0, exec_lo, s10
	s_cbranch_execz .LBB234_2690
; %bb.156:
	v_bfe_u32 v2, v3, 21, 1
	s_mov_b32 s9, exec_lo
	s_delay_alu instid0(VALU_DEP_1) | instskip(NEXT) | instid1(VALU_DEP_1)
	v_add3_u32 v2, v3, v2, 0x88fffff
                                        ; implicit-def: $vgpr3
	v_lshrrev_b32_e32 v2, 21, v2
	s_and_not1_saveexec_b32 s10, s0
	s_cbranch_execnz .LBB234_2691
.LBB234_157:
	s_or_b32 exec_lo, exec_lo, s10
	v_mov_b32_e32 v4, 0
	s_and_saveexec_b32 s0, s9
.LBB234_158:
	v_mov_b32_e32 v4, v2
.LBB234_159:
	s_or_b32 exec_lo, exec_lo, s0
.LBB234_160:
	s_delay_alu instid0(SALU_CYCLE_1)
	s_or_b32 exec_lo, exec_lo, s8
	flat_store_b8 v[0:1], v4
                                        ; implicit-def: $vgpr0_vgpr1
.LBB234_161:
	s_wait_xcnt 0x0
	s_and_not1_saveexec_b32 s7, s7
	s_cbranch_execz .LBB234_171
; %bb.162:
	v_cndmask_b32_e64 v3, 0, 1.0, vcc_lo
	s_mov_b32 s8, exec_lo
                                        ; implicit-def: $vgpr2
	s_delay_alu instid0(VALU_DEP_1)
	v_cmpx_gt_u32_e32 0x43f00000, v3
	s_xor_b32 s8, exec_lo, s8
	s_cbranch_execz .LBB234_168
; %bb.163:
	s_mov_b32 s9, exec_lo
                                        ; implicit-def: $vgpr2
	v_cmpx_lt_u32_e32 0x3c7fffff, v3
	s_xor_b32 s9, exec_lo, s9
; %bb.164:
	v_bfe_u32 v2, v3, 20, 1
	s_delay_alu instid0(VALU_DEP_1) | instskip(NEXT) | instid1(VALU_DEP_1)
	v_add3_u32 v2, v3, v2, 0x407ffff
	v_and_b32_e32 v3, 0xff00000, v2
	v_lshrrev_b32_e32 v2, 20, v2
	s_delay_alu instid0(VALU_DEP_2) | instskip(NEXT) | instid1(VALU_DEP_1)
	v_cmp_ne_u32_e64 s0, 0x7f00000, v3
                                        ; implicit-def: $vgpr3
	v_cndmask_b32_e64 v2, 0x7e, v2, s0
; %bb.165:
	s_and_not1_saveexec_b32 s0, s9
; %bb.166:
	v_add_f32_e32 v2, 0x46800000, v3
; %bb.167:
	s_or_b32 exec_lo, exec_lo, s0
                                        ; implicit-def: $vgpr3
.LBB234_168:
	s_and_not1_saveexec_b32 s8, s8
; %bb.169:
	v_mov_b32_e32 v2, 0x7f
	v_cmp_lt_u32_e64 s0, 0x7f800000, v3
	s_delay_alu instid0(VALU_DEP_1)
	v_cndmask_b32_e64 v2, 0x7e, v2, s0
; %bb.170:
	s_or_b32 exec_lo, exec_lo, s8
	flat_store_b8 v[0:1], v2
.LBB234_171:
	s_wait_xcnt 0x0
	s_or_b32 exec_lo, exec_lo, s7
                                        ; implicit-def: $vgpr0_vgpr1
.LBB234_172:
	s_and_not1_saveexec_b32 s6, s6
	s_cbranch_execz .LBB234_182
; %bb.173:
	v_cndmask_b32_e64 v3, 0, 1.0, vcc_lo
	s_mov_b32 s7, exec_lo
                                        ; implicit-def: $vgpr2
	s_delay_alu instid0(VALU_DEP_1)
	v_cmpx_gt_u32_e32 0x47800000, v3
	s_xor_b32 s7, exec_lo, s7
	s_cbranch_execz .LBB234_179
; %bb.174:
	v_cmp_lt_u32_e64 s0, 0x387fffff, v3
                                        ; implicit-def: $vgpr2
	s_and_saveexec_b32 s8, s0
	s_delay_alu instid0(SALU_CYCLE_1)
	s_xor_b32 s0, exec_lo, s8
; %bb.175:
	v_bfe_u32 v2, v3, 21, 1
	s_delay_alu instid0(VALU_DEP_1) | instskip(NEXT) | instid1(VALU_DEP_1)
	v_add3_u32 v2, v3, v2, 0x80fffff
                                        ; implicit-def: $vgpr3
	v_lshrrev_b32_e32 v2, 21, v2
; %bb.176:
	s_and_not1_saveexec_b32 s0, s0
; %bb.177:
	v_add_f32_e32 v2, 0x43000000, v3
; %bb.178:
	s_or_b32 exec_lo, exec_lo, s0
                                        ; implicit-def: $vgpr3
.LBB234_179:
	s_and_not1_saveexec_b32 s7, s7
; %bb.180:
	v_mov_b32_e32 v2, 0x7f
	v_cmp_lt_u32_e64 s0, 0x7f800000, v3
	s_delay_alu instid0(VALU_DEP_1)
	v_cndmask_b32_e64 v2, 0x7c, v2, s0
; %bb.181:
	s_or_b32 exec_lo, exec_lo, s7
	flat_store_b8 v[0:1], v2
.LBB234_182:
	s_wait_xcnt 0x0
	s_or_b32 exec_lo, exec_lo, s6
	s_delay_alu instid0(SALU_CYCLE_1)
	s_or_b32 s6, s1, exec_lo
                                        ; implicit-def: $vgpr2
                                        ; implicit-def: $vgpr0_vgpr1
.LBB234_183:
	s_or_saveexec_b32 s5, s5
	s_mov_b32 s0, s3
	s_xor_b32 exec_lo, exec_lo, s5
	s_cbranch_execz .LBB234_193
; %bb.184:
	s_mov_b32 s7, s6
	s_mov_b32 s8, s3
	s_mov_b32 s9, exec_lo
	v_cmpx_lt_i16_e32 14, v2
	s_xor_b32 s9, exec_lo, s9
	s_cbranch_execz .LBB234_188
; %bb.185:
	s_mov_b32 s8, -1
	s_mov_b32 s7, s6
	s_mov_b32 s10, exec_lo
	v_cmpx_eq_u16_e32 15, v2
	s_cbranch_execz .LBB234_187
; %bb.186:
	v_cndmask_b32_e64 v2, 0, 1.0, vcc_lo
	s_xor_b32 s8, exec_lo, -1
	s_or_b32 s7, s6, exec_lo
	s_delay_alu instid0(VALU_DEP_1) | instskip(NEXT) | instid1(VALU_DEP_1)
	v_bfe_u32 v3, v2, 16, 1
	v_add3_u32 v2, v2, v3, 0x7fff
	flat_store_d16_hi_b16 v[0:1], v2
.LBB234_187:
	s_wait_xcnt 0x0
	s_or_b32 exec_lo, exec_lo, s10
	s_delay_alu instid0(SALU_CYCLE_1)
	s_and_not1_b32 s0, s3, exec_lo
	s_and_b32 s8, s8, exec_lo
	s_and_not1_b32 s10, s6, exec_lo
	s_and_b32 s7, s7, exec_lo
	s_or_b32 s8, s0, s8
	s_or_b32 s7, s10, s7
                                        ; implicit-def: $vgpr2
                                        ; implicit-def: $vgpr0_vgpr1
.LBB234_188:
	s_and_not1_saveexec_b32 s9, s9
	s_cbranch_execz .LBB234_192
; %bb.189:
	s_mov_b32 s11, -1
	s_mov_b32 s10, s7
	s_mov_b32 s12, exec_lo
	v_cmpx_eq_u16_e32 11, v2
	s_cbranch_execz .LBB234_191
; %bb.190:
	v_cndmask_b32_e64 v2, 0, 1, vcc_lo
	s_xor_b32 s11, exec_lo, -1
	s_or_b32 s10, s7, exec_lo
	flat_store_b8 v[0:1], v2
.LBB234_191:
	s_wait_xcnt 0x0
	s_or_b32 exec_lo, exec_lo, s12
	s_delay_alu instid0(SALU_CYCLE_1)
	s_and_not1_b32 s0, s8, exec_lo
	s_and_b32 s8, s11, exec_lo
	s_and_not1_b32 s7, s7, exec_lo
	s_and_b32 s10, s10, exec_lo
	s_or_b32 s8, s0, s8
	s_or_b32 s7, s7, s10
.LBB234_192:
	s_or_b32 exec_lo, exec_lo, s9
	s_delay_alu instid0(SALU_CYCLE_1)
	s_and_not1_b32 s0, s3, exec_lo
	s_and_b32 s8, s8, exec_lo
	s_and_not1_b32 s6, s6, exec_lo
	s_and_b32 s7, s7, exec_lo
	s_or_b32 s0, s0, s8
	s_or_b32 s6, s6, s7
.LBB234_193:
	s_or_b32 exec_lo, exec_lo, s5
	s_delay_alu instid0(SALU_CYCLE_1)
	s_and_not1_b32 s3, s3, exec_lo
	s_and_b32 s0, s0, exec_lo
	s_and_not1_b32 s1, s1, exec_lo
	s_and_b32 s5, s6, exec_lo
	s_or_b32 s3, s3, s0
	s_or_b32 s1, s1, s5
.LBB234_194:
	s_or_b32 exec_lo, exec_lo, s4
	s_delay_alu instid0(SALU_CYCLE_1)
	s_and_not1_b32 s0, s14, exec_lo
	s_and_b32 s3, s3, exec_lo
	s_and_b32 s1, s1, exec_lo
	s_or_b32 s3, s0, s3
                                        ; implicit-def: $vgpr2
                                        ; implicit-def: $vgpr0_vgpr1
	s_and_not1_saveexec_b32 s2, s2
	s_cbranch_execnz .LBB234_2289
.LBB234_195:
	s_or_b32 exec_lo, exec_lo, s2
	s_mov_b32 s0, 0
	s_and_saveexec_b32 s2, s1
.LBB234_196:
	v_add_nc_u32_e32 v15, 0x80, v15
	s_mov_b32 s0, exec_lo
.LBB234_197:
	s_or_b32 exec_lo, exec_lo, s2
	s_delay_alu instid0(SALU_CYCLE_1)
	s_and_not1_b32 s1, s14, exec_lo
	s_and_b32 s2, s3, exec_lo
	s_or_not1_b32 s0, s0, exec_lo
	s_or_b32 s18, s1, s2
.LBB234_198:
	s_or_b32 exec_lo, exec_lo, s19
	s_mov_b32 s2, 0
	s_mov_b32 s3, 0
	;; [unrolled: 1-line block ×3, first 2 shown]
                                        ; implicit-def: $sgpr1
                                        ; implicit-def: $vgpr4
                                        ; implicit-def: $vgpr0_vgpr1
	s_and_saveexec_b32 s19, s0
	s_cbranch_execz .LBB234_394
; %bb.199:
	s_mov_b32 s3, -1
	s_mov_b32 s21, s18
	s_mov_b32 s20, exec_lo
	v_cmpx_gt_i32_e64 s28, v15
	s_cbranch_execz .LBB234_297
; %bb.200:
	scratch_load_b32 v0, off, off offset:24
	s_mov_b32 s0, exec_lo
                                        ; implicit-def: $vgpr17
	s_wait_loadcnt 0x0
	v_add_nc_u32_e32 v1, -1, v0
	s_wait_xcnt 0x0
	s_delay_alu instid0(VALU_DEP_1)
	v_cmpx_lt_u32_e32 1, v1
	s_xor_b32 s0, exec_lo, s0
	s_cbranch_execz .LBB234_208
; %bb.201:
	v_dual_mov_b32 v17, 0 :: v_dual_mov_b32 v16, 0
	v_mov_b32_e32 v18, 0
	s_mov_b32 s1, exec_lo
	v_cmpx_ne_u32_e32 0, v0
	s_cbranch_execz .LBB234_207
; %bb.202:
	v_min_u32_e32 v1, 15, v1
	v_dual_mov_b32 v16, 0 :: v_dual_mov_b32 v17, 0
	s_sub_co_i32 s3, 24, 24
	s_delay_alu instid0(VALU_DEP_2) | instskip(NEXT) | instid1(VALU_DEP_1)
	v_dual_mov_b32 v18, 0 :: v_dual_add_nc_u32 v0, 1, v1
	v_dual_mov_b32 v0, v15 :: v_dual_bitop2_b32 v2, 30, v0 bitop3:0x40
.LBB234_203:                            ; =>This Inner Loop Header: Depth=1
	s_clause 0x3
	scratch_load_b128 v[4:7], off, s3 offset:28
	scratch_load_b64 v[26:27], off, s3 offset:44
	scratch_load_b96 v[8:10], off, s3 offset:220
	scratch_load_b96 v[12:14], off, s3 offset:232
	s_wait_xcnt 0x0
	s_add_co_i32 s3, s3, 24
	v_add_nc_u32_e32 v2, -2, v2
	s_delay_alu instid0(VALU_DEP_1) | instskip(SKIP_3) | instid1(VALU_DEP_1)
	v_cmp_eq_u32_e32 vcc_lo, 0, v2
	s_or_b32 s2, vcc_lo, s2
	s_wait_loadcnt 0x3
	v_mul_hi_u32 v3, v5, v0
	v_add_nc_u32_e32 v3, v0, v3
	s_delay_alu instid0(VALU_DEP_1) | instskip(SKIP_1) | instid1(VALU_DEP_1)
	v_lshrrev_b32_e32 v3, v6, v3
	s_wait_loadcnt 0x2
	v_mul_hi_u32 v5, v26, v3
	v_mul_lo_u32 v4, v3, v4
	s_delay_alu instid0(VALU_DEP_1) | instskip(NEXT) | instid1(VALU_DEP_1)
	v_dual_add_nc_u32 v5, v3, v5 :: v_dual_sub_nc_u32 v4, v0, v4
	v_lshrrev_b32_e32 v0, v27, v5
	s_wait_loadcnt 0x1
	s_delay_alu instid0(VALU_DEP_2) | instskip(NEXT) | instid1(VALU_DEP_2)
	v_mad_u32 v6, v4, v9, v17
	v_mul_lo_u32 v5, v0, v7
	v_mad_u32 v7, v4, v8, v16
	v_mad_u32 v4, v4, v10, v18
	s_delay_alu instid0(VALU_DEP_3) | instskip(SKIP_1) | instid1(VALU_DEP_1)
	v_sub_nc_u32_e32 v3, v3, v5
	s_wait_loadcnt 0x0
	v_mad_u32 v17, v3, v13, v6
	s_delay_alu instid0(VALU_DEP_4) | instskip(NEXT) | instid1(VALU_DEP_4)
	v_mad_u32 v16, v3, v12, v7
	v_mad_u32 v18, v3, v14, v4
	v_mov_b32_e32 v3, s3
	s_and_not1_b32 exec_lo, exec_lo, s2
	s_cbranch_execnz .LBB234_203
; %bb.204:
	s_or_b32 exec_lo, exec_lo, s2
	v_and_b32_e32 v1, 1, v1
	s_mov_b32 s2, exec_lo
	s_delay_alu instid0(VALU_DEP_1)
	v_cmpx_eq_u32_e32 0, v1
	s_cbranch_execz .LBB234_206
; %bb.205:
	s_clause 0x1
	scratch_load_b96 v[4:6], v3, off offset:28
	scratch_load_b96 v[8:10], v3, off offset:220
	s_wait_loadcnt 0x1
	v_mul_hi_u32 v1, v5, v0
	s_delay_alu instid0(VALU_DEP_1) | instskip(NEXT) | instid1(VALU_DEP_1)
	v_add_nc_u32_e32 v1, v0, v1
	v_lshrrev_b32_e32 v1, v6, v1
	s_delay_alu instid0(VALU_DEP_1) | instskip(NEXT) | instid1(VALU_DEP_1)
	v_mul_lo_u32 v1, v1, v4
	v_sub_nc_u32_e32 v0, v0, v1
	s_wait_loadcnt 0x0
	s_delay_alu instid0(VALU_DEP_1)
	v_mad_u32 v16, v0, v8, v16
	v_mad_u32 v17, v0, v9, v17
	;; [unrolled: 1-line block ×3, first 2 shown]
.LBB234_206:
	s_wait_xcnt 0x0
	s_or_b32 exec_lo, exec_lo, s2
.LBB234_207:
	s_delay_alu instid0(SALU_CYCLE_1)
	s_or_b32 exec_lo, exec_lo, s1
                                        ; implicit-def: $vgpr0
.LBB234_208:
	s_and_not1_saveexec_b32 s0, s0
	s_cbranch_execz .LBB234_212
; %bb.209:
	s_clause 0x1
	scratch_load_b96 v[2:4], off, off offset:28
	scratch_load_b96 v[6:8], off, off offset:220
	s_mov_b32 s1, exec_lo
	s_wait_loadcnt 0x1
	v_mul_hi_u32 v1, v3, v15
	s_delay_alu instid0(VALU_DEP_1) | instskip(NEXT) | instid1(VALU_DEP_1)
	v_add_nc_u32_e32 v1, v15, v1
	v_lshrrev_b32_e32 v1, v4, v1
	s_delay_alu instid0(VALU_DEP_1) | instskip(NEXT) | instid1(VALU_DEP_1)
	v_mul_lo_u32 v2, v1, v2
	v_sub_nc_u32_e32 v2, v15, v2
	s_wait_loadcnt 0x0
	s_delay_alu instid0(VALU_DEP_1)
	v_mul_lo_u32 v17, v2, v7
	v_mul_lo_u32 v16, v2, v6
	v_mul_lo_u32 v18, v2, v8
	s_wait_xcnt 0x0
	v_cmpx_lt_u32_e32 1, v0
	s_cbranch_execz .LBB234_211
; %bb.210:
	s_clause 0x1
	scratch_load_b96 v[2:4], off, off offset:40
	scratch_load_b96 v[6:8], off, off offset:232
	s_wait_loadcnt 0x1
	v_mul_hi_u32 v0, v3, v1
	s_delay_alu instid0(VALU_DEP_1) | instskip(NEXT) | instid1(VALU_DEP_1)
	v_add_nc_u32_e32 v0, v1, v0
	v_lshrrev_b32_e32 v0, v4, v0
	s_delay_alu instid0(VALU_DEP_1) | instskip(NEXT) | instid1(VALU_DEP_1)
	v_mul_lo_u32 v0, v0, v2
	v_sub_nc_u32_e32 v0, v1, v0
	s_wait_loadcnt 0x0
	s_delay_alu instid0(VALU_DEP_1)
	v_mad_u32 v16, v0, v6, v16
	v_mad_u32 v17, v0, v7, v17
	;; [unrolled: 1-line block ×3, first 2 shown]
.LBB234_211:
	s_wait_xcnt 0x0
	s_or_b32 exec_lo, exec_lo, s1
.LBB234_212:
	s_delay_alu instid0(SALU_CYCLE_1)
	s_or_b32 exec_lo, exec_lo, s0
	scratch_load_b32 v0, off, off offset:440
	v_dual_mov_b32 v1, v24 :: v_dual_mov_b32 v2, v25
	v_dual_mov_b32 v3, v22 :: v_dual_mov_b32 v4, v23
	;; [unrolled: 1-line block ×3, first 2 shown]
	s_get_pc_i64 s[0:1]
	s_add_nc_u64 s[0:1], s[0:1], _ZN2at6native6invokeINS0_13BinaryFunctorIN3c1011Float8_e5m2ES4_bNS0_12_GLOBAL__N_116CompareEqFunctorIS4_EEEEj15function_traitsIS8_EEENT1_11result_typeERKT_PrKPcPKT0_PKNS3_10ScalarTypeEi@rel64+4
	scratch_store_b96 off, v[16:18], off
	s_swap_pc_i64 s[30:31], s[0:1]
	s_wait_xcnt 0x0
	v_dual_mov_b32 v17, 0 :: v_dual_bitop2_b32 v0, 1, v0 bitop3:0x40
	s_mov_b32 s1, 0
	s_mov_b32 s3, s18
	s_mov_b32 s2, exec_lo
	s_delay_alu instid0(VALU_DEP_1)
	v_cmp_eq_u32_e32 vcc_lo, 1, v0
	s_clause 0x1
	scratch_load_b64 v[0:1], off, off offset:416
	scratch_load_u8 v2, off, off offset:444
	s_wait_loadcnt 0x1
	v_add_nc_u64_e32 v[0:1], v[0:1], v[16:17]
	s_wait_loadcnt 0x0
	v_cmpx_lt_i16_e32 10, v2
	s_xor_b32 s2, exec_lo, s2
	s_cbranch_execz .LBB234_2381
; %bb.213:
	s_mov_b32 s3, s18
	s_mov_b32 s4, exec_lo
	v_cmpx_lt_i16_e32 25, v2
	s_xor_b32 s4, exec_lo, s4
	s_cbranch_execz .LBB234_249
; %bb.214:
	s_mov_b32 s5, s18
	s_mov_b32 s3, exec_lo
	v_cmpx_lt_i16_e32 28, v2
	s_xor_b32 s3, exec_lo, s3
	s_cbranch_execz .LBB234_232
; %bb.215:
	s_mov_b32 s7, s18
	s_mov_b32 s5, exec_lo
	v_cmpx_lt_i16_e32 43, v2
	s_xor_b32 s5, exec_lo, s5
	s_cbranch_execz .LBB234_227
; %bb.216:
	s_mov_b32 s6, 0
	s_mov_b32 s7, s18
	s_mov_b32 s1, exec_lo
	v_cmpx_lt_i16_e32 45, v2
	s_xor_b32 s1, exec_lo, s1
	s_cbranch_execz .LBB234_220
; %bb.217:
	s_mov_b32 s8, -1
	s_mov_b32 s7, exec_lo
	v_cmpx_eq_u16_e32 46, v2
	s_cbranch_execz .LBB234_219
; %bb.218:
	v_cndmask_b32_e64 v2, 0, 1.0, vcc_lo
	s_mov_b32 s6, exec_lo
	s_xor_b32 s8, exec_lo, -1
	s_delay_alu instid0(VALU_DEP_1) | instskip(NEXT) | instid1(VALU_DEP_1)
	v_bfe_u32 v3, v2, 16, 1
	v_add3_u32 v2, v2, v3, 0x7fff
	s_delay_alu instid0(VALU_DEP_1)
	v_lshrrev_b32_e32 v2, 16, v2
	flat_store_b32 v[0:1], v2
.LBB234_219:
	s_wait_xcnt 0x0
	s_or_b32 exec_lo, exec_lo, s7
	s_delay_alu instid0(SALU_CYCLE_1)
	s_and_not1_b32 s0, s18, exec_lo
	s_and_b32 s7, s8, exec_lo
	s_and_b32 s6, s6, exec_lo
	s_or_b32 s7, s0, s7
                                        ; implicit-def: $vgpr2
                                        ; implicit-def: $vgpr0_vgpr1
.LBB234_220:
	s_and_not1_saveexec_b32 s8, s1
	s_cbranch_execz .LBB234_226
; %bb.221:
	s_mov_b32 s10, -1
	s_mov_b32 s1, s6
	s_mov_b32 s9, exec_lo
	v_cmpx_eq_u16_e32 44, v2
	s_cbranch_execz .LBB234_225
; %bb.222:
	v_cndmask_b32_e64 v4, 0, 1.0, vcc_lo
	s_mov_b32 s10, exec_lo
	s_delay_alu instid0(VALU_DEP_1) | instskip(NEXT) | instid1(VALU_DEP_1)
	v_dual_mov_b32 v3, 0xff :: v_dual_lshrrev_b32 v2, 23, v4
	v_cmpx_ne_u32_e32 0xff, v2
; %bb.223:
	v_and_b32_e32 v3, 0x400000, v4
	v_and_or_b32 v4, 0x3fffff, v4, v2
	s_delay_alu instid0(VALU_DEP_2) | instskip(NEXT) | instid1(VALU_DEP_2)
	v_cmp_ne_u32_e64 s0, 0, v3
	v_cmp_ne_u32_e64 s1, 0, v4
	s_and_b32 s0, s0, s1
	s_delay_alu instid0(SALU_CYCLE_1) | instskip(NEXT) | instid1(VALU_DEP_1)
	v_cndmask_b32_e64 v3, 0, 1, s0
	v_add_nc_u32_e32 v3, v2, v3
; %bb.224:
	s_or_b32 exec_lo, exec_lo, s10
	s_delay_alu instid0(SALU_CYCLE_1)
	s_xor_b32 s10, exec_lo, -1
	s_or_b32 s1, s6, exec_lo
	flat_store_b8 v[0:1], v3
.LBB234_225:
	s_wait_xcnt 0x0
	s_or_b32 exec_lo, exec_lo, s9
	s_delay_alu instid0(SALU_CYCLE_1)
	s_and_not1_b32 s0, s7, exec_lo
	s_and_b32 s7, s10, exec_lo
	s_and_not1_b32 s6, s6, exec_lo
	s_and_b32 s1, s1, exec_lo
	s_or_b32 s7, s0, s7
	s_or_b32 s6, s6, s1
.LBB234_226:
	s_or_b32 exec_lo, exec_lo, s8
	s_delay_alu instid0(SALU_CYCLE_1) | instskip(SKIP_1) | instid1(SALU_CYCLE_1)
	s_and_not1_b32 s0, s18, exec_lo
	s_and_b32 s1, s7, exec_lo
                                        ; implicit-def: $vgpr2
                                        ; implicit-def: $vgpr0_vgpr1
	s_or_b32 s7, s0, s1
	s_and_b32 s1, s6, exec_lo
.LBB234_227:
	s_and_not1_saveexec_b32 s5, s5
	s_cbranch_execz .LBB234_231
; %bb.228:
	s_mov_b32 s9, -1
	s_mov_b32 s6, s1
	s_mov_b32 s8, exec_lo
	v_cmpx_eq_u16_e32 29, v2
	s_cbranch_execz .LBB234_230
; %bb.229:
	s_mov_b32 s0, 0
	v_cndmask_b32_e64 v2, 0, 1, vcc_lo
	v_mov_b32_e32 v3, s0
	s_xor_b32 s9, exec_lo, -1
	s_or_b32 s6, s1, exec_lo
	flat_store_b64 v[0:1], v[2:3]
.LBB234_230:
	s_wait_xcnt 0x0
	s_or_b32 exec_lo, exec_lo, s8
	s_delay_alu instid0(SALU_CYCLE_1)
	s_and_not1_b32 s0, s7, exec_lo
	s_and_b32 s7, s9, exec_lo
	s_and_not1_b32 s1, s1, exec_lo
	s_and_b32 s6, s6, exec_lo
	s_or_b32 s7, s0, s7
	s_or_b32 s1, s1, s6
.LBB234_231:
	s_or_b32 exec_lo, exec_lo, s5
	s_delay_alu instid0(SALU_CYCLE_1)
	s_and_not1_b32 s0, s18, exec_lo
	s_and_b32 s5, s7, exec_lo
	s_and_b32 s1, s1, exec_lo
	s_or_b32 s5, s0, s5
                                        ; implicit-def: $vgpr0_vgpr1
                                        ; implicit-def: $vgpr2
.LBB234_232:
	s_and_not1_saveexec_b32 s3, s3
	s_cbranch_execz .LBB234_248
; %bb.233:
	s_mov_b32 s6, exec_lo
	v_cmpx_lt_i16_e32 26, v2
	s_xor_b32 s6, exec_lo, s6
	s_cbranch_execz .LBB234_239
; %bb.234:
	v_cmp_lt_i16_e64 s0, 27, v2
	s_and_saveexec_b32 s7, s0
	s_delay_alu instid0(SALU_CYCLE_1)
	s_xor_b32 s0, exec_lo, s7
	s_cbranch_execz .LBB234_236
; %bb.235:
	v_cndmask_b32_e64 v2, 0, 1, vcc_lo
	flat_store_b32 v[0:1], v2
                                        ; implicit-def: $vgpr0_vgpr1
.LBB234_236:
	s_wait_xcnt 0x0
	s_and_not1_saveexec_b32 s0, s0
	s_cbranch_execz .LBB234_238
; %bb.237:
	v_cndmask_b32_e64 v2, 0, 1, vcc_lo
	flat_store_b16 v[0:1], v2
.LBB234_238:
	s_wait_xcnt 0x0
	s_or_b32 exec_lo, exec_lo, s0
                                        ; implicit-def: $vgpr0_vgpr1
.LBB234_239:
	s_and_not1_saveexec_b32 s6, s6
	s_cbranch_execz .LBB234_247
; %bb.240:
	v_cndmask_b32_e64 v3, 0, 1.0, vcc_lo
	v_mov_b32_e32 v4, 0x80
	s_mov_b32 s7, exec_lo
	s_delay_alu instid0(VALU_DEP_2)
	v_cmpx_gt_u32_e32 0x43800000, v3
	s_cbranch_execz .LBB234_246
; %bb.241:
	v_cmp_lt_u32_e64 s0, 0x3bffffff, v3
	s_mov_b32 s8, 0
                                        ; implicit-def: $vgpr2
	s_and_saveexec_b32 s9, s0
	s_delay_alu instid0(SALU_CYCLE_1)
	s_xor_b32 s0, exec_lo, s9
	s_cbranch_execz .LBB234_2692
; %bb.242:
	v_bfe_u32 v2, v3, 20, 1
	s_mov_b32 s8, exec_lo
	s_delay_alu instid0(VALU_DEP_1) | instskip(NEXT) | instid1(VALU_DEP_1)
	v_add3_u32 v2, v3, v2, 0x487ffff
                                        ; implicit-def: $vgpr3
	v_lshrrev_b32_e32 v2, 20, v2
	s_and_not1_saveexec_b32 s9, s0
	s_cbranch_execnz .LBB234_2693
.LBB234_243:
	s_or_b32 exec_lo, exec_lo, s9
	v_mov_b32_e32 v4, 0
	s_and_saveexec_b32 s0, s8
.LBB234_244:
	v_mov_b32_e32 v4, v2
.LBB234_245:
	s_or_b32 exec_lo, exec_lo, s0
.LBB234_246:
	s_delay_alu instid0(SALU_CYCLE_1)
	s_or_b32 exec_lo, exec_lo, s7
	flat_store_b8 v[0:1], v4
.LBB234_247:
	s_wait_xcnt 0x0
	s_or_b32 exec_lo, exec_lo, s6
	s_delay_alu instid0(SALU_CYCLE_1)
	s_or_b32 s1, s1, exec_lo
.LBB234_248:
	s_or_b32 exec_lo, exec_lo, s3
	s_delay_alu instid0(SALU_CYCLE_1)
	s_and_not1_b32 s0, s18, exec_lo
	s_and_b32 s3, s5, exec_lo
	s_and_b32 s1, s1, exec_lo
	s_or_b32 s3, s0, s3
                                        ; implicit-def: $vgpr2
                                        ; implicit-def: $vgpr0_vgpr1
.LBB234_249:
	s_and_not1_saveexec_b32 s4, s4
	s_cbranch_execz .LBB234_293
; %bb.250:
	s_mov_b32 s6, s1
	s_mov_b32 s5, exec_lo
	v_cmpx_lt_i16_e32 22, v2
	s_xor_b32 s5, exec_lo, s5
	s_cbranch_execz .LBB234_282
; %bb.251:
	s_mov_b32 s6, exec_lo
	v_cmpx_lt_i16_e32 23, v2
	s_xor_b32 s6, exec_lo, s6
	s_cbranch_execz .LBB234_271
; %bb.252:
	;; [unrolled: 5-line block ×3, first 2 shown]
	v_cndmask_b32_e64 v3, 0, 1.0, vcc_lo
	v_mov_b32_e32 v4, 0x80
	s_mov_b32 s8, exec_lo
	s_delay_alu instid0(VALU_DEP_2)
	v_cmpx_gt_u32_e32 0x47800000, v3
	s_cbranch_execz .LBB234_259
; %bb.254:
	v_cmp_lt_u32_e64 s0, 0x37ffffff, v3
	s_mov_b32 s9, 0
                                        ; implicit-def: $vgpr2
	s_and_saveexec_b32 s10, s0
	s_delay_alu instid0(SALU_CYCLE_1)
	s_xor_b32 s0, exec_lo, s10
	s_cbranch_execz .LBB234_2741
; %bb.255:
	v_bfe_u32 v2, v3, 21, 1
	s_mov_b32 s9, exec_lo
	s_delay_alu instid0(VALU_DEP_1) | instskip(NEXT) | instid1(VALU_DEP_1)
	v_add3_u32 v2, v3, v2, 0x88fffff
                                        ; implicit-def: $vgpr3
	v_lshrrev_b32_e32 v2, 21, v2
	s_and_not1_saveexec_b32 s10, s0
	s_cbranch_execnz .LBB234_2742
.LBB234_256:
	s_or_b32 exec_lo, exec_lo, s10
	v_mov_b32_e32 v4, 0
	s_and_saveexec_b32 s0, s9
.LBB234_257:
	v_mov_b32_e32 v4, v2
.LBB234_258:
	s_or_b32 exec_lo, exec_lo, s0
.LBB234_259:
	s_delay_alu instid0(SALU_CYCLE_1)
	s_or_b32 exec_lo, exec_lo, s8
	flat_store_b8 v[0:1], v4
                                        ; implicit-def: $vgpr0_vgpr1
.LBB234_260:
	s_wait_xcnt 0x0
	s_and_not1_saveexec_b32 s7, s7
	s_cbranch_execz .LBB234_270
; %bb.261:
	v_cndmask_b32_e64 v3, 0, 1.0, vcc_lo
	s_mov_b32 s8, exec_lo
                                        ; implicit-def: $vgpr2
	s_delay_alu instid0(VALU_DEP_1)
	v_cmpx_gt_u32_e32 0x43f00000, v3
	s_xor_b32 s8, exec_lo, s8
	s_cbranch_execz .LBB234_267
; %bb.262:
	s_mov_b32 s9, exec_lo
                                        ; implicit-def: $vgpr2
	v_cmpx_lt_u32_e32 0x3c7fffff, v3
	s_xor_b32 s9, exec_lo, s9
; %bb.263:
	v_bfe_u32 v2, v3, 20, 1
	s_delay_alu instid0(VALU_DEP_1) | instskip(NEXT) | instid1(VALU_DEP_1)
	v_add3_u32 v2, v3, v2, 0x407ffff
	v_and_b32_e32 v3, 0xff00000, v2
	v_lshrrev_b32_e32 v2, 20, v2
	s_delay_alu instid0(VALU_DEP_2) | instskip(NEXT) | instid1(VALU_DEP_1)
	v_cmp_ne_u32_e64 s0, 0x7f00000, v3
                                        ; implicit-def: $vgpr3
	v_cndmask_b32_e64 v2, 0x7e, v2, s0
; %bb.264:
	s_and_not1_saveexec_b32 s0, s9
; %bb.265:
	v_add_f32_e32 v2, 0x46800000, v3
; %bb.266:
	s_or_b32 exec_lo, exec_lo, s0
                                        ; implicit-def: $vgpr3
.LBB234_267:
	s_and_not1_saveexec_b32 s8, s8
; %bb.268:
	v_mov_b32_e32 v2, 0x7f
	v_cmp_lt_u32_e64 s0, 0x7f800000, v3
	s_delay_alu instid0(VALU_DEP_1)
	v_cndmask_b32_e64 v2, 0x7e, v2, s0
; %bb.269:
	s_or_b32 exec_lo, exec_lo, s8
	flat_store_b8 v[0:1], v2
.LBB234_270:
	s_wait_xcnt 0x0
	s_or_b32 exec_lo, exec_lo, s7
                                        ; implicit-def: $vgpr0_vgpr1
.LBB234_271:
	s_and_not1_saveexec_b32 s6, s6
	s_cbranch_execz .LBB234_281
; %bb.272:
	v_cndmask_b32_e64 v3, 0, 1.0, vcc_lo
	s_mov_b32 s7, exec_lo
                                        ; implicit-def: $vgpr2
	s_delay_alu instid0(VALU_DEP_1)
	v_cmpx_gt_u32_e32 0x47800000, v3
	s_xor_b32 s7, exec_lo, s7
	s_cbranch_execz .LBB234_278
; %bb.273:
	v_cmp_lt_u32_e64 s0, 0x387fffff, v3
                                        ; implicit-def: $vgpr2
	s_and_saveexec_b32 s8, s0
	s_delay_alu instid0(SALU_CYCLE_1)
	s_xor_b32 s0, exec_lo, s8
; %bb.274:
	v_bfe_u32 v2, v3, 21, 1
	s_delay_alu instid0(VALU_DEP_1) | instskip(NEXT) | instid1(VALU_DEP_1)
	v_add3_u32 v2, v3, v2, 0x80fffff
                                        ; implicit-def: $vgpr3
	v_lshrrev_b32_e32 v2, 21, v2
; %bb.275:
	s_and_not1_saveexec_b32 s0, s0
; %bb.276:
	v_add_f32_e32 v2, 0x43000000, v3
; %bb.277:
	s_or_b32 exec_lo, exec_lo, s0
                                        ; implicit-def: $vgpr3
.LBB234_278:
	s_and_not1_saveexec_b32 s7, s7
; %bb.279:
	v_mov_b32_e32 v2, 0x7f
	v_cmp_lt_u32_e64 s0, 0x7f800000, v3
	s_delay_alu instid0(VALU_DEP_1)
	v_cndmask_b32_e64 v2, 0x7c, v2, s0
; %bb.280:
	s_or_b32 exec_lo, exec_lo, s7
	flat_store_b8 v[0:1], v2
.LBB234_281:
	s_wait_xcnt 0x0
	s_or_b32 exec_lo, exec_lo, s6
	s_delay_alu instid0(SALU_CYCLE_1)
	s_or_b32 s6, s1, exec_lo
                                        ; implicit-def: $vgpr2
                                        ; implicit-def: $vgpr0_vgpr1
.LBB234_282:
	s_or_saveexec_b32 s5, s5
	s_mov_b32 s0, s3
	s_xor_b32 exec_lo, exec_lo, s5
	s_cbranch_execz .LBB234_292
; %bb.283:
	s_mov_b32 s7, s6
	s_mov_b32 s8, s3
	s_mov_b32 s9, exec_lo
	v_cmpx_lt_i16_e32 14, v2
	s_xor_b32 s9, exec_lo, s9
	s_cbranch_execz .LBB234_287
; %bb.284:
	s_mov_b32 s8, -1
	s_mov_b32 s7, s6
	s_mov_b32 s10, exec_lo
	v_cmpx_eq_u16_e32 15, v2
	s_cbranch_execz .LBB234_286
; %bb.285:
	v_cndmask_b32_e64 v2, 0, 1.0, vcc_lo
	s_xor_b32 s8, exec_lo, -1
	s_or_b32 s7, s6, exec_lo
	s_delay_alu instid0(VALU_DEP_1) | instskip(NEXT) | instid1(VALU_DEP_1)
	v_bfe_u32 v3, v2, 16, 1
	v_add3_u32 v2, v2, v3, 0x7fff
	flat_store_d16_hi_b16 v[0:1], v2
.LBB234_286:
	s_wait_xcnt 0x0
	s_or_b32 exec_lo, exec_lo, s10
	s_delay_alu instid0(SALU_CYCLE_1)
	s_and_not1_b32 s0, s3, exec_lo
	s_and_b32 s8, s8, exec_lo
	s_and_not1_b32 s10, s6, exec_lo
	s_and_b32 s7, s7, exec_lo
	s_or_b32 s8, s0, s8
	s_or_b32 s7, s10, s7
                                        ; implicit-def: $vgpr2
                                        ; implicit-def: $vgpr0_vgpr1
.LBB234_287:
	s_and_not1_saveexec_b32 s9, s9
	s_cbranch_execz .LBB234_291
; %bb.288:
	s_mov_b32 s11, -1
	s_mov_b32 s10, s7
	s_mov_b32 s12, exec_lo
	v_cmpx_eq_u16_e32 11, v2
	s_cbranch_execz .LBB234_290
; %bb.289:
	v_cndmask_b32_e64 v2, 0, 1, vcc_lo
	s_xor_b32 s11, exec_lo, -1
	s_or_b32 s10, s7, exec_lo
	flat_store_b8 v[0:1], v2
.LBB234_290:
	s_wait_xcnt 0x0
	s_or_b32 exec_lo, exec_lo, s12
	s_delay_alu instid0(SALU_CYCLE_1)
	s_and_not1_b32 s0, s8, exec_lo
	s_and_b32 s8, s11, exec_lo
	s_and_not1_b32 s7, s7, exec_lo
	s_and_b32 s10, s10, exec_lo
	s_or_b32 s8, s0, s8
	s_or_b32 s7, s7, s10
.LBB234_291:
	s_or_b32 exec_lo, exec_lo, s9
	s_delay_alu instid0(SALU_CYCLE_1)
	s_and_not1_b32 s0, s3, exec_lo
	s_and_b32 s8, s8, exec_lo
	s_and_not1_b32 s6, s6, exec_lo
	s_and_b32 s7, s7, exec_lo
	s_or_b32 s0, s0, s8
	s_or_b32 s6, s6, s7
.LBB234_292:
	s_or_b32 exec_lo, exec_lo, s5
	s_delay_alu instid0(SALU_CYCLE_1)
	s_and_not1_b32 s3, s3, exec_lo
	s_and_b32 s0, s0, exec_lo
	s_and_not1_b32 s1, s1, exec_lo
	s_and_b32 s5, s6, exec_lo
	s_or_b32 s3, s3, s0
	s_or_b32 s1, s1, s5
.LBB234_293:
	s_or_b32 exec_lo, exec_lo, s4
	s_delay_alu instid0(SALU_CYCLE_1)
	s_and_not1_b32 s0, s18, exec_lo
	s_and_b32 s3, s3, exec_lo
	s_and_b32 s1, s1, exec_lo
	s_or_b32 s3, s0, s3
                                        ; implicit-def: $vgpr2
                                        ; implicit-def: $vgpr0_vgpr1
	s_and_not1_saveexec_b32 s2, s2
	s_cbranch_execnz .LBB234_2382
.LBB234_294:
	s_or_b32 exec_lo, exec_lo, s2
	s_mov_b32 s0, 0
	s_and_saveexec_b32 s2, s1
.LBB234_295:
	v_add_nc_u32_e32 v15, 0x80, v15
	s_mov_b32 s0, exec_lo
.LBB234_296:
	s_or_b32 exec_lo, exec_lo, s2
	s_delay_alu instid0(SALU_CYCLE_1)
	s_and_not1_b32 s1, s18, exec_lo
	s_and_b32 s2, s3, exec_lo
	s_or_not1_b32 s3, s0, exec_lo
	s_or_b32 s21, s1, s2
.LBB234_297:
	s_or_b32 exec_lo, exec_lo, s20
	s_mov_b32 s0, 0
	s_mov_b32 s2, 0
	;; [unrolled: 1-line block ×3, first 2 shown]
                                        ; implicit-def: $sgpr1
                                        ; implicit-def: $vgpr4
                                        ; implicit-def: $vgpr0_vgpr1
	s_and_saveexec_b32 s20, s3
	s_cbranch_execz .LBB234_393
; %bb.298:
	s_mov_b32 s3, s21
	s_mov_b32 s22, exec_lo
                                        ; implicit-def: $sgpr1
                                        ; implicit-def: $vgpr4
                                        ; implicit-def: $vgpr0_vgpr1
	v_cmpx_gt_i32_e64 s28, v15
	s_cbranch_execz .LBB234_392
; %bb.299:
	scratch_load_b32 v0, off, off offset:24
	s_mov_b32 s0, exec_lo
                                        ; implicit-def: $vgpr17
	s_wait_loadcnt 0x0
	v_add_nc_u32_e32 v1, -1, v0
	s_wait_xcnt 0x0
	s_delay_alu instid0(VALU_DEP_1)
	v_cmpx_lt_u32_e32 1, v1
	s_xor_b32 s0, exec_lo, s0
	s_cbranch_execz .LBB234_307
; %bb.300:
	v_dual_mov_b32 v17, 0 :: v_dual_mov_b32 v16, 0
	v_mov_b32_e32 v18, 0
	s_mov_b32 s1, exec_lo
	v_cmpx_ne_u32_e32 0, v0
	s_cbranch_execz .LBB234_306
; %bb.301:
	v_min_u32_e32 v0, 15, v1
	v_mov_b32_e32 v17, 0
	s_sub_co_i32 s3, 24, 24
	s_delay_alu instid0(VALU_DEP_2) | instskip(NEXT) | instid1(VALU_DEP_1)
	v_dual_mov_b32 v18, 0 :: v_dual_add_nc_u32 v1, 1, v0
	v_dual_mov_b32 v16, 0 :: v_dual_bitop2_b32 v1, 30, v1 bitop3:0x40
.LBB234_302:                            ; =>This Inner Loop Header: Depth=1
	s_clause 0x3
	scratch_load_b128 v[2:5], off, s3 offset:28
	scratch_load_b64 v[26:27], off, s3 offset:44
	scratch_load_b96 v[6:8], off, s3 offset:220
	scratch_load_b96 v[10:12], off, s3 offset:232
	s_wait_xcnt 0x0
	s_add_co_i32 s3, s3, 24
	v_add_nc_u32_e32 v1, -2, v1
	s_delay_alu instid0(VALU_DEP_1) | instskip(SKIP_3) | instid1(VALU_DEP_1)
	v_cmp_eq_u32_e32 vcc_lo, 0, v1
	s_or_b32 s2, vcc_lo, s2
	s_wait_loadcnt 0x3
	v_mul_hi_u32 v3, v3, v15
	v_add_nc_u32_e32 v3, v15, v3
	s_delay_alu instid0(VALU_DEP_1) | instskip(SKIP_1) | instid1(VALU_DEP_1)
	v_lshrrev_b32_e32 v3, v4, v3
	s_wait_loadcnt 0x2
	v_mul_hi_u32 v4, v26, v3
	v_mul_lo_u32 v2, v3, v2
	s_delay_alu instid0(VALU_DEP_2) | instskip(NEXT) | instid1(VALU_DEP_2)
	v_add_nc_u32_e32 v4, v3, v4
	v_sub_nc_u32_e32 v2, v15, v2
	s_delay_alu instid0(VALU_DEP_2) | instskip(SKIP_1) | instid1(VALU_DEP_2)
	v_lshrrev_b32_e32 v15, v27, v4
	s_wait_loadcnt 0x1
	v_mad_u32 v6, v2, v6, v16
	s_delay_alu instid0(VALU_DEP_2) | instskip(SKIP_2) | instid1(VALU_DEP_3)
	v_mul_lo_u32 v4, v15, v5
	v_mad_u32 v5, v2, v7, v17
	v_mad_u32 v2, v2, v8, v18
	v_sub_nc_u32_e32 v3, v3, v4
	s_wait_loadcnt 0x0
	s_delay_alu instid0(VALU_DEP_1)
	v_mad_u32 v18, v3, v12, v2
	v_mov_b32_e32 v2, s3
	v_mad_u32 v17, v3, v11, v5
	v_mad_u32 v16, v3, v10, v6
	s_and_not1_b32 exec_lo, exec_lo, s2
	s_cbranch_execnz .LBB234_302
; %bb.303:
	s_or_b32 exec_lo, exec_lo, s2
	v_and_b32_e32 v0, 1, v0
	s_mov_b32 s2, exec_lo
	s_delay_alu instid0(VALU_DEP_1)
	v_cmpx_eq_u32_e32 0, v0
	s_cbranch_execz .LBB234_305
; %bb.304:
	s_clause 0x1
	scratch_load_b96 v[4:6], v2, off offset:28
	scratch_load_b96 v[8:10], v2, off offset:220
	s_wait_loadcnt 0x1
	v_mul_hi_u32 v0, v5, v15
	s_delay_alu instid0(VALU_DEP_1) | instskip(NEXT) | instid1(VALU_DEP_1)
	v_add_nc_u32_e32 v0, v15, v0
	v_lshrrev_b32_e32 v0, v6, v0
	s_delay_alu instid0(VALU_DEP_1) | instskip(NEXT) | instid1(VALU_DEP_1)
	v_mul_lo_u32 v0, v0, v4
	v_sub_nc_u32_e32 v0, v15, v0
	s_wait_loadcnt 0x0
	s_delay_alu instid0(VALU_DEP_1)
	v_mad_u32 v16, v0, v8, v16
	v_mad_u32 v17, v0, v9, v17
	;; [unrolled: 1-line block ×3, first 2 shown]
.LBB234_305:
	s_wait_xcnt 0x0
	s_or_b32 exec_lo, exec_lo, s2
.LBB234_306:
	s_delay_alu instid0(SALU_CYCLE_1)
	s_or_b32 exec_lo, exec_lo, s1
                                        ; implicit-def: $vgpr15
                                        ; implicit-def: $vgpr0
.LBB234_307:
	s_and_not1_saveexec_b32 s0, s0
	s_cbranch_execz .LBB234_311
; %bb.308:
	s_clause 0x1
	scratch_load_b96 v[2:4], off, off offset:28
	scratch_load_b96 v[6:8], off, off offset:220
	s_mov_b32 s1, exec_lo
	s_wait_loadcnt 0x1
	v_mul_hi_u32 v1, v3, v15
	s_delay_alu instid0(VALU_DEP_1) | instskip(NEXT) | instid1(VALU_DEP_1)
	v_add_nc_u32_e32 v1, v15, v1
	v_lshrrev_b32_e32 v1, v4, v1
	s_delay_alu instid0(VALU_DEP_1) | instskip(NEXT) | instid1(VALU_DEP_1)
	v_mul_lo_u32 v2, v1, v2
	v_sub_nc_u32_e32 v2, v15, v2
	s_wait_loadcnt 0x0
	s_delay_alu instid0(VALU_DEP_1)
	v_mul_lo_u32 v17, v2, v7
	v_mul_lo_u32 v16, v2, v6
	;; [unrolled: 1-line block ×3, first 2 shown]
	s_wait_xcnt 0x0
	v_cmpx_lt_u32_e32 1, v0
	s_cbranch_execz .LBB234_310
; %bb.309:
	s_clause 0x1
	scratch_load_b96 v[2:4], off, off offset:40
	scratch_load_b96 v[6:8], off, off offset:232
	s_wait_loadcnt 0x1
	v_mul_hi_u32 v0, v3, v1
	s_delay_alu instid0(VALU_DEP_1) | instskip(NEXT) | instid1(VALU_DEP_1)
	v_add_nc_u32_e32 v0, v1, v0
	v_lshrrev_b32_e32 v0, v4, v0
	s_delay_alu instid0(VALU_DEP_1) | instskip(NEXT) | instid1(VALU_DEP_1)
	v_mul_lo_u32 v0, v0, v2
	v_sub_nc_u32_e32 v0, v1, v0
	s_wait_loadcnt 0x0
	s_delay_alu instid0(VALU_DEP_1)
	v_mad_u32 v16, v0, v6, v16
	v_mad_u32 v17, v0, v7, v17
	;; [unrolled: 1-line block ×3, first 2 shown]
.LBB234_310:
	s_wait_xcnt 0x0
	s_or_b32 exec_lo, exec_lo, s1
.LBB234_311:
	s_delay_alu instid0(SALU_CYCLE_1)
	s_or_b32 exec_lo, exec_lo, s0
	scratch_load_b32 v0, off, off offset:440
	v_dual_mov_b32 v1, v24 :: v_dual_mov_b32 v2, v25
	v_dual_mov_b32 v3, v22 :: v_dual_mov_b32 v4, v23
	;; [unrolled: 1-line block ×3, first 2 shown]
	s_get_pc_i64 s[0:1]
	s_add_nc_u64 s[0:1], s[0:1], _ZN2at6native6invokeINS0_13BinaryFunctorIN3c1011Float8_e5m2ES4_bNS0_12_GLOBAL__N_116CompareEqFunctorIS4_EEEEj15function_traitsIS8_EEENT1_11result_typeERKT_PrKPcPKT0_PKNS3_10ScalarTypeEi@rel64+4
	scratch_store_b96 off, v[16:18], off
	s_swap_pc_i64 s[30:31], s[0:1]
	s_wait_xcnt 0x0
	v_dual_mov_b32 v17, 0 :: v_dual_bitop2_b32 v0, 1, v0 bitop3:0x40
	s_mov_b32 s3, -1
	s_mov_b32 s0, 0
	s_mov_b32 s5, s21
	s_delay_alu instid0(VALU_DEP_1)
	v_cmp_eq_u32_e64 s1, 1, v0
	s_clause 0x1
	scratch_load_b64 v[0:1], off, off offset:416
	scratch_load_u8 v4, off, off offset:444
	s_mov_b32 s6, 0
	s_mov_b32 s2, exec_lo
	s_wait_loadcnt 0x1
	v_add_nc_u64_e32 v[0:1], v[0:1], v[16:17]
	s_wait_loadcnt 0x0
	v_cmpx_lt_i16_e32 10, v4
	s_cbranch_execz .LBB234_391
; %bb.312:
	s_mov_b32 s4, 0
	s_mov_b32 s0, s21
	;; [unrolled: 1-line block ×3, first 2 shown]
	s_mov_b32 s5, exec_lo
	v_cmpx_lt_i16_e32 25, v4
	s_xor_b32 s5, exec_lo, s5
	s_cbranch_execz .LBB234_348
; %bb.313:
	s_mov_b32 s0, 0
	s_mov_b32 s6, s21
	s_mov_b32 s3, exec_lo
	v_cmpx_lt_i16_e32 28, v4
	s_xor_b32 s3, exec_lo, s3
	s_cbranch_execz .LBB234_331
; %bb.314:
	s_mov_b32 s7, s21
	s_mov_b32 s6, exec_lo
	v_cmpx_lt_i16_e32 43, v4
	s_xor_b32 s6, exec_lo, s6
	s_cbranch_execz .LBB234_326
; %bb.315:
	s_mov_b32 s7, 0
	s_mov_b32 s8, s21
	s_mov_b32 s0, exec_lo
	v_cmpx_lt_i16_e32 45, v4
	s_xor_b32 s0, exec_lo, s0
	s_cbranch_execz .LBB234_319
; %bb.316:
	s_mov_b32 s8, -1
	s_mov_b32 s9, exec_lo
	v_cmpx_eq_u16_e32 46, v4
	s_cbranch_execz .LBB234_318
; %bb.317:
	v_cndmask_b32_e64 v2, 0, 1.0, s1
	s_mov_b32 s7, exec_lo
	s_xor_b32 s8, exec_lo, -1
	s_delay_alu instid0(VALU_DEP_1) | instskip(NEXT) | instid1(VALU_DEP_1)
	v_bfe_u32 v3, v2, 16, 1
	v_add3_u32 v2, v2, v3, 0x7fff
	s_delay_alu instid0(VALU_DEP_1)
	v_lshrrev_b32_e32 v2, 16, v2
	flat_store_b32 v[0:1], v2
.LBB234_318:
	s_wait_xcnt 0x0
	s_or_b32 exec_lo, exec_lo, s9
	s_delay_alu instid0(SALU_CYCLE_1)
	s_and_not1_b32 s9, s21, exec_lo
	s_and_b32 s8, s8, exec_lo
	s_and_b32 s7, s7, exec_lo
	s_or_b32 s8, s9, s8
.LBB234_319:
	s_and_not1_saveexec_b32 s9, s0
	s_cbranch_execz .LBB234_325
; %bb.320:
	s_mov_b32 s0, -1
	s_mov_b32 s11, s7
	s_mov_b32 s10, exec_lo
	v_cmpx_eq_u16_e32 44, v4
	s_cbranch_execz .LBB234_324
; %bb.321:
	v_cndmask_b32_e64 v5, 0, 1.0, s1
	s_mov_b32 s11, exec_lo
	s_delay_alu instid0(VALU_DEP_1) | instskip(NEXT) | instid1(VALU_DEP_1)
	v_dual_mov_b32 v3, 0xff :: v_dual_lshrrev_b32 v2, 23, v5
	v_cmpx_ne_u32_e32 0xff, v2
; %bb.322:
	v_and_b32_e32 v3, 0x400000, v5
	v_and_or_b32 v5, 0x3fffff, v5, v2
	s_delay_alu instid0(VALU_DEP_2) | instskip(NEXT) | instid1(VALU_DEP_2)
	v_cmp_ne_u32_e32 vcc_lo, 0, v3
	v_cmp_ne_u32_e64 s0, 0, v5
	s_and_b32 s0, vcc_lo, s0
	s_delay_alu instid0(SALU_CYCLE_1) | instskip(NEXT) | instid1(VALU_DEP_1)
	v_cndmask_b32_e64 v3, 0, 1, s0
	v_add_nc_u32_e32 v3, v2, v3
; %bb.323:
	s_or_b32 exec_lo, exec_lo, s11
	s_delay_alu instid0(SALU_CYCLE_1)
	s_or_b32 s11, s7, exec_lo
	s_xor_b32 s0, exec_lo, -1
	flat_store_b8 v[0:1], v3
.LBB234_324:
	s_wait_xcnt 0x0
	s_or_b32 exec_lo, exec_lo, s10
	s_delay_alu instid0(SALU_CYCLE_1)
	s_and_not1_b32 s7, s7, exec_lo
	s_and_b32 s10, s11, exec_lo
	s_and_not1_b32 s8, s8, exec_lo
	s_and_b32 s0, s0, exec_lo
	s_or_b32 s7, s7, s10
	s_or_b32 s8, s8, s0
.LBB234_325:
	s_or_b32 exec_lo, exec_lo, s9
	s_delay_alu instid0(SALU_CYCLE_1)
	s_and_not1_b32 s9, s21, exec_lo
	s_and_b32 s8, s8, exec_lo
	s_and_b32 s0, s7, exec_lo
	s_or_b32 s7, s9, s8
.LBB234_326:
	s_and_not1_saveexec_b32 s6, s6
	s_cbranch_execz .LBB234_330
; %bb.327:
	s_mov_b32 s8, -1
	s_mov_b32 s10, s0
	s_mov_b32 s9, exec_lo
	v_cmpx_eq_u16_e32 29, v4
	s_cbranch_execz .LBB234_329
; %bb.328:
	s_mov_b32 s8, 0
	v_cndmask_b32_e64 v2, 0, 1, s1
	v_mov_b32_e32 v3, s8
	s_or_b32 s10, s0, exec_lo
	s_xor_b32 s8, exec_lo, -1
	flat_store_b64 v[0:1], v[2:3]
.LBB234_329:
	s_wait_xcnt 0x0
	s_or_b32 exec_lo, exec_lo, s9
	s_delay_alu instid0(SALU_CYCLE_1)
	s_and_not1_b32 s0, s0, exec_lo
	s_and_b32 s9, s10, exec_lo
	s_and_not1_b32 s7, s7, exec_lo
	s_and_b32 s8, s8, exec_lo
	s_or_b32 s0, s0, s9
	s_or_b32 s7, s7, s8
.LBB234_330:
	s_or_b32 exec_lo, exec_lo, s6
	s_delay_alu instid0(SALU_CYCLE_1)
	s_and_not1_b32 s6, s21, exec_lo
	s_and_b32 s7, s7, exec_lo
	s_and_b32 s0, s0, exec_lo
	s_or_b32 s6, s6, s7
.LBB234_331:
	s_and_not1_saveexec_b32 s3, s3
	s_cbranch_execz .LBB234_347
; %bb.332:
	s_mov_b32 s7, exec_lo
	v_cmpx_lt_i16_e32 26, v4
	s_xor_b32 s7, exec_lo, s7
	s_cbranch_execz .LBB234_338
; %bb.333:
	v_cndmask_b32_e64 v2, 0, 1, s1
	s_mov_b32 s8, exec_lo
	v_cmpx_lt_i16_e32 27, v4
	s_xor_b32 s8, exec_lo, s8
	s_cbranch_execz .LBB234_335
; %bb.334:
	flat_store_b32 v[0:1], v2
                                        ; implicit-def: $vgpr2
.LBB234_335:
	s_wait_xcnt 0x0
	s_and_not1_saveexec_b32 s8, s8
	s_cbranch_execz .LBB234_337
; %bb.336:
	flat_store_b16 v[0:1], v2
.LBB234_337:
	s_wait_xcnt 0x0
	s_or_b32 exec_lo, exec_lo, s8
.LBB234_338:
	s_and_not1_saveexec_b32 s7, s7
	s_cbranch_execz .LBB234_346
; %bb.339:
	v_cndmask_b32_e64 v3, 0, 1.0, s1
	v_mov_b32_e32 v5, 0x80
	s_mov_b32 s8, exec_lo
	s_delay_alu instid0(VALU_DEP_2)
	v_cmpx_gt_u32_e32 0x43800000, v3
	s_cbranch_execz .LBB234_345
; %bb.340:
	s_mov_b32 s9, 0
	s_mov_b32 s10, exec_lo
                                        ; implicit-def: $vgpr2
	v_cmpx_lt_u32_e32 0x3bffffff, v3
	s_xor_b32 s10, exec_lo, s10
	s_cbranch_execz .LBB234_2743
; %bb.341:
	v_bfe_u32 v2, v3, 20, 1
	s_mov_b32 s9, exec_lo
	s_delay_alu instid0(VALU_DEP_1) | instskip(NEXT) | instid1(VALU_DEP_1)
	v_add3_u32 v2, v3, v2, 0x487ffff
                                        ; implicit-def: $vgpr3
	v_lshrrev_b32_e32 v2, 20, v2
	s_and_not1_saveexec_b32 s10, s10
	s_cbranch_execnz .LBB234_2744
.LBB234_342:
	s_or_b32 exec_lo, exec_lo, s10
	v_mov_b32_e32 v5, 0
	s_and_saveexec_b32 s10, s9
.LBB234_343:
	v_mov_b32_e32 v5, v2
.LBB234_344:
	s_or_b32 exec_lo, exec_lo, s10
.LBB234_345:
	s_delay_alu instid0(SALU_CYCLE_1)
	s_or_b32 exec_lo, exec_lo, s8
	flat_store_b8 v[0:1], v5
.LBB234_346:
	s_wait_xcnt 0x0
	s_or_b32 exec_lo, exec_lo, s7
	s_delay_alu instid0(SALU_CYCLE_1)
	s_or_b32 s0, s0, exec_lo
.LBB234_347:
	s_or_b32 exec_lo, exec_lo, s3
	s_delay_alu instid0(SALU_CYCLE_1)
	s_and_not1_b32 s7, s21, exec_lo
	s_and_b32 s6, s6, exec_lo
	s_and_b32 s3, s0, exec_lo
	s_or_b32 s0, s7, s6
.LBB234_348:
	s_and_not1_saveexec_b32 s5, s5
	s_cbranch_execz .LBB234_390
; %bb.349:
	s_mov_b32 s6, s3
	s_mov_b32 s4, exec_lo
	v_cmpx_lt_i16_e32 22, v4
	s_xor_b32 s4, exec_lo, s4
	s_cbranch_execz .LBB234_381
; %bb.350:
	s_mov_b32 s6, exec_lo
	v_cmpx_lt_i16_e32 23, v4
	s_xor_b32 s6, exec_lo, s6
	s_cbranch_execz .LBB234_370
; %bb.351:
	;; [unrolled: 5-line block ×3, first 2 shown]
	v_cndmask_b32_e64 v3, 0, 1.0, s1
	v_mov_b32_e32 v5, 0x80
	s_mov_b32 s8, exec_lo
	s_delay_alu instid0(VALU_DEP_2)
	v_cmpx_gt_u32_e32 0x47800000, v3
	s_cbranch_execz .LBB234_358
; %bb.353:
	s_mov_b32 s9, 0
	s_mov_b32 s10, exec_lo
                                        ; implicit-def: $vgpr2
	v_cmpx_lt_u32_e32 0x37ffffff, v3
	s_xor_b32 s10, exec_lo, s10
	s_cbranch_execz .LBB234_2792
; %bb.354:
	v_bfe_u32 v2, v3, 21, 1
	s_mov_b32 s9, exec_lo
	s_delay_alu instid0(VALU_DEP_1) | instskip(NEXT) | instid1(VALU_DEP_1)
	v_add3_u32 v2, v3, v2, 0x88fffff
                                        ; implicit-def: $vgpr3
	v_lshrrev_b32_e32 v2, 21, v2
	s_and_not1_saveexec_b32 s10, s10
	s_cbranch_execnz .LBB234_2793
.LBB234_355:
	s_or_b32 exec_lo, exec_lo, s10
	v_mov_b32_e32 v5, 0
	s_and_saveexec_b32 s10, s9
.LBB234_356:
	v_mov_b32_e32 v5, v2
.LBB234_357:
	s_or_b32 exec_lo, exec_lo, s10
.LBB234_358:
	s_delay_alu instid0(SALU_CYCLE_1)
	s_or_b32 exec_lo, exec_lo, s8
	flat_store_b8 v[0:1], v5
.LBB234_359:
	s_wait_xcnt 0x0
	s_and_not1_saveexec_b32 s7, s7
	s_cbranch_execz .LBB234_369
; %bb.360:
	v_cndmask_b32_e64 v3, 0, 1.0, s1
	s_mov_b32 s8, exec_lo
                                        ; implicit-def: $vgpr2
	s_delay_alu instid0(VALU_DEP_1)
	v_cmpx_gt_u32_e32 0x43f00000, v3
	s_xor_b32 s8, exec_lo, s8
	s_cbranch_execz .LBB234_366
; %bb.361:
	s_mov_b32 s9, exec_lo
                                        ; implicit-def: $vgpr2
	v_cmpx_lt_u32_e32 0x3c7fffff, v3
	s_xor_b32 s9, exec_lo, s9
; %bb.362:
	v_bfe_u32 v2, v3, 20, 1
	s_delay_alu instid0(VALU_DEP_1) | instskip(NEXT) | instid1(VALU_DEP_1)
	v_add3_u32 v2, v3, v2, 0x407ffff
	v_and_b32_e32 v3, 0xff00000, v2
	v_lshrrev_b32_e32 v2, 20, v2
	s_delay_alu instid0(VALU_DEP_2) | instskip(NEXT) | instid1(VALU_DEP_2)
	v_cmp_ne_u32_e32 vcc_lo, 0x7f00000, v3
                                        ; implicit-def: $vgpr3
	v_cndmask_b32_e32 v2, 0x7e, v2, vcc_lo
; %bb.363:
	s_and_not1_saveexec_b32 s9, s9
; %bb.364:
	v_add_f32_e32 v2, 0x46800000, v3
; %bb.365:
	s_or_b32 exec_lo, exec_lo, s9
                                        ; implicit-def: $vgpr3
.LBB234_366:
	s_and_not1_saveexec_b32 s8, s8
; %bb.367:
	v_mov_b32_e32 v2, 0x7f
	v_cmp_lt_u32_e32 vcc_lo, 0x7f800000, v3
	s_delay_alu instid0(VALU_DEP_2)
	v_cndmask_b32_e32 v2, 0x7e, v2, vcc_lo
; %bb.368:
	s_or_b32 exec_lo, exec_lo, s8
	flat_store_b8 v[0:1], v2
.LBB234_369:
	s_wait_xcnt 0x0
	s_or_b32 exec_lo, exec_lo, s7
.LBB234_370:
	s_and_not1_saveexec_b32 s6, s6
	s_cbranch_execz .LBB234_380
; %bb.371:
	v_cndmask_b32_e64 v3, 0, 1.0, s1
	s_mov_b32 s7, exec_lo
                                        ; implicit-def: $vgpr2
	s_delay_alu instid0(VALU_DEP_1)
	v_cmpx_gt_u32_e32 0x47800000, v3
	s_xor_b32 s7, exec_lo, s7
	s_cbranch_execz .LBB234_377
; %bb.372:
	s_mov_b32 s8, exec_lo
                                        ; implicit-def: $vgpr2
	v_cmpx_lt_u32_e32 0x387fffff, v3
	s_xor_b32 s8, exec_lo, s8
; %bb.373:
	v_bfe_u32 v2, v3, 21, 1
	s_delay_alu instid0(VALU_DEP_1) | instskip(NEXT) | instid1(VALU_DEP_1)
	v_add3_u32 v2, v3, v2, 0x80fffff
                                        ; implicit-def: $vgpr3
	v_lshrrev_b32_e32 v2, 21, v2
; %bb.374:
	s_and_not1_saveexec_b32 s8, s8
; %bb.375:
	v_add_f32_e32 v2, 0x43000000, v3
; %bb.376:
	s_or_b32 exec_lo, exec_lo, s8
                                        ; implicit-def: $vgpr3
.LBB234_377:
	s_and_not1_saveexec_b32 s7, s7
; %bb.378:
	v_mov_b32_e32 v2, 0x7f
	v_cmp_lt_u32_e32 vcc_lo, 0x7f800000, v3
	s_delay_alu instid0(VALU_DEP_2)
	v_cndmask_b32_e32 v2, 0x7c, v2, vcc_lo
; %bb.379:
	s_or_b32 exec_lo, exec_lo, s7
	flat_store_b8 v[0:1], v2
.LBB234_380:
	s_wait_xcnt 0x0
	s_or_b32 exec_lo, exec_lo, s6
	s_delay_alu instid0(SALU_CYCLE_1)
	s_or_b32 s6, s3, exec_lo
.LBB234_381:
	s_or_saveexec_b32 s4, s4
	s_mov_b32 s7, 0
	s_mov_b32 s8, s0
	s_xor_b32 exec_lo, exec_lo, s4
	s_cbranch_execz .LBB234_389
; %bb.382:
	s_mov_b32 s7, s0
	s_mov_b32 s9, s6
	s_mov_b32 s8, exec_lo
	v_cmpx_lt_i16_e32 14, v4
	s_xor_b32 s8, exec_lo, s8
	s_cbranch_execz .LBB234_386
; %bb.383:
	s_mov_b32 s7, -1
	s_mov_b32 s10, s6
	s_mov_b32 s9, exec_lo
	v_cmpx_eq_u16_e32 15, v4
	s_cbranch_execz .LBB234_385
; %bb.384:
	v_cndmask_b32_e64 v2, 0, 1.0, s1
	s_or_b32 s10, s6, exec_lo
	s_xor_b32 s7, exec_lo, -1
	s_delay_alu instid0(VALU_DEP_1) | instskip(NEXT) | instid1(VALU_DEP_1)
	v_bfe_u32 v3, v2, 16, 1
	v_add3_u32 v2, v2, v3, 0x7fff
	flat_store_d16_hi_b16 v[0:1], v2
.LBB234_385:
	s_wait_xcnt 0x0
	s_or_b32 exec_lo, exec_lo, s9
	s_delay_alu instid0(SALU_CYCLE_1)
	s_and_not1_b32 s9, s6, exec_lo
	s_and_b32 s10, s10, exec_lo
	s_and_not1_b32 s11, s0, exec_lo
	s_and_b32 s7, s7, exec_lo
	s_or_b32 s9, s9, s10
	s_or_b32 s7, s11, s7
.LBB234_386:
	s_or_saveexec_b32 s10, s8
	s_mov_b32 s8, 0
	s_xor_b32 exec_lo, exec_lo, s10
; %bb.387:
	v_cmp_ne_u16_e32 vcc_lo, 11, v4
	s_and_not1_b32 s7, s7, exec_lo
	s_mov_b32 s8, exec_lo
	s_and_b32 s11, vcc_lo, exec_lo
	s_delay_alu instid0(SALU_CYCLE_1)
	s_or_b32 s7, s7, s11
; %bb.388:
	s_or_b32 exec_lo, exec_lo, s10
	s_delay_alu instid0(SALU_CYCLE_1)
	s_and_not1_b32 s6, s6, exec_lo
	s_and_b32 s9, s9, exec_lo
	s_and_b32 s10, s7, exec_lo
	s_or_b32 s6, s6, s9
	s_and_not1_b32 s9, s0, exec_lo
	s_and_b32 s7, s8, exec_lo
	s_or_b32 s8, s9, s10
.LBB234_389:
	s_or_b32 exec_lo, exec_lo, s4
	s_delay_alu instid0(SALU_CYCLE_1)
	s_and_not1_b32 s3, s3, exec_lo
	s_and_b32 s4, s6, exec_lo
	s_and_not1_b32 s0, s0, exec_lo
	s_and_b32 s6, s8, exec_lo
	s_or_b32 s3, s3, s4
	s_and_b32 s4, s7, exec_lo
	s_or_b32 s0, s0, s6
.LBB234_390:
	s_or_b32 exec_lo, exec_lo, s5
	s_delay_alu instid0(SALU_CYCLE_1)
	s_and_not1_b32 s5, s21, exec_lo
	s_and_b32 s7, s0, exec_lo
	s_and_b32 s6, s3, exec_lo
	s_xor_b32 s3, exec_lo, -1
	s_and_b32 s0, s4, exec_lo
	s_or_b32 s5, s5, s7
.LBB234_391:
	s_or_b32 exec_lo, exec_lo, s2
	s_delay_alu instid0(SALU_CYCLE_1)
	s_and_b32 s2, s3, exec_lo
	s_and_not1_b32 s3, s21, exec_lo
	s_and_b32 s5, s5, exec_lo
	s_and_b32 s4, s6, exec_lo
	;; [unrolled: 1-line block ×3, first 2 shown]
	s_or_b32 s3, s3, s5
.LBB234_392:
	s_or_b32 exec_lo, exec_lo, s22
	s_delay_alu instid0(SALU_CYCLE_1)
	s_and_not1_b32 s5, s21, exec_lo
	s_and_b32 s3, s3, exec_lo
	s_and_b32 s4, s4, exec_lo
	s_and_b32 s2, s2, exec_lo
	s_and_b32 s0, s0, exec_lo
	s_or_b32 s21, s5, s3
.LBB234_393:
	s_or_b32 exec_lo, exec_lo, s20
	s_delay_alu instid0(SALU_CYCLE_1)
	s_and_not1_b32 s5, s18, exec_lo
	s_and_b32 s6, s21, exec_lo
	s_and_b32 s4, s4, exec_lo
	;; [unrolled: 1-line block ×4, first 2 shown]
	s_or_b32 s18, s5, s6
.LBB234_394:
	s_or_b32 exec_lo, exec_lo, s19
	s_delay_alu instid0(SALU_CYCLE_1)
	s_and_b32 s0, s4, exec_lo
	s_and_b32 s4, s3, exec_lo
	s_and_not1_b32 s3, s14, exec_lo
	s_and_b32 s5, s18, exec_lo
	s_and_b32 s18, s2, exec_lo
	s_or_b32 s14, s3, s5
	s_or_b32 exec_lo, exec_lo, s17
	s_mov_b32 s2, 0
	s_and_saveexec_b32 s3, s14
	s_cbranch_execz .LBB234_398
.LBB234_395:
	s_mov_b32 s2, exec_lo
	s_and_not1_b32 s18, s18, exec_lo
	s_trap 2
	s_or_b32 exec_lo, exec_lo, s3
	s_and_saveexec_b32 s3, s18
	s_delay_alu instid0(SALU_CYCLE_1)
	s_xor_b32 s3, exec_lo, s3
	s_cbranch_execnz .LBB234_399
.LBB234_396:
	s_or_b32 exec_lo, exec_lo, s3
	s_and_saveexec_b32 s3, s4
	s_cbranch_execnz .LBB234_400
	s_branch .LBB234_441
.LBB234_397:
	s_or_b32 exec_lo, exec_lo, s17
	s_mov_b32 s2, 0
	s_and_saveexec_b32 s3, s14
	s_cbranch_execnz .LBB234_395
.LBB234_398:
	s_or_b32 exec_lo, exec_lo, s3
	s_and_saveexec_b32 s3, s18
	s_delay_alu instid0(SALU_CYCLE_1)
	s_xor_b32 s3, exec_lo, s3
	s_cbranch_execz .LBB234_396
.LBB234_399:
	v_cndmask_b32_e64 v2, 0, 1, s1
	s_or_b32 s0, s0, exec_lo
	flat_store_b8 v[0:1], v2
	s_wait_xcnt 0x0
	s_or_b32 exec_lo, exec_lo, s3
	s_and_saveexec_b32 s3, s4
	s_cbranch_execz .LBB234_441
.LBB234_400:
	s_mov_b32 s4, exec_lo
	v_cmpx_lt_i16_e32 4, v4
	s_xor_b32 s4, exec_lo, s4
	s_cbranch_execz .LBB234_422
; %bb.401:
	s_mov_b32 s5, s1
	s_mov_b32 s6, exec_lo
	v_cmpx_lt_i16_e32 7, v4
	s_xor_b32 s6, exec_lo, s6
	s_cbranch_execz .LBB234_411
; %bb.402:
	s_mov_b32 s7, s1
	s_mov_b32 s5, exec_lo
	v_cmpx_lt_i16_e32 8, v4
	s_xor_b32 s5, exec_lo, s5
	s_cbranch_execz .LBB234_408
; %bb.403:
	s_mov_b32 s7, exec_lo
	v_cmpx_lt_i16_e32 9, v4
	s_xor_b32 s7, exec_lo, s7
	s_cbranch_execz .LBB234_405
; %bb.404:
	v_cndmask_b32_e64 v2, 0, 1, s1
	v_mov_b32_e32 v8, 0
	s_delay_alu instid0(VALU_DEP_2) | instskip(NEXT) | instid1(VALU_DEP_2)
	v_cvt_f64_u32_e32 v[6:7], v2
	v_mov_b32_e32 v9, v8
	flat_store_b128 v[0:1], v[6:9]
.LBB234_405:
	s_wait_xcnt 0x0
	s_and_not1_saveexec_b32 s7, s7
	s_cbranch_execz .LBB234_407
; %bb.406:
	v_cndmask_b32_e64 v2, 0, 1.0, s1
	v_mov_b32_e32 v3, 0
	flat_store_b64 v[0:1], v[2:3]
.LBB234_407:
	s_wait_xcnt 0x0
	s_or_b32 exec_lo, exec_lo, s7
	s_delay_alu instid0(SALU_CYCLE_1) | instskip(SKIP_1) | instid1(SALU_CYCLE_1)
	s_and_not1_b32 s7, s1, exec_lo
	s_and_b32 s8, s1, exec_lo
	s_or_b32 s7, s7, s8
.LBB234_408:
	s_and_not1_saveexec_b32 s5, s5
	s_cbranch_execz .LBB234_410
; %bb.409:
	v_cndmask_b32_e64 v2, 0, 1.0, s7
	s_delay_alu instid0(VALU_DEP_1) | instskip(NEXT) | instid1(VALU_DEP_1)
	v_cvt_f16_f32_e32 v2, v2
	v_and_b32_e32 v2, 0xffff, v2
	flat_store_b32 v[0:1], v2
.LBB234_410:
	s_wait_xcnt 0x0
	s_or_b32 exec_lo, exec_lo, s5
	s_delay_alu instid0(SALU_CYCLE_1) | instskip(SKIP_1) | instid1(SALU_CYCLE_1)
	s_and_not1_b32 s5, s1, exec_lo
	s_and_b32 s7, s7, exec_lo
	s_or_b32 s5, s5, s7
.LBB234_411:
	s_and_not1_saveexec_b32 s6, s6
	s_cbranch_execz .LBB234_421
; %bb.412:
	s_mov_b32 s8, s5
	s_mov_b32 s7, exec_lo
	v_cmpx_lt_i16_e32 5, v4
	s_xor_b32 s7, exec_lo, s7
	s_cbranch_execz .LBB234_418
; %bb.413:
	s_mov_b32 s8, exec_lo
	v_cmpx_lt_i16_e32 6, v4
	s_xor_b32 s8, exec_lo, s8
	s_cbranch_execz .LBB234_415
; %bb.414:
	v_cndmask_b32_e64 v2, 0, 1, s5
	s_delay_alu instid0(VALU_DEP_1)
	v_cvt_f64_u32_e32 v[2:3], v2
	flat_store_b64 v[0:1], v[2:3]
.LBB234_415:
	s_wait_xcnt 0x0
	s_and_not1_saveexec_b32 s8, s8
	s_cbranch_execz .LBB234_417
; %bb.416:
	v_cndmask_b32_e64 v2, 0, 1.0, s5
	flat_store_b32 v[0:1], v2
.LBB234_417:
	s_wait_xcnt 0x0
	s_or_b32 exec_lo, exec_lo, s8
	s_delay_alu instid0(SALU_CYCLE_1) | instskip(SKIP_1) | instid1(SALU_CYCLE_1)
	s_and_not1_b32 s8, s5, exec_lo
	s_and_b32 s9, s5, exec_lo
	s_or_b32 s8, s8, s9
.LBB234_418:
	s_and_not1_saveexec_b32 s7, s7
	s_cbranch_execz .LBB234_420
; %bb.419:
	v_cndmask_b32_e64 v2, 0, 1.0, s8
	s_delay_alu instid0(VALU_DEP_1)
	v_cvt_f16_f32_e32 v2, v2
	flat_store_b16 v[0:1], v2
.LBB234_420:
	s_wait_xcnt 0x0
	s_or_b32 exec_lo, exec_lo, s7
	s_delay_alu instid0(SALU_CYCLE_1) | instskip(SKIP_1) | instid1(SALU_CYCLE_1)
	s_and_not1_b32 s5, s5, exec_lo
	s_and_b32 s7, s8, exec_lo
	s_or_b32 s5, s5, s7
.LBB234_421:
	s_or_b32 exec_lo, exec_lo, s6
	s_delay_alu instid0(SALU_CYCLE_1) | instskip(SKIP_1) | instid1(SALU_CYCLE_1)
	s_and_not1_b32 s1, s1, exec_lo
	s_and_b32 s5, s5, exec_lo
	s_or_b32 s1, s1, s5
.LBB234_422:
	s_and_not1_saveexec_b32 s4, s4
	s_cbranch_execz .LBB234_440
; %bb.423:
	s_mov_b32 s5, exec_lo
	v_cmpx_lt_i16_e32 1, v4
	s_xor_b32 s5, exec_lo, s5
	s_cbranch_execz .LBB234_433
; %bb.424:
	s_mov_b32 s7, s1
	s_mov_b32 s6, exec_lo
	v_cmpx_lt_i16_e32 2, v4
	s_xor_b32 s6, exec_lo, s6
	s_cbranch_execz .LBB234_430
; %bb.425:
	v_cndmask_b32_e64 v2, 0, 1, s1
	s_mov_b32 s7, exec_lo
	v_cmpx_lt_i16_e32 3, v4
	s_xor_b32 s7, exec_lo, s7
	s_cbranch_execz .LBB234_427
; %bb.426:
	s_mov_b32 s8, 0
	s_delay_alu instid0(SALU_CYCLE_1)
	v_mov_b32_e32 v3, s8
	flat_store_b64 v[0:1], v[2:3]
                                        ; implicit-def: $vgpr0_vgpr1
                                        ; implicit-def: $vgpr2
.LBB234_427:
	s_wait_xcnt 0x0
	s_and_not1_saveexec_b32 s7, s7
	s_cbranch_execz .LBB234_429
; %bb.428:
	flat_store_b32 v[0:1], v2
.LBB234_429:
	s_wait_xcnt 0x0
	s_or_b32 exec_lo, exec_lo, s7
	s_delay_alu instid0(SALU_CYCLE_1) | instskip(SKIP_1) | instid1(SALU_CYCLE_1)
	s_and_not1_b32 s7, s1, exec_lo
	s_and_b32 s8, s1, exec_lo
                                        ; implicit-def: $vgpr0_vgpr1
	s_or_b32 s7, s7, s8
.LBB234_430:
	s_and_not1_saveexec_b32 s6, s6
	s_cbranch_execz .LBB234_432
; %bb.431:
	v_cndmask_b32_e64 v2, 0, 1, s7
	flat_store_b16 v[0:1], v2
.LBB234_432:
	s_wait_xcnt 0x0
	s_or_b32 exec_lo, exec_lo, s6
	s_delay_alu instid0(SALU_CYCLE_1) | instskip(SKIP_1) | instid1(SALU_CYCLE_1)
	s_and_not1_b32 s1, s1, exec_lo
	s_and_b32 s6, s7, exec_lo
                                        ; implicit-def: $vgpr0_vgpr1
	s_or_b32 s1, s1, s6
.LBB234_433:
	s_and_not1_saveexec_b32 s5, s5
	s_cbranch_execz .LBB234_439
; %bb.434:
	v_cndmask_b32_e64 v2, 0, 1, s1
	s_mov_b32 s1, exec_lo
	v_cmpx_lt_i16_e32 0, v4
	s_xor_b32 s1, exec_lo, s1
	s_cbranch_execz .LBB234_436
; %bb.435:
	flat_store_b8 v[0:1], v2
                                        ; implicit-def: $vgpr0_vgpr1
                                        ; implicit-def: $vgpr2
.LBB234_436:
	s_wait_xcnt 0x0
	s_and_not1_saveexec_b32 s1, s1
	s_cbranch_execz .LBB234_438
; %bb.437:
	flat_store_b8 v[0:1], v2
.LBB234_438:
	s_wait_xcnt 0x0
	s_or_b32 exec_lo, exec_lo, s1
.LBB234_439:
	s_delay_alu instid0(SALU_CYCLE_1)
	s_or_b32 exec_lo, exec_lo, s5
.LBB234_440:
	s_delay_alu instid0(SALU_CYCLE_1) | instskip(NEXT) | instid1(SALU_CYCLE_1)
	s_or_b32 exec_lo, exec_lo, s4
	s_or_b32 s0, s0, exec_lo
.LBB234_441:
	s_or_b32 exec_lo, exec_lo, s3
	s_and_saveexec_b32 s1, s0
	s_delay_alu instid0(SALU_CYCLE_1) | instskip(NEXT) | instid1(SALU_CYCLE_1)
	s_xor_b32 s0, exec_lo, s1
	s_or_b32 exec_lo, exec_lo, s0
	s_delay_alu instid0(SALU_CYCLE_1)
	s_and_b32 s14, s2, exec_lo
                                        ; implicit-def: $vgpr1
                                        ; implicit-def: $vgpr15
.LBB234_442:
	s_or_saveexec_b32 s15, s15
	s_mov_b32 s2, 0
	s_mov_b32 s0, 0
                                        ; implicit-def: $sgpr3
                                        ; implicit-def: $vgpr22_vgpr23
                                        ; implicit-def: $vgpr5
	s_xor_b32 exec_lo, exec_lo, s15
	s_cbranch_execz .LBB234_483
; %bb.443:
	scratch_load_b32 v3, off, off offset:24
                                        ; implicit-def: $vgpr12
                                        ; implicit-def: $vgpr2
                                        ; implicit-def: $vgpr28
	s_wait_loadcnt 0x0
	v_add_nc_u32_e32 v5, -1, v3
	s_delay_alu instid0(VALU_DEP_1) | instskip(SKIP_2) | instid1(SALU_CYCLE_1)
	v_cmp_lt_u32_e32 vcc_lo, 1, v5
	s_wait_xcnt 0x0
	s_and_saveexec_b32 s0, vcc_lo
	s_xor_b32 s1, exec_lo, s0
	s_cbranch_execz .LBB234_451
; %bb.444:
	v_dual_mov_b32 v12, 0 :: v_dual_mov_b32 v2, 0
	v_mov_b32_e32 v28, 0
	s_mov_b32 s2, exec_lo
	v_cmpx_ne_u32_e32 0, v3
	s_cbranch_execz .LBB234_450
; %bb.445:
	v_min_u32_e32 v4, 15, v5
	v_dual_mov_b32 v2, 0 :: v_dual_mov_b32 v12, 0
	s_sub_co_i32 s4, 24, 24
	s_mov_b32 s3, 0
	s_delay_alu instid0(VALU_DEP_2) | instskip(NEXT) | instid1(VALU_DEP_1)
	v_dual_add_nc_u32 v0, 1, v4 :: v_dual_mov_b32 v28, 0
	v_dual_mov_b32 v0, v15 :: v_dual_bitop2_b32 v6, 30, v0 bitop3:0x40
.LBB234_446:                            ; =>This Inner Loop Header: Depth=1
	s_clause 0x3
	scratch_load_b128 v[8:11], off, s4 offset:28
	scratch_load_b64 v[20:21], off, s4 offset:44
	scratch_load_b128 v[16:19], off, s4 offset:220
	scratch_load_b64 v[22:23], off, s4 offset:236
	s_wait_xcnt 0x0
	s_add_co_i32 s4, s4, 24
	v_add_nc_u32_e32 v6, -2, v6
	s_delay_alu instid0(VALU_DEP_1) | instskip(SKIP_3) | instid1(VALU_DEP_1)
	v_cmp_eq_u32_e64 s0, 0, v6
	s_or_b32 s3, s0, s3
	s_wait_loadcnt 0x3
	v_mul_hi_u32 v7, v9, v0
	v_add_nc_u32_e32 v7, v0, v7
	s_delay_alu instid0(VALU_DEP_1) | instskip(SKIP_1) | instid1(VALU_DEP_1)
	v_lshrrev_b32_e32 v7, v10, v7
	s_wait_loadcnt 0x2
	v_mul_hi_u32 v9, v20, v7
	v_mul_lo_u32 v8, v7, v8
	s_delay_alu instid0(VALU_DEP_1) | instskip(NEXT) | instid1(VALU_DEP_1)
	v_dual_add_nc_u32 v9, v7, v9 :: v_dual_sub_nc_u32 v8, v0, v8
	v_lshrrev_b32_e32 v0, v21, v9
	s_wait_loadcnt 0x1
	s_delay_alu instid0(VALU_DEP_2) | instskip(SKIP_1) | instid1(VALU_DEP_3)
	v_mad_u32 v10, v8, v16, v28
	v_mad_u32 v2, v8, v17, v2
	v_mul_lo_u32 v9, v0, v11
	v_mad_u32 v11, v8, v18, v12
	s_delay_alu instid0(VALU_DEP_2) | instskip(NEXT) | instid1(VALU_DEP_1)
	v_sub_nc_u32_e32 v7, v7, v9
	v_mad_u32 v28, v7, v19, v10
	s_wait_loadcnt 0x0
	s_delay_alu instid0(VALU_DEP_3)
	v_mad_u32 v12, v7, v23, v11
	v_mad_u32 v2, v7, v22, v2
	v_mov_b32_e32 v7, s4
	s_and_not1_b32 exec_lo, exec_lo, s3
	s_cbranch_execnz .LBB234_446
; %bb.447:
	s_or_b32 exec_lo, exec_lo, s3
	v_and_b32_e32 v4, 1, v4
	s_mov_b32 s3, exec_lo
	s_delay_alu instid0(VALU_DEP_1)
	v_cmpx_eq_u32_e32 0, v4
	s_cbranch_execz .LBB234_449
; %bb.448:
	s_clause 0x1
	scratch_load_b96 v[8:10], v7, off offset:28
	scratch_load_b96 v[16:18], v7, off offset:220
	s_wait_loadcnt 0x1
	v_mul_hi_u32 v4, v9, v0
	s_delay_alu instid0(VALU_DEP_1) | instskip(NEXT) | instid1(VALU_DEP_1)
	v_add_nc_u32_e32 v4, v0, v4
	v_lshrrev_b32_e32 v4, v10, v4
	s_delay_alu instid0(VALU_DEP_1) | instskip(NEXT) | instid1(VALU_DEP_1)
	v_mul_lo_u32 v4, v4, v8
	v_sub_nc_u32_e32 v0, v0, v4
	s_wait_loadcnt 0x0
	s_delay_alu instid0(VALU_DEP_1)
	v_mad_u32 v28, v0, v16, v28
	v_mad_u32 v2, v0, v17, v2
	v_mad_u32 v12, v0, v18, v12
.LBB234_449:
	s_wait_xcnt 0x0
	s_or_b32 exec_lo, exec_lo, s3
.LBB234_450:
	s_delay_alu instid0(SALU_CYCLE_1)
	s_or_b32 exec_lo, exec_lo, s2
.LBB234_451:
	s_and_not1_saveexec_b32 s1, s1
	s_cbranch_execz .LBB234_455
; %bb.452:
	s_clause 0x1
	scratch_load_b96 v[6:8], off, off offset:28
	scratch_load_b96 v[10:12], off, off offset:220
	s_mov_b32 s2, exec_lo
	s_wait_loadcnt 0x1
	v_mul_hi_u32 v0, v7, v15
	s_delay_alu instid0(VALU_DEP_1) | instskip(NEXT) | instid1(VALU_DEP_1)
	v_add_nc_u32_e32 v0, v15, v0
	v_lshrrev_b32_e32 v0, v8, v0
	s_delay_alu instid0(VALU_DEP_1) | instskip(NEXT) | instid1(VALU_DEP_1)
	v_mul_lo_u32 v2, v0, v6
	v_sub_nc_u32_e32 v2, v15, v2
	s_wait_loadcnt 0x0
	s_delay_alu instid0(VALU_DEP_1)
	v_mul_lo_u32 v28, v2, v10
	v_mul_lo_u32 v12, v2, v12
	;; [unrolled: 1-line block ×3, first 2 shown]
	s_wait_xcnt 0x0
	v_cmpx_lt_u32_e32 1, v3
	s_cbranch_execz .LBB234_454
; %bb.453:
	s_clause 0x1
	scratch_load_b96 v[6:8], off, off offset:40
	scratch_load_b96 v[16:18], off, off offset:232
	s_wait_loadcnt 0x1
	v_mul_hi_u32 v4, v7, v0
	s_delay_alu instid0(VALU_DEP_1) | instskip(NEXT) | instid1(VALU_DEP_1)
	v_add_nc_u32_e32 v4, v0, v4
	v_lshrrev_b32_e32 v4, v8, v4
	s_delay_alu instid0(VALU_DEP_1) | instskip(NEXT) | instid1(VALU_DEP_1)
	v_mul_lo_u32 v4, v4, v6
	v_sub_nc_u32_e32 v0, v0, v4
	s_wait_loadcnt 0x0
	s_delay_alu instid0(VALU_DEP_1)
	v_mad_u32 v28, v0, v16, v28
	v_mad_u32 v2, v0, v17, v2
	;; [unrolled: 1-line block ×3, first 2 shown]
.LBB234_454:
	s_wait_xcnt 0x0
	s_or_b32 exec_lo, exec_lo, s2
.LBB234_455:
	s_delay_alu instid0(SALU_CYCLE_1) | instskip(SKIP_2) | instid1(SALU_CYCLE_1)
	s_or_b32 exec_lo, exec_lo, s1
	v_add_nc_u32_e32 v0, 0x80, v15
                                        ; implicit-def: $vgpr8
                                        ; implicit-def: $vgpr10
                                        ; implicit-def: $vgpr26
	s_and_saveexec_b32 s0, vcc_lo
	s_xor_b32 s1, exec_lo, s0
	s_cbranch_execz .LBB234_463
; %bb.456:
	v_dual_mov_b32 v8, 0 :: v_dual_mov_b32 v10, 0
	v_mov_b32_e32 v26, 0
	s_mov_b32 s2, exec_lo
	v_cmpx_ne_u32_e32 0, v3
	s_cbranch_execz .LBB234_462
; %bb.457:
	v_min_u32_e32 v4, 15, v5
	v_mov_b32_e32 v8, 0
	s_sub_co_i32 s4, 24, 24
	s_mov_b32 s3, 0
	s_delay_alu instid0(VALU_DEP_2) | instskip(NEXT) | instid1(VALU_DEP_1)
	v_dual_mov_b32 v26, 0 :: v_dual_add_nc_u32 v6, 1, v4
	v_dual_mov_b32 v10, 0 :: v_dual_bitop2_b32 v6, 30, v6 bitop3:0x40
.LBB234_458:                            ; =>This Inner Loop Header: Depth=1
	s_clause 0x3
	scratch_load_b128 v[16:19], off, s4 offset:28
	scratch_load_b64 v[24:25], off, s4 offset:44
	scratch_load_b128 v[20:23], off, s4 offset:220
	scratch_load_b64 v[30:31], off, s4 offset:236
	s_wait_xcnt 0x0
	s_add_co_i32 s4, s4, 24
	v_add_nc_u32_e32 v6, -2, v6
	s_delay_alu instid0(VALU_DEP_1) | instskip(SKIP_3) | instid1(VALU_DEP_1)
	v_cmp_eq_u32_e64 s0, 0, v6
	s_or_b32 s3, s0, s3
	s_wait_loadcnt 0x3
	v_mul_hi_u32 v7, v17, v0
	v_add_nc_u32_e32 v7, v0, v7
	s_delay_alu instid0(VALU_DEP_1) | instskip(SKIP_1) | instid1(VALU_DEP_1)
	v_lshrrev_b32_e32 v7, v18, v7
	s_wait_loadcnt 0x2
	v_mul_hi_u32 v9, v24, v7
	v_mul_lo_u32 v11, v7, v16
	s_delay_alu instid0(VALU_DEP_1) | instskip(NEXT) | instid1(VALU_DEP_1)
	v_dual_add_nc_u32 v9, v7, v9 :: v_dual_sub_nc_u32 v11, v0, v11
	v_lshrrev_b32_e32 v0, v25, v9
	s_wait_loadcnt 0x1
	s_delay_alu instid0(VALU_DEP_2) | instskip(SKIP_3) | instid1(VALU_DEP_1)
	v_mad_u32 v13, v11, v20, v26
	v_mad_u32 v8, v11, v22, v8
	;; [unrolled: 1-line block ×3, first 2 shown]
	v_mul_lo_u32 v9, v0, v19
	v_sub_nc_u32_e32 v7, v7, v9
	s_delay_alu instid0(VALU_DEP_1)
	v_mad_u32 v26, v7, v23, v13
	s_wait_loadcnt 0x0
	v_mad_u32 v8, v7, v31, v8
	v_mad_u32 v10, v7, v30, v10
	v_mov_b32_e32 v7, s4
	s_and_not1_b32 exec_lo, exec_lo, s3
	s_cbranch_execnz .LBB234_458
; %bb.459:
	s_or_b32 exec_lo, exec_lo, s3
	v_and_b32_e32 v4, 1, v4
	s_mov_b32 s3, exec_lo
	s_delay_alu instid0(VALU_DEP_1)
	v_cmpx_eq_u32_e32 0, v4
	s_cbranch_execz .LBB234_461
; %bb.460:
	s_clause 0x1
	scratch_load_b96 v[16:18], v7, off offset:28
	scratch_load_b96 v[20:22], v7, off offset:220
	s_wait_loadcnt 0x1
	v_mul_hi_u32 v4, v17, v0
	s_delay_alu instid0(VALU_DEP_1) | instskip(NEXT) | instid1(VALU_DEP_1)
	v_add_nc_u32_e32 v4, v0, v4
	v_lshrrev_b32_e32 v4, v18, v4
	s_delay_alu instid0(VALU_DEP_1) | instskip(NEXT) | instid1(VALU_DEP_1)
	v_mul_lo_u32 v4, v4, v16
	v_sub_nc_u32_e32 v0, v0, v4
	s_wait_loadcnt 0x0
	s_delay_alu instid0(VALU_DEP_1)
	v_mad_u32 v26, v0, v20, v26
	v_mad_u32 v10, v0, v21, v10
	;; [unrolled: 1-line block ×3, first 2 shown]
.LBB234_461:
	s_wait_xcnt 0x0
	s_or_b32 exec_lo, exec_lo, s3
.LBB234_462:
	s_delay_alu instid0(SALU_CYCLE_1)
	s_or_b32 exec_lo, exec_lo, s2
                                        ; implicit-def: $vgpr0
.LBB234_463:
	s_and_not1_saveexec_b32 s1, s1
	s_cbranch_execz .LBB234_467
; %bb.464:
	s_clause 0x1
	scratch_load_b96 v[6:8], off, off offset:28
	scratch_load_b96 v[16:18], off, off offset:220
	s_mov_b32 s2, exec_lo
	s_wait_loadcnt 0x1
	v_mul_hi_u32 v4, v7, v0
	s_delay_alu instid0(VALU_DEP_1) | instskip(NEXT) | instid1(VALU_DEP_1)
	v_add_nc_u32_e32 v4, v0, v4
	v_lshrrev_b32_e32 v4, v8, v4
	s_delay_alu instid0(VALU_DEP_1) | instskip(NEXT) | instid1(VALU_DEP_1)
	v_mul_lo_u32 v6, v4, v6
	v_sub_nc_u32_e32 v0, v0, v6
	s_wait_loadcnt 0x0
	s_delay_alu instid0(VALU_DEP_1)
	v_mul_lo_u32 v26, v0, v16
	v_mul_lo_u32 v8, v0, v18
	;; [unrolled: 1-line block ×3, first 2 shown]
	s_wait_xcnt 0x0
	v_cmpx_lt_u32_e32 1, v3
	s_cbranch_execz .LBB234_466
; %bb.465:
	s_clause 0x1
	scratch_load_b96 v[16:18], off, off offset:40
	scratch_load_b96 v[20:22], off, off offset:232
	s_wait_loadcnt 0x1
	v_mul_hi_u32 v0, v17, v4
	s_delay_alu instid0(VALU_DEP_1) | instskip(NEXT) | instid1(VALU_DEP_1)
	v_add_nc_u32_e32 v0, v4, v0
	v_lshrrev_b32_e32 v0, v18, v0
	s_delay_alu instid0(VALU_DEP_1) | instskip(NEXT) | instid1(VALU_DEP_1)
	v_mul_lo_u32 v0, v0, v16
	v_sub_nc_u32_e32 v0, v4, v0
	s_wait_loadcnt 0x0
	s_delay_alu instid0(VALU_DEP_1)
	v_mad_u32 v26, v0, v20, v26
	v_mad_u32 v10, v0, v21, v10
	;; [unrolled: 1-line block ×3, first 2 shown]
.LBB234_466:
	s_wait_xcnt 0x0
	s_or_b32 exec_lo, exec_lo, s2
.LBB234_467:
	s_delay_alu instid0(SALU_CYCLE_1) | instskip(SKIP_2) | instid1(SALU_CYCLE_1)
	s_or_b32 exec_lo, exec_lo, s1
	v_add_nc_u32_e32 v6, 0x100, v15
                                        ; implicit-def: $vgpr0
                                        ; implicit-def: $vgpr4
                                        ; implicit-def: $vgpr24
	s_and_saveexec_b32 s0, vcc_lo
	s_xor_b32 s1, exec_lo, s0
	s_cbranch_execz .LBB234_527
; %bb.468:
	v_dual_mov_b32 v0, 0 :: v_dual_mov_b32 v4, 0
	v_mov_b32_e32 v24, 0
	s_mov_b32 s2, exec_lo
	v_cmpx_ne_u32_e32 0, v3
	s_cbranch_execz .LBB234_474
; %bb.469:
	v_min_u32_e32 v7, 15, v5
	s_sub_co_i32 s4, 24, 24
	s_mov_b32 s3, 0
	s_delay_alu instid0(VALU_DEP_1) | instskip(NEXT) | instid1(VALU_DEP_1)
	v_dual_mov_b32 v24, 0 :: v_dual_add_nc_u32 v0, 1, v7
	v_dual_mov_b32 v4, 0 :: v_dual_bitop2_b32 v9, 30, v0 bitop3:0x40
	v_mov_b32_e32 v0, 0
.LBB234_470:                            ; =>This Inner Loop Header: Depth=1
	s_clause 0x3
	scratch_load_b128 v[14:17], off, s4 offset:28
	scratch_load_b64 v[22:23], off, s4 offset:44
	scratch_load_b128 v[18:21], off, s4 offset:220
	scratch_load_b64 v[30:31], off, s4 offset:236
	s_wait_xcnt 0x0
	s_add_co_i32 s4, s4, 24
	v_add_nc_u32_e32 v9, -2, v9
	s_delay_alu instid0(VALU_DEP_1) | instskip(SKIP_3) | instid1(VALU_DEP_1)
	v_cmp_eq_u32_e64 s0, 0, v9
	s_or_b32 s3, s0, s3
	s_wait_loadcnt 0x3
	v_mul_hi_u32 v11, v15, v6
	v_add_nc_u32_e32 v11, v6, v11
	s_delay_alu instid0(VALU_DEP_1) | instskip(SKIP_1) | instid1(VALU_DEP_1)
	v_lshrrev_b32_e32 v11, v16, v11
	s_wait_loadcnt 0x2
	v_mul_hi_u32 v13, v22, v11
	v_mul_lo_u32 v14, v11, v14
	s_delay_alu instid0(VALU_DEP_1) | instskip(NEXT) | instid1(VALU_DEP_1)
	v_dual_add_nc_u32 v13, v11, v13 :: v_dual_sub_nc_u32 v14, v6, v14
	v_lshrrev_b32_e32 v6, v23, v13
	s_wait_loadcnt 0x1
	s_delay_alu instid0(VALU_DEP_2) | instskip(SKIP_3) | instid1(VALU_DEP_1)
	v_mad_u32 v15, v14, v18, v24
	v_mad_u32 v0, v14, v20, v0
	;; [unrolled: 1-line block ×3, first 2 shown]
	v_mul_lo_u32 v13, v6, v17
	v_sub_nc_u32_e32 v11, v11, v13
	s_delay_alu instid0(VALU_DEP_1)
	v_mad_u32 v24, v11, v21, v15
	s_wait_loadcnt 0x0
	v_mad_u32 v0, v11, v31, v0
	v_mad_u32 v4, v11, v30, v4
	v_mov_b32_e32 v11, s4
	s_and_not1_b32 exec_lo, exec_lo, s3
	s_cbranch_execnz .LBB234_470
; %bb.471:
	s_or_b32 exec_lo, exec_lo, s3
	v_and_b32_e32 v7, 1, v7
	s_mov_b32 s3, exec_lo
	s_delay_alu instid0(VALU_DEP_1)
	v_cmpx_eq_u32_e32 0, v7
	s_cbranch_execz .LBB234_473
; %bb.472:
	s_clause 0x1
	scratch_load_b96 v[14:16], v11, off offset:28
	scratch_load_b96 v[18:20], v11, off offset:220
	s_wait_loadcnt 0x1
	v_mul_hi_u32 v7, v15, v6
	s_delay_alu instid0(VALU_DEP_1) | instskip(NEXT) | instid1(VALU_DEP_1)
	v_add_nc_u32_e32 v7, v6, v7
	v_lshrrev_b32_e32 v7, v16, v7
	s_delay_alu instid0(VALU_DEP_1) | instskip(NEXT) | instid1(VALU_DEP_1)
	v_mul_lo_u32 v7, v7, v14
	v_sub_nc_u32_e32 v6, v6, v7
	s_wait_loadcnt 0x0
	s_delay_alu instid0(VALU_DEP_1)
	v_mad_u32 v24, v6, v18, v24
	v_mad_u32 v4, v6, v19, v4
	;; [unrolled: 1-line block ×3, first 2 shown]
.LBB234_473:
	s_wait_xcnt 0x0
	s_or_b32 exec_lo, exec_lo, s3
.LBB234_474:
	s_delay_alu instid0(SALU_CYCLE_1)
	s_or_b32 exec_lo, exec_lo, s2
                                        ; implicit-def: $vgpr6
	s_and_not1_saveexec_b32 s1, s1
	s_cbranch_execnz .LBB234_528
.LBB234_475:
	s_or_b32 exec_lo, exec_lo, s1
                                        ; implicit-def: $vgpr21
	s_and_saveexec_b32 s0, vcc_lo
	s_delay_alu instid0(SALU_CYCLE_1)
	s_xor_b32 s0, exec_lo, s0
	s_cbranch_execz .LBB234_531
.LBB234_476:
	v_dual_mov_b32 v21, 0 :: v_dual_mov_b32 v20, 0
	v_mov_b32_e32 v22, 0
	s_mov_b32 s1, exec_lo
	v_cmpx_ne_u32_e32 0, v3
	s_cbranch_execz .LBB234_482
; %bb.477:
	v_min_u32_e32 v3, 15, v5
	v_mov_b32_e32 v21, 0
	s_sub_co_i32 s3, 24, 24
	s_mov_b32 s2, 0
	s_delay_alu instid0(VALU_DEP_2) | instskip(NEXT) | instid1(VALU_DEP_1)
	v_dual_mov_b32 v22, 0 :: v_dual_add_nc_u32 v5, 1, v3
	v_dual_mov_b32 v20, 0 :: v_dual_bitop2_b32 v5, 30, v5 bitop3:0x40
.LBB234_478:                            ; =>This Inner Loop Header: Depth=1
	s_clause 0x3
	scratch_load_b128 v[14:17], off, s3 offset:28
	scratch_load_b64 v[6:7], off, s3 offset:44
	scratch_load_b96 v[30:32], off, s3 offset:220
	scratch_load_b96 v[34:36], off, s3 offset:232
	s_wait_xcnt 0x0
	s_add_co_i32 s3, s3, 24
	v_add_nc_u32_e32 v5, -2, v5
	s_delay_alu instid0(VALU_DEP_1) | instskip(SKIP_3) | instid1(VALU_DEP_1)
	v_cmp_eq_u32_e32 vcc_lo, 0, v5
	s_or_b32 s2, vcc_lo, s2
	s_wait_loadcnt 0x3
	v_mul_hi_u32 v9, v15, v1
	v_add_nc_u32_e32 v9, v1, v9
	s_delay_alu instid0(VALU_DEP_1) | instskip(SKIP_1) | instid1(VALU_DEP_1)
	v_lshrrev_b32_e32 v9, v16, v9
	s_wait_loadcnt 0x2
	v_mul_hi_u32 v6, v6, v9
	v_mul_lo_u32 v11, v9, v14
	s_delay_alu instid0(VALU_DEP_2) | instskip(NEXT) | instid1(VALU_DEP_1)
	v_add_nc_u32_e32 v6, v9, v6
	v_dual_sub_nc_u32 v11, v1, v11 :: v_dual_lshrrev_b32 v1, v7, v6
	s_wait_loadcnt 0x1
	s_delay_alu instid0(VALU_DEP_1) | instskip(SKIP_3) | instid1(VALU_DEP_1)
	v_mad_u32 v7, v11, v31, v21
	v_mad_u32 v13, v11, v30, v20
	;; [unrolled: 1-line block ×3, first 2 shown]
	v_mul_lo_u32 v6, v1, v17
	v_sub_nc_u32_e32 v6, v9, v6
	s_wait_loadcnt 0x0
	s_delay_alu instid0(VALU_DEP_1)
	v_mad_u32 v21, v6, v35, v7
	v_mad_u32 v20, v6, v34, v13
	;; [unrolled: 1-line block ×3, first 2 shown]
	v_mov_b32_e32 v6, s3
	s_and_not1_b32 exec_lo, exec_lo, s2
	s_cbranch_execnz .LBB234_478
; %bb.479:
	s_or_b32 exec_lo, exec_lo, s2
	v_and_b32_e32 v3, 1, v3
	s_mov_b32 s2, exec_lo
	s_delay_alu instid0(VALU_DEP_1)
	v_cmpx_eq_u32_e32 0, v3
	s_cbranch_execz .LBB234_481
; %bb.480:
	s_clause 0x1
	scratch_load_b96 v[14:16], v6, off offset:28
	scratch_load_b96 v[30:32], v6, off offset:220
	s_wait_loadcnt 0x1
	v_mul_hi_u32 v3, v15, v1
	s_delay_alu instid0(VALU_DEP_1) | instskip(NEXT) | instid1(VALU_DEP_1)
	v_add_nc_u32_e32 v3, v1, v3
	v_lshrrev_b32_e32 v3, v16, v3
	s_delay_alu instid0(VALU_DEP_1) | instskip(NEXT) | instid1(VALU_DEP_1)
	v_mul_lo_u32 v3, v3, v14
	v_sub_nc_u32_e32 v1, v1, v3
	s_wait_loadcnt 0x0
	s_delay_alu instid0(VALU_DEP_1)
	v_mad_u32 v20, v1, v30, v20
	v_mad_u32 v21, v1, v31, v21
	;; [unrolled: 1-line block ×3, first 2 shown]
.LBB234_481:
	s_wait_xcnt 0x0
	s_or_b32 exec_lo, exec_lo, s2
.LBB234_482:
	s_delay_alu instid0(SALU_CYCLE_1)
	s_or_b32 exec_lo, exec_lo, s1
                                        ; implicit-def: $vgpr1
                                        ; implicit-def: $vgpr3
	s_and_not1_saveexec_b32 s0, s0
	s_cbranch_execz .LBB234_535
	s_branch .LBB234_532
.LBB234_483:
	s_or_b32 exec_lo, exec_lo, s15
	s_and_saveexec_b32 s1, s14
	s_cbranch_execz .LBB234_2192
.LBB234_484:
	; divergent unreachable
	s_or_b32 exec_lo, exec_lo, s1
	s_and_saveexec_b32 s1, s16
	s_delay_alu instid0(SALU_CYCLE_1)
	s_xor_b32 s1, exec_lo, s1
	s_cbranch_execnz .LBB234_2193
.LBB234_485:
	s_or_b32 exec_lo, exec_lo, s1
	s_and_saveexec_b32 s1, s2
	s_cbranch_execz .LBB234_2194
.LBB234_486:
	s_mov_b32 s2, exec_lo
	v_cmpx_lt_i16_e32 4, v5
	s_xor_b32 s2, exec_lo, s2
	s_cbranch_execz .LBB234_508
; %bb.487:
	s_mov_b32 s4, s3
	s_mov_b32 s5, exec_lo
	v_cmpx_lt_i16_e32 7, v5
	s_xor_b32 s5, exec_lo, s5
	s_cbranch_execz .LBB234_497
; %bb.488:
	s_mov_b32 s6, s3
	s_mov_b32 s4, exec_lo
	v_cmpx_lt_i16_e32 8, v5
	s_xor_b32 s4, exec_lo, s4
	s_cbranch_execz .LBB234_494
; %bb.489:
	s_mov_b32 s6, exec_lo
	v_cmpx_lt_i16_e32 9, v5
	s_xor_b32 s6, exec_lo, s6
	s_cbranch_execz .LBB234_491
; %bb.490:
	v_cndmask_b32_e64 v0, 0, 1, s3
	v_mov_b32_e32 v2, 0
	s_delay_alu instid0(VALU_DEP_2) | instskip(NEXT) | instid1(VALU_DEP_2)
	v_cvt_f64_u32_e32 v[0:1], v0
	v_mov_b32_e32 v3, v2
	flat_store_b128 v[22:23], v[0:3]
.LBB234_491:
	s_wait_xcnt 0x0
	s_and_not1_saveexec_b32 s6, s6
	s_cbranch_execz .LBB234_493
; %bb.492:
	v_cndmask_b32_e64 v0, 0, 1.0, s3
	v_mov_b32_e32 v1, 0
	flat_store_b64 v[22:23], v[0:1]
.LBB234_493:
	s_wait_xcnt 0x0
	s_or_b32 exec_lo, exec_lo, s6
	s_delay_alu instid0(SALU_CYCLE_1) | instskip(SKIP_1) | instid1(SALU_CYCLE_1)
	s_and_not1_b32 s6, s3, exec_lo
	s_and_b32 s7, s3, exec_lo
	s_or_b32 s6, s6, s7
.LBB234_494:
	s_and_not1_saveexec_b32 s4, s4
	s_cbranch_execz .LBB234_496
; %bb.495:
	v_cndmask_b32_e64 v0, 0, 1.0, s6
	s_delay_alu instid0(VALU_DEP_1) | instskip(NEXT) | instid1(VALU_DEP_1)
	v_cvt_f16_f32_e32 v0, v0
	v_and_b32_e32 v0, 0xffff, v0
	flat_store_b32 v[22:23], v0
.LBB234_496:
	s_wait_xcnt 0x0
	s_or_b32 exec_lo, exec_lo, s4
	s_delay_alu instid0(SALU_CYCLE_1) | instskip(SKIP_1) | instid1(SALU_CYCLE_1)
	s_and_not1_b32 s4, s3, exec_lo
	s_and_b32 s6, s6, exec_lo
	s_or_b32 s4, s4, s6
.LBB234_497:
	s_and_not1_saveexec_b32 s5, s5
	s_cbranch_execz .LBB234_507
; %bb.498:
	s_mov_b32 s7, s4
	s_mov_b32 s6, exec_lo
	v_cmpx_lt_i16_e32 5, v5
	s_xor_b32 s6, exec_lo, s6
	s_cbranch_execz .LBB234_504
; %bb.499:
	s_mov_b32 s7, exec_lo
	v_cmpx_lt_i16_e32 6, v5
	s_xor_b32 s7, exec_lo, s7
	s_cbranch_execz .LBB234_501
; %bb.500:
	v_cndmask_b32_e64 v0, 0, 1, s4
	s_delay_alu instid0(VALU_DEP_1)
	v_cvt_f64_u32_e32 v[0:1], v0
	flat_store_b64 v[22:23], v[0:1]
.LBB234_501:
	s_wait_xcnt 0x0
	s_and_not1_saveexec_b32 s7, s7
	s_cbranch_execz .LBB234_503
; %bb.502:
	v_cndmask_b32_e64 v0, 0, 1.0, s4
	flat_store_b32 v[22:23], v0
.LBB234_503:
	s_wait_xcnt 0x0
	s_or_b32 exec_lo, exec_lo, s7
	s_delay_alu instid0(SALU_CYCLE_1) | instskip(SKIP_1) | instid1(SALU_CYCLE_1)
	s_and_not1_b32 s7, s4, exec_lo
	s_and_b32 s8, s4, exec_lo
	s_or_b32 s7, s7, s8
.LBB234_504:
	s_and_not1_saveexec_b32 s6, s6
	s_cbranch_execz .LBB234_506
; %bb.505:
	v_cndmask_b32_e64 v0, 0, 1.0, s7
	s_delay_alu instid0(VALU_DEP_1)
	v_cvt_f16_f32_e32 v0, v0
	flat_store_b16 v[22:23], v0
.LBB234_506:
	s_wait_xcnt 0x0
	s_or_b32 exec_lo, exec_lo, s6
	s_delay_alu instid0(SALU_CYCLE_1) | instskip(SKIP_1) | instid1(SALU_CYCLE_1)
	s_and_not1_b32 s4, s4, exec_lo
	s_and_b32 s6, s7, exec_lo
	s_or_b32 s4, s4, s6
.LBB234_507:
	s_or_b32 exec_lo, exec_lo, s5
	s_delay_alu instid0(SALU_CYCLE_1) | instskip(SKIP_1) | instid1(SALU_CYCLE_1)
	s_and_not1_b32 s3, s3, exec_lo
	s_and_b32 s4, s4, exec_lo
	s_or_b32 s3, s3, s4
.LBB234_508:
	s_and_not1_saveexec_b32 s2, s2
	s_cbranch_execz .LBB234_526
; %bb.509:
	s_mov_b32 s4, exec_lo
	v_cmpx_lt_i16_e32 1, v5
	s_xor_b32 s4, exec_lo, s4
	s_cbranch_execz .LBB234_519
; %bb.510:
	s_mov_b32 s6, s3
	s_mov_b32 s5, exec_lo
	v_cmpx_lt_i16_e32 2, v5
	s_xor_b32 s5, exec_lo, s5
	s_cbranch_execz .LBB234_516
; %bb.511:
	v_cndmask_b32_e64 v0, 0, 1, s3
	s_mov_b32 s6, exec_lo
	v_cmpx_lt_i16_e32 3, v5
	s_xor_b32 s6, exec_lo, s6
	s_cbranch_execz .LBB234_513
; %bb.512:
	s_mov_b32 s7, 0
	s_delay_alu instid0(SALU_CYCLE_1)
	v_mov_b32_e32 v1, s7
	flat_store_b64 v[22:23], v[0:1]
                                        ; implicit-def: $vgpr22_vgpr23
                                        ; implicit-def: $vgpr0
.LBB234_513:
	s_wait_xcnt 0x0
	s_and_not1_saveexec_b32 s6, s6
	s_cbranch_execz .LBB234_515
; %bb.514:
	flat_store_b32 v[22:23], v0
.LBB234_515:
	s_wait_xcnt 0x0
	s_or_b32 exec_lo, exec_lo, s6
	s_delay_alu instid0(SALU_CYCLE_1) | instskip(SKIP_1) | instid1(SALU_CYCLE_1)
	s_and_not1_b32 s6, s3, exec_lo
	s_and_b32 s7, s3, exec_lo
                                        ; implicit-def: $vgpr22_vgpr23
	s_or_b32 s6, s6, s7
.LBB234_516:
	s_and_not1_saveexec_b32 s5, s5
	s_cbranch_execz .LBB234_518
; %bb.517:
	v_cndmask_b32_e64 v0, 0, 1, s6
	flat_store_b16 v[22:23], v0
.LBB234_518:
	s_wait_xcnt 0x0
	s_or_b32 exec_lo, exec_lo, s5
	s_delay_alu instid0(SALU_CYCLE_1) | instskip(SKIP_1) | instid1(SALU_CYCLE_1)
	s_and_not1_b32 s3, s3, exec_lo
	s_and_b32 s5, s6, exec_lo
                                        ; implicit-def: $vgpr22_vgpr23
	s_or_b32 s3, s3, s5
.LBB234_519:
	s_and_not1_saveexec_b32 s4, s4
	s_cbranch_execz .LBB234_525
; %bb.520:
	v_cndmask_b32_e64 v0, 0, 1, s3
	s_mov_b32 s3, exec_lo
	v_cmpx_lt_i16_e32 0, v5
	s_xor_b32 s3, exec_lo, s3
	s_cbranch_execz .LBB234_522
; %bb.521:
	flat_store_b8 v[22:23], v0
                                        ; implicit-def: $vgpr22_vgpr23
                                        ; implicit-def: $vgpr0
.LBB234_522:
	s_wait_xcnt 0x0
	s_and_not1_saveexec_b32 s3, s3
	s_cbranch_execz .LBB234_524
; %bb.523:
	flat_store_b8 v[22:23], v0
.LBB234_524:
	s_wait_xcnt 0x0
	s_or_b32 exec_lo, exec_lo, s3
.LBB234_525:
	s_delay_alu instid0(SALU_CYCLE_1)
	s_or_b32 exec_lo, exec_lo, s4
.LBB234_526:
	s_delay_alu instid0(SALU_CYCLE_1) | instskip(NEXT) | instid1(SALU_CYCLE_1)
	s_or_b32 exec_lo, exec_lo, s2
	s_or_b32 s0, s0, exec_lo
	s_or_b32 exec_lo, exec_lo, s1
	s_and_saveexec_b32 s1, s0
	s_endpgm
.LBB234_527:
	s_and_not1_saveexec_b32 s1, s1
	s_cbranch_execz .LBB234_475
.LBB234_528:
	s_clause 0x1
	scratch_load_b96 v[14:16], off, off offset:28
	scratch_load_b96 v[18:20], off, off offset:220
	s_mov_b32 s2, exec_lo
	s_wait_loadcnt 0x1
	v_mul_hi_u32 v0, v15, v6
	s_delay_alu instid0(VALU_DEP_1) | instskip(NEXT) | instid1(VALU_DEP_1)
	v_add_nc_u32_e32 v0, v6, v0
	v_lshrrev_b32_e32 v7, v16, v0
	s_delay_alu instid0(VALU_DEP_1) | instskip(NEXT) | instid1(VALU_DEP_1)
	v_mul_lo_u32 v0, v7, v14
	v_sub_nc_u32_e32 v4, v6, v0
	s_wait_loadcnt 0x0
	s_delay_alu instid0(VALU_DEP_1)
	v_mul_lo_u32 v24, v4, v18
	v_mul_lo_u32 v0, v4, v20
	;; [unrolled: 1-line block ×3, first 2 shown]
	s_wait_xcnt 0x0
	v_cmpx_lt_u32_e32 1, v3
	s_cbranch_execz .LBB234_530
; %bb.529:
	s_clause 0x1
	scratch_load_b96 v[14:16], off, off offset:40
	scratch_load_b96 v[18:20], off, off offset:232
	s_wait_loadcnt 0x1
	v_mul_hi_u32 v6, v15, v7
	s_delay_alu instid0(VALU_DEP_1) | instskip(NEXT) | instid1(VALU_DEP_1)
	v_add_nc_u32_e32 v6, v7, v6
	v_lshrrev_b32_e32 v6, v16, v6
	s_delay_alu instid0(VALU_DEP_1) | instskip(NEXT) | instid1(VALU_DEP_1)
	v_mul_lo_u32 v6, v6, v14
	v_sub_nc_u32_e32 v6, v7, v6
	s_wait_loadcnt 0x0
	s_delay_alu instid0(VALU_DEP_1)
	v_mad_u32 v24, v6, v18, v24
	v_mad_u32 v4, v6, v19, v4
	;; [unrolled: 1-line block ×3, first 2 shown]
.LBB234_530:
	s_wait_xcnt 0x0
	s_or_b32 exec_lo, exec_lo, s2
	s_delay_alu instid0(SALU_CYCLE_1) | instskip(SKIP_1) | instid1(SALU_CYCLE_1)
	s_or_b32 exec_lo, exec_lo, s1
                                        ; implicit-def: $vgpr21
	s_and_saveexec_b32 s0, vcc_lo
	s_xor_b32 s0, exec_lo, s0
	s_cbranch_execnz .LBB234_476
.LBB234_531:
	s_and_not1_saveexec_b32 s0, s0
	s_cbranch_execz .LBB234_535
.LBB234_532:
	s_clause 0x1
	scratch_load_b96 v[14:16], off, off offset:28
	scratch_load_b96 v[20:22], off, off offset:220
	s_mov_b32 s1, exec_lo
	s_wait_loadcnt 0x1
	v_mul_hi_u32 v5, v15, v1
	s_delay_alu instid0(VALU_DEP_1) | instskip(NEXT) | instid1(VALU_DEP_1)
	v_add_nc_u32_e32 v5, v1, v5
	v_lshrrev_b32_e32 v5, v16, v5
	s_delay_alu instid0(VALU_DEP_1) | instskip(NEXT) | instid1(VALU_DEP_1)
	v_mul_lo_u32 v6, v5, v14
	v_sub_nc_u32_e32 v1, v1, v6
	s_wait_loadcnt 0x0
	s_delay_alu instid0(VALU_DEP_1)
	v_mul_lo_u32 v21, v1, v21
	v_mul_lo_u32 v20, v1, v20
	;; [unrolled: 1-line block ×3, first 2 shown]
	s_wait_xcnt 0x0
	v_cmpx_lt_u32_e32 1, v3
	s_cbranch_execz .LBB234_534
; %bb.533:
	s_clause 0x1
	scratch_load_b96 v[14:16], off, off offset:40
	scratch_load_b96 v[30:32], off, off offset:232
	s_wait_loadcnt 0x1
	v_mul_hi_u32 v1, v15, v5
	s_delay_alu instid0(VALU_DEP_1) | instskip(NEXT) | instid1(VALU_DEP_1)
	v_add_nc_u32_e32 v1, v5, v1
	v_lshrrev_b32_e32 v1, v16, v1
	s_delay_alu instid0(VALU_DEP_1) | instskip(NEXT) | instid1(VALU_DEP_1)
	v_mul_lo_u32 v1, v1, v14
	v_sub_nc_u32_e32 v1, v5, v1
	s_wait_loadcnt 0x0
	s_delay_alu instid0(VALU_DEP_1)
	v_mad_u32 v20, v1, v30, v20
	v_mad_u32 v21, v1, v31, v21
	;; [unrolled: 1-line block ×3, first 2 shown]
.LBB234_534:
	s_wait_xcnt 0x0
	s_or_b32 exec_lo, exec_lo, s1
.LBB234_535:
	s_delay_alu instid0(SALU_CYCLE_1)
	s_or_b32 exec_lo, exec_lo, s0
	s_clause 0x3
	scratch_store_b96 off, v[20:22], off offset:12
	scratch_load_b128 v[16:19], off, off offset:416
	scratch_load_u8 v1, off, off offset:445
	scratch_load_b32 v15, off, off offset:440
	v_mov_b32_e32 v3, 0
	s_mov_b32 s1, 0
	s_mov_b32 s16, s14
	s_mov_b32 s0, exec_lo
                                        ; implicit-def: $vgpr21
	s_wait_loadcnt 0x2
	v_add_nc_u64_e32 v[2:3], v[18:19], v[2:3]
	s_wait_loadcnt 0x1
	s_wait_xcnt 0x0
	v_cmpx_lt_i16_e32 10, v1
	s_xor_b32 s0, exec_lo, s0
	s_cbranch_execz .LBB234_630
; %bb.536:
	s_mov_b32 s4, 0
	s_mov_b32 s3, 0
	s_mov_b32 s2, exec_lo
                                        ; implicit-def: $vgpr21
	v_cmpx_lt_i16_e32 25, v1
	s_xor_b32 s2, exec_lo, s2
	s_cbranch_execz .LBB234_2237
; %bb.537:
	s_mov_b32 s5, 0
	s_mov_b32 s3, exec_lo
                                        ; implicit-def: $vgpr21
	v_cmpx_lt_i16_e32 28, v1
	s_xor_b32 s3, exec_lo, s3
	s_cbranch_execz .LBB234_577
; %bb.538:
	s_mov_b32 s6, 0
	s_mov_b32 s7, 0
	s_mov_b32 s4, exec_lo
                                        ; implicit-def: $vgpr21
	v_cmpx_lt_i16_e32 43, v1
	s_xor_b32 s4, exec_lo, s4
	s_cbranch_execz .LBB234_564
; %bb.539:
	s_mov_b32 s7, exec_lo
                                        ; implicit-def: $vgpr21
	v_cmpx_lt_i16_e32 45, v1
	s_xor_b32 s7, exec_lo, s7
	s_cbranch_execz .LBB234_551
; %bb.540:
	s_mov_b32 s8, -1
	s_mov_b32 s5, exec_lo
                                        ; implicit-def: $vgpr21
	v_cmpx_eq_u16_e32 46, v1
	s_cbranch_execz .LBB234_550
; %bb.541:
	flat_load_b32 v5, v[2:3]
	s_mov_b32 s6, exec_lo
                                        ; implicit-def: $vgpr6
	s_wait_loadcnt_dscnt 0x0
	v_lshlrev_b32_e32 v5, 16, v5
	s_delay_alu instid0(VALU_DEP_1) | instskip(SKIP_1) | instid1(VALU_DEP_1)
	v_and_b32_e32 v7, 0x7fffffff, v5
	s_wait_xcnt 0x0
	v_cmpx_gt_u32_e32 0x47800000, v7
	s_xor_b32 s6, exec_lo, s6
	s_cbranch_execz .LBB234_547
; %bb.542:
	s_mov_b32 s8, exec_lo
                                        ; implicit-def: $vgpr6
	v_cmpx_lt_u32_e32 0x387fffff, v7
	s_xor_b32 s8, exec_lo, s8
; %bb.543:
	v_bfe_u32 v6, v5, 21, 1
	s_delay_alu instid0(VALU_DEP_1) | instskip(NEXT) | instid1(VALU_DEP_1)
	v_add3_u32 v6, v5, v6, 0x80fffff
	v_lshrrev_b32_e32 v6, 21, v6
; %bb.544:
	s_and_not1_saveexec_b32 s8, s8
; %bb.545:
	v_add_f32_e64 v6, 0x43000000, |v5|
; %bb.546:
	s_or_b32 exec_lo, exec_lo, s8
                                        ; implicit-def: $vgpr7
.LBB234_547:
	s_and_not1_saveexec_b32 s6, s6
; %bb.548:
	v_mov_b32_e32 v6, 0x7f
	v_cmp_lt_u32_e32 vcc_lo, 0x7f800000, v7
	s_delay_alu instid0(VALU_DEP_2)
	v_cndmask_b32_e32 v6, 0x7c, v6, vcc_lo
; %bb.549:
	s_or_b32 exec_lo, exec_lo, s6
	v_lshrrev_b32_e32 v5, 24, v5
	s_mov_b32 s6, exec_lo
	s_xor_b32 s8, exec_lo, -1
	s_delay_alu instid0(VALU_DEP_1)
	v_and_or_b32 v21, 0x80, v5, v6
.LBB234_550:
	s_or_b32 exec_lo, exec_lo, s5
	s_delay_alu instid0(SALU_CYCLE_1)
	s_and_b32 s6, s6, exec_lo
	s_and_b32 s5, s8, exec_lo
.LBB234_551:
	s_and_not1_saveexec_b32 s7, s7
	s_cbranch_execz .LBB234_563
; %bb.552:
	s_mov_b32 s9, -1
	s_mov_b32 s10, s6
	s_mov_b32 s8, exec_lo
                                        ; implicit-def: $vgpr21
	v_cmpx_eq_u16_e32 44, v1
	s_cbranch_execz .LBB234_562
; %bb.553:
	flat_load_u8 v5, v[2:3]
	s_mov_b32 s9, exec_lo
                                        ; implicit-def: $vgpr21
	s_wait_loadcnt_dscnt 0x0
	v_lshlrev_b32_e32 v6, 23, v5
	v_cmp_ne_u32_e32 vcc_lo, 0xff, v5
	s_delay_alu instid0(VALU_DEP_2) | instskip(SKIP_1) | instid1(VALU_DEP_2)
	v_cndmask_b32_e32 v6, 0x7f800001, v6, vcc_lo
	v_cmp_ne_u32_e32 vcc_lo, 0, v5
	v_cndmask_b32_e32 v5, 0x400000, v6, vcc_lo
	s_wait_xcnt 0x0
	s_delay_alu instid0(VALU_DEP_1)
	v_cmpx_gt_u32_e32 0x47800000, v5
	s_xor_b32 s9, exec_lo, s9
	s_cbranch_execz .LBB234_559
; %bb.554:
	s_mov_b32 s10, exec_lo
                                        ; implicit-def: $vgpr21
	v_cmpx_lt_u32_e32 0x387fffff, v5
	s_xor_b32 s10, exec_lo, s10
; %bb.555:
	v_bfe_u32 v6, v5, 21, 1
	s_delay_alu instid0(VALU_DEP_1) | instskip(NEXT) | instid1(VALU_DEP_1)
	v_add3_u32 v5, v5, v6, 0x80fffff
	v_lshrrev_b32_e32 v21, 21, v5
                                        ; implicit-def: $vgpr5
; %bb.556:
	s_and_not1_saveexec_b32 s10, s10
; %bb.557:
	v_add_f32_e32 v21, 0x43000000, v5
; %bb.558:
	s_or_b32 exec_lo, exec_lo, s10
                                        ; implicit-def: $vgpr5
.LBB234_559:
	s_and_not1_saveexec_b32 s9, s9
; %bb.560:
	v_mov_b32_e32 v6, 0x7f
	v_cmp_lt_u32_e32 vcc_lo, 0x7f800000, v5
	s_delay_alu instid0(VALU_DEP_2)
	v_cndmask_b32_e32 v21, 0x7c, v6, vcc_lo
; %bb.561:
	s_or_b32 exec_lo, exec_lo, s9
	s_delay_alu instid0(SALU_CYCLE_1)
	s_or_b32 s10, s6, exec_lo
	s_xor_b32 s9, exec_lo, -1
.LBB234_562:
	s_or_b32 exec_lo, exec_lo, s8
	s_delay_alu instid0(SALU_CYCLE_1)
	s_and_not1_b32 s6, s6, exec_lo
	s_and_b32 s8, s10, exec_lo
	s_and_not1_b32 s5, s5, exec_lo
	s_and_b32 s9, s9, exec_lo
	s_or_b32 s6, s6, s8
	s_or_b32 s5, s5, s9
.LBB234_563:
	s_or_b32 exec_lo, exec_lo, s7
	s_delay_alu instid0(SALU_CYCLE_1)
	s_and_b32 s7, s6, exec_lo
	s_and_b32 s6, s5, exec_lo
.LBB234_564:
	s_and_not1_saveexec_b32 s4, s4
	s_cbranch_execz .LBB234_576
; %bb.565:
	s_mov_b32 s8, -1
	s_mov_b32 s9, s7
	s_mov_b32 s5, exec_lo
                                        ; implicit-def: $vgpr21
	v_cmpx_eq_u16_e32 29, v1
	s_cbranch_execz .LBB234_575
; %bb.566:
	flat_load_b64 v[6:7], v[2:3]
	s_mov_b32 s8, exec_lo
                                        ; implicit-def: $vgpr21
	s_wait_loadcnt_dscnt 0x0
	v_clz_i32_u32_e32 v5, v7
	s_delay_alu instid0(VALU_DEP_1) | instskip(NEXT) | instid1(VALU_DEP_1)
	v_min_u32_e32 v5, 32, v5
	v_lshlrev_b64_e32 v[6:7], v5, v[6:7]
	v_sub_nc_u32_e32 v5, 32, v5
	s_delay_alu instid0(VALU_DEP_2) | instskip(NEXT) | instid1(VALU_DEP_1)
	v_min_u32_e32 v6, 1, v6
	v_or_b32_e32 v6, v7, v6
	s_delay_alu instid0(VALU_DEP_1) | instskip(NEXT) | instid1(VALU_DEP_1)
	v_cvt_f32_u32_e32 v6, v6
	v_ldexp_f32 v5, v6, v5
	s_wait_xcnt 0x0
	s_delay_alu instid0(VALU_DEP_1)
	v_cmpx_gt_u32_e32 0x47800000, v5
	s_xor_b32 s8, exec_lo, s8
	s_cbranch_execz .LBB234_572
; %bb.567:
	s_mov_b32 s9, exec_lo
                                        ; implicit-def: $vgpr21
	v_cmpx_lt_u32_e32 0x387fffff, v5
	s_xor_b32 s9, exec_lo, s9
; %bb.568:
	v_bfe_u32 v6, v5, 21, 1
	s_delay_alu instid0(VALU_DEP_1) | instskip(NEXT) | instid1(VALU_DEP_1)
	v_add3_u32 v5, v5, v6, 0x80fffff
	v_lshrrev_b32_e32 v21, 21, v5
                                        ; implicit-def: $vgpr5
; %bb.569:
	s_and_not1_saveexec_b32 s9, s9
; %bb.570:
	v_add_f32_e32 v21, 0x43000000, v5
; %bb.571:
	s_or_b32 exec_lo, exec_lo, s9
                                        ; implicit-def: $vgpr5
.LBB234_572:
	s_and_not1_saveexec_b32 s8, s8
; %bb.573:
	v_mov_b32_e32 v6, 0x7f
	v_cmp_lt_u32_e32 vcc_lo, 0x7f800000, v5
	s_delay_alu instid0(VALU_DEP_2)
	v_cndmask_b32_e32 v21, 0x7c, v6, vcc_lo
; %bb.574:
	s_or_b32 exec_lo, exec_lo, s8
	s_delay_alu instid0(SALU_CYCLE_1)
	s_or_b32 s9, s7, exec_lo
	s_xor_b32 s8, exec_lo, -1
.LBB234_575:
	s_or_b32 exec_lo, exec_lo, s5
	s_delay_alu instid0(SALU_CYCLE_1)
	s_and_not1_b32 s5, s7, exec_lo
	s_and_b32 s7, s9, exec_lo
	s_and_not1_b32 s6, s6, exec_lo
	s_and_b32 s8, s8, exec_lo
	s_or_b32 s7, s5, s7
	s_or_b32 s6, s6, s8
.LBB234_576:
	s_or_b32 exec_lo, exec_lo, s4
	s_delay_alu instid0(SALU_CYCLE_1)
	s_and_b32 s5, s7, exec_lo
	s_and_b32 s4, s6, exec_lo
.LBB234_577:
	s_and_not1_saveexec_b32 s3, s3
	s_cbranch_execz .LBB234_617
; %bb.578:
	s_mov_b32 s6, exec_lo
                                        ; implicit-def: $vgpr21
	v_cmpx_lt_i16_e32 26, v1
	s_xor_b32 s6, exec_lo, s6
	s_cbranch_execz .LBB234_600
; %bb.579:
	s_mov_b32 s7, exec_lo
                                        ; implicit-def: $vgpr21
	v_cmpx_lt_i16_e32 27, v1
	s_xor_b32 s7, exec_lo, s7
	s_cbranch_execz .LBB234_589
; %bb.580:
	flat_load_b32 v5, v[2:3]
	s_mov_b32 s8, exec_lo
                                        ; implicit-def: $vgpr21
	s_wait_loadcnt_dscnt 0x0
	v_cvt_f32_u32_e32 v5, v5
	s_wait_xcnt 0x0
	s_delay_alu instid0(VALU_DEP_1)
	v_cmpx_gt_u32_e32 0x47800000, v5
	s_xor_b32 s8, exec_lo, s8
	s_cbranch_execz .LBB234_586
; %bb.581:
	s_mov_b32 s9, exec_lo
                                        ; implicit-def: $vgpr21
	v_cmpx_lt_u32_e32 0x387fffff, v5
	s_xor_b32 s9, exec_lo, s9
; %bb.582:
	v_bfe_u32 v6, v5, 21, 1
	s_delay_alu instid0(VALU_DEP_1) | instskip(NEXT) | instid1(VALU_DEP_1)
	v_add3_u32 v5, v5, v6, 0x80fffff
	v_lshrrev_b32_e32 v21, 21, v5
                                        ; implicit-def: $vgpr5
; %bb.583:
	s_and_not1_saveexec_b32 s9, s9
; %bb.584:
	v_add_f32_e32 v21, 0x43000000, v5
; %bb.585:
	s_or_b32 exec_lo, exec_lo, s9
                                        ; implicit-def: $vgpr5
.LBB234_586:
	s_and_not1_saveexec_b32 s8, s8
; %bb.587:
	v_mov_b32_e32 v6, 0x7f
	v_cmp_lt_u32_e32 vcc_lo, 0x7f800000, v5
	s_delay_alu instid0(VALU_DEP_2)
	v_cndmask_b32_e32 v21, 0x7c, v6, vcc_lo
; %bb.588:
	s_or_b32 exec_lo, exec_lo, s8
.LBB234_589:
	s_and_not1_saveexec_b32 s7, s7
	s_cbranch_execz .LBB234_599
; %bb.590:
	flat_load_u16 v5, v[2:3]
	s_mov_b32 s8, exec_lo
                                        ; implicit-def: $vgpr21
	s_wait_loadcnt_dscnt 0x0
	v_cvt_f32_u32_e32 v5, v5
	s_wait_xcnt 0x0
	s_delay_alu instid0(VALU_DEP_1)
	v_cmpx_gt_u32_e32 0x47800000, v5
	s_xor_b32 s8, exec_lo, s8
	s_cbranch_execz .LBB234_596
; %bb.591:
	s_mov_b32 s9, exec_lo
                                        ; implicit-def: $vgpr21
	v_cmpx_lt_u32_e32 0x387fffff, v5
	s_xor_b32 s9, exec_lo, s9
; %bb.592:
	v_bfe_u32 v6, v5, 21, 1
	s_delay_alu instid0(VALU_DEP_1) | instskip(NEXT) | instid1(VALU_DEP_1)
	v_add3_u32 v5, v5, v6, 0x80fffff
	v_lshrrev_b32_e32 v21, 21, v5
                                        ; implicit-def: $vgpr5
; %bb.593:
	s_and_not1_saveexec_b32 s9, s9
; %bb.594:
	v_add_f32_e32 v21, 0x43000000, v5
; %bb.595:
	s_or_b32 exec_lo, exec_lo, s9
                                        ; implicit-def: $vgpr5
.LBB234_596:
	s_and_not1_saveexec_b32 s8, s8
; %bb.597:
	v_mov_b32_e32 v6, 0x7f
	v_cmp_lt_u32_e32 vcc_lo, 0x7f800000, v5
	s_delay_alu instid0(VALU_DEP_2)
	v_cndmask_b32_e32 v21, 0x7c, v6, vcc_lo
; %bb.598:
	s_or_b32 exec_lo, exec_lo, s8
.LBB234_599:
	s_delay_alu instid0(SALU_CYCLE_1)
	s_or_b32 exec_lo, exec_lo, s7
.LBB234_600:
	s_and_not1_saveexec_b32 s6, s6
	s_cbranch_execz .LBB234_616
; %bb.601:
	flat_load_u8 v6, v[2:3]
	s_mov_b32 s7, 0
	s_mov_b32 s8, exec_lo
	s_wait_loadcnt_dscnt 0x0
	v_cmpx_lt_i16_e32 0x7f, v6
	s_xor_b32 s8, exec_lo, s8
	s_cbranch_execz .LBB234_2474
; %bb.602:
	s_mov_b32 s7, -1
	s_mov_b32 s9, exec_lo
	v_cmpx_eq_u16_e32 0x80, v6
; %bb.603:
	s_xor_b32 s7, exec_lo, -1
; %bb.604:
	s_or_b32 exec_lo, exec_lo, s9
	s_delay_alu instid0(SALU_CYCLE_1)
	s_and_b32 s7, s7, exec_lo
	s_or_saveexec_b32 s8, s8
	v_mov_b32_e32 v5, 0x7f800001
	s_xor_b32 exec_lo, exec_lo, s8
	s_cbranch_execnz .LBB234_2475
.LBB234_605:
	s_or_b32 exec_lo, exec_lo, s8
	s_and_saveexec_b32 s8, s7
	s_cbranch_execz .LBB234_607
.LBB234_606:
	v_and_b32_e32 v5, 0xffff, v6
	s_delay_alu instid0(VALU_DEP_1) | instskip(SKIP_1) | instid1(VALU_DEP_2)
	v_dual_lshlrev_b32 v6, 24, v6 :: v_dual_bitop2_b32 v7, 7, v5 bitop3:0x40
	v_bfe_u32 v13, v5, 3, 4
	v_and_b32_e32 v6, 0x80000000, v6
	s_delay_alu instid0(VALU_DEP_3) | instskip(NEXT) | instid1(VALU_DEP_3)
	v_clz_i32_u32_e32 v9, v7
	v_cmp_eq_u32_e32 vcc_lo, 0, v13
	s_delay_alu instid0(VALU_DEP_2) | instskip(NEXT) | instid1(VALU_DEP_1)
	v_min_u32_e32 v9, 32, v9
	v_subrev_nc_u32_e32 v11, 28, v9
	v_sub_nc_u32_e32 v9, 29, v9
	s_delay_alu instid0(VALU_DEP_2) | instskip(NEXT) | instid1(VALU_DEP_2)
	v_lshlrev_b32_e32 v5, v11, v5
	v_cndmask_b32_e32 v9, v13, v9, vcc_lo
	s_delay_alu instid0(VALU_DEP_2) | instskip(NEXT) | instid1(VALU_DEP_1)
	v_and_b32_e32 v5, 7, v5
	v_cndmask_b32_e32 v5, v7, v5, vcc_lo
	s_delay_alu instid0(VALU_DEP_3) | instskip(NEXT) | instid1(VALU_DEP_2)
	v_lshl_add_u32 v7, v9, 23, 0x3b800000
	v_lshlrev_b32_e32 v5, 20, v5
	s_delay_alu instid0(VALU_DEP_1)
	v_or3_b32 v5, v6, v7, v5
.LBB234_607:
	s_or_b32 exec_lo, exec_lo, s8
	s_delay_alu instid0(VALU_DEP_1) | instskip(SKIP_1) | instid1(VALU_DEP_1)
	v_and_b32_e32 v7, 0x7fffffff, v5
	s_mov_b32 s7, exec_lo
                                        ; implicit-def: $vgpr6
	v_cmpx_gt_u32_e32 0x47800000, v7
	s_xor_b32 s7, exec_lo, s7
	s_cbranch_execz .LBB234_613
; %bb.608:
	s_mov_b32 s8, exec_lo
                                        ; implicit-def: $vgpr6
	v_cmpx_lt_u32_e32 0x387fffff, v7
	s_xor_b32 s8, exec_lo, s8
; %bb.609:
	v_bfe_u32 v6, v5, 21, 1
	s_delay_alu instid0(VALU_DEP_1) | instskip(NEXT) | instid1(VALU_DEP_1)
	v_add3_u32 v6, v5, v6, 0x80fffff
	v_lshrrev_b32_e32 v6, 21, v6
; %bb.610:
	s_and_not1_saveexec_b32 s8, s8
; %bb.611:
	v_add_f32_e64 v6, 0x43000000, |v5|
; %bb.612:
	s_or_b32 exec_lo, exec_lo, s8
                                        ; implicit-def: $vgpr7
.LBB234_613:
	s_and_not1_saveexec_b32 s7, s7
; %bb.614:
	v_mov_b32_e32 v6, 0x7f
	v_cmp_lt_u32_e32 vcc_lo, 0x7f800000, v7
	s_delay_alu instid0(VALU_DEP_2)
	v_cndmask_b32_e32 v6, 0x7c, v6, vcc_lo
; %bb.615:
	s_or_b32 exec_lo, exec_lo, s7
	v_lshrrev_b32_e32 v5, 24, v5
	s_delay_alu instid0(VALU_DEP_1)
	v_and_or_b32 v21, 0x80, v5, v6
.LBB234_616:
	s_or_b32 exec_lo, exec_lo, s6
	s_delay_alu instid0(SALU_CYCLE_1)
	s_or_b32 s5, s5, exec_lo
.LBB234_617:
	s_or_b32 exec_lo, exec_lo, s3
	s_delay_alu instid0(SALU_CYCLE_1)
	s_and_b32 s3, s5, exec_lo
	s_and_b32 s4, s4, exec_lo
	s_and_not1_saveexec_b32 s2, s2
	s_cbranch_execnz .LBB234_2238
.LBB234_618:
	s_or_b32 exec_lo, exec_lo, s2
	s_mov_b32 s2, s14
	s_and_saveexec_b32 s5, s4
	s_cbranch_execnz .LBB234_2287
.LBB234_619:
	s_or_b32 exec_lo, exec_lo, s5
	s_and_saveexec_b32 s4, s1
	s_cbranch_execz .LBB234_629
.LBB234_620:
	flat_load_u8 v2, v[2:3]
	s_mov_b32 s1, exec_lo
                                        ; implicit-def: $vgpr21
	s_wait_loadcnt_dscnt 0x0
	v_cmp_ne_u16_e32 vcc_lo, 0, v2
	s_wait_xcnt 0x0
	v_cndmask_b32_e64 v2, 0, 1.0, vcc_lo
	s_delay_alu instid0(VALU_DEP_1)
	v_cmpx_gt_u32_e32 0x47800000, v2
	s_xor_b32 s1, exec_lo, s1
	s_cbranch_execz .LBB234_626
; %bb.621:
	s_mov_b32 s5, exec_lo
                                        ; implicit-def: $vgpr21
	v_cmpx_lt_u32_e32 0x387fffff, v2
	s_xor_b32 s5, exec_lo, s5
; %bb.622:
	v_bfe_u32 v3, v2, 21, 1
	s_delay_alu instid0(VALU_DEP_1) | instskip(NEXT) | instid1(VALU_DEP_1)
	v_add3_u32 v2, v2, v3, 0x80fffff
	v_lshrrev_b32_e32 v21, 21, v2
                                        ; implicit-def: $vgpr2
; %bb.623:
	s_and_not1_saveexec_b32 s5, s5
; %bb.624:
	v_add_f32_e32 v21, 0x43000000, v2
; %bb.625:
	s_or_b32 exec_lo, exec_lo, s5
                                        ; implicit-def: $vgpr2
.LBB234_626:
	s_and_not1_saveexec_b32 s1, s1
; %bb.627:
	v_mov_b32_e32 v3, 0x7f
	v_cmp_lt_u32_e32 vcc_lo, 0x7f800000, v2
	s_delay_alu instid0(VALU_DEP_2)
	v_cndmask_b32_e32 v21, 0x7c, v3, vcc_lo
; %bb.628:
	s_or_b32 exec_lo, exec_lo, s1
	s_delay_alu instid0(SALU_CYCLE_1)
	s_or_b32 s3, s3, exec_lo
.LBB234_629:
	s_or_b32 exec_lo, exec_lo, s4
	s_delay_alu instid0(SALU_CYCLE_1) | instskip(SKIP_1) | instid1(SALU_CYCLE_1)
	s_and_not1_b32 s1, s14, exec_lo
	s_and_b32 s2, s2, exec_lo
                                        ; implicit-def: $vgpr2_vgpr3
	s_or_b32 s16, s1, s2
	s_and_b32 s1, s3, exec_lo
.LBB234_630:
	s_and_not1_saveexec_b32 s0, s0
	s_cbranch_execz .LBB234_760
; %bb.631:
	s_mov_b32 s2, exec_lo
                                        ; implicit-def: $vgpr21
	v_cmpx_lt_i16_e32 4, v1
	s_xor_b32 s2, exec_lo, s2
	s_cbranch_execz .LBB234_701
; %bb.632:
	s_mov_b32 s3, exec_lo
                                        ; implicit-def: $vgpr21
	v_cmpx_lt_i16_e32 7, v1
	s_xor_b32 s3, exec_lo, s3
	;; [unrolled: 6-line block ×4, first 2 shown]
	s_cbranch_execz .LBB234_644
; %bb.635:
	flat_load_b64 v[2:3], v[2:3]
	s_mov_b32 s6, exec_lo
	s_wait_loadcnt_dscnt 0x0
	v_cvt_f32_f64_e32 v2, v[2:3]
                                        ; implicit-def: $vgpr3
	s_delay_alu instid0(VALU_DEP_1) | instskip(NEXT) | instid1(VALU_DEP_1)
	v_and_b32_e32 v5, 0x7fffffff, v2
	v_cmpx_gt_u32_e32 0x47800000, v5
	s_xor_b32 s6, exec_lo, s6
	s_cbranch_execz .LBB234_641
; %bb.636:
	s_mov_b32 s7, exec_lo
                                        ; implicit-def: $vgpr3
	v_cmpx_lt_u32_e32 0x387fffff, v5
	s_xor_b32 s7, exec_lo, s7
; %bb.637:
	v_bfe_u32 v3, v2, 21, 1
	s_delay_alu instid0(VALU_DEP_1) | instskip(NEXT) | instid1(VALU_DEP_1)
	v_add3_u32 v3, v2, v3, 0x80fffff
	v_lshrrev_b32_e32 v3, 21, v3
; %bb.638:
	s_and_not1_saveexec_b32 s7, s7
; %bb.639:
	v_add_f32_e64 v3, 0x43000000, |v2|
; %bb.640:
	s_or_b32 exec_lo, exec_lo, s7
                                        ; implicit-def: $vgpr5
.LBB234_641:
	s_and_not1_saveexec_b32 s6, s6
; %bb.642:
	v_mov_b32_e32 v3, 0x7f
	v_cmp_lt_u32_e32 vcc_lo, 0x7f800000, v5
	s_delay_alu instid0(VALU_DEP_2)
	v_cndmask_b32_e32 v3, 0x7c, v3, vcc_lo
; %bb.643:
	s_or_b32 exec_lo, exec_lo, s6
	v_lshrrev_b32_e32 v2, 24, v2
	s_delay_alu instid0(VALU_DEP_1)
	v_and_or_b32 v21, 0x80, v2, v3
                                        ; implicit-def: $vgpr2_vgpr3
.LBB234_644:
	s_and_not1_saveexec_b32 s5, s5
	s_cbranch_execz .LBB234_654
; %bb.645:
	flat_load_b32 v2, v[2:3]
	s_mov_b32 s6, exec_lo
                                        ; implicit-def: $vgpr3
	s_wait_loadcnt_dscnt 0x0
	v_and_b32_e32 v5, 0x7fffffff, v2
	s_wait_xcnt 0x0
	s_delay_alu instid0(VALU_DEP_1)
	v_cmpx_gt_u32_e32 0x47800000, v5
	s_xor_b32 s6, exec_lo, s6
	s_cbranch_execz .LBB234_651
; %bb.646:
	s_mov_b32 s7, exec_lo
                                        ; implicit-def: $vgpr3
	v_cmpx_lt_u32_e32 0x387fffff, v5
	s_xor_b32 s7, exec_lo, s7
; %bb.647:
	v_bfe_u32 v3, v2, 21, 1
	s_delay_alu instid0(VALU_DEP_1) | instskip(NEXT) | instid1(VALU_DEP_1)
	v_add3_u32 v3, v2, v3, 0x80fffff
	v_lshrrev_b32_e32 v3, 21, v3
; %bb.648:
	s_and_not1_saveexec_b32 s7, s7
; %bb.649:
	v_add_f32_e64 v3, 0x43000000, |v2|
; %bb.650:
	s_or_b32 exec_lo, exec_lo, s7
                                        ; implicit-def: $vgpr5
.LBB234_651:
	s_and_not1_saveexec_b32 s6, s6
; %bb.652:
	v_mov_b32_e32 v3, 0x7f
	v_cmp_lt_u32_e32 vcc_lo, 0x7f800000, v5
	s_delay_alu instid0(VALU_DEP_2)
	v_cndmask_b32_e32 v3, 0x7c, v3, vcc_lo
; %bb.653:
	s_or_b32 exec_lo, exec_lo, s6
	v_lshrrev_b32_e32 v2, 24, v2
	s_delay_alu instid0(VALU_DEP_1)
	v_and_or_b32 v21, 0x80, v2, v3
.LBB234_654:
	s_or_b32 exec_lo, exec_lo, s5
                                        ; implicit-def: $vgpr2_vgpr3
.LBB234_655:
	s_and_not1_saveexec_b32 s4, s4
	s_cbranch_execz .LBB234_665
; %bb.656:
	flat_load_b32 v2, v[2:3]
	s_mov_b32 s5, exec_lo
                                        ; implicit-def: $vgpr3
	s_wait_loadcnt_dscnt 0x0
	v_cvt_f32_f16_e32 v2, v2
	s_delay_alu instid0(VALU_DEP_1) | instskip(NEXT) | instid1(VALU_DEP_1)
	v_and_b32_e32 v5, 0x7fffffff, v2
	v_cmpx_gt_u32_e32 0x47800000, v5
	s_xor_b32 s5, exec_lo, s5
	s_cbranch_execz .LBB234_662
; %bb.657:
	s_mov_b32 s6, exec_lo
                                        ; implicit-def: $vgpr3
	v_cmpx_lt_u32_e32 0x387fffff, v5
	s_xor_b32 s6, exec_lo, s6
; %bb.658:
	v_bfe_u32 v3, v2, 21, 1
	s_delay_alu instid0(VALU_DEP_1) | instskip(NEXT) | instid1(VALU_DEP_1)
	v_add3_u32 v3, v2, v3, 0x80fffff
	v_lshrrev_b32_e32 v3, 21, v3
; %bb.659:
	s_and_not1_saveexec_b32 s6, s6
; %bb.660:
	v_add_f32_e64 v3, 0x43000000, |v2|
; %bb.661:
	s_or_b32 exec_lo, exec_lo, s6
                                        ; implicit-def: $vgpr5
.LBB234_662:
	s_and_not1_saveexec_b32 s5, s5
; %bb.663:
	v_mov_b32_e32 v3, 0x7f
	v_cmp_lt_u32_e32 vcc_lo, 0x7f800000, v5
	s_delay_alu instid0(VALU_DEP_2)
	v_cndmask_b32_e32 v3, 0x7c, v3, vcc_lo
; %bb.664:
	s_or_b32 exec_lo, exec_lo, s5
	v_lshrrev_b32_e32 v2, 24, v2
	s_delay_alu instid0(VALU_DEP_1)
	v_and_or_b32 v21, 0x80, v2, v3
.LBB234_665:
	s_or_b32 exec_lo, exec_lo, s4
                                        ; implicit-def: $vgpr2_vgpr3
.LBB234_666:
	s_and_not1_saveexec_b32 s3, s3
	s_cbranch_execz .LBB234_700
; %bb.667:
	s_mov_b32 s4, exec_lo
                                        ; implicit-def: $vgpr21
	v_cmpx_lt_i16_e32 5, v1
	s_xor_b32 s4, exec_lo, s4
	s_cbranch_execz .LBB234_689
; %bb.668:
	s_mov_b32 s5, exec_lo
                                        ; implicit-def: $vgpr21
	v_cmpx_lt_i16_e32 6, v1
	s_xor_b32 s5, exec_lo, s5
	s_cbranch_execz .LBB234_678
; %bb.669:
	flat_load_b64 v[2:3], v[2:3]
	s_mov_b32 s6, exec_lo
	s_wait_loadcnt_dscnt 0x0
	v_cvt_f32_f64_e32 v2, v[2:3]
                                        ; implicit-def: $vgpr3
	s_delay_alu instid0(VALU_DEP_1) | instskip(NEXT) | instid1(VALU_DEP_1)
	v_and_b32_e32 v5, 0x7fffffff, v2
	v_cmpx_gt_u32_e32 0x47800000, v5
	s_xor_b32 s6, exec_lo, s6
	s_cbranch_execz .LBB234_675
; %bb.670:
	s_mov_b32 s7, exec_lo
                                        ; implicit-def: $vgpr3
	v_cmpx_lt_u32_e32 0x387fffff, v5
	s_xor_b32 s7, exec_lo, s7
; %bb.671:
	v_bfe_u32 v3, v2, 21, 1
	s_delay_alu instid0(VALU_DEP_1) | instskip(NEXT) | instid1(VALU_DEP_1)
	v_add3_u32 v3, v2, v3, 0x80fffff
	v_lshrrev_b32_e32 v3, 21, v3
; %bb.672:
	s_and_not1_saveexec_b32 s7, s7
; %bb.673:
	v_add_f32_e64 v3, 0x43000000, |v2|
; %bb.674:
	s_or_b32 exec_lo, exec_lo, s7
                                        ; implicit-def: $vgpr5
.LBB234_675:
	s_and_not1_saveexec_b32 s6, s6
; %bb.676:
	v_mov_b32_e32 v3, 0x7f
	v_cmp_lt_u32_e32 vcc_lo, 0x7f800000, v5
	s_delay_alu instid0(VALU_DEP_2)
	v_cndmask_b32_e32 v3, 0x7c, v3, vcc_lo
; %bb.677:
	s_or_b32 exec_lo, exec_lo, s6
	v_lshrrev_b32_e32 v2, 24, v2
	s_delay_alu instid0(VALU_DEP_1)
	v_and_or_b32 v21, 0x80, v2, v3
                                        ; implicit-def: $vgpr2_vgpr3
.LBB234_678:
	s_and_not1_saveexec_b32 s5, s5
	s_cbranch_execz .LBB234_688
; %bb.679:
	flat_load_b32 v2, v[2:3]
	s_mov_b32 s6, exec_lo
                                        ; implicit-def: $vgpr3
	s_wait_loadcnt_dscnt 0x0
	v_and_b32_e32 v5, 0x7fffffff, v2
	s_wait_xcnt 0x0
	s_delay_alu instid0(VALU_DEP_1)
	v_cmpx_gt_u32_e32 0x47800000, v5
	s_xor_b32 s6, exec_lo, s6
	s_cbranch_execz .LBB234_685
; %bb.680:
	s_mov_b32 s7, exec_lo
                                        ; implicit-def: $vgpr3
	v_cmpx_lt_u32_e32 0x387fffff, v5
	s_xor_b32 s7, exec_lo, s7
; %bb.681:
	v_bfe_u32 v3, v2, 21, 1
	s_delay_alu instid0(VALU_DEP_1) | instskip(NEXT) | instid1(VALU_DEP_1)
	v_add3_u32 v3, v2, v3, 0x80fffff
	v_lshrrev_b32_e32 v3, 21, v3
; %bb.682:
	s_and_not1_saveexec_b32 s7, s7
; %bb.683:
	v_add_f32_e64 v3, 0x43000000, |v2|
; %bb.684:
	s_or_b32 exec_lo, exec_lo, s7
                                        ; implicit-def: $vgpr5
.LBB234_685:
	s_and_not1_saveexec_b32 s6, s6
; %bb.686:
	v_mov_b32_e32 v3, 0x7f
	v_cmp_lt_u32_e32 vcc_lo, 0x7f800000, v5
	s_delay_alu instid0(VALU_DEP_2)
	v_cndmask_b32_e32 v3, 0x7c, v3, vcc_lo
; %bb.687:
	s_or_b32 exec_lo, exec_lo, s6
	v_lshrrev_b32_e32 v2, 24, v2
	s_delay_alu instid0(VALU_DEP_1)
	v_and_or_b32 v21, 0x80, v2, v3
.LBB234_688:
	s_or_b32 exec_lo, exec_lo, s5
                                        ; implicit-def: $vgpr2_vgpr3
.LBB234_689:
	s_and_not1_saveexec_b32 s4, s4
	s_cbranch_execz .LBB234_699
; %bb.690:
	flat_load_u16 v2, v[2:3]
	s_mov_b32 s5, exec_lo
                                        ; implicit-def: $vgpr3
	s_wait_loadcnt_dscnt 0x0
	v_cvt_f32_f16_e32 v2, v2
	s_delay_alu instid0(VALU_DEP_1) | instskip(NEXT) | instid1(VALU_DEP_1)
	v_and_b32_e32 v5, 0x7fffffff, v2
	v_cmpx_gt_u32_e32 0x47800000, v5
	s_xor_b32 s5, exec_lo, s5
	s_cbranch_execz .LBB234_696
; %bb.691:
	s_mov_b32 s6, exec_lo
                                        ; implicit-def: $vgpr3
	v_cmpx_lt_u32_e32 0x387fffff, v5
	s_xor_b32 s6, exec_lo, s6
; %bb.692:
	v_bfe_u32 v3, v2, 21, 1
	s_delay_alu instid0(VALU_DEP_1) | instskip(NEXT) | instid1(VALU_DEP_1)
	v_add3_u32 v3, v2, v3, 0x80fffff
	v_lshrrev_b32_e32 v3, 21, v3
; %bb.693:
	s_and_not1_saveexec_b32 s6, s6
; %bb.694:
	v_add_f32_e64 v3, 0x43000000, |v2|
; %bb.695:
	s_or_b32 exec_lo, exec_lo, s6
                                        ; implicit-def: $vgpr5
.LBB234_696:
	s_and_not1_saveexec_b32 s5, s5
; %bb.697:
	v_mov_b32_e32 v3, 0x7f
	v_cmp_lt_u32_e32 vcc_lo, 0x7f800000, v5
	s_delay_alu instid0(VALU_DEP_2)
	v_cndmask_b32_e32 v3, 0x7c, v3, vcc_lo
; %bb.698:
	s_or_b32 exec_lo, exec_lo, s5
	v_lshrrev_b32_e32 v2, 24, v2
	s_delay_alu instid0(VALU_DEP_1)
	v_and_or_b32 v21, 0x80, v2, v3
.LBB234_699:
	s_or_b32 exec_lo, exec_lo, s4
.LBB234_700:
	s_delay_alu instid0(SALU_CYCLE_1)
	s_or_b32 exec_lo, exec_lo, s3
                                        ; implicit-def: $vgpr2_vgpr3
.LBB234_701:
	s_and_not1_saveexec_b32 s2, s2
	s_cbranch_execz .LBB234_759
; %bb.702:
	s_mov_b32 s3, exec_lo
                                        ; implicit-def: $vgpr21
	v_cmpx_lt_i16_e32 1, v1
	s_xor_b32 s3, exec_lo, s3
	s_cbranch_execz .LBB234_736
; %bb.703:
	s_mov_b32 s4, exec_lo
                                        ; implicit-def: $vgpr21
	v_cmpx_lt_i16_e32 2, v1
	s_xor_b32 s4, exec_lo, s4
	;; [unrolled: 6-line block ×3, first 2 shown]
	s_cbranch_execz .LBB234_714
; %bb.705:
	flat_load_b64 v[2:3], v[2:3]
	s_mov_b32 s6, exec_lo
	s_wait_loadcnt_dscnt 0x0
	v_xor_b32_e32 v5, v2, v3
	v_cls_i32_e32 v6, v3
	s_delay_alu instid0(VALU_DEP_2) | instskip(NEXT) | instid1(VALU_DEP_1)
	v_ashrrev_i32_e32 v5, 31, v5
	v_add_nc_u32_e32 v5, 32, v5
	s_delay_alu instid0(VALU_DEP_1) | instskip(SKIP_1) | instid1(VALU_DEP_1)
	v_add_min_u32_e64 v5, v6, -1, v5
	s_wait_xcnt 0x0
	v_lshlrev_b64_e32 v[2:3], v5, v[2:3]
	s_delay_alu instid0(VALU_DEP_1) | instskip(NEXT) | instid1(VALU_DEP_1)
	v_min_u32_e32 v2, 1, v2
	v_dual_sub_nc_u32 v3, 32, v5 :: v_dual_bitop2_b32 v2, v3, v2 bitop3:0x54
	s_delay_alu instid0(VALU_DEP_1) | instskip(NEXT) | instid1(VALU_DEP_1)
	v_cvt_f32_i32_e32 v2, v2
	v_ldexp_f32 v2, v2, v3
                                        ; implicit-def: $vgpr3
	s_delay_alu instid0(VALU_DEP_1) | instskip(NEXT) | instid1(VALU_DEP_1)
	v_and_b32_e32 v5, 0x7fffffff, v2
	v_cmpx_gt_u32_e32 0x47800000, v5
	s_xor_b32 s6, exec_lo, s6
	s_cbranch_execz .LBB234_711
; %bb.706:
	s_mov_b32 s7, exec_lo
                                        ; implicit-def: $vgpr3
	v_cmpx_lt_u32_e32 0x387fffff, v5
	s_xor_b32 s7, exec_lo, s7
; %bb.707:
	v_bfe_u32 v3, v2, 21, 1
	s_delay_alu instid0(VALU_DEP_1) | instskip(NEXT) | instid1(VALU_DEP_1)
	v_add3_u32 v3, v2, v3, 0x80fffff
	v_lshrrev_b32_e32 v3, 21, v3
; %bb.708:
	s_and_not1_saveexec_b32 s7, s7
; %bb.709:
	v_add_f32_e64 v3, 0x43000000, |v2|
; %bb.710:
	s_or_b32 exec_lo, exec_lo, s7
                                        ; implicit-def: $vgpr5
.LBB234_711:
	s_and_not1_saveexec_b32 s6, s6
; %bb.712:
	v_mov_b32_e32 v3, 0x7f
	v_cmp_lt_u32_e32 vcc_lo, 0x7f800000, v5
	s_delay_alu instid0(VALU_DEP_2)
	v_cndmask_b32_e32 v3, 0x7c, v3, vcc_lo
; %bb.713:
	s_or_b32 exec_lo, exec_lo, s6
	v_lshrrev_b32_e32 v2, 24, v2
	s_delay_alu instid0(VALU_DEP_1)
	v_and_or_b32 v21, 0x80, v2, v3
                                        ; implicit-def: $vgpr2_vgpr3
.LBB234_714:
	s_and_not1_saveexec_b32 s5, s5
	s_cbranch_execz .LBB234_724
; %bb.715:
	flat_load_b32 v2, v[2:3]
	s_mov_b32 s6, exec_lo
                                        ; implicit-def: $vgpr3
	s_wait_loadcnt_dscnt 0x0
	v_cvt_f32_i32_e32 v2, v2
	s_delay_alu instid0(VALU_DEP_1) | instskip(NEXT) | instid1(VALU_DEP_1)
	v_and_b32_e32 v5, 0x7fffffff, v2
	v_cmpx_gt_u32_e32 0x47800000, v5
	s_xor_b32 s6, exec_lo, s6
	s_cbranch_execz .LBB234_721
; %bb.716:
	s_mov_b32 s7, exec_lo
                                        ; implicit-def: $vgpr3
	v_cmpx_lt_u32_e32 0x387fffff, v5
	s_xor_b32 s7, exec_lo, s7
; %bb.717:
	v_bfe_u32 v3, v2, 21, 1
	s_delay_alu instid0(VALU_DEP_1) | instskip(NEXT) | instid1(VALU_DEP_1)
	v_add3_u32 v3, v2, v3, 0x80fffff
	v_lshrrev_b32_e32 v3, 21, v3
; %bb.718:
	s_and_not1_saveexec_b32 s7, s7
; %bb.719:
	v_add_f32_e64 v3, 0x43000000, |v2|
; %bb.720:
	s_or_b32 exec_lo, exec_lo, s7
                                        ; implicit-def: $vgpr5
.LBB234_721:
	s_and_not1_saveexec_b32 s6, s6
; %bb.722:
	v_mov_b32_e32 v3, 0x7f
	v_cmp_lt_u32_e32 vcc_lo, 0x7f800000, v5
	s_delay_alu instid0(VALU_DEP_2)
	v_cndmask_b32_e32 v3, 0x7c, v3, vcc_lo
; %bb.723:
	s_or_b32 exec_lo, exec_lo, s6
	v_lshrrev_b32_e32 v2, 24, v2
	s_delay_alu instid0(VALU_DEP_1)
	v_and_or_b32 v21, 0x80, v2, v3
.LBB234_724:
	s_or_b32 exec_lo, exec_lo, s5
                                        ; implicit-def: $vgpr2_vgpr3
.LBB234_725:
	s_and_not1_saveexec_b32 s4, s4
	s_cbranch_execz .LBB234_735
; %bb.726:
	flat_load_i16 v2, v[2:3]
	s_mov_b32 s5, exec_lo
                                        ; implicit-def: $vgpr3
	s_wait_loadcnt_dscnt 0x0
	v_cvt_f32_i32_e32 v2, v2
	s_delay_alu instid0(VALU_DEP_1) | instskip(NEXT) | instid1(VALU_DEP_1)
	v_and_b32_e32 v5, 0x7fffffff, v2
	v_cmpx_gt_u32_e32 0x47800000, v5
	s_xor_b32 s5, exec_lo, s5
	s_cbranch_execz .LBB234_732
; %bb.727:
	s_mov_b32 s6, exec_lo
                                        ; implicit-def: $vgpr3
	v_cmpx_lt_u32_e32 0x387fffff, v5
	s_xor_b32 s6, exec_lo, s6
; %bb.728:
	v_bfe_u32 v3, v2, 21, 1
	s_delay_alu instid0(VALU_DEP_1) | instskip(NEXT) | instid1(VALU_DEP_1)
	v_add3_u32 v3, v2, v3, 0x80fffff
	v_lshrrev_b32_e32 v3, 21, v3
; %bb.729:
	s_and_not1_saveexec_b32 s6, s6
; %bb.730:
	v_add_f32_e64 v3, 0x43000000, |v2|
; %bb.731:
	s_or_b32 exec_lo, exec_lo, s6
                                        ; implicit-def: $vgpr5
.LBB234_732:
	s_and_not1_saveexec_b32 s5, s5
; %bb.733:
	v_mov_b32_e32 v3, 0x7f
	v_cmp_lt_u32_e32 vcc_lo, 0x7f800000, v5
	s_delay_alu instid0(VALU_DEP_2)
	v_cndmask_b32_e32 v3, 0x7c, v3, vcc_lo
; %bb.734:
	s_or_b32 exec_lo, exec_lo, s5
	v_lshrrev_b32_e32 v2, 24, v2
	s_delay_alu instid0(VALU_DEP_1)
	v_and_or_b32 v21, 0x80, v2, v3
.LBB234_735:
	s_or_b32 exec_lo, exec_lo, s4
                                        ; implicit-def: $vgpr2_vgpr3
.LBB234_736:
	s_and_not1_saveexec_b32 s3, s3
	s_cbranch_execz .LBB234_758
; %bb.737:
	s_mov_b32 s4, exec_lo
                                        ; implicit-def: $vgpr21
	v_cmpx_lt_i16_e32 0, v1
	s_xor_b32 s4, exec_lo, s4
	s_cbranch_execz .LBB234_747
; %bb.738:
	flat_load_i8 v2, v[2:3]
	s_mov_b32 s5, exec_lo
                                        ; implicit-def: $vgpr3
	s_wait_loadcnt_dscnt 0x0
	v_cvt_f32_i32_e32 v2, v2
	s_delay_alu instid0(VALU_DEP_1) | instskip(NEXT) | instid1(VALU_DEP_1)
	v_and_b32_e32 v5, 0x7fffffff, v2
	v_cmpx_gt_u32_e32 0x47800000, v5
	s_xor_b32 s5, exec_lo, s5
	s_cbranch_execz .LBB234_744
; %bb.739:
	s_mov_b32 s6, exec_lo
                                        ; implicit-def: $vgpr3
	v_cmpx_lt_u32_e32 0x387fffff, v5
	s_xor_b32 s6, exec_lo, s6
; %bb.740:
	v_bfe_u32 v3, v2, 21, 1
	s_delay_alu instid0(VALU_DEP_1) | instskip(NEXT) | instid1(VALU_DEP_1)
	v_add3_u32 v3, v2, v3, 0x80fffff
	v_lshrrev_b32_e32 v3, 21, v3
; %bb.741:
	s_and_not1_saveexec_b32 s6, s6
; %bb.742:
	v_add_f32_e64 v3, 0x43000000, |v2|
; %bb.743:
	s_or_b32 exec_lo, exec_lo, s6
                                        ; implicit-def: $vgpr5
.LBB234_744:
	s_and_not1_saveexec_b32 s5, s5
; %bb.745:
	v_mov_b32_e32 v3, 0x7f
	v_cmp_lt_u32_e32 vcc_lo, 0x7f800000, v5
	s_delay_alu instid0(VALU_DEP_2)
	v_cndmask_b32_e32 v3, 0x7c, v3, vcc_lo
; %bb.746:
	s_or_b32 exec_lo, exec_lo, s5
	v_lshrrev_b32_e32 v2, 24, v2
	s_delay_alu instid0(VALU_DEP_1)
	v_and_or_b32 v21, 0x80, v2, v3
                                        ; implicit-def: $vgpr2_vgpr3
.LBB234_747:
	s_and_not1_saveexec_b32 s4, s4
	s_cbranch_execz .LBB234_757
; %bb.748:
	flat_load_u8 v2, v[2:3]
	s_mov_b32 s5, exec_lo
                                        ; implicit-def: $vgpr21
	s_wait_loadcnt_dscnt 0x0
	v_cvt_f32_ubyte0_e32 v2, v2
	s_delay_alu instid0(VALU_DEP_1)
	v_cmpx_gt_u32_e32 0x47800000, v2
	s_xor_b32 s5, exec_lo, s5
	s_cbranch_execz .LBB234_754
; %bb.749:
	s_mov_b32 s6, exec_lo
                                        ; implicit-def: $vgpr21
	v_cmpx_lt_u32_e32 0x387fffff, v2
	s_xor_b32 s6, exec_lo, s6
; %bb.750:
	v_bfe_u32 v3, v2, 21, 1
	s_delay_alu instid0(VALU_DEP_1) | instskip(NEXT) | instid1(VALU_DEP_1)
	v_add3_u32 v2, v2, v3, 0x80fffff
	v_lshrrev_b32_e32 v21, 21, v2
                                        ; implicit-def: $vgpr2
; %bb.751:
	s_and_not1_saveexec_b32 s6, s6
; %bb.752:
	v_add_f32_e32 v21, 0x43000000, v2
; %bb.753:
	s_or_b32 exec_lo, exec_lo, s6
                                        ; implicit-def: $vgpr2
.LBB234_754:
	s_and_not1_saveexec_b32 s5, s5
; %bb.755:
	v_mov_b32_e32 v3, 0x7f
	v_cmp_lt_u32_e32 vcc_lo, 0x7f800000, v2
	s_delay_alu instid0(VALU_DEP_2)
	v_cndmask_b32_e32 v21, 0x7c, v3, vcc_lo
; %bb.756:
	s_or_b32 exec_lo, exec_lo, s5
.LBB234_757:
	s_delay_alu instid0(SALU_CYCLE_1)
	s_or_b32 exec_lo, exec_lo, s4
.LBB234_758:
	s_delay_alu instid0(SALU_CYCLE_1)
	s_or_b32 exec_lo, exec_lo, s3
.LBB234_759:
	s_delay_alu instid0(SALU_CYCLE_1) | instskip(NEXT) | instid1(SALU_CYCLE_1)
	s_or_b32 exec_lo, exec_lo, s2
	s_or_b32 s1, s1, exec_lo
.LBB234_760:
	s_or_b32 exec_lo, exec_lo, s0
	s_mov_b32 s4, 0
	s_mov_b32 s2, 0
	;; [unrolled: 1-line block ×3, first 2 shown]
                                        ; implicit-def: $sgpr3
                                        ; implicit-def: $vgpr22_vgpr23
                                        ; implicit-def: $vgpr5
	s_and_saveexec_b32 s17, s1
	s_cbranch_execz .LBB234_2191
; %bb.761:
	s_clause 0x1
	scratch_load_b64 v[6:7], off, off offset:432
	scratch_load_u8 v3, off, off offset:446
	v_dual_mov_b32 v2, 0x1bd :: v_dual_mov_b32 v13, 0
	s_mov_b32 s1, 0
	s_mov_b32 s18, s16
	s_mov_b32 s0, exec_lo
                                        ; implicit-def: $vgpr25
	s_wait_loadcnt 0x1
	v_add_nc_u64_e32 v[12:13], v[6:7], v[12:13]
	s_wait_loadcnt 0x0
	v_cmpx_lt_i16_e32 10, v3
	s_xor_b32 s0, exec_lo, s0
	s_cbranch_execz .LBB234_856
; %bb.762:
	s_mov_b32 s3, 0
	s_mov_b32 s2, exec_lo
                                        ; implicit-def: $vgpr25
	v_cmpx_lt_i16_e32 25, v3
	s_xor_b32 s2, exec_lo, s2
	s_cbranch_execz .LBB234_2330
; %bb.763:
	s_mov_b32 s3, exec_lo
                                        ; implicit-def: $vgpr25
	v_cmpx_lt_i16_e32 28, v3
	s_xor_b32 s3, exec_lo, s3
	s_cbranch_execz .LBB234_803
; %bb.764:
	s_mov_b32 s6, 0
	s_mov_b32 s7, 0
	s_mov_b32 s4, exec_lo
                                        ; implicit-def: $vgpr25
	v_cmpx_lt_i16_e32 43, v3
	s_xor_b32 s4, exec_lo, s4
	s_cbranch_execz .LBB234_790
; %bb.765:
	s_mov_b32 s7, exec_lo
                                        ; implicit-def: $vgpr25
	v_cmpx_lt_i16_e32 45, v3
	s_xor_b32 s7, exec_lo, s7
	s_cbranch_execz .LBB234_777
; %bb.766:
	s_mov_b32 s8, -1
	s_mov_b32 s5, exec_lo
                                        ; implicit-def: $vgpr25
	v_cmpx_eq_u16_e32 46, v3
	s_cbranch_execz .LBB234_776
; %bb.767:
	flat_load_b32 v5, v[12:13]
	s_mov_b32 s6, exec_lo
                                        ; implicit-def: $vgpr9
	s_wait_loadcnt_dscnt 0x0
	v_lshlrev_b32_e32 v5, 16, v5
	s_delay_alu instid0(VALU_DEP_1) | instskip(SKIP_1) | instid1(VALU_DEP_1)
	v_and_b32_e32 v11, 0x7fffffff, v5
	s_wait_xcnt 0x0
	v_cmpx_gt_u32_e32 0x47800000, v11
	s_xor_b32 s6, exec_lo, s6
	s_cbranch_execz .LBB234_773
; %bb.768:
	s_mov_b32 s8, exec_lo
                                        ; implicit-def: $vgpr9
	v_cmpx_lt_u32_e32 0x387fffff, v11
	s_xor_b32 s8, exec_lo, s8
; %bb.769:
	v_bfe_u32 v9, v5, 21, 1
	s_delay_alu instid0(VALU_DEP_1) | instskip(NEXT) | instid1(VALU_DEP_1)
	v_add3_u32 v9, v5, v9, 0x80fffff
	v_lshrrev_b32_e32 v9, 21, v9
; %bb.770:
	s_and_not1_saveexec_b32 s8, s8
; %bb.771:
	v_add_f32_e64 v9, 0x43000000, |v5|
; %bb.772:
	s_or_b32 exec_lo, exec_lo, s8
                                        ; implicit-def: $vgpr11
.LBB234_773:
	s_and_not1_saveexec_b32 s6, s6
; %bb.774:
	v_mov_b32_e32 v9, 0x7f
	v_cmp_lt_u32_e32 vcc_lo, 0x7f800000, v11
	s_delay_alu instid0(VALU_DEP_2)
	v_cndmask_b32_e32 v9, 0x7c, v9, vcc_lo
; %bb.775:
	s_or_b32 exec_lo, exec_lo, s6
	v_lshrrev_b32_e32 v5, 24, v5
	s_mov_b32 s6, exec_lo
	s_xor_b32 s8, exec_lo, -1
	s_delay_alu instid0(VALU_DEP_1)
	v_and_or_b32 v25, 0x80, v5, v9
.LBB234_776:
	s_or_b32 exec_lo, exec_lo, s5
	s_delay_alu instid0(SALU_CYCLE_1)
	s_and_b32 s6, s6, exec_lo
	s_and_b32 s5, s8, exec_lo
.LBB234_777:
	s_and_not1_saveexec_b32 s7, s7
	s_cbranch_execz .LBB234_789
; %bb.778:
	s_mov_b32 s9, -1
	s_mov_b32 s10, s6
	s_mov_b32 s8, exec_lo
                                        ; implicit-def: $vgpr25
	v_cmpx_eq_u16_e32 44, v3
	s_cbranch_execz .LBB234_788
; %bb.779:
	flat_load_u8 v5, v[12:13]
	s_mov_b32 s9, exec_lo
                                        ; implicit-def: $vgpr25
	s_wait_loadcnt_dscnt 0x0
	v_lshlrev_b32_e32 v9, 23, v5
	v_cmp_ne_u32_e32 vcc_lo, 0xff, v5
	s_delay_alu instid0(VALU_DEP_2) | instskip(SKIP_1) | instid1(VALU_DEP_2)
	v_cndmask_b32_e32 v9, 0x7f800001, v9, vcc_lo
	v_cmp_ne_u32_e32 vcc_lo, 0, v5
	v_cndmask_b32_e32 v5, 0x400000, v9, vcc_lo
	s_wait_xcnt 0x0
	s_delay_alu instid0(VALU_DEP_1)
	v_cmpx_gt_u32_e32 0x47800000, v5
	s_xor_b32 s9, exec_lo, s9
	s_cbranch_execz .LBB234_785
; %bb.780:
	s_mov_b32 s10, exec_lo
                                        ; implicit-def: $vgpr25
	v_cmpx_lt_u32_e32 0x387fffff, v5
	s_xor_b32 s10, exec_lo, s10
; %bb.781:
	v_bfe_u32 v9, v5, 21, 1
	s_delay_alu instid0(VALU_DEP_1) | instskip(NEXT) | instid1(VALU_DEP_1)
	v_add3_u32 v5, v5, v9, 0x80fffff
	v_lshrrev_b32_e32 v25, 21, v5
                                        ; implicit-def: $vgpr5
; %bb.782:
	s_and_not1_saveexec_b32 s10, s10
; %bb.783:
	v_add_f32_e32 v25, 0x43000000, v5
; %bb.784:
	s_or_b32 exec_lo, exec_lo, s10
                                        ; implicit-def: $vgpr5
.LBB234_785:
	s_and_not1_saveexec_b32 s9, s9
; %bb.786:
	v_mov_b32_e32 v9, 0x7f
	v_cmp_lt_u32_e32 vcc_lo, 0x7f800000, v5
	s_delay_alu instid0(VALU_DEP_2)
	v_cndmask_b32_e32 v25, 0x7c, v9, vcc_lo
; %bb.787:
	s_or_b32 exec_lo, exec_lo, s9
	s_delay_alu instid0(SALU_CYCLE_1)
	s_or_b32 s10, s6, exec_lo
	s_xor_b32 s9, exec_lo, -1
.LBB234_788:
	s_or_b32 exec_lo, exec_lo, s8
	s_delay_alu instid0(SALU_CYCLE_1)
	s_and_not1_b32 s6, s6, exec_lo
	s_and_b32 s8, s10, exec_lo
	s_and_not1_b32 s5, s5, exec_lo
	s_and_b32 s9, s9, exec_lo
	s_or_b32 s6, s6, s8
	s_or_b32 s5, s5, s9
.LBB234_789:
	s_or_b32 exec_lo, exec_lo, s7
	s_delay_alu instid0(SALU_CYCLE_1)
	s_and_b32 s7, s6, exec_lo
	s_and_b32 s6, s5, exec_lo
.LBB234_790:
	s_and_not1_saveexec_b32 s4, s4
	s_cbranch_execz .LBB234_802
; %bb.791:
	s_mov_b32 s8, -1
	s_mov_b32 s9, s7
	s_mov_b32 s5, exec_lo
                                        ; implicit-def: $vgpr25
	v_cmpx_eq_u16_e32 29, v3
	s_cbranch_execz .LBB234_801
; %bb.792:
	flat_load_b64 v[22:23], v[12:13]
	s_mov_b32 s8, exec_lo
                                        ; implicit-def: $vgpr25
	s_wait_loadcnt_dscnt 0x0
	v_clz_i32_u32_e32 v5, v23
	s_delay_alu instid0(VALU_DEP_1) | instskip(NEXT) | instid1(VALU_DEP_1)
	v_min_u32_e32 v5, 32, v5
	v_lshlrev_b64_e32 v[22:23], v5, v[22:23]
	v_sub_nc_u32_e32 v5, 32, v5
	s_delay_alu instid0(VALU_DEP_2) | instskip(NEXT) | instid1(VALU_DEP_1)
	v_min_u32_e32 v9, 1, v22
	v_or_b32_e32 v9, v23, v9
	s_delay_alu instid0(VALU_DEP_1) | instskip(NEXT) | instid1(VALU_DEP_1)
	v_cvt_f32_u32_e32 v9, v9
	v_ldexp_f32 v5, v9, v5
	s_wait_xcnt 0x0
	s_delay_alu instid0(VALU_DEP_1)
	v_cmpx_gt_u32_e32 0x47800000, v5
	s_xor_b32 s8, exec_lo, s8
	s_cbranch_execz .LBB234_798
; %bb.793:
	s_mov_b32 s9, exec_lo
                                        ; implicit-def: $vgpr25
	v_cmpx_lt_u32_e32 0x387fffff, v5
	s_xor_b32 s9, exec_lo, s9
; %bb.794:
	v_bfe_u32 v9, v5, 21, 1
	s_delay_alu instid0(VALU_DEP_1) | instskip(NEXT) | instid1(VALU_DEP_1)
	v_add3_u32 v5, v5, v9, 0x80fffff
	v_lshrrev_b32_e32 v25, 21, v5
                                        ; implicit-def: $vgpr5
; %bb.795:
	s_and_not1_saveexec_b32 s9, s9
; %bb.796:
	v_add_f32_e32 v25, 0x43000000, v5
; %bb.797:
	s_or_b32 exec_lo, exec_lo, s9
                                        ; implicit-def: $vgpr5
.LBB234_798:
	s_and_not1_saveexec_b32 s8, s8
; %bb.799:
	v_mov_b32_e32 v9, 0x7f
	v_cmp_lt_u32_e32 vcc_lo, 0x7f800000, v5
	s_delay_alu instid0(VALU_DEP_2)
	v_cndmask_b32_e32 v25, 0x7c, v9, vcc_lo
; %bb.800:
	s_or_b32 exec_lo, exec_lo, s8
	s_delay_alu instid0(SALU_CYCLE_1)
	s_or_b32 s9, s7, exec_lo
	s_xor_b32 s8, exec_lo, -1
.LBB234_801:
	s_or_b32 exec_lo, exec_lo, s5
	s_delay_alu instid0(SALU_CYCLE_1)
	s_and_not1_b32 s5, s7, exec_lo
	s_and_b32 s7, s9, exec_lo
	s_and_not1_b32 s6, s6, exec_lo
	s_and_b32 s8, s8, exec_lo
	s_or_b32 s7, s5, s7
	s_or_b32 s6, s6, s8
.LBB234_802:
	s_or_b32 exec_lo, exec_lo, s4
	s_delay_alu instid0(SALU_CYCLE_1)
	s_and_b32 s5, s7, exec_lo
	s_and_b32 s4, s6, exec_lo
.LBB234_803:
	s_and_not1_saveexec_b32 s3, s3
	s_cbranch_execz .LBB234_843
; %bb.804:
	s_mov_b32 s6, exec_lo
                                        ; implicit-def: $vgpr25
	v_cmpx_lt_i16_e32 26, v3
	s_xor_b32 s6, exec_lo, s6
	s_cbranch_execz .LBB234_826
; %bb.805:
	s_mov_b32 s7, exec_lo
                                        ; implicit-def: $vgpr25
	v_cmpx_lt_i16_e32 27, v3
	s_xor_b32 s7, exec_lo, s7
	s_cbranch_execz .LBB234_815
; %bb.806:
	flat_load_b32 v5, v[12:13]
	s_mov_b32 s8, exec_lo
                                        ; implicit-def: $vgpr25
	s_wait_loadcnt_dscnt 0x0
	v_cvt_f32_u32_e32 v5, v5
	s_wait_xcnt 0x0
	s_delay_alu instid0(VALU_DEP_1)
	v_cmpx_gt_u32_e32 0x47800000, v5
	s_xor_b32 s8, exec_lo, s8
	s_cbranch_execz .LBB234_812
; %bb.807:
	s_mov_b32 s9, exec_lo
                                        ; implicit-def: $vgpr25
	v_cmpx_lt_u32_e32 0x387fffff, v5
	s_xor_b32 s9, exec_lo, s9
; %bb.808:
	v_bfe_u32 v9, v5, 21, 1
	s_delay_alu instid0(VALU_DEP_1) | instskip(NEXT) | instid1(VALU_DEP_1)
	v_add3_u32 v5, v5, v9, 0x80fffff
	v_lshrrev_b32_e32 v25, 21, v5
                                        ; implicit-def: $vgpr5
; %bb.809:
	s_and_not1_saveexec_b32 s9, s9
; %bb.810:
	v_add_f32_e32 v25, 0x43000000, v5
; %bb.811:
	s_or_b32 exec_lo, exec_lo, s9
                                        ; implicit-def: $vgpr5
.LBB234_812:
	s_and_not1_saveexec_b32 s8, s8
; %bb.813:
	v_mov_b32_e32 v9, 0x7f
	v_cmp_lt_u32_e32 vcc_lo, 0x7f800000, v5
	s_delay_alu instid0(VALU_DEP_2)
	v_cndmask_b32_e32 v25, 0x7c, v9, vcc_lo
; %bb.814:
	s_or_b32 exec_lo, exec_lo, s8
.LBB234_815:
	s_and_not1_saveexec_b32 s7, s7
	s_cbranch_execz .LBB234_825
; %bb.816:
	flat_load_u16 v5, v[12:13]
	s_mov_b32 s8, exec_lo
                                        ; implicit-def: $vgpr25
	s_wait_loadcnt_dscnt 0x0
	v_cvt_f32_u32_e32 v5, v5
	s_wait_xcnt 0x0
	s_delay_alu instid0(VALU_DEP_1)
	v_cmpx_gt_u32_e32 0x47800000, v5
	s_xor_b32 s8, exec_lo, s8
	s_cbranch_execz .LBB234_822
; %bb.817:
	s_mov_b32 s9, exec_lo
                                        ; implicit-def: $vgpr25
	v_cmpx_lt_u32_e32 0x387fffff, v5
	s_xor_b32 s9, exec_lo, s9
; %bb.818:
	v_bfe_u32 v9, v5, 21, 1
	s_delay_alu instid0(VALU_DEP_1) | instskip(NEXT) | instid1(VALU_DEP_1)
	v_add3_u32 v5, v5, v9, 0x80fffff
	v_lshrrev_b32_e32 v25, 21, v5
                                        ; implicit-def: $vgpr5
; %bb.819:
	s_and_not1_saveexec_b32 s9, s9
; %bb.820:
	v_add_f32_e32 v25, 0x43000000, v5
; %bb.821:
	s_or_b32 exec_lo, exec_lo, s9
                                        ; implicit-def: $vgpr5
.LBB234_822:
	s_and_not1_saveexec_b32 s8, s8
; %bb.823:
	v_mov_b32_e32 v9, 0x7f
	v_cmp_lt_u32_e32 vcc_lo, 0x7f800000, v5
	s_delay_alu instid0(VALU_DEP_2)
	v_cndmask_b32_e32 v25, 0x7c, v9, vcc_lo
; %bb.824:
	s_or_b32 exec_lo, exec_lo, s8
.LBB234_825:
	s_delay_alu instid0(SALU_CYCLE_1)
	s_or_b32 exec_lo, exec_lo, s7
.LBB234_826:
	s_and_not1_saveexec_b32 s6, s6
	s_cbranch_execz .LBB234_842
; %bb.827:
	flat_load_u8 v9, v[12:13]
	s_mov_b32 s7, 0
	s_mov_b32 s8, exec_lo
	s_wait_loadcnt_dscnt 0x0
	v_cmpx_lt_i16_e32 0x7f, v9
	s_xor_b32 s8, exec_lo, s8
	s_cbranch_execz .LBB234_2527
; %bb.828:
	s_mov_b32 s7, -1
	s_mov_b32 s9, exec_lo
	v_cmpx_eq_u16_e32 0x80, v9
; %bb.829:
	s_xor_b32 s7, exec_lo, -1
; %bb.830:
	s_or_b32 exec_lo, exec_lo, s9
	s_delay_alu instid0(SALU_CYCLE_1)
	s_and_b32 s7, s7, exec_lo
	s_or_saveexec_b32 s8, s8
	v_mov_b32_e32 v5, 0x7f800001
	s_xor_b32 exec_lo, exec_lo, s8
	s_cbranch_execnz .LBB234_2528
.LBB234_831:
	s_or_b32 exec_lo, exec_lo, s8
	s_and_saveexec_b32 s8, s7
	s_cbranch_execz .LBB234_833
.LBB234_832:
	v_and_b32_e32 v5, 0xffff, v9
	s_delay_alu instid0(VALU_DEP_1) | instskip(SKIP_1) | instid1(VALU_DEP_2)
	v_and_b32_e32 v11, 7, v5
	v_bfe_u32 v23, v5, 3, 4
	v_clz_i32_u32_e32 v14, v11
	s_delay_alu instid0(VALU_DEP_2) | instskip(NEXT) | instid1(VALU_DEP_2)
	v_cmp_eq_u32_e32 vcc_lo, 0, v23
	v_min_u32_e32 v14, 32, v14
	s_delay_alu instid0(VALU_DEP_1) | instskip(NEXT) | instid1(VALU_DEP_1)
	v_subrev_nc_u32_e32 v22, 28, v14
	v_dual_lshlrev_b32 v5, v22, v5 :: v_dual_sub_nc_u32 v14, 29, v14
	s_delay_alu instid0(VALU_DEP_1) | instskip(NEXT) | instid1(VALU_DEP_2)
	v_and_b32_e32 v5, 7, v5
	v_dual_cndmask_b32 v14, v23, v14 :: v_dual_lshlrev_b32 v9, 24, v9
	s_delay_alu instid0(VALU_DEP_2) | instskip(NEXT) | instid1(VALU_DEP_2)
	v_cndmask_b32_e32 v5, v11, v5, vcc_lo
	v_and_b32_e32 v9, 0x80000000, v9
	s_delay_alu instid0(VALU_DEP_3) | instskip(NEXT) | instid1(VALU_DEP_3)
	v_lshl_add_u32 v11, v14, 23, 0x3b800000
	v_lshlrev_b32_e32 v5, 20, v5
	s_delay_alu instid0(VALU_DEP_1)
	v_or3_b32 v5, v9, v11, v5
.LBB234_833:
	s_or_b32 exec_lo, exec_lo, s8
	s_delay_alu instid0(VALU_DEP_1) | instskip(SKIP_1) | instid1(VALU_DEP_1)
	v_and_b32_e32 v11, 0x7fffffff, v5
	s_mov_b32 s7, exec_lo
                                        ; implicit-def: $vgpr9
	v_cmpx_gt_u32_e32 0x47800000, v11
	s_xor_b32 s7, exec_lo, s7
	s_cbranch_execz .LBB234_839
; %bb.834:
	s_mov_b32 s8, exec_lo
                                        ; implicit-def: $vgpr9
	v_cmpx_lt_u32_e32 0x387fffff, v11
	s_xor_b32 s8, exec_lo, s8
; %bb.835:
	v_bfe_u32 v9, v5, 21, 1
	s_delay_alu instid0(VALU_DEP_1) | instskip(NEXT) | instid1(VALU_DEP_1)
	v_add3_u32 v9, v5, v9, 0x80fffff
	v_lshrrev_b32_e32 v9, 21, v9
; %bb.836:
	s_and_not1_saveexec_b32 s8, s8
; %bb.837:
	v_add_f32_e64 v9, 0x43000000, |v5|
; %bb.838:
	s_or_b32 exec_lo, exec_lo, s8
                                        ; implicit-def: $vgpr11
.LBB234_839:
	s_and_not1_saveexec_b32 s7, s7
; %bb.840:
	v_mov_b32_e32 v9, 0x7f
	v_cmp_lt_u32_e32 vcc_lo, 0x7f800000, v11
	s_delay_alu instid0(VALU_DEP_2)
	v_cndmask_b32_e32 v9, 0x7c, v9, vcc_lo
; %bb.841:
	s_or_b32 exec_lo, exec_lo, s7
	v_lshrrev_b32_e32 v5, 24, v5
	s_delay_alu instid0(VALU_DEP_1)
	v_and_or_b32 v25, 0x80, v5, v9
.LBB234_842:
	s_or_b32 exec_lo, exec_lo, s6
	s_delay_alu instid0(SALU_CYCLE_1)
	s_or_b32 s5, s5, exec_lo
.LBB234_843:
	s_or_b32 exec_lo, exec_lo, s3
	s_delay_alu instid0(SALU_CYCLE_1)
	s_and_b32 s3, s5, exec_lo
	s_and_b32 s4, s4, exec_lo
	s_and_not1_saveexec_b32 s2, s2
	s_cbranch_execnz .LBB234_2331
.LBB234_844:
	s_or_b32 exec_lo, exec_lo, s2
	s_mov_b32 s2, s16
	s_and_saveexec_b32 s5, s4
	s_cbranch_execnz .LBB234_2380
.LBB234_845:
	s_or_b32 exec_lo, exec_lo, s5
	s_and_saveexec_b32 s4, s1
	s_cbranch_execz .LBB234_855
.LBB234_846:
	flat_load_u8 v5, v[12:13]
	s_mov_b32 s1, exec_lo
                                        ; implicit-def: $vgpr25
	s_wait_loadcnt_dscnt 0x0
	v_cmp_ne_u16_e32 vcc_lo, 0, v5
	v_cndmask_b32_e64 v5, 0, 1.0, vcc_lo
	s_wait_xcnt 0x0
	s_delay_alu instid0(VALU_DEP_1)
	v_cmpx_gt_u32_e32 0x47800000, v5
	s_xor_b32 s1, exec_lo, s1
	s_cbranch_execz .LBB234_852
; %bb.847:
	s_mov_b32 s5, exec_lo
                                        ; implicit-def: $vgpr25
	v_cmpx_lt_u32_e32 0x387fffff, v5
	s_xor_b32 s5, exec_lo, s5
; %bb.848:
	v_bfe_u32 v9, v5, 21, 1
	s_delay_alu instid0(VALU_DEP_1) | instskip(NEXT) | instid1(VALU_DEP_1)
	v_add3_u32 v5, v5, v9, 0x80fffff
	v_lshrrev_b32_e32 v25, 21, v5
                                        ; implicit-def: $vgpr5
; %bb.849:
	s_and_not1_saveexec_b32 s5, s5
; %bb.850:
	v_add_f32_e32 v25, 0x43000000, v5
; %bb.851:
	s_or_b32 exec_lo, exec_lo, s5
                                        ; implicit-def: $vgpr5
.LBB234_852:
	s_and_not1_saveexec_b32 s1, s1
; %bb.853:
	v_mov_b32_e32 v9, 0x7f
	v_cmp_lt_u32_e32 vcc_lo, 0x7f800000, v5
	s_delay_alu instid0(VALU_DEP_2)
	v_cndmask_b32_e32 v25, 0x7c, v9, vcc_lo
; %bb.854:
	s_or_b32 exec_lo, exec_lo, s1
	s_delay_alu instid0(SALU_CYCLE_1)
	s_or_b32 s3, s3, exec_lo
.LBB234_855:
	s_or_b32 exec_lo, exec_lo, s4
	s_delay_alu instid0(SALU_CYCLE_1) | instskip(SKIP_1) | instid1(SALU_CYCLE_1)
	s_and_not1_b32 s1, s16, exec_lo
	s_and_b32 s2, s2, exec_lo
                                        ; implicit-def: $vgpr12_vgpr13
	s_or_b32 s18, s1, s2
	s_and_b32 s1, s3, exec_lo
.LBB234_856:
	s_and_not1_saveexec_b32 s0, s0
	s_cbranch_execz .LBB234_986
; %bb.857:
	s_mov_b32 s2, exec_lo
                                        ; implicit-def: $vgpr25
	v_cmpx_lt_i16_e32 4, v3
	s_xor_b32 s2, exec_lo, s2
	s_cbranch_execz .LBB234_927
; %bb.858:
	s_mov_b32 s3, exec_lo
                                        ; implicit-def: $vgpr25
	v_cmpx_lt_i16_e32 7, v3
	s_xor_b32 s3, exec_lo, s3
	;; [unrolled: 6-line block ×4, first 2 shown]
	s_cbranch_execz .LBB234_870
; %bb.861:
	flat_load_b64 v[12:13], v[12:13]
	s_mov_b32 s6, exec_lo
                                        ; implicit-def: $vgpr9
	s_wait_loadcnt_dscnt 0x0
	v_cvt_f32_f64_e32 v5, v[12:13]
	s_delay_alu instid0(VALU_DEP_1) | instskip(SKIP_1) | instid1(VALU_DEP_1)
	v_and_b32_e32 v11, 0x7fffffff, v5
	s_wait_xcnt 0x0
	v_cmpx_gt_u32_e32 0x47800000, v11
	s_xor_b32 s6, exec_lo, s6
	s_cbranch_execz .LBB234_867
; %bb.862:
	s_mov_b32 s7, exec_lo
                                        ; implicit-def: $vgpr9
	v_cmpx_lt_u32_e32 0x387fffff, v11
	s_xor_b32 s7, exec_lo, s7
; %bb.863:
	v_bfe_u32 v9, v5, 21, 1
	s_delay_alu instid0(VALU_DEP_1) | instskip(NEXT) | instid1(VALU_DEP_1)
	v_add3_u32 v9, v5, v9, 0x80fffff
	v_lshrrev_b32_e32 v9, 21, v9
; %bb.864:
	s_and_not1_saveexec_b32 s7, s7
; %bb.865:
	v_add_f32_e64 v9, 0x43000000, |v5|
; %bb.866:
	s_or_b32 exec_lo, exec_lo, s7
                                        ; implicit-def: $vgpr11
.LBB234_867:
	s_and_not1_saveexec_b32 s6, s6
; %bb.868:
	v_mov_b32_e32 v9, 0x7f
	v_cmp_lt_u32_e32 vcc_lo, 0x7f800000, v11
	s_delay_alu instid0(VALU_DEP_2)
	v_cndmask_b32_e32 v9, 0x7c, v9, vcc_lo
; %bb.869:
	s_or_b32 exec_lo, exec_lo, s6
	v_lshrrev_b32_e32 v5, 24, v5
                                        ; implicit-def: $vgpr12_vgpr13
	s_delay_alu instid0(VALU_DEP_1)
	v_and_or_b32 v25, 0x80, v5, v9
.LBB234_870:
	s_and_not1_saveexec_b32 s5, s5
	s_cbranch_execz .LBB234_880
; %bb.871:
	flat_load_b32 v5, v[12:13]
	s_mov_b32 s6, exec_lo
                                        ; implicit-def: $vgpr9
	s_wait_loadcnt_dscnt 0x0
	v_and_b32_e32 v11, 0x7fffffff, v5
	s_wait_xcnt 0x0
	s_delay_alu instid0(VALU_DEP_1)
	v_cmpx_gt_u32_e32 0x47800000, v11
	s_xor_b32 s6, exec_lo, s6
	s_cbranch_execz .LBB234_877
; %bb.872:
	s_mov_b32 s7, exec_lo
                                        ; implicit-def: $vgpr9
	v_cmpx_lt_u32_e32 0x387fffff, v11
	s_xor_b32 s7, exec_lo, s7
; %bb.873:
	v_bfe_u32 v9, v5, 21, 1
	s_delay_alu instid0(VALU_DEP_1) | instskip(NEXT) | instid1(VALU_DEP_1)
	v_add3_u32 v9, v5, v9, 0x80fffff
	v_lshrrev_b32_e32 v9, 21, v9
; %bb.874:
	s_and_not1_saveexec_b32 s7, s7
; %bb.875:
	v_add_f32_e64 v9, 0x43000000, |v5|
; %bb.876:
	s_or_b32 exec_lo, exec_lo, s7
                                        ; implicit-def: $vgpr11
.LBB234_877:
	s_and_not1_saveexec_b32 s6, s6
; %bb.878:
	v_mov_b32_e32 v9, 0x7f
	v_cmp_lt_u32_e32 vcc_lo, 0x7f800000, v11
	s_delay_alu instid0(VALU_DEP_2)
	v_cndmask_b32_e32 v9, 0x7c, v9, vcc_lo
; %bb.879:
	s_or_b32 exec_lo, exec_lo, s6
	v_lshrrev_b32_e32 v5, 24, v5
	s_delay_alu instid0(VALU_DEP_1)
	v_and_or_b32 v25, 0x80, v5, v9
.LBB234_880:
	s_or_b32 exec_lo, exec_lo, s5
                                        ; implicit-def: $vgpr12_vgpr13
.LBB234_881:
	s_and_not1_saveexec_b32 s4, s4
	s_cbranch_execz .LBB234_891
; %bb.882:
	flat_load_b32 v5, v[12:13]
	s_mov_b32 s5, exec_lo
                                        ; implicit-def: $vgpr9
	s_wait_loadcnt_dscnt 0x0
	v_cvt_f32_f16_e32 v5, v5
	s_delay_alu instid0(VALU_DEP_1) | instskip(SKIP_1) | instid1(VALU_DEP_1)
	v_and_b32_e32 v11, 0x7fffffff, v5
	s_wait_xcnt 0x0
	v_cmpx_gt_u32_e32 0x47800000, v11
	s_xor_b32 s5, exec_lo, s5
	s_cbranch_execz .LBB234_888
; %bb.883:
	s_mov_b32 s6, exec_lo
                                        ; implicit-def: $vgpr9
	v_cmpx_lt_u32_e32 0x387fffff, v11
	s_xor_b32 s6, exec_lo, s6
; %bb.884:
	v_bfe_u32 v9, v5, 21, 1
	s_delay_alu instid0(VALU_DEP_1) | instskip(NEXT) | instid1(VALU_DEP_1)
	v_add3_u32 v9, v5, v9, 0x80fffff
	v_lshrrev_b32_e32 v9, 21, v9
; %bb.885:
	s_and_not1_saveexec_b32 s6, s6
; %bb.886:
	v_add_f32_e64 v9, 0x43000000, |v5|
; %bb.887:
	s_or_b32 exec_lo, exec_lo, s6
                                        ; implicit-def: $vgpr11
.LBB234_888:
	s_and_not1_saveexec_b32 s5, s5
; %bb.889:
	v_mov_b32_e32 v9, 0x7f
	v_cmp_lt_u32_e32 vcc_lo, 0x7f800000, v11
	s_delay_alu instid0(VALU_DEP_2)
	v_cndmask_b32_e32 v9, 0x7c, v9, vcc_lo
; %bb.890:
	s_or_b32 exec_lo, exec_lo, s5
	v_lshrrev_b32_e32 v5, 24, v5
	s_delay_alu instid0(VALU_DEP_1)
	v_and_or_b32 v25, 0x80, v5, v9
.LBB234_891:
	s_or_b32 exec_lo, exec_lo, s4
                                        ; implicit-def: $vgpr12_vgpr13
.LBB234_892:
	s_and_not1_saveexec_b32 s3, s3
	s_cbranch_execz .LBB234_926
; %bb.893:
	s_mov_b32 s4, exec_lo
                                        ; implicit-def: $vgpr25
	v_cmpx_lt_i16_e32 5, v3
	s_xor_b32 s4, exec_lo, s4
	s_cbranch_execz .LBB234_915
; %bb.894:
	s_mov_b32 s5, exec_lo
                                        ; implicit-def: $vgpr25
	v_cmpx_lt_i16_e32 6, v3
	s_xor_b32 s5, exec_lo, s5
	s_cbranch_execz .LBB234_904
; %bb.895:
	flat_load_b64 v[12:13], v[12:13]
	s_mov_b32 s6, exec_lo
                                        ; implicit-def: $vgpr9
	s_wait_loadcnt_dscnt 0x0
	v_cvt_f32_f64_e32 v5, v[12:13]
	s_delay_alu instid0(VALU_DEP_1) | instskip(SKIP_1) | instid1(VALU_DEP_1)
	v_and_b32_e32 v11, 0x7fffffff, v5
	s_wait_xcnt 0x0
	v_cmpx_gt_u32_e32 0x47800000, v11
	s_xor_b32 s6, exec_lo, s6
	s_cbranch_execz .LBB234_901
; %bb.896:
	s_mov_b32 s7, exec_lo
                                        ; implicit-def: $vgpr9
	v_cmpx_lt_u32_e32 0x387fffff, v11
	s_xor_b32 s7, exec_lo, s7
; %bb.897:
	v_bfe_u32 v9, v5, 21, 1
	s_delay_alu instid0(VALU_DEP_1) | instskip(NEXT) | instid1(VALU_DEP_1)
	v_add3_u32 v9, v5, v9, 0x80fffff
	v_lshrrev_b32_e32 v9, 21, v9
; %bb.898:
	s_and_not1_saveexec_b32 s7, s7
; %bb.899:
	v_add_f32_e64 v9, 0x43000000, |v5|
; %bb.900:
	s_or_b32 exec_lo, exec_lo, s7
                                        ; implicit-def: $vgpr11
.LBB234_901:
	s_and_not1_saveexec_b32 s6, s6
; %bb.902:
	v_mov_b32_e32 v9, 0x7f
	v_cmp_lt_u32_e32 vcc_lo, 0x7f800000, v11
	s_delay_alu instid0(VALU_DEP_2)
	v_cndmask_b32_e32 v9, 0x7c, v9, vcc_lo
; %bb.903:
	s_or_b32 exec_lo, exec_lo, s6
	v_lshrrev_b32_e32 v5, 24, v5
                                        ; implicit-def: $vgpr12_vgpr13
	s_delay_alu instid0(VALU_DEP_1)
	v_and_or_b32 v25, 0x80, v5, v9
.LBB234_904:
	s_and_not1_saveexec_b32 s5, s5
	s_cbranch_execz .LBB234_914
; %bb.905:
	flat_load_b32 v5, v[12:13]
	s_mov_b32 s6, exec_lo
                                        ; implicit-def: $vgpr9
	s_wait_loadcnt_dscnt 0x0
	v_and_b32_e32 v11, 0x7fffffff, v5
	s_wait_xcnt 0x0
	s_delay_alu instid0(VALU_DEP_1)
	v_cmpx_gt_u32_e32 0x47800000, v11
	s_xor_b32 s6, exec_lo, s6
	s_cbranch_execz .LBB234_911
; %bb.906:
	s_mov_b32 s7, exec_lo
                                        ; implicit-def: $vgpr9
	v_cmpx_lt_u32_e32 0x387fffff, v11
	s_xor_b32 s7, exec_lo, s7
; %bb.907:
	v_bfe_u32 v9, v5, 21, 1
	s_delay_alu instid0(VALU_DEP_1) | instskip(NEXT) | instid1(VALU_DEP_1)
	v_add3_u32 v9, v5, v9, 0x80fffff
	v_lshrrev_b32_e32 v9, 21, v9
; %bb.908:
	s_and_not1_saveexec_b32 s7, s7
; %bb.909:
	v_add_f32_e64 v9, 0x43000000, |v5|
; %bb.910:
	s_or_b32 exec_lo, exec_lo, s7
                                        ; implicit-def: $vgpr11
.LBB234_911:
	s_and_not1_saveexec_b32 s6, s6
; %bb.912:
	v_mov_b32_e32 v9, 0x7f
	v_cmp_lt_u32_e32 vcc_lo, 0x7f800000, v11
	s_delay_alu instid0(VALU_DEP_2)
	v_cndmask_b32_e32 v9, 0x7c, v9, vcc_lo
; %bb.913:
	s_or_b32 exec_lo, exec_lo, s6
	v_lshrrev_b32_e32 v5, 24, v5
	s_delay_alu instid0(VALU_DEP_1)
	v_and_or_b32 v25, 0x80, v5, v9
.LBB234_914:
	s_or_b32 exec_lo, exec_lo, s5
                                        ; implicit-def: $vgpr12_vgpr13
.LBB234_915:
	s_and_not1_saveexec_b32 s4, s4
	s_cbranch_execz .LBB234_925
; %bb.916:
	flat_load_u16 v5, v[12:13]
	s_mov_b32 s5, exec_lo
                                        ; implicit-def: $vgpr9
	s_wait_loadcnt_dscnt 0x0
	v_cvt_f32_f16_e32 v5, v5
	s_delay_alu instid0(VALU_DEP_1) | instskip(SKIP_1) | instid1(VALU_DEP_1)
	v_and_b32_e32 v11, 0x7fffffff, v5
	s_wait_xcnt 0x0
	v_cmpx_gt_u32_e32 0x47800000, v11
	s_xor_b32 s5, exec_lo, s5
	s_cbranch_execz .LBB234_922
; %bb.917:
	s_mov_b32 s6, exec_lo
                                        ; implicit-def: $vgpr9
	v_cmpx_lt_u32_e32 0x387fffff, v11
	s_xor_b32 s6, exec_lo, s6
; %bb.918:
	v_bfe_u32 v9, v5, 21, 1
	s_delay_alu instid0(VALU_DEP_1) | instskip(NEXT) | instid1(VALU_DEP_1)
	v_add3_u32 v9, v5, v9, 0x80fffff
	v_lshrrev_b32_e32 v9, 21, v9
; %bb.919:
	s_and_not1_saveexec_b32 s6, s6
; %bb.920:
	v_add_f32_e64 v9, 0x43000000, |v5|
; %bb.921:
	s_or_b32 exec_lo, exec_lo, s6
                                        ; implicit-def: $vgpr11
.LBB234_922:
	s_and_not1_saveexec_b32 s5, s5
; %bb.923:
	v_mov_b32_e32 v9, 0x7f
	v_cmp_lt_u32_e32 vcc_lo, 0x7f800000, v11
	s_delay_alu instid0(VALU_DEP_2)
	v_cndmask_b32_e32 v9, 0x7c, v9, vcc_lo
; %bb.924:
	s_or_b32 exec_lo, exec_lo, s5
	v_lshrrev_b32_e32 v5, 24, v5
	s_delay_alu instid0(VALU_DEP_1)
	v_and_or_b32 v25, 0x80, v5, v9
.LBB234_925:
	s_or_b32 exec_lo, exec_lo, s4
.LBB234_926:
	s_delay_alu instid0(SALU_CYCLE_1)
	s_or_b32 exec_lo, exec_lo, s3
                                        ; implicit-def: $vgpr12_vgpr13
.LBB234_927:
	s_and_not1_saveexec_b32 s2, s2
	s_cbranch_execz .LBB234_985
; %bb.928:
	s_mov_b32 s3, exec_lo
                                        ; implicit-def: $vgpr25
	v_cmpx_lt_i16_e32 1, v3
	s_xor_b32 s3, exec_lo, s3
	s_cbranch_execz .LBB234_962
; %bb.929:
	s_mov_b32 s4, exec_lo
                                        ; implicit-def: $vgpr25
	v_cmpx_lt_i16_e32 2, v3
	s_xor_b32 s4, exec_lo, s4
	;; [unrolled: 6-line block ×3, first 2 shown]
	s_cbranch_execz .LBB234_940
; %bb.931:
	flat_load_b64 v[12:13], v[12:13]
	s_mov_b32 s6, exec_lo
	s_wait_loadcnt_dscnt 0x0
	v_xor_b32_e32 v5, v12, v13
	v_cls_i32_e32 v9, v13
	s_delay_alu instid0(VALU_DEP_2) | instskip(NEXT) | instid1(VALU_DEP_1)
	v_ashrrev_i32_e32 v5, 31, v5
	v_add_nc_u32_e32 v5, 32, v5
	s_delay_alu instid0(VALU_DEP_1) | instskip(SKIP_1) | instid1(VALU_DEP_1)
	v_add_min_u32_e64 v5, v9, -1, v5
	s_wait_xcnt 0x0
	v_lshlrev_b64_e32 v[12:13], v5, v[12:13]
	v_sub_nc_u32_e32 v5, 32, v5
	s_delay_alu instid0(VALU_DEP_2) | instskip(NEXT) | instid1(VALU_DEP_1)
	v_min_u32_e32 v9, 1, v12
	v_or_b32_e32 v9, v13, v9
	s_delay_alu instid0(VALU_DEP_1) | instskip(NEXT) | instid1(VALU_DEP_1)
	v_cvt_f32_i32_e32 v9, v9
	v_ldexp_f32 v5, v9, v5
                                        ; implicit-def: $vgpr9
	s_delay_alu instid0(VALU_DEP_1) | instskip(NEXT) | instid1(VALU_DEP_1)
	v_and_b32_e32 v11, 0x7fffffff, v5
	v_cmpx_gt_u32_e32 0x47800000, v11
	s_xor_b32 s6, exec_lo, s6
	s_cbranch_execz .LBB234_937
; %bb.932:
	s_mov_b32 s7, exec_lo
                                        ; implicit-def: $vgpr9
	v_cmpx_lt_u32_e32 0x387fffff, v11
	s_xor_b32 s7, exec_lo, s7
; %bb.933:
	v_bfe_u32 v9, v5, 21, 1
	s_delay_alu instid0(VALU_DEP_1) | instskip(NEXT) | instid1(VALU_DEP_1)
	v_add3_u32 v9, v5, v9, 0x80fffff
	v_lshrrev_b32_e32 v9, 21, v9
; %bb.934:
	s_and_not1_saveexec_b32 s7, s7
; %bb.935:
	v_add_f32_e64 v9, 0x43000000, |v5|
; %bb.936:
	s_or_b32 exec_lo, exec_lo, s7
                                        ; implicit-def: $vgpr11
.LBB234_937:
	s_and_not1_saveexec_b32 s6, s6
; %bb.938:
	v_mov_b32_e32 v9, 0x7f
	v_cmp_lt_u32_e32 vcc_lo, 0x7f800000, v11
	s_delay_alu instid0(VALU_DEP_2)
	v_cndmask_b32_e32 v9, 0x7c, v9, vcc_lo
; %bb.939:
	s_or_b32 exec_lo, exec_lo, s6
	v_lshrrev_b32_e32 v5, 24, v5
                                        ; implicit-def: $vgpr12_vgpr13
	s_delay_alu instid0(VALU_DEP_1)
	v_and_or_b32 v25, 0x80, v5, v9
.LBB234_940:
	s_and_not1_saveexec_b32 s5, s5
	s_cbranch_execz .LBB234_950
; %bb.941:
	flat_load_b32 v5, v[12:13]
	s_mov_b32 s6, exec_lo
                                        ; implicit-def: $vgpr9
	s_wait_loadcnt_dscnt 0x0
	v_cvt_f32_i32_e32 v5, v5
	s_delay_alu instid0(VALU_DEP_1) | instskip(SKIP_1) | instid1(VALU_DEP_1)
	v_and_b32_e32 v11, 0x7fffffff, v5
	s_wait_xcnt 0x0
	v_cmpx_gt_u32_e32 0x47800000, v11
	s_xor_b32 s6, exec_lo, s6
	s_cbranch_execz .LBB234_947
; %bb.942:
	s_mov_b32 s7, exec_lo
                                        ; implicit-def: $vgpr9
	v_cmpx_lt_u32_e32 0x387fffff, v11
	s_xor_b32 s7, exec_lo, s7
; %bb.943:
	v_bfe_u32 v9, v5, 21, 1
	s_delay_alu instid0(VALU_DEP_1) | instskip(NEXT) | instid1(VALU_DEP_1)
	v_add3_u32 v9, v5, v9, 0x80fffff
	v_lshrrev_b32_e32 v9, 21, v9
; %bb.944:
	s_and_not1_saveexec_b32 s7, s7
; %bb.945:
	v_add_f32_e64 v9, 0x43000000, |v5|
; %bb.946:
	s_or_b32 exec_lo, exec_lo, s7
                                        ; implicit-def: $vgpr11
.LBB234_947:
	s_and_not1_saveexec_b32 s6, s6
; %bb.948:
	v_mov_b32_e32 v9, 0x7f
	v_cmp_lt_u32_e32 vcc_lo, 0x7f800000, v11
	s_delay_alu instid0(VALU_DEP_2)
	v_cndmask_b32_e32 v9, 0x7c, v9, vcc_lo
; %bb.949:
	s_or_b32 exec_lo, exec_lo, s6
	v_lshrrev_b32_e32 v5, 24, v5
	s_delay_alu instid0(VALU_DEP_1)
	v_and_or_b32 v25, 0x80, v5, v9
.LBB234_950:
	s_or_b32 exec_lo, exec_lo, s5
                                        ; implicit-def: $vgpr12_vgpr13
.LBB234_951:
	s_and_not1_saveexec_b32 s4, s4
	s_cbranch_execz .LBB234_961
; %bb.952:
	flat_load_i16 v5, v[12:13]
	s_mov_b32 s5, exec_lo
                                        ; implicit-def: $vgpr9
	s_wait_loadcnt_dscnt 0x0
	v_cvt_f32_i32_e32 v5, v5
	s_delay_alu instid0(VALU_DEP_1) | instskip(SKIP_1) | instid1(VALU_DEP_1)
	v_and_b32_e32 v11, 0x7fffffff, v5
	s_wait_xcnt 0x0
	v_cmpx_gt_u32_e32 0x47800000, v11
	s_xor_b32 s5, exec_lo, s5
	s_cbranch_execz .LBB234_958
; %bb.953:
	s_mov_b32 s6, exec_lo
                                        ; implicit-def: $vgpr9
	v_cmpx_lt_u32_e32 0x387fffff, v11
	s_xor_b32 s6, exec_lo, s6
; %bb.954:
	v_bfe_u32 v9, v5, 21, 1
	s_delay_alu instid0(VALU_DEP_1) | instskip(NEXT) | instid1(VALU_DEP_1)
	v_add3_u32 v9, v5, v9, 0x80fffff
	v_lshrrev_b32_e32 v9, 21, v9
; %bb.955:
	s_and_not1_saveexec_b32 s6, s6
; %bb.956:
	v_add_f32_e64 v9, 0x43000000, |v5|
; %bb.957:
	s_or_b32 exec_lo, exec_lo, s6
                                        ; implicit-def: $vgpr11
.LBB234_958:
	s_and_not1_saveexec_b32 s5, s5
; %bb.959:
	v_mov_b32_e32 v9, 0x7f
	v_cmp_lt_u32_e32 vcc_lo, 0x7f800000, v11
	s_delay_alu instid0(VALU_DEP_2)
	v_cndmask_b32_e32 v9, 0x7c, v9, vcc_lo
; %bb.960:
	s_or_b32 exec_lo, exec_lo, s5
	v_lshrrev_b32_e32 v5, 24, v5
	s_delay_alu instid0(VALU_DEP_1)
	v_and_or_b32 v25, 0x80, v5, v9
.LBB234_961:
	s_or_b32 exec_lo, exec_lo, s4
                                        ; implicit-def: $vgpr12_vgpr13
.LBB234_962:
	s_and_not1_saveexec_b32 s3, s3
	s_cbranch_execz .LBB234_984
; %bb.963:
	s_mov_b32 s4, exec_lo
                                        ; implicit-def: $vgpr25
	v_cmpx_lt_i16_e32 0, v3
	s_xor_b32 s4, exec_lo, s4
	s_cbranch_execz .LBB234_973
; %bb.964:
	flat_load_i8 v5, v[12:13]
	s_mov_b32 s5, exec_lo
                                        ; implicit-def: $vgpr9
	s_wait_loadcnt_dscnt 0x0
	v_cvt_f32_i32_e32 v5, v5
	s_delay_alu instid0(VALU_DEP_1) | instskip(SKIP_1) | instid1(VALU_DEP_1)
	v_and_b32_e32 v11, 0x7fffffff, v5
	s_wait_xcnt 0x0
	v_cmpx_gt_u32_e32 0x47800000, v11
	s_xor_b32 s5, exec_lo, s5
	s_cbranch_execz .LBB234_970
; %bb.965:
	s_mov_b32 s6, exec_lo
                                        ; implicit-def: $vgpr9
	v_cmpx_lt_u32_e32 0x387fffff, v11
	s_xor_b32 s6, exec_lo, s6
; %bb.966:
	v_bfe_u32 v9, v5, 21, 1
	s_delay_alu instid0(VALU_DEP_1) | instskip(NEXT) | instid1(VALU_DEP_1)
	v_add3_u32 v9, v5, v9, 0x80fffff
	v_lshrrev_b32_e32 v9, 21, v9
; %bb.967:
	s_and_not1_saveexec_b32 s6, s6
; %bb.968:
	v_add_f32_e64 v9, 0x43000000, |v5|
; %bb.969:
	s_or_b32 exec_lo, exec_lo, s6
                                        ; implicit-def: $vgpr11
.LBB234_970:
	s_and_not1_saveexec_b32 s5, s5
; %bb.971:
	v_mov_b32_e32 v9, 0x7f
	v_cmp_lt_u32_e32 vcc_lo, 0x7f800000, v11
	s_delay_alu instid0(VALU_DEP_2)
	v_cndmask_b32_e32 v9, 0x7c, v9, vcc_lo
; %bb.972:
	s_or_b32 exec_lo, exec_lo, s5
	v_lshrrev_b32_e32 v5, 24, v5
                                        ; implicit-def: $vgpr12_vgpr13
	s_delay_alu instid0(VALU_DEP_1)
	v_and_or_b32 v25, 0x80, v5, v9
.LBB234_973:
	s_and_not1_saveexec_b32 s4, s4
	s_cbranch_execz .LBB234_983
; %bb.974:
	flat_load_u8 v5, v[12:13]
	s_mov_b32 s5, exec_lo
                                        ; implicit-def: $vgpr25
	s_wait_loadcnt_dscnt 0x0
	v_cvt_f32_ubyte0_e32 v5, v5
	s_wait_xcnt 0x0
	s_delay_alu instid0(VALU_DEP_1)
	v_cmpx_gt_u32_e32 0x47800000, v5
	s_xor_b32 s5, exec_lo, s5
	s_cbranch_execz .LBB234_980
; %bb.975:
	s_mov_b32 s6, exec_lo
                                        ; implicit-def: $vgpr25
	v_cmpx_lt_u32_e32 0x387fffff, v5
	s_xor_b32 s6, exec_lo, s6
; %bb.976:
	v_bfe_u32 v9, v5, 21, 1
	s_delay_alu instid0(VALU_DEP_1) | instskip(NEXT) | instid1(VALU_DEP_1)
	v_add3_u32 v5, v5, v9, 0x80fffff
	v_lshrrev_b32_e32 v25, 21, v5
                                        ; implicit-def: $vgpr5
; %bb.977:
	s_and_not1_saveexec_b32 s6, s6
; %bb.978:
	v_add_f32_e32 v25, 0x43000000, v5
; %bb.979:
	s_or_b32 exec_lo, exec_lo, s6
                                        ; implicit-def: $vgpr5
.LBB234_980:
	s_and_not1_saveexec_b32 s5, s5
; %bb.981:
	v_mov_b32_e32 v9, 0x7f
	v_cmp_lt_u32_e32 vcc_lo, 0x7f800000, v5
	s_delay_alu instid0(VALU_DEP_2)
	v_cndmask_b32_e32 v25, 0x7c, v9, vcc_lo
; %bb.982:
	s_or_b32 exec_lo, exec_lo, s5
.LBB234_983:
	s_delay_alu instid0(SALU_CYCLE_1)
	s_or_b32 exec_lo, exec_lo, s4
.LBB234_984:
	s_delay_alu instid0(SALU_CYCLE_1)
	s_or_b32 exec_lo, exec_lo, s3
.LBB234_985:
	s_delay_alu instid0(SALU_CYCLE_1) | instskip(NEXT) | instid1(SALU_CYCLE_1)
	s_or_b32 exec_lo, exec_lo, s2
	s_or_b32 s1, s1, exec_lo
.LBB234_986:
	s_or_b32 exec_lo, exec_lo, s0
	s_mov_b32 s0, 0
	s_mov_b32 s2, 0
	;; [unrolled: 1-line block ×3, first 2 shown]
                                        ; implicit-def: $sgpr3
                                        ; implicit-def: $vgpr22_vgpr23
                                        ; implicit-def: $vgpr5
	s_and_saveexec_b32 s19, s1
	s_cbranch_execz .LBB234_2190
; %bb.987:
	v_mov_b32_e32 v11, 0
	s_mov_b32 s1, 0
	s_mov_b32 s20, s18
	s_mov_b32 s0, exec_lo
                                        ; implicit-def: $vgpr27
	s_delay_alu instid0(VALU_DEP_1)
	v_add_nc_u64_e32 v[10:11], v[18:19], v[10:11]
	v_cmpx_lt_i16_e32 10, v1
	s_xor_b32 s0, exec_lo, s0
	s_cbranch_execz .LBB234_1082
; %bb.988:
	s_mov_b32 s3, 0
	s_mov_b32 s2, exec_lo
                                        ; implicit-def: $vgpr27
	v_cmpx_lt_i16_e32 25, v1
	s_xor_b32 s2, exec_lo, s2
	s_cbranch_execz .LBB234_2423
; %bb.989:
	s_mov_b32 s5, 0
	s_mov_b32 s3, exec_lo
                                        ; implicit-def: $vgpr27
	v_cmpx_lt_i16_e32 28, v1
	s_xor_b32 s3, exec_lo, s3
	s_cbranch_execz .LBB234_1029
; %bb.990:
	s_mov_b32 s6, 0
	s_mov_b32 s7, 0
	s_mov_b32 s4, exec_lo
                                        ; implicit-def: $vgpr27
	v_cmpx_lt_i16_e32 43, v1
	s_xor_b32 s4, exec_lo, s4
	s_cbranch_execz .LBB234_1016
; %bb.991:
	s_mov_b32 s7, exec_lo
                                        ; implicit-def: $vgpr27
	v_cmpx_lt_i16_e32 45, v1
	s_xor_b32 s7, exec_lo, s7
	s_cbranch_execz .LBB234_1003
; %bb.992:
	s_mov_b32 s8, -1
	s_mov_b32 s5, exec_lo
                                        ; implicit-def: $vgpr27
	v_cmpx_eq_u16_e32 46, v1
	s_cbranch_execz .LBB234_1002
; %bb.993:
	flat_load_b32 v5, v[10:11]
	s_mov_b32 s6, exec_lo
                                        ; implicit-def: $vgpr9
	s_wait_loadcnt_dscnt 0x0
	v_lshlrev_b32_e32 v5, 16, v5
	s_delay_alu instid0(VALU_DEP_1) | instskip(SKIP_1) | instid1(VALU_DEP_1)
	v_and_b32_e32 v12, 0x7fffffff, v5
	s_wait_xcnt 0x0
	v_cmpx_gt_u32_e32 0x47800000, v12
	s_xor_b32 s6, exec_lo, s6
	s_cbranch_execz .LBB234_999
; %bb.994:
	s_mov_b32 s8, exec_lo
                                        ; implicit-def: $vgpr9
	v_cmpx_lt_u32_e32 0x387fffff, v12
	s_xor_b32 s8, exec_lo, s8
; %bb.995:
	v_bfe_u32 v9, v5, 21, 1
	s_delay_alu instid0(VALU_DEP_1) | instskip(NEXT) | instid1(VALU_DEP_1)
	v_add3_u32 v9, v5, v9, 0x80fffff
	v_lshrrev_b32_e32 v9, 21, v9
; %bb.996:
	s_and_not1_saveexec_b32 s8, s8
; %bb.997:
	v_add_f32_e64 v9, 0x43000000, |v5|
; %bb.998:
	s_or_b32 exec_lo, exec_lo, s8
                                        ; implicit-def: $vgpr12
.LBB234_999:
	s_and_not1_saveexec_b32 s6, s6
; %bb.1000:
	v_mov_b32_e32 v9, 0x7f
	v_cmp_lt_u32_e32 vcc_lo, 0x7f800000, v12
	s_delay_alu instid0(VALU_DEP_2)
	v_cndmask_b32_e32 v9, 0x7c, v9, vcc_lo
; %bb.1001:
	s_or_b32 exec_lo, exec_lo, s6
	v_lshrrev_b32_e32 v5, 24, v5
	s_mov_b32 s6, exec_lo
	s_xor_b32 s8, exec_lo, -1
	s_delay_alu instid0(VALU_DEP_1)
	v_and_or_b32 v27, 0x80, v5, v9
.LBB234_1002:
	s_or_b32 exec_lo, exec_lo, s5
	s_delay_alu instid0(SALU_CYCLE_1)
	s_and_b32 s6, s6, exec_lo
	s_and_b32 s5, s8, exec_lo
.LBB234_1003:
	s_and_not1_saveexec_b32 s7, s7
	s_cbranch_execz .LBB234_1015
; %bb.1004:
	s_mov_b32 s9, -1
	s_mov_b32 s10, s6
	s_mov_b32 s8, exec_lo
                                        ; implicit-def: $vgpr27
	v_cmpx_eq_u16_e32 44, v1
	s_cbranch_execz .LBB234_1014
; %bb.1005:
	flat_load_u8 v5, v[10:11]
	s_mov_b32 s9, exec_lo
                                        ; implicit-def: $vgpr27
	s_wait_loadcnt_dscnt 0x0
	v_lshlrev_b32_e32 v9, 23, v5
	v_cmp_ne_u32_e32 vcc_lo, 0xff, v5
	s_delay_alu instid0(VALU_DEP_2) | instskip(SKIP_1) | instid1(VALU_DEP_2)
	v_cndmask_b32_e32 v9, 0x7f800001, v9, vcc_lo
	v_cmp_ne_u32_e32 vcc_lo, 0, v5
	v_cndmask_b32_e32 v5, 0x400000, v9, vcc_lo
	s_wait_xcnt 0x0
	s_delay_alu instid0(VALU_DEP_1)
	v_cmpx_gt_u32_e32 0x47800000, v5
	s_xor_b32 s9, exec_lo, s9
	s_cbranch_execz .LBB234_1011
; %bb.1006:
	s_mov_b32 s10, exec_lo
                                        ; implicit-def: $vgpr27
	v_cmpx_lt_u32_e32 0x387fffff, v5
	s_xor_b32 s10, exec_lo, s10
; %bb.1007:
	v_bfe_u32 v9, v5, 21, 1
	s_delay_alu instid0(VALU_DEP_1) | instskip(NEXT) | instid1(VALU_DEP_1)
	v_add3_u32 v5, v5, v9, 0x80fffff
	v_lshrrev_b32_e32 v27, 21, v5
                                        ; implicit-def: $vgpr5
; %bb.1008:
	s_and_not1_saveexec_b32 s10, s10
; %bb.1009:
	v_add_f32_e32 v27, 0x43000000, v5
; %bb.1010:
	s_or_b32 exec_lo, exec_lo, s10
                                        ; implicit-def: $vgpr5
.LBB234_1011:
	s_and_not1_saveexec_b32 s9, s9
; %bb.1012:
	v_mov_b32_e32 v9, 0x7f
	v_cmp_lt_u32_e32 vcc_lo, 0x7f800000, v5
	s_delay_alu instid0(VALU_DEP_2)
	v_cndmask_b32_e32 v27, 0x7c, v9, vcc_lo
; %bb.1013:
	s_or_b32 exec_lo, exec_lo, s9
	s_delay_alu instid0(SALU_CYCLE_1)
	s_or_b32 s10, s6, exec_lo
	s_xor_b32 s9, exec_lo, -1
.LBB234_1014:
	s_or_b32 exec_lo, exec_lo, s8
	s_delay_alu instid0(SALU_CYCLE_1)
	s_and_not1_b32 s6, s6, exec_lo
	s_and_b32 s8, s10, exec_lo
	s_and_not1_b32 s5, s5, exec_lo
	s_and_b32 s9, s9, exec_lo
	s_or_b32 s6, s6, s8
	s_or_b32 s5, s5, s9
.LBB234_1015:
	s_or_b32 exec_lo, exec_lo, s7
	s_delay_alu instid0(SALU_CYCLE_1)
	s_and_b32 s7, s6, exec_lo
	s_and_b32 s6, s5, exec_lo
.LBB234_1016:
	s_and_not1_saveexec_b32 s4, s4
	s_cbranch_execz .LBB234_1028
; %bb.1017:
	s_mov_b32 s8, -1
	s_mov_b32 s9, s7
	s_mov_b32 s5, exec_lo
                                        ; implicit-def: $vgpr27
	v_cmpx_eq_u16_e32 29, v1
	s_cbranch_execz .LBB234_1027
; %bb.1018:
	flat_load_b64 v[12:13], v[10:11]
	s_mov_b32 s8, exec_lo
                                        ; implicit-def: $vgpr27
	s_wait_loadcnt_dscnt 0x0
	v_clz_i32_u32_e32 v5, v13
	s_delay_alu instid0(VALU_DEP_1) | instskip(NEXT) | instid1(VALU_DEP_1)
	v_min_u32_e32 v5, 32, v5
	v_lshlrev_b64_e32 v[12:13], v5, v[12:13]
	v_sub_nc_u32_e32 v5, 32, v5
	s_delay_alu instid0(VALU_DEP_2) | instskip(NEXT) | instid1(VALU_DEP_1)
	v_min_u32_e32 v9, 1, v12
	v_or_b32_e32 v9, v13, v9
	s_delay_alu instid0(VALU_DEP_1) | instskip(NEXT) | instid1(VALU_DEP_1)
	v_cvt_f32_u32_e32 v9, v9
	v_ldexp_f32 v5, v9, v5
	s_wait_xcnt 0x0
	s_delay_alu instid0(VALU_DEP_1)
	v_cmpx_gt_u32_e32 0x47800000, v5
	s_xor_b32 s8, exec_lo, s8
	s_cbranch_execz .LBB234_1024
; %bb.1019:
	s_mov_b32 s9, exec_lo
                                        ; implicit-def: $vgpr27
	v_cmpx_lt_u32_e32 0x387fffff, v5
	s_xor_b32 s9, exec_lo, s9
; %bb.1020:
	v_bfe_u32 v9, v5, 21, 1
	s_delay_alu instid0(VALU_DEP_1) | instskip(NEXT) | instid1(VALU_DEP_1)
	v_add3_u32 v5, v5, v9, 0x80fffff
	v_lshrrev_b32_e32 v27, 21, v5
                                        ; implicit-def: $vgpr5
; %bb.1021:
	s_and_not1_saveexec_b32 s9, s9
; %bb.1022:
	v_add_f32_e32 v27, 0x43000000, v5
; %bb.1023:
	s_or_b32 exec_lo, exec_lo, s9
                                        ; implicit-def: $vgpr5
.LBB234_1024:
	s_and_not1_saveexec_b32 s8, s8
; %bb.1025:
	v_mov_b32_e32 v9, 0x7f
	v_cmp_lt_u32_e32 vcc_lo, 0x7f800000, v5
	s_delay_alu instid0(VALU_DEP_2)
	v_cndmask_b32_e32 v27, 0x7c, v9, vcc_lo
; %bb.1026:
	s_or_b32 exec_lo, exec_lo, s8
	s_delay_alu instid0(SALU_CYCLE_1)
	s_or_b32 s9, s7, exec_lo
	s_xor_b32 s8, exec_lo, -1
.LBB234_1027:
	s_or_b32 exec_lo, exec_lo, s5
	s_delay_alu instid0(SALU_CYCLE_1)
	s_and_not1_b32 s5, s7, exec_lo
	s_and_b32 s7, s9, exec_lo
	s_and_not1_b32 s6, s6, exec_lo
	s_and_b32 s8, s8, exec_lo
	s_or_b32 s7, s5, s7
	s_or_b32 s6, s6, s8
.LBB234_1028:
	s_or_b32 exec_lo, exec_lo, s4
	s_delay_alu instid0(SALU_CYCLE_1)
	s_and_b32 s5, s7, exec_lo
	s_and_b32 s4, s6, exec_lo
.LBB234_1029:
	s_and_not1_saveexec_b32 s3, s3
	s_cbranch_execz .LBB234_1069
; %bb.1030:
	s_mov_b32 s6, exec_lo
                                        ; implicit-def: $vgpr27
	v_cmpx_lt_i16_e32 26, v1
	s_xor_b32 s6, exec_lo, s6
	s_cbranch_execz .LBB234_1052
; %bb.1031:
	s_mov_b32 s7, exec_lo
                                        ; implicit-def: $vgpr27
	v_cmpx_lt_i16_e32 27, v1
	s_xor_b32 s7, exec_lo, s7
	s_cbranch_execz .LBB234_1041
; %bb.1032:
	flat_load_b32 v5, v[10:11]
	s_mov_b32 s8, exec_lo
                                        ; implicit-def: $vgpr27
	s_wait_loadcnt_dscnt 0x0
	v_cvt_f32_u32_e32 v5, v5
	s_wait_xcnt 0x0
	s_delay_alu instid0(VALU_DEP_1)
	v_cmpx_gt_u32_e32 0x47800000, v5
	s_xor_b32 s8, exec_lo, s8
	s_cbranch_execz .LBB234_1038
; %bb.1033:
	s_mov_b32 s9, exec_lo
                                        ; implicit-def: $vgpr27
	v_cmpx_lt_u32_e32 0x387fffff, v5
	s_xor_b32 s9, exec_lo, s9
; %bb.1034:
	v_bfe_u32 v9, v5, 21, 1
	s_delay_alu instid0(VALU_DEP_1) | instskip(NEXT) | instid1(VALU_DEP_1)
	v_add3_u32 v5, v5, v9, 0x80fffff
	v_lshrrev_b32_e32 v27, 21, v5
                                        ; implicit-def: $vgpr5
; %bb.1035:
	s_and_not1_saveexec_b32 s9, s9
; %bb.1036:
	v_add_f32_e32 v27, 0x43000000, v5
; %bb.1037:
	s_or_b32 exec_lo, exec_lo, s9
                                        ; implicit-def: $vgpr5
.LBB234_1038:
	s_and_not1_saveexec_b32 s8, s8
; %bb.1039:
	v_mov_b32_e32 v9, 0x7f
	v_cmp_lt_u32_e32 vcc_lo, 0x7f800000, v5
	s_delay_alu instid0(VALU_DEP_2)
	v_cndmask_b32_e32 v27, 0x7c, v9, vcc_lo
; %bb.1040:
	s_or_b32 exec_lo, exec_lo, s8
.LBB234_1041:
	s_and_not1_saveexec_b32 s7, s7
	s_cbranch_execz .LBB234_1051
; %bb.1042:
	flat_load_u16 v5, v[10:11]
	s_mov_b32 s8, exec_lo
                                        ; implicit-def: $vgpr27
	s_wait_loadcnt_dscnt 0x0
	v_cvt_f32_u32_e32 v5, v5
	s_wait_xcnt 0x0
	s_delay_alu instid0(VALU_DEP_1)
	v_cmpx_gt_u32_e32 0x47800000, v5
	s_xor_b32 s8, exec_lo, s8
	s_cbranch_execz .LBB234_1048
; %bb.1043:
	s_mov_b32 s9, exec_lo
                                        ; implicit-def: $vgpr27
	v_cmpx_lt_u32_e32 0x387fffff, v5
	s_xor_b32 s9, exec_lo, s9
; %bb.1044:
	v_bfe_u32 v9, v5, 21, 1
	s_delay_alu instid0(VALU_DEP_1) | instskip(NEXT) | instid1(VALU_DEP_1)
	v_add3_u32 v5, v5, v9, 0x80fffff
	v_lshrrev_b32_e32 v27, 21, v5
                                        ; implicit-def: $vgpr5
; %bb.1045:
	s_and_not1_saveexec_b32 s9, s9
; %bb.1046:
	v_add_f32_e32 v27, 0x43000000, v5
; %bb.1047:
	s_or_b32 exec_lo, exec_lo, s9
                                        ; implicit-def: $vgpr5
.LBB234_1048:
	s_and_not1_saveexec_b32 s8, s8
; %bb.1049:
	v_mov_b32_e32 v9, 0x7f
	v_cmp_lt_u32_e32 vcc_lo, 0x7f800000, v5
	s_delay_alu instid0(VALU_DEP_2)
	v_cndmask_b32_e32 v27, 0x7c, v9, vcc_lo
; %bb.1050:
	s_or_b32 exec_lo, exec_lo, s8
.LBB234_1051:
	s_delay_alu instid0(SALU_CYCLE_1)
	s_or_b32 exec_lo, exec_lo, s7
.LBB234_1052:
	s_and_not1_saveexec_b32 s6, s6
	s_cbranch_execz .LBB234_1068
; %bb.1053:
	flat_load_u8 v9, v[10:11]
	s_mov_b32 s7, 0
	s_mov_b32 s8, exec_lo
	s_wait_loadcnt_dscnt 0x0
	v_cmpx_lt_i16_e32 0x7f, v9
	s_xor_b32 s8, exec_lo, s8
	s_cbranch_execz .LBB234_2584
; %bb.1054:
	s_mov_b32 s7, -1
	s_mov_b32 s9, exec_lo
	v_cmpx_eq_u16_e32 0x80, v9
; %bb.1055:
	s_xor_b32 s7, exec_lo, -1
; %bb.1056:
	s_or_b32 exec_lo, exec_lo, s9
	s_delay_alu instid0(SALU_CYCLE_1)
	s_and_b32 s7, s7, exec_lo
	s_or_saveexec_b32 s8, s8
	v_mov_b32_e32 v5, 0x7f800001
	s_xor_b32 exec_lo, exec_lo, s8
	s_cbranch_execnz .LBB234_2585
.LBB234_1057:
	s_or_b32 exec_lo, exec_lo, s8
	s_and_saveexec_b32 s8, s7
	s_cbranch_execz .LBB234_1059
.LBB234_1058:
	v_and_b32_e32 v5, 0xffff, v9
	v_lshlrev_b32_e32 v9, 24, v9
	s_delay_alu instid0(VALU_DEP_2) | instskip(SKIP_1) | instid1(VALU_DEP_3)
	v_and_b32_e32 v12, 7, v5
	v_bfe_u32 v22, v5, 3, 4
	v_and_b32_e32 v9, 0x80000000, v9
	s_delay_alu instid0(VALU_DEP_3) | instskip(NEXT) | instid1(VALU_DEP_3)
	v_clz_i32_u32_e32 v13, v12
	v_cmp_eq_u32_e32 vcc_lo, 0, v22
	s_delay_alu instid0(VALU_DEP_2) | instskip(NEXT) | instid1(VALU_DEP_1)
	v_min_u32_e32 v13, 32, v13
	v_subrev_nc_u32_e32 v14, 28, v13
	v_sub_nc_u32_e32 v13, 29, v13
	s_delay_alu instid0(VALU_DEP_2) | instskip(NEXT) | instid1(VALU_DEP_2)
	v_lshlrev_b32_e32 v5, v14, v5
	v_cndmask_b32_e32 v13, v22, v13, vcc_lo
	s_delay_alu instid0(VALU_DEP_2) | instskip(NEXT) | instid1(VALU_DEP_1)
	v_and_b32_e32 v5, 7, v5
	v_cndmask_b32_e32 v5, v12, v5, vcc_lo
	s_delay_alu instid0(VALU_DEP_3) | instskip(NEXT) | instid1(VALU_DEP_2)
	v_lshl_add_u32 v12, v13, 23, 0x3b800000
	v_lshlrev_b32_e32 v5, 20, v5
	s_delay_alu instid0(VALU_DEP_1)
	v_or3_b32 v5, v9, v12, v5
.LBB234_1059:
	s_or_b32 exec_lo, exec_lo, s8
	s_delay_alu instid0(VALU_DEP_1) | instskip(SKIP_1) | instid1(VALU_DEP_1)
	v_and_b32_e32 v12, 0x7fffffff, v5
	s_mov_b32 s7, exec_lo
                                        ; implicit-def: $vgpr9
	v_cmpx_gt_u32_e32 0x47800000, v12
	s_xor_b32 s7, exec_lo, s7
	s_cbranch_execz .LBB234_1065
; %bb.1060:
	s_mov_b32 s8, exec_lo
                                        ; implicit-def: $vgpr9
	v_cmpx_lt_u32_e32 0x387fffff, v12
	s_xor_b32 s8, exec_lo, s8
; %bb.1061:
	v_bfe_u32 v9, v5, 21, 1
	s_delay_alu instid0(VALU_DEP_1) | instskip(NEXT) | instid1(VALU_DEP_1)
	v_add3_u32 v9, v5, v9, 0x80fffff
	v_lshrrev_b32_e32 v9, 21, v9
; %bb.1062:
	s_and_not1_saveexec_b32 s8, s8
; %bb.1063:
	v_add_f32_e64 v9, 0x43000000, |v5|
; %bb.1064:
	s_or_b32 exec_lo, exec_lo, s8
                                        ; implicit-def: $vgpr12
.LBB234_1065:
	s_and_not1_saveexec_b32 s7, s7
; %bb.1066:
	v_mov_b32_e32 v9, 0x7f
	v_cmp_lt_u32_e32 vcc_lo, 0x7f800000, v12
	s_delay_alu instid0(VALU_DEP_2)
	v_cndmask_b32_e32 v9, 0x7c, v9, vcc_lo
; %bb.1067:
	s_or_b32 exec_lo, exec_lo, s7
	v_lshrrev_b32_e32 v5, 24, v5
	s_delay_alu instid0(VALU_DEP_1)
	v_and_or_b32 v27, 0x80, v5, v9
.LBB234_1068:
	s_or_b32 exec_lo, exec_lo, s6
	s_delay_alu instid0(SALU_CYCLE_1)
	s_or_b32 s5, s5, exec_lo
.LBB234_1069:
	s_or_b32 exec_lo, exec_lo, s3
	s_delay_alu instid0(SALU_CYCLE_1)
	s_and_b32 s3, s5, exec_lo
	s_and_b32 s4, s4, exec_lo
	s_and_not1_saveexec_b32 s2, s2
	s_cbranch_execnz .LBB234_2424
.LBB234_1070:
	s_or_b32 exec_lo, exec_lo, s2
	s_mov_b32 s2, s18
	s_and_saveexec_b32 s5, s4
	s_cbranch_execnz .LBB234_2473
.LBB234_1071:
	s_or_b32 exec_lo, exec_lo, s5
	s_and_saveexec_b32 s4, s1
	s_cbranch_execz .LBB234_1081
.LBB234_1072:
	flat_load_u8 v5, v[10:11]
	s_mov_b32 s1, exec_lo
                                        ; implicit-def: $vgpr27
	s_wait_loadcnt_dscnt 0x0
	v_cmp_ne_u16_e32 vcc_lo, 0, v5
	v_cndmask_b32_e64 v5, 0, 1.0, vcc_lo
	s_wait_xcnt 0x0
	s_delay_alu instid0(VALU_DEP_1)
	v_cmpx_gt_u32_e32 0x47800000, v5
	s_xor_b32 s1, exec_lo, s1
	s_cbranch_execz .LBB234_1078
; %bb.1073:
	s_mov_b32 s5, exec_lo
                                        ; implicit-def: $vgpr27
	v_cmpx_lt_u32_e32 0x387fffff, v5
	s_xor_b32 s5, exec_lo, s5
; %bb.1074:
	v_bfe_u32 v9, v5, 21, 1
	s_delay_alu instid0(VALU_DEP_1) | instskip(NEXT) | instid1(VALU_DEP_1)
	v_add3_u32 v5, v5, v9, 0x80fffff
	v_lshrrev_b32_e32 v27, 21, v5
                                        ; implicit-def: $vgpr5
; %bb.1075:
	s_and_not1_saveexec_b32 s5, s5
; %bb.1076:
	v_add_f32_e32 v27, 0x43000000, v5
; %bb.1077:
	s_or_b32 exec_lo, exec_lo, s5
                                        ; implicit-def: $vgpr5
.LBB234_1078:
	s_and_not1_saveexec_b32 s1, s1
; %bb.1079:
	v_mov_b32_e32 v9, 0x7f
	v_cmp_lt_u32_e32 vcc_lo, 0x7f800000, v5
	s_delay_alu instid0(VALU_DEP_2)
	v_cndmask_b32_e32 v27, 0x7c, v9, vcc_lo
; %bb.1080:
	s_or_b32 exec_lo, exec_lo, s1
	s_delay_alu instid0(SALU_CYCLE_1)
	s_or_b32 s3, s3, exec_lo
.LBB234_1081:
	s_or_b32 exec_lo, exec_lo, s4
	s_delay_alu instid0(SALU_CYCLE_1) | instskip(SKIP_1) | instid1(SALU_CYCLE_1)
	s_and_not1_b32 s1, s18, exec_lo
	s_and_b32 s2, s2, exec_lo
                                        ; implicit-def: $vgpr10_vgpr11
	s_or_b32 s20, s1, s2
	s_and_b32 s1, s3, exec_lo
.LBB234_1082:
	s_and_not1_saveexec_b32 s0, s0
	s_cbranch_execz .LBB234_1212
; %bb.1083:
	s_mov_b32 s2, exec_lo
                                        ; implicit-def: $vgpr27
	v_cmpx_lt_i16_e32 4, v1
	s_xor_b32 s2, exec_lo, s2
	s_cbranch_execz .LBB234_1153
; %bb.1084:
	s_mov_b32 s3, exec_lo
                                        ; implicit-def: $vgpr27
	v_cmpx_lt_i16_e32 7, v1
	s_xor_b32 s3, exec_lo, s3
	;; [unrolled: 6-line block ×4, first 2 shown]
	s_cbranch_execz .LBB234_1096
; %bb.1087:
	flat_load_b64 v[10:11], v[10:11]
	s_mov_b32 s6, exec_lo
                                        ; implicit-def: $vgpr9
	s_wait_loadcnt_dscnt 0x0
	v_cvt_f32_f64_e32 v5, v[10:11]
	s_wait_xcnt 0x0
	s_delay_alu instid0(VALU_DEP_1) | instskip(NEXT) | instid1(VALU_DEP_1)
	v_and_b32_e32 v10, 0x7fffffff, v5
	v_cmpx_gt_u32_e32 0x47800000, v10
	s_xor_b32 s6, exec_lo, s6
	s_cbranch_execz .LBB234_1093
; %bb.1088:
	s_mov_b32 s7, exec_lo
                                        ; implicit-def: $vgpr9
	v_cmpx_lt_u32_e32 0x387fffff, v10
	s_xor_b32 s7, exec_lo, s7
; %bb.1089:
	v_bfe_u32 v9, v5, 21, 1
	s_delay_alu instid0(VALU_DEP_1) | instskip(NEXT) | instid1(VALU_DEP_1)
	v_add3_u32 v9, v5, v9, 0x80fffff
	v_lshrrev_b32_e32 v9, 21, v9
; %bb.1090:
	s_and_not1_saveexec_b32 s7, s7
; %bb.1091:
	v_add_f32_e64 v9, 0x43000000, |v5|
; %bb.1092:
	s_or_b32 exec_lo, exec_lo, s7
                                        ; implicit-def: $vgpr10
.LBB234_1093:
	s_and_not1_saveexec_b32 s6, s6
; %bb.1094:
	v_mov_b32_e32 v9, 0x7f
	v_cmp_lt_u32_e32 vcc_lo, 0x7f800000, v10
	s_delay_alu instid0(VALU_DEP_2)
	v_cndmask_b32_e32 v9, 0x7c, v9, vcc_lo
; %bb.1095:
	s_or_b32 exec_lo, exec_lo, s6
	v_lshrrev_b32_e32 v5, 24, v5
                                        ; implicit-def: $vgpr10_vgpr11
	s_delay_alu instid0(VALU_DEP_1)
	v_and_or_b32 v27, 0x80, v5, v9
.LBB234_1096:
	s_and_not1_saveexec_b32 s5, s5
	s_cbranch_execz .LBB234_1106
; %bb.1097:
	flat_load_b32 v5, v[10:11]
	s_mov_b32 s6, exec_lo
                                        ; implicit-def: $vgpr9
	s_wait_loadcnt_dscnt 0x0
	v_and_b32_e32 v10, 0x7fffffff, v5
	s_delay_alu instid0(VALU_DEP_1)
	v_cmpx_gt_u32_e32 0x47800000, v10
	s_xor_b32 s6, exec_lo, s6
	s_cbranch_execz .LBB234_1103
; %bb.1098:
	s_mov_b32 s7, exec_lo
                                        ; implicit-def: $vgpr9
	v_cmpx_lt_u32_e32 0x387fffff, v10
	s_xor_b32 s7, exec_lo, s7
; %bb.1099:
	v_bfe_u32 v9, v5, 21, 1
	s_delay_alu instid0(VALU_DEP_1) | instskip(NEXT) | instid1(VALU_DEP_1)
	v_add3_u32 v9, v5, v9, 0x80fffff
	v_lshrrev_b32_e32 v9, 21, v9
; %bb.1100:
	s_and_not1_saveexec_b32 s7, s7
; %bb.1101:
	v_add_f32_e64 v9, 0x43000000, |v5|
; %bb.1102:
	s_or_b32 exec_lo, exec_lo, s7
                                        ; implicit-def: $vgpr10
.LBB234_1103:
	s_and_not1_saveexec_b32 s6, s6
; %bb.1104:
	v_mov_b32_e32 v9, 0x7f
	v_cmp_lt_u32_e32 vcc_lo, 0x7f800000, v10
	s_delay_alu instid0(VALU_DEP_2)
	v_cndmask_b32_e32 v9, 0x7c, v9, vcc_lo
; %bb.1105:
	s_or_b32 exec_lo, exec_lo, s6
	v_lshrrev_b32_e32 v5, 24, v5
	s_delay_alu instid0(VALU_DEP_1)
	v_and_or_b32 v27, 0x80, v5, v9
.LBB234_1106:
	s_or_b32 exec_lo, exec_lo, s5
                                        ; implicit-def: $vgpr10_vgpr11
.LBB234_1107:
	s_and_not1_saveexec_b32 s4, s4
	s_cbranch_execz .LBB234_1117
; %bb.1108:
	flat_load_b32 v5, v[10:11]
	s_mov_b32 s5, exec_lo
                                        ; implicit-def: $vgpr9
	s_wait_loadcnt_dscnt 0x0
	v_cvt_f32_f16_e32 v5, v5
	s_wait_xcnt 0x0
	s_delay_alu instid0(VALU_DEP_1) | instskip(NEXT) | instid1(VALU_DEP_1)
	v_and_b32_e32 v10, 0x7fffffff, v5
	v_cmpx_gt_u32_e32 0x47800000, v10
	s_xor_b32 s5, exec_lo, s5
	s_cbranch_execz .LBB234_1114
; %bb.1109:
	s_mov_b32 s6, exec_lo
                                        ; implicit-def: $vgpr9
	v_cmpx_lt_u32_e32 0x387fffff, v10
	s_xor_b32 s6, exec_lo, s6
; %bb.1110:
	v_bfe_u32 v9, v5, 21, 1
	s_delay_alu instid0(VALU_DEP_1) | instskip(NEXT) | instid1(VALU_DEP_1)
	v_add3_u32 v9, v5, v9, 0x80fffff
	v_lshrrev_b32_e32 v9, 21, v9
; %bb.1111:
	s_and_not1_saveexec_b32 s6, s6
; %bb.1112:
	v_add_f32_e64 v9, 0x43000000, |v5|
; %bb.1113:
	s_or_b32 exec_lo, exec_lo, s6
                                        ; implicit-def: $vgpr10
.LBB234_1114:
	s_and_not1_saveexec_b32 s5, s5
; %bb.1115:
	v_mov_b32_e32 v9, 0x7f
	v_cmp_lt_u32_e32 vcc_lo, 0x7f800000, v10
	s_delay_alu instid0(VALU_DEP_2)
	v_cndmask_b32_e32 v9, 0x7c, v9, vcc_lo
; %bb.1116:
	s_or_b32 exec_lo, exec_lo, s5
	v_lshrrev_b32_e32 v5, 24, v5
	s_delay_alu instid0(VALU_DEP_1)
	v_and_or_b32 v27, 0x80, v5, v9
.LBB234_1117:
	s_or_b32 exec_lo, exec_lo, s4
                                        ; implicit-def: $vgpr10_vgpr11
.LBB234_1118:
	s_and_not1_saveexec_b32 s3, s3
	s_cbranch_execz .LBB234_1152
; %bb.1119:
	s_mov_b32 s4, exec_lo
                                        ; implicit-def: $vgpr27
	v_cmpx_lt_i16_e32 5, v1
	s_xor_b32 s4, exec_lo, s4
	s_cbranch_execz .LBB234_1141
; %bb.1120:
	s_mov_b32 s5, exec_lo
                                        ; implicit-def: $vgpr27
	v_cmpx_lt_i16_e32 6, v1
	s_xor_b32 s5, exec_lo, s5
	s_cbranch_execz .LBB234_1130
; %bb.1121:
	flat_load_b64 v[10:11], v[10:11]
	s_mov_b32 s6, exec_lo
                                        ; implicit-def: $vgpr9
	s_wait_loadcnt_dscnt 0x0
	v_cvt_f32_f64_e32 v5, v[10:11]
	s_wait_xcnt 0x0
	s_delay_alu instid0(VALU_DEP_1) | instskip(NEXT) | instid1(VALU_DEP_1)
	v_and_b32_e32 v10, 0x7fffffff, v5
	v_cmpx_gt_u32_e32 0x47800000, v10
	s_xor_b32 s6, exec_lo, s6
	s_cbranch_execz .LBB234_1127
; %bb.1122:
	s_mov_b32 s7, exec_lo
                                        ; implicit-def: $vgpr9
	v_cmpx_lt_u32_e32 0x387fffff, v10
	s_xor_b32 s7, exec_lo, s7
; %bb.1123:
	v_bfe_u32 v9, v5, 21, 1
	s_delay_alu instid0(VALU_DEP_1) | instskip(NEXT) | instid1(VALU_DEP_1)
	v_add3_u32 v9, v5, v9, 0x80fffff
	v_lshrrev_b32_e32 v9, 21, v9
; %bb.1124:
	s_and_not1_saveexec_b32 s7, s7
; %bb.1125:
	v_add_f32_e64 v9, 0x43000000, |v5|
; %bb.1126:
	s_or_b32 exec_lo, exec_lo, s7
                                        ; implicit-def: $vgpr10
.LBB234_1127:
	s_and_not1_saveexec_b32 s6, s6
; %bb.1128:
	v_mov_b32_e32 v9, 0x7f
	v_cmp_lt_u32_e32 vcc_lo, 0x7f800000, v10
	s_delay_alu instid0(VALU_DEP_2)
	v_cndmask_b32_e32 v9, 0x7c, v9, vcc_lo
; %bb.1129:
	s_or_b32 exec_lo, exec_lo, s6
	v_lshrrev_b32_e32 v5, 24, v5
                                        ; implicit-def: $vgpr10_vgpr11
	s_delay_alu instid0(VALU_DEP_1)
	v_and_or_b32 v27, 0x80, v5, v9
.LBB234_1130:
	s_and_not1_saveexec_b32 s5, s5
	s_cbranch_execz .LBB234_1140
; %bb.1131:
	flat_load_b32 v5, v[10:11]
	s_mov_b32 s6, exec_lo
                                        ; implicit-def: $vgpr9
	s_wait_loadcnt_dscnt 0x0
	v_and_b32_e32 v10, 0x7fffffff, v5
	s_delay_alu instid0(VALU_DEP_1)
	v_cmpx_gt_u32_e32 0x47800000, v10
	s_xor_b32 s6, exec_lo, s6
	s_cbranch_execz .LBB234_1137
; %bb.1132:
	s_mov_b32 s7, exec_lo
                                        ; implicit-def: $vgpr9
	v_cmpx_lt_u32_e32 0x387fffff, v10
	s_xor_b32 s7, exec_lo, s7
; %bb.1133:
	v_bfe_u32 v9, v5, 21, 1
	s_delay_alu instid0(VALU_DEP_1) | instskip(NEXT) | instid1(VALU_DEP_1)
	v_add3_u32 v9, v5, v9, 0x80fffff
	v_lshrrev_b32_e32 v9, 21, v9
; %bb.1134:
	s_and_not1_saveexec_b32 s7, s7
; %bb.1135:
	v_add_f32_e64 v9, 0x43000000, |v5|
; %bb.1136:
	s_or_b32 exec_lo, exec_lo, s7
                                        ; implicit-def: $vgpr10
.LBB234_1137:
	s_and_not1_saveexec_b32 s6, s6
; %bb.1138:
	v_mov_b32_e32 v9, 0x7f
	v_cmp_lt_u32_e32 vcc_lo, 0x7f800000, v10
	s_delay_alu instid0(VALU_DEP_2)
	v_cndmask_b32_e32 v9, 0x7c, v9, vcc_lo
; %bb.1139:
	s_or_b32 exec_lo, exec_lo, s6
	v_lshrrev_b32_e32 v5, 24, v5
	s_delay_alu instid0(VALU_DEP_1)
	v_and_or_b32 v27, 0x80, v5, v9
.LBB234_1140:
	s_or_b32 exec_lo, exec_lo, s5
                                        ; implicit-def: $vgpr10_vgpr11
.LBB234_1141:
	s_and_not1_saveexec_b32 s4, s4
	s_cbranch_execz .LBB234_1151
; %bb.1142:
	flat_load_u16 v5, v[10:11]
	s_mov_b32 s5, exec_lo
                                        ; implicit-def: $vgpr9
	s_wait_loadcnt_dscnt 0x0
	v_cvt_f32_f16_e32 v5, v5
	s_wait_xcnt 0x0
	s_delay_alu instid0(VALU_DEP_1) | instskip(NEXT) | instid1(VALU_DEP_1)
	v_and_b32_e32 v10, 0x7fffffff, v5
	v_cmpx_gt_u32_e32 0x47800000, v10
	s_xor_b32 s5, exec_lo, s5
	s_cbranch_execz .LBB234_1148
; %bb.1143:
	s_mov_b32 s6, exec_lo
                                        ; implicit-def: $vgpr9
	v_cmpx_lt_u32_e32 0x387fffff, v10
	s_xor_b32 s6, exec_lo, s6
; %bb.1144:
	v_bfe_u32 v9, v5, 21, 1
	s_delay_alu instid0(VALU_DEP_1) | instskip(NEXT) | instid1(VALU_DEP_1)
	v_add3_u32 v9, v5, v9, 0x80fffff
	v_lshrrev_b32_e32 v9, 21, v9
; %bb.1145:
	s_and_not1_saveexec_b32 s6, s6
; %bb.1146:
	v_add_f32_e64 v9, 0x43000000, |v5|
; %bb.1147:
	s_or_b32 exec_lo, exec_lo, s6
                                        ; implicit-def: $vgpr10
.LBB234_1148:
	s_and_not1_saveexec_b32 s5, s5
; %bb.1149:
	v_mov_b32_e32 v9, 0x7f
	v_cmp_lt_u32_e32 vcc_lo, 0x7f800000, v10
	s_delay_alu instid0(VALU_DEP_2)
	v_cndmask_b32_e32 v9, 0x7c, v9, vcc_lo
; %bb.1150:
	s_or_b32 exec_lo, exec_lo, s5
	v_lshrrev_b32_e32 v5, 24, v5
	s_delay_alu instid0(VALU_DEP_1)
	v_and_or_b32 v27, 0x80, v5, v9
.LBB234_1151:
	s_or_b32 exec_lo, exec_lo, s4
.LBB234_1152:
	s_delay_alu instid0(SALU_CYCLE_1)
	s_or_b32 exec_lo, exec_lo, s3
                                        ; implicit-def: $vgpr10_vgpr11
.LBB234_1153:
	s_and_not1_saveexec_b32 s2, s2
	s_cbranch_execz .LBB234_1211
; %bb.1154:
	s_mov_b32 s3, exec_lo
                                        ; implicit-def: $vgpr27
	v_cmpx_lt_i16_e32 1, v1
	s_xor_b32 s3, exec_lo, s3
	s_cbranch_execz .LBB234_1188
; %bb.1155:
	s_mov_b32 s4, exec_lo
                                        ; implicit-def: $vgpr27
	v_cmpx_lt_i16_e32 2, v1
	s_xor_b32 s4, exec_lo, s4
	;; [unrolled: 6-line block ×3, first 2 shown]
	s_cbranch_execz .LBB234_1166
; %bb.1157:
	flat_load_b64 v[10:11], v[10:11]
	s_mov_b32 s6, exec_lo
	s_wait_loadcnt_dscnt 0x0
	v_xor_b32_e32 v5, v10, v11
	v_cls_i32_e32 v9, v11
	s_delay_alu instid0(VALU_DEP_2) | instskip(NEXT) | instid1(VALU_DEP_1)
	v_ashrrev_i32_e32 v5, 31, v5
	v_add_nc_u32_e32 v5, 32, v5
	s_delay_alu instid0(VALU_DEP_1) | instskip(SKIP_1) | instid1(VALU_DEP_1)
	v_add_min_u32_e64 v5, v9, -1, v5
	s_wait_xcnt 0x0
	v_lshlrev_b64_e32 v[10:11], v5, v[10:11]
	v_sub_nc_u32_e32 v5, 32, v5
	s_delay_alu instid0(VALU_DEP_2) | instskip(NEXT) | instid1(VALU_DEP_1)
	v_min_u32_e32 v9, 1, v10
	v_or_b32_e32 v9, v11, v9
	s_delay_alu instid0(VALU_DEP_1) | instskip(NEXT) | instid1(VALU_DEP_1)
	v_cvt_f32_i32_e32 v9, v9
	v_ldexp_f32 v5, v9, v5
                                        ; implicit-def: $vgpr9
	s_delay_alu instid0(VALU_DEP_1) | instskip(NEXT) | instid1(VALU_DEP_1)
	v_and_b32_e32 v10, 0x7fffffff, v5
	v_cmpx_gt_u32_e32 0x47800000, v10
	s_xor_b32 s6, exec_lo, s6
	s_cbranch_execz .LBB234_1163
; %bb.1158:
	s_mov_b32 s7, exec_lo
                                        ; implicit-def: $vgpr9
	v_cmpx_lt_u32_e32 0x387fffff, v10
	s_xor_b32 s7, exec_lo, s7
; %bb.1159:
	v_bfe_u32 v9, v5, 21, 1
	s_delay_alu instid0(VALU_DEP_1) | instskip(NEXT) | instid1(VALU_DEP_1)
	v_add3_u32 v9, v5, v9, 0x80fffff
	v_lshrrev_b32_e32 v9, 21, v9
; %bb.1160:
	s_and_not1_saveexec_b32 s7, s7
; %bb.1161:
	v_add_f32_e64 v9, 0x43000000, |v5|
; %bb.1162:
	s_or_b32 exec_lo, exec_lo, s7
                                        ; implicit-def: $vgpr10
.LBB234_1163:
	s_and_not1_saveexec_b32 s6, s6
; %bb.1164:
	v_mov_b32_e32 v9, 0x7f
	v_cmp_lt_u32_e32 vcc_lo, 0x7f800000, v10
	s_delay_alu instid0(VALU_DEP_2)
	v_cndmask_b32_e32 v9, 0x7c, v9, vcc_lo
; %bb.1165:
	s_or_b32 exec_lo, exec_lo, s6
	v_lshrrev_b32_e32 v5, 24, v5
                                        ; implicit-def: $vgpr10_vgpr11
	s_delay_alu instid0(VALU_DEP_1)
	v_and_or_b32 v27, 0x80, v5, v9
.LBB234_1166:
	s_and_not1_saveexec_b32 s5, s5
	s_cbranch_execz .LBB234_1176
; %bb.1167:
	flat_load_b32 v5, v[10:11]
	s_mov_b32 s6, exec_lo
                                        ; implicit-def: $vgpr9
	s_wait_loadcnt_dscnt 0x0
	v_cvt_f32_i32_e32 v5, v5
	s_wait_xcnt 0x0
	s_delay_alu instid0(VALU_DEP_1) | instskip(NEXT) | instid1(VALU_DEP_1)
	v_and_b32_e32 v10, 0x7fffffff, v5
	v_cmpx_gt_u32_e32 0x47800000, v10
	s_xor_b32 s6, exec_lo, s6
	s_cbranch_execz .LBB234_1173
; %bb.1168:
	s_mov_b32 s7, exec_lo
                                        ; implicit-def: $vgpr9
	v_cmpx_lt_u32_e32 0x387fffff, v10
	s_xor_b32 s7, exec_lo, s7
; %bb.1169:
	v_bfe_u32 v9, v5, 21, 1
	s_delay_alu instid0(VALU_DEP_1) | instskip(NEXT) | instid1(VALU_DEP_1)
	v_add3_u32 v9, v5, v9, 0x80fffff
	v_lshrrev_b32_e32 v9, 21, v9
; %bb.1170:
	s_and_not1_saveexec_b32 s7, s7
; %bb.1171:
	v_add_f32_e64 v9, 0x43000000, |v5|
; %bb.1172:
	s_or_b32 exec_lo, exec_lo, s7
                                        ; implicit-def: $vgpr10
.LBB234_1173:
	s_and_not1_saveexec_b32 s6, s6
; %bb.1174:
	v_mov_b32_e32 v9, 0x7f
	v_cmp_lt_u32_e32 vcc_lo, 0x7f800000, v10
	s_delay_alu instid0(VALU_DEP_2)
	v_cndmask_b32_e32 v9, 0x7c, v9, vcc_lo
; %bb.1175:
	s_or_b32 exec_lo, exec_lo, s6
	v_lshrrev_b32_e32 v5, 24, v5
	s_delay_alu instid0(VALU_DEP_1)
	v_and_or_b32 v27, 0x80, v5, v9
.LBB234_1176:
	s_or_b32 exec_lo, exec_lo, s5
                                        ; implicit-def: $vgpr10_vgpr11
.LBB234_1177:
	s_and_not1_saveexec_b32 s4, s4
	s_cbranch_execz .LBB234_1187
; %bb.1178:
	flat_load_i16 v5, v[10:11]
	s_mov_b32 s5, exec_lo
                                        ; implicit-def: $vgpr9
	s_wait_loadcnt_dscnt 0x0
	v_cvt_f32_i32_e32 v5, v5
	s_wait_xcnt 0x0
	s_delay_alu instid0(VALU_DEP_1) | instskip(NEXT) | instid1(VALU_DEP_1)
	v_and_b32_e32 v10, 0x7fffffff, v5
	v_cmpx_gt_u32_e32 0x47800000, v10
	s_xor_b32 s5, exec_lo, s5
	s_cbranch_execz .LBB234_1184
; %bb.1179:
	s_mov_b32 s6, exec_lo
                                        ; implicit-def: $vgpr9
	v_cmpx_lt_u32_e32 0x387fffff, v10
	s_xor_b32 s6, exec_lo, s6
; %bb.1180:
	v_bfe_u32 v9, v5, 21, 1
	s_delay_alu instid0(VALU_DEP_1) | instskip(NEXT) | instid1(VALU_DEP_1)
	v_add3_u32 v9, v5, v9, 0x80fffff
	v_lshrrev_b32_e32 v9, 21, v9
; %bb.1181:
	s_and_not1_saveexec_b32 s6, s6
; %bb.1182:
	v_add_f32_e64 v9, 0x43000000, |v5|
; %bb.1183:
	s_or_b32 exec_lo, exec_lo, s6
                                        ; implicit-def: $vgpr10
.LBB234_1184:
	s_and_not1_saveexec_b32 s5, s5
; %bb.1185:
	v_mov_b32_e32 v9, 0x7f
	v_cmp_lt_u32_e32 vcc_lo, 0x7f800000, v10
	s_delay_alu instid0(VALU_DEP_2)
	v_cndmask_b32_e32 v9, 0x7c, v9, vcc_lo
; %bb.1186:
	s_or_b32 exec_lo, exec_lo, s5
	v_lshrrev_b32_e32 v5, 24, v5
	s_delay_alu instid0(VALU_DEP_1)
	v_and_or_b32 v27, 0x80, v5, v9
.LBB234_1187:
	s_or_b32 exec_lo, exec_lo, s4
                                        ; implicit-def: $vgpr10_vgpr11
.LBB234_1188:
	s_and_not1_saveexec_b32 s3, s3
	s_cbranch_execz .LBB234_1210
; %bb.1189:
	s_mov_b32 s4, exec_lo
                                        ; implicit-def: $vgpr27
	v_cmpx_lt_i16_e32 0, v1
	s_xor_b32 s4, exec_lo, s4
	s_cbranch_execz .LBB234_1199
; %bb.1190:
	flat_load_i8 v5, v[10:11]
	s_mov_b32 s5, exec_lo
                                        ; implicit-def: $vgpr9
	s_wait_loadcnt_dscnt 0x0
	v_cvt_f32_i32_e32 v5, v5
	s_wait_xcnt 0x0
	s_delay_alu instid0(VALU_DEP_1) | instskip(NEXT) | instid1(VALU_DEP_1)
	v_and_b32_e32 v10, 0x7fffffff, v5
	v_cmpx_gt_u32_e32 0x47800000, v10
	s_xor_b32 s5, exec_lo, s5
	s_cbranch_execz .LBB234_1196
; %bb.1191:
	s_mov_b32 s6, exec_lo
                                        ; implicit-def: $vgpr9
	v_cmpx_lt_u32_e32 0x387fffff, v10
	s_xor_b32 s6, exec_lo, s6
; %bb.1192:
	v_bfe_u32 v9, v5, 21, 1
	s_delay_alu instid0(VALU_DEP_1) | instskip(NEXT) | instid1(VALU_DEP_1)
	v_add3_u32 v9, v5, v9, 0x80fffff
	v_lshrrev_b32_e32 v9, 21, v9
; %bb.1193:
	s_and_not1_saveexec_b32 s6, s6
; %bb.1194:
	v_add_f32_e64 v9, 0x43000000, |v5|
; %bb.1195:
	s_or_b32 exec_lo, exec_lo, s6
                                        ; implicit-def: $vgpr10
.LBB234_1196:
	s_and_not1_saveexec_b32 s5, s5
; %bb.1197:
	v_mov_b32_e32 v9, 0x7f
	v_cmp_lt_u32_e32 vcc_lo, 0x7f800000, v10
	s_delay_alu instid0(VALU_DEP_2)
	v_cndmask_b32_e32 v9, 0x7c, v9, vcc_lo
; %bb.1198:
	s_or_b32 exec_lo, exec_lo, s5
	v_lshrrev_b32_e32 v5, 24, v5
                                        ; implicit-def: $vgpr10_vgpr11
	s_delay_alu instid0(VALU_DEP_1)
	v_and_or_b32 v27, 0x80, v5, v9
.LBB234_1199:
	s_and_not1_saveexec_b32 s4, s4
	s_cbranch_execz .LBB234_1209
; %bb.1200:
	flat_load_u8 v5, v[10:11]
	s_mov_b32 s5, exec_lo
                                        ; implicit-def: $vgpr27
	s_wait_loadcnt_dscnt 0x0
	v_cvt_f32_ubyte0_e32 v5, v5
	s_wait_xcnt 0x0
	s_delay_alu instid0(VALU_DEP_1)
	v_cmpx_gt_u32_e32 0x47800000, v5
	s_xor_b32 s5, exec_lo, s5
	s_cbranch_execz .LBB234_1206
; %bb.1201:
	s_mov_b32 s6, exec_lo
                                        ; implicit-def: $vgpr27
	v_cmpx_lt_u32_e32 0x387fffff, v5
	s_xor_b32 s6, exec_lo, s6
; %bb.1202:
	v_bfe_u32 v9, v5, 21, 1
	s_delay_alu instid0(VALU_DEP_1) | instskip(NEXT) | instid1(VALU_DEP_1)
	v_add3_u32 v5, v5, v9, 0x80fffff
	v_lshrrev_b32_e32 v27, 21, v5
                                        ; implicit-def: $vgpr5
; %bb.1203:
	s_and_not1_saveexec_b32 s6, s6
; %bb.1204:
	v_add_f32_e32 v27, 0x43000000, v5
; %bb.1205:
	s_or_b32 exec_lo, exec_lo, s6
                                        ; implicit-def: $vgpr5
.LBB234_1206:
	s_and_not1_saveexec_b32 s5, s5
; %bb.1207:
	v_mov_b32_e32 v9, 0x7f
	v_cmp_lt_u32_e32 vcc_lo, 0x7f800000, v5
	s_delay_alu instid0(VALU_DEP_2)
	v_cndmask_b32_e32 v27, 0x7c, v9, vcc_lo
; %bb.1208:
	s_or_b32 exec_lo, exec_lo, s5
.LBB234_1209:
	s_delay_alu instid0(SALU_CYCLE_1)
	s_or_b32 exec_lo, exec_lo, s4
.LBB234_1210:
	s_delay_alu instid0(SALU_CYCLE_1)
	s_or_b32 exec_lo, exec_lo, s3
.LBB234_1211:
	s_delay_alu instid0(SALU_CYCLE_1) | instskip(NEXT) | instid1(SALU_CYCLE_1)
	s_or_b32 exec_lo, exec_lo, s2
	s_or_b32 s1, s1, exec_lo
.LBB234_1212:
	s_or_b32 exec_lo, exec_lo, s0
	s_mov_b32 s0, 0
	s_mov_b32 s2, 0
	;; [unrolled: 1-line block ×3, first 2 shown]
                                        ; implicit-def: $sgpr3
                                        ; implicit-def: $vgpr22_vgpr23
                                        ; implicit-def: $vgpr5
	s_and_saveexec_b32 s21, s1
	s_cbranch_execz .LBB234_2189
; %bb.1213:
	v_mov_b32_e32 v9, 0
	s_mov_b32 s1, 0
	s_mov_b32 s22, s20
	s_mov_b32 s0, exec_lo
                                        ; implicit-def: $vgpr30
	s_delay_alu instid0(VALU_DEP_1)
	v_add_nc_u64_e32 v[8:9], v[6:7], v[8:9]
	v_cmpx_lt_i16_e32 10, v3
	s_xor_b32 s0, exec_lo, s0
	s_cbranch_execz .LBB234_1308
; %bb.1214:
	s_mov_b32 s3, 0
	s_mov_b32 s2, exec_lo
                                        ; implicit-def: $vgpr30
	v_cmpx_lt_i16_e32 25, v3
	s_xor_b32 s2, exec_lo, s2
	s_cbranch_execz .LBB234_2476
; %bb.1215:
	s_mov_b32 s5, 0
	s_mov_b32 s3, exec_lo
                                        ; implicit-def: $vgpr30
	v_cmpx_lt_i16_e32 28, v3
	s_xor_b32 s3, exec_lo, s3
	s_cbranch_execz .LBB234_1255
; %bb.1216:
	s_mov_b32 s6, 0
	s_mov_b32 s7, 0
	s_mov_b32 s4, exec_lo
                                        ; implicit-def: $vgpr30
	v_cmpx_lt_i16_e32 43, v3
	s_xor_b32 s4, exec_lo, s4
	s_cbranch_execz .LBB234_1242
; %bb.1217:
	s_mov_b32 s7, exec_lo
                                        ; implicit-def: $vgpr30
	v_cmpx_lt_i16_e32 45, v3
	s_xor_b32 s7, exec_lo, s7
	s_cbranch_execz .LBB234_1229
; %bb.1218:
	s_mov_b32 s8, -1
	s_mov_b32 s5, exec_lo
                                        ; implicit-def: $vgpr30
	v_cmpx_eq_u16_e32 46, v3
	s_cbranch_execz .LBB234_1228
; %bb.1219:
	flat_load_b32 v5, v[8:9]
	s_mov_b32 s6, exec_lo
                                        ; implicit-def: $vgpr10
	s_wait_loadcnt_dscnt 0x0
	v_lshlrev_b32_e32 v5, 16, v5
	s_delay_alu instid0(VALU_DEP_1) | instskip(SKIP_1) | instid1(VALU_DEP_1)
	v_and_b32_e32 v11, 0x7fffffff, v5
	s_wait_xcnt 0x0
	v_cmpx_gt_u32_e32 0x47800000, v11
	s_xor_b32 s6, exec_lo, s6
	s_cbranch_execz .LBB234_1225
; %bb.1220:
	s_mov_b32 s8, exec_lo
                                        ; implicit-def: $vgpr10
	v_cmpx_lt_u32_e32 0x387fffff, v11
	s_xor_b32 s8, exec_lo, s8
; %bb.1221:
	v_bfe_u32 v10, v5, 21, 1
	s_delay_alu instid0(VALU_DEP_1) | instskip(NEXT) | instid1(VALU_DEP_1)
	v_add3_u32 v10, v5, v10, 0x80fffff
	v_lshrrev_b32_e32 v10, 21, v10
; %bb.1222:
	s_and_not1_saveexec_b32 s8, s8
; %bb.1223:
	v_add_f32_e64 v10, 0x43000000, |v5|
; %bb.1224:
	s_or_b32 exec_lo, exec_lo, s8
                                        ; implicit-def: $vgpr11
.LBB234_1225:
	s_and_not1_saveexec_b32 s6, s6
; %bb.1226:
	v_mov_b32_e32 v10, 0x7f
	v_cmp_lt_u32_e32 vcc_lo, 0x7f800000, v11
	s_delay_alu instid0(VALU_DEP_2)
	v_cndmask_b32_e32 v10, 0x7c, v10, vcc_lo
; %bb.1227:
	s_or_b32 exec_lo, exec_lo, s6
	v_lshrrev_b32_e32 v5, 24, v5
	s_mov_b32 s6, exec_lo
	s_xor_b32 s8, exec_lo, -1
	s_delay_alu instid0(VALU_DEP_1)
	v_and_or_b32 v30, 0x80, v5, v10
.LBB234_1228:
	s_or_b32 exec_lo, exec_lo, s5
	s_delay_alu instid0(SALU_CYCLE_1)
	s_and_b32 s6, s6, exec_lo
	s_and_b32 s5, s8, exec_lo
.LBB234_1229:
	s_and_not1_saveexec_b32 s7, s7
	s_cbranch_execz .LBB234_1241
; %bb.1230:
	s_mov_b32 s9, -1
	s_mov_b32 s10, s6
	s_mov_b32 s8, exec_lo
                                        ; implicit-def: $vgpr30
	v_cmpx_eq_u16_e32 44, v3
	s_cbranch_execz .LBB234_1240
; %bb.1231:
	flat_load_u8 v5, v[8:9]
	s_mov_b32 s9, exec_lo
                                        ; implicit-def: $vgpr30
	s_wait_loadcnt_dscnt 0x0
	v_lshlrev_b32_e32 v10, 23, v5
	v_cmp_ne_u32_e32 vcc_lo, 0xff, v5
	s_delay_alu instid0(VALU_DEP_2) | instskip(SKIP_1) | instid1(VALU_DEP_2)
	v_cndmask_b32_e32 v10, 0x7f800001, v10, vcc_lo
	v_cmp_ne_u32_e32 vcc_lo, 0, v5
	v_cndmask_b32_e32 v5, 0x400000, v10, vcc_lo
	s_wait_xcnt 0x0
	s_delay_alu instid0(VALU_DEP_1)
	v_cmpx_gt_u32_e32 0x47800000, v5
	s_xor_b32 s9, exec_lo, s9
	s_cbranch_execz .LBB234_1237
; %bb.1232:
	s_mov_b32 s10, exec_lo
                                        ; implicit-def: $vgpr30
	v_cmpx_lt_u32_e32 0x387fffff, v5
	s_xor_b32 s10, exec_lo, s10
; %bb.1233:
	v_bfe_u32 v10, v5, 21, 1
	s_delay_alu instid0(VALU_DEP_1) | instskip(NEXT) | instid1(VALU_DEP_1)
	v_add3_u32 v5, v5, v10, 0x80fffff
	v_lshrrev_b32_e32 v30, 21, v5
                                        ; implicit-def: $vgpr5
; %bb.1234:
	s_and_not1_saveexec_b32 s10, s10
; %bb.1235:
	v_add_f32_e32 v30, 0x43000000, v5
; %bb.1236:
	s_or_b32 exec_lo, exec_lo, s10
                                        ; implicit-def: $vgpr5
.LBB234_1237:
	s_and_not1_saveexec_b32 s9, s9
; %bb.1238:
	v_mov_b32_e32 v10, 0x7f
	v_cmp_lt_u32_e32 vcc_lo, 0x7f800000, v5
	s_delay_alu instid0(VALU_DEP_2)
	v_cndmask_b32_e32 v30, 0x7c, v10, vcc_lo
; %bb.1239:
	s_or_b32 exec_lo, exec_lo, s9
	s_delay_alu instid0(SALU_CYCLE_1)
	s_or_b32 s10, s6, exec_lo
	s_xor_b32 s9, exec_lo, -1
.LBB234_1240:
	s_or_b32 exec_lo, exec_lo, s8
	s_delay_alu instid0(SALU_CYCLE_1)
	s_and_not1_b32 s6, s6, exec_lo
	s_and_b32 s8, s10, exec_lo
	s_and_not1_b32 s5, s5, exec_lo
	s_and_b32 s9, s9, exec_lo
	s_or_b32 s6, s6, s8
	s_or_b32 s5, s5, s9
.LBB234_1241:
	s_or_b32 exec_lo, exec_lo, s7
	s_delay_alu instid0(SALU_CYCLE_1)
	s_and_b32 s7, s6, exec_lo
	s_and_b32 s6, s5, exec_lo
.LBB234_1242:
	s_and_not1_saveexec_b32 s4, s4
	s_cbranch_execz .LBB234_1254
; %bb.1243:
	s_mov_b32 s8, -1
	s_mov_b32 s9, s7
	s_mov_b32 s5, exec_lo
                                        ; implicit-def: $vgpr30
	v_cmpx_eq_u16_e32 29, v3
	s_cbranch_execz .LBB234_1253
; %bb.1244:
	flat_load_b64 v[10:11], v[8:9]
	s_mov_b32 s8, exec_lo
                                        ; implicit-def: $vgpr30
	s_wait_loadcnt_dscnt 0x0
	v_clz_i32_u32_e32 v5, v11
	s_delay_alu instid0(VALU_DEP_1) | instskip(NEXT) | instid1(VALU_DEP_1)
	v_min_u32_e32 v5, 32, v5
	v_lshlrev_b64_e32 v[10:11], v5, v[10:11]
	v_sub_nc_u32_e32 v5, 32, v5
	s_delay_alu instid0(VALU_DEP_2) | instskip(NEXT) | instid1(VALU_DEP_1)
	v_min_u32_e32 v10, 1, v10
	v_or_b32_e32 v10, v11, v10
	s_delay_alu instid0(VALU_DEP_1) | instskip(NEXT) | instid1(VALU_DEP_1)
	v_cvt_f32_u32_e32 v10, v10
	v_ldexp_f32 v5, v10, v5
	s_wait_xcnt 0x0
	s_delay_alu instid0(VALU_DEP_1)
	v_cmpx_gt_u32_e32 0x47800000, v5
	s_xor_b32 s8, exec_lo, s8
	s_cbranch_execz .LBB234_1250
; %bb.1245:
	s_mov_b32 s9, exec_lo
                                        ; implicit-def: $vgpr30
	v_cmpx_lt_u32_e32 0x387fffff, v5
	s_xor_b32 s9, exec_lo, s9
; %bb.1246:
	v_bfe_u32 v10, v5, 21, 1
	s_delay_alu instid0(VALU_DEP_1) | instskip(NEXT) | instid1(VALU_DEP_1)
	v_add3_u32 v5, v5, v10, 0x80fffff
	v_lshrrev_b32_e32 v30, 21, v5
                                        ; implicit-def: $vgpr5
; %bb.1247:
	s_and_not1_saveexec_b32 s9, s9
; %bb.1248:
	v_add_f32_e32 v30, 0x43000000, v5
; %bb.1249:
	s_or_b32 exec_lo, exec_lo, s9
                                        ; implicit-def: $vgpr5
.LBB234_1250:
	s_and_not1_saveexec_b32 s8, s8
; %bb.1251:
	v_mov_b32_e32 v10, 0x7f
	v_cmp_lt_u32_e32 vcc_lo, 0x7f800000, v5
	s_delay_alu instid0(VALU_DEP_2)
	v_cndmask_b32_e32 v30, 0x7c, v10, vcc_lo
; %bb.1252:
	s_or_b32 exec_lo, exec_lo, s8
	s_delay_alu instid0(SALU_CYCLE_1)
	s_or_b32 s9, s7, exec_lo
	s_xor_b32 s8, exec_lo, -1
.LBB234_1253:
	s_or_b32 exec_lo, exec_lo, s5
	s_delay_alu instid0(SALU_CYCLE_1)
	s_and_not1_b32 s5, s7, exec_lo
	s_and_b32 s7, s9, exec_lo
	s_and_not1_b32 s6, s6, exec_lo
	s_and_b32 s8, s8, exec_lo
	s_or_b32 s7, s5, s7
	s_or_b32 s6, s6, s8
.LBB234_1254:
	s_or_b32 exec_lo, exec_lo, s4
	s_delay_alu instid0(SALU_CYCLE_1)
	s_and_b32 s5, s7, exec_lo
	s_and_b32 s4, s6, exec_lo
.LBB234_1255:
	s_and_not1_saveexec_b32 s3, s3
	s_cbranch_execz .LBB234_1295
; %bb.1256:
	s_mov_b32 s6, exec_lo
                                        ; implicit-def: $vgpr30
	v_cmpx_lt_i16_e32 26, v3
	s_xor_b32 s6, exec_lo, s6
	s_cbranch_execz .LBB234_1278
; %bb.1257:
	s_mov_b32 s7, exec_lo
                                        ; implicit-def: $vgpr30
	v_cmpx_lt_i16_e32 27, v3
	s_xor_b32 s7, exec_lo, s7
	s_cbranch_execz .LBB234_1267
; %bb.1258:
	flat_load_b32 v5, v[8:9]
	s_mov_b32 s8, exec_lo
                                        ; implicit-def: $vgpr30
	s_wait_loadcnt_dscnt 0x0
	v_cvt_f32_u32_e32 v5, v5
	s_wait_xcnt 0x0
	s_delay_alu instid0(VALU_DEP_1)
	v_cmpx_gt_u32_e32 0x47800000, v5
	s_xor_b32 s8, exec_lo, s8
	s_cbranch_execz .LBB234_1264
; %bb.1259:
	s_mov_b32 s9, exec_lo
                                        ; implicit-def: $vgpr30
	v_cmpx_lt_u32_e32 0x387fffff, v5
	s_xor_b32 s9, exec_lo, s9
; %bb.1260:
	v_bfe_u32 v10, v5, 21, 1
	s_delay_alu instid0(VALU_DEP_1) | instskip(NEXT) | instid1(VALU_DEP_1)
	v_add3_u32 v5, v5, v10, 0x80fffff
	v_lshrrev_b32_e32 v30, 21, v5
                                        ; implicit-def: $vgpr5
; %bb.1261:
	s_and_not1_saveexec_b32 s9, s9
; %bb.1262:
	v_add_f32_e32 v30, 0x43000000, v5
; %bb.1263:
	s_or_b32 exec_lo, exec_lo, s9
                                        ; implicit-def: $vgpr5
.LBB234_1264:
	s_and_not1_saveexec_b32 s8, s8
; %bb.1265:
	v_mov_b32_e32 v10, 0x7f
	v_cmp_lt_u32_e32 vcc_lo, 0x7f800000, v5
	s_delay_alu instid0(VALU_DEP_2)
	v_cndmask_b32_e32 v30, 0x7c, v10, vcc_lo
; %bb.1266:
	s_or_b32 exec_lo, exec_lo, s8
.LBB234_1267:
	s_and_not1_saveexec_b32 s7, s7
	s_cbranch_execz .LBB234_1277
; %bb.1268:
	flat_load_u16 v5, v[8:9]
	s_mov_b32 s8, exec_lo
                                        ; implicit-def: $vgpr30
	s_wait_loadcnt_dscnt 0x0
	v_cvt_f32_u32_e32 v5, v5
	s_wait_xcnt 0x0
	s_delay_alu instid0(VALU_DEP_1)
	v_cmpx_gt_u32_e32 0x47800000, v5
	s_xor_b32 s8, exec_lo, s8
	s_cbranch_execz .LBB234_1274
; %bb.1269:
	s_mov_b32 s9, exec_lo
                                        ; implicit-def: $vgpr30
	v_cmpx_lt_u32_e32 0x387fffff, v5
	s_xor_b32 s9, exec_lo, s9
; %bb.1270:
	v_bfe_u32 v10, v5, 21, 1
	s_delay_alu instid0(VALU_DEP_1) | instskip(NEXT) | instid1(VALU_DEP_1)
	v_add3_u32 v5, v5, v10, 0x80fffff
	v_lshrrev_b32_e32 v30, 21, v5
                                        ; implicit-def: $vgpr5
; %bb.1271:
	s_and_not1_saveexec_b32 s9, s9
; %bb.1272:
	v_add_f32_e32 v30, 0x43000000, v5
; %bb.1273:
	s_or_b32 exec_lo, exec_lo, s9
                                        ; implicit-def: $vgpr5
.LBB234_1274:
	s_and_not1_saveexec_b32 s8, s8
; %bb.1275:
	v_mov_b32_e32 v10, 0x7f
	v_cmp_lt_u32_e32 vcc_lo, 0x7f800000, v5
	s_delay_alu instid0(VALU_DEP_2)
	v_cndmask_b32_e32 v30, 0x7c, v10, vcc_lo
; %bb.1276:
	s_or_b32 exec_lo, exec_lo, s8
.LBB234_1277:
	s_delay_alu instid0(SALU_CYCLE_1)
	s_or_b32 exec_lo, exec_lo, s7
.LBB234_1278:
	s_and_not1_saveexec_b32 s6, s6
	s_cbranch_execz .LBB234_1294
; %bb.1279:
	flat_load_u8 v10, v[8:9]
	s_mov_b32 s7, 0
	s_mov_b32 s8, exec_lo
	s_wait_loadcnt_dscnt 0x0
	v_cmpx_lt_i16_e32 0x7f, v10
	s_xor_b32 s8, exec_lo, s8
	s_cbranch_execz .LBB234_2643
; %bb.1280:
	s_mov_b32 s7, -1
	s_mov_b32 s9, exec_lo
	v_cmpx_eq_u16_e32 0x80, v10
; %bb.1281:
	s_xor_b32 s7, exec_lo, -1
; %bb.1282:
	s_or_b32 exec_lo, exec_lo, s9
	s_delay_alu instid0(SALU_CYCLE_1)
	s_and_b32 s7, s7, exec_lo
	s_or_saveexec_b32 s8, s8
	v_mov_b32_e32 v5, 0x7f800001
	s_xor_b32 exec_lo, exec_lo, s8
	s_cbranch_execnz .LBB234_2644
.LBB234_1283:
	s_or_b32 exec_lo, exec_lo, s8
	s_and_saveexec_b32 s8, s7
	s_cbranch_execz .LBB234_1285
.LBB234_1284:
	v_and_b32_e32 v5, 0xffff, v10
	s_delay_alu instid0(VALU_DEP_1) | instskip(SKIP_1) | instid1(VALU_DEP_2)
	v_and_b32_e32 v11, 7, v5
	v_bfe_u32 v14, v5, 3, 4
	v_clz_i32_u32_e32 v12, v11
	s_delay_alu instid0(VALU_DEP_2) | instskip(NEXT) | instid1(VALU_DEP_2)
	v_cmp_eq_u32_e32 vcc_lo, 0, v14
	v_min_u32_e32 v12, 32, v12
	s_delay_alu instid0(VALU_DEP_1) | instskip(NEXT) | instid1(VALU_DEP_1)
	v_subrev_nc_u32_e32 v13, 28, v12
	v_dual_lshlrev_b32 v5, v13, v5 :: v_dual_sub_nc_u32 v12, 29, v12
	s_delay_alu instid0(VALU_DEP_1) | instskip(NEXT) | instid1(VALU_DEP_1)
	v_dual_lshlrev_b32 v10, 24, v10 :: v_dual_bitop2_b32 v5, 7, v5 bitop3:0x40
	v_dual_cndmask_b32 v12, v14, v12 :: v_dual_cndmask_b32 v5, v11, v5
	s_delay_alu instid0(VALU_DEP_2) | instskip(NEXT) | instid1(VALU_DEP_2)
	v_and_b32_e32 v10, 0x80000000, v10
	v_lshl_add_u32 v11, v12, 23, 0x3b800000
	s_delay_alu instid0(VALU_DEP_3) | instskip(NEXT) | instid1(VALU_DEP_1)
	v_lshlrev_b32_e32 v5, 20, v5
	v_or3_b32 v5, v10, v11, v5
.LBB234_1285:
	s_or_b32 exec_lo, exec_lo, s8
	s_delay_alu instid0(VALU_DEP_1) | instskip(SKIP_1) | instid1(VALU_DEP_1)
	v_and_b32_e32 v11, 0x7fffffff, v5
	s_mov_b32 s7, exec_lo
                                        ; implicit-def: $vgpr10
	v_cmpx_gt_u32_e32 0x47800000, v11
	s_xor_b32 s7, exec_lo, s7
	s_cbranch_execz .LBB234_1291
; %bb.1286:
	s_mov_b32 s8, exec_lo
                                        ; implicit-def: $vgpr10
	v_cmpx_lt_u32_e32 0x387fffff, v11
	s_xor_b32 s8, exec_lo, s8
; %bb.1287:
	v_bfe_u32 v10, v5, 21, 1
	s_delay_alu instid0(VALU_DEP_1) | instskip(NEXT) | instid1(VALU_DEP_1)
	v_add3_u32 v10, v5, v10, 0x80fffff
	v_lshrrev_b32_e32 v10, 21, v10
; %bb.1288:
	s_and_not1_saveexec_b32 s8, s8
; %bb.1289:
	v_add_f32_e64 v10, 0x43000000, |v5|
; %bb.1290:
	s_or_b32 exec_lo, exec_lo, s8
                                        ; implicit-def: $vgpr11
.LBB234_1291:
	s_and_not1_saveexec_b32 s7, s7
; %bb.1292:
	v_mov_b32_e32 v10, 0x7f
	v_cmp_lt_u32_e32 vcc_lo, 0x7f800000, v11
	s_delay_alu instid0(VALU_DEP_2)
	v_cndmask_b32_e32 v10, 0x7c, v10, vcc_lo
; %bb.1293:
	s_or_b32 exec_lo, exec_lo, s7
	v_lshrrev_b32_e32 v5, 24, v5
	s_delay_alu instid0(VALU_DEP_1)
	v_and_or_b32 v30, 0x80, v5, v10
.LBB234_1294:
	s_or_b32 exec_lo, exec_lo, s6
	s_delay_alu instid0(SALU_CYCLE_1)
	s_or_b32 s5, s5, exec_lo
.LBB234_1295:
	s_or_b32 exec_lo, exec_lo, s3
	s_delay_alu instid0(SALU_CYCLE_1)
	s_and_b32 s3, s5, exec_lo
	s_and_b32 s4, s4, exec_lo
	s_and_not1_saveexec_b32 s2, s2
	s_cbranch_execnz .LBB234_2477
.LBB234_1296:
	s_or_b32 exec_lo, exec_lo, s2
	s_mov_b32 s2, s20
	s_and_saveexec_b32 s5, s4
	s_cbranch_execnz .LBB234_2526
.LBB234_1297:
	s_or_b32 exec_lo, exec_lo, s5
	s_and_saveexec_b32 s4, s1
	s_cbranch_execz .LBB234_1307
.LBB234_1298:
	flat_load_u8 v5, v[8:9]
	s_mov_b32 s1, exec_lo
                                        ; implicit-def: $vgpr30
	s_wait_loadcnt_dscnt 0x0
	v_cmp_ne_u16_e32 vcc_lo, 0, v5
	v_cndmask_b32_e64 v5, 0, 1.0, vcc_lo
	s_wait_xcnt 0x0
	s_delay_alu instid0(VALU_DEP_1)
	v_cmpx_gt_u32_e32 0x47800000, v5
	s_xor_b32 s1, exec_lo, s1
	s_cbranch_execz .LBB234_1304
; %bb.1299:
	s_mov_b32 s5, exec_lo
                                        ; implicit-def: $vgpr30
	v_cmpx_lt_u32_e32 0x387fffff, v5
	s_xor_b32 s5, exec_lo, s5
; %bb.1300:
	v_bfe_u32 v8, v5, 21, 1
	s_delay_alu instid0(VALU_DEP_1) | instskip(NEXT) | instid1(VALU_DEP_1)
	v_add3_u32 v5, v5, v8, 0x80fffff
	v_lshrrev_b32_e32 v30, 21, v5
                                        ; implicit-def: $vgpr5
; %bb.1301:
	s_and_not1_saveexec_b32 s5, s5
; %bb.1302:
	v_add_f32_e32 v30, 0x43000000, v5
; %bb.1303:
	s_or_b32 exec_lo, exec_lo, s5
                                        ; implicit-def: $vgpr5
.LBB234_1304:
	s_and_not1_saveexec_b32 s1, s1
; %bb.1305:
	v_mov_b32_e32 v8, 0x7f
	v_cmp_lt_u32_e32 vcc_lo, 0x7f800000, v5
	s_delay_alu instid0(VALU_DEP_2)
	v_cndmask_b32_e32 v30, 0x7c, v8, vcc_lo
; %bb.1306:
	s_or_b32 exec_lo, exec_lo, s1
	s_delay_alu instid0(SALU_CYCLE_1)
	s_or_b32 s3, s3, exec_lo
.LBB234_1307:
	s_or_b32 exec_lo, exec_lo, s4
	s_delay_alu instid0(SALU_CYCLE_1) | instskip(SKIP_1) | instid1(SALU_CYCLE_1)
	s_and_not1_b32 s1, s20, exec_lo
	s_and_b32 s2, s2, exec_lo
                                        ; implicit-def: $vgpr8_vgpr9
	s_or_b32 s22, s1, s2
	s_and_b32 s1, s3, exec_lo
.LBB234_1308:
	s_and_not1_saveexec_b32 s0, s0
	s_cbranch_execz .LBB234_1438
; %bb.1309:
	s_mov_b32 s2, exec_lo
                                        ; implicit-def: $vgpr30
	v_cmpx_lt_i16_e32 4, v3
	s_xor_b32 s2, exec_lo, s2
	s_cbranch_execz .LBB234_1379
; %bb.1310:
	s_mov_b32 s3, exec_lo
                                        ; implicit-def: $vgpr30
	v_cmpx_lt_i16_e32 7, v3
	s_xor_b32 s3, exec_lo, s3
	s_cbranch_execz .LBB234_1344
; %bb.1311:
	s_mov_b32 s4, exec_lo
                                        ; implicit-def: $vgpr30
	v_cmpx_lt_i16_e32 8, v3
	s_xor_b32 s4, exec_lo, s4
	s_cbranch_execz .LBB234_1333
; %bb.1312:
	s_mov_b32 s5, exec_lo
                                        ; implicit-def: $vgpr30
	v_cmpx_lt_i16_e32 9, v3
	s_xor_b32 s5, exec_lo, s5
	s_cbranch_execz .LBB234_1322
; %bb.1313:
	flat_load_b64 v[8:9], v[8:9]
	s_mov_b32 s6, exec_lo
	s_wait_loadcnt_dscnt 0x0
	v_cvt_f32_f64_e32 v5, v[8:9]
                                        ; implicit-def: $vgpr8
	s_wait_xcnt 0x0
	s_delay_alu instid0(VALU_DEP_1) | instskip(NEXT) | instid1(VALU_DEP_1)
	v_and_b32_e32 v9, 0x7fffffff, v5
	v_cmpx_gt_u32_e32 0x47800000, v9
	s_xor_b32 s6, exec_lo, s6
	s_cbranch_execz .LBB234_1319
; %bb.1314:
	s_mov_b32 s7, exec_lo
                                        ; implicit-def: $vgpr8
	v_cmpx_lt_u32_e32 0x387fffff, v9
	s_xor_b32 s7, exec_lo, s7
; %bb.1315:
	v_bfe_u32 v8, v5, 21, 1
	s_delay_alu instid0(VALU_DEP_1) | instskip(NEXT) | instid1(VALU_DEP_1)
	v_add3_u32 v8, v5, v8, 0x80fffff
	v_lshrrev_b32_e32 v8, 21, v8
; %bb.1316:
	s_and_not1_saveexec_b32 s7, s7
; %bb.1317:
	v_add_f32_e64 v8, 0x43000000, |v5|
; %bb.1318:
	s_or_b32 exec_lo, exec_lo, s7
                                        ; implicit-def: $vgpr9
.LBB234_1319:
	s_and_not1_saveexec_b32 s6, s6
; %bb.1320:
	v_mov_b32_e32 v8, 0x7f
	v_cmp_lt_u32_e32 vcc_lo, 0x7f800000, v9
	s_delay_alu instid0(VALU_DEP_2)
	v_cndmask_b32_e32 v8, 0x7c, v8, vcc_lo
; %bb.1321:
	s_or_b32 exec_lo, exec_lo, s6
	v_lshrrev_b32_e32 v5, 24, v5
	s_delay_alu instid0(VALU_DEP_1)
	v_and_or_b32 v30, 0x80, v5, v8
                                        ; implicit-def: $vgpr8_vgpr9
.LBB234_1322:
	s_and_not1_saveexec_b32 s5, s5
	s_cbranch_execz .LBB234_1332
; %bb.1323:
	flat_load_b32 v5, v[8:9]
	s_mov_b32 s6, exec_lo
                                        ; implicit-def: $vgpr8
	s_wait_loadcnt_dscnt 0x0
	v_and_b32_e32 v9, 0x7fffffff, v5
	s_delay_alu instid0(VALU_DEP_1)
	v_cmpx_gt_u32_e32 0x47800000, v9
	s_xor_b32 s6, exec_lo, s6
	s_cbranch_execz .LBB234_1329
; %bb.1324:
	s_mov_b32 s7, exec_lo
                                        ; implicit-def: $vgpr8
	v_cmpx_lt_u32_e32 0x387fffff, v9
	s_xor_b32 s7, exec_lo, s7
; %bb.1325:
	v_bfe_u32 v8, v5, 21, 1
	s_delay_alu instid0(VALU_DEP_1) | instskip(NEXT) | instid1(VALU_DEP_1)
	v_add3_u32 v8, v5, v8, 0x80fffff
	v_lshrrev_b32_e32 v8, 21, v8
; %bb.1326:
	s_and_not1_saveexec_b32 s7, s7
; %bb.1327:
	v_add_f32_e64 v8, 0x43000000, |v5|
; %bb.1328:
	s_or_b32 exec_lo, exec_lo, s7
                                        ; implicit-def: $vgpr9
.LBB234_1329:
	s_and_not1_saveexec_b32 s6, s6
; %bb.1330:
	v_mov_b32_e32 v8, 0x7f
	v_cmp_lt_u32_e32 vcc_lo, 0x7f800000, v9
	s_delay_alu instid0(VALU_DEP_2)
	v_cndmask_b32_e32 v8, 0x7c, v8, vcc_lo
; %bb.1331:
	s_or_b32 exec_lo, exec_lo, s6
	v_lshrrev_b32_e32 v5, 24, v5
	s_delay_alu instid0(VALU_DEP_1)
	v_and_or_b32 v30, 0x80, v5, v8
.LBB234_1332:
	s_or_b32 exec_lo, exec_lo, s5
                                        ; implicit-def: $vgpr8_vgpr9
.LBB234_1333:
	s_and_not1_saveexec_b32 s4, s4
	s_cbranch_execz .LBB234_1343
; %bb.1334:
	flat_load_b32 v5, v[8:9]
	s_mov_b32 s5, exec_lo
                                        ; implicit-def: $vgpr8
	s_wait_loadcnt_dscnt 0x0
	v_cvt_f32_f16_e32 v5, v5
	s_wait_xcnt 0x0
	s_delay_alu instid0(VALU_DEP_1) | instskip(NEXT) | instid1(VALU_DEP_1)
	v_and_b32_e32 v9, 0x7fffffff, v5
	v_cmpx_gt_u32_e32 0x47800000, v9
	s_xor_b32 s5, exec_lo, s5
	s_cbranch_execz .LBB234_1340
; %bb.1335:
	s_mov_b32 s6, exec_lo
                                        ; implicit-def: $vgpr8
	v_cmpx_lt_u32_e32 0x387fffff, v9
	s_xor_b32 s6, exec_lo, s6
; %bb.1336:
	v_bfe_u32 v8, v5, 21, 1
	s_delay_alu instid0(VALU_DEP_1) | instskip(NEXT) | instid1(VALU_DEP_1)
	v_add3_u32 v8, v5, v8, 0x80fffff
	v_lshrrev_b32_e32 v8, 21, v8
; %bb.1337:
	s_and_not1_saveexec_b32 s6, s6
; %bb.1338:
	v_add_f32_e64 v8, 0x43000000, |v5|
; %bb.1339:
	s_or_b32 exec_lo, exec_lo, s6
                                        ; implicit-def: $vgpr9
.LBB234_1340:
	s_and_not1_saveexec_b32 s5, s5
; %bb.1341:
	v_mov_b32_e32 v8, 0x7f
	v_cmp_lt_u32_e32 vcc_lo, 0x7f800000, v9
	s_delay_alu instid0(VALU_DEP_2)
	v_cndmask_b32_e32 v8, 0x7c, v8, vcc_lo
; %bb.1342:
	s_or_b32 exec_lo, exec_lo, s5
	v_lshrrev_b32_e32 v5, 24, v5
	s_delay_alu instid0(VALU_DEP_1)
	v_and_or_b32 v30, 0x80, v5, v8
.LBB234_1343:
	s_or_b32 exec_lo, exec_lo, s4
                                        ; implicit-def: $vgpr8_vgpr9
.LBB234_1344:
	s_and_not1_saveexec_b32 s3, s3
	s_cbranch_execz .LBB234_1378
; %bb.1345:
	s_mov_b32 s4, exec_lo
                                        ; implicit-def: $vgpr30
	v_cmpx_lt_i16_e32 5, v3
	s_xor_b32 s4, exec_lo, s4
	s_cbranch_execz .LBB234_1367
; %bb.1346:
	s_mov_b32 s5, exec_lo
                                        ; implicit-def: $vgpr30
	v_cmpx_lt_i16_e32 6, v3
	s_xor_b32 s5, exec_lo, s5
	s_cbranch_execz .LBB234_1356
; %bb.1347:
	flat_load_b64 v[8:9], v[8:9]
	s_mov_b32 s6, exec_lo
	s_wait_loadcnt_dscnt 0x0
	v_cvt_f32_f64_e32 v5, v[8:9]
                                        ; implicit-def: $vgpr8
	s_wait_xcnt 0x0
	s_delay_alu instid0(VALU_DEP_1) | instskip(NEXT) | instid1(VALU_DEP_1)
	v_and_b32_e32 v9, 0x7fffffff, v5
	v_cmpx_gt_u32_e32 0x47800000, v9
	s_xor_b32 s6, exec_lo, s6
	s_cbranch_execz .LBB234_1353
; %bb.1348:
	s_mov_b32 s7, exec_lo
                                        ; implicit-def: $vgpr8
	v_cmpx_lt_u32_e32 0x387fffff, v9
	s_xor_b32 s7, exec_lo, s7
; %bb.1349:
	v_bfe_u32 v8, v5, 21, 1
	s_delay_alu instid0(VALU_DEP_1) | instskip(NEXT) | instid1(VALU_DEP_1)
	v_add3_u32 v8, v5, v8, 0x80fffff
	v_lshrrev_b32_e32 v8, 21, v8
; %bb.1350:
	s_and_not1_saveexec_b32 s7, s7
; %bb.1351:
	v_add_f32_e64 v8, 0x43000000, |v5|
; %bb.1352:
	s_or_b32 exec_lo, exec_lo, s7
                                        ; implicit-def: $vgpr9
.LBB234_1353:
	s_and_not1_saveexec_b32 s6, s6
; %bb.1354:
	v_mov_b32_e32 v8, 0x7f
	v_cmp_lt_u32_e32 vcc_lo, 0x7f800000, v9
	s_delay_alu instid0(VALU_DEP_2)
	v_cndmask_b32_e32 v8, 0x7c, v8, vcc_lo
; %bb.1355:
	s_or_b32 exec_lo, exec_lo, s6
	v_lshrrev_b32_e32 v5, 24, v5
	s_delay_alu instid0(VALU_DEP_1)
	v_and_or_b32 v30, 0x80, v5, v8
                                        ; implicit-def: $vgpr8_vgpr9
.LBB234_1356:
	s_and_not1_saveexec_b32 s5, s5
	s_cbranch_execz .LBB234_1366
; %bb.1357:
	flat_load_b32 v5, v[8:9]
	s_mov_b32 s6, exec_lo
                                        ; implicit-def: $vgpr8
	s_wait_loadcnt_dscnt 0x0
	v_and_b32_e32 v9, 0x7fffffff, v5
	s_delay_alu instid0(VALU_DEP_1)
	v_cmpx_gt_u32_e32 0x47800000, v9
	s_xor_b32 s6, exec_lo, s6
	s_cbranch_execz .LBB234_1363
; %bb.1358:
	s_mov_b32 s7, exec_lo
                                        ; implicit-def: $vgpr8
	v_cmpx_lt_u32_e32 0x387fffff, v9
	s_xor_b32 s7, exec_lo, s7
; %bb.1359:
	v_bfe_u32 v8, v5, 21, 1
	s_delay_alu instid0(VALU_DEP_1) | instskip(NEXT) | instid1(VALU_DEP_1)
	v_add3_u32 v8, v5, v8, 0x80fffff
	v_lshrrev_b32_e32 v8, 21, v8
; %bb.1360:
	s_and_not1_saveexec_b32 s7, s7
; %bb.1361:
	v_add_f32_e64 v8, 0x43000000, |v5|
; %bb.1362:
	s_or_b32 exec_lo, exec_lo, s7
                                        ; implicit-def: $vgpr9
.LBB234_1363:
	s_and_not1_saveexec_b32 s6, s6
; %bb.1364:
	v_mov_b32_e32 v8, 0x7f
	v_cmp_lt_u32_e32 vcc_lo, 0x7f800000, v9
	s_delay_alu instid0(VALU_DEP_2)
	v_cndmask_b32_e32 v8, 0x7c, v8, vcc_lo
; %bb.1365:
	s_or_b32 exec_lo, exec_lo, s6
	v_lshrrev_b32_e32 v5, 24, v5
	s_delay_alu instid0(VALU_DEP_1)
	v_and_or_b32 v30, 0x80, v5, v8
.LBB234_1366:
	s_or_b32 exec_lo, exec_lo, s5
                                        ; implicit-def: $vgpr8_vgpr9
.LBB234_1367:
	s_and_not1_saveexec_b32 s4, s4
	s_cbranch_execz .LBB234_1377
; %bb.1368:
	flat_load_u16 v5, v[8:9]
	s_mov_b32 s5, exec_lo
                                        ; implicit-def: $vgpr8
	s_wait_loadcnt_dscnt 0x0
	v_cvt_f32_f16_e32 v5, v5
	s_wait_xcnt 0x0
	s_delay_alu instid0(VALU_DEP_1) | instskip(NEXT) | instid1(VALU_DEP_1)
	v_and_b32_e32 v9, 0x7fffffff, v5
	v_cmpx_gt_u32_e32 0x47800000, v9
	s_xor_b32 s5, exec_lo, s5
	s_cbranch_execz .LBB234_1374
; %bb.1369:
	s_mov_b32 s6, exec_lo
                                        ; implicit-def: $vgpr8
	v_cmpx_lt_u32_e32 0x387fffff, v9
	s_xor_b32 s6, exec_lo, s6
; %bb.1370:
	v_bfe_u32 v8, v5, 21, 1
	s_delay_alu instid0(VALU_DEP_1) | instskip(NEXT) | instid1(VALU_DEP_1)
	v_add3_u32 v8, v5, v8, 0x80fffff
	v_lshrrev_b32_e32 v8, 21, v8
; %bb.1371:
	s_and_not1_saveexec_b32 s6, s6
; %bb.1372:
	v_add_f32_e64 v8, 0x43000000, |v5|
; %bb.1373:
	s_or_b32 exec_lo, exec_lo, s6
                                        ; implicit-def: $vgpr9
.LBB234_1374:
	s_and_not1_saveexec_b32 s5, s5
; %bb.1375:
	v_mov_b32_e32 v8, 0x7f
	v_cmp_lt_u32_e32 vcc_lo, 0x7f800000, v9
	s_delay_alu instid0(VALU_DEP_2)
	v_cndmask_b32_e32 v8, 0x7c, v8, vcc_lo
; %bb.1376:
	s_or_b32 exec_lo, exec_lo, s5
	v_lshrrev_b32_e32 v5, 24, v5
	s_delay_alu instid0(VALU_DEP_1)
	v_and_or_b32 v30, 0x80, v5, v8
.LBB234_1377:
	s_or_b32 exec_lo, exec_lo, s4
.LBB234_1378:
	s_delay_alu instid0(SALU_CYCLE_1)
	s_or_b32 exec_lo, exec_lo, s3
                                        ; implicit-def: $vgpr8_vgpr9
.LBB234_1379:
	s_and_not1_saveexec_b32 s2, s2
	s_cbranch_execz .LBB234_1437
; %bb.1380:
	s_mov_b32 s3, exec_lo
                                        ; implicit-def: $vgpr30
	v_cmpx_lt_i16_e32 1, v3
	s_xor_b32 s3, exec_lo, s3
	s_cbranch_execz .LBB234_1414
; %bb.1381:
	s_mov_b32 s4, exec_lo
                                        ; implicit-def: $vgpr30
	v_cmpx_lt_i16_e32 2, v3
	s_xor_b32 s4, exec_lo, s4
	;; [unrolled: 6-line block ×3, first 2 shown]
	s_cbranch_execz .LBB234_1392
; %bb.1383:
	flat_load_b64 v[8:9], v[8:9]
	s_mov_b32 s6, exec_lo
	s_wait_loadcnt_dscnt 0x0
	v_xor_b32_e32 v5, v8, v9
	v_cls_i32_e32 v10, v9
	s_delay_alu instid0(VALU_DEP_2) | instskip(NEXT) | instid1(VALU_DEP_1)
	v_ashrrev_i32_e32 v5, 31, v5
	v_add_nc_u32_e32 v5, 32, v5
	s_delay_alu instid0(VALU_DEP_1) | instskip(SKIP_1) | instid1(VALU_DEP_1)
	v_add_min_u32_e64 v5, v10, -1, v5
	s_wait_xcnt 0x0
	v_lshlrev_b64_e32 v[8:9], v5, v[8:9]
	v_sub_nc_u32_e32 v5, 32, v5
	s_delay_alu instid0(VALU_DEP_2) | instskip(NEXT) | instid1(VALU_DEP_1)
	v_min_u32_e32 v8, 1, v8
	v_or_b32_e32 v8, v9, v8
	s_delay_alu instid0(VALU_DEP_1) | instskip(NEXT) | instid1(VALU_DEP_1)
	v_cvt_f32_i32_e32 v8, v8
	v_ldexp_f32 v5, v8, v5
                                        ; implicit-def: $vgpr8
	s_delay_alu instid0(VALU_DEP_1) | instskip(NEXT) | instid1(VALU_DEP_1)
	v_and_b32_e32 v9, 0x7fffffff, v5
	v_cmpx_gt_u32_e32 0x47800000, v9
	s_xor_b32 s6, exec_lo, s6
	s_cbranch_execz .LBB234_1389
; %bb.1384:
	s_mov_b32 s7, exec_lo
                                        ; implicit-def: $vgpr8
	v_cmpx_lt_u32_e32 0x387fffff, v9
	s_xor_b32 s7, exec_lo, s7
; %bb.1385:
	v_bfe_u32 v8, v5, 21, 1
	s_delay_alu instid0(VALU_DEP_1) | instskip(NEXT) | instid1(VALU_DEP_1)
	v_add3_u32 v8, v5, v8, 0x80fffff
	v_lshrrev_b32_e32 v8, 21, v8
; %bb.1386:
	s_and_not1_saveexec_b32 s7, s7
; %bb.1387:
	v_add_f32_e64 v8, 0x43000000, |v5|
; %bb.1388:
	s_or_b32 exec_lo, exec_lo, s7
                                        ; implicit-def: $vgpr9
.LBB234_1389:
	s_and_not1_saveexec_b32 s6, s6
; %bb.1390:
	v_mov_b32_e32 v8, 0x7f
	v_cmp_lt_u32_e32 vcc_lo, 0x7f800000, v9
	s_delay_alu instid0(VALU_DEP_2)
	v_cndmask_b32_e32 v8, 0x7c, v8, vcc_lo
; %bb.1391:
	s_or_b32 exec_lo, exec_lo, s6
	v_lshrrev_b32_e32 v5, 24, v5
	s_delay_alu instid0(VALU_DEP_1)
	v_and_or_b32 v30, 0x80, v5, v8
                                        ; implicit-def: $vgpr8_vgpr9
.LBB234_1392:
	s_and_not1_saveexec_b32 s5, s5
	s_cbranch_execz .LBB234_1402
; %bb.1393:
	flat_load_b32 v5, v[8:9]
	s_mov_b32 s6, exec_lo
                                        ; implicit-def: $vgpr8
	s_wait_loadcnt_dscnt 0x0
	v_cvt_f32_i32_e32 v5, v5
	s_wait_xcnt 0x0
	s_delay_alu instid0(VALU_DEP_1) | instskip(NEXT) | instid1(VALU_DEP_1)
	v_and_b32_e32 v9, 0x7fffffff, v5
	v_cmpx_gt_u32_e32 0x47800000, v9
	s_xor_b32 s6, exec_lo, s6
	s_cbranch_execz .LBB234_1399
; %bb.1394:
	s_mov_b32 s7, exec_lo
                                        ; implicit-def: $vgpr8
	v_cmpx_lt_u32_e32 0x387fffff, v9
	s_xor_b32 s7, exec_lo, s7
; %bb.1395:
	v_bfe_u32 v8, v5, 21, 1
	s_delay_alu instid0(VALU_DEP_1) | instskip(NEXT) | instid1(VALU_DEP_1)
	v_add3_u32 v8, v5, v8, 0x80fffff
	v_lshrrev_b32_e32 v8, 21, v8
; %bb.1396:
	s_and_not1_saveexec_b32 s7, s7
; %bb.1397:
	v_add_f32_e64 v8, 0x43000000, |v5|
; %bb.1398:
	s_or_b32 exec_lo, exec_lo, s7
                                        ; implicit-def: $vgpr9
.LBB234_1399:
	s_and_not1_saveexec_b32 s6, s6
; %bb.1400:
	v_mov_b32_e32 v8, 0x7f
	v_cmp_lt_u32_e32 vcc_lo, 0x7f800000, v9
	s_delay_alu instid0(VALU_DEP_2)
	v_cndmask_b32_e32 v8, 0x7c, v8, vcc_lo
; %bb.1401:
	s_or_b32 exec_lo, exec_lo, s6
	v_lshrrev_b32_e32 v5, 24, v5
	s_delay_alu instid0(VALU_DEP_1)
	v_and_or_b32 v30, 0x80, v5, v8
.LBB234_1402:
	s_or_b32 exec_lo, exec_lo, s5
                                        ; implicit-def: $vgpr8_vgpr9
.LBB234_1403:
	s_and_not1_saveexec_b32 s4, s4
	s_cbranch_execz .LBB234_1413
; %bb.1404:
	flat_load_i16 v5, v[8:9]
	s_mov_b32 s5, exec_lo
                                        ; implicit-def: $vgpr8
	s_wait_loadcnt_dscnt 0x0
	v_cvt_f32_i32_e32 v5, v5
	s_wait_xcnt 0x0
	s_delay_alu instid0(VALU_DEP_1) | instskip(NEXT) | instid1(VALU_DEP_1)
	v_and_b32_e32 v9, 0x7fffffff, v5
	v_cmpx_gt_u32_e32 0x47800000, v9
	s_xor_b32 s5, exec_lo, s5
	s_cbranch_execz .LBB234_1410
; %bb.1405:
	s_mov_b32 s6, exec_lo
                                        ; implicit-def: $vgpr8
	v_cmpx_lt_u32_e32 0x387fffff, v9
	s_xor_b32 s6, exec_lo, s6
; %bb.1406:
	v_bfe_u32 v8, v5, 21, 1
	s_delay_alu instid0(VALU_DEP_1) | instskip(NEXT) | instid1(VALU_DEP_1)
	v_add3_u32 v8, v5, v8, 0x80fffff
	v_lshrrev_b32_e32 v8, 21, v8
; %bb.1407:
	s_and_not1_saveexec_b32 s6, s6
; %bb.1408:
	v_add_f32_e64 v8, 0x43000000, |v5|
; %bb.1409:
	s_or_b32 exec_lo, exec_lo, s6
                                        ; implicit-def: $vgpr9
.LBB234_1410:
	s_and_not1_saveexec_b32 s5, s5
; %bb.1411:
	v_mov_b32_e32 v8, 0x7f
	v_cmp_lt_u32_e32 vcc_lo, 0x7f800000, v9
	s_delay_alu instid0(VALU_DEP_2)
	v_cndmask_b32_e32 v8, 0x7c, v8, vcc_lo
; %bb.1412:
	s_or_b32 exec_lo, exec_lo, s5
	v_lshrrev_b32_e32 v5, 24, v5
	s_delay_alu instid0(VALU_DEP_1)
	v_and_or_b32 v30, 0x80, v5, v8
.LBB234_1413:
	s_or_b32 exec_lo, exec_lo, s4
                                        ; implicit-def: $vgpr8_vgpr9
.LBB234_1414:
	s_and_not1_saveexec_b32 s3, s3
	s_cbranch_execz .LBB234_1436
; %bb.1415:
	s_mov_b32 s4, exec_lo
                                        ; implicit-def: $vgpr30
	v_cmpx_lt_i16_e32 0, v3
	s_xor_b32 s4, exec_lo, s4
	s_cbranch_execz .LBB234_1425
; %bb.1416:
	flat_load_i8 v5, v[8:9]
	s_mov_b32 s5, exec_lo
                                        ; implicit-def: $vgpr8
	s_wait_loadcnt_dscnt 0x0
	v_cvt_f32_i32_e32 v5, v5
	s_wait_xcnt 0x0
	s_delay_alu instid0(VALU_DEP_1) | instskip(NEXT) | instid1(VALU_DEP_1)
	v_and_b32_e32 v9, 0x7fffffff, v5
	v_cmpx_gt_u32_e32 0x47800000, v9
	s_xor_b32 s5, exec_lo, s5
	s_cbranch_execz .LBB234_1422
; %bb.1417:
	s_mov_b32 s6, exec_lo
                                        ; implicit-def: $vgpr8
	v_cmpx_lt_u32_e32 0x387fffff, v9
	s_xor_b32 s6, exec_lo, s6
; %bb.1418:
	v_bfe_u32 v8, v5, 21, 1
	s_delay_alu instid0(VALU_DEP_1) | instskip(NEXT) | instid1(VALU_DEP_1)
	v_add3_u32 v8, v5, v8, 0x80fffff
	v_lshrrev_b32_e32 v8, 21, v8
; %bb.1419:
	s_and_not1_saveexec_b32 s6, s6
; %bb.1420:
	v_add_f32_e64 v8, 0x43000000, |v5|
; %bb.1421:
	s_or_b32 exec_lo, exec_lo, s6
                                        ; implicit-def: $vgpr9
.LBB234_1422:
	s_and_not1_saveexec_b32 s5, s5
; %bb.1423:
	v_mov_b32_e32 v8, 0x7f
	v_cmp_lt_u32_e32 vcc_lo, 0x7f800000, v9
	s_delay_alu instid0(VALU_DEP_2)
	v_cndmask_b32_e32 v8, 0x7c, v8, vcc_lo
; %bb.1424:
	s_or_b32 exec_lo, exec_lo, s5
	v_lshrrev_b32_e32 v5, 24, v5
	s_delay_alu instid0(VALU_DEP_1)
	v_and_or_b32 v30, 0x80, v5, v8
                                        ; implicit-def: $vgpr8_vgpr9
.LBB234_1425:
	s_and_not1_saveexec_b32 s4, s4
	s_cbranch_execz .LBB234_1435
; %bb.1426:
	flat_load_u8 v5, v[8:9]
	s_mov_b32 s5, exec_lo
                                        ; implicit-def: $vgpr30
	s_wait_loadcnt_dscnt 0x0
	v_cvt_f32_ubyte0_e32 v5, v5
	s_wait_xcnt 0x0
	s_delay_alu instid0(VALU_DEP_1)
	v_cmpx_gt_u32_e32 0x47800000, v5
	s_xor_b32 s5, exec_lo, s5
	s_cbranch_execz .LBB234_1432
; %bb.1427:
	s_mov_b32 s6, exec_lo
                                        ; implicit-def: $vgpr30
	v_cmpx_lt_u32_e32 0x387fffff, v5
	s_xor_b32 s6, exec_lo, s6
; %bb.1428:
	v_bfe_u32 v8, v5, 21, 1
	s_delay_alu instid0(VALU_DEP_1) | instskip(NEXT) | instid1(VALU_DEP_1)
	v_add3_u32 v5, v5, v8, 0x80fffff
	v_lshrrev_b32_e32 v30, 21, v5
                                        ; implicit-def: $vgpr5
; %bb.1429:
	s_and_not1_saveexec_b32 s6, s6
; %bb.1430:
	v_add_f32_e32 v30, 0x43000000, v5
; %bb.1431:
	s_or_b32 exec_lo, exec_lo, s6
                                        ; implicit-def: $vgpr5
.LBB234_1432:
	s_and_not1_saveexec_b32 s5, s5
; %bb.1433:
	v_mov_b32_e32 v8, 0x7f
	v_cmp_lt_u32_e32 vcc_lo, 0x7f800000, v5
	s_delay_alu instid0(VALU_DEP_2)
	v_cndmask_b32_e32 v30, 0x7c, v8, vcc_lo
; %bb.1434:
	s_or_b32 exec_lo, exec_lo, s5
.LBB234_1435:
	s_delay_alu instid0(SALU_CYCLE_1)
	s_or_b32 exec_lo, exec_lo, s4
.LBB234_1436:
	s_delay_alu instid0(SALU_CYCLE_1)
	s_or_b32 exec_lo, exec_lo, s3
.LBB234_1437:
	s_delay_alu instid0(SALU_CYCLE_1) | instskip(NEXT) | instid1(SALU_CYCLE_1)
	s_or_b32 exec_lo, exec_lo, s2
	s_or_b32 s1, s1, exec_lo
.LBB234_1438:
	s_or_b32 exec_lo, exec_lo, s0
	s_mov_b32 s0, 0
	s_mov_b32 s2, 0
	;; [unrolled: 1-line block ×3, first 2 shown]
                                        ; implicit-def: $sgpr3
                                        ; implicit-def: $vgpr22_vgpr23
                                        ; implicit-def: $vgpr5
	s_and_saveexec_b32 s23, s1
	s_cbranch_execz .LBB234_2188
; %bb.1439:
	v_mov_b32_e32 v5, 0
	s_mov_b32 s1, 0
	s_mov_b32 s24, s22
	s_mov_b32 s0, exec_lo
	s_delay_alu instid0(VALU_DEP_1)
	v_add_nc_u64_e32 v[4:5], v[18:19], v[4:5]
                                        ; implicit-def: $vgpr18
	v_cmpx_lt_i16_e32 10, v1
	s_xor_b32 s0, exec_lo, s0
	s_cbranch_execz .LBB234_1534
; %bb.1440:
	s_mov_b32 s3, 0
	s_mov_b32 s2, exec_lo
                                        ; implicit-def: $vgpr18
	v_cmpx_lt_i16_e32 25, v1
	s_xor_b32 s2, exec_lo, s2
	s_cbranch_execz .LBB234_2529
; %bb.1441:
	s_mov_b32 s5, 0
	s_mov_b32 s3, exec_lo
                                        ; implicit-def: $vgpr18
	v_cmpx_lt_i16_e32 28, v1
	s_xor_b32 s3, exec_lo, s3
	s_cbranch_execz .LBB234_1481
; %bb.1442:
	s_mov_b32 s6, 0
	s_mov_b32 s7, 0
	s_mov_b32 s4, exec_lo
                                        ; implicit-def: $vgpr18
	v_cmpx_lt_i16_e32 43, v1
	s_xor_b32 s4, exec_lo, s4
	s_cbranch_execz .LBB234_1468
; %bb.1443:
	s_mov_b32 s7, exec_lo
                                        ; implicit-def: $vgpr18
	v_cmpx_lt_i16_e32 45, v1
	s_xor_b32 s7, exec_lo, s7
	s_cbranch_execz .LBB234_1455
; %bb.1444:
	s_mov_b32 s8, -1
	s_mov_b32 s5, exec_lo
                                        ; implicit-def: $vgpr18
	v_cmpx_eq_u16_e32 46, v1
	s_cbranch_execz .LBB234_1454
; %bb.1445:
	flat_load_b32 v1, v[4:5]
	s_mov_b32 s6, exec_lo
                                        ; implicit-def: $vgpr8
	s_wait_loadcnt_dscnt 0x0
	v_lshlrev_b32_e32 v1, 16, v1
	s_delay_alu instid0(VALU_DEP_1) | instskip(SKIP_1) | instid1(VALU_DEP_1)
	v_and_b32_e32 v9, 0x7fffffff, v1
	s_wait_xcnt 0x0
	v_cmpx_gt_u32_e32 0x47800000, v9
	s_xor_b32 s6, exec_lo, s6
	s_cbranch_execz .LBB234_1451
; %bb.1446:
	s_mov_b32 s8, exec_lo
                                        ; implicit-def: $vgpr8
	v_cmpx_lt_u32_e32 0x387fffff, v9
	s_xor_b32 s8, exec_lo, s8
; %bb.1447:
	v_bfe_u32 v8, v1, 21, 1
	s_delay_alu instid0(VALU_DEP_1) | instskip(NEXT) | instid1(VALU_DEP_1)
	v_add3_u32 v8, v1, v8, 0x80fffff
	v_lshrrev_b32_e32 v8, 21, v8
; %bb.1448:
	s_and_not1_saveexec_b32 s8, s8
; %bb.1449:
	v_add_f32_e64 v8, 0x43000000, |v1|
; %bb.1450:
	s_or_b32 exec_lo, exec_lo, s8
                                        ; implicit-def: $vgpr9
.LBB234_1451:
	s_and_not1_saveexec_b32 s6, s6
; %bb.1452:
	v_mov_b32_e32 v8, 0x7f
	v_cmp_lt_u32_e32 vcc_lo, 0x7f800000, v9
	s_delay_alu instid0(VALU_DEP_2)
	v_cndmask_b32_e32 v8, 0x7c, v8, vcc_lo
; %bb.1453:
	s_or_b32 exec_lo, exec_lo, s6
	v_lshrrev_b32_e32 v1, 24, v1
	s_mov_b32 s6, exec_lo
	s_xor_b32 s8, exec_lo, -1
	s_delay_alu instid0(VALU_DEP_1)
	v_and_or_b32 v18, 0x80, v1, v8
.LBB234_1454:
	s_or_b32 exec_lo, exec_lo, s5
	s_delay_alu instid0(SALU_CYCLE_1)
	s_and_b32 s6, s6, exec_lo
	s_and_b32 s5, s8, exec_lo
                                        ; implicit-def: $vgpr1
.LBB234_1455:
	s_and_not1_saveexec_b32 s7, s7
	s_cbranch_execz .LBB234_1467
; %bb.1456:
	s_mov_b32 s9, -1
	s_mov_b32 s10, s6
	s_mov_b32 s8, exec_lo
                                        ; implicit-def: $vgpr18
	v_cmpx_eq_u16_e32 44, v1
	s_cbranch_execz .LBB234_1466
; %bb.1457:
	flat_load_u8 v1, v[4:5]
	s_mov_b32 s9, exec_lo
                                        ; implicit-def: $vgpr18
	s_wait_loadcnt_dscnt 0x0
	v_lshlrev_b32_e32 v8, 23, v1
	v_cmp_ne_u32_e32 vcc_lo, 0xff, v1
	s_delay_alu instid0(VALU_DEP_2) | instskip(SKIP_1) | instid1(VALU_DEP_2)
	v_cndmask_b32_e32 v8, 0x7f800001, v8, vcc_lo
	v_cmp_ne_u32_e32 vcc_lo, 0, v1
	v_cndmask_b32_e32 v1, 0x400000, v8, vcc_lo
	s_wait_xcnt 0x0
	s_delay_alu instid0(VALU_DEP_1)
	v_cmpx_gt_u32_e32 0x47800000, v1
	s_xor_b32 s9, exec_lo, s9
	s_cbranch_execz .LBB234_1463
; %bb.1458:
	s_mov_b32 s10, exec_lo
                                        ; implicit-def: $vgpr18
	v_cmpx_lt_u32_e32 0x387fffff, v1
	s_xor_b32 s10, exec_lo, s10
; %bb.1459:
	v_bfe_u32 v8, v1, 21, 1
	s_delay_alu instid0(VALU_DEP_1) | instskip(NEXT) | instid1(VALU_DEP_1)
	v_add3_u32 v1, v1, v8, 0x80fffff
	v_lshrrev_b32_e32 v18, 21, v1
                                        ; implicit-def: $vgpr1
; %bb.1460:
	s_and_not1_saveexec_b32 s10, s10
; %bb.1461:
	v_add_f32_e32 v18, 0x43000000, v1
; %bb.1462:
	s_or_b32 exec_lo, exec_lo, s10
                                        ; implicit-def: $vgpr1
.LBB234_1463:
	s_and_not1_saveexec_b32 s9, s9
; %bb.1464:
	v_mov_b32_e32 v8, 0x7f
	v_cmp_lt_u32_e32 vcc_lo, 0x7f800000, v1
	s_delay_alu instid0(VALU_DEP_2)
	v_cndmask_b32_e32 v18, 0x7c, v8, vcc_lo
; %bb.1465:
	s_or_b32 exec_lo, exec_lo, s9
	s_delay_alu instid0(SALU_CYCLE_1)
	s_or_b32 s10, s6, exec_lo
	s_xor_b32 s9, exec_lo, -1
.LBB234_1466:
	s_or_b32 exec_lo, exec_lo, s8
	s_delay_alu instid0(SALU_CYCLE_1)
	s_and_not1_b32 s6, s6, exec_lo
	s_and_b32 s8, s10, exec_lo
	s_and_not1_b32 s5, s5, exec_lo
	s_and_b32 s9, s9, exec_lo
	s_or_b32 s6, s6, s8
	s_or_b32 s5, s5, s9
.LBB234_1467:
	s_or_b32 exec_lo, exec_lo, s7
	s_delay_alu instid0(SALU_CYCLE_1)
	s_and_b32 s7, s6, exec_lo
	s_and_b32 s6, s5, exec_lo
                                        ; implicit-def: $vgpr1
.LBB234_1468:
	s_and_not1_saveexec_b32 s4, s4
	s_cbranch_execz .LBB234_1480
; %bb.1469:
	s_mov_b32 s8, -1
	s_mov_b32 s9, s7
	s_mov_b32 s5, exec_lo
                                        ; implicit-def: $vgpr18
	v_cmpx_eq_u16_e32 29, v1
	s_cbranch_execz .LBB234_1479
; %bb.1470:
	flat_load_b64 v[8:9], v[4:5]
	s_mov_b32 s8, exec_lo
                                        ; implicit-def: $vgpr18
	s_wait_loadcnt_dscnt 0x0
	v_clz_i32_u32_e32 v1, v9
	s_delay_alu instid0(VALU_DEP_1) | instskip(NEXT) | instid1(VALU_DEP_1)
	v_min_u32_e32 v1, 32, v1
	v_lshlrev_b64_e32 v[8:9], v1, v[8:9]
	v_sub_nc_u32_e32 v1, 32, v1
	s_delay_alu instid0(VALU_DEP_2) | instskip(NEXT) | instid1(VALU_DEP_1)
	v_min_u32_e32 v8, 1, v8
	v_or_b32_e32 v8, v9, v8
	s_delay_alu instid0(VALU_DEP_1) | instskip(NEXT) | instid1(VALU_DEP_1)
	v_cvt_f32_u32_e32 v8, v8
	v_ldexp_f32 v1, v8, v1
	s_wait_xcnt 0x0
	s_delay_alu instid0(VALU_DEP_1)
	v_cmpx_gt_u32_e32 0x47800000, v1
	s_xor_b32 s8, exec_lo, s8
	s_cbranch_execz .LBB234_1476
; %bb.1471:
	s_mov_b32 s9, exec_lo
                                        ; implicit-def: $vgpr18
	v_cmpx_lt_u32_e32 0x387fffff, v1
	s_xor_b32 s9, exec_lo, s9
; %bb.1472:
	v_bfe_u32 v8, v1, 21, 1
	s_delay_alu instid0(VALU_DEP_1) | instskip(NEXT) | instid1(VALU_DEP_1)
	v_add3_u32 v1, v1, v8, 0x80fffff
	v_lshrrev_b32_e32 v18, 21, v1
                                        ; implicit-def: $vgpr1
; %bb.1473:
	s_and_not1_saveexec_b32 s9, s9
; %bb.1474:
	v_add_f32_e32 v18, 0x43000000, v1
; %bb.1475:
	s_or_b32 exec_lo, exec_lo, s9
                                        ; implicit-def: $vgpr1
.LBB234_1476:
	s_and_not1_saveexec_b32 s8, s8
; %bb.1477:
	v_mov_b32_e32 v8, 0x7f
	v_cmp_lt_u32_e32 vcc_lo, 0x7f800000, v1
	s_delay_alu instid0(VALU_DEP_2)
	v_cndmask_b32_e32 v18, 0x7c, v8, vcc_lo
; %bb.1478:
	s_or_b32 exec_lo, exec_lo, s8
	s_delay_alu instid0(SALU_CYCLE_1)
	s_or_b32 s9, s7, exec_lo
	s_xor_b32 s8, exec_lo, -1
.LBB234_1479:
	s_or_b32 exec_lo, exec_lo, s5
	s_delay_alu instid0(SALU_CYCLE_1)
	s_and_not1_b32 s5, s7, exec_lo
	s_and_b32 s7, s9, exec_lo
	s_and_not1_b32 s6, s6, exec_lo
	s_and_b32 s8, s8, exec_lo
	s_or_b32 s7, s5, s7
	s_or_b32 s6, s6, s8
.LBB234_1480:
	s_or_b32 exec_lo, exec_lo, s4
	s_delay_alu instid0(SALU_CYCLE_1)
	s_and_b32 s5, s7, exec_lo
	s_and_b32 s4, s6, exec_lo
                                        ; implicit-def: $vgpr1
.LBB234_1481:
	s_and_not1_saveexec_b32 s3, s3
	s_cbranch_execz .LBB234_1521
; %bb.1482:
	s_mov_b32 s6, exec_lo
                                        ; implicit-def: $vgpr18
	v_cmpx_lt_i16_e32 26, v1
	s_xor_b32 s6, exec_lo, s6
	s_cbranch_execz .LBB234_1504
; %bb.1483:
	s_mov_b32 s7, exec_lo
                                        ; implicit-def: $vgpr18
	v_cmpx_lt_i16_e32 27, v1
	s_xor_b32 s7, exec_lo, s7
	s_cbranch_execz .LBB234_1493
; %bb.1484:
	flat_load_b32 v1, v[4:5]
	s_mov_b32 s8, exec_lo
                                        ; implicit-def: $vgpr18
	s_wait_loadcnt_dscnt 0x0
	v_cvt_f32_u32_e32 v1, v1
	s_wait_xcnt 0x0
	s_delay_alu instid0(VALU_DEP_1)
	v_cmpx_gt_u32_e32 0x47800000, v1
	s_xor_b32 s8, exec_lo, s8
	s_cbranch_execz .LBB234_1490
; %bb.1485:
	s_mov_b32 s9, exec_lo
                                        ; implicit-def: $vgpr18
	v_cmpx_lt_u32_e32 0x387fffff, v1
	s_xor_b32 s9, exec_lo, s9
; %bb.1486:
	v_bfe_u32 v8, v1, 21, 1
	s_delay_alu instid0(VALU_DEP_1) | instskip(NEXT) | instid1(VALU_DEP_1)
	v_add3_u32 v1, v1, v8, 0x80fffff
	v_lshrrev_b32_e32 v18, 21, v1
                                        ; implicit-def: $vgpr1
; %bb.1487:
	s_and_not1_saveexec_b32 s9, s9
; %bb.1488:
	v_add_f32_e32 v18, 0x43000000, v1
; %bb.1489:
	s_or_b32 exec_lo, exec_lo, s9
                                        ; implicit-def: $vgpr1
.LBB234_1490:
	s_and_not1_saveexec_b32 s8, s8
; %bb.1491:
	v_mov_b32_e32 v8, 0x7f
	v_cmp_lt_u32_e32 vcc_lo, 0x7f800000, v1
	s_delay_alu instid0(VALU_DEP_2)
	v_cndmask_b32_e32 v18, 0x7c, v8, vcc_lo
; %bb.1492:
	s_or_b32 exec_lo, exec_lo, s8
.LBB234_1493:
	s_and_not1_saveexec_b32 s7, s7
	s_cbranch_execz .LBB234_1503
; %bb.1494:
	flat_load_u16 v1, v[4:5]
	s_mov_b32 s8, exec_lo
                                        ; implicit-def: $vgpr18
	s_wait_loadcnt_dscnt 0x0
	v_cvt_f32_u32_e32 v1, v1
	s_wait_xcnt 0x0
	s_delay_alu instid0(VALU_DEP_1)
	v_cmpx_gt_u32_e32 0x47800000, v1
	s_xor_b32 s8, exec_lo, s8
	s_cbranch_execz .LBB234_1500
; %bb.1495:
	s_mov_b32 s9, exec_lo
                                        ; implicit-def: $vgpr18
	v_cmpx_lt_u32_e32 0x387fffff, v1
	s_xor_b32 s9, exec_lo, s9
; %bb.1496:
	v_bfe_u32 v8, v1, 21, 1
	s_delay_alu instid0(VALU_DEP_1) | instskip(NEXT) | instid1(VALU_DEP_1)
	v_add3_u32 v1, v1, v8, 0x80fffff
	v_lshrrev_b32_e32 v18, 21, v1
                                        ; implicit-def: $vgpr1
; %bb.1497:
	s_and_not1_saveexec_b32 s9, s9
; %bb.1498:
	v_add_f32_e32 v18, 0x43000000, v1
; %bb.1499:
	s_or_b32 exec_lo, exec_lo, s9
                                        ; implicit-def: $vgpr1
.LBB234_1500:
	s_and_not1_saveexec_b32 s8, s8
; %bb.1501:
	v_mov_b32_e32 v8, 0x7f
	v_cmp_lt_u32_e32 vcc_lo, 0x7f800000, v1
	s_delay_alu instid0(VALU_DEP_2)
	v_cndmask_b32_e32 v18, 0x7c, v8, vcc_lo
; %bb.1502:
	s_or_b32 exec_lo, exec_lo, s8
.LBB234_1503:
	s_delay_alu instid0(SALU_CYCLE_1)
	s_or_b32 exec_lo, exec_lo, s7
.LBB234_1504:
	s_and_not1_saveexec_b32 s6, s6
	s_cbranch_execz .LBB234_1520
; %bb.1505:
	flat_load_u8 v8, v[4:5]
	s_mov_b32 s7, 0
	s_mov_b32 s8, exec_lo
	s_wait_loadcnt_dscnt 0x0
	v_cmpx_lt_i16_e32 0x7f, v8
	s_xor_b32 s8, exec_lo, s8
	s_cbranch_execz .LBB234_2694
; %bb.1506:
	s_mov_b32 s7, -1
	s_mov_b32 s9, exec_lo
	v_cmpx_eq_u16_e32 0x80, v8
; %bb.1507:
	s_xor_b32 s7, exec_lo, -1
; %bb.1508:
	s_or_b32 exec_lo, exec_lo, s9
	s_delay_alu instid0(SALU_CYCLE_1)
	s_and_b32 s7, s7, exec_lo
	s_or_saveexec_b32 s8, s8
	v_mov_b32_e32 v1, 0x7f800001
	s_xor_b32 exec_lo, exec_lo, s8
	s_cbranch_execnz .LBB234_2695
.LBB234_1509:
	s_or_b32 exec_lo, exec_lo, s8
	s_and_saveexec_b32 s8, s7
	s_cbranch_execz .LBB234_1511
.LBB234_1510:
	v_and_b32_e32 v1, 0xffff, v8
	s_delay_alu instid0(VALU_DEP_1) | instskip(SKIP_1) | instid1(VALU_DEP_2)
	v_and_b32_e32 v9, 7, v1
	v_bfe_u32 v12, v1, 3, 4
	v_clz_i32_u32_e32 v10, v9
	s_delay_alu instid0(VALU_DEP_2) | instskip(NEXT) | instid1(VALU_DEP_2)
	v_cmp_eq_u32_e32 vcc_lo, 0, v12
	v_min_u32_e32 v10, 32, v10
	s_delay_alu instid0(VALU_DEP_1) | instskip(NEXT) | instid1(VALU_DEP_1)
	v_subrev_nc_u32_e32 v11, 28, v10
	v_dual_lshlrev_b32 v1, v11, v1 :: v_dual_sub_nc_u32 v10, 29, v10
	s_delay_alu instid0(VALU_DEP_1) | instskip(NEXT) | instid1(VALU_DEP_1)
	v_dual_lshlrev_b32 v8, 24, v8 :: v_dual_bitop2_b32 v1, 7, v1 bitop3:0x40
	v_dual_cndmask_b32 v10, v12, v10 :: v_dual_cndmask_b32 v1, v9, v1
	s_delay_alu instid0(VALU_DEP_2) | instskip(NEXT) | instid1(VALU_DEP_2)
	v_and_b32_e32 v8, 0x80000000, v8
	v_lshl_add_u32 v9, v10, 23, 0x3b800000
	s_delay_alu instid0(VALU_DEP_3) | instskip(NEXT) | instid1(VALU_DEP_1)
	v_lshlrev_b32_e32 v1, 20, v1
	v_or3_b32 v1, v8, v9, v1
.LBB234_1511:
	s_or_b32 exec_lo, exec_lo, s8
	s_delay_alu instid0(VALU_DEP_1) | instskip(SKIP_1) | instid1(VALU_DEP_1)
	v_and_b32_e32 v9, 0x7fffffff, v1
	s_mov_b32 s7, exec_lo
                                        ; implicit-def: $vgpr8
	v_cmpx_gt_u32_e32 0x47800000, v9
	s_xor_b32 s7, exec_lo, s7
	s_cbranch_execz .LBB234_1517
; %bb.1512:
	s_mov_b32 s8, exec_lo
                                        ; implicit-def: $vgpr8
	v_cmpx_lt_u32_e32 0x387fffff, v9
	s_xor_b32 s8, exec_lo, s8
; %bb.1513:
	v_bfe_u32 v8, v1, 21, 1
	s_delay_alu instid0(VALU_DEP_1) | instskip(NEXT) | instid1(VALU_DEP_1)
	v_add3_u32 v8, v1, v8, 0x80fffff
	v_lshrrev_b32_e32 v8, 21, v8
; %bb.1514:
	s_and_not1_saveexec_b32 s8, s8
; %bb.1515:
	v_add_f32_e64 v8, 0x43000000, |v1|
; %bb.1516:
	s_or_b32 exec_lo, exec_lo, s8
                                        ; implicit-def: $vgpr9
.LBB234_1517:
	s_and_not1_saveexec_b32 s7, s7
; %bb.1518:
	v_mov_b32_e32 v8, 0x7f
	v_cmp_lt_u32_e32 vcc_lo, 0x7f800000, v9
	s_delay_alu instid0(VALU_DEP_2)
	v_cndmask_b32_e32 v8, 0x7c, v8, vcc_lo
; %bb.1519:
	s_or_b32 exec_lo, exec_lo, s7
	v_lshrrev_b32_e32 v1, 24, v1
	s_delay_alu instid0(VALU_DEP_1)
	v_and_or_b32 v18, 0x80, v1, v8
.LBB234_1520:
	s_or_b32 exec_lo, exec_lo, s6
	s_delay_alu instid0(SALU_CYCLE_1)
	s_or_b32 s5, s5, exec_lo
.LBB234_1521:
	s_or_b32 exec_lo, exec_lo, s3
	s_delay_alu instid0(SALU_CYCLE_1)
	s_and_b32 s3, s5, exec_lo
	s_and_b32 s4, s4, exec_lo
                                        ; implicit-def: $vgpr1
	s_and_not1_saveexec_b32 s2, s2
	s_cbranch_execnz .LBB234_2530
.LBB234_1522:
	s_or_b32 exec_lo, exec_lo, s2
	s_mov_b32 s2, s22
	s_and_saveexec_b32 s5, s4
	s_cbranch_execnz .LBB234_2579
.LBB234_1523:
	s_or_b32 exec_lo, exec_lo, s5
	s_and_saveexec_b32 s4, s1
	s_cbranch_execz .LBB234_1533
.LBB234_1524:
	flat_load_u8 v1, v[4:5]
	s_mov_b32 s1, exec_lo
                                        ; implicit-def: $vgpr18
	s_wait_loadcnt_dscnt 0x0
	v_cmp_ne_u16_e32 vcc_lo, 0, v1
	v_cndmask_b32_e64 v1, 0, 1.0, vcc_lo
	s_wait_xcnt 0x0
	s_delay_alu instid0(VALU_DEP_1)
	v_cmpx_gt_u32_e32 0x47800000, v1
	s_xor_b32 s1, exec_lo, s1
	s_cbranch_execz .LBB234_1530
; %bb.1525:
	s_mov_b32 s5, exec_lo
                                        ; implicit-def: $vgpr18
	v_cmpx_lt_u32_e32 0x387fffff, v1
	s_xor_b32 s5, exec_lo, s5
; %bb.1526:
	v_bfe_u32 v4, v1, 21, 1
	s_delay_alu instid0(VALU_DEP_1) | instskip(NEXT) | instid1(VALU_DEP_1)
	v_add3_u32 v1, v1, v4, 0x80fffff
	v_lshrrev_b32_e32 v18, 21, v1
                                        ; implicit-def: $vgpr1
; %bb.1527:
	s_and_not1_saveexec_b32 s5, s5
; %bb.1528:
	v_add_f32_e32 v18, 0x43000000, v1
; %bb.1529:
	s_or_b32 exec_lo, exec_lo, s5
                                        ; implicit-def: $vgpr1
.LBB234_1530:
	s_and_not1_saveexec_b32 s1, s1
; %bb.1531:
	v_mov_b32_e32 v4, 0x7f
	v_cmp_lt_u32_e32 vcc_lo, 0x7f800000, v1
	s_delay_alu instid0(VALU_DEP_2)
	v_cndmask_b32_e32 v18, 0x7c, v4, vcc_lo
; %bb.1532:
	s_or_b32 exec_lo, exec_lo, s1
	s_delay_alu instid0(SALU_CYCLE_1)
	s_or_b32 s3, s3, exec_lo
.LBB234_1533:
	s_or_b32 exec_lo, exec_lo, s4
	s_delay_alu instid0(SALU_CYCLE_1) | instskip(SKIP_1) | instid1(SALU_CYCLE_1)
	s_and_not1_b32 s1, s22, exec_lo
	s_and_b32 s2, s2, exec_lo
                                        ; implicit-def: $vgpr1
                                        ; implicit-def: $vgpr4_vgpr5
	s_or_b32 s24, s1, s2
	s_and_b32 s1, s3, exec_lo
.LBB234_1534:
	s_and_not1_saveexec_b32 s0, s0
	s_cbranch_execz .LBB234_1664
; %bb.1535:
	s_mov_b32 s2, exec_lo
                                        ; implicit-def: $vgpr18
	v_cmpx_lt_i16_e32 4, v1
	s_xor_b32 s2, exec_lo, s2
	s_cbranch_execz .LBB234_1605
; %bb.1536:
	s_mov_b32 s3, exec_lo
                                        ; implicit-def: $vgpr18
	v_cmpx_lt_i16_e32 7, v1
	s_xor_b32 s3, exec_lo, s3
	;; [unrolled: 6-line block ×4, first 2 shown]
	s_cbranch_execz .LBB234_1548
; %bb.1539:
	flat_load_b64 v[4:5], v[4:5]
	s_mov_b32 s6, exec_lo
	s_wait_loadcnt_dscnt 0x0
	v_cvt_f32_f64_e32 v1, v[4:5]
                                        ; implicit-def: $vgpr4
	s_wait_xcnt 0x0
	s_delay_alu instid0(VALU_DEP_1) | instskip(NEXT) | instid1(VALU_DEP_1)
	v_and_b32_e32 v5, 0x7fffffff, v1
	v_cmpx_gt_u32_e32 0x47800000, v5
	s_xor_b32 s6, exec_lo, s6
	s_cbranch_execz .LBB234_1545
; %bb.1540:
	s_mov_b32 s7, exec_lo
                                        ; implicit-def: $vgpr4
	v_cmpx_lt_u32_e32 0x387fffff, v5
	s_xor_b32 s7, exec_lo, s7
; %bb.1541:
	v_bfe_u32 v4, v1, 21, 1
	s_delay_alu instid0(VALU_DEP_1) | instskip(NEXT) | instid1(VALU_DEP_1)
	v_add3_u32 v4, v1, v4, 0x80fffff
	v_lshrrev_b32_e32 v4, 21, v4
; %bb.1542:
	s_and_not1_saveexec_b32 s7, s7
; %bb.1543:
	v_add_f32_e64 v4, 0x43000000, |v1|
; %bb.1544:
	s_or_b32 exec_lo, exec_lo, s7
                                        ; implicit-def: $vgpr5
.LBB234_1545:
	s_and_not1_saveexec_b32 s6, s6
; %bb.1546:
	v_mov_b32_e32 v4, 0x7f
	v_cmp_lt_u32_e32 vcc_lo, 0x7f800000, v5
	s_delay_alu instid0(VALU_DEP_2)
	v_cndmask_b32_e32 v4, 0x7c, v4, vcc_lo
; %bb.1547:
	s_or_b32 exec_lo, exec_lo, s6
	v_lshrrev_b32_e32 v1, 24, v1
	s_delay_alu instid0(VALU_DEP_1)
	v_and_or_b32 v18, 0x80, v1, v4
                                        ; implicit-def: $vgpr4_vgpr5
.LBB234_1548:
	s_and_not1_saveexec_b32 s5, s5
	s_cbranch_execz .LBB234_1558
; %bb.1549:
	flat_load_b32 v1, v[4:5]
	s_mov_b32 s6, exec_lo
                                        ; implicit-def: $vgpr4
	s_wait_loadcnt_dscnt 0x0
	v_and_b32_e32 v5, 0x7fffffff, v1
	s_delay_alu instid0(VALU_DEP_1)
	v_cmpx_gt_u32_e32 0x47800000, v5
	s_xor_b32 s6, exec_lo, s6
	s_cbranch_execz .LBB234_1555
; %bb.1550:
	s_mov_b32 s7, exec_lo
                                        ; implicit-def: $vgpr4
	v_cmpx_lt_u32_e32 0x387fffff, v5
	s_xor_b32 s7, exec_lo, s7
; %bb.1551:
	v_bfe_u32 v4, v1, 21, 1
	s_delay_alu instid0(VALU_DEP_1) | instskip(NEXT) | instid1(VALU_DEP_1)
	v_add3_u32 v4, v1, v4, 0x80fffff
	v_lshrrev_b32_e32 v4, 21, v4
; %bb.1552:
	s_and_not1_saveexec_b32 s7, s7
; %bb.1553:
	v_add_f32_e64 v4, 0x43000000, |v1|
; %bb.1554:
	s_or_b32 exec_lo, exec_lo, s7
                                        ; implicit-def: $vgpr5
.LBB234_1555:
	s_and_not1_saveexec_b32 s6, s6
; %bb.1556:
	v_mov_b32_e32 v4, 0x7f
	v_cmp_lt_u32_e32 vcc_lo, 0x7f800000, v5
	s_delay_alu instid0(VALU_DEP_2)
	v_cndmask_b32_e32 v4, 0x7c, v4, vcc_lo
; %bb.1557:
	s_or_b32 exec_lo, exec_lo, s6
	v_lshrrev_b32_e32 v1, 24, v1
	s_delay_alu instid0(VALU_DEP_1)
	v_and_or_b32 v18, 0x80, v1, v4
.LBB234_1558:
	s_or_b32 exec_lo, exec_lo, s5
                                        ; implicit-def: $vgpr4_vgpr5
.LBB234_1559:
	s_and_not1_saveexec_b32 s4, s4
	s_cbranch_execz .LBB234_1569
; %bb.1560:
	flat_load_b32 v1, v[4:5]
	s_mov_b32 s5, exec_lo
                                        ; implicit-def: $vgpr4
	s_wait_loadcnt_dscnt 0x0
	v_cvt_f32_f16_e32 v1, v1
	s_wait_xcnt 0x0
	s_delay_alu instid0(VALU_DEP_1) | instskip(NEXT) | instid1(VALU_DEP_1)
	v_and_b32_e32 v5, 0x7fffffff, v1
	v_cmpx_gt_u32_e32 0x47800000, v5
	s_xor_b32 s5, exec_lo, s5
	s_cbranch_execz .LBB234_1566
; %bb.1561:
	s_mov_b32 s6, exec_lo
                                        ; implicit-def: $vgpr4
	v_cmpx_lt_u32_e32 0x387fffff, v5
	s_xor_b32 s6, exec_lo, s6
; %bb.1562:
	v_bfe_u32 v4, v1, 21, 1
	s_delay_alu instid0(VALU_DEP_1) | instskip(NEXT) | instid1(VALU_DEP_1)
	v_add3_u32 v4, v1, v4, 0x80fffff
	v_lshrrev_b32_e32 v4, 21, v4
; %bb.1563:
	s_and_not1_saveexec_b32 s6, s6
; %bb.1564:
	v_add_f32_e64 v4, 0x43000000, |v1|
; %bb.1565:
	s_or_b32 exec_lo, exec_lo, s6
                                        ; implicit-def: $vgpr5
.LBB234_1566:
	s_and_not1_saveexec_b32 s5, s5
; %bb.1567:
	v_mov_b32_e32 v4, 0x7f
	v_cmp_lt_u32_e32 vcc_lo, 0x7f800000, v5
	s_delay_alu instid0(VALU_DEP_2)
	v_cndmask_b32_e32 v4, 0x7c, v4, vcc_lo
; %bb.1568:
	s_or_b32 exec_lo, exec_lo, s5
	v_lshrrev_b32_e32 v1, 24, v1
	s_delay_alu instid0(VALU_DEP_1)
	v_and_or_b32 v18, 0x80, v1, v4
.LBB234_1569:
	s_or_b32 exec_lo, exec_lo, s4
                                        ; implicit-def: $vgpr1
                                        ; implicit-def: $vgpr4_vgpr5
.LBB234_1570:
	s_and_not1_saveexec_b32 s3, s3
	s_cbranch_execz .LBB234_1604
; %bb.1571:
	s_mov_b32 s4, exec_lo
                                        ; implicit-def: $vgpr18
	v_cmpx_lt_i16_e32 5, v1
	s_xor_b32 s4, exec_lo, s4
	s_cbranch_execz .LBB234_1593
; %bb.1572:
	s_mov_b32 s5, exec_lo
                                        ; implicit-def: $vgpr18
	v_cmpx_lt_i16_e32 6, v1
	s_xor_b32 s5, exec_lo, s5
	s_cbranch_execz .LBB234_1582
; %bb.1573:
	flat_load_b64 v[4:5], v[4:5]
	s_mov_b32 s6, exec_lo
	s_wait_loadcnt_dscnt 0x0
	v_cvt_f32_f64_e32 v1, v[4:5]
                                        ; implicit-def: $vgpr4
	s_wait_xcnt 0x0
	s_delay_alu instid0(VALU_DEP_1) | instskip(NEXT) | instid1(VALU_DEP_1)
	v_and_b32_e32 v5, 0x7fffffff, v1
	v_cmpx_gt_u32_e32 0x47800000, v5
	s_xor_b32 s6, exec_lo, s6
	s_cbranch_execz .LBB234_1579
; %bb.1574:
	s_mov_b32 s7, exec_lo
                                        ; implicit-def: $vgpr4
	v_cmpx_lt_u32_e32 0x387fffff, v5
	s_xor_b32 s7, exec_lo, s7
; %bb.1575:
	v_bfe_u32 v4, v1, 21, 1
	s_delay_alu instid0(VALU_DEP_1) | instskip(NEXT) | instid1(VALU_DEP_1)
	v_add3_u32 v4, v1, v4, 0x80fffff
	v_lshrrev_b32_e32 v4, 21, v4
; %bb.1576:
	s_and_not1_saveexec_b32 s7, s7
; %bb.1577:
	v_add_f32_e64 v4, 0x43000000, |v1|
; %bb.1578:
	s_or_b32 exec_lo, exec_lo, s7
                                        ; implicit-def: $vgpr5
.LBB234_1579:
	s_and_not1_saveexec_b32 s6, s6
; %bb.1580:
	v_mov_b32_e32 v4, 0x7f
	v_cmp_lt_u32_e32 vcc_lo, 0x7f800000, v5
	s_delay_alu instid0(VALU_DEP_2)
	v_cndmask_b32_e32 v4, 0x7c, v4, vcc_lo
; %bb.1581:
	s_or_b32 exec_lo, exec_lo, s6
	v_lshrrev_b32_e32 v1, 24, v1
	s_delay_alu instid0(VALU_DEP_1)
	v_and_or_b32 v18, 0x80, v1, v4
                                        ; implicit-def: $vgpr4_vgpr5
.LBB234_1582:
	s_and_not1_saveexec_b32 s5, s5
	s_cbranch_execz .LBB234_1592
; %bb.1583:
	flat_load_b32 v1, v[4:5]
	s_mov_b32 s6, exec_lo
                                        ; implicit-def: $vgpr4
	s_wait_loadcnt_dscnt 0x0
	v_and_b32_e32 v5, 0x7fffffff, v1
	s_delay_alu instid0(VALU_DEP_1)
	v_cmpx_gt_u32_e32 0x47800000, v5
	s_xor_b32 s6, exec_lo, s6
	s_cbranch_execz .LBB234_1589
; %bb.1584:
	s_mov_b32 s7, exec_lo
                                        ; implicit-def: $vgpr4
	v_cmpx_lt_u32_e32 0x387fffff, v5
	s_xor_b32 s7, exec_lo, s7
; %bb.1585:
	v_bfe_u32 v4, v1, 21, 1
	s_delay_alu instid0(VALU_DEP_1) | instskip(NEXT) | instid1(VALU_DEP_1)
	v_add3_u32 v4, v1, v4, 0x80fffff
	v_lshrrev_b32_e32 v4, 21, v4
; %bb.1586:
	s_and_not1_saveexec_b32 s7, s7
; %bb.1587:
	v_add_f32_e64 v4, 0x43000000, |v1|
; %bb.1588:
	s_or_b32 exec_lo, exec_lo, s7
                                        ; implicit-def: $vgpr5
.LBB234_1589:
	s_and_not1_saveexec_b32 s6, s6
; %bb.1590:
	v_mov_b32_e32 v4, 0x7f
	v_cmp_lt_u32_e32 vcc_lo, 0x7f800000, v5
	s_delay_alu instid0(VALU_DEP_2)
	v_cndmask_b32_e32 v4, 0x7c, v4, vcc_lo
; %bb.1591:
	s_or_b32 exec_lo, exec_lo, s6
	v_lshrrev_b32_e32 v1, 24, v1
	s_delay_alu instid0(VALU_DEP_1)
	v_and_or_b32 v18, 0x80, v1, v4
.LBB234_1592:
	s_or_b32 exec_lo, exec_lo, s5
                                        ; implicit-def: $vgpr4_vgpr5
.LBB234_1593:
	s_and_not1_saveexec_b32 s4, s4
	s_cbranch_execz .LBB234_1603
; %bb.1594:
	flat_load_u16 v1, v[4:5]
	s_mov_b32 s5, exec_lo
                                        ; implicit-def: $vgpr4
	s_wait_loadcnt_dscnt 0x0
	v_cvt_f32_f16_e32 v1, v1
	s_wait_xcnt 0x0
	s_delay_alu instid0(VALU_DEP_1) | instskip(NEXT) | instid1(VALU_DEP_1)
	v_and_b32_e32 v5, 0x7fffffff, v1
	v_cmpx_gt_u32_e32 0x47800000, v5
	s_xor_b32 s5, exec_lo, s5
	s_cbranch_execz .LBB234_1600
; %bb.1595:
	s_mov_b32 s6, exec_lo
                                        ; implicit-def: $vgpr4
	v_cmpx_lt_u32_e32 0x387fffff, v5
	s_xor_b32 s6, exec_lo, s6
; %bb.1596:
	v_bfe_u32 v4, v1, 21, 1
	s_delay_alu instid0(VALU_DEP_1) | instskip(NEXT) | instid1(VALU_DEP_1)
	v_add3_u32 v4, v1, v4, 0x80fffff
	v_lshrrev_b32_e32 v4, 21, v4
; %bb.1597:
	s_and_not1_saveexec_b32 s6, s6
; %bb.1598:
	v_add_f32_e64 v4, 0x43000000, |v1|
; %bb.1599:
	s_or_b32 exec_lo, exec_lo, s6
                                        ; implicit-def: $vgpr5
.LBB234_1600:
	s_and_not1_saveexec_b32 s5, s5
; %bb.1601:
	v_mov_b32_e32 v4, 0x7f
	v_cmp_lt_u32_e32 vcc_lo, 0x7f800000, v5
	s_delay_alu instid0(VALU_DEP_2)
	v_cndmask_b32_e32 v4, 0x7c, v4, vcc_lo
; %bb.1602:
	s_or_b32 exec_lo, exec_lo, s5
	v_lshrrev_b32_e32 v1, 24, v1
	s_delay_alu instid0(VALU_DEP_1)
	v_and_or_b32 v18, 0x80, v1, v4
.LBB234_1603:
	s_or_b32 exec_lo, exec_lo, s4
.LBB234_1604:
	s_delay_alu instid0(SALU_CYCLE_1)
	s_or_b32 exec_lo, exec_lo, s3
                                        ; implicit-def: $vgpr1
                                        ; implicit-def: $vgpr4_vgpr5
.LBB234_1605:
	s_and_not1_saveexec_b32 s2, s2
	s_cbranch_execz .LBB234_1663
; %bb.1606:
	s_mov_b32 s3, exec_lo
                                        ; implicit-def: $vgpr18
	v_cmpx_lt_i16_e32 1, v1
	s_xor_b32 s3, exec_lo, s3
	s_cbranch_execz .LBB234_1640
; %bb.1607:
	s_mov_b32 s4, exec_lo
                                        ; implicit-def: $vgpr18
	v_cmpx_lt_i16_e32 2, v1
	s_xor_b32 s4, exec_lo, s4
	;; [unrolled: 6-line block ×3, first 2 shown]
	s_cbranch_execz .LBB234_1618
; %bb.1609:
	flat_load_b64 v[4:5], v[4:5]
	s_mov_b32 s6, exec_lo
	s_wait_loadcnt_dscnt 0x0
	v_xor_b32_e32 v1, v4, v5
	v_cls_i32_e32 v8, v5
	s_delay_alu instid0(VALU_DEP_2) | instskip(NEXT) | instid1(VALU_DEP_1)
	v_ashrrev_i32_e32 v1, 31, v1
	v_add_nc_u32_e32 v1, 32, v1
	s_delay_alu instid0(VALU_DEP_1) | instskip(SKIP_1) | instid1(VALU_DEP_1)
	v_add_min_u32_e64 v1, v8, -1, v1
	s_wait_xcnt 0x0
	v_lshlrev_b64_e32 v[4:5], v1, v[4:5]
	v_sub_nc_u32_e32 v1, 32, v1
	s_delay_alu instid0(VALU_DEP_2) | instskip(NEXT) | instid1(VALU_DEP_1)
	v_min_u32_e32 v4, 1, v4
	v_or_b32_e32 v4, v5, v4
	s_delay_alu instid0(VALU_DEP_1) | instskip(NEXT) | instid1(VALU_DEP_1)
	v_cvt_f32_i32_e32 v4, v4
	v_ldexp_f32 v1, v4, v1
                                        ; implicit-def: $vgpr4
	s_delay_alu instid0(VALU_DEP_1) | instskip(NEXT) | instid1(VALU_DEP_1)
	v_and_b32_e32 v5, 0x7fffffff, v1
	v_cmpx_gt_u32_e32 0x47800000, v5
	s_xor_b32 s6, exec_lo, s6
	s_cbranch_execz .LBB234_1615
; %bb.1610:
	s_mov_b32 s7, exec_lo
                                        ; implicit-def: $vgpr4
	v_cmpx_lt_u32_e32 0x387fffff, v5
	s_xor_b32 s7, exec_lo, s7
; %bb.1611:
	v_bfe_u32 v4, v1, 21, 1
	s_delay_alu instid0(VALU_DEP_1) | instskip(NEXT) | instid1(VALU_DEP_1)
	v_add3_u32 v4, v1, v4, 0x80fffff
	v_lshrrev_b32_e32 v4, 21, v4
; %bb.1612:
	s_and_not1_saveexec_b32 s7, s7
; %bb.1613:
	v_add_f32_e64 v4, 0x43000000, |v1|
; %bb.1614:
	s_or_b32 exec_lo, exec_lo, s7
                                        ; implicit-def: $vgpr5
.LBB234_1615:
	s_and_not1_saveexec_b32 s6, s6
; %bb.1616:
	v_mov_b32_e32 v4, 0x7f
	v_cmp_lt_u32_e32 vcc_lo, 0x7f800000, v5
	s_delay_alu instid0(VALU_DEP_2)
	v_cndmask_b32_e32 v4, 0x7c, v4, vcc_lo
; %bb.1617:
	s_or_b32 exec_lo, exec_lo, s6
	v_lshrrev_b32_e32 v1, 24, v1
	s_delay_alu instid0(VALU_DEP_1)
	v_and_or_b32 v18, 0x80, v1, v4
                                        ; implicit-def: $vgpr4_vgpr5
.LBB234_1618:
	s_and_not1_saveexec_b32 s5, s5
	s_cbranch_execz .LBB234_1628
; %bb.1619:
	flat_load_b32 v1, v[4:5]
	s_mov_b32 s6, exec_lo
                                        ; implicit-def: $vgpr4
	s_wait_loadcnt_dscnt 0x0
	v_cvt_f32_i32_e32 v1, v1
	s_wait_xcnt 0x0
	s_delay_alu instid0(VALU_DEP_1) | instskip(NEXT) | instid1(VALU_DEP_1)
	v_and_b32_e32 v5, 0x7fffffff, v1
	v_cmpx_gt_u32_e32 0x47800000, v5
	s_xor_b32 s6, exec_lo, s6
	s_cbranch_execz .LBB234_1625
; %bb.1620:
	s_mov_b32 s7, exec_lo
                                        ; implicit-def: $vgpr4
	v_cmpx_lt_u32_e32 0x387fffff, v5
	s_xor_b32 s7, exec_lo, s7
; %bb.1621:
	v_bfe_u32 v4, v1, 21, 1
	s_delay_alu instid0(VALU_DEP_1) | instskip(NEXT) | instid1(VALU_DEP_1)
	v_add3_u32 v4, v1, v4, 0x80fffff
	v_lshrrev_b32_e32 v4, 21, v4
; %bb.1622:
	s_and_not1_saveexec_b32 s7, s7
; %bb.1623:
	v_add_f32_e64 v4, 0x43000000, |v1|
; %bb.1624:
	s_or_b32 exec_lo, exec_lo, s7
                                        ; implicit-def: $vgpr5
.LBB234_1625:
	s_and_not1_saveexec_b32 s6, s6
; %bb.1626:
	v_mov_b32_e32 v4, 0x7f
	v_cmp_lt_u32_e32 vcc_lo, 0x7f800000, v5
	s_delay_alu instid0(VALU_DEP_2)
	v_cndmask_b32_e32 v4, 0x7c, v4, vcc_lo
; %bb.1627:
	s_or_b32 exec_lo, exec_lo, s6
	v_lshrrev_b32_e32 v1, 24, v1
	s_delay_alu instid0(VALU_DEP_1)
	v_and_or_b32 v18, 0x80, v1, v4
.LBB234_1628:
	s_or_b32 exec_lo, exec_lo, s5
                                        ; implicit-def: $vgpr4_vgpr5
.LBB234_1629:
	s_and_not1_saveexec_b32 s4, s4
	s_cbranch_execz .LBB234_1639
; %bb.1630:
	flat_load_i16 v1, v[4:5]
	s_mov_b32 s5, exec_lo
                                        ; implicit-def: $vgpr4
	s_wait_loadcnt_dscnt 0x0
	v_cvt_f32_i32_e32 v1, v1
	s_wait_xcnt 0x0
	s_delay_alu instid0(VALU_DEP_1) | instskip(NEXT) | instid1(VALU_DEP_1)
	v_and_b32_e32 v5, 0x7fffffff, v1
	v_cmpx_gt_u32_e32 0x47800000, v5
	s_xor_b32 s5, exec_lo, s5
	s_cbranch_execz .LBB234_1636
; %bb.1631:
	s_mov_b32 s6, exec_lo
                                        ; implicit-def: $vgpr4
	v_cmpx_lt_u32_e32 0x387fffff, v5
	s_xor_b32 s6, exec_lo, s6
; %bb.1632:
	v_bfe_u32 v4, v1, 21, 1
	s_delay_alu instid0(VALU_DEP_1) | instskip(NEXT) | instid1(VALU_DEP_1)
	v_add3_u32 v4, v1, v4, 0x80fffff
	v_lshrrev_b32_e32 v4, 21, v4
; %bb.1633:
	s_and_not1_saveexec_b32 s6, s6
; %bb.1634:
	v_add_f32_e64 v4, 0x43000000, |v1|
; %bb.1635:
	s_or_b32 exec_lo, exec_lo, s6
                                        ; implicit-def: $vgpr5
.LBB234_1636:
	s_and_not1_saveexec_b32 s5, s5
; %bb.1637:
	v_mov_b32_e32 v4, 0x7f
	v_cmp_lt_u32_e32 vcc_lo, 0x7f800000, v5
	s_delay_alu instid0(VALU_DEP_2)
	v_cndmask_b32_e32 v4, 0x7c, v4, vcc_lo
; %bb.1638:
	s_or_b32 exec_lo, exec_lo, s5
	v_lshrrev_b32_e32 v1, 24, v1
	s_delay_alu instid0(VALU_DEP_1)
	v_and_or_b32 v18, 0x80, v1, v4
.LBB234_1639:
	s_or_b32 exec_lo, exec_lo, s4
                                        ; implicit-def: $vgpr1
                                        ; implicit-def: $vgpr4_vgpr5
.LBB234_1640:
	s_and_not1_saveexec_b32 s3, s3
	s_cbranch_execz .LBB234_1662
; %bb.1641:
	s_mov_b32 s4, exec_lo
                                        ; implicit-def: $vgpr18
	v_cmpx_lt_i16_e32 0, v1
	s_xor_b32 s4, exec_lo, s4
	s_cbranch_execz .LBB234_1651
; %bb.1642:
	flat_load_i8 v1, v[4:5]
	s_mov_b32 s5, exec_lo
                                        ; implicit-def: $vgpr4
	s_wait_loadcnt_dscnt 0x0
	v_cvt_f32_i32_e32 v1, v1
	s_wait_xcnt 0x0
	s_delay_alu instid0(VALU_DEP_1) | instskip(NEXT) | instid1(VALU_DEP_1)
	v_and_b32_e32 v5, 0x7fffffff, v1
	v_cmpx_gt_u32_e32 0x47800000, v5
	s_xor_b32 s5, exec_lo, s5
	s_cbranch_execz .LBB234_1648
; %bb.1643:
	s_mov_b32 s6, exec_lo
                                        ; implicit-def: $vgpr4
	v_cmpx_lt_u32_e32 0x387fffff, v5
	s_xor_b32 s6, exec_lo, s6
; %bb.1644:
	v_bfe_u32 v4, v1, 21, 1
	s_delay_alu instid0(VALU_DEP_1) | instskip(NEXT) | instid1(VALU_DEP_1)
	v_add3_u32 v4, v1, v4, 0x80fffff
	v_lshrrev_b32_e32 v4, 21, v4
; %bb.1645:
	s_and_not1_saveexec_b32 s6, s6
; %bb.1646:
	v_add_f32_e64 v4, 0x43000000, |v1|
; %bb.1647:
	s_or_b32 exec_lo, exec_lo, s6
                                        ; implicit-def: $vgpr5
.LBB234_1648:
	s_and_not1_saveexec_b32 s5, s5
; %bb.1649:
	v_mov_b32_e32 v4, 0x7f
	v_cmp_lt_u32_e32 vcc_lo, 0x7f800000, v5
	s_delay_alu instid0(VALU_DEP_2)
	v_cndmask_b32_e32 v4, 0x7c, v4, vcc_lo
; %bb.1650:
	s_or_b32 exec_lo, exec_lo, s5
	v_lshrrev_b32_e32 v1, 24, v1
	s_delay_alu instid0(VALU_DEP_1)
	v_and_or_b32 v18, 0x80, v1, v4
                                        ; implicit-def: $vgpr4_vgpr5
.LBB234_1651:
	s_and_not1_saveexec_b32 s4, s4
	s_cbranch_execz .LBB234_1661
; %bb.1652:
	flat_load_u8 v1, v[4:5]
	s_mov_b32 s5, exec_lo
                                        ; implicit-def: $vgpr18
	s_wait_loadcnt_dscnt 0x0
	v_cvt_f32_ubyte0_e32 v1, v1
	s_wait_xcnt 0x0
	s_delay_alu instid0(VALU_DEP_1)
	v_cmpx_gt_u32_e32 0x47800000, v1
	s_xor_b32 s5, exec_lo, s5
	s_cbranch_execz .LBB234_1658
; %bb.1653:
	s_mov_b32 s6, exec_lo
                                        ; implicit-def: $vgpr18
	v_cmpx_lt_u32_e32 0x387fffff, v1
	s_xor_b32 s6, exec_lo, s6
; %bb.1654:
	v_bfe_u32 v4, v1, 21, 1
	s_delay_alu instid0(VALU_DEP_1) | instskip(NEXT) | instid1(VALU_DEP_1)
	v_add3_u32 v1, v1, v4, 0x80fffff
	v_lshrrev_b32_e32 v18, 21, v1
                                        ; implicit-def: $vgpr1
; %bb.1655:
	s_and_not1_saveexec_b32 s6, s6
; %bb.1656:
	v_add_f32_e32 v18, 0x43000000, v1
; %bb.1657:
	s_or_b32 exec_lo, exec_lo, s6
                                        ; implicit-def: $vgpr1
.LBB234_1658:
	s_and_not1_saveexec_b32 s5, s5
; %bb.1659:
	v_mov_b32_e32 v4, 0x7f
	v_cmp_lt_u32_e32 vcc_lo, 0x7f800000, v1
	s_delay_alu instid0(VALU_DEP_2)
	v_cndmask_b32_e32 v18, 0x7c, v4, vcc_lo
; %bb.1660:
	s_or_b32 exec_lo, exec_lo, s5
.LBB234_1661:
	s_delay_alu instid0(SALU_CYCLE_1)
	s_or_b32 exec_lo, exec_lo, s4
.LBB234_1662:
	s_delay_alu instid0(SALU_CYCLE_1)
	s_or_b32 exec_lo, exec_lo, s3
.LBB234_1663:
	s_delay_alu instid0(SALU_CYCLE_1) | instskip(NEXT) | instid1(SALU_CYCLE_1)
	s_or_b32 exec_lo, exec_lo, s2
	s_or_b32 s1, s1, exec_lo
.LBB234_1664:
	s_or_b32 exec_lo, exec_lo, s0
	s_mov_b32 s0, 0
	s_mov_b32 s2, 0
	;; [unrolled: 1-line block ×3, first 2 shown]
                                        ; implicit-def: $sgpr3
                                        ; implicit-def: $vgpr22_vgpr23
                                        ; implicit-def: $vgpr5
	s_and_saveexec_b32 s25, s1
	s_cbranch_execz .LBB234_2187
; %bb.1665:
	v_mov_b32_e32 v1, 0
	s_mov_b32 s1, 0
	s_mov_b32 s26, s24
	s_mov_b32 s0, exec_lo
                                        ; implicit-def: $vgpr19
	s_delay_alu instid0(VALU_DEP_1)
	v_add_nc_u64_e32 v[0:1], v[6:7], v[0:1]
	v_cmpx_lt_i16_e32 10, v3
	s_xor_b32 s0, exec_lo, s0
	s_cbranch_execz .LBB234_1760
; %bb.1666:
	s_mov_b32 s3, 0
	s_mov_b32 s2, exec_lo
                                        ; implicit-def: $vgpr19
	v_cmpx_lt_i16_e32 25, v3
	s_xor_b32 s2, exec_lo, s2
	s_cbranch_execz .LBB234_2586
; %bb.1667:
	s_mov_b32 s5, 0
	s_mov_b32 s3, exec_lo
                                        ; implicit-def: $vgpr19
	v_cmpx_lt_i16_e32 28, v3
	s_xor_b32 s3, exec_lo, s3
	s_cbranch_execz .LBB234_1707
; %bb.1668:
	s_mov_b32 s6, 0
	s_mov_b32 s7, 0
	s_mov_b32 s4, exec_lo
                                        ; implicit-def: $vgpr19
	v_cmpx_lt_i16_e32 43, v3
	s_xor_b32 s4, exec_lo, s4
	s_cbranch_execz .LBB234_1694
; %bb.1669:
	s_mov_b32 s7, exec_lo
                                        ; implicit-def: $vgpr19
	v_cmpx_lt_i16_e32 45, v3
	s_xor_b32 s7, exec_lo, s7
	s_cbranch_execz .LBB234_1681
; %bb.1670:
	s_mov_b32 s8, -1
	s_mov_b32 s5, exec_lo
                                        ; implicit-def: $vgpr19
	v_cmpx_eq_u16_e32 46, v3
	s_cbranch_execz .LBB234_1680
; %bb.1671:
	flat_load_b32 v3, v[0:1]
	s_mov_b32 s6, exec_lo
                                        ; implicit-def: $vgpr4
	s_wait_loadcnt_dscnt 0x0
	v_lshlrev_b32_e32 v3, 16, v3
	s_delay_alu instid0(VALU_DEP_1) | instskip(SKIP_1) | instid1(VALU_DEP_1)
	v_and_b32_e32 v5, 0x7fffffff, v3
	s_wait_xcnt 0x0
	v_cmpx_gt_u32_e32 0x47800000, v5
	s_xor_b32 s6, exec_lo, s6
	s_cbranch_execz .LBB234_1677
; %bb.1672:
	s_mov_b32 s8, exec_lo
                                        ; implicit-def: $vgpr4
	v_cmpx_lt_u32_e32 0x387fffff, v5
	s_xor_b32 s8, exec_lo, s8
; %bb.1673:
	v_bfe_u32 v4, v3, 21, 1
	s_delay_alu instid0(VALU_DEP_1) | instskip(NEXT) | instid1(VALU_DEP_1)
	v_add3_u32 v4, v3, v4, 0x80fffff
	v_lshrrev_b32_e32 v4, 21, v4
; %bb.1674:
	s_and_not1_saveexec_b32 s8, s8
; %bb.1675:
	v_add_f32_e64 v4, 0x43000000, |v3|
; %bb.1676:
	s_or_b32 exec_lo, exec_lo, s8
                                        ; implicit-def: $vgpr5
.LBB234_1677:
	s_and_not1_saveexec_b32 s6, s6
; %bb.1678:
	v_mov_b32_e32 v4, 0x7f
	v_cmp_lt_u32_e32 vcc_lo, 0x7f800000, v5
	s_delay_alu instid0(VALU_DEP_2)
	v_cndmask_b32_e32 v4, 0x7c, v4, vcc_lo
; %bb.1679:
	s_or_b32 exec_lo, exec_lo, s6
	v_lshrrev_b32_e32 v3, 24, v3
	s_mov_b32 s6, exec_lo
	s_xor_b32 s8, exec_lo, -1
	s_delay_alu instid0(VALU_DEP_1)
	v_and_or_b32 v19, 0x80, v3, v4
.LBB234_1680:
	s_or_b32 exec_lo, exec_lo, s5
	s_delay_alu instid0(SALU_CYCLE_1)
	s_and_b32 s6, s6, exec_lo
	s_and_b32 s5, s8, exec_lo
                                        ; implicit-def: $vgpr3
.LBB234_1681:
	s_and_not1_saveexec_b32 s7, s7
	s_cbranch_execz .LBB234_1693
; %bb.1682:
	s_mov_b32 s9, -1
	s_mov_b32 s10, s6
	s_mov_b32 s8, exec_lo
                                        ; implicit-def: $vgpr19
	v_cmpx_eq_u16_e32 44, v3
	s_cbranch_execz .LBB234_1692
; %bb.1683:
	flat_load_u8 v3, v[0:1]
	s_mov_b32 s9, exec_lo
                                        ; implicit-def: $vgpr19
	s_wait_loadcnt_dscnt 0x0
	v_lshlrev_b32_e32 v4, 23, v3
	v_cmp_ne_u32_e32 vcc_lo, 0xff, v3
	s_delay_alu instid0(VALU_DEP_2) | instskip(SKIP_1) | instid1(VALU_DEP_2)
	v_cndmask_b32_e32 v4, 0x7f800001, v4, vcc_lo
	v_cmp_ne_u32_e32 vcc_lo, 0, v3
	v_cndmask_b32_e32 v3, 0x400000, v4, vcc_lo
	s_wait_xcnt 0x0
	s_delay_alu instid0(VALU_DEP_1)
	v_cmpx_gt_u32_e32 0x47800000, v3
	s_xor_b32 s9, exec_lo, s9
	s_cbranch_execz .LBB234_1689
; %bb.1684:
	s_mov_b32 s10, exec_lo
                                        ; implicit-def: $vgpr19
	v_cmpx_lt_u32_e32 0x387fffff, v3
	s_xor_b32 s10, exec_lo, s10
; %bb.1685:
	v_bfe_u32 v4, v3, 21, 1
	s_delay_alu instid0(VALU_DEP_1) | instskip(NEXT) | instid1(VALU_DEP_1)
	v_add3_u32 v3, v3, v4, 0x80fffff
	v_lshrrev_b32_e32 v19, 21, v3
                                        ; implicit-def: $vgpr3
; %bb.1686:
	s_and_not1_saveexec_b32 s10, s10
; %bb.1687:
	v_add_f32_e32 v19, 0x43000000, v3
; %bb.1688:
	s_or_b32 exec_lo, exec_lo, s10
                                        ; implicit-def: $vgpr3
.LBB234_1689:
	s_and_not1_saveexec_b32 s9, s9
; %bb.1690:
	v_mov_b32_e32 v4, 0x7f
	v_cmp_lt_u32_e32 vcc_lo, 0x7f800000, v3
	s_delay_alu instid0(VALU_DEP_2)
	v_cndmask_b32_e32 v19, 0x7c, v4, vcc_lo
; %bb.1691:
	s_or_b32 exec_lo, exec_lo, s9
	s_delay_alu instid0(SALU_CYCLE_1)
	s_or_b32 s10, s6, exec_lo
	s_xor_b32 s9, exec_lo, -1
.LBB234_1692:
	s_or_b32 exec_lo, exec_lo, s8
	s_delay_alu instid0(SALU_CYCLE_1)
	s_and_not1_b32 s6, s6, exec_lo
	s_and_b32 s8, s10, exec_lo
	s_and_not1_b32 s5, s5, exec_lo
	s_and_b32 s9, s9, exec_lo
	s_or_b32 s6, s6, s8
	s_or_b32 s5, s5, s9
.LBB234_1693:
	s_or_b32 exec_lo, exec_lo, s7
	s_delay_alu instid0(SALU_CYCLE_1)
	s_and_b32 s7, s6, exec_lo
	s_and_b32 s6, s5, exec_lo
                                        ; implicit-def: $vgpr3
.LBB234_1694:
	s_and_not1_saveexec_b32 s4, s4
	s_cbranch_execz .LBB234_1706
; %bb.1695:
	s_mov_b32 s8, -1
	s_mov_b32 s9, s7
	s_mov_b32 s5, exec_lo
                                        ; implicit-def: $vgpr19
	v_cmpx_eq_u16_e32 29, v3
	s_cbranch_execz .LBB234_1705
; %bb.1696:
	flat_load_b64 v[4:5], v[0:1]
	s_mov_b32 s8, exec_lo
                                        ; implicit-def: $vgpr19
	s_wait_loadcnt_dscnt 0x0
	v_clz_i32_u32_e32 v3, v5
	s_delay_alu instid0(VALU_DEP_1) | instskip(NEXT) | instid1(VALU_DEP_1)
	v_min_u32_e32 v3, 32, v3
	v_lshlrev_b64_e32 v[4:5], v3, v[4:5]
	v_sub_nc_u32_e32 v3, 32, v3
	s_delay_alu instid0(VALU_DEP_2) | instskip(NEXT) | instid1(VALU_DEP_1)
	v_min_u32_e32 v4, 1, v4
	v_or_b32_e32 v4, v5, v4
	s_delay_alu instid0(VALU_DEP_1) | instskip(NEXT) | instid1(VALU_DEP_1)
	v_cvt_f32_u32_e32 v4, v4
	v_ldexp_f32 v3, v4, v3
	s_wait_xcnt 0x0
	s_delay_alu instid0(VALU_DEP_1)
	v_cmpx_gt_u32_e32 0x47800000, v3
	s_xor_b32 s8, exec_lo, s8
	s_cbranch_execz .LBB234_1702
; %bb.1697:
	s_mov_b32 s9, exec_lo
                                        ; implicit-def: $vgpr19
	v_cmpx_lt_u32_e32 0x387fffff, v3
	s_xor_b32 s9, exec_lo, s9
; %bb.1698:
	v_bfe_u32 v4, v3, 21, 1
	s_delay_alu instid0(VALU_DEP_1) | instskip(NEXT) | instid1(VALU_DEP_1)
	v_add3_u32 v3, v3, v4, 0x80fffff
	v_lshrrev_b32_e32 v19, 21, v3
                                        ; implicit-def: $vgpr3
; %bb.1699:
	s_and_not1_saveexec_b32 s9, s9
; %bb.1700:
	v_add_f32_e32 v19, 0x43000000, v3
; %bb.1701:
	s_or_b32 exec_lo, exec_lo, s9
                                        ; implicit-def: $vgpr3
.LBB234_1702:
	s_and_not1_saveexec_b32 s8, s8
; %bb.1703:
	v_mov_b32_e32 v4, 0x7f
	v_cmp_lt_u32_e32 vcc_lo, 0x7f800000, v3
	s_delay_alu instid0(VALU_DEP_2)
	v_cndmask_b32_e32 v19, 0x7c, v4, vcc_lo
; %bb.1704:
	s_or_b32 exec_lo, exec_lo, s8
	s_delay_alu instid0(SALU_CYCLE_1)
	s_or_b32 s9, s7, exec_lo
	s_xor_b32 s8, exec_lo, -1
.LBB234_1705:
	s_or_b32 exec_lo, exec_lo, s5
	s_delay_alu instid0(SALU_CYCLE_1)
	s_and_not1_b32 s5, s7, exec_lo
	s_and_b32 s7, s9, exec_lo
	s_and_not1_b32 s6, s6, exec_lo
	s_and_b32 s8, s8, exec_lo
	s_or_b32 s7, s5, s7
	s_or_b32 s6, s6, s8
.LBB234_1706:
	s_or_b32 exec_lo, exec_lo, s4
	s_delay_alu instid0(SALU_CYCLE_1)
	s_and_b32 s5, s7, exec_lo
	s_and_b32 s4, s6, exec_lo
                                        ; implicit-def: $vgpr3
.LBB234_1707:
	s_and_not1_saveexec_b32 s3, s3
	s_cbranch_execz .LBB234_1747
; %bb.1708:
	s_mov_b32 s6, exec_lo
                                        ; implicit-def: $vgpr19
	v_cmpx_lt_i16_e32 26, v3
	s_xor_b32 s6, exec_lo, s6
	s_cbranch_execz .LBB234_1730
; %bb.1709:
	s_mov_b32 s7, exec_lo
                                        ; implicit-def: $vgpr19
	v_cmpx_lt_i16_e32 27, v3
	s_xor_b32 s7, exec_lo, s7
	s_cbranch_execz .LBB234_1719
; %bb.1710:
	flat_load_b32 v3, v[0:1]
	s_mov_b32 s8, exec_lo
                                        ; implicit-def: $vgpr19
	s_wait_loadcnt_dscnt 0x0
	v_cvt_f32_u32_e32 v3, v3
	s_wait_xcnt 0x0
	s_delay_alu instid0(VALU_DEP_1)
	v_cmpx_gt_u32_e32 0x47800000, v3
	s_xor_b32 s8, exec_lo, s8
	s_cbranch_execz .LBB234_1716
; %bb.1711:
	s_mov_b32 s9, exec_lo
                                        ; implicit-def: $vgpr19
	v_cmpx_lt_u32_e32 0x387fffff, v3
	s_xor_b32 s9, exec_lo, s9
; %bb.1712:
	v_bfe_u32 v4, v3, 21, 1
	s_delay_alu instid0(VALU_DEP_1) | instskip(NEXT) | instid1(VALU_DEP_1)
	v_add3_u32 v3, v3, v4, 0x80fffff
	v_lshrrev_b32_e32 v19, 21, v3
                                        ; implicit-def: $vgpr3
; %bb.1713:
	s_and_not1_saveexec_b32 s9, s9
; %bb.1714:
	v_add_f32_e32 v19, 0x43000000, v3
; %bb.1715:
	s_or_b32 exec_lo, exec_lo, s9
                                        ; implicit-def: $vgpr3
.LBB234_1716:
	s_and_not1_saveexec_b32 s8, s8
; %bb.1717:
	v_mov_b32_e32 v4, 0x7f
	v_cmp_lt_u32_e32 vcc_lo, 0x7f800000, v3
	s_delay_alu instid0(VALU_DEP_2)
	v_cndmask_b32_e32 v19, 0x7c, v4, vcc_lo
; %bb.1718:
	s_or_b32 exec_lo, exec_lo, s8
.LBB234_1719:
	s_and_not1_saveexec_b32 s7, s7
	s_cbranch_execz .LBB234_1729
; %bb.1720:
	flat_load_u16 v3, v[0:1]
	s_mov_b32 s8, exec_lo
                                        ; implicit-def: $vgpr19
	s_wait_loadcnt_dscnt 0x0
	v_cvt_f32_u32_e32 v3, v3
	s_wait_xcnt 0x0
	s_delay_alu instid0(VALU_DEP_1)
	v_cmpx_gt_u32_e32 0x47800000, v3
	s_xor_b32 s8, exec_lo, s8
	s_cbranch_execz .LBB234_1726
; %bb.1721:
	s_mov_b32 s9, exec_lo
                                        ; implicit-def: $vgpr19
	v_cmpx_lt_u32_e32 0x387fffff, v3
	s_xor_b32 s9, exec_lo, s9
; %bb.1722:
	v_bfe_u32 v4, v3, 21, 1
	s_delay_alu instid0(VALU_DEP_1) | instskip(NEXT) | instid1(VALU_DEP_1)
	v_add3_u32 v3, v3, v4, 0x80fffff
	v_lshrrev_b32_e32 v19, 21, v3
                                        ; implicit-def: $vgpr3
; %bb.1723:
	s_and_not1_saveexec_b32 s9, s9
; %bb.1724:
	v_add_f32_e32 v19, 0x43000000, v3
; %bb.1725:
	s_or_b32 exec_lo, exec_lo, s9
                                        ; implicit-def: $vgpr3
.LBB234_1726:
	s_and_not1_saveexec_b32 s8, s8
; %bb.1727:
	v_mov_b32_e32 v4, 0x7f
	v_cmp_lt_u32_e32 vcc_lo, 0x7f800000, v3
	s_delay_alu instid0(VALU_DEP_2)
	v_cndmask_b32_e32 v19, 0x7c, v4, vcc_lo
; %bb.1728:
	s_or_b32 exec_lo, exec_lo, s8
.LBB234_1729:
	s_delay_alu instid0(SALU_CYCLE_1)
	s_or_b32 exec_lo, exec_lo, s7
.LBB234_1730:
	s_and_not1_saveexec_b32 s6, s6
	s_cbranch_execz .LBB234_1746
; %bb.1731:
	flat_load_u8 v4, v[0:1]
	s_mov_b32 s7, 0
	s_mov_b32 s8, exec_lo
	s_wait_loadcnt_dscnt 0x0
	v_cmpx_lt_i16_e32 0x7f, v4
	s_xor_b32 s8, exec_lo, s8
	s_cbranch_execz .LBB234_2745
; %bb.1732:
	s_mov_b32 s7, -1
	s_mov_b32 s9, exec_lo
	v_cmpx_eq_u16_e32 0x80, v4
; %bb.1733:
	s_xor_b32 s7, exec_lo, -1
; %bb.1734:
	s_or_b32 exec_lo, exec_lo, s9
	s_delay_alu instid0(SALU_CYCLE_1)
	s_and_b32 s7, s7, exec_lo
	s_or_saveexec_b32 s8, s8
	v_mov_b32_e32 v3, 0x7f800001
	s_xor_b32 exec_lo, exec_lo, s8
	s_cbranch_execnz .LBB234_2746
.LBB234_1735:
	s_or_b32 exec_lo, exec_lo, s8
	s_and_saveexec_b32 s8, s7
	s_cbranch_execz .LBB234_1737
.LBB234_1736:
	v_and_b32_e32 v3, 0xffff, v4
	s_delay_alu instid0(VALU_DEP_1) | instskip(SKIP_1) | instid1(VALU_DEP_2)
	v_and_b32_e32 v5, 7, v3
	v_bfe_u32 v8, v3, 3, 4
	v_clz_i32_u32_e32 v6, v5
	s_delay_alu instid0(VALU_DEP_2) | instskip(NEXT) | instid1(VALU_DEP_2)
	v_cmp_eq_u32_e32 vcc_lo, 0, v8
	v_min_u32_e32 v6, 32, v6
	s_delay_alu instid0(VALU_DEP_1) | instskip(NEXT) | instid1(VALU_DEP_1)
	v_subrev_nc_u32_e32 v7, 28, v6
	v_dual_lshlrev_b32 v3, v7, v3 :: v_dual_sub_nc_u32 v6, 29, v6
	s_delay_alu instid0(VALU_DEP_1) | instskip(NEXT) | instid1(VALU_DEP_1)
	v_dual_lshlrev_b32 v4, 24, v4 :: v_dual_bitop2_b32 v3, 7, v3 bitop3:0x40
	v_dual_cndmask_b32 v6, v8, v6 :: v_dual_cndmask_b32 v3, v5, v3
	s_delay_alu instid0(VALU_DEP_2) | instskip(NEXT) | instid1(VALU_DEP_2)
	v_and_b32_e32 v4, 0x80000000, v4
	v_lshl_add_u32 v5, v6, 23, 0x3b800000
	s_delay_alu instid0(VALU_DEP_3) | instskip(NEXT) | instid1(VALU_DEP_1)
	v_lshlrev_b32_e32 v3, 20, v3
	v_or3_b32 v3, v4, v5, v3
.LBB234_1737:
	s_or_b32 exec_lo, exec_lo, s8
	s_delay_alu instid0(VALU_DEP_1) | instskip(SKIP_1) | instid1(VALU_DEP_1)
	v_and_b32_e32 v5, 0x7fffffff, v3
	s_mov_b32 s7, exec_lo
                                        ; implicit-def: $vgpr4
	v_cmpx_gt_u32_e32 0x47800000, v5
	s_xor_b32 s7, exec_lo, s7
	s_cbranch_execz .LBB234_1743
; %bb.1738:
	s_mov_b32 s8, exec_lo
                                        ; implicit-def: $vgpr4
	v_cmpx_lt_u32_e32 0x387fffff, v5
	s_xor_b32 s8, exec_lo, s8
; %bb.1739:
	v_bfe_u32 v4, v3, 21, 1
	s_delay_alu instid0(VALU_DEP_1) | instskip(NEXT) | instid1(VALU_DEP_1)
	v_add3_u32 v4, v3, v4, 0x80fffff
	v_lshrrev_b32_e32 v4, 21, v4
; %bb.1740:
	s_and_not1_saveexec_b32 s8, s8
; %bb.1741:
	v_add_f32_e64 v4, 0x43000000, |v3|
; %bb.1742:
	s_or_b32 exec_lo, exec_lo, s8
                                        ; implicit-def: $vgpr5
.LBB234_1743:
	s_and_not1_saveexec_b32 s7, s7
; %bb.1744:
	v_mov_b32_e32 v4, 0x7f
	v_cmp_lt_u32_e32 vcc_lo, 0x7f800000, v5
	s_delay_alu instid0(VALU_DEP_2)
	v_cndmask_b32_e32 v4, 0x7c, v4, vcc_lo
; %bb.1745:
	s_or_b32 exec_lo, exec_lo, s7
	v_lshrrev_b32_e32 v3, 24, v3
	s_delay_alu instid0(VALU_DEP_1)
	v_and_or_b32 v19, 0x80, v3, v4
.LBB234_1746:
	s_or_b32 exec_lo, exec_lo, s6
	s_delay_alu instid0(SALU_CYCLE_1)
	s_or_b32 s5, s5, exec_lo
.LBB234_1747:
	s_or_b32 exec_lo, exec_lo, s3
	s_delay_alu instid0(SALU_CYCLE_1)
	s_and_b32 s3, s5, exec_lo
	s_and_b32 s4, s4, exec_lo
                                        ; implicit-def: $vgpr3
	s_and_not1_saveexec_b32 s2, s2
	s_cbranch_execnz .LBB234_2587
.LBB234_1748:
	s_or_b32 exec_lo, exec_lo, s2
	s_mov_b32 s2, s24
	s_and_saveexec_b32 s5, s4
	s_cbranch_execnz .LBB234_2636
.LBB234_1749:
	s_or_b32 exec_lo, exec_lo, s5
	s_and_saveexec_b32 s4, s1
	s_cbranch_execz .LBB234_1759
.LBB234_1750:
	flat_load_u8 v0, v[0:1]
	s_mov_b32 s1, exec_lo
                                        ; implicit-def: $vgpr19
	s_wait_loadcnt_dscnt 0x0
	v_cmp_ne_u16_e32 vcc_lo, 0, v0
	s_wait_xcnt 0x0
	v_cndmask_b32_e64 v0, 0, 1.0, vcc_lo
	s_delay_alu instid0(VALU_DEP_1)
	v_cmpx_gt_u32_e32 0x47800000, v0
	s_xor_b32 s1, exec_lo, s1
	s_cbranch_execz .LBB234_1756
; %bb.1751:
	s_mov_b32 s5, exec_lo
                                        ; implicit-def: $vgpr19
	v_cmpx_lt_u32_e32 0x387fffff, v0
	s_xor_b32 s5, exec_lo, s5
; %bb.1752:
	v_bfe_u32 v1, v0, 21, 1
	s_delay_alu instid0(VALU_DEP_1) | instskip(NEXT) | instid1(VALU_DEP_1)
	v_add3_u32 v0, v0, v1, 0x80fffff
	v_lshrrev_b32_e32 v19, 21, v0
                                        ; implicit-def: $vgpr0
; %bb.1753:
	s_and_not1_saveexec_b32 s5, s5
; %bb.1754:
	v_add_f32_e32 v19, 0x43000000, v0
; %bb.1755:
	s_or_b32 exec_lo, exec_lo, s5
                                        ; implicit-def: $vgpr0
.LBB234_1756:
	s_and_not1_saveexec_b32 s1, s1
; %bb.1757:
	v_mov_b32_e32 v1, 0x7f
	v_cmp_lt_u32_e32 vcc_lo, 0x7f800000, v0
	s_delay_alu instid0(VALU_DEP_2)
	v_cndmask_b32_e32 v19, 0x7c, v1, vcc_lo
; %bb.1758:
	s_or_b32 exec_lo, exec_lo, s1
	s_delay_alu instid0(SALU_CYCLE_1)
	s_or_b32 s3, s3, exec_lo
.LBB234_1759:
	s_or_b32 exec_lo, exec_lo, s4
	s_delay_alu instid0(SALU_CYCLE_1) | instskip(SKIP_1) | instid1(SALU_CYCLE_1)
	s_and_not1_b32 s1, s24, exec_lo
	s_and_b32 s2, s2, exec_lo
                                        ; implicit-def: $vgpr3
                                        ; implicit-def: $vgpr0_vgpr1
	s_or_b32 s26, s1, s2
	s_and_b32 s1, s3, exec_lo
.LBB234_1760:
	s_and_not1_saveexec_b32 s0, s0
	s_cbranch_execz .LBB234_1890
; %bb.1761:
	s_mov_b32 s2, exec_lo
                                        ; implicit-def: $vgpr19
	v_cmpx_lt_i16_e32 4, v3
	s_xor_b32 s2, exec_lo, s2
	s_cbranch_execz .LBB234_1831
; %bb.1762:
	s_mov_b32 s3, exec_lo
                                        ; implicit-def: $vgpr19
	v_cmpx_lt_i16_e32 7, v3
	s_xor_b32 s3, exec_lo, s3
	;; [unrolled: 6-line block ×4, first 2 shown]
	s_cbranch_execz .LBB234_1774
; %bb.1765:
	flat_load_b64 v[0:1], v[0:1]
	s_mov_b32 s6, exec_lo
	s_wait_loadcnt_dscnt 0x0
	v_cvt_f32_f64_e32 v0, v[0:1]
                                        ; implicit-def: $vgpr1
	s_delay_alu instid0(VALU_DEP_1) | instskip(NEXT) | instid1(VALU_DEP_1)
	v_and_b32_e32 v3, 0x7fffffff, v0
	v_cmpx_gt_u32_e32 0x47800000, v3
	s_xor_b32 s6, exec_lo, s6
	s_cbranch_execz .LBB234_1771
; %bb.1766:
	s_mov_b32 s7, exec_lo
                                        ; implicit-def: $vgpr1
	v_cmpx_lt_u32_e32 0x387fffff, v3
	s_xor_b32 s7, exec_lo, s7
; %bb.1767:
	v_bfe_u32 v1, v0, 21, 1
	s_delay_alu instid0(VALU_DEP_1) | instskip(NEXT) | instid1(VALU_DEP_1)
	v_add3_u32 v1, v0, v1, 0x80fffff
	v_lshrrev_b32_e32 v1, 21, v1
; %bb.1768:
	s_and_not1_saveexec_b32 s7, s7
; %bb.1769:
	v_add_f32_e64 v1, 0x43000000, |v0|
; %bb.1770:
	s_or_b32 exec_lo, exec_lo, s7
                                        ; implicit-def: $vgpr3
.LBB234_1771:
	s_and_not1_saveexec_b32 s6, s6
; %bb.1772:
	v_mov_b32_e32 v1, 0x7f
	v_cmp_lt_u32_e32 vcc_lo, 0x7f800000, v3
	s_delay_alu instid0(VALU_DEP_2)
	v_cndmask_b32_e32 v1, 0x7c, v1, vcc_lo
; %bb.1773:
	s_or_b32 exec_lo, exec_lo, s6
	v_lshrrev_b32_e32 v0, 24, v0
	s_delay_alu instid0(VALU_DEP_1)
	v_and_or_b32 v19, 0x80, v0, v1
                                        ; implicit-def: $vgpr0_vgpr1
.LBB234_1774:
	s_and_not1_saveexec_b32 s5, s5
	s_cbranch_execz .LBB234_1784
; %bb.1775:
	flat_load_b32 v0, v[0:1]
	s_mov_b32 s6, exec_lo
                                        ; implicit-def: $vgpr1
	s_wait_loadcnt_dscnt 0x0
	v_and_b32_e32 v3, 0x7fffffff, v0
	s_wait_xcnt 0x0
	s_delay_alu instid0(VALU_DEP_1)
	v_cmpx_gt_u32_e32 0x47800000, v3
	s_xor_b32 s6, exec_lo, s6
	s_cbranch_execz .LBB234_1781
; %bb.1776:
	s_mov_b32 s7, exec_lo
                                        ; implicit-def: $vgpr1
	v_cmpx_lt_u32_e32 0x387fffff, v3
	s_xor_b32 s7, exec_lo, s7
; %bb.1777:
	v_bfe_u32 v1, v0, 21, 1
	s_delay_alu instid0(VALU_DEP_1) | instskip(NEXT) | instid1(VALU_DEP_1)
	v_add3_u32 v1, v0, v1, 0x80fffff
	v_lshrrev_b32_e32 v1, 21, v1
; %bb.1778:
	s_and_not1_saveexec_b32 s7, s7
; %bb.1779:
	v_add_f32_e64 v1, 0x43000000, |v0|
; %bb.1780:
	s_or_b32 exec_lo, exec_lo, s7
                                        ; implicit-def: $vgpr3
.LBB234_1781:
	s_and_not1_saveexec_b32 s6, s6
; %bb.1782:
	v_mov_b32_e32 v1, 0x7f
	v_cmp_lt_u32_e32 vcc_lo, 0x7f800000, v3
	s_delay_alu instid0(VALU_DEP_2)
	v_cndmask_b32_e32 v1, 0x7c, v1, vcc_lo
; %bb.1783:
	s_or_b32 exec_lo, exec_lo, s6
	v_lshrrev_b32_e32 v0, 24, v0
	s_delay_alu instid0(VALU_DEP_1)
	v_and_or_b32 v19, 0x80, v0, v1
.LBB234_1784:
	s_or_b32 exec_lo, exec_lo, s5
                                        ; implicit-def: $vgpr0_vgpr1
.LBB234_1785:
	s_and_not1_saveexec_b32 s4, s4
	s_cbranch_execz .LBB234_1795
; %bb.1786:
	flat_load_b32 v0, v[0:1]
	s_mov_b32 s5, exec_lo
                                        ; implicit-def: $vgpr1
	s_wait_loadcnt_dscnt 0x0
	v_cvt_f32_f16_e32 v0, v0
	s_delay_alu instid0(VALU_DEP_1) | instskip(NEXT) | instid1(VALU_DEP_1)
	v_and_b32_e32 v3, 0x7fffffff, v0
	v_cmpx_gt_u32_e32 0x47800000, v3
	s_xor_b32 s5, exec_lo, s5
	s_cbranch_execz .LBB234_1792
; %bb.1787:
	s_mov_b32 s6, exec_lo
                                        ; implicit-def: $vgpr1
	v_cmpx_lt_u32_e32 0x387fffff, v3
	s_xor_b32 s6, exec_lo, s6
; %bb.1788:
	v_bfe_u32 v1, v0, 21, 1
	s_delay_alu instid0(VALU_DEP_1) | instskip(NEXT) | instid1(VALU_DEP_1)
	v_add3_u32 v1, v0, v1, 0x80fffff
	v_lshrrev_b32_e32 v1, 21, v1
; %bb.1789:
	s_and_not1_saveexec_b32 s6, s6
; %bb.1790:
	v_add_f32_e64 v1, 0x43000000, |v0|
; %bb.1791:
	s_or_b32 exec_lo, exec_lo, s6
                                        ; implicit-def: $vgpr3
.LBB234_1792:
	s_and_not1_saveexec_b32 s5, s5
; %bb.1793:
	v_mov_b32_e32 v1, 0x7f
	v_cmp_lt_u32_e32 vcc_lo, 0x7f800000, v3
	s_delay_alu instid0(VALU_DEP_2)
	v_cndmask_b32_e32 v1, 0x7c, v1, vcc_lo
; %bb.1794:
	s_or_b32 exec_lo, exec_lo, s5
	v_lshrrev_b32_e32 v0, 24, v0
	s_delay_alu instid0(VALU_DEP_1)
	v_and_or_b32 v19, 0x80, v0, v1
.LBB234_1795:
	s_or_b32 exec_lo, exec_lo, s4
                                        ; implicit-def: $vgpr3
                                        ; implicit-def: $vgpr0_vgpr1
.LBB234_1796:
	s_and_not1_saveexec_b32 s3, s3
	s_cbranch_execz .LBB234_1830
; %bb.1797:
	s_mov_b32 s4, exec_lo
                                        ; implicit-def: $vgpr19
	v_cmpx_lt_i16_e32 5, v3
	s_xor_b32 s4, exec_lo, s4
	s_cbranch_execz .LBB234_1819
; %bb.1798:
	s_mov_b32 s5, exec_lo
                                        ; implicit-def: $vgpr19
	v_cmpx_lt_i16_e32 6, v3
	s_xor_b32 s5, exec_lo, s5
	s_cbranch_execz .LBB234_1808
; %bb.1799:
	flat_load_b64 v[0:1], v[0:1]
	s_mov_b32 s6, exec_lo
	s_wait_loadcnt_dscnt 0x0
	v_cvt_f32_f64_e32 v0, v[0:1]
                                        ; implicit-def: $vgpr1
	s_delay_alu instid0(VALU_DEP_1) | instskip(NEXT) | instid1(VALU_DEP_1)
	v_and_b32_e32 v3, 0x7fffffff, v0
	v_cmpx_gt_u32_e32 0x47800000, v3
	s_xor_b32 s6, exec_lo, s6
	s_cbranch_execz .LBB234_1805
; %bb.1800:
	s_mov_b32 s7, exec_lo
                                        ; implicit-def: $vgpr1
	v_cmpx_lt_u32_e32 0x387fffff, v3
	s_xor_b32 s7, exec_lo, s7
; %bb.1801:
	v_bfe_u32 v1, v0, 21, 1
	s_delay_alu instid0(VALU_DEP_1) | instskip(NEXT) | instid1(VALU_DEP_1)
	v_add3_u32 v1, v0, v1, 0x80fffff
	v_lshrrev_b32_e32 v1, 21, v1
; %bb.1802:
	s_and_not1_saveexec_b32 s7, s7
; %bb.1803:
	v_add_f32_e64 v1, 0x43000000, |v0|
; %bb.1804:
	s_or_b32 exec_lo, exec_lo, s7
                                        ; implicit-def: $vgpr3
.LBB234_1805:
	s_and_not1_saveexec_b32 s6, s6
; %bb.1806:
	v_mov_b32_e32 v1, 0x7f
	v_cmp_lt_u32_e32 vcc_lo, 0x7f800000, v3
	s_delay_alu instid0(VALU_DEP_2)
	v_cndmask_b32_e32 v1, 0x7c, v1, vcc_lo
; %bb.1807:
	s_or_b32 exec_lo, exec_lo, s6
	v_lshrrev_b32_e32 v0, 24, v0
	s_delay_alu instid0(VALU_DEP_1)
	v_and_or_b32 v19, 0x80, v0, v1
                                        ; implicit-def: $vgpr0_vgpr1
.LBB234_1808:
	s_and_not1_saveexec_b32 s5, s5
	s_cbranch_execz .LBB234_1818
; %bb.1809:
	flat_load_b32 v0, v[0:1]
	s_mov_b32 s6, exec_lo
                                        ; implicit-def: $vgpr1
	s_wait_loadcnt_dscnt 0x0
	v_and_b32_e32 v3, 0x7fffffff, v0
	s_wait_xcnt 0x0
	s_delay_alu instid0(VALU_DEP_1)
	v_cmpx_gt_u32_e32 0x47800000, v3
	s_xor_b32 s6, exec_lo, s6
	s_cbranch_execz .LBB234_1815
; %bb.1810:
	s_mov_b32 s7, exec_lo
                                        ; implicit-def: $vgpr1
	v_cmpx_lt_u32_e32 0x387fffff, v3
	s_xor_b32 s7, exec_lo, s7
; %bb.1811:
	v_bfe_u32 v1, v0, 21, 1
	s_delay_alu instid0(VALU_DEP_1) | instskip(NEXT) | instid1(VALU_DEP_1)
	v_add3_u32 v1, v0, v1, 0x80fffff
	v_lshrrev_b32_e32 v1, 21, v1
; %bb.1812:
	s_and_not1_saveexec_b32 s7, s7
; %bb.1813:
	v_add_f32_e64 v1, 0x43000000, |v0|
; %bb.1814:
	s_or_b32 exec_lo, exec_lo, s7
                                        ; implicit-def: $vgpr3
.LBB234_1815:
	s_and_not1_saveexec_b32 s6, s6
; %bb.1816:
	v_mov_b32_e32 v1, 0x7f
	v_cmp_lt_u32_e32 vcc_lo, 0x7f800000, v3
	s_delay_alu instid0(VALU_DEP_2)
	v_cndmask_b32_e32 v1, 0x7c, v1, vcc_lo
; %bb.1817:
	s_or_b32 exec_lo, exec_lo, s6
	v_lshrrev_b32_e32 v0, 24, v0
	s_delay_alu instid0(VALU_DEP_1)
	v_and_or_b32 v19, 0x80, v0, v1
.LBB234_1818:
	s_or_b32 exec_lo, exec_lo, s5
                                        ; implicit-def: $vgpr0_vgpr1
.LBB234_1819:
	s_and_not1_saveexec_b32 s4, s4
	s_cbranch_execz .LBB234_1829
; %bb.1820:
	flat_load_u16 v0, v[0:1]
	s_mov_b32 s5, exec_lo
                                        ; implicit-def: $vgpr1
	s_wait_loadcnt_dscnt 0x0
	v_cvt_f32_f16_e32 v0, v0
	s_delay_alu instid0(VALU_DEP_1) | instskip(NEXT) | instid1(VALU_DEP_1)
	v_and_b32_e32 v3, 0x7fffffff, v0
	v_cmpx_gt_u32_e32 0x47800000, v3
	s_xor_b32 s5, exec_lo, s5
	s_cbranch_execz .LBB234_1826
; %bb.1821:
	s_mov_b32 s6, exec_lo
                                        ; implicit-def: $vgpr1
	v_cmpx_lt_u32_e32 0x387fffff, v3
	s_xor_b32 s6, exec_lo, s6
; %bb.1822:
	v_bfe_u32 v1, v0, 21, 1
	s_delay_alu instid0(VALU_DEP_1) | instskip(NEXT) | instid1(VALU_DEP_1)
	v_add3_u32 v1, v0, v1, 0x80fffff
	v_lshrrev_b32_e32 v1, 21, v1
; %bb.1823:
	s_and_not1_saveexec_b32 s6, s6
; %bb.1824:
	v_add_f32_e64 v1, 0x43000000, |v0|
; %bb.1825:
	s_or_b32 exec_lo, exec_lo, s6
                                        ; implicit-def: $vgpr3
.LBB234_1826:
	s_and_not1_saveexec_b32 s5, s5
; %bb.1827:
	v_mov_b32_e32 v1, 0x7f
	v_cmp_lt_u32_e32 vcc_lo, 0x7f800000, v3
	s_delay_alu instid0(VALU_DEP_2)
	v_cndmask_b32_e32 v1, 0x7c, v1, vcc_lo
; %bb.1828:
	s_or_b32 exec_lo, exec_lo, s5
	v_lshrrev_b32_e32 v0, 24, v0
	s_delay_alu instid0(VALU_DEP_1)
	v_and_or_b32 v19, 0x80, v0, v1
.LBB234_1829:
	s_or_b32 exec_lo, exec_lo, s4
.LBB234_1830:
	s_delay_alu instid0(SALU_CYCLE_1)
	s_or_b32 exec_lo, exec_lo, s3
                                        ; implicit-def: $vgpr3
                                        ; implicit-def: $vgpr0_vgpr1
.LBB234_1831:
	s_and_not1_saveexec_b32 s2, s2
	s_cbranch_execz .LBB234_1889
; %bb.1832:
	s_mov_b32 s3, exec_lo
                                        ; implicit-def: $vgpr19
	v_cmpx_lt_i16_e32 1, v3
	s_xor_b32 s3, exec_lo, s3
	s_cbranch_execz .LBB234_1866
; %bb.1833:
	s_mov_b32 s4, exec_lo
                                        ; implicit-def: $vgpr19
	v_cmpx_lt_i16_e32 2, v3
	s_xor_b32 s4, exec_lo, s4
	;; [unrolled: 6-line block ×3, first 2 shown]
	s_cbranch_execz .LBB234_1844
; %bb.1835:
	flat_load_b64 v[0:1], v[0:1]
	s_mov_b32 s6, exec_lo
	s_wait_loadcnt_dscnt 0x0
	v_xor_b32_e32 v3, v0, v1
	v_cls_i32_e32 v4, v1
	s_delay_alu instid0(VALU_DEP_2) | instskip(NEXT) | instid1(VALU_DEP_1)
	v_ashrrev_i32_e32 v3, 31, v3
	v_add_nc_u32_e32 v3, 32, v3
	s_delay_alu instid0(VALU_DEP_1) | instskip(SKIP_1) | instid1(VALU_DEP_1)
	v_add_min_u32_e64 v3, v4, -1, v3
	s_wait_xcnt 0x0
	v_lshlrev_b64_e32 v[0:1], v3, v[0:1]
	s_delay_alu instid0(VALU_DEP_1) | instskip(NEXT) | instid1(VALU_DEP_1)
	v_min_u32_e32 v0, 1, v0
	v_dual_sub_nc_u32 v1, 32, v3 :: v_dual_bitop2_b32 v0, v1, v0 bitop3:0x54
	s_delay_alu instid0(VALU_DEP_1) | instskip(NEXT) | instid1(VALU_DEP_1)
	v_cvt_f32_i32_e32 v0, v0
	v_ldexp_f32 v0, v0, v1
                                        ; implicit-def: $vgpr1
	s_delay_alu instid0(VALU_DEP_1) | instskip(NEXT) | instid1(VALU_DEP_1)
	v_and_b32_e32 v3, 0x7fffffff, v0
	v_cmpx_gt_u32_e32 0x47800000, v3
	s_xor_b32 s6, exec_lo, s6
	s_cbranch_execz .LBB234_1841
; %bb.1836:
	s_mov_b32 s7, exec_lo
                                        ; implicit-def: $vgpr1
	v_cmpx_lt_u32_e32 0x387fffff, v3
	s_xor_b32 s7, exec_lo, s7
; %bb.1837:
	v_bfe_u32 v1, v0, 21, 1
	s_delay_alu instid0(VALU_DEP_1) | instskip(NEXT) | instid1(VALU_DEP_1)
	v_add3_u32 v1, v0, v1, 0x80fffff
	v_lshrrev_b32_e32 v1, 21, v1
; %bb.1838:
	s_and_not1_saveexec_b32 s7, s7
; %bb.1839:
	v_add_f32_e64 v1, 0x43000000, |v0|
; %bb.1840:
	s_or_b32 exec_lo, exec_lo, s7
                                        ; implicit-def: $vgpr3
.LBB234_1841:
	s_and_not1_saveexec_b32 s6, s6
; %bb.1842:
	v_mov_b32_e32 v1, 0x7f
	v_cmp_lt_u32_e32 vcc_lo, 0x7f800000, v3
	s_delay_alu instid0(VALU_DEP_2)
	v_cndmask_b32_e32 v1, 0x7c, v1, vcc_lo
; %bb.1843:
	s_or_b32 exec_lo, exec_lo, s6
	v_lshrrev_b32_e32 v0, 24, v0
	s_delay_alu instid0(VALU_DEP_1)
	v_and_or_b32 v19, 0x80, v0, v1
                                        ; implicit-def: $vgpr0_vgpr1
.LBB234_1844:
	s_and_not1_saveexec_b32 s5, s5
	s_cbranch_execz .LBB234_1854
; %bb.1845:
	flat_load_b32 v0, v[0:1]
	s_mov_b32 s6, exec_lo
                                        ; implicit-def: $vgpr1
	s_wait_loadcnt_dscnt 0x0
	v_cvt_f32_i32_e32 v0, v0
	s_delay_alu instid0(VALU_DEP_1) | instskip(NEXT) | instid1(VALU_DEP_1)
	v_and_b32_e32 v3, 0x7fffffff, v0
	v_cmpx_gt_u32_e32 0x47800000, v3
	s_xor_b32 s6, exec_lo, s6
	s_cbranch_execz .LBB234_1851
; %bb.1846:
	s_mov_b32 s7, exec_lo
                                        ; implicit-def: $vgpr1
	v_cmpx_lt_u32_e32 0x387fffff, v3
	s_xor_b32 s7, exec_lo, s7
; %bb.1847:
	v_bfe_u32 v1, v0, 21, 1
	s_delay_alu instid0(VALU_DEP_1) | instskip(NEXT) | instid1(VALU_DEP_1)
	v_add3_u32 v1, v0, v1, 0x80fffff
	v_lshrrev_b32_e32 v1, 21, v1
; %bb.1848:
	s_and_not1_saveexec_b32 s7, s7
; %bb.1849:
	v_add_f32_e64 v1, 0x43000000, |v0|
; %bb.1850:
	s_or_b32 exec_lo, exec_lo, s7
                                        ; implicit-def: $vgpr3
.LBB234_1851:
	s_and_not1_saveexec_b32 s6, s6
; %bb.1852:
	v_mov_b32_e32 v1, 0x7f
	v_cmp_lt_u32_e32 vcc_lo, 0x7f800000, v3
	s_delay_alu instid0(VALU_DEP_2)
	v_cndmask_b32_e32 v1, 0x7c, v1, vcc_lo
; %bb.1853:
	s_or_b32 exec_lo, exec_lo, s6
	v_lshrrev_b32_e32 v0, 24, v0
	s_delay_alu instid0(VALU_DEP_1)
	v_and_or_b32 v19, 0x80, v0, v1
.LBB234_1854:
	s_or_b32 exec_lo, exec_lo, s5
                                        ; implicit-def: $vgpr0_vgpr1
.LBB234_1855:
	s_and_not1_saveexec_b32 s4, s4
	s_cbranch_execz .LBB234_1865
; %bb.1856:
	flat_load_i16 v0, v[0:1]
	s_mov_b32 s5, exec_lo
                                        ; implicit-def: $vgpr1
	s_wait_loadcnt_dscnt 0x0
	v_cvt_f32_i32_e32 v0, v0
	s_delay_alu instid0(VALU_DEP_1) | instskip(NEXT) | instid1(VALU_DEP_1)
	v_and_b32_e32 v3, 0x7fffffff, v0
	v_cmpx_gt_u32_e32 0x47800000, v3
	s_xor_b32 s5, exec_lo, s5
	s_cbranch_execz .LBB234_1862
; %bb.1857:
	s_mov_b32 s6, exec_lo
                                        ; implicit-def: $vgpr1
	v_cmpx_lt_u32_e32 0x387fffff, v3
	s_xor_b32 s6, exec_lo, s6
; %bb.1858:
	v_bfe_u32 v1, v0, 21, 1
	s_delay_alu instid0(VALU_DEP_1) | instskip(NEXT) | instid1(VALU_DEP_1)
	v_add3_u32 v1, v0, v1, 0x80fffff
	v_lshrrev_b32_e32 v1, 21, v1
; %bb.1859:
	s_and_not1_saveexec_b32 s6, s6
; %bb.1860:
	v_add_f32_e64 v1, 0x43000000, |v0|
; %bb.1861:
	s_or_b32 exec_lo, exec_lo, s6
                                        ; implicit-def: $vgpr3
.LBB234_1862:
	s_and_not1_saveexec_b32 s5, s5
; %bb.1863:
	v_mov_b32_e32 v1, 0x7f
	v_cmp_lt_u32_e32 vcc_lo, 0x7f800000, v3
	s_delay_alu instid0(VALU_DEP_2)
	v_cndmask_b32_e32 v1, 0x7c, v1, vcc_lo
; %bb.1864:
	s_or_b32 exec_lo, exec_lo, s5
	v_lshrrev_b32_e32 v0, 24, v0
	s_delay_alu instid0(VALU_DEP_1)
	v_and_or_b32 v19, 0x80, v0, v1
.LBB234_1865:
	s_or_b32 exec_lo, exec_lo, s4
                                        ; implicit-def: $vgpr3
                                        ; implicit-def: $vgpr0_vgpr1
.LBB234_1866:
	s_and_not1_saveexec_b32 s3, s3
	s_cbranch_execz .LBB234_1888
; %bb.1867:
	s_mov_b32 s4, exec_lo
                                        ; implicit-def: $vgpr19
	v_cmpx_lt_i16_e32 0, v3
	s_xor_b32 s4, exec_lo, s4
	s_cbranch_execz .LBB234_1877
; %bb.1868:
	flat_load_i8 v0, v[0:1]
	s_mov_b32 s5, exec_lo
                                        ; implicit-def: $vgpr1
	s_wait_loadcnt_dscnt 0x0
	v_cvt_f32_i32_e32 v0, v0
	s_delay_alu instid0(VALU_DEP_1) | instskip(NEXT) | instid1(VALU_DEP_1)
	v_and_b32_e32 v3, 0x7fffffff, v0
	v_cmpx_gt_u32_e32 0x47800000, v3
	s_xor_b32 s5, exec_lo, s5
	s_cbranch_execz .LBB234_1874
; %bb.1869:
	s_mov_b32 s6, exec_lo
                                        ; implicit-def: $vgpr1
	v_cmpx_lt_u32_e32 0x387fffff, v3
	s_xor_b32 s6, exec_lo, s6
; %bb.1870:
	v_bfe_u32 v1, v0, 21, 1
	s_delay_alu instid0(VALU_DEP_1) | instskip(NEXT) | instid1(VALU_DEP_1)
	v_add3_u32 v1, v0, v1, 0x80fffff
	v_lshrrev_b32_e32 v1, 21, v1
; %bb.1871:
	s_and_not1_saveexec_b32 s6, s6
; %bb.1872:
	v_add_f32_e64 v1, 0x43000000, |v0|
; %bb.1873:
	s_or_b32 exec_lo, exec_lo, s6
                                        ; implicit-def: $vgpr3
.LBB234_1874:
	s_and_not1_saveexec_b32 s5, s5
; %bb.1875:
	v_mov_b32_e32 v1, 0x7f
	v_cmp_lt_u32_e32 vcc_lo, 0x7f800000, v3
	s_delay_alu instid0(VALU_DEP_2)
	v_cndmask_b32_e32 v1, 0x7c, v1, vcc_lo
; %bb.1876:
	s_or_b32 exec_lo, exec_lo, s5
	v_lshrrev_b32_e32 v0, 24, v0
	s_delay_alu instid0(VALU_DEP_1)
	v_and_or_b32 v19, 0x80, v0, v1
                                        ; implicit-def: $vgpr0_vgpr1
.LBB234_1877:
	s_and_not1_saveexec_b32 s4, s4
	s_cbranch_execz .LBB234_1887
; %bb.1878:
	flat_load_u8 v0, v[0:1]
	s_mov_b32 s5, exec_lo
                                        ; implicit-def: $vgpr19
	s_wait_loadcnt_dscnt 0x0
	v_cvt_f32_ubyte0_e32 v0, v0
	s_delay_alu instid0(VALU_DEP_1)
	v_cmpx_gt_u32_e32 0x47800000, v0
	s_xor_b32 s5, exec_lo, s5
	s_cbranch_execz .LBB234_1884
; %bb.1879:
	s_mov_b32 s6, exec_lo
                                        ; implicit-def: $vgpr19
	v_cmpx_lt_u32_e32 0x387fffff, v0
	s_xor_b32 s6, exec_lo, s6
; %bb.1880:
	v_bfe_u32 v1, v0, 21, 1
	s_delay_alu instid0(VALU_DEP_1) | instskip(NEXT) | instid1(VALU_DEP_1)
	v_add3_u32 v0, v0, v1, 0x80fffff
	v_lshrrev_b32_e32 v19, 21, v0
                                        ; implicit-def: $vgpr0
; %bb.1881:
	s_and_not1_saveexec_b32 s6, s6
; %bb.1882:
	v_add_f32_e32 v19, 0x43000000, v0
; %bb.1883:
	s_or_b32 exec_lo, exec_lo, s6
                                        ; implicit-def: $vgpr0
.LBB234_1884:
	s_and_not1_saveexec_b32 s5, s5
; %bb.1885:
	v_mov_b32_e32 v1, 0x7f
	v_cmp_lt_u32_e32 vcc_lo, 0x7f800000, v0
	s_delay_alu instid0(VALU_DEP_2)
	v_cndmask_b32_e32 v19, 0x7c, v1, vcc_lo
; %bb.1886:
	s_or_b32 exec_lo, exec_lo, s5
.LBB234_1887:
	s_delay_alu instid0(SALU_CYCLE_1)
	s_or_b32 exec_lo, exec_lo, s4
.LBB234_1888:
	s_delay_alu instid0(SALU_CYCLE_1)
	s_or_b32 exec_lo, exec_lo, s3
.LBB234_1889:
	s_delay_alu instid0(SALU_CYCLE_1) | instskip(NEXT) | instid1(SALU_CYCLE_1)
	s_or_b32 exec_lo, exec_lo, s2
	s_or_b32 s1, s1, exec_lo
.LBB234_1890:
	s_or_b32 exec_lo, exec_lo, s0
	s_mov_b32 s0, 0
	s_mov_b32 s2, 0
	;; [unrolled: 1-line block ×3, first 2 shown]
                                        ; implicit-def: $sgpr3
                                        ; implicit-def: $vgpr22_vgpr23
                                        ; implicit-def: $vgpr5
	s_and_saveexec_b32 s27, s1
	s_cbranch_execz .LBB234_2186
; %bb.1891:
	v_mbcnt_lo_u32_b32 v1, -1, 0
	v_mov_b32_e32 v0, 0x1a8
	s_get_pc_i64 s[0:1]
	s_add_nc_u64 s[0:1], s[0:1], _ZN2at6native6invokeINS0_13BinaryFunctorIN3c1011Float8_e5m2ES4_bNS0_12_GLOBAL__N_116CompareEqFunctorIS4_EEEEj15function_traitsIS8_EEENT1_11result_typeERKT_PrKPcPKT0_PKNS3_10ScalarTypeEi@rel64+4
	s_mov_b32 s28, 0
	v_lshlrev_b32_e32 v1, 20, v1
	s_delay_alu instid0(VALU_DEP_1) | instskip(SKIP_1) | instid1(VALU_DEP_1)
	v_add_nc_u64_e32 v[4:5], src_flat_scratch_base_lo, v[0:1]
	v_dual_mov_b32 v0, 12 :: v_dual_mov_b32 v3, v1
	v_add_nc_u64_e32 v[6:7], src_flat_scratch_base_lo, v[0:1]
	s_delay_alu instid0(VALU_DEP_2) | instskip(NEXT) | instid1(VALU_DEP_4)
	v_add_nc_u64_e32 v[8:9], src_flat_scratch_base_lo, v[2:3]
	v_dual_mov_b32 v0, v15 :: v_dual_mov_b32 v1, v4
	v_mov_b32_e32 v2, v5
	s_delay_alu instid0(VALU_DEP_4) | instskip(NEXT) | instid1(VALU_DEP_1)
	v_add_nc_u64_e32 v[6:7], 4, v[6:7]
	v_dual_mov_b32 v5, v8 :: v_dual_mov_b32 v3, v6
	s_delay_alu instid0(VALU_DEP_2)
	v_dual_mov_b32 v4, v7 :: v_dual_mov_b32 v6, v9
	s_swap_pc_i64 s[30:31], s[0:1]
	scratch_load_u8 v2, off, off offset:444
	v_dual_lshlrev_b32 v6, 25, v25 :: v_dual_bitop2_b32 v0, 1, v0 bitop3:0x40
	v_lshlrev_b32_e32 v7, 25, v21
	s_movk_i32 s0, 0x7f00
	s_mov_b32 s4, s26
	s_delay_alu instid0(VALU_DEP_2)
	v_cmp_eq_u32_e64 s3, 1, v0
	v_perm_b32 v0, v25, v21, 0x5040100
	v_lshrrev_b32_e32 v1, 4, v6
	v_cmp_gt_u32_e32 vcc_lo, 0x8000000, v6
	s_mov_b32 s2, exec_lo
	v_lshrrev_b32_e32 v8, 4, v7
	v_pk_lshlrev_b16 v3, 8, v0 op_sel_hi:[0,1]
	v_or_b32_e32 v1, 0x70000000, v1
	v_mov_b32_e32 v29, 0
	s_delay_alu instid0(VALU_DEP_3) | instskip(SKIP_2) | instid1(VALU_DEP_2)
	v_and_b32_e32 v0, 0x7f007f00, v3
	v_bitop3_b32 v4, v3, s0, 0x7f007f00 bitop3:0x80
	s_mov_b32 s0, 0x7800000
	v_lshrrev_b32_e32 v0, 16, v0
	s_delay_alu instid0(VALU_DEP_1) | instskip(SKIP_3) | instid1(VALU_DEP_3)
	v_or_b32_e32 v5, 0.5, v0
	v_or_b32_e32 v0, 0x70000000, v8
	v_ashrrev_i32_e32 v8, 16, v3
	v_bfe_i32 v3, v3, 0, 16
	v_pk_mul_f32 v[0:1], v[0:1], s[0:1] op_sel_hi:[1,0]
	v_or_b32_e32 v4, 0.5, v4
	s_delay_alu instid0(VALU_DEP_3) | instskip(NEXT) | instid1(VALU_DEP_2)
	v_and_b32_e32 v3, 0x80000000, v3
	v_pk_add_f32 v[4:5], v[4:5], -0.5 op_sel_hi:[1,0]
	s_delay_alu instid0(VALU_DEP_1) | instskip(SKIP_1) | instid1(VALU_DEP_3)
	v_cndmask_b32_e32 v1, v1, v5, vcc_lo
	v_cmp_gt_u32_e32 vcc_lo, 0x8000000, v7
	v_cndmask_b32_e32 v0, v0, v4, vcc_lo
	v_and_b32_e32 v4, 0x80000000, v8
	s_delay_alu instid0(VALU_DEP_2) | instskip(NEXT) | instid1(VALU_DEP_2)
	v_or_b32_e32 v0, v3, v0
	v_or_b32_e32 v1, v4, v1
	s_delay_alu instid0(VALU_DEP_1) | instskip(SKIP_4) | instid1(VALU_DEP_2)
	v_cmp_eq_f32_e32 vcc_lo, v0, v1
	v_cndmask_b32_e64 v3, 0, 1, vcc_lo
	v_cmp_neq_f32_e32 vcc_lo, v0, v1
	v_cndmask_b32_e64 v0, 0, 1, vcc_lo
	v_cmp_eq_u32_e32 vcc_lo, 0, v15
	v_cndmask_b32_e32 v0, v0, v3, vcc_lo
	s_delay_alu instid0(VALU_DEP_1) | instskip(SKIP_1) | instid1(VALU_DEP_2)
	v_and_b32_e32 v3, 1, v0
	v_add_nc_u64_e32 v[0:1], v[16:17], v[28:29]
	v_cmp_eq_u32_e64 s0, 1, v3
	s_wait_loadcnt 0x0
	v_cmpx_lt_i16_e32 10, v2
	s_xor_b32 s5, exec_lo, s2
	s_cbranch_execz .LBB234_1932
; %bb.1892:
	s_mov_b32 s6, 0
	s_mov_b32 s4, 0
	;; [unrolled: 1-line block ×3, first 2 shown]
	s_mov_b32 s7, exec_lo
	v_cmpx_lt_i16_e32 25, v2
	s_xor_b32 s7, exec_lo, s7
	s_cbranch_execz .LBB234_2645
; %bb.1893:
	s_mov_b32 s8, 0
	s_mov_b32 s4, exec_lo
	v_cmpx_lt_i16_e32 28, v2
	s_xor_b32 s4, exec_lo, s4
	s_cbranch_execz .LBB234_1911
; %bb.1894:
	s_mov_b32 s9, 0
	;; [unrolled: 6-line block ×3, first 2 shown]
	s_mov_b32 s2, exec_lo
	v_cmpx_lt_i16_e32 45, v2
	s_xor_b32 s2, exec_lo, s2
	s_cbranch_execz .LBB234_1899
; %bb.1896:
	s_mov_b32 s11, -1
	s_mov_b32 s10, exec_lo
	v_cmpx_eq_u16_e32 46, v2
	s_cbranch_execz .LBB234_1898
; %bb.1897:
	v_cndmask_b32_e64 v2, 0, 1.0, s0
	s_mov_b32 s9, exec_lo
	s_xor_b32 s11, exec_lo, -1
	s_delay_alu instid0(VALU_DEP_1) | instskip(NEXT) | instid1(VALU_DEP_1)
	v_bfe_u32 v3, v2, 16, 1
	v_add3_u32 v2, v2, v3, 0x7fff
	s_delay_alu instid0(VALU_DEP_1)
	v_lshrrev_b32_e32 v2, 16, v2
	flat_store_b32 v[0:1], v2
.LBB234_1898:
	s_wait_xcnt 0x0
	s_or_b32 exec_lo, exec_lo, s10
	s_delay_alu instid0(SALU_CYCLE_1)
	s_and_b32 s10, s9, exec_lo
	s_and_b32 s9, s11, exec_lo
                                        ; implicit-def: $vgpr2
.LBB234_1899:
	s_and_not1_saveexec_b32 s11, s2
	s_cbranch_execz .LBB234_1905
; %bb.1900:
	s_mov_b32 s2, -1
	s_mov_b32 s13, s10
	s_mov_b32 s12, exec_lo
	v_cmpx_eq_u16_e32 44, v2
	s_cbranch_execz .LBB234_1904
; %bb.1901:
	v_cndmask_b32_e64 v4, 0, 1.0, s0
	s_mov_b32 s13, exec_lo
	s_delay_alu instid0(VALU_DEP_1) | instskip(NEXT) | instid1(VALU_DEP_1)
	v_dual_mov_b32 v3, 0xff :: v_dual_lshrrev_b32 v2, 23, v4
	v_cmpx_ne_u32_e32 0xff, v2
; %bb.1902:
	v_and_b32_e32 v3, 0x400000, v4
	v_and_or_b32 v4, 0x3fffff, v4, v2
	s_delay_alu instid0(VALU_DEP_2) | instskip(NEXT) | instid1(VALU_DEP_2)
	v_cmp_ne_u32_e64 s1, 0, v3
	v_cmp_ne_u32_e64 s2, 0, v4
	s_and_b32 s1, s1, s2
	s_delay_alu instid0(SALU_CYCLE_1) | instskip(NEXT) | instid1(VALU_DEP_1)
	v_cndmask_b32_e64 v3, 0, 1, s1
	v_add_nc_u32_e32 v3, v2, v3
; %bb.1903:
	s_or_b32 exec_lo, exec_lo, s13
	s_delay_alu instid0(SALU_CYCLE_1)
	s_or_b32 s13, s10, exec_lo
	s_xor_b32 s2, exec_lo, -1
	flat_store_b8 v[0:1], v3
.LBB234_1904:
	s_wait_xcnt 0x0
	s_or_b32 exec_lo, exec_lo, s12
	s_delay_alu instid0(SALU_CYCLE_1)
	s_and_not1_b32 s1, s10, exec_lo
	s_and_b32 s10, s13, exec_lo
	s_and_not1_b32 s9, s9, exec_lo
	s_and_b32 s2, s2, exec_lo
	s_or_b32 s10, s1, s10
	s_or_b32 s9, s9, s2
.LBB234_1905:
	s_or_b32 exec_lo, exec_lo, s11
	s_delay_alu instid0(SALU_CYCLE_1)
	s_and_b32 s2, s10, exec_lo
	s_and_b32 s9, s9, exec_lo
                                        ; implicit-def: $vgpr2
.LBB234_1906:
	s_and_not1_saveexec_b32 s8, s8
	s_cbranch_execz .LBB234_1910
; %bb.1907:
	s_mov_b32 s10, -1
	s_mov_b32 s12, s2
	s_mov_b32 s11, exec_lo
	v_cmpx_eq_u16_e32 29, v2
	s_cbranch_execz .LBB234_1909
; %bb.1908:
	s_mov_b32 s1, 0
	v_cndmask_b32_e64 v2, 0, 1, s0
	v_mov_b32_e32 v3, s1
	s_or_b32 s12, s2, exec_lo
	s_xor_b32 s10, exec_lo, -1
	flat_store_b64 v[0:1], v[2:3]
.LBB234_1909:
	s_wait_xcnt 0x0
	s_or_b32 exec_lo, exec_lo, s11
	s_delay_alu instid0(SALU_CYCLE_1)
	s_and_not1_b32 s1, s2, exec_lo
	s_and_b32 s2, s12, exec_lo
	s_and_not1_b32 s9, s9, exec_lo
	s_and_b32 s10, s10, exec_lo
	s_or_b32 s2, s1, s2
	s_or_b32 s9, s9, s10
.LBB234_1910:
	s_or_b32 exec_lo, exec_lo, s8
	s_delay_alu instid0(SALU_CYCLE_1)
	s_and_b32 s2, s2, exec_lo
	s_and_b32 s8, s9, exec_lo
                                        ; implicit-def: $vgpr2
.LBB234_1911:
	s_and_not1_saveexec_b32 s4, s4
	s_cbranch_execz .LBB234_1927
; %bb.1912:
	s_mov_b32 s9, exec_lo
	v_cmpx_lt_i16_e32 26, v2
	s_xor_b32 s9, exec_lo, s9
	s_cbranch_execz .LBB234_1918
; %bb.1913:
	v_cmp_lt_i16_e64 s1, 27, v2
	s_and_saveexec_b32 s10, s1
	s_delay_alu instid0(SALU_CYCLE_1)
	s_xor_b32 s1, exec_lo, s10
	s_cbranch_execz .LBB234_1915
; %bb.1914:
	v_cndmask_b32_e64 v2, 0, 1, s0
	flat_store_b32 v[0:1], v2
.LBB234_1915:
	s_wait_xcnt 0x0
	s_and_not1_saveexec_b32 s1, s1
	s_cbranch_execz .LBB234_1917
; %bb.1916:
	v_cndmask_b32_e64 v2, 0, 1, s0
	flat_store_b16 v[0:1], v2
.LBB234_1917:
	s_wait_xcnt 0x0
	s_or_b32 exec_lo, exec_lo, s1
.LBB234_1918:
	s_and_not1_saveexec_b32 s9, s9
	s_cbranch_execz .LBB234_1926
; %bb.1919:
	v_cndmask_b32_e64 v3, 0, 1.0, s0
	v_mov_b32_e32 v4, 0x80
	s_mov_b32 s10, exec_lo
	s_delay_alu instid0(VALU_DEP_2)
	v_cmpx_gt_u32_e32 0x43800000, v3
	s_cbranch_execz .LBB234_1925
; %bb.1920:
	v_cmp_lt_u32_e64 s1, 0x3bffffff, v3
	s_mov_b32 s11, 0
                                        ; implicit-def: $vgpr2
	s_and_saveexec_b32 s12, s1
	s_delay_alu instid0(SALU_CYCLE_1)
	s_xor_b32 s1, exec_lo, s12
	s_cbranch_execz .LBB234_2839
; %bb.1921:
	v_bfe_u32 v2, v3, 20, 1
	s_mov_b32 s11, exec_lo
	s_delay_alu instid0(VALU_DEP_1) | instskip(NEXT) | instid1(VALU_DEP_1)
	v_add3_u32 v2, v3, v2, 0x487ffff
                                        ; implicit-def: $vgpr3
	v_lshrrev_b32_e32 v2, 20, v2
	s_and_not1_saveexec_b32 s12, s1
	s_cbranch_execnz .LBB234_2840
.LBB234_1922:
	s_or_b32 exec_lo, exec_lo, s12
	v_mov_b32_e32 v4, 0
	s_and_saveexec_b32 s1, s11
.LBB234_1923:
	v_mov_b32_e32 v4, v2
.LBB234_1924:
	s_or_b32 exec_lo, exec_lo, s1
.LBB234_1925:
	s_delay_alu instid0(SALU_CYCLE_1)
	s_or_b32 exec_lo, exec_lo, s10
	flat_store_b8 v[0:1], v4
.LBB234_1926:
	s_wait_xcnt 0x0
	s_or_b32 exec_lo, exec_lo, s9
	s_delay_alu instid0(SALU_CYCLE_1)
	s_or_b32 s2, s2, exec_lo
.LBB234_1927:
	s_or_b32 exec_lo, exec_lo, s4
	s_delay_alu instid0(SALU_CYCLE_1)
	s_and_b32 s2, s2, exec_lo
	s_and_b32 s4, s8, exec_lo
                                        ; implicit-def: $vgpr2
	s_and_not1_saveexec_b32 s7, s7
	s_cbranch_execnz .LBB234_2646
.LBB234_1928:
	s_or_b32 exec_lo, exec_lo, s7
	s_mov_b32 s1, s26
	s_and_saveexec_b32 s7, s4
	s_cbranch_execnz .LBB234_2687
.LBB234_1929:
	s_or_b32 exec_lo, exec_lo, s7
	s_and_saveexec_b32 s4, s6
	s_delay_alu instid0(SALU_CYCLE_1)
	s_xor_b32 s4, exec_lo, s4
	s_cbranch_execz .LBB234_1931
.LBB234_1930:
	v_cndmask_b32_e64 v2, 0, 1, s0
	s_or_b32 s2, s2, exec_lo
	flat_store_b8 v[0:1], v2
.LBB234_1931:
	s_wait_xcnt 0x0
	s_or_b32 exec_lo, exec_lo, s4
	s_delay_alu instid0(SALU_CYCLE_1)
	s_and_not1_b32 s4, s26, exec_lo
	s_and_b32 s1, s1, exec_lo
	s_and_b32 s28, s2, exec_lo
	s_or_b32 s4, s4, s1
                                        ; implicit-def: $vgpr2
                                        ; implicit-def: $vgpr0_vgpr1
.LBB234_1932:
	s_and_not1_saveexec_b32 s2, s5
	s_cbranch_execz .LBB234_1974
; %bb.1933:
	s_mov_b32 s5, exec_lo
	v_cmpx_lt_i16_e32 4, v2
	s_xor_b32 s5, exec_lo, s5
	s_cbranch_execz .LBB234_1955
; %bb.1934:
	s_mov_b32 s6, exec_lo
	v_cmpx_lt_i16_e32 7, v2
	s_xor_b32 s6, exec_lo, s6
	;; [unrolled: 5-line block ×3, first 2 shown]
	s_cbranch_execz .LBB234_1941
; %bb.1936:
	v_cmp_lt_i16_e64 s1, 9, v2
	s_and_saveexec_b32 s8, s1
	s_delay_alu instid0(SALU_CYCLE_1)
	s_xor_b32 s1, exec_lo, s8
	s_cbranch_execz .LBB234_1938
; %bb.1937:
	v_cndmask_b32_e64 v2, 0, 1, s0
	v_mov_b32_e32 v4, 0
	s_delay_alu instid0(VALU_DEP_2) | instskip(NEXT) | instid1(VALU_DEP_2)
	v_cvt_f64_u32_e32 v[2:3], v2
	v_mov_b32_e32 v5, v4
	flat_store_b128 v[0:1], v[2:5]
                                        ; implicit-def: $vgpr0_vgpr1
.LBB234_1938:
	s_wait_xcnt 0x0
	s_and_not1_saveexec_b32 s1, s1
	s_cbranch_execz .LBB234_1940
; %bb.1939:
	v_cndmask_b32_e64 v2, 0, 1.0, s0
	v_mov_b32_e32 v3, 0
	flat_store_b64 v[0:1], v[2:3]
.LBB234_1940:
	s_wait_xcnt 0x0
	s_or_b32 exec_lo, exec_lo, s1
                                        ; implicit-def: $vgpr0_vgpr1
.LBB234_1941:
	s_and_not1_saveexec_b32 s1, s7
	s_cbranch_execz .LBB234_1943
; %bb.1942:
	v_cndmask_b32_e64 v2, 0, 1.0, s0
	s_delay_alu instid0(VALU_DEP_1) | instskip(NEXT) | instid1(VALU_DEP_1)
	v_cvt_f16_f32_e32 v2, v2
	v_and_b32_e32 v2, 0xffff, v2
	flat_store_b32 v[0:1], v2
.LBB234_1943:
	s_wait_xcnt 0x0
	s_or_b32 exec_lo, exec_lo, s1
                                        ; implicit-def: $vgpr0_vgpr1
                                        ; implicit-def: $vgpr2
.LBB234_1944:
	s_and_not1_saveexec_b32 s6, s6
	s_cbranch_execz .LBB234_1954
; %bb.1945:
	s_mov_b32 s7, exec_lo
	v_cmpx_lt_i16_e32 5, v2
	s_xor_b32 s7, exec_lo, s7
	s_cbranch_execz .LBB234_1951
; %bb.1946:
	v_cmp_lt_i16_e64 s1, 6, v2
	s_and_saveexec_b32 s8, s1
	s_delay_alu instid0(SALU_CYCLE_1)
	s_xor_b32 s1, exec_lo, s8
	s_cbranch_execz .LBB234_1948
; %bb.1947:
	v_cndmask_b32_e64 v2, 0, 1, s0
	s_delay_alu instid0(VALU_DEP_1)
	v_cvt_f64_u32_e32 v[2:3], v2
	flat_store_b64 v[0:1], v[2:3]
                                        ; implicit-def: $vgpr0_vgpr1
.LBB234_1948:
	s_wait_xcnt 0x0
	s_and_not1_saveexec_b32 s1, s1
	s_cbranch_execz .LBB234_1950
; %bb.1949:
	v_cndmask_b32_e64 v2, 0, 1.0, s0
	flat_store_b32 v[0:1], v2
.LBB234_1950:
	s_wait_xcnt 0x0
	s_or_b32 exec_lo, exec_lo, s1
                                        ; implicit-def: $vgpr0_vgpr1
.LBB234_1951:
	s_and_not1_saveexec_b32 s1, s7
	s_cbranch_execz .LBB234_1953
; %bb.1952:
	v_cndmask_b32_e64 v2, 0, 1.0, s0
	s_delay_alu instid0(VALU_DEP_1)
	v_cvt_f16_f32_e32 v2, v2
	flat_store_b16 v[0:1], v2
.LBB234_1953:
	s_wait_xcnt 0x0
	s_or_b32 exec_lo, exec_lo, s1
.LBB234_1954:
	s_delay_alu instid0(SALU_CYCLE_1)
	s_or_b32 exec_lo, exec_lo, s6
                                        ; implicit-def: $vgpr2
                                        ; implicit-def: $vgpr0_vgpr1
.LBB234_1955:
	s_and_not1_saveexec_b32 s5, s5
	s_cbranch_execz .LBB234_1973
; %bb.1956:
	s_mov_b32 s6, exec_lo
	v_cmpx_lt_i16_e32 1, v2
	s_xor_b32 s6, exec_lo, s6
	s_cbranch_execz .LBB234_1966
; %bb.1957:
	s_mov_b32 s7, exec_lo
	v_cmpx_lt_i16_e32 2, v2
	s_xor_b32 s7, exec_lo, s7
	s_cbranch_execz .LBB234_1963
; %bb.1958:
	v_cmp_lt_i16_e64 s1, 3, v2
	s_and_saveexec_b32 s8, s1
	s_delay_alu instid0(SALU_CYCLE_1)
	s_xor_b32 s1, exec_lo, s8
	s_cbranch_execz .LBB234_1960
; %bb.1959:
	s_mov_b32 s8, 0
	v_cndmask_b32_e64 v2, 0, 1, s0
	v_mov_b32_e32 v3, s8
	flat_store_b64 v[0:1], v[2:3]
                                        ; implicit-def: $vgpr0_vgpr1
.LBB234_1960:
	s_wait_xcnt 0x0
	s_and_not1_saveexec_b32 s1, s1
	s_cbranch_execz .LBB234_1962
; %bb.1961:
	v_cndmask_b32_e64 v2, 0, 1, s0
	flat_store_b32 v[0:1], v2
.LBB234_1962:
	s_wait_xcnt 0x0
	s_or_b32 exec_lo, exec_lo, s1
                                        ; implicit-def: $vgpr0_vgpr1
.LBB234_1963:
	s_and_not1_saveexec_b32 s1, s7
	s_cbranch_execz .LBB234_1965
; %bb.1964:
	v_cndmask_b32_e64 v2, 0, 1, s0
	flat_store_b16 v[0:1], v2
.LBB234_1965:
	s_wait_xcnt 0x0
	s_or_b32 exec_lo, exec_lo, s1
                                        ; implicit-def: $vgpr0_vgpr1
                                        ; implicit-def: $vgpr2
.LBB234_1966:
	s_and_not1_saveexec_b32 s6, s6
	s_cbranch_execz .LBB234_1972
; %bb.1967:
	v_cmp_lt_i16_e64 s1, 0, v2
	v_cndmask_b32_e64 v2, 0, 1, s0
	s_and_saveexec_b32 s0, s1
	s_delay_alu instid0(SALU_CYCLE_1)
	s_xor_b32 s0, exec_lo, s0
	s_cbranch_execz .LBB234_1969
; %bb.1968:
	flat_store_b8 v[0:1], v2
                                        ; implicit-def: $vgpr0_vgpr1
                                        ; implicit-def: $vgpr2
.LBB234_1969:
	s_wait_xcnt 0x0
	s_and_not1_saveexec_b32 s0, s0
	s_cbranch_execz .LBB234_1971
; %bb.1970:
	flat_store_b8 v[0:1], v2
.LBB234_1971:
	s_wait_xcnt 0x0
	s_or_b32 exec_lo, exec_lo, s0
.LBB234_1972:
	s_delay_alu instid0(SALU_CYCLE_1)
	s_or_b32 exec_lo, exec_lo, s6
.LBB234_1973:
	s_delay_alu instid0(SALU_CYCLE_1) | instskip(NEXT) | instid1(SALU_CYCLE_1)
	s_or_b32 exec_lo, exec_lo, s5
	s_or_b32 s28, s28, exec_lo
.LBB234_1974:
	s_or_b32 exec_lo, exec_lo, s2
	s_mov_b32 s0, 0
	s_mov_b32 s1, 0
	;; [unrolled: 1-line block ×3, first 2 shown]
                                        ; implicit-def: $vgpr22_vgpr23
                                        ; implicit-def: $vgpr5
	s_and_saveexec_b32 s5, s28
	s_cbranch_execz .LBB234_2185
; %bb.1975:
	scratch_load_u8 v2, off, off offset:444
	v_perm_b32 v0, v30, v27, 0x5040100
	v_dual_lshlrev_b32 v6, 25, v30 :: v_dual_lshlrev_b32 v7, 25, v27
	s_movk_i32 s0, 0x7f00
	s_mov_b32 s7, 0
	s_delay_alu instid0(VALU_DEP_2) | instskip(SKIP_3) | instid1(VALU_DEP_2)
	v_pk_lshlrev_b16 v3, 8, v0 op_sel_hi:[0,1]
	s_mov_b32 s2, s4
	s_mov_b32 s6, exec_lo
	v_mov_b32_e32 v27, 0
	v_and_b32_e32 v0, 0x7f007f00, v3
	v_lshrrev_b32_e32 v1, 4, v6
	v_bitop3_b32 v4, v3, s0, 0x7f007f00 bitop3:0x80
	s_mov_b32 s0, 0x7800000
	s_delay_alu instid0(VALU_DEP_3) | instskip(NEXT) | instid1(VALU_DEP_3)
	v_dual_lshrrev_b32 v0, 16, v0 :: v_dual_lshrrev_b32 v8, 4, v7
	v_or_b32_e32 v1, 0x70000000, v1
	s_delay_alu instid0(VALU_DEP_3) | instskip(NEXT) | instid1(VALU_DEP_3)
	v_or_b32_e32 v4, 0.5, v4
	v_or_b32_e32 v5, 0.5, v0
	s_delay_alu instid0(VALU_DEP_4) | instskip(SKIP_2) | instid1(VALU_DEP_4)
	v_or_b32_e32 v0, 0x70000000, v8
	v_ashrrev_i32_e32 v8, 16, v3
	v_bfe_i32 v3, v3, 0, 16
	v_pk_add_f32 v[4:5], v[4:5], -0.5 op_sel_hi:[1,0]
	s_delay_alu instid0(VALU_DEP_4) | instskip(SKIP_1) | instid1(VALU_DEP_4)
	v_pk_mul_f32 v[0:1], v[0:1], s[0:1] op_sel_hi:[1,0]
	v_cmp_gt_u32_e64 s0, 0x8000000, v6
	v_and_b32_e32 v3, 0x80000000, v3
	s_delay_alu instid0(VALU_DEP_2) | instskip(SKIP_1) | instid1(VALU_DEP_1)
	v_cndmask_b32_e64 v1, v1, v5, s0
	v_cmp_gt_u32_e64 s0, 0x8000000, v7
	v_cndmask_b32_e64 v0, v0, v4, s0
	v_and_b32_e32 v4, 0x80000000, v8
	s_delay_alu instid0(VALU_DEP_2) | instskip(NEXT) | instid1(VALU_DEP_2)
	v_or_b32_e32 v0, v3, v0
	v_or_b32_e32 v1, v4, v1
	s_delay_alu instid0(VALU_DEP_1) | instskip(NEXT) | instid1(VALU_DEP_1)
	v_cmp_eq_f32_e64 s0, v0, v1
	v_cndmask_b32_e64 v3, 0, 1, s0
	v_cmp_neq_f32_e64 s0, v0, v1
	s_delay_alu instid0(VALU_DEP_1) | instskip(NEXT) | instid1(VALU_DEP_1)
	v_cndmask_b32_e64 v0, 0, 1, s0
	v_cndmask_b32_e32 v0, v0, v3, vcc_lo
	s_delay_alu instid0(VALU_DEP_1) | instskip(SKIP_1) | instid1(VALU_DEP_2)
	v_and_b32_e32 v3, 1, v0
	v_add_nc_u64_e32 v[0:1], v[16:17], v[26:27]
	v_cmp_eq_u32_e64 s0, 1, v3
	s_wait_loadcnt 0x0
	v_cmpx_lt_i16_e32 10, v2
	s_xor_b32 s6, exec_lo, s6
	s_cbranch_execz .LBB234_2016
; %bb.1976:
	s_mov_b32 s8, 0
	s_mov_b32 s2, 0
	s_mov_b32 s9, exec_lo
	v_cmpx_lt_i16_e32 25, v2
	s_xor_b32 s9, exec_lo, s9
	s_cbranch_execz .LBB234_2696
; %bb.1977:
	s_mov_b32 s10, 0
	s_mov_b32 s7, exec_lo
	v_cmpx_lt_i16_e32 28, v2
	s_xor_b32 s7, exec_lo, s7
	s_cbranch_execz .LBB234_1995
; %bb.1978:
	;; [unrolled: 6-line block ×4, first 2 shown]
	s_mov_b32 s13, -1
	s_mov_b32 s12, exec_lo
	v_cmpx_eq_u16_e32 46, v2
	s_cbranch_execz .LBB234_1982
; %bb.1981:
	v_cndmask_b32_e64 v2, 0, 1.0, s0
	s_mov_b32 s11, exec_lo
	s_xor_b32 s13, exec_lo, -1
	s_delay_alu instid0(VALU_DEP_1) | instskip(NEXT) | instid1(VALU_DEP_1)
	v_bfe_u32 v3, v2, 16, 1
	v_add3_u32 v2, v2, v3, 0x7fff
	s_delay_alu instid0(VALU_DEP_1)
	v_lshrrev_b32_e32 v2, 16, v2
	flat_store_b32 v[0:1], v2
.LBB234_1982:
	s_wait_xcnt 0x0
	s_or_b32 exec_lo, exec_lo, s12
	s_delay_alu instid0(SALU_CYCLE_1)
	s_and_b32 s12, s11, exec_lo
	s_and_b32 s11, s13, exec_lo
                                        ; implicit-def: $vgpr2
.LBB234_1983:
	s_and_not1_saveexec_b32 s13, s2
	s_cbranch_execz .LBB234_1989
; %bb.1984:
	s_mov_b32 s2, -1
	s_mov_b32 s29, s12
	s_mov_b32 s28, exec_lo
	v_cmpx_eq_u16_e32 44, v2
	s_cbranch_execz .LBB234_1988
; %bb.1985:
	v_cndmask_b32_e64 v4, 0, 1.0, s0
	s_mov_b32 s29, exec_lo
	s_delay_alu instid0(VALU_DEP_1) | instskip(NEXT) | instid1(VALU_DEP_1)
	v_dual_mov_b32 v3, 0xff :: v_dual_lshrrev_b32 v2, 23, v4
	v_cmpx_ne_u32_e32 0xff, v2
; %bb.1986:
	v_and_b32_e32 v3, 0x400000, v4
	v_and_or_b32 v4, 0x3fffff, v4, v2
	s_delay_alu instid0(VALU_DEP_2) | instskip(NEXT) | instid1(VALU_DEP_2)
	v_cmp_ne_u32_e64 s1, 0, v3
	v_cmp_ne_u32_e64 s2, 0, v4
	s_and_b32 s1, s1, s2
	s_delay_alu instid0(SALU_CYCLE_1) | instskip(NEXT) | instid1(VALU_DEP_1)
	v_cndmask_b32_e64 v3, 0, 1, s1
	v_add_nc_u32_e32 v3, v2, v3
; %bb.1987:
	s_or_b32 exec_lo, exec_lo, s29
	s_delay_alu instid0(SALU_CYCLE_1)
	s_or_b32 s29, s12, exec_lo
	s_xor_b32 s2, exec_lo, -1
	flat_store_b8 v[0:1], v3
.LBB234_1988:
	s_wait_xcnt 0x0
	s_or_b32 exec_lo, exec_lo, s28
	s_delay_alu instid0(SALU_CYCLE_1)
	s_and_not1_b32 s1, s12, exec_lo
	s_and_b32 s12, s29, exec_lo
	s_and_not1_b32 s11, s11, exec_lo
	s_and_b32 s2, s2, exec_lo
	s_or_b32 s12, s1, s12
	s_or_b32 s11, s11, s2
.LBB234_1989:
	s_or_b32 exec_lo, exec_lo, s13
	s_delay_alu instid0(SALU_CYCLE_1)
	s_and_b32 s12, s12, exec_lo
	s_and_b32 s2, s11, exec_lo
                                        ; implicit-def: $vgpr2
.LBB234_1990:
	s_and_not1_saveexec_b32 s10, s10
	s_cbranch_execz .LBB234_1994
; %bb.1991:
	s_mov_b32 s11, -1
	s_mov_b32 s28, s12
	s_mov_b32 s13, exec_lo
	v_cmpx_eq_u16_e32 29, v2
	s_cbranch_execz .LBB234_1993
; %bb.1992:
	s_mov_b32 s1, 0
	v_cndmask_b32_e64 v2, 0, 1, s0
	v_mov_b32_e32 v3, s1
	s_or_b32 s28, s12, exec_lo
	s_xor_b32 s11, exec_lo, -1
	flat_store_b64 v[0:1], v[2:3]
.LBB234_1993:
	s_wait_xcnt 0x0
	s_or_b32 exec_lo, exec_lo, s13
	s_delay_alu instid0(SALU_CYCLE_1)
	s_and_not1_b32 s1, s12, exec_lo
	s_and_b32 s12, s28, exec_lo
	s_and_not1_b32 s2, s2, exec_lo
	s_and_b32 s11, s11, exec_lo
	s_or_b32 s12, s1, s12
	s_or_b32 s2, s2, s11
.LBB234_1994:
	s_or_b32 exec_lo, exec_lo, s10
	s_delay_alu instid0(SALU_CYCLE_1)
	s_and_b32 s10, s12, exec_lo
	s_and_b32 s2, s2, exec_lo
                                        ; implicit-def: $vgpr2
.LBB234_1995:
	s_and_not1_saveexec_b32 s7, s7
	s_cbranch_execz .LBB234_2011
; %bb.1996:
	s_mov_b32 s11, exec_lo
	v_cmpx_lt_i16_e32 26, v2
	s_xor_b32 s11, exec_lo, s11
	s_cbranch_execz .LBB234_2002
; %bb.1997:
	v_cmp_lt_i16_e64 s1, 27, v2
	s_and_saveexec_b32 s12, s1
	s_delay_alu instid0(SALU_CYCLE_1)
	s_xor_b32 s1, exec_lo, s12
	s_cbranch_execz .LBB234_1999
; %bb.1998:
	v_cndmask_b32_e64 v2, 0, 1, s0
	flat_store_b32 v[0:1], v2
.LBB234_1999:
	s_wait_xcnt 0x0
	s_and_not1_saveexec_b32 s1, s1
	s_cbranch_execz .LBB234_2001
; %bb.2000:
	v_cndmask_b32_e64 v2, 0, 1, s0
	flat_store_b16 v[0:1], v2
.LBB234_2001:
	s_wait_xcnt 0x0
	s_or_b32 exec_lo, exec_lo, s1
.LBB234_2002:
	s_and_not1_saveexec_b32 s11, s11
	s_cbranch_execz .LBB234_2010
; %bb.2003:
	v_cndmask_b32_e64 v3, 0, 1.0, s0
	v_mov_b32_e32 v4, 0x80
	s_mov_b32 s12, exec_lo
	s_delay_alu instid0(VALU_DEP_2)
	v_cmpx_gt_u32_e32 0x43800000, v3
	s_cbranch_execz .LBB234_2009
; %bb.2004:
	v_cmp_lt_u32_e64 s1, 0x3bffffff, v3
	s_mov_b32 s13, 0
                                        ; implicit-def: $vgpr2
	s_and_saveexec_b32 s28, s1
	s_delay_alu instid0(SALU_CYCLE_1)
	s_xor_b32 s1, exec_lo, s28
	s_cbranch_execz .LBB234_2841
; %bb.2005:
	v_bfe_u32 v2, v3, 20, 1
	s_mov_b32 s13, exec_lo
	s_delay_alu instid0(VALU_DEP_1) | instskip(NEXT) | instid1(VALU_DEP_1)
	v_add3_u32 v2, v3, v2, 0x487ffff
                                        ; implicit-def: $vgpr3
	v_lshrrev_b32_e32 v2, 20, v2
	s_and_not1_saveexec_b32 s28, s1
	s_cbranch_execnz .LBB234_2842
.LBB234_2006:
	s_or_b32 exec_lo, exec_lo, s28
	v_mov_b32_e32 v4, 0
	s_and_saveexec_b32 s1, s13
.LBB234_2007:
	v_mov_b32_e32 v4, v2
.LBB234_2008:
	s_or_b32 exec_lo, exec_lo, s1
.LBB234_2009:
	s_delay_alu instid0(SALU_CYCLE_1)
	s_or_b32 exec_lo, exec_lo, s12
	flat_store_b8 v[0:1], v4
.LBB234_2010:
	s_wait_xcnt 0x0
	s_or_b32 exec_lo, exec_lo, s11
	s_delay_alu instid0(SALU_CYCLE_1)
	s_or_b32 s10, s10, exec_lo
.LBB234_2011:
	s_or_b32 exec_lo, exec_lo, s7
	s_delay_alu instid0(SALU_CYCLE_1)
	s_and_b32 s7, s10, exec_lo
	s_and_b32 s2, s2, exec_lo
                                        ; implicit-def: $vgpr2
	s_and_not1_saveexec_b32 s9, s9
	s_cbranch_execnz .LBB234_2697
.LBB234_2012:
	s_or_b32 exec_lo, exec_lo, s9
	s_mov_b32 s1, s4
	s_and_saveexec_b32 s9, s2
	s_cbranch_execnz .LBB234_2738
.LBB234_2013:
	s_or_b32 exec_lo, exec_lo, s9
	s_and_saveexec_b32 s2, s8
	s_delay_alu instid0(SALU_CYCLE_1)
	s_xor_b32 s2, exec_lo, s2
	s_cbranch_execz .LBB234_2015
.LBB234_2014:
	v_cndmask_b32_e64 v2, 0, 1, s0
	s_or_b32 s7, s7, exec_lo
	flat_store_b8 v[0:1], v2
.LBB234_2015:
	s_wait_xcnt 0x0
	s_or_b32 exec_lo, exec_lo, s2
	s_delay_alu instid0(SALU_CYCLE_1)
	s_and_not1_b32 s2, s4, exec_lo
	s_and_b32 s1, s1, exec_lo
	s_and_b32 s7, s7, exec_lo
	s_or_b32 s2, s2, s1
                                        ; implicit-def: $vgpr2
                                        ; implicit-def: $vgpr0_vgpr1
.LBB234_2016:
	s_and_not1_saveexec_b32 s6, s6
	s_cbranch_execz .LBB234_2058
; %bb.2017:
	s_mov_b32 s8, exec_lo
	v_cmpx_lt_i16_e32 4, v2
	s_xor_b32 s8, exec_lo, s8
	s_cbranch_execz .LBB234_2039
; %bb.2018:
	s_mov_b32 s9, exec_lo
	v_cmpx_lt_i16_e32 7, v2
	s_xor_b32 s9, exec_lo, s9
	;; [unrolled: 5-line block ×3, first 2 shown]
	s_cbranch_execz .LBB234_2025
; %bb.2020:
	v_cmp_lt_i16_e64 s1, 9, v2
	s_and_saveexec_b32 s11, s1
	s_delay_alu instid0(SALU_CYCLE_1)
	s_xor_b32 s1, exec_lo, s11
	s_cbranch_execz .LBB234_2022
; %bb.2021:
	v_cndmask_b32_e64 v2, 0, 1, s0
	v_mov_b32_e32 v4, 0
	s_delay_alu instid0(VALU_DEP_2) | instskip(NEXT) | instid1(VALU_DEP_2)
	v_cvt_f64_u32_e32 v[2:3], v2
	v_mov_b32_e32 v5, v4
	flat_store_b128 v[0:1], v[2:5]
                                        ; implicit-def: $vgpr0_vgpr1
.LBB234_2022:
	s_wait_xcnt 0x0
	s_and_not1_saveexec_b32 s1, s1
	s_cbranch_execz .LBB234_2024
; %bb.2023:
	v_cndmask_b32_e64 v2, 0, 1.0, s0
	v_mov_b32_e32 v3, 0
	flat_store_b64 v[0:1], v[2:3]
.LBB234_2024:
	s_wait_xcnt 0x0
	s_or_b32 exec_lo, exec_lo, s1
                                        ; implicit-def: $vgpr0_vgpr1
.LBB234_2025:
	s_and_not1_saveexec_b32 s1, s10
	s_cbranch_execz .LBB234_2027
; %bb.2026:
	v_cndmask_b32_e64 v2, 0, 1.0, s0
	s_delay_alu instid0(VALU_DEP_1) | instskip(NEXT) | instid1(VALU_DEP_1)
	v_cvt_f16_f32_e32 v2, v2
	v_and_b32_e32 v2, 0xffff, v2
	flat_store_b32 v[0:1], v2
.LBB234_2027:
	s_wait_xcnt 0x0
	s_or_b32 exec_lo, exec_lo, s1
                                        ; implicit-def: $vgpr0_vgpr1
                                        ; implicit-def: $vgpr2
.LBB234_2028:
	s_and_not1_saveexec_b32 s9, s9
	s_cbranch_execz .LBB234_2038
; %bb.2029:
	s_mov_b32 s10, exec_lo
	v_cmpx_lt_i16_e32 5, v2
	s_xor_b32 s10, exec_lo, s10
	s_cbranch_execz .LBB234_2035
; %bb.2030:
	v_cmp_lt_i16_e64 s1, 6, v2
	s_and_saveexec_b32 s11, s1
	s_delay_alu instid0(SALU_CYCLE_1)
	s_xor_b32 s1, exec_lo, s11
	s_cbranch_execz .LBB234_2032
; %bb.2031:
	v_cndmask_b32_e64 v2, 0, 1, s0
	s_delay_alu instid0(VALU_DEP_1)
	v_cvt_f64_u32_e32 v[2:3], v2
	flat_store_b64 v[0:1], v[2:3]
                                        ; implicit-def: $vgpr0_vgpr1
.LBB234_2032:
	s_wait_xcnt 0x0
	s_and_not1_saveexec_b32 s1, s1
	s_cbranch_execz .LBB234_2034
; %bb.2033:
	v_cndmask_b32_e64 v2, 0, 1.0, s0
	flat_store_b32 v[0:1], v2
.LBB234_2034:
	s_wait_xcnt 0x0
	s_or_b32 exec_lo, exec_lo, s1
                                        ; implicit-def: $vgpr0_vgpr1
.LBB234_2035:
	s_and_not1_saveexec_b32 s1, s10
	s_cbranch_execz .LBB234_2037
; %bb.2036:
	v_cndmask_b32_e64 v2, 0, 1.0, s0
	s_delay_alu instid0(VALU_DEP_1)
	v_cvt_f16_f32_e32 v2, v2
	flat_store_b16 v[0:1], v2
.LBB234_2037:
	s_wait_xcnt 0x0
	s_or_b32 exec_lo, exec_lo, s1
.LBB234_2038:
	s_delay_alu instid0(SALU_CYCLE_1)
	s_or_b32 exec_lo, exec_lo, s9
                                        ; implicit-def: $vgpr2
                                        ; implicit-def: $vgpr0_vgpr1
.LBB234_2039:
	s_and_not1_saveexec_b32 s8, s8
	s_cbranch_execz .LBB234_2057
; %bb.2040:
	s_mov_b32 s9, exec_lo
	v_cmpx_lt_i16_e32 1, v2
	s_xor_b32 s9, exec_lo, s9
	s_cbranch_execz .LBB234_2050
; %bb.2041:
	s_mov_b32 s10, exec_lo
	v_cmpx_lt_i16_e32 2, v2
	s_xor_b32 s10, exec_lo, s10
	s_cbranch_execz .LBB234_2047
; %bb.2042:
	v_cmp_lt_i16_e64 s1, 3, v2
	s_and_saveexec_b32 s11, s1
	s_delay_alu instid0(SALU_CYCLE_1)
	s_xor_b32 s1, exec_lo, s11
	s_cbranch_execz .LBB234_2044
; %bb.2043:
	s_mov_b32 s11, 0
	v_cndmask_b32_e64 v2, 0, 1, s0
	v_mov_b32_e32 v3, s11
	flat_store_b64 v[0:1], v[2:3]
                                        ; implicit-def: $vgpr0_vgpr1
.LBB234_2044:
	s_wait_xcnt 0x0
	s_and_not1_saveexec_b32 s1, s1
	s_cbranch_execz .LBB234_2046
; %bb.2045:
	v_cndmask_b32_e64 v2, 0, 1, s0
	flat_store_b32 v[0:1], v2
.LBB234_2046:
	s_wait_xcnt 0x0
	s_or_b32 exec_lo, exec_lo, s1
                                        ; implicit-def: $vgpr0_vgpr1
.LBB234_2047:
	s_and_not1_saveexec_b32 s1, s10
	s_cbranch_execz .LBB234_2049
; %bb.2048:
	v_cndmask_b32_e64 v2, 0, 1, s0
	flat_store_b16 v[0:1], v2
.LBB234_2049:
	s_wait_xcnt 0x0
	s_or_b32 exec_lo, exec_lo, s1
                                        ; implicit-def: $vgpr0_vgpr1
                                        ; implicit-def: $vgpr2
.LBB234_2050:
	s_and_not1_saveexec_b32 s9, s9
	s_cbranch_execz .LBB234_2056
; %bb.2051:
	v_cmp_lt_i16_e64 s1, 0, v2
	v_cndmask_b32_e64 v2, 0, 1, s0
	s_and_saveexec_b32 s0, s1
	s_delay_alu instid0(SALU_CYCLE_1)
	s_xor_b32 s0, exec_lo, s0
	s_cbranch_execz .LBB234_2053
; %bb.2052:
	flat_store_b8 v[0:1], v2
                                        ; implicit-def: $vgpr0_vgpr1
                                        ; implicit-def: $vgpr2
.LBB234_2053:
	s_wait_xcnt 0x0
	s_and_not1_saveexec_b32 s0, s0
	s_cbranch_execz .LBB234_2055
; %bb.2054:
	flat_store_b8 v[0:1], v2
.LBB234_2055:
	s_wait_xcnt 0x0
	s_or_b32 exec_lo, exec_lo, s0
.LBB234_2056:
	s_delay_alu instid0(SALU_CYCLE_1)
	s_or_b32 exec_lo, exec_lo, s9
.LBB234_2057:
	s_delay_alu instid0(SALU_CYCLE_1) | instskip(NEXT) | instid1(SALU_CYCLE_1)
	s_or_b32 exec_lo, exec_lo, s8
	s_or_b32 s7, s7, exec_lo
.LBB234_2058:
	s_or_b32 exec_lo, exec_lo, s6
	s_mov_b32 s0, 0
	s_mov_b32 s8, 0
	;; [unrolled: 1-line block ×3, first 2 shown]
                                        ; implicit-def: $vgpr22_vgpr23
                                        ; implicit-def: $vgpr5
	s_and_saveexec_b32 s6, s7
	s_cbranch_execz .LBB234_2184
; %bb.2059:
	scratch_load_u8 v2, off, off offset:444
	v_perm_b32 v0, v19, v18, 0x5040100
	v_dual_lshlrev_b32 v6, 25, v19 :: v_dual_lshlrev_b32 v7, 25, v18
	s_movk_i32 s0, 0x7f00
	s_mov_b32 s7, exec_lo
	s_delay_alu instid0(VALU_DEP_2) | instskip(SKIP_1) | instid1(VALU_DEP_2)
	v_pk_lshlrev_b16 v3, 8, v0 op_sel_hi:[0,1]
	v_mov_b32_e32 v25, 0
	v_and_b32_e32 v0, 0x7f007f00, v3
	v_lshrrev_b32_e32 v1, 4, v6
	v_bitop3_b32 v4, v3, s0, 0x7f007f00 bitop3:0x80
	s_mov_b32 s0, 0x7800000
	s_delay_alu instid0(VALU_DEP_3) | instskip(NEXT) | instid1(VALU_DEP_3)
	v_dual_lshrrev_b32 v0, 16, v0 :: v_dual_lshrrev_b32 v8, 4, v7
	v_or_b32_e32 v1, 0x70000000, v1
	s_delay_alu instid0(VALU_DEP_3) | instskip(NEXT) | instid1(VALU_DEP_3)
	v_or_b32_e32 v4, 0.5, v4
	v_or_b32_e32 v5, 0.5, v0
	s_delay_alu instid0(VALU_DEP_4) | instskip(SKIP_2) | instid1(VALU_DEP_4)
	v_or_b32_e32 v0, 0x70000000, v8
	v_ashrrev_i32_e32 v8, 16, v3
	v_bfe_i32 v3, v3, 0, 16
	v_pk_add_f32 v[4:5], v[4:5], -0.5 op_sel_hi:[1,0]
	s_delay_alu instid0(VALU_DEP_4) | instskip(SKIP_1) | instid1(VALU_DEP_4)
	v_pk_mul_f32 v[0:1], v[0:1], s[0:1] op_sel_hi:[1,0]
	v_cmp_gt_u32_e64 s0, 0x8000000, v6
	v_and_b32_e32 v3, 0x80000000, v3
	s_mov_b32 s1, s2
	v_cndmask_b32_e64 v1, v1, v5, s0
	v_cmp_gt_u32_e64 s0, 0x8000000, v7
	s_delay_alu instid0(VALU_DEP_1) | instskip(SKIP_1) | instid1(VALU_DEP_2)
	v_cndmask_b32_e64 v0, v0, v4, s0
	v_and_b32_e32 v4, 0x80000000, v8
	v_or_b32_e32 v0, v3, v0
	s_delay_alu instid0(VALU_DEP_2) | instskip(NEXT) | instid1(VALU_DEP_1)
	v_or_b32_e32 v1, v4, v1
	v_cmp_eq_f32_e64 s0, v0, v1
	s_delay_alu instid0(VALU_DEP_1) | instskip(SKIP_1) | instid1(VALU_DEP_1)
	v_cndmask_b32_e64 v3, 0, 1, s0
	v_cmp_neq_f32_e64 s0, v0, v1
	v_cndmask_b32_e64 v0, 0, 1, s0
	s_delay_alu instid0(VALU_DEP_1) | instskip(NEXT) | instid1(VALU_DEP_1)
	v_cndmask_b32_e32 v0, v0, v3, vcc_lo
	v_and_b32_e32 v3, 1, v0
	v_add_nc_u64_e32 v[0:1], v[16:17], v[24:25]
	s_delay_alu instid0(VALU_DEP_2)
	v_cmp_eq_u32_e32 vcc_lo, 1, v3
	s_wait_loadcnt 0x0
	v_cmpx_lt_i16_e32 10, v2
	s_xor_b32 s7, exec_lo, s7
	s_cbranch_execz .LBB234_2100
; %bb.2060:
	s_mov_b32 s9, 0
	s_mov_b32 s1, 0
	s_mov_b32 s10, exec_lo
	v_cmpx_lt_i16_e32 25, v2
	s_xor_b32 s10, exec_lo, s10
	s_cbranch_execz .LBB234_2747
; %bb.2061:
	s_mov_b32 s11, 0
	s_mov_b32 s8, exec_lo
	v_cmpx_lt_i16_e32 28, v2
	s_xor_b32 s8, exec_lo, s8
	s_cbranch_execz .LBB234_2079
; %bb.2062:
	;; [unrolled: 6-line block ×4, first 2 shown]
	s_mov_b32 s28, -1
	s_mov_b32 s13, exec_lo
	v_cmpx_eq_u16_e32 46, v2
	s_cbranch_execz .LBB234_2066
; %bb.2065:
	v_cndmask_b32_e64 v2, 0, 1.0, vcc_lo
	s_mov_b32 s12, exec_lo
	s_xor_b32 s28, exec_lo, -1
	s_delay_alu instid0(VALU_DEP_1) | instskip(NEXT) | instid1(VALU_DEP_1)
	v_bfe_u32 v3, v2, 16, 1
	v_add3_u32 v2, v2, v3, 0x7fff
	s_delay_alu instid0(VALU_DEP_1)
	v_lshrrev_b32_e32 v2, 16, v2
	flat_store_b32 v[0:1], v2
.LBB234_2066:
	s_wait_xcnt 0x0
	s_or_b32 exec_lo, exec_lo, s13
	s_delay_alu instid0(SALU_CYCLE_1)
	s_and_b32 s13, s12, exec_lo
	s_and_b32 s12, s28, exec_lo
                                        ; implicit-def: $vgpr2
.LBB234_2067:
	s_and_not1_saveexec_b32 s28, s1
	s_cbranch_execz .LBB234_2073
; %bb.2068:
	s_mov_b32 s1, -1
	s_mov_b32 s30, s13
	s_mov_b32 s29, exec_lo
	v_cmpx_eq_u16_e32 44, v2
	s_cbranch_execz .LBB234_2072
; %bb.2069:
	v_cndmask_b32_e64 v4, 0, 1.0, vcc_lo
	s_mov_b32 s30, exec_lo
	s_delay_alu instid0(VALU_DEP_1) | instskip(NEXT) | instid1(VALU_DEP_1)
	v_dual_mov_b32 v3, 0xff :: v_dual_lshrrev_b32 v2, 23, v4
	v_cmpx_ne_u32_e32 0xff, v2
; %bb.2070:
	v_and_b32_e32 v3, 0x400000, v4
	v_and_or_b32 v4, 0x3fffff, v4, v2
	s_delay_alu instid0(VALU_DEP_2) | instskip(NEXT) | instid1(VALU_DEP_2)
	v_cmp_ne_u32_e64 s0, 0, v3
	v_cmp_ne_u32_e64 s1, 0, v4
	s_and_b32 s0, s0, s1
	s_delay_alu instid0(SALU_CYCLE_1) | instskip(NEXT) | instid1(VALU_DEP_1)
	v_cndmask_b32_e64 v3, 0, 1, s0
	v_add_nc_u32_e32 v3, v2, v3
; %bb.2071:
	s_or_b32 exec_lo, exec_lo, s30
	s_delay_alu instid0(SALU_CYCLE_1)
	s_or_b32 s30, s13, exec_lo
	s_xor_b32 s1, exec_lo, -1
	flat_store_b8 v[0:1], v3
.LBB234_2072:
	s_wait_xcnt 0x0
	s_or_b32 exec_lo, exec_lo, s29
	s_delay_alu instid0(SALU_CYCLE_1)
	s_and_not1_b32 s0, s13, exec_lo
	s_and_b32 s13, s30, exec_lo
	s_and_not1_b32 s12, s12, exec_lo
	s_and_b32 s1, s1, exec_lo
	s_or_b32 s13, s0, s13
	s_or_b32 s12, s12, s1
.LBB234_2073:
	s_or_b32 exec_lo, exec_lo, s28
	s_delay_alu instid0(SALU_CYCLE_1)
	s_and_b32 s13, s13, exec_lo
	s_and_b32 s1, s12, exec_lo
                                        ; implicit-def: $vgpr2
.LBB234_2074:
	s_and_not1_saveexec_b32 s11, s11
	s_cbranch_execz .LBB234_2078
; %bb.2075:
	s_mov_b32 s12, -1
	s_mov_b32 s29, s13
	s_mov_b32 s28, exec_lo
	v_cmpx_eq_u16_e32 29, v2
	s_cbranch_execz .LBB234_2077
; %bb.2076:
	s_mov_b32 s0, 0
	v_cndmask_b32_e64 v2, 0, 1, vcc_lo
	v_mov_b32_e32 v3, s0
	s_or_b32 s29, s13, exec_lo
	s_xor_b32 s12, exec_lo, -1
	flat_store_b64 v[0:1], v[2:3]
.LBB234_2077:
	s_wait_xcnt 0x0
	s_or_b32 exec_lo, exec_lo, s28
	s_delay_alu instid0(SALU_CYCLE_1)
	s_and_not1_b32 s0, s13, exec_lo
	s_and_b32 s13, s29, exec_lo
	s_and_not1_b32 s1, s1, exec_lo
	s_and_b32 s12, s12, exec_lo
	s_or_b32 s13, s0, s13
	s_or_b32 s1, s1, s12
.LBB234_2078:
	s_or_b32 exec_lo, exec_lo, s11
	s_delay_alu instid0(SALU_CYCLE_1)
	s_and_b32 s11, s13, exec_lo
	s_and_b32 s1, s1, exec_lo
                                        ; implicit-def: $vgpr2
.LBB234_2079:
	s_and_not1_saveexec_b32 s8, s8
	s_cbranch_execz .LBB234_2095
; %bb.2080:
	s_mov_b32 s12, exec_lo
	v_cmpx_lt_i16_e32 26, v2
	s_xor_b32 s12, exec_lo, s12
	s_cbranch_execz .LBB234_2086
; %bb.2081:
	v_cmp_lt_i16_e64 s0, 27, v2
	s_and_saveexec_b32 s13, s0
	s_delay_alu instid0(SALU_CYCLE_1)
	s_xor_b32 s0, exec_lo, s13
	s_cbranch_execz .LBB234_2083
; %bb.2082:
	v_cndmask_b32_e64 v2, 0, 1, vcc_lo
	flat_store_b32 v[0:1], v2
.LBB234_2083:
	s_wait_xcnt 0x0
	s_and_not1_saveexec_b32 s0, s0
	s_cbranch_execz .LBB234_2085
; %bb.2084:
	v_cndmask_b32_e64 v2, 0, 1, vcc_lo
	flat_store_b16 v[0:1], v2
.LBB234_2085:
	s_wait_xcnt 0x0
	s_or_b32 exec_lo, exec_lo, s0
.LBB234_2086:
	s_and_not1_saveexec_b32 s12, s12
	s_cbranch_execz .LBB234_2094
; %bb.2087:
	v_cndmask_b32_e64 v3, 0, 1.0, vcc_lo
	v_mov_b32_e32 v4, 0x80
	s_mov_b32 s13, exec_lo
	s_delay_alu instid0(VALU_DEP_2)
	v_cmpx_gt_u32_e32 0x43800000, v3
	s_cbranch_execz .LBB234_2093
; %bb.2088:
	v_cmp_lt_u32_e64 s0, 0x3bffffff, v3
	s_mov_b32 s28, 0
                                        ; implicit-def: $vgpr2
	s_and_saveexec_b32 s29, s0
	s_delay_alu instid0(SALU_CYCLE_1)
	s_xor_b32 s0, exec_lo, s29
	s_cbranch_execz .LBB234_2845
; %bb.2089:
	v_bfe_u32 v2, v3, 20, 1
	s_mov_b32 s28, exec_lo
	s_delay_alu instid0(VALU_DEP_1) | instskip(NEXT) | instid1(VALU_DEP_1)
	v_add3_u32 v2, v3, v2, 0x487ffff
                                        ; implicit-def: $vgpr3
	v_lshrrev_b32_e32 v2, 20, v2
	s_and_not1_saveexec_b32 s29, s0
	s_cbranch_execnz .LBB234_2846
.LBB234_2090:
	s_or_b32 exec_lo, exec_lo, s29
	v_mov_b32_e32 v4, 0
	s_and_saveexec_b32 s0, s28
.LBB234_2091:
	v_mov_b32_e32 v4, v2
.LBB234_2092:
	s_or_b32 exec_lo, exec_lo, s0
.LBB234_2093:
	s_delay_alu instid0(SALU_CYCLE_1)
	s_or_b32 exec_lo, exec_lo, s13
	flat_store_b8 v[0:1], v4
.LBB234_2094:
	s_wait_xcnt 0x0
	s_or_b32 exec_lo, exec_lo, s12
	s_delay_alu instid0(SALU_CYCLE_1)
	s_or_b32 s11, s11, exec_lo
.LBB234_2095:
	s_or_b32 exec_lo, exec_lo, s8
	s_delay_alu instid0(SALU_CYCLE_1)
	s_and_b32 s8, s11, exec_lo
	s_and_b32 s1, s1, exec_lo
                                        ; implicit-def: $vgpr2
	s_and_not1_saveexec_b32 s10, s10
	s_cbranch_execnz .LBB234_2748
.LBB234_2096:
	s_or_b32 exec_lo, exec_lo, s10
	s_mov_b32 s0, s2
	s_and_saveexec_b32 s10, s1
	s_cbranch_execnz .LBB234_2789
.LBB234_2097:
	s_or_b32 exec_lo, exec_lo, s10
	s_and_saveexec_b32 s1, s9
	s_delay_alu instid0(SALU_CYCLE_1)
	s_xor_b32 s1, exec_lo, s1
	s_cbranch_execz .LBB234_2099
.LBB234_2098:
	v_cndmask_b32_e64 v2, 0, 1, vcc_lo
	s_or_b32 s8, s8, exec_lo
	flat_store_b8 v[0:1], v2
.LBB234_2099:
	s_wait_xcnt 0x0
	s_or_b32 exec_lo, exec_lo, s1
	s_delay_alu instid0(SALU_CYCLE_1)
	s_and_not1_b32 s1, s2, exec_lo
	s_and_b32 s0, s0, exec_lo
	s_and_b32 s8, s8, exec_lo
	s_or_b32 s1, s1, s0
                                        ; implicit-def: $vgpr2
                                        ; implicit-def: $vgpr0_vgpr1
.LBB234_2100:
	s_and_not1_saveexec_b32 s7, s7
	s_cbranch_execz .LBB234_2142
; %bb.2101:
	s_mov_b32 s9, exec_lo
	v_cmpx_lt_i16_e32 4, v2
	s_xor_b32 s9, exec_lo, s9
	s_cbranch_execz .LBB234_2123
; %bb.2102:
	s_mov_b32 s10, exec_lo
	v_cmpx_lt_i16_e32 7, v2
	s_xor_b32 s10, exec_lo, s10
	;; [unrolled: 5-line block ×3, first 2 shown]
	s_cbranch_execz .LBB234_2109
; %bb.2104:
	v_cmp_lt_i16_e64 s0, 9, v2
	s_and_saveexec_b32 s12, s0
	s_delay_alu instid0(SALU_CYCLE_1)
	s_xor_b32 s0, exec_lo, s12
	s_cbranch_execz .LBB234_2106
; %bb.2105:
	v_cndmask_b32_e64 v2, 0, 1, vcc_lo
	v_mov_b32_e32 v4, 0
	s_delay_alu instid0(VALU_DEP_2) | instskip(NEXT) | instid1(VALU_DEP_2)
	v_cvt_f64_u32_e32 v[2:3], v2
	v_mov_b32_e32 v5, v4
	flat_store_b128 v[0:1], v[2:5]
                                        ; implicit-def: $vgpr0_vgpr1
.LBB234_2106:
	s_wait_xcnt 0x0
	s_and_not1_saveexec_b32 s0, s0
	s_cbranch_execz .LBB234_2108
; %bb.2107:
	v_cndmask_b32_e64 v2, 0, 1.0, vcc_lo
	v_mov_b32_e32 v3, 0
	flat_store_b64 v[0:1], v[2:3]
.LBB234_2108:
	s_wait_xcnt 0x0
	s_or_b32 exec_lo, exec_lo, s0
                                        ; implicit-def: $vgpr0_vgpr1
.LBB234_2109:
	s_and_not1_saveexec_b32 s0, s11
	s_cbranch_execz .LBB234_2111
; %bb.2110:
	v_cndmask_b32_e64 v2, 0, 1.0, vcc_lo
	s_delay_alu instid0(VALU_DEP_1) | instskip(NEXT) | instid1(VALU_DEP_1)
	v_cvt_f16_f32_e32 v2, v2
	v_and_b32_e32 v2, 0xffff, v2
	flat_store_b32 v[0:1], v2
.LBB234_2111:
	s_wait_xcnt 0x0
	s_or_b32 exec_lo, exec_lo, s0
                                        ; implicit-def: $vgpr0_vgpr1
                                        ; implicit-def: $vgpr2
.LBB234_2112:
	s_and_not1_saveexec_b32 s10, s10
	s_cbranch_execz .LBB234_2122
; %bb.2113:
	s_mov_b32 s11, exec_lo
	v_cmpx_lt_i16_e32 5, v2
	s_xor_b32 s11, exec_lo, s11
	s_cbranch_execz .LBB234_2119
; %bb.2114:
	v_cmp_lt_i16_e64 s0, 6, v2
	s_and_saveexec_b32 s12, s0
	s_delay_alu instid0(SALU_CYCLE_1)
	s_xor_b32 s0, exec_lo, s12
	s_cbranch_execz .LBB234_2116
; %bb.2115:
	v_cndmask_b32_e64 v2, 0, 1, vcc_lo
	s_delay_alu instid0(VALU_DEP_1)
	v_cvt_f64_u32_e32 v[2:3], v2
	flat_store_b64 v[0:1], v[2:3]
                                        ; implicit-def: $vgpr0_vgpr1
.LBB234_2116:
	s_wait_xcnt 0x0
	s_and_not1_saveexec_b32 s0, s0
	s_cbranch_execz .LBB234_2118
; %bb.2117:
	v_cndmask_b32_e64 v2, 0, 1.0, vcc_lo
	flat_store_b32 v[0:1], v2
.LBB234_2118:
	s_wait_xcnt 0x0
	s_or_b32 exec_lo, exec_lo, s0
                                        ; implicit-def: $vgpr0_vgpr1
.LBB234_2119:
	s_and_not1_saveexec_b32 s0, s11
	s_cbranch_execz .LBB234_2121
; %bb.2120:
	v_cndmask_b32_e64 v2, 0, 1.0, vcc_lo
	s_delay_alu instid0(VALU_DEP_1)
	v_cvt_f16_f32_e32 v2, v2
	flat_store_b16 v[0:1], v2
.LBB234_2121:
	s_wait_xcnt 0x0
	s_or_b32 exec_lo, exec_lo, s0
.LBB234_2122:
	s_delay_alu instid0(SALU_CYCLE_1)
	s_or_b32 exec_lo, exec_lo, s10
                                        ; implicit-def: $vgpr2
                                        ; implicit-def: $vgpr0_vgpr1
.LBB234_2123:
	s_and_not1_saveexec_b32 s9, s9
	s_cbranch_execz .LBB234_2141
; %bb.2124:
	s_mov_b32 s10, exec_lo
	v_cmpx_lt_i16_e32 1, v2
	s_xor_b32 s10, exec_lo, s10
	s_cbranch_execz .LBB234_2134
; %bb.2125:
	s_mov_b32 s11, exec_lo
	v_cmpx_lt_i16_e32 2, v2
	s_xor_b32 s11, exec_lo, s11
	s_cbranch_execz .LBB234_2131
; %bb.2126:
	v_cmp_lt_i16_e64 s0, 3, v2
	s_and_saveexec_b32 s12, s0
	s_delay_alu instid0(SALU_CYCLE_1)
	s_xor_b32 s0, exec_lo, s12
	s_cbranch_execz .LBB234_2128
; %bb.2127:
	s_mov_b32 s12, 0
	v_cndmask_b32_e64 v2, 0, 1, vcc_lo
	v_mov_b32_e32 v3, s12
	flat_store_b64 v[0:1], v[2:3]
                                        ; implicit-def: $vgpr0_vgpr1
.LBB234_2128:
	s_wait_xcnt 0x0
	s_and_not1_saveexec_b32 s0, s0
	s_cbranch_execz .LBB234_2130
; %bb.2129:
	v_cndmask_b32_e64 v2, 0, 1, vcc_lo
	flat_store_b32 v[0:1], v2
.LBB234_2130:
	s_wait_xcnt 0x0
	s_or_b32 exec_lo, exec_lo, s0
                                        ; implicit-def: $vgpr0_vgpr1
.LBB234_2131:
	s_and_not1_saveexec_b32 s0, s11
	s_cbranch_execz .LBB234_2133
; %bb.2132:
	v_cndmask_b32_e64 v2, 0, 1, vcc_lo
	flat_store_b16 v[0:1], v2
.LBB234_2133:
	s_wait_xcnt 0x0
	s_or_b32 exec_lo, exec_lo, s0
                                        ; implicit-def: $vgpr0_vgpr1
                                        ; implicit-def: $vgpr2
.LBB234_2134:
	s_and_not1_saveexec_b32 s10, s10
	s_cbranch_execz .LBB234_2140
; %bb.2135:
	v_cmp_lt_i16_e64 s0, 0, v2
	v_cndmask_b32_e64 v2, 0, 1, vcc_lo
	s_and_saveexec_b32 s11, s0
	s_delay_alu instid0(SALU_CYCLE_1)
	s_xor_b32 s0, exec_lo, s11
	s_cbranch_execz .LBB234_2137
; %bb.2136:
	flat_store_b8 v[0:1], v2
                                        ; implicit-def: $vgpr0_vgpr1
                                        ; implicit-def: $vgpr2
.LBB234_2137:
	s_wait_xcnt 0x0
	s_and_not1_saveexec_b32 s0, s0
	s_cbranch_execz .LBB234_2139
; %bb.2138:
	flat_store_b8 v[0:1], v2
.LBB234_2139:
	s_wait_xcnt 0x0
	s_or_b32 exec_lo, exec_lo, s0
.LBB234_2140:
	s_delay_alu instid0(SALU_CYCLE_1)
	s_or_b32 exec_lo, exec_lo, s10
.LBB234_2141:
	s_delay_alu instid0(SALU_CYCLE_1) | instskip(NEXT) | instid1(SALU_CYCLE_1)
	s_or_b32 exec_lo, exec_lo, s9
	s_or_b32 s8, s8, exec_lo
.LBB234_2142:
	s_or_b32 exec_lo, exec_lo, s7
	s_mov_b32 s0, 0
	s_mov_b32 s9, 0
	;; [unrolled: 1-line block ×3, first 2 shown]
                                        ; implicit-def: $vgpr22_vgpr23
                                        ; implicit-def: $vgpr5
	s_and_saveexec_b32 s7, s8
	s_cbranch_execz .LBB234_2183
; %bb.2143:
	scratch_load_u8 v5, off, off offset:444
	v_mov_b32_e32 v21, 0
	s_mov_b32 s9, -1
	s_mov_b32 s11, s1
	s_mov_b32 s12, 0
	s_mov_b32 s8, exec_lo
	v_add_nc_u64_e32 v[22:23], v[16:17], v[20:21]
	s_wait_loadcnt 0x0
	v_cmpx_lt_i16_e32 10, v5
	s_cbranch_execz .LBB234_2182
; %bb.2144:
	s_mov_b32 s9, 0
	s_mov_b32 s11, exec_lo
	v_cmpx_lt_i16_e32 25, v5
	s_xor_b32 s11, exec_lo, s11
	s_cbranch_execz .LBB234_2794
; %bb.2145:
	s_mov_b32 s9, exec_lo
	v_cmpx_lt_i16_e32 28, v5
	s_xor_b32 s9, exec_lo, s9
	s_cbranch_execz .LBB234_2163
; %bb.2146:
	s_mov_b32 s13, 0
	s_mov_b32 s12, exec_lo
	v_cmpx_lt_i16_e32 43, v5
	s_xor_b32 s12, exec_lo, s12
	s_cbranch_execz .LBB234_2158
; %bb.2147:
	s_mov_b32 s28, 0
	s_mov_b32 s0, exec_lo
	v_cmpx_lt_i16_e32 45, v5
	s_xor_b32 s0, exec_lo, s0
	s_cbranch_execz .LBB234_2151
; %bb.2148:
	s_mov_b32 s29, -1
	s_mov_b32 s28, exec_lo
	v_cmpx_eq_u16_e32 46, v5
	s_cbranch_execz .LBB234_2150
; %bb.2149:
	v_cndmask_b32_e64 v0, 0, 1.0, s3
	s_mov_b32 s13, exec_lo
	s_xor_b32 s29, exec_lo, -1
	s_delay_alu instid0(VALU_DEP_1) | instskip(NEXT) | instid1(VALU_DEP_1)
	v_bfe_u32 v1, v0, 16, 1
	v_add3_u32 v0, v0, v1, 0x7fff
	s_delay_alu instid0(VALU_DEP_1)
	v_lshrrev_b32_e32 v0, 16, v0
	flat_store_b32 v[22:23], v0
.LBB234_2150:
	s_wait_xcnt 0x0
	s_or_b32 exec_lo, exec_lo, s28
	s_delay_alu instid0(SALU_CYCLE_1)
	s_and_b32 s28, s13, exec_lo
	s_and_b32 s13, s29, exec_lo
.LBB234_2151:
	s_and_not1_saveexec_b32 s29, s0
	s_cbranch_execz .LBB234_2157
; %bb.2152:
	s_mov_b32 s0, -1
	s_mov_b32 s31, s28
	s_mov_b32 s30, exec_lo
	v_cmpx_eq_u16_e32 44, v5
	s_cbranch_execz .LBB234_2156
; %bb.2153:
	v_cndmask_b32_e64 v2, 0, 1.0, s3
	s_mov_b32 s31, exec_lo
	s_delay_alu instid0(VALU_DEP_1) | instskip(NEXT) | instid1(VALU_DEP_1)
	v_dual_mov_b32 v1, 0xff :: v_dual_lshrrev_b32 v0, 23, v2
	v_cmpx_ne_u32_e32 0xff, v0
; %bb.2154:
	v_and_b32_e32 v1, 0x400000, v2
	v_and_or_b32 v2, 0x3fffff, v2, v0
	s_delay_alu instid0(VALU_DEP_2) | instskip(NEXT) | instid1(VALU_DEP_2)
	v_cmp_ne_u32_e32 vcc_lo, 0, v1
	v_cmp_ne_u32_e64 s0, 0, v2
	s_and_b32 s0, vcc_lo, s0
	s_delay_alu instid0(SALU_CYCLE_1) | instskip(NEXT) | instid1(VALU_DEP_1)
	v_cndmask_b32_e64 v1, 0, 1, s0
	v_add_nc_u32_e32 v1, v0, v1
; %bb.2155:
	s_or_b32 exec_lo, exec_lo, s31
	s_delay_alu instid0(SALU_CYCLE_1)
	s_or_b32 s31, s28, exec_lo
	s_xor_b32 s0, exec_lo, -1
	flat_store_b8 v[22:23], v1
.LBB234_2156:
	s_wait_xcnt 0x0
	s_or_b32 exec_lo, exec_lo, s30
	s_delay_alu instid0(SALU_CYCLE_1)
	s_and_not1_b32 s28, s28, exec_lo
	s_and_b32 s30, s31, exec_lo
	s_and_not1_b32 s13, s13, exec_lo
	s_and_b32 s0, s0, exec_lo
	s_or_b32 s28, s28, s30
	s_or_b32 s13, s13, s0
.LBB234_2157:
	s_or_b32 exec_lo, exec_lo, s29
	s_delay_alu instid0(SALU_CYCLE_1)
	s_and_b32 s0, s28, exec_lo
	s_and_b32 s13, s13, exec_lo
.LBB234_2158:
	s_and_not1_saveexec_b32 s12, s12
	s_cbranch_execz .LBB234_2162
; %bb.2159:
	s_mov_b32 s28, -1
	s_mov_b32 s30, s0
	s_mov_b32 s29, exec_lo
	v_cmpx_eq_u16_e32 29, v5
	s_cbranch_execz .LBB234_2161
; %bb.2160:
	s_mov_b32 s28, 0
	v_cndmask_b32_e64 v0, 0, 1, s3
	v_mov_b32_e32 v1, s28
	s_or_b32 s30, s0, exec_lo
	s_xor_b32 s28, exec_lo, -1
	flat_store_b64 v[22:23], v[0:1]
.LBB234_2161:
	s_wait_xcnt 0x0
	s_or_b32 exec_lo, exec_lo, s29
	s_delay_alu instid0(SALU_CYCLE_1)
	s_and_not1_b32 s0, s0, exec_lo
	s_and_b32 s29, s30, exec_lo
	s_and_not1_b32 s13, s13, exec_lo
	s_and_b32 s28, s28, exec_lo
	s_or_b32 s0, s0, s29
	s_or_b32 s13, s13, s28
.LBB234_2162:
	s_or_b32 exec_lo, exec_lo, s12
	s_delay_alu instid0(SALU_CYCLE_1)
	s_and_b32 s0, s0, exec_lo
	s_and_b32 s12, s13, exec_lo
.LBB234_2163:
	s_and_not1_saveexec_b32 s9, s9
	s_cbranch_execz .LBB234_2179
; %bb.2164:
	s_mov_b32 s13, exec_lo
	v_cmpx_lt_i16_e32 26, v5
	s_xor_b32 s13, exec_lo, s13
	s_cbranch_execz .LBB234_2170
; %bb.2165:
	v_cndmask_b32_e64 v0, 0, 1, s3
	s_mov_b32 s28, exec_lo
	v_cmpx_lt_i16_e32 27, v5
	s_xor_b32 s28, exec_lo, s28
	s_cbranch_execz .LBB234_2167
; %bb.2166:
	flat_store_b32 v[22:23], v0
                                        ; implicit-def: $vgpr0
.LBB234_2167:
	s_wait_xcnt 0x0
	s_and_not1_saveexec_b32 s28, s28
	s_cbranch_execz .LBB234_2169
; %bb.2168:
	flat_store_b16 v[22:23], v0
.LBB234_2169:
	s_wait_xcnt 0x0
	s_or_b32 exec_lo, exec_lo, s28
.LBB234_2170:
	s_and_not1_saveexec_b32 s13, s13
	s_cbranch_execz .LBB234_2178
; %bb.2171:
	v_cndmask_b32_e64 v1, 0, 1.0, s3
	v_mov_b32_e32 v2, 0x80
	s_mov_b32 s28, exec_lo
	s_delay_alu instid0(VALU_DEP_2)
	v_cmpx_gt_u32_e32 0x43800000, v1
	s_cbranch_execz .LBB234_2177
; %bb.2172:
	s_mov_b32 s29, 0
	s_mov_b32 s30, exec_lo
                                        ; implicit-def: $vgpr0
	v_cmpx_lt_u32_e32 0x3bffffff, v1
	s_xor_b32 s30, exec_lo, s30
	s_cbranch_execz .LBB234_2849
; %bb.2173:
	v_bfe_u32 v0, v1, 20, 1
	s_mov_b32 s29, exec_lo
	s_delay_alu instid0(VALU_DEP_1) | instskip(NEXT) | instid1(VALU_DEP_1)
	v_add3_u32 v0, v1, v0, 0x487ffff
                                        ; implicit-def: $vgpr1
	v_lshrrev_b32_e32 v0, 20, v0
	s_and_not1_saveexec_b32 s30, s30
	s_cbranch_execnz .LBB234_2850
.LBB234_2174:
	s_or_b32 exec_lo, exec_lo, s30
	v_mov_b32_e32 v2, 0
	s_and_saveexec_b32 s30, s29
.LBB234_2175:
	v_mov_b32_e32 v2, v0
.LBB234_2176:
	s_or_b32 exec_lo, exec_lo, s30
.LBB234_2177:
	s_delay_alu instid0(SALU_CYCLE_1)
	s_or_b32 exec_lo, exec_lo, s28
	flat_store_b8 v[22:23], v2
.LBB234_2178:
	s_wait_xcnt 0x0
	s_or_b32 exec_lo, exec_lo, s13
	s_delay_alu instid0(SALU_CYCLE_1)
	s_or_b32 s0, s0, exec_lo
.LBB234_2179:
	s_or_b32 exec_lo, exec_lo, s9
	s_delay_alu instid0(SALU_CYCLE_1)
	s_and_b32 s0, s0, exec_lo
	s_and_b32 s9, s12, exec_lo
	s_and_not1_saveexec_b32 s11, s11
	s_cbranch_execnz .LBB234_2795
.LBB234_2180:
	s_or_b32 exec_lo, exec_lo, s11
	s_mov_b32 s11, s1
	s_and_saveexec_b32 s12, s9
	s_cbranch_execnz .LBB234_2836
.LBB234_2181:
	s_or_b32 exec_lo, exec_lo, s12
	s_delay_alu instid0(SALU_CYCLE_1)
	s_and_not1_b32 s13, s1, exec_lo
	s_and_b32 s11, s11, exec_lo
	s_and_b32 s12, s0, exec_lo
	s_xor_b32 s9, exec_lo, -1
	s_and_b32 s0, s10, exec_lo
	s_or_b32 s11, s13, s11
.LBB234_2182:
	s_or_b32 exec_lo, exec_lo, s8
	s_delay_alu instid0(SALU_CYCLE_1)
	s_and_not1_b32 s1, s1, exec_lo
	s_and_b32 s8, s11, exec_lo
	s_and_b32 s10, s12, exec_lo
	s_and_b32 s9, s9, exec_lo
	s_and_b32 s0, s0, exec_lo
	s_or_b32 s1, s1, s8
.LBB234_2183:
	s_or_b32 exec_lo, exec_lo, s7
	s_delay_alu instid0(SALU_CYCLE_1)
	s_and_not1_b32 s2, s2, exec_lo
	s_and_b32 s1, s1, exec_lo
	s_and_b32 s10, s10, exec_lo
	;; [unrolled: 1-line block ×4, first 2 shown]
	s_or_b32 s2, s2, s1
.LBB234_2184:
	s_or_b32 exec_lo, exec_lo, s6
	s_delay_alu instid0(SALU_CYCLE_1)
	s_and_not1_b32 s4, s4, exec_lo
	s_and_b32 s2, s2, exec_lo
	s_and_b32 s6, s10, exec_lo
	;; [unrolled: 1-line block ×4, first 2 shown]
	s_or_b32 s4, s4, s2
.LBB234_2185:
	s_or_b32 exec_lo, exec_lo, s5
	s_delay_alu instid0(SALU_CYCLE_1)
	s_and_b32 s2, s1, exec_lo
	s_and_not1_b32 s1, s26, exec_lo
	s_and_b32 s4, s4, exec_lo
	s_and_b32 s5, s6, exec_lo
	;; [unrolled: 1-line block ×3, first 2 shown]
	s_or_b32 s26, s1, s4
.LBB234_2186:
	s_or_b32 exec_lo, exec_lo, s27
	s_delay_alu instid0(SALU_CYCLE_1)
	s_and_b32 s4, s5, exec_lo
	s_and_not1_b32 s1, s24, exec_lo
	s_and_b32 s5, s26, exec_lo
	s_and_b32 s2, s2, exec_lo
	;; [unrolled: 1-line block ×3, first 2 shown]
	s_or_b32 s24, s1, s5
.LBB234_2187:
	s_or_b32 exec_lo, exec_lo, s25
	s_delay_alu instid0(SALU_CYCLE_1)
	s_and_not1_b32 s1, s22, exec_lo
	s_and_b32 s5, s24, exec_lo
	s_and_b32 s4, s4, exec_lo
	;; [unrolled: 1-line block ×4, first 2 shown]
	s_or_b32 s22, s1, s5
.LBB234_2188:
	s_or_b32 exec_lo, exec_lo, s23
	s_delay_alu instid0(SALU_CYCLE_1)
	s_and_not1_b32 s1, s20, exec_lo
	s_and_b32 s5, s22, exec_lo
	s_and_b32 s4, s4, exec_lo
	;; [unrolled: 1-line block ×4, first 2 shown]
	s_or_b32 s20, s1, s5
.LBB234_2189:
	s_or_b32 exec_lo, exec_lo, s21
	s_delay_alu instid0(SALU_CYCLE_1)
	s_and_not1_b32 s1, s18, exec_lo
	s_and_b32 s5, s20, exec_lo
	s_and_b32 s4, s4, exec_lo
	;; [unrolled: 1-line block ×4, first 2 shown]
	s_or_b32 s18, s1, s5
.LBB234_2190:
	s_or_b32 exec_lo, exec_lo, s19
	s_delay_alu instid0(SALU_CYCLE_1)
	s_and_not1_b32 s1, s16, exec_lo
	s_and_b32 s6, s18, exec_lo
	s_and_b32 s5, s4, exec_lo
	;; [unrolled: 1-line block ×4, first 2 shown]
	s_or_b32 s16, s1, s6
.LBB234_2191:
	s_or_b32 exec_lo, exec_lo, s17
	s_delay_alu instid0(SALU_CYCLE_1)
	s_and_b32 s0, s5, exec_lo
	s_and_not1_b32 s1, s14, exec_lo
	s_and_b32 s5, s16, exec_lo
	s_and_b32 s2, s2, exec_lo
	s_and_b32 s16, s4, exec_lo
	s_or_b32 s14, s1, s5
	s_or_b32 exec_lo, exec_lo, s15
	s_and_saveexec_b32 s1, s14
	s_cbranch_execnz .LBB234_484
.LBB234_2192:
	s_or_b32 exec_lo, exec_lo, s1
	s_and_saveexec_b32 s1, s16
	s_delay_alu instid0(SALU_CYCLE_1)
	s_xor_b32 s1, exec_lo, s1
	s_cbranch_execz .LBB234_485
.LBB234_2193:
	v_cndmask_b32_e64 v0, 0, 1, s3
	s_or_b32 s0, s0, exec_lo
	flat_store_b8 v[22:23], v0
	s_wait_xcnt 0x0
	s_or_b32 exec_lo, exec_lo, s1
	s_and_saveexec_b32 s1, s2
	s_cbranch_execnz .LBB234_486
.LBB234_2194:
	s_or_b32 exec_lo, exec_lo, s1
	s_and_saveexec_b32 s1, s0
	s_endpgm
.LBB234_2195:
	s_and_not1_saveexec_b32 s2, s2
	s_cbranch_execz .LBB234_96
.LBB234_2196:
	s_mov_b32 s4, exec_lo
	v_cmpx_lt_i16_e32 4, v2
	s_xor_b32 s4, exec_lo, s4
	s_cbranch_execz .LBB234_2218
; %bb.2197:
	s_mov_b32 s5, exec_lo
	v_cmpx_lt_i16_e32 7, v2
	s_xor_b32 s5, exec_lo, s5
	s_cbranch_execz .LBB234_2207
; %bb.2198:
	s_mov_b32 s6, exec_lo
	v_cmpx_lt_i16_e32 8, v2
	s_xor_b32 s6, exec_lo, s6
	s_cbranch_execz .LBB234_2204
; %bb.2199:
	v_cmp_lt_i16_e64 s0, 9, v2
	s_and_saveexec_b32 s7, s0
	s_delay_alu instid0(SALU_CYCLE_1)
	s_xor_b32 s0, exec_lo, s7
	s_cbranch_execz .LBB234_2201
; %bb.2200:
	v_cndmask_b32_e64 v2, 0, 1, vcc_lo
	v_mov_b32_e32 v4, 0
	s_delay_alu instid0(VALU_DEP_2) | instskip(NEXT) | instid1(VALU_DEP_2)
	v_cvt_f64_u32_e32 v[2:3], v2
	v_mov_b32_e32 v5, v4
	flat_store_b128 v[0:1], v[2:5]
                                        ; implicit-def: $vgpr0_vgpr1
.LBB234_2201:
	s_wait_xcnt 0x0
	s_and_not1_saveexec_b32 s0, s0
	s_cbranch_execz .LBB234_2203
; %bb.2202:
	v_cndmask_b32_e64 v2, 0, 1.0, vcc_lo
	v_mov_b32_e32 v3, 0
	flat_store_b64 v[0:1], v[2:3]
.LBB234_2203:
	s_wait_xcnt 0x0
	s_or_b32 exec_lo, exec_lo, s0
                                        ; implicit-def: $vgpr0_vgpr1
.LBB234_2204:
	s_and_not1_saveexec_b32 s0, s6
	s_cbranch_execz .LBB234_2206
; %bb.2205:
	v_cndmask_b32_e64 v2, 0, 1.0, vcc_lo
	s_delay_alu instid0(VALU_DEP_1) | instskip(NEXT) | instid1(VALU_DEP_1)
	v_cvt_f16_f32_e32 v2, v2
	v_and_b32_e32 v2, 0xffff, v2
	flat_store_b32 v[0:1], v2
.LBB234_2206:
	s_wait_xcnt 0x0
	s_or_b32 exec_lo, exec_lo, s0
                                        ; implicit-def: $vgpr0_vgpr1
                                        ; implicit-def: $vgpr2
.LBB234_2207:
	s_and_not1_saveexec_b32 s5, s5
	s_cbranch_execz .LBB234_2217
; %bb.2208:
	s_mov_b32 s6, exec_lo
	v_cmpx_lt_i16_e32 5, v2
	s_xor_b32 s6, exec_lo, s6
	s_cbranch_execz .LBB234_2214
; %bb.2209:
	v_cmp_lt_i16_e64 s0, 6, v2
	s_and_saveexec_b32 s7, s0
	s_delay_alu instid0(SALU_CYCLE_1)
	s_xor_b32 s0, exec_lo, s7
	s_cbranch_execz .LBB234_2211
; %bb.2210:
	v_cndmask_b32_e64 v2, 0, 1, vcc_lo
	s_delay_alu instid0(VALU_DEP_1)
	v_cvt_f64_u32_e32 v[2:3], v2
	flat_store_b64 v[0:1], v[2:3]
                                        ; implicit-def: $vgpr0_vgpr1
.LBB234_2211:
	s_wait_xcnt 0x0
	s_and_not1_saveexec_b32 s0, s0
	s_cbranch_execz .LBB234_2213
; %bb.2212:
	v_cndmask_b32_e64 v2, 0, 1.0, vcc_lo
	flat_store_b32 v[0:1], v2
.LBB234_2213:
	s_wait_xcnt 0x0
	s_or_b32 exec_lo, exec_lo, s0
                                        ; implicit-def: $vgpr0_vgpr1
.LBB234_2214:
	s_and_not1_saveexec_b32 s0, s6
	s_cbranch_execz .LBB234_2216
; %bb.2215:
	v_cndmask_b32_e64 v2, 0, 1.0, vcc_lo
	s_delay_alu instid0(VALU_DEP_1)
	v_cvt_f16_f32_e32 v2, v2
	flat_store_b16 v[0:1], v2
.LBB234_2216:
	s_wait_xcnt 0x0
	s_or_b32 exec_lo, exec_lo, s0
.LBB234_2217:
	s_delay_alu instid0(SALU_CYCLE_1)
	s_or_b32 exec_lo, exec_lo, s5
                                        ; implicit-def: $vgpr2
                                        ; implicit-def: $vgpr0_vgpr1
.LBB234_2218:
	s_and_not1_saveexec_b32 s4, s4
	s_cbranch_execz .LBB234_2236
; %bb.2219:
	s_mov_b32 s5, exec_lo
	v_cmpx_lt_i16_e32 1, v2
	s_xor_b32 s5, exec_lo, s5
	s_cbranch_execz .LBB234_2229
; %bb.2220:
	s_mov_b32 s6, exec_lo
	v_cmpx_lt_i16_e32 2, v2
	s_xor_b32 s6, exec_lo, s6
	s_cbranch_execz .LBB234_2226
; %bb.2221:
	v_cmp_lt_i16_e64 s0, 3, v2
	s_and_saveexec_b32 s7, s0
	s_delay_alu instid0(SALU_CYCLE_1)
	s_xor_b32 s0, exec_lo, s7
	s_cbranch_execz .LBB234_2223
; %bb.2222:
	s_mov_b32 s7, 0
	v_cndmask_b32_e64 v2, 0, 1, vcc_lo
	v_mov_b32_e32 v3, s7
	flat_store_b64 v[0:1], v[2:3]
                                        ; implicit-def: $vgpr0_vgpr1
.LBB234_2223:
	s_wait_xcnt 0x0
	s_and_not1_saveexec_b32 s0, s0
	s_cbranch_execz .LBB234_2225
; %bb.2224:
	v_cndmask_b32_e64 v2, 0, 1, vcc_lo
	flat_store_b32 v[0:1], v2
.LBB234_2225:
	s_wait_xcnt 0x0
	s_or_b32 exec_lo, exec_lo, s0
                                        ; implicit-def: $vgpr0_vgpr1
.LBB234_2226:
	s_and_not1_saveexec_b32 s0, s6
	s_cbranch_execz .LBB234_2228
; %bb.2227:
	v_cndmask_b32_e64 v2, 0, 1, vcc_lo
	flat_store_b16 v[0:1], v2
.LBB234_2228:
	s_wait_xcnt 0x0
	s_or_b32 exec_lo, exec_lo, s0
                                        ; implicit-def: $vgpr0_vgpr1
                                        ; implicit-def: $vgpr2
.LBB234_2229:
	s_and_not1_saveexec_b32 s5, s5
	s_cbranch_execz .LBB234_2235
; %bb.2230:
	v_cmp_lt_i16_e64 s0, 0, v2
	v_cndmask_b32_e64 v2, 0, 1, vcc_lo
	s_and_saveexec_b32 s6, s0
	s_delay_alu instid0(SALU_CYCLE_1)
	s_xor_b32 s0, exec_lo, s6
	s_cbranch_execz .LBB234_2232
; %bb.2231:
	flat_store_b8 v[0:1], v2
                                        ; implicit-def: $vgpr0_vgpr1
                                        ; implicit-def: $vgpr2
.LBB234_2232:
	s_wait_xcnt 0x0
	s_and_not1_saveexec_b32 s0, s0
	s_cbranch_execz .LBB234_2234
; %bb.2233:
	flat_store_b8 v[0:1], v2
.LBB234_2234:
	s_wait_xcnt 0x0
	s_or_b32 exec_lo, exec_lo, s0
.LBB234_2235:
	s_delay_alu instid0(SALU_CYCLE_1)
	s_or_b32 exec_lo, exec_lo, s5
.LBB234_2236:
	s_delay_alu instid0(SALU_CYCLE_1) | instskip(NEXT) | instid1(SALU_CYCLE_1)
	s_or_b32 exec_lo, exec_lo, s4
	s_or_b32 s1, s1, exec_lo
	s_or_b32 exec_lo, exec_lo, s2
	s_mov_b32 s0, 0
	s_and_saveexec_b32 s2, s1
	s_cbranch_execnz .LBB234_97
	s_branch .LBB234_98
.LBB234_2237:
	s_and_not1_saveexec_b32 s2, s2
	s_cbranch_execz .LBB234_618
.LBB234_2238:
	s_mov_b32 s5, s3
	s_mov_b32 s1, exec_lo
                                        ; implicit-def: $vgpr21
	v_cmpx_lt_i16_e32 22, v1
	s_xor_b32 s1, exec_lo, s1
	s_cbranch_execz .LBB234_2270
; %bb.2239:
	s_mov_b32 s5, exec_lo
                                        ; implicit-def: $vgpr21
	v_cmpx_lt_i16_e32 23, v1
	s_xor_b32 s5, exec_lo, s5
	s_cbranch_execz .LBB234_2267
; %bb.2240:
	;; [unrolled: 6-line block ×3, first 2 shown]
	flat_load_u8 v6, v[2:3]
	s_mov_b32 s7, 0
	s_mov_b32 s8, exec_lo
	s_wait_loadcnt_dscnt 0x0
	v_cmpx_lt_i16_e32 0x7f, v6
	s_xor_b32 s8, exec_lo, s8
	s_cbranch_execz .LBB234_2580
; %bb.2242:
	s_mov_b32 s7, -1
	s_mov_b32 s9, exec_lo
	v_cmpx_eq_u16_e32 0x80, v6
; %bb.2243:
	s_xor_b32 s7, exec_lo, -1
; %bb.2244:
	s_or_b32 exec_lo, exec_lo, s9
	s_delay_alu instid0(SALU_CYCLE_1)
	s_and_b32 s7, s7, exec_lo
	s_or_saveexec_b32 s8, s8
	v_mov_b32_e32 v5, 0x7f800001
	s_xor_b32 exec_lo, exec_lo, s8
	s_cbranch_execnz .LBB234_2581
.LBB234_2245:
	s_or_b32 exec_lo, exec_lo, s8
	s_and_saveexec_b32 s8, s7
	s_cbranch_execz .LBB234_2247
.LBB234_2246:
	v_and_b32_e32 v5, 0xffff, v6
	s_delay_alu instid0(VALU_DEP_1) | instskip(SKIP_1) | instid1(VALU_DEP_2)
	v_dual_lshlrev_b32 v6, 24, v6 :: v_dual_bitop2_b32 v7, 3, v5 bitop3:0x40
	v_bfe_u32 v13, v5, 2, 5
	v_and_b32_e32 v6, 0x80000000, v6
	s_delay_alu instid0(VALU_DEP_3) | instskip(NEXT) | instid1(VALU_DEP_3)
	v_clz_i32_u32_e32 v9, v7
	v_cmp_eq_u32_e32 vcc_lo, 0, v13
	s_delay_alu instid0(VALU_DEP_2) | instskip(NEXT) | instid1(VALU_DEP_1)
	v_min_u32_e32 v9, 32, v9
	v_subrev_nc_u32_e32 v11, 29, v9
	v_sub_nc_u32_e32 v9, 30, v9
	s_delay_alu instid0(VALU_DEP_2) | instskip(NEXT) | instid1(VALU_DEP_2)
	v_lshlrev_b32_e32 v5, v11, v5
	v_cndmask_b32_e32 v9, v13, v9, vcc_lo
	s_delay_alu instid0(VALU_DEP_2) | instskip(NEXT) | instid1(VALU_DEP_1)
	v_and_b32_e32 v5, 3, v5
	v_cndmask_b32_e32 v5, v7, v5, vcc_lo
	s_delay_alu instid0(VALU_DEP_3) | instskip(NEXT) | instid1(VALU_DEP_2)
	v_lshl_add_u32 v7, v9, 23, 0x37800000
	v_lshlrev_b32_e32 v5, 21, v5
	s_delay_alu instid0(VALU_DEP_1)
	v_or3_b32 v5, v6, v7, v5
.LBB234_2247:
	s_or_b32 exec_lo, exec_lo, s8
	s_delay_alu instid0(VALU_DEP_1) | instskip(SKIP_1) | instid1(VALU_DEP_1)
	v_and_b32_e32 v7, 0x7fffffff, v5
	s_mov_b32 s7, exec_lo
                                        ; implicit-def: $vgpr6
	v_cmpx_gt_u32_e32 0x47800000, v7
	s_xor_b32 s7, exec_lo, s7
	s_cbranch_execz .LBB234_2253
; %bb.2248:
	s_mov_b32 s8, exec_lo
                                        ; implicit-def: $vgpr6
	v_cmpx_lt_u32_e32 0x387fffff, v7
	s_xor_b32 s8, exec_lo, s8
; %bb.2249:
	v_bfe_u32 v6, v5, 21, 1
	s_delay_alu instid0(VALU_DEP_1) | instskip(NEXT) | instid1(VALU_DEP_1)
	v_add3_u32 v6, v5, v6, 0x80fffff
	v_lshrrev_b32_e32 v6, 21, v6
; %bb.2250:
	s_and_not1_saveexec_b32 s8, s8
; %bb.2251:
	v_add_f32_e64 v6, 0x43000000, |v5|
; %bb.2252:
	s_or_b32 exec_lo, exec_lo, s8
                                        ; implicit-def: $vgpr7
.LBB234_2253:
	s_and_not1_saveexec_b32 s7, s7
; %bb.2254:
	v_mov_b32_e32 v6, 0x7f
	v_cmp_lt_u32_e32 vcc_lo, 0x7f800000, v7
	s_delay_alu instid0(VALU_DEP_2)
	v_cndmask_b32_e32 v6, 0x7c, v6, vcc_lo
; %bb.2255:
	s_or_b32 exec_lo, exec_lo, s7
	v_lshrrev_b32_e32 v5, 24, v5
	s_delay_alu instid0(VALU_DEP_1)
	v_and_or_b32 v21, 0x80, v5, v6
.LBB234_2256:
	s_and_not1_saveexec_b32 s6, s6
	s_cbranch_execz .LBB234_2266
; %bb.2257:
	flat_load_u8 v5, v[2:3]
	s_mov_b32 s7, exec_lo
	s_wait_loadcnt_dscnt 0x0
	v_lshlrev_b32_e32 v5, 24, v5
	s_delay_alu instid0(VALU_DEP_1) | instskip(NEXT) | instid1(VALU_DEP_1)
	v_and_b32_e32 v6, 0x7f000000, v5
	v_clz_i32_u32_e32 v7, v6
	v_add_nc_u32_e32 v11, 0x1000000, v6
	v_cmp_ne_u32_e32 vcc_lo, 0, v6
	s_delay_alu instid0(VALU_DEP_3) | instskip(NEXT) | instid1(VALU_DEP_1)
	v_min_u32_e32 v7, 32, v7
	v_sub_nc_u32_e64 v7, v7, 4 clamp
	s_delay_alu instid0(VALU_DEP_1) | instskip(NEXT) | instid1(VALU_DEP_1)
	v_lshlrev_b32_e32 v9, v7, v6
                                        ; implicit-def: $vgpr6
	v_dual_lshlrev_b32 v7, 23, v7 :: v_dual_lshrrev_b32 v9, 4, v9
	s_delay_alu instid0(VALU_DEP_1) | instskip(SKIP_1) | instid1(VALU_DEP_2)
	v_sub_nc_u32_e32 v7, v9, v7
	v_ashrrev_i32_e32 v9, 8, v11
	v_add_nc_u32_e32 v7, 0x3c000000, v7
	s_delay_alu instid0(VALU_DEP_1) | instskip(NEXT) | instid1(VALU_DEP_1)
	v_and_or_b32 v7, 0x7f800000, v9, v7
	v_cndmask_b32_e32 v9, 0, v7, vcc_lo
	s_delay_alu instid0(VALU_DEP_1) | instskip(NEXT) | instid1(VALU_DEP_1)
	v_and_or_b32 v5, 0x80000000, v5, v9
	v_and_b32_e32 v7, 0x7fffffff, v5
	s_wait_xcnt 0x0
	s_delay_alu instid0(VALU_DEP_1)
	v_cmpx_gt_u32_e32 0x47800000, v7
	s_xor_b32 s7, exec_lo, s7
	s_cbranch_execz .LBB234_2263
; %bb.2258:
	s_mov_b32 s8, exec_lo
                                        ; implicit-def: $vgpr6
	v_cmpx_lt_u32_e32 0x387fffff, v7
	s_xor_b32 s8, exec_lo, s8
; %bb.2259:
	v_bfe_u32 v6, v9, 21, 1
	s_delay_alu instid0(VALU_DEP_1) | instskip(NEXT) | instid1(VALU_DEP_1)
	v_add3_u32 v6, v5, v6, 0x80fffff
	v_lshrrev_b32_e32 v6, 21, v6
; %bb.2260:
	s_and_not1_saveexec_b32 s8, s8
; %bb.2261:
	v_add_f32_e64 v6, 0x43000000, |v5|
; %bb.2262:
	s_or_b32 exec_lo, exec_lo, s8
                                        ; implicit-def: $vgpr7
.LBB234_2263:
	s_and_not1_saveexec_b32 s7, s7
; %bb.2264:
	v_mov_b32_e32 v6, 0x7f
	v_cmp_lt_u32_e32 vcc_lo, 0x7f800000, v7
	s_delay_alu instid0(VALU_DEP_2)
	v_cndmask_b32_e32 v6, 0x7c, v6, vcc_lo
; %bb.2265:
	s_or_b32 exec_lo, exec_lo, s7
	v_lshrrev_b32_e32 v5, 24, v5
	s_delay_alu instid0(VALU_DEP_1)
	v_and_or_b32 v21, 0x80, v5, v6
.LBB234_2266:
	s_or_b32 exec_lo, exec_lo, s6
.LBB234_2267:
	s_and_not1_saveexec_b32 s5, s5
	s_cbranch_execz .LBB234_2269
; %bb.2268:
	flat_load_u8 v21, v[2:3]
.LBB234_2269:
	s_wait_xcnt 0x0
	s_or_b32 exec_lo, exec_lo, s5
	s_delay_alu instid0(SALU_CYCLE_1)
	s_or_b32 s5, s3, exec_lo
.LBB234_2270:
	s_or_saveexec_b32 s1, s1
	s_mov_b32 s6, 0
	s_mov_b32 s7, s4
	s_xor_b32 exec_lo, exec_lo, s1
	s_cbranch_execz .LBB234_2286
; %bb.2271:
	s_mov_b32 s7, s4
	s_mov_b32 s8, s5
	s_mov_b32 s6, exec_lo
                                        ; implicit-def: $vgpr21
	v_cmpx_lt_i16_e32 14, v1
	s_xor_b32 s6, exec_lo, s6
	s_cbranch_execz .LBB234_2283
; %bb.2272:
	s_mov_b32 s8, -1
	s_mov_b32 s9, s5
	s_mov_b32 s7, exec_lo
                                        ; implicit-def: $vgpr21
	v_cmpx_eq_u16_e32 15, v1
	s_cbranch_execz .LBB234_2282
; %bb.2273:
	flat_load_u16 v5, v[2:3]
	s_mov_b32 s8, exec_lo
                                        ; implicit-def: $vgpr6
	s_wait_loadcnt_dscnt 0x0
	v_lshlrev_b32_e32 v7, 16, v5
	s_delay_alu instid0(VALU_DEP_1) | instskip(SKIP_1) | instid1(VALU_DEP_1)
	v_and_b32_e32 v9, 0x7fffffff, v7
	s_wait_xcnt 0x0
	v_cmpx_gt_u32_e32 0x47800000, v9
	s_xor_b32 s8, exec_lo, s8
	s_cbranch_execz .LBB234_2279
; %bb.2274:
	s_mov_b32 s9, exec_lo
                                        ; implicit-def: $vgpr6
	v_cmpx_lt_u32_e32 0x387fffff, v9
	s_xor_b32 s9, exec_lo, s9
; %bb.2275:
	v_bfe_u32 v6, v5, 5, 1
	s_delay_alu instid0(VALU_DEP_1) | instskip(NEXT) | instid1(VALU_DEP_1)
	v_add3_u32 v6, v7, v6, 0x80fffff
                                        ; implicit-def: $vgpr7
	v_lshrrev_b32_e32 v6, 21, v6
; %bb.2276:
	s_and_not1_saveexec_b32 s9, s9
; %bb.2277:
	v_add_f32_e64 v6, 0x43000000, |v7|
; %bb.2278:
	s_or_b32 exec_lo, exec_lo, s9
                                        ; implicit-def: $vgpr9
.LBB234_2279:
	s_and_not1_saveexec_b32 s8, s8
; %bb.2280:
	v_mov_b32_e32 v6, 0x7f
	v_cmp_lt_u32_e32 vcc_lo, 0x7f800000, v9
	s_delay_alu instid0(VALU_DEP_2)
	v_cndmask_b32_e32 v6, 0x7c, v6, vcc_lo
; %bb.2281:
	s_or_b32 exec_lo, exec_lo, s8
	v_lshrrev_b32_e32 v5, 8, v5
	s_or_b32 s9, s5, exec_lo
	s_xor_b32 s8, exec_lo, -1
	s_delay_alu instid0(VALU_DEP_1)
	v_and_or_b32 v21, 0x80, v5, v6
.LBB234_2282:
	s_or_b32 exec_lo, exec_lo, s7
	s_delay_alu instid0(SALU_CYCLE_1)
	s_and_not1_b32 s7, s5, exec_lo
	s_and_b32 s9, s9, exec_lo
	s_and_not1_b32 s10, s4, exec_lo
	s_and_b32 s11, s8, exec_lo
	s_or_b32 s8, s7, s9
	s_or_b32 s7, s10, s11
.LBB234_2283:
	s_or_saveexec_b32 s9, s6
	s_mov_b32 s6, 0
	s_xor_b32 exec_lo, exec_lo, s9
; %bb.2284:
	v_cmp_ne_u16_e32 vcc_lo, 11, v1
	s_and_not1_b32 s7, s7, exec_lo
	s_mov_b32 s6, exec_lo
	s_and_b32 s10, vcc_lo, exec_lo
	s_delay_alu instid0(SALU_CYCLE_1)
	s_or_b32 s7, s7, s10
; %bb.2285:
	s_or_b32 exec_lo, exec_lo, s9
	s_delay_alu instid0(SALU_CYCLE_1)
	s_and_not1_b32 s5, s5, exec_lo
	s_and_b32 s8, s8, exec_lo
	s_and_b32 s7, s7, exec_lo
	s_or_b32 s5, s5, s8
	s_and_not1_b32 s8, s4, exec_lo
	s_and_b32 s6, s6, exec_lo
	s_or_b32 s7, s8, s7
.LBB234_2286:
	s_or_b32 exec_lo, exec_lo, s1
	s_delay_alu instid0(SALU_CYCLE_1)
	s_and_not1_b32 s1, s3, exec_lo
	s_and_b32 s3, s5, exec_lo
	s_and_not1_b32 s4, s4, exec_lo
	s_and_b32 s5, s7, exec_lo
	s_or_b32 s3, s1, s3
	s_and_b32 s1, s6, exec_lo
	s_or_b32 s4, s4, s5
	s_or_b32 exec_lo, exec_lo, s2
	s_mov_b32 s2, s14
	s_and_saveexec_b32 s5, s4
	s_cbranch_execz .LBB234_619
.LBB234_2287:
	s_or_b32 s2, s14, exec_lo
	s_and_not1_b32 s1, s1, exec_lo
	s_trap 2
	s_or_b32 exec_lo, exec_lo, s5
	s_and_saveexec_b32 s4, s1
	s_cbranch_execnz .LBB234_620
	s_branch .LBB234_629
.LBB234_2288:
	s_and_not1_saveexec_b32 s2, s2
	s_cbranch_execz .LBB234_195
.LBB234_2289:
	s_mov_b32 s4, exec_lo
	v_cmpx_lt_i16_e32 4, v2
	s_xor_b32 s4, exec_lo, s4
	s_cbranch_execz .LBB234_2311
; %bb.2290:
	s_mov_b32 s5, exec_lo
	v_cmpx_lt_i16_e32 7, v2
	s_xor_b32 s5, exec_lo, s5
	s_cbranch_execz .LBB234_2300
; %bb.2291:
	;; [unrolled: 5-line block ×3, first 2 shown]
	v_cmp_lt_i16_e64 s0, 9, v2
	s_and_saveexec_b32 s7, s0
	s_delay_alu instid0(SALU_CYCLE_1)
	s_xor_b32 s0, exec_lo, s7
	s_cbranch_execz .LBB234_2294
; %bb.2293:
	v_cndmask_b32_e64 v2, 0, 1, vcc_lo
	v_mov_b32_e32 v4, 0
	s_delay_alu instid0(VALU_DEP_2) | instskip(NEXT) | instid1(VALU_DEP_2)
	v_cvt_f64_u32_e32 v[2:3], v2
	v_mov_b32_e32 v5, v4
	flat_store_b128 v[0:1], v[2:5]
                                        ; implicit-def: $vgpr0_vgpr1
.LBB234_2294:
	s_wait_xcnt 0x0
	s_and_not1_saveexec_b32 s0, s0
	s_cbranch_execz .LBB234_2296
; %bb.2295:
	v_cndmask_b32_e64 v2, 0, 1.0, vcc_lo
	v_mov_b32_e32 v3, 0
	flat_store_b64 v[0:1], v[2:3]
.LBB234_2296:
	s_wait_xcnt 0x0
	s_or_b32 exec_lo, exec_lo, s0
                                        ; implicit-def: $vgpr0_vgpr1
.LBB234_2297:
	s_and_not1_saveexec_b32 s0, s6
	s_cbranch_execz .LBB234_2299
; %bb.2298:
	v_cndmask_b32_e64 v2, 0, 1.0, vcc_lo
	s_delay_alu instid0(VALU_DEP_1) | instskip(NEXT) | instid1(VALU_DEP_1)
	v_cvt_f16_f32_e32 v2, v2
	v_and_b32_e32 v2, 0xffff, v2
	flat_store_b32 v[0:1], v2
.LBB234_2299:
	s_wait_xcnt 0x0
	s_or_b32 exec_lo, exec_lo, s0
                                        ; implicit-def: $vgpr0_vgpr1
                                        ; implicit-def: $vgpr2
.LBB234_2300:
	s_and_not1_saveexec_b32 s5, s5
	s_cbranch_execz .LBB234_2310
; %bb.2301:
	s_mov_b32 s6, exec_lo
	v_cmpx_lt_i16_e32 5, v2
	s_xor_b32 s6, exec_lo, s6
	s_cbranch_execz .LBB234_2307
; %bb.2302:
	v_cmp_lt_i16_e64 s0, 6, v2
	s_and_saveexec_b32 s7, s0
	s_delay_alu instid0(SALU_CYCLE_1)
	s_xor_b32 s0, exec_lo, s7
	s_cbranch_execz .LBB234_2304
; %bb.2303:
	v_cndmask_b32_e64 v2, 0, 1, vcc_lo
	s_delay_alu instid0(VALU_DEP_1)
	v_cvt_f64_u32_e32 v[2:3], v2
	flat_store_b64 v[0:1], v[2:3]
                                        ; implicit-def: $vgpr0_vgpr1
.LBB234_2304:
	s_wait_xcnt 0x0
	s_and_not1_saveexec_b32 s0, s0
	s_cbranch_execz .LBB234_2306
; %bb.2305:
	v_cndmask_b32_e64 v2, 0, 1.0, vcc_lo
	flat_store_b32 v[0:1], v2
.LBB234_2306:
	s_wait_xcnt 0x0
	s_or_b32 exec_lo, exec_lo, s0
                                        ; implicit-def: $vgpr0_vgpr1
.LBB234_2307:
	s_and_not1_saveexec_b32 s0, s6
	s_cbranch_execz .LBB234_2309
; %bb.2308:
	v_cndmask_b32_e64 v2, 0, 1.0, vcc_lo
	s_delay_alu instid0(VALU_DEP_1)
	v_cvt_f16_f32_e32 v2, v2
	flat_store_b16 v[0:1], v2
.LBB234_2309:
	s_wait_xcnt 0x0
	s_or_b32 exec_lo, exec_lo, s0
.LBB234_2310:
	s_delay_alu instid0(SALU_CYCLE_1)
	s_or_b32 exec_lo, exec_lo, s5
                                        ; implicit-def: $vgpr2
                                        ; implicit-def: $vgpr0_vgpr1
.LBB234_2311:
	s_and_not1_saveexec_b32 s4, s4
	s_cbranch_execz .LBB234_2329
; %bb.2312:
	s_mov_b32 s5, exec_lo
	v_cmpx_lt_i16_e32 1, v2
	s_xor_b32 s5, exec_lo, s5
	s_cbranch_execz .LBB234_2322
; %bb.2313:
	s_mov_b32 s6, exec_lo
	v_cmpx_lt_i16_e32 2, v2
	s_xor_b32 s6, exec_lo, s6
	s_cbranch_execz .LBB234_2319
; %bb.2314:
	v_cmp_lt_i16_e64 s0, 3, v2
	s_and_saveexec_b32 s7, s0
	s_delay_alu instid0(SALU_CYCLE_1)
	s_xor_b32 s0, exec_lo, s7
	s_cbranch_execz .LBB234_2316
; %bb.2315:
	s_mov_b32 s7, 0
	v_cndmask_b32_e64 v2, 0, 1, vcc_lo
	v_mov_b32_e32 v3, s7
	flat_store_b64 v[0:1], v[2:3]
                                        ; implicit-def: $vgpr0_vgpr1
.LBB234_2316:
	s_wait_xcnt 0x0
	s_and_not1_saveexec_b32 s0, s0
	s_cbranch_execz .LBB234_2318
; %bb.2317:
	v_cndmask_b32_e64 v2, 0, 1, vcc_lo
	flat_store_b32 v[0:1], v2
.LBB234_2318:
	s_wait_xcnt 0x0
	s_or_b32 exec_lo, exec_lo, s0
                                        ; implicit-def: $vgpr0_vgpr1
.LBB234_2319:
	s_and_not1_saveexec_b32 s0, s6
	s_cbranch_execz .LBB234_2321
; %bb.2320:
	v_cndmask_b32_e64 v2, 0, 1, vcc_lo
	flat_store_b16 v[0:1], v2
.LBB234_2321:
	s_wait_xcnt 0x0
	s_or_b32 exec_lo, exec_lo, s0
                                        ; implicit-def: $vgpr0_vgpr1
                                        ; implicit-def: $vgpr2
.LBB234_2322:
	s_and_not1_saveexec_b32 s5, s5
	s_cbranch_execz .LBB234_2328
; %bb.2323:
	v_cmp_lt_i16_e64 s0, 0, v2
	v_cndmask_b32_e64 v2, 0, 1, vcc_lo
	s_and_saveexec_b32 s6, s0
	s_delay_alu instid0(SALU_CYCLE_1)
	s_xor_b32 s0, exec_lo, s6
	s_cbranch_execz .LBB234_2325
; %bb.2324:
	flat_store_b8 v[0:1], v2
                                        ; implicit-def: $vgpr0_vgpr1
                                        ; implicit-def: $vgpr2
.LBB234_2325:
	s_wait_xcnt 0x0
	s_and_not1_saveexec_b32 s0, s0
	s_cbranch_execz .LBB234_2327
; %bb.2326:
	flat_store_b8 v[0:1], v2
.LBB234_2327:
	s_wait_xcnt 0x0
	s_or_b32 exec_lo, exec_lo, s0
.LBB234_2328:
	s_delay_alu instid0(SALU_CYCLE_1)
	s_or_b32 exec_lo, exec_lo, s5
.LBB234_2329:
	s_delay_alu instid0(SALU_CYCLE_1) | instskip(NEXT) | instid1(SALU_CYCLE_1)
	s_or_b32 exec_lo, exec_lo, s4
	s_or_b32 s1, s1, exec_lo
	s_or_b32 exec_lo, exec_lo, s2
	s_mov_b32 s0, 0
	s_and_saveexec_b32 s2, s1
	s_cbranch_execnz .LBB234_196
	s_branch .LBB234_197
.LBB234_2330:
	s_and_not1_saveexec_b32 s2, s2
	s_cbranch_execz .LBB234_844
.LBB234_2331:
	s_mov_b32 s5, s3
	s_mov_b32 s1, exec_lo
                                        ; implicit-def: $vgpr25
	v_cmpx_lt_i16_e32 22, v3
	s_xor_b32 s1, exec_lo, s1
	s_cbranch_execz .LBB234_2363
; %bb.2332:
	s_mov_b32 s5, exec_lo
                                        ; implicit-def: $vgpr25
	v_cmpx_lt_i16_e32 23, v3
	s_xor_b32 s5, exec_lo, s5
	s_cbranch_execz .LBB234_2360
; %bb.2333:
	;; [unrolled: 6-line block ×3, first 2 shown]
	flat_load_u8 v9, v[12:13]
	s_mov_b32 s7, 0
	s_mov_b32 s8, exec_lo
	s_wait_loadcnt_dscnt 0x0
	v_cmpx_lt_i16_e32 0x7f, v9
	s_xor_b32 s8, exec_lo, s8
	s_cbranch_execz .LBB234_2637
; %bb.2335:
	s_mov_b32 s7, -1
	s_mov_b32 s9, exec_lo
	v_cmpx_eq_u16_e32 0x80, v9
; %bb.2336:
	s_xor_b32 s7, exec_lo, -1
; %bb.2337:
	s_or_b32 exec_lo, exec_lo, s9
	s_delay_alu instid0(SALU_CYCLE_1)
	s_and_b32 s7, s7, exec_lo
	s_or_saveexec_b32 s8, s8
	v_mov_b32_e32 v5, 0x7f800001
	s_xor_b32 exec_lo, exec_lo, s8
	s_cbranch_execnz .LBB234_2638
.LBB234_2338:
	s_or_b32 exec_lo, exec_lo, s8
	s_and_saveexec_b32 s8, s7
	s_cbranch_execz .LBB234_2340
.LBB234_2339:
	v_and_b32_e32 v5, 0xffff, v9
	s_delay_alu instid0(VALU_DEP_1) | instskip(SKIP_1) | instid1(VALU_DEP_2)
	v_and_b32_e32 v11, 3, v5
	v_bfe_u32 v23, v5, 2, 5
	v_clz_i32_u32_e32 v14, v11
	s_delay_alu instid0(VALU_DEP_2) | instskip(NEXT) | instid1(VALU_DEP_2)
	v_cmp_eq_u32_e32 vcc_lo, 0, v23
	v_min_u32_e32 v14, 32, v14
	s_delay_alu instid0(VALU_DEP_1) | instskip(NEXT) | instid1(VALU_DEP_1)
	v_subrev_nc_u32_e32 v22, 29, v14
	v_dual_lshlrev_b32 v5, v22, v5 :: v_dual_sub_nc_u32 v14, 30, v14
	s_delay_alu instid0(VALU_DEP_1) | instskip(NEXT) | instid1(VALU_DEP_2)
	v_and_b32_e32 v5, 3, v5
	v_dual_cndmask_b32 v14, v23, v14 :: v_dual_lshlrev_b32 v9, 24, v9
	s_delay_alu instid0(VALU_DEP_2) | instskip(NEXT) | instid1(VALU_DEP_2)
	v_cndmask_b32_e32 v5, v11, v5, vcc_lo
	v_and_b32_e32 v9, 0x80000000, v9
	s_delay_alu instid0(VALU_DEP_3) | instskip(NEXT) | instid1(VALU_DEP_3)
	v_lshl_add_u32 v11, v14, 23, 0x37800000
	v_lshlrev_b32_e32 v5, 21, v5
	s_delay_alu instid0(VALU_DEP_1)
	v_or3_b32 v5, v9, v11, v5
.LBB234_2340:
	s_or_b32 exec_lo, exec_lo, s8
	s_delay_alu instid0(VALU_DEP_1) | instskip(SKIP_1) | instid1(VALU_DEP_1)
	v_and_b32_e32 v11, 0x7fffffff, v5
	s_mov_b32 s7, exec_lo
                                        ; implicit-def: $vgpr9
	v_cmpx_gt_u32_e32 0x47800000, v11
	s_xor_b32 s7, exec_lo, s7
	s_cbranch_execz .LBB234_2346
; %bb.2341:
	s_mov_b32 s8, exec_lo
                                        ; implicit-def: $vgpr9
	v_cmpx_lt_u32_e32 0x387fffff, v11
	s_xor_b32 s8, exec_lo, s8
; %bb.2342:
	v_bfe_u32 v9, v5, 21, 1
	s_delay_alu instid0(VALU_DEP_1) | instskip(NEXT) | instid1(VALU_DEP_1)
	v_add3_u32 v9, v5, v9, 0x80fffff
	v_lshrrev_b32_e32 v9, 21, v9
; %bb.2343:
	s_and_not1_saveexec_b32 s8, s8
; %bb.2344:
	v_add_f32_e64 v9, 0x43000000, |v5|
; %bb.2345:
	s_or_b32 exec_lo, exec_lo, s8
                                        ; implicit-def: $vgpr11
.LBB234_2346:
	s_and_not1_saveexec_b32 s7, s7
; %bb.2347:
	v_mov_b32_e32 v9, 0x7f
	v_cmp_lt_u32_e32 vcc_lo, 0x7f800000, v11
	s_delay_alu instid0(VALU_DEP_2)
	v_cndmask_b32_e32 v9, 0x7c, v9, vcc_lo
; %bb.2348:
	s_or_b32 exec_lo, exec_lo, s7
	v_lshrrev_b32_e32 v5, 24, v5
	s_delay_alu instid0(VALU_DEP_1)
	v_and_or_b32 v25, 0x80, v5, v9
.LBB234_2349:
	s_and_not1_saveexec_b32 s6, s6
	s_cbranch_execz .LBB234_2359
; %bb.2350:
	flat_load_u8 v5, v[12:13]
	s_mov_b32 s7, exec_lo
	s_wait_loadcnt_dscnt 0x0
	v_lshlrev_b32_e32 v5, 24, v5
	s_delay_alu instid0(VALU_DEP_1) | instskip(NEXT) | instid1(VALU_DEP_1)
	v_and_b32_e32 v9, 0x7f000000, v5
	v_clz_i32_u32_e32 v11, v9
	v_add_nc_u32_e32 v22, 0x1000000, v9
	v_cmp_ne_u32_e32 vcc_lo, 0, v9
	s_delay_alu instid0(VALU_DEP_3) | instskip(NEXT) | instid1(VALU_DEP_1)
	v_min_u32_e32 v11, 32, v11
	v_sub_nc_u32_e64 v11, v11, 4 clamp
	s_delay_alu instid0(VALU_DEP_1) | instskip(NEXT) | instid1(VALU_DEP_1)
	v_dual_lshlrev_b32 v14, v11, v9 :: v_dual_lshlrev_b32 v11, 23, v11
                                        ; implicit-def: $vgpr9
	v_lshrrev_b32_e32 v14, 4, v14
	s_delay_alu instid0(VALU_DEP_1) | instskip(NEXT) | instid1(VALU_DEP_1)
	v_dual_sub_nc_u32 v11, v14, v11 :: v_dual_ashrrev_i32 v14, 8, v22
	v_add_nc_u32_e32 v11, 0x3c000000, v11
	s_delay_alu instid0(VALU_DEP_1) | instskip(NEXT) | instid1(VALU_DEP_1)
	v_and_or_b32 v11, 0x7f800000, v14, v11
	v_cndmask_b32_e32 v14, 0, v11, vcc_lo
	s_delay_alu instid0(VALU_DEP_1) | instskip(NEXT) | instid1(VALU_DEP_1)
	v_and_or_b32 v5, 0x80000000, v5, v14
	v_and_b32_e32 v11, 0x7fffffff, v5
	s_wait_xcnt 0x0
	s_delay_alu instid0(VALU_DEP_1)
	v_cmpx_gt_u32_e32 0x47800000, v11
	s_xor_b32 s7, exec_lo, s7
	s_cbranch_execz .LBB234_2356
; %bb.2351:
	s_mov_b32 s8, exec_lo
                                        ; implicit-def: $vgpr9
	v_cmpx_lt_u32_e32 0x387fffff, v11
	s_xor_b32 s8, exec_lo, s8
; %bb.2352:
	v_bfe_u32 v9, v14, 21, 1
	s_delay_alu instid0(VALU_DEP_1) | instskip(NEXT) | instid1(VALU_DEP_1)
	v_add3_u32 v9, v5, v9, 0x80fffff
	v_lshrrev_b32_e32 v9, 21, v9
; %bb.2353:
	s_and_not1_saveexec_b32 s8, s8
; %bb.2354:
	v_add_f32_e64 v9, 0x43000000, |v5|
; %bb.2355:
	s_or_b32 exec_lo, exec_lo, s8
                                        ; implicit-def: $vgpr11
.LBB234_2356:
	s_and_not1_saveexec_b32 s7, s7
; %bb.2357:
	v_mov_b32_e32 v9, 0x7f
	v_cmp_lt_u32_e32 vcc_lo, 0x7f800000, v11
	s_delay_alu instid0(VALU_DEP_2)
	v_cndmask_b32_e32 v9, 0x7c, v9, vcc_lo
; %bb.2358:
	s_or_b32 exec_lo, exec_lo, s7
	v_lshrrev_b32_e32 v5, 24, v5
	s_delay_alu instid0(VALU_DEP_1)
	v_and_or_b32 v25, 0x80, v5, v9
.LBB234_2359:
	s_or_b32 exec_lo, exec_lo, s6
.LBB234_2360:
	s_and_not1_saveexec_b32 s5, s5
	s_cbranch_execz .LBB234_2362
; %bb.2361:
	flat_load_u8 v25, v[12:13]
.LBB234_2362:
	s_wait_xcnt 0x0
	s_or_b32 exec_lo, exec_lo, s5
	s_delay_alu instid0(SALU_CYCLE_1)
	s_or_b32 s5, s3, exec_lo
.LBB234_2363:
	s_or_saveexec_b32 s1, s1
	s_mov_b32 s6, 0
	s_mov_b32 s7, s4
	s_xor_b32 exec_lo, exec_lo, s1
	s_cbranch_execz .LBB234_2379
; %bb.2364:
	s_mov_b32 s7, s4
	s_mov_b32 s8, s5
	s_mov_b32 s6, exec_lo
                                        ; implicit-def: $vgpr25
	v_cmpx_lt_i16_e32 14, v3
	s_xor_b32 s6, exec_lo, s6
	s_cbranch_execz .LBB234_2376
; %bb.2365:
	s_mov_b32 s8, -1
	s_mov_b32 s9, s5
	s_mov_b32 s7, exec_lo
                                        ; implicit-def: $vgpr25
	v_cmpx_eq_u16_e32 15, v3
	s_cbranch_execz .LBB234_2375
; %bb.2366:
	flat_load_u16 v5, v[12:13]
	s_mov_b32 s8, exec_lo
                                        ; implicit-def: $vgpr9
	s_wait_loadcnt_dscnt 0x0
	v_lshlrev_b32_e32 v11, 16, v5
	s_delay_alu instid0(VALU_DEP_1) | instskip(SKIP_1) | instid1(VALU_DEP_1)
	v_and_b32_e32 v14, 0x7fffffff, v11
	s_wait_xcnt 0x0
	v_cmpx_gt_u32_e32 0x47800000, v14
	s_xor_b32 s8, exec_lo, s8
	s_cbranch_execz .LBB234_2372
; %bb.2367:
	s_mov_b32 s9, exec_lo
                                        ; implicit-def: $vgpr9
	v_cmpx_lt_u32_e32 0x387fffff, v14
	s_xor_b32 s9, exec_lo, s9
; %bb.2368:
	v_bfe_u32 v9, v5, 5, 1
	s_delay_alu instid0(VALU_DEP_1) | instskip(NEXT) | instid1(VALU_DEP_1)
	v_add3_u32 v9, v11, v9, 0x80fffff
                                        ; implicit-def: $vgpr11
	v_lshrrev_b32_e32 v9, 21, v9
; %bb.2369:
	s_and_not1_saveexec_b32 s9, s9
; %bb.2370:
	v_add_f32_e64 v9, 0x43000000, |v11|
; %bb.2371:
	s_or_b32 exec_lo, exec_lo, s9
                                        ; implicit-def: $vgpr14
.LBB234_2372:
	s_and_not1_saveexec_b32 s8, s8
; %bb.2373:
	v_mov_b32_e32 v9, 0x7f
	v_cmp_lt_u32_e32 vcc_lo, 0x7f800000, v14
	s_delay_alu instid0(VALU_DEP_2)
	v_cndmask_b32_e32 v9, 0x7c, v9, vcc_lo
; %bb.2374:
	s_or_b32 exec_lo, exec_lo, s8
	v_lshrrev_b32_e32 v5, 8, v5
	s_or_b32 s9, s5, exec_lo
	s_xor_b32 s8, exec_lo, -1
	s_delay_alu instid0(VALU_DEP_1)
	v_and_or_b32 v25, 0x80, v5, v9
.LBB234_2375:
	s_or_b32 exec_lo, exec_lo, s7
	s_delay_alu instid0(SALU_CYCLE_1)
	s_and_not1_b32 s7, s5, exec_lo
	s_and_b32 s9, s9, exec_lo
	s_and_not1_b32 s10, s4, exec_lo
	s_and_b32 s11, s8, exec_lo
	s_or_b32 s8, s7, s9
	s_or_b32 s7, s10, s11
.LBB234_2376:
	s_or_saveexec_b32 s9, s6
	s_mov_b32 s6, 0
	s_xor_b32 exec_lo, exec_lo, s9
; %bb.2377:
	v_cmp_ne_u16_e32 vcc_lo, 11, v3
	s_and_not1_b32 s7, s7, exec_lo
	s_mov_b32 s6, exec_lo
	s_and_b32 s10, vcc_lo, exec_lo
	s_delay_alu instid0(SALU_CYCLE_1)
	s_or_b32 s7, s7, s10
; %bb.2378:
	s_or_b32 exec_lo, exec_lo, s9
	s_delay_alu instid0(SALU_CYCLE_1)
	s_and_not1_b32 s5, s5, exec_lo
	s_and_b32 s8, s8, exec_lo
	s_and_b32 s7, s7, exec_lo
	s_or_b32 s5, s5, s8
	s_and_not1_b32 s8, s4, exec_lo
	s_and_b32 s6, s6, exec_lo
	s_or_b32 s7, s8, s7
.LBB234_2379:
	s_or_b32 exec_lo, exec_lo, s1
	s_delay_alu instid0(SALU_CYCLE_1)
	s_and_not1_b32 s1, s3, exec_lo
	s_and_b32 s3, s5, exec_lo
	s_and_not1_b32 s4, s4, exec_lo
	s_and_b32 s5, s7, exec_lo
	s_or_b32 s3, s1, s3
	s_and_b32 s1, s6, exec_lo
	s_or_b32 s4, s4, s5
	s_or_b32 exec_lo, exec_lo, s2
	s_mov_b32 s2, s16
	s_and_saveexec_b32 s5, s4
	s_cbranch_execz .LBB234_845
.LBB234_2380:
	s_or_b32 s2, s16, exec_lo
	s_and_not1_b32 s1, s1, exec_lo
	s_trap 2
	s_or_b32 exec_lo, exec_lo, s5
	s_and_saveexec_b32 s4, s1
	s_cbranch_execnz .LBB234_846
	s_branch .LBB234_855
.LBB234_2381:
	s_and_not1_saveexec_b32 s2, s2
	s_cbranch_execz .LBB234_294
.LBB234_2382:
	s_mov_b32 s4, exec_lo
	v_cmpx_lt_i16_e32 4, v2
	s_xor_b32 s4, exec_lo, s4
	s_cbranch_execz .LBB234_2404
; %bb.2383:
	s_mov_b32 s5, exec_lo
	v_cmpx_lt_i16_e32 7, v2
	s_xor_b32 s5, exec_lo, s5
	s_cbranch_execz .LBB234_2393
; %bb.2384:
	;; [unrolled: 5-line block ×3, first 2 shown]
	v_cmp_lt_i16_e64 s0, 9, v2
	s_and_saveexec_b32 s7, s0
	s_delay_alu instid0(SALU_CYCLE_1)
	s_xor_b32 s0, exec_lo, s7
	s_cbranch_execz .LBB234_2387
; %bb.2386:
	v_cndmask_b32_e64 v2, 0, 1, vcc_lo
	v_mov_b32_e32 v4, 0
	s_delay_alu instid0(VALU_DEP_2) | instskip(NEXT) | instid1(VALU_DEP_2)
	v_cvt_f64_u32_e32 v[2:3], v2
	v_mov_b32_e32 v5, v4
	flat_store_b128 v[0:1], v[2:5]
                                        ; implicit-def: $vgpr0_vgpr1
.LBB234_2387:
	s_wait_xcnt 0x0
	s_and_not1_saveexec_b32 s0, s0
	s_cbranch_execz .LBB234_2389
; %bb.2388:
	v_cndmask_b32_e64 v2, 0, 1.0, vcc_lo
	v_mov_b32_e32 v3, 0
	flat_store_b64 v[0:1], v[2:3]
.LBB234_2389:
	s_wait_xcnt 0x0
	s_or_b32 exec_lo, exec_lo, s0
                                        ; implicit-def: $vgpr0_vgpr1
.LBB234_2390:
	s_and_not1_saveexec_b32 s0, s6
	s_cbranch_execz .LBB234_2392
; %bb.2391:
	v_cndmask_b32_e64 v2, 0, 1.0, vcc_lo
	s_delay_alu instid0(VALU_DEP_1) | instskip(NEXT) | instid1(VALU_DEP_1)
	v_cvt_f16_f32_e32 v2, v2
	v_and_b32_e32 v2, 0xffff, v2
	flat_store_b32 v[0:1], v2
.LBB234_2392:
	s_wait_xcnt 0x0
	s_or_b32 exec_lo, exec_lo, s0
                                        ; implicit-def: $vgpr0_vgpr1
                                        ; implicit-def: $vgpr2
.LBB234_2393:
	s_and_not1_saveexec_b32 s5, s5
	s_cbranch_execz .LBB234_2403
; %bb.2394:
	s_mov_b32 s6, exec_lo
	v_cmpx_lt_i16_e32 5, v2
	s_xor_b32 s6, exec_lo, s6
	s_cbranch_execz .LBB234_2400
; %bb.2395:
	v_cmp_lt_i16_e64 s0, 6, v2
	s_and_saveexec_b32 s7, s0
	s_delay_alu instid0(SALU_CYCLE_1)
	s_xor_b32 s0, exec_lo, s7
	s_cbranch_execz .LBB234_2397
; %bb.2396:
	v_cndmask_b32_e64 v2, 0, 1, vcc_lo
	s_delay_alu instid0(VALU_DEP_1)
	v_cvt_f64_u32_e32 v[2:3], v2
	flat_store_b64 v[0:1], v[2:3]
                                        ; implicit-def: $vgpr0_vgpr1
.LBB234_2397:
	s_wait_xcnt 0x0
	s_and_not1_saveexec_b32 s0, s0
	s_cbranch_execz .LBB234_2399
; %bb.2398:
	v_cndmask_b32_e64 v2, 0, 1.0, vcc_lo
	flat_store_b32 v[0:1], v2
.LBB234_2399:
	s_wait_xcnt 0x0
	s_or_b32 exec_lo, exec_lo, s0
                                        ; implicit-def: $vgpr0_vgpr1
.LBB234_2400:
	s_and_not1_saveexec_b32 s0, s6
	s_cbranch_execz .LBB234_2402
; %bb.2401:
	v_cndmask_b32_e64 v2, 0, 1.0, vcc_lo
	s_delay_alu instid0(VALU_DEP_1)
	v_cvt_f16_f32_e32 v2, v2
	flat_store_b16 v[0:1], v2
.LBB234_2402:
	s_wait_xcnt 0x0
	s_or_b32 exec_lo, exec_lo, s0
.LBB234_2403:
	s_delay_alu instid0(SALU_CYCLE_1)
	s_or_b32 exec_lo, exec_lo, s5
                                        ; implicit-def: $vgpr2
                                        ; implicit-def: $vgpr0_vgpr1
.LBB234_2404:
	s_and_not1_saveexec_b32 s4, s4
	s_cbranch_execz .LBB234_2422
; %bb.2405:
	s_mov_b32 s5, exec_lo
	v_cmpx_lt_i16_e32 1, v2
	s_xor_b32 s5, exec_lo, s5
	s_cbranch_execz .LBB234_2415
; %bb.2406:
	s_mov_b32 s6, exec_lo
	v_cmpx_lt_i16_e32 2, v2
	s_xor_b32 s6, exec_lo, s6
	s_cbranch_execz .LBB234_2412
; %bb.2407:
	v_cmp_lt_i16_e64 s0, 3, v2
	s_and_saveexec_b32 s7, s0
	s_delay_alu instid0(SALU_CYCLE_1)
	s_xor_b32 s0, exec_lo, s7
	s_cbranch_execz .LBB234_2409
; %bb.2408:
	s_mov_b32 s7, 0
	v_cndmask_b32_e64 v2, 0, 1, vcc_lo
	v_mov_b32_e32 v3, s7
	flat_store_b64 v[0:1], v[2:3]
                                        ; implicit-def: $vgpr0_vgpr1
.LBB234_2409:
	s_wait_xcnt 0x0
	s_and_not1_saveexec_b32 s0, s0
	s_cbranch_execz .LBB234_2411
; %bb.2410:
	v_cndmask_b32_e64 v2, 0, 1, vcc_lo
	flat_store_b32 v[0:1], v2
.LBB234_2411:
	s_wait_xcnt 0x0
	s_or_b32 exec_lo, exec_lo, s0
                                        ; implicit-def: $vgpr0_vgpr1
.LBB234_2412:
	s_and_not1_saveexec_b32 s0, s6
	s_cbranch_execz .LBB234_2414
; %bb.2413:
	v_cndmask_b32_e64 v2, 0, 1, vcc_lo
	flat_store_b16 v[0:1], v2
.LBB234_2414:
	s_wait_xcnt 0x0
	s_or_b32 exec_lo, exec_lo, s0
                                        ; implicit-def: $vgpr0_vgpr1
                                        ; implicit-def: $vgpr2
.LBB234_2415:
	s_and_not1_saveexec_b32 s5, s5
	s_cbranch_execz .LBB234_2421
; %bb.2416:
	v_cmp_lt_i16_e64 s0, 0, v2
	v_cndmask_b32_e64 v2, 0, 1, vcc_lo
	s_and_saveexec_b32 s6, s0
	s_delay_alu instid0(SALU_CYCLE_1)
	s_xor_b32 s0, exec_lo, s6
	s_cbranch_execz .LBB234_2418
; %bb.2417:
	flat_store_b8 v[0:1], v2
                                        ; implicit-def: $vgpr0_vgpr1
                                        ; implicit-def: $vgpr2
.LBB234_2418:
	s_wait_xcnt 0x0
	s_and_not1_saveexec_b32 s0, s0
	s_cbranch_execz .LBB234_2420
; %bb.2419:
	flat_store_b8 v[0:1], v2
.LBB234_2420:
	s_wait_xcnt 0x0
	s_or_b32 exec_lo, exec_lo, s0
.LBB234_2421:
	s_delay_alu instid0(SALU_CYCLE_1)
	s_or_b32 exec_lo, exec_lo, s5
.LBB234_2422:
	s_delay_alu instid0(SALU_CYCLE_1) | instskip(NEXT) | instid1(SALU_CYCLE_1)
	s_or_b32 exec_lo, exec_lo, s4
	s_or_b32 s1, s1, exec_lo
	s_or_b32 exec_lo, exec_lo, s2
	s_mov_b32 s0, 0
	s_and_saveexec_b32 s2, s1
	s_cbranch_execnz .LBB234_295
	s_branch .LBB234_296
.LBB234_2423:
	s_and_not1_saveexec_b32 s2, s2
	s_cbranch_execz .LBB234_1070
.LBB234_2424:
	s_mov_b32 s5, s3
	s_mov_b32 s1, exec_lo
                                        ; implicit-def: $vgpr27
	v_cmpx_lt_i16_e32 22, v1
	s_xor_b32 s1, exec_lo, s1
	s_cbranch_execz .LBB234_2456
; %bb.2425:
	s_mov_b32 s5, exec_lo
                                        ; implicit-def: $vgpr27
	v_cmpx_lt_i16_e32 23, v1
	s_xor_b32 s5, exec_lo, s5
	s_cbranch_execz .LBB234_2453
; %bb.2426:
	;; [unrolled: 6-line block ×3, first 2 shown]
	flat_load_u8 v9, v[10:11]
	s_mov_b32 s7, 0
	s_mov_b32 s8, exec_lo
	s_wait_loadcnt_dscnt 0x0
	v_cmpx_lt_i16_e32 0x7f, v9
	s_xor_b32 s8, exec_lo, s8
	s_cbranch_execz .LBB234_2688
; %bb.2428:
	s_mov_b32 s7, -1
	s_mov_b32 s9, exec_lo
	v_cmpx_eq_u16_e32 0x80, v9
; %bb.2429:
	s_xor_b32 s7, exec_lo, -1
; %bb.2430:
	s_or_b32 exec_lo, exec_lo, s9
	s_delay_alu instid0(SALU_CYCLE_1)
	s_and_b32 s7, s7, exec_lo
	s_or_saveexec_b32 s8, s8
	v_mov_b32_e32 v5, 0x7f800001
	s_xor_b32 exec_lo, exec_lo, s8
	s_cbranch_execnz .LBB234_2689
.LBB234_2431:
	s_or_b32 exec_lo, exec_lo, s8
	s_and_saveexec_b32 s8, s7
	s_cbranch_execz .LBB234_2433
.LBB234_2432:
	v_and_b32_e32 v5, 0xffff, v9
	v_lshlrev_b32_e32 v9, 24, v9
	s_delay_alu instid0(VALU_DEP_2) | instskip(SKIP_1) | instid1(VALU_DEP_3)
	v_and_b32_e32 v12, 3, v5
	v_bfe_u32 v22, v5, 2, 5
	v_and_b32_e32 v9, 0x80000000, v9
	s_delay_alu instid0(VALU_DEP_3) | instskip(NEXT) | instid1(VALU_DEP_3)
	v_clz_i32_u32_e32 v13, v12
	v_cmp_eq_u32_e32 vcc_lo, 0, v22
	s_delay_alu instid0(VALU_DEP_2) | instskip(NEXT) | instid1(VALU_DEP_1)
	v_min_u32_e32 v13, 32, v13
	v_subrev_nc_u32_e32 v14, 29, v13
	v_sub_nc_u32_e32 v13, 30, v13
	s_delay_alu instid0(VALU_DEP_2) | instskip(NEXT) | instid1(VALU_DEP_2)
	v_lshlrev_b32_e32 v5, v14, v5
	v_cndmask_b32_e32 v13, v22, v13, vcc_lo
	s_delay_alu instid0(VALU_DEP_2) | instskip(NEXT) | instid1(VALU_DEP_1)
	v_and_b32_e32 v5, 3, v5
	v_cndmask_b32_e32 v5, v12, v5, vcc_lo
	s_delay_alu instid0(VALU_DEP_3) | instskip(NEXT) | instid1(VALU_DEP_2)
	v_lshl_add_u32 v12, v13, 23, 0x37800000
	v_lshlrev_b32_e32 v5, 21, v5
	s_delay_alu instid0(VALU_DEP_1)
	v_or3_b32 v5, v9, v12, v5
.LBB234_2433:
	s_or_b32 exec_lo, exec_lo, s8
	s_delay_alu instid0(VALU_DEP_1) | instskip(SKIP_1) | instid1(VALU_DEP_1)
	v_and_b32_e32 v12, 0x7fffffff, v5
	s_mov_b32 s7, exec_lo
                                        ; implicit-def: $vgpr9
	v_cmpx_gt_u32_e32 0x47800000, v12
	s_xor_b32 s7, exec_lo, s7
	s_cbranch_execz .LBB234_2439
; %bb.2434:
	s_mov_b32 s8, exec_lo
                                        ; implicit-def: $vgpr9
	v_cmpx_lt_u32_e32 0x387fffff, v12
	s_xor_b32 s8, exec_lo, s8
; %bb.2435:
	v_bfe_u32 v9, v5, 21, 1
	s_delay_alu instid0(VALU_DEP_1) | instskip(NEXT) | instid1(VALU_DEP_1)
	v_add3_u32 v9, v5, v9, 0x80fffff
	v_lshrrev_b32_e32 v9, 21, v9
; %bb.2436:
	s_and_not1_saveexec_b32 s8, s8
; %bb.2437:
	v_add_f32_e64 v9, 0x43000000, |v5|
; %bb.2438:
	s_or_b32 exec_lo, exec_lo, s8
                                        ; implicit-def: $vgpr12
.LBB234_2439:
	s_and_not1_saveexec_b32 s7, s7
; %bb.2440:
	v_mov_b32_e32 v9, 0x7f
	v_cmp_lt_u32_e32 vcc_lo, 0x7f800000, v12
	s_delay_alu instid0(VALU_DEP_2)
	v_cndmask_b32_e32 v9, 0x7c, v9, vcc_lo
; %bb.2441:
	s_or_b32 exec_lo, exec_lo, s7
	v_lshrrev_b32_e32 v5, 24, v5
	s_delay_alu instid0(VALU_DEP_1)
	v_and_or_b32 v27, 0x80, v5, v9
.LBB234_2442:
	s_and_not1_saveexec_b32 s6, s6
	s_cbranch_execz .LBB234_2452
; %bb.2443:
	flat_load_u8 v5, v[10:11]
	s_mov_b32 s7, exec_lo
	s_wait_loadcnt_dscnt 0x0
	v_lshlrev_b32_e32 v5, 24, v5
	s_delay_alu instid0(VALU_DEP_1) | instskip(NEXT) | instid1(VALU_DEP_1)
	v_and_b32_e32 v9, 0x7f000000, v5
	v_clz_i32_u32_e32 v12, v9
	v_cmp_ne_u32_e32 vcc_lo, 0, v9
	v_add_nc_u32_e32 v14, 0x1000000, v9
	s_delay_alu instid0(VALU_DEP_3) | instskip(NEXT) | instid1(VALU_DEP_1)
	v_min_u32_e32 v12, 32, v12
	v_sub_nc_u32_e64 v12, v12, 4 clamp
	s_delay_alu instid0(VALU_DEP_1) | instskip(NEXT) | instid1(VALU_DEP_1)
	v_dual_lshlrev_b32 v13, v12, v9 :: v_dual_lshlrev_b32 v12, 23, v12
                                        ; implicit-def: $vgpr9
	v_lshrrev_b32_e32 v13, 4, v13
	s_delay_alu instid0(VALU_DEP_1) | instskip(NEXT) | instid1(VALU_DEP_1)
	v_dual_sub_nc_u32 v12, v13, v12 :: v_dual_ashrrev_i32 v13, 8, v14
	v_add_nc_u32_e32 v12, 0x3c000000, v12
	s_delay_alu instid0(VALU_DEP_1) | instskip(NEXT) | instid1(VALU_DEP_1)
	v_and_or_b32 v12, 0x7f800000, v13, v12
	v_cndmask_b32_e32 v13, 0, v12, vcc_lo
	s_delay_alu instid0(VALU_DEP_1) | instskip(NEXT) | instid1(VALU_DEP_1)
	v_and_or_b32 v5, 0x80000000, v5, v13
	v_and_b32_e32 v12, 0x7fffffff, v5
	s_wait_xcnt 0x0
	s_delay_alu instid0(VALU_DEP_1)
	v_cmpx_gt_u32_e32 0x47800000, v12
	s_xor_b32 s7, exec_lo, s7
	s_cbranch_execz .LBB234_2449
; %bb.2444:
	s_mov_b32 s8, exec_lo
                                        ; implicit-def: $vgpr9
	v_cmpx_lt_u32_e32 0x387fffff, v12
	s_xor_b32 s8, exec_lo, s8
; %bb.2445:
	v_bfe_u32 v9, v13, 21, 1
	s_delay_alu instid0(VALU_DEP_1) | instskip(NEXT) | instid1(VALU_DEP_1)
	v_add3_u32 v9, v5, v9, 0x80fffff
	v_lshrrev_b32_e32 v9, 21, v9
; %bb.2446:
	s_and_not1_saveexec_b32 s8, s8
; %bb.2447:
	v_add_f32_e64 v9, 0x43000000, |v5|
; %bb.2448:
	s_or_b32 exec_lo, exec_lo, s8
                                        ; implicit-def: $vgpr12
.LBB234_2449:
	s_and_not1_saveexec_b32 s7, s7
; %bb.2450:
	v_mov_b32_e32 v9, 0x7f
	v_cmp_lt_u32_e32 vcc_lo, 0x7f800000, v12
	s_delay_alu instid0(VALU_DEP_2)
	v_cndmask_b32_e32 v9, 0x7c, v9, vcc_lo
; %bb.2451:
	s_or_b32 exec_lo, exec_lo, s7
	v_lshrrev_b32_e32 v5, 24, v5
	s_delay_alu instid0(VALU_DEP_1)
	v_and_or_b32 v27, 0x80, v5, v9
.LBB234_2452:
	s_or_b32 exec_lo, exec_lo, s6
.LBB234_2453:
	s_and_not1_saveexec_b32 s5, s5
	s_cbranch_execz .LBB234_2455
; %bb.2454:
	flat_load_u8 v27, v[10:11]
.LBB234_2455:
	s_wait_xcnt 0x0
	s_or_b32 exec_lo, exec_lo, s5
	s_delay_alu instid0(SALU_CYCLE_1)
	s_or_b32 s5, s3, exec_lo
.LBB234_2456:
	s_or_saveexec_b32 s1, s1
	s_mov_b32 s6, 0
	s_mov_b32 s7, s4
	s_xor_b32 exec_lo, exec_lo, s1
	s_cbranch_execz .LBB234_2472
; %bb.2457:
	s_mov_b32 s7, s4
	s_mov_b32 s8, s5
	s_mov_b32 s6, exec_lo
                                        ; implicit-def: $vgpr27
	v_cmpx_lt_i16_e32 14, v1
	s_xor_b32 s6, exec_lo, s6
	s_cbranch_execz .LBB234_2469
; %bb.2458:
	s_mov_b32 s8, -1
	s_mov_b32 s9, s5
	s_mov_b32 s7, exec_lo
                                        ; implicit-def: $vgpr27
	v_cmpx_eq_u16_e32 15, v1
	s_cbranch_execz .LBB234_2468
; %bb.2459:
	flat_load_u16 v5, v[10:11]
	s_mov_b32 s8, exec_lo
                                        ; implicit-def: $vgpr9
	s_wait_loadcnt_dscnt 0x0
	v_lshlrev_b32_e32 v12, 16, v5
	s_delay_alu instid0(VALU_DEP_1) | instskip(SKIP_1) | instid1(VALU_DEP_1)
	v_and_b32_e32 v13, 0x7fffffff, v12
	s_wait_xcnt 0x0
	v_cmpx_gt_u32_e32 0x47800000, v13
	s_xor_b32 s8, exec_lo, s8
	s_cbranch_execz .LBB234_2465
; %bb.2460:
	s_mov_b32 s9, exec_lo
                                        ; implicit-def: $vgpr9
	v_cmpx_lt_u32_e32 0x387fffff, v13
	s_xor_b32 s9, exec_lo, s9
; %bb.2461:
	v_bfe_u32 v9, v5, 5, 1
	s_delay_alu instid0(VALU_DEP_1) | instskip(NEXT) | instid1(VALU_DEP_1)
	v_add3_u32 v9, v12, v9, 0x80fffff
                                        ; implicit-def: $vgpr12
	v_lshrrev_b32_e32 v9, 21, v9
; %bb.2462:
	s_and_not1_saveexec_b32 s9, s9
; %bb.2463:
	v_add_f32_e64 v9, 0x43000000, |v12|
; %bb.2464:
	s_or_b32 exec_lo, exec_lo, s9
                                        ; implicit-def: $vgpr13
.LBB234_2465:
	s_and_not1_saveexec_b32 s8, s8
; %bb.2466:
	v_mov_b32_e32 v9, 0x7f
	v_cmp_lt_u32_e32 vcc_lo, 0x7f800000, v13
	s_delay_alu instid0(VALU_DEP_2)
	v_cndmask_b32_e32 v9, 0x7c, v9, vcc_lo
; %bb.2467:
	s_or_b32 exec_lo, exec_lo, s8
	v_lshrrev_b32_e32 v5, 8, v5
	s_or_b32 s9, s5, exec_lo
	s_xor_b32 s8, exec_lo, -1
	s_delay_alu instid0(VALU_DEP_1)
	v_and_or_b32 v27, 0x80, v5, v9
.LBB234_2468:
	s_or_b32 exec_lo, exec_lo, s7
	s_delay_alu instid0(SALU_CYCLE_1)
	s_and_not1_b32 s7, s5, exec_lo
	s_and_b32 s9, s9, exec_lo
	s_and_not1_b32 s10, s4, exec_lo
	s_and_b32 s11, s8, exec_lo
	s_or_b32 s8, s7, s9
	s_or_b32 s7, s10, s11
.LBB234_2469:
	s_or_saveexec_b32 s9, s6
	s_mov_b32 s6, 0
	s_xor_b32 exec_lo, exec_lo, s9
; %bb.2470:
	v_cmp_ne_u16_e32 vcc_lo, 11, v1
	s_and_not1_b32 s7, s7, exec_lo
	s_mov_b32 s6, exec_lo
	s_and_b32 s10, vcc_lo, exec_lo
	s_delay_alu instid0(SALU_CYCLE_1)
	s_or_b32 s7, s7, s10
; %bb.2471:
	s_or_b32 exec_lo, exec_lo, s9
	s_delay_alu instid0(SALU_CYCLE_1)
	s_and_not1_b32 s5, s5, exec_lo
	s_and_b32 s8, s8, exec_lo
	s_and_b32 s7, s7, exec_lo
	s_or_b32 s5, s5, s8
	s_and_not1_b32 s8, s4, exec_lo
	s_and_b32 s6, s6, exec_lo
	s_or_b32 s7, s8, s7
.LBB234_2472:
	s_or_b32 exec_lo, exec_lo, s1
	s_delay_alu instid0(SALU_CYCLE_1)
	s_and_not1_b32 s1, s3, exec_lo
	s_and_b32 s3, s5, exec_lo
	s_and_not1_b32 s4, s4, exec_lo
	s_and_b32 s5, s7, exec_lo
	s_or_b32 s3, s1, s3
	s_and_b32 s1, s6, exec_lo
	s_or_b32 s4, s4, s5
	s_or_b32 exec_lo, exec_lo, s2
	s_mov_b32 s2, s18
	s_and_saveexec_b32 s5, s4
	s_cbranch_execz .LBB234_1071
.LBB234_2473:
	s_or_b32 s2, s18, exec_lo
	s_and_not1_b32 s1, s1, exec_lo
	s_trap 2
	s_or_b32 exec_lo, exec_lo, s5
	s_and_saveexec_b32 s4, s1
	s_cbranch_execnz .LBB234_1072
	s_branch .LBB234_1081
.LBB234_2474:
	s_or_saveexec_b32 s8, s8
	v_mov_b32_e32 v5, 0x7f800001
	s_xor_b32 exec_lo, exec_lo, s8
	s_cbranch_execz .LBB234_605
.LBB234_2475:
	v_cmp_ne_u16_e32 vcc_lo, 0, v6
	v_mov_b32_e32 v5, 0
	s_and_not1_b32 s7, s7, exec_lo
	s_and_b32 s9, vcc_lo, exec_lo
	s_delay_alu instid0(SALU_CYCLE_1)
	s_or_b32 s7, s7, s9
	s_or_b32 exec_lo, exec_lo, s8
	s_and_saveexec_b32 s8, s7
	s_cbranch_execnz .LBB234_606
	s_branch .LBB234_607
.LBB234_2476:
	s_and_not1_saveexec_b32 s2, s2
	s_cbranch_execz .LBB234_1296
.LBB234_2477:
	s_mov_b32 s5, s3
	s_mov_b32 s1, exec_lo
                                        ; implicit-def: $vgpr30
	v_cmpx_lt_i16_e32 22, v3
	s_xor_b32 s1, exec_lo, s1
	s_cbranch_execz .LBB234_2509
; %bb.2478:
	s_mov_b32 s5, exec_lo
                                        ; implicit-def: $vgpr30
	v_cmpx_lt_i16_e32 23, v3
	s_xor_b32 s5, exec_lo, s5
	s_cbranch_execz .LBB234_2506
; %bb.2479:
	;; [unrolled: 6-line block ×3, first 2 shown]
	flat_load_u8 v10, v[8:9]
	s_mov_b32 s7, 0
	s_mov_b32 s8, exec_lo
	s_wait_loadcnt_dscnt 0x0
	v_cmpx_lt_i16_e32 0x7f, v10
	s_xor_b32 s8, exec_lo, s8
	s_cbranch_execz .LBB234_2739
; %bb.2481:
	s_mov_b32 s7, -1
	s_mov_b32 s9, exec_lo
	v_cmpx_eq_u16_e32 0x80, v10
; %bb.2482:
	s_xor_b32 s7, exec_lo, -1
; %bb.2483:
	s_or_b32 exec_lo, exec_lo, s9
	s_delay_alu instid0(SALU_CYCLE_1)
	s_and_b32 s7, s7, exec_lo
	s_or_saveexec_b32 s8, s8
	v_mov_b32_e32 v5, 0x7f800001
	s_xor_b32 exec_lo, exec_lo, s8
	s_cbranch_execnz .LBB234_2740
.LBB234_2484:
	s_or_b32 exec_lo, exec_lo, s8
	s_and_saveexec_b32 s8, s7
	s_cbranch_execz .LBB234_2486
.LBB234_2485:
	v_and_b32_e32 v5, 0xffff, v10
	s_delay_alu instid0(VALU_DEP_1) | instskip(SKIP_1) | instid1(VALU_DEP_2)
	v_and_b32_e32 v11, 3, v5
	v_bfe_u32 v14, v5, 2, 5
	v_clz_i32_u32_e32 v12, v11
	s_delay_alu instid0(VALU_DEP_2) | instskip(NEXT) | instid1(VALU_DEP_2)
	v_cmp_eq_u32_e32 vcc_lo, 0, v14
	v_min_u32_e32 v12, 32, v12
	s_delay_alu instid0(VALU_DEP_1) | instskip(NEXT) | instid1(VALU_DEP_1)
	v_subrev_nc_u32_e32 v13, 29, v12
	v_dual_lshlrev_b32 v5, v13, v5 :: v_dual_sub_nc_u32 v12, 30, v12
	s_delay_alu instid0(VALU_DEP_1) | instskip(NEXT) | instid1(VALU_DEP_1)
	v_dual_lshlrev_b32 v10, 24, v10 :: v_dual_bitop2_b32 v5, 3, v5 bitop3:0x40
	v_dual_cndmask_b32 v12, v14, v12 :: v_dual_cndmask_b32 v5, v11, v5
	s_delay_alu instid0(VALU_DEP_2) | instskip(NEXT) | instid1(VALU_DEP_2)
	v_and_b32_e32 v10, 0x80000000, v10
	v_lshl_add_u32 v11, v12, 23, 0x37800000
	s_delay_alu instid0(VALU_DEP_3) | instskip(NEXT) | instid1(VALU_DEP_1)
	v_lshlrev_b32_e32 v5, 21, v5
	v_or3_b32 v5, v10, v11, v5
.LBB234_2486:
	s_or_b32 exec_lo, exec_lo, s8
	s_delay_alu instid0(VALU_DEP_1) | instskip(SKIP_1) | instid1(VALU_DEP_1)
	v_and_b32_e32 v11, 0x7fffffff, v5
	s_mov_b32 s7, exec_lo
                                        ; implicit-def: $vgpr10
	v_cmpx_gt_u32_e32 0x47800000, v11
	s_xor_b32 s7, exec_lo, s7
	s_cbranch_execz .LBB234_2492
; %bb.2487:
	s_mov_b32 s8, exec_lo
                                        ; implicit-def: $vgpr10
	v_cmpx_lt_u32_e32 0x387fffff, v11
	s_xor_b32 s8, exec_lo, s8
; %bb.2488:
	v_bfe_u32 v10, v5, 21, 1
	s_delay_alu instid0(VALU_DEP_1) | instskip(NEXT) | instid1(VALU_DEP_1)
	v_add3_u32 v10, v5, v10, 0x80fffff
	v_lshrrev_b32_e32 v10, 21, v10
; %bb.2489:
	s_and_not1_saveexec_b32 s8, s8
; %bb.2490:
	v_add_f32_e64 v10, 0x43000000, |v5|
; %bb.2491:
	s_or_b32 exec_lo, exec_lo, s8
                                        ; implicit-def: $vgpr11
.LBB234_2492:
	s_and_not1_saveexec_b32 s7, s7
; %bb.2493:
	v_mov_b32_e32 v10, 0x7f
	v_cmp_lt_u32_e32 vcc_lo, 0x7f800000, v11
	s_delay_alu instid0(VALU_DEP_2)
	v_cndmask_b32_e32 v10, 0x7c, v10, vcc_lo
; %bb.2494:
	s_or_b32 exec_lo, exec_lo, s7
	v_lshrrev_b32_e32 v5, 24, v5
	s_delay_alu instid0(VALU_DEP_1)
	v_and_or_b32 v30, 0x80, v5, v10
.LBB234_2495:
	s_and_not1_saveexec_b32 s6, s6
	s_cbranch_execz .LBB234_2505
; %bb.2496:
	flat_load_u8 v5, v[8:9]
	s_mov_b32 s7, exec_lo
	s_wait_loadcnt_dscnt 0x0
	v_lshlrev_b32_e32 v5, 24, v5
	s_delay_alu instid0(VALU_DEP_1) | instskip(NEXT) | instid1(VALU_DEP_1)
	v_and_b32_e32 v10, 0x7f000000, v5
	v_clz_i32_u32_e32 v11, v10
	v_cmp_ne_u32_e32 vcc_lo, 0, v10
	v_add_nc_u32_e32 v13, 0x1000000, v10
	s_delay_alu instid0(VALU_DEP_3) | instskip(NEXT) | instid1(VALU_DEP_1)
	v_min_u32_e32 v11, 32, v11
	v_sub_nc_u32_e64 v11, v11, 4 clamp
	s_delay_alu instid0(VALU_DEP_1) | instskip(NEXT) | instid1(VALU_DEP_1)
	v_lshlrev_b32_e32 v12, v11, v10
                                        ; implicit-def: $vgpr10
	v_dual_lshlrev_b32 v11, 23, v11 :: v_dual_lshrrev_b32 v12, 4, v12
	s_delay_alu instid0(VALU_DEP_1) | instskip(NEXT) | instid1(VALU_DEP_1)
	v_dual_sub_nc_u32 v11, v12, v11 :: v_dual_ashrrev_i32 v12, 8, v13
	v_add_nc_u32_e32 v11, 0x3c000000, v11
	s_delay_alu instid0(VALU_DEP_1) | instskip(NEXT) | instid1(VALU_DEP_1)
	v_and_or_b32 v11, 0x7f800000, v12, v11
	v_cndmask_b32_e32 v12, 0, v11, vcc_lo
	s_delay_alu instid0(VALU_DEP_1) | instskip(NEXT) | instid1(VALU_DEP_1)
	v_and_or_b32 v5, 0x80000000, v5, v12
	v_and_b32_e32 v11, 0x7fffffff, v5
	s_wait_xcnt 0x0
	s_delay_alu instid0(VALU_DEP_1)
	v_cmpx_gt_u32_e32 0x47800000, v11
	s_xor_b32 s7, exec_lo, s7
	s_cbranch_execz .LBB234_2502
; %bb.2497:
	s_mov_b32 s8, exec_lo
                                        ; implicit-def: $vgpr10
	v_cmpx_lt_u32_e32 0x387fffff, v11
	s_xor_b32 s8, exec_lo, s8
; %bb.2498:
	v_bfe_u32 v10, v12, 21, 1
	s_delay_alu instid0(VALU_DEP_1) | instskip(NEXT) | instid1(VALU_DEP_1)
	v_add3_u32 v10, v5, v10, 0x80fffff
	v_lshrrev_b32_e32 v10, 21, v10
; %bb.2499:
	s_and_not1_saveexec_b32 s8, s8
; %bb.2500:
	v_add_f32_e64 v10, 0x43000000, |v5|
; %bb.2501:
	s_or_b32 exec_lo, exec_lo, s8
                                        ; implicit-def: $vgpr11
.LBB234_2502:
	s_and_not1_saveexec_b32 s7, s7
; %bb.2503:
	v_mov_b32_e32 v10, 0x7f
	v_cmp_lt_u32_e32 vcc_lo, 0x7f800000, v11
	s_delay_alu instid0(VALU_DEP_2)
	v_cndmask_b32_e32 v10, 0x7c, v10, vcc_lo
; %bb.2504:
	s_or_b32 exec_lo, exec_lo, s7
	v_lshrrev_b32_e32 v5, 24, v5
	s_delay_alu instid0(VALU_DEP_1)
	v_and_or_b32 v30, 0x80, v5, v10
.LBB234_2505:
	s_or_b32 exec_lo, exec_lo, s6
.LBB234_2506:
	s_and_not1_saveexec_b32 s5, s5
	s_cbranch_execz .LBB234_2508
; %bb.2507:
	flat_load_u8 v30, v[8:9]
.LBB234_2508:
	s_wait_xcnt 0x0
	s_or_b32 exec_lo, exec_lo, s5
	s_delay_alu instid0(SALU_CYCLE_1)
	s_or_b32 s5, s3, exec_lo
.LBB234_2509:
	s_or_saveexec_b32 s1, s1
	s_mov_b32 s6, 0
	s_mov_b32 s7, s4
	s_xor_b32 exec_lo, exec_lo, s1
	s_cbranch_execz .LBB234_2525
; %bb.2510:
	s_mov_b32 s7, s4
	s_mov_b32 s8, s5
	s_mov_b32 s6, exec_lo
                                        ; implicit-def: $vgpr30
	v_cmpx_lt_i16_e32 14, v3
	s_xor_b32 s6, exec_lo, s6
	s_cbranch_execz .LBB234_2522
; %bb.2511:
	s_mov_b32 s8, -1
	s_mov_b32 s9, s5
	s_mov_b32 s7, exec_lo
                                        ; implicit-def: $vgpr30
	v_cmpx_eq_u16_e32 15, v3
	s_cbranch_execz .LBB234_2521
; %bb.2512:
	flat_load_u16 v5, v[8:9]
	s_mov_b32 s8, exec_lo
                                        ; implicit-def: $vgpr10
	s_wait_loadcnt_dscnt 0x0
	v_lshlrev_b32_e32 v11, 16, v5
	s_delay_alu instid0(VALU_DEP_1) | instskip(SKIP_1) | instid1(VALU_DEP_1)
	v_and_b32_e32 v12, 0x7fffffff, v11
	s_wait_xcnt 0x0
	v_cmpx_gt_u32_e32 0x47800000, v12
	s_xor_b32 s8, exec_lo, s8
	s_cbranch_execz .LBB234_2518
; %bb.2513:
	s_mov_b32 s9, exec_lo
                                        ; implicit-def: $vgpr10
	v_cmpx_lt_u32_e32 0x387fffff, v12
	s_xor_b32 s9, exec_lo, s9
; %bb.2514:
	v_bfe_u32 v10, v5, 5, 1
	s_delay_alu instid0(VALU_DEP_1) | instskip(NEXT) | instid1(VALU_DEP_1)
	v_add3_u32 v10, v11, v10, 0x80fffff
                                        ; implicit-def: $vgpr11
	v_lshrrev_b32_e32 v10, 21, v10
; %bb.2515:
	s_and_not1_saveexec_b32 s9, s9
; %bb.2516:
	v_add_f32_e64 v10, 0x43000000, |v11|
; %bb.2517:
	s_or_b32 exec_lo, exec_lo, s9
                                        ; implicit-def: $vgpr12
.LBB234_2518:
	s_and_not1_saveexec_b32 s8, s8
; %bb.2519:
	v_mov_b32_e32 v10, 0x7f
	v_cmp_lt_u32_e32 vcc_lo, 0x7f800000, v12
	s_delay_alu instid0(VALU_DEP_2)
	v_cndmask_b32_e32 v10, 0x7c, v10, vcc_lo
; %bb.2520:
	s_or_b32 exec_lo, exec_lo, s8
	v_lshrrev_b32_e32 v5, 8, v5
	s_or_b32 s9, s5, exec_lo
	s_xor_b32 s8, exec_lo, -1
	s_delay_alu instid0(VALU_DEP_1)
	v_and_or_b32 v30, 0x80, v5, v10
.LBB234_2521:
	s_or_b32 exec_lo, exec_lo, s7
	s_delay_alu instid0(SALU_CYCLE_1)
	s_and_not1_b32 s7, s5, exec_lo
	s_and_b32 s9, s9, exec_lo
	s_and_not1_b32 s10, s4, exec_lo
	s_and_b32 s11, s8, exec_lo
	s_or_b32 s8, s7, s9
	s_or_b32 s7, s10, s11
.LBB234_2522:
	s_or_saveexec_b32 s9, s6
	s_mov_b32 s6, 0
	s_xor_b32 exec_lo, exec_lo, s9
; %bb.2523:
	v_cmp_ne_u16_e32 vcc_lo, 11, v3
	s_and_not1_b32 s7, s7, exec_lo
	s_mov_b32 s6, exec_lo
	s_and_b32 s10, vcc_lo, exec_lo
	s_delay_alu instid0(SALU_CYCLE_1)
	s_or_b32 s7, s7, s10
; %bb.2524:
	s_or_b32 exec_lo, exec_lo, s9
	s_delay_alu instid0(SALU_CYCLE_1)
	s_and_not1_b32 s5, s5, exec_lo
	s_and_b32 s8, s8, exec_lo
	s_and_b32 s7, s7, exec_lo
	s_or_b32 s5, s5, s8
	s_and_not1_b32 s8, s4, exec_lo
	s_and_b32 s6, s6, exec_lo
	s_or_b32 s7, s8, s7
.LBB234_2525:
	s_or_b32 exec_lo, exec_lo, s1
	s_delay_alu instid0(SALU_CYCLE_1)
	s_and_not1_b32 s1, s3, exec_lo
	s_and_b32 s3, s5, exec_lo
	s_and_not1_b32 s4, s4, exec_lo
	s_and_b32 s5, s7, exec_lo
	s_or_b32 s3, s1, s3
	s_and_b32 s1, s6, exec_lo
	s_or_b32 s4, s4, s5
	s_or_b32 exec_lo, exec_lo, s2
	s_mov_b32 s2, s20
	s_and_saveexec_b32 s5, s4
	s_cbranch_execz .LBB234_1297
.LBB234_2526:
	s_or_b32 s2, s20, exec_lo
	s_and_not1_b32 s1, s1, exec_lo
	s_trap 2
	s_or_b32 exec_lo, exec_lo, s5
	s_and_saveexec_b32 s4, s1
	s_cbranch_execnz .LBB234_1298
	s_branch .LBB234_1307
.LBB234_2527:
	s_or_saveexec_b32 s8, s8
	v_mov_b32_e32 v5, 0x7f800001
	s_xor_b32 exec_lo, exec_lo, s8
	s_cbranch_execz .LBB234_831
.LBB234_2528:
	v_cmp_ne_u16_e32 vcc_lo, 0, v9
	v_mov_b32_e32 v5, 0
	s_and_not1_b32 s7, s7, exec_lo
	s_and_b32 s9, vcc_lo, exec_lo
	s_delay_alu instid0(SALU_CYCLE_1)
	s_or_b32 s7, s7, s9
	s_or_b32 exec_lo, exec_lo, s8
	s_and_saveexec_b32 s8, s7
	s_cbranch_execnz .LBB234_832
	s_branch .LBB234_833
.LBB234_2529:
	s_and_not1_saveexec_b32 s2, s2
	s_cbranch_execz .LBB234_1522
.LBB234_2530:
	s_mov_b32 s5, s3
	s_mov_b32 s1, exec_lo
                                        ; implicit-def: $vgpr18
	v_cmpx_lt_i16_e32 22, v1
	s_xor_b32 s1, exec_lo, s1
	s_cbranch_execz .LBB234_2562
; %bb.2531:
	s_mov_b32 s5, exec_lo
                                        ; implicit-def: $vgpr18
	v_cmpx_lt_i16_e32 23, v1
	s_xor_b32 s5, exec_lo, s5
	s_cbranch_execz .LBB234_2559
; %bb.2532:
	;; [unrolled: 6-line block ×3, first 2 shown]
	flat_load_u8 v8, v[4:5]
	s_mov_b32 s7, 0
	s_mov_b32 s8, exec_lo
	s_wait_loadcnt_dscnt 0x0
	v_cmpx_lt_i16_e32 0x7f, v8
	s_xor_b32 s8, exec_lo, s8
	s_cbranch_execz .LBB234_2790
; %bb.2534:
	s_mov_b32 s7, -1
	s_mov_b32 s9, exec_lo
	v_cmpx_eq_u16_e32 0x80, v8
; %bb.2535:
	s_xor_b32 s7, exec_lo, -1
; %bb.2536:
	s_or_b32 exec_lo, exec_lo, s9
	s_delay_alu instid0(SALU_CYCLE_1)
	s_and_b32 s7, s7, exec_lo
	s_or_saveexec_b32 s8, s8
	v_mov_b32_e32 v1, 0x7f800001
	s_xor_b32 exec_lo, exec_lo, s8
	s_cbranch_execnz .LBB234_2791
.LBB234_2537:
	s_or_b32 exec_lo, exec_lo, s8
	s_and_saveexec_b32 s8, s7
	s_cbranch_execz .LBB234_2539
.LBB234_2538:
	v_and_b32_e32 v1, 0xffff, v8
	s_delay_alu instid0(VALU_DEP_1) | instskip(SKIP_1) | instid1(VALU_DEP_2)
	v_and_b32_e32 v9, 3, v1
	v_bfe_u32 v12, v1, 2, 5
	v_clz_i32_u32_e32 v10, v9
	s_delay_alu instid0(VALU_DEP_2) | instskip(NEXT) | instid1(VALU_DEP_2)
	v_cmp_eq_u32_e32 vcc_lo, 0, v12
	v_min_u32_e32 v10, 32, v10
	s_delay_alu instid0(VALU_DEP_1) | instskip(NEXT) | instid1(VALU_DEP_1)
	v_subrev_nc_u32_e32 v11, 29, v10
	v_dual_lshlrev_b32 v1, v11, v1 :: v_dual_sub_nc_u32 v10, 30, v10
	s_delay_alu instid0(VALU_DEP_1) | instskip(NEXT) | instid1(VALU_DEP_1)
	v_dual_lshlrev_b32 v8, 24, v8 :: v_dual_bitop2_b32 v1, 3, v1 bitop3:0x40
	v_dual_cndmask_b32 v10, v12, v10 :: v_dual_cndmask_b32 v1, v9, v1
	s_delay_alu instid0(VALU_DEP_2) | instskip(NEXT) | instid1(VALU_DEP_2)
	v_and_b32_e32 v8, 0x80000000, v8
	v_lshl_add_u32 v9, v10, 23, 0x37800000
	s_delay_alu instid0(VALU_DEP_3) | instskip(NEXT) | instid1(VALU_DEP_1)
	v_lshlrev_b32_e32 v1, 21, v1
	v_or3_b32 v1, v8, v9, v1
.LBB234_2539:
	s_or_b32 exec_lo, exec_lo, s8
	s_delay_alu instid0(VALU_DEP_1) | instskip(SKIP_1) | instid1(VALU_DEP_1)
	v_and_b32_e32 v9, 0x7fffffff, v1
	s_mov_b32 s7, exec_lo
                                        ; implicit-def: $vgpr8
	v_cmpx_gt_u32_e32 0x47800000, v9
	s_xor_b32 s7, exec_lo, s7
	s_cbranch_execz .LBB234_2545
; %bb.2540:
	s_mov_b32 s8, exec_lo
                                        ; implicit-def: $vgpr8
	v_cmpx_lt_u32_e32 0x387fffff, v9
	s_xor_b32 s8, exec_lo, s8
; %bb.2541:
	v_bfe_u32 v8, v1, 21, 1
	s_delay_alu instid0(VALU_DEP_1) | instskip(NEXT) | instid1(VALU_DEP_1)
	v_add3_u32 v8, v1, v8, 0x80fffff
	v_lshrrev_b32_e32 v8, 21, v8
; %bb.2542:
	s_and_not1_saveexec_b32 s8, s8
; %bb.2543:
	v_add_f32_e64 v8, 0x43000000, |v1|
; %bb.2544:
	s_or_b32 exec_lo, exec_lo, s8
                                        ; implicit-def: $vgpr9
.LBB234_2545:
	s_and_not1_saveexec_b32 s7, s7
; %bb.2546:
	v_mov_b32_e32 v8, 0x7f
	v_cmp_lt_u32_e32 vcc_lo, 0x7f800000, v9
	s_delay_alu instid0(VALU_DEP_2)
	v_cndmask_b32_e32 v8, 0x7c, v8, vcc_lo
; %bb.2547:
	s_or_b32 exec_lo, exec_lo, s7
	v_lshrrev_b32_e32 v1, 24, v1
	s_delay_alu instid0(VALU_DEP_1)
	v_and_or_b32 v18, 0x80, v1, v8
.LBB234_2548:
	s_and_not1_saveexec_b32 s6, s6
	s_cbranch_execz .LBB234_2558
; %bb.2549:
	flat_load_u8 v1, v[4:5]
	s_mov_b32 s7, exec_lo
	s_wait_loadcnt_dscnt 0x0
	v_lshlrev_b32_e32 v1, 24, v1
	s_delay_alu instid0(VALU_DEP_1) | instskip(NEXT) | instid1(VALU_DEP_1)
	v_and_b32_e32 v8, 0x7f000000, v1
	v_clz_i32_u32_e32 v9, v8
	v_cmp_ne_u32_e32 vcc_lo, 0, v8
	v_add_nc_u32_e32 v11, 0x1000000, v8
	s_delay_alu instid0(VALU_DEP_3) | instskip(NEXT) | instid1(VALU_DEP_1)
	v_min_u32_e32 v9, 32, v9
	v_sub_nc_u32_e64 v9, v9, 4 clamp
	s_delay_alu instid0(VALU_DEP_1) | instskip(NEXT) | instid1(VALU_DEP_1)
	v_lshlrev_b32_e32 v10, v9, v8
                                        ; implicit-def: $vgpr8
	v_dual_lshlrev_b32 v9, 23, v9 :: v_dual_lshrrev_b32 v10, 4, v10
	s_delay_alu instid0(VALU_DEP_1) | instskip(NEXT) | instid1(VALU_DEP_1)
	v_dual_sub_nc_u32 v9, v10, v9 :: v_dual_ashrrev_i32 v10, 8, v11
	v_add_nc_u32_e32 v9, 0x3c000000, v9
	s_delay_alu instid0(VALU_DEP_1) | instskip(NEXT) | instid1(VALU_DEP_1)
	v_and_or_b32 v9, 0x7f800000, v10, v9
	v_cndmask_b32_e32 v10, 0, v9, vcc_lo
	s_delay_alu instid0(VALU_DEP_1) | instskip(NEXT) | instid1(VALU_DEP_1)
	v_and_or_b32 v1, 0x80000000, v1, v10
	v_and_b32_e32 v9, 0x7fffffff, v1
	s_wait_xcnt 0x0
	s_delay_alu instid0(VALU_DEP_1)
	v_cmpx_gt_u32_e32 0x47800000, v9
	s_xor_b32 s7, exec_lo, s7
	s_cbranch_execz .LBB234_2555
; %bb.2550:
	s_mov_b32 s8, exec_lo
                                        ; implicit-def: $vgpr8
	v_cmpx_lt_u32_e32 0x387fffff, v9
	s_xor_b32 s8, exec_lo, s8
; %bb.2551:
	v_bfe_u32 v8, v10, 21, 1
	s_delay_alu instid0(VALU_DEP_1) | instskip(NEXT) | instid1(VALU_DEP_1)
	v_add3_u32 v8, v1, v8, 0x80fffff
	v_lshrrev_b32_e32 v8, 21, v8
; %bb.2552:
	s_and_not1_saveexec_b32 s8, s8
; %bb.2553:
	v_add_f32_e64 v8, 0x43000000, |v1|
; %bb.2554:
	s_or_b32 exec_lo, exec_lo, s8
                                        ; implicit-def: $vgpr9
.LBB234_2555:
	s_and_not1_saveexec_b32 s7, s7
; %bb.2556:
	v_mov_b32_e32 v8, 0x7f
	v_cmp_lt_u32_e32 vcc_lo, 0x7f800000, v9
	s_delay_alu instid0(VALU_DEP_2)
	v_cndmask_b32_e32 v8, 0x7c, v8, vcc_lo
; %bb.2557:
	s_or_b32 exec_lo, exec_lo, s7
	v_lshrrev_b32_e32 v1, 24, v1
	s_delay_alu instid0(VALU_DEP_1)
	v_and_or_b32 v18, 0x80, v1, v8
.LBB234_2558:
	s_or_b32 exec_lo, exec_lo, s6
.LBB234_2559:
	s_and_not1_saveexec_b32 s5, s5
	s_cbranch_execz .LBB234_2561
; %bb.2560:
	flat_load_u8 v18, v[4:5]
.LBB234_2561:
	s_wait_xcnt 0x0
	s_or_b32 exec_lo, exec_lo, s5
	s_delay_alu instid0(SALU_CYCLE_1)
	s_or_b32 s5, s3, exec_lo
                                        ; implicit-def: $vgpr1
.LBB234_2562:
	s_or_saveexec_b32 s1, s1
	s_mov_b32 s6, 0
	s_mov_b32 s7, s4
	s_xor_b32 exec_lo, exec_lo, s1
	s_cbranch_execz .LBB234_2578
; %bb.2563:
	s_mov_b32 s7, s4
	s_mov_b32 s8, s5
	s_mov_b32 s6, exec_lo
                                        ; implicit-def: $vgpr18
	v_cmpx_lt_i16_e32 14, v1
	s_xor_b32 s6, exec_lo, s6
	s_cbranch_execz .LBB234_2575
; %bb.2564:
	s_mov_b32 s8, -1
	s_mov_b32 s9, s5
	s_mov_b32 s7, exec_lo
                                        ; implicit-def: $vgpr18
	v_cmpx_eq_u16_e32 15, v1
	s_cbranch_execz .LBB234_2574
; %bb.2565:
	flat_load_u16 v1, v[4:5]
	s_mov_b32 s8, exec_lo
                                        ; implicit-def: $vgpr8
	s_wait_loadcnt_dscnt 0x0
	v_lshlrev_b32_e32 v9, 16, v1
	s_delay_alu instid0(VALU_DEP_1) | instskip(SKIP_1) | instid1(VALU_DEP_1)
	v_and_b32_e32 v10, 0x7fffffff, v9
	s_wait_xcnt 0x0
	v_cmpx_gt_u32_e32 0x47800000, v10
	s_xor_b32 s8, exec_lo, s8
	s_cbranch_execz .LBB234_2571
; %bb.2566:
	s_mov_b32 s9, exec_lo
                                        ; implicit-def: $vgpr8
	v_cmpx_lt_u32_e32 0x387fffff, v10
	s_xor_b32 s9, exec_lo, s9
; %bb.2567:
	v_bfe_u32 v8, v1, 5, 1
	s_delay_alu instid0(VALU_DEP_1) | instskip(NEXT) | instid1(VALU_DEP_1)
	v_add3_u32 v8, v9, v8, 0x80fffff
                                        ; implicit-def: $vgpr9
	v_lshrrev_b32_e32 v8, 21, v8
; %bb.2568:
	s_and_not1_saveexec_b32 s9, s9
; %bb.2569:
	v_add_f32_e64 v8, 0x43000000, |v9|
; %bb.2570:
	s_or_b32 exec_lo, exec_lo, s9
                                        ; implicit-def: $vgpr10
.LBB234_2571:
	s_and_not1_saveexec_b32 s8, s8
; %bb.2572:
	v_mov_b32_e32 v8, 0x7f
	v_cmp_lt_u32_e32 vcc_lo, 0x7f800000, v10
	s_delay_alu instid0(VALU_DEP_2)
	v_cndmask_b32_e32 v8, 0x7c, v8, vcc_lo
; %bb.2573:
	s_or_b32 exec_lo, exec_lo, s8
	v_lshrrev_b32_e32 v1, 8, v1
	s_or_b32 s9, s5, exec_lo
	s_xor_b32 s8, exec_lo, -1
	s_delay_alu instid0(VALU_DEP_1)
	v_and_or_b32 v18, 0x80, v1, v8
.LBB234_2574:
	s_or_b32 exec_lo, exec_lo, s7
	s_delay_alu instid0(SALU_CYCLE_1)
	s_and_not1_b32 s7, s5, exec_lo
	s_and_b32 s9, s9, exec_lo
	s_and_not1_b32 s10, s4, exec_lo
	s_and_b32 s11, s8, exec_lo
	s_or_b32 s8, s7, s9
	s_or_b32 s7, s10, s11
                                        ; implicit-def: $vgpr1
.LBB234_2575:
	s_or_saveexec_b32 s6, s6
	s_mov_b32 s9, 0
	s_xor_b32 exec_lo, exec_lo, s6
; %bb.2576:
	v_cmp_ne_u16_e32 vcc_lo, 11, v1
	s_and_not1_b32 s7, s7, exec_lo
	s_mov_b32 s9, exec_lo
	s_and_b32 s10, vcc_lo, exec_lo
	s_delay_alu instid0(SALU_CYCLE_1)
	s_or_b32 s7, s7, s10
; %bb.2577:
	s_or_b32 exec_lo, exec_lo, s6
	s_delay_alu instid0(SALU_CYCLE_1)
	s_and_not1_b32 s5, s5, exec_lo
	s_and_b32 s6, s8, exec_lo
	s_and_not1_b32 s8, s4, exec_lo
	s_and_b32 s7, s7, exec_lo
	s_or_b32 s5, s5, s6
	s_and_b32 s6, s9, exec_lo
	s_or_b32 s7, s8, s7
.LBB234_2578:
	s_or_b32 exec_lo, exec_lo, s1
	s_delay_alu instid0(SALU_CYCLE_1)
	s_and_not1_b32 s1, s3, exec_lo
	s_and_b32 s3, s5, exec_lo
	s_and_not1_b32 s4, s4, exec_lo
	s_and_b32 s5, s7, exec_lo
	s_or_b32 s3, s1, s3
	s_and_b32 s1, s6, exec_lo
	s_or_b32 s4, s4, s5
	s_or_b32 exec_lo, exec_lo, s2
	s_mov_b32 s2, s22
	s_and_saveexec_b32 s5, s4
	s_cbranch_execz .LBB234_1523
.LBB234_2579:
	s_or_b32 s2, s22, exec_lo
	s_and_not1_b32 s1, s1, exec_lo
	s_trap 2
	s_or_b32 exec_lo, exec_lo, s5
	s_and_saveexec_b32 s4, s1
	s_cbranch_execnz .LBB234_1524
	s_branch .LBB234_1533
.LBB234_2580:
	s_or_saveexec_b32 s8, s8
	v_mov_b32_e32 v5, 0x7f800001
	s_xor_b32 exec_lo, exec_lo, s8
	s_cbranch_execz .LBB234_2245
.LBB234_2581:
	v_cmp_ne_u16_e32 vcc_lo, 0, v6
	v_mov_b32_e32 v5, 0
	s_and_not1_b32 s7, s7, exec_lo
	s_and_b32 s9, vcc_lo, exec_lo
	s_delay_alu instid0(SALU_CYCLE_1)
	s_or_b32 s7, s7, s9
	s_or_b32 exec_lo, exec_lo, s8
	s_and_saveexec_b32 s8, s7
	s_cbranch_execnz .LBB234_2246
	s_branch .LBB234_2247
.LBB234_2582:
	s_and_not1_saveexec_b32 s9, s0
	s_cbranch_execz .LBB234_45
.LBB234_2583:
	v_add_f32_e32 v2, 0x46000000, v3
	s_and_not1_b32 s8, s8, exec_lo
	s_delay_alu instid0(VALU_DEP_1) | instskip(NEXT) | instid1(VALU_DEP_1)
	v_and_b32_e32 v2, 0xff, v2
	v_cmp_ne_u32_e64 s0, 0, v2
	s_and_b32 s0, s0, exec_lo
	s_delay_alu instid0(SALU_CYCLE_1)
	s_or_b32 s8, s8, s0
	s_or_b32 exec_lo, exec_lo, s9
	v_mov_b32_e32 v4, 0
	s_and_saveexec_b32 s0, s8
	s_cbranch_execnz .LBB234_46
	s_branch .LBB234_47
.LBB234_2584:
	s_or_saveexec_b32 s8, s8
	v_mov_b32_e32 v5, 0x7f800001
	s_xor_b32 exec_lo, exec_lo, s8
	s_cbranch_execz .LBB234_1057
.LBB234_2585:
	v_cmp_ne_u16_e32 vcc_lo, 0, v9
	v_mov_b32_e32 v5, 0
	s_and_not1_b32 s7, s7, exec_lo
	s_and_b32 s9, vcc_lo, exec_lo
	s_delay_alu instid0(SALU_CYCLE_1)
	s_or_b32 s7, s7, s9
	s_or_b32 exec_lo, exec_lo, s8
	s_and_saveexec_b32 s8, s7
	s_cbranch_execnz .LBB234_1058
	s_branch .LBB234_1059
.LBB234_2586:
	s_and_not1_saveexec_b32 s2, s2
	s_cbranch_execz .LBB234_1748
.LBB234_2587:
	s_mov_b32 s5, s3
	s_mov_b32 s1, exec_lo
                                        ; implicit-def: $vgpr19
	v_cmpx_lt_i16_e32 22, v3
	s_xor_b32 s1, exec_lo, s1
	s_cbranch_execz .LBB234_2619
; %bb.2588:
	s_mov_b32 s5, exec_lo
                                        ; implicit-def: $vgpr19
	v_cmpx_lt_i16_e32 23, v3
	s_xor_b32 s5, exec_lo, s5
	s_cbranch_execz .LBB234_2616
; %bb.2589:
	s_mov_b32 s6, exec_lo
                                        ; implicit-def: $vgpr19
	v_cmpx_lt_i16_e32 24, v3
	s_xor_b32 s6, exec_lo, s6
	s_cbranch_execz .LBB234_2605
; %bb.2590:
	flat_load_u8 v4, v[0:1]
	s_mov_b32 s7, 0
	s_mov_b32 s8, exec_lo
	s_wait_loadcnt_dscnt 0x0
	v_cmpx_lt_i16_e32 0x7f, v4
	s_xor_b32 s8, exec_lo, s8
	s_cbranch_execz .LBB234_2837
; %bb.2591:
	s_mov_b32 s7, -1
	s_mov_b32 s9, exec_lo
	v_cmpx_eq_u16_e32 0x80, v4
; %bb.2592:
	s_xor_b32 s7, exec_lo, -1
; %bb.2593:
	s_or_b32 exec_lo, exec_lo, s9
	s_delay_alu instid0(SALU_CYCLE_1)
	s_and_b32 s7, s7, exec_lo
	s_or_saveexec_b32 s8, s8
	v_mov_b32_e32 v3, 0x7f800001
	s_xor_b32 exec_lo, exec_lo, s8
	s_cbranch_execnz .LBB234_2838
.LBB234_2594:
	s_or_b32 exec_lo, exec_lo, s8
	s_and_saveexec_b32 s8, s7
	s_cbranch_execz .LBB234_2596
.LBB234_2595:
	v_and_b32_e32 v3, 0xffff, v4
	s_delay_alu instid0(VALU_DEP_1) | instskip(SKIP_1) | instid1(VALU_DEP_2)
	v_and_b32_e32 v5, 3, v3
	v_bfe_u32 v8, v3, 2, 5
	v_clz_i32_u32_e32 v6, v5
	s_delay_alu instid0(VALU_DEP_2) | instskip(NEXT) | instid1(VALU_DEP_2)
	v_cmp_eq_u32_e32 vcc_lo, 0, v8
	v_min_u32_e32 v6, 32, v6
	s_delay_alu instid0(VALU_DEP_1) | instskip(NEXT) | instid1(VALU_DEP_1)
	v_subrev_nc_u32_e32 v7, 29, v6
	v_dual_lshlrev_b32 v3, v7, v3 :: v_dual_sub_nc_u32 v6, 30, v6
	s_delay_alu instid0(VALU_DEP_1) | instskip(NEXT) | instid1(VALU_DEP_1)
	v_dual_lshlrev_b32 v4, 24, v4 :: v_dual_bitop2_b32 v3, 3, v3 bitop3:0x40
	v_dual_cndmask_b32 v6, v8, v6 :: v_dual_cndmask_b32 v3, v5, v3
	s_delay_alu instid0(VALU_DEP_2) | instskip(NEXT) | instid1(VALU_DEP_2)
	v_and_b32_e32 v4, 0x80000000, v4
	v_lshl_add_u32 v5, v6, 23, 0x37800000
	s_delay_alu instid0(VALU_DEP_3) | instskip(NEXT) | instid1(VALU_DEP_1)
	v_lshlrev_b32_e32 v3, 21, v3
	v_or3_b32 v3, v4, v5, v3
.LBB234_2596:
	s_or_b32 exec_lo, exec_lo, s8
	s_delay_alu instid0(VALU_DEP_1) | instskip(SKIP_1) | instid1(VALU_DEP_1)
	v_and_b32_e32 v5, 0x7fffffff, v3
	s_mov_b32 s7, exec_lo
                                        ; implicit-def: $vgpr4
	v_cmpx_gt_u32_e32 0x47800000, v5
	s_xor_b32 s7, exec_lo, s7
	s_cbranch_execz .LBB234_2602
; %bb.2597:
	s_mov_b32 s8, exec_lo
                                        ; implicit-def: $vgpr4
	v_cmpx_lt_u32_e32 0x387fffff, v5
	s_xor_b32 s8, exec_lo, s8
; %bb.2598:
	v_bfe_u32 v4, v3, 21, 1
	s_delay_alu instid0(VALU_DEP_1) | instskip(NEXT) | instid1(VALU_DEP_1)
	v_add3_u32 v4, v3, v4, 0x80fffff
	v_lshrrev_b32_e32 v4, 21, v4
; %bb.2599:
	s_and_not1_saveexec_b32 s8, s8
; %bb.2600:
	v_add_f32_e64 v4, 0x43000000, |v3|
; %bb.2601:
	s_or_b32 exec_lo, exec_lo, s8
                                        ; implicit-def: $vgpr5
.LBB234_2602:
	s_and_not1_saveexec_b32 s7, s7
; %bb.2603:
	v_mov_b32_e32 v4, 0x7f
	v_cmp_lt_u32_e32 vcc_lo, 0x7f800000, v5
	s_delay_alu instid0(VALU_DEP_2)
	v_cndmask_b32_e32 v4, 0x7c, v4, vcc_lo
; %bb.2604:
	s_or_b32 exec_lo, exec_lo, s7
	v_lshrrev_b32_e32 v3, 24, v3
	s_delay_alu instid0(VALU_DEP_1)
	v_and_or_b32 v19, 0x80, v3, v4
.LBB234_2605:
	s_and_not1_saveexec_b32 s6, s6
	s_cbranch_execz .LBB234_2615
; %bb.2606:
	flat_load_u8 v3, v[0:1]
	s_mov_b32 s7, exec_lo
	s_wait_loadcnt_dscnt 0x0
	v_lshlrev_b32_e32 v3, 24, v3
	s_delay_alu instid0(VALU_DEP_1) | instskip(NEXT) | instid1(VALU_DEP_1)
	v_and_b32_e32 v4, 0x7f000000, v3
	v_clz_i32_u32_e32 v5, v4
	v_cmp_ne_u32_e32 vcc_lo, 0, v4
	v_add_nc_u32_e32 v7, 0x1000000, v4
	s_delay_alu instid0(VALU_DEP_3) | instskip(NEXT) | instid1(VALU_DEP_1)
	v_min_u32_e32 v5, 32, v5
	v_sub_nc_u32_e64 v5, v5, 4 clamp
	s_delay_alu instid0(VALU_DEP_1) | instskip(NEXT) | instid1(VALU_DEP_1)
	v_lshlrev_b32_e32 v6, v5, v4
                                        ; implicit-def: $vgpr4
	v_dual_lshlrev_b32 v5, 23, v5 :: v_dual_lshrrev_b32 v6, 4, v6
	s_delay_alu instid0(VALU_DEP_1) | instskip(NEXT) | instid1(VALU_DEP_1)
	v_dual_sub_nc_u32 v5, v6, v5 :: v_dual_ashrrev_i32 v6, 8, v7
	v_add_nc_u32_e32 v5, 0x3c000000, v5
	s_delay_alu instid0(VALU_DEP_1) | instskip(NEXT) | instid1(VALU_DEP_1)
	v_and_or_b32 v5, 0x7f800000, v6, v5
	v_cndmask_b32_e32 v6, 0, v5, vcc_lo
	s_delay_alu instid0(VALU_DEP_1) | instskip(NEXT) | instid1(VALU_DEP_1)
	v_and_or_b32 v3, 0x80000000, v3, v6
	v_and_b32_e32 v5, 0x7fffffff, v3
	s_wait_xcnt 0x0
	s_delay_alu instid0(VALU_DEP_1)
	v_cmpx_gt_u32_e32 0x47800000, v5
	s_xor_b32 s7, exec_lo, s7
	s_cbranch_execz .LBB234_2612
; %bb.2607:
	s_mov_b32 s8, exec_lo
                                        ; implicit-def: $vgpr4
	v_cmpx_lt_u32_e32 0x387fffff, v5
	s_xor_b32 s8, exec_lo, s8
; %bb.2608:
	v_bfe_u32 v4, v6, 21, 1
	s_delay_alu instid0(VALU_DEP_1) | instskip(NEXT) | instid1(VALU_DEP_1)
	v_add3_u32 v4, v3, v4, 0x80fffff
	v_lshrrev_b32_e32 v4, 21, v4
; %bb.2609:
	s_and_not1_saveexec_b32 s8, s8
; %bb.2610:
	v_add_f32_e64 v4, 0x43000000, |v3|
; %bb.2611:
	s_or_b32 exec_lo, exec_lo, s8
                                        ; implicit-def: $vgpr5
.LBB234_2612:
	s_and_not1_saveexec_b32 s7, s7
; %bb.2613:
	v_mov_b32_e32 v4, 0x7f
	v_cmp_lt_u32_e32 vcc_lo, 0x7f800000, v5
	s_delay_alu instid0(VALU_DEP_2)
	v_cndmask_b32_e32 v4, 0x7c, v4, vcc_lo
; %bb.2614:
	s_or_b32 exec_lo, exec_lo, s7
	v_lshrrev_b32_e32 v3, 24, v3
	s_delay_alu instid0(VALU_DEP_1)
	v_and_or_b32 v19, 0x80, v3, v4
.LBB234_2615:
	s_or_b32 exec_lo, exec_lo, s6
.LBB234_2616:
	s_and_not1_saveexec_b32 s5, s5
	s_cbranch_execz .LBB234_2618
; %bb.2617:
	flat_load_u8 v19, v[0:1]
.LBB234_2618:
	s_wait_xcnt 0x0
	s_or_b32 exec_lo, exec_lo, s5
	s_delay_alu instid0(SALU_CYCLE_1)
	s_or_b32 s5, s3, exec_lo
                                        ; implicit-def: $vgpr3
.LBB234_2619:
	s_or_saveexec_b32 s1, s1
	s_mov_b32 s6, 0
	s_mov_b32 s7, s4
	s_xor_b32 exec_lo, exec_lo, s1
	s_cbranch_execz .LBB234_2635
; %bb.2620:
	s_mov_b32 s7, s4
	s_mov_b32 s8, s5
	s_mov_b32 s6, exec_lo
                                        ; implicit-def: $vgpr19
	v_cmpx_lt_i16_e32 14, v3
	s_xor_b32 s6, exec_lo, s6
	s_cbranch_execz .LBB234_2632
; %bb.2621:
	s_mov_b32 s8, -1
	s_mov_b32 s9, s5
	s_mov_b32 s7, exec_lo
                                        ; implicit-def: $vgpr19
	v_cmpx_eq_u16_e32 15, v3
	s_cbranch_execz .LBB234_2631
; %bb.2622:
	flat_load_u16 v3, v[0:1]
	s_mov_b32 s8, exec_lo
                                        ; implicit-def: $vgpr4
	s_wait_loadcnt_dscnt 0x0
	v_lshlrev_b32_e32 v5, 16, v3
	s_delay_alu instid0(VALU_DEP_1) | instskip(SKIP_1) | instid1(VALU_DEP_1)
	v_and_b32_e32 v6, 0x7fffffff, v5
	s_wait_xcnt 0x0
	v_cmpx_gt_u32_e32 0x47800000, v6
	s_xor_b32 s8, exec_lo, s8
	s_cbranch_execz .LBB234_2628
; %bb.2623:
	s_mov_b32 s9, exec_lo
                                        ; implicit-def: $vgpr4
	v_cmpx_lt_u32_e32 0x387fffff, v6
	s_xor_b32 s9, exec_lo, s9
; %bb.2624:
	v_bfe_u32 v4, v3, 5, 1
	s_delay_alu instid0(VALU_DEP_1) | instskip(NEXT) | instid1(VALU_DEP_1)
	v_add3_u32 v4, v5, v4, 0x80fffff
                                        ; implicit-def: $vgpr5
	v_lshrrev_b32_e32 v4, 21, v4
; %bb.2625:
	s_and_not1_saveexec_b32 s9, s9
; %bb.2626:
	v_add_f32_e64 v4, 0x43000000, |v5|
; %bb.2627:
	s_or_b32 exec_lo, exec_lo, s9
                                        ; implicit-def: $vgpr6
.LBB234_2628:
	s_and_not1_saveexec_b32 s8, s8
; %bb.2629:
	v_mov_b32_e32 v4, 0x7f
	v_cmp_lt_u32_e32 vcc_lo, 0x7f800000, v6
	s_delay_alu instid0(VALU_DEP_2)
	v_cndmask_b32_e32 v4, 0x7c, v4, vcc_lo
; %bb.2630:
	s_or_b32 exec_lo, exec_lo, s8
	v_lshrrev_b32_e32 v3, 8, v3
	s_or_b32 s9, s5, exec_lo
	s_xor_b32 s8, exec_lo, -1
	s_delay_alu instid0(VALU_DEP_1)
	v_and_or_b32 v19, 0x80, v3, v4
.LBB234_2631:
	s_or_b32 exec_lo, exec_lo, s7
	s_delay_alu instid0(SALU_CYCLE_1)
	s_and_not1_b32 s7, s5, exec_lo
	s_and_b32 s9, s9, exec_lo
	s_and_not1_b32 s10, s4, exec_lo
	s_and_b32 s11, s8, exec_lo
	s_or_b32 s8, s7, s9
	s_or_b32 s7, s10, s11
                                        ; implicit-def: $vgpr3
.LBB234_2632:
	s_or_saveexec_b32 s6, s6
	s_mov_b32 s9, 0
	s_xor_b32 exec_lo, exec_lo, s6
; %bb.2633:
	v_cmp_ne_u16_e32 vcc_lo, 11, v3
	s_and_not1_b32 s7, s7, exec_lo
	s_mov_b32 s9, exec_lo
	s_and_b32 s10, vcc_lo, exec_lo
	s_delay_alu instid0(SALU_CYCLE_1)
	s_or_b32 s7, s7, s10
; %bb.2634:
	s_or_b32 exec_lo, exec_lo, s6
	s_delay_alu instid0(SALU_CYCLE_1)
	s_and_not1_b32 s5, s5, exec_lo
	s_and_b32 s6, s8, exec_lo
	s_and_not1_b32 s8, s4, exec_lo
	s_and_b32 s7, s7, exec_lo
	s_or_b32 s5, s5, s6
	s_and_b32 s6, s9, exec_lo
	s_or_b32 s7, s8, s7
.LBB234_2635:
	s_or_b32 exec_lo, exec_lo, s1
	s_delay_alu instid0(SALU_CYCLE_1)
	s_and_not1_b32 s1, s3, exec_lo
	s_and_b32 s3, s5, exec_lo
	s_and_not1_b32 s4, s4, exec_lo
	s_and_b32 s5, s7, exec_lo
	s_or_b32 s3, s1, s3
	s_and_b32 s1, s6, exec_lo
	s_or_b32 s4, s4, s5
	s_or_b32 exec_lo, exec_lo, s2
	s_mov_b32 s2, s24
	s_and_saveexec_b32 s5, s4
	s_cbranch_execz .LBB234_1749
.LBB234_2636:
	s_or_b32 s2, s24, exec_lo
	s_and_not1_b32 s1, s1, exec_lo
	s_trap 2
	s_or_b32 exec_lo, exec_lo, s5
	s_and_saveexec_b32 s4, s1
	s_cbranch_execnz .LBB234_1750
	s_branch .LBB234_1759
.LBB234_2637:
	s_or_saveexec_b32 s8, s8
	v_mov_b32_e32 v5, 0x7f800001
	s_xor_b32 exec_lo, exec_lo, s8
	s_cbranch_execz .LBB234_2338
.LBB234_2638:
	v_cmp_ne_u16_e32 vcc_lo, 0, v9
	v_mov_b32_e32 v5, 0
	s_and_not1_b32 s7, s7, exec_lo
	s_and_b32 s9, vcc_lo, exec_lo
	s_delay_alu instid0(SALU_CYCLE_1)
	s_or_b32 s7, s7, s9
	s_or_b32 exec_lo, exec_lo, s8
	s_and_saveexec_b32 s8, s7
	s_cbranch_execnz .LBB234_2339
	s_branch .LBB234_2340
.LBB234_2639:
	s_and_not1_saveexec_b32 s10, s0
	s_cbranch_execz .LBB234_58
.LBB234_2640:
	v_add_f32_e32 v2, 0x42800000, v3
	s_and_not1_b32 s9, s9, exec_lo
	s_delay_alu instid0(VALU_DEP_1) | instskip(NEXT) | instid1(VALU_DEP_1)
	v_and_b32_e32 v2, 0xff, v2
	v_cmp_ne_u32_e64 s0, 0, v2
	s_and_b32 s0, s0, exec_lo
	s_delay_alu instid0(SALU_CYCLE_1)
	s_or_b32 s9, s9, s0
	s_or_b32 exec_lo, exec_lo, s10
	v_mov_b32_e32 v4, 0
	s_and_saveexec_b32 s0, s9
	s_cbranch_execnz .LBB234_59
	s_branch .LBB234_60
.LBB234_2641:
	s_and_not1_saveexec_b32 s9, s0
	s_cbranch_execz .LBB234_144
.LBB234_2642:
	v_add_f32_e32 v2, 0x46000000, v3
	s_and_not1_b32 s8, s8, exec_lo
	s_delay_alu instid0(VALU_DEP_1) | instskip(NEXT) | instid1(VALU_DEP_1)
	v_and_b32_e32 v2, 0xff, v2
	v_cmp_ne_u32_e64 s0, 0, v2
	s_and_b32 s0, s0, exec_lo
	s_delay_alu instid0(SALU_CYCLE_1)
	s_or_b32 s8, s8, s0
	s_or_b32 exec_lo, exec_lo, s9
	v_mov_b32_e32 v4, 0
	s_and_saveexec_b32 s0, s8
	s_cbranch_execnz .LBB234_145
	s_branch .LBB234_146
.LBB234_2643:
	s_or_saveexec_b32 s8, s8
	v_mov_b32_e32 v5, 0x7f800001
	s_xor_b32 exec_lo, exec_lo, s8
	s_cbranch_execz .LBB234_1283
.LBB234_2644:
	v_cmp_ne_u16_e32 vcc_lo, 0, v10
	v_mov_b32_e32 v5, 0
	s_and_not1_b32 s7, s7, exec_lo
	s_and_b32 s9, vcc_lo, exec_lo
	s_delay_alu instid0(SALU_CYCLE_1)
	s_or_b32 s7, s7, s9
	s_or_b32 exec_lo, exec_lo, s8
	s_and_saveexec_b32 s8, s7
	s_cbranch_execnz .LBB234_1284
	s_branch .LBB234_1285
.LBB234_2645:
	s_and_not1_saveexec_b32 s7, s7
	s_cbranch_execz .LBB234_1928
.LBB234_2646:
	s_mov_b32 s8, s2
	s_mov_b32 s6, exec_lo
	v_cmpx_lt_i16_e32 22, v2
	s_xor_b32 s6, exec_lo, s6
	s_cbranch_execz .LBB234_2678
; %bb.2647:
	s_mov_b32 s8, exec_lo
	v_cmpx_lt_i16_e32 23, v2
	s_xor_b32 s8, exec_lo, s8
	s_cbranch_execz .LBB234_2667
; %bb.2648:
	;; [unrolled: 5-line block ×3, first 2 shown]
	v_cndmask_b32_e64 v3, 0, 1.0, s0
	v_mov_b32_e32 v4, 0x80
	s_mov_b32 s10, exec_lo
	s_delay_alu instid0(VALU_DEP_2)
	v_cmpx_gt_u32_e32 0x47800000, v3
	s_cbranch_execz .LBB234_2655
; %bb.2650:
	v_cmp_lt_u32_e64 s1, 0x37ffffff, v3
	s_mov_b32 s11, 0
                                        ; implicit-def: $vgpr2
	s_and_saveexec_b32 s12, s1
	s_delay_alu instid0(SALU_CYCLE_1)
	s_xor_b32 s1, exec_lo, s12
	s_cbranch_execz .LBB234_2843
; %bb.2651:
	v_bfe_u32 v2, v3, 21, 1
	s_mov_b32 s11, exec_lo
	s_delay_alu instid0(VALU_DEP_1) | instskip(NEXT) | instid1(VALU_DEP_1)
	v_add3_u32 v2, v3, v2, 0x88fffff
                                        ; implicit-def: $vgpr3
	v_lshrrev_b32_e32 v2, 21, v2
	s_and_not1_saveexec_b32 s12, s1
	s_cbranch_execnz .LBB234_2844
.LBB234_2652:
	s_or_b32 exec_lo, exec_lo, s12
	v_mov_b32_e32 v4, 0
	s_and_saveexec_b32 s1, s11
.LBB234_2653:
	v_mov_b32_e32 v4, v2
.LBB234_2654:
	s_or_b32 exec_lo, exec_lo, s1
.LBB234_2655:
	s_delay_alu instid0(SALU_CYCLE_1)
	s_or_b32 exec_lo, exec_lo, s10
	flat_store_b8 v[0:1], v4
.LBB234_2656:
	s_wait_xcnt 0x0
	s_and_not1_saveexec_b32 s9, s9
	s_cbranch_execz .LBB234_2666
; %bb.2657:
	v_cndmask_b32_e64 v3, 0, 1.0, s0
	s_mov_b32 s10, exec_lo
                                        ; implicit-def: $vgpr2
	s_delay_alu instid0(VALU_DEP_1)
	v_cmpx_gt_u32_e32 0x43f00000, v3
	s_xor_b32 s10, exec_lo, s10
	s_cbranch_execz .LBB234_2663
; %bb.2658:
	s_mov_b32 s11, exec_lo
                                        ; implicit-def: $vgpr2
	v_cmpx_lt_u32_e32 0x3c7fffff, v3
	s_xor_b32 s11, exec_lo, s11
; %bb.2659:
	v_bfe_u32 v2, v3, 20, 1
	s_delay_alu instid0(VALU_DEP_1) | instskip(NEXT) | instid1(VALU_DEP_1)
	v_add3_u32 v2, v3, v2, 0x407ffff
	v_and_b32_e32 v3, 0xff00000, v2
	v_lshrrev_b32_e32 v2, 20, v2
	s_delay_alu instid0(VALU_DEP_2) | instskip(NEXT) | instid1(VALU_DEP_1)
	v_cmp_ne_u32_e64 s1, 0x7f00000, v3
                                        ; implicit-def: $vgpr3
	v_cndmask_b32_e64 v2, 0x7e, v2, s1
; %bb.2660:
	s_and_not1_saveexec_b32 s1, s11
; %bb.2661:
	v_add_f32_e32 v2, 0x46800000, v3
; %bb.2662:
	s_or_b32 exec_lo, exec_lo, s1
                                        ; implicit-def: $vgpr3
.LBB234_2663:
	s_and_not1_saveexec_b32 s10, s10
; %bb.2664:
	v_mov_b32_e32 v2, 0x7f
	v_cmp_lt_u32_e64 s1, 0x7f800000, v3
	s_delay_alu instid0(VALU_DEP_1)
	v_cndmask_b32_e64 v2, 0x7e, v2, s1
; %bb.2665:
	s_or_b32 exec_lo, exec_lo, s10
	flat_store_b8 v[0:1], v2
.LBB234_2666:
	s_wait_xcnt 0x0
	s_or_b32 exec_lo, exec_lo, s9
.LBB234_2667:
	s_and_not1_saveexec_b32 s8, s8
	s_cbranch_execz .LBB234_2677
; %bb.2668:
	v_cndmask_b32_e64 v3, 0, 1.0, s0
	s_mov_b32 s9, exec_lo
                                        ; implicit-def: $vgpr2
	s_delay_alu instid0(VALU_DEP_1)
	v_cmpx_gt_u32_e32 0x47800000, v3
	s_xor_b32 s9, exec_lo, s9
	s_cbranch_execz .LBB234_2674
; %bb.2669:
	v_cmp_lt_u32_e64 s1, 0x387fffff, v3
                                        ; implicit-def: $vgpr2
	s_and_saveexec_b32 s10, s1
	s_delay_alu instid0(SALU_CYCLE_1)
	s_xor_b32 s1, exec_lo, s10
; %bb.2670:
	v_bfe_u32 v2, v3, 21, 1
	s_delay_alu instid0(VALU_DEP_1) | instskip(NEXT) | instid1(VALU_DEP_1)
	v_add3_u32 v2, v3, v2, 0x80fffff
                                        ; implicit-def: $vgpr3
	v_lshrrev_b32_e32 v2, 21, v2
; %bb.2671:
	s_and_not1_saveexec_b32 s1, s1
; %bb.2672:
	v_add_f32_e32 v2, 0x43000000, v3
; %bb.2673:
	s_or_b32 exec_lo, exec_lo, s1
                                        ; implicit-def: $vgpr3
.LBB234_2674:
	s_and_not1_saveexec_b32 s9, s9
; %bb.2675:
	v_mov_b32_e32 v2, 0x7f
	v_cmp_lt_u32_e64 s1, 0x7f800000, v3
	s_delay_alu instid0(VALU_DEP_1)
	v_cndmask_b32_e64 v2, 0x7c, v2, s1
; %bb.2676:
	s_or_b32 exec_lo, exec_lo, s9
	flat_store_b8 v[0:1], v2
.LBB234_2677:
	s_wait_xcnt 0x0
	s_or_b32 exec_lo, exec_lo, s8
	s_delay_alu instid0(SALU_CYCLE_1)
	s_or_b32 s8, s2, exec_lo
                                        ; implicit-def: $vgpr2
.LBB234_2678:
	s_or_saveexec_b32 s6, s6
	s_mov_b32 s1, 0
	s_mov_b32 s9, s4
	s_xor_b32 exec_lo, exec_lo, s6
	s_cbranch_execz .LBB234_2686
; %bb.2679:
	s_mov_b32 s9, s4
	s_mov_b32 s10, s8
	s_mov_b32 s11, exec_lo
	v_cmpx_lt_i16_e32 14, v2
	s_xor_b32 s11, exec_lo, s11
	s_cbranch_execz .LBB234_2683
; %bb.2680:
	s_mov_b32 s9, -1
	s_mov_b32 s12, s8
	s_mov_b32 s10, exec_lo
	v_cmpx_eq_u16_e32 15, v2
	s_cbranch_execz .LBB234_2682
; %bb.2681:
	v_cndmask_b32_e64 v2, 0, 1.0, s0
	s_or_b32 s12, s8, exec_lo
	s_xor_b32 s9, exec_lo, -1
	s_delay_alu instid0(VALU_DEP_1) | instskip(NEXT) | instid1(VALU_DEP_1)
	v_bfe_u32 v3, v2, 16, 1
	v_add3_u32 v2, v2, v3, 0x7fff
	flat_store_d16_hi_b16 v[0:1], v2
.LBB234_2682:
	s_wait_xcnt 0x0
	s_or_b32 exec_lo, exec_lo, s10
	s_delay_alu instid0(SALU_CYCLE_1)
	s_and_not1_b32 s1, s8, exec_lo
	s_and_b32 s10, s12, exec_lo
	s_and_not1_b32 s12, s4, exec_lo
	s_and_b32 s9, s9, exec_lo
	s_or_b32 s10, s1, s10
	s_or_b32 s9, s12, s9
                                        ; implicit-def: $vgpr2
.LBB234_2683:
	s_or_saveexec_b32 s12, s11
	s_mov_b32 s11, 0
	s_xor_b32 exec_lo, exec_lo, s12
; %bb.2684:
	v_cmp_ne_u16_e64 s1, 11, v2
	s_and_not1_b32 s9, s9, exec_lo
	s_mov_b32 s11, exec_lo
	s_and_b32 s1, s1, exec_lo
	s_delay_alu instid0(SALU_CYCLE_1)
	s_or_b32 s9, s9, s1
; %bb.2685:
	s_or_b32 exec_lo, exec_lo, s12
	s_delay_alu instid0(SALU_CYCLE_1)
	s_and_not1_b32 s1, s8, exec_lo
	s_and_b32 s8, s10, exec_lo
	s_and_not1_b32 s10, s4, exec_lo
	s_and_b32 s9, s9, exec_lo
	s_or_b32 s8, s1, s8
	s_and_b32 s1, s11, exec_lo
	s_or_b32 s9, s10, s9
.LBB234_2686:
	s_or_b32 exec_lo, exec_lo, s6
	s_delay_alu instid0(SALU_CYCLE_1)
	s_and_not1_b32 s2, s2, exec_lo
	s_and_b32 s6, s8, exec_lo
	s_and_not1_b32 s4, s4, exec_lo
	s_and_b32 s8, s9, exec_lo
	s_or_b32 s2, s2, s6
	s_and_b32 s6, s1, exec_lo
	s_or_b32 s4, s4, s8
	s_or_b32 exec_lo, exec_lo, s7
	s_mov_b32 s1, s26
	s_and_saveexec_b32 s7, s4
	s_cbranch_execz .LBB234_1929
.LBB234_2687:
	s_or_b32 s1, s26, exec_lo
	s_and_not1_b32 s6, s6, exec_lo
	s_trap 2
	s_or_b32 exec_lo, exec_lo, s7
	s_and_saveexec_b32 s4, s6
	s_delay_alu instid0(SALU_CYCLE_1)
	s_xor_b32 s4, exec_lo, s4
	s_cbranch_execnz .LBB234_1930
	s_branch .LBB234_1931
.LBB234_2688:
	s_or_saveexec_b32 s8, s8
	v_mov_b32_e32 v5, 0x7f800001
	s_xor_b32 exec_lo, exec_lo, s8
	s_cbranch_execz .LBB234_2431
.LBB234_2689:
	v_cmp_ne_u16_e32 vcc_lo, 0, v9
	v_mov_b32_e32 v5, 0
	s_and_not1_b32 s7, s7, exec_lo
	s_and_b32 s9, vcc_lo, exec_lo
	s_delay_alu instid0(SALU_CYCLE_1)
	s_or_b32 s7, s7, s9
	s_or_b32 exec_lo, exec_lo, s8
	s_and_saveexec_b32 s8, s7
	s_cbranch_execnz .LBB234_2432
	s_branch .LBB234_2433
.LBB234_2690:
	s_and_not1_saveexec_b32 s10, s0
	s_cbranch_execz .LBB234_157
.LBB234_2691:
	v_add_f32_e32 v2, 0x42800000, v3
	s_and_not1_b32 s9, s9, exec_lo
	s_delay_alu instid0(VALU_DEP_1) | instskip(NEXT) | instid1(VALU_DEP_1)
	v_and_b32_e32 v2, 0xff, v2
	v_cmp_ne_u32_e64 s0, 0, v2
	s_and_b32 s0, s0, exec_lo
	s_delay_alu instid0(SALU_CYCLE_1)
	s_or_b32 s9, s9, s0
	s_or_b32 exec_lo, exec_lo, s10
	v_mov_b32_e32 v4, 0
	s_and_saveexec_b32 s0, s9
	s_cbranch_execnz .LBB234_158
	s_branch .LBB234_159
.LBB234_2692:
	s_and_not1_saveexec_b32 s9, s0
	s_cbranch_execz .LBB234_243
.LBB234_2693:
	v_add_f32_e32 v2, 0x46000000, v3
	s_and_not1_b32 s8, s8, exec_lo
	s_delay_alu instid0(VALU_DEP_1) | instskip(NEXT) | instid1(VALU_DEP_1)
	v_and_b32_e32 v2, 0xff, v2
	v_cmp_ne_u32_e64 s0, 0, v2
	s_and_b32 s0, s0, exec_lo
	s_delay_alu instid0(SALU_CYCLE_1)
	s_or_b32 s8, s8, s0
	s_or_b32 exec_lo, exec_lo, s9
	v_mov_b32_e32 v4, 0
	s_and_saveexec_b32 s0, s8
	s_cbranch_execnz .LBB234_244
	s_branch .LBB234_245
.LBB234_2694:
	s_or_saveexec_b32 s8, s8
	v_mov_b32_e32 v1, 0x7f800001
	s_xor_b32 exec_lo, exec_lo, s8
	s_cbranch_execz .LBB234_1509
.LBB234_2695:
	v_cmp_ne_u16_e32 vcc_lo, 0, v8
	v_mov_b32_e32 v1, 0
	s_and_not1_b32 s7, s7, exec_lo
	s_and_b32 s9, vcc_lo, exec_lo
	s_delay_alu instid0(SALU_CYCLE_1)
	s_or_b32 s7, s7, s9
	s_or_b32 exec_lo, exec_lo, s8
	s_and_saveexec_b32 s8, s7
	s_cbranch_execnz .LBB234_1510
	s_branch .LBB234_1511
.LBB234_2696:
	s_and_not1_saveexec_b32 s9, s9
	s_cbranch_execz .LBB234_2012
.LBB234_2697:
	s_mov_b32 s10, s7
	s_mov_b32 s8, exec_lo
	v_cmpx_lt_i16_e32 22, v2
	s_xor_b32 s8, exec_lo, s8
	s_cbranch_execz .LBB234_2729
; %bb.2698:
	s_mov_b32 s10, exec_lo
	v_cmpx_lt_i16_e32 23, v2
	s_xor_b32 s10, exec_lo, s10
	s_cbranch_execz .LBB234_2718
; %bb.2699:
	;; [unrolled: 5-line block ×3, first 2 shown]
	v_cndmask_b32_e64 v3, 0, 1.0, s0
	v_mov_b32_e32 v4, 0x80
	s_mov_b32 s12, exec_lo
	s_delay_alu instid0(VALU_DEP_2)
	v_cmpx_gt_u32_e32 0x47800000, v3
	s_cbranch_execz .LBB234_2706
; %bb.2701:
	v_cmp_lt_u32_e64 s1, 0x37ffffff, v3
	s_mov_b32 s13, 0
                                        ; implicit-def: $vgpr2
	s_and_saveexec_b32 s28, s1
	s_delay_alu instid0(SALU_CYCLE_1)
	s_xor_b32 s1, exec_lo, s28
	s_cbranch_execz .LBB234_2847
; %bb.2702:
	v_bfe_u32 v2, v3, 21, 1
	s_mov_b32 s13, exec_lo
	s_delay_alu instid0(VALU_DEP_1) | instskip(NEXT) | instid1(VALU_DEP_1)
	v_add3_u32 v2, v3, v2, 0x88fffff
                                        ; implicit-def: $vgpr3
	v_lshrrev_b32_e32 v2, 21, v2
	s_and_not1_saveexec_b32 s28, s1
	s_cbranch_execnz .LBB234_2848
.LBB234_2703:
	s_or_b32 exec_lo, exec_lo, s28
	v_mov_b32_e32 v4, 0
	s_and_saveexec_b32 s1, s13
.LBB234_2704:
	v_mov_b32_e32 v4, v2
.LBB234_2705:
	s_or_b32 exec_lo, exec_lo, s1
.LBB234_2706:
	s_delay_alu instid0(SALU_CYCLE_1)
	s_or_b32 exec_lo, exec_lo, s12
	flat_store_b8 v[0:1], v4
.LBB234_2707:
	s_wait_xcnt 0x0
	s_and_not1_saveexec_b32 s11, s11
	s_cbranch_execz .LBB234_2717
; %bb.2708:
	v_cndmask_b32_e64 v3, 0, 1.0, s0
	s_mov_b32 s12, exec_lo
                                        ; implicit-def: $vgpr2
	s_delay_alu instid0(VALU_DEP_1)
	v_cmpx_gt_u32_e32 0x43f00000, v3
	s_xor_b32 s12, exec_lo, s12
	s_cbranch_execz .LBB234_2714
; %bb.2709:
	s_mov_b32 s13, exec_lo
                                        ; implicit-def: $vgpr2
	v_cmpx_lt_u32_e32 0x3c7fffff, v3
	s_xor_b32 s13, exec_lo, s13
; %bb.2710:
	v_bfe_u32 v2, v3, 20, 1
	s_delay_alu instid0(VALU_DEP_1) | instskip(NEXT) | instid1(VALU_DEP_1)
	v_add3_u32 v2, v3, v2, 0x407ffff
	v_and_b32_e32 v3, 0xff00000, v2
	v_lshrrev_b32_e32 v2, 20, v2
	s_delay_alu instid0(VALU_DEP_2) | instskip(NEXT) | instid1(VALU_DEP_1)
	v_cmp_ne_u32_e64 s1, 0x7f00000, v3
                                        ; implicit-def: $vgpr3
	v_cndmask_b32_e64 v2, 0x7e, v2, s1
; %bb.2711:
	s_and_not1_saveexec_b32 s1, s13
; %bb.2712:
	v_add_f32_e32 v2, 0x46800000, v3
; %bb.2713:
	s_or_b32 exec_lo, exec_lo, s1
                                        ; implicit-def: $vgpr3
.LBB234_2714:
	s_and_not1_saveexec_b32 s12, s12
; %bb.2715:
	v_mov_b32_e32 v2, 0x7f
	v_cmp_lt_u32_e64 s1, 0x7f800000, v3
	s_delay_alu instid0(VALU_DEP_1)
	v_cndmask_b32_e64 v2, 0x7e, v2, s1
; %bb.2716:
	s_or_b32 exec_lo, exec_lo, s12
	flat_store_b8 v[0:1], v2
.LBB234_2717:
	s_wait_xcnt 0x0
	s_or_b32 exec_lo, exec_lo, s11
.LBB234_2718:
	s_and_not1_saveexec_b32 s10, s10
	s_cbranch_execz .LBB234_2728
; %bb.2719:
	v_cndmask_b32_e64 v3, 0, 1.0, s0
	s_mov_b32 s11, exec_lo
                                        ; implicit-def: $vgpr2
	s_delay_alu instid0(VALU_DEP_1)
	v_cmpx_gt_u32_e32 0x47800000, v3
	s_xor_b32 s11, exec_lo, s11
	s_cbranch_execz .LBB234_2725
; %bb.2720:
	v_cmp_lt_u32_e64 s1, 0x387fffff, v3
                                        ; implicit-def: $vgpr2
	s_and_saveexec_b32 s12, s1
	s_delay_alu instid0(SALU_CYCLE_1)
	s_xor_b32 s1, exec_lo, s12
; %bb.2721:
	v_bfe_u32 v2, v3, 21, 1
	s_delay_alu instid0(VALU_DEP_1) | instskip(NEXT) | instid1(VALU_DEP_1)
	v_add3_u32 v2, v3, v2, 0x80fffff
                                        ; implicit-def: $vgpr3
	v_lshrrev_b32_e32 v2, 21, v2
; %bb.2722:
	s_and_not1_saveexec_b32 s1, s1
; %bb.2723:
	v_add_f32_e32 v2, 0x43000000, v3
; %bb.2724:
	s_or_b32 exec_lo, exec_lo, s1
                                        ; implicit-def: $vgpr3
.LBB234_2725:
	s_and_not1_saveexec_b32 s11, s11
; %bb.2726:
	v_mov_b32_e32 v2, 0x7f
	v_cmp_lt_u32_e64 s1, 0x7f800000, v3
	s_delay_alu instid0(VALU_DEP_1)
	v_cndmask_b32_e64 v2, 0x7c, v2, s1
; %bb.2727:
	s_or_b32 exec_lo, exec_lo, s11
	flat_store_b8 v[0:1], v2
.LBB234_2728:
	s_wait_xcnt 0x0
	s_or_b32 exec_lo, exec_lo, s10
	s_delay_alu instid0(SALU_CYCLE_1)
	s_or_b32 s10, s7, exec_lo
                                        ; implicit-def: $vgpr2
.LBB234_2729:
	s_or_saveexec_b32 s8, s8
	s_mov_b32 s1, 0
	s_mov_b32 s11, s2
	s_xor_b32 exec_lo, exec_lo, s8
	s_cbranch_execz .LBB234_2737
; %bb.2730:
	s_mov_b32 s11, s2
	s_mov_b32 s12, s10
	s_mov_b32 s13, exec_lo
	v_cmpx_lt_i16_e32 14, v2
	s_xor_b32 s13, exec_lo, s13
	s_cbranch_execz .LBB234_2734
; %bb.2731:
	s_mov_b32 s11, -1
	s_mov_b32 s28, s10
	s_mov_b32 s12, exec_lo
	v_cmpx_eq_u16_e32 15, v2
	s_cbranch_execz .LBB234_2733
; %bb.2732:
	v_cndmask_b32_e64 v2, 0, 1.0, s0
	s_or_b32 s28, s10, exec_lo
	s_xor_b32 s11, exec_lo, -1
	s_delay_alu instid0(VALU_DEP_1) | instskip(NEXT) | instid1(VALU_DEP_1)
	v_bfe_u32 v3, v2, 16, 1
	v_add3_u32 v2, v2, v3, 0x7fff
	flat_store_d16_hi_b16 v[0:1], v2
.LBB234_2733:
	s_wait_xcnt 0x0
	s_or_b32 exec_lo, exec_lo, s12
	s_delay_alu instid0(SALU_CYCLE_1)
	s_and_not1_b32 s1, s10, exec_lo
	s_and_b32 s12, s28, exec_lo
	s_and_not1_b32 s28, s2, exec_lo
	s_and_b32 s11, s11, exec_lo
	s_or_b32 s12, s1, s12
	s_or_b32 s11, s28, s11
                                        ; implicit-def: $vgpr2
.LBB234_2734:
	s_or_saveexec_b32 s28, s13
	s_mov_b32 s13, 0
	s_xor_b32 exec_lo, exec_lo, s28
; %bb.2735:
	v_cmp_ne_u16_e64 s1, 11, v2
	s_and_not1_b32 s11, s11, exec_lo
	s_mov_b32 s13, exec_lo
	s_and_b32 s1, s1, exec_lo
	s_delay_alu instid0(SALU_CYCLE_1)
	s_or_b32 s11, s11, s1
; %bb.2736:
	s_or_b32 exec_lo, exec_lo, s28
	s_delay_alu instid0(SALU_CYCLE_1)
	s_and_not1_b32 s1, s10, exec_lo
	s_and_b32 s10, s12, exec_lo
	s_and_not1_b32 s12, s2, exec_lo
	s_and_b32 s11, s11, exec_lo
	s_or_b32 s10, s1, s10
	s_and_b32 s1, s13, exec_lo
	s_or_b32 s11, s12, s11
.LBB234_2737:
	s_or_b32 exec_lo, exec_lo, s8
	s_delay_alu instid0(SALU_CYCLE_1)
	s_and_not1_b32 s7, s7, exec_lo
	s_and_b32 s8, s10, exec_lo
	s_and_not1_b32 s2, s2, exec_lo
	s_and_b32 s10, s11, exec_lo
	s_or_b32 s7, s7, s8
	s_and_b32 s8, s1, exec_lo
	s_or_b32 s2, s2, s10
	s_or_b32 exec_lo, exec_lo, s9
	s_mov_b32 s1, s4
	s_and_saveexec_b32 s9, s2
	s_cbranch_execz .LBB234_2013
.LBB234_2738:
	s_or_b32 s1, s4, exec_lo
	s_and_not1_b32 s8, s8, exec_lo
	s_trap 2
	s_or_b32 exec_lo, exec_lo, s9
	s_and_saveexec_b32 s2, s8
	s_delay_alu instid0(SALU_CYCLE_1)
	s_xor_b32 s2, exec_lo, s2
	s_cbranch_execnz .LBB234_2014
	s_branch .LBB234_2015
.LBB234_2739:
	s_or_saveexec_b32 s8, s8
	v_mov_b32_e32 v5, 0x7f800001
	s_xor_b32 exec_lo, exec_lo, s8
	s_cbranch_execz .LBB234_2484
.LBB234_2740:
	v_cmp_ne_u16_e32 vcc_lo, 0, v10
	v_mov_b32_e32 v5, 0
	s_and_not1_b32 s7, s7, exec_lo
	s_and_b32 s9, vcc_lo, exec_lo
	s_delay_alu instid0(SALU_CYCLE_1)
	s_or_b32 s7, s7, s9
	s_or_b32 exec_lo, exec_lo, s8
	s_and_saveexec_b32 s8, s7
	s_cbranch_execnz .LBB234_2485
	s_branch .LBB234_2486
.LBB234_2741:
	s_and_not1_saveexec_b32 s10, s0
	s_cbranch_execz .LBB234_256
.LBB234_2742:
	v_add_f32_e32 v2, 0x42800000, v3
	s_and_not1_b32 s9, s9, exec_lo
	s_delay_alu instid0(VALU_DEP_1) | instskip(NEXT) | instid1(VALU_DEP_1)
	v_and_b32_e32 v2, 0xff, v2
	v_cmp_ne_u32_e64 s0, 0, v2
	s_and_b32 s0, s0, exec_lo
	s_delay_alu instid0(SALU_CYCLE_1)
	s_or_b32 s9, s9, s0
	s_or_b32 exec_lo, exec_lo, s10
	v_mov_b32_e32 v4, 0
	s_and_saveexec_b32 s0, s9
	s_cbranch_execnz .LBB234_257
	s_branch .LBB234_258
.LBB234_2743:
	s_and_not1_saveexec_b32 s10, s10
	s_cbranch_execz .LBB234_342
.LBB234_2744:
	v_add_f32_e32 v2, 0x46000000, v3
	s_and_not1_b32 s9, s9, exec_lo
	s_delay_alu instid0(VALU_DEP_1) | instskip(NEXT) | instid1(VALU_DEP_1)
	v_and_b32_e32 v2, 0xff, v2
	v_cmp_ne_u32_e32 vcc_lo, 0, v2
	s_and_b32 s11, vcc_lo, exec_lo
	s_delay_alu instid0(SALU_CYCLE_1)
	s_or_b32 s9, s9, s11
	s_or_b32 exec_lo, exec_lo, s10
	v_mov_b32_e32 v5, 0
	s_and_saveexec_b32 s10, s9
	s_cbranch_execnz .LBB234_343
	s_branch .LBB234_344
.LBB234_2745:
	s_or_saveexec_b32 s8, s8
	v_mov_b32_e32 v3, 0x7f800001
	s_xor_b32 exec_lo, exec_lo, s8
	s_cbranch_execz .LBB234_1735
.LBB234_2746:
	v_cmp_ne_u16_e32 vcc_lo, 0, v4
	v_mov_b32_e32 v3, 0
	s_and_not1_b32 s7, s7, exec_lo
	s_and_b32 s9, vcc_lo, exec_lo
	s_delay_alu instid0(SALU_CYCLE_1)
	s_or_b32 s7, s7, s9
	s_or_b32 exec_lo, exec_lo, s8
	s_and_saveexec_b32 s8, s7
	s_cbranch_execnz .LBB234_1736
	s_branch .LBB234_1737
.LBB234_2747:
	s_and_not1_saveexec_b32 s10, s10
	s_cbranch_execz .LBB234_2096
.LBB234_2748:
	s_mov_b32 s11, s8
	s_mov_b32 s9, exec_lo
	v_cmpx_lt_i16_e32 22, v2
	s_xor_b32 s9, exec_lo, s9
	s_cbranch_execz .LBB234_2780
; %bb.2749:
	s_mov_b32 s11, exec_lo
	v_cmpx_lt_i16_e32 23, v2
	s_xor_b32 s11, exec_lo, s11
	s_cbranch_execz .LBB234_2769
; %bb.2750:
	s_mov_b32 s12, exec_lo
	v_cmpx_lt_i16_e32 24, v2
	s_xor_b32 s12, exec_lo, s12
	s_cbranch_execz .LBB234_2758
; %bb.2751:
	v_cndmask_b32_e64 v3, 0, 1.0, vcc_lo
	v_mov_b32_e32 v4, 0x80
	s_mov_b32 s13, exec_lo
	s_delay_alu instid0(VALU_DEP_2)
	v_cmpx_gt_u32_e32 0x47800000, v3
	s_cbranch_execz .LBB234_2757
; %bb.2752:
	v_cmp_lt_u32_e64 s0, 0x37ffffff, v3
	s_mov_b32 s28, 0
                                        ; implicit-def: $vgpr2
	s_and_saveexec_b32 s29, s0
	s_delay_alu instid0(SALU_CYCLE_1)
	s_xor_b32 s0, exec_lo, s29
	s_cbranch_execz .LBB234_2851
; %bb.2753:
	v_bfe_u32 v2, v3, 21, 1
	s_mov_b32 s28, exec_lo
	s_delay_alu instid0(VALU_DEP_1) | instskip(NEXT) | instid1(VALU_DEP_1)
	v_add3_u32 v2, v3, v2, 0x88fffff
                                        ; implicit-def: $vgpr3
	v_lshrrev_b32_e32 v2, 21, v2
	s_and_not1_saveexec_b32 s29, s0
	s_cbranch_execnz .LBB234_2852
.LBB234_2754:
	s_or_b32 exec_lo, exec_lo, s29
	v_mov_b32_e32 v4, 0
	s_and_saveexec_b32 s0, s28
.LBB234_2755:
	v_mov_b32_e32 v4, v2
.LBB234_2756:
	s_or_b32 exec_lo, exec_lo, s0
.LBB234_2757:
	s_delay_alu instid0(SALU_CYCLE_1)
	s_or_b32 exec_lo, exec_lo, s13
	flat_store_b8 v[0:1], v4
.LBB234_2758:
	s_wait_xcnt 0x0
	s_and_not1_saveexec_b32 s12, s12
	s_cbranch_execz .LBB234_2768
; %bb.2759:
	v_cndmask_b32_e64 v3, 0, 1.0, vcc_lo
	s_mov_b32 s13, exec_lo
                                        ; implicit-def: $vgpr2
	s_delay_alu instid0(VALU_DEP_1)
	v_cmpx_gt_u32_e32 0x43f00000, v3
	s_xor_b32 s13, exec_lo, s13
	s_cbranch_execz .LBB234_2765
; %bb.2760:
	s_mov_b32 s28, exec_lo
                                        ; implicit-def: $vgpr2
	v_cmpx_lt_u32_e32 0x3c7fffff, v3
	s_xor_b32 s28, exec_lo, s28
; %bb.2761:
	v_bfe_u32 v2, v3, 20, 1
	s_delay_alu instid0(VALU_DEP_1) | instskip(NEXT) | instid1(VALU_DEP_1)
	v_add3_u32 v2, v3, v2, 0x407ffff
	v_and_b32_e32 v3, 0xff00000, v2
	v_lshrrev_b32_e32 v2, 20, v2
	s_delay_alu instid0(VALU_DEP_2) | instskip(NEXT) | instid1(VALU_DEP_1)
	v_cmp_ne_u32_e64 s0, 0x7f00000, v3
                                        ; implicit-def: $vgpr3
	v_cndmask_b32_e64 v2, 0x7e, v2, s0
; %bb.2762:
	s_and_not1_saveexec_b32 s0, s28
; %bb.2763:
	v_add_f32_e32 v2, 0x46800000, v3
; %bb.2764:
	s_or_b32 exec_lo, exec_lo, s0
                                        ; implicit-def: $vgpr3
.LBB234_2765:
	s_and_not1_saveexec_b32 s13, s13
; %bb.2766:
	v_mov_b32_e32 v2, 0x7f
	v_cmp_lt_u32_e64 s0, 0x7f800000, v3
	s_delay_alu instid0(VALU_DEP_1)
	v_cndmask_b32_e64 v2, 0x7e, v2, s0
; %bb.2767:
	s_or_b32 exec_lo, exec_lo, s13
	flat_store_b8 v[0:1], v2
.LBB234_2768:
	s_wait_xcnt 0x0
	s_or_b32 exec_lo, exec_lo, s12
.LBB234_2769:
	s_and_not1_saveexec_b32 s11, s11
	s_cbranch_execz .LBB234_2779
; %bb.2770:
	v_cndmask_b32_e64 v3, 0, 1.0, vcc_lo
	s_mov_b32 s12, exec_lo
                                        ; implicit-def: $vgpr2
	s_delay_alu instid0(VALU_DEP_1)
	v_cmpx_gt_u32_e32 0x47800000, v3
	s_xor_b32 s12, exec_lo, s12
	s_cbranch_execz .LBB234_2776
; %bb.2771:
	v_cmp_lt_u32_e64 s0, 0x387fffff, v3
                                        ; implicit-def: $vgpr2
	s_and_saveexec_b32 s13, s0
	s_delay_alu instid0(SALU_CYCLE_1)
	s_xor_b32 s0, exec_lo, s13
; %bb.2772:
	v_bfe_u32 v2, v3, 21, 1
	s_delay_alu instid0(VALU_DEP_1) | instskip(NEXT) | instid1(VALU_DEP_1)
	v_add3_u32 v2, v3, v2, 0x80fffff
                                        ; implicit-def: $vgpr3
	v_lshrrev_b32_e32 v2, 21, v2
; %bb.2773:
	s_and_not1_saveexec_b32 s0, s0
; %bb.2774:
	v_add_f32_e32 v2, 0x43000000, v3
; %bb.2775:
	s_or_b32 exec_lo, exec_lo, s0
                                        ; implicit-def: $vgpr3
.LBB234_2776:
	s_and_not1_saveexec_b32 s12, s12
; %bb.2777:
	v_mov_b32_e32 v2, 0x7f
	v_cmp_lt_u32_e64 s0, 0x7f800000, v3
	s_delay_alu instid0(VALU_DEP_1)
	v_cndmask_b32_e64 v2, 0x7c, v2, s0
; %bb.2778:
	s_or_b32 exec_lo, exec_lo, s12
	flat_store_b8 v[0:1], v2
.LBB234_2779:
	s_wait_xcnt 0x0
	s_or_b32 exec_lo, exec_lo, s11
	s_delay_alu instid0(SALU_CYCLE_1)
	s_or_b32 s11, s8, exec_lo
                                        ; implicit-def: $vgpr2
.LBB234_2780:
	s_or_saveexec_b32 s9, s9
	s_mov_b32 s0, 0
	s_mov_b32 s12, s1
	s_xor_b32 exec_lo, exec_lo, s9
	s_cbranch_execz .LBB234_2788
; %bb.2781:
	s_mov_b32 s12, s1
	s_mov_b32 s13, s11
	s_mov_b32 s28, exec_lo
	v_cmpx_lt_i16_e32 14, v2
	s_xor_b32 s28, exec_lo, s28
	s_cbranch_execz .LBB234_2785
; %bb.2782:
	s_mov_b32 s12, -1
	s_mov_b32 s29, s11
	s_mov_b32 s13, exec_lo
	v_cmpx_eq_u16_e32 15, v2
	s_cbranch_execz .LBB234_2784
; %bb.2783:
	v_cndmask_b32_e64 v2, 0, 1.0, vcc_lo
	s_or_b32 s29, s11, exec_lo
	s_xor_b32 s12, exec_lo, -1
	s_delay_alu instid0(VALU_DEP_1) | instskip(NEXT) | instid1(VALU_DEP_1)
	v_bfe_u32 v3, v2, 16, 1
	v_add3_u32 v2, v2, v3, 0x7fff
	flat_store_d16_hi_b16 v[0:1], v2
.LBB234_2784:
	s_wait_xcnt 0x0
	s_or_b32 exec_lo, exec_lo, s13
	s_delay_alu instid0(SALU_CYCLE_1)
	s_and_not1_b32 s0, s11, exec_lo
	s_and_b32 s13, s29, exec_lo
	s_and_not1_b32 s29, s1, exec_lo
	s_and_b32 s12, s12, exec_lo
	s_or_b32 s13, s0, s13
	s_or_b32 s12, s29, s12
                                        ; implicit-def: $vgpr2
.LBB234_2785:
	s_or_saveexec_b32 s29, s28
	s_mov_b32 s28, 0
	s_xor_b32 exec_lo, exec_lo, s29
; %bb.2786:
	v_cmp_ne_u16_e64 s0, 11, v2
	s_and_not1_b32 s12, s12, exec_lo
	s_mov_b32 s28, exec_lo
	s_and_b32 s0, s0, exec_lo
	s_delay_alu instid0(SALU_CYCLE_1)
	s_or_b32 s12, s12, s0
; %bb.2787:
	s_or_b32 exec_lo, exec_lo, s29
	s_delay_alu instid0(SALU_CYCLE_1)
	s_and_not1_b32 s0, s11, exec_lo
	s_and_b32 s11, s13, exec_lo
	s_and_not1_b32 s13, s1, exec_lo
	s_and_b32 s12, s12, exec_lo
	s_or_b32 s11, s0, s11
	s_and_b32 s0, s28, exec_lo
	s_or_b32 s12, s13, s12
.LBB234_2788:
	s_or_b32 exec_lo, exec_lo, s9
	s_delay_alu instid0(SALU_CYCLE_1)
	s_and_not1_b32 s8, s8, exec_lo
	s_and_b32 s9, s11, exec_lo
	s_and_not1_b32 s1, s1, exec_lo
	s_and_b32 s11, s12, exec_lo
	s_or_b32 s8, s8, s9
	s_and_b32 s9, s0, exec_lo
	s_or_b32 s1, s1, s11
	s_or_b32 exec_lo, exec_lo, s10
	s_mov_b32 s0, s2
	s_and_saveexec_b32 s10, s1
	s_cbranch_execz .LBB234_2097
.LBB234_2789:
	s_or_b32 s0, s2, exec_lo
	s_and_not1_b32 s9, s9, exec_lo
	s_trap 2
	s_or_b32 exec_lo, exec_lo, s10
	s_and_saveexec_b32 s1, s9
	s_delay_alu instid0(SALU_CYCLE_1)
	s_xor_b32 s1, exec_lo, s1
	s_cbranch_execnz .LBB234_2098
	s_branch .LBB234_2099
.LBB234_2790:
	s_or_saveexec_b32 s8, s8
	v_mov_b32_e32 v1, 0x7f800001
	s_xor_b32 exec_lo, exec_lo, s8
	s_cbranch_execz .LBB234_2537
.LBB234_2791:
	v_cmp_ne_u16_e32 vcc_lo, 0, v8
	v_mov_b32_e32 v1, 0
	s_and_not1_b32 s7, s7, exec_lo
	s_and_b32 s9, vcc_lo, exec_lo
	s_delay_alu instid0(SALU_CYCLE_1)
	s_or_b32 s7, s7, s9
	s_or_b32 exec_lo, exec_lo, s8
	s_and_saveexec_b32 s8, s7
	s_cbranch_execnz .LBB234_2538
	s_branch .LBB234_2539
.LBB234_2792:
	s_and_not1_saveexec_b32 s10, s10
	s_cbranch_execz .LBB234_355
.LBB234_2793:
	v_add_f32_e32 v2, 0x42800000, v3
	s_and_not1_b32 s9, s9, exec_lo
	s_delay_alu instid0(VALU_DEP_1) | instskip(NEXT) | instid1(VALU_DEP_1)
	v_and_b32_e32 v2, 0xff, v2
	v_cmp_ne_u32_e32 vcc_lo, 0, v2
	s_and_b32 s11, vcc_lo, exec_lo
	s_delay_alu instid0(SALU_CYCLE_1)
	s_or_b32 s9, s9, s11
	s_or_b32 exec_lo, exec_lo, s10
	v_mov_b32_e32 v5, 0
	s_and_saveexec_b32 s10, s9
	s_cbranch_execnz .LBB234_356
	s_branch .LBB234_357
.LBB234_2794:
	s_and_not1_saveexec_b32 s11, s11
	s_cbranch_execz .LBB234_2180
.LBB234_2795:
	s_mov_b32 s12, s0
	s_mov_b32 s10, exec_lo
	v_cmpx_lt_i16_e32 22, v5
	s_xor_b32 s10, exec_lo, s10
	s_cbranch_execz .LBB234_2827
; %bb.2796:
	s_mov_b32 s12, exec_lo
	v_cmpx_lt_i16_e32 23, v5
	s_xor_b32 s12, exec_lo, s12
	s_cbranch_execz .LBB234_2816
; %bb.2797:
	;; [unrolled: 5-line block ×3, first 2 shown]
	v_cndmask_b32_e64 v1, 0, 1.0, s3
	v_mov_b32_e32 v2, 0x80
	s_mov_b32 s28, exec_lo
	s_delay_alu instid0(VALU_DEP_2)
	v_cmpx_gt_u32_e32 0x47800000, v1
	s_cbranch_execz .LBB234_2804
; %bb.2799:
	s_mov_b32 s29, 0
	s_mov_b32 s30, exec_lo
                                        ; implicit-def: $vgpr0
	v_cmpx_lt_u32_e32 0x37ffffff, v1
	s_xor_b32 s30, exec_lo, s30
	s_cbranch_execz .LBB234_2853
; %bb.2800:
	v_bfe_u32 v0, v1, 21, 1
	s_mov_b32 s29, exec_lo
	s_delay_alu instid0(VALU_DEP_1) | instskip(NEXT) | instid1(VALU_DEP_1)
	v_add3_u32 v0, v1, v0, 0x88fffff
                                        ; implicit-def: $vgpr1
	v_lshrrev_b32_e32 v0, 21, v0
	s_and_not1_saveexec_b32 s30, s30
	s_cbranch_execnz .LBB234_2854
.LBB234_2801:
	s_or_b32 exec_lo, exec_lo, s30
	v_mov_b32_e32 v2, 0
	s_and_saveexec_b32 s30, s29
.LBB234_2802:
	v_mov_b32_e32 v2, v0
.LBB234_2803:
	s_or_b32 exec_lo, exec_lo, s30
.LBB234_2804:
	s_delay_alu instid0(SALU_CYCLE_1)
	s_or_b32 exec_lo, exec_lo, s28
	flat_store_b8 v[22:23], v2
.LBB234_2805:
	s_wait_xcnt 0x0
	s_and_not1_saveexec_b32 s13, s13
	s_cbranch_execz .LBB234_2815
; %bb.2806:
	v_cndmask_b32_e64 v1, 0, 1.0, s3
	s_mov_b32 s28, exec_lo
                                        ; implicit-def: $vgpr0
	s_delay_alu instid0(VALU_DEP_1)
	v_cmpx_gt_u32_e32 0x43f00000, v1
	s_xor_b32 s28, exec_lo, s28
	s_cbranch_execz .LBB234_2812
; %bb.2807:
	s_mov_b32 s29, exec_lo
                                        ; implicit-def: $vgpr0
	v_cmpx_lt_u32_e32 0x3c7fffff, v1
	s_xor_b32 s29, exec_lo, s29
; %bb.2808:
	v_bfe_u32 v0, v1, 20, 1
	s_delay_alu instid0(VALU_DEP_1) | instskip(NEXT) | instid1(VALU_DEP_1)
	v_add3_u32 v0, v1, v0, 0x407ffff
	v_and_b32_e32 v1, 0xff00000, v0
	v_lshrrev_b32_e32 v0, 20, v0
	s_delay_alu instid0(VALU_DEP_2) | instskip(NEXT) | instid1(VALU_DEP_2)
	v_cmp_ne_u32_e32 vcc_lo, 0x7f00000, v1
                                        ; implicit-def: $vgpr1
	v_cndmask_b32_e32 v0, 0x7e, v0, vcc_lo
; %bb.2809:
	s_and_not1_saveexec_b32 s29, s29
; %bb.2810:
	v_add_f32_e32 v0, 0x46800000, v1
; %bb.2811:
	s_or_b32 exec_lo, exec_lo, s29
                                        ; implicit-def: $vgpr1
.LBB234_2812:
	s_and_not1_saveexec_b32 s28, s28
; %bb.2813:
	v_mov_b32_e32 v0, 0x7f
	v_cmp_lt_u32_e32 vcc_lo, 0x7f800000, v1
	s_delay_alu instid0(VALU_DEP_2)
	v_cndmask_b32_e32 v0, 0x7e, v0, vcc_lo
; %bb.2814:
	s_or_b32 exec_lo, exec_lo, s28
	flat_store_b8 v[22:23], v0
.LBB234_2815:
	s_wait_xcnt 0x0
	s_or_b32 exec_lo, exec_lo, s13
.LBB234_2816:
	s_and_not1_saveexec_b32 s12, s12
	s_cbranch_execz .LBB234_2826
; %bb.2817:
	v_cndmask_b32_e64 v1, 0, 1.0, s3
	s_mov_b32 s13, exec_lo
                                        ; implicit-def: $vgpr0
	s_delay_alu instid0(VALU_DEP_1)
	v_cmpx_gt_u32_e32 0x47800000, v1
	s_xor_b32 s13, exec_lo, s13
	s_cbranch_execz .LBB234_2823
; %bb.2818:
	s_mov_b32 s28, exec_lo
                                        ; implicit-def: $vgpr0
	v_cmpx_lt_u32_e32 0x387fffff, v1
	s_xor_b32 s28, exec_lo, s28
; %bb.2819:
	v_bfe_u32 v0, v1, 21, 1
	s_delay_alu instid0(VALU_DEP_1) | instskip(NEXT) | instid1(VALU_DEP_1)
	v_add3_u32 v0, v1, v0, 0x80fffff
                                        ; implicit-def: $vgpr1
	v_lshrrev_b32_e32 v0, 21, v0
; %bb.2820:
	s_and_not1_saveexec_b32 s28, s28
; %bb.2821:
	v_add_f32_e32 v0, 0x43000000, v1
; %bb.2822:
	s_or_b32 exec_lo, exec_lo, s28
                                        ; implicit-def: $vgpr1
.LBB234_2823:
	s_and_not1_saveexec_b32 s13, s13
; %bb.2824:
	v_mov_b32_e32 v0, 0x7f
	v_cmp_lt_u32_e32 vcc_lo, 0x7f800000, v1
	s_delay_alu instid0(VALU_DEP_2)
	v_cndmask_b32_e32 v0, 0x7c, v0, vcc_lo
; %bb.2825:
	s_or_b32 exec_lo, exec_lo, s13
	flat_store_b8 v[22:23], v0
.LBB234_2826:
	s_wait_xcnt 0x0
	s_or_b32 exec_lo, exec_lo, s12
	s_delay_alu instid0(SALU_CYCLE_1)
	s_or_b32 s12, s0, exec_lo
.LBB234_2827:
	s_or_saveexec_b32 s10, s10
	s_mov_b32 s13, 0
	s_mov_b32 s28, s9
	s_xor_b32 exec_lo, exec_lo, s10
	s_cbranch_execz .LBB234_2835
; %bb.2828:
	s_mov_b32 s13, s9
	s_mov_b32 s29, s12
	s_mov_b32 s28, exec_lo
	v_cmpx_lt_i16_e32 14, v5
	s_xor_b32 s28, exec_lo, s28
	s_cbranch_execz .LBB234_2832
; %bb.2829:
	s_mov_b32 s13, -1
	s_mov_b32 s30, s12
	s_mov_b32 s29, exec_lo
	v_cmpx_eq_u16_e32 15, v5
	s_cbranch_execz .LBB234_2831
; %bb.2830:
	v_cndmask_b32_e64 v0, 0, 1.0, s3
	s_or_b32 s30, s12, exec_lo
	s_xor_b32 s13, exec_lo, -1
	s_delay_alu instid0(VALU_DEP_1) | instskip(NEXT) | instid1(VALU_DEP_1)
	v_bfe_u32 v1, v0, 16, 1
	v_add3_u32 v0, v0, v1, 0x7fff
	flat_store_d16_hi_b16 v[22:23], v0
.LBB234_2831:
	s_wait_xcnt 0x0
	s_or_b32 exec_lo, exec_lo, s29
	s_delay_alu instid0(SALU_CYCLE_1)
	s_and_not1_b32 s29, s12, exec_lo
	s_and_b32 s30, s30, exec_lo
	s_and_not1_b32 s31, s9, exec_lo
	s_and_b32 s13, s13, exec_lo
	s_or_b32 s29, s29, s30
	s_or_b32 s13, s31, s13
.LBB234_2832:
	s_or_saveexec_b32 s30, s28
	s_mov_b32 s28, 0
	s_xor_b32 exec_lo, exec_lo, s30
; %bb.2833:
	v_cmp_ne_u16_e32 vcc_lo, 11, v5
	s_and_not1_b32 s13, s13, exec_lo
	s_mov_b32 s28, exec_lo
	s_and_b32 s31, vcc_lo, exec_lo
	s_delay_alu instid0(SALU_CYCLE_1)
	s_or_b32 s13, s13, s31
; %bb.2834:
	s_or_b32 exec_lo, exec_lo, s30
	s_delay_alu instid0(SALU_CYCLE_1)
	s_and_not1_b32 s12, s12, exec_lo
	s_and_b32 s29, s29, exec_lo
	s_and_b32 s30, s13, exec_lo
	s_or_b32 s12, s12, s29
	s_and_not1_b32 s29, s9, exec_lo
	s_and_b32 s13, s28, exec_lo
	s_or_b32 s28, s29, s30
.LBB234_2835:
	s_or_b32 exec_lo, exec_lo, s10
	s_delay_alu instid0(SALU_CYCLE_1)
	s_and_not1_b32 s0, s0, exec_lo
	s_and_b32 s10, s12, exec_lo
	s_and_not1_b32 s9, s9, exec_lo
	s_and_b32 s12, s28, exec_lo
	s_or_b32 s0, s0, s10
	s_and_b32 s10, s13, exec_lo
	s_or_b32 s9, s9, s12
	s_or_b32 exec_lo, exec_lo, s11
	s_mov_b32 s11, s1
	s_and_saveexec_b32 s12, s9
	s_cbranch_execz .LBB234_2181
.LBB234_2836:
	s_and_not1_b32 s10, s10, exec_lo
	s_or_b32 s11, s1, exec_lo
	s_trap 2
	s_branch .LBB234_2181
.LBB234_2837:
	s_or_saveexec_b32 s8, s8
	v_mov_b32_e32 v3, 0x7f800001
	s_xor_b32 exec_lo, exec_lo, s8
	s_cbranch_execz .LBB234_2594
.LBB234_2838:
	v_cmp_ne_u16_e32 vcc_lo, 0, v4
	v_mov_b32_e32 v3, 0
	s_and_not1_b32 s7, s7, exec_lo
	s_and_b32 s9, vcc_lo, exec_lo
	s_delay_alu instid0(SALU_CYCLE_1)
	s_or_b32 s7, s7, s9
	s_or_b32 exec_lo, exec_lo, s8
	s_and_saveexec_b32 s8, s7
	s_cbranch_execnz .LBB234_2595
	s_branch .LBB234_2596
.LBB234_2839:
	s_and_not1_saveexec_b32 s12, s1
	s_cbranch_execz .LBB234_1922
.LBB234_2840:
	v_add_f32_e32 v2, 0x46000000, v3
	s_and_not1_b32 s11, s11, exec_lo
	s_delay_alu instid0(VALU_DEP_1) | instskip(NEXT) | instid1(VALU_DEP_1)
	v_and_b32_e32 v2, 0xff, v2
	v_cmp_ne_u32_e64 s1, 0, v2
	s_and_b32 s1, s1, exec_lo
	s_delay_alu instid0(SALU_CYCLE_1)
	s_or_b32 s11, s11, s1
	s_or_b32 exec_lo, exec_lo, s12
	v_mov_b32_e32 v4, 0
	s_and_saveexec_b32 s1, s11
	s_cbranch_execnz .LBB234_1923
	s_branch .LBB234_1924
.LBB234_2841:
	s_and_not1_saveexec_b32 s28, s1
	s_cbranch_execz .LBB234_2006
.LBB234_2842:
	v_add_f32_e32 v2, 0x46000000, v3
	s_and_not1_b32 s13, s13, exec_lo
	s_delay_alu instid0(VALU_DEP_1) | instskip(NEXT) | instid1(VALU_DEP_1)
	v_and_b32_e32 v2, 0xff, v2
	v_cmp_ne_u32_e64 s1, 0, v2
	s_and_b32 s1, s1, exec_lo
	s_delay_alu instid0(SALU_CYCLE_1)
	s_or_b32 s13, s13, s1
	s_or_b32 exec_lo, exec_lo, s28
	v_mov_b32_e32 v4, 0
	s_and_saveexec_b32 s1, s13
	s_cbranch_execnz .LBB234_2007
	s_branch .LBB234_2008
.LBB234_2843:
	s_and_not1_saveexec_b32 s12, s1
	s_cbranch_execz .LBB234_2652
.LBB234_2844:
	v_add_f32_e32 v2, 0x42800000, v3
	s_and_not1_b32 s11, s11, exec_lo
	s_delay_alu instid0(VALU_DEP_1) | instskip(NEXT) | instid1(VALU_DEP_1)
	v_and_b32_e32 v2, 0xff, v2
	v_cmp_ne_u32_e64 s1, 0, v2
	s_and_b32 s1, s1, exec_lo
	s_delay_alu instid0(SALU_CYCLE_1)
	s_or_b32 s11, s11, s1
	s_or_b32 exec_lo, exec_lo, s12
	v_mov_b32_e32 v4, 0
	s_and_saveexec_b32 s1, s11
	s_cbranch_execnz .LBB234_2653
	s_branch .LBB234_2654
.LBB234_2845:
	s_and_not1_saveexec_b32 s29, s0
	s_cbranch_execz .LBB234_2090
.LBB234_2846:
	v_add_f32_e32 v2, 0x46000000, v3
	s_and_not1_b32 s28, s28, exec_lo
	s_delay_alu instid0(VALU_DEP_1) | instskip(NEXT) | instid1(VALU_DEP_1)
	v_and_b32_e32 v2, 0xff, v2
	v_cmp_ne_u32_e64 s0, 0, v2
	s_and_b32 s0, s0, exec_lo
	s_delay_alu instid0(SALU_CYCLE_1)
	s_or_b32 s28, s28, s0
	s_or_b32 exec_lo, exec_lo, s29
	v_mov_b32_e32 v4, 0
	s_and_saveexec_b32 s0, s28
	s_cbranch_execnz .LBB234_2091
	s_branch .LBB234_2092
.LBB234_2847:
	s_and_not1_saveexec_b32 s28, s1
	s_cbranch_execz .LBB234_2703
.LBB234_2848:
	v_add_f32_e32 v2, 0x42800000, v3
	s_and_not1_b32 s13, s13, exec_lo
	s_delay_alu instid0(VALU_DEP_1) | instskip(NEXT) | instid1(VALU_DEP_1)
	v_and_b32_e32 v2, 0xff, v2
	v_cmp_ne_u32_e64 s1, 0, v2
	s_and_b32 s1, s1, exec_lo
	s_delay_alu instid0(SALU_CYCLE_1)
	s_or_b32 s13, s13, s1
	s_or_b32 exec_lo, exec_lo, s28
	v_mov_b32_e32 v4, 0
	s_and_saveexec_b32 s1, s13
	s_cbranch_execnz .LBB234_2704
	s_branch .LBB234_2705
.LBB234_2849:
	s_and_not1_saveexec_b32 s30, s30
	s_cbranch_execz .LBB234_2174
.LBB234_2850:
	v_add_f32_e32 v0, 0x46000000, v1
	s_and_not1_b32 s29, s29, exec_lo
	s_delay_alu instid0(VALU_DEP_1) | instskip(NEXT) | instid1(VALU_DEP_1)
	v_and_b32_e32 v0, 0xff, v0
	v_cmp_ne_u32_e32 vcc_lo, 0, v0
	s_and_b32 s31, vcc_lo, exec_lo
	s_delay_alu instid0(SALU_CYCLE_1)
	s_or_b32 s29, s29, s31
	s_or_b32 exec_lo, exec_lo, s30
	v_mov_b32_e32 v2, 0
	s_and_saveexec_b32 s30, s29
	s_cbranch_execnz .LBB234_2175
	s_branch .LBB234_2176
.LBB234_2851:
	s_and_not1_saveexec_b32 s29, s0
	s_cbranch_execz .LBB234_2754
.LBB234_2852:
	v_add_f32_e32 v2, 0x42800000, v3
	s_and_not1_b32 s28, s28, exec_lo
	s_delay_alu instid0(VALU_DEP_1) | instskip(NEXT) | instid1(VALU_DEP_1)
	v_and_b32_e32 v2, 0xff, v2
	v_cmp_ne_u32_e64 s0, 0, v2
	s_and_b32 s0, s0, exec_lo
	s_delay_alu instid0(SALU_CYCLE_1)
	s_or_b32 s28, s28, s0
	s_or_b32 exec_lo, exec_lo, s29
	v_mov_b32_e32 v4, 0
	s_and_saveexec_b32 s0, s28
	s_cbranch_execnz .LBB234_2755
	s_branch .LBB234_2756
.LBB234_2853:
	s_and_not1_saveexec_b32 s30, s30
	s_cbranch_execz .LBB234_2801
.LBB234_2854:
	v_add_f32_e32 v0, 0x42800000, v1
	s_and_not1_b32 s29, s29, exec_lo
	s_delay_alu instid0(VALU_DEP_1) | instskip(NEXT) | instid1(VALU_DEP_1)
	v_and_b32_e32 v0, 0xff, v0
	v_cmp_ne_u32_e32 vcc_lo, 0, v0
	s_and_b32 s31, vcc_lo, exec_lo
	s_delay_alu instid0(SALU_CYCLE_1)
	s_or_b32 s29, s29, s31
	s_or_b32 exec_lo, exec_lo, s30
	v_mov_b32_e32 v2, 0
	s_and_saveexec_b32 s30, s29
	s_cbranch_execnz .LBB234_2802
	s_branch .LBB234_2803
	.section	.rodata,"a",@progbits
	.p2align	6, 0x0
	.amdhsa_kernel _ZN2at6native32elementwise_kernel_manual_unrollILi128ELi4EZNS0_15gpu_kernel_implINS0_13BinaryFunctorIN3c1011Float8_e5m2ES5_bNS0_12_GLOBAL__N_116CompareEqFunctorIS5_EEEEEEvRNS_18TensorIteratorBaseERKT_EUlibE0_EEviT1_
		.amdhsa_group_segment_fixed_size 0
		.amdhsa_private_segment_fixed_size 464
		.amdhsa_kernarg_size 432
		.amdhsa_user_sgpr_count 2
		.amdhsa_user_sgpr_dispatch_ptr 0
		.amdhsa_user_sgpr_queue_ptr 0
		.amdhsa_user_sgpr_kernarg_segment_ptr 1
		.amdhsa_user_sgpr_dispatch_id 0
		.amdhsa_user_sgpr_kernarg_preload_length 0
		.amdhsa_user_sgpr_kernarg_preload_offset 0
		.amdhsa_user_sgpr_private_segment_size 0
		.amdhsa_wavefront_size32 1
		.amdhsa_uses_dynamic_stack 0
		.amdhsa_enable_private_segment 1
		.amdhsa_system_sgpr_workgroup_id_x 1
		.amdhsa_system_sgpr_workgroup_id_y 0
		.amdhsa_system_sgpr_workgroup_id_z 0
		.amdhsa_system_sgpr_workgroup_info 0
		.amdhsa_system_vgpr_workitem_id 0
		.amdhsa_next_free_vgpr 37
		.amdhsa_next_free_sgpr 96
		.amdhsa_named_barrier_count 0
		.amdhsa_reserve_vcc 1
		.amdhsa_float_round_mode_32 0
		.amdhsa_float_round_mode_16_64 0
		.amdhsa_float_denorm_mode_32 3
		.amdhsa_float_denorm_mode_16_64 3
		.amdhsa_fp16_overflow 0
		.amdhsa_memory_ordered 1
		.amdhsa_forward_progress 1
		.amdhsa_inst_pref_size 255
		.amdhsa_round_robin_scheduling 0
		.amdhsa_exception_fp_ieee_invalid_op 0
		.amdhsa_exception_fp_denorm_src 0
		.amdhsa_exception_fp_ieee_div_zero 0
		.amdhsa_exception_fp_ieee_overflow 0
		.amdhsa_exception_fp_ieee_underflow 0
		.amdhsa_exception_fp_ieee_inexact 0
		.amdhsa_exception_int_div_zero 0
	.end_amdhsa_kernel
	.section	.text._ZN2at6native32elementwise_kernel_manual_unrollILi128ELi4EZNS0_15gpu_kernel_implINS0_13BinaryFunctorIN3c1011Float8_e5m2ES5_bNS0_12_GLOBAL__N_116CompareEqFunctorIS5_EEEEEEvRNS_18TensorIteratorBaseERKT_EUlibE0_EEviT1_,"axG",@progbits,_ZN2at6native32elementwise_kernel_manual_unrollILi128ELi4EZNS0_15gpu_kernel_implINS0_13BinaryFunctorIN3c1011Float8_e5m2ES5_bNS0_12_GLOBAL__N_116CompareEqFunctorIS5_EEEEEEvRNS_18TensorIteratorBaseERKT_EUlibE0_EEviT1_,comdat
.Lfunc_end234:
	.size	_ZN2at6native32elementwise_kernel_manual_unrollILi128ELi4EZNS0_15gpu_kernel_implINS0_13BinaryFunctorIN3c1011Float8_e5m2ES5_bNS0_12_GLOBAL__N_116CompareEqFunctorIS5_EEEEEEvRNS_18TensorIteratorBaseERKT_EUlibE0_EEviT1_, .Lfunc_end234-_ZN2at6native32elementwise_kernel_manual_unrollILi128ELi4EZNS0_15gpu_kernel_implINS0_13BinaryFunctorIN3c1011Float8_e5m2ES5_bNS0_12_GLOBAL__N_116CompareEqFunctorIS5_EEEEEEvRNS_18TensorIteratorBaseERKT_EUlibE0_EEviT1_
                                        ; -- End function
	.set _ZN2at6native32elementwise_kernel_manual_unrollILi128ELi4EZNS0_15gpu_kernel_implINS0_13BinaryFunctorIN3c1011Float8_e5m2ES5_bNS0_12_GLOBAL__N_116CompareEqFunctorIS5_EEEEEEvRNS_18TensorIteratorBaseERKT_EUlibE0_EEviT1_.num_vgpr, max(37, .L_ZN2at6native6invokeINS0_13BinaryFunctorIN3c1011Float8_e5m2ES4_bNS0_12_GLOBAL__N_116CompareEqFunctorIS4_EEEEj15function_traitsIS8_EEENT1_11result_typeERKT_PrKPcPKT0_PKNS3_10ScalarTypeEi.num_vgpr)
	.set _ZN2at6native32elementwise_kernel_manual_unrollILi128ELi4EZNS0_15gpu_kernel_implINS0_13BinaryFunctorIN3c1011Float8_e5m2ES5_bNS0_12_GLOBAL__N_116CompareEqFunctorIS5_EEEEEEvRNS_18TensorIteratorBaseERKT_EUlibE0_EEviT1_.num_agpr, max(0, .L_ZN2at6native6invokeINS0_13BinaryFunctorIN3c1011Float8_e5m2ES4_bNS0_12_GLOBAL__N_116CompareEqFunctorIS4_EEEEj15function_traitsIS8_EEENT1_11result_typeERKT_PrKPcPKT0_PKNS3_10ScalarTypeEi.num_agpr)
	.set _ZN2at6native32elementwise_kernel_manual_unrollILi128ELi4EZNS0_15gpu_kernel_implINS0_13BinaryFunctorIN3c1011Float8_e5m2ES5_bNS0_12_GLOBAL__N_116CompareEqFunctorIS5_EEEEEEvRNS_18TensorIteratorBaseERKT_EUlibE0_EEviT1_.numbered_sgpr, max(96, .L_ZN2at6native6invokeINS0_13BinaryFunctorIN3c1011Float8_e5m2ES4_bNS0_12_GLOBAL__N_116CompareEqFunctorIS4_EEEEj15function_traitsIS8_EEENT1_11result_typeERKT_PrKPcPKT0_PKNS3_10ScalarTypeEi.numbered_sgpr)
	.set _ZN2at6native32elementwise_kernel_manual_unrollILi128ELi4EZNS0_15gpu_kernel_implINS0_13BinaryFunctorIN3c1011Float8_e5m2ES5_bNS0_12_GLOBAL__N_116CompareEqFunctorIS5_EEEEEEvRNS_18TensorIteratorBaseERKT_EUlibE0_EEviT1_.num_named_barrier, max(0, .L_ZN2at6native6invokeINS0_13BinaryFunctorIN3c1011Float8_e5m2ES4_bNS0_12_GLOBAL__N_116CompareEqFunctorIS4_EEEEj15function_traitsIS8_EEENT1_11result_typeERKT_PrKPcPKT0_PKNS3_10ScalarTypeEi.num_named_barrier)
	.set _ZN2at6native32elementwise_kernel_manual_unrollILi128ELi4EZNS0_15gpu_kernel_implINS0_13BinaryFunctorIN3c1011Float8_e5m2ES5_bNS0_12_GLOBAL__N_116CompareEqFunctorIS5_EEEEEEvRNS_18TensorIteratorBaseERKT_EUlibE0_EEviT1_.private_seg_size, 464+max(.L_ZN2at6native6invokeINS0_13BinaryFunctorIN3c1011Float8_e5m2ES4_bNS0_12_GLOBAL__N_116CompareEqFunctorIS4_EEEEj15function_traitsIS8_EEENT1_11result_typeERKT_PrKPcPKT0_PKNS3_10ScalarTypeEi.private_seg_size)
	.set _ZN2at6native32elementwise_kernel_manual_unrollILi128ELi4EZNS0_15gpu_kernel_implINS0_13BinaryFunctorIN3c1011Float8_e5m2ES5_bNS0_12_GLOBAL__N_116CompareEqFunctorIS5_EEEEEEvRNS_18TensorIteratorBaseERKT_EUlibE0_EEviT1_.uses_vcc, or(1, .L_ZN2at6native6invokeINS0_13BinaryFunctorIN3c1011Float8_e5m2ES4_bNS0_12_GLOBAL__N_116CompareEqFunctorIS4_EEEEj15function_traitsIS8_EEENT1_11result_typeERKT_PrKPcPKT0_PKNS3_10ScalarTypeEi.uses_vcc)
	.set _ZN2at6native32elementwise_kernel_manual_unrollILi128ELi4EZNS0_15gpu_kernel_implINS0_13BinaryFunctorIN3c1011Float8_e5m2ES5_bNS0_12_GLOBAL__N_116CompareEqFunctorIS5_EEEEEEvRNS_18TensorIteratorBaseERKT_EUlibE0_EEviT1_.uses_flat_scratch, or(1, .L_ZN2at6native6invokeINS0_13BinaryFunctorIN3c1011Float8_e5m2ES4_bNS0_12_GLOBAL__N_116CompareEqFunctorIS4_EEEEj15function_traitsIS8_EEENT1_11result_typeERKT_PrKPcPKT0_PKNS3_10ScalarTypeEi.uses_flat_scratch)
	.set _ZN2at6native32elementwise_kernel_manual_unrollILi128ELi4EZNS0_15gpu_kernel_implINS0_13BinaryFunctorIN3c1011Float8_e5m2ES5_bNS0_12_GLOBAL__N_116CompareEqFunctorIS5_EEEEEEvRNS_18TensorIteratorBaseERKT_EUlibE0_EEviT1_.has_dyn_sized_stack, or(0, .L_ZN2at6native6invokeINS0_13BinaryFunctorIN3c1011Float8_e5m2ES4_bNS0_12_GLOBAL__N_116CompareEqFunctorIS4_EEEEj15function_traitsIS8_EEENT1_11result_typeERKT_PrKPcPKT0_PKNS3_10ScalarTypeEi.has_dyn_sized_stack)
	.set _ZN2at6native32elementwise_kernel_manual_unrollILi128ELi4EZNS0_15gpu_kernel_implINS0_13BinaryFunctorIN3c1011Float8_e5m2ES5_bNS0_12_GLOBAL__N_116CompareEqFunctorIS5_EEEEEEvRNS_18TensorIteratorBaseERKT_EUlibE0_EEviT1_.has_recursion, or(0, .L_ZN2at6native6invokeINS0_13BinaryFunctorIN3c1011Float8_e5m2ES4_bNS0_12_GLOBAL__N_116CompareEqFunctorIS4_EEEEj15function_traitsIS8_EEENT1_11result_typeERKT_PrKPcPKT0_PKNS3_10ScalarTypeEi.has_recursion)
	.set _ZN2at6native32elementwise_kernel_manual_unrollILi128ELi4EZNS0_15gpu_kernel_implINS0_13BinaryFunctorIN3c1011Float8_e5m2ES5_bNS0_12_GLOBAL__N_116CompareEqFunctorIS5_EEEEEEvRNS_18TensorIteratorBaseERKT_EUlibE0_EEviT1_.has_indirect_call, or(0, .L_ZN2at6native6invokeINS0_13BinaryFunctorIN3c1011Float8_e5m2ES4_bNS0_12_GLOBAL__N_116CompareEqFunctorIS4_EEEEj15function_traitsIS8_EEENT1_11result_typeERKT_PrKPcPKT0_PKNS3_10ScalarTypeEi.has_indirect_call)
	.section	.AMDGPU.csdata,"",@progbits
; Kernel info:
; codeLenInByte = 63044
; TotalNumSgprs: 98
; NumVgprs: 37
; ScratchSize: 464
; MemoryBound: 0
; FloatMode: 240
; IeeeMode: 1
; LDSByteSize: 0 bytes/workgroup (compile time only)
; SGPRBlocks: 0
; VGPRBlocks: 2
; NumSGPRsForWavesPerEU: 98
; NumVGPRsForWavesPerEU: 37
; NamedBarCnt: 0
; Occupancy: 16
; WaveLimiterHint : 1
; COMPUTE_PGM_RSRC2:SCRATCH_EN: 1
; COMPUTE_PGM_RSRC2:USER_SGPR: 2
; COMPUTE_PGM_RSRC2:TRAP_HANDLER: 0
; COMPUTE_PGM_RSRC2:TGID_X_EN: 1
; COMPUTE_PGM_RSRC2:TGID_Y_EN: 0
; COMPUTE_PGM_RSRC2:TGID_Z_EN: 0
; COMPUTE_PGM_RSRC2:TIDIG_COMP_CNT: 0
	.section	.text._ZN2at6native29vectorized_elementwise_kernelILi16ENS0_13AUnaryFunctorIN3c1011Float8_e5m2ES4_bNS0_12_GLOBAL__N_116CompareEqFunctorIS4_EEEESt5arrayIPcLm2EEEEviT0_T1_,"axG",@progbits,_ZN2at6native29vectorized_elementwise_kernelILi16ENS0_13AUnaryFunctorIN3c1011Float8_e5m2ES4_bNS0_12_GLOBAL__N_116CompareEqFunctorIS4_EEEESt5arrayIPcLm2EEEEviT0_T1_,comdat
	.globl	_ZN2at6native29vectorized_elementwise_kernelILi16ENS0_13AUnaryFunctorIN3c1011Float8_e5m2ES4_bNS0_12_GLOBAL__N_116CompareEqFunctorIS4_EEEESt5arrayIPcLm2EEEEviT0_T1_ ; -- Begin function _ZN2at6native29vectorized_elementwise_kernelILi16ENS0_13AUnaryFunctorIN3c1011Float8_e5m2ES4_bNS0_12_GLOBAL__N_116CompareEqFunctorIS4_EEEESt5arrayIPcLm2EEEEviT0_T1_
	.p2align	8
	.type	_ZN2at6native29vectorized_elementwise_kernelILi16ENS0_13AUnaryFunctorIN3c1011Float8_e5m2ES4_bNS0_12_GLOBAL__N_116CompareEqFunctorIS4_EEEESt5arrayIPcLm2EEEEviT0_T1_,@function
_ZN2at6native29vectorized_elementwise_kernelILi16ENS0_13AUnaryFunctorIN3c1011Float8_e5m2ES4_bNS0_12_GLOBAL__N_116CompareEqFunctorIS4_EEEESt5arrayIPcLm2EEEEviT0_T1_: ; @_ZN2at6native29vectorized_elementwise_kernelILi16ENS0_13AUnaryFunctorIN3c1011Float8_e5m2ES4_bNS0_12_GLOBAL__N_116CompareEqFunctorIS4_EEEESt5arrayIPcLm2EEEEviT0_T1_
; %bb.0:
	s_clause 0x1
	s_load_b96 s[8:10], s[0:1], 0x0
	s_load_b128 s[4:7], s[0:1], 0x10
	s_wait_xcnt 0x0
	s_bfe_u32 s0, ttmp6, 0x4000c
	s_and_b32 s1, ttmp6, 15
	s_add_co_i32 s0, s0, 1
	s_getreg_b32 s2, hwreg(HW_REG_IB_STS2, 6, 4)
	s_mul_i32 s0, ttmp9, s0
	s_delay_alu instid0(SALU_CYCLE_1) | instskip(SKIP_2) | instid1(SALU_CYCLE_1)
	s_add_co_i32 s1, s1, s0
	s_cmp_eq_u32 s2, 0
	s_cselect_b32 s0, ttmp9, s1
	s_lshl_b32 s2, s0, 12
	s_mov_b32 s0, -1
	s_wait_kmcnt 0x0
	s_sub_co_i32 s11, s8, s2
	s_delay_alu instid0(SALU_CYCLE_1)
	s_cmp_gt_i32 s11, 0xfff
	s_cbranch_scc0 .LBB235_2
; %bb.1:
	s_ashr_i32 s3, s2, 31
	s_cmp_eq_u32 s9, 0
	s_add_nc_u64 s[0:1], s[6:7], s[2:3]
	s_cselect_b32 vcc_lo, -1, 0
	global_load_b128 v[2:5], v0, s[0:1] scale_offset
	s_wait_xcnt 0x0
	s_lshl_b32 s0, s10, 8
	s_lshl_b32 s1, s10, 25
	s_and_b32 s0, s0, 0x7f00
	s_lshr_b32 s8, s1, 4
	s_or_b32 s0, s0, 0.5
	s_or_b32 s8, s8, 0x70000000
	s_add_f32 s0, s0, -0.5
	s_mul_f32 s8, s8, 0x7800000
	s_cmp_lt_u32 s1, 0x8000000
	s_delay_alu instid0(SALU_CYCLE_2) | instskip(SKIP_3) | instid1(SALU_CYCLE_1)
	s_cselect_b32 s0, s0, s8
	s_lshl_b32 s1, s10, 24
	s_mov_b32 s8, 0x7800000
	s_and_b32 s1, s1, 0x80000000
	s_or_b32 s12, s1, s0
	s_wait_loadcnt 0x0
	v_dual_lshrrev_b32 v1, 16, v2 :: v_dual_lshrrev_b32 v6, 16, v3
	v_lshrrev_b16 v7, 8, v3
	v_dual_lshrrev_b32 v8, 24, v3 :: v_dual_lshrrev_b32 v10, 24, v2
	v_lshrrev_b16 v9, 8, v2
	;; [unrolled: 2-line block ×4, first 2 shown]
	v_dual_lshlrev_b32 v17, 25, v3 :: v_dual_lshlrev_b32 v30, 25, v2
	v_alignbit_b32 v19, v8, v3, 16
	v_perm_b32 v3, v7, v3, 0x5040100
	v_dual_lshlrev_b32 v34, 25, v6 :: v_dual_lshlrev_b32 v35, 25, v9
	v_dual_lshlrev_b32 v31, 25, v5 :: v_dual_lshlrev_b32 v32, 25, v4
	v_alignbit_b32 v18, v10, v2, 16
	v_perm_b32 v2, v9, v2, 0x5040100
	v_dual_lshlrev_b32 v21, 25, v7 :: v_dual_lshlrev_b32 v33, 25, v8
	v_dual_lshlrev_b32 v36, 25, v10 :: v_dual_lshlrev_b32 v1, 25, v1
	v_perm_b32 v9, v15, v4, 0x5040100
	v_alignbit_b32 v10, v14, v5, 16
	v_perm_b32 v5, v13, v5, 0x5040100
	v_dual_lshlrev_b32 v39, 25, v12 :: v_dual_lshlrev_b32 v40, 25, v15
	v_pk_lshlrev_b16 v46, 8, v3 op_sel_hi:[0,1]
	v_dual_lshrrev_b32 v15, 4, v35 :: v_dual_lshrrev_b32 v6, 4, v30
	v_lshrrev_b32_e32 v7, 4, v17
	v_alignbit_b32 v8, v16, v4, 16
	v_dual_lshlrev_b32 v37, 25, v13 :: v_dual_lshlrev_b32 v38, 25, v14
	v_dual_lshlrev_b32 v41, 25, v16 :: v_dual_lshlrev_b32 v42, 25, v11
	v_dual_lshrrev_b32 v11, 4, v32 :: v_dual_lshrrev_b32 v12, 4, v31
	v_pk_lshlrev_b16 v45, 8, v19 op_sel_hi:[0,1]
	v_dual_lshrrev_b32 v14, 4, v1 :: v_dual_lshrrev_b32 v13, 4, v36
	v_dual_lshrrev_b32 v16, 4, v34 :: v_dual_lshrrev_b32 v3, 4, v21
	v_pk_lshlrev_b16 v50, 8, v5 op_sel_hi:[0,1]
	v_or_b32_e32 v5, 0x70000000, v15
	v_dual_lshrrev_b32 v15, 16, v46 :: v_dual_lshrrev_b32 v27, 16, v45
	v_pk_lshlrev_b16 v43, 8, v18 op_sel_hi:[0,1]
	v_pk_lshlrev_b16 v44, 8, v2 op_sel_hi:[0,1]
	v_dual_lshrrev_b32 v18, 4, v33 :: v_dual_lshrrev_b32 v19, 4, v42
	v_or_b32_e32 v2, 0x70000000, v7
	v_or_b32_e32 v4, 0x70000000, v6
	v_pk_lshlrev_b16 v48, 8, v9 op_sel_hi:[0,1]
	v_lshrrev_b32_e32 v9, 4, v40
	v_or_b32_e32 v6, 0x70000000, v12
	v_or_b32_e32 v3, 0x70000000, v3
	v_or_b32_e32 v12, 0x70000000, v14
	v_and_or_b32 v14, 0x7f00, v46, 0.5
	v_and_or_b32 v15, 0x7f00, v15, 0.5
	v_pk_lshlrev_b16 v47, 8, v8 op_sel_hi:[0,1]
	v_pk_lshlrev_b16 v49, 8, v10 op_sel_hi:[0,1]
	v_dual_lshrrev_b32 v24, 4, v41 :: v_dual_lshrrev_b32 v22, 4, v39
	v_or_b32_e32 v8, 0x70000000, v11
	v_or_b32_e32 v11, 0x70000000, v18
	;; [unrolled: 1-line block ×3, first 2 shown]
	v_and_or_b32 v16, 0x7f00, v45, 0.5
	v_dual_lshrrev_b32 v29, 16, v44 :: v_dual_lshrrev_b32 v51, 16, v43
	v_pk_mul_f32 v[2:3], v[2:3], s[8:9] op_sel_hi:[1,0]
	v_pk_add_f32 v[14:15], v[14:15], -0.5 op_sel_hi:[1,0]
	v_cmp_gt_u32_e64 s0, 0x8000000, v17
	v_cmp_gt_u32_e64 s1, 0x8000000, v21
	v_and_or_b32 v17, 0x7f00, v27, 0.5
	v_and_or_b32 v18, 0x7f00, v44, 0.5
	v_or_b32_e32 v25, 0x70000000, v24
	v_or_b32_e32 v24, 0x70000000, v19
	v_dual_lshrrev_b32 v56, 16, v50 :: v_dual_cndmask_b32 v57, v3, v15, s1
	v_dual_cndmask_b32 v58, v2, v14, s0 :: v_dual_lshrrev_b32 v3, 16, v49
	v_and_or_b32 v19, 0x7f00, v29, 0.5
	v_pk_mul_f32 v[10:11], v[10:11], s[8:9] op_sel_hi:[1,0]
	v_pk_add_f32 v[16:17], v[16:17], -0.5 op_sel_hi:[1,0]
	v_cmp_gt_u32_e64 s0, 0x8000000, v34
	v_cmp_gt_u32_e64 s1, 0x8000000, v33
	v_pk_mul_f32 v[4:5], v[4:5], s[8:9] op_sel_hi:[1,0]
	v_pk_add_f32 v[18:19], v[18:19], -0.5 op_sel_hi:[1,0]
	v_or_b32_e32 v13, 0x70000000, v13
	s_delay_alu instid0(VALU_DEP_4) | instskip(SKIP_4) | instid1(VALU_DEP_4)
	v_dual_cndmask_b32 v10, v10, v16, s0 :: v_dual_cndmask_b32 v11, v11, v17, s1
	v_cmp_gt_u32_e64 s0, 0x8000000, v35
	v_and_or_b32 v20, 0x7f00, v43, 0.5
	v_and_or_b32 v21, 0x7f00, v51, 0.5
	v_dual_lshrrev_b32 v23, 4, v38 :: v_dual_lshrrev_b32 v7, 4, v37
	v_cndmask_b32_e64 v5, v5, v19, s0
	v_cmp_gt_u32_e64 s0, 0x8000000, v30
	v_pk_mul_f32 v[12:13], v[12:13], s[8:9] op_sel_hi:[1,0]
	v_pk_add_f32 v[20:21], v[20:21], -0.5 op_sel_hi:[1,0]
	v_or_b32_e32 v7, 0x70000000, v7
	v_and_or_b32 v26, 0x7f00, v50, 0.5
	v_cndmask_b32_e64 v4, v4, v18, s0
	v_cmp_gt_u32_e64 s0, 0x8000000, v36
	v_and_or_b32 v27, 0x7f00, v56, 0.5
	v_pk_mul_f32 v[6:7], v[6:7], s[8:9] op_sel_hi:[1,0]
	v_or_b32_e32 v23, 0x70000000, v23
	v_or_b32_e32 v22, 0x70000000, v22
	v_cndmask_b32_e64 v13, v13, v21, s0
	v_cmp_gt_u32_e64 s0, 0x8000000, v1
	v_pk_add_f32 v[26:27], v[26:27], -0.5 op_sel_hi:[1,0]
	v_and_or_b32 v28, 0x7f00, v49, 0.5
	v_and_or_b32 v29, 0x7f00, v3, 0.5
	v_dual_lshrrev_b32 v15, 16, v48 :: v_dual_lshrrev_b32 v51, 16, v47
	v_cndmask_b32_e64 v1, v12, v20, s0
	v_cmp_gt_u32_e64 s0, 0x8000000, v37
	v_pk_mul_f32 v[22:23], v[22:23], s[8:9] op_sel_hi:[1,0]
	v_pk_add_f32 v[28:29], v[28:29], -0.5 op_sel_hi:[1,0]
	v_or_b32_e32 v9, 0x70000000, v9
	v_and_or_b32 v2, 0x7f00, v48, 0.5
	v_cndmask_b32_e64 v7, v7, v27, s0
	v_cmp_gt_u32_e64 s0, 0x8000000, v31
	v_and_or_b32 v3, 0x7f00, v15, 0.5
	v_pk_mul_f32 v[8:9], v[8:9], s[8:9] op_sel_hi:[1,0]
	v_and_or_b32 v14, 0x7f00, v47, 0.5
	v_and_or_b32 v15, 0x7f00, v51, 0.5
	v_cndmask_b32_e64 v6, v6, v26, s0
	v_cmp_gt_u32_e64 s0, 0x8000000, v38
	v_pk_add_f32 v[2:3], v[2:3], -0.5 op_sel_hi:[1,0]
	v_dual_lshlrev_b32 v54, 16, v44 :: v_dual_lshlrev_b32 v55, 16, v43
	v_pk_mul_f32 v[24:25], v[24:25], s[8:9] op_sel_hi:[1,0]
	s_delay_alu instid0(VALU_DEP_4)
	v_cndmask_b32_e64 v12, v23, v29, s0
	v_cmp_gt_u32_e64 s0, 0x8000000, v39
	v_pk_add_f32 v[14:15], v[14:15], -0.5 op_sel_hi:[1,0]
	v_and_or_b32 v1, 0x80000000, v55, v1
	v_and_or_b32 v13, 0x80000000, v43, v13
	;; [unrolled: 1-line block ×3, first 2 shown]
	v_cndmask_b32_e64 v16, v22, v28, s0
	v_cmp_gt_u32_e64 s0, 0x8000000, v40
	v_and_or_b32 v5, 0x80000000, v44, v5
	v_dual_lshlrev_b32 v52, 16, v46 :: v_dual_lshlrev_b32 v53, 16, v45
	v_and_or_b32 v11, 0x80000000, v45, v11
	s_delay_alu instid0(VALU_DEP_4) | instskip(SKIP_4) | instid1(VALU_DEP_4)
	v_cndmask_b32_e64 v3, v9, v3, s0
	v_cmp_gt_u32_e64 s0, 0x8000000, v32
	v_dual_lshlrev_b32 v51, 16, v48 :: v_dual_lshlrev_b32 v34, 16, v47
	v_and_or_b32 v10, 0x80000000, v53, v10
	v_dual_lshlrev_b32 v56, 16, v50 :: v_dual_lshlrev_b32 v59, 16, v49
	v_cndmask_b32_e64 v2, v8, v2, s0
	v_cmp_gt_u32_e64 s0, 0x8000000, v41
	v_and_or_b32 v3, 0x80000000, v48, v3
	v_and_or_b32 v12, 0x80000000, v49, v12
	;; [unrolled: 1-line block ×4, first 2 shown]
	v_cndmask_b32_e64 v8, v25, v15, s0
	v_cmp_gt_u32_e64 s0, 0x8000000, v42
	v_and_or_b32 v15, 0x80000000, v46, v57
	v_and_or_b32 v6, 0x80000000, v56, v6
	;; [unrolled: 1-line block ×3, first 2 shown]
	s_delay_alu instid0(VALU_DEP_4) | instskip(SKIP_3) | instid1(VALU_DEP_4)
	v_cndmask_b32_e64 v9, v24, v14, s0
	v_cmp_eq_f32_e64 s0, s12, v1
	v_and_or_b32 v14, 0x80000000, v52, v58
	v_and_or_b32 v8, 0x80000000, v47, v8
	v_and_or_b32 v9, 0x80000000, v34, v9
	s_delay_alu instid0(VALU_DEP_4) | instskip(SKIP_1) | instid1(VALU_DEP_1)
	v_cndmask_b32_e64 v17, 0, 1, s0
	v_cmp_neq_f32_e64 s0, s12, v1
	v_cndmask_b32_e64 v1, 0, 1, s0
	v_cmp_eq_f32_e64 s0, s12, v13
	s_delay_alu instid0(VALU_DEP_1) | instskip(SKIP_1) | instid1(VALU_DEP_1)
	v_cndmask_b32_e64 v18, 0, 1, s0
	v_cmp_neq_f32_e64 s0, s12, v13
	v_cndmask_b32_e64 v13, 0, 1, s0
	v_cmp_eq_f32_e64 s0, s12, v4
	s_delay_alu instid0(VALU_DEP_1) | instskip(SKIP_1) | instid1(VALU_DEP_1)
	v_cndmask_b32_e64 v19, 0, 1, s0
	v_cmp_neq_f32_e64 s0, s12, v4
	v_cndmask_b32_e64 v4, 0, 1, s0
	v_cmp_eq_f32_e64 s0, s12, v5
	s_delay_alu instid0(VALU_DEP_2) | instskip(NEXT) | instid1(VALU_DEP_2)
	v_dual_cndmask_b32 v1, v1, v17 :: v_dual_cndmask_b32 v4, v4, v19
	v_cndmask_b32_e64 v20, 0, 1, s0
	v_cmp_neq_f32_e64 s0, s12, v5
	s_delay_alu instid0(VALU_DEP_1) | instskip(SKIP_1) | instid1(VALU_DEP_1)
	v_cndmask_b32_e64 v5, 0, 1, s0
	v_cmp_eq_f32_e64 s0, s12, v10
	v_cndmask_b32_e64 v21, 0, 1, s0
	v_cmp_neq_f32_e64 s0, s12, v10
	s_delay_alu instid0(VALU_DEP_1) | instskip(SKIP_1) | instid1(VALU_DEP_2)
	v_cndmask_b32_e64 v10, 0, 1, s0
	v_cmp_eq_f32_e64 s0, s12, v11
	v_dual_cndmask_b32 v13, v13, v18 :: v_dual_cndmask_b32 v10, v10, v21
	s_delay_alu instid0(VALU_DEP_2) | instskip(SKIP_1) | instid1(VALU_DEP_1)
	v_cndmask_b32_e64 v22, 0, 1, s0
	v_cmp_neq_f32_e64 s0, s12, v11
	v_cndmask_b32_e64 v11, 0, 1, s0
	v_cmp_eq_f32_e64 s0, s12, v14
	s_delay_alu instid0(VALU_DEP_2) | instskip(NEXT) | instid1(VALU_DEP_2)
	v_dual_cndmask_b32 v5, v5, v20, vcc_lo :: v_dual_cndmask_b32 v11, v11, v22, vcc_lo
	v_cndmask_b32_e64 v23, 0, 1, s0
	v_cmp_neq_f32_e64 s0, s12, v14
	s_delay_alu instid0(VALU_DEP_3) | instskip(NEXT) | instid1(VALU_DEP_2)
	v_and_b32_e32 v5, 1, v5
	v_cndmask_b32_e64 v14, 0, 1, s0
	v_cmp_eq_f32_e64 s0, s12, v15
	s_delay_alu instid0(VALU_DEP_3) | instskip(NEXT) | instid1(VALU_DEP_2)
	v_lshlrev_b16 v5, 8, v5
	v_cndmask_b32_e64 v24, 0, 1, s0
	v_cmp_neq_f32_e64 s0, s12, v15
	s_delay_alu instid0(VALU_DEP_3) | instskip(NEXT) | instid1(VALU_DEP_2)
	v_bitop3_b16 v4, v4, v5, 1 bitop3:0xec
	v_cndmask_b32_e64 v15, 0, 1, s0
	v_cmp_eq_f32_e64 s0, s12, v9
	v_cndmask_b32_e32 v14, v14, v23, vcc_lo
	s_delay_alu instid0(VALU_DEP_4) | instskip(NEXT) | instid1(VALU_DEP_4)
	v_and_b32_e32 v4, 0xffff, v4
	v_cndmask_b32_e32 v15, v15, v24, vcc_lo
	s_delay_alu instid0(VALU_DEP_4) | instskip(SKIP_1) | instid1(VALU_DEP_1)
	v_cndmask_b32_e64 v25, 0, 1, s0
	v_cmp_neq_f32_e64 s0, s12, v9
	v_cndmask_b32_e64 v9, 0, 1, s0
	v_cmp_eq_f32_e64 s0, s12, v8
	s_delay_alu instid0(VALU_DEP_1) | instskip(SKIP_1) | instid1(VALU_DEP_1)
	v_cndmask_b32_e64 v26, 0, 1, s0
	v_cmp_neq_f32_e64 s0, s12, v8
	v_cndmask_b32_e64 v8, 0, 1, s0
	v_cmp_eq_f32_e64 s0, s12, v2
	s_delay_alu instid0(VALU_DEP_2) | instskip(NEXT) | instid1(VALU_DEP_2)
	v_dual_cndmask_b32 v9, v9, v25 :: v_dual_cndmask_b32 v8, v8, v26
	v_cndmask_b32_e64 v27, 0, 1, s0
	v_cmp_neq_f32_e64 s0, s12, v2
	s_delay_alu instid0(VALU_DEP_3) | instskip(NEXT) | instid1(VALU_DEP_2)
	v_and_b32_e32 v8, 1, v8
	v_cndmask_b32_e64 v2, 0, 1, s0
	v_cmp_eq_f32_e64 s0, s12, v3
	s_delay_alu instid0(VALU_DEP_3) | instskip(NEXT) | instid1(VALU_DEP_2)
	v_lshlrev_b16 v8, 8, v8
	v_cndmask_b32_e64 v28, 0, 1, s0
	v_cmp_neq_f32_e64 s0, s12, v3
	s_delay_alu instid0(VALU_DEP_1) | instskip(SKIP_1) | instid1(VALU_DEP_2)
	v_cndmask_b32_e64 v3, 0, 1, s0
	v_cmp_eq_f32_e64 s0, s12, v16
	v_dual_cndmask_b32 v2, v2, v27 :: v_dual_cndmask_b32 v3, v3, v28
	s_delay_alu instid0(VALU_DEP_2) | instskip(SKIP_1) | instid1(VALU_DEP_3)
	v_cndmask_b32_e64 v29, 0, 1, s0
	v_cmp_neq_f32_e64 s0, s12, v16
	v_and_b32_e32 v3, 1, v3
	s_delay_alu instid0(VALU_DEP_2) | instskip(SKIP_1) | instid1(VALU_DEP_3)
	v_cndmask_b32_e64 v16, 0, 1, s0
	v_cmp_eq_f32_e64 s0, s12, v12
	v_lshlrev_b16 v3, 8, v3
	s_delay_alu instid0(VALU_DEP_2) | instskip(SKIP_1) | instid1(VALU_DEP_3)
	v_cndmask_b32_e64 v30, 0, 1, s0
	v_cmp_neq_f32_e64 s0, s12, v12
	v_bitop3_b16 v2, v2, v3, 1 bitop3:0xec
	v_bitop3_b16 v3, v9, v8, 1 bitop3:0xec
	v_and_b32_e32 v13, 1, v13
	s_delay_alu instid0(VALU_DEP_4) | instskip(SKIP_2) | instid1(VALU_DEP_4)
	v_cndmask_b32_e64 v12, 0, 1, s0
	v_cmp_eq_f32_e64 s0, s12, v6
	v_and_b32_e32 v9, 0xffff, v2
	v_lshlrev_b16 v13, 8, v13
	s_delay_alu instid0(VALU_DEP_3) | instskip(SKIP_1) | instid1(VALU_DEP_3)
	v_cndmask_b32_e64 v31, 0, 1, s0
	v_cmp_neq_f32_e64 s0, s12, v6
	v_bitop3_b16 v1, v1, v13, 1 bitop3:0xec
	v_and_b32_e32 v11, 1, v11
	s_delay_alu instid0(VALU_DEP_3) | instskip(SKIP_1) | instid1(VALU_DEP_4)
	v_cndmask_b32_e64 v6, 0, 1, s0
	v_cmp_eq_f32_e64 s0, s12, v7
	v_lshlrev_b32_e32 v1, 16, v1
	s_delay_alu instid0(VALU_DEP_4) | instskip(NEXT) | instid1(VALU_DEP_4)
	v_lshlrev_b16 v11, 8, v11
	v_dual_cndmask_b32 v16, v16, v29, vcc_lo :: v_dual_cndmask_b32 v6, v6, v31, vcc_lo
	s_delay_alu instid0(VALU_DEP_4) | instskip(SKIP_1) | instid1(VALU_DEP_4)
	v_cndmask_b32_e64 v32, 0, 1, s0
	v_cmp_neq_f32_e64 s0, s12, v7
	v_bitop3_b16 v10, v10, v11, 1 bitop3:0xec
	v_and_b32_e32 v15, 1, v15
	v_or_b32_e32 v2, v4, v1
	s_add_nc_u64 s[12:13], s[4:5], s[2:3]
	v_cndmask_b32_e64 v7, 0, 1, s0
	v_cndmask_b32_e32 v12, v12, v30, vcc_lo
	v_lshlrev_b32_e32 v8, 16, v10
	v_lshlrev_b16 v15, 8, v15
	s_delay_alu instid0(VALU_DEP_4) | instskip(NEXT) | instid1(VALU_DEP_4)
	v_dual_cndmask_b32 v7, v7, v32 :: v_dual_lshlrev_b32 v10, 16, v3
	v_and_b32_e32 v12, 1, v12
	s_mov_b32 s0, 0
	s_delay_alu instid0(VALU_DEP_3) | instskip(NEXT) | instid1(VALU_DEP_3)
	v_bitop3_b16 v14, v14, v15, 1 bitop3:0xec
	v_or_b32_e32 v4, v9, v10
	v_and_b32_e32 v7, 1, v7
	v_lshlrev_b16 v12, 8, v12
	s_delay_alu instid0(VALU_DEP_2) | instskip(NEXT) | instid1(VALU_DEP_1)
	v_lshlrev_b16 v7, 8, v7
	v_bitop3_b16 v5, v6, v7, 1 bitop3:0xec
	s_delay_alu instid0(VALU_DEP_3) | instskip(SKIP_1) | instid1(VALU_DEP_3)
	v_bitop3_b16 v6, v16, v12, 1 bitop3:0xec
	v_and_b32_e32 v7, 0xffff, v14
	v_and_b32_e32 v5, 0xffff, v5
	s_delay_alu instid0(VALU_DEP_2) | instskip(NEXT) | instid1(VALU_DEP_1)
	v_dual_lshlrev_b32 v6, 16, v6 :: v_dual_bitop2_b32 v3, v7, v8 bitop3:0x54
	v_or_b32_e32 v5, v5, v6
	global_store_b128 v0, v[2:5], s[12:13] scale_offset
.LBB235_2:
	s_and_not1_b32 vcc_lo, exec_lo, s0
	s_cbranch_vccnz .LBB235_83
; %bb.3:
	v_cmp_gt_i32_e32 vcc_lo, s11, v0
	s_wait_xcnt 0x0
	v_dual_mov_b32 v2, 0 :: v_dual_bitop2_b32 v8, s2, v0 bitop3:0x54
	v_or_b32_e32 v9, 0x100, v0
	v_dual_mov_b32 v10, 0 :: v_dual_mov_b32 v11, 0
	v_dual_mov_b32 v12, 0 :: v_dual_mov_b32 v13, 0
	;; [unrolled: 1-line block ×8, first 2 shown]
	s_and_saveexec_b32 s1, vcc_lo
	s_cbranch_execz .LBB235_35
; %bb.4:
	global_load_u8 v23, v8, s[6:7]
	v_or_b32_e32 v1, 0x100, v0
	v_dual_mov_b32 v22, 0 :: v_dual_mov_b32 v5, 0
	v_dual_mov_b32 v6, 0 :: v_dual_mov_b32 v21, 0
	v_dual_mov_b32 v20, 0 :: v_dual_mov_b32 v19, 0
	v_dual_mov_b32 v18, 0 :: v_dual_mov_b32 v17, 0
	v_dual_mov_b32 v16, 0 :: v_dual_mov_b32 v15, 0
	v_dual_mov_b32 v14, 0 :: v_dual_mov_b32 v13, 0
	v_dual_mov_b32 v12, 0 :: v_dual_mov_b32 v11, 0
	v_mov_b32_e32 v10, 0
	s_mov_b32 s3, exec_lo
	s_wait_xcnt 0x0
	v_cmpx_gt_u32_e64 s11, v1
	s_cbranch_execz .LBB235_34
; %bb.5:
	v_dual_mov_b32 v5, 0 :: v_dual_add_nc_u32 v4, s2, v0
	v_or_b32_e32 v1, 0x200, v0
	v_dual_mov_b32 v6, 0 :: v_dual_mov_b32 v21, 0
	global_load_u8 v22, v4, s[6:7] offset:256
	v_dual_mov_b32 v20, 0 :: v_dual_mov_b32 v19, 0
	v_dual_mov_b32 v18, 0 :: v_dual_mov_b32 v17, 0
	;; [unrolled: 1-line block ×5, first 2 shown]
	v_mov_b32_e32 v10, 0
	s_mov_b32 s8, exec_lo
	s_wait_xcnt 0x0
	v_cmpx_gt_u32_e64 s11, v1
	s_cbranch_execz .LBB235_33
; %bb.6:
	v_add_nc_u64_e32 v[6:7], s[6:7], v[4:5]
	v_or_b32_e32 v3, 0x300, v0
	v_dual_mov_b32 v21, 0 :: v_dual_mov_b32 v20, 0
	v_dual_mov_b32 v19, 0 :: v_dual_mov_b32 v18, 0
	;; [unrolled: 1-line block ×3, first 2 shown]
	global_load_u8 v1, v[6:7], off offset:512
	v_dual_mov_b32 v15, 0 :: v_dual_mov_b32 v14, 0
	v_dual_mov_b32 v13, 0 :: v_dual_mov_b32 v12, 0
	;; [unrolled: 1-line block ×3, first 2 shown]
	s_mov_b32 s6, exec_lo
	s_wait_xcnt 0x0
	v_cmpx_gt_u32_e64 s11, v3
	s_cbranch_execz .LBB235_32
; %bb.7:
	global_load_u8 v5, v[6:7], off offset:768
	v_or_b32_e32 v3, 0x400, v0
	v_dual_mov_b32 v21, 0 :: v_dual_mov_b32 v20, 0
	v_dual_mov_b32 v19, 0 :: v_dual_mov_b32 v18, 0
	;; [unrolled: 1-line block ×6, first 2 shown]
	s_mov_b32 s7, exec_lo
	s_wait_xcnt 0x0
	v_cmpx_gt_u32_e64 s11, v3
	s_cbranch_execz .LBB235_31
; %bb.8:
	global_load_u8 v21, v[6:7], off offset:1024
	v_or_b32_e32 v3, 0x500, v0
	v_dual_mov_b32 v20, 0 :: v_dual_mov_b32 v19, 0
	v_dual_mov_b32 v18, 0 :: v_dual_mov_b32 v17, 0
	;; [unrolled: 1-line block ×5, first 2 shown]
	v_mov_b32_e32 v10, 0
	s_mov_b32 s12, exec_lo
	s_wait_xcnt 0x0
	v_cmpx_gt_u32_e64 s11, v3
	s_cbranch_execz .LBB235_30
; %bb.9:
	global_load_u8 v20, v[6:7], off offset:1280
	v_or_b32_e32 v3, 0x600, v0
	v_dual_mov_b32 v19, 0 :: v_dual_mov_b32 v18, 0
	v_dual_mov_b32 v17, 0 :: v_dual_mov_b32 v16, 0
	;; [unrolled: 1-line block ×5, first 2 shown]
	s_mov_b32 s13, exec_lo
	s_wait_xcnt 0x0
	v_cmpx_gt_u32_e64 s11, v3
	s_cbranch_execz .LBB235_29
; %bb.10:
	global_load_u8 v19, v[6:7], off offset:1536
	v_or_b32_e32 v3, 0x700, v0
	v_dual_mov_b32 v18, 0 :: v_dual_mov_b32 v17, 0
	v_dual_mov_b32 v16, 0 :: v_dual_mov_b32 v15, 0
	;; [unrolled: 1-line block ×4, first 2 shown]
	v_mov_b32_e32 v10, 0
	s_mov_b32 s14, exec_lo
	s_wait_xcnt 0x0
	v_cmpx_gt_u32_e64 s11, v3
	s_cbranch_execz .LBB235_28
; %bb.11:
	global_load_u8 v18, v[6:7], off offset:1792
	v_or_b32_e32 v3, 0x800, v0
	v_dual_mov_b32 v17, 0 :: v_dual_mov_b32 v16, 0
	v_dual_mov_b32 v15, 0 :: v_dual_mov_b32 v14, 0
	v_dual_mov_b32 v13, 0 :: v_dual_mov_b32 v12, 0
	v_dual_mov_b32 v11, 0 :: v_dual_mov_b32 v10, 0
	s_mov_b32 s15, exec_lo
	s_wait_xcnt 0x0
	v_cmpx_gt_u32_e64 s11, v3
	s_cbranch_execz .LBB235_27
; %bb.12:
	global_load_u8 v17, v[6:7], off offset:2048
	v_or_b32_e32 v3, 0x900, v0
	v_dual_mov_b32 v16, 0 :: v_dual_mov_b32 v15, 0
	v_dual_mov_b32 v14, 0 :: v_dual_mov_b32 v13, 0
	;; [unrolled: 1-line block ×3, first 2 shown]
	v_mov_b32_e32 v10, 0
	s_mov_b32 s16, exec_lo
	s_wait_xcnt 0x0
	v_cmpx_gt_u32_e64 s11, v3
	s_cbranch_execz .LBB235_26
; %bb.13:
	global_load_u8 v16, v[6:7], off offset:2304
	v_or_b32_e32 v3, 0xa00, v0
	v_dual_mov_b32 v15, 0 :: v_dual_mov_b32 v14, 0
	v_dual_mov_b32 v13, 0 :: v_dual_mov_b32 v12, 0
	;; [unrolled: 1-line block ×3, first 2 shown]
	s_mov_b32 s17, exec_lo
	s_wait_xcnt 0x0
	v_cmpx_gt_u32_e64 s11, v3
	s_cbranch_execz .LBB235_25
; %bb.14:
	global_load_u8 v15, v[6:7], off offset:2560
	v_or_b32_e32 v3, 0xb00, v0
	v_dual_mov_b32 v14, 0 :: v_dual_mov_b32 v13, 0
	v_dual_mov_b32 v12, 0 :: v_dual_mov_b32 v11, 0
	v_mov_b32_e32 v10, 0
	s_mov_b32 s18, exec_lo
	s_wait_xcnt 0x0
	v_cmpx_gt_u32_e64 s11, v3
	s_cbranch_execz .LBB235_24
; %bb.15:
	global_load_u8 v14, v[6:7], off offset:2816
	v_or_b32_e32 v3, 0xc00, v0
	v_dual_mov_b32 v13, 0 :: v_dual_mov_b32 v12, 0
	v_dual_mov_b32 v11, 0 :: v_dual_mov_b32 v10, 0
	s_mov_b32 s19, exec_lo
	s_wait_xcnt 0x0
	v_cmpx_gt_u32_e64 s11, v3
	s_cbranch_execz .LBB235_23
; %bb.16:
	global_load_u8 v13, v[6:7], off offset:3072
	v_or_b32_e32 v3, 0xd00, v0
	v_dual_mov_b32 v12, 0 :: v_dual_mov_b32 v11, 0
	v_mov_b32_e32 v10, 0
	s_mov_b32 s20, exec_lo
	s_wait_xcnt 0x0
	v_cmpx_gt_u32_e64 s11, v3
	s_cbranch_execz .LBB235_22
; %bb.17:
	global_load_u8 v12, v[6:7], off offset:3328
	v_or_b32_e32 v3, 0xe00, v0
	v_dual_mov_b32 v11, 0 :: v_dual_mov_b32 v10, 0
	s_mov_b32 s21, exec_lo
	s_wait_xcnt 0x0
	s_delay_alu instid0(VALU_DEP_2)
	v_cmpx_gt_u32_e64 s11, v3
	s_cbranch_execz .LBB235_21
; %bb.18:
	global_load_u8 v11, v[6:7], off offset:3584
	v_or_b32_e32 v3, 0xf00, v0
	v_mov_b32_e32 v10, 0
	s_mov_b32 s22, exec_lo
	s_wait_xcnt 0x0
	s_delay_alu instid0(VALU_DEP_2)
	v_cmpx_gt_u32_e64 s11, v3
	s_cbranch_execz .LBB235_20
; %bb.19:
	global_load_u8 v10, v[6:7], off offset:3840
.LBB235_20:
	s_wait_xcnt 0x0
	s_or_b32 exec_lo, exec_lo, s22
.LBB235_21:
	s_delay_alu instid0(SALU_CYCLE_1)
	s_or_b32 exec_lo, exec_lo, s21
.LBB235_22:
	s_delay_alu instid0(SALU_CYCLE_1)
	s_or_b32 exec_lo, exec_lo, s20
.LBB235_23:
	s_delay_alu instid0(SALU_CYCLE_1)
	s_or_b32 exec_lo, exec_lo, s19
.LBB235_24:
	s_delay_alu instid0(SALU_CYCLE_1)
	s_or_b32 exec_lo, exec_lo, s18
.LBB235_25:
	s_delay_alu instid0(SALU_CYCLE_1)
	s_or_b32 exec_lo, exec_lo, s17
.LBB235_26:
	s_delay_alu instid0(SALU_CYCLE_1)
	s_or_b32 exec_lo, exec_lo, s16
.LBB235_27:
	s_delay_alu instid0(SALU_CYCLE_1)
	s_or_b32 exec_lo, exec_lo, s15
.LBB235_28:
	s_delay_alu instid0(SALU_CYCLE_1)
	s_or_b32 exec_lo, exec_lo, s14
.LBB235_29:
	s_delay_alu instid0(SALU_CYCLE_1)
	s_or_b32 exec_lo, exec_lo, s13
.LBB235_30:
	s_delay_alu instid0(SALU_CYCLE_1)
	s_or_b32 exec_lo, exec_lo, s12
.LBB235_31:
	s_delay_alu instid0(SALU_CYCLE_1)
	s_or_b32 exec_lo, exec_lo, s7
.LBB235_32:
	s_delay_alu instid0(SALU_CYCLE_1)
	s_or_b32 exec_lo, exec_lo, s6
	s_wait_loadcnt 0x0
	v_dual_mov_b32 v6, v5 :: v_dual_mov_b32 v5, v1
.LBB235_33:
	s_or_b32 exec_lo, exec_lo, s8
.LBB235_34:
	s_delay_alu instid0(SALU_CYCLE_1)
	s_or_b32 exec_lo, exec_lo, s3
.LBB235_35:
	s_delay_alu instid0(SALU_CYCLE_1)
	s_or_b32 exec_lo, exec_lo, s1
	s_cmp_eq_u32 s9, 0
	v_dual_mov_b32 v1, v2 :: v_dual_mov_b32 v4, v2
	s_cselect_b32 s0, -1, 0
	s_lshl_b32 s1, s10, 8
	s_lshl_b32 s3, s10, 25
	s_and_b32 s1, s1, 0x7f00
	s_lshr_b32 s6, s3, 4
	s_or_b32 s1, s1, 0.5
	s_or_b32 s6, s6, 0x70000000
	s_add_f32 s1, s1, -0.5
	s_mul_f32 s6, s6, 0x7800000
	s_cmp_lt_u32 s3, 0x8000000
	v_mov_b32_e32 v3, v2
	s_delay_alu instid0(SALU_CYCLE_1) | instskip(SKIP_1) | instid1(SALU_CYCLE_1)
	s_cselect_b32 s1, s1, s6
	s_lshl_b32 s3, s10, 24
	s_and_b32 s3, s3, 0x80000000
	s_delay_alu instid0(SALU_CYCLE_1)
	s_or_b32 s3, s3, s1
	s_and_saveexec_b32 s6, vcc_lo
	s_cbranch_execz .LBB235_37
; %bb.36:
	s_wait_loadcnt 0x0
	v_lshlrev_b16 v2, 8, v23
	s_delay_alu instid0(VALU_DEP_1) | instskip(SKIP_2) | instid1(VALU_DEP_2)
	v_and_or_b32 v4, 0x7f00, v2, 0.5
	v_lshlrev_b32_e32 v1, 25, v23
	v_bfe_i32 v2, v2, 0, 16
	v_dual_add_f32 v4, -0.5, v4 :: v_dual_lshrrev_b32 v3, 4, v1
	v_cmp_gt_u32_e64 s1, 0x8000000, v1
	s_delay_alu instid0(VALU_DEP_2) | instskip(NEXT) | instid1(VALU_DEP_1)
	v_or_b32_e32 v3, 0x70000000, v3
	v_mul_f32_e32 v3, 0x7800000, v3
	s_delay_alu instid0(VALU_DEP_1) | instskip(NEXT) | instid1(VALU_DEP_1)
	v_cndmask_b32_e64 v1, v3, v4, s1
	v_and_or_b32 v1, 0x80000000, v2, v1
	s_delay_alu instid0(VALU_DEP_1) | instskip(NEXT) | instid1(VALU_DEP_1)
	v_cmp_eq_f32_e64 s1, s3, v1
	v_cndmask_b32_e64 v2, 0, 1, s1
	v_cmp_neq_f32_e64 s1, s3, v1
	s_delay_alu instid0(VALU_DEP_1) | instskip(NEXT) | instid1(VALU_DEP_1)
	v_cndmask_b32_e64 v1, 0, 1, s1
	v_dual_cndmask_b32 v2, v1, v2, s0 :: v_dual_mov_b32 v1, 0
	s_delay_alu instid0(VALU_DEP_1) | instskip(SKIP_1) | instid1(VALU_DEP_2)
	v_dual_mov_b32 v4, v1 :: v_dual_bitop2_b32 v2, 1, v2 bitop3:0x40
	v_mov_b32_e32 v3, v1
	v_and_b32_e32 v2, 0xffff, v2
.LBB235_37:
	s_or_b32 exec_lo, exec_lo, s6
	s_delay_alu instid0(SALU_CYCLE_1)
	s_mov_b32 s6, exec_lo
	v_cmpx_gt_i32_e64 s11, v9
	s_cbranch_execz .LBB235_39
; %bb.38:
	s_wait_loadcnt 0x0
	v_lshlrev_b32_e32 v7, 25, v22
	v_lshlrev_b16 v22, 8, v22
	s_delay_alu instid0(VALU_DEP_1) | instskip(SKIP_1) | instid1(VALU_DEP_2)
	v_and_or_b32 v24, 0x7f00, v22, 0.5
	v_bfe_i32 v22, v22, 0, 16
	v_dual_add_f32 v24, -0.5, v24 :: v_dual_lshrrev_b32 v23, 4, v7
	v_cmp_gt_u32_e64 s1, 0x8000000, v7
	s_delay_alu instid0(VALU_DEP_2) | instskip(NEXT) | instid1(VALU_DEP_1)
	v_or_b32_e32 v23, 0x70000000, v23
	v_mul_f32_e32 v23, 0x7800000, v23
	s_delay_alu instid0(VALU_DEP_1) | instskip(NEXT) | instid1(VALU_DEP_1)
	v_cndmask_b32_e64 v7, v23, v24, s1
	v_and_or_b32 v7, 0x80000000, v22, v7
	s_delay_alu instid0(VALU_DEP_1) | instskip(NEXT) | instid1(VALU_DEP_1)
	v_cmp_eq_f32_e64 s1, s3, v7
	v_cndmask_b32_e64 v22, 0, 1, s1
	v_cmp_neq_f32_e64 s1, s3, v7
	s_delay_alu instid0(VALU_DEP_1) | instskip(NEXT) | instid1(VALU_DEP_1)
	v_cndmask_b32_e64 v7, 0, 1, s1
	v_cndmask_b32_e64 v7, v7, v22, s0
	s_delay_alu instid0(VALU_DEP_1) | instskip(NEXT) | instid1(VALU_DEP_1)
	v_and_b32_e32 v7, 1, v7
	v_lshlrev_b16 v7, 8, v7
	s_delay_alu instid0(VALU_DEP_1) | instskip(NEXT) | instid1(VALU_DEP_1)
	v_bitop3_b16 v7, v2, v7, 0xff bitop3:0xec
	v_and_b32_e32 v7, 0xffff, v7
	s_delay_alu instid0(VALU_DEP_1)
	v_and_or_b32 v2, 0xffff0000, v2, v7
.LBB235_39:
	s_or_b32 exec_lo, exec_lo, s6
	v_or_b32_e32 v7, 0x200, v0
	s_mov_b32 s6, exec_lo
	s_delay_alu instid0(VALU_DEP_1)
	v_cmpx_gt_i32_e64 s11, v7
	s_cbranch_execz .LBB235_41
; %bb.40:
	v_lshlrev_b32_e32 v7, 25, v5
	v_lshlrev_b16 v5, 8, v5
	s_wait_loadcnt 0x0
	s_delay_alu instid0(VALU_DEP_1) | instskip(SKIP_1) | instid1(VALU_DEP_2)
	v_and_or_b32 v23, 0x7f00, v5, 0.5
	v_bfe_i32 v5, v5, 0, 16
	v_add_f32_e32 v23, -0.5, v23
	v_lshrrev_b32_e32 v22, 4, v7
	v_cmp_gt_u32_e64 s1, 0x8000000, v7
	s_delay_alu instid0(VALU_DEP_2) | instskip(NEXT) | instid1(VALU_DEP_1)
	v_or_b32_e32 v22, 0x70000000, v22
	v_mul_f32_e32 v22, 0x7800000, v22
	s_delay_alu instid0(VALU_DEP_1) | instskip(NEXT) | instid1(VALU_DEP_1)
	v_cndmask_b32_e64 v7, v22, v23, s1
	v_and_or_b32 v5, 0x80000000, v5, v7
	v_lshrrev_b32_e32 v7, 16, v2
	s_delay_alu instid0(VALU_DEP_2) | instskip(NEXT) | instid1(VALU_DEP_2)
	v_cmp_eq_f32_e64 s1, s3, v5
	v_and_b32_e32 v7, 0xffffff00, v7
	s_delay_alu instid0(VALU_DEP_2) | instskip(SKIP_1) | instid1(VALU_DEP_1)
	v_cndmask_b32_e64 v22, 0, 1, s1
	v_cmp_neq_f32_e64 s1, s3, v5
	v_cndmask_b32_e64 v5, 0, 1, s1
	s_delay_alu instid0(VALU_DEP_1) | instskip(NEXT) | instid1(VALU_DEP_1)
	v_cndmask_b32_e64 v5, v5, v22, s0
	v_bitop3_b16 v5, v5, v7, 1 bitop3:0xec
	s_delay_alu instid0(VALU_DEP_1) | instskip(NEXT) | instid1(VALU_DEP_1)
	v_lshlrev_b32_e32 v5, 16, v5
	v_and_or_b32 v2, 0xffff, v2, v5
.LBB235_41:
	s_or_b32 exec_lo, exec_lo, s6
	v_or_b32_e32 v5, 0x300, v0
	s_mov_b32 s6, exec_lo
	s_delay_alu instid0(VALU_DEP_1)
	v_cmpx_gt_i32_e64 s11, v5
	s_cbranch_execz .LBB235_43
; %bb.42:
	v_lshlrev_b32_e32 v5, 25, v6
	v_lshlrev_b16 v6, 8, v6
	s_delay_alu instid0(VALU_DEP_2) | instskip(SKIP_1) | instid1(VALU_DEP_2)
	v_cmp_gt_u32_e64 s1, 0x8000000, v5
	s_wait_loadcnt 0x0
	v_and_or_b32 v22, 0x7f00, v6, 0.5
	v_lshrrev_b32_e32 v7, 4, v5
	v_bfe_i32 v6, v6, 0, 16
	s_delay_alu instid0(VALU_DEP_3) | instskip(NEXT) | instid1(VALU_DEP_3)
	v_add_f32_e32 v22, -0.5, v22
	v_or_b32_e32 v7, 0x70000000, v7
	s_delay_alu instid0(VALU_DEP_1) | instskip(NEXT) | instid1(VALU_DEP_1)
	v_mul_f32_e32 v7, 0x7800000, v7
	v_cndmask_b32_e64 v5, v7, v22, s1
	s_delay_alu instid0(VALU_DEP_1) | instskip(NEXT) | instid1(VALU_DEP_1)
	v_and_or_b32 v5, 0x80000000, v6, v5
	v_cmp_eq_f32_e64 s1, s3, v5
	s_delay_alu instid0(VALU_DEP_1) | instskip(SKIP_1) | instid1(VALU_DEP_1)
	v_cndmask_b32_e64 v6, 0, 1, s1
	v_cmp_neq_f32_e64 s1, s3, v5
	v_cndmask_b32_e64 v5, 0, 1, s1
	s_delay_alu instid0(VALU_DEP_1) | instskip(NEXT) | instid1(VALU_DEP_1)
	v_cndmask_b32_e64 v5, v5, v6, s0
	v_dual_lshrrev_b32 v6, 16, v2 :: v_dual_bitop2_b32 v5, 1, v5 bitop3:0x40
	s_delay_alu instid0(VALU_DEP_1) | instskip(NEXT) | instid1(VALU_DEP_1)
	v_lshlrev_b16 v5, 8, v5
	v_bitop3_b16 v5, v6, v5, 0xff bitop3:0xec
	s_delay_alu instid0(VALU_DEP_1) | instskip(NEXT) | instid1(VALU_DEP_1)
	v_lshlrev_b32_e32 v5, 16, v5
	v_and_or_b32 v2, 0xffff, v2, v5
.LBB235_43:
	s_or_b32 exec_lo, exec_lo, s6
	v_or_b32_e32 v5, 0x400, v0
	s_mov_b32 s6, exec_lo
	s_delay_alu instid0(VALU_DEP_1)
	v_cmpx_gt_i32_e64 s11, v5
	s_cbranch_execz .LBB235_45
; %bb.44:
	v_lshlrev_b16 v6, 8, v21
	v_lshlrev_b32_e32 v5, 25, v21
	s_delay_alu instid0(VALU_DEP_2) | instskip(SKIP_1) | instid1(VALU_DEP_2)
	v_and_or_b32 v21, 0x7f00, v6, 0.5
	v_bfe_i32 v6, v6, 0, 16
	v_add_f32_e32 v21, -0.5, v21
	s_delay_alu instid0(VALU_DEP_4) | instskip(SKIP_1) | instid1(VALU_DEP_2)
	v_lshrrev_b32_e32 v7, 4, v5
	v_cmp_gt_u32_e64 s1, 0x8000000, v5
	v_or_b32_e32 v7, 0x70000000, v7
	s_delay_alu instid0(VALU_DEP_1) | instskip(NEXT) | instid1(VALU_DEP_1)
	v_mul_f32_e32 v7, 0x7800000, v7
	v_cndmask_b32_e64 v5, v7, v21, s1
	v_and_b32_e32 v7, 0xffffff00, v1
	s_delay_alu instid0(VALU_DEP_2) | instskip(NEXT) | instid1(VALU_DEP_1)
	v_and_or_b32 v5, 0x80000000, v6, v5
	v_cmp_eq_f32_e64 s1, s3, v5
	s_delay_alu instid0(VALU_DEP_1) | instskip(SKIP_1) | instid1(VALU_DEP_1)
	v_cndmask_b32_e64 v6, 0, 1, s1
	v_cmp_neq_f32_e64 s1, s3, v5
	v_cndmask_b32_e64 v5, 0, 1, s1
	s_delay_alu instid0(VALU_DEP_1) | instskip(NEXT) | instid1(VALU_DEP_1)
	v_cndmask_b32_e64 v5, v5, v6, s0
	v_bitop3_b16 v5, v5, v7, 1 bitop3:0xec
	s_delay_alu instid0(VALU_DEP_1) | instskip(NEXT) | instid1(VALU_DEP_1)
	v_and_b32_e32 v5, 0xffff, v5
	v_and_or_b32 v1, 0xffff0000, v1, v5
.LBB235_45:
	s_or_b32 exec_lo, exec_lo, s6
	v_or_b32_e32 v5, 0x500, v0
	s_mov_b32 s6, exec_lo
	s_delay_alu instid0(VALU_DEP_1)
	v_cmpx_gt_i32_e64 s11, v5
	s_cbranch_execz .LBB235_47
; %bb.46:
	v_lshlrev_b16 v6, 8, v20
	v_lshlrev_b32_e32 v5, 25, v20
	s_delay_alu instid0(VALU_DEP_2) | instskip(SKIP_1) | instid1(VALU_DEP_2)
	v_and_or_b32 v20, 0x7f00, v6, 0.5
	v_bfe_i32 v6, v6, 0, 16
	v_dual_add_f32 v20, -0.5, v20 :: v_dual_lshrrev_b32 v7, 4, v5
	v_cmp_gt_u32_e64 s1, 0x8000000, v5
	s_delay_alu instid0(VALU_DEP_2) | instskip(NEXT) | instid1(VALU_DEP_1)
	v_or_b32_e32 v7, 0x70000000, v7
	v_mul_f32_e32 v7, 0x7800000, v7
	s_delay_alu instid0(VALU_DEP_1) | instskip(NEXT) | instid1(VALU_DEP_1)
	v_cndmask_b32_e64 v5, v7, v20, s1
	v_and_or_b32 v5, 0x80000000, v6, v5
	s_delay_alu instid0(VALU_DEP_1) | instskip(NEXT) | instid1(VALU_DEP_1)
	v_cmp_eq_f32_e64 s1, s3, v5
	v_cndmask_b32_e64 v6, 0, 1, s1
	v_cmp_neq_f32_e64 s1, s3, v5
	s_delay_alu instid0(VALU_DEP_1) | instskip(NEXT) | instid1(VALU_DEP_1)
	v_cndmask_b32_e64 v5, 0, 1, s1
	v_cndmask_b32_e64 v5, v5, v6, s0
	s_delay_alu instid0(VALU_DEP_1) | instskip(NEXT) | instid1(VALU_DEP_1)
	v_and_b32_e32 v5, 1, v5
	v_lshlrev_b16 v5, 8, v5
	s_delay_alu instid0(VALU_DEP_1) | instskip(NEXT) | instid1(VALU_DEP_1)
	v_bitop3_b16 v5, v1, v5, 0xff bitop3:0xec
	v_and_b32_e32 v5, 0xffff, v5
	s_delay_alu instid0(VALU_DEP_1)
	v_and_or_b32 v1, 0xffff0000, v1, v5
.LBB235_47:
	s_or_b32 exec_lo, exec_lo, s6
	v_or_b32_e32 v5, 0x600, v0
	s_mov_b32 s6, exec_lo
	s_delay_alu instid0(VALU_DEP_1)
	v_cmpx_gt_i32_e64 s11, v5
	s_cbranch_execz .LBB235_49
; %bb.48:
	v_lshlrev_b16 v6, 8, v19
	v_lshlrev_b32_e32 v5, 25, v19
	s_delay_alu instid0(VALU_DEP_2) | instskip(SKIP_1) | instid1(VALU_DEP_2)
	v_and_or_b32 v19, 0x7f00, v6, 0.5
	v_bfe_i32 v6, v6, 0, 16
	v_dual_add_f32 v19, -0.5, v19 :: v_dual_lshrrev_b32 v7, 4, v5
	v_cmp_gt_u32_e64 s1, 0x8000000, v5
	s_delay_alu instid0(VALU_DEP_2) | instskip(NEXT) | instid1(VALU_DEP_1)
	v_or_b32_e32 v7, 0x70000000, v7
	v_mul_f32_e32 v7, 0x7800000, v7
	s_delay_alu instid0(VALU_DEP_1) | instskip(NEXT) | instid1(VALU_DEP_1)
	v_cndmask_b32_e64 v5, v7, v19, s1
	v_and_or_b32 v5, 0x80000000, v6, v5
	v_lshrrev_b32_e32 v6, 16, v1
	s_delay_alu instid0(VALU_DEP_2) | instskip(NEXT) | instid1(VALU_DEP_2)
	v_cmp_eq_f32_e64 s1, s3, v5
	v_and_b32_e32 v6, 0xffffff00, v6
	s_delay_alu instid0(VALU_DEP_2) | instskip(SKIP_1) | instid1(VALU_DEP_1)
	v_cndmask_b32_e64 v7, 0, 1, s1
	v_cmp_neq_f32_e64 s1, s3, v5
	v_cndmask_b32_e64 v5, 0, 1, s1
	s_delay_alu instid0(VALU_DEP_1) | instskip(NEXT) | instid1(VALU_DEP_1)
	v_cndmask_b32_e64 v5, v5, v7, s0
	v_bitop3_b16 v5, v5, v6, 1 bitop3:0xec
	s_delay_alu instid0(VALU_DEP_1) | instskip(NEXT) | instid1(VALU_DEP_1)
	v_lshlrev_b32_e32 v5, 16, v5
	v_and_or_b32 v1, 0xffff, v1, v5
.LBB235_49:
	s_or_b32 exec_lo, exec_lo, s6
	v_or_b32_e32 v5, 0x700, v0
	s_mov_b32 s6, exec_lo
	s_delay_alu instid0(VALU_DEP_1)
	v_cmpx_gt_i32_e64 s11, v5
	s_cbranch_execz .LBB235_51
; %bb.50:
	v_lshlrev_b16 v6, 8, v18
	v_lshlrev_b32_e32 v5, 25, v18
	s_delay_alu instid0(VALU_DEP_2) | instskip(SKIP_1) | instid1(VALU_DEP_2)
	v_and_or_b32 v18, 0x7f00, v6, 0.5
	v_bfe_i32 v6, v6, 0, 16
	v_dual_add_f32 v18, -0.5, v18 :: v_dual_lshrrev_b32 v7, 4, v5
	v_cmp_gt_u32_e64 s1, 0x8000000, v5
	s_delay_alu instid0(VALU_DEP_2) | instskip(NEXT) | instid1(VALU_DEP_1)
	v_or_b32_e32 v7, 0x70000000, v7
	v_mul_f32_e32 v7, 0x7800000, v7
	s_delay_alu instid0(VALU_DEP_1) | instskip(NEXT) | instid1(VALU_DEP_1)
	v_cndmask_b32_e64 v5, v7, v18, s1
	v_and_or_b32 v5, 0x80000000, v6, v5
	s_delay_alu instid0(VALU_DEP_1) | instskip(NEXT) | instid1(VALU_DEP_1)
	v_cmp_eq_f32_e64 s1, s3, v5
	v_cndmask_b32_e64 v6, 0, 1, s1
	v_cmp_neq_f32_e64 s1, s3, v5
	s_delay_alu instid0(VALU_DEP_1) | instskip(NEXT) | instid1(VALU_DEP_1)
	v_cndmask_b32_e64 v5, 0, 1, s1
	v_dual_cndmask_b32 v5, v5, v6, s0 :: v_dual_lshrrev_b32 v6, 16, v1
	s_delay_alu instid0(VALU_DEP_1) | instskip(NEXT) | instid1(VALU_DEP_1)
	v_and_b32_e32 v5, 1, v5
	v_lshlrev_b16 v5, 8, v5
	s_delay_alu instid0(VALU_DEP_1) | instskip(NEXT) | instid1(VALU_DEP_1)
	v_bitop3_b16 v5, v6, v5, 0xff bitop3:0xec
	v_lshlrev_b32_e32 v5, 16, v5
	s_delay_alu instid0(VALU_DEP_1)
	v_and_or_b32 v1, 0xffff, v1, v5
.LBB235_51:
	s_or_b32 exec_lo, exec_lo, s6
	v_or_b32_e32 v5, 0x800, v0
	s_mov_b32 s6, exec_lo
	s_delay_alu instid0(VALU_DEP_1)
	v_cmpx_gt_i32_e64 s11, v5
	s_cbranch_execz .LBB235_53
; %bb.52:
	v_lshlrev_b16 v6, 8, v17
	v_lshlrev_b32_e32 v5, 25, v17
	s_delay_alu instid0(VALU_DEP_2) | instskip(SKIP_1) | instid1(VALU_DEP_2)
	v_and_or_b32 v17, 0x7f00, v6, 0.5
	v_bfe_i32 v6, v6, 0, 16
	v_add_f32_e32 v17, -0.5, v17
	s_delay_alu instid0(VALU_DEP_4) | instskip(SKIP_1) | instid1(VALU_DEP_2)
	v_lshrrev_b32_e32 v7, 4, v5
	v_cmp_gt_u32_e64 s1, 0x8000000, v5
	v_or_b32_e32 v7, 0x70000000, v7
	s_delay_alu instid0(VALU_DEP_1) | instskip(NEXT) | instid1(VALU_DEP_1)
	v_mul_f32_e32 v7, 0x7800000, v7
	v_cndmask_b32_e64 v5, v7, v17, s1
	v_and_b32_e32 v7, 0xffffff00, v4
	s_delay_alu instid0(VALU_DEP_2) | instskip(NEXT) | instid1(VALU_DEP_1)
	v_and_or_b32 v5, 0x80000000, v6, v5
	v_cmp_eq_f32_e64 s1, s3, v5
	s_delay_alu instid0(VALU_DEP_1) | instskip(SKIP_1) | instid1(VALU_DEP_1)
	v_cndmask_b32_e64 v6, 0, 1, s1
	v_cmp_neq_f32_e64 s1, s3, v5
	v_cndmask_b32_e64 v5, 0, 1, s1
	s_delay_alu instid0(VALU_DEP_1) | instskip(NEXT) | instid1(VALU_DEP_1)
	v_cndmask_b32_e64 v5, v5, v6, s0
	v_bitop3_b16 v5, v5, v7, 1 bitop3:0xec
	s_delay_alu instid0(VALU_DEP_1) | instskip(NEXT) | instid1(VALU_DEP_1)
	v_and_b32_e32 v5, 0xffff, v5
	v_and_or_b32 v4, 0xffff0000, v4, v5
.LBB235_53:
	s_or_b32 exec_lo, exec_lo, s6
	v_or_b32_e32 v5, 0x900, v0
	s_mov_b32 s6, exec_lo
	s_delay_alu instid0(VALU_DEP_1)
	v_cmpx_gt_i32_e64 s11, v5
	s_cbranch_execz .LBB235_55
; %bb.54:
	v_lshlrev_b16 v6, 8, v16
	v_lshlrev_b32_e32 v5, 25, v16
	s_delay_alu instid0(VALU_DEP_2) | instskip(SKIP_1) | instid1(VALU_DEP_2)
	v_and_or_b32 v16, 0x7f00, v6, 0.5
	v_bfe_i32 v6, v6, 0, 16
	v_dual_add_f32 v16, -0.5, v16 :: v_dual_lshrrev_b32 v7, 4, v5
	v_cmp_gt_u32_e64 s1, 0x8000000, v5
	s_delay_alu instid0(VALU_DEP_2) | instskip(NEXT) | instid1(VALU_DEP_1)
	v_or_b32_e32 v7, 0x70000000, v7
	v_mul_f32_e32 v7, 0x7800000, v7
	s_delay_alu instid0(VALU_DEP_1) | instskip(NEXT) | instid1(VALU_DEP_1)
	v_cndmask_b32_e64 v5, v7, v16, s1
	v_and_or_b32 v5, 0x80000000, v6, v5
	s_delay_alu instid0(VALU_DEP_1) | instskip(NEXT) | instid1(VALU_DEP_1)
	v_cmp_eq_f32_e64 s1, s3, v5
	v_cndmask_b32_e64 v6, 0, 1, s1
	v_cmp_neq_f32_e64 s1, s3, v5
	s_delay_alu instid0(VALU_DEP_1) | instskip(NEXT) | instid1(VALU_DEP_1)
	v_cndmask_b32_e64 v5, 0, 1, s1
	v_cndmask_b32_e64 v5, v5, v6, s0
	s_delay_alu instid0(VALU_DEP_1) | instskip(NEXT) | instid1(VALU_DEP_1)
	v_and_b32_e32 v5, 1, v5
	v_lshlrev_b16 v5, 8, v5
	s_delay_alu instid0(VALU_DEP_1) | instskip(NEXT) | instid1(VALU_DEP_1)
	v_bitop3_b16 v5, v4, v5, 0xff bitop3:0xec
	v_and_b32_e32 v5, 0xffff, v5
	s_delay_alu instid0(VALU_DEP_1)
	v_and_or_b32 v4, 0xffff0000, v4, v5
.LBB235_55:
	s_or_b32 exec_lo, exec_lo, s6
	v_or_b32_e32 v5, 0xa00, v0
	s_mov_b32 s6, exec_lo
	s_delay_alu instid0(VALU_DEP_1)
	v_cmpx_gt_i32_e64 s11, v5
	s_cbranch_execz .LBB235_57
; %bb.56:
	v_lshlrev_b16 v6, 8, v15
	v_lshlrev_b32_e32 v5, 25, v15
	s_delay_alu instid0(VALU_DEP_2) | instskip(SKIP_1) | instid1(VALU_DEP_2)
	v_and_or_b32 v15, 0x7f00, v6, 0.5
	v_bfe_i32 v6, v6, 0, 16
	v_dual_add_f32 v15, -0.5, v15 :: v_dual_lshrrev_b32 v7, 4, v5
	v_cmp_gt_u32_e64 s1, 0x8000000, v5
	s_delay_alu instid0(VALU_DEP_2) | instskip(NEXT) | instid1(VALU_DEP_1)
	v_or_b32_e32 v7, 0x70000000, v7
	v_mul_f32_e32 v7, 0x7800000, v7
	s_delay_alu instid0(VALU_DEP_1) | instskip(NEXT) | instid1(VALU_DEP_1)
	v_cndmask_b32_e64 v5, v7, v15, s1
	v_and_or_b32 v5, 0x80000000, v6, v5
	v_lshrrev_b32_e32 v6, 16, v4
	s_delay_alu instid0(VALU_DEP_2) | instskip(NEXT) | instid1(VALU_DEP_2)
	v_cmp_eq_f32_e64 s1, s3, v5
	v_and_b32_e32 v6, 0xffffff00, v6
	s_delay_alu instid0(VALU_DEP_2) | instskip(SKIP_1) | instid1(VALU_DEP_1)
	v_cndmask_b32_e64 v7, 0, 1, s1
	v_cmp_neq_f32_e64 s1, s3, v5
	v_cndmask_b32_e64 v5, 0, 1, s1
	s_delay_alu instid0(VALU_DEP_1) | instskip(NEXT) | instid1(VALU_DEP_1)
	v_cndmask_b32_e64 v5, v5, v7, s0
	v_bitop3_b16 v5, v5, v6, 1 bitop3:0xec
	s_delay_alu instid0(VALU_DEP_1) | instskip(NEXT) | instid1(VALU_DEP_1)
	v_lshlrev_b32_e32 v5, 16, v5
	v_and_or_b32 v4, 0xffff, v4, v5
.LBB235_57:
	s_or_b32 exec_lo, exec_lo, s6
	v_or_b32_e32 v5, 0xb00, v0
	s_mov_b32 s6, exec_lo
	s_delay_alu instid0(VALU_DEP_1)
	v_cmpx_gt_i32_e64 s11, v5
	s_cbranch_execz .LBB235_59
; %bb.58:
	v_lshlrev_b16 v6, 8, v14
	v_lshlrev_b32_e32 v5, 25, v14
	s_delay_alu instid0(VALU_DEP_2) | instskip(SKIP_1) | instid1(VALU_DEP_2)
	v_and_or_b32 v14, 0x7f00, v6, 0.5
	v_bfe_i32 v6, v6, 0, 16
	v_dual_add_f32 v14, -0.5, v14 :: v_dual_lshrrev_b32 v7, 4, v5
	v_cmp_gt_u32_e64 s1, 0x8000000, v5
	s_delay_alu instid0(VALU_DEP_2) | instskip(NEXT) | instid1(VALU_DEP_1)
	v_or_b32_e32 v7, 0x70000000, v7
	v_mul_f32_e32 v7, 0x7800000, v7
	s_delay_alu instid0(VALU_DEP_1) | instskip(NEXT) | instid1(VALU_DEP_1)
	v_cndmask_b32_e64 v5, v7, v14, s1
	v_and_or_b32 v5, 0x80000000, v6, v5
	s_delay_alu instid0(VALU_DEP_1) | instskip(NEXT) | instid1(VALU_DEP_1)
	v_cmp_eq_f32_e64 s1, s3, v5
	v_cndmask_b32_e64 v6, 0, 1, s1
	v_cmp_neq_f32_e64 s1, s3, v5
	s_delay_alu instid0(VALU_DEP_1) | instskip(NEXT) | instid1(VALU_DEP_1)
	v_cndmask_b32_e64 v5, 0, 1, s1
	v_dual_cndmask_b32 v5, v5, v6, s0 :: v_dual_lshrrev_b32 v6, 16, v4
	s_delay_alu instid0(VALU_DEP_1) | instskip(NEXT) | instid1(VALU_DEP_1)
	v_and_b32_e32 v5, 1, v5
	v_lshlrev_b16 v5, 8, v5
	s_delay_alu instid0(VALU_DEP_1) | instskip(NEXT) | instid1(VALU_DEP_1)
	v_bitop3_b16 v5, v6, v5, 0xff bitop3:0xec
	v_lshlrev_b32_e32 v5, 16, v5
	s_delay_alu instid0(VALU_DEP_1)
	v_and_or_b32 v4, 0xffff, v4, v5
.LBB235_59:
	s_or_b32 exec_lo, exec_lo, s6
	v_or_b32_e32 v5, 0xc00, v0
	s_mov_b32 s6, exec_lo
	s_delay_alu instid0(VALU_DEP_1)
	v_cmpx_gt_i32_e64 s11, v5
	s_cbranch_execz .LBB235_61
; %bb.60:
	v_lshlrev_b16 v6, 8, v13
	v_lshlrev_b32_e32 v5, 25, v13
	s_delay_alu instid0(VALU_DEP_2) | instskip(SKIP_1) | instid1(VALU_DEP_2)
	v_and_or_b32 v13, 0x7f00, v6, 0.5
	v_bfe_i32 v6, v6, 0, 16
	v_add_f32_e32 v13, -0.5, v13
	s_delay_alu instid0(VALU_DEP_4) | instskip(SKIP_1) | instid1(VALU_DEP_2)
	v_lshrrev_b32_e32 v7, 4, v5
	v_cmp_gt_u32_e64 s1, 0x8000000, v5
	v_or_b32_e32 v7, 0x70000000, v7
	s_delay_alu instid0(VALU_DEP_1) | instskip(NEXT) | instid1(VALU_DEP_1)
	v_mul_f32_e32 v7, 0x7800000, v7
	v_cndmask_b32_e64 v5, v7, v13, s1
	v_and_b32_e32 v7, 0xffffff00, v3
	s_delay_alu instid0(VALU_DEP_2) | instskip(NEXT) | instid1(VALU_DEP_1)
	v_and_or_b32 v5, 0x80000000, v6, v5
	v_cmp_eq_f32_e64 s1, s3, v5
	s_delay_alu instid0(VALU_DEP_1) | instskip(SKIP_1) | instid1(VALU_DEP_1)
	v_cndmask_b32_e64 v6, 0, 1, s1
	v_cmp_neq_f32_e64 s1, s3, v5
	v_cndmask_b32_e64 v5, 0, 1, s1
	s_delay_alu instid0(VALU_DEP_1) | instskip(NEXT) | instid1(VALU_DEP_1)
	v_cndmask_b32_e64 v5, v5, v6, s0
	v_bitop3_b16 v5, v5, v7, 1 bitop3:0xec
	s_delay_alu instid0(VALU_DEP_1) | instskip(NEXT) | instid1(VALU_DEP_1)
	v_and_b32_e32 v5, 0xffff, v5
	v_and_or_b32 v3, 0xffff0000, v3, v5
.LBB235_61:
	s_or_b32 exec_lo, exec_lo, s6
	v_or_b32_e32 v5, 0xd00, v0
	s_mov_b32 s6, exec_lo
	s_delay_alu instid0(VALU_DEP_1)
	v_cmpx_gt_i32_e64 s11, v5
	s_cbranch_execz .LBB235_63
; %bb.62:
	v_lshlrev_b16 v6, 8, v12
	v_lshlrev_b32_e32 v5, 25, v12
	s_delay_alu instid0(VALU_DEP_2) | instskip(SKIP_1) | instid1(VALU_DEP_2)
	v_and_or_b32 v12, 0x7f00, v6, 0.5
	v_bfe_i32 v6, v6, 0, 16
	v_dual_add_f32 v12, -0.5, v12 :: v_dual_lshrrev_b32 v7, 4, v5
	v_cmp_gt_u32_e64 s1, 0x8000000, v5
	s_delay_alu instid0(VALU_DEP_2) | instskip(NEXT) | instid1(VALU_DEP_1)
	v_or_b32_e32 v7, 0x70000000, v7
	v_mul_f32_e32 v7, 0x7800000, v7
	s_delay_alu instid0(VALU_DEP_1) | instskip(NEXT) | instid1(VALU_DEP_1)
	v_cndmask_b32_e64 v5, v7, v12, s1
	v_and_or_b32 v5, 0x80000000, v6, v5
	s_delay_alu instid0(VALU_DEP_1) | instskip(NEXT) | instid1(VALU_DEP_1)
	v_cmp_eq_f32_e64 s1, s3, v5
	v_cndmask_b32_e64 v6, 0, 1, s1
	v_cmp_neq_f32_e64 s1, s3, v5
	s_delay_alu instid0(VALU_DEP_1) | instskip(NEXT) | instid1(VALU_DEP_1)
	v_cndmask_b32_e64 v5, 0, 1, s1
	v_cndmask_b32_e64 v5, v5, v6, s0
	s_delay_alu instid0(VALU_DEP_1) | instskip(NEXT) | instid1(VALU_DEP_1)
	v_and_b32_e32 v5, 1, v5
	v_lshlrev_b16 v5, 8, v5
	s_delay_alu instid0(VALU_DEP_1) | instskip(NEXT) | instid1(VALU_DEP_1)
	v_bitop3_b16 v5, v3, v5, 0xff bitop3:0xec
	v_and_b32_e32 v5, 0xffff, v5
	s_delay_alu instid0(VALU_DEP_1)
	v_and_or_b32 v3, 0xffff0000, v3, v5
.LBB235_63:
	s_or_b32 exec_lo, exec_lo, s6
	v_or_b32_e32 v5, 0xe00, v0
	s_mov_b32 s6, exec_lo
	s_delay_alu instid0(VALU_DEP_1)
	v_cmpx_gt_i32_e64 s11, v5
	s_cbranch_execz .LBB235_65
; %bb.64:
	v_lshlrev_b16 v6, 8, v11
	v_lshlrev_b32_e32 v5, 25, v11
	s_delay_alu instid0(VALU_DEP_2) | instskip(SKIP_1) | instid1(VALU_DEP_2)
	v_and_or_b32 v11, 0x7f00, v6, 0.5
	v_bfe_i32 v6, v6, 0, 16
	v_dual_add_f32 v11, -0.5, v11 :: v_dual_lshrrev_b32 v7, 4, v5
	v_cmp_gt_u32_e64 s1, 0x8000000, v5
	s_delay_alu instid0(VALU_DEP_2) | instskip(NEXT) | instid1(VALU_DEP_1)
	v_or_b32_e32 v7, 0x70000000, v7
	v_mul_f32_e32 v7, 0x7800000, v7
	s_delay_alu instid0(VALU_DEP_1) | instskip(NEXT) | instid1(VALU_DEP_1)
	v_cndmask_b32_e64 v5, v7, v11, s1
	v_and_or_b32 v5, 0x80000000, v6, v5
	v_lshrrev_b32_e32 v6, 16, v3
	s_delay_alu instid0(VALU_DEP_2) | instskip(NEXT) | instid1(VALU_DEP_2)
	v_cmp_eq_f32_e64 s1, s3, v5
	v_and_b32_e32 v6, 0xffffff00, v6
	s_delay_alu instid0(VALU_DEP_2) | instskip(SKIP_1) | instid1(VALU_DEP_1)
	v_cndmask_b32_e64 v7, 0, 1, s1
	v_cmp_neq_f32_e64 s1, s3, v5
	v_cndmask_b32_e64 v5, 0, 1, s1
	s_delay_alu instid0(VALU_DEP_1) | instskip(NEXT) | instid1(VALU_DEP_1)
	v_cndmask_b32_e64 v5, v5, v7, s0
	v_bitop3_b16 v5, v5, v6, 1 bitop3:0xec
	s_delay_alu instid0(VALU_DEP_1) | instskip(NEXT) | instid1(VALU_DEP_1)
	v_lshlrev_b32_e32 v5, 16, v5
	v_and_or_b32 v3, 0xffff, v3, v5
.LBB235_65:
	s_or_b32 exec_lo, exec_lo, s6
	v_or_b32_e32 v5, 0xf00, v0
	s_mov_b32 s6, exec_lo
	s_delay_alu instid0(VALU_DEP_1)
	v_cmpx_gt_i32_e64 s11, v5
	s_cbranch_execnz .LBB235_84
; %bb.66:
	s_or_b32 exec_lo, exec_lo, s6
	s_and_saveexec_b32 s0, vcc_lo
	s_delay_alu instid0(SALU_CYCLE_1)
	s_xor_b32 s0, exec_lo, s0
	s_cbranch_execnz .LBB235_85
.LBB235_67:
	s_or_b32 exec_lo, exec_lo, s0
	s_delay_alu instid0(SALU_CYCLE_1)
	s_mov_b32 s0, exec_lo
	v_cmpx_gt_i32_e64 s11, v0
	s_cbranch_execnz .LBB235_86
.LBB235_68:
	s_or_b32 exec_lo, exec_lo, s0
	s_delay_alu instid0(SALU_CYCLE_1)
	s_mov_b32 s0, exec_lo
	v_cmpx_gt_i32_e64 s11, v0
	s_cbranch_execnz .LBB235_87
.LBB235_69:
	s_or_b32 exec_lo, exec_lo, s0
	s_delay_alu instid0(SALU_CYCLE_1)
	s_mov_b32 s0, exec_lo
	v_cmpx_gt_i32_e64 s11, v0
	s_cbranch_execnz .LBB235_88
.LBB235_70:
	s_or_b32 exec_lo, exec_lo, s0
	s_delay_alu instid0(SALU_CYCLE_1)
	s_mov_b32 s0, exec_lo
	v_cmpx_gt_i32_e64 s11, v0
	s_cbranch_execnz .LBB235_89
.LBB235_71:
	s_or_b32 exec_lo, exec_lo, s0
	s_delay_alu instid0(SALU_CYCLE_1)
	s_mov_b32 s0, exec_lo
	v_cmpx_gt_i32_e64 s11, v0
	s_cbranch_execnz .LBB235_90
.LBB235_72:
	s_or_b32 exec_lo, exec_lo, s0
	s_delay_alu instid0(SALU_CYCLE_1)
	s_mov_b32 s0, exec_lo
	v_cmpx_gt_i32_e64 s11, v0
	s_cbranch_execnz .LBB235_91
.LBB235_73:
	s_or_b32 exec_lo, exec_lo, s0
	s_delay_alu instid0(SALU_CYCLE_1)
	s_mov_b32 s0, exec_lo
	v_cmpx_gt_i32_e64 s11, v0
	s_cbranch_execnz .LBB235_92
.LBB235_74:
	s_or_b32 exec_lo, exec_lo, s0
	s_delay_alu instid0(SALU_CYCLE_1)
	s_mov_b32 s0, exec_lo
	v_cmpx_gt_i32_e64 s11, v0
	s_cbranch_execnz .LBB235_93
.LBB235_75:
	s_or_b32 exec_lo, exec_lo, s0
	s_delay_alu instid0(SALU_CYCLE_1)
	s_mov_b32 s0, exec_lo
	v_cmpx_gt_i32_e64 s11, v0
	s_cbranch_execnz .LBB235_94
.LBB235_76:
	s_or_b32 exec_lo, exec_lo, s0
	s_delay_alu instid0(SALU_CYCLE_1)
	s_mov_b32 s0, exec_lo
	v_cmpx_gt_i32_e64 s11, v0
	s_cbranch_execnz .LBB235_95
.LBB235_77:
	s_or_b32 exec_lo, exec_lo, s0
	s_delay_alu instid0(SALU_CYCLE_1)
	s_mov_b32 s0, exec_lo
	v_cmpx_gt_i32_e64 s11, v0
	s_cbranch_execnz .LBB235_96
.LBB235_78:
	s_or_b32 exec_lo, exec_lo, s0
	s_delay_alu instid0(SALU_CYCLE_1)
	s_mov_b32 s0, exec_lo
	v_cmpx_gt_i32_e64 s11, v0
	s_cbranch_execnz .LBB235_97
.LBB235_79:
	s_or_b32 exec_lo, exec_lo, s0
	s_delay_alu instid0(SALU_CYCLE_1)
	s_mov_b32 s0, exec_lo
	v_cmpx_gt_i32_e64 s11, v0
	s_cbranch_execnz .LBB235_98
.LBB235_80:
	s_or_b32 exec_lo, exec_lo, s0
	s_delay_alu instid0(SALU_CYCLE_1)
	s_mov_b32 s0, exec_lo
	v_cmpx_gt_i32_e64 s11, v0
	s_cbranch_execnz .LBB235_99
.LBB235_81:
	s_or_b32 exec_lo, exec_lo, s0
	s_delay_alu instid0(SALU_CYCLE_1)
	s_mov_b32 s0, exec_lo
	v_cmpx_gt_i32_e64 s11, v0
	s_cbranch_execz .LBB235_83
.LBB235_82:
	v_dual_lshrrev_b32 v1, 24, v3 :: v_dual_add_nc_u32 v0, s2, v0
	global_store_b8 v0, v1, s[4:5]
.LBB235_83:
	s_endpgm
.LBB235_84:
	v_lshlrev_b16 v6, 8, v10
	v_lshlrev_b32_e32 v5, 25, v10
	s_delay_alu instid0(VALU_DEP_2) | instskip(SKIP_1) | instid1(VALU_DEP_2)
	v_and_or_b32 v10, 0x7f00, v6, 0.5
	v_bfe_i32 v6, v6, 0, 16
	v_dual_add_f32 v10, -0.5, v10 :: v_dual_lshrrev_b32 v7, 4, v5
	v_cmp_gt_u32_e64 s1, 0x8000000, v5
	s_delay_alu instid0(VALU_DEP_2) | instskip(NEXT) | instid1(VALU_DEP_1)
	v_or_b32_e32 v7, 0x70000000, v7
	v_mul_f32_e32 v7, 0x7800000, v7
	s_delay_alu instid0(VALU_DEP_1) | instskip(NEXT) | instid1(VALU_DEP_1)
	v_cndmask_b32_e64 v5, v7, v10, s1
	v_and_or_b32 v5, 0x80000000, v6, v5
	s_delay_alu instid0(VALU_DEP_1) | instskip(NEXT) | instid1(VALU_DEP_1)
	v_cmp_eq_f32_e64 s1, s3, v5
	v_cndmask_b32_e64 v6, 0, 1, s1
	v_cmp_neq_f32_e64 s1, s3, v5
	s_delay_alu instid0(VALU_DEP_1) | instskip(NEXT) | instid1(VALU_DEP_1)
	v_cndmask_b32_e64 v5, 0, 1, s1
	v_dual_cndmask_b32 v5, v5, v6, s0 :: v_dual_lshrrev_b32 v6, 16, v3
	s_delay_alu instid0(VALU_DEP_1) | instskip(NEXT) | instid1(VALU_DEP_1)
	v_and_b32_e32 v5, 1, v5
	v_lshlrev_b16 v5, 8, v5
	s_delay_alu instid0(VALU_DEP_1) | instskip(NEXT) | instid1(VALU_DEP_1)
	v_bitop3_b16 v5, v6, v5, 0xff bitop3:0xec
	v_lshlrev_b32_e32 v5, 16, v5
	s_delay_alu instid0(VALU_DEP_1) | instskip(SKIP_2) | instid1(SALU_CYCLE_1)
	v_and_or_b32 v3, 0xffff, v3, v5
	s_or_b32 exec_lo, exec_lo, s6
	s_and_saveexec_b32 s0, vcc_lo
	s_xor_b32 s0, exec_lo, s0
	s_cbranch_execz .LBB235_67
.LBB235_85:
	v_mov_b32_e32 v0, v9
	global_store_b8 v8, v2, s[4:5]
	s_wait_xcnt 0x0
	s_or_b32 exec_lo, exec_lo, s0
	s_delay_alu instid0(SALU_CYCLE_1)
	s_mov_b32 s0, exec_lo
	v_cmpx_gt_i32_e64 s11, v0
	s_cbranch_execz .LBB235_68
.LBB235_86:
	v_dual_lshrrev_b32 v5, 8, v2 :: v_dual_add_nc_u32 v6, s2, v0
	v_add_nc_u32_e32 v0, 0x100, v0
	global_store_b8 v6, v5, s[4:5]
	s_wait_xcnt 0x0
	s_or_b32 exec_lo, exec_lo, s0
	s_delay_alu instid0(SALU_CYCLE_1)
	s_mov_b32 s0, exec_lo
	v_cmpx_gt_i32_e64 s11, v0
	s_cbranch_execz .LBB235_69
.LBB235_87:
	v_add_nc_u32_e32 v5, s2, v0
	v_add_nc_u32_e32 v0, 0x100, v0
	global_store_d16_hi_b8 v5, v2, s[4:5]
	s_wait_xcnt 0x0
	s_or_b32 exec_lo, exec_lo, s0
	s_delay_alu instid0(SALU_CYCLE_1)
	s_mov_b32 s0, exec_lo
	v_cmpx_gt_i32_e64 s11, v0
	s_cbranch_execz .LBB235_70
.LBB235_88:
	v_dual_lshrrev_b32 v2, 24, v2 :: v_dual_add_nc_u32 v5, s2, v0
	v_add_nc_u32_e32 v0, 0x100, v0
	global_store_b8 v5, v2, s[4:5]
	s_wait_xcnt 0x0
	s_or_b32 exec_lo, exec_lo, s0
	s_delay_alu instid0(SALU_CYCLE_1)
	s_mov_b32 s0, exec_lo
	v_cmpx_gt_i32_e64 s11, v0
	s_cbranch_execz .LBB235_71
.LBB235_89:
	v_add_nc_u32_e32 v2, s2, v0
	v_add_nc_u32_e32 v0, 0x100, v0
	global_store_b8 v2, v1, s[4:5]
	s_wait_xcnt 0x0
	s_or_b32 exec_lo, exec_lo, s0
	s_delay_alu instid0(SALU_CYCLE_1)
	s_mov_b32 s0, exec_lo
	v_cmpx_gt_i32_e64 s11, v0
	s_cbranch_execz .LBB235_72
.LBB235_90:
	v_dual_lshrrev_b32 v2, 8, v1 :: v_dual_add_nc_u32 v5, s2, v0
	v_add_nc_u32_e32 v0, 0x100, v0
	global_store_b8 v5, v2, s[4:5]
	s_wait_xcnt 0x0
	s_or_b32 exec_lo, exec_lo, s0
	s_delay_alu instid0(SALU_CYCLE_1)
	s_mov_b32 s0, exec_lo
	v_cmpx_gt_i32_e64 s11, v0
	s_cbranch_execz .LBB235_73
.LBB235_91:
	v_add_nc_u32_e32 v2, s2, v0
	v_add_nc_u32_e32 v0, 0x100, v0
	global_store_d16_hi_b8 v2, v1, s[4:5]
	s_wait_xcnt 0x0
	s_or_b32 exec_lo, exec_lo, s0
	s_delay_alu instid0(SALU_CYCLE_1)
	s_mov_b32 s0, exec_lo
	v_cmpx_gt_i32_e64 s11, v0
	s_cbranch_execz .LBB235_74
.LBB235_92:
	v_dual_lshrrev_b32 v1, 24, v1 :: v_dual_add_nc_u32 v2, s2, v0
	v_add_nc_u32_e32 v0, 0x100, v0
	global_store_b8 v2, v1, s[4:5]
	s_wait_xcnt 0x0
	s_or_b32 exec_lo, exec_lo, s0
	s_delay_alu instid0(SALU_CYCLE_1)
	s_mov_b32 s0, exec_lo
	v_cmpx_gt_i32_e64 s11, v0
	s_cbranch_execz .LBB235_75
.LBB235_93:
	v_add_nc_u32_e32 v1, s2, v0
	v_add_nc_u32_e32 v0, 0x100, v0
	global_store_b8 v1, v4, s[4:5]
	s_wait_xcnt 0x0
	s_or_b32 exec_lo, exec_lo, s0
	s_delay_alu instid0(SALU_CYCLE_1)
	s_mov_b32 s0, exec_lo
	v_cmpx_gt_i32_e64 s11, v0
	s_cbranch_execz .LBB235_76
.LBB235_94:
	v_lshrrev_b32_e32 v1, 8, v4
	v_add_nc_u32_e32 v2, s2, v0
	v_add_nc_u32_e32 v0, 0x100, v0
	global_store_b8 v2, v1, s[4:5]
	s_wait_xcnt 0x0
	s_or_b32 exec_lo, exec_lo, s0
	s_delay_alu instid0(SALU_CYCLE_1)
	s_mov_b32 s0, exec_lo
	v_cmpx_gt_i32_e64 s11, v0
	s_cbranch_execz .LBB235_77
.LBB235_95:
	v_add_nc_u32_e32 v1, s2, v0
	v_add_nc_u32_e32 v0, 0x100, v0
	global_store_d16_hi_b8 v1, v4, s[4:5]
	s_wait_xcnt 0x0
	s_or_b32 exec_lo, exec_lo, s0
	s_delay_alu instid0(SALU_CYCLE_1)
	s_mov_b32 s0, exec_lo
	v_cmpx_gt_i32_e64 s11, v0
	s_cbranch_execz .LBB235_78
.LBB235_96:
	v_lshrrev_b32_e32 v1, 24, v4
	v_add_nc_u32_e32 v2, s2, v0
	v_add_nc_u32_e32 v0, 0x100, v0
	global_store_b8 v2, v1, s[4:5]
	s_wait_xcnt 0x0
	s_or_b32 exec_lo, exec_lo, s0
	s_delay_alu instid0(SALU_CYCLE_1)
	s_mov_b32 s0, exec_lo
	v_cmpx_gt_i32_e64 s11, v0
	s_cbranch_execz .LBB235_79
.LBB235_97:
	v_add_nc_u32_e32 v1, s2, v0
	v_add_nc_u32_e32 v0, 0x100, v0
	global_store_b8 v1, v3, s[4:5]
	s_wait_xcnt 0x0
	s_or_b32 exec_lo, exec_lo, s0
	s_delay_alu instid0(SALU_CYCLE_1)
	s_mov_b32 s0, exec_lo
	v_cmpx_gt_i32_e64 s11, v0
	s_cbranch_execz .LBB235_80
.LBB235_98:
	v_dual_lshrrev_b32 v1, 8, v3 :: v_dual_add_nc_u32 v2, s2, v0
	v_add_nc_u32_e32 v0, 0x100, v0
	global_store_b8 v2, v1, s[4:5]
	s_wait_xcnt 0x0
	s_or_b32 exec_lo, exec_lo, s0
	s_delay_alu instid0(SALU_CYCLE_1)
	s_mov_b32 s0, exec_lo
	v_cmpx_gt_i32_e64 s11, v0
	s_cbranch_execz .LBB235_81
.LBB235_99:
	v_add_nc_u32_e32 v1, s2, v0
	v_add_nc_u32_e32 v0, 0x100, v0
	global_store_d16_hi_b8 v1, v3, s[4:5]
	s_wait_xcnt 0x0
	s_or_b32 exec_lo, exec_lo, s0
	s_delay_alu instid0(SALU_CYCLE_1)
	s_mov_b32 s0, exec_lo
	v_cmpx_gt_i32_e64 s11, v0
	s_cbranch_execnz .LBB235_82
	s_branch .LBB235_83
	.section	.rodata,"a",@progbits
	.p2align	6, 0x0
	.amdhsa_kernel _ZN2at6native29vectorized_elementwise_kernelILi16ENS0_13AUnaryFunctorIN3c1011Float8_e5m2ES4_bNS0_12_GLOBAL__N_116CompareEqFunctorIS4_EEEESt5arrayIPcLm2EEEEviT0_T1_
		.amdhsa_group_segment_fixed_size 0
		.amdhsa_private_segment_fixed_size 0
		.amdhsa_kernarg_size 32
		.amdhsa_user_sgpr_count 2
		.amdhsa_user_sgpr_dispatch_ptr 0
		.amdhsa_user_sgpr_queue_ptr 0
		.amdhsa_user_sgpr_kernarg_segment_ptr 1
		.amdhsa_user_sgpr_dispatch_id 0
		.amdhsa_user_sgpr_kernarg_preload_length 0
		.amdhsa_user_sgpr_kernarg_preload_offset 0
		.amdhsa_user_sgpr_private_segment_size 0
		.amdhsa_wavefront_size32 1
		.amdhsa_uses_dynamic_stack 0
		.amdhsa_enable_private_segment 0
		.amdhsa_system_sgpr_workgroup_id_x 1
		.amdhsa_system_sgpr_workgroup_id_y 0
		.amdhsa_system_sgpr_workgroup_id_z 0
		.amdhsa_system_sgpr_workgroup_info 0
		.amdhsa_system_vgpr_workitem_id 0
		.amdhsa_next_free_vgpr 60
		.amdhsa_next_free_sgpr 23
		.amdhsa_named_barrier_count 0
		.amdhsa_reserve_vcc 1
		.amdhsa_float_round_mode_32 0
		.amdhsa_float_round_mode_16_64 0
		.amdhsa_float_denorm_mode_32 3
		.amdhsa_float_denorm_mode_16_64 3
		.amdhsa_fp16_overflow 0
		.amdhsa_memory_ordered 1
		.amdhsa_forward_progress 1
		.amdhsa_inst_pref_size 71
		.amdhsa_round_robin_scheduling 0
		.amdhsa_exception_fp_ieee_invalid_op 0
		.amdhsa_exception_fp_denorm_src 0
		.amdhsa_exception_fp_ieee_div_zero 0
		.amdhsa_exception_fp_ieee_overflow 0
		.amdhsa_exception_fp_ieee_underflow 0
		.amdhsa_exception_fp_ieee_inexact 0
		.amdhsa_exception_int_div_zero 0
	.end_amdhsa_kernel
	.section	.text._ZN2at6native29vectorized_elementwise_kernelILi16ENS0_13AUnaryFunctorIN3c1011Float8_e5m2ES4_bNS0_12_GLOBAL__N_116CompareEqFunctorIS4_EEEESt5arrayIPcLm2EEEEviT0_T1_,"axG",@progbits,_ZN2at6native29vectorized_elementwise_kernelILi16ENS0_13AUnaryFunctorIN3c1011Float8_e5m2ES4_bNS0_12_GLOBAL__N_116CompareEqFunctorIS4_EEEESt5arrayIPcLm2EEEEviT0_T1_,comdat
.Lfunc_end235:
	.size	_ZN2at6native29vectorized_elementwise_kernelILi16ENS0_13AUnaryFunctorIN3c1011Float8_e5m2ES4_bNS0_12_GLOBAL__N_116CompareEqFunctorIS4_EEEESt5arrayIPcLm2EEEEviT0_T1_, .Lfunc_end235-_ZN2at6native29vectorized_elementwise_kernelILi16ENS0_13AUnaryFunctorIN3c1011Float8_e5m2ES4_bNS0_12_GLOBAL__N_116CompareEqFunctorIS4_EEEESt5arrayIPcLm2EEEEviT0_T1_
                                        ; -- End function
	.set _ZN2at6native29vectorized_elementwise_kernelILi16ENS0_13AUnaryFunctorIN3c1011Float8_e5m2ES4_bNS0_12_GLOBAL__N_116CompareEqFunctorIS4_EEEESt5arrayIPcLm2EEEEviT0_T1_.num_vgpr, 60
	.set _ZN2at6native29vectorized_elementwise_kernelILi16ENS0_13AUnaryFunctorIN3c1011Float8_e5m2ES4_bNS0_12_GLOBAL__N_116CompareEqFunctorIS4_EEEESt5arrayIPcLm2EEEEviT0_T1_.num_agpr, 0
	.set _ZN2at6native29vectorized_elementwise_kernelILi16ENS0_13AUnaryFunctorIN3c1011Float8_e5m2ES4_bNS0_12_GLOBAL__N_116CompareEqFunctorIS4_EEEESt5arrayIPcLm2EEEEviT0_T1_.numbered_sgpr, 23
	.set _ZN2at6native29vectorized_elementwise_kernelILi16ENS0_13AUnaryFunctorIN3c1011Float8_e5m2ES4_bNS0_12_GLOBAL__N_116CompareEqFunctorIS4_EEEESt5arrayIPcLm2EEEEviT0_T1_.num_named_barrier, 0
	.set _ZN2at6native29vectorized_elementwise_kernelILi16ENS0_13AUnaryFunctorIN3c1011Float8_e5m2ES4_bNS0_12_GLOBAL__N_116CompareEqFunctorIS4_EEEESt5arrayIPcLm2EEEEviT0_T1_.private_seg_size, 0
	.set _ZN2at6native29vectorized_elementwise_kernelILi16ENS0_13AUnaryFunctorIN3c1011Float8_e5m2ES4_bNS0_12_GLOBAL__N_116CompareEqFunctorIS4_EEEESt5arrayIPcLm2EEEEviT0_T1_.uses_vcc, 1
	.set _ZN2at6native29vectorized_elementwise_kernelILi16ENS0_13AUnaryFunctorIN3c1011Float8_e5m2ES4_bNS0_12_GLOBAL__N_116CompareEqFunctorIS4_EEEESt5arrayIPcLm2EEEEviT0_T1_.uses_flat_scratch, 0
	.set _ZN2at6native29vectorized_elementwise_kernelILi16ENS0_13AUnaryFunctorIN3c1011Float8_e5m2ES4_bNS0_12_GLOBAL__N_116CompareEqFunctorIS4_EEEESt5arrayIPcLm2EEEEviT0_T1_.has_dyn_sized_stack, 0
	.set _ZN2at6native29vectorized_elementwise_kernelILi16ENS0_13AUnaryFunctorIN3c1011Float8_e5m2ES4_bNS0_12_GLOBAL__N_116CompareEqFunctorIS4_EEEESt5arrayIPcLm2EEEEviT0_T1_.has_recursion, 0
	.set _ZN2at6native29vectorized_elementwise_kernelILi16ENS0_13AUnaryFunctorIN3c1011Float8_e5m2ES4_bNS0_12_GLOBAL__N_116CompareEqFunctorIS4_EEEESt5arrayIPcLm2EEEEviT0_T1_.has_indirect_call, 0
	.section	.AMDGPU.csdata,"",@progbits
; Kernel info:
; codeLenInByte = 9012
; TotalNumSgprs: 25
; NumVgprs: 60
; ScratchSize: 0
; MemoryBound: 0
; FloatMode: 240
; IeeeMode: 1
; LDSByteSize: 0 bytes/workgroup (compile time only)
; SGPRBlocks: 0
; VGPRBlocks: 3
; NumSGPRsForWavesPerEU: 25
; NumVGPRsForWavesPerEU: 60
; NamedBarCnt: 0
; Occupancy: 16
; WaveLimiterHint : 0
; COMPUTE_PGM_RSRC2:SCRATCH_EN: 0
; COMPUTE_PGM_RSRC2:USER_SGPR: 2
; COMPUTE_PGM_RSRC2:TRAP_HANDLER: 0
; COMPUTE_PGM_RSRC2:TGID_X_EN: 1
; COMPUTE_PGM_RSRC2:TGID_Y_EN: 0
; COMPUTE_PGM_RSRC2:TGID_Z_EN: 0
; COMPUTE_PGM_RSRC2:TIDIG_COMP_CNT: 0
	.section	.text._ZN2at6native29vectorized_elementwise_kernelILi8ENS0_13AUnaryFunctorIN3c1011Float8_e5m2ES4_bNS0_12_GLOBAL__N_116CompareEqFunctorIS4_EEEESt5arrayIPcLm2EEEEviT0_T1_,"axG",@progbits,_ZN2at6native29vectorized_elementwise_kernelILi8ENS0_13AUnaryFunctorIN3c1011Float8_e5m2ES4_bNS0_12_GLOBAL__N_116CompareEqFunctorIS4_EEEESt5arrayIPcLm2EEEEviT0_T1_,comdat
	.globl	_ZN2at6native29vectorized_elementwise_kernelILi8ENS0_13AUnaryFunctorIN3c1011Float8_e5m2ES4_bNS0_12_GLOBAL__N_116CompareEqFunctorIS4_EEEESt5arrayIPcLm2EEEEviT0_T1_ ; -- Begin function _ZN2at6native29vectorized_elementwise_kernelILi8ENS0_13AUnaryFunctorIN3c1011Float8_e5m2ES4_bNS0_12_GLOBAL__N_116CompareEqFunctorIS4_EEEESt5arrayIPcLm2EEEEviT0_T1_
	.p2align	8
	.type	_ZN2at6native29vectorized_elementwise_kernelILi8ENS0_13AUnaryFunctorIN3c1011Float8_e5m2ES4_bNS0_12_GLOBAL__N_116CompareEqFunctorIS4_EEEESt5arrayIPcLm2EEEEviT0_T1_,@function
_ZN2at6native29vectorized_elementwise_kernelILi8ENS0_13AUnaryFunctorIN3c1011Float8_e5m2ES4_bNS0_12_GLOBAL__N_116CompareEqFunctorIS4_EEEESt5arrayIPcLm2EEEEviT0_T1_: ; @_ZN2at6native29vectorized_elementwise_kernelILi8ENS0_13AUnaryFunctorIN3c1011Float8_e5m2ES4_bNS0_12_GLOBAL__N_116CompareEqFunctorIS4_EEEESt5arrayIPcLm2EEEEviT0_T1_
; %bb.0:
	s_clause 0x1
	s_load_b96 s[8:10], s[0:1], 0x0
	s_load_b128 s[4:7], s[0:1], 0x10
	s_wait_xcnt 0x0
	s_bfe_u32 s0, ttmp6, 0x4000c
	s_and_b32 s1, ttmp6, 15
	s_add_co_i32 s0, s0, 1
	s_getreg_b32 s2, hwreg(HW_REG_IB_STS2, 6, 4)
	s_mul_i32 s0, ttmp9, s0
	s_delay_alu instid0(SALU_CYCLE_1) | instskip(SKIP_2) | instid1(SALU_CYCLE_1)
	s_add_co_i32 s1, s1, s0
	s_cmp_eq_u32 s2, 0
	s_cselect_b32 s0, ttmp9, s1
	s_lshl_b32 s2, s0, 12
	s_mov_b32 s0, -1
	s_wait_kmcnt 0x0
	s_sub_co_i32 s11, s8, s2
	s_delay_alu instid0(SALU_CYCLE_1)
	s_cmp_gt_i32 s11, 0xfff
	s_cbranch_scc0 .LBB236_2
; %bb.1:
	s_ashr_i32 s3, s2, 31
	s_cmp_eq_u32 s9, 0
	s_add_nc_u64 s[0:1], s[6:7], s[2:3]
	s_cselect_b32 vcc_lo, -1, 0
	s_clause 0x1
	global_load_b64 v[2:3], v0, s[0:1] scale_offset
	global_load_b64 v[4:5], v0, s[0:1] offset:2048 scale_offset
	s_wait_xcnt 0x0
	s_lshl_b32 s0, s10, 8
	s_lshl_b32 s1, s10, 25
	s_and_b32 s0, s0, 0x7f00
	s_lshr_b32 s8, s1, 4
	s_or_b32 s0, s0, 0.5
	s_or_b32 s8, s8, 0x70000000
	s_add_f32 s0, s0, -0.5
	s_mul_f32 s8, s8, 0x7800000
	s_mov_b32 s13, 0xfe00000
	s_cmp_lt_u32 s1, 0x8000000
	s_delay_alu instid0(SALU_CYCLE_1) | instskip(SKIP_3) | instid1(SALU_CYCLE_1)
	s_cselect_b32 s0, s0, s8
	s_lshl_b32 s1, s10, 24
	s_mov_b32 s8, 0x7800000
	s_and_b32 s1, s1, 0x80000000
	s_or_b32 s12, s1, s0
	s_wait_loadcnt 0x1
	v_dual_lshrrev_b32 v8, 8, v2 :: v_dual_lshrrev_b32 v10, 16, v2
	v_dual_lshlrev_b32 v37, 8, v2 :: v_dual_lshlrev_b32 v12, 5, v2
	v_dual_lshrrev_b32 v14, 3, v2 :: v_dual_lshrrev_b32 v24, 8, v3
	v_lshlrev_b16 v1, 8, v2
	v_dual_lshlrev_b32 v34, 17, v2 :: v_dual_lshlrev_b32 v35, 25, v2
	v_dual_lshlrev_b32 v6, 13, v2 :: v_dual_lshlrev_b32 v36, 16, v2
	v_lshlrev_b16 v22, 8, v3
	v_dual_lshrrev_b32 v23, 16, v3 :: v_dual_lshlrev_b32 v38, 17, v3
	v_dual_lshlrev_b32 v20, 5, v3 :: v_dual_lshrrev_b32 v21, 3, v3
	v_dual_lshlrev_b32 v55, 17, v10 :: v_dual_lshlrev_b32 v56, 17, v8
	v_and_or_b32 v17, v14, s13, 0x70000000
	v_and_or_b32 v16, v12, s13, 0x70000000
	v_and_or_b32 v19, 0x7f00, v10, 0.5
	v_and_or_b32 v18, 0x7f00, v8, 0.5
	v_dual_lshlrev_b32 v39, 25, v3 :: v_dual_lshlrev_b32 v25, 13, v3
	s_wait_loadcnt 0x0
	v_dual_lshrrev_b32 v27, 8, v4 :: v_dual_lshrrev_b32 v28, 16, v4
	v_dual_lshlrev_b32 v45, 8, v4 :: v_dual_lshlrev_b32 v30, 5, v4
	v_dual_lshrrev_b32 v31, 3, v4 :: v_dual_lshrrev_b32 v46, 8, v5
	v_bfe_i32 v54, v1, 0, 16
	v_dual_lshrrev_b32 v57, 4, v35 :: v_dual_lshlrev_b32 v59, 17, v24
	v_and_or_b32 v15, v6, s13, 0x70000000
	v_and_or_b32 v6, 0x7f00, v1, 0.5
	v_bfe_i32 v1, v22, 0, 16
	v_and_or_b32 v21, v21, s13, 0x70000000
	v_and_or_b32 v20, v20, s13, 0x70000000
	v_and_or_b32 v8, 0x7f00, v22, 0.5
	v_and_or_b32 v22, 0x7f00, v24, 0.5
	v_pk_add_f32 v[18:19], v[18:19], -0.5 op_sel_hi:[1,0]
	v_pk_mul_f32 v[16:17], v[16:17], s[8:9] op_sel_hi:[1,0]
	v_cmp_gt_u32_e64 s0, 0x8000000, v56
	v_lshlrev_b32_e32 v58, 17, v23
	v_and_or_b32 v23, 0x7f00, v23, 0.5
	v_cmp_gt_u32_e64 s1, 0x8000000, v55
	v_dual_lshlrev_b32 v48, 25, v5 :: v_dual_lshlrev_b32 v49, 13, v5
	v_dual_lshrrev_b32 v24, 4, v39 :: v_dual_lshlrev_b32 v61, 17, v28
	s_delay_alu instid0(VALU_DEP_3)
	v_dual_cndmask_b32 v55, v17, v19, s1 :: v_dual_cndmask_b32 v56, v16, v18, s0
	v_and_or_b32 v17, v31, s13, 0x70000000
	v_and_or_b32 v16, v30, s13, 0x70000000
	v_and_or_b32 v19, 0x7f00, v28, 0.5
	v_and_or_b32 v18, 0x7f00, v27, 0.5
	v_pk_add_f32 v[22:23], v[22:23], -0.5 op_sel_hi:[1,0]
	v_pk_mul_f32 v[20:21], v[20:21], s[8:9] op_sel_hi:[1,0]
	v_cmp_gt_u32_e64 s0, 0x8000000, v59
	v_cmp_gt_u32_e64 s1, 0x8000000, v58
	v_lshlrev_b16 v26, 8, v4
	v_lshlrev_b16 v32, 8, v5
	v_dual_lshrrev_b32 v33, 16, v5 :: v_dual_lshlrev_b32 v47, 17, v5
	v_dual_lshlrev_b32 v52, 5, v5 :: v_dual_lshrrev_b32 v53, 3, v5
	v_lshlrev_b32_e32 v62, 17, v27
	v_pk_add_f32 v[18:19], v[18:19], -0.5 op_sel_hi:[1,0]
	v_pk_mul_f32 v[16:17], v[16:17], s[8:9] op_sel_hi:[1,0]
	v_dual_cndmask_b32 v23, v21, v23, s1 :: v_dual_cndmask_b32 v22, v20, v22, s0
	v_cmp_gt_u32_e64 s0, 0x8000000, v61
	v_dual_lshlrev_b32 v42, 17, v4 :: v_dual_lshlrev_b32 v43, 25, v4
	v_bfe_i32 v60, v26, 0, 16
	v_and_or_b32 v10, 0x7f00, v26, 0.5
	v_and_or_b32 v27, v53, s13, 0x70000000
	v_and_or_b32 v26, v52, s13, 0x70000000
	v_and_or_b32 v12, 0x7f00, v32, 0.5
	v_bfe_i32 v52, v32, 0, 16
	v_lshlrev_b32_e32 v53, 17, v33
	v_and_or_b32 v33, 0x7f00, v33, 0.5
	v_and_or_b32 v32, 0x7f00, v46, 0.5
	v_cndmask_b32_e64 v19, v17, v19, s0
	v_cmp_gt_u32_e64 s0, 0x8000000, v62
	v_dual_lshrrev_b32 v28, 4, v43 :: v_dual_lshlrev_b32 v46, 17, v46
	s_delay_alu instid0(VALU_DEP_4) | instskip(SKIP_1) | instid1(VALU_DEP_4)
	v_pk_add_f32 v[32:33], v[32:33], -0.5 op_sel_hi:[1,0]
	v_pk_mul_f32 v[26:27], v[26:27], s[8:9] op_sel_hi:[1,0]
	v_cndmask_b32_e64 v18, v16, v18, s0
	v_cmp_gt_u32_e64 s0, 0x8000000, v53
	v_and_or_b32 v7, 0x7f00, v2, 0.5
	v_or_b32_e32 v14, 0x70000000, v57
	v_and_or_b32 v9, 0x7f00, v3, 0.5
	v_and_or_b32 v25, v25, s13, 0x70000000
	v_cndmask_b32_e64 v27, v27, v33, s0
	v_cmp_gt_u32_e64 s0, 0x8000000, v46
	v_pk_add_f32 v[6:7], v[6:7], -0.5 op_sel_hi:[1,0]
	v_pk_mul_f32 v[14:15], v[14:15], s[8:9] op_sel_hi:[1,0]
	v_or_b32_e32 v24, 0x70000000, v24
	v_dual_lshlrev_b32 v29, 13, v4 :: v_dual_lshlrev_b32 v44, 16, v4
	v_cndmask_b32_e64 v26, v26, v32, s0
	v_cmp_gt_u32_e64 s0, 0x8000000, v34
	v_pk_add_f32 v[8:9], v[8:9], -0.5 op_sel_hi:[1,0]
	v_pk_mul_f32 v[24:25], v[24:25], s[8:9] op_sel_hi:[1,0]
	v_and_or_b32 v11, 0x7f00, v4, 0.5
	v_and_or_b32 v29, v29, s13, 0x70000000
	v_cndmask_b32_e64 v7, v15, v7, s0
	v_cmp_gt_u32_e64 s0, 0x8000000, v35
	v_or_b32_e32 v28, 0x70000000, v28
	v_lshrrev_b32_e32 v30, 4, v48
	v_pk_add_f32 v[10:11], v[10:11], -0.5 op_sel_hi:[1,0]
	v_and_or_b32 v13, 0x7f00, v5, 0.5
	v_cndmask_b32_e64 v6, v14, v6, s0
	v_cmp_gt_u32_e64 s0, 0x8000000, v38
	v_pk_mul_f32 v[20:21], v[28:29], s[8:9] op_sel_hi:[1,0]
	v_and_or_b32 v31, v49, s13, 0x70000000
	v_or_b32_e32 v30, 0x70000000, v30
	v_pk_add_f32 v[12:13], v[12:13], -0.5 op_sel_hi:[1,0]
	v_cndmask_b32_e64 v9, v25, v9, s0
	v_cmp_gt_u32_e64 s0, 0x8000000, v39
	v_and_or_b32 v14, 0x80000000, v37, v56
	v_pk_mul_f32 v[16:17], v[30:31], s[8:9] op_sel_hi:[1,0]
	v_dual_lshlrev_b32 v40, 16, v3 :: v_dual_lshlrev_b32 v41, 8, v3
	s_delay_alu instid0(VALU_DEP_4) | instskip(SKIP_3) | instid1(VALU_DEP_4)
	v_cndmask_b32_e64 v8, v24, v8, s0
	v_cmp_gt_u32_e64 s0, 0x8000000, v42
	v_dual_lshlrev_b32 v50, 16, v5 :: v_dual_lshlrev_b32 v51, 8, v5
	v_and_or_b32 v2, 0x80000000, v2, v55
	v_and_or_b32 v1, 0x80000000, v1, v8
	s_delay_alu instid0(VALU_DEP_4)
	v_cndmask_b32_e64 v11, v21, v11, s0
	v_cmp_gt_u32_e64 s0, 0x8000000, v43
	v_and_or_b32 v8, 0x80000000, v40, v9
	v_and_or_b32 v15, 0x80000000, v41, v22
	;; [unrolled: 1-line block ×4, first 2 shown]
	v_cndmask_b32_e64 v10, v20, v10, s0
	v_cmp_gt_u32_e64 s0, 0x8000000, v47
	v_and_or_b32 v18, 0x80000000, v45, v18
	v_and_or_b32 v5, 0x80000000, v5, v27
	;; [unrolled: 1-line block ×4, first 2 shown]
	v_cndmask_b32_e64 v13, v17, v13, s0
	v_cmp_gt_u32_e64 s0, 0x8000000, v48
	v_and_or_b32 v10, 0x80000000, v44, v11
	v_and_or_b32 v7, 0x80000000, v36, v7
	s_delay_alu instid0(VALU_DEP_3) | instskip(SKIP_2) | instid1(VALU_DEP_3)
	v_cndmask_b32_e64 v12, v16, v12, s0
	v_cmp_eq_f32_e64 s0, s12, v14
	v_and_or_b32 v16, 0x80000000, v51, v26
	v_and_or_b32 v11, 0x80000000, v52, v12
	;; [unrolled: 1-line block ×3, first 2 shown]
	s_delay_alu instid0(VALU_DEP_4) | instskip(SKIP_1) | instid1(VALU_DEP_1)
	v_cndmask_b32_e64 v13, 0, 1, s0
	v_cmp_neq_f32_e64 s0, s12, v14
	v_cndmask_b32_e64 v14, 0, 1, s0
	v_cmp_eq_f32_e64 s0, s12, v2
	s_delay_alu instid0(VALU_DEP_1) | instskip(SKIP_1) | instid1(VALU_DEP_1)
	v_cndmask_b32_e64 v17, 0, 1, s0
	v_cmp_neq_f32_e64 s0, s12, v2
	v_cndmask_b32_e64 v2, 0, 1, s0
	v_cmp_eq_f32_e64 s0, s12, v15
	s_delay_alu instid0(VALU_DEP_1) | instskip(SKIP_1) | instid1(VALU_DEP_1)
	v_cndmask_b32_e64 v19, 0, 1, s0
	v_cmp_neq_f32_e64 s0, s12, v15
	v_cndmask_b32_e64 v15, 0, 1, s0
	v_cmp_eq_f32_e64 s0, s12, v3
	s_delay_alu instid0(VALU_DEP_2) | instskip(NEXT) | instid1(VALU_DEP_2)
	v_dual_cndmask_b32 v13, v14, v13, vcc_lo :: v_dual_cndmask_b32 v15, v15, v19, vcc_lo
	v_cndmask_b32_e64 v20, 0, 1, s0
	v_cmp_neq_f32_e64 s0, s12, v3
	s_delay_alu instid0(VALU_DEP_1) | instskip(SKIP_1) | instid1(VALU_DEP_2)
	v_cndmask_b32_e64 v3, 0, 1, s0
	v_cmp_eq_f32_e64 s0, s12, v18
	v_dual_cndmask_b32 v2, v2, v17 :: v_dual_cndmask_b32 v3, v3, v20
	s_delay_alu instid0(VALU_DEP_2) | instskip(SKIP_1) | instid1(VALU_DEP_3)
	v_cndmask_b32_e64 v21, 0, 1, s0
	v_cmp_neq_f32_e64 s0, s12, v18
	v_and_b32_e32 v2, 1, v2
	s_delay_alu instid0(VALU_DEP_2) | instskip(SKIP_1) | instid1(VALU_DEP_3)
	v_cndmask_b32_e64 v18, 0, 1, s0
	v_cmp_eq_f32_e64 s0, s12, v4
	v_lshlrev_b16 v2, 8, v2
	s_delay_alu instid0(VALU_DEP_2) | instskip(SKIP_1) | instid1(VALU_DEP_3)
	v_cndmask_b32_e64 v22, 0, 1, s0
	v_cmp_neq_f32_e64 s0, s12, v4
	v_bitop3_b16 v2, v13, v2, 1 bitop3:0xec
	v_and_b32_e32 v3, 1, v3
	s_delay_alu instid0(VALU_DEP_3) | instskip(SKIP_1) | instid1(VALU_DEP_4)
	v_cndmask_b32_e64 v4, 0, 1, s0
	v_cmp_eq_f32_e64 s0, s12, v16
	v_dual_cndmask_b32 v18, v18, v21, vcc_lo :: v_dual_lshlrev_b32 v2, 16, v2
	s_delay_alu instid0(VALU_DEP_4) | instskip(NEXT) | instid1(VALU_DEP_4)
	v_lshlrev_b16 v3, 8, v3
	v_cndmask_b32_e32 v4, v4, v22, vcc_lo
	s_delay_alu instid0(VALU_DEP_4) | instskip(SKIP_1) | instid1(VALU_DEP_4)
	v_cndmask_b32_e64 v23, 0, 1, s0
	v_cmp_neq_f32_e64 s0, s12, v16
	v_bitop3_b16 v3, v15, v3, 1 bitop3:0xec
	s_delay_alu instid0(VALU_DEP_4) | instskip(NEXT) | instid1(VALU_DEP_3)
	v_and_b32_e32 v4, 1, v4
	v_cndmask_b32_e64 v16, 0, 1, s0
	v_cmp_eq_f32_e64 s0, s12, v5
	s_delay_alu instid0(VALU_DEP_3) | instskip(NEXT) | instid1(VALU_DEP_2)
	v_lshlrev_b16 v4, 8, v4
	v_cndmask_b32_e64 v24, 0, 1, s0
	v_cmp_neq_f32_e64 s0, s12, v5
	s_delay_alu instid0(VALU_DEP_3) | instskip(NEXT) | instid1(VALU_DEP_2)
	v_bitop3_b16 v4, v18, v4, 1 bitop3:0xec
	v_cndmask_b32_e64 v5, 0, 1, s0
	v_cmp_eq_f32_e64 s0, s12, v6
	s_delay_alu instid0(VALU_DEP_2) | instskip(NEXT) | instid1(VALU_DEP_2)
	v_dual_cndmask_b32 v16, v16, v23 :: v_dual_cndmask_b32 v5, v5, v24
	v_cndmask_b32_e64 v14, 0, 1, s0
	v_cmp_neq_f32_e64 s0, s12, v6
	s_delay_alu instid0(VALU_DEP_3) | instskip(NEXT) | instid1(VALU_DEP_2)
	v_and_b32_e32 v5, 1, v5
	v_cndmask_b32_e64 v6, 0, 1, s0
	v_cmp_eq_f32_e64 s0, s12, v7
	s_delay_alu instid0(VALU_DEP_1) | instskip(SKIP_1) | instid1(VALU_DEP_1)
	v_cndmask_b32_e64 v17, 0, 1, s0
	v_cmp_neq_f32_e64 s0, s12, v7
	v_cndmask_b32_e64 v7, 0, 1, s0
	v_cmp_eq_f32_e64 s0, s12, v1
	s_delay_alu instid0(VALU_DEP_2) | instskip(NEXT) | instid1(VALU_DEP_2)
	v_dual_cndmask_b32 v6, v6, v14 :: v_dual_cndmask_b32 v7, v7, v17
	v_cndmask_b32_e64 v19, 0, 1, s0
	v_cmp_neq_f32_e64 s0, s12, v1
	s_delay_alu instid0(VALU_DEP_3) | instskip(NEXT) | instid1(VALU_DEP_2)
	v_and_b32_e32 v7, 1, v7
	v_cndmask_b32_e64 v1, 0, 1, s0
	v_cmp_eq_f32_e64 s0, s12, v8
	s_delay_alu instid0(VALU_DEP_3) | instskip(NEXT) | instid1(VALU_DEP_2)
	v_lshlrev_b16 v7, 8, v7
	v_cndmask_b32_e64 v20, 0, 1, s0
	v_cmp_neq_f32_e64 s0, s12, v8
	s_delay_alu instid0(VALU_DEP_1) | instskip(SKIP_1) | instid1(VALU_DEP_2)
	v_cndmask_b32_e64 v8, 0, 1, s0
	v_cmp_eq_f32_e64 s0, s12, v9
	v_dual_cndmask_b32 v1, v1, v19 :: v_dual_cndmask_b32 v8, v8, v20
	s_delay_alu instid0(VALU_DEP_2) | instskip(SKIP_1) | instid1(VALU_DEP_3)
	v_cndmask_b32_e64 v21, 0, 1, s0
	v_cmp_neq_f32_e64 s0, s12, v9
	v_and_b32_e32 v8, 1, v8
	s_delay_alu instid0(VALU_DEP_2) | instskip(SKIP_1) | instid1(VALU_DEP_3)
	v_cndmask_b32_e64 v9, 0, 1, s0
	v_cmp_eq_f32_e64 s0, s12, v10
	v_lshlrev_b16 v8, 8, v8
	s_delay_alu instid0(VALU_DEP_2) | instskip(SKIP_1) | instid1(VALU_DEP_3)
	v_cndmask_b32_e64 v22, 0, 1, s0
	v_cmp_neq_f32_e64 s0, s12, v10
	v_bitop3_b16 v1, v1, v8, 1 bitop3:0xec
	s_delay_alu instid0(VALU_DEP_2) | instskip(SKIP_2) | instid1(VALU_DEP_4)
	v_cndmask_b32_e64 v10, 0, 1, s0
	v_cmp_eq_f32_e64 s0, s12, v11
	v_cndmask_b32_e32 v9, v9, v21, vcc_lo
	v_and_b32_e32 v1, 0xffff, v1
	s_delay_alu instid0(VALU_DEP_4) | instskip(NEXT) | instid1(VALU_DEP_4)
	v_cndmask_b32_e32 v10, v10, v22, vcc_lo
	v_cndmask_b32_e64 v23, 0, 1, s0
	v_cmp_neq_f32_e64 s0, s12, v11
	s_delay_alu instid0(VALU_DEP_3) | instskip(NEXT) | instid1(VALU_DEP_2)
	v_and_b32_e32 v10, 1, v10
	v_cndmask_b32_e64 v11, 0, 1, s0
	v_cmp_eq_f32_e64 s0, s12, v12
	s_delay_alu instid0(VALU_DEP_3) | instskip(NEXT) | instid1(VALU_DEP_2)
	v_lshlrev_b16 v10, 8, v10
	v_cndmask_b32_e64 v24, 0, 1, s0
	v_cmp_neq_f32_e64 s0, s12, v12
	s_delay_alu instid0(VALU_DEP_3)
	v_bitop3_b16 v9, v9, v10, 1 bitop3:0xec
	v_lshlrev_b32_e32 v10, 16, v4
	v_lshlrev_b16 v5, 8, v5
	v_bitop3_b16 v4, v6, v7, 1 bitop3:0xec
	v_cndmask_b32_e64 v12, 0, 1, s0
	v_cndmask_b32_e32 v11, v11, v23, vcc_lo
	v_lshlrev_b32_e32 v6, 16, v3
	v_bitop3_b16 v5, v16, v5, 1 bitop3:0xec
	v_and_b32_e32 v4, 0xffff, v4
	v_cndmask_b32_e32 v12, v12, v24, vcc_lo
	v_and_b32_e32 v7, 0xffff, v9
	s_add_nc_u64 s[12:13], s[4:5], s[2:3]
	s_delay_alu instid0(VALU_DEP_3) | instskip(NEXT) | instid1(VALU_DEP_3)
	v_dual_lshlrev_b32 v5, 16, v5 :: v_dual_bitop2_b32 v4, v4, v2 bitop3:0x54
	v_and_b32_e32 v12, 1, v12
	s_delay_alu instid0(VALU_DEP_3) | instskip(SKIP_1) | instid1(VALU_DEP_2)
	v_or_b32_e32 v2, v7, v10
	s_mov_b32 s0, 0
	v_lshlrev_b16 v12, 8, v12
	s_delay_alu instid0(VALU_DEP_1) | instskip(NEXT) | instid1(VALU_DEP_1)
	v_bitop3_b16 v11, v11, v12, 1 bitop3:0xec
	v_and_b32_e32 v3, 0xffff, v11
	s_delay_alu instid0(VALU_DEP_1)
	v_or_b32_e32 v3, v3, v5
	v_or_b32_e32 v5, v1, v6
	s_clause 0x1
	global_store_b64 v0, v[4:5], s[12:13] scale_offset
	global_store_b64 v0, v[2:3], s[12:13] offset:2048 scale_offset
.LBB236_2:
	s_and_not1_b32 vcc_lo, exec_lo, s0
	s_cbranch_vccnz .LBB236_83
; %bb.3:
	v_cmp_gt_i32_e32 vcc_lo, s11, v0
	s_wait_xcnt 0x0
	v_dual_mov_b32 v2, 0 :: v_dual_bitop2_b32 v8, s2, v0 bitop3:0x54
	v_or_b32_e32 v9, 0x100, v0
	v_dual_mov_b32 v10, 0 :: v_dual_mov_b32 v11, 0
	v_dual_mov_b32 v12, 0 :: v_dual_mov_b32 v13, 0
	;; [unrolled: 1-line block ×8, first 2 shown]
	s_and_saveexec_b32 s1, vcc_lo
	s_cbranch_execz .LBB236_35
; %bb.4:
	global_load_u8 v23, v8, s[6:7]
	v_or_b32_e32 v1, 0x100, v0
	v_dual_mov_b32 v22, 0 :: v_dual_mov_b32 v5, 0
	v_dual_mov_b32 v6, 0 :: v_dual_mov_b32 v21, 0
	;; [unrolled: 1-line block ×7, first 2 shown]
	v_mov_b32_e32 v10, 0
	s_mov_b32 s3, exec_lo
	s_wait_xcnt 0x0
	v_cmpx_gt_u32_e64 s11, v1
	s_cbranch_execz .LBB236_34
; %bb.5:
	v_dual_mov_b32 v5, 0 :: v_dual_add_nc_u32 v4, s2, v0
	v_or_b32_e32 v1, 0x200, v0
	v_dual_mov_b32 v6, 0 :: v_dual_mov_b32 v21, 0
	global_load_u8 v22, v4, s[6:7] offset:256
	v_dual_mov_b32 v20, 0 :: v_dual_mov_b32 v19, 0
	v_dual_mov_b32 v18, 0 :: v_dual_mov_b32 v17, 0
	;; [unrolled: 1-line block ×5, first 2 shown]
	v_mov_b32_e32 v10, 0
	s_mov_b32 s8, exec_lo
	s_wait_xcnt 0x0
	v_cmpx_gt_u32_e64 s11, v1
	s_cbranch_execz .LBB236_33
; %bb.6:
	v_add_nc_u64_e32 v[6:7], s[6:7], v[4:5]
	v_or_b32_e32 v3, 0x300, v0
	v_dual_mov_b32 v21, 0 :: v_dual_mov_b32 v20, 0
	v_dual_mov_b32 v19, 0 :: v_dual_mov_b32 v18, 0
	;; [unrolled: 1-line block ×3, first 2 shown]
	global_load_u8 v1, v[6:7], off offset:512
	v_dual_mov_b32 v15, 0 :: v_dual_mov_b32 v14, 0
	v_dual_mov_b32 v13, 0 :: v_dual_mov_b32 v12, 0
	;; [unrolled: 1-line block ×3, first 2 shown]
	s_mov_b32 s6, exec_lo
	s_wait_xcnt 0x0
	v_cmpx_gt_u32_e64 s11, v3
	s_cbranch_execz .LBB236_32
; %bb.7:
	global_load_u8 v5, v[6:7], off offset:768
	v_or_b32_e32 v3, 0x400, v0
	v_dual_mov_b32 v21, 0 :: v_dual_mov_b32 v20, 0
	v_dual_mov_b32 v19, 0 :: v_dual_mov_b32 v18, 0
	;; [unrolled: 1-line block ×6, first 2 shown]
	s_mov_b32 s7, exec_lo
	s_wait_xcnt 0x0
	v_cmpx_gt_u32_e64 s11, v3
	s_cbranch_execz .LBB236_31
; %bb.8:
	global_load_u8 v21, v[6:7], off offset:1024
	v_or_b32_e32 v3, 0x500, v0
	v_dual_mov_b32 v20, 0 :: v_dual_mov_b32 v19, 0
	v_dual_mov_b32 v18, 0 :: v_dual_mov_b32 v17, 0
	;; [unrolled: 1-line block ×5, first 2 shown]
	v_mov_b32_e32 v10, 0
	s_mov_b32 s12, exec_lo
	s_wait_xcnt 0x0
	v_cmpx_gt_u32_e64 s11, v3
	s_cbranch_execz .LBB236_30
; %bb.9:
	global_load_u8 v20, v[6:7], off offset:1280
	v_or_b32_e32 v3, 0x600, v0
	v_dual_mov_b32 v19, 0 :: v_dual_mov_b32 v18, 0
	v_dual_mov_b32 v17, 0 :: v_dual_mov_b32 v16, 0
	;; [unrolled: 1-line block ×5, first 2 shown]
	s_mov_b32 s13, exec_lo
	s_wait_xcnt 0x0
	v_cmpx_gt_u32_e64 s11, v3
	s_cbranch_execz .LBB236_29
; %bb.10:
	global_load_u8 v19, v[6:7], off offset:1536
	v_or_b32_e32 v3, 0x700, v0
	v_dual_mov_b32 v18, 0 :: v_dual_mov_b32 v17, 0
	v_dual_mov_b32 v16, 0 :: v_dual_mov_b32 v15, 0
	;; [unrolled: 1-line block ×4, first 2 shown]
	v_mov_b32_e32 v10, 0
	s_mov_b32 s14, exec_lo
	s_wait_xcnt 0x0
	v_cmpx_gt_u32_e64 s11, v3
	s_cbranch_execz .LBB236_28
; %bb.11:
	global_load_u8 v18, v[6:7], off offset:1792
	v_or_b32_e32 v3, 0x800, v0
	v_dual_mov_b32 v17, 0 :: v_dual_mov_b32 v16, 0
	v_dual_mov_b32 v15, 0 :: v_dual_mov_b32 v14, 0
	;; [unrolled: 1-line block ×4, first 2 shown]
	s_mov_b32 s15, exec_lo
	s_wait_xcnt 0x0
	v_cmpx_gt_u32_e64 s11, v3
	s_cbranch_execz .LBB236_27
; %bb.12:
	global_load_u8 v17, v[6:7], off offset:2048
	v_or_b32_e32 v3, 0x900, v0
	v_dual_mov_b32 v16, 0 :: v_dual_mov_b32 v15, 0
	v_dual_mov_b32 v14, 0 :: v_dual_mov_b32 v13, 0
	;; [unrolled: 1-line block ×3, first 2 shown]
	v_mov_b32_e32 v10, 0
	s_mov_b32 s16, exec_lo
	s_wait_xcnt 0x0
	v_cmpx_gt_u32_e64 s11, v3
	s_cbranch_execz .LBB236_26
; %bb.13:
	global_load_u8 v16, v[6:7], off offset:2304
	v_or_b32_e32 v3, 0xa00, v0
	v_dual_mov_b32 v15, 0 :: v_dual_mov_b32 v14, 0
	v_dual_mov_b32 v13, 0 :: v_dual_mov_b32 v12, 0
	;; [unrolled: 1-line block ×3, first 2 shown]
	s_mov_b32 s17, exec_lo
	s_wait_xcnt 0x0
	v_cmpx_gt_u32_e64 s11, v3
	s_cbranch_execz .LBB236_25
; %bb.14:
	global_load_u8 v15, v[6:7], off offset:2560
	v_or_b32_e32 v3, 0xb00, v0
	v_dual_mov_b32 v14, 0 :: v_dual_mov_b32 v13, 0
	v_dual_mov_b32 v12, 0 :: v_dual_mov_b32 v11, 0
	v_mov_b32_e32 v10, 0
	s_mov_b32 s18, exec_lo
	s_wait_xcnt 0x0
	v_cmpx_gt_u32_e64 s11, v3
	s_cbranch_execz .LBB236_24
; %bb.15:
	global_load_u8 v14, v[6:7], off offset:2816
	v_or_b32_e32 v3, 0xc00, v0
	v_dual_mov_b32 v13, 0 :: v_dual_mov_b32 v12, 0
	v_dual_mov_b32 v11, 0 :: v_dual_mov_b32 v10, 0
	s_mov_b32 s19, exec_lo
	s_wait_xcnt 0x0
	v_cmpx_gt_u32_e64 s11, v3
	s_cbranch_execz .LBB236_23
; %bb.16:
	global_load_u8 v13, v[6:7], off offset:3072
	v_or_b32_e32 v3, 0xd00, v0
	v_dual_mov_b32 v12, 0 :: v_dual_mov_b32 v11, 0
	v_mov_b32_e32 v10, 0
	s_mov_b32 s20, exec_lo
	s_wait_xcnt 0x0
	v_cmpx_gt_u32_e64 s11, v3
	s_cbranch_execz .LBB236_22
; %bb.17:
	global_load_u8 v12, v[6:7], off offset:3328
	v_or_b32_e32 v3, 0xe00, v0
	v_dual_mov_b32 v11, 0 :: v_dual_mov_b32 v10, 0
	s_mov_b32 s21, exec_lo
	s_wait_xcnt 0x0
	s_delay_alu instid0(VALU_DEP_2)
	v_cmpx_gt_u32_e64 s11, v3
	s_cbranch_execz .LBB236_21
; %bb.18:
	global_load_u8 v11, v[6:7], off offset:3584
	v_or_b32_e32 v3, 0xf00, v0
	v_mov_b32_e32 v10, 0
	s_mov_b32 s22, exec_lo
	s_wait_xcnt 0x0
	s_delay_alu instid0(VALU_DEP_2)
	v_cmpx_gt_u32_e64 s11, v3
	s_cbranch_execz .LBB236_20
; %bb.19:
	global_load_u8 v10, v[6:7], off offset:3840
.LBB236_20:
	s_wait_xcnt 0x0
	s_or_b32 exec_lo, exec_lo, s22
.LBB236_21:
	s_delay_alu instid0(SALU_CYCLE_1)
	s_or_b32 exec_lo, exec_lo, s21
.LBB236_22:
	s_delay_alu instid0(SALU_CYCLE_1)
	s_or_b32 exec_lo, exec_lo, s20
.LBB236_23:
	s_delay_alu instid0(SALU_CYCLE_1)
	s_or_b32 exec_lo, exec_lo, s19
.LBB236_24:
	s_delay_alu instid0(SALU_CYCLE_1)
	s_or_b32 exec_lo, exec_lo, s18
.LBB236_25:
	s_delay_alu instid0(SALU_CYCLE_1)
	s_or_b32 exec_lo, exec_lo, s17
.LBB236_26:
	s_delay_alu instid0(SALU_CYCLE_1)
	s_or_b32 exec_lo, exec_lo, s16
.LBB236_27:
	s_delay_alu instid0(SALU_CYCLE_1)
	s_or_b32 exec_lo, exec_lo, s15
.LBB236_28:
	s_delay_alu instid0(SALU_CYCLE_1)
	s_or_b32 exec_lo, exec_lo, s14
.LBB236_29:
	s_delay_alu instid0(SALU_CYCLE_1)
	s_or_b32 exec_lo, exec_lo, s13
.LBB236_30:
	s_delay_alu instid0(SALU_CYCLE_1)
	s_or_b32 exec_lo, exec_lo, s12
.LBB236_31:
	s_delay_alu instid0(SALU_CYCLE_1)
	s_or_b32 exec_lo, exec_lo, s7
.LBB236_32:
	s_delay_alu instid0(SALU_CYCLE_1)
	s_or_b32 exec_lo, exec_lo, s6
	s_wait_loadcnt 0x0
	v_dual_mov_b32 v6, v5 :: v_dual_mov_b32 v5, v1
.LBB236_33:
	s_or_b32 exec_lo, exec_lo, s8
.LBB236_34:
	s_delay_alu instid0(SALU_CYCLE_1)
	s_or_b32 exec_lo, exec_lo, s3
.LBB236_35:
	s_delay_alu instid0(SALU_CYCLE_1)
	s_or_b32 exec_lo, exec_lo, s1
	s_cmp_eq_u32 s9, 0
	v_dual_mov_b32 v1, v2 :: v_dual_mov_b32 v4, v2
	s_cselect_b32 s0, -1, 0
	s_lshl_b32 s1, s10, 8
	s_lshl_b32 s3, s10, 25
	s_and_b32 s1, s1, 0x7f00
	s_lshr_b32 s6, s3, 4
	s_or_b32 s1, s1, 0.5
	s_or_b32 s6, s6, 0x70000000
	s_add_f32 s1, s1, -0.5
	s_mul_f32 s6, s6, 0x7800000
	s_cmp_lt_u32 s3, 0x8000000
	v_mov_b32_e32 v3, v2
	s_delay_alu instid0(SALU_CYCLE_1) | instskip(SKIP_1) | instid1(SALU_CYCLE_1)
	s_cselect_b32 s1, s1, s6
	s_lshl_b32 s3, s10, 24
	s_and_b32 s3, s3, 0x80000000
	s_delay_alu instid0(SALU_CYCLE_1)
	s_or_b32 s3, s3, s1
	s_and_saveexec_b32 s6, vcc_lo
	s_cbranch_execz .LBB236_37
; %bb.36:
	s_wait_loadcnt 0x0
	v_lshlrev_b16 v2, 8, v23
	s_delay_alu instid0(VALU_DEP_1) | instskip(SKIP_2) | instid1(VALU_DEP_2)
	v_and_or_b32 v4, 0x7f00, v2, 0.5
	v_lshlrev_b32_e32 v1, 25, v23
	v_bfe_i32 v2, v2, 0, 16
	v_dual_add_f32 v4, -0.5, v4 :: v_dual_lshrrev_b32 v3, 4, v1
	v_cmp_gt_u32_e64 s1, 0x8000000, v1
	s_delay_alu instid0(VALU_DEP_2) | instskip(NEXT) | instid1(VALU_DEP_1)
	v_or_b32_e32 v3, 0x70000000, v3
	v_mul_f32_e32 v3, 0x7800000, v3
	s_delay_alu instid0(VALU_DEP_1) | instskip(NEXT) | instid1(VALU_DEP_1)
	v_cndmask_b32_e64 v1, v3, v4, s1
	v_and_or_b32 v1, 0x80000000, v2, v1
	s_delay_alu instid0(VALU_DEP_1) | instskip(NEXT) | instid1(VALU_DEP_1)
	v_cmp_eq_f32_e64 s1, s3, v1
	v_cndmask_b32_e64 v2, 0, 1, s1
	v_cmp_neq_f32_e64 s1, s3, v1
	s_delay_alu instid0(VALU_DEP_1) | instskip(NEXT) | instid1(VALU_DEP_1)
	v_cndmask_b32_e64 v1, 0, 1, s1
	v_dual_cndmask_b32 v2, v1, v2, s0 :: v_dual_mov_b32 v1, 0
	s_delay_alu instid0(VALU_DEP_1) | instskip(SKIP_1) | instid1(VALU_DEP_2)
	v_dual_mov_b32 v4, v1 :: v_dual_bitop2_b32 v2, 1, v2 bitop3:0x40
	v_mov_b32_e32 v3, v1
	v_and_b32_e32 v2, 0xffff, v2
.LBB236_37:
	s_or_b32 exec_lo, exec_lo, s6
	s_delay_alu instid0(SALU_CYCLE_1)
	s_mov_b32 s6, exec_lo
	v_cmpx_gt_i32_e64 s11, v9
	s_cbranch_execz .LBB236_39
; %bb.38:
	s_wait_loadcnt 0x0
	v_lshlrev_b32_e32 v7, 25, v22
	v_lshlrev_b16 v22, 8, v22
	s_delay_alu instid0(VALU_DEP_1) | instskip(SKIP_1) | instid1(VALU_DEP_2)
	v_and_or_b32 v24, 0x7f00, v22, 0.5
	v_bfe_i32 v22, v22, 0, 16
	v_dual_add_f32 v24, -0.5, v24 :: v_dual_lshrrev_b32 v23, 4, v7
	v_cmp_gt_u32_e64 s1, 0x8000000, v7
	s_delay_alu instid0(VALU_DEP_2) | instskip(NEXT) | instid1(VALU_DEP_1)
	v_or_b32_e32 v23, 0x70000000, v23
	v_mul_f32_e32 v23, 0x7800000, v23
	s_delay_alu instid0(VALU_DEP_1) | instskip(NEXT) | instid1(VALU_DEP_1)
	v_cndmask_b32_e64 v7, v23, v24, s1
	v_and_or_b32 v7, 0x80000000, v22, v7
	s_delay_alu instid0(VALU_DEP_1) | instskip(NEXT) | instid1(VALU_DEP_1)
	v_cmp_eq_f32_e64 s1, s3, v7
	v_cndmask_b32_e64 v22, 0, 1, s1
	v_cmp_neq_f32_e64 s1, s3, v7
	s_delay_alu instid0(VALU_DEP_1) | instskip(NEXT) | instid1(VALU_DEP_1)
	v_cndmask_b32_e64 v7, 0, 1, s1
	v_cndmask_b32_e64 v7, v7, v22, s0
	s_delay_alu instid0(VALU_DEP_1) | instskip(NEXT) | instid1(VALU_DEP_1)
	v_and_b32_e32 v7, 1, v7
	v_lshlrev_b16 v7, 8, v7
	s_delay_alu instid0(VALU_DEP_1) | instskip(NEXT) | instid1(VALU_DEP_1)
	v_bitop3_b16 v7, v2, v7, 0xff bitop3:0xec
	v_and_b32_e32 v7, 0xffff, v7
	s_delay_alu instid0(VALU_DEP_1)
	v_and_or_b32 v2, 0xffff0000, v2, v7
.LBB236_39:
	s_or_b32 exec_lo, exec_lo, s6
	v_or_b32_e32 v7, 0x200, v0
	s_mov_b32 s6, exec_lo
	s_delay_alu instid0(VALU_DEP_1)
	v_cmpx_gt_i32_e64 s11, v7
	s_cbranch_execz .LBB236_41
; %bb.40:
	v_lshlrev_b32_e32 v7, 25, v5
	v_lshlrev_b16 v5, 8, v5
	s_wait_loadcnt 0x0
	s_delay_alu instid0(VALU_DEP_1) | instskip(SKIP_1) | instid1(VALU_DEP_2)
	v_and_or_b32 v23, 0x7f00, v5, 0.5
	v_bfe_i32 v5, v5, 0, 16
	v_add_f32_e32 v23, -0.5, v23
	v_lshrrev_b32_e32 v22, 4, v7
	v_cmp_gt_u32_e64 s1, 0x8000000, v7
	s_delay_alu instid0(VALU_DEP_2) | instskip(NEXT) | instid1(VALU_DEP_1)
	v_or_b32_e32 v22, 0x70000000, v22
	v_mul_f32_e32 v22, 0x7800000, v22
	s_delay_alu instid0(VALU_DEP_1) | instskip(NEXT) | instid1(VALU_DEP_1)
	v_cndmask_b32_e64 v7, v22, v23, s1
	v_and_or_b32 v5, 0x80000000, v5, v7
	v_lshrrev_b32_e32 v7, 16, v2
	s_delay_alu instid0(VALU_DEP_2) | instskip(NEXT) | instid1(VALU_DEP_2)
	v_cmp_eq_f32_e64 s1, s3, v5
	v_and_b32_e32 v7, 0xffffff00, v7
	s_delay_alu instid0(VALU_DEP_2) | instskip(SKIP_1) | instid1(VALU_DEP_1)
	v_cndmask_b32_e64 v22, 0, 1, s1
	v_cmp_neq_f32_e64 s1, s3, v5
	v_cndmask_b32_e64 v5, 0, 1, s1
	s_delay_alu instid0(VALU_DEP_1) | instskip(NEXT) | instid1(VALU_DEP_1)
	v_cndmask_b32_e64 v5, v5, v22, s0
	v_bitop3_b16 v5, v5, v7, 1 bitop3:0xec
	s_delay_alu instid0(VALU_DEP_1) | instskip(NEXT) | instid1(VALU_DEP_1)
	v_lshlrev_b32_e32 v5, 16, v5
	v_and_or_b32 v2, 0xffff, v2, v5
.LBB236_41:
	s_or_b32 exec_lo, exec_lo, s6
	v_or_b32_e32 v5, 0x300, v0
	s_mov_b32 s6, exec_lo
	s_delay_alu instid0(VALU_DEP_1)
	v_cmpx_gt_i32_e64 s11, v5
	s_cbranch_execz .LBB236_43
; %bb.42:
	v_lshlrev_b32_e32 v5, 25, v6
	v_lshlrev_b16 v6, 8, v6
	s_delay_alu instid0(VALU_DEP_2) | instskip(SKIP_1) | instid1(VALU_DEP_2)
	v_cmp_gt_u32_e64 s1, 0x8000000, v5
	s_wait_loadcnt 0x0
	v_and_or_b32 v22, 0x7f00, v6, 0.5
	v_lshrrev_b32_e32 v7, 4, v5
	v_bfe_i32 v6, v6, 0, 16
	s_delay_alu instid0(VALU_DEP_3) | instskip(NEXT) | instid1(VALU_DEP_3)
	v_add_f32_e32 v22, -0.5, v22
	v_or_b32_e32 v7, 0x70000000, v7
	s_delay_alu instid0(VALU_DEP_1) | instskip(NEXT) | instid1(VALU_DEP_1)
	v_mul_f32_e32 v7, 0x7800000, v7
	v_cndmask_b32_e64 v5, v7, v22, s1
	s_delay_alu instid0(VALU_DEP_1) | instskip(NEXT) | instid1(VALU_DEP_1)
	v_and_or_b32 v5, 0x80000000, v6, v5
	v_cmp_eq_f32_e64 s1, s3, v5
	s_delay_alu instid0(VALU_DEP_1) | instskip(SKIP_1) | instid1(VALU_DEP_1)
	v_cndmask_b32_e64 v6, 0, 1, s1
	v_cmp_neq_f32_e64 s1, s3, v5
	v_cndmask_b32_e64 v5, 0, 1, s1
	s_delay_alu instid0(VALU_DEP_1) | instskip(NEXT) | instid1(VALU_DEP_1)
	v_cndmask_b32_e64 v5, v5, v6, s0
	v_dual_lshrrev_b32 v6, 16, v2 :: v_dual_bitop2_b32 v5, 1, v5 bitop3:0x40
	s_delay_alu instid0(VALU_DEP_1) | instskip(NEXT) | instid1(VALU_DEP_1)
	v_lshlrev_b16 v5, 8, v5
	v_bitop3_b16 v5, v6, v5, 0xff bitop3:0xec
	s_delay_alu instid0(VALU_DEP_1) | instskip(NEXT) | instid1(VALU_DEP_1)
	v_lshlrev_b32_e32 v5, 16, v5
	v_and_or_b32 v2, 0xffff, v2, v5
.LBB236_43:
	s_or_b32 exec_lo, exec_lo, s6
	v_or_b32_e32 v5, 0x400, v0
	s_mov_b32 s6, exec_lo
	s_delay_alu instid0(VALU_DEP_1)
	v_cmpx_gt_i32_e64 s11, v5
	s_cbranch_execz .LBB236_45
; %bb.44:
	v_lshlrev_b16 v6, 8, v21
	v_lshlrev_b32_e32 v5, 25, v21
	s_delay_alu instid0(VALU_DEP_2) | instskip(SKIP_1) | instid1(VALU_DEP_2)
	v_and_or_b32 v21, 0x7f00, v6, 0.5
	v_bfe_i32 v6, v6, 0, 16
	v_add_f32_e32 v21, -0.5, v21
	s_delay_alu instid0(VALU_DEP_4) | instskip(SKIP_1) | instid1(VALU_DEP_2)
	v_lshrrev_b32_e32 v7, 4, v5
	v_cmp_gt_u32_e64 s1, 0x8000000, v5
	v_or_b32_e32 v7, 0x70000000, v7
	s_delay_alu instid0(VALU_DEP_1) | instskip(NEXT) | instid1(VALU_DEP_1)
	v_mul_f32_e32 v7, 0x7800000, v7
	v_cndmask_b32_e64 v5, v7, v21, s1
	v_and_b32_e32 v7, 0xffffff00, v1
	s_delay_alu instid0(VALU_DEP_2) | instskip(NEXT) | instid1(VALU_DEP_1)
	v_and_or_b32 v5, 0x80000000, v6, v5
	v_cmp_eq_f32_e64 s1, s3, v5
	s_delay_alu instid0(VALU_DEP_1) | instskip(SKIP_1) | instid1(VALU_DEP_1)
	v_cndmask_b32_e64 v6, 0, 1, s1
	v_cmp_neq_f32_e64 s1, s3, v5
	v_cndmask_b32_e64 v5, 0, 1, s1
	s_delay_alu instid0(VALU_DEP_1) | instskip(NEXT) | instid1(VALU_DEP_1)
	v_cndmask_b32_e64 v5, v5, v6, s0
	v_bitop3_b16 v5, v5, v7, 1 bitop3:0xec
	s_delay_alu instid0(VALU_DEP_1) | instskip(NEXT) | instid1(VALU_DEP_1)
	v_and_b32_e32 v5, 0xffff, v5
	v_and_or_b32 v1, 0xffff0000, v1, v5
.LBB236_45:
	s_or_b32 exec_lo, exec_lo, s6
	v_or_b32_e32 v5, 0x500, v0
	s_mov_b32 s6, exec_lo
	s_delay_alu instid0(VALU_DEP_1)
	v_cmpx_gt_i32_e64 s11, v5
	s_cbranch_execz .LBB236_47
; %bb.46:
	v_lshlrev_b16 v6, 8, v20
	v_lshlrev_b32_e32 v5, 25, v20
	s_delay_alu instid0(VALU_DEP_2) | instskip(SKIP_1) | instid1(VALU_DEP_2)
	v_and_or_b32 v20, 0x7f00, v6, 0.5
	v_bfe_i32 v6, v6, 0, 16
	v_dual_add_f32 v20, -0.5, v20 :: v_dual_lshrrev_b32 v7, 4, v5
	v_cmp_gt_u32_e64 s1, 0x8000000, v5
	s_delay_alu instid0(VALU_DEP_2) | instskip(NEXT) | instid1(VALU_DEP_1)
	v_or_b32_e32 v7, 0x70000000, v7
	v_mul_f32_e32 v7, 0x7800000, v7
	s_delay_alu instid0(VALU_DEP_1) | instskip(NEXT) | instid1(VALU_DEP_1)
	v_cndmask_b32_e64 v5, v7, v20, s1
	v_and_or_b32 v5, 0x80000000, v6, v5
	s_delay_alu instid0(VALU_DEP_1) | instskip(NEXT) | instid1(VALU_DEP_1)
	v_cmp_eq_f32_e64 s1, s3, v5
	v_cndmask_b32_e64 v6, 0, 1, s1
	v_cmp_neq_f32_e64 s1, s3, v5
	s_delay_alu instid0(VALU_DEP_1) | instskip(NEXT) | instid1(VALU_DEP_1)
	v_cndmask_b32_e64 v5, 0, 1, s1
	v_cndmask_b32_e64 v5, v5, v6, s0
	s_delay_alu instid0(VALU_DEP_1) | instskip(NEXT) | instid1(VALU_DEP_1)
	v_and_b32_e32 v5, 1, v5
	v_lshlrev_b16 v5, 8, v5
	s_delay_alu instid0(VALU_DEP_1) | instskip(NEXT) | instid1(VALU_DEP_1)
	v_bitop3_b16 v5, v1, v5, 0xff bitop3:0xec
	v_and_b32_e32 v5, 0xffff, v5
	s_delay_alu instid0(VALU_DEP_1)
	v_and_or_b32 v1, 0xffff0000, v1, v5
.LBB236_47:
	s_or_b32 exec_lo, exec_lo, s6
	v_or_b32_e32 v5, 0x600, v0
	s_mov_b32 s6, exec_lo
	s_delay_alu instid0(VALU_DEP_1)
	v_cmpx_gt_i32_e64 s11, v5
	s_cbranch_execz .LBB236_49
; %bb.48:
	v_lshlrev_b16 v6, 8, v19
	v_lshlrev_b32_e32 v5, 25, v19
	s_delay_alu instid0(VALU_DEP_2) | instskip(SKIP_1) | instid1(VALU_DEP_2)
	v_and_or_b32 v19, 0x7f00, v6, 0.5
	v_bfe_i32 v6, v6, 0, 16
	v_dual_add_f32 v19, -0.5, v19 :: v_dual_lshrrev_b32 v7, 4, v5
	v_cmp_gt_u32_e64 s1, 0x8000000, v5
	s_delay_alu instid0(VALU_DEP_2) | instskip(NEXT) | instid1(VALU_DEP_1)
	v_or_b32_e32 v7, 0x70000000, v7
	v_mul_f32_e32 v7, 0x7800000, v7
	s_delay_alu instid0(VALU_DEP_1) | instskip(NEXT) | instid1(VALU_DEP_1)
	v_cndmask_b32_e64 v5, v7, v19, s1
	v_and_or_b32 v5, 0x80000000, v6, v5
	v_lshrrev_b32_e32 v6, 16, v1
	s_delay_alu instid0(VALU_DEP_2) | instskip(NEXT) | instid1(VALU_DEP_2)
	v_cmp_eq_f32_e64 s1, s3, v5
	v_and_b32_e32 v6, 0xffffff00, v6
	s_delay_alu instid0(VALU_DEP_2) | instskip(SKIP_1) | instid1(VALU_DEP_1)
	v_cndmask_b32_e64 v7, 0, 1, s1
	v_cmp_neq_f32_e64 s1, s3, v5
	v_cndmask_b32_e64 v5, 0, 1, s1
	s_delay_alu instid0(VALU_DEP_1) | instskip(NEXT) | instid1(VALU_DEP_1)
	v_cndmask_b32_e64 v5, v5, v7, s0
	v_bitop3_b16 v5, v5, v6, 1 bitop3:0xec
	s_delay_alu instid0(VALU_DEP_1) | instskip(NEXT) | instid1(VALU_DEP_1)
	v_lshlrev_b32_e32 v5, 16, v5
	v_and_or_b32 v1, 0xffff, v1, v5
.LBB236_49:
	s_or_b32 exec_lo, exec_lo, s6
	v_or_b32_e32 v5, 0x700, v0
	s_mov_b32 s6, exec_lo
	s_delay_alu instid0(VALU_DEP_1)
	v_cmpx_gt_i32_e64 s11, v5
	s_cbranch_execz .LBB236_51
; %bb.50:
	v_lshlrev_b16 v6, 8, v18
	v_lshlrev_b32_e32 v5, 25, v18
	s_delay_alu instid0(VALU_DEP_2) | instskip(SKIP_1) | instid1(VALU_DEP_2)
	v_and_or_b32 v18, 0x7f00, v6, 0.5
	v_bfe_i32 v6, v6, 0, 16
	v_dual_add_f32 v18, -0.5, v18 :: v_dual_lshrrev_b32 v7, 4, v5
	v_cmp_gt_u32_e64 s1, 0x8000000, v5
	s_delay_alu instid0(VALU_DEP_2) | instskip(NEXT) | instid1(VALU_DEP_1)
	v_or_b32_e32 v7, 0x70000000, v7
	v_mul_f32_e32 v7, 0x7800000, v7
	s_delay_alu instid0(VALU_DEP_1) | instskip(NEXT) | instid1(VALU_DEP_1)
	v_cndmask_b32_e64 v5, v7, v18, s1
	v_and_or_b32 v5, 0x80000000, v6, v5
	s_delay_alu instid0(VALU_DEP_1) | instskip(NEXT) | instid1(VALU_DEP_1)
	v_cmp_eq_f32_e64 s1, s3, v5
	v_cndmask_b32_e64 v6, 0, 1, s1
	v_cmp_neq_f32_e64 s1, s3, v5
	s_delay_alu instid0(VALU_DEP_1) | instskip(NEXT) | instid1(VALU_DEP_1)
	v_cndmask_b32_e64 v5, 0, 1, s1
	v_dual_cndmask_b32 v5, v5, v6, s0 :: v_dual_lshrrev_b32 v6, 16, v1
	s_delay_alu instid0(VALU_DEP_1) | instskip(NEXT) | instid1(VALU_DEP_1)
	v_and_b32_e32 v5, 1, v5
	v_lshlrev_b16 v5, 8, v5
	s_delay_alu instid0(VALU_DEP_1) | instskip(NEXT) | instid1(VALU_DEP_1)
	v_bitop3_b16 v5, v6, v5, 0xff bitop3:0xec
	v_lshlrev_b32_e32 v5, 16, v5
	s_delay_alu instid0(VALU_DEP_1)
	v_and_or_b32 v1, 0xffff, v1, v5
.LBB236_51:
	s_or_b32 exec_lo, exec_lo, s6
	v_or_b32_e32 v5, 0x800, v0
	s_mov_b32 s6, exec_lo
	s_delay_alu instid0(VALU_DEP_1)
	v_cmpx_gt_i32_e64 s11, v5
	s_cbranch_execz .LBB236_53
; %bb.52:
	v_lshlrev_b16 v6, 8, v17
	v_lshlrev_b32_e32 v5, 25, v17
	s_delay_alu instid0(VALU_DEP_2) | instskip(SKIP_1) | instid1(VALU_DEP_2)
	v_and_or_b32 v17, 0x7f00, v6, 0.5
	v_bfe_i32 v6, v6, 0, 16
	v_add_f32_e32 v17, -0.5, v17
	s_delay_alu instid0(VALU_DEP_4) | instskip(SKIP_1) | instid1(VALU_DEP_2)
	v_lshrrev_b32_e32 v7, 4, v5
	v_cmp_gt_u32_e64 s1, 0x8000000, v5
	v_or_b32_e32 v7, 0x70000000, v7
	s_delay_alu instid0(VALU_DEP_1) | instskip(NEXT) | instid1(VALU_DEP_1)
	v_mul_f32_e32 v7, 0x7800000, v7
	v_cndmask_b32_e64 v5, v7, v17, s1
	v_and_b32_e32 v7, 0xffffff00, v4
	s_delay_alu instid0(VALU_DEP_2) | instskip(NEXT) | instid1(VALU_DEP_1)
	v_and_or_b32 v5, 0x80000000, v6, v5
	v_cmp_eq_f32_e64 s1, s3, v5
	s_delay_alu instid0(VALU_DEP_1) | instskip(SKIP_1) | instid1(VALU_DEP_1)
	v_cndmask_b32_e64 v6, 0, 1, s1
	v_cmp_neq_f32_e64 s1, s3, v5
	v_cndmask_b32_e64 v5, 0, 1, s1
	s_delay_alu instid0(VALU_DEP_1) | instskip(NEXT) | instid1(VALU_DEP_1)
	v_cndmask_b32_e64 v5, v5, v6, s0
	v_bitop3_b16 v5, v5, v7, 1 bitop3:0xec
	s_delay_alu instid0(VALU_DEP_1) | instskip(NEXT) | instid1(VALU_DEP_1)
	v_and_b32_e32 v5, 0xffff, v5
	v_and_or_b32 v4, 0xffff0000, v4, v5
.LBB236_53:
	s_or_b32 exec_lo, exec_lo, s6
	v_or_b32_e32 v5, 0x900, v0
	s_mov_b32 s6, exec_lo
	s_delay_alu instid0(VALU_DEP_1)
	v_cmpx_gt_i32_e64 s11, v5
	s_cbranch_execz .LBB236_55
; %bb.54:
	v_lshlrev_b16 v6, 8, v16
	v_lshlrev_b32_e32 v5, 25, v16
	s_delay_alu instid0(VALU_DEP_2) | instskip(SKIP_1) | instid1(VALU_DEP_2)
	v_and_or_b32 v16, 0x7f00, v6, 0.5
	v_bfe_i32 v6, v6, 0, 16
	v_dual_add_f32 v16, -0.5, v16 :: v_dual_lshrrev_b32 v7, 4, v5
	v_cmp_gt_u32_e64 s1, 0x8000000, v5
	s_delay_alu instid0(VALU_DEP_2) | instskip(NEXT) | instid1(VALU_DEP_1)
	v_or_b32_e32 v7, 0x70000000, v7
	v_mul_f32_e32 v7, 0x7800000, v7
	s_delay_alu instid0(VALU_DEP_1) | instskip(NEXT) | instid1(VALU_DEP_1)
	v_cndmask_b32_e64 v5, v7, v16, s1
	v_and_or_b32 v5, 0x80000000, v6, v5
	s_delay_alu instid0(VALU_DEP_1) | instskip(NEXT) | instid1(VALU_DEP_1)
	v_cmp_eq_f32_e64 s1, s3, v5
	v_cndmask_b32_e64 v6, 0, 1, s1
	v_cmp_neq_f32_e64 s1, s3, v5
	s_delay_alu instid0(VALU_DEP_1) | instskip(NEXT) | instid1(VALU_DEP_1)
	v_cndmask_b32_e64 v5, 0, 1, s1
	v_cndmask_b32_e64 v5, v5, v6, s0
	s_delay_alu instid0(VALU_DEP_1) | instskip(NEXT) | instid1(VALU_DEP_1)
	v_and_b32_e32 v5, 1, v5
	v_lshlrev_b16 v5, 8, v5
	s_delay_alu instid0(VALU_DEP_1) | instskip(NEXT) | instid1(VALU_DEP_1)
	v_bitop3_b16 v5, v4, v5, 0xff bitop3:0xec
	v_and_b32_e32 v5, 0xffff, v5
	s_delay_alu instid0(VALU_DEP_1)
	v_and_or_b32 v4, 0xffff0000, v4, v5
.LBB236_55:
	s_or_b32 exec_lo, exec_lo, s6
	v_or_b32_e32 v5, 0xa00, v0
	s_mov_b32 s6, exec_lo
	s_delay_alu instid0(VALU_DEP_1)
	v_cmpx_gt_i32_e64 s11, v5
	s_cbranch_execz .LBB236_57
; %bb.56:
	v_lshlrev_b16 v6, 8, v15
	v_lshlrev_b32_e32 v5, 25, v15
	s_delay_alu instid0(VALU_DEP_2) | instskip(SKIP_1) | instid1(VALU_DEP_2)
	v_and_or_b32 v15, 0x7f00, v6, 0.5
	v_bfe_i32 v6, v6, 0, 16
	v_dual_add_f32 v15, -0.5, v15 :: v_dual_lshrrev_b32 v7, 4, v5
	v_cmp_gt_u32_e64 s1, 0x8000000, v5
	s_delay_alu instid0(VALU_DEP_2) | instskip(NEXT) | instid1(VALU_DEP_1)
	v_or_b32_e32 v7, 0x70000000, v7
	v_mul_f32_e32 v7, 0x7800000, v7
	s_delay_alu instid0(VALU_DEP_1) | instskip(NEXT) | instid1(VALU_DEP_1)
	v_cndmask_b32_e64 v5, v7, v15, s1
	v_and_or_b32 v5, 0x80000000, v6, v5
	v_lshrrev_b32_e32 v6, 16, v4
	s_delay_alu instid0(VALU_DEP_2) | instskip(NEXT) | instid1(VALU_DEP_2)
	v_cmp_eq_f32_e64 s1, s3, v5
	v_and_b32_e32 v6, 0xffffff00, v6
	s_delay_alu instid0(VALU_DEP_2) | instskip(SKIP_1) | instid1(VALU_DEP_1)
	v_cndmask_b32_e64 v7, 0, 1, s1
	v_cmp_neq_f32_e64 s1, s3, v5
	v_cndmask_b32_e64 v5, 0, 1, s1
	s_delay_alu instid0(VALU_DEP_1) | instskip(NEXT) | instid1(VALU_DEP_1)
	v_cndmask_b32_e64 v5, v5, v7, s0
	v_bitop3_b16 v5, v5, v6, 1 bitop3:0xec
	s_delay_alu instid0(VALU_DEP_1) | instskip(NEXT) | instid1(VALU_DEP_1)
	v_lshlrev_b32_e32 v5, 16, v5
	v_and_or_b32 v4, 0xffff, v4, v5
.LBB236_57:
	s_or_b32 exec_lo, exec_lo, s6
	v_or_b32_e32 v5, 0xb00, v0
	s_mov_b32 s6, exec_lo
	s_delay_alu instid0(VALU_DEP_1)
	v_cmpx_gt_i32_e64 s11, v5
	s_cbranch_execz .LBB236_59
; %bb.58:
	v_lshlrev_b16 v6, 8, v14
	v_lshlrev_b32_e32 v5, 25, v14
	s_delay_alu instid0(VALU_DEP_2) | instskip(SKIP_1) | instid1(VALU_DEP_2)
	v_and_or_b32 v14, 0x7f00, v6, 0.5
	v_bfe_i32 v6, v6, 0, 16
	v_dual_add_f32 v14, -0.5, v14 :: v_dual_lshrrev_b32 v7, 4, v5
	v_cmp_gt_u32_e64 s1, 0x8000000, v5
	s_delay_alu instid0(VALU_DEP_2) | instskip(NEXT) | instid1(VALU_DEP_1)
	v_or_b32_e32 v7, 0x70000000, v7
	v_mul_f32_e32 v7, 0x7800000, v7
	s_delay_alu instid0(VALU_DEP_1) | instskip(NEXT) | instid1(VALU_DEP_1)
	v_cndmask_b32_e64 v5, v7, v14, s1
	v_and_or_b32 v5, 0x80000000, v6, v5
	s_delay_alu instid0(VALU_DEP_1) | instskip(NEXT) | instid1(VALU_DEP_1)
	v_cmp_eq_f32_e64 s1, s3, v5
	v_cndmask_b32_e64 v6, 0, 1, s1
	v_cmp_neq_f32_e64 s1, s3, v5
	s_delay_alu instid0(VALU_DEP_1) | instskip(NEXT) | instid1(VALU_DEP_1)
	v_cndmask_b32_e64 v5, 0, 1, s1
	v_dual_cndmask_b32 v5, v5, v6, s0 :: v_dual_lshrrev_b32 v6, 16, v4
	s_delay_alu instid0(VALU_DEP_1) | instskip(NEXT) | instid1(VALU_DEP_1)
	v_and_b32_e32 v5, 1, v5
	v_lshlrev_b16 v5, 8, v5
	s_delay_alu instid0(VALU_DEP_1) | instskip(NEXT) | instid1(VALU_DEP_1)
	v_bitop3_b16 v5, v6, v5, 0xff bitop3:0xec
	v_lshlrev_b32_e32 v5, 16, v5
	s_delay_alu instid0(VALU_DEP_1)
	v_and_or_b32 v4, 0xffff, v4, v5
.LBB236_59:
	s_or_b32 exec_lo, exec_lo, s6
	v_or_b32_e32 v5, 0xc00, v0
	s_mov_b32 s6, exec_lo
	s_delay_alu instid0(VALU_DEP_1)
	v_cmpx_gt_i32_e64 s11, v5
	s_cbranch_execz .LBB236_61
; %bb.60:
	v_lshlrev_b16 v6, 8, v13
	v_lshlrev_b32_e32 v5, 25, v13
	s_delay_alu instid0(VALU_DEP_2) | instskip(SKIP_1) | instid1(VALU_DEP_2)
	v_and_or_b32 v13, 0x7f00, v6, 0.5
	v_bfe_i32 v6, v6, 0, 16
	v_add_f32_e32 v13, -0.5, v13
	s_delay_alu instid0(VALU_DEP_4) | instskip(SKIP_1) | instid1(VALU_DEP_2)
	v_lshrrev_b32_e32 v7, 4, v5
	v_cmp_gt_u32_e64 s1, 0x8000000, v5
	v_or_b32_e32 v7, 0x70000000, v7
	s_delay_alu instid0(VALU_DEP_1) | instskip(NEXT) | instid1(VALU_DEP_1)
	v_mul_f32_e32 v7, 0x7800000, v7
	v_cndmask_b32_e64 v5, v7, v13, s1
	v_and_b32_e32 v7, 0xffffff00, v3
	s_delay_alu instid0(VALU_DEP_2) | instskip(NEXT) | instid1(VALU_DEP_1)
	v_and_or_b32 v5, 0x80000000, v6, v5
	v_cmp_eq_f32_e64 s1, s3, v5
	s_delay_alu instid0(VALU_DEP_1) | instskip(SKIP_1) | instid1(VALU_DEP_1)
	v_cndmask_b32_e64 v6, 0, 1, s1
	v_cmp_neq_f32_e64 s1, s3, v5
	v_cndmask_b32_e64 v5, 0, 1, s1
	s_delay_alu instid0(VALU_DEP_1) | instskip(NEXT) | instid1(VALU_DEP_1)
	v_cndmask_b32_e64 v5, v5, v6, s0
	v_bitop3_b16 v5, v5, v7, 1 bitop3:0xec
	s_delay_alu instid0(VALU_DEP_1) | instskip(NEXT) | instid1(VALU_DEP_1)
	v_and_b32_e32 v5, 0xffff, v5
	v_and_or_b32 v3, 0xffff0000, v3, v5
.LBB236_61:
	s_or_b32 exec_lo, exec_lo, s6
	v_or_b32_e32 v5, 0xd00, v0
	s_mov_b32 s6, exec_lo
	s_delay_alu instid0(VALU_DEP_1)
	v_cmpx_gt_i32_e64 s11, v5
	s_cbranch_execz .LBB236_63
; %bb.62:
	v_lshlrev_b16 v6, 8, v12
	v_lshlrev_b32_e32 v5, 25, v12
	s_delay_alu instid0(VALU_DEP_2) | instskip(SKIP_1) | instid1(VALU_DEP_2)
	v_and_or_b32 v12, 0x7f00, v6, 0.5
	v_bfe_i32 v6, v6, 0, 16
	v_dual_add_f32 v12, -0.5, v12 :: v_dual_lshrrev_b32 v7, 4, v5
	v_cmp_gt_u32_e64 s1, 0x8000000, v5
	s_delay_alu instid0(VALU_DEP_2) | instskip(NEXT) | instid1(VALU_DEP_1)
	v_or_b32_e32 v7, 0x70000000, v7
	v_mul_f32_e32 v7, 0x7800000, v7
	s_delay_alu instid0(VALU_DEP_1) | instskip(NEXT) | instid1(VALU_DEP_1)
	v_cndmask_b32_e64 v5, v7, v12, s1
	v_and_or_b32 v5, 0x80000000, v6, v5
	s_delay_alu instid0(VALU_DEP_1) | instskip(NEXT) | instid1(VALU_DEP_1)
	v_cmp_eq_f32_e64 s1, s3, v5
	v_cndmask_b32_e64 v6, 0, 1, s1
	v_cmp_neq_f32_e64 s1, s3, v5
	s_delay_alu instid0(VALU_DEP_1) | instskip(NEXT) | instid1(VALU_DEP_1)
	v_cndmask_b32_e64 v5, 0, 1, s1
	v_cndmask_b32_e64 v5, v5, v6, s0
	s_delay_alu instid0(VALU_DEP_1) | instskip(NEXT) | instid1(VALU_DEP_1)
	v_and_b32_e32 v5, 1, v5
	v_lshlrev_b16 v5, 8, v5
	s_delay_alu instid0(VALU_DEP_1) | instskip(NEXT) | instid1(VALU_DEP_1)
	v_bitop3_b16 v5, v3, v5, 0xff bitop3:0xec
	v_and_b32_e32 v5, 0xffff, v5
	s_delay_alu instid0(VALU_DEP_1)
	v_and_or_b32 v3, 0xffff0000, v3, v5
.LBB236_63:
	s_or_b32 exec_lo, exec_lo, s6
	v_or_b32_e32 v5, 0xe00, v0
	s_mov_b32 s6, exec_lo
	s_delay_alu instid0(VALU_DEP_1)
	v_cmpx_gt_i32_e64 s11, v5
	s_cbranch_execz .LBB236_65
; %bb.64:
	v_lshlrev_b16 v6, 8, v11
	v_lshlrev_b32_e32 v5, 25, v11
	s_delay_alu instid0(VALU_DEP_2) | instskip(SKIP_1) | instid1(VALU_DEP_2)
	v_and_or_b32 v11, 0x7f00, v6, 0.5
	v_bfe_i32 v6, v6, 0, 16
	v_dual_add_f32 v11, -0.5, v11 :: v_dual_lshrrev_b32 v7, 4, v5
	v_cmp_gt_u32_e64 s1, 0x8000000, v5
	s_delay_alu instid0(VALU_DEP_2) | instskip(NEXT) | instid1(VALU_DEP_1)
	v_or_b32_e32 v7, 0x70000000, v7
	v_mul_f32_e32 v7, 0x7800000, v7
	s_delay_alu instid0(VALU_DEP_1) | instskip(NEXT) | instid1(VALU_DEP_1)
	v_cndmask_b32_e64 v5, v7, v11, s1
	v_and_or_b32 v5, 0x80000000, v6, v5
	v_lshrrev_b32_e32 v6, 16, v3
	s_delay_alu instid0(VALU_DEP_2) | instskip(NEXT) | instid1(VALU_DEP_2)
	v_cmp_eq_f32_e64 s1, s3, v5
	v_and_b32_e32 v6, 0xffffff00, v6
	s_delay_alu instid0(VALU_DEP_2) | instskip(SKIP_1) | instid1(VALU_DEP_1)
	v_cndmask_b32_e64 v7, 0, 1, s1
	v_cmp_neq_f32_e64 s1, s3, v5
	v_cndmask_b32_e64 v5, 0, 1, s1
	s_delay_alu instid0(VALU_DEP_1) | instskip(NEXT) | instid1(VALU_DEP_1)
	v_cndmask_b32_e64 v5, v5, v7, s0
	v_bitop3_b16 v5, v5, v6, 1 bitop3:0xec
	s_delay_alu instid0(VALU_DEP_1) | instskip(NEXT) | instid1(VALU_DEP_1)
	v_lshlrev_b32_e32 v5, 16, v5
	v_and_or_b32 v3, 0xffff, v3, v5
.LBB236_65:
	s_or_b32 exec_lo, exec_lo, s6
	v_or_b32_e32 v5, 0xf00, v0
	s_mov_b32 s6, exec_lo
	s_delay_alu instid0(VALU_DEP_1)
	v_cmpx_gt_i32_e64 s11, v5
	s_cbranch_execnz .LBB236_84
; %bb.66:
	s_or_b32 exec_lo, exec_lo, s6
	s_and_saveexec_b32 s0, vcc_lo
	s_delay_alu instid0(SALU_CYCLE_1)
	s_xor_b32 s0, exec_lo, s0
	s_cbranch_execnz .LBB236_85
.LBB236_67:
	s_or_b32 exec_lo, exec_lo, s0
	s_delay_alu instid0(SALU_CYCLE_1)
	s_mov_b32 s0, exec_lo
	v_cmpx_gt_i32_e64 s11, v0
	s_cbranch_execnz .LBB236_86
.LBB236_68:
	s_or_b32 exec_lo, exec_lo, s0
	s_delay_alu instid0(SALU_CYCLE_1)
	s_mov_b32 s0, exec_lo
	v_cmpx_gt_i32_e64 s11, v0
	s_cbranch_execnz .LBB236_87
.LBB236_69:
	s_or_b32 exec_lo, exec_lo, s0
	s_delay_alu instid0(SALU_CYCLE_1)
	s_mov_b32 s0, exec_lo
	v_cmpx_gt_i32_e64 s11, v0
	s_cbranch_execnz .LBB236_88
.LBB236_70:
	s_or_b32 exec_lo, exec_lo, s0
	s_delay_alu instid0(SALU_CYCLE_1)
	s_mov_b32 s0, exec_lo
	v_cmpx_gt_i32_e64 s11, v0
	s_cbranch_execnz .LBB236_89
.LBB236_71:
	s_or_b32 exec_lo, exec_lo, s0
	s_delay_alu instid0(SALU_CYCLE_1)
	s_mov_b32 s0, exec_lo
	v_cmpx_gt_i32_e64 s11, v0
	s_cbranch_execnz .LBB236_90
.LBB236_72:
	s_or_b32 exec_lo, exec_lo, s0
	s_delay_alu instid0(SALU_CYCLE_1)
	s_mov_b32 s0, exec_lo
	v_cmpx_gt_i32_e64 s11, v0
	s_cbranch_execnz .LBB236_91
.LBB236_73:
	s_or_b32 exec_lo, exec_lo, s0
	s_delay_alu instid0(SALU_CYCLE_1)
	s_mov_b32 s0, exec_lo
	v_cmpx_gt_i32_e64 s11, v0
	s_cbranch_execnz .LBB236_92
.LBB236_74:
	s_or_b32 exec_lo, exec_lo, s0
	s_delay_alu instid0(SALU_CYCLE_1)
	s_mov_b32 s0, exec_lo
	v_cmpx_gt_i32_e64 s11, v0
	s_cbranch_execnz .LBB236_93
.LBB236_75:
	s_or_b32 exec_lo, exec_lo, s0
	s_delay_alu instid0(SALU_CYCLE_1)
	s_mov_b32 s0, exec_lo
	v_cmpx_gt_i32_e64 s11, v0
	s_cbranch_execnz .LBB236_94
.LBB236_76:
	s_or_b32 exec_lo, exec_lo, s0
	s_delay_alu instid0(SALU_CYCLE_1)
	s_mov_b32 s0, exec_lo
	v_cmpx_gt_i32_e64 s11, v0
	s_cbranch_execnz .LBB236_95
.LBB236_77:
	s_or_b32 exec_lo, exec_lo, s0
	s_delay_alu instid0(SALU_CYCLE_1)
	s_mov_b32 s0, exec_lo
	v_cmpx_gt_i32_e64 s11, v0
	s_cbranch_execnz .LBB236_96
.LBB236_78:
	s_or_b32 exec_lo, exec_lo, s0
	s_delay_alu instid0(SALU_CYCLE_1)
	s_mov_b32 s0, exec_lo
	v_cmpx_gt_i32_e64 s11, v0
	s_cbranch_execnz .LBB236_97
.LBB236_79:
	s_or_b32 exec_lo, exec_lo, s0
	s_delay_alu instid0(SALU_CYCLE_1)
	s_mov_b32 s0, exec_lo
	v_cmpx_gt_i32_e64 s11, v0
	s_cbranch_execnz .LBB236_98
.LBB236_80:
	s_or_b32 exec_lo, exec_lo, s0
	s_delay_alu instid0(SALU_CYCLE_1)
	s_mov_b32 s0, exec_lo
	v_cmpx_gt_i32_e64 s11, v0
	s_cbranch_execnz .LBB236_99
.LBB236_81:
	s_or_b32 exec_lo, exec_lo, s0
	s_delay_alu instid0(SALU_CYCLE_1)
	s_mov_b32 s0, exec_lo
	v_cmpx_gt_i32_e64 s11, v0
	s_cbranch_execz .LBB236_83
.LBB236_82:
	v_dual_lshrrev_b32 v1, 24, v3 :: v_dual_add_nc_u32 v0, s2, v0
	global_store_b8 v0, v1, s[4:5]
.LBB236_83:
	s_endpgm
.LBB236_84:
	v_lshlrev_b16 v6, 8, v10
	v_lshlrev_b32_e32 v5, 25, v10
	s_delay_alu instid0(VALU_DEP_2) | instskip(SKIP_1) | instid1(VALU_DEP_2)
	v_and_or_b32 v10, 0x7f00, v6, 0.5
	v_bfe_i32 v6, v6, 0, 16
	v_dual_add_f32 v10, -0.5, v10 :: v_dual_lshrrev_b32 v7, 4, v5
	v_cmp_gt_u32_e64 s1, 0x8000000, v5
	s_delay_alu instid0(VALU_DEP_2) | instskip(NEXT) | instid1(VALU_DEP_1)
	v_or_b32_e32 v7, 0x70000000, v7
	v_mul_f32_e32 v7, 0x7800000, v7
	s_delay_alu instid0(VALU_DEP_1) | instskip(NEXT) | instid1(VALU_DEP_1)
	v_cndmask_b32_e64 v5, v7, v10, s1
	v_and_or_b32 v5, 0x80000000, v6, v5
	s_delay_alu instid0(VALU_DEP_1) | instskip(NEXT) | instid1(VALU_DEP_1)
	v_cmp_eq_f32_e64 s1, s3, v5
	v_cndmask_b32_e64 v6, 0, 1, s1
	v_cmp_neq_f32_e64 s1, s3, v5
	s_delay_alu instid0(VALU_DEP_1) | instskip(NEXT) | instid1(VALU_DEP_1)
	v_cndmask_b32_e64 v5, 0, 1, s1
	v_dual_cndmask_b32 v5, v5, v6, s0 :: v_dual_lshrrev_b32 v6, 16, v3
	s_delay_alu instid0(VALU_DEP_1) | instskip(NEXT) | instid1(VALU_DEP_1)
	v_and_b32_e32 v5, 1, v5
	v_lshlrev_b16 v5, 8, v5
	s_delay_alu instid0(VALU_DEP_1) | instskip(NEXT) | instid1(VALU_DEP_1)
	v_bitop3_b16 v5, v6, v5, 0xff bitop3:0xec
	v_lshlrev_b32_e32 v5, 16, v5
	s_delay_alu instid0(VALU_DEP_1) | instskip(SKIP_2) | instid1(SALU_CYCLE_1)
	v_and_or_b32 v3, 0xffff, v3, v5
	s_or_b32 exec_lo, exec_lo, s6
	s_and_saveexec_b32 s0, vcc_lo
	s_xor_b32 s0, exec_lo, s0
	s_cbranch_execz .LBB236_67
.LBB236_85:
	v_mov_b32_e32 v0, v9
	global_store_b8 v8, v2, s[4:5]
	s_wait_xcnt 0x0
	s_or_b32 exec_lo, exec_lo, s0
	s_delay_alu instid0(SALU_CYCLE_1)
	s_mov_b32 s0, exec_lo
	v_cmpx_gt_i32_e64 s11, v0
	s_cbranch_execz .LBB236_68
.LBB236_86:
	v_dual_lshrrev_b32 v5, 8, v2 :: v_dual_add_nc_u32 v6, s2, v0
	v_add_nc_u32_e32 v0, 0x100, v0
	global_store_b8 v6, v5, s[4:5]
	s_wait_xcnt 0x0
	s_or_b32 exec_lo, exec_lo, s0
	s_delay_alu instid0(SALU_CYCLE_1)
	s_mov_b32 s0, exec_lo
	v_cmpx_gt_i32_e64 s11, v0
	s_cbranch_execz .LBB236_69
.LBB236_87:
	v_add_nc_u32_e32 v5, s2, v0
	v_add_nc_u32_e32 v0, 0x100, v0
	global_store_d16_hi_b8 v5, v2, s[4:5]
	s_wait_xcnt 0x0
	s_or_b32 exec_lo, exec_lo, s0
	s_delay_alu instid0(SALU_CYCLE_1)
	s_mov_b32 s0, exec_lo
	v_cmpx_gt_i32_e64 s11, v0
	s_cbranch_execz .LBB236_70
.LBB236_88:
	v_dual_lshrrev_b32 v2, 24, v2 :: v_dual_add_nc_u32 v5, s2, v0
	v_add_nc_u32_e32 v0, 0x100, v0
	global_store_b8 v5, v2, s[4:5]
	s_wait_xcnt 0x0
	s_or_b32 exec_lo, exec_lo, s0
	s_delay_alu instid0(SALU_CYCLE_1)
	s_mov_b32 s0, exec_lo
	v_cmpx_gt_i32_e64 s11, v0
	s_cbranch_execz .LBB236_71
.LBB236_89:
	v_add_nc_u32_e32 v2, s2, v0
	v_add_nc_u32_e32 v0, 0x100, v0
	global_store_b8 v2, v1, s[4:5]
	s_wait_xcnt 0x0
	s_or_b32 exec_lo, exec_lo, s0
	s_delay_alu instid0(SALU_CYCLE_1)
	s_mov_b32 s0, exec_lo
	v_cmpx_gt_i32_e64 s11, v0
	s_cbranch_execz .LBB236_72
.LBB236_90:
	v_dual_lshrrev_b32 v2, 8, v1 :: v_dual_add_nc_u32 v5, s2, v0
	v_add_nc_u32_e32 v0, 0x100, v0
	global_store_b8 v5, v2, s[4:5]
	s_wait_xcnt 0x0
	s_or_b32 exec_lo, exec_lo, s0
	s_delay_alu instid0(SALU_CYCLE_1)
	s_mov_b32 s0, exec_lo
	v_cmpx_gt_i32_e64 s11, v0
	s_cbranch_execz .LBB236_73
.LBB236_91:
	v_add_nc_u32_e32 v2, s2, v0
	v_add_nc_u32_e32 v0, 0x100, v0
	global_store_d16_hi_b8 v2, v1, s[4:5]
	s_wait_xcnt 0x0
	s_or_b32 exec_lo, exec_lo, s0
	s_delay_alu instid0(SALU_CYCLE_1)
	s_mov_b32 s0, exec_lo
	v_cmpx_gt_i32_e64 s11, v0
	s_cbranch_execz .LBB236_74
.LBB236_92:
	v_dual_lshrrev_b32 v1, 24, v1 :: v_dual_add_nc_u32 v2, s2, v0
	v_add_nc_u32_e32 v0, 0x100, v0
	global_store_b8 v2, v1, s[4:5]
	s_wait_xcnt 0x0
	s_or_b32 exec_lo, exec_lo, s0
	s_delay_alu instid0(SALU_CYCLE_1)
	s_mov_b32 s0, exec_lo
	v_cmpx_gt_i32_e64 s11, v0
	s_cbranch_execz .LBB236_75
.LBB236_93:
	v_add_nc_u32_e32 v1, s2, v0
	v_add_nc_u32_e32 v0, 0x100, v0
	global_store_b8 v1, v4, s[4:5]
	s_wait_xcnt 0x0
	s_or_b32 exec_lo, exec_lo, s0
	s_delay_alu instid0(SALU_CYCLE_1)
	s_mov_b32 s0, exec_lo
	v_cmpx_gt_i32_e64 s11, v0
	s_cbranch_execz .LBB236_76
.LBB236_94:
	v_lshrrev_b32_e32 v1, 8, v4
	v_add_nc_u32_e32 v2, s2, v0
	v_add_nc_u32_e32 v0, 0x100, v0
	global_store_b8 v2, v1, s[4:5]
	s_wait_xcnt 0x0
	s_or_b32 exec_lo, exec_lo, s0
	s_delay_alu instid0(SALU_CYCLE_1)
	s_mov_b32 s0, exec_lo
	v_cmpx_gt_i32_e64 s11, v0
	s_cbranch_execz .LBB236_77
.LBB236_95:
	v_add_nc_u32_e32 v1, s2, v0
	v_add_nc_u32_e32 v0, 0x100, v0
	global_store_d16_hi_b8 v1, v4, s[4:5]
	s_wait_xcnt 0x0
	s_or_b32 exec_lo, exec_lo, s0
	s_delay_alu instid0(SALU_CYCLE_1)
	s_mov_b32 s0, exec_lo
	v_cmpx_gt_i32_e64 s11, v0
	s_cbranch_execz .LBB236_78
.LBB236_96:
	v_lshrrev_b32_e32 v1, 24, v4
	v_add_nc_u32_e32 v2, s2, v0
	v_add_nc_u32_e32 v0, 0x100, v0
	global_store_b8 v2, v1, s[4:5]
	s_wait_xcnt 0x0
	s_or_b32 exec_lo, exec_lo, s0
	s_delay_alu instid0(SALU_CYCLE_1)
	s_mov_b32 s0, exec_lo
	v_cmpx_gt_i32_e64 s11, v0
	s_cbranch_execz .LBB236_79
.LBB236_97:
	v_add_nc_u32_e32 v1, s2, v0
	v_add_nc_u32_e32 v0, 0x100, v0
	global_store_b8 v1, v3, s[4:5]
	s_wait_xcnt 0x0
	s_or_b32 exec_lo, exec_lo, s0
	s_delay_alu instid0(SALU_CYCLE_1)
	s_mov_b32 s0, exec_lo
	v_cmpx_gt_i32_e64 s11, v0
	s_cbranch_execz .LBB236_80
.LBB236_98:
	v_dual_lshrrev_b32 v1, 8, v3 :: v_dual_add_nc_u32 v2, s2, v0
	v_add_nc_u32_e32 v0, 0x100, v0
	global_store_b8 v2, v1, s[4:5]
	s_wait_xcnt 0x0
	s_or_b32 exec_lo, exec_lo, s0
	s_delay_alu instid0(SALU_CYCLE_1)
	s_mov_b32 s0, exec_lo
	v_cmpx_gt_i32_e64 s11, v0
	s_cbranch_execz .LBB236_81
.LBB236_99:
	v_add_nc_u32_e32 v1, s2, v0
	v_add_nc_u32_e32 v0, 0x100, v0
	global_store_d16_hi_b8 v1, v3, s[4:5]
	s_wait_xcnt 0x0
	s_or_b32 exec_lo, exec_lo, s0
	s_delay_alu instid0(SALU_CYCLE_1)
	s_mov_b32 s0, exec_lo
	v_cmpx_gt_i32_e64 s11, v0
	s_cbranch_execnz .LBB236_82
	s_branch .LBB236_83
	.section	.rodata,"a",@progbits
	.p2align	6, 0x0
	.amdhsa_kernel _ZN2at6native29vectorized_elementwise_kernelILi8ENS0_13AUnaryFunctorIN3c1011Float8_e5m2ES4_bNS0_12_GLOBAL__N_116CompareEqFunctorIS4_EEEESt5arrayIPcLm2EEEEviT0_T1_
		.amdhsa_group_segment_fixed_size 0
		.amdhsa_private_segment_fixed_size 0
		.amdhsa_kernarg_size 32
		.amdhsa_user_sgpr_count 2
		.amdhsa_user_sgpr_dispatch_ptr 0
		.amdhsa_user_sgpr_queue_ptr 0
		.amdhsa_user_sgpr_kernarg_segment_ptr 1
		.amdhsa_user_sgpr_dispatch_id 0
		.amdhsa_user_sgpr_kernarg_preload_length 0
		.amdhsa_user_sgpr_kernarg_preload_offset 0
		.amdhsa_user_sgpr_private_segment_size 0
		.amdhsa_wavefront_size32 1
		.amdhsa_uses_dynamic_stack 0
		.amdhsa_enable_private_segment 0
		.amdhsa_system_sgpr_workgroup_id_x 1
		.amdhsa_system_sgpr_workgroup_id_y 0
		.amdhsa_system_sgpr_workgroup_id_z 0
		.amdhsa_system_sgpr_workgroup_info 0
		.amdhsa_system_vgpr_workitem_id 0
		.amdhsa_next_free_vgpr 63
		.amdhsa_next_free_sgpr 23
		.amdhsa_named_barrier_count 0
		.amdhsa_reserve_vcc 1
		.amdhsa_float_round_mode_32 0
		.amdhsa_float_round_mode_16_64 0
		.amdhsa_float_denorm_mode_32 3
		.amdhsa_float_denorm_mode_16_64 3
		.amdhsa_fp16_overflow 0
		.amdhsa_memory_ordered 1
		.amdhsa_forward_progress 1
		.amdhsa_inst_pref_size 70
		.amdhsa_round_robin_scheduling 0
		.amdhsa_exception_fp_ieee_invalid_op 0
		.amdhsa_exception_fp_denorm_src 0
		.amdhsa_exception_fp_ieee_div_zero 0
		.amdhsa_exception_fp_ieee_overflow 0
		.amdhsa_exception_fp_ieee_underflow 0
		.amdhsa_exception_fp_ieee_inexact 0
		.amdhsa_exception_int_div_zero 0
	.end_amdhsa_kernel
	.section	.text._ZN2at6native29vectorized_elementwise_kernelILi8ENS0_13AUnaryFunctorIN3c1011Float8_e5m2ES4_bNS0_12_GLOBAL__N_116CompareEqFunctorIS4_EEEESt5arrayIPcLm2EEEEviT0_T1_,"axG",@progbits,_ZN2at6native29vectorized_elementwise_kernelILi8ENS0_13AUnaryFunctorIN3c1011Float8_e5m2ES4_bNS0_12_GLOBAL__N_116CompareEqFunctorIS4_EEEESt5arrayIPcLm2EEEEviT0_T1_,comdat
.Lfunc_end236:
	.size	_ZN2at6native29vectorized_elementwise_kernelILi8ENS0_13AUnaryFunctorIN3c1011Float8_e5m2ES4_bNS0_12_GLOBAL__N_116CompareEqFunctorIS4_EEEESt5arrayIPcLm2EEEEviT0_T1_, .Lfunc_end236-_ZN2at6native29vectorized_elementwise_kernelILi8ENS0_13AUnaryFunctorIN3c1011Float8_e5m2ES4_bNS0_12_GLOBAL__N_116CompareEqFunctorIS4_EEEESt5arrayIPcLm2EEEEviT0_T1_
                                        ; -- End function
	.set _ZN2at6native29vectorized_elementwise_kernelILi8ENS0_13AUnaryFunctorIN3c1011Float8_e5m2ES4_bNS0_12_GLOBAL__N_116CompareEqFunctorIS4_EEEESt5arrayIPcLm2EEEEviT0_T1_.num_vgpr, 63
	.set _ZN2at6native29vectorized_elementwise_kernelILi8ENS0_13AUnaryFunctorIN3c1011Float8_e5m2ES4_bNS0_12_GLOBAL__N_116CompareEqFunctorIS4_EEEESt5arrayIPcLm2EEEEviT0_T1_.num_agpr, 0
	.set _ZN2at6native29vectorized_elementwise_kernelILi8ENS0_13AUnaryFunctorIN3c1011Float8_e5m2ES4_bNS0_12_GLOBAL__N_116CompareEqFunctorIS4_EEEESt5arrayIPcLm2EEEEviT0_T1_.numbered_sgpr, 23
	.set _ZN2at6native29vectorized_elementwise_kernelILi8ENS0_13AUnaryFunctorIN3c1011Float8_e5m2ES4_bNS0_12_GLOBAL__N_116CompareEqFunctorIS4_EEEESt5arrayIPcLm2EEEEviT0_T1_.num_named_barrier, 0
	.set _ZN2at6native29vectorized_elementwise_kernelILi8ENS0_13AUnaryFunctorIN3c1011Float8_e5m2ES4_bNS0_12_GLOBAL__N_116CompareEqFunctorIS4_EEEESt5arrayIPcLm2EEEEviT0_T1_.private_seg_size, 0
	.set _ZN2at6native29vectorized_elementwise_kernelILi8ENS0_13AUnaryFunctorIN3c1011Float8_e5m2ES4_bNS0_12_GLOBAL__N_116CompareEqFunctorIS4_EEEESt5arrayIPcLm2EEEEviT0_T1_.uses_vcc, 1
	.set _ZN2at6native29vectorized_elementwise_kernelILi8ENS0_13AUnaryFunctorIN3c1011Float8_e5m2ES4_bNS0_12_GLOBAL__N_116CompareEqFunctorIS4_EEEESt5arrayIPcLm2EEEEviT0_T1_.uses_flat_scratch, 0
	.set _ZN2at6native29vectorized_elementwise_kernelILi8ENS0_13AUnaryFunctorIN3c1011Float8_e5m2ES4_bNS0_12_GLOBAL__N_116CompareEqFunctorIS4_EEEESt5arrayIPcLm2EEEEviT0_T1_.has_dyn_sized_stack, 0
	.set _ZN2at6native29vectorized_elementwise_kernelILi8ENS0_13AUnaryFunctorIN3c1011Float8_e5m2ES4_bNS0_12_GLOBAL__N_116CompareEqFunctorIS4_EEEESt5arrayIPcLm2EEEEviT0_T1_.has_recursion, 0
	.set _ZN2at6native29vectorized_elementwise_kernelILi8ENS0_13AUnaryFunctorIN3c1011Float8_e5m2ES4_bNS0_12_GLOBAL__N_116CompareEqFunctorIS4_EEEESt5arrayIPcLm2EEEEviT0_T1_.has_indirect_call, 0
	.section	.AMDGPU.csdata,"",@progbits
; Kernel info:
; codeLenInByte = 8952
; TotalNumSgprs: 25
; NumVgprs: 63
; ScratchSize: 0
; MemoryBound: 0
; FloatMode: 240
; IeeeMode: 1
; LDSByteSize: 0 bytes/workgroup (compile time only)
; SGPRBlocks: 0
; VGPRBlocks: 3
; NumSGPRsForWavesPerEU: 25
; NumVGPRsForWavesPerEU: 63
; NamedBarCnt: 0
; Occupancy: 16
; WaveLimiterHint : 1
; COMPUTE_PGM_RSRC2:SCRATCH_EN: 0
; COMPUTE_PGM_RSRC2:USER_SGPR: 2
; COMPUTE_PGM_RSRC2:TRAP_HANDLER: 0
; COMPUTE_PGM_RSRC2:TGID_X_EN: 1
; COMPUTE_PGM_RSRC2:TGID_Y_EN: 0
; COMPUTE_PGM_RSRC2:TGID_Z_EN: 0
; COMPUTE_PGM_RSRC2:TIDIG_COMP_CNT: 0
	.section	.text._ZN2at6native29vectorized_elementwise_kernelILi4ENS0_13AUnaryFunctorIN3c1011Float8_e5m2ES4_bNS0_12_GLOBAL__N_116CompareEqFunctorIS4_EEEESt5arrayIPcLm2EEEEviT0_T1_,"axG",@progbits,_ZN2at6native29vectorized_elementwise_kernelILi4ENS0_13AUnaryFunctorIN3c1011Float8_e5m2ES4_bNS0_12_GLOBAL__N_116CompareEqFunctorIS4_EEEESt5arrayIPcLm2EEEEviT0_T1_,comdat
	.globl	_ZN2at6native29vectorized_elementwise_kernelILi4ENS0_13AUnaryFunctorIN3c1011Float8_e5m2ES4_bNS0_12_GLOBAL__N_116CompareEqFunctorIS4_EEEESt5arrayIPcLm2EEEEviT0_T1_ ; -- Begin function _ZN2at6native29vectorized_elementwise_kernelILi4ENS0_13AUnaryFunctorIN3c1011Float8_e5m2ES4_bNS0_12_GLOBAL__N_116CompareEqFunctorIS4_EEEESt5arrayIPcLm2EEEEviT0_T1_
	.p2align	8
	.type	_ZN2at6native29vectorized_elementwise_kernelILi4ENS0_13AUnaryFunctorIN3c1011Float8_e5m2ES4_bNS0_12_GLOBAL__N_116CompareEqFunctorIS4_EEEESt5arrayIPcLm2EEEEviT0_T1_,@function
_ZN2at6native29vectorized_elementwise_kernelILi4ENS0_13AUnaryFunctorIN3c1011Float8_e5m2ES4_bNS0_12_GLOBAL__N_116CompareEqFunctorIS4_EEEESt5arrayIPcLm2EEEEviT0_T1_: ; @_ZN2at6native29vectorized_elementwise_kernelILi4ENS0_13AUnaryFunctorIN3c1011Float8_e5m2ES4_bNS0_12_GLOBAL__N_116CompareEqFunctorIS4_EEEESt5arrayIPcLm2EEEEviT0_T1_
; %bb.0:
	s_clause 0x1
	s_load_b96 s[8:10], s[0:1], 0x0
	s_load_b128 s[4:7], s[0:1], 0x10
	s_wait_xcnt 0x0
	s_bfe_u32 s0, ttmp6, 0x4000c
	s_and_b32 s1, ttmp6, 15
	s_add_co_i32 s0, s0, 1
	s_getreg_b32 s2, hwreg(HW_REG_IB_STS2, 6, 4)
	s_mul_i32 s0, ttmp9, s0
	s_delay_alu instid0(SALU_CYCLE_1) | instskip(SKIP_2) | instid1(SALU_CYCLE_1)
	s_add_co_i32 s1, s1, s0
	s_cmp_eq_u32 s2, 0
	s_cselect_b32 s0, ttmp9, s1
	s_lshl_b32 s2, s0, 12
	s_mov_b32 s0, -1
	s_wait_kmcnt 0x0
	s_sub_co_i32 s11, s8, s2
	s_delay_alu instid0(SALU_CYCLE_1)
	s_cmp_gt_i32 s11, 0xfff
	s_cbranch_scc0 .LBB237_2
; %bb.1:
	s_ashr_i32 s3, s2, 31
	s_cmp_eq_u32 s9, 0
	s_add_nc_u64 s[0:1], s[6:7], s[2:3]
	s_cselect_b32 vcc_lo, -1, 0
	s_clause 0x3
	global_load_b32 v1, v0, s[0:1] scale_offset
	global_load_b32 v30, v0, s[0:1] offset:1024 scale_offset
	global_load_b32 v31, v0, s[0:1] offset:2048 scale_offset
	;; [unrolled: 1-line block ×3, first 2 shown]
	s_wait_xcnt 0x0
	s_lshl_b32 s0, s10, 8
	s_lshl_b32 s1, s10, 25
	s_and_b32 s0, s0, 0x7f00
	s_lshr_b32 s8, s1, 4
	s_or_b32 s0, s0, 0.5
	s_or_b32 s8, s8, 0x70000000
	s_add_f32 s0, s0, -0.5
	s_mul_f32 s8, s8, 0x7800000
	s_mov_b32 s13, 0xfe00000
	s_cmp_lt_u32 s1, 0x8000000
	s_delay_alu instid0(SALU_CYCLE_1) | instskip(SKIP_3) | instid1(SALU_CYCLE_1)
	s_cselect_b32 s0, s0, s8
	s_lshl_b32 s1, s10, 24
	s_mov_b32 s8, 0x7800000
	s_and_b32 s1, s1, 0x80000000
	s_or_b32 s12, s1, s0
	s_wait_loadcnt 0x3
	v_dual_lshrrev_b32 v4, 8, v1 :: v_dual_lshrrev_b32 v6, 16, v1
	v_dual_lshlrev_b32 v36, 8, v1 :: v_dual_lshlrev_b32 v10, 5, v1
	s_wait_loadcnt 0x2
	v_dual_lshrrev_b32 v12, 3, v1 :: v_dual_lshrrev_b32 v20, 8, v30
	v_dual_lshlrev_b32 v33, 17, v1 :: v_dual_lshlrev_b32 v34, 25, v1
	v_lshlrev_b16 v18, 8, v30
	v_dual_lshrrev_b32 v19, 16, v30 :: v_dual_lshlrev_b32 v37, 17, v30
	v_dual_lshlrev_b32 v16, 5, v30 :: v_dual_lshrrev_b32 v17, 3, v30
	v_dual_lshlrev_b32 v54, 17, v6 :: v_dual_lshlrev_b32 v55, 17, v4
	v_and_or_b32 v13, v12, s13, 0x70000000
	v_and_or_b32 v12, v10, s13, 0x70000000
	v_and_or_b32 v15, 0x7f00, v6, 0.5
	v_and_or_b32 v14, 0x7f00, v4, 0.5
	v_dual_lshlrev_b32 v38, 25, v30 :: v_dual_lshlrev_b32 v21, 13, v30
	s_wait_loadcnt 0x1
	v_dual_lshrrev_b32 v23, 8, v31 :: v_dual_lshrrev_b32 v24, 16, v31
	v_dual_lshlrev_b32 v44, 8, v31 :: v_dual_lshlrev_b32 v26, 5, v31
	s_wait_loadcnt 0x0
	v_dual_lshrrev_b32 v27, 3, v31 :: v_dual_lshrrev_b32 v45, 8, v32
	v_dual_lshrrev_b32 v56, 4, v34 :: v_dual_lshlrev_b32 v58, 17, v19
	v_bfe_i32 v57, v18, 0, 16
	v_and_or_b32 v17, v17, s13, 0x70000000
	v_and_or_b32 v16, v16, s13, 0x70000000
	v_lshlrev_b32_e32 v59, 17, v20
	v_and_or_b32 v4, 0x7f00, v18, 0.5
	v_and_or_b32 v19, 0x7f00, v19, 0.5
	v_and_or_b32 v18, 0x7f00, v20, 0.5
	v_pk_add_f32 v[14:15], v[14:15], -0.5 op_sel_hi:[1,0]
	v_pk_mul_f32 v[12:13], v[12:13], s[8:9] op_sel_hi:[1,0]
	v_cmp_gt_u32_e64 s0, 0x8000000, v55
	v_cmp_gt_u32_e64 s1, 0x8000000, v54
	v_dual_lshlrev_b32 v8, 13, v1 :: v_dual_lshlrev_b32 v35, 16, v1
	v_lshlrev_b16 v22, 8, v31
	v_lshlrev_b16 v28, 8, v32
	v_dual_lshlrev_b32 v51, 5, v32 :: v_dual_lshrrev_b32 v52, 3, v32
	v_dual_lshrrev_b32 v20, 4, v38 :: v_dual_cndmask_b32 v54, v13, v15, s1
	v_dual_cndmask_b32 v55, v12, v14, s0 :: v_dual_lshlrev_b32 v61, 17, v24
	v_lshlrev_b32_e32 v62, 17, v23
	v_and_or_b32 v13, v27, s13, 0x70000000
	v_and_or_b32 v12, v26, s13, 0x70000000
	v_and_or_b32 v15, 0x7f00, v24, 0.5
	v_and_or_b32 v14, 0x7f00, v23, 0.5
	v_pk_add_f32 v[18:19], v[18:19], -0.5 op_sel_hi:[1,0]
	v_pk_mul_f32 v[16:17], v[16:17], s[8:9] op_sel_hi:[1,0]
	v_cmp_gt_u32_e64 s0, 0x8000000, v59
	v_dual_lshrrev_b32 v29, 16, v32 :: v_dual_lshlrev_b32 v46, 17, v32
	v_and_or_b32 v11, v8, s13, 0x70000000
	v_bfe_i32 v60, v22, 0, 16
	v_and_or_b32 v6, 0x7f00, v22, 0.5
	v_and_or_b32 v22, v51, s13, 0x70000000
	v_and_or_b32 v8, 0x7f00, v28, 0.5
	v_bfe_i32 v51, v28, 0, 16
	v_and_or_b32 v28, 0x7f00, v45, 0.5
	v_dual_lshlrev_b32 v45, 17, v45 :: v_dual_cndmask_b32 v18, v16, v18, s0
	v_pk_add_f32 v[14:15], v[14:15], -0.5 op_sel_hi:[1,0]
	v_pk_mul_f32 v[12:13], v[12:13], s[8:9] op_sel_hi:[1,0]
	v_cmp_gt_u32_e64 s0, 0x8000000, v61
	v_and_or_b32 v23, v52, s13, 0x70000000
	v_cmp_gt_u32_e64 s1, 0x8000000, v58
	v_lshlrev_b32_e32 v52, 17, v29
	v_and_or_b32 v29, 0x7f00, v29, 0.5
	v_cndmask_b32_e64 v15, v13, v15, s0
	v_cmp_gt_u32_e64 s0, 0x8000000, v62
	v_lshlrev_b16 v2, 8, v1
	v_pk_mul_f32 v[22:23], v[22:23], s[8:9] op_sel_hi:[1,0]
	v_pk_add_f32 v[28:29], v[28:29], -0.5 op_sel_hi:[1,0]
	s_delay_alu instid0(VALU_DEP_4)
	v_dual_cndmask_b32 v19, v17, v19, s1 :: v_dual_cndmask_b32 v14, v12, v14, s0
	v_cmp_gt_u32_e64 s0, 0x8000000, v52
	v_and_or_b32 v3, 0x7f00, v1, 0.5
	v_bfe_i32 v53, v2, 0, 16
	v_and_or_b32 v2, 0x7f00, v2, 0.5
	v_or_b32_e32 v10, 0x70000000, v56
	v_cndmask_b32_e64 v23, v23, v29, s0
	v_cmp_gt_u32_e64 s0, 0x8000000, v45
	v_and_or_b32 v5, 0x7f00, v30, 0.5
	v_pk_add_f32 v[2:3], v[2:3], -0.5 op_sel_hi:[1,0]
	v_pk_mul_f32 v[10:11], v[10:11], s[8:9] op_sel_hi:[1,0]
	v_dual_lshlrev_b32 v41, 17, v31 :: v_dual_lshlrev_b32 v42, 25, v31
	v_cndmask_b32_e64 v22, v22, v28, s0
	v_cmp_gt_u32_e64 s0, 0x8000000, v33
	v_and_or_b32 v21, v21, s13, 0x70000000
	v_or_b32_e32 v20, 0x70000000, v20
	v_dual_lshlrev_b32 v25, 13, v31 :: v_dual_lshlrev_b32 v43, 16, v31
	s_delay_alu instid0(VALU_DEP_4)
	v_cndmask_b32_e64 v3, v11, v3, s0
	v_cmp_gt_u32_e64 s0, 0x8000000, v34
	v_dual_lshlrev_b32 v47, 25, v32 :: v_dual_lshlrev_b32 v48, 13, v32
	v_lshrrev_b32_e32 v24, 4, v42
	v_pk_add_f32 v[4:5], v[4:5], -0.5 op_sel_hi:[1,0]
	v_pk_mul_f32 v[20:21], v[20:21], s[8:9] op_sel_hi:[1,0]
	v_cndmask_b32_e64 v2, v10, v2, s0
	v_cmp_gt_u32_e64 s0, 0x8000000, v37
	v_and_or_b32 v7, 0x7f00, v31, 0.5
	v_and_or_b32 v25, v25, s13, 0x70000000
	v_lshrrev_b32_e32 v26, 4, v47
	v_or_b32_e32 v24, 0x70000000, v24
	v_cndmask_b32_e64 v5, v21, v5, s0
	v_cmp_gt_u32_e64 s0, 0x8000000, v38
	v_pk_add_f32 v[6:7], v[6:7], -0.5 op_sel_hi:[1,0]
	v_and_or_b32 v9, 0x7f00, v32, 0.5
	v_pk_mul_f32 v[16:17], v[24:25], s[8:9] op_sel_hi:[1,0]
	v_and_or_b32 v27, v48, s13, 0x70000000
	v_cndmask_b32_e64 v4, v20, v4, s0
	v_cmp_gt_u32_e64 s0, 0x8000000, v41
	v_or_b32_e32 v26, 0x70000000, v26
	v_pk_add_f32 v[8:9], v[8:9], -0.5 op_sel_hi:[1,0]
	v_and_or_b32 v10, 0x80000000, v36, v55
	v_and_or_b32 v1, 0x80000000, v1, v54
	v_cndmask_b32_e64 v7, v17, v7, s0
	v_cmp_gt_u32_e64 s0, 0x8000000, v42
	v_pk_mul_f32 v[12:13], v[26:27], s[8:9] op_sel_hi:[1,0]
	v_dual_lshlrev_b32 v39, 16, v30 :: v_dual_lshlrev_b32 v40, 8, v30
	v_and_or_b32 v14, 0x80000000, v44, v14
	s_delay_alu instid0(VALU_DEP_4)
	v_cndmask_b32_e64 v6, v16, v6, s0
	v_cmp_gt_u32_e64 s0, 0x8000000, v46
	v_and_or_b32 v15, 0x80000000, v31, v15
	v_and_or_b32 v11, 0x80000000, v40, v18
	;; [unrolled: 1-line block ×3, first 2 shown]
	v_dual_lshlrev_b32 v49, 16, v32 :: v_dual_lshlrev_b32 v50, 8, v32
	v_cndmask_b32_e64 v9, v13, v9, s0
	v_cmp_gt_u32_e64 s0, 0x8000000, v47
	v_and_or_b32 v13, 0x80000000, v32, v23
	v_and_or_b32 v2, 0x80000000, v53, v2
	;; [unrolled: 1-line block ×4, first 2 shown]
	v_cndmask_b32_e64 v8, v12, v8, s0
	v_cmp_eq_f32_e64 s0, s12, v10
	v_and_or_b32 v12, 0x80000000, v50, v22
	v_and_or_b32 v5, 0x80000000, v39, v5
	;; [unrolled: 1-line block ×4, first 2 shown]
	v_cndmask_b32_e64 v16, 0, 1, s0
	v_cmp_neq_f32_e64 s0, s12, v10
	v_and_or_b32 v8, 0x80000000, v51, v8
	v_and_or_b32 v9, 0x80000000, v49, v9
	s_delay_alu instid0(VALU_DEP_3) | instskip(SKIP_1) | instid1(VALU_DEP_1)
	v_cndmask_b32_e64 v10, 0, 1, s0
	v_cmp_eq_f32_e64 s0, s12, v1
	v_cndmask_b32_e64 v17, 0, 1, s0
	v_cmp_neq_f32_e64 s0, s12, v1
	s_delay_alu instid0(VALU_DEP_1) | instskip(SKIP_1) | instid1(VALU_DEP_2)
	v_cndmask_b32_e64 v1, 0, 1, s0
	v_cmp_eq_f32_e64 s0, s12, v11
	v_dual_cndmask_b32 v10, v10, v16 :: v_dual_cndmask_b32 v1, v1, v17
	s_delay_alu instid0(VALU_DEP_2) | instskip(SKIP_1) | instid1(VALU_DEP_3)
	v_cndmask_b32_e64 v19, 0, 1, s0
	v_cmp_neq_f32_e64 s0, s12, v11
	v_and_b32_e32 v1, 1, v1
	s_delay_alu instid0(VALU_DEP_2) | instskip(SKIP_1) | instid1(VALU_DEP_3)
	v_cndmask_b32_e64 v11, 0, 1, s0
	v_cmp_eq_f32_e64 s0, s12, v18
	v_lshlrev_b16 v1, 8, v1
	s_delay_alu instid0(VALU_DEP_2) | instskip(SKIP_1) | instid1(VALU_DEP_3)
	v_cndmask_b32_e64 v20, 0, 1, s0
	v_cmp_neq_f32_e64 s0, s12, v18
	v_bitop3_b16 v1, v10, v1, 1 bitop3:0xec
	s_delay_alu instid0(VALU_DEP_2) | instskip(SKIP_1) | instid1(VALU_DEP_3)
	v_cndmask_b32_e64 v18, 0, 1, s0
	v_cmp_eq_f32_e64 s0, s12, v14
	v_dual_cndmask_b32 v11, v11, v19, vcc_lo :: v_dual_lshlrev_b32 v1, 16, v1
	s_delay_alu instid0(VALU_DEP_3) | instskip(NEXT) | instid1(VALU_DEP_3)
	v_cndmask_b32_e32 v18, v18, v20, vcc_lo
	v_cndmask_b32_e64 v21, 0, 1, s0
	v_cmp_neq_f32_e64 s0, s12, v14
	s_delay_alu instid0(VALU_DEP_1) | instskip(SKIP_1) | instid1(VALU_DEP_1)
	v_cndmask_b32_e64 v14, 0, 1, s0
	v_cmp_eq_f32_e64 s0, s12, v15
	v_cndmask_b32_e64 v22, 0, 1, s0
	v_cmp_neq_f32_e64 s0, s12, v15
	s_delay_alu instid0(VALU_DEP_1) | instskip(SKIP_1) | instid1(VALU_DEP_2)
	v_cndmask_b32_e64 v15, 0, 1, s0
	v_cmp_eq_f32_e64 s0, s12, v12
	v_dual_cndmask_b32 v14, v14, v21 :: v_dual_cndmask_b32 v15, v15, v22
	s_delay_alu instid0(VALU_DEP_2) | instskip(SKIP_1) | instid1(VALU_DEP_3)
	v_cndmask_b32_e64 v23, 0, 1, s0
	v_cmp_neq_f32_e64 s0, s12, v12
	v_and_b32_e32 v15, 1, v15
	s_delay_alu instid0(VALU_DEP_2) | instskip(SKIP_1) | instid1(VALU_DEP_3)
	v_cndmask_b32_e64 v12, 0, 1, s0
	v_cmp_eq_f32_e64 s0, s12, v13
	v_lshlrev_b16 v15, 8, v15
	s_delay_alu instid0(VALU_DEP_2) | instskip(SKIP_1) | instid1(VALU_DEP_1)
	v_cndmask_b32_e64 v24, 0, 1, s0
	v_cmp_neq_f32_e64 s0, s12, v13
	v_cndmask_b32_e64 v13, 0, 1, s0
	v_cmp_eq_f32_e64 s0, s12, v2
	s_delay_alu instid0(VALU_DEP_2) | instskip(NEXT) | instid1(VALU_DEP_2)
	v_dual_cndmask_b32 v12, v12, v23 :: v_dual_cndmask_b32 v13, v13, v24
	v_cndmask_b32_e64 v16, 0, 1, s0
	v_cmp_neq_f32_e64 s0, s12, v2
	s_delay_alu instid0(VALU_DEP_3) | instskip(NEXT) | instid1(VALU_DEP_2)
	v_and_b32_e32 v13, 1, v13
	v_cndmask_b32_e64 v2, 0, 1, s0
	v_cmp_eq_f32_e64 s0, s12, v3
	s_delay_alu instid0(VALU_DEP_3) | instskip(NEXT) | instid1(VALU_DEP_2)
	v_lshlrev_b16 v13, 8, v13
	v_cndmask_b32_e64 v17, 0, 1, s0
	v_cmp_neq_f32_e64 s0, s12, v3
	s_delay_alu instid0(VALU_DEP_3) | instskip(SKIP_1) | instid1(VALU_DEP_3)
	v_bitop3_b16 v12, v12, v13, 1 bitop3:0xec
	v_bitop3_b16 v13, v14, v15, 1 bitop3:0xec
	v_cndmask_b32_e64 v3, 0, 1, s0
	v_cmp_eq_f32_e64 s0, s12, v4
	v_dual_cndmask_b32 v2, v2, v16, vcc_lo :: v_dual_bitop2_b32 v16, 1, v18 bitop3:0x40
	s_delay_alu instid0(VALU_DEP_3) | instskip(NEXT) | instid1(VALU_DEP_3)
	v_cndmask_b32_e32 v3, v3, v17, vcc_lo
	v_cndmask_b32_e64 v19, 0, 1, s0
	v_cmp_neq_f32_e64 s0, s12, v4
	s_delay_alu instid0(VALU_DEP_4) | instskip(NEXT) | instid1(VALU_DEP_4)
	v_lshlrev_b16 v16, 8, v16
	v_and_b32_e32 v3, 1, v3
	s_delay_alu instid0(VALU_DEP_3) | instskip(SKIP_1) | instid1(VALU_DEP_4)
	v_cndmask_b32_e64 v4, 0, 1, s0
	v_cmp_eq_f32_e64 s0, s12, v5
	v_bitop3_b16 v11, v11, v16, 1 bitop3:0xec
	s_delay_alu instid0(VALU_DEP_4) | instskip(NEXT) | instid1(VALU_DEP_3)
	v_lshlrev_b16 v3, 8, v3
	v_cndmask_b32_e64 v20, 0, 1, s0
	v_cmp_neq_f32_e64 s0, s12, v5
	s_delay_alu instid0(VALU_DEP_3) | instskip(NEXT) | instid1(VALU_DEP_2)
	v_bitop3_b16 v2, v2, v3, 1 bitop3:0xec
	v_cndmask_b32_e64 v5, 0, 1, s0
	v_cmp_eq_f32_e64 s0, s12, v6
	v_cndmask_b32_e32 v4, v4, v19, vcc_lo
	s_delay_alu instid0(VALU_DEP_4) | instskip(NEXT) | instid1(VALU_DEP_4)
	v_and_b32_e32 v2, 0xffff, v2
	v_cndmask_b32_e32 v5, v5, v20, vcc_lo
	s_delay_alu instid0(VALU_DEP_4) | instskip(SKIP_1) | instid1(VALU_DEP_4)
	v_cndmask_b32_e64 v21, 0, 1, s0
	v_cmp_neq_f32_e64 s0, s12, v6
	v_or_b32_e32 v1, v2, v1
	s_delay_alu instid0(VALU_DEP_4) | instskip(NEXT) | instid1(VALU_DEP_3)
	v_and_b32_e32 v5, 1, v5
	v_cndmask_b32_e64 v6, 0, 1, s0
	v_cmp_eq_f32_e64 s0, s12, v7
	s_delay_alu instid0(VALU_DEP_3) | instskip(NEXT) | instid1(VALU_DEP_2)
	v_lshlrev_b16 v5, 8, v5
	v_cndmask_b32_e64 v22, 0, 1, s0
	v_cmp_neq_f32_e64 s0, s12, v7
	s_delay_alu instid0(VALU_DEP_3) | instskip(SKIP_1) | instid1(VALU_DEP_3)
	v_bitop3_b16 v3, v4, v5, 1 bitop3:0xec
	v_dual_lshlrev_b32 v5, 16, v11 :: v_dual_lshlrev_b32 v4, 16, v13
	v_cndmask_b32_e64 v7, 0, 1, s0
	v_cmp_eq_f32_e64 s0, s12, v8
	v_cndmask_b32_e32 v6, v6, v21, vcc_lo
	v_and_b32_e32 v3, 0xffff, v3
	s_delay_alu instid0(VALU_DEP_4) | instskip(NEXT) | instid1(VALU_DEP_4)
	v_cndmask_b32_e32 v7, v7, v22, vcc_lo
	v_cndmask_b32_e64 v23, 0, 1, s0
	v_cmp_neq_f32_e64 s0, s12, v8
	s_delay_alu instid0(VALU_DEP_4) | instskip(NEXT) | instid1(VALU_DEP_4)
	v_or_b32_e32 v2, v3, v5
	v_and_b32_e32 v7, 1, v7
	s_delay_alu instid0(VALU_DEP_3) | instskip(SKIP_1) | instid1(VALU_DEP_3)
	v_cndmask_b32_e64 v8, 0, 1, s0
	v_cmp_eq_f32_e64 s0, s12, v9
	v_lshlrev_b16 v7, 8, v7
	s_delay_alu instid0(VALU_DEP_2) | instskip(SKIP_1) | instid1(VALU_DEP_3)
	v_cndmask_b32_e64 v24, 0, 1, s0
	v_cmp_neq_f32_e64 s0, s12, v9
	v_bitop3_b16 v6, v6, v7, 1 bitop3:0xec
	s_add_nc_u64 s[12:13], s[4:5], s[2:3]
	v_cndmask_b32_e64 v9, 0, 1, s0
	v_cndmask_b32_e32 v8, v8, v23, vcc_lo
	s_delay_alu instid0(VALU_DEP_3) | instskip(SKIP_1) | instid1(VALU_DEP_3)
	v_and_b32_e32 v6, 0xffff, v6
	s_mov_b32 s0, 0
	v_cndmask_b32_e32 v9, v9, v24, vcc_lo
	s_delay_alu instid0(VALU_DEP_2) | instskip(NEXT) | instid1(VALU_DEP_2)
	v_or_b32_e32 v3, v6, v4
	v_and_b32_e32 v9, 1, v9
	s_delay_alu instid0(VALU_DEP_1) | instskip(NEXT) | instid1(VALU_DEP_1)
	v_lshlrev_b16 v9, 8, v9
	v_bitop3_b16 v8, v8, v9, 1 bitop3:0xec
	v_lshlrev_b32_e32 v9, 16, v12
	s_delay_alu instid0(VALU_DEP_2) | instskip(NEXT) | instid1(VALU_DEP_1)
	v_and_b32_e32 v7, 0xffff, v8
	v_or_b32_e32 v4, v7, v9
	s_clause 0x3
	global_store_b32 v0, v1, s[12:13] scale_offset
	global_store_b32 v0, v2, s[12:13] offset:1024 scale_offset
	global_store_b32 v0, v3, s[12:13] offset:2048 scale_offset
	;; [unrolled: 1-line block ×3, first 2 shown]
.LBB237_2:
	s_and_not1_b32 vcc_lo, exec_lo, s0
	s_cbranch_vccnz .LBB237_83
; %bb.3:
	v_cmp_gt_i32_e32 vcc_lo, s11, v0
	s_wait_xcnt 0x2
	v_dual_mov_b32 v2, 0 :: v_dual_bitop2_b32 v8, s2, v0 bitop3:0x54
	v_or_b32_e32 v9, 0x100, v0
	v_dual_mov_b32 v10, 0 :: v_dual_mov_b32 v11, 0
	v_dual_mov_b32 v12, 0 :: v_dual_mov_b32 v13, 0
	;; [unrolled: 1-line block ×8, first 2 shown]
	s_wait_xcnt 0x0
	s_and_saveexec_b32 s1, vcc_lo
	s_cbranch_execz .LBB237_35
; %bb.4:
	global_load_u8 v23, v8, s[6:7]
	v_or_b32_e32 v1, 0x100, v0
	v_dual_mov_b32 v22, 0 :: v_dual_mov_b32 v5, 0
	v_dual_mov_b32 v6, 0 :: v_dual_mov_b32 v21, 0
	;; [unrolled: 1-line block ×7, first 2 shown]
	v_mov_b32_e32 v10, 0
	s_mov_b32 s3, exec_lo
	s_wait_xcnt 0x0
	v_cmpx_gt_u32_e64 s11, v1
	s_cbranch_execz .LBB237_34
; %bb.5:
	v_dual_mov_b32 v5, 0 :: v_dual_add_nc_u32 v4, s2, v0
	v_or_b32_e32 v1, 0x200, v0
	v_dual_mov_b32 v6, 0 :: v_dual_mov_b32 v21, 0
	global_load_u8 v22, v4, s[6:7] offset:256
	v_dual_mov_b32 v20, 0 :: v_dual_mov_b32 v19, 0
	v_dual_mov_b32 v18, 0 :: v_dual_mov_b32 v17, 0
	;; [unrolled: 1-line block ×5, first 2 shown]
	v_mov_b32_e32 v10, 0
	s_mov_b32 s8, exec_lo
	s_wait_xcnt 0x0
	v_cmpx_gt_u32_e64 s11, v1
	s_cbranch_execz .LBB237_33
; %bb.6:
	v_add_nc_u64_e32 v[6:7], s[6:7], v[4:5]
	v_or_b32_e32 v3, 0x300, v0
	v_dual_mov_b32 v21, 0 :: v_dual_mov_b32 v20, 0
	v_dual_mov_b32 v19, 0 :: v_dual_mov_b32 v18, 0
	;; [unrolled: 1-line block ×3, first 2 shown]
	global_load_u8 v1, v[6:7], off offset:512
	v_dual_mov_b32 v15, 0 :: v_dual_mov_b32 v14, 0
	v_dual_mov_b32 v13, 0 :: v_dual_mov_b32 v12, 0
	;; [unrolled: 1-line block ×3, first 2 shown]
	s_mov_b32 s6, exec_lo
	s_wait_xcnt 0x0
	v_cmpx_gt_u32_e64 s11, v3
	s_cbranch_execz .LBB237_32
; %bb.7:
	global_load_u8 v5, v[6:7], off offset:768
	v_or_b32_e32 v3, 0x400, v0
	v_dual_mov_b32 v21, 0 :: v_dual_mov_b32 v20, 0
	v_dual_mov_b32 v19, 0 :: v_dual_mov_b32 v18, 0
	;; [unrolled: 1-line block ×6, first 2 shown]
	s_mov_b32 s7, exec_lo
	s_wait_xcnt 0x0
	v_cmpx_gt_u32_e64 s11, v3
	s_cbranch_execz .LBB237_31
; %bb.8:
	global_load_u8 v21, v[6:7], off offset:1024
	v_or_b32_e32 v3, 0x500, v0
	v_dual_mov_b32 v20, 0 :: v_dual_mov_b32 v19, 0
	v_dual_mov_b32 v18, 0 :: v_dual_mov_b32 v17, 0
	;; [unrolled: 1-line block ×5, first 2 shown]
	v_mov_b32_e32 v10, 0
	s_mov_b32 s12, exec_lo
	s_wait_xcnt 0x0
	v_cmpx_gt_u32_e64 s11, v3
	s_cbranch_execz .LBB237_30
; %bb.9:
	global_load_u8 v20, v[6:7], off offset:1280
	v_or_b32_e32 v3, 0x600, v0
	v_dual_mov_b32 v19, 0 :: v_dual_mov_b32 v18, 0
	v_dual_mov_b32 v17, 0 :: v_dual_mov_b32 v16, 0
	;; [unrolled: 1-line block ×5, first 2 shown]
	s_mov_b32 s13, exec_lo
	s_wait_xcnt 0x0
	v_cmpx_gt_u32_e64 s11, v3
	s_cbranch_execz .LBB237_29
; %bb.10:
	global_load_u8 v19, v[6:7], off offset:1536
	v_or_b32_e32 v3, 0x700, v0
	v_dual_mov_b32 v18, 0 :: v_dual_mov_b32 v17, 0
	v_dual_mov_b32 v16, 0 :: v_dual_mov_b32 v15, 0
	;; [unrolled: 1-line block ×4, first 2 shown]
	v_mov_b32_e32 v10, 0
	s_mov_b32 s14, exec_lo
	s_wait_xcnt 0x0
	v_cmpx_gt_u32_e64 s11, v3
	s_cbranch_execz .LBB237_28
; %bb.11:
	global_load_u8 v18, v[6:7], off offset:1792
	v_or_b32_e32 v3, 0x800, v0
	v_dual_mov_b32 v17, 0 :: v_dual_mov_b32 v16, 0
	v_dual_mov_b32 v15, 0 :: v_dual_mov_b32 v14, 0
	;; [unrolled: 1-line block ×4, first 2 shown]
	s_mov_b32 s15, exec_lo
	s_wait_xcnt 0x0
	v_cmpx_gt_u32_e64 s11, v3
	s_cbranch_execz .LBB237_27
; %bb.12:
	global_load_u8 v17, v[6:7], off offset:2048
	v_or_b32_e32 v3, 0x900, v0
	v_dual_mov_b32 v16, 0 :: v_dual_mov_b32 v15, 0
	v_dual_mov_b32 v14, 0 :: v_dual_mov_b32 v13, 0
	;; [unrolled: 1-line block ×3, first 2 shown]
	v_mov_b32_e32 v10, 0
	s_mov_b32 s16, exec_lo
	s_wait_xcnt 0x0
	v_cmpx_gt_u32_e64 s11, v3
	s_cbranch_execz .LBB237_26
; %bb.13:
	global_load_u8 v16, v[6:7], off offset:2304
	v_or_b32_e32 v3, 0xa00, v0
	v_dual_mov_b32 v15, 0 :: v_dual_mov_b32 v14, 0
	v_dual_mov_b32 v13, 0 :: v_dual_mov_b32 v12, 0
	;; [unrolled: 1-line block ×3, first 2 shown]
	s_mov_b32 s17, exec_lo
	s_wait_xcnt 0x0
	v_cmpx_gt_u32_e64 s11, v3
	s_cbranch_execz .LBB237_25
; %bb.14:
	global_load_u8 v15, v[6:7], off offset:2560
	v_or_b32_e32 v3, 0xb00, v0
	v_dual_mov_b32 v14, 0 :: v_dual_mov_b32 v13, 0
	v_dual_mov_b32 v12, 0 :: v_dual_mov_b32 v11, 0
	v_mov_b32_e32 v10, 0
	s_mov_b32 s18, exec_lo
	s_wait_xcnt 0x0
	v_cmpx_gt_u32_e64 s11, v3
	s_cbranch_execz .LBB237_24
; %bb.15:
	global_load_u8 v14, v[6:7], off offset:2816
	v_or_b32_e32 v3, 0xc00, v0
	v_dual_mov_b32 v13, 0 :: v_dual_mov_b32 v12, 0
	v_dual_mov_b32 v11, 0 :: v_dual_mov_b32 v10, 0
	s_mov_b32 s19, exec_lo
	s_wait_xcnt 0x0
	v_cmpx_gt_u32_e64 s11, v3
	s_cbranch_execz .LBB237_23
; %bb.16:
	global_load_u8 v13, v[6:7], off offset:3072
	v_or_b32_e32 v3, 0xd00, v0
	v_dual_mov_b32 v12, 0 :: v_dual_mov_b32 v11, 0
	v_mov_b32_e32 v10, 0
	s_mov_b32 s20, exec_lo
	s_wait_xcnt 0x0
	v_cmpx_gt_u32_e64 s11, v3
	s_cbranch_execz .LBB237_22
; %bb.17:
	global_load_u8 v12, v[6:7], off offset:3328
	v_or_b32_e32 v3, 0xe00, v0
	v_dual_mov_b32 v11, 0 :: v_dual_mov_b32 v10, 0
	s_mov_b32 s21, exec_lo
	s_wait_xcnt 0x0
	s_delay_alu instid0(VALU_DEP_2)
	v_cmpx_gt_u32_e64 s11, v3
	s_cbranch_execz .LBB237_21
; %bb.18:
	global_load_u8 v11, v[6:7], off offset:3584
	v_or_b32_e32 v3, 0xf00, v0
	v_mov_b32_e32 v10, 0
	s_mov_b32 s22, exec_lo
	s_wait_xcnt 0x0
	s_delay_alu instid0(VALU_DEP_2)
	v_cmpx_gt_u32_e64 s11, v3
	s_cbranch_execz .LBB237_20
; %bb.19:
	global_load_u8 v10, v[6:7], off offset:3840
.LBB237_20:
	s_wait_xcnt 0x0
	s_or_b32 exec_lo, exec_lo, s22
.LBB237_21:
	s_delay_alu instid0(SALU_CYCLE_1)
	s_or_b32 exec_lo, exec_lo, s21
.LBB237_22:
	s_delay_alu instid0(SALU_CYCLE_1)
	s_or_b32 exec_lo, exec_lo, s20
.LBB237_23:
	s_delay_alu instid0(SALU_CYCLE_1)
	s_or_b32 exec_lo, exec_lo, s19
.LBB237_24:
	s_delay_alu instid0(SALU_CYCLE_1)
	s_or_b32 exec_lo, exec_lo, s18
.LBB237_25:
	s_delay_alu instid0(SALU_CYCLE_1)
	s_or_b32 exec_lo, exec_lo, s17
.LBB237_26:
	s_delay_alu instid0(SALU_CYCLE_1)
	s_or_b32 exec_lo, exec_lo, s16
.LBB237_27:
	s_delay_alu instid0(SALU_CYCLE_1)
	s_or_b32 exec_lo, exec_lo, s15
.LBB237_28:
	s_delay_alu instid0(SALU_CYCLE_1)
	s_or_b32 exec_lo, exec_lo, s14
.LBB237_29:
	s_delay_alu instid0(SALU_CYCLE_1)
	s_or_b32 exec_lo, exec_lo, s13
.LBB237_30:
	s_delay_alu instid0(SALU_CYCLE_1)
	s_or_b32 exec_lo, exec_lo, s12
.LBB237_31:
	s_delay_alu instid0(SALU_CYCLE_1)
	s_or_b32 exec_lo, exec_lo, s7
.LBB237_32:
	s_delay_alu instid0(SALU_CYCLE_1)
	s_or_b32 exec_lo, exec_lo, s6
	s_wait_loadcnt 0x0
	v_dual_mov_b32 v6, v5 :: v_dual_mov_b32 v5, v1
.LBB237_33:
	s_or_b32 exec_lo, exec_lo, s8
.LBB237_34:
	s_delay_alu instid0(SALU_CYCLE_1)
	s_or_b32 exec_lo, exec_lo, s3
.LBB237_35:
	s_delay_alu instid0(SALU_CYCLE_1)
	s_or_b32 exec_lo, exec_lo, s1
	s_cmp_eq_u32 s9, 0
	v_dual_mov_b32 v1, v2 :: v_dual_mov_b32 v4, v2
	s_cselect_b32 s0, -1, 0
	s_lshl_b32 s1, s10, 8
	s_lshl_b32 s3, s10, 25
	s_and_b32 s1, s1, 0x7f00
	s_lshr_b32 s6, s3, 4
	s_or_b32 s1, s1, 0.5
	s_or_b32 s6, s6, 0x70000000
	s_add_f32 s1, s1, -0.5
	s_mul_f32 s6, s6, 0x7800000
	s_cmp_lt_u32 s3, 0x8000000
	v_mov_b32_e32 v3, v2
	s_delay_alu instid0(SALU_CYCLE_1) | instskip(SKIP_1) | instid1(SALU_CYCLE_1)
	s_cselect_b32 s1, s1, s6
	s_lshl_b32 s3, s10, 24
	s_and_b32 s3, s3, 0x80000000
	s_delay_alu instid0(SALU_CYCLE_1)
	s_or_b32 s3, s3, s1
	s_and_saveexec_b32 s6, vcc_lo
	s_cbranch_execz .LBB237_37
; %bb.36:
	s_wait_loadcnt 0x0
	v_lshlrev_b16 v2, 8, v23
	s_delay_alu instid0(VALU_DEP_1) | instskip(SKIP_2) | instid1(VALU_DEP_2)
	v_and_or_b32 v4, 0x7f00, v2, 0.5
	v_lshlrev_b32_e32 v1, 25, v23
	v_bfe_i32 v2, v2, 0, 16
	v_dual_add_f32 v4, -0.5, v4 :: v_dual_lshrrev_b32 v3, 4, v1
	v_cmp_gt_u32_e64 s1, 0x8000000, v1
	s_delay_alu instid0(VALU_DEP_2) | instskip(NEXT) | instid1(VALU_DEP_1)
	v_or_b32_e32 v3, 0x70000000, v3
	v_mul_f32_e32 v3, 0x7800000, v3
	s_delay_alu instid0(VALU_DEP_1) | instskip(NEXT) | instid1(VALU_DEP_1)
	v_cndmask_b32_e64 v1, v3, v4, s1
	v_and_or_b32 v1, 0x80000000, v2, v1
	s_delay_alu instid0(VALU_DEP_1) | instskip(NEXT) | instid1(VALU_DEP_1)
	v_cmp_eq_f32_e64 s1, s3, v1
	v_cndmask_b32_e64 v2, 0, 1, s1
	v_cmp_neq_f32_e64 s1, s3, v1
	s_delay_alu instid0(VALU_DEP_1) | instskip(NEXT) | instid1(VALU_DEP_1)
	v_cndmask_b32_e64 v1, 0, 1, s1
	v_dual_cndmask_b32 v2, v1, v2, s0 :: v_dual_mov_b32 v1, 0
	s_delay_alu instid0(VALU_DEP_1) | instskip(SKIP_1) | instid1(VALU_DEP_2)
	v_dual_mov_b32 v4, v1 :: v_dual_bitop2_b32 v2, 1, v2 bitop3:0x40
	v_mov_b32_e32 v3, v1
	v_and_b32_e32 v2, 0xffff, v2
.LBB237_37:
	s_or_b32 exec_lo, exec_lo, s6
	s_delay_alu instid0(SALU_CYCLE_1)
	s_mov_b32 s6, exec_lo
	v_cmpx_gt_i32_e64 s11, v9
	s_cbranch_execz .LBB237_39
; %bb.38:
	s_wait_loadcnt 0x0
	v_lshlrev_b32_e32 v7, 25, v22
	v_lshlrev_b16 v22, 8, v22
	s_delay_alu instid0(VALU_DEP_1) | instskip(SKIP_1) | instid1(VALU_DEP_2)
	v_and_or_b32 v24, 0x7f00, v22, 0.5
	v_bfe_i32 v22, v22, 0, 16
	v_dual_add_f32 v24, -0.5, v24 :: v_dual_lshrrev_b32 v23, 4, v7
	v_cmp_gt_u32_e64 s1, 0x8000000, v7
	s_delay_alu instid0(VALU_DEP_2) | instskip(NEXT) | instid1(VALU_DEP_1)
	v_or_b32_e32 v23, 0x70000000, v23
	v_mul_f32_e32 v23, 0x7800000, v23
	s_delay_alu instid0(VALU_DEP_1) | instskip(NEXT) | instid1(VALU_DEP_1)
	v_cndmask_b32_e64 v7, v23, v24, s1
	v_and_or_b32 v7, 0x80000000, v22, v7
	s_delay_alu instid0(VALU_DEP_1) | instskip(NEXT) | instid1(VALU_DEP_1)
	v_cmp_eq_f32_e64 s1, s3, v7
	v_cndmask_b32_e64 v22, 0, 1, s1
	v_cmp_neq_f32_e64 s1, s3, v7
	s_delay_alu instid0(VALU_DEP_1) | instskip(NEXT) | instid1(VALU_DEP_1)
	v_cndmask_b32_e64 v7, 0, 1, s1
	v_cndmask_b32_e64 v7, v7, v22, s0
	s_delay_alu instid0(VALU_DEP_1) | instskip(NEXT) | instid1(VALU_DEP_1)
	v_and_b32_e32 v7, 1, v7
	v_lshlrev_b16 v7, 8, v7
	s_delay_alu instid0(VALU_DEP_1) | instskip(NEXT) | instid1(VALU_DEP_1)
	v_bitop3_b16 v7, v2, v7, 0xff bitop3:0xec
	v_and_b32_e32 v7, 0xffff, v7
	s_delay_alu instid0(VALU_DEP_1)
	v_and_or_b32 v2, 0xffff0000, v2, v7
.LBB237_39:
	s_or_b32 exec_lo, exec_lo, s6
	v_or_b32_e32 v7, 0x200, v0
	s_mov_b32 s6, exec_lo
	s_delay_alu instid0(VALU_DEP_1)
	v_cmpx_gt_i32_e64 s11, v7
	s_cbranch_execz .LBB237_41
; %bb.40:
	v_lshlrev_b32_e32 v7, 25, v5
	v_lshlrev_b16 v5, 8, v5
	s_wait_loadcnt 0x0
	s_delay_alu instid0(VALU_DEP_1) | instskip(SKIP_1) | instid1(VALU_DEP_2)
	v_and_or_b32 v23, 0x7f00, v5, 0.5
	v_bfe_i32 v5, v5, 0, 16
	v_add_f32_e32 v23, -0.5, v23
	v_lshrrev_b32_e32 v22, 4, v7
	v_cmp_gt_u32_e64 s1, 0x8000000, v7
	s_delay_alu instid0(VALU_DEP_2) | instskip(NEXT) | instid1(VALU_DEP_1)
	v_or_b32_e32 v22, 0x70000000, v22
	v_mul_f32_e32 v22, 0x7800000, v22
	s_delay_alu instid0(VALU_DEP_1) | instskip(NEXT) | instid1(VALU_DEP_1)
	v_cndmask_b32_e64 v7, v22, v23, s1
	v_and_or_b32 v5, 0x80000000, v5, v7
	v_lshrrev_b32_e32 v7, 16, v2
	s_delay_alu instid0(VALU_DEP_2) | instskip(NEXT) | instid1(VALU_DEP_2)
	v_cmp_eq_f32_e64 s1, s3, v5
	v_and_b32_e32 v7, 0xffffff00, v7
	s_delay_alu instid0(VALU_DEP_2) | instskip(SKIP_1) | instid1(VALU_DEP_1)
	v_cndmask_b32_e64 v22, 0, 1, s1
	v_cmp_neq_f32_e64 s1, s3, v5
	v_cndmask_b32_e64 v5, 0, 1, s1
	s_delay_alu instid0(VALU_DEP_1) | instskip(NEXT) | instid1(VALU_DEP_1)
	v_cndmask_b32_e64 v5, v5, v22, s0
	v_bitop3_b16 v5, v5, v7, 1 bitop3:0xec
	s_delay_alu instid0(VALU_DEP_1) | instskip(NEXT) | instid1(VALU_DEP_1)
	v_lshlrev_b32_e32 v5, 16, v5
	v_and_or_b32 v2, 0xffff, v2, v5
.LBB237_41:
	s_or_b32 exec_lo, exec_lo, s6
	v_or_b32_e32 v5, 0x300, v0
	s_mov_b32 s6, exec_lo
	s_delay_alu instid0(VALU_DEP_1)
	v_cmpx_gt_i32_e64 s11, v5
	s_cbranch_execz .LBB237_43
; %bb.42:
	v_lshlrev_b32_e32 v5, 25, v6
	v_lshlrev_b16 v6, 8, v6
	s_delay_alu instid0(VALU_DEP_2) | instskip(SKIP_1) | instid1(VALU_DEP_2)
	v_cmp_gt_u32_e64 s1, 0x8000000, v5
	s_wait_loadcnt 0x0
	v_and_or_b32 v22, 0x7f00, v6, 0.5
	v_lshrrev_b32_e32 v7, 4, v5
	v_bfe_i32 v6, v6, 0, 16
	s_delay_alu instid0(VALU_DEP_3) | instskip(NEXT) | instid1(VALU_DEP_3)
	v_add_f32_e32 v22, -0.5, v22
	v_or_b32_e32 v7, 0x70000000, v7
	s_delay_alu instid0(VALU_DEP_1) | instskip(NEXT) | instid1(VALU_DEP_1)
	v_mul_f32_e32 v7, 0x7800000, v7
	v_cndmask_b32_e64 v5, v7, v22, s1
	s_delay_alu instid0(VALU_DEP_1) | instskip(NEXT) | instid1(VALU_DEP_1)
	v_and_or_b32 v5, 0x80000000, v6, v5
	v_cmp_eq_f32_e64 s1, s3, v5
	s_delay_alu instid0(VALU_DEP_1) | instskip(SKIP_1) | instid1(VALU_DEP_1)
	v_cndmask_b32_e64 v6, 0, 1, s1
	v_cmp_neq_f32_e64 s1, s3, v5
	v_cndmask_b32_e64 v5, 0, 1, s1
	s_delay_alu instid0(VALU_DEP_1) | instskip(NEXT) | instid1(VALU_DEP_1)
	v_cndmask_b32_e64 v5, v5, v6, s0
	v_dual_lshrrev_b32 v6, 16, v2 :: v_dual_bitop2_b32 v5, 1, v5 bitop3:0x40
	s_delay_alu instid0(VALU_DEP_1) | instskip(NEXT) | instid1(VALU_DEP_1)
	v_lshlrev_b16 v5, 8, v5
	v_bitop3_b16 v5, v6, v5, 0xff bitop3:0xec
	s_delay_alu instid0(VALU_DEP_1) | instskip(NEXT) | instid1(VALU_DEP_1)
	v_lshlrev_b32_e32 v5, 16, v5
	v_and_or_b32 v2, 0xffff, v2, v5
.LBB237_43:
	s_or_b32 exec_lo, exec_lo, s6
	v_or_b32_e32 v5, 0x400, v0
	s_mov_b32 s6, exec_lo
	s_delay_alu instid0(VALU_DEP_1)
	v_cmpx_gt_i32_e64 s11, v5
	s_cbranch_execz .LBB237_45
; %bb.44:
	v_lshlrev_b16 v6, 8, v21
	v_lshlrev_b32_e32 v5, 25, v21
	s_delay_alu instid0(VALU_DEP_2) | instskip(SKIP_1) | instid1(VALU_DEP_2)
	v_and_or_b32 v21, 0x7f00, v6, 0.5
	v_bfe_i32 v6, v6, 0, 16
	v_add_f32_e32 v21, -0.5, v21
	s_delay_alu instid0(VALU_DEP_4) | instskip(SKIP_1) | instid1(VALU_DEP_2)
	v_lshrrev_b32_e32 v7, 4, v5
	v_cmp_gt_u32_e64 s1, 0x8000000, v5
	v_or_b32_e32 v7, 0x70000000, v7
	s_delay_alu instid0(VALU_DEP_1) | instskip(NEXT) | instid1(VALU_DEP_1)
	v_mul_f32_e32 v7, 0x7800000, v7
	v_cndmask_b32_e64 v5, v7, v21, s1
	v_and_b32_e32 v7, 0xffffff00, v1
	s_delay_alu instid0(VALU_DEP_2) | instskip(NEXT) | instid1(VALU_DEP_1)
	v_and_or_b32 v5, 0x80000000, v6, v5
	v_cmp_eq_f32_e64 s1, s3, v5
	s_delay_alu instid0(VALU_DEP_1) | instskip(SKIP_1) | instid1(VALU_DEP_1)
	v_cndmask_b32_e64 v6, 0, 1, s1
	v_cmp_neq_f32_e64 s1, s3, v5
	v_cndmask_b32_e64 v5, 0, 1, s1
	s_delay_alu instid0(VALU_DEP_1) | instskip(NEXT) | instid1(VALU_DEP_1)
	v_cndmask_b32_e64 v5, v5, v6, s0
	v_bitop3_b16 v5, v5, v7, 1 bitop3:0xec
	s_delay_alu instid0(VALU_DEP_1) | instskip(NEXT) | instid1(VALU_DEP_1)
	v_and_b32_e32 v5, 0xffff, v5
	v_and_or_b32 v1, 0xffff0000, v1, v5
.LBB237_45:
	s_or_b32 exec_lo, exec_lo, s6
	v_or_b32_e32 v5, 0x500, v0
	s_mov_b32 s6, exec_lo
	s_delay_alu instid0(VALU_DEP_1)
	v_cmpx_gt_i32_e64 s11, v5
	s_cbranch_execz .LBB237_47
; %bb.46:
	v_lshlrev_b16 v6, 8, v20
	v_lshlrev_b32_e32 v5, 25, v20
	s_delay_alu instid0(VALU_DEP_2) | instskip(SKIP_1) | instid1(VALU_DEP_2)
	v_and_or_b32 v20, 0x7f00, v6, 0.5
	v_bfe_i32 v6, v6, 0, 16
	v_dual_add_f32 v20, -0.5, v20 :: v_dual_lshrrev_b32 v7, 4, v5
	v_cmp_gt_u32_e64 s1, 0x8000000, v5
	s_delay_alu instid0(VALU_DEP_2) | instskip(NEXT) | instid1(VALU_DEP_1)
	v_or_b32_e32 v7, 0x70000000, v7
	v_mul_f32_e32 v7, 0x7800000, v7
	s_delay_alu instid0(VALU_DEP_1) | instskip(NEXT) | instid1(VALU_DEP_1)
	v_cndmask_b32_e64 v5, v7, v20, s1
	v_and_or_b32 v5, 0x80000000, v6, v5
	s_delay_alu instid0(VALU_DEP_1) | instskip(NEXT) | instid1(VALU_DEP_1)
	v_cmp_eq_f32_e64 s1, s3, v5
	v_cndmask_b32_e64 v6, 0, 1, s1
	v_cmp_neq_f32_e64 s1, s3, v5
	s_delay_alu instid0(VALU_DEP_1) | instskip(NEXT) | instid1(VALU_DEP_1)
	v_cndmask_b32_e64 v5, 0, 1, s1
	v_cndmask_b32_e64 v5, v5, v6, s0
	s_delay_alu instid0(VALU_DEP_1) | instskip(NEXT) | instid1(VALU_DEP_1)
	v_and_b32_e32 v5, 1, v5
	v_lshlrev_b16 v5, 8, v5
	s_delay_alu instid0(VALU_DEP_1) | instskip(NEXT) | instid1(VALU_DEP_1)
	v_bitop3_b16 v5, v1, v5, 0xff bitop3:0xec
	v_and_b32_e32 v5, 0xffff, v5
	s_delay_alu instid0(VALU_DEP_1)
	v_and_or_b32 v1, 0xffff0000, v1, v5
.LBB237_47:
	s_or_b32 exec_lo, exec_lo, s6
	v_or_b32_e32 v5, 0x600, v0
	s_mov_b32 s6, exec_lo
	s_delay_alu instid0(VALU_DEP_1)
	v_cmpx_gt_i32_e64 s11, v5
	s_cbranch_execz .LBB237_49
; %bb.48:
	v_lshlrev_b16 v6, 8, v19
	v_lshlrev_b32_e32 v5, 25, v19
	s_delay_alu instid0(VALU_DEP_2) | instskip(SKIP_1) | instid1(VALU_DEP_2)
	v_and_or_b32 v19, 0x7f00, v6, 0.5
	v_bfe_i32 v6, v6, 0, 16
	v_dual_add_f32 v19, -0.5, v19 :: v_dual_lshrrev_b32 v7, 4, v5
	v_cmp_gt_u32_e64 s1, 0x8000000, v5
	s_delay_alu instid0(VALU_DEP_2) | instskip(NEXT) | instid1(VALU_DEP_1)
	v_or_b32_e32 v7, 0x70000000, v7
	v_mul_f32_e32 v7, 0x7800000, v7
	s_delay_alu instid0(VALU_DEP_1) | instskip(NEXT) | instid1(VALU_DEP_1)
	v_cndmask_b32_e64 v5, v7, v19, s1
	v_and_or_b32 v5, 0x80000000, v6, v5
	v_lshrrev_b32_e32 v6, 16, v1
	s_delay_alu instid0(VALU_DEP_2) | instskip(NEXT) | instid1(VALU_DEP_2)
	v_cmp_eq_f32_e64 s1, s3, v5
	v_and_b32_e32 v6, 0xffffff00, v6
	s_delay_alu instid0(VALU_DEP_2) | instskip(SKIP_1) | instid1(VALU_DEP_1)
	v_cndmask_b32_e64 v7, 0, 1, s1
	v_cmp_neq_f32_e64 s1, s3, v5
	v_cndmask_b32_e64 v5, 0, 1, s1
	s_delay_alu instid0(VALU_DEP_1) | instskip(NEXT) | instid1(VALU_DEP_1)
	v_cndmask_b32_e64 v5, v5, v7, s0
	v_bitop3_b16 v5, v5, v6, 1 bitop3:0xec
	s_delay_alu instid0(VALU_DEP_1) | instskip(NEXT) | instid1(VALU_DEP_1)
	v_lshlrev_b32_e32 v5, 16, v5
	v_and_or_b32 v1, 0xffff, v1, v5
.LBB237_49:
	s_or_b32 exec_lo, exec_lo, s6
	v_or_b32_e32 v5, 0x700, v0
	s_mov_b32 s6, exec_lo
	s_delay_alu instid0(VALU_DEP_1)
	v_cmpx_gt_i32_e64 s11, v5
	s_cbranch_execz .LBB237_51
; %bb.50:
	v_lshlrev_b16 v6, 8, v18
	v_lshlrev_b32_e32 v5, 25, v18
	s_delay_alu instid0(VALU_DEP_2) | instskip(SKIP_1) | instid1(VALU_DEP_2)
	v_and_or_b32 v18, 0x7f00, v6, 0.5
	v_bfe_i32 v6, v6, 0, 16
	v_dual_add_f32 v18, -0.5, v18 :: v_dual_lshrrev_b32 v7, 4, v5
	v_cmp_gt_u32_e64 s1, 0x8000000, v5
	s_delay_alu instid0(VALU_DEP_2) | instskip(NEXT) | instid1(VALU_DEP_1)
	v_or_b32_e32 v7, 0x70000000, v7
	v_mul_f32_e32 v7, 0x7800000, v7
	s_delay_alu instid0(VALU_DEP_1) | instskip(NEXT) | instid1(VALU_DEP_1)
	v_cndmask_b32_e64 v5, v7, v18, s1
	v_and_or_b32 v5, 0x80000000, v6, v5
	s_delay_alu instid0(VALU_DEP_1) | instskip(NEXT) | instid1(VALU_DEP_1)
	v_cmp_eq_f32_e64 s1, s3, v5
	v_cndmask_b32_e64 v6, 0, 1, s1
	v_cmp_neq_f32_e64 s1, s3, v5
	s_delay_alu instid0(VALU_DEP_1) | instskip(NEXT) | instid1(VALU_DEP_1)
	v_cndmask_b32_e64 v5, 0, 1, s1
	v_dual_cndmask_b32 v5, v5, v6, s0 :: v_dual_lshrrev_b32 v6, 16, v1
	s_delay_alu instid0(VALU_DEP_1) | instskip(NEXT) | instid1(VALU_DEP_1)
	v_and_b32_e32 v5, 1, v5
	v_lshlrev_b16 v5, 8, v5
	s_delay_alu instid0(VALU_DEP_1) | instskip(NEXT) | instid1(VALU_DEP_1)
	v_bitop3_b16 v5, v6, v5, 0xff bitop3:0xec
	v_lshlrev_b32_e32 v5, 16, v5
	s_delay_alu instid0(VALU_DEP_1)
	v_and_or_b32 v1, 0xffff, v1, v5
.LBB237_51:
	s_or_b32 exec_lo, exec_lo, s6
	v_or_b32_e32 v5, 0x800, v0
	s_mov_b32 s6, exec_lo
	s_delay_alu instid0(VALU_DEP_1)
	v_cmpx_gt_i32_e64 s11, v5
	s_cbranch_execz .LBB237_53
; %bb.52:
	v_lshlrev_b16 v6, 8, v17
	v_lshlrev_b32_e32 v5, 25, v17
	s_delay_alu instid0(VALU_DEP_2) | instskip(SKIP_1) | instid1(VALU_DEP_2)
	v_and_or_b32 v17, 0x7f00, v6, 0.5
	v_bfe_i32 v6, v6, 0, 16
	v_add_f32_e32 v17, -0.5, v17
	s_delay_alu instid0(VALU_DEP_4) | instskip(SKIP_1) | instid1(VALU_DEP_2)
	v_lshrrev_b32_e32 v7, 4, v5
	v_cmp_gt_u32_e64 s1, 0x8000000, v5
	v_or_b32_e32 v7, 0x70000000, v7
	s_delay_alu instid0(VALU_DEP_1) | instskip(NEXT) | instid1(VALU_DEP_1)
	v_mul_f32_e32 v7, 0x7800000, v7
	v_cndmask_b32_e64 v5, v7, v17, s1
	v_and_b32_e32 v7, 0xffffff00, v4
	s_delay_alu instid0(VALU_DEP_2) | instskip(NEXT) | instid1(VALU_DEP_1)
	v_and_or_b32 v5, 0x80000000, v6, v5
	v_cmp_eq_f32_e64 s1, s3, v5
	s_delay_alu instid0(VALU_DEP_1) | instskip(SKIP_1) | instid1(VALU_DEP_1)
	v_cndmask_b32_e64 v6, 0, 1, s1
	v_cmp_neq_f32_e64 s1, s3, v5
	v_cndmask_b32_e64 v5, 0, 1, s1
	s_delay_alu instid0(VALU_DEP_1) | instskip(NEXT) | instid1(VALU_DEP_1)
	v_cndmask_b32_e64 v5, v5, v6, s0
	v_bitop3_b16 v5, v5, v7, 1 bitop3:0xec
	s_delay_alu instid0(VALU_DEP_1) | instskip(NEXT) | instid1(VALU_DEP_1)
	v_and_b32_e32 v5, 0xffff, v5
	v_and_or_b32 v4, 0xffff0000, v4, v5
.LBB237_53:
	s_or_b32 exec_lo, exec_lo, s6
	v_or_b32_e32 v5, 0x900, v0
	s_mov_b32 s6, exec_lo
	s_delay_alu instid0(VALU_DEP_1)
	v_cmpx_gt_i32_e64 s11, v5
	s_cbranch_execz .LBB237_55
; %bb.54:
	v_lshlrev_b16 v6, 8, v16
	v_lshlrev_b32_e32 v5, 25, v16
	s_delay_alu instid0(VALU_DEP_2) | instskip(SKIP_1) | instid1(VALU_DEP_2)
	v_and_or_b32 v16, 0x7f00, v6, 0.5
	v_bfe_i32 v6, v6, 0, 16
	v_dual_add_f32 v16, -0.5, v16 :: v_dual_lshrrev_b32 v7, 4, v5
	v_cmp_gt_u32_e64 s1, 0x8000000, v5
	s_delay_alu instid0(VALU_DEP_2) | instskip(NEXT) | instid1(VALU_DEP_1)
	v_or_b32_e32 v7, 0x70000000, v7
	v_mul_f32_e32 v7, 0x7800000, v7
	s_delay_alu instid0(VALU_DEP_1) | instskip(NEXT) | instid1(VALU_DEP_1)
	v_cndmask_b32_e64 v5, v7, v16, s1
	v_and_or_b32 v5, 0x80000000, v6, v5
	s_delay_alu instid0(VALU_DEP_1) | instskip(NEXT) | instid1(VALU_DEP_1)
	v_cmp_eq_f32_e64 s1, s3, v5
	v_cndmask_b32_e64 v6, 0, 1, s1
	v_cmp_neq_f32_e64 s1, s3, v5
	s_delay_alu instid0(VALU_DEP_1) | instskip(NEXT) | instid1(VALU_DEP_1)
	v_cndmask_b32_e64 v5, 0, 1, s1
	v_cndmask_b32_e64 v5, v5, v6, s0
	s_delay_alu instid0(VALU_DEP_1) | instskip(NEXT) | instid1(VALU_DEP_1)
	v_and_b32_e32 v5, 1, v5
	v_lshlrev_b16 v5, 8, v5
	s_delay_alu instid0(VALU_DEP_1) | instskip(NEXT) | instid1(VALU_DEP_1)
	v_bitop3_b16 v5, v4, v5, 0xff bitop3:0xec
	v_and_b32_e32 v5, 0xffff, v5
	s_delay_alu instid0(VALU_DEP_1)
	v_and_or_b32 v4, 0xffff0000, v4, v5
.LBB237_55:
	s_or_b32 exec_lo, exec_lo, s6
	v_or_b32_e32 v5, 0xa00, v0
	s_mov_b32 s6, exec_lo
	s_delay_alu instid0(VALU_DEP_1)
	v_cmpx_gt_i32_e64 s11, v5
	s_cbranch_execz .LBB237_57
; %bb.56:
	v_lshlrev_b16 v6, 8, v15
	v_lshlrev_b32_e32 v5, 25, v15
	s_delay_alu instid0(VALU_DEP_2) | instskip(SKIP_1) | instid1(VALU_DEP_2)
	v_and_or_b32 v15, 0x7f00, v6, 0.5
	v_bfe_i32 v6, v6, 0, 16
	v_dual_add_f32 v15, -0.5, v15 :: v_dual_lshrrev_b32 v7, 4, v5
	v_cmp_gt_u32_e64 s1, 0x8000000, v5
	s_delay_alu instid0(VALU_DEP_2) | instskip(NEXT) | instid1(VALU_DEP_1)
	v_or_b32_e32 v7, 0x70000000, v7
	v_mul_f32_e32 v7, 0x7800000, v7
	s_delay_alu instid0(VALU_DEP_1) | instskip(NEXT) | instid1(VALU_DEP_1)
	v_cndmask_b32_e64 v5, v7, v15, s1
	v_and_or_b32 v5, 0x80000000, v6, v5
	v_lshrrev_b32_e32 v6, 16, v4
	s_delay_alu instid0(VALU_DEP_2) | instskip(NEXT) | instid1(VALU_DEP_2)
	v_cmp_eq_f32_e64 s1, s3, v5
	v_and_b32_e32 v6, 0xffffff00, v6
	s_delay_alu instid0(VALU_DEP_2) | instskip(SKIP_1) | instid1(VALU_DEP_1)
	v_cndmask_b32_e64 v7, 0, 1, s1
	v_cmp_neq_f32_e64 s1, s3, v5
	v_cndmask_b32_e64 v5, 0, 1, s1
	s_delay_alu instid0(VALU_DEP_1) | instskip(NEXT) | instid1(VALU_DEP_1)
	v_cndmask_b32_e64 v5, v5, v7, s0
	v_bitop3_b16 v5, v5, v6, 1 bitop3:0xec
	s_delay_alu instid0(VALU_DEP_1) | instskip(NEXT) | instid1(VALU_DEP_1)
	v_lshlrev_b32_e32 v5, 16, v5
	v_and_or_b32 v4, 0xffff, v4, v5
.LBB237_57:
	s_or_b32 exec_lo, exec_lo, s6
	v_or_b32_e32 v5, 0xb00, v0
	s_mov_b32 s6, exec_lo
	s_delay_alu instid0(VALU_DEP_1)
	v_cmpx_gt_i32_e64 s11, v5
	s_cbranch_execz .LBB237_59
; %bb.58:
	v_lshlrev_b16 v6, 8, v14
	v_lshlrev_b32_e32 v5, 25, v14
	s_delay_alu instid0(VALU_DEP_2) | instskip(SKIP_1) | instid1(VALU_DEP_2)
	v_and_or_b32 v14, 0x7f00, v6, 0.5
	v_bfe_i32 v6, v6, 0, 16
	v_dual_add_f32 v14, -0.5, v14 :: v_dual_lshrrev_b32 v7, 4, v5
	v_cmp_gt_u32_e64 s1, 0x8000000, v5
	s_delay_alu instid0(VALU_DEP_2) | instskip(NEXT) | instid1(VALU_DEP_1)
	v_or_b32_e32 v7, 0x70000000, v7
	v_mul_f32_e32 v7, 0x7800000, v7
	s_delay_alu instid0(VALU_DEP_1) | instskip(NEXT) | instid1(VALU_DEP_1)
	v_cndmask_b32_e64 v5, v7, v14, s1
	v_and_or_b32 v5, 0x80000000, v6, v5
	s_delay_alu instid0(VALU_DEP_1) | instskip(NEXT) | instid1(VALU_DEP_1)
	v_cmp_eq_f32_e64 s1, s3, v5
	v_cndmask_b32_e64 v6, 0, 1, s1
	v_cmp_neq_f32_e64 s1, s3, v5
	s_delay_alu instid0(VALU_DEP_1) | instskip(NEXT) | instid1(VALU_DEP_1)
	v_cndmask_b32_e64 v5, 0, 1, s1
	v_dual_cndmask_b32 v5, v5, v6, s0 :: v_dual_lshrrev_b32 v6, 16, v4
	s_delay_alu instid0(VALU_DEP_1) | instskip(NEXT) | instid1(VALU_DEP_1)
	v_and_b32_e32 v5, 1, v5
	v_lshlrev_b16 v5, 8, v5
	s_delay_alu instid0(VALU_DEP_1) | instskip(NEXT) | instid1(VALU_DEP_1)
	v_bitop3_b16 v5, v6, v5, 0xff bitop3:0xec
	v_lshlrev_b32_e32 v5, 16, v5
	s_delay_alu instid0(VALU_DEP_1)
	v_and_or_b32 v4, 0xffff, v4, v5
.LBB237_59:
	s_or_b32 exec_lo, exec_lo, s6
	v_or_b32_e32 v5, 0xc00, v0
	s_mov_b32 s6, exec_lo
	s_delay_alu instid0(VALU_DEP_1)
	v_cmpx_gt_i32_e64 s11, v5
	s_cbranch_execz .LBB237_61
; %bb.60:
	v_lshlrev_b16 v6, 8, v13
	v_lshlrev_b32_e32 v5, 25, v13
	s_delay_alu instid0(VALU_DEP_2) | instskip(SKIP_1) | instid1(VALU_DEP_2)
	v_and_or_b32 v13, 0x7f00, v6, 0.5
	v_bfe_i32 v6, v6, 0, 16
	v_add_f32_e32 v13, -0.5, v13
	s_delay_alu instid0(VALU_DEP_4) | instskip(SKIP_1) | instid1(VALU_DEP_2)
	v_lshrrev_b32_e32 v7, 4, v5
	v_cmp_gt_u32_e64 s1, 0x8000000, v5
	v_or_b32_e32 v7, 0x70000000, v7
	s_delay_alu instid0(VALU_DEP_1) | instskip(NEXT) | instid1(VALU_DEP_1)
	v_mul_f32_e32 v7, 0x7800000, v7
	v_cndmask_b32_e64 v5, v7, v13, s1
	v_and_b32_e32 v7, 0xffffff00, v3
	s_delay_alu instid0(VALU_DEP_2) | instskip(NEXT) | instid1(VALU_DEP_1)
	v_and_or_b32 v5, 0x80000000, v6, v5
	v_cmp_eq_f32_e64 s1, s3, v5
	s_delay_alu instid0(VALU_DEP_1) | instskip(SKIP_1) | instid1(VALU_DEP_1)
	v_cndmask_b32_e64 v6, 0, 1, s1
	v_cmp_neq_f32_e64 s1, s3, v5
	v_cndmask_b32_e64 v5, 0, 1, s1
	s_delay_alu instid0(VALU_DEP_1) | instskip(NEXT) | instid1(VALU_DEP_1)
	v_cndmask_b32_e64 v5, v5, v6, s0
	v_bitop3_b16 v5, v5, v7, 1 bitop3:0xec
	s_delay_alu instid0(VALU_DEP_1) | instskip(NEXT) | instid1(VALU_DEP_1)
	v_and_b32_e32 v5, 0xffff, v5
	v_and_or_b32 v3, 0xffff0000, v3, v5
.LBB237_61:
	s_or_b32 exec_lo, exec_lo, s6
	v_or_b32_e32 v5, 0xd00, v0
	s_mov_b32 s6, exec_lo
	s_delay_alu instid0(VALU_DEP_1)
	v_cmpx_gt_i32_e64 s11, v5
	s_cbranch_execz .LBB237_63
; %bb.62:
	v_lshlrev_b16 v6, 8, v12
	v_lshlrev_b32_e32 v5, 25, v12
	s_delay_alu instid0(VALU_DEP_2) | instskip(SKIP_1) | instid1(VALU_DEP_2)
	v_and_or_b32 v12, 0x7f00, v6, 0.5
	v_bfe_i32 v6, v6, 0, 16
	v_dual_add_f32 v12, -0.5, v12 :: v_dual_lshrrev_b32 v7, 4, v5
	v_cmp_gt_u32_e64 s1, 0x8000000, v5
	s_delay_alu instid0(VALU_DEP_2) | instskip(NEXT) | instid1(VALU_DEP_1)
	v_or_b32_e32 v7, 0x70000000, v7
	v_mul_f32_e32 v7, 0x7800000, v7
	s_delay_alu instid0(VALU_DEP_1) | instskip(NEXT) | instid1(VALU_DEP_1)
	v_cndmask_b32_e64 v5, v7, v12, s1
	v_and_or_b32 v5, 0x80000000, v6, v5
	s_delay_alu instid0(VALU_DEP_1) | instskip(NEXT) | instid1(VALU_DEP_1)
	v_cmp_eq_f32_e64 s1, s3, v5
	v_cndmask_b32_e64 v6, 0, 1, s1
	v_cmp_neq_f32_e64 s1, s3, v5
	s_delay_alu instid0(VALU_DEP_1) | instskip(NEXT) | instid1(VALU_DEP_1)
	v_cndmask_b32_e64 v5, 0, 1, s1
	v_cndmask_b32_e64 v5, v5, v6, s0
	s_delay_alu instid0(VALU_DEP_1) | instskip(NEXT) | instid1(VALU_DEP_1)
	v_and_b32_e32 v5, 1, v5
	v_lshlrev_b16 v5, 8, v5
	s_delay_alu instid0(VALU_DEP_1) | instskip(NEXT) | instid1(VALU_DEP_1)
	v_bitop3_b16 v5, v3, v5, 0xff bitop3:0xec
	v_and_b32_e32 v5, 0xffff, v5
	s_delay_alu instid0(VALU_DEP_1)
	v_and_or_b32 v3, 0xffff0000, v3, v5
.LBB237_63:
	s_or_b32 exec_lo, exec_lo, s6
	v_or_b32_e32 v5, 0xe00, v0
	s_mov_b32 s6, exec_lo
	s_delay_alu instid0(VALU_DEP_1)
	v_cmpx_gt_i32_e64 s11, v5
	s_cbranch_execz .LBB237_65
; %bb.64:
	v_lshlrev_b16 v6, 8, v11
	v_lshlrev_b32_e32 v5, 25, v11
	s_delay_alu instid0(VALU_DEP_2) | instskip(SKIP_1) | instid1(VALU_DEP_2)
	v_and_or_b32 v11, 0x7f00, v6, 0.5
	v_bfe_i32 v6, v6, 0, 16
	v_dual_add_f32 v11, -0.5, v11 :: v_dual_lshrrev_b32 v7, 4, v5
	v_cmp_gt_u32_e64 s1, 0x8000000, v5
	s_delay_alu instid0(VALU_DEP_2) | instskip(NEXT) | instid1(VALU_DEP_1)
	v_or_b32_e32 v7, 0x70000000, v7
	v_mul_f32_e32 v7, 0x7800000, v7
	s_delay_alu instid0(VALU_DEP_1) | instskip(NEXT) | instid1(VALU_DEP_1)
	v_cndmask_b32_e64 v5, v7, v11, s1
	v_and_or_b32 v5, 0x80000000, v6, v5
	v_lshrrev_b32_e32 v6, 16, v3
	s_delay_alu instid0(VALU_DEP_2) | instskip(NEXT) | instid1(VALU_DEP_2)
	v_cmp_eq_f32_e64 s1, s3, v5
	v_and_b32_e32 v6, 0xffffff00, v6
	s_delay_alu instid0(VALU_DEP_2) | instskip(SKIP_1) | instid1(VALU_DEP_1)
	v_cndmask_b32_e64 v7, 0, 1, s1
	v_cmp_neq_f32_e64 s1, s3, v5
	v_cndmask_b32_e64 v5, 0, 1, s1
	s_delay_alu instid0(VALU_DEP_1) | instskip(NEXT) | instid1(VALU_DEP_1)
	v_cndmask_b32_e64 v5, v5, v7, s0
	v_bitop3_b16 v5, v5, v6, 1 bitop3:0xec
	s_delay_alu instid0(VALU_DEP_1) | instskip(NEXT) | instid1(VALU_DEP_1)
	v_lshlrev_b32_e32 v5, 16, v5
	v_and_or_b32 v3, 0xffff, v3, v5
.LBB237_65:
	s_or_b32 exec_lo, exec_lo, s6
	v_or_b32_e32 v5, 0xf00, v0
	s_mov_b32 s6, exec_lo
	s_delay_alu instid0(VALU_DEP_1)
	v_cmpx_gt_i32_e64 s11, v5
	s_cbranch_execnz .LBB237_84
; %bb.66:
	s_or_b32 exec_lo, exec_lo, s6
	s_and_saveexec_b32 s0, vcc_lo
	s_delay_alu instid0(SALU_CYCLE_1)
	s_xor_b32 s0, exec_lo, s0
	s_cbranch_execnz .LBB237_85
.LBB237_67:
	s_or_b32 exec_lo, exec_lo, s0
	s_delay_alu instid0(SALU_CYCLE_1)
	s_mov_b32 s0, exec_lo
	v_cmpx_gt_i32_e64 s11, v0
	s_cbranch_execnz .LBB237_86
.LBB237_68:
	s_or_b32 exec_lo, exec_lo, s0
	s_delay_alu instid0(SALU_CYCLE_1)
	s_mov_b32 s0, exec_lo
	v_cmpx_gt_i32_e64 s11, v0
	s_cbranch_execnz .LBB237_87
.LBB237_69:
	s_or_b32 exec_lo, exec_lo, s0
	s_delay_alu instid0(SALU_CYCLE_1)
	s_mov_b32 s0, exec_lo
	v_cmpx_gt_i32_e64 s11, v0
	s_cbranch_execnz .LBB237_88
.LBB237_70:
	s_or_b32 exec_lo, exec_lo, s0
	s_delay_alu instid0(SALU_CYCLE_1)
	s_mov_b32 s0, exec_lo
	v_cmpx_gt_i32_e64 s11, v0
	s_cbranch_execnz .LBB237_89
.LBB237_71:
	s_or_b32 exec_lo, exec_lo, s0
	s_delay_alu instid0(SALU_CYCLE_1)
	s_mov_b32 s0, exec_lo
	v_cmpx_gt_i32_e64 s11, v0
	s_cbranch_execnz .LBB237_90
.LBB237_72:
	s_or_b32 exec_lo, exec_lo, s0
	s_delay_alu instid0(SALU_CYCLE_1)
	s_mov_b32 s0, exec_lo
	v_cmpx_gt_i32_e64 s11, v0
	s_cbranch_execnz .LBB237_91
.LBB237_73:
	s_or_b32 exec_lo, exec_lo, s0
	s_delay_alu instid0(SALU_CYCLE_1)
	s_mov_b32 s0, exec_lo
	v_cmpx_gt_i32_e64 s11, v0
	s_cbranch_execnz .LBB237_92
.LBB237_74:
	s_or_b32 exec_lo, exec_lo, s0
	s_delay_alu instid0(SALU_CYCLE_1)
	s_mov_b32 s0, exec_lo
	v_cmpx_gt_i32_e64 s11, v0
	s_cbranch_execnz .LBB237_93
.LBB237_75:
	s_or_b32 exec_lo, exec_lo, s0
	s_delay_alu instid0(SALU_CYCLE_1)
	s_mov_b32 s0, exec_lo
	v_cmpx_gt_i32_e64 s11, v0
	s_cbranch_execnz .LBB237_94
.LBB237_76:
	s_or_b32 exec_lo, exec_lo, s0
	s_delay_alu instid0(SALU_CYCLE_1)
	s_mov_b32 s0, exec_lo
	v_cmpx_gt_i32_e64 s11, v0
	s_cbranch_execnz .LBB237_95
.LBB237_77:
	s_or_b32 exec_lo, exec_lo, s0
	s_delay_alu instid0(SALU_CYCLE_1)
	s_mov_b32 s0, exec_lo
	v_cmpx_gt_i32_e64 s11, v0
	s_cbranch_execnz .LBB237_96
.LBB237_78:
	s_or_b32 exec_lo, exec_lo, s0
	s_delay_alu instid0(SALU_CYCLE_1)
	s_mov_b32 s0, exec_lo
	v_cmpx_gt_i32_e64 s11, v0
	s_cbranch_execnz .LBB237_97
.LBB237_79:
	s_or_b32 exec_lo, exec_lo, s0
	s_delay_alu instid0(SALU_CYCLE_1)
	s_mov_b32 s0, exec_lo
	v_cmpx_gt_i32_e64 s11, v0
	s_cbranch_execnz .LBB237_98
.LBB237_80:
	s_or_b32 exec_lo, exec_lo, s0
	s_delay_alu instid0(SALU_CYCLE_1)
	s_mov_b32 s0, exec_lo
	v_cmpx_gt_i32_e64 s11, v0
	s_cbranch_execnz .LBB237_99
.LBB237_81:
	s_or_b32 exec_lo, exec_lo, s0
	s_delay_alu instid0(SALU_CYCLE_1)
	s_mov_b32 s0, exec_lo
	v_cmpx_gt_i32_e64 s11, v0
	s_cbranch_execz .LBB237_83
.LBB237_82:
	v_dual_lshrrev_b32 v1, 24, v3 :: v_dual_add_nc_u32 v0, s2, v0
	global_store_b8 v0, v1, s[4:5]
.LBB237_83:
	s_endpgm
.LBB237_84:
	v_lshlrev_b16 v6, 8, v10
	v_lshlrev_b32_e32 v5, 25, v10
	s_delay_alu instid0(VALU_DEP_2) | instskip(SKIP_1) | instid1(VALU_DEP_2)
	v_and_or_b32 v10, 0x7f00, v6, 0.5
	v_bfe_i32 v6, v6, 0, 16
	v_dual_add_f32 v10, -0.5, v10 :: v_dual_lshrrev_b32 v7, 4, v5
	v_cmp_gt_u32_e64 s1, 0x8000000, v5
	s_delay_alu instid0(VALU_DEP_2) | instskip(NEXT) | instid1(VALU_DEP_1)
	v_or_b32_e32 v7, 0x70000000, v7
	v_mul_f32_e32 v7, 0x7800000, v7
	s_delay_alu instid0(VALU_DEP_1) | instskip(NEXT) | instid1(VALU_DEP_1)
	v_cndmask_b32_e64 v5, v7, v10, s1
	v_and_or_b32 v5, 0x80000000, v6, v5
	s_delay_alu instid0(VALU_DEP_1) | instskip(NEXT) | instid1(VALU_DEP_1)
	v_cmp_eq_f32_e64 s1, s3, v5
	v_cndmask_b32_e64 v6, 0, 1, s1
	v_cmp_neq_f32_e64 s1, s3, v5
	s_delay_alu instid0(VALU_DEP_1) | instskip(NEXT) | instid1(VALU_DEP_1)
	v_cndmask_b32_e64 v5, 0, 1, s1
	v_dual_cndmask_b32 v5, v5, v6, s0 :: v_dual_lshrrev_b32 v6, 16, v3
	s_delay_alu instid0(VALU_DEP_1) | instskip(NEXT) | instid1(VALU_DEP_1)
	v_and_b32_e32 v5, 1, v5
	v_lshlrev_b16 v5, 8, v5
	s_delay_alu instid0(VALU_DEP_1) | instskip(NEXT) | instid1(VALU_DEP_1)
	v_bitop3_b16 v5, v6, v5, 0xff bitop3:0xec
	v_lshlrev_b32_e32 v5, 16, v5
	s_delay_alu instid0(VALU_DEP_1) | instskip(SKIP_2) | instid1(SALU_CYCLE_1)
	v_and_or_b32 v3, 0xffff, v3, v5
	s_or_b32 exec_lo, exec_lo, s6
	s_and_saveexec_b32 s0, vcc_lo
	s_xor_b32 s0, exec_lo, s0
	s_cbranch_execz .LBB237_67
.LBB237_85:
	v_mov_b32_e32 v0, v9
	global_store_b8 v8, v2, s[4:5]
	s_wait_xcnt 0x0
	s_or_b32 exec_lo, exec_lo, s0
	s_delay_alu instid0(SALU_CYCLE_1)
	s_mov_b32 s0, exec_lo
	v_cmpx_gt_i32_e64 s11, v0
	s_cbranch_execz .LBB237_68
.LBB237_86:
	v_dual_lshrrev_b32 v5, 8, v2 :: v_dual_add_nc_u32 v6, s2, v0
	v_add_nc_u32_e32 v0, 0x100, v0
	global_store_b8 v6, v5, s[4:5]
	s_wait_xcnt 0x0
	s_or_b32 exec_lo, exec_lo, s0
	s_delay_alu instid0(SALU_CYCLE_1)
	s_mov_b32 s0, exec_lo
	v_cmpx_gt_i32_e64 s11, v0
	s_cbranch_execz .LBB237_69
.LBB237_87:
	v_add_nc_u32_e32 v5, s2, v0
	v_add_nc_u32_e32 v0, 0x100, v0
	global_store_d16_hi_b8 v5, v2, s[4:5]
	s_wait_xcnt 0x0
	s_or_b32 exec_lo, exec_lo, s0
	s_delay_alu instid0(SALU_CYCLE_1)
	s_mov_b32 s0, exec_lo
	v_cmpx_gt_i32_e64 s11, v0
	s_cbranch_execz .LBB237_70
.LBB237_88:
	v_dual_lshrrev_b32 v2, 24, v2 :: v_dual_add_nc_u32 v5, s2, v0
	v_add_nc_u32_e32 v0, 0x100, v0
	global_store_b8 v5, v2, s[4:5]
	s_wait_xcnt 0x0
	s_or_b32 exec_lo, exec_lo, s0
	s_delay_alu instid0(SALU_CYCLE_1)
	s_mov_b32 s0, exec_lo
	v_cmpx_gt_i32_e64 s11, v0
	s_cbranch_execz .LBB237_71
.LBB237_89:
	v_add_nc_u32_e32 v2, s2, v0
	v_add_nc_u32_e32 v0, 0x100, v0
	global_store_b8 v2, v1, s[4:5]
	s_wait_xcnt 0x0
	s_or_b32 exec_lo, exec_lo, s0
	s_delay_alu instid0(SALU_CYCLE_1)
	s_mov_b32 s0, exec_lo
	v_cmpx_gt_i32_e64 s11, v0
	s_cbranch_execz .LBB237_72
.LBB237_90:
	v_dual_lshrrev_b32 v2, 8, v1 :: v_dual_add_nc_u32 v5, s2, v0
	v_add_nc_u32_e32 v0, 0x100, v0
	global_store_b8 v5, v2, s[4:5]
	s_wait_xcnt 0x0
	s_or_b32 exec_lo, exec_lo, s0
	s_delay_alu instid0(SALU_CYCLE_1)
	s_mov_b32 s0, exec_lo
	v_cmpx_gt_i32_e64 s11, v0
	s_cbranch_execz .LBB237_73
.LBB237_91:
	v_add_nc_u32_e32 v2, s2, v0
	v_add_nc_u32_e32 v0, 0x100, v0
	global_store_d16_hi_b8 v2, v1, s[4:5]
	s_wait_xcnt 0x0
	s_or_b32 exec_lo, exec_lo, s0
	s_delay_alu instid0(SALU_CYCLE_1)
	s_mov_b32 s0, exec_lo
	v_cmpx_gt_i32_e64 s11, v0
	s_cbranch_execz .LBB237_74
.LBB237_92:
	v_dual_lshrrev_b32 v1, 24, v1 :: v_dual_add_nc_u32 v2, s2, v0
	v_add_nc_u32_e32 v0, 0x100, v0
	global_store_b8 v2, v1, s[4:5]
	s_wait_xcnt 0x0
	s_or_b32 exec_lo, exec_lo, s0
	s_delay_alu instid0(SALU_CYCLE_1)
	s_mov_b32 s0, exec_lo
	v_cmpx_gt_i32_e64 s11, v0
	s_cbranch_execz .LBB237_75
.LBB237_93:
	v_add_nc_u32_e32 v1, s2, v0
	v_add_nc_u32_e32 v0, 0x100, v0
	global_store_b8 v1, v4, s[4:5]
	s_wait_xcnt 0x0
	s_or_b32 exec_lo, exec_lo, s0
	s_delay_alu instid0(SALU_CYCLE_1)
	s_mov_b32 s0, exec_lo
	v_cmpx_gt_i32_e64 s11, v0
	s_cbranch_execz .LBB237_76
.LBB237_94:
	v_lshrrev_b32_e32 v1, 8, v4
	v_add_nc_u32_e32 v2, s2, v0
	v_add_nc_u32_e32 v0, 0x100, v0
	global_store_b8 v2, v1, s[4:5]
	s_wait_xcnt 0x0
	s_or_b32 exec_lo, exec_lo, s0
	s_delay_alu instid0(SALU_CYCLE_1)
	s_mov_b32 s0, exec_lo
	v_cmpx_gt_i32_e64 s11, v0
	s_cbranch_execz .LBB237_77
.LBB237_95:
	v_add_nc_u32_e32 v1, s2, v0
	v_add_nc_u32_e32 v0, 0x100, v0
	global_store_d16_hi_b8 v1, v4, s[4:5]
	s_wait_xcnt 0x0
	s_or_b32 exec_lo, exec_lo, s0
	s_delay_alu instid0(SALU_CYCLE_1)
	s_mov_b32 s0, exec_lo
	v_cmpx_gt_i32_e64 s11, v0
	s_cbranch_execz .LBB237_78
.LBB237_96:
	v_lshrrev_b32_e32 v1, 24, v4
	v_add_nc_u32_e32 v2, s2, v0
	v_add_nc_u32_e32 v0, 0x100, v0
	global_store_b8 v2, v1, s[4:5]
	s_wait_xcnt 0x0
	s_or_b32 exec_lo, exec_lo, s0
	s_delay_alu instid0(SALU_CYCLE_1)
	s_mov_b32 s0, exec_lo
	v_cmpx_gt_i32_e64 s11, v0
	s_cbranch_execz .LBB237_79
.LBB237_97:
	v_add_nc_u32_e32 v1, s2, v0
	v_add_nc_u32_e32 v0, 0x100, v0
	global_store_b8 v1, v3, s[4:5]
	s_wait_xcnt 0x0
	s_or_b32 exec_lo, exec_lo, s0
	s_delay_alu instid0(SALU_CYCLE_1)
	s_mov_b32 s0, exec_lo
	v_cmpx_gt_i32_e64 s11, v0
	s_cbranch_execz .LBB237_80
.LBB237_98:
	v_dual_lshrrev_b32 v1, 8, v3 :: v_dual_add_nc_u32 v2, s2, v0
	v_add_nc_u32_e32 v0, 0x100, v0
	global_store_b8 v2, v1, s[4:5]
	s_wait_xcnt 0x0
	s_or_b32 exec_lo, exec_lo, s0
	s_delay_alu instid0(SALU_CYCLE_1)
	s_mov_b32 s0, exec_lo
	v_cmpx_gt_i32_e64 s11, v0
	s_cbranch_execz .LBB237_81
.LBB237_99:
	v_add_nc_u32_e32 v1, s2, v0
	v_add_nc_u32_e32 v0, 0x100, v0
	global_store_d16_hi_b8 v1, v3, s[4:5]
	s_wait_xcnt 0x0
	s_or_b32 exec_lo, exec_lo, s0
	s_delay_alu instid0(SALU_CYCLE_1)
	s_mov_b32 s0, exec_lo
	v_cmpx_gt_i32_e64 s11, v0
	s_cbranch_execnz .LBB237_82
	s_branch .LBB237_83
	.section	.rodata,"a",@progbits
	.p2align	6, 0x0
	.amdhsa_kernel _ZN2at6native29vectorized_elementwise_kernelILi4ENS0_13AUnaryFunctorIN3c1011Float8_e5m2ES4_bNS0_12_GLOBAL__N_116CompareEqFunctorIS4_EEEESt5arrayIPcLm2EEEEviT0_T1_
		.amdhsa_group_segment_fixed_size 0
		.amdhsa_private_segment_fixed_size 0
		.amdhsa_kernarg_size 32
		.amdhsa_user_sgpr_count 2
		.amdhsa_user_sgpr_dispatch_ptr 0
		.amdhsa_user_sgpr_queue_ptr 0
		.amdhsa_user_sgpr_kernarg_segment_ptr 1
		.amdhsa_user_sgpr_dispatch_id 0
		.amdhsa_user_sgpr_kernarg_preload_length 0
		.amdhsa_user_sgpr_kernarg_preload_offset 0
		.amdhsa_user_sgpr_private_segment_size 0
		.amdhsa_wavefront_size32 1
		.amdhsa_uses_dynamic_stack 0
		.amdhsa_enable_private_segment 0
		.amdhsa_system_sgpr_workgroup_id_x 1
		.amdhsa_system_sgpr_workgroup_id_y 0
		.amdhsa_system_sgpr_workgroup_id_z 0
		.amdhsa_system_sgpr_workgroup_info 0
		.amdhsa_system_vgpr_workitem_id 0
		.amdhsa_next_free_vgpr 63
		.amdhsa_next_free_sgpr 23
		.amdhsa_named_barrier_count 0
		.amdhsa_reserve_vcc 1
		.amdhsa_float_round_mode_32 0
		.amdhsa_float_round_mode_16_64 0
		.amdhsa_float_denorm_mode_32 3
		.amdhsa_float_denorm_mode_16_64 3
		.amdhsa_fp16_overflow 0
		.amdhsa_memory_ordered 1
		.amdhsa_forward_progress 1
		.amdhsa_inst_pref_size 71
		.amdhsa_round_robin_scheduling 0
		.amdhsa_exception_fp_ieee_invalid_op 0
		.amdhsa_exception_fp_denorm_src 0
		.amdhsa_exception_fp_ieee_div_zero 0
		.amdhsa_exception_fp_ieee_overflow 0
		.amdhsa_exception_fp_ieee_underflow 0
		.amdhsa_exception_fp_ieee_inexact 0
		.amdhsa_exception_int_div_zero 0
	.end_amdhsa_kernel
	.section	.text._ZN2at6native29vectorized_elementwise_kernelILi4ENS0_13AUnaryFunctorIN3c1011Float8_e5m2ES4_bNS0_12_GLOBAL__N_116CompareEqFunctorIS4_EEEESt5arrayIPcLm2EEEEviT0_T1_,"axG",@progbits,_ZN2at6native29vectorized_elementwise_kernelILi4ENS0_13AUnaryFunctorIN3c1011Float8_e5m2ES4_bNS0_12_GLOBAL__N_116CompareEqFunctorIS4_EEEESt5arrayIPcLm2EEEEviT0_T1_,comdat
.Lfunc_end237:
	.size	_ZN2at6native29vectorized_elementwise_kernelILi4ENS0_13AUnaryFunctorIN3c1011Float8_e5m2ES4_bNS0_12_GLOBAL__N_116CompareEqFunctorIS4_EEEESt5arrayIPcLm2EEEEviT0_T1_, .Lfunc_end237-_ZN2at6native29vectorized_elementwise_kernelILi4ENS0_13AUnaryFunctorIN3c1011Float8_e5m2ES4_bNS0_12_GLOBAL__N_116CompareEqFunctorIS4_EEEESt5arrayIPcLm2EEEEviT0_T1_
                                        ; -- End function
	.set _ZN2at6native29vectorized_elementwise_kernelILi4ENS0_13AUnaryFunctorIN3c1011Float8_e5m2ES4_bNS0_12_GLOBAL__N_116CompareEqFunctorIS4_EEEESt5arrayIPcLm2EEEEviT0_T1_.num_vgpr, 63
	.set _ZN2at6native29vectorized_elementwise_kernelILi4ENS0_13AUnaryFunctorIN3c1011Float8_e5m2ES4_bNS0_12_GLOBAL__N_116CompareEqFunctorIS4_EEEESt5arrayIPcLm2EEEEviT0_T1_.num_agpr, 0
	.set _ZN2at6native29vectorized_elementwise_kernelILi4ENS0_13AUnaryFunctorIN3c1011Float8_e5m2ES4_bNS0_12_GLOBAL__N_116CompareEqFunctorIS4_EEEESt5arrayIPcLm2EEEEviT0_T1_.numbered_sgpr, 23
	.set _ZN2at6native29vectorized_elementwise_kernelILi4ENS0_13AUnaryFunctorIN3c1011Float8_e5m2ES4_bNS0_12_GLOBAL__N_116CompareEqFunctorIS4_EEEESt5arrayIPcLm2EEEEviT0_T1_.num_named_barrier, 0
	.set _ZN2at6native29vectorized_elementwise_kernelILi4ENS0_13AUnaryFunctorIN3c1011Float8_e5m2ES4_bNS0_12_GLOBAL__N_116CompareEqFunctorIS4_EEEESt5arrayIPcLm2EEEEviT0_T1_.private_seg_size, 0
	.set _ZN2at6native29vectorized_elementwise_kernelILi4ENS0_13AUnaryFunctorIN3c1011Float8_e5m2ES4_bNS0_12_GLOBAL__N_116CompareEqFunctorIS4_EEEESt5arrayIPcLm2EEEEviT0_T1_.uses_vcc, 1
	.set _ZN2at6native29vectorized_elementwise_kernelILi4ENS0_13AUnaryFunctorIN3c1011Float8_e5m2ES4_bNS0_12_GLOBAL__N_116CompareEqFunctorIS4_EEEESt5arrayIPcLm2EEEEviT0_T1_.uses_flat_scratch, 0
	.set _ZN2at6native29vectorized_elementwise_kernelILi4ENS0_13AUnaryFunctorIN3c1011Float8_e5m2ES4_bNS0_12_GLOBAL__N_116CompareEqFunctorIS4_EEEESt5arrayIPcLm2EEEEviT0_T1_.has_dyn_sized_stack, 0
	.set _ZN2at6native29vectorized_elementwise_kernelILi4ENS0_13AUnaryFunctorIN3c1011Float8_e5m2ES4_bNS0_12_GLOBAL__N_116CompareEqFunctorIS4_EEEESt5arrayIPcLm2EEEEviT0_T1_.has_recursion, 0
	.set _ZN2at6native29vectorized_elementwise_kernelILi4ENS0_13AUnaryFunctorIN3c1011Float8_e5m2ES4_bNS0_12_GLOBAL__N_116CompareEqFunctorIS4_EEEESt5arrayIPcLm2EEEEviT0_T1_.has_indirect_call, 0
	.section	.AMDGPU.csdata,"",@progbits
; Kernel info:
; codeLenInByte = 9004
; TotalNumSgprs: 25
; NumVgprs: 63
; ScratchSize: 0
; MemoryBound: 0
; FloatMode: 240
; IeeeMode: 1
; LDSByteSize: 0 bytes/workgroup (compile time only)
; SGPRBlocks: 0
; VGPRBlocks: 3
; NumSGPRsForWavesPerEU: 25
; NumVGPRsForWavesPerEU: 63
; NamedBarCnt: 0
; Occupancy: 16
; WaveLimiterHint : 1
; COMPUTE_PGM_RSRC2:SCRATCH_EN: 0
; COMPUTE_PGM_RSRC2:USER_SGPR: 2
; COMPUTE_PGM_RSRC2:TRAP_HANDLER: 0
; COMPUTE_PGM_RSRC2:TGID_X_EN: 1
; COMPUTE_PGM_RSRC2:TGID_Y_EN: 0
; COMPUTE_PGM_RSRC2:TGID_Z_EN: 0
; COMPUTE_PGM_RSRC2:TIDIG_COMP_CNT: 0
	.section	.text._ZN2at6native29vectorized_elementwise_kernelILi2ENS0_13AUnaryFunctorIN3c1011Float8_e5m2ES4_bNS0_12_GLOBAL__N_116CompareEqFunctorIS4_EEEESt5arrayIPcLm2EEEEviT0_T1_,"axG",@progbits,_ZN2at6native29vectorized_elementwise_kernelILi2ENS0_13AUnaryFunctorIN3c1011Float8_e5m2ES4_bNS0_12_GLOBAL__N_116CompareEqFunctorIS4_EEEESt5arrayIPcLm2EEEEviT0_T1_,comdat
	.globl	_ZN2at6native29vectorized_elementwise_kernelILi2ENS0_13AUnaryFunctorIN3c1011Float8_e5m2ES4_bNS0_12_GLOBAL__N_116CompareEqFunctorIS4_EEEESt5arrayIPcLm2EEEEviT0_T1_ ; -- Begin function _ZN2at6native29vectorized_elementwise_kernelILi2ENS0_13AUnaryFunctorIN3c1011Float8_e5m2ES4_bNS0_12_GLOBAL__N_116CompareEqFunctorIS4_EEEESt5arrayIPcLm2EEEEviT0_T1_
	.p2align	8
	.type	_ZN2at6native29vectorized_elementwise_kernelILi2ENS0_13AUnaryFunctorIN3c1011Float8_e5m2ES4_bNS0_12_GLOBAL__N_116CompareEqFunctorIS4_EEEESt5arrayIPcLm2EEEEviT0_T1_,@function
_ZN2at6native29vectorized_elementwise_kernelILi2ENS0_13AUnaryFunctorIN3c1011Float8_e5m2ES4_bNS0_12_GLOBAL__N_116CompareEqFunctorIS4_EEEESt5arrayIPcLm2EEEEviT0_T1_: ; @_ZN2at6native29vectorized_elementwise_kernelILi2ENS0_13AUnaryFunctorIN3c1011Float8_e5m2ES4_bNS0_12_GLOBAL__N_116CompareEqFunctorIS4_EEEESt5arrayIPcLm2EEEEviT0_T1_
; %bb.0:
	s_clause 0x1
	s_load_b96 s[8:10], s[0:1], 0x0
	s_load_b128 s[4:7], s[0:1], 0x10
	s_wait_xcnt 0x0
	s_bfe_u32 s0, ttmp6, 0x4000c
	s_and_b32 s1, ttmp6, 15
	s_add_co_i32 s0, s0, 1
	s_getreg_b32 s2, hwreg(HW_REG_IB_STS2, 6, 4)
	s_mul_i32 s0, ttmp9, s0
	s_mov_b32 s14, -1
	s_add_co_i32 s1, s1, s0
	s_cmp_eq_u32 s2, 0
	s_cselect_b32 s0, ttmp9, s1
	s_delay_alu instid0(SALU_CYCLE_1) | instskip(SKIP_2) | instid1(SALU_CYCLE_1)
	s_lshl_b32 s2, s0, 12
	s_wait_kmcnt 0x0
	s_sub_co_i32 s11, s8, s2
	s_cmp_gt_i32 s11, 0xfff
	s_cbranch_scc0 .LBB238_2
; %bb.1:
	s_ashr_i32 s3, s2, 31
	s_cmp_eq_u32 s9, 0
	s_add_nc_u64 s[0:1], s[6:7], s[2:3]
	s_cselect_b32 vcc_lo, -1, 0
	s_clause 0x7
	global_load_u16 v1, v0, s[0:1] scale_offset
	global_load_u16 v2, v0, s[0:1] offset:512 scale_offset
	global_load_u16 v3, v0, s[0:1] offset:1024 scale_offset
	;; [unrolled: 1-line block ×7, first 2 shown]
	s_wait_xcnt 0x0
	s_lshl_b32 s0, s10, 8
	s_lshl_b32 s1, s10, 25
	s_and_b32 s0, s0, 0x7f00
	s_lshr_b32 s8, s1, 4
	s_or_b32 s0, s0, 0.5
	s_or_b32 s8, s8, 0x70000000
	s_add_f32 s0, s0, -0.5
	s_mul_f32 s12, s8, 0x7800000
	s_cmp_lt_u32 s1, 0x8000000
	s_mov_b32 s8, 0x7800000
	s_mov_b32 s14, 0
	s_cselect_b32 s0, s0, s12
	s_lshl_b32 s1, s10, 24
	s_add_nc_u64 s[12:13], s[4:5], s[2:3]
	s_and_b32 s1, s1, 0x80000000
	s_delay_alu instid0(SALU_CYCLE_1)
	s_or_b32 s3, s1, s0
	s_wait_loadcnt 0x7
	v_pk_lshlrev_b16 v9, 0xff000008, v1
	s_wait_loadcnt 0x6
	v_pk_lshlrev_b16 v10, 0xff000008, v2 op_sel_hi:[1,0]
	v_and_b32_e32 v12, 0x7f00, v2
	v_and_b32_e32 v11, 0x7f00, v1
	s_wait_loadcnt 0x4
	v_pk_lshlrev_b16 v14, 0xff000008, v4 op_sel_hi:[1,0]
	v_and_b32_e32 v15, 0x7f00, v3
	v_and_b32_e32 v16, 0x7f00, v4
	s_wait_loadcnt 0x2
	v_pk_lshlrev_b16 v17, 0xff000008, v6 op_sel_hi:[1,0]
	v_and_b32_e32 v19, 0x7f00, v6
	v_dual_lshlrev_b32 v21, 17, v10 :: v_dual_lshlrev_b32 v22, 17, v12
	v_pk_lshlrev_b16 v13, 0xff000008, v3
	v_bfe_i32 v31, v4, 0, 16
	v_bfe_i32 v32, v3, 0, 16
	v_pk_lshlrev_b16 v3, 0xff000008, v5
	v_and_b32_e32 v18, 0x7f00, v5
	v_bfe_i32 v33, v6, 0, 16
	v_bfe_i32 v34, v5, 0, 16
	s_wait_loadcnt 0x1
	v_pk_lshlrev_b16 v35, 0xff000008, v7
	s_wait_loadcnt 0x0
	v_pk_lshlrev_b16 v36, 0xff000008, v8 op_sel_hi:[1,0]
	v_and_b32_e32 v5, 0x7f00, v7
	v_bfe_i32 v38, v7, 0, 16
	v_dual_lshlrev_b32 v39, 17, v11 :: v_dual_lshlrev_b32 v28, 17, v9
	v_and_b32_e32 v7, 0xffff, v11
	v_and_b32_e32 v11, 0xffff, v12
	v_and_or_b32 v4, 0x7f00, v9, 0.5
	v_dual_lshlrev_b32 v40, 16, v10 :: v_dual_lshlrev_b32 v41, 16, v9
	v_dual_lshlrev_b32 v42, 17, v14 :: v_dual_lshlrev_b32 v43, 17, v16
	;; [unrolled: 1-line block ×3, first 2 shown]
	v_and_b32_e32 v9, 0xffff, v15
	v_and_b32_e32 v15, 0xffff, v16
	v_and_or_b32 v6, 0x7f00, v14, 0.5
	v_dual_lshlrev_b32 v46, 16, v14 :: v_dual_lshlrev_b32 v47, 16, v13
	v_dual_lshlrev_b32 v48, 17, v17 :: v_dual_lshlrev_b32 v49, 17, v19
	v_and_b32_e32 v16, 0xffff, v19
	v_dual_lshrrev_b32 v19, 4, v22 :: v_dual_lshrrev_b32 v14, 4, v21
	v_bfe_i32 v30, v2, 0, 16
	v_and_b32_e32 v20, 0x7f00, v8
	v_and_or_b32 v2, 0x7f00, v10, 0.5
	v_dual_lshlrev_b32 v50, 17, v18 :: v_dual_lshlrev_b32 v51, 17, v3
	v_and_or_b32 v12, 0x7f00, v3, 0.5
	v_dual_lshlrev_b32 v52, 16, v17 :: v_dual_lshlrev_b32 v53, 16, v3
	v_dual_lshlrev_b32 v54, 17, v36 :: v_dual_lshlrev_b32 v56, 17, v5
	v_and_b32_e32 v29, 0xffff, v5
	v_or_b32_e32 v3, 0.5, v11
	v_dual_lshrrev_b32 v23, 4, v44 :: v_dual_bitop2_b32 v5, 0.5, v7 bitop3:0x54
	v_dual_lshrrev_b32 v58, 4, v50 :: v_dual_bitop2_b32 v7, 0.5, v15 bitop3:0x54
	v_or_b32_e32 v14, 0x70000000, v14
	v_or_b32_e32 v15, 0x70000000, v19
	v_bfe_i32 v37, v8, 0, 16
	v_and_or_b32 v8, 0x7f00, v13, 0.5
	v_and_b32_e32 v13, 0xffff, v18
	v_and_or_b32 v10, 0x7f00, v17, 0.5
	v_dual_lshlrev_b32 v55, 17, v20 :: v_dual_lshlrev_b32 v57, 17, v35
	v_and_b32_e32 v26, 0xffff, v20
	v_dual_lshrrev_b32 v17, 4, v28 :: v_dual_lshrrev_b32 v18, 4, v39
	v_lshrrev_b32_e32 v20, 4, v45
	v_pk_add_f32 v[2:3], v[2:3], -0.5 op_sel_hi:[1,0]
	v_pk_mul_f32 v[14:15], v[14:15], s[8:9] op_sel_hi:[1,0]
	v_cmp_gt_u32_e64 s0, 0x8000000, v21
	v_cmp_gt_u32_e64 s1, 0x8000000, v22
	v_dual_lshrrev_b32 v24, 4, v43 :: v_dual_lshrrev_b32 v25, 4, v42
	v_pk_add_f32 v[4:5], v[4:5], -0.5 op_sel_hi:[1,0]
	s_delay_alu instid0(VALU_DEP_3)
	v_dual_cndmask_b32 v63, v14, v2, s0 :: v_dual_cndmask_b32 v62, v15, v3, s1
	v_or_b32_e32 v3, 0x70000000, v18
	v_or_b32_e32 v2, 0x70000000, v17
	;; [unrolled: 1-line block ×4, first 2 shown]
	v_cmp_gt_u32_e64 s0, 0x8000000, v28
	v_cmp_gt_u32_e64 s1, 0x8000000, v39
	v_pk_mul_f32 v[2:3], v[2:3], s[8:9] op_sel_hi:[1,0]
	v_pk_add_f32 v[6:7], v[6:7], -0.5 op_sel_hi:[1,0]
	v_pk_mul_f32 v[14:15], v[14:15], s[8:9] op_sel_hi:[1,0]
	v_dual_lshrrev_b32 v27, 4, v51 :: v_dual_bitop2_b32 v9, 0.5, v9 bitop3:0x54
	s_delay_alu instid0(VALU_DEP_4) | instskip(SKIP_4) | instid1(VALU_DEP_4)
	v_dual_cndmask_b32 v3, v3, v5, s1 :: v_dual_cndmask_b32 v2, v2, v4, s0
	v_cmp_gt_u32_e64 s0, 0x8000000, v43
	v_dual_lshrrev_b32 v19, 4, v49 :: v_dual_bitop2_b32 v11, 0.5, v16 bitop3:0x54
	v_or_b32_e32 v17, 0x70000000, v23
	v_or_b32_e32 v16, 0x70000000, v20
	v_cndmask_b32_e64 v4, v15, v7, s0
	v_cmp_gt_u32_e64 s0, 0x8000000, v42
	v_dual_lshrrev_b32 v59, 4, v48 :: v_dual_bitop2_b32 v13, 0.5, v13 bitop3:0x54
	v_pk_add_f32 v[8:9], v[8:9], -0.5 op_sel_hi:[1,0]
	v_pk_mul_f32 v[16:17], v[16:17], s[8:9] op_sel_hi:[1,0]
	s_delay_alu instid0(VALU_DEP_4)
	v_cndmask_b32_e64 v5, v14, v6, s0
	v_cmp_gt_u32_e64 s0, 0x8000000, v44
	v_or_b32_e32 v18, 0x70000000, v59
	v_or_b32_e32 v19, 0x70000000, v19
	v_pk_add_f32 v[10:11], v[10:11], -0.5 op_sel_hi:[1,0]
	v_or_b32_e32 v21, 0x70000000, v58
	v_cndmask_b32_e64 v6, v17, v9, s0
	v_cmp_gt_u32_e64 s0, 0x8000000, v45
	v_pk_mul_f32 v[18:19], v[18:19], s[8:9] op_sel_hi:[1,0]
	v_or_b32_e32 v20, 0x70000000, v27
	v_dual_lshrrev_b32 v64, 4, v55 :: v_dual_lshrrev_b32 v22, 4, v54
	s_delay_alu instid0(VALU_DEP_4)
	v_cndmask_b32_e64 v7, v16, v8, s0
	v_cmp_gt_u32_e64 s0, 0x8000000, v49
	v_pk_add_f32 v[12:13], v[12:13], -0.5 op_sel_hi:[1,0]
	v_pk_mul_f32 v[20:21], v[20:21], s[8:9] op_sel_hi:[1,0]
	v_or_b32_e32 v22, 0x70000000, v22
	v_or_b32_e32 v23, 0x70000000, v64
	v_cndmask_b32_e64 v8, v19, v11, s0
	v_cmp_gt_u32_e64 s0, 0x8000000, v48
	v_or_b32_e32 v27, 0.5, v26
	v_and_or_b32 v26, 0x7f00, v36, 0.5
	v_dual_lshrrev_b32 v60, 4, v57 :: v_dual_lshrrev_b32 v61, 4, v56
	s_delay_alu instid0(VALU_DEP_4)
	v_cndmask_b32_e64 v9, v18, v10, s0
	v_cmp_gt_u32_e64 s0, 0x8000000, v50
	v_lshlrev_b32_e32 v36, 16, v36
	v_pk_add_f32 v[26:27], v[26:27], -0.5 op_sel_hi:[1,0]
	v_pk_mul_f32 v[22:23], v[22:23], s[8:9] op_sel_hi:[1,0]
	v_or_b32_e32 v25, 0x70000000, v61
	v_cndmask_b32_e64 v10, v21, v13, s0
	v_cmp_gt_u32_e64 s0, 0x8000000, v51
	v_or_b32_e32 v24, 0x70000000, v60
	v_or_b32_e32 v29, 0.5, v29
	v_and_or_b32 v28, 0x7f00, v35, 0.5
	s_delay_alu instid0(VALU_DEP_4) | instskip(SKIP_2) | instid1(VALU_DEP_4)
	v_dual_lshlrev_b32 v35, 16, v35 :: v_dual_cndmask_b32 v11, v20, v12, s0
	v_cmp_gt_u32_e64 s0, 0x8000000, v55
	v_pk_mul_f32 v[24:25], v[24:25], s[8:9] op_sel_hi:[1,0]
	v_pk_add_f32 v[28:29], v[28:29], -0.5 op_sel_hi:[1,0]
	v_and_or_b32 v2, 0x80000000, v41, v2
	v_bfe_i32 v1, v1, 0, 16
	v_cndmask_b32_e64 v12, v23, v27, s0
	v_cmp_gt_u32_e64 s0, 0x8000000, v54
	v_and_or_b32 v16, 0x80000000, v30, v62
	v_and_or_b32 v7, 0x80000000, v47, v7
	v_and_or_b32 v1, 0x80000000, v1, v3
	v_and_or_b32 v3, 0x80000000, v40, v63
	v_cndmask_b32_e64 v13, v22, v26, s0
	v_cmp_gt_u32_e64 s0, 0x8000000, v56
	v_and_or_b32 v6, 0x80000000, v32, v6
	v_and_or_b32 v5, 0x80000000, v46, v5
	v_and_or_b32 v4, 0x80000000, v31, v4
	v_and_or_b32 v11, 0x80000000, v53, v11
	;; [unrolled: 6-line block ×3, first 2 shown]
	v_cndmask_b32_e64 v15, v24, v28, s0
	v_cmp_eq_f32_e64 s0, s3, v2
	v_and_or_b32 v14, 0x80000000, v38, v14
	v_and_or_b32 v12, 0x80000000, v37, v12
	s_delay_alu instid0(VALU_DEP_4) | instskip(NEXT) | instid1(VALU_DEP_4)
	v_and_or_b32 v15, 0x80000000, v35, v15
	v_cndmask_b32_e64 v17, 0, 1, s0
	v_cmp_neq_f32_e64 s0, s3, v2
	s_delay_alu instid0(VALU_DEP_1) | instskip(SKIP_1) | instid1(VALU_DEP_1)
	v_cndmask_b32_e64 v2, 0, 1, s0
	v_cmp_eq_f32_e64 s0, s3, v1
	v_cndmask_b32_e64 v18, 0, 1, s0
	v_cmp_neq_f32_e64 s0, s3, v1
	s_delay_alu instid0(VALU_DEP_1) | instskip(SKIP_1) | instid1(VALU_DEP_2)
	v_cndmask_b32_e64 v1, 0, 1, s0
	v_cmp_eq_f32_e64 s0, s3, v3
	v_dual_cndmask_b32 v2, v2, v17 :: v_dual_cndmask_b32 v1, v1, v18
	s_delay_alu instid0(VALU_DEP_2) | instskip(SKIP_1) | instid1(VALU_DEP_3)
	v_cndmask_b32_e64 v19, 0, 1, s0
	v_cmp_neq_f32_e64 s0, s3, v3
	v_and_b32_e32 v1, 1, v1
	s_delay_alu instid0(VALU_DEP_2) | instskip(SKIP_1) | instid1(VALU_DEP_3)
	v_cndmask_b32_e64 v3, 0, 1, s0
	v_cmp_eq_f32_e64 s0, s3, v16
	v_lshlrev_b16 v1, 8, v1
	s_delay_alu instid0(VALU_DEP_2) | instskip(SKIP_1) | instid1(VALU_DEP_3)
	v_cndmask_b32_e64 v20, 0, 1, s0
	v_cmp_neq_f32_e64 s0, s3, v16
	v_bitop3_b16 v1, v2, v1, 1 bitop3:0xec
	s_delay_alu instid0(VALU_DEP_2) | instskip(SKIP_1) | instid1(VALU_DEP_2)
	v_cndmask_b32_e64 v16, 0, 1, s0
	v_cmp_eq_f32_e64 s0, s3, v7
	v_dual_cndmask_b32 v3, v3, v19 :: v_dual_cndmask_b32 v16, v16, v20
	s_delay_alu instid0(VALU_DEP_2) | instskip(SKIP_1) | instid1(VALU_DEP_3)
	v_cndmask_b32_e64 v21, 0, 1, s0
	v_cmp_neq_f32_e64 s0, s3, v7
	v_and_b32_e32 v16, 1, v16
	s_delay_alu instid0(VALU_DEP_2) | instskip(SKIP_1) | instid1(VALU_DEP_3)
	v_cndmask_b32_e64 v7, 0, 1, s0
	v_cmp_eq_f32_e64 s0, s3, v6
	v_lshlrev_b16 v16, 8, v16
	s_delay_alu instid0(VALU_DEP_2) | instskip(SKIP_1) | instid1(VALU_DEP_3)
	v_cndmask_b32_e64 v22, 0, 1, s0
	v_cmp_neq_f32_e64 s0, s3, v6
	v_bitop3_b16 v2, v3, v16, 1 bitop3:0xec
	s_delay_alu instid0(VALU_DEP_2) | instskip(SKIP_1) | instid1(VALU_DEP_2)
	;; [unrolled: 16-line block ×5, first 2 shown]
	v_cndmask_b32_e64 v8, 0, 1, s0
	v_cmp_eq_f32_e64 s0, s3, v15
	v_cndmask_b32_e32 v8, v8, v28, vcc_lo
	s_delay_alu instid0(VALU_DEP_2) | instskip(SKIP_1) | instid1(VALU_DEP_3)
	v_cndmask_b32_e64 v29, 0, 1, s0
	v_cmp_neq_f32_e64 s0, s3, v15
	v_and_b32_e32 v8, 1, v8
	s_delay_alu instid0(VALU_DEP_2) | instskip(SKIP_1) | instid1(VALU_DEP_3)
	v_cndmask_b32_e64 v15, 0, 1, s0
	v_cmp_eq_f32_e64 s0, s3, v14
	v_lshlrev_b16 v8, 8, v8
	s_delay_alu instid0(VALU_DEP_2) | instskip(SKIP_1) | instid1(VALU_DEP_1)
	v_cndmask_b32_e64 v30, 0, 1, s0
	v_cmp_neq_f32_e64 s0, s3, v14
	v_cndmask_b32_e64 v14, 0, 1, s0
	v_cmp_eq_f32_e64 s0, s3, v13
	s_delay_alu instid0(VALU_DEP_2) | instskip(NEXT) | instid1(VALU_DEP_2)
	v_cndmask_b32_e32 v14, v14, v30, vcc_lo
	v_cndmask_b32_e64 v31, 0, 1, s0
	v_cmp_neq_f32_e64 s0, s3, v13
	s_delay_alu instid0(VALU_DEP_3) | instskip(NEXT) | instid1(VALU_DEP_2)
	v_and_b32_e32 v14, 1, v14
	v_cndmask_b32_e64 v13, 0, 1, s0
	v_cmp_eq_f32_e64 s0, s3, v12
	v_cndmask_b32_e32 v15, v15, v29, vcc_lo
	s_delay_alu instid0(VALU_DEP_4) | instskip(NEXT) | instid1(VALU_DEP_4)
	v_lshlrev_b16 v14, 8, v14
	v_cndmask_b32_e32 v13, v13, v31, vcc_lo
	s_delay_alu instid0(VALU_DEP_4) | instskip(SKIP_1) | instid1(VALU_DEP_1)
	v_cndmask_b32_e64 v32, 0, 1, s0
	v_cmp_neq_f32_e64 s0, s3, v12
	v_cndmask_b32_e64 v12, 0, 1, s0
	s_delay_alu instid0(VALU_DEP_1) | instskip(NEXT) | instid1(VALU_DEP_1)
	v_dual_cndmask_b32 v9, v9, v27 :: v_dual_cndmask_b32 v12, v12, v32
	v_bitop3_b16 v8, v9, v8, 1 bitop3:0xec
	s_delay_alu instid0(VALU_DEP_2) | instskip(NEXT) | instid1(VALU_DEP_1)
	v_and_b32_e32 v12, 1, v12
	v_lshlrev_b16 v12, 8, v12
	s_delay_alu instid0(VALU_DEP_1)
	v_bitop3_b16 v12, v13, v12, 1 bitop3:0xec
	v_bitop3_b16 v13, v15, v14, 1 bitop3:0xec
	s_clause 0x7
	global_store_b16 v0, v1, s[12:13] scale_offset
	global_store_b16 v0, v2, s[12:13] offset:512 scale_offset
	global_store_b16 v0, v3, s[12:13] offset:1024 scale_offset
	global_store_b16 v0, v4, s[12:13] offset:1536 scale_offset
	global_store_b16 v0, v5, s[12:13] offset:2048 scale_offset
	global_store_b16 v0, v8, s[12:13] offset:2560 scale_offset
	global_store_b16 v0, v13, s[12:13] offset:3072 scale_offset
	global_store_b16 v0, v12, s[12:13] offset:3584 scale_offset
.LBB238_2:
	s_and_not1_b32 vcc_lo, exec_lo, s14
	s_cbranch_vccnz .LBB238_83
; %bb.3:
	v_cmp_gt_i32_e32 vcc_lo, s11, v0
	s_wait_xcnt 0x2
	v_dual_mov_b32 v2, 0 :: v_dual_bitop2_b32 v8, s2, v0 bitop3:0x54
	v_or_b32_e32 v9, 0x100, v0
	v_dual_mov_b32 v10, 0 :: v_dual_mov_b32 v11, 0
	s_wait_xcnt 0x0
	v_dual_mov_b32 v12, 0 :: v_dual_mov_b32 v13, 0
	v_dual_mov_b32 v14, 0 :: v_dual_mov_b32 v15, 0
	;; [unrolled: 1-line block ×7, first 2 shown]
	s_and_saveexec_b32 s1, vcc_lo
	s_cbranch_execz .LBB238_35
; %bb.4:
	global_load_u8 v23, v8, s[6:7]
	v_or_b32_e32 v1, 0x100, v0
	v_dual_mov_b32 v22, 0 :: v_dual_mov_b32 v5, 0
	v_dual_mov_b32 v6, 0 :: v_dual_mov_b32 v21, 0
	;; [unrolled: 1-line block ×7, first 2 shown]
	v_mov_b32_e32 v10, 0
	s_mov_b32 s3, exec_lo
	s_wait_xcnt 0x0
	v_cmpx_gt_u32_e64 s11, v1
	s_cbranch_execz .LBB238_34
; %bb.5:
	v_dual_mov_b32 v5, 0 :: v_dual_add_nc_u32 v4, s2, v0
	v_or_b32_e32 v1, 0x200, v0
	v_dual_mov_b32 v6, 0 :: v_dual_mov_b32 v21, 0
	global_load_u8 v22, v4, s[6:7] offset:256
	v_dual_mov_b32 v20, 0 :: v_dual_mov_b32 v19, 0
	v_dual_mov_b32 v18, 0 :: v_dual_mov_b32 v17, 0
	;; [unrolled: 1-line block ×5, first 2 shown]
	v_mov_b32_e32 v10, 0
	s_mov_b32 s8, exec_lo
	s_wait_xcnt 0x0
	v_cmpx_gt_u32_e64 s11, v1
	s_cbranch_execz .LBB238_33
; %bb.6:
	v_add_nc_u64_e32 v[6:7], s[6:7], v[4:5]
	v_or_b32_e32 v3, 0x300, v0
	v_dual_mov_b32 v21, 0 :: v_dual_mov_b32 v20, 0
	v_dual_mov_b32 v19, 0 :: v_dual_mov_b32 v18, 0
	;; [unrolled: 1-line block ×3, first 2 shown]
	global_load_u8 v1, v[6:7], off offset:512
	v_dual_mov_b32 v15, 0 :: v_dual_mov_b32 v14, 0
	v_dual_mov_b32 v13, 0 :: v_dual_mov_b32 v12, 0
	;; [unrolled: 1-line block ×3, first 2 shown]
	s_mov_b32 s6, exec_lo
	s_wait_xcnt 0x0
	v_cmpx_gt_u32_e64 s11, v3
	s_cbranch_execz .LBB238_32
; %bb.7:
	global_load_u8 v5, v[6:7], off offset:768
	v_or_b32_e32 v3, 0x400, v0
	v_dual_mov_b32 v21, 0 :: v_dual_mov_b32 v20, 0
	v_dual_mov_b32 v19, 0 :: v_dual_mov_b32 v18, 0
	;; [unrolled: 1-line block ×6, first 2 shown]
	s_mov_b32 s7, exec_lo
	s_wait_xcnt 0x0
	v_cmpx_gt_u32_e64 s11, v3
	s_cbranch_execz .LBB238_31
; %bb.8:
	global_load_u8 v21, v[6:7], off offset:1024
	v_or_b32_e32 v3, 0x500, v0
	v_dual_mov_b32 v20, 0 :: v_dual_mov_b32 v19, 0
	v_dual_mov_b32 v18, 0 :: v_dual_mov_b32 v17, 0
	;; [unrolled: 1-line block ×5, first 2 shown]
	v_mov_b32_e32 v10, 0
	s_mov_b32 s12, exec_lo
	s_wait_xcnt 0x0
	v_cmpx_gt_u32_e64 s11, v3
	s_cbranch_execz .LBB238_30
; %bb.9:
	global_load_u8 v20, v[6:7], off offset:1280
	v_or_b32_e32 v3, 0x600, v0
	v_dual_mov_b32 v19, 0 :: v_dual_mov_b32 v18, 0
	v_dual_mov_b32 v17, 0 :: v_dual_mov_b32 v16, 0
	;; [unrolled: 1-line block ×5, first 2 shown]
	s_mov_b32 s13, exec_lo
	s_wait_xcnt 0x0
	v_cmpx_gt_u32_e64 s11, v3
	s_cbranch_execz .LBB238_29
; %bb.10:
	global_load_u8 v19, v[6:7], off offset:1536
	v_or_b32_e32 v3, 0x700, v0
	v_dual_mov_b32 v18, 0 :: v_dual_mov_b32 v17, 0
	v_dual_mov_b32 v16, 0 :: v_dual_mov_b32 v15, 0
	;; [unrolled: 1-line block ×4, first 2 shown]
	v_mov_b32_e32 v10, 0
	s_mov_b32 s14, exec_lo
	s_wait_xcnt 0x0
	v_cmpx_gt_u32_e64 s11, v3
	s_cbranch_execz .LBB238_28
; %bb.11:
	global_load_u8 v18, v[6:7], off offset:1792
	v_or_b32_e32 v3, 0x800, v0
	v_dual_mov_b32 v17, 0 :: v_dual_mov_b32 v16, 0
	v_dual_mov_b32 v15, 0 :: v_dual_mov_b32 v14, 0
	;; [unrolled: 1-line block ×4, first 2 shown]
	s_mov_b32 s15, exec_lo
	s_wait_xcnt 0x0
	v_cmpx_gt_u32_e64 s11, v3
	s_cbranch_execz .LBB238_27
; %bb.12:
	global_load_u8 v17, v[6:7], off offset:2048
	v_or_b32_e32 v3, 0x900, v0
	v_dual_mov_b32 v16, 0 :: v_dual_mov_b32 v15, 0
	v_dual_mov_b32 v14, 0 :: v_dual_mov_b32 v13, 0
	;; [unrolled: 1-line block ×3, first 2 shown]
	v_mov_b32_e32 v10, 0
	s_mov_b32 s16, exec_lo
	s_wait_xcnt 0x0
	v_cmpx_gt_u32_e64 s11, v3
	s_cbranch_execz .LBB238_26
; %bb.13:
	global_load_u8 v16, v[6:7], off offset:2304
	v_or_b32_e32 v3, 0xa00, v0
	v_dual_mov_b32 v15, 0 :: v_dual_mov_b32 v14, 0
	v_dual_mov_b32 v13, 0 :: v_dual_mov_b32 v12, 0
	v_dual_mov_b32 v11, 0 :: v_dual_mov_b32 v10, 0
	s_mov_b32 s17, exec_lo
	s_wait_xcnt 0x0
	v_cmpx_gt_u32_e64 s11, v3
	s_cbranch_execz .LBB238_25
; %bb.14:
	global_load_u8 v15, v[6:7], off offset:2560
	v_or_b32_e32 v3, 0xb00, v0
	v_dual_mov_b32 v14, 0 :: v_dual_mov_b32 v13, 0
	v_dual_mov_b32 v12, 0 :: v_dual_mov_b32 v11, 0
	v_mov_b32_e32 v10, 0
	s_mov_b32 s18, exec_lo
	s_wait_xcnt 0x0
	v_cmpx_gt_u32_e64 s11, v3
	s_cbranch_execz .LBB238_24
; %bb.15:
	global_load_u8 v14, v[6:7], off offset:2816
	v_or_b32_e32 v3, 0xc00, v0
	v_dual_mov_b32 v13, 0 :: v_dual_mov_b32 v12, 0
	v_dual_mov_b32 v11, 0 :: v_dual_mov_b32 v10, 0
	s_mov_b32 s19, exec_lo
	s_wait_xcnt 0x0
	v_cmpx_gt_u32_e64 s11, v3
	s_cbranch_execz .LBB238_23
; %bb.16:
	global_load_u8 v13, v[6:7], off offset:3072
	v_or_b32_e32 v3, 0xd00, v0
	v_dual_mov_b32 v12, 0 :: v_dual_mov_b32 v11, 0
	v_mov_b32_e32 v10, 0
	s_mov_b32 s20, exec_lo
	s_wait_xcnt 0x0
	v_cmpx_gt_u32_e64 s11, v3
	s_cbranch_execz .LBB238_22
; %bb.17:
	global_load_u8 v12, v[6:7], off offset:3328
	v_or_b32_e32 v3, 0xe00, v0
	v_dual_mov_b32 v11, 0 :: v_dual_mov_b32 v10, 0
	s_mov_b32 s21, exec_lo
	s_wait_xcnt 0x0
	s_delay_alu instid0(VALU_DEP_2)
	v_cmpx_gt_u32_e64 s11, v3
	s_cbranch_execz .LBB238_21
; %bb.18:
	global_load_u8 v11, v[6:7], off offset:3584
	v_or_b32_e32 v3, 0xf00, v0
	v_mov_b32_e32 v10, 0
	s_mov_b32 s22, exec_lo
	s_wait_xcnt 0x0
	s_delay_alu instid0(VALU_DEP_2)
	v_cmpx_gt_u32_e64 s11, v3
	s_cbranch_execz .LBB238_20
; %bb.19:
	global_load_u8 v10, v[6:7], off offset:3840
.LBB238_20:
	s_wait_xcnt 0x0
	s_or_b32 exec_lo, exec_lo, s22
.LBB238_21:
	s_delay_alu instid0(SALU_CYCLE_1)
	s_or_b32 exec_lo, exec_lo, s21
.LBB238_22:
	s_delay_alu instid0(SALU_CYCLE_1)
	s_or_b32 exec_lo, exec_lo, s20
.LBB238_23:
	s_delay_alu instid0(SALU_CYCLE_1)
	s_or_b32 exec_lo, exec_lo, s19
.LBB238_24:
	s_delay_alu instid0(SALU_CYCLE_1)
	s_or_b32 exec_lo, exec_lo, s18
.LBB238_25:
	s_delay_alu instid0(SALU_CYCLE_1)
	s_or_b32 exec_lo, exec_lo, s17
.LBB238_26:
	s_delay_alu instid0(SALU_CYCLE_1)
	s_or_b32 exec_lo, exec_lo, s16
.LBB238_27:
	s_delay_alu instid0(SALU_CYCLE_1)
	s_or_b32 exec_lo, exec_lo, s15
.LBB238_28:
	s_delay_alu instid0(SALU_CYCLE_1)
	s_or_b32 exec_lo, exec_lo, s14
.LBB238_29:
	s_delay_alu instid0(SALU_CYCLE_1)
	s_or_b32 exec_lo, exec_lo, s13
.LBB238_30:
	s_delay_alu instid0(SALU_CYCLE_1)
	s_or_b32 exec_lo, exec_lo, s12
.LBB238_31:
	s_delay_alu instid0(SALU_CYCLE_1)
	s_or_b32 exec_lo, exec_lo, s7
.LBB238_32:
	s_delay_alu instid0(SALU_CYCLE_1)
	s_or_b32 exec_lo, exec_lo, s6
	s_wait_loadcnt 0x0
	v_dual_mov_b32 v6, v5 :: v_dual_mov_b32 v5, v1
.LBB238_33:
	s_or_b32 exec_lo, exec_lo, s8
.LBB238_34:
	s_delay_alu instid0(SALU_CYCLE_1)
	s_or_b32 exec_lo, exec_lo, s3
.LBB238_35:
	s_delay_alu instid0(SALU_CYCLE_1)
	s_or_b32 exec_lo, exec_lo, s1
	s_cmp_eq_u32 s9, 0
	v_dual_mov_b32 v1, v2 :: v_dual_mov_b32 v4, v2
	s_cselect_b32 s0, -1, 0
	s_lshl_b32 s1, s10, 8
	s_lshl_b32 s3, s10, 25
	s_and_b32 s1, s1, 0x7f00
	s_lshr_b32 s6, s3, 4
	s_or_b32 s1, s1, 0.5
	s_or_b32 s6, s6, 0x70000000
	s_add_f32 s1, s1, -0.5
	s_mul_f32 s6, s6, 0x7800000
	s_cmp_lt_u32 s3, 0x8000000
	v_mov_b32_e32 v3, v2
	s_delay_alu instid0(SALU_CYCLE_1) | instskip(SKIP_1) | instid1(SALU_CYCLE_1)
	s_cselect_b32 s1, s1, s6
	s_lshl_b32 s3, s10, 24
	s_and_b32 s3, s3, 0x80000000
	s_delay_alu instid0(SALU_CYCLE_1)
	s_or_b32 s3, s3, s1
	s_and_saveexec_b32 s6, vcc_lo
	s_cbranch_execz .LBB238_37
; %bb.36:
	s_wait_loadcnt 0x0
	v_lshlrev_b16 v2, 8, v23
	s_delay_alu instid0(VALU_DEP_1) | instskip(SKIP_2) | instid1(VALU_DEP_2)
	v_and_or_b32 v4, 0x7f00, v2, 0.5
	v_lshlrev_b32_e32 v1, 25, v23
	v_bfe_i32 v2, v2, 0, 16
	v_dual_add_f32 v4, -0.5, v4 :: v_dual_lshrrev_b32 v3, 4, v1
	v_cmp_gt_u32_e64 s1, 0x8000000, v1
	s_delay_alu instid0(VALU_DEP_2) | instskip(NEXT) | instid1(VALU_DEP_1)
	v_or_b32_e32 v3, 0x70000000, v3
	v_mul_f32_e32 v3, 0x7800000, v3
	s_delay_alu instid0(VALU_DEP_1) | instskip(NEXT) | instid1(VALU_DEP_1)
	v_cndmask_b32_e64 v1, v3, v4, s1
	v_and_or_b32 v1, 0x80000000, v2, v1
	s_delay_alu instid0(VALU_DEP_1) | instskip(NEXT) | instid1(VALU_DEP_1)
	v_cmp_eq_f32_e64 s1, s3, v1
	v_cndmask_b32_e64 v2, 0, 1, s1
	v_cmp_neq_f32_e64 s1, s3, v1
	s_delay_alu instid0(VALU_DEP_1) | instskip(NEXT) | instid1(VALU_DEP_1)
	v_cndmask_b32_e64 v1, 0, 1, s1
	v_dual_cndmask_b32 v2, v1, v2, s0 :: v_dual_mov_b32 v1, 0
	s_delay_alu instid0(VALU_DEP_1) | instskip(SKIP_1) | instid1(VALU_DEP_2)
	v_dual_mov_b32 v4, v1 :: v_dual_bitop2_b32 v2, 1, v2 bitop3:0x40
	v_mov_b32_e32 v3, v1
	v_and_b32_e32 v2, 0xffff, v2
.LBB238_37:
	s_or_b32 exec_lo, exec_lo, s6
	s_delay_alu instid0(SALU_CYCLE_1)
	s_mov_b32 s6, exec_lo
	v_cmpx_gt_i32_e64 s11, v9
	s_cbranch_execz .LBB238_39
; %bb.38:
	s_wait_loadcnt 0x0
	v_lshlrev_b32_e32 v7, 25, v22
	v_lshlrev_b16 v22, 8, v22
	s_delay_alu instid0(VALU_DEP_1) | instskip(SKIP_1) | instid1(VALU_DEP_2)
	v_and_or_b32 v24, 0x7f00, v22, 0.5
	v_bfe_i32 v22, v22, 0, 16
	v_dual_add_f32 v24, -0.5, v24 :: v_dual_lshrrev_b32 v23, 4, v7
	v_cmp_gt_u32_e64 s1, 0x8000000, v7
	s_delay_alu instid0(VALU_DEP_2) | instskip(NEXT) | instid1(VALU_DEP_1)
	v_or_b32_e32 v23, 0x70000000, v23
	v_mul_f32_e32 v23, 0x7800000, v23
	s_delay_alu instid0(VALU_DEP_1) | instskip(NEXT) | instid1(VALU_DEP_1)
	v_cndmask_b32_e64 v7, v23, v24, s1
	v_and_or_b32 v7, 0x80000000, v22, v7
	s_delay_alu instid0(VALU_DEP_1) | instskip(NEXT) | instid1(VALU_DEP_1)
	v_cmp_eq_f32_e64 s1, s3, v7
	v_cndmask_b32_e64 v22, 0, 1, s1
	v_cmp_neq_f32_e64 s1, s3, v7
	s_delay_alu instid0(VALU_DEP_1) | instskip(NEXT) | instid1(VALU_DEP_1)
	v_cndmask_b32_e64 v7, 0, 1, s1
	v_cndmask_b32_e64 v7, v7, v22, s0
	s_delay_alu instid0(VALU_DEP_1) | instskip(NEXT) | instid1(VALU_DEP_1)
	v_and_b32_e32 v7, 1, v7
	v_lshlrev_b16 v7, 8, v7
	s_delay_alu instid0(VALU_DEP_1) | instskip(NEXT) | instid1(VALU_DEP_1)
	v_bitop3_b16 v7, v2, v7, 0xff bitop3:0xec
	v_and_b32_e32 v7, 0xffff, v7
	s_delay_alu instid0(VALU_DEP_1)
	v_and_or_b32 v2, 0xffff0000, v2, v7
.LBB238_39:
	s_or_b32 exec_lo, exec_lo, s6
	v_or_b32_e32 v7, 0x200, v0
	s_mov_b32 s6, exec_lo
	s_delay_alu instid0(VALU_DEP_1)
	v_cmpx_gt_i32_e64 s11, v7
	s_cbranch_execz .LBB238_41
; %bb.40:
	v_lshlrev_b32_e32 v7, 25, v5
	v_lshlrev_b16 v5, 8, v5
	s_wait_loadcnt 0x0
	s_delay_alu instid0(VALU_DEP_1) | instskip(SKIP_1) | instid1(VALU_DEP_2)
	v_and_or_b32 v23, 0x7f00, v5, 0.5
	v_bfe_i32 v5, v5, 0, 16
	v_add_f32_e32 v23, -0.5, v23
	v_lshrrev_b32_e32 v22, 4, v7
	v_cmp_gt_u32_e64 s1, 0x8000000, v7
	s_delay_alu instid0(VALU_DEP_2) | instskip(NEXT) | instid1(VALU_DEP_1)
	v_or_b32_e32 v22, 0x70000000, v22
	v_mul_f32_e32 v22, 0x7800000, v22
	s_delay_alu instid0(VALU_DEP_1) | instskip(NEXT) | instid1(VALU_DEP_1)
	v_cndmask_b32_e64 v7, v22, v23, s1
	v_and_or_b32 v5, 0x80000000, v5, v7
	v_lshrrev_b32_e32 v7, 16, v2
	s_delay_alu instid0(VALU_DEP_2) | instskip(NEXT) | instid1(VALU_DEP_2)
	v_cmp_eq_f32_e64 s1, s3, v5
	v_and_b32_e32 v7, 0xffffff00, v7
	s_delay_alu instid0(VALU_DEP_2) | instskip(SKIP_1) | instid1(VALU_DEP_1)
	v_cndmask_b32_e64 v22, 0, 1, s1
	v_cmp_neq_f32_e64 s1, s3, v5
	v_cndmask_b32_e64 v5, 0, 1, s1
	s_delay_alu instid0(VALU_DEP_1) | instskip(NEXT) | instid1(VALU_DEP_1)
	v_cndmask_b32_e64 v5, v5, v22, s0
	v_bitop3_b16 v5, v5, v7, 1 bitop3:0xec
	s_delay_alu instid0(VALU_DEP_1) | instskip(NEXT) | instid1(VALU_DEP_1)
	v_lshlrev_b32_e32 v5, 16, v5
	v_and_or_b32 v2, 0xffff, v2, v5
.LBB238_41:
	s_or_b32 exec_lo, exec_lo, s6
	v_or_b32_e32 v5, 0x300, v0
	s_mov_b32 s6, exec_lo
	s_delay_alu instid0(VALU_DEP_1)
	v_cmpx_gt_i32_e64 s11, v5
	s_cbranch_execz .LBB238_43
; %bb.42:
	v_lshlrev_b32_e32 v5, 25, v6
	v_lshlrev_b16 v6, 8, v6
	s_delay_alu instid0(VALU_DEP_2) | instskip(SKIP_1) | instid1(VALU_DEP_2)
	v_cmp_gt_u32_e64 s1, 0x8000000, v5
	s_wait_loadcnt 0x0
	v_and_or_b32 v22, 0x7f00, v6, 0.5
	v_lshrrev_b32_e32 v7, 4, v5
	v_bfe_i32 v6, v6, 0, 16
	s_delay_alu instid0(VALU_DEP_3) | instskip(NEXT) | instid1(VALU_DEP_3)
	v_add_f32_e32 v22, -0.5, v22
	v_or_b32_e32 v7, 0x70000000, v7
	s_delay_alu instid0(VALU_DEP_1) | instskip(NEXT) | instid1(VALU_DEP_1)
	v_mul_f32_e32 v7, 0x7800000, v7
	v_cndmask_b32_e64 v5, v7, v22, s1
	s_delay_alu instid0(VALU_DEP_1) | instskip(NEXT) | instid1(VALU_DEP_1)
	v_and_or_b32 v5, 0x80000000, v6, v5
	v_cmp_eq_f32_e64 s1, s3, v5
	s_delay_alu instid0(VALU_DEP_1) | instskip(SKIP_1) | instid1(VALU_DEP_1)
	v_cndmask_b32_e64 v6, 0, 1, s1
	v_cmp_neq_f32_e64 s1, s3, v5
	v_cndmask_b32_e64 v5, 0, 1, s1
	s_delay_alu instid0(VALU_DEP_1) | instskip(NEXT) | instid1(VALU_DEP_1)
	v_cndmask_b32_e64 v5, v5, v6, s0
	v_dual_lshrrev_b32 v6, 16, v2 :: v_dual_bitop2_b32 v5, 1, v5 bitop3:0x40
	s_delay_alu instid0(VALU_DEP_1) | instskip(NEXT) | instid1(VALU_DEP_1)
	v_lshlrev_b16 v5, 8, v5
	v_bitop3_b16 v5, v6, v5, 0xff bitop3:0xec
	s_delay_alu instid0(VALU_DEP_1) | instskip(NEXT) | instid1(VALU_DEP_1)
	v_lshlrev_b32_e32 v5, 16, v5
	v_and_or_b32 v2, 0xffff, v2, v5
.LBB238_43:
	s_or_b32 exec_lo, exec_lo, s6
	v_or_b32_e32 v5, 0x400, v0
	s_mov_b32 s6, exec_lo
	s_delay_alu instid0(VALU_DEP_1)
	v_cmpx_gt_i32_e64 s11, v5
	s_cbranch_execz .LBB238_45
; %bb.44:
	v_lshlrev_b16 v6, 8, v21
	v_lshlrev_b32_e32 v5, 25, v21
	s_delay_alu instid0(VALU_DEP_2) | instskip(SKIP_1) | instid1(VALU_DEP_2)
	v_and_or_b32 v21, 0x7f00, v6, 0.5
	v_bfe_i32 v6, v6, 0, 16
	v_add_f32_e32 v21, -0.5, v21
	s_delay_alu instid0(VALU_DEP_4) | instskip(SKIP_1) | instid1(VALU_DEP_2)
	v_lshrrev_b32_e32 v7, 4, v5
	v_cmp_gt_u32_e64 s1, 0x8000000, v5
	v_or_b32_e32 v7, 0x70000000, v7
	s_delay_alu instid0(VALU_DEP_1) | instskip(NEXT) | instid1(VALU_DEP_1)
	v_mul_f32_e32 v7, 0x7800000, v7
	v_cndmask_b32_e64 v5, v7, v21, s1
	v_and_b32_e32 v7, 0xffffff00, v1
	s_delay_alu instid0(VALU_DEP_2) | instskip(NEXT) | instid1(VALU_DEP_1)
	v_and_or_b32 v5, 0x80000000, v6, v5
	v_cmp_eq_f32_e64 s1, s3, v5
	s_delay_alu instid0(VALU_DEP_1) | instskip(SKIP_1) | instid1(VALU_DEP_1)
	v_cndmask_b32_e64 v6, 0, 1, s1
	v_cmp_neq_f32_e64 s1, s3, v5
	v_cndmask_b32_e64 v5, 0, 1, s1
	s_delay_alu instid0(VALU_DEP_1) | instskip(NEXT) | instid1(VALU_DEP_1)
	v_cndmask_b32_e64 v5, v5, v6, s0
	v_bitop3_b16 v5, v5, v7, 1 bitop3:0xec
	s_delay_alu instid0(VALU_DEP_1) | instskip(NEXT) | instid1(VALU_DEP_1)
	v_and_b32_e32 v5, 0xffff, v5
	v_and_or_b32 v1, 0xffff0000, v1, v5
.LBB238_45:
	s_or_b32 exec_lo, exec_lo, s6
	v_or_b32_e32 v5, 0x500, v0
	s_mov_b32 s6, exec_lo
	s_delay_alu instid0(VALU_DEP_1)
	v_cmpx_gt_i32_e64 s11, v5
	s_cbranch_execz .LBB238_47
; %bb.46:
	v_lshlrev_b16 v6, 8, v20
	v_lshlrev_b32_e32 v5, 25, v20
	s_delay_alu instid0(VALU_DEP_2) | instskip(SKIP_1) | instid1(VALU_DEP_2)
	v_and_or_b32 v20, 0x7f00, v6, 0.5
	v_bfe_i32 v6, v6, 0, 16
	v_dual_add_f32 v20, -0.5, v20 :: v_dual_lshrrev_b32 v7, 4, v5
	v_cmp_gt_u32_e64 s1, 0x8000000, v5
	s_delay_alu instid0(VALU_DEP_2) | instskip(NEXT) | instid1(VALU_DEP_1)
	v_or_b32_e32 v7, 0x70000000, v7
	v_mul_f32_e32 v7, 0x7800000, v7
	s_delay_alu instid0(VALU_DEP_1) | instskip(NEXT) | instid1(VALU_DEP_1)
	v_cndmask_b32_e64 v5, v7, v20, s1
	v_and_or_b32 v5, 0x80000000, v6, v5
	s_delay_alu instid0(VALU_DEP_1) | instskip(NEXT) | instid1(VALU_DEP_1)
	v_cmp_eq_f32_e64 s1, s3, v5
	v_cndmask_b32_e64 v6, 0, 1, s1
	v_cmp_neq_f32_e64 s1, s3, v5
	s_delay_alu instid0(VALU_DEP_1) | instskip(NEXT) | instid1(VALU_DEP_1)
	v_cndmask_b32_e64 v5, 0, 1, s1
	v_cndmask_b32_e64 v5, v5, v6, s0
	s_delay_alu instid0(VALU_DEP_1) | instskip(NEXT) | instid1(VALU_DEP_1)
	v_and_b32_e32 v5, 1, v5
	v_lshlrev_b16 v5, 8, v5
	s_delay_alu instid0(VALU_DEP_1) | instskip(NEXT) | instid1(VALU_DEP_1)
	v_bitop3_b16 v5, v1, v5, 0xff bitop3:0xec
	v_and_b32_e32 v5, 0xffff, v5
	s_delay_alu instid0(VALU_DEP_1)
	v_and_or_b32 v1, 0xffff0000, v1, v5
.LBB238_47:
	s_or_b32 exec_lo, exec_lo, s6
	v_or_b32_e32 v5, 0x600, v0
	s_mov_b32 s6, exec_lo
	s_delay_alu instid0(VALU_DEP_1)
	v_cmpx_gt_i32_e64 s11, v5
	s_cbranch_execz .LBB238_49
; %bb.48:
	v_lshlrev_b16 v6, 8, v19
	v_lshlrev_b32_e32 v5, 25, v19
	s_delay_alu instid0(VALU_DEP_2) | instskip(SKIP_1) | instid1(VALU_DEP_2)
	v_and_or_b32 v19, 0x7f00, v6, 0.5
	v_bfe_i32 v6, v6, 0, 16
	v_dual_add_f32 v19, -0.5, v19 :: v_dual_lshrrev_b32 v7, 4, v5
	v_cmp_gt_u32_e64 s1, 0x8000000, v5
	s_delay_alu instid0(VALU_DEP_2) | instskip(NEXT) | instid1(VALU_DEP_1)
	v_or_b32_e32 v7, 0x70000000, v7
	v_mul_f32_e32 v7, 0x7800000, v7
	s_delay_alu instid0(VALU_DEP_1) | instskip(NEXT) | instid1(VALU_DEP_1)
	v_cndmask_b32_e64 v5, v7, v19, s1
	v_and_or_b32 v5, 0x80000000, v6, v5
	v_lshrrev_b32_e32 v6, 16, v1
	s_delay_alu instid0(VALU_DEP_2) | instskip(NEXT) | instid1(VALU_DEP_2)
	v_cmp_eq_f32_e64 s1, s3, v5
	v_and_b32_e32 v6, 0xffffff00, v6
	s_delay_alu instid0(VALU_DEP_2) | instskip(SKIP_1) | instid1(VALU_DEP_1)
	v_cndmask_b32_e64 v7, 0, 1, s1
	v_cmp_neq_f32_e64 s1, s3, v5
	v_cndmask_b32_e64 v5, 0, 1, s1
	s_delay_alu instid0(VALU_DEP_1) | instskip(NEXT) | instid1(VALU_DEP_1)
	v_cndmask_b32_e64 v5, v5, v7, s0
	v_bitop3_b16 v5, v5, v6, 1 bitop3:0xec
	s_delay_alu instid0(VALU_DEP_1) | instskip(NEXT) | instid1(VALU_DEP_1)
	v_lshlrev_b32_e32 v5, 16, v5
	v_and_or_b32 v1, 0xffff, v1, v5
.LBB238_49:
	s_or_b32 exec_lo, exec_lo, s6
	v_or_b32_e32 v5, 0x700, v0
	s_mov_b32 s6, exec_lo
	s_delay_alu instid0(VALU_DEP_1)
	v_cmpx_gt_i32_e64 s11, v5
	s_cbranch_execz .LBB238_51
; %bb.50:
	v_lshlrev_b16 v6, 8, v18
	v_lshlrev_b32_e32 v5, 25, v18
	s_delay_alu instid0(VALU_DEP_2) | instskip(SKIP_1) | instid1(VALU_DEP_2)
	v_and_or_b32 v18, 0x7f00, v6, 0.5
	v_bfe_i32 v6, v6, 0, 16
	v_dual_add_f32 v18, -0.5, v18 :: v_dual_lshrrev_b32 v7, 4, v5
	v_cmp_gt_u32_e64 s1, 0x8000000, v5
	s_delay_alu instid0(VALU_DEP_2) | instskip(NEXT) | instid1(VALU_DEP_1)
	v_or_b32_e32 v7, 0x70000000, v7
	v_mul_f32_e32 v7, 0x7800000, v7
	s_delay_alu instid0(VALU_DEP_1) | instskip(NEXT) | instid1(VALU_DEP_1)
	v_cndmask_b32_e64 v5, v7, v18, s1
	v_and_or_b32 v5, 0x80000000, v6, v5
	s_delay_alu instid0(VALU_DEP_1) | instskip(NEXT) | instid1(VALU_DEP_1)
	v_cmp_eq_f32_e64 s1, s3, v5
	v_cndmask_b32_e64 v6, 0, 1, s1
	v_cmp_neq_f32_e64 s1, s3, v5
	s_delay_alu instid0(VALU_DEP_1) | instskip(NEXT) | instid1(VALU_DEP_1)
	v_cndmask_b32_e64 v5, 0, 1, s1
	v_dual_cndmask_b32 v5, v5, v6, s0 :: v_dual_lshrrev_b32 v6, 16, v1
	s_delay_alu instid0(VALU_DEP_1) | instskip(NEXT) | instid1(VALU_DEP_1)
	v_and_b32_e32 v5, 1, v5
	v_lshlrev_b16 v5, 8, v5
	s_delay_alu instid0(VALU_DEP_1) | instskip(NEXT) | instid1(VALU_DEP_1)
	v_bitop3_b16 v5, v6, v5, 0xff bitop3:0xec
	v_lshlrev_b32_e32 v5, 16, v5
	s_delay_alu instid0(VALU_DEP_1)
	v_and_or_b32 v1, 0xffff, v1, v5
.LBB238_51:
	s_or_b32 exec_lo, exec_lo, s6
	v_or_b32_e32 v5, 0x800, v0
	s_mov_b32 s6, exec_lo
	s_delay_alu instid0(VALU_DEP_1)
	v_cmpx_gt_i32_e64 s11, v5
	s_cbranch_execz .LBB238_53
; %bb.52:
	v_lshlrev_b16 v6, 8, v17
	v_lshlrev_b32_e32 v5, 25, v17
	s_delay_alu instid0(VALU_DEP_2) | instskip(SKIP_1) | instid1(VALU_DEP_2)
	v_and_or_b32 v17, 0x7f00, v6, 0.5
	v_bfe_i32 v6, v6, 0, 16
	v_add_f32_e32 v17, -0.5, v17
	s_delay_alu instid0(VALU_DEP_4) | instskip(SKIP_1) | instid1(VALU_DEP_2)
	v_lshrrev_b32_e32 v7, 4, v5
	v_cmp_gt_u32_e64 s1, 0x8000000, v5
	v_or_b32_e32 v7, 0x70000000, v7
	s_delay_alu instid0(VALU_DEP_1) | instskip(NEXT) | instid1(VALU_DEP_1)
	v_mul_f32_e32 v7, 0x7800000, v7
	v_cndmask_b32_e64 v5, v7, v17, s1
	v_and_b32_e32 v7, 0xffffff00, v4
	s_delay_alu instid0(VALU_DEP_2) | instskip(NEXT) | instid1(VALU_DEP_1)
	v_and_or_b32 v5, 0x80000000, v6, v5
	v_cmp_eq_f32_e64 s1, s3, v5
	s_delay_alu instid0(VALU_DEP_1) | instskip(SKIP_1) | instid1(VALU_DEP_1)
	v_cndmask_b32_e64 v6, 0, 1, s1
	v_cmp_neq_f32_e64 s1, s3, v5
	v_cndmask_b32_e64 v5, 0, 1, s1
	s_delay_alu instid0(VALU_DEP_1) | instskip(NEXT) | instid1(VALU_DEP_1)
	v_cndmask_b32_e64 v5, v5, v6, s0
	v_bitop3_b16 v5, v5, v7, 1 bitop3:0xec
	s_delay_alu instid0(VALU_DEP_1) | instskip(NEXT) | instid1(VALU_DEP_1)
	v_and_b32_e32 v5, 0xffff, v5
	v_and_or_b32 v4, 0xffff0000, v4, v5
.LBB238_53:
	s_or_b32 exec_lo, exec_lo, s6
	v_or_b32_e32 v5, 0x900, v0
	s_mov_b32 s6, exec_lo
	s_delay_alu instid0(VALU_DEP_1)
	v_cmpx_gt_i32_e64 s11, v5
	s_cbranch_execz .LBB238_55
; %bb.54:
	v_lshlrev_b16 v6, 8, v16
	v_lshlrev_b32_e32 v5, 25, v16
	s_delay_alu instid0(VALU_DEP_2) | instskip(SKIP_1) | instid1(VALU_DEP_2)
	v_and_or_b32 v16, 0x7f00, v6, 0.5
	v_bfe_i32 v6, v6, 0, 16
	v_dual_add_f32 v16, -0.5, v16 :: v_dual_lshrrev_b32 v7, 4, v5
	v_cmp_gt_u32_e64 s1, 0x8000000, v5
	s_delay_alu instid0(VALU_DEP_2) | instskip(NEXT) | instid1(VALU_DEP_1)
	v_or_b32_e32 v7, 0x70000000, v7
	v_mul_f32_e32 v7, 0x7800000, v7
	s_delay_alu instid0(VALU_DEP_1) | instskip(NEXT) | instid1(VALU_DEP_1)
	v_cndmask_b32_e64 v5, v7, v16, s1
	v_and_or_b32 v5, 0x80000000, v6, v5
	s_delay_alu instid0(VALU_DEP_1) | instskip(NEXT) | instid1(VALU_DEP_1)
	v_cmp_eq_f32_e64 s1, s3, v5
	v_cndmask_b32_e64 v6, 0, 1, s1
	v_cmp_neq_f32_e64 s1, s3, v5
	s_delay_alu instid0(VALU_DEP_1) | instskip(NEXT) | instid1(VALU_DEP_1)
	v_cndmask_b32_e64 v5, 0, 1, s1
	v_cndmask_b32_e64 v5, v5, v6, s0
	s_delay_alu instid0(VALU_DEP_1) | instskip(NEXT) | instid1(VALU_DEP_1)
	v_and_b32_e32 v5, 1, v5
	v_lshlrev_b16 v5, 8, v5
	s_delay_alu instid0(VALU_DEP_1) | instskip(NEXT) | instid1(VALU_DEP_1)
	v_bitop3_b16 v5, v4, v5, 0xff bitop3:0xec
	v_and_b32_e32 v5, 0xffff, v5
	s_delay_alu instid0(VALU_DEP_1)
	v_and_or_b32 v4, 0xffff0000, v4, v5
.LBB238_55:
	s_or_b32 exec_lo, exec_lo, s6
	v_or_b32_e32 v5, 0xa00, v0
	s_mov_b32 s6, exec_lo
	s_delay_alu instid0(VALU_DEP_1)
	v_cmpx_gt_i32_e64 s11, v5
	s_cbranch_execz .LBB238_57
; %bb.56:
	v_lshlrev_b16 v6, 8, v15
	v_lshlrev_b32_e32 v5, 25, v15
	s_delay_alu instid0(VALU_DEP_2) | instskip(SKIP_1) | instid1(VALU_DEP_2)
	v_and_or_b32 v15, 0x7f00, v6, 0.5
	v_bfe_i32 v6, v6, 0, 16
	v_dual_add_f32 v15, -0.5, v15 :: v_dual_lshrrev_b32 v7, 4, v5
	v_cmp_gt_u32_e64 s1, 0x8000000, v5
	s_delay_alu instid0(VALU_DEP_2) | instskip(NEXT) | instid1(VALU_DEP_1)
	v_or_b32_e32 v7, 0x70000000, v7
	v_mul_f32_e32 v7, 0x7800000, v7
	s_delay_alu instid0(VALU_DEP_1) | instskip(NEXT) | instid1(VALU_DEP_1)
	v_cndmask_b32_e64 v5, v7, v15, s1
	v_and_or_b32 v5, 0x80000000, v6, v5
	v_lshrrev_b32_e32 v6, 16, v4
	s_delay_alu instid0(VALU_DEP_2) | instskip(NEXT) | instid1(VALU_DEP_2)
	v_cmp_eq_f32_e64 s1, s3, v5
	v_and_b32_e32 v6, 0xffffff00, v6
	s_delay_alu instid0(VALU_DEP_2) | instskip(SKIP_1) | instid1(VALU_DEP_1)
	v_cndmask_b32_e64 v7, 0, 1, s1
	v_cmp_neq_f32_e64 s1, s3, v5
	v_cndmask_b32_e64 v5, 0, 1, s1
	s_delay_alu instid0(VALU_DEP_1) | instskip(NEXT) | instid1(VALU_DEP_1)
	v_cndmask_b32_e64 v5, v5, v7, s0
	v_bitop3_b16 v5, v5, v6, 1 bitop3:0xec
	s_delay_alu instid0(VALU_DEP_1) | instskip(NEXT) | instid1(VALU_DEP_1)
	v_lshlrev_b32_e32 v5, 16, v5
	v_and_or_b32 v4, 0xffff, v4, v5
.LBB238_57:
	s_or_b32 exec_lo, exec_lo, s6
	v_or_b32_e32 v5, 0xb00, v0
	s_mov_b32 s6, exec_lo
	s_delay_alu instid0(VALU_DEP_1)
	v_cmpx_gt_i32_e64 s11, v5
	s_cbranch_execz .LBB238_59
; %bb.58:
	v_lshlrev_b16 v6, 8, v14
	v_lshlrev_b32_e32 v5, 25, v14
	s_delay_alu instid0(VALU_DEP_2) | instskip(SKIP_1) | instid1(VALU_DEP_2)
	v_and_or_b32 v14, 0x7f00, v6, 0.5
	v_bfe_i32 v6, v6, 0, 16
	v_dual_add_f32 v14, -0.5, v14 :: v_dual_lshrrev_b32 v7, 4, v5
	v_cmp_gt_u32_e64 s1, 0x8000000, v5
	s_delay_alu instid0(VALU_DEP_2) | instskip(NEXT) | instid1(VALU_DEP_1)
	v_or_b32_e32 v7, 0x70000000, v7
	v_mul_f32_e32 v7, 0x7800000, v7
	s_delay_alu instid0(VALU_DEP_1) | instskip(NEXT) | instid1(VALU_DEP_1)
	v_cndmask_b32_e64 v5, v7, v14, s1
	v_and_or_b32 v5, 0x80000000, v6, v5
	s_delay_alu instid0(VALU_DEP_1) | instskip(NEXT) | instid1(VALU_DEP_1)
	v_cmp_eq_f32_e64 s1, s3, v5
	v_cndmask_b32_e64 v6, 0, 1, s1
	v_cmp_neq_f32_e64 s1, s3, v5
	s_delay_alu instid0(VALU_DEP_1) | instskip(NEXT) | instid1(VALU_DEP_1)
	v_cndmask_b32_e64 v5, 0, 1, s1
	v_dual_cndmask_b32 v5, v5, v6, s0 :: v_dual_lshrrev_b32 v6, 16, v4
	s_delay_alu instid0(VALU_DEP_1) | instskip(NEXT) | instid1(VALU_DEP_1)
	v_and_b32_e32 v5, 1, v5
	v_lshlrev_b16 v5, 8, v5
	s_delay_alu instid0(VALU_DEP_1) | instskip(NEXT) | instid1(VALU_DEP_1)
	v_bitop3_b16 v5, v6, v5, 0xff bitop3:0xec
	v_lshlrev_b32_e32 v5, 16, v5
	s_delay_alu instid0(VALU_DEP_1)
	v_and_or_b32 v4, 0xffff, v4, v5
.LBB238_59:
	s_or_b32 exec_lo, exec_lo, s6
	v_or_b32_e32 v5, 0xc00, v0
	s_mov_b32 s6, exec_lo
	s_delay_alu instid0(VALU_DEP_1)
	v_cmpx_gt_i32_e64 s11, v5
	s_cbranch_execz .LBB238_61
; %bb.60:
	v_lshlrev_b16 v6, 8, v13
	v_lshlrev_b32_e32 v5, 25, v13
	s_delay_alu instid0(VALU_DEP_2) | instskip(SKIP_1) | instid1(VALU_DEP_2)
	v_and_or_b32 v13, 0x7f00, v6, 0.5
	v_bfe_i32 v6, v6, 0, 16
	v_add_f32_e32 v13, -0.5, v13
	s_delay_alu instid0(VALU_DEP_4) | instskip(SKIP_1) | instid1(VALU_DEP_2)
	v_lshrrev_b32_e32 v7, 4, v5
	v_cmp_gt_u32_e64 s1, 0x8000000, v5
	v_or_b32_e32 v7, 0x70000000, v7
	s_delay_alu instid0(VALU_DEP_1) | instskip(NEXT) | instid1(VALU_DEP_1)
	v_mul_f32_e32 v7, 0x7800000, v7
	v_cndmask_b32_e64 v5, v7, v13, s1
	v_and_b32_e32 v7, 0xffffff00, v3
	s_delay_alu instid0(VALU_DEP_2) | instskip(NEXT) | instid1(VALU_DEP_1)
	v_and_or_b32 v5, 0x80000000, v6, v5
	v_cmp_eq_f32_e64 s1, s3, v5
	s_delay_alu instid0(VALU_DEP_1) | instskip(SKIP_1) | instid1(VALU_DEP_1)
	v_cndmask_b32_e64 v6, 0, 1, s1
	v_cmp_neq_f32_e64 s1, s3, v5
	v_cndmask_b32_e64 v5, 0, 1, s1
	s_delay_alu instid0(VALU_DEP_1) | instskip(NEXT) | instid1(VALU_DEP_1)
	v_cndmask_b32_e64 v5, v5, v6, s0
	v_bitop3_b16 v5, v5, v7, 1 bitop3:0xec
	s_delay_alu instid0(VALU_DEP_1) | instskip(NEXT) | instid1(VALU_DEP_1)
	v_and_b32_e32 v5, 0xffff, v5
	v_and_or_b32 v3, 0xffff0000, v3, v5
.LBB238_61:
	s_or_b32 exec_lo, exec_lo, s6
	v_or_b32_e32 v5, 0xd00, v0
	s_mov_b32 s6, exec_lo
	s_delay_alu instid0(VALU_DEP_1)
	v_cmpx_gt_i32_e64 s11, v5
	s_cbranch_execz .LBB238_63
; %bb.62:
	v_lshlrev_b16 v6, 8, v12
	v_lshlrev_b32_e32 v5, 25, v12
	s_delay_alu instid0(VALU_DEP_2) | instskip(SKIP_1) | instid1(VALU_DEP_2)
	v_and_or_b32 v12, 0x7f00, v6, 0.5
	v_bfe_i32 v6, v6, 0, 16
	v_dual_add_f32 v12, -0.5, v12 :: v_dual_lshrrev_b32 v7, 4, v5
	v_cmp_gt_u32_e64 s1, 0x8000000, v5
	s_delay_alu instid0(VALU_DEP_2) | instskip(NEXT) | instid1(VALU_DEP_1)
	v_or_b32_e32 v7, 0x70000000, v7
	v_mul_f32_e32 v7, 0x7800000, v7
	s_delay_alu instid0(VALU_DEP_1) | instskip(NEXT) | instid1(VALU_DEP_1)
	v_cndmask_b32_e64 v5, v7, v12, s1
	v_and_or_b32 v5, 0x80000000, v6, v5
	s_delay_alu instid0(VALU_DEP_1) | instskip(NEXT) | instid1(VALU_DEP_1)
	v_cmp_eq_f32_e64 s1, s3, v5
	v_cndmask_b32_e64 v6, 0, 1, s1
	v_cmp_neq_f32_e64 s1, s3, v5
	s_delay_alu instid0(VALU_DEP_1) | instskip(NEXT) | instid1(VALU_DEP_1)
	v_cndmask_b32_e64 v5, 0, 1, s1
	v_cndmask_b32_e64 v5, v5, v6, s0
	s_delay_alu instid0(VALU_DEP_1) | instskip(NEXT) | instid1(VALU_DEP_1)
	v_and_b32_e32 v5, 1, v5
	v_lshlrev_b16 v5, 8, v5
	s_delay_alu instid0(VALU_DEP_1) | instskip(NEXT) | instid1(VALU_DEP_1)
	v_bitop3_b16 v5, v3, v5, 0xff bitop3:0xec
	v_and_b32_e32 v5, 0xffff, v5
	s_delay_alu instid0(VALU_DEP_1)
	v_and_or_b32 v3, 0xffff0000, v3, v5
.LBB238_63:
	s_or_b32 exec_lo, exec_lo, s6
	v_or_b32_e32 v5, 0xe00, v0
	s_mov_b32 s6, exec_lo
	s_delay_alu instid0(VALU_DEP_1)
	v_cmpx_gt_i32_e64 s11, v5
	s_cbranch_execz .LBB238_65
; %bb.64:
	v_lshlrev_b16 v6, 8, v11
	v_lshlrev_b32_e32 v5, 25, v11
	s_delay_alu instid0(VALU_DEP_2) | instskip(SKIP_1) | instid1(VALU_DEP_2)
	v_and_or_b32 v11, 0x7f00, v6, 0.5
	v_bfe_i32 v6, v6, 0, 16
	v_dual_add_f32 v11, -0.5, v11 :: v_dual_lshrrev_b32 v7, 4, v5
	v_cmp_gt_u32_e64 s1, 0x8000000, v5
	s_delay_alu instid0(VALU_DEP_2) | instskip(NEXT) | instid1(VALU_DEP_1)
	v_or_b32_e32 v7, 0x70000000, v7
	v_mul_f32_e32 v7, 0x7800000, v7
	s_delay_alu instid0(VALU_DEP_1) | instskip(NEXT) | instid1(VALU_DEP_1)
	v_cndmask_b32_e64 v5, v7, v11, s1
	v_and_or_b32 v5, 0x80000000, v6, v5
	v_lshrrev_b32_e32 v6, 16, v3
	s_delay_alu instid0(VALU_DEP_2) | instskip(NEXT) | instid1(VALU_DEP_2)
	v_cmp_eq_f32_e64 s1, s3, v5
	v_and_b32_e32 v6, 0xffffff00, v6
	s_delay_alu instid0(VALU_DEP_2) | instskip(SKIP_1) | instid1(VALU_DEP_1)
	v_cndmask_b32_e64 v7, 0, 1, s1
	v_cmp_neq_f32_e64 s1, s3, v5
	v_cndmask_b32_e64 v5, 0, 1, s1
	s_delay_alu instid0(VALU_DEP_1) | instskip(NEXT) | instid1(VALU_DEP_1)
	v_cndmask_b32_e64 v5, v5, v7, s0
	v_bitop3_b16 v5, v5, v6, 1 bitop3:0xec
	s_delay_alu instid0(VALU_DEP_1) | instskip(NEXT) | instid1(VALU_DEP_1)
	v_lshlrev_b32_e32 v5, 16, v5
	v_and_or_b32 v3, 0xffff, v3, v5
.LBB238_65:
	s_or_b32 exec_lo, exec_lo, s6
	v_or_b32_e32 v5, 0xf00, v0
	s_mov_b32 s6, exec_lo
	s_delay_alu instid0(VALU_DEP_1)
	v_cmpx_gt_i32_e64 s11, v5
	s_cbranch_execnz .LBB238_84
; %bb.66:
	s_or_b32 exec_lo, exec_lo, s6
	s_and_saveexec_b32 s0, vcc_lo
	s_delay_alu instid0(SALU_CYCLE_1)
	s_xor_b32 s0, exec_lo, s0
	s_cbranch_execnz .LBB238_85
.LBB238_67:
	s_or_b32 exec_lo, exec_lo, s0
	s_delay_alu instid0(SALU_CYCLE_1)
	s_mov_b32 s0, exec_lo
	v_cmpx_gt_i32_e64 s11, v0
	s_cbranch_execnz .LBB238_86
.LBB238_68:
	s_or_b32 exec_lo, exec_lo, s0
	s_delay_alu instid0(SALU_CYCLE_1)
	s_mov_b32 s0, exec_lo
	v_cmpx_gt_i32_e64 s11, v0
	s_cbranch_execnz .LBB238_87
.LBB238_69:
	s_or_b32 exec_lo, exec_lo, s0
	s_delay_alu instid0(SALU_CYCLE_1)
	s_mov_b32 s0, exec_lo
	v_cmpx_gt_i32_e64 s11, v0
	s_cbranch_execnz .LBB238_88
.LBB238_70:
	s_or_b32 exec_lo, exec_lo, s0
	s_delay_alu instid0(SALU_CYCLE_1)
	s_mov_b32 s0, exec_lo
	v_cmpx_gt_i32_e64 s11, v0
	s_cbranch_execnz .LBB238_89
.LBB238_71:
	s_or_b32 exec_lo, exec_lo, s0
	s_delay_alu instid0(SALU_CYCLE_1)
	s_mov_b32 s0, exec_lo
	v_cmpx_gt_i32_e64 s11, v0
	s_cbranch_execnz .LBB238_90
.LBB238_72:
	s_or_b32 exec_lo, exec_lo, s0
	s_delay_alu instid0(SALU_CYCLE_1)
	s_mov_b32 s0, exec_lo
	v_cmpx_gt_i32_e64 s11, v0
	s_cbranch_execnz .LBB238_91
.LBB238_73:
	s_or_b32 exec_lo, exec_lo, s0
	s_delay_alu instid0(SALU_CYCLE_1)
	s_mov_b32 s0, exec_lo
	v_cmpx_gt_i32_e64 s11, v0
	s_cbranch_execnz .LBB238_92
.LBB238_74:
	s_or_b32 exec_lo, exec_lo, s0
	s_delay_alu instid0(SALU_CYCLE_1)
	s_mov_b32 s0, exec_lo
	v_cmpx_gt_i32_e64 s11, v0
	s_cbranch_execnz .LBB238_93
.LBB238_75:
	s_or_b32 exec_lo, exec_lo, s0
	s_delay_alu instid0(SALU_CYCLE_1)
	s_mov_b32 s0, exec_lo
	v_cmpx_gt_i32_e64 s11, v0
	s_cbranch_execnz .LBB238_94
.LBB238_76:
	s_or_b32 exec_lo, exec_lo, s0
	s_delay_alu instid0(SALU_CYCLE_1)
	s_mov_b32 s0, exec_lo
	v_cmpx_gt_i32_e64 s11, v0
	s_cbranch_execnz .LBB238_95
.LBB238_77:
	s_or_b32 exec_lo, exec_lo, s0
	s_delay_alu instid0(SALU_CYCLE_1)
	s_mov_b32 s0, exec_lo
	v_cmpx_gt_i32_e64 s11, v0
	s_cbranch_execnz .LBB238_96
.LBB238_78:
	s_or_b32 exec_lo, exec_lo, s0
	s_delay_alu instid0(SALU_CYCLE_1)
	s_mov_b32 s0, exec_lo
	v_cmpx_gt_i32_e64 s11, v0
	s_cbranch_execnz .LBB238_97
.LBB238_79:
	s_or_b32 exec_lo, exec_lo, s0
	s_delay_alu instid0(SALU_CYCLE_1)
	s_mov_b32 s0, exec_lo
	v_cmpx_gt_i32_e64 s11, v0
	s_cbranch_execnz .LBB238_98
.LBB238_80:
	s_or_b32 exec_lo, exec_lo, s0
	s_delay_alu instid0(SALU_CYCLE_1)
	s_mov_b32 s0, exec_lo
	v_cmpx_gt_i32_e64 s11, v0
	s_cbranch_execnz .LBB238_99
.LBB238_81:
	s_or_b32 exec_lo, exec_lo, s0
	s_delay_alu instid0(SALU_CYCLE_1)
	s_mov_b32 s0, exec_lo
	v_cmpx_gt_i32_e64 s11, v0
	s_cbranch_execz .LBB238_83
.LBB238_82:
	v_dual_lshrrev_b32 v1, 24, v3 :: v_dual_add_nc_u32 v0, s2, v0
	global_store_b8 v0, v1, s[4:5]
.LBB238_83:
	s_sendmsg sendmsg(MSG_DEALLOC_VGPRS)
	s_endpgm
.LBB238_84:
	v_lshlrev_b16 v6, 8, v10
	v_lshlrev_b32_e32 v5, 25, v10
	s_delay_alu instid0(VALU_DEP_2) | instskip(SKIP_1) | instid1(VALU_DEP_2)
	v_and_or_b32 v10, 0x7f00, v6, 0.5
	v_bfe_i32 v6, v6, 0, 16
	v_dual_add_f32 v10, -0.5, v10 :: v_dual_lshrrev_b32 v7, 4, v5
	v_cmp_gt_u32_e64 s1, 0x8000000, v5
	s_delay_alu instid0(VALU_DEP_2) | instskip(NEXT) | instid1(VALU_DEP_1)
	v_or_b32_e32 v7, 0x70000000, v7
	v_mul_f32_e32 v7, 0x7800000, v7
	s_delay_alu instid0(VALU_DEP_1) | instskip(NEXT) | instid1(VALU_DEP_1)
	v_cndmask_b32_e64 v5, v7, v10, s1
	v_and_or_b32 v5, 0x80000000, v6, v5
	s_delay_alu instid0(VALU_DEP_1) | instskip(NEXT) | instid1(VALU_DEP_1)
	v_cmp_eq_f32_e64 s1, s3, v5
	v_cndmask_b32_e64 v6, 0, 1, s1
	v_cmp_neq_f32_e64 s1, s3, v5
	s_delay_alu instid0(VALU_DEP_1) | instskip(NEXT) | instid1(VALU_DEP_1)
	v_cndmask_b32_e64 v5, 0, 1, s1
	v_dual_cndmask_b32 v5, v5, v6, s0 :: v_dual_lshrrev_b32 v6, 16, v3
	s_delay_alu instid0(VALU_DEP_1) | instskip(NEXT) | instid1(VALU_DEP_1)
	v_and_b32_e32 v5, 1, v5
	v_lshlrev_b16 v5, 8, v5
	s_delay_alu instid0(VALU_DEP_1) | instskip(NEXT) | instid1(VALU_DEP_1)
	v_bitop3_b16 v5, v6, v5, 0xff bitop3:0xec
	v_lshlrev_b32_e32 v5, 16, v5
	s_delay_alu instid0(VALU_DEP_1) | instskip(SKIP_2) | instid1(SALU_CYCLE_1)
	v_and_or_b32 v3, 0xffff, v3, v5
	s_or_b32 exec_lo, exec_lo, s6
	s_and_saveexec_b32 s0, vcc_lo
	s_xor_b32 s0, exec_lo, s0
	s_cbranch_execz .LBB238_67
.LBB238_85:
	v_mov_b32_e32 v0, v9
	global_store_b8 v8, v2, s[4:5]
	s_wait_xcnt 0x0
	s_or_b32 exec_lo, exec_lo, s0
	s_delay_alu instid0(SALU_CYCLE_1)
	s_mov_b32 s0, exec_lo
	v_cmpx_gt_i32_e64 s11, v0
	s_cbranch_execz .LBB238_68
.LBB238_86:
	v_dual_lshrrev_b32 v5, 8, v2 :: v_dual_add_nc_u32 v6, s2, v0
	v_add_nc_u32_e32 v0, 0x100, v0
	global_store_b8 v6, v5, s[4:5]
	s_wait_xcnt 0x0
	s_or_b32 exec_lo, exec_lo, s0
	s_delay_alu instid0(SALU_CYCLE_1)
	s_mov_b32 s0, exec_lo
	v_cmpx_gt_i32_e64 s11, v0
	s_cbranch_execz .LBB238_69
.LBB238_87:
	v_add_nc_u32_e32 v5, s2, v0
	v_add_nc_u32_e32 v0, 0x100, v0
	global_store_d16_hi_b8 v5, v2, s[4:5]
	s_wait_xcnt 0x0
	s_or_b32 exec_lo, exec_lo, s0
	s_delay_alu instid0(SALU_CYCLE_1)
	s_mov_b32 s0, exec_lo
	v_cmpx_gt_i32_e64 s11, v0
	s_cbranch_execz .LBB238_70
.LBB238_88:
	v_dual_lshrrev_b32 v2, 24, v2 :: v_dual_add_nc_u32 v5, s2, v0
	v_add_nc_u32_e32 v0, 0x100, v0
	global_store_b8 v5, v2, s[4:5]
	s_wait_xcnt 0x0
	s_or_b32 exec_lo, exec_lo, s0
	s_delay_alu instid0(SALU_CYCLE_1)
	s_mov_b32 s0, exec_lo
	v_cmpx_gt_i32_e64 s11, v0
	s_cbranch_execz .LBB238_71
.LBB238_89:
	v_add_nc_u32_e32 v2, s2, v0
	v_add_nc_u32_e32 v0, 0x100, v0
	global_store_b8 v2, v1, s[4:5]
	s_wait_xcnt 0x0
	s_or_b32 exec_lo, exec_lo, s0
	s_delay_alu instid0(SALU_CYCLE_1)
	s_mov_b32 s0, exec_lo
	v_cmpx_gt_i32_e64 s11, v0
	s_cbranch_execz .LBB238_72
.LBB238_90:
	v_dual_lshrrev_b32 v2, 8, v1 :: v_dual_add_nc_u32 v5, s2, v0
	v_add_nc_u32_e32 v0, 0x100, v0
	global_store_b8 v5, v2, s[4:5]
	s_wait_xcnt 0x0
	s_or_b32 exec_lo, exec_lo, s0
	s_delay_alu instid0(SALU_CYCLE_1)
	s_mov_b32 s0, exec_lo
	v_cmpx_gt_i32_e64 s11, v0
	s_cbranch_execz .LBB238_73
.LBB238_91:
	v_add_nc_u32_e32 v2, s2, v0
	v_add_nc_u32_e32 v0, 0x100, v0
	global_store_d16_hi_b8 v2, v1, s[4:5]
	s_wait_xcnt 0x0
	s_or_b32 exec_lo, exec_lo, s0
	s_delay_alu instid0(SALU_CYCLE_1)
	s_mov_b32 s0, exec_lo
	v_cmpx_gt_i32_e64 s11, v0
	s_cbranch_execz .LBB238_74
.LBB238_92:
	v_dual_lshrrev_b32 v1, 24, v1 :: v_dual_add_nc_u32 v2, s2, v0
	v_add_nc_u32_e32 v0, 0x100, v0
	global_store_b8 v2, v1, s[4:5]
	s_wait_xcnt 0x0
	s_or_b32 exec_lo, exec_lo, s0
	s_delay_alu instid0(SALU_CYCLE_1)
	s_mov_b32 s0, exec_lo
	v_cmpx_gt_i32_e64 s11, v0
	s_cbranch_execz .LBB238_75
.LBB238_93:
	v_add_nc_u32_e32 v1, s2, v0
	v_add_nc_u32_e32 v0, 0x100, v0
	global_store_b8 v1, v4, s[4:5]
	s_wait_xcnt 0x0
	s_or_b32 exec_lo, exec_lo, s0
	s_delay_alu instid0(SALU_CYCLE_1)
	s_mov_b32 s0, exec_lo
	v_cmpx_gt_i32_e64 s11, v0
	s_cbranch_execz .LBB238_76
.LBB238_94:
	v_lshrrev_b32_e32 v1, 8, v4
	v_add_nc_u32_e32 v2, s2, v0
	v_add_nc_u32_e32 v0, 0x100, v0
	global_store_b8 v2, v1, s[4:5]
	s_wait_xcnt 0x0
	s_or_b32 exec_lo, exec_lo, s0
	s_delay_alu instid0(SALU_CYCLE_1)
	s_mov_b32 s0, exec_lo
	v_cmpx_gt_i32_e64 s11, v0
	s_cbranch_execz .LBB238_77
.LBB238_95:
	v_add_nc_u32_e32 v1, s2, v0
	v_add_nc_u32_e32 v0, 0x100, v0
	global_store_d16_hi_b8 v1, v4, s[4:5]
	s_wait_xcnt 0x0
	s_or_b32 exec_lo, exec_lo, s0
	s_delay_alu instid0(SALU_CYCLE_1)
	s_mov_b32 s0, exec_lo
	v_cmpx_gt_i32_e64 s11, v0
	s_cbranch_execz .LBB238_78
.LBB238_96:
	v_lshrrev_b32_e32 v1, 24, v4
	v_add_nc_u32_e32 v2, s2, v0
	v_add_nc_u32_e32 v0, 0x100, v0
	global_store_b8 v2, v1, s[4:5]
	s_wait_xcnt 0x0
	s_or_b32 exec_lo, exec_lo, s0
	s_delay_alu instid0(SALU_CYCLE_1)
	s_mov_b32 s0, exec_lo
	v_cmpx_gt_i32_e64 s11, v0
	s_cbranch_execz .LBB238_79
.LBB238_97:
	v_add_nc_u32_e32 v1, s2, v0
	v_add_nc_u32_e32 v0, 0x100, v0
	global_store_b8 v1, v3, s[4:5]
	s_wait_xcnt 0x0
	s_or_b32 exec_lo, exec_lo, s0
	s_delay_alu instid0(SALU_CYCLE_1)
	s_mov_b32 s0, exec_lo
	v_cmpx_gt_i32_e64 s11, v0
	s_cbranch_execz .LBB238_80
.LBB238_98:
	v_dual_lshrrev_b32 v1, 8, v3 :: v_dual_add_nc_u32 v2, s2, v0
	v_add_nc_u32_e32 v0, 0x100, v0
	global_store_b8 v2, v1, s[4:5]
	s_wait_xcnt 0x0
	s_or_b32 exec_lo, exec_lo, s0
	s_delay_alu instid0(SALU_CYCLE_1)
	s_mov_b32 s0, exec_lo
	v_cmpx_gt_i32_e64 s11, v0
	s_cbranch_execz .LBB238_81
.LBB238_99:
	v_add_nc_u32_e32 v1, s2, v0
	v_add_nc_u32_e32 v0, 0x100, v0
	global_store_d16_hi_b8 v1, v3, s[4:5]
	s_wait_xcnt 0x0
	s_or_b32 exec_lo, exec_lo, s0
	s_delay_alu instid0(SALU_CYCLE_1)
	s_mov_b32 s0, exec_lo
	v_cmpx_gt_i32_e64 s11, v0
	s_cbranch_execnz .LBB238_82
	s_branch .LBB238_83
	.section	.rodata,"a",@progbits
	.p2align	6, 0x0
	.amdhsa_kernel _ZN2at6native29vectorized_elementwise_kernelILi2ENS0_13AUnaryFunctorIN3c1011Float8_e5m2ES4_bNS0_12_GLOBAL__N_116CompareEqFunctorIS4_EEEESt5arrayIPcLm2EEEEviT0_T1_
		.amdhsa_group_segment_fixed_size 0
		.amdhsa_private_segment_fixed_size 0
		.amdhsa_kernarg_size 32
		.amdhsa_user_sgpr_count 2
		.amdhsa_user_sgpr_dispatch_ptr 0
		.amdhsa_user_sgpr_queue_ptr 0
		.amdhsa_user_sgpr_kernarg_segment_ptr 1
		.amdhsa_user_sgpr_dispatch_id 0
		.amdhsa_user_sgpr_kernarg_preload_length 0
		.amdhsa_user_sgpr_kernarg_preload_offset 0
		.amdhsa_user_sgpr_private_segment_size 0
		.amdhsa_wavefront_size32 1
		.amdhsa_uses_dynamic_stack 0
		.amdhsa_enable_private_segment 0
		.amdhsa_system_sgpr_workgroup_id_x 1
		.amdhsa_system_sgpr_workgroup_id_y 0
		.amdhsa_system_sgpr_workgroup_id_z 0
		.amdhsa_system_sgpr_workgroup_info 0
		.amdhsa_system_vgpr_workitem_id 0
		.amdhsa_next_free_vgpr 65
		.amdhsa_next_free_sgpr 23
		.amdhsa_named_barrier_count 0
		.amdhsa_reserve_vcc 1
		.amdhsa_float_round_mode_32 0
		.amdhsa_float_round_mode_16_64 0
		.amdhsa_float_denorm_mode_32 3
		.amdhsa_float_denorm_mode_16_64 3
		.amdhsa_fp16_overflow 0
		.amdhsa_memory_ordered 1
		.amdhsa_forward_progress 1
		.amdhsa_inst_pref_size 72
		.amdhsa_round_robin_scheduling 0
		.amdhsa_exception_fp_ieee_invalid_op 0
		.amdhsa_exception_fp_denorm_src 0
		.amdhsa_exception_fp_ieee_div_zero 0
		.amdhsa_exception_fp_ieee_overflow 0
		.amdhsa_exception_fp_ieee_underflow 0
		.amdhsa_exception_fp_ieee_inexact 0
		.amdhsa_exception_int_div_zero 0
	.end_amdhsa_kernel
	.section	.text._ZN2at6native29vectorized_elementwise_kernelILi2ENS0_13AUnaryFunctorIN3c1011Float8_e5m2ES4_bNS0_12_GLOBAL__N_116CompareEqFunctorIS4_EEEESt5arrayIPcLm2EEEEviT0_T1_,"axG",@progbits,_ZN2at6native29vectorized_elementwise_kernelILi2ENS0_13AUnaryFunctorIN3c1011Float8_e5m2ES4_bNS0_12_GLOBAL__N_116CompareEqFunctorIS4_EEEESt5arrayIPcLm2EEEEviT0_T1_,comdat
.Lfunc_end238:
	.size	_ZN2at6native29vectorized_elementwise_kernelILi2ENS0_13AUnaryFunctorIN3c1011Float8_e5m2ES4_bNS0_12_GLOBAL__N_116CompareEqFunctorIS4_EEEESt5arrayIPcLm2EEEEviT0_T1_, .Lfunc_end238-_ZN2at6native29vectorized_elementwise_kernelILi2ENS0_13AUnaryFunctorIN3c1011Float8_e5m2ES4_bNS0_12_GLOBAL__N_116CompareEqFunctorIS4_EEEESt5arrayIPcLm2EEEEviT0_T1_
                                        ; -- End function
	.set _ZN2at6native29vectorized_elementwise_kernelILi2ENS0_13AUnaryFunctorIN3c1011Float8_e5m2ES4_bNS0_12_GLOBAL__N_116CompareEqFunctorIS4_EEEESt5arrayIPcLm2EEEEviT0_T1_.num_vgpr, 65
	.set _ZN2at6native29vectorized_elementwise_kernelILi2ENS0_13AUnaryFunctorIN3c1011Float8_e5m2ES4_bNS0_12_GLOBAL__N_116CompareEqFunctorIS4_EEEESt5arrayIPcLm2EEEEviT0_T1_.num_agpr, 0
	.set _ZN2at6native29vectorized_elementwise_kernelILi2ENS0_13AUnaryFunctorIN3c1011Float8_e5m2ES4_bNS0_12_GLOBAL__N_116CompareEqFunctorIS4_EEEESt5arrayIPcLm2EEEEviT0_T1_.numbered_sgpr, 23
	.set _ZN2at6native29vectorized_elementwise_kernelILi2ENS0_13AUnaryFunctorIN3c1011Float8_e5m2ES4_bNS0_12_GLOBAL__N_116CompareEqFunctorIS4_EEEESt5arrayIPcLm2EEEEviT0_T1_.num_named_barrier, 0
	.set _ZN2at6native29vectorized_elementwise_kernelILi2ENS0_13AUnaryFunctorIN3c1011Float8_e5m2ES4_bNS0_12_GLOBAL__N_116CompareEqFunctorIS4_EEEESt5arrayIPcLm2EEEEviT0_T1_.private_seg_size, 0
	.set _ZN2at6native29vectorized_elementwise_kernelILi2ENS0_13AUnaryFunctorIN3c1011Float8_e5m2ES4_bNS0_12_GLOBAL__N_116CompareEqFunctorIS4_EEEESt5arrayIPcLm2EEEEviT0_T1_.uses_vcc, 1
	.set _ZN2at6native29vectorized_elementwise_kernelILi2ENS0_13AUnaryFunctorIN3c1011Float8_e5m2ES4_bNS0_12_GLOBAL__N_116CompareEqFunctorIS4_EEEESt5arrayIPcLm2EEEEviT0_T1_.uses_flat_scratch, 0
	.set _ZN2at6native29vectorized_elementwise_kernelILi2ENS0_13AUnaryFunctorIN3c1011Float8_e5m2ES4_bNS0_12_GLOBAL__N_116CompareEqFunctorIS4_EEEESt5arrayIPcLm2EEEEviT0_T1_.has_dyn_sized_stack, 0
	.set _ZN2at6native29vectorized_elementwise_kernelILi2ENS0_13AUnaryFunctorIN3c1011Float8_e5m2ES4_bNS0_12_GLOBAL__N_116CompareEqFunctorIS4_EEEESt5arrayIPcLm2EEEEviT0_T1_.has_recursion, 0
	.set _ZN2at6native29vectorized_elementwise_kernelILi2ENS0_13AUnaryFunctorIN3c1011Float8_e5m2ES4_bNS0_12_GLOBAL__N_116CompareEqFunctorIS4_EEEESt5arrayIPcLm2EEEEviT0_T1_.has_indirect_call, 0
	.section	.AMDGPU.csdata,"",@progbits
; Kernel info:
; codeLenInByte = 9112
; TotalNumSgprs: 25
; NumVgprs: 65
; ScratchSize: 0
; MemoryBound: 0
; FloatMode: 240
; IeeeMode: 1
; LDSByteSize: 0 bytes/workgroup (compile time only)
; SGPRBlocks: 0
; VGPRBlocks: 4
; NumSGPRsForWavesPerEU: 25
; NumVGPRsForWavesPerEU: 65
; NamedBarCnt: 0
; Occupancy: 12
; WaveLimiterHint : 1
; COMPUTE_PGM_RSRC2:SCRATCH_EN: 0
; COMPUTE_PGM_RSRC2:USER_SGPR: 2
; COMPUTE_PGM_RSRC2:TRAP_HANDLER: 0
; COMPUTE_PGM_RSRC2:TGID_X_EN: 1
; COMPUTE_PGM_RSRC2:TGID_Y_EN: 0
; COMPUTE_PGM_RSRC2:TGID_Z_EN: 0
; COMPUTE_PGM_RSRC2:TIDIG_COMP_CNT: 0
	.section	.text._ZN2at6native27unrolled_elementwise_kernelINS0_13AUnaryFunctorIN3c1011Float8_e5m2ES4_bNS0_12_GLOBAL__N_116CompareEqFunctorIS4_EEEESt5arrayIPcLm2EELi4E23TrivialOffsetCalculatorILi1EjESD_NS0_6memory15LoadWithoutCastENSE_16StoreWithoutCastEEEviT_T0_T2_T3_T4_T5_,"axG",@progbits,_ZN2at6native27unrolled_elementwise_kernelINS0_13AUnaryFunctorIN3c1011Float8_e5m2ES4_bNS0_12_GLOBAL__N_116CompareEqFunctorIS4_EEEESt5arrayIPcLm2EELi4E23TrivialOffsetCalculatorILi1EjESD_NS0_6memory15LoadWithoutCastENSE_16StoreWithoutCastEEEviT_T0_T2_T3_T4_T5_,comdat
	.globl	_ZN2at6native27unrolled_elementwise_kernelINS0_13AUnaryFunctorIN3c1011Float8_e5m2ES4_bNS0_12_GLOBAL__N_116CompareEqFunctorIS4_EEEESt5arrayIPcLm2EELi4E23TrivialOffsetCalculatorILi1EjESD_NS0_6memory15LoadWithoutCastENSE_16StoreWithoutCastEEEviT_T0_T2_T3_T4_T5_ ; -- Begin function _ZN2at6native27unrolled_elementwise_kernelINS0_13AUnaryFunctorIN3c1011Float8_e5m2ES4_bNS0_12_GLOBAL__N_116CompareEqFunctorIS4_EEEESt5arrayIPcLm2EELi4E23TrivialOffsetCalculatorILi1EjESD_NS0_6memory15LoadWithoutCastENSE_16StoreWithoutCastEEEviT_T0_T2_T3_T4_T5_
	.p2align	8
	.type	_ZN2at6native27unrolled_elementwise_kernelINS0_13AUnaryFunctorIN3c1011Float8_e5m2ES4_bNS0_12_GLOBAL__N_116CompareEqFunctorIS4_EEEESt5arrayIPcLm2EELi4E23TrivialOffsetCalculatorILi1EjESD_NS0_6memory15LoadWithoutCastENSE_16StoreWithoutCastEEEviT_T0_T2_T3_T4_T5_,@function
_ZN2at6native27unrolled_elementwise_kernelINS0_13AUnaryFunctorIN3c1011Float8_e5m2ES4_bNS0_12_GLOBAL__N_116CompareEqFunctorIS4_EEEESt5arrayIPcLm2EELi4E23TrivialOffsetCalculatorILi1EjESD_NS0_6memory15LoadWithoutCastENSE_16StoreWithoutCastEEEviT_T0_T2_T3_T4_T5_: ; @_ZN2at6native27unrolled_elementwise_kernelINS0_13AUnaryFunctorIN3c1011Float8_e5m2ES4_bNS0_12_GLOBAL__N_116CompareEqFunctorIS4_EEEESt5arrayIPcLm2EELi4E23TrivialOffsetCalculatorILi1EjESD_NS0_6memory15LoadWithoutCastENSE_16StoreWithoutCastEEEviT_T0_T2_T3_T4_T5_
; %bb.0:
	s_clause 0x1
	s_load_b96 s[8:10], s[0:1], 0x0
	s_load_b128 s[4:7], s[0:1], 0x10
	s_bfe_u32 s3, ttmp6, 0x4000c
	s_and_b32 s2, ttmp6, 15
	s_add_co_i32 s3, s3, 1
	s_getreg_b32 s11, hwreg(HW_REG_IB_STS2, 6, 4)
	s_wait_xcnt 0x0
	s_mul_i32 s0, ttmp9, s3
	v_dual_mov_b32 v1, 0 :: v_dual_mov_b32 v4, 0
	s_add_co_i32 s2, s2, s0
	s_cmp_eq_u32 s11, 0
	v_dual_mov_b32 v5, 0 :: v_dual_mov_b32 v6, 0
	s_cselect_b32 s0, ttmp9, s2
	v_or_b32_e32 v2, 0x100, v0
	s_lshl_b32 s2, s0, 10
	s_delay_alu instid0(SALU_CYCLE_1) | instskip(SKIP_2) | instid1(SALU_CYCLE_1)
	v_dual_mov_b32 v7, 0 :: v_dual_bitop2_b32 v3, s2, v0 bitop3:0x54
	s_wait_kmcnt 0x0
	s_sub_co_i32 s3, s8, s2
	v_cmp_gt_i32_e32 vcc_lo, s3, v0
	s_and_saveexec_b32 s1, vcc_lo
	s_cbranch_execz .LBB239_8
; %bb.1:
	global_load_u8 v7, v3, s[6:7]
	v_or_b32_e32 v8, 0x100, v0
	v_dual_mov_b32 v6, 0 :: v_dual_mov_b32 v5, 0
	v_mov_b32_e32 v4, 0
	s_mov_b32 s8, exec_lo
	s_wait_xcnt 0x0
	v_cmpx_gt_u32_e64 s3, v8
	s_cbranch_execz .LBB239_7
; %bb.2:
	v_dual_mov_b32 v5, 0 :: v_dual_add_nc_u32 v4, s2, v8
	v_or_b32_e32 v8, 0x200, v0
	s_mov_b32 s11, exec_lo
	global_load_u8 v6, v4, s[6:7]
	s_wait_xcnt 0x0
	v_mov_b32_e32 v4, 0
	v_cmpx_gt_u32_e64 s3, v8
	s_cbranch_execz .LBB239_6
; %bb.3:
	v_add_nc_u32_e32 v4, s2, v8
	v_or_b32_e32 v8, 0x300, v0
	s_mov_b32 s12, exec_lo
	global_load_u8 v5, v4, s[6:7]
	s_wait_xcnt 0x0
	v_mov_b32_e32 v4, 0
	v_cmpx_gt_u32_e64 s3, v8
	s_cbranch_execz .LBB239_5
; %bb.4:
	v_add_nc_u32_e32 v4, s2, v8
	global_load_u8 v4, v4, s[6:7]
.LBB239_5:
	s_wait_xcnt 0x0
	s_or_b32 exec_lo, exec_lo, s12
.LBB239_6:
	s_delay_alu instid0(SALU_CYCLE_1)
	s_or_b32 exec_lo, exec_lo, s11
.LBB239_7:
	s_delay_alu instid0(SALU_CYCLE_1)
	s_or_b32 exec_lo, exec_lo, s8
.LBB239_8:
	s_delay_alu instid0(SALU_CYCLE_1)
	s_or_b32 exec_lo, exec_lo, s1
	s_cmp_eq_u32 s9, 0
	s_cselect_b32 s0, -1, 0
	s_lshl_b32 s1, s10, 8
	s_lshl_b32 s6, s10, 25
	s_and_b32 s1, s1, 0x7f00
	s_lshr_b32 s7, s6, 4
	s_or_b32 s1, s1, 0.5
	s_or_b32 s7, s7, 0x70000000
	s_add_f32 s1, s1, -0.5
	s_mul_f32 s7, s7, 0x7800000
	s_cmp_lt_u32 s6, 0x8000000
	s_delay_alu instid0(SALU_CYCLE_2) | instskip(SKIP_1) | instid1(SALU_CYCLE_1)
	s_cselect_b32 s1, s1, s7
	s_lshl_b32 s6, s10, 24
	s_and_b32 s6, s6, 0x80000000
	s_delay_alu instid0(SALU_CYCLE_1)
	s_or_b32 s6, s6, s1
	s_and_saveexec_b32 s7, vcc_lo
	s_cbranch_execz .LBB239_10
; %bb.9:
	s_wait_loadcnt 0x0
	v_lshlrev_b32_e32 v1, 25, v7
	v_lshlrev_b16 v7, 8, v7
	s_delay_alu instid0(VALU_DEP_1) | instskip(SKIP_1) | instid1(VALU_DEP_2)
	v_and_or_b32 v9, 0x7f00, v7, 0.5
	v_bfe_i32 v7, v7, 0, 16
	v_add_f32_e32 v9, -0.5, v9
	v_lshrrev_b32_e32 v8, 4, v1
	v_cmp_gt_u32_e64 s1, 0x8000000, v1
	s_delay_alu instid0(VALU_DEP_2) | instskip(NEXT) | instid1(VALU_DEP_1)
	v_or_b32_e32 v8, 0x70000000, v8
	v_mul_f32_e32 v8, 0x7800000, v8
	s_delay_alu instid0(VALU_DEP_1) | instskip(NEXT) | instid1(VALU_DEP_1)
	v_cndmask_b32_e64 v1, v8, v9, s1
	v_and_or_b32 v1, 0x80000000, v7, v1
	s_delay_alu instid0(VALU_DEP_1) | instskip(NEXT) | instid1(VALU_DEP_1)
	v_cmp_eq_f32_e64 s1, s6, v1
	v_cndmask_b32_e64 v7, 0, 1, s1
	v_cmp_neq_f32_e64 s1, s6, v1
	s_delay_alu instid0(VALU_DEP_1) | instskip(NEXT) | instid1(VALU_DEP_1)
	v_cndmask_b32_e64 v1, 0, 1, s1
	v_cndmask_b32_e64 v1, v1, v7, s0
	s_delay_alu instid0(VALU_DEP_1)
	v_and_b32_e32 v1, 1, v1
.LBB239_10:
	s_or_b32 exec_lo, exec_lo, s7
	s_delay_alu instid0(SALU_CYCLE_1)
	s_mov_b32 s7, exec_lo
	v_cmpx_gt_i32_e64 s3, v2
	s_cbranch_execz .LBB239_12
; %bb.11:
	s_wait_loadcnt 0x0
	v_lshlrev_b32_e32 v7, 25, v6
	v_lshlrev_b16 v6, 8, v6
	s_delay_alu instid0(VALU_DEP_1) | instskip(SKIP_1) | instid1(VALU_DEP_2)
	v_and_or_b32 v9, 0x7f00, v6, 0.5
	v_bfe_i32 v6, v6, 0, 16
	v_dual_add_f32 v9, -0.5, v9 :: v_dual_lshrrev_b32 v8, 4, v7
	v_cmp_gt_u32_e64 s1, 0x8000000, v7
	s_delay_alu instid0(VALU_DEP_2) | instskip(NEXT) | instid1(VALU_DEP_1)
	v_or_b32_e32 v8, 0x70000000, v8
	v_mul_f32_e32 v8, 0x7800000, v8
	s_delay_alu instid0(VALU_DEP_1) | instskip(NEXT) | instid1(VALU_DEP_1)
	v_cndmask_b32_e64 v7, v8, v9, s1
	v_and_or_b32 v6, 0x80000000, v6, v7
	s_delay_alu instid0(VALU_DEP_1) | instskip(NEXT) | instid1(VALU_DEP_1)
	v_cmp_eq_f32_e64 s1, s6, v6
	v_cndmask_b32_e64 v7, 0, 1, s1
	v_cmp_neq_f32_e64 s1, s6, v6
	s_delay_alu instid0(VALU_DEP_1) | instskip(NEXT) | instid1(VALU_DEP_1)
	v_cndmask_b32_e64 v6, 0, 1, s1
	v_cndmask_b32_e64 v6, v6, v7, s0
	s_delay_alu instid0(VALU_DEP_1) | instskip(NEXT) | instid1(VALU_DEP_1)
	v_and_b32_e32 v6, 1, v6
	v_lshlrev_b16 v6, 8, v6
	s_delay_alu instid0(VALU_DEP_1) | instskip(NEXT) | instid1(VALU_DEP_1)
	v_or_b32_e32 v1, v1, v6
	v_and_b32_e32 v1, 0xffff, v1
.LBB239_12:
	s_or_b32 exec_lo, exec_lo, s7
	s_wait_loadcnt 0x0
	v_or_b32_e32 v6, 0x200, v0
	s_mov_b32 s7, exec_lo
	s_delay_alu instid0(VALU_DEP_1)
	v_cmpx_gt_i32_e64 s3, v6
	s_cbranch_execz .LBB239_14
; %bb.13:
	v_lshlrev_b32_e32 v6, 25, v5
	v_lshlrev_b16 v5, 8, v5
	s_delay_alu instid0(VALU_DEP_1) | instskip(SKIP_1) | instid1(VALU_DEP_2)
	v_and_or_b32 v8, 0x7f00, v5, 0.5
	v_bfe_i32 v5, v5, 0, 16
	v_dual_add_f32 v8, -0.5, v8 :: v_dual_lshrrev_b32 v7, 4, v6
	v_cmp_gt_u32_e64 s1, 0x8000000, v6
	s_delay_alu instid0(VALU_DEP_2) | instskip(NEXT) | instid1(VALU_DEP_1)
	v_or_b32_e32 v7, 0x70000000, v7
	v_mul_f32_e32 v7, 0x7800000, v7
	s_delay_alu instid0(VALU_DEP_1) | instskip(NEXT) | instid1(VALU_DEP_1)
	v_cndmask_b32_e64 v6, v7, v8, s1
	v_and_or_b32 v5, 0x80000000, v5, v6
	s_delay_alu instid0(VALU_DEP_1) | instskip(NEXT) | instid1(VALU_DEP_1)
	v_cmp_eq_f32_e64 s1, s6, v5
	v_cndmask_b32_e64 v6, 0, 1, s1
	v_cmp_neq_f32_e64 s1, s6, v5
	s_delay_alu instid0(VALU_DEP_1) | instskip(NEXT) | instid1(VALU_DEP_1)
	v_cndmask_b32_e64 v5, 0, 1, s1
	v_cndmask_b32_e64 v5, v5, v6, s0
	s_delay_alu instid0(VALU_DEP_1) | instskip(NEXT) | instid1(VALU_DEP_1)
	v_and_b32_e32 v5, 1, v5
	v_lshl_or_b32 v1, v5, 16, v1
.LBB239_14:
	s_or_b32 exec_lo, exec_lo, s7
	v_or_b32_e32 v5, 0x300, v0
	s_mov_b32 s7, exec_lo
	s_delay_alu instid0(VALU_DEP_1)
	v_cmpx_gt_i32_e64 s3, v5
	s_cbranch_execnz .LBB239_20
; %bb.15:
	s_or_b32 exec_lo, exec_lo, s7
	s_and_saveexec_b32 s0, vcc_lo
	s_delay_alu instid0(SALU_CYCLE_1)
	s_xor_b32 s0, exec_lo, s0
	s_cbranch_execnz .LBB239_21
.LBB239_16:
	s_or_b32 exec_lo, exec_lo, s0
	s_delay_alu instid0(SALU_CYCLE_1)
	s_mov_b32 s0, exec_lo
	v_cmpx_gt_i32_e64 s3, v0
	s_cbranch_execnz .LBB239_22
.LBB239_17:
	s_or_b32 exec_lo, exec_lo, s0
	s_delay_alu instid0(SALU_CYCLE_1)
	s_mov_b32 s0, exec_lo
	v_cmpx_gt_i32_e64 s3, v0
	s_cbranch_execnz .LBB239_23
.LBB239_18:
	s_or_b32 exec_lo, exec_lo, s0
	s_delay_alu instid0(SALU_CYCLE_1)
	s_mov_b32 s0, exec_lo
	v_cmpx_gt_i32_e64 s3, v0
	s_cbranch_execnz .LBB239_24
.LBB239_19:
	s_endpgm
.LBB239_20:
	v_lshlrev_b32_e32 v5, 25, v4
	v_lshlrev_b16 v4, 8, v4
	s_delay_alu instid0(VALU_DEP_1) | instskip(SKIP_1) | instid1(VALU_DEP_2)
	v_and_or_b32 v7, 0x7f00, v4, 0.5
	v_bfe_i32 v4, v4, 0, 16
	v_dual_add_f32 v7, -0.5, v7 :: v_dual_lshrrev_b32 v6, 4, v5
	v_cmp_gt_u32_e64 s1, 0x8000000, v5
	s_delay_alu instid0(VALU_DEP_2) | instskip(NEXT) | instid1(VALU_DEP_1)
	v_or_b32_e32 v6, 0x70000000, v6
	v_mul_f32_e32 v6, 0x7800000, v6
	s_delay_alu instid0(VALU_DEP_1) | instskip(NEXT) | instid1(VALU_DEP_1)
	v_cndmask_b32_e64 v5, v6, v7, s1
	v_and_or_b32 v4, 0x80000000, v4, v5
	s_delay_alu instid0(VALU_DEP_1) | instskip(NEXT) | instid1(VALU_DEP_1)
	v_cmp_eq_f32_e64 s1, s6, v4
	v_cndmask_b32_e64 v5, 0, 1, s1
	v_cmp_neq_f32_e64 s1, s6, v4
	s_delay_alu instid0(VALU_DEP_1) | instskip(NEXT) | instid1(VALU_DEP_1)
	v_cndmask_b32_e64 v4, 0, 1, s1
	v_cndmask_b32_e64 v4, v4, v5, s0
	s_delay_alu instid0(VALU_DEP_1) | instskip(NEXT) | instid1(VALU_DEP_1)
	v_dual_lshrrev_b32 v5, 16, v1 :: v_dual_bitop2_b32 v4, 1, v4 bitop3:0x40
	v_lshlrev_b16 v4, 8, v4
	s_delay_alu instid0(VALU_DEP_1) | instskip(NEXT) | instid1(VALU_DEP_1)
	v_or_b32_e32 v4, v5, v4
	v_lshlrev_b32_e32 v4, 16, v4
	s_delay_alu instid0(VALU_DEP_1) | instskip(SKIP_2) | instid1(SALU_CYCLE_1)
	v_and_or_b32 v1, 0xffff, v1, v4
	s_or_b32 exec_lo, exec_lo, s7
	s_and_saveexec_b32 s0, vcc_lo
	s_xor_b32 s0, exec_lo, s0
	s_cbranch_execz .LBB239_16
.LBB239_21:
	v_mov_b32_e32 v0, v2
	global_store_b8 v3, v1, s[4:5]
	s_wait_xcnt 0x0
	s_or_b32 exec_lo, exec_lo, s0
	s_delay_alu instid0(SALU_CYCLE_1)
	s_mov_b32 s0, exec_lo
	v_cmpx_gt_i32_e64 s3, v0
	s_cbranch_execz .LBB239_17
.LBB239_22:
	v_add_nc_u32_e32 v2, 0x100, v0
	v_dual_add_nc_u32 v3, s2, v0 :: v_dual_lshrrev_b32 v4, 8, v1
	s_delay_alu instid0(VALU_DEP_2) | instskip(SKIP_3) | instid1(SALU_CYCLE_1)
	v_mov_b32_e32 v0, v2
	global_store_b8 v3, v4, s[4:5]
	s_wait_xcnt 0x0
	s_or_b32 exec_lo, exec_lo, s0
	s_mov_b32 s0, exec_lo
	v_cmpx_gt_i32_e64 s3, v0
	s_cbranch_execz .LBB239_18
.LBB239_23:
	v_add_nc_u32_e32 v2, 0x100, v0
	s_delay_alu instid0(VALU_DEP_1) | instskip(SKIP_3) | instid1(SALU_CYCLE_1)
	v_dual_mov_b32 v0, v2 :: v_dual_add_nc_u32 v3, s2, v0
	global_store_d16_hi_b8 v3, v1, s[4:5]
	s_wait_xcnt 0x0
	s_or_b32 exec_lo, exec_lo, s0
	s_mov_b32 s0, exec_lo
	v_cmpx_gt_i32_e64 s3, v0
	s_cbranch_execz .LBB239_19
.LBB239_24:
	v_dual_add_nc_u32 v0, s2, v0 :: v_dual_lshrrev_b32 v1, 24, v1
	global_store_b8 v0, v1, s[4:5]
	s_endpgm
	.section	.rodata,"a",@progbits
	.p2align	6, 0x0
	.amdhsa_kernel _ZN2at6native27unrolled_elementwise_kernelINS0_13AUnaryFunctorIN3c1011Float8_e5m2ES4_bNS0_12_GLOBAL__N_116CompareEqFunctorIS4_EEEESt5arrayIPcLm2EELi4E23TrivialOffsetCalculatorILi1EjESD_NS0_6memory15LoadWithoutCastENSE_16StoreWithoutCastEEEviT_T0_T2_T3_T4_T5_
		.amdhsa_group_segment_fixed_size 0
		.amdhsa_private_segment_fixed_size 0
		.amdhsa_kernarg_size 36
		.amdhsa_user_sgpr_count 2
		.amdhsa_user_sgpr_dispatch_ptr 0
		.amdhsa_user_sgpr_queue_ptr 0
		.amdhsa_user_sgpr_kernarg_segment_ptr 1
		.amdhsa_user_sgpr_dispatch_id 0
		.amdhsa_user_sgpr_kernarg_preload_length 0
		.amdhsa_user_sgpr_kernarg_preload_offset 0
		.amdhsa_user_sgpr_private_segment_size 0
		.amdhsa_wavefront_size32 1
		.amdhsa_uses_dynamic_stack 0
		.amdhsa_enable_private_segment 0
		.amdhsa_system_sgpr_workgroup_id_x 1
		.amdhsa_system_sgpr_workgroup_id_y 0
		.amdhsa_system_sgpr_workgroup_id_z 0
		.amdhsa_system_sgpr_workgroup_info 0
		.amdhsa_system_vgpr_workitem_id 0
		.amdhsa_next_free_vgpr 10
		.amdhsa_next_free_sgpr 13
		.amdhsa_named_barrier_count 0
		.amdhsa_reserve_vcc 1
		.amdhsa_float_round_mode_32 0
		.amdhsa_float_round_mode_16_64 0
		.amdhsa_float_denorm_mode_32 3
		.amdhsa_float_denorm_mode_16_64 3
		.amdhsa_fp16_overflow 0
		.amdhsa_memory_ordered 1
		.amdhsa_forward_progress 1
		.amdhsa_inst_pref_size 12
		.amdhsa_round_robin_scheduling 0
		.amdhsa_exception_fp_ieee_invalid_op 0
		.amdhsa_exception_fp_denorm_src 0
		.amdhsa_exception_fp_ieee_div_zero 0
		.amdhsa_exception_fp_ieee_overflow 0
		.amdhsa_exception_fp_ieee_underflow 0
		.amdhsa_exception_fp_ieee_inexact 0
		.amdhsa_exception_int_div_zero 0
	.end_amdhsa_kernel
	.section	.text._ZN2at6native27unrolled_elementwise_kernelINS0_13AUnaryFunctorIN3c1011Float8_e5m2ES4_bNS0_12_GLOBAL__N_116CompareEqFunctorIS4_EEEESt5arrayIPcLm2EELi4E23TrivialOffsetCalculatorILi1EjESD_NS0_6memory15LoadWithoutCastENSE_16StoreWithoutCastEEEviT_T0_T2_T3_T4_T5_,"axG",@progbits,_ZN2at6native27unrolled_elementwise_kernelINS0_13AUnaryFunctorIN3c1011Float8_e5m2ES4_bNS0_12_GLOBAL__N_116CompareEqFunctorIS4_EEEESt5arrayIPcLm2EELi4E23TrivialOffsetCalculatorILi1EjESD_NS0_6memory15LoadWithoutCastENSE_16StoreWithoutCastEEEviT_T0_T2_T3_T4_T5_,comdat
.Lfunc_end239:
	.size	_ZN2at6native27unrolled_elementwise_kernelINS0_13AUnaryFunctorIN3c1011Float8_e5m2ES4_bNS0_12_GLOBAL__N_116CompareEqFunctorIS4_EEEESt5arrayIPcLm2EELi4E23TrivialOffsetCalculatorILi1EjESD_NS0_6memory15LoadWithoutCastENSE_16StoreWithoutCastEEEviT_T0_T2_T3_T4_T5_, .Lfunc_end239-_ZN2at6native27unrolled_elementwise_kernelINS0_13AUnaryFunctorIN3c1011Float8_e5m2ES4_bNS0_12_GLOBAL__N_116CompareEqFunctorIS4_EEEESt5arrayIPcLm2EELi4E23TrivialOffsetCalculatorILi1EjESD_NS0_6memory15LoadWithoutCastENSE_16StoreWithoutCastEEEviT_T0_T2_T3_T4_T5_
                                        ; -- End function
	.set _ZN2at6native27unrolled_elementwise_kernelINS0_13AUnaryFunctorIN3c1011Float8_e5m2ES4_bNS0_12_GLOBAL__N_116CompareEqFunctorIS4_EEEESt5arrayIPcLm2EELi4E23TrivialOffsetCalculatorILi1EjESD_NS0_6memory15LoadWithoutCastENSE_16StoreWithoutCastEEEviT_T0_T2_T3_T4_T5_.num_vgpr, 10
	.set _ZN2at6native27unrolled_elementwise_kernelINS0_13AUnaryFunctorIN3c1011Float8_e5m2ES4_bNS0_12_GLOBAL__N_116CompareEqFunctorIS4_EEEESt5arrayIPcLm2EELi4E23TrivialOffsetCalculatorILi1EjESD_NS0_6memory15LoadWithoutCastENSE_16StoreWithoutCastEEEviT_T0_T2_T3_T4_T5_.num_agpr, 0
	.set _ZN2at6native27unrolled_elementwise_kernelINS0_13AUnaryFunctorIN3c1011Float8_e5m2ES4_bNS0_12_GLOBAL__N_116CompareEqFunctorIS4_EEEESt5arrayIPcLm2EELi4E23TrivialOffsetCalculatorILi1EjESD_NS0_6memory15LoadWithoutCastENSE_16StoreWithoutCastEEEviT_T0_T2_T3_T4_T5_.numbered_sgpr, 13
	.set _ZN2at6native27unrolled_elementwise_kernelINS0_13AUnaryFunctorIN3c1011Float8_e5m2ES4_bNS0_12_GLOBAL__N_116CompareEqFunctorIS4_EEEESt5arrayIPcLm2EELi4E23TrivialOffsetCalculatorILi1EjESD_NS0_6memory15LoadWithoutCastENSE_16StoreWithoutCastEEEviT_T0_T2_T3_T4_T5_.num_named_barrier, 0
	.set _ZN2at6native27unrolled_elementwise_kernelINS0_13AUnaryFunctorIN3c1011Float8_e5m2ES4_bNS0_12_GLOBAL__N_116CompareEqFunctorIS4_EEEESt5arrayIPcLm2EELi4E23TrivialOffsetCalculatorILi1EjESD_NS0_6memory15LoadWithoutCastENSE_16StoreWithoutCastEEEviT_T0_T2_T3_T4_T5_.private_seg_size, 0
	.set _ZN2at6native27unrolled_elementwise_kernelINS0_13AUnaryFunctorIN3c1011Float8_e5m2ES4_bNS0_12_GLOBAL__N_116CompareEqFunctorIS4_EEEESt5arrayIPcLm2EELi4E23TrivialOffsetCalculatorILi1EjESD_NS0_6memory15LoadWithoutCastENSE_16StoreWithoutCastEEEviT_T0_T2_T3_T4_T5_.uses_vcc, 1
	.set _ZN2at6native27unrolled_elementwise_kernelINS0_13AUnaryFunctorIN3c1011Float8_e5m2ES4_bNS0_12_GLOBAL__N_116CompareEqFunctorIS4_EEEESt5arrayIPcLm2EELi4E23TrivialOffsetCalculatorILi1EjESD_NS0_6memory15LoadWithoutCastENSE_16StoreWithoutCastEEEviT_T0_T2_T3_T4_T5_.uses_flat_scratch, 0
	.set _ZN2at6native27unrolled_elementwise_kernelINS0_13AUnaryFunctorIN3c1011Float8_e5m2ES4_bNS0_12_GLOBAL__N_116CompareEqFunctorIS4_EEEESt5arrayIPcLm2EELi4E23TrivialOffsetCalculatorILi1EjESD_NS0_6memory15LoadWithoutCastENSE_16StoreWithoutCastEEEviT_T0_T2_T3_T4_T5_.has_dyn_sized_stack, 0
	.set _ZN2at6native27unrolled_elementwise_kernelINS0_13AUnaryFunctorIN3c1011Float8_e5m2ES4_bNS0_12_GLOBAL__N_116CompareEqFunctorIS4_EEEESt5arrayIPcLm2EELi4E23TrivialOffsetCalculatorILi1EjESD_NS0_6memory15LoadWithoutCastENSE_16StoreWithoutCastEEEviT_T0_T2_T3_T4_T5_.has_recursion, 0
	.set _ZN2at6native27unrolled_elementwise_kernelINS0_13AUnaryFunctorIN3c1011Float8_e5m2ES4_bNS0_12_GLOBAL__N_116CompareEqFunctorIS4_EEEESt5arrayIPcLm2EELi4E23TrivialOffsetCalculatorILi1EjESD_NS0_6memory15LoadWithoutCastENSE_16StoreWithoutCastEEEviT_T0_T2_T3_T4_T5_.has_indirect_call, 0
	.section	.AMDGPU.csdata,"",@progbits
; Kernel info:
; codeLenInByte = 1524
; TotalNumSgprs: 15
; NumVgprs: 10
; ScratchSize: 0
; MemoryBound: 0
; FloatMode: 240
; IeeeMode: 1
; LDSByteSize: 0 bytes/workgroup (compile time only)
; SGPRBlocks: 0
; VGPRBlocks: 0
; NumSGPRsForWavesPerEU: 15
; NumVGPRsForWavesPerEU: 10
; NamedBarCnt: 0
; Occupancy: 16
; WaveLimiterHint : 0
; COMPUTE_PGM_RSRC2:SCRATCH_EN: 0
; COMPUTE_PGM_RSRC2:USER_SGPR: 2
; COMPUTE_PGM_RSRC2:TRAP_HANDLER: 0
; COMPUTE_PGM_RSRC2:TGID_X_EN: 1
; COMPUTE_PGM_RSRC2:TGID_Y_EN: 0
; COMPUTE_PGM_RSRC2:TGID_Z_EN: 0
; COMPUTE_PGM_RSRC2:TIDIG_COMP_CNT: 0
	.section	.text._ZN2at6native32elementwise_kernel_manual_unrollILi128ELi8EZNS0_22gpu_kernel_impl_nocastINS0_13AUnaryFunctorIN3c1011Float8_e5m2ES5_bNS0_12_GLOBAL__N_116CompareEqFunctorIS5_EEEEEEvRNS_18TensorIteratorBaseERKT_EUlibE_EEviT1_,"axG",@progbits,_ZN2at6native32elementwise_kernel_manual_unrollILi128ELi8EZNS0_22gpu_kernel_impl_nocastINS0_13AUnaryFunctorIN3c1011Float8_e5m2ES5_bNS0_12_GLOBAL__N_116CompareEqFunctorIS5_EEEEEEvRNS_18TensorIteratorBaseERKT_EUlibE_EEviT1_,comdat
	.globl	_ZN2at6native32elementwise_kernel_manual_unrollILi128ELi8EZNS0_22gpu_kernel_impl_nocastINS0_13AUnaryFunctorIN3c1011Float8_e5m2ES5_bNS0_12_GLOBAL__N_116CompareEqFunctorIS5_EEEEEEvRNS_18TensorIteratorBaseERKT_EUlibE_EEviT1_ ; -- Begin function _ZN2at6native32elementwise_kernel_manual_unrollILi128ELi8EZNS0_22gpu_kernel_impl_nocastINS0_13AUnaryFunctorIN3c1011Float8_e5m2ES5_bNS0_12_GLOBAL__N_116CompareEqFunctorIS5_EEEEEEvRNS_18TensorIteratorBaseERKT_EUlibE_EEviT1_
	.p2align	8
	.type	_ZN2at6native32elementwise_kernel_manual_unrollILi128ELi8EZNS0_22gpu_kernel_impl_nocastINS0_13AUnaryFunctorIN3c1011Float8_e5m2ES5_bNS0_12_GLOBAL__N_116CompareEqFunctorIS5_EEEEEEvRNS_18TensorIteratorBaseERKT_EUlibE_EEviT1_,@function
_ZN2at6native32elementwise_kernel_manual_unrollILi128ELi8EZNS0_22gpu_kernel_impl_nocastINS0_13AUnaryFunctorIN3c1011Float8_e5m2ES5_bNS0_12_GLOBAL__N_116CompareEqFunctorIS5_EEEEEEvRNS_18TensorIteratorBaseERKT_EUlibE_EEviT1_: ; @_ZN2at6native32elementwise_kernel_manual_unrollILi128ELi8EZNS0_22gpu_kernel_impl_nocastINS0_13AUnaryFunctorIN3c1011Float8_e5m2ES5_bNS0_12_GLOBAL__N_116CompareEqFunctorIS5_EEEEEEvRNS_18TensorIteratorBaseERKT_EUlibE_EEviT1_
; %bb.0:
	s_clause 0x1
	s_load_b32 s30, s[0:1], 0x8
	s_load_b32 s35, s[0:1], 0x0
	s_bfe_u32 s2, ttmp6, 0x4000c
	s_and_b32 s3, ttmp6, 15
	s_add_co_i32 s2, s2, 1
	s_getreg_b32 s4, hwreg(HW_REG_IB_STS2, 6, 4)
	s_mul_i32 s2, ttmp9, s2
	s_mov_b32 s17, 0
	s_add_co_i32 s3, s3, s2
	s_cmp_eq_u32 s4, 0
	s_cselect_b32 s2, ttmp9, s3
	s_delay_alu instid0(SALU_CYCLE_1) | instskip(SKIP_3) | instid1(VALU_DEP_1)
	v_lshl_or_b32 v0, s2, 10, v0
	s_add_nc_u64 s[2:3], s[0:1], 8
	s_wait_xcnt 0x0
	s_mov_b32 s0, exec_lo
	v_or_b32_e32 v16, 0x380, v0
	s_wait_kmcnt 0x0
	s_add_co_i32 s31, s30, -1
	s_delay_alu instid0(SALU_CYCLE_1)
	s_cmp_gt_u32 s31, 1
	s_cselect_b32 s1, -1, 0
	v_cmpx_le_i32_e64 s35, v16
	s_xor_b32 s33, exec_lo, s0
	s_cbranch_execz .LBB240_7
; %bb.1:
	s_clause 0x2
	s_load_b64 s[20:21], s[2:3], 0x158
	s_load_b128 s[8:11], s[2:3], 0x4
	s_load_b64 s[18:19], s[2:3], 0x14
	s_cmp_lg_u32 s30, 0
	s_clause 0x1
	s_load_b128 s[12:15], s[2:3], 0xc4
	s_load_b128 s[4:7], s[2:3], 0x148
	s_cselect_b32 s37, -1, 0
	s_min_u32 s36, s31, 15
	s_cmp_gt_u32 s30, 1
	s_add_nc_u64 s[22:23], s[2:3], 0xc4
	s_cselect_b32 s34, -1, 0
	s_wait_kmcnt 0x0
	s_cmp_eq_u32 s20, 0
	s_cselect_b32 s0, -1, 0
	s_lshl_b32 s16, s21, 8
	s_lshl_b32 s20, s21, 25
	s_and_b32 s16, s16, 0x7f00
	s_lshr_b32 s24, s20, 4
	s_or_b32 s16, s16, 0.5
	s_or_b32 s24, s24, 0x70000000
	s_add_f32 s25, s16, -0.5
	s_mul_f32 s24, s24, 0x7800000
	s_cmp_lt_u32 s20, 0x8000000
	s_mov_b32 s16, s9
	s_mov_b32 s20, s18
	s_cselect_b32 s9, s25, s24
	s_lshl_b32 s18, s21, 24
	s_mov_b32 s21, s17
	s_and_b32 s18, s18, 0x80000000
	s_delay_alu instid0(SALU_CYCLE_1)
	s_or_b32 s9, s18, s9
	s_mov_b32 s18, exec_lo
	v_cmpx_gt_i32_e64 s35, v0
	s_cbranch_execz .LBB240_14
; %bb.2:
	s_and_not1_b32 vcc_lo, exec_lo, s1
	s_cbranch_vccnz .LBB240_21
; %bb.3:
	s_and_not1_b32 vcc_lo, exec_lo, s37
	s_cbranch_vccnz .LBB240_129
; %bb.4:
	s_add_co_i32 s25, s36, 1
	s_cmp_eq_u32 s31, 2
	s_cbranch_scc1 .LBB240_131
; %bb.5:
	v_dual_mov_b32 v2, 0 :: v_dual_mov_b32 v3, 0
	v_mov_b32_e32 v1, v0
	s_and_b32 s24, s25, 28
	s_mov_b32 s38, 0
	s_mov_b64 s[26:27], s[2:3]
	s_mov_b64 s[28:29], s[22:23]
.LBB240_6:                              ; =>This Inner Loop Header: Depth=1
	s_clause 0x1
	s_load_b256 s[40:47], s[26:27], 0x4
	s_load_b128 s[56:59], s[26:27], 0x24
	s_load_b256 s[48:55], s[28:29], 0x0
	s_add_co_i32 s38, s38, 4
	s_wait_xcnt 0x0
	s_add_nc_u64 s[26:27], s[26:27], 48
	s_cmp_lg_u32 s24, s38
	s_add_nc_u64 s[28:29], s[28:29], 32
	s_wait_kmcnt 0x0
	v_mul_hi_u32 v4, s41, v1
	s_delay_alu instid0(VALU_DEP_1) | instskip(NEXT) | instid1(VALU_DEP_1)
	v_add_nc_u32_e32 v4, v1, v4
	v_lshrrev_b32_e32 v4, s42, v4
	s_delay_alu instid0(VALU_DEP_1) | instskip(NEXT) | instid1(VALU_DEP_1)
	v_mul_hi_u32 v5, s44, v4
	v_add_nc_u32_e32 v5, v4, v5
	s_delay_alu instid0(VALU_DEP_1) | instskip(NEXT) | instid1(VALU_DEP_1)
	v_lshrrev_b32_e32 v5, s45, v5
	v_mul_hi_u32 v6, s47, v5
	s_delay_alu instid0(VALU_DEP_1) | instskip(SKIP_1) | instid1(VALU_DEP_1)
	v_add_nc_u32_e32 v6, v5, v6
	v_mul_lo_u32 v7, v4, s40
	v_sub_nc_u32_e32 v1, v1, v7
	v_mul_lo_u32 v7, v5, s43
	s_delay_alu instid0(VALU_DEP_4) | instskip(NEXT) | instid1(VALU_DEP_3)
	v_lshrrev_b32_e32 v6, s56, v6
	v_mad_u32 v3, v1, s49, v3
	v_mad_u32 v1, v1, s48, v2
	s_delay_alu instid0(VALU_DEP_4) | instskip(NEXT) | instid1(VALU_DEP_4)
	v_sub_nc_u32_e32 v2, v4, v7
	v_mul_hi_u32 v8, s58, v6
	v_mul_lo_u32 v4, v6, s46
	s_delay_alu instid0(VALU_DEP_3) | instskip(SKIP_1) | instid1(VALU_DEP_4)
	v_mad_u32 v3, v2, s51, v3
	v_mad_u32 v2, v2, s50, v1
	v_add_nc_u32_e32 v7, v6, v8
	s_delay_alu instid0(VALU_DEP_1) | instskip(NEXT) | instid1(VALU_DEP_1)
	v_dual_sub_nc_u32 v4, v5, v4 :: v_dual_lshrrev_b32 v1, s59, v7
	v_mad_u32 v3, v4, s53, v3
	s_delay_alu instid0(VALU_DEP_4) | instskip(NEXT) | instid1(VALU_DEP_3)
	v_mad_u32 v2, v4, s52, v2
	v_mul_lo_u32 v5, v1, s57
	s_delay_alu instid0(VALU_DEP_1) | instskip(NEXT) | instid1(VALU_DEP_1)
	v_sub_nc_u32_e32 v4, v6, v5
	v_mad_u32 v3, v4, s55, v3
	s_delay_alu instid0(VALU_DEP_4)
	v_mad_u32 v2, v4, s54, v2
	s_cbranch_scc1 .LBB240_6
	s_branch .LBB240_132
.LBB240_7:
	s_and_not1_saveexec_b32 s0, s33
	s_cbranch_execz .LBB240_221
.LBB240_8:
	v_cndmask_b32_e64 v14, 0, 1, s1
	s_and_not1_b32 vcc_lo, exec_lo, s1
	s_cbranch_vccnz .LBB240_20
; %bb.9:
	s_cmp_lg_u32 s30, 0
	s_mov_b32 s8, 0
	s_cbranch_scc0 .LBB240_23
; %bb.10:
	s_min_u32 s1, s31, 15
	s_delay_alu instid0(SALU_CYCLE_1)
	s_add_co_i32 s1, s1, 1
	s_cmp_eq_u32 s31, 2
	s_cbranch_scc1 .LBB240_24
; %bb.11:
	v_dual_mov_b32 v2, 0 :: v_dual_mov_b32 v3, 0
	v_mov_b32_e32 v1, v0
	s_and_b32 s0, s1, 28
	s_add_nc_u64 s[4:5], s[2:3], 0xc4
	s_mov_b32 s9, 0
	s_mov_b64 s[6:7], s[2:3]
.LBB240_12:                             ; =>This Inner Loop Header: Depth=1
	s_clause 0x1
	s_load_b256 s[12:19], s[6:7], 0x4
	s_load_b128 s[36:39], s[6:7], 0x24
	s_load_b256 s[20:27], s[4:5], 0x0
	s_add_co_i32 s9, s9, 4
	s_wait_xcnt 0x0
	s_add_nc_u64 s[6:7], s[6:7], 48
	s_cmp_lg_u32 s0, s9
	s_add_nc_u64 s[4:5], s[4:5], 32
	s_wait_kmcnt 0x0
	v_mul_hi_u32 v4, s13, v1
	s_delay_alu instid0(VALU_DEP_1) | instskip(NEXT) | instid1(VALU_DEP_1)
	v_add_nc_u32_e32 v4, v1, v4
	v_lshrrev_b32_e32 v4, s14, v4
	s_delay_alu instid0(VALU_DEP_1) | instskip(NEXT) | instid1(VALU_DEP_1)
	v_mul_hi_u32 v5, s16, v4
	v_add_nc_u32_e32 v5, v4, v5
	s_delay_alu instid0(VALU_DEP_1) | instskip(NEXT) | instid1(VALU_DEP_1)
	v_lshrrev_b32_e32 v5, s17, v5
	v_mul_hi_u32 v6, s19, v5
	s_delay_alu instid0(VALU_DEP_1) | instskip(SKIP_1) | instid1(VALU_DEP_1)
	v_add_nc_u32_e32 v6, v5, v6
	v_mul_lo_u32 v7, v4, s12
	v_sub_nc_u32_e32 v1, v1, v7
	v_mul_lo_u32 v7, v5, s15
	s_delay_alu instid0(VALU_DEP_4) | instskip(NEXT) | instid1(VALU_DEP_3)
	v_lshrrev_b32_e32 v6, s36, v6
	v_mad_u32 v3, v1, s21, v3
	v_mad_u32 v1, v1, s20, v2
	s_delay_alu instid0(VALU_DEP_4) | instskip(NEXT) | instid1(VALU_DEP_4)
	v_sub_nc_u32_e32 v2, v4, v7
	v_mul_hi_u32 v8, s38, v6
	v_mul_lo_u32 v4, v6, s18
	s_delay_alu instid0(VALU_DEP_3) | instskip(SKIP_1) | instid1(VALU_DEP_4)
	v_mad_u32 v3, v2, s23, v3
	v_mad_u32 v2, v2, s22, v1
	v_add_nc_u32_e32 v7, v6, v8
	s_delay_alu instid0(VALU_DEP_1) | instskip(NEXT) | instid1(VALU_DEP_1)
	v_dual_sub_nc_u32 v4, v5, v4 :: v_dual_lshrrev_b32 v1, s39, v7
	v_mad_u32 v3, v4, s25, v3
	s_delay_alu instid0(VALU_DEP_4) | instskip(NEXT) | instid1(VALU_DEP_3)
	v_mad_u32 v2, v4, s24, v2
	v_mul_lo_u32 v5, v1, s37
	s_delay_alu instid0(VALU_DEP_1) | instskip(NEXT) | instid1(VALU_DEP_1)
	v_sub_nc_u32_e32 v4, v6, v5
	v_mad_u32 v3, v4, s27, v3
	s_delay_alu instid0(VALU_DEP_4)
	v_mad_u32 v2, v4, s26, v2
	s_cbranch_scc1 .LBB240_12
; %bb.13:
	s_and_b32 s6, s1, 3
	s_mov_b32 s1, 0
	s_cmp_eq_u32 s6, 0
	s_cbranch_scc0 .LBB240_25
	s_branch .LBB240_27
.LBB240_14:
	s_or_b32 exec_lo, exec_lo, s18
	s_delay_alu instid0(SALU_CYCLE_1)
	s_mov_b32 s18, exec_lo
	v_cmpx_gt_i32_e64 s35, v0
	s_cbranch_execz .LBB240_139
.LBB240_15:
	s_and_not1_b32 vcc_lo, exec_lo, s1
	s_cbranch_vccnz .LBB240_22
; %bb.16:
	s_and_not1_b32 vcc_lo, exec_lo, s37
	s_cbranch_vccnz .LBB240_130
; %bb.17:
	s_add_co_i32 s25, s36, 1
	s_cmp_eq_u32 s31, 2
	s_cbranch_scc1 .LBB240_147
; %bb.18:
	v_dual_mov_b32 v2, 0 :: v_dual_mov_b32 v3, 0
	v_mov_b32_e32 v1, v0
	s_and_b32 s24, s25, 28
	s_mov_b32 s38, 0
	s_mov_b64 s[26:27], s[2:3]
	s_mov_b64 s[28:29], s[22:23]
.LBB240_19:                             ; =>This Inner Loop Header: Depth=1
	s_clause 0x1
	s_load_b256 s[40:47], s[26:27], 0x4
	s_load_b128 s[56:59], s[26:27], 0x24
	s_load_b256 s[48:55], s[28:29], 0x0
	s_add_co_i32 s38, s38, 4
	s_wait_xcnt 0x0
	s_add_nc_u64 s[26:27], s[26:27], 48
	s_cmp_eq_u32 s24, s38
	s_add_nc_u64 s[28:29], s[28:29], 32
	s_wait_kmcnt 0x0
	v_mul_hi_u32 v4, s41, v1
	s_delay_alu instid0(VALU_DEP_1) | instskip(NEXT) | instid1(VALU_DEP_1)
	v_add_nc_u32_e32 v4, v1, v4
	v_lshrrev_b32_e32 v4, s42, v4
	s_delay_alu instid0(VALU_DEP_1) | instskip(NEXT) | instid1(VALU_DEP_1)
	v_mul_hi_u32 v5, s44, v4
	v_add_nc_u32_e32 v5, v4, v5
	s_delay_alu instid0(VALU_DEP_1) | instskip(NEXT) | instid1(VALU_DEP_1)
	v_lshrrev_b32_e32 v5, s45, v5
	v_mul_hi_u32 v6, s47, v5
	s_delay_alu instid0(VALU_DEP_1) | instskip(SKIP_1) | instid1(VALU_DEP_1)
	v_add_nc_u32_e32 v6, v5, v6
	v_mul_lo_u32 v7, v4, s40
	v_sub_nc_u32_e32 v1, v1, v7
	v_mul_lo_u32 v7, v5, s43
	s_delay_alu instid0(VALU_DEP_4) | instskip(NEXT) | instid1(VALU_DEP_3)
	v_lshrrev_b32_e32 v6, s56, v6
	v_mad_u32 v3, v1, s49, v3
	v_mad_u32 v1, v1, s48, v2
	s_delay_alu instid0(VALU_DEP_4) | instskip(NEXT) | instid1(VALU_DEP_4)
	v_sub_nc_u32_e32 v2, v4, v7
	v_mul_hi_u32 v8, s58, v6
	v_mul_lo_u32 v4, v6, s46
	s_delay_alu instid0(VALU_DEP_3) | instskip(SKIP_1) | instid1(VALU_DEP_4)
	v_mad_u32 v3, v2, s51, v3
	v_mad_u32 v2, v2, s50, v1
	v_add_nc_u32_e32 v7, v6, v8
	s_delay_alu instid0(VALU_DEP_1) | instskip(NEXT) | instid1(VALU_DEP_1)
	v_dual_sub_nc_u32 v4, v5, v4 :: v_dual_lshrrev_b32 v1, s59, v7
	v_mad_u32 v3, v4, s53, v3
	s_delay_alu instid0(VALU_DEP_4) | instskip(NEXT) | instid1(VALU_DEP_3)
	v_mad_u32 v2, v4, s52, v2
	v_mul_lo_u32 v5, v1, s57
	s_delay_alu instid0(VALU_DEP_1) | instskip(NEXT) | instid1(VALU_DEP_1)
	v_sub_nc_u32_e32 v4, v6, v5
	v_mad_u32 v3, v4, s55, v3
	s_delay_alu instid0(VALU_DEP_4)
	v_mad_u32 v2, v4, s54, v2
	s_cbranch_scc0 .LBB240_19
	s_branch .LBB240_148
.LBB240_20:
	s_mov_b32 s8, -1
                                        ; implicit-def: $vgpr3
	s_branch .LBB240_27
.LBB240_21:
                                        ; implicit-def: $vgpr3
	s_branch .LBB240_136
.LBB240_22:
                                        ; implicit-def: $vgpr3
	s_branch .LBB240_152
.LBB240_23:
	v_dual_mov_b32 v3, 0 :: v_dual_mov_b32 v2, 0
	s_branch .LBB240_27
.LBB240_24:
	v_mov_b64_e32 v[2:3], 0
	v_mov_b32_e32 v1, v0
	s_mov_b32 s0, 0
	s_and_b32 s6, s1, 3
	s_mov_b32 s1, 0
	s_cmp_eq_u32 s6, 0
	s_cbranch_scc1 .LBB240_27
.LBB240_25:
	s_lshl_b32 s4, s0, 3
	s_mov_b32 s5, s1
	s_mul_u64 s[10:11], s[0:1], 12
	s_add_nc_u64 s[4:5], s[2:3], s[4:5]
	s_delay_alu instid0(SALU_CYCLE_1)
	s_add_nc_u64 s[0:1], s[4:5], 0xc4
	s_add_nc_u64 s[4:5], s[2:3], s[10:11]
.LBB240_26:                             ; =>This Inner Loop Header: Depth=1
	s_load_b96 s[12:14], s[4:5], 0x4
	s_load_b64 s[10:11], s[0:1], 0x0
	s_add_co_i32 s6, s6, -1
	s_wait_xcnt 0x0
	s_add_nc_u64 s[4:5], s[4:5], 12
	s_cmp_lg_u32 s6, 0
	s_add_nc_u64 s[0:1], s[0:1], 8
	s_wait_kmcnt 0x0
	v_mul_hi_u32 v4, s13, v1
	s_delay_alu instid0(VALU_DEP_1) | instskip(NEXT) | instid1(VALU_DEP_1)
	v_add_nc_u32_e32 v4, v1, v4
	v_lshrrev_b32_e32 v4, s14, v4
	s_delay_alu instid0(VALU_DEP_1) | instskip(NEXT) | instid1(VALU_DEP_1)
	v_mul_lo_u32 v5, v4, s12
	v_sub_nc_u32_e32 v1, v1, v5
	s_delay_alu instid0(VALU_DEP_1)
	v_mad_u32 v3, v1, s11, v3
	v_mad_u32 v2, v1, s10, v2
	v_mov_b32_e32 v1, v4
	s_cbranch_scc1 .LBB240_26
.LBB240_27:
	s_and_not1_b32 vcc_lo, exec_lo, s8
	s_cbranch_vccnz .LBB240_30
; %bb.28:
	s_clause 0x1
	s_load_b96 s[4:6], s[2:3], 0x4
	s_load_b64 s[0:1], s[2:3], 0xc4
	s_cmp_lt_u32 s30, 2
	s_wait_kmcnt 0x0
	v_mul_hi_u32 v1, s5, v0
	s_delay_alu instid0(VALU_DEP_1) | instskip(NEXT) | instid1(VALU_DEP_1)
	v_add_nc_u32_e32 v1, v0, v1
	v_lshrrev_b32_e32 v1, s6, v1
	s_delay_alu instid0(VALU_DEP_1) | instskip(NEXT) | instid1(VALU_DEP_1)
	v_mul_lo_u32 v2, v1, s4
	v_sub_nc_u32_e32 v2, v0, v2
	s_delay_alu instid0(VALU_DEP_1)
	v_mul_lo_u32 v3, v2, s1
	v_mul_lo_u32 v2, v2, s0
	s_cbranch_scc1 .LBB240_30
; %bb.29:
	s_clause 0x1
	s_load_b96 s[4:6], s[2:3], 0x10
	s_load_b64 s[0:1], s[2:3], 0xcc
	s_wait_kmcnt 0x0
	v_mul_hi_u32 v4, s5, v1
	s_delay_alu instid0(VALU_DEP_1) | instskip(NEXT) | instid1(VALU_DEP_1)
	v_add_nc_u32_e32 v4, v1, v4
	v_lshrrev_b32_e32 v4, s6, v4
	s_delay_alu instid0(VALU_DEP_1) | instskip(NEXT) | instid1(VALU_DEP_1)
	v_mul_lo_u32 v4, v4, s4
	v_sub_nc_u32_e32 v1, v1, v4
	s_delay_alu instid0(VALU_DEP_1)
	v_mad_u32 v2, v1, s0, v2
	v_mad_u32 v3, v1, s1, v3
.LBB240_30:
	v_cmp_ne_u32_e32 vcc_lo, 1, v14
	v_add_nc_u32_e32 v1, 0x80, v0
	s_cbranch_vccnz .LBB240_36
; %bb.31:
	s_cmp_lg_u32 s30, 0
	s_mov_b32 s8, 0
	s_cbranch_scc0 .LBB240_37
; %bb.32:
	s_min_u32 s1, s31, 15
	s_delay_alu instid0(SALU_CYCLE_1)
	s_add_co_i32 s1, s1, 1
	s_cmp_eq_u32 s31, 2
	s_cbranch_scc1 .LBB240_38
; %bb.33:
	v_dual_mov_b32 v4, 0 :: v_dual_mov_b32 v5, 0
	v_mov_b32_e32 v6, v1
	s_and_b32 s0, s1, 28
	s_add_nc_u64 s[4:5], s[2:3], 0xc4
	s_mov_b32 s9, 0
	s_mov_b64 s[6:7], s[2:3]
.LBB240_34:                             ; =>This Inner Loop Header: Depth=1
	s_clause 0x1
	s_load_b256 s[12:19], s[6:7], 0x4
	s_load_b128 s[36:39], s[6:7], 0x24
	s_load_b256 s[20:27], s[4:5], 0x0
	s_add_co_i32 s9, s9, 4
	s_wait_xcnt 0x0
	s_add_nc_u64 s[6:7], s[6:7], 48
	s_cmp_lg_u32 s0, s9
	s_add_nc_u64 s[4:5], s[4:5], 32
	s_wait_kmcnt 0x0
	v_mul_hi_u32 v7, s13, v6
	s_delay_alu instid0(VALU_DEP_1) | instskip(NEXT) | instid1(VALU_DEP_1)
	v_add_nc_u32_e32 v7, v6, v7
	v_lshrrev_b32_e32 v7, s14, v7
	s_delay_alu instid0(VALU_DEP_1) | instskip(NEXT) | instid1(VALU_DEP_1)
	v_mul_hi_u32 v8, s16, v7
	v_add_nc_u32_e32 v8, v7, v8
	s_delay_alu instid0(VALU_DEP_1) | instskip(NEXT) | instid1(VALU_DEP_1)
	v_lshrrev_b32_e32 v8, s17, v8
	v_mul_hi_u32 v9, s19, v8
	s_delay_alu instid0(VALU_DEP_1) | instskip(SKIP_1) | instid1(VALU_DEP_1)
	v_add_nc_u32_e32 v9, v8, v9
	v_mul_lo_u32 v10, v7, s12
	v_sub_nc_u32_e32 v6, v6, v10
	v_mul_lo_u32 v10, v8, s15
	s_delay_alu instid0(VALU_DEP_4) | instskip(NEXT) | instid1(VALU_DEP_3)
	v_lshrrev_b32_e32 v9, s36, v9
	v_mad_u32 v5, v6, s21, v5
	v_mad_u32 v4, v6, s20, v4
	s_delay_alu instid0(VALU_DEP_4) | instskip(NEXT) | instid1(VALU_DEP_4)
	v_sub_nc_u32_e32 v6, v7, v10
	v_mul_hi_u32 v11, s38, v9
	v_mul_lo_u32 v7, v9, s18
	s_delay_alu instid0(VALU_DEP_3) | instskip(SKIP_1) | instid1(VALU_DEP_4)
	v_mad_u32 v5, v6, s23, v5
	v_mad_u32 v4, v6, s22, v4
	v_add_nc_u32_e32 v10, v9, v11
	s_delay_alu instid0(VALU_DEP_1) | instskip(NEXT) | instid1(VALU_DEP_1)
	v_dual_sub_nc_u32 v7, v8, v7 :: v_dual_lshrrev_b32 v6, s39, v10
	v_mad_u32 v5, v7, s25, v5
	s_delay_alu instid0(VALU_DEP_4) | instskip(NEXT) | instid1(VALU_DEP_3)
	v_mad_u32 v4, v7, s24, v4
	v_mul_lo_u32 v8, v6, s37
	s_delay_alu instid0(VALU_DEP_1) | instskip(NEXT) | instid1(VALU_DEP_1)
	v_sub_nc_u32_e32 v7, v9, v8
	v_mad_u32 v5, v7, s27, v5
	s_delay_alu instid0(VALU_DEP_4)
	v_mad_u32 v4, v7, s26, v4
	s_cbranch_scc1 .LBB240_34
; %bb.35:
	s_and_b32 s6, s1, 3
	s_mov_b32 s1, 0
	s_cmp_eq_u32 s6, 0
	s_cbranch_scc0 .LBB240_39
	s_branch .LBB240_41
.LBB240_36:
	s_mov_b32 s8, -1
                                        ; implicit-def: $vgpr5
	s_branch .LBB240_41
.LBB240_37:
	v_dual_mov_b32 v5, 0 :: v_dual_mov_b32 v4, 0
	s_branch .LBB240_41
.LBB240_38:
	v_mov_b64_e32 v[4:5], 0
	v_mov_b32_e32 v6, v1
	s_mov_b32 s0, 0
	s_and_b32 s6, s1, 3
	s_mov_b32 s1, 0
	s_cmp_eq_u32 s6, 0
	s_cbranch_scc1 .LBB240_41
.LBB240_39:
	s_lshl_b32 s4, s0, 3
	s_mov_b32 s5, s1
	s_mul_u64 s[10:11], s[0:1], 12
	s_add_nc_u64 s[4:5], s[2:3], s[4:5]
	s_delay_alu instid0(SALU_CYCLE_1)
	s_add_nc_u64 s[0:1], s[4:5], 0xc4
	s_add_nc_u64 s[4:5], s[2:3], s[10:11]
.LBB240_40:                             ; =>This Inner Loop Header: Depth=1
	s_load_b96 s[12:14], s[4:5], 0x4
	s_load_b64 s[10:11], s[0:1], 0x0
	s_add_co_i32 s6, s6, -1
	s_wait_xcnt 0x0
	s_add_nc_u64 s[4:5], s[4:5], 12
	s_cmp_lg_u32 s6, 0
	s_add_nc_u64 s[0:1], s[0:1], 8
	s_wait_kmcnt 0x0
	v_mul_hi_u32 v7, s13, v6
	s_delay_alu instid0(VALU_DEP_1) | instskip(NEXT) | instid1(VALU_DEP_1)
	v_add_nc_u32_e32 v7, v6, v7
	v_lshrrev_b32_e32 v7, s14, v7
	s_delay_alu instid0(VALU_DEP_1) | instskip(NEXT) | instid1(VALU_DEP_1)
	v_mul_lo_u32 v8, v7, s12
	v_sub_nc_u32_e32 v6, v6, v8
	s_delay_alu instid0(VALU_DEP_1)
	v_mad_u32 v5, v6, s11, v5
	v_mad_u32 v4, v6, s10, v4
	v_mov_b32_e32 v6, v7
	s_cbranch_scc1 .LBB240_40
.LBB240_41:
	s_and_not1_b32 vcc_lo, exec_lo, s8
	s_cbranch_vccnz .LBB240_44
; %bb.42:
	s_clause 0x1
	s_load_b96 s[4:6], s[2:3], 0x4
	s_load_b64 s[0:1], s[2:3], 0xc4
	s_cmp_lt_u32 s30, 2
	s_wait_kmcnt 0x0
	v_mul_hi_u32 v4, s5, v1
	s_delay_alu instid0(VALU_DEP_1) | instskip(NEXT) | instid1(VALU_DEP_1)
	v_add_nc_u32_e32 v4, v1, v4
	v_lshrrev_b32_e32 v6, s6, v4
	s_delay_alu instid0(VALU_DEP_1) | instskip(NEXT) | instid1(VALU_DEP_1)
	v_mul_lo_u32 v4, v6, s4
	v_sub_nc_u32_e32 v1, v1, v4
	s_delay_alu instid0(VALU_DEP_1)
	v_mul_lo_u32 v5, v1, s1
	v_mul_lo_u32 v4, v1, s0
	s_cbranch_scc1 .LBB240_44
; %bb.43:
	s_clause 0x1
	s_load_b96 s[4:6], s[2:3], 0x10
	s_load_b64 s[0:1], s[2:3], 0xcc
	s_wait_kmcnt 0x0
	v_mul_hi_u32 v1, s5, v6
	s_delay_alu instid0(VALU_DEP_1) | instskip(NEXT) | instid1(VALU_DEP_1)
	v_add_nc_u32_e32 v1, v6, v1
	v_lshrrev_b32_e32 v1, s6, v1
	s_delay_alu instid0(VALU_DEP_1) | instskip(NEXT) | instid1(VALU_DEP_1)
	v_mul_lo_u32 v1, v1, s4
	v_sub_nc_u32_e32 v1, v6, v1
	s_delay_alu instid0(VALU_DEP_1)
	v_mad_u32 v4, v1, s0, v4
	v_mad_u32 v5, v1, s1, v5
.LBB240_44:
	v_cmp_ne_u32_e32 vcc_lo, 1, v14
	v_add_nc_u32_e32 v1, 0x100, v0
	s_cbranch_vccnz .LBB240_50
; %bb.45:
	s_cmp_lg_u32 s30, 0
	s_mov_b32 s8, 0
	s_cbranch_scc0 .LBB240_51
; %bb.46:
	s_min_u32 s1, s31, 15
	s_delay_alu instid0(SALU_CYCLE_1)
	s_add_co_i32 s1, s1, 1
	s_cmp_eq_u32 s31, 2
	s_cbranch_scc1 .LBB240_52
; %bb.47:
	v_dual_mov_b32 v6, 0 :: v_dual_mov_b32 v7, 0
	v_mov_b32_e32 v8, v1
	s_and_b32 s0, s1, 28
	s_add_nc_u64 s[4:5], s[2:3], 0xc4
	s_mov_b32 s9, 0
	s_mov_b64 s[6:7], s[2:3]
.LBB240_48:                             ; =>This Inner Loop Header: Depth=1
	s_clause 0x1
	s_load_b256 s[12:19], s[6:7], 0x4
	s_load_b128 s[36:39], s[6:7], 0x24
	s_load_b256 s[20:27], s[4:5], 0x0
	s_add_co_i32 s9, s9, 4
	s_wait_xcnt 0x0
	s_add_nc_u64 s[6:7], s[6:7], 48
	s_cmp_lg_u32 s0, s9
	s_add_nc_u64 s[4:5], s[4:5], 32
	s_wait_kmcnt 0x0
	v_mul_hi_u32 v9, s13, v8
	s_delay_alu instid0(VALU_DEP_1) | instskip(NEXT) | instid1(VALU_DEP_1)
	v_add_nc_u32_e32 v9, v8, v9
	v_lshrrev_b32_e32 v9, s14, v9
	s_delay_alu instid0(VALU_DEP_1) | instskip(NEXT) | instid1(VALU_DEP_1)
	v_mul_hi_u32 v10, s16, v9
	v_add_nc_u32_e32 v10, v9, v10
	s_delay_alu instid0(VALU_DEP_1) | instskip(NEXT) | instid1(VALU_DEP_1)
	v_lshrrev_b32_e32 v10, s17, v10
	v_mul_hi_u32 v11, s19, v10
	s_delay_alu instid0(VALU_DEP_1) | instskip(SKIP_1) | instid1(VALU_DEP_1)
	v_add_nc_u32_e32 v11, v10, v11
	v_mul_lo_u32 v12, v9, s12
	v_sub_nc_u32_e32 v8, v8, v12
	v_mul_lo_u32 v12, v10, s15
	s_delay_alu instid0(VALU_DEP_4) | instskip(NEXT) | instid1(VALU_DEP_3)
	v_lshrrev_b32_e32 v11, s36, v11
	v_mad_u32 v7, v8, s21, v7
	v_mad_u32 v6, v8, s20, v6
	s_delay_alu instid0(VALU_DEP_4) | instskip(NEXT) | instid1(VALU_DEP_4)
	v_sub_nc_u32_e32 v8, v9, v12
	v_mul_hi_u32 v13, s38, v11
	v_mul_lo_u32 v9, v11, s18
	s_delay_alu instid0(VALU_DEP_3) | instskip(SKIP_1) | instid1(VALU_DEP_4)
	v_mad_u32 v7, v8, s23, v7
	v_mad_u32 v6, v8, s22, v6
	v_add_nc_u32_e32 v12, v11, v13
	s_delay_alu instid0(VALU_DEP_1) | instskip(NEXT) | instid1(VALU_DEP_1)
	v_dual_sub_nc_u32 v9, v10, v9 :: v_dual_lshrrev_b32 v8, s39, v12
	v_mad_u32 v7, v9, s25, v7
	s_delay_alu instid0(VALU_DEP_4) | instskip(NEXT) | instid1(VALU_DEP_3)
	v_mad_u32 v6, v9, s24, v6
	v_mul_lo_u32 v10, v8, s37
	s_delay_alu instid0(VALU_DEP_1) | instskip(NEXT) | instid1(VALU_DEP_1)
	v_sub_nc_u32_e32 v9, v11, v10
	v_mad_u32 v7, v9, s27, v7
	s_delay_alu instid0(VALU_DEP_4)
	v_mad_u32 v6, v9, s26, v6
	s_cbranch_scc1 .LBB240_48
; %bb.49:
	s_and_b32 s6, s1, 3
	s_mov_b32 s1, 0
	s_cmp_eq_u32 s6, 0
	s_cbranch_scc0 .LBB240_53
	s_branch .LBB240_55
.LBB240_50:
	s_mov_b32 s8, -1
                                        ; implicit-def: $vgpr7
	s_branch .LBB240_55
.LBB240_51:
	v_dual_mov_b32 v7, 0 :: v_dual_mov_b32 v6, 0
	s_branch .LBB240_55
.LBB240_52:
	v_mov_b64_e32 v[6:7], 0
	v_mov_b32_e32 v8, v1
	s_mov_b32 s0, 0
	s_and_b32 s6, s1, 3
	s_mov_b32 s1, 0
	s_cmp_eq_u32 s6, 0
	s_cbranch_scc1 .LBB240_55
.LBB240_53:
	s_lshl_b32 s4, s0, 3
	s_mov_b32 s5, s1
	s_mul_u64 s[10:11], s[0:1], 12
	s_add_nc_u64 s[4:5], s[2:3], s[4:5]
	s_delay_alu instid0(SALU_CYCLE_1)
	s_add_nc_u64 s[0:1], s[4:5], 0xc4
	s_add_nc_u64 s[4:5], s[2:3], s[10:11]
.LBB240_54:                             ; =>This Inner Loop Header: Depth=1
	s_load_b96 s[12:14], s[4:5], 0x4
	s_load_b64 s[10:11], s[0:1], 0x0
	s_add_co_i32 s6, s6, -1
	s_wait_xcnt 0x0
	s_add_nc_u64 s[4:5], s[4:5], 12
	s_cmp_lg_u32 s6, 0
	s_add_nc_u64 s[0:1], s[0:1], 8
	s_wait_kmcnt 0x0
	v_mul_hi_u32 v9, s13, v8
	s_delay_alu instid0(VALU_DEP_1) | instskip(NEXT) | instid1(VALU_DEP_1)
	v_add_nc_u32_e32 v9, v8, v9
	v_lshrrev_b32_e32 v9, s14, v9
	s_delay_alu instid0(VALU_DEP_1) | instskip(NEXT) | instid1(VALU_DEP_1)
	v_mul_lo_u32 v10, v9, s12
	v_sub_nc_u32_e32 v8, v8, v10
	s_delay_alu instid0(VALU_DEP_1)
	v_mad_u32 v7, v8, s11, v7
	v_mad_u32 v6, v8, s10, v6
	v_mov_b32_e32 v8, v9
	s_cbranch_scc1 .LBB240_54
.LBB240_55:
	s_and_not1_b32 vcc_lo, exec_lo, s8
	s_cbranch_vccnz .LBB240_58
; %bb.56:
	s_clause 0x1
	s_load_b96 s[4:6], s[2:3], 0x4
	s_load_b64 s[0:1], s[2:3], 0xc4
	s_cmp_lt_u32 s30, 2
	s_wait_kmcnt 0x0
	v_mul_hi_u32 v6, s5, v1
	s_delay_alu instid0(VALU_DEP_1) | instskip(NEXT) | instid1(VALU_DEP_1)
	v_add_nc_u32_e32 v6, v1, v6
	v_lshrrev_b32_e32 v8, s6, v6
	s_delay_alu instid0(VALU_DEP_1) | instskip(NEXT) | instid1(VALU_DEP_1)
	v_mul_lo_u32 v6, v8, s4
	v_sub_nc_u32_e32 v1, v1, v6
	s_delay_alu instid0(VALU_DEP_1)
	v_mul_lo_u32 v7, v1, s1
	v_mul_lo_u32 v6, v1, s0
	s_cbranch_scc1 .LBB240_58
; %bb.57:
	s_clause 0x1
	s_load_b96 s[4:6], s[2:3], 0x10
	s_load_b64 s[0:1], s[2:3], 0xcc
	s_wait_kmcnt 0x0
	v_mul_hi_u32 v1, s5, v8
	s_delay_alu instid0(VALU_DEP_1) | instskip(NEXT) | instid1(VALU_DEP_1)
	v_add_nc_u32_e32 v1, v8, v1
	v_lshrrev_b32_e32 v1, s6, v1
	s_delay_alu instid0(VALU_DEP_1) | instskip(NEXT) | instid1(VALU_DEP_1)
	v_mul_lo_u32 v1, v1, s4
	v_sub_nc_u32_e32 v1, v8, v1
	s_delay_alu instid0(VALU_DEP_1)
	v_mad_u32 v6, v1, s0, v6
	v_mad_u32 v7, v1, s1, v7
.LBB240_58:
	v_cmp_ne_u32_e32 vcc_lo, 1, v14
	v_add_nc_u32_e32 v1, 0x180, v0
	s_cbranch_vccnz .LBB240_64
; %bb.59:
	s_cmp_lg_u32 s30, 0
	s_mov_b32 s8, 0
	s_cbranch_scc0 .LBB240_65
; %bb.60:
	s_min_u32 s1, s31, 15
	s_delay_alu instid0(SALU_CYCLE_1)
	s_add_co_i32 s1, s1, 1
	s_cmp_eq_u32 s31, 2
	s_cbranch_scc1 .LBB240_66
; %bb.61:
	v_dual_mov_b32 v8, 0 :: v_dual_mov_b32 v9, 0
	v_mov_b32_e32 v10, v1
	s_and_b32 s0, s1, 28
	s_add_nc_u64 s[4:5], s[2:3], 0xc4
	s_mov_b32 s9, 0
	s_mov_b64 s[6:7], s[2:3]
.LBB240_62:                             ; =>This Inner Loop Header: Depth=1
	s_clause 0x1
	s_load_b256 s[12:19], s[6:7], 0x4
	s_load_b128 s[36:39], s[6:7], 0x24
	s_load_b256 s[20:27], s[4:5], 0x0
	s_add_co_i32 s9, s9, 4
	s_wait_xcnt 0x0
	s_add_nc_u64 s[6:7], s[6:7], 48
	s_cmp_lg_u32 s0, s9
	s_add_nc_u64 s[4:5], s[4:5], 32
	s_wait_kmcnt 0x0
	v_mul_hi_u32 v11, s13, v10
	s_delay_alu instid0(VALU_DEP_1) | instskip(NEXT) | instid1(VALU_DEP_1)
	v_add_nc_u32_e32 v11, v10, v11
	v_lshrrev_b32_e32 v11, s14, v11
	s_delay_alu instid0(VALU_DEP_1) | instskip(NEXT) | instid1(VALU_DEP_1)
	v_mul_hi_u32 v12, s16, v11
	v_add_nc_u32_e32 v12, v11, v12
	s_delay_alu instid0(VALU_DEP_1) | instskip(NEXT) | instid1(VALU_DEP_1)
	v_lshrrev_b32_e32 v12, s17, v12
	v_mul_hi_u32 v13, s19, v12
	s_delay_alu instid0(VALU_DEP_1) | instskip(SKIP_1) | instid1(VALU_DEP_1)
	v_add_nc_u32_e32 v13, v12, v13
	v_mul_lo_u32 v15, v11, s12
	v_sub_nc_u32_e32 v10, v10, v15
	v_mul_lo_u32 v15, v12, s15
	s_delay_alu instid0(VALU_DEP_4) | instskip(NEXT) | instid1(VALU_DEP_3)
	v_lshrrev_b32_e32 v13, s36, v13
	v_mad_u32 v9, v10, s21, v9
	v_mad_u32 v8, v10, s20, v8
	s_delay_alu instid0(VALU_DEP_4) | instskip(NEXT) | instid1(VALU_DEP_4)
	v_sub_nc_u32_e32 v10, v11, v15
	v_mul_hi_u32 v17, s38, v13
	v_mul_lo_u32 v11, v13, s18
	s_delay_alu instid0(VALU_DEP_3) | instskip(SKIP_1) | instid1(VALU_DEP_3)
	v_mad_u32 v9, v10, s23, v9
	v_mad_u32 v8, v10, s22, v8
	v_dual_add_nc_u32 v15, v13, v17 :: v_dual_sub_nc_u32 v11, v12, v11
	s_delay_alu instid0(VALU_DEP_1) | instskip(NEXT) | instid1(VALU_DEP_2)
	v_lshrrev_b32_e32 v10, s39, v15
	v_mad_u32 v9, v11, s25, v9
	s_delay_alu instid0(VALU_DEP_4) | instskip(NEXT) | instid1(VALU_DEP_3)
	v_mad_u32 v8, v11, s24, v8
	v_mul_lo_u32 v12, v10, s37
	s_delay_alu instid0(VALU_DEP_1) | instskip(NEXT) | instid1(VALU_DEP_1)
	v_sub_nc_u32_e32 v11, v13, v12
	v_mad_u32 v9, v11, s27, v9
	s_delay_alu instid0(VALU_DEP_4)
	v_mad_u32 v8, v11, s26, v8
	s_cbranch_scc1 .LBB240_62
; %bb.63:
	s_and_b32 s6, s1, 3
	s_mov_b32 s1, 0
	s_cmp_eq_u32 s6, 0
	s_cbranch_scc0 .LBB240_67
	s_branch .LBB240_69
.LBB240_64:
	s_mov_b32 s8, -1
                                        ; implicit-def: $vgpr9
	s_branch .LBB240_69
.LBB240_65:
	v_dual_mov_b32 v9, 0 :: v_dual_mov_b32 v8, 0
	s_branch .LBB240_69
.LBB240_66:
	v_mov_b64_e32 v[8:9], 0
	v_mov_b32_e32 v10, v1
	s_mov_b32 s0, 0
	s_and_b32 s6, s1, 3
	s_mov_b32 s1, 0
	s_cmp_eq_u32 s6, 0
	s_cbranch_scc1 .LBB240_69
.LBB240_67:
	s_lshl_b32 s4, s0, 3
	s_mov_b32 s5, s1
	s_mul_u64 s[10:11], s[0:1], 12
	s_add_nc_u64 s[4:5], s[2:3], s[4:5]
	s_delay_alu instid0(SALU_CYCLE_1)
	s_add_nc_u64 s[0:1], s[4:5], 0xc4
	s_add_nc_u64 s[4:5], s[2:3], s[10:11]
.LBB240_68:                             ; =>This Inner Loop Header: Depth=1
	s_load_b96 s[12:14], s[4:5], 0x4
	s_load_b64 s[10:11], s[0:1], 0x0
	s_add_co_i32 s6, s6, -1
	s_wait_xcnt 0x0
	s_add_nc_u64 s[4:5], s[4:5], 12
	s_cmp_lg_u32 s6, 0
	s_add_nc_u64 s[0:1], s[0:1], 8
	s_wait_kmcnt 0x0
	v_mul_hi_u32 v11, s13, v10
	s_delay_alu instid0(VALU_DEP_1) | instskip(NEXT) | instid1(VALU_DEP_1)
	v_add_nc_u32_e32 v11, v10, v11
	v_lshrrev_b32_e32 v11, s14, v11
	s_delay_alu instid0(VALU_DEP_1) | instskip(NEXT) | instid1(VALU_DEP_1)
	v_mul_lo_u32 v12, v11, s12
	v_sub_nc_u32_e32 v10, v10, v12
	s_delay_alu instid0(VALU_DEP_1)
	v_mad_u32 v9, v10, s11, v9
	v_mad_u32 v8, v10, s10, v8
	v_mov_b32_e32 v10, v11
	s_cbranch_scc1 .LBB240_68
.LBB240_69:
	s_and_not1_b32 vcc_lo, exec_lo, s8
	s_cbranch_vccnz .LBB240_72
; %bb.70:
	s_clause 0x1
	s_load_b96 s[4:6], s[2:3], 0x4
	s_load_b64 s[0:1], s[2:3], 0xc4
	s_cmp_lt_u32 s30, 2
	s_wait_kmcnt 0x0
	v_mul_hi_u32 v8, s5, v1
	s_delay_alu instid0(VALU_DEP_1) | instskip(NEXT) | instid1(VALU_DEP_1)
	v_add_nc_u32_e32 v8, v1, v8
	v_lshrrev_b32_e32 v10, s6, v8
	s_delay_alu instid0(VALU_DEP_1) | instskip(NEXT) | instid1(VALU_DEP_1)
	v_mul_lo_u32 v8, v10, s4
	v_sub_nc_u32_e32 v1, v1, v8
	s_delay_alu instid0(VALU_DEP_1)
	v_mul_lo_u32 v9, v1, s1
	v_mul_lo_u32 v8, v1, s0
	s_cbranch_scc1 .LBB240_72
; %bb.71:
	s_clause 0x1
	s_load_b96 s[4:6], s[2:3], 0x10
	s_load_b64 s[0:1], s[2:3], 0xcc
	s_wait_kmcnt 0x0
	v_mul_hi_u32 v1, s5, v10
	s_delay_alu instid0(VALU_DEP_1) | instskip(NEXT) | instid1(VALU_DEP_1)
	v_add_nc_u32_e32 v1, v10, v1
	v_lshrrev_b32_e32 v1, s6, v1
	s_delay_alu instid0(VALU_DEP_1) | instskip(NEXT) | instid1(VALU_DEP_1)
	v_mul_lo_u32 v1, v1, s4
	v_sub_nc_u32_e32 v1, v10, v1
	s_delay_alu instid0(VALU_DEP_1)
	v_mad_u32 v8, v1, s0, v8
	v_mad_u32 v9, v1, s1, v9
.LBB240_72:
	v_cmp_ne_u32_e32 vcc_lo, 1, v14
	v_add_nc_u32_e32 v1, 0x200, v0
	s_cbranch_vccnz .LBB240_78
; %bb.73:
	s_cmp_lg_u32 s30, 0
	s_mov_b32 s8, 0
	s_cbranch_scc0 .LBB240_79
; %bb.74:
	s_min_u32 s1, s31, 15
	s_delay_alu instid0(SALU_CYCLE_1)
	s_add_co_i32 s1, s1, 1
	s_cmp_eq_u32 s31, 2
	s_cbranch_scc1 .LBB240_80
; %bb.75:
	v_dual_mov_b32 v10, 0 :: v_dual_mov_b32 v11, 0
	v_mov_b32_e32 v12, v1
	s_and_b32 s0, s1, 28
	s_add_nc_u64 s[4:5], s[2:3], 0xc4
	s_mov_b32 s9, 0
	s_mov_b64 s[6:7], s[2:3]
.LBB240_76:                             ; =>This Inner Loop Header: Depth=1
	s_clause 0x1
	s_load_b256 s[12:19], s[6:7], 0x4
	s_load_b128 s[36:39], s[6:7], 0x24
	s_load_b256 s[20:27], s[4:5], 0x0
	s_add_co_i32 s9, s9, 4
	s_wait_xcnt 0x0
	s_add_nc_u64 s[6:7], s[6:7], 48
	s_cmp_lg_u32 s0, s9
	s_add_nc_u64 s[4:5], s[4:5], 32
	s_wait_kmcnt 0x0
	v_mul_hi_u32 v13, s13, v12
	s_delay_alu instid0(VALU_DEP_1) | instskip(NEXT) | instid1(VALU_DEP_1)
	v_add_nc_u32_e32 v13, v12, v13
	v_lshrrev_b32_e32 v13, s14, v13
	s_delay_alu instid0(VALU_DEP_1) | instskip(NEXT) | instid1(VALU_DEP_1)
	v_mul_lo_u32 v18, v13, s12
	v_sub_nc_u32_e32 v12, v12, v18
	v_mul_hi_u32 v15, s16, v13
	s_delay_alu instid0(VALU_DEP_2) | instskip(SKIP_1) | instid1(VALU_DEP_3)
	v_mad_u32 v11, v12, s21, v11
	v_mad_u32 v10, v12, s20, v10
	v_add_nc_u32_e32 v15, v13, v15
	s_delay_alu instid0(VALU_DEP_1) | instskip(NEXT) | instid1(VALU_DEP_1)
	v_lshrrev_b32_e32 v15, s17, v15
	v_mul_hi_u32 v17, s19, v15
	v_mul_lo_u32 v18, v15, s15
	s_delay_alu instid0(VALU_DEP_1) | instskip(NEXT) | instid1(VALU_DEP_1)
	v_dual_add_nc_u32 v17, v15, v17 :: v_dual_sub_nc_u32 v12, v13, v18
	v_lshrrev_b32_e32 v17, s36, v17
	s_delay_alu instid0(VALU_DEP_2) | instskip(SKIP_1) | instid1(VALU_DEP_3)
	v_mad_u32 v11, v12, s23, v11
	v_mad_u32 v10, v12, s22, v10
	v_mul_hi_u32 v19, s38, v17
	v_mul_lo_u32 v13, v17, s18
	s_delay_alu instid0(VALU_DEP_1) | instskip(NEXT) | instid1(VALU_DEP_1)
	v_dual_add_nc_u32 v18, v17, v19 :: v_dual_sub_nc_u32 v13, v15, v13
	v_lshrrev_b32_e32 v12, s39, v18
	s_delay_alu instid0(VALU_DEP_2) | instskip(SKIP_1) | instid1(VALU_DEP_3)
	v_mad_u32 v11, v13, s25, v11
	v_mad_u32 v10, v13, s24, v10
	v_mul_lo_u32 v15, v12, s37
	s_delay_alu instid0(VALU_DEP_1) | instskip(NEXT) | instid1(VALU_DEP_1)
	v_sub_nc_u32_e32 v13, v17, v15
	v_mad_u32 v11, v13, s27, v11
	s_delay_alu instid0(VALU_DEP_4)
	v_mad_u32 v10, v13, s26, v10
	s_cbranch_scc1 .LBB240_76
; %bb.77:
	s_and_b32 s6, s1, 3
	s_mov_b32 s1, 0
	s_cmp_eq_u32 s6, 0
	s_cbranch_scc0 .LBB240_81
	s_branch .LBB240_83
.LBB240_78:
	s_mov_b32 s8, -1
                                        ; implicit-def: $vgpr11
	s_branch .LBB240_83
.LBB240_79:
	v_dual_mov_b32 v11, 0 :: v_dual_mov_b32 v10, 0
	s_branch .LBB240_83
.LBB240_80:
	v_mov_b64_e32 v[10:11], 0
	v_mov_b32_e32 v12, v1
	s_mov_b32 s0, 0
	s_and_b32 s6, s1, 3
	s_mov_b32 s1, 0
	s_cmp_eq_u32 s6, 0
	s_cbranch_scc1 .LBB240_83
.LBB240_81:
	s_lshl_b32 s4, s0, 3
	s_mov_b32 s5, s1
	s_mul_u64 s[10:11], s[0:1], 12
	s_add_nc_u64 s[4:5], s[2:3], s[4:5]
	s_delay_alu instid0(SALU_CYCLE_1)
	s_add_nc_u64 s[0:1], s[4:5], 0xc4
	s_add_nc_u64 s[4:5], s[2:3], s[10:11]
.LBB240_82:                             ; =>This Inner Loop Header: Depth=1
	s_load_b96 s[12:14], s[4:5], 0x4
	s_load_b64 s[10:11], s[0:1], 0x0
	s_add_co_i32 s6, s6, -1
	s_wait_xcnt 0x0
	s_add_nc_u64 s[4:5], s[4:5], 12
	s_cmp_lg_u32 s6, 0
	s_add_nc_u64 s[0:1], s[0:1], 8
	s_wait_kmcnt 0x0
	v_mul_hi_u32 v13, s13, v12
	s_delay_alu instid0(VALU_DEP_1) | instskip(NEXT) | instid1(VALU_DEP_1)
	v_add_nc_u32_e32 v13, v12, v13
	v_lshrrev_b32_e32 v13, s14, v13
	s_delay_alu instid0(VALU_DEP_1) | instskip(NEXT) | instid1(VALU_DEP_1)
	v_mul_lo_u32 v15, v13, s12
	v_sub_nc_u32_e32 v12, v12, v15
	s_delay_alu instid0(VALU_DEP_1)
	v_mad_u32 v11, v12, s11, v11
	v_mad_u32 v10, v12, s10, v10
	v_mov_b32_e32 v12, v13
	s_cbranch_scc1 .LBB240_82
.LBB240_83:
	s_and_not1_b32 vcc_lo, exec_lo, s8
	s_cbranch_vccnz .LBB240_86
; %bb.84:
	s_clause 0x1
	s_load_b96 s[4:6], s[2:3], 0x4
	s_load_b64 s[0:1], s[2:3], 0xc4
	s_cmp_lt_u32 s30, 2
	s_wait_kmcnt 0x0
	v_mul_hi_u32 v10, s5, v1
	s_delay_alu instid0(VALU_DEP_1) | instskip(NEXT) | instid1(VALU_DEP_1)
	v_add_nc_u32_e32 v10, v1, v10
	v_lshrrev_b32_e32 v12, s6, v10
	s_delay_alu instid0(VALU_DEP_1) | instskip(NEXT) | instid1(VALU_DEP_1)
	v_mul_lo_u32 v10, v12, s4
	v_sub_nc_u32_e32 v1, v1, v10
	s_delay_alu instid0(VALU_DEP_1)
	v_mul_lo_u32 v11, v1, s1
	v_mul_lo_u32 v10, v1, s0
	s_cbranch_scc1 .LBB240_86
; %bb.85:
	s_clause 0x1
	s_load_b96 s[4:6], s[2:3], 0x10
	s_load_b64 s[0:1], s[2:3], 0xcc
	s_wait_kmcnt 0x0
	v_mul_hi_u32 v1, s5, v12
	s_delay_alu instid0(VALU_DEP_1) | instskip(NEXT) | instid1(VALU_DEP_1)
	v_add_nc_u32_e32 v1, v12, v1
	v_lshrrev_b32_e32 v1, s6, v1
	s_delay_alu instid0(VALU_DEP_1) | instskip(NEXT) | instid1(VALU_DEP_1)
	v_mul_lo_u32 v1, v1, s4
	v_sub_nc_u32_e32 v1, v12, v1
	s_delay_alu instid0(VALU_DEP_1)
	v_mad_u32 v10, v1, s0, v10
	v_mad_u32 v11, v1, s1, v11
.LBB240_86:
	v_cmp_ne_u32_e32 vcc_lo, 1, v14
	v_add_nc_u32_e32 v1, 0x280, v0
	s_cbranch_vccnz .LBB240_92
; %bb.87:
	s_cmp_lg_u32 s30, 0
	s_mov_b32 s8, 0
	s_cbranch_scc0 .LBB240_93
; %bb.88:
	s_min_u32 s1, s31, 15
	s_delay_alu instid0(SALU_CYCLE_1)
	s_add_co_i32 s1, s1, 1
	s_cmp_eq_u32 s31, 2
	s_cbranch_scc1 .LBB240_94
; %bb.89:
	v_dual_mov_b32 v12, 0 :: v_dual_mov_b32 v13, 0
	v_mov_b32_e32 v15, v1
	s_and_b32 s0, s1, 28
	s_add_nc_u64 s[4:5], s[2:3], 0xc4
	s_mov_b32 s9, 0
	s_mov_b64 s[6:7], s[2:3]
.LBB240_90:                             ; =>This Inner Loop Header: Depth=1
	s_clause 0x1
	s_load_b256 s[12:19], s[6:7], 0x4
	s_load_b128 s[36:39], s[6:7], 0x24
	s_load_b256 s[20:27], s[4:5], 0x0
	s_add_co_i32 s9, s9, 4
	s_wait_xcnt 0x0
	s_add_nc_u64 s[6:7], s[6:7], 48
	s_cmp_lg_u32 s0, s9
	s_add_nc_u64 s[4:5], s[4:5], 32
	s_wait_kmcnt 0x0
	v_mul_hi_u32 v17, s13, v15
	s_delay_alu instid0(VALU_DEP_1) | instskip(NEXT) | instid1(VALU_DEP_1)
	v_add_nc_u32_e32 v17, v15, v17
	v_lshrrev_b32_e32 v17, s14, v17
	s_delay_alu instid0(VALU_DEP_1) | instskip(NEXT) | instid1(VALU_DEP_1)
	v_mul_hi_u32 v18, s16, v17
	v_add_nc_u32_e32 v18, v17, v18
	s_delay_alu instid0(VALU_DEP_1) | instskip(NEXT) | instid1(VALU_DEP_1)
	v_lshrrev_b32_e32 v18, s17, v18
	v_mul_hi_u32 v19, s19, v18
	s_delay_alu instid0(VALU_DEP_1) | instskip(SKIP_1) | instid1(VALU_DEP_1)
	v_add_nc_u32_e32 v19, v18, v19
	v_mul_lo_u32 v20, v17, s12
	v_sub_nc_u32_e32 v15, v15, v20
	v_mul_lo_u32 v20, v18, s15
	s_delay_alu instid0(VALU_DEP_4) | instskip(NEXT) | instid1(VALU_DEP_3)
	v_lshrrev_b32_e32 v19, s36, v19
	v_mad_u32 v13, v15, s21, v13
	v_mad_u32 v12, v15, s20, v12
	s_delay_alu instid0(VALU_DEP_4) | instskip(NEXT) | instid1(VALU_DEP_4)
	v_sub_nc_u32_e32 v15, v17, v20
	v_mul_hi_u32 v21, s38, v19
	v_mul_lo_u32 v17, v19, s18
	s_delay_alu instid0(VALU_DEP_3) | instskip(SKIP_1) | instid1(VALU_DEP_4)
	v_mad_u32 v13, v15, s23, v13
	v_mad_u32 v12, v15, s22, v12
	v_add_nc_u32_e32 v20, v19, v21
	s_delay_alu instid0(VALU_DEP_1) | instskip(NEXT) | instid1(VALU_DEP_1)
	v_dual_sub_nc_u32 v17, v18, v17 :: v_dual_lshrrev_b32 v15, s39, v20
	v_mad_u32 v13, v17, s25, v13
	s_delay_alu instid0(VALU_DEP_4) | instskip(NEXT) | instid1(VALU_DEP_3)
	v_mad_u32 v12, v17, s24, v12
	v_mul_lo_u32 v18, v15, s37
	s_delay_alu instid0(VALU_DEP_1) | instskip(NEXT) | instid1(VALU_DEP_1)
	v_sub_nc_u32_e32 v17, v19, v18
	v_mad_u32 v13, v17, s27, v13
	s_delay_alu instid0(VALU_DEP_4)
	v_mad_u32 v12, v17, s26, v12
	s_cbranch_scc1 .LBB240_90
; %bb.91:
	s_and_b32 s6, s1, 3
	s_mov_b32 s1, 0
	s_cmp_eq_u32 s6, 0
	s_cbranch_scc0 .LBB240_95
	s_branch .LBB240_97
.LBB240_92:
	s_mov_b32 s8, -1
                                        ; implicit-def: $vgpr13
	s_branch .LBB240_97
.LBB240_93:
	v_dual_mov_b32 v13, 0 :: v_dual_mov_b32 v12, 0
	s_branch .LBB240_97
.LBB240_94:
	v_mov_b64_e32 v[12:13], 0
	v_mov_b32_e32 v15, v1
	s_mov_b32 s0, 0
	s_and_b32 s6, s1, 3
	s_mov_b32 s1, 0
	s_cmp_eq_u32 s6, 0
	s_cbranch_scc1 .LBB240_97
.LBB240_95:
	s_lshl_b32 s4, s0, 3
	s_mov_b32 s5, s1
	s_mul_u64 s[10:11], s[0:1], 12
	s_add_nc_u64 s[4:5], s[2:3], s[4:5]
	s_delay_alu instid0(SALU_CYCLE_1)
	s_add_nc_u64 s[0:1], s[4:5], 0xc4
	s_add_nc_u64 s[4:5], s[2:3], s[10:11]
.LBB240_96:                             ; =>This Inner Loop Header: Depth=1
	s_load_b96 s[12:14], s[4:5], 0x4
	s_load_b64 s[10:11], s[0:1], 0x0
	s_add_co_i32 s6, s6, -1
	s_wait_xcnt 0x0
	s_add_nc_u64 s[4:5], s[4:5], 12
	s_cmp_lg_u32 s6, 0
	s_add_nc_u64 s[0:1], s[0:1], 8
	s_wait_kmcnt 0x0
	v_mul_hi_u32 v17, s13, v15
	s_delay_alu instid0(VALU_DEP_1) | instskip(NEXT) | instid1(VALU_DEP_1)
	v_add_nc_u32_e32 v17, v15, v17
	v_lshrrev_b32_e32 v17, s14, v17
	s_delay_alu instid0(VALU_DEP_1) | instskip(NEXT) | instid1(VALU_DEP_1)
	v_mul_lo_u32 v18, v17, s12
	v_sub_nc_u32_e32 v15, v15, v18
	s_delay_alu instid0(VALU_DEP_1)
	v_mad_u32 v13, v15, s11, v13
	v_mad_u32 v12, v15, s10, v12
	v_mov_b32_e32 v15, v17
	s_cbranch_scc1 .LBB240_96
.LBB240_97:
	s_and_not1_b32 vcc_lo, exec_lo, s8
	s_cbranch_vccnz .LBB240_100
; %bb.98:
	s_clause 0x1
	s_load_b96 s[4:6], s[2:3], 0x4
	s_load_b64 s[0:1], s[2:3], 0xc4
	s_cmp_lt_u32 s30, 2
	s_wait_kmcnt 0x0
	v_mul_hi_u32 v12, s5, v1
	s_delay_alu instid0(VALU_DEP_1) | instskip(NEXT) | instid1(VALU_DEP_1)
	v_add_nc_u32_e32 v12, v1, v12
	v_lshrrev_b32_e32 v15, s6, v12
	s_delay_alu instid0(VALU_DEP_1) | instskip(NEXT) | instid1(VALU_DEP_1)
	v_mul_lo_u32 v12, v15, s4
	v_sub_nc_u32_e32 v1, v1, v12
	s_delay_alu instid0(VALU_DEP_1)
	v_mul_lo_u32 v13, v1, s1
	v_mul_lo_u32 v12, v1, s0
	s_cbranch_scc1 .LBB240_100
; %bb.99:
	s_clause 0x1
	s_load_b96 s[4:6], s[2:3], 0x10
	s_load_b64 s[0:1], s[2:3], 0xcc
	s_wait_kmcnt 0x0
	v_mul_hi_u32 v1, s5, v15
	s_delay_alu instid0(VALU_DEP_1) | instskip(NEXT) | instid1(VALU_DEP_1)
	v_add_nc_u32_e32 v1, v15, v1
	v_lshrrev_b32_e32 v1, s6, v1
	s_delay_alu instid0(VALU_DEP_1) | instskip(NEXT) | instid1(VALU_DEP_1)
	v_mul_lo_u32 v1, v1, s4
	v_sub_nc_u32_e32 v1, v15, v1
	s_delay_alu instid0(VALU_DEP_1)
	v_mad_u32 v12, v1, s0, v12
	v_mad_u32 v13, v1, s1, v13
.LBB240_100:
	v_cmp_ne_u32_e32 vcc_lo, 1, v14
	v_add_nc_u32_e32 v15, 0x300, v0
	s_cbranch_vccnz .LBB240_106
; %bb.101:
	s_cmp_lg_u32 s30, 0
	s_mov_b32 s8, 0
	s_cbranch_scc0 .LBB240_107
; %bb.102:
	s_min_u32 s1, s31, 15
	s_delay_alu instid0(SALU_CYCLE_1)
	s_add_co_i32 s1, s1, 1
	s_cmp_eq_u32 s31, 2
	s_cbranch_scc1 .LBB240_108
; %bb.103:
	v_dual_mov_b32 v0, 0 :: v_dual_mov_b32 v1, 0
	v_mov_b32_e32 v17, v15
	s_and_b32 s0, s1, 28
	s_add_nc_u64 s[4:5], s[2:3], 0xc4
	s_mov_b32 s9, 0
	s_mov_b64 s[6:7], s[2:3]
.LBB240_104:                            ; =>This Inner Loop Header: Depth=1
	s_clause 0x1
	s_load_b256 s[12:19], s[6:7], 0x4
	s_load_b128 s[36:39], s[6:7], 0x24
	s_load_b256 s[20:27], s[4:5], 0x0
	s_add_co_i32 s9, s9, 4
	s_wait_xcnt 0x0
	s_add_nc_u64 s[6:7], s[6:7], 48
	s_cmp_lg_u32 s0, s9
	s_add_nc_u64 s[4:5], s[4:5], 32
	s_wait_kmcnt 0x0
	v_mul_hi_u32 v18, s13, v17
	s_delay_alu instid0(VALU_DEP_1) | instskip(NEXT) | instid1(VALU_DEP_1)
	v_add_nc_u32_e32 v18, v17, v18
	v_lshrrev_b32_e32 v18, s14, v18
	s_delay_alu instid0(VALU_DEP_1) | instskip(NEXT) | instid1(VALU_DEP_1)
	v_mul_hi_u32 v19, s16, v18
	v_add_nc_u32_e32 v19, v18, v19
	s_delay_alu instid0(VALU_DEP_1) | instskip(NEXT) | instid1(VALU_DEP_1)
	v_lshrrev_b32_e32 v19, s17, v19
	v_mul_hi_u32 v20, s19, v19
	s_delay_alu instid0(VALU_DEP_1) | instskip(SKIP_1) | instid1(VALU_DEP_1)
	v_add_nc_u32_e32 v20, v19, v20
	v_mul_lo_u32 v21, v18, s12
	v_sub_nc_u32_e32 v17, v17, v21
	v_mul_lo_u32 v21, v19, s15
	s_delay_alu instid0(VALU_DEP_4) | instskip(NEXT) | instid1(VALU_DEP_3)
	v_lshrrev_b32_e32 v20, s36, v20
	v_mad_u32 v1, v17, s21, v1
	v_mad_u32 v0, v17, s20, v0
	s_delay_alu instid0(VALU_DEP_4) | instskip(NEXT) | instid1(VALU_DEP_4)
	v_sub_nc_u32_e32 v17, v18, v21
	v_mul_hi_u32 v22, s38, v20
	v_mul_lo_u32 v18, v20, s18
	s_delay_alu instid0(VALU_DEP_3) | instskip(SKIP_1) | instid1(VALU_DEP_4)
	v_mad_u32 v1, v17, s23, v1
	v_mad_u32 v0, v17, s22, v0
	v_add_nc_u32_e32 v21, v20, v22
	s_delay_alu instid0(VALU_DEP_1) | instskip(NEXT) | instid1(VALU_DEP_1)
	v_dual_sub_nc_u32 v18, v19, v18 :: v_dual_lshrrev_b32 v17, s39, v21
	v_mad_u32 v1, v18, s25, v1
	s_delay_alu instid0(VALU_DEP_4) | instskip(NEXT) | instid1(VALU_DEP_3)
	v_mad_u32 v0, v18, s24, v0
	v_mul_lo_u32 v19, v17, s37
	s_delay_alu instid0(VALU_DEP_1) | instskip(NEXT) | instid1(VALU_DEP_1)
	v_sub_nc_u32_e32 v18, v20, v19
	v_mad_u32 v1, v18, s27, v1
	s_delay_alu instid0(VALU_DEP_4)
	v_mad_u32 v0, v18, s26, v0
	s_cbranch_scc1 .LBB240_104
; %bb.105:
	s_and_b32 s6, s1, 3
	s_mov_b32 s1, 0
	s_cmp_eq_u32 s6, 0
	s_cbranch_scc0 .LBB240_109
	s_branch .LBB240_111
.LBB240_106:
	s_mov_b32 s8, -1
                                        ; implicit-def: $vgpr1
	s_branch .LBB240_111
.LBB240_107:
	v_dual_mov_b32 v1, 0 :: v_dual_mov_b32 v0, 0
	s_branch .LBB240_111
.LBB240_108:
	v_mov_b64_e32 v[0:1], 0
	v_mov_b32_e32 v17, v15
	s_mov_b32 s0, 0
	s_and_b32 s6, s1, 3
	s_mov_b32 s1, 0
	s_cmp_eq_u32 s6, 0
	s_cbranch_scc1 .LBB240_111
.LBB240_109:
	s_lshl_b32 s4, s0, 3
	s_mov_b32 s5, s1
	s_mul_u64 s[10:11], s[0:1], 12
	s_add_nc_u64 s[4:5], s[2:3], s[4:5]
	s_delay_alu instid0(SALU_CYCLE_1)
	s_add_nc_u64 s[0:1], s[4:5], 0xc4
	s_add_nc_u64 s[4:5], s[2:3], s[10:11]
.LBB240_110:                            ; =>This Inner Loop Header: Depth=1
	s_load_b96 s[12:14], s[4:5], 0x4
	s_load_b64 s[10:11], s[0:1], 0x0
	s_add_co_i32 s6, s6, -1
	s_wait_xcnt 0x0
	s_add_nc_u64 s[4:5], s[4:5], 12
	s_cmp_lg_u32 s6, 0
	s_add_nc_u64 s[0:1], s[0:1], 8
	s_wait_kmcnt 0x0
	v_mul_hi_u32 v18, s13, v17
	s_delay_alu instid0(VALU_DEP_1) | instskip(NEXT) | instid1(VALU_DEP_1)
	v_add_nc_u32_e32 v18, v17, v18
	v_lshrrev_b32_e32 v18, s14, v18
	s_delay_alu instid0(VALU_DEP_1) | instskip(NEXT) | instid1(VALU_DEP_1)
	v_mul_lo_u32 v19, v18, s12
	v_sub_nc_u32_e32 v17, v17, v19
	s_delay_alu instid0(VALU_DEP_1)
	v_mad_u32 v1, v17, s11, v1
	v_mad_u32 v0, v17, s10, v0
	v_mov_b32_e32 v17, v18
	s_cbranch_scc1 .LBB240_110
.LBB240_111:
	s_and_not1_b32 vcc_lo, exec_lo, s8
	s_cbranch_vccnz .LBB240_114
; %bb.112:
	s_clause 0x1
	s_load_b96 s[4:6], s[2:3], 0x4
	s_load_b64 s[0:1], s[2:3], 0xc4
	s_cmp_lt_u32 s30, 2
	s_wait_kmcnt 0x0
	v_mul_hi_u32 v0, s5, v15
	s_delay_alu instid0(VALU_DEP_1) | instskip(NEXT) | instid1(VALU_DEP_1)
	v_add_nc_u32_e32 v0, v15, v0
	v_lshrrev_b32_e32 v17, s6, v0
	s_delay_alu instid0(VALU_DEP_1) | instskip(NEXT) | instid1(VALU_DEP_1)
	v_mul_lo_u32 v0, v17, s4
	v_sub_nc_u32_e32 v0, v15, v0
	s_delay_alu instid0(VALU_DEP_1)
	v_mul_lo_u32 v1, v0, s1
	v_mul_lo_u32 v0, v0, s0
	s_cbranch_scc1 .LBB240_114
; %bb.113:
	s_clause 0x1
	s_load_b96 s[4:6], s[2:3], 0x10
	s_load_b64 s[0:1], s[2:3], 0xcc
	s_wait_kmcnt 0x0
	v_mul_hi_u32 v15, s5, v17
	s_delay_alu instid0(VALU_DEP_1) | instskip(NEXT) | instid1(VALU_DEP_1)
	v_add_nc_u32_e32 v15, v17, v15
	v_lshrrev_b32_e32 v15, s6, v15
	s_delay_alu instid0(VALU_DEP_1) | instskip(NEXT) | instid1(VALU_DEP_1)
	v_mul_lo_u32 v15, v15, s4
	v_sub_nc_u32_e32 v15, v17, v15
	s_delay_alu instid0(VALU_DEP_1)
	v_mad_u32 v0, v15, s0, v0
	v_mad_u32 v1, v15, s1, v1
.LBB240_114:
	v_cmp_ne_u32_e32 vcc_lo, 1, v14
	s_cbranch_vccnz .LBB240_120
; %bb.115:
	s_cmp_lg_u32 s30, 0
	s_mov_b32 s8, 0
	s_cbranch_scc0 .LBB240_121
; %bb.116:
	s_min_u32 s1, s31, 15
	s_delay_alu instid0(SALU_CYCLE_1)
	s_add_co_i32 s1, s1, 1
	s_cmp_eq_u32 s31, 2
	s_cbranch_scc1 .LBB240_122
; %bb.117:
	v_dual_mov_b32 v14, 0 :: v_dual_mov_b32 v15, 0
	v_mov_b32_e32 v17, v16
	s_and_b32 s0, s1, 28
	s_add_nc_u64 s[4:5], s[2:3], 0xc4
	s_mov_b32 s9, 0
	s_mov_b64 s[6:7], s[2:3]
.LBB240_118:                            ; =>This Inner Loop Header: Depth=1
	s_clause 0x1
	s_load_b256 s[12:19], s[6:7], 0x4
	s_load_b128 s[36:39], s[6:7], 0x24
	s_load_b256 s[20:27], s[4:5], 0x0
	s_add_co_i32 s9, s9, 4
	s_wait_xcnt 0x0
	s_add_nc_u64 s[6:7], s[6:7], 48
	s_cmp_lg_u32 s0, s9
	s_add_nc_u64 s[4:5], s[4:5], 32
	s_wait_kmcnt 0x0
	v_mul_hi_u32 v18, s13, v17
	s_delay_alu instid0(VALU_DEP_1) | instskip(NEXT) | instid1(VALU_DEP_1)
	v_add_nc_u32_e32 v18, v17, v18
	v_lshrrev_b32_e32 v18, s14, v18
	s_delay_alu instid0(VALU_DEP_1) | instskip(NEXT) | instid1(VALU_DEP_1)
	v_mul_hi_u32 v19, s16, v18
	v_add_nc_u32_e32 v19, v18, v19
	s_delay_alu instid0(VALU_DEP_1) | instskip(NEXT) | instid1(VALU_DEP_1)
	v_lshrrev_b32_e32 v19, s17, v19
	v_mul_hi_u32 v20, s19, v19
	s_delay_alu instid0(VALU_DEP_1) | instskip(SKIP_1) | instid1(VALU_DEP_1)
	v_add_nc_u32_e32 v20, v19, v20
	v_mul_lo_u32 v21, v18, s12
	v_sub_nc_u32_e32 v17, v17, v21
	v_mul_lo_u32 v21, v19, s15
	s_delay_alu instid0(VALU_DEP_4) | instskip(NEXT) | instid1(VALU_DEP_3)
	v_lshrrev_b32_e32 v20, s36, v20
	v_mad_u32 v15, v17, s21, v15
	v_mad_u32 v14, v17, s20, v14
	s_delay_alu instid0(VALU_DEP_4) | instskip(NEXT) | instid1(VALU_DEP_4)
	v_sub_nc_u32_e32 v17, v18, v21
	v_mul_hi_u32 v22, s38, v20
	v_mul_lo_u32 v18, v20, s18
	s_delay_alu instid0(VALU_DEP_3) | instskip(SKIP_1) | instid1(VALU_DEP_4)
	v_mad_u32 v15, v17, s23, v15
	v_mad_u32 v14, v17, s22, v14
	v_add_nc_u32_e32 v21, v20, v22
	s_delay_alu instid0(VALU_DEP_1) | instskip(NEXT) | instid1(VALU_DEP_1)
	v_dual_sub_nc_u32 v18, v19, v18 :: v_dual_lshrrev_b32 v17, s39, v21
	v_mad_u32 v15, v18, s25, v15
	s_delay_alu instid0(VALU_DEP_4) | instskip(NEXT) | instid1(VALU_DEP_3)
	v_mad_u32 v14, v18, s24, v14
	v_mul_lo_u32 v19, v17, s37
	s_delay_alu instid0(VALU_DEP_1) | instskip(NEXT) | instid1(VALU_DEP_1)
	v_sub_nc_u32_e32 v18, v20, v19
	v_mad_u32 v15, v18, s27, v15
	s_delay_alu instid0(VALU_DEP_4)
	v_mad_u32 v14, v18, s26, v14
	s_cbranch_scc1 .LBB240_118
; %bb.119:
	s_and_b32 s6, s1, 3
	s_mov_b32 s1, 0
	s_cmp_eq_u32 s6, 0
	s_cbranch_scc0 .LBB240_123
	s_branch .LBB240_125
.LBB240_120:
	s_mov_b32 s8, -1
                                        ; implicit-def: $vgpr15
	s_branch .LBB240_125
.LBB240_121:
	v_dual_mov_b32 v15, 0 :: v_dual_mov_b32 v14, 0
	s_branch .LBB240_125
.LBB240_122:
	v_mov_b64_e32 v[14:15], 0
	v_mov_b32_e32 v17, v16
	s_mov_b32 s0, 0
	s_and_b32 s6, s1, 3
	s_mov_b32 s1, 0
	s_cmp_eq_u32 s6, 0
	s_cbranch_scc1 .LBB240_125
.LBB240_123:
	s_lshl_b32 s4, s0, 3
	s_mov_b32 s5, s1
	s_mul_u64 s[10:11], s[0:1], 12
	s_add_nc_u64 s[4:5], s[2:3], s[4:5]
	s_delay_alu instid0(SALU_CYCLE_1)
	s_add_nc_u64 s[0:1], s[4:5], 0xc4
	s_add_nc_u64 s[4:5], s[2:3], s[10:11]
.LBB240_124:                            ; =>This Inner Loop Header: Depth=1
	s_load_b96 s[12:14], s[4:5], 0x4
	s_load_b64 s[10:11], s[0:1], 0x0
	s_add_co_i32 s6, s6, -1
	s_wait_xcnt 0x0
	s_add_nc_u64 s[4:5], s[4:5], 12
	s_cmp_lg_u32 s6, 0
	s_add_nc_u64 s[0:1], s[0:1], 8
	s_wait_kmcnt 0x0
	v_mul_hi_u32 v18, s13, v17
	s_delay_alu instid0(VALU_DEP_1) | instskip(NEXT) | instid1(VALU_DEP_1)
	v_add_nc_u32_e32 v18, v17, v18
	v_lshrrev_b32_e32 v18, s14, v18
	s_delay_alu instid0(VALU_DEP_1) | instskip(NEXT) | instid1(VALU_DEP_1)
	v_mul_lo_u32 v19, v18, s12
	v_sub_nc_u32_e32 v17, v17, v19
	s_delay_alu instid0(VALU_DEP_1)
	v_mad_u32 v15, v17, s11, v15
	v_mad_u32 v14, v17, s10, v14
	v_mov_b32_e32 v17, v18
	s_cbranch_scc1 .LBB240_124
.LBB240_125:
	s_and_not1_b32 vcc_lo, exec_lo, s8
	s_cbranch_vccnz .LBB240_128
; %bb.126:
	s_clause 0x1
	s_load_b96 s[4:6], s[2:3], 0x4
	s_load_b64 s[0:1], s[2:3], 0xc4
	s_cmp_lt_u32 s30, 2
	s_wait_kmcnt 0x0
	v_mul_hi_u32 v14, s5, v16
	s_delay_alu instid0(VALU_DEP_1) | instskip(NEXT) | instid1(VALU_DEP_1)
	v_add_nc_u32_e32 v14, v16, v14
	v_lshrrev_b32_e32 v17, s6, v14
	s_delay_alu instid0(VALU_DEP_1) | instskip(NEXT) | instid1(VALU_DEP_1)
	v_mul_lo_u32 v14, v17, s4
	v_sub_nc_u32_e32 v14, v16, v14
	s_delay_alu instid0(VALU_DEP_1)
	v_mul_lo_u32 v15, v14, s1
	v_mul_lo_u32 v14, v14, s0
	s_cbranch_scc1 .LBB240_128
; %bb.127:
	s_clause 0x1
	s_load_b96 s[4:6], s[2:3], 0x10
	s_load_b64 s[0:1], s[2:3], 0xcc
	s_wait_kmcnt 0x0
	v_mul_hi_u32 v16, s5, v17
	s_delay_alu instid0(VALU_DEP_1) | instskip(NEXT) | instid1(VALU_DEP_1)
	v_add_nc_u32_e32 v16, v17, v16
	v_lshrrev_b32_e32 v16, s6, v16
	s_delay_alu instid0(VALU_DEP_1) | instskip(NEXT) | instid1(VALU_DEP_1)
	v_mul_lo_u32 v16, v16, s4
	v_sub_nc_u32_e32 v16, v17, v16
	s_delay_alu instid0(VALU_DEP_1)
	v_mad_u32 v14, v16, s0, v14
	v_mad_u32 v15, v16, s1, v15
.LBB240_128:
	s_clause 0x1
	s_load_b128 s[4:7], s[2:3], 0x148
	s_load_b64 s[0:1], s[2:3], 0x158
	s_wait_xcnt 0x0
	s_mov_b32 s3, 0x7f007f00
	s_wait_kmcnt 0x0
	s_clause 0x7
	global_load_u8 v17, v3, s[6:7]
	global_load_u8 v18, v15, s[6:7]
	;; [unrolled: 1-line block ×8, first 2 shown]
	s_cmp_eq_u32 s0, 0
	s_mov_b32 s0, 0x7800000
	s_cselect_b32 vcc_lo, -1, 0
	s_lshl_b32 s2, s1, 25
	s_wait_xcnt 0x0
	s_lshr_b32 s6, s2, 4
	s_cmp_lt_u32 s2, 0x8000000
	v_or_b32_e64 v16, 0x70000000, s6
	s_wait_loadcnt 0x7
	v_lshlrev_b16 v1, 8, v17
	s_wait_loadcnt 0x6
	v_perm_b32 v5, v18, s1, 0x5040100
	v_dual_lshlrev_b32 v3, 25, v17 :: v_dual_lshlrev_b32 v7, 25, v18
	s_wait_loadcnt 0x4
	v_perm_b32 v9, v19, v20, 0x5040100
	v_dual_lshlrev_b32 v11, 25, v20 :: v_dual_lshlrev_b32 v13, 25, v19
	;; [unrolled: 3-line block ×4, first 2 shown]
	v_pk_lshlrev_b16 v5, 8, v5 op_sel_hi:[0,1]
	v_dual_lshrrev_b32 v18, 4, v3 :: v_dual_lshrrev_b32 v21, 4, v13
	v_and_or_b32 v19, 0x7f00, v1, 0.5
	v_dual_lshrrev_b32 v20, 4, v7 :: v_dual_lshrrev_b32 v23, 4, v33
	v_pk_lshlrev_b16 v9, 8, v9 op_sel_hi:[0,1]
	v_dual_lshrrev_b32 v22, 4, v11 :: v_dual_lshrrev_b32 v24, 4, v32
	v_pk_lshlrev_b16 v15, 8, v15 op_sel_hi:[0,1]
	v_pk_lshlrev_b16 v25, 8, v17 op_sel_hi:[0,1]
	v_dual_lshrrev_b32 v26, 4, v35 :: v_dual_lshrrev_b32 v27, 4, v34
	v_and_b32_e32 v30, 0x7f007f00, v5
	v_or_b32_e32 v28, 0x70000000, v18
	v_dual_add_f32 v29, -0.5, v19 :: v_dual_ashrrev_i32 v36, 16, v5
	v_or_b32_e32 v17, 0x70000000, v20
	v_bitop3_b32 v31, v5, 0x7f00, s3 bitop3:0x80
	v_or_b32_e32 v19, 0x70000000, v21
	v_or_b32_e32 v18, 0x70000000, v22
	v_and_b32_e32 v37, 0x7f007f00, v9
	v_dual_ashrrev_i32 v39, 16, v9 :: v_dual_ashrrev_i32 v42, 16, v15
	v_or_b32_e32 v21, 0x70000000, v23
	v_or_b32_e32 v20, 0x70000000, v24
	;; [unrolled: 1-line block ×4, first 2 shown]
	v_and_b32_e32 v27, 0x7f007f00, v25
	v_bitop3_b32 v43, v25, 0x7f00, s3 bitop3:0x80
	v_dual_mul_f32 v45, 0x7800000, v28 :: v_dual_ashrrev_i32 v44, 16, v25
	v_bfe_i32 v25, v25, 0, 16
	v_dual_lshrrev_b32 v46, 16, v30 :: v_dual_bitop2_b32 v24, 0.5, v31 bitop3:0x54
	v_bitop3_b32 v38, v9, 0x7f00, s3 bitop3:0x80
	v_and_b32_e32 v40, 0x7f007f00, v15
	v_pk_mul_f32 v[16:17], v[16:17], s[0:1] op_sel_hi:[1,0]
	v_lshrrev_b32_e32 v31, 16, v37
	v_pk_mul_f32 v[18:19], v[18:19], s[0:1] op_sel_hi:[1,0]
	v_and_b32_e32 v37, 0x80000000, v39
	v_pk_mul_f32 v[20:21], v[20:21], s[0:1] op_sel_hi:[1,0]
	v_and_b32_e32 v39, 0x80000000, v42
	;; [unrolled: 2-line block ×3, first 2 shown]
	v_cmp_gt_u32_e64 s0, 0x8000000, v3
	v_or_b32_e32 v25, 0.5, v46
	v_bfe_i32 v1, v1, 0, 16
	v_bitop3_b32 v41, v15, 0x7f00, s3 bitop3:0x80
	v_dual_lshrrev_b32 v38, 16, v40 :: v_dual_bitop2_b32 v26, 0.5, v38 bitop3:0x54
	v_dual_lshrrev_b32 v40, 16, v27 :: v_dual_cndmask_b32 v3, v45, v29, s0
	v_pk_add_f32 v[24:25], v[24:25], -0.5 op_sel_hi:[1,0]
	v_cmp_gt_u32_e64 s0, 0x8000000, v7
	v_or_b32_e32 v27, 0.5, v31
	v_or_b32_e32 v30, 0.5, v43
	v_and_or_b32 v1, 0x80000000, v1, v3
	v_or_b32_e32 v28, 0.5, v41
	v_cndmask_b32_e64 v3, v17, v25, s0
	s_cselect_b32 s0, -1, 0
	v_pk_add_f32 v[26:27], v[26:27], -0.5 op_sel_hi:[1,0]
	v_cndmask_b32_e64 v7, v16, v24, s0
	v_cmp_gt_u32_e64 s0, 0x8000000, v13
	v_or_b32_e32 v29, 0.5, v38
	v_bfe_i32 v5, v5, 0, 16
	v_bfe_i32 v15, v15, 0, 16
	v_and_b32_e32 v36, 0x80000000, v36
	v_cndmask_b32_e64 v13, v19, v27, s0
	v_cmp_gt_u32_e64 s0, 0x8000000, v11
	v_pk_add_f32 v[28:29], v[28:29], -0.5 op_sel_hi:[1,0]
	v_and_b32_e32 v5, 0x80000000, v5
	v_and_b32_e32 v15, 0x80000000, v15
	v_bfe_i32 v9, v9, 0, 16
	v_cndmask_b32_e64 v11, v18, v26, s0
	v_cmp_gt_u32_e64 s0, 0x8000000, v33
	v_or_b32_e32 v31, 0.5, v40
	v_or_b32_e32 v5, v5, v7
	v_or_b32_e32 v7, v37, v13
	v_and_b32_e32 v41, 0x80000000, v44
	v_cndmask_b32_e64 v16, v21, v29, s0
	v_cmp_gt_u32_e64 s0, 0x8000000, v32
	v_pk_add_f32 v[30:31], v[30:31], -0.5 op_sel_hi:[1,0]
	v_and_b32_e32 v9, 0x80000000, v9
	v_or_b32_e32 v3, v36, v3
	s_delay_alu instid0(VALU_DEP_4) | instskip(SKIP_1) | instid1(VALU_DEP_1)
	v_cndmask_b32_e64 v17, v20, v28, s0
	v_cmp_gt_u32_e64 s0, 0x8000000, v35
	v_cndmask_b32_e64 v18, v23, v31, s0
	v_cmp_gt_u32_e64 s0, 0x8000000, v34
	s_delay_alu instid0(VALU_DEP_4) | instskip(NEXT) | instid1(VALU_DEP_3)
	v_or_b32_e32 v13, v15, v17
	v_or_b32_e32 v15, v41, v18
	s_delay_alu instid0(VALU_DEP_3) | instskip(SKIP_1) | instid1(VALU_DEP_1)
	v_cndmask_b32_e64 v19, v22, v30, s0
	v_cmp_eq_f32_e64 s0, v5, v1
	v_cndmask_b32_e64 v17, 0, 1, s0
	v_cmp_neq_f32_e64 s0, v5, v1
	s_delay_alu instid0(VALU_DEP_1) | instskip(SKIP_1) | instid1(VALU_DEP_2)
	v_cndmask_b32_e64 v1, 0, 1, s0
	v_cmp_eq_f32_e64 s0, v5, v7
	v_cndmask_b32_e32 v1, v1, v17, vcc_lo
	s_delay_alu instid0(VALU_DEP_2) | instskip(SKIP_1) | instid1(VALU_DEP_3)
	v_cndmask_b32_e64 v18, 0, 1, s0
	v_cmp_neq_f32_e64 s0, v5, v7
	v_and_b32_e32 v1, 1, v1
	s_delay_alu instid0(VALU_DEP_2) | instskip(SKIP_3) | instid1(VALU_DEP_3)
	v_cndmask_b32_e64 v7, 0, 1, s0
	v_or_b32_e32 v9, v9, v11
	v_or_b32_e32 v11, v39, v16
	;; [unrolled: 1-line block ×3, first 2 shown]
	v_cmp_eq_f32_e64 s0, v5, v9
	s_delay_alu instid0(VALU_DEP_1) | instskip(SKIP_1) | instid1(VALU_DEP_1)
	v_cndmask_b32_e64 v19, 0, 1, s0
	v_cmp_neq_f32_e64 s0, v5, v9
	v_cndmask_b32_e64 v9, 0, 1, s0
	v_cmp_eq_f32_e64 s0, v5, v11
	s_delay_alu instid0(VALU_DEP_1) | instskip(SKIP_1) | instid1(VALU_DEP_1)
	v_cndmask_b32_e64 v20, 0, 1, s0
	v_cmp_neq_f32_e64 s0, v5, v11
	v_cndmask_b32_e64 v11, 0, 1, s0
	;; [unrolled: 5-line block ×5, first 2 shown]
	v_cmp_eq_f32_e64 s0, v5, v3
	s_delay_alu instid0(VALU_DEP_1) | instskip(SKIP_3) | instid1(VALU_DEP_3)
	v_cndmask_b32_e64 v24, 0, 1, s0
	v_cmp_neq_f32_e64 s0, v5, v3
	v_dual_cndmask_b32 v5, v7, v18, vcc_lo :: v_dual_cndmask_b32 v7, v9, v19, vcc_lo
	v_dual_cndmask_b32 v9, v11, v20, vcc_lo :: v_dual_cndmask_b32 v11, v13, v21, vcc_lo
	v_cndmask_b32_e64 v3, 0, 1, s0
	v_dual_cndmask_b32 v13, v15, v22, vcc_lo :: v_dual_cndmask_b32 v15, v16, v23, vcc_lo
	s_delay_alu instid0(VALU_DEP_4) | instskip(NEXT) | instid1(VALU_DEP_3)
	v_and_b32_e32 v5, 1, v5
	v_dual_cndmask_b32 v3, v3, v24, vcc_lo :: v_dual_bitop2_b32 v7, 1, v7 bitop3:0x40
	v_and_b32_e32 v9, 1, v9
	v_and_b32_e32 v11, 1, v11
	;; [unrolled: 1-line block ×5, first 2 shown]
	s_clause 0x7
	global_store_b8 v2, v1, s[4:5]
	global_store_b8 v4, v5, s[4:5]
	global_store_b8 v6, v7, s[4:5]
	global_store_b8 v8, v9, s[4:5]
	global_store_b8 v10, v11, s[4:5]
	global_store_b8 v12, v13, s[4:5]
	global_store_b8 v0, v15, s[4:5]
	global_store_b8 v14, v3, s[4:5]
	s_endpgm
.LBB240_129:
	v_dual_mov_b32 v3, 0 :: v_dual_mov_b32 v2, 0
	s_branch .LBB240_135
.LBB240_130:
	v_dual_mov_b32 v3, 0 :: v_dual_mov_b32 v2, 0
	s_branch .LBB240_151
.LBB240_131:
	v_mov_b64_e32 v[2:3], 0
	v_mov_b32_e32 v1, v0
	s_mov_b32 s24, 0
.LBB240_132:
	s_and_b32 s28, s25, 3
	s_mov_b32 s25, 0
	s_cmp_eq_u32 s28, 0
	s_cbranch_scc1 .LBB240_135
; %bb.133:
	s_lshl_b32 s26, s24, 3
	s_mov_b32 s27, s25
	s_mul_u64 s[38:39], s[24:25], 12
	s_add_nc_u64 s[26:27], s[2:3], s[26:27]
	s_delay_alu instid0(SALU_CYCLE_1)
	s_add_nc_u64 s[24:25], s[26:27], 0xc4
	s_add_nc_u64 s[26:27], s[2:3], s[38:39]
.LBB240_134:                            ; =>This Inner Loop Header: Depth=1
	s_load_b96 s[40:42], s[26:27], 0x4
	s_load_b64 s[38:39], s[24:25], 0x0
	s_add_co_i32 s28, s28, -1
	s_wait_xcnt 0x0
	s_add_nc_u64 s[26:27], s[26:27], 12
	s_cmp_lg_u32 s28, 0
	s_add_nc_u64 s[24:25], s[24:25], 8
	s_wait_kmcnt 0x0
	v_mul_hi_u32 v4, s41, v1
	s_delay_alu instid0(VALU_DEP_1) | instskip(NEXT) | instid1(VALU_DEP_1)
	v_add_nc_u32_e32 v4, v1, v4
	v_lshrrev_b32_e32 v4, s42, v4
	s_delay_alu instid0(VALU_DEP_1) | instskip(NEXT) | instid1(VALU_DEP_1)
	v_mul_lo_u32 v5, v4, s40
	v_sub_nc_u32_e32 v1, v1, v5
	s_delay_alu instid0(VALU_DEP_1)
	v_mad_u32 v3, v1, s39, v3
	v_mad_u32 v2, v1, s38, v2
	v_mov_b32_e32 v1, v4
	s_cbranch_scc1 .LBB240_134
.LBB240_135:
	s_cbranch_execnz .LBB240_138
.LBB240_136:
	v_mov_b32_e32 v1, 0
	s_and_not1_b32 vcc_lo, exec_lo, s34
	s_delay_alu instid0(VALU_DEP_1) | instskip(NEXT) | instid1(VALU_DEP_1)
	v_mul_u64_e32 v[2:3], s[16:17], v[0:1]
	v_add_nc_u32_e32 v2, v0, v3
	s_delay_alu instid0(VALU_DEP_1) | instskip(NEXT) | instid1(VALU_DEP_1)
	v_lshrrev_b32_e32 v4, s10, v2
	v_mul_lo_u32 v2, v4, s8
	s_delay_alu instid0(VALU_DEP_1) | instskip(NEXT) | instid1(VALU_DEP_1)
	v_sub_nc_u32_e32 v2, v0, v2
	v_mul_lo_u32 v3, v2, s13
	v_mul_lo_u32 v2, v2, s12
	s_cbranch_vccnz .LBB240_138
; %bb.137:
	v_mov_b32_e32 v5, v1
	s_delay_alu instid0(VALU_DEP_1) | instskip(NEXT) | instid1(VALU_DEP_1)
	v_mul_u64_e32 v[6:7], s[20:21], v[4:5]
	v_add_nc_u32_e32 v1, v4, v7
	s_delay_alu instid0(VALU_DEP_1) | instskip(NEXT) | instid1(VALU_DEP_1)
	v_lshrrev_b32_e32 v1, s19, v1
	v_mul_lo_u32 v1, v1, s11
	s_delay_alu instid0(VALU_DEP_1) | instskip(NEXT) | instid1(VALU_DEP_1)
	v_sub_nc_u32_e32 v1, v4, v1
	v_mad_u32 v2, v1, s14, v2
	v_mad_u32 v3, v1, s15, v3
.LBB240_138:
	global_load_u8 v1, v3, s[6:7]
	v_add_nc_u32_e32 v0, 0x80, v0
	s_wait_loadcnt 0x0
	v_lshlrev_b32_e32 v3, 25, v1
	v_lshlrev_b16 v1, 8, v1
	s_delay_alu instid0(VALU_DEP_1) | instskip(NEXT) | instid1(VALU_DEP_3)
	v_and_or_b32 v5, 0x7f00, v1, 0.5
	v_lshrrev_b32_e32 v4, 4, v3
	v_bfe_i32 v1, v1, 0, 16
	s_delay_alu instid0(VALU_DEP_3) | instskip(NEXT) | instid1(VALU_DEP_3)
	v_add_f32_e32 v5, -0.5, v5
	v_or_b32_e32 v4, 0x70000000, v4
	s_delay_alu instid0(VALU_DEP_1) | instskip(SKIP_1) | instid1(VALU_DEP_2)
	v_mul_f32_e32 v4, 0x7800000, v4
	v_cmp_gt_u32_e32 vcc_lo, 0x8000000, v3
	v_cndmask_b32_e32 v3, v4, v5, vcc_lo
	s_delay_alu instid0(VALU_DEP_1) | instskip(NEXT) | instid1(VALU_DEP_1)
	v_and_or_b32 v1, 0x80000000, v1, v3
	v_cmp_eq_f32_e32 vcc_lo, s9, v1
	v_cndmask_b32_e64 v3, 0, 1, vcc_lo
	v_cmp_neq_f32_e32 vcc_lo, s9, v1
	v_cndmask_b32_e64 v1, 0, 1, vcc_lo
	s_delay_alu instid0(VALU_DEP_1) | instskip(NEXT) | instid1(VALU_DEP_1)
	v_cndmask_b32_e64 v1, v1, v3, s0
	v_and_b32_e32 v1, 1, v1
	global_store_b8 v2, v1, s[4:5]
	s_wait_xcnt 0x0
	s_or_b32 exec_lo, exec_lo, s18
	s_delay_alu instid0(SALU_CYCLE_1)
	s_mov_b32 s18, exec_lo
	v_cmpx_gt_i32_e64 s35, v0
	s_cbranch_execnz .LBB240_15
.LBB240_139:
	s_or_b32 exec_lo, exec_lo, s18
	s_delay_alu instid0(SALU_CYCLE_1)
	s_mov_b32 s18, exec_lo
	v_cmpx_gt_i32_e64 s35, v0
	s_cbranch_execz .LBB240_155
.LBB240_140:
	s_and_not1_b32 vcc_lo, exec_lo, s1
	s_cbranch_vccnz .LBB240_145
; %bb.141:
	s_and_not1_b32 vcc_lo, exec_lo, s37
	s_cbranch_vccnz .LBB240_146
; %bb.142:
	s_add_co_i32 s25, s36, 1
	s_cmp_eq_u32 s31, 2
	s_cbranch_scc1 .LBB240_163
; %bb.143:
	v_dual_mov_b32 v2, 0 :: v_dual_mov_b32 v3, 0
	v_mov_b32_e32 v1, v0
	s_and_b32 s24, s25, 28
	s_mov_b32 s38, 0
	s_mov_b64 s[26:27], s[2:3]
	s_mov_b64 s[28:29], s[22:23]
.LBB240_144:                            ; =>This Inner Loop Header: Depth=1
	s_clause 0x1
	s_load_b256 s[40:47], s[26:27], 0x4
	s_load_b128 s[56:59], s[26:27], 0x24
	s_load_b256 s[48:55], s[28:29], 0x0
	s_add_co_i32 s38, s38, 4
	s_wait_xcnt 0x0
	s_add_nc_u64 s[26:27], s[26:27], 48
	s_cmp_eq_u32 s24, s38
	s_add_nc_u64 s[28:29], s[28:29], 32
	s_wait_kmcnt 0x0
	v_mul_hi_u32 v4, s41, v1
	s_delay_alu instid0(VALU_DEP_1) | instskip(NEXT) | instid1(VALU_DEP_1)
	v_add_nc_u32_e32 v4, v1, v4
	v_lshrrev_b32_e32 v4, s42, v4
	s_delay_alu instid0(VALU_DEP_1) | instskip(NEXT) | instid1(VALU_DEP_1)
	v_mul_hi_u32 v5, s44, v4
	v_add_nc_u32_e32 v5, v4, v5
	s_delay_alu instid0(VALU_DEP_1) | instskip(NEXT) | instid1(VALU_DEP_1)
	v_lshrrev_b32_e32 v5, s45, v5
	v_mul_hi_u32 v6, s47, v5
	s_delay_alu instid0(VALU_DEP_1) | instskip(SKIP_1) | instid1(VALU_DEP_1)
	v_add_nc_u32_e32 v6, v5, v6
	v_mul_lo_u32 v7, v4, s40
	v_sub_nc_u32_e32 v1, v1, v7
	v_mul_lo_u32 v7, v5, s43
	s_delay_alu instid0(VALU_DEP_4) | instskip(NEXT) | instid1(VALU_DEP_3)
	v_lshrrev_b32_e32 v6, s56, v6
	v_mad_u32 v3, v1, s49, v3
	v_mad_u32 v1, v1, s48, v2
	s_delay_alu instid0(VALU_DEP_4) | instskip(NEXT) | instid1(VALU_DEP_4)
	v_sub_nc_u32_e32 v2, v4, v7
	v_mul_hi_u32 v8, s58, v6
	v_mul_lo_u32 v4, v6, s46
	s_delay_alu instid0(VALU_DEP_3) | instskip(SKIP_1) | instid1(VALU_DEP_4)
	v_mad_u32 v3, v2, s51, v3
	v_mad_u32 v2, v2, s50, v1
	v_add_nc_u32_e32 v7, v6, v8
	s_delay_alu instid0(VALU_DEP_1) | instskip(NEXT) | instid1(VALU_DEP_1)
	v_dual_sub_nc_u32 v4, v5, v4 :: v_dual_lshrrev_b32 v1, s59, v7
	v_mad_u32 v3, v4, s53, v3
	s_delay_alu instid0(VALU_DEP_4) | instskip(NEXT) | instid1(VALU_DEP_3)
	v_mad_u32 v2, v4, s52, v2
	v_mul_lo_u32 v5, v1, s57
	s_delay_alu instid0(VALU_DEP_1) | instskip(NEXT) | instid1(VALU_DEP_1)
	v_sub_nc_u32_e32 v4, v6, v5
	v_mad_u32 v3, v4, s55, v3
	s_delay_alu instid0(VALU_DEP_4)
	v_mad_u32 v2, v4, s54, v2
	s_cbranch_scc0 .LBB240_144
	s_branch .LBB240_164
.LBB240_145:
                                        ; implicit-def: $vgpr3
	s_branch .LBB240_168
.LBB240_146:
	v_dual_mov_b32 v3, 0 :: v_dual_mov_b32 v2, 0
	s_branch .LBB240_167
.LBB240_147:
	v_mov_b64_e32 v[2:3], 0
	v_mov_b32_e32 v1, v0
	s_mov_b32 s24, 0
.LBB240_148:
	s_and_b32 s28, s25, 3
	s_mov_b32 s25, 0
	s_cmp_eq_u32 s28, 0
	s_cbranch_scc1 .LBB240_151
; %bb.149:
	s_lshl_b32 s26, s24, 3
	s_mov_b32 s27, s25
	s_mul_u64 s[38:39], s[24:25], 12
	s_add_nc_u64 s[26:27], s[2:3], s[26:27]
	s_delay_alu instid0(SALU_CYCLE_1)
	s_add_nc_u64 s[24:25], s[26:27], 0xc4
	s_add_nc_u64 s[26:27], s[2:3], s[38:39]
.LBB240_150:                            ; =>This Inner Loop Header: Depth=1
	s_load_b96 s[40:42], s[26:27], 0x4
	s_load_b64 s[38:39], s[24:25], 0x0
	s_add_co_i32 s28, s28, -1
	s_wait_xcnt 0x0
	s_add_nc_u64 s[26:27], s[26:27], 12
	s_cmp_lg_u32 s28, 0
	s_add_nc_u64 s[24:25], s[24:25], 8
	s_wait_kmcnt 0x0
	v_mul_hi_u32 v4, s41, v1
	s_delay_alu instid0(VALU_DEP_1) | instskip(NEXT) | instid1(VALU_DEP_1)
	v_add_nc_u32_e32 v4, v1, v4
	v_lshrrev_b32_e32 v4, s42, v4
	s_delay_alu instid0(VALU_DEP_1) | instskip(NEXT) | instid1(VALU_DEP_1)
	v_mul_lo_u32 v5, v4, s40
	v_sub_nc_u32_e32 v1, v1, v5
	s_delay_alu instid0(VALU_DEP_1)
	v_mad_u32 v3, v1, s39, v3
	v_mad_u32 v2, v1, s38, v2
	v_mov_b32_e32 v1, v4
	s_cbranch_scc1 .LBB240_150
.LBB240_151:
	s_cbranch_execnz .LBB240_154
.LBB240_152:
	v_mov_b32_e32 v1, 0
	s_and_not1_b32 vcc_lo, exec_lo, s34
	s_delay_alu instid0(VALU_DEP_1) | instskip(NEXT) | instid1(VALU_DEP_1)
	v_mul_u64_e32 v[2:3], s[16:17], v[0:1]
	v_add_nc_u32_e32 v2, v0, v3
	s_delay_alu instid0(VALU_DEP_1) | instskip(NEXT) | instid1(VALU_DEP_1)
	v_lshrrev_b32_e32 v4, s10, v2
	v_mul_lo_u32 v2, v4, s8
	s_delay_alu instid0(VALU_DEP_1) | instskip(NEXT) | instid1(VALU_DEP_1)
	v_sub_nc_u32_e32 v2, v0, v2
	v_mul_lo_u32 v3, v2, s13
	v_mul_lo_u32 v2, v2, s12
	s_cbranch_vccnz .LBB240_154
; %bb.153:
	v_mov_b32_e32 v5, v1
	s_delay_alu instid0(VALU_DEP_1) | instskip(NEXT) | instid1(VALU_DEP_1)
	v_mul_u64_e32 v[6:7], s[20:21], v[4:5]
	v_add_nc_u32_e32 v1, v4, v7
	s_delay_alu instid0(VALU_DEP_1) | instskip(NEXT) | instid1(VALU_DEP_1)
	v_lshrrev_b32_e32 v1, s19, v1
	v_mul_lo_u32 v1, v1, s11
	s_delay_alu instid0(VALU_DEP_1) | instskip(NEXT) | instid1(VALU_DEP_1)
	v_sub_nc_u32_e32 v1, v4, v1
	v_mad_u32 v2, v1, s14, v2
	v_mad_u32 v3, v1, s15, v3
.LBB240_154:
	global_load_u8 v1, v3, s[6:7]
	v_add_nc_u32_e32 v0, 0x80, v0
	s_wait_loadcnt 0x0
	v_lshlrev_b32_e32 v3, 25, v1
	v_lshlrev_b16 v1, 8, v1
	s_delay_alu instid0(VALU_DEP_1) | instskip(NEXT) | instid1(VALU_DEP_3)
	v_and_or_b32 v5, 0x7f00, v1, 0.5
	v_lshrrev_b32_e32 v4, 4, v3
	v_bfe_i32 v1, v1, 0, 16
	s_delay_alu instid0(VALU_DEP_3) | instskip(NEXT) | instid1(VALU_DEP_3)
	v_add_f32_e32 v5, -0.5, v5
	v_or_b32_e32 v4, 0x70000000, v4
	s_delay_alu instid0(VALU_DEP_1) | instskip(SKIP_1) | instid1(VALU_DEP_2)
	v_mul_f32_e32 v4, 0x7800000, v4
	v_cmp_gt_u32_e32 vcc_lo, 0x8000000, v3
	v_cndmask_b32_e32 v3, v4, v5, vcc_lo
	s_delay_alu instid0(VALU_DEP_1) | instskip(NEXT) | instid1(VALU_DEP_1)
	v_and_or_b32 v1, 0x80000000, v1, v3
	v_cmp_eq_f32_e32 vcc_lo, s9, v1
	v_cndmask_b32_e64 v3, 0, 1, vcc_lo
	v_cmp_neq_f32_e32 vcc_lo, s9, v1
	v_cndmask_b32_e64 v1, 0, 1, vcc_lo
	s_delay_alu instid0(VALU_DEP_1) | instskip(NEXT) | instid1(VALU_DEP_1)
	v_cndmask_b32_e64 v1, v1, v3, s0
	v_and_b32_e32 v1, 1, v1
	global_store_b8 v2, v1, s[4:5]
	s_wait_xcnt 0x0
	s_or_b32 exec_lo, exec_lo, s18
	s_delay_alu instid0(SALU_CYCLE_1)
	s_mov_b32 s18, exec_lo
	v_cmpx_gt_i32_e64 s35, v0
	s_cbranch_execnz .LBB240_140
.LBB240_155:
	s_or_b32 exec_lo, exec_lo, s18
	s_delay_alu instid0(SALU_CYCLE_1)
	s_mov_b32 s18, exec_lo
	v_cmpx_gt_i32_e64 s35, v0
	s_cbranch_execz .LBB240_171
.LBB240_156:
	s_and_not1_b32 vcc_lo, exec_lo, s1
	s_cbranch_vccnz .LBB240_161
; %bb.157:
	s_and_not1_b32 vcc_lo, exec_lo, s37
	s_cbranch_vccnz .LBB240_162
; %bb.158:
	s_add_co_i32 s25, s36, 1
	s_cmp_eq_u32 s31, 2
	s_cbranch_scc1 .LBB240_179
; %bb.159:
	v_dual_mov_b32 v2, 0 :: v_dual_mov_b32 v3, 0
	v_mov_b32_e32 v1, v0
	s_and_b32 s24, s25, 28
	s_mov_b32 s38, 0
	s_mov_b64 s[26:27], s[2:3]
	s_mov_b64 s[28:29], s[22:23]
.LBB240_160:                            ; =>This Inner Loop Header: Depth=1
	s_clause 0x1
	s_load_b256 s[40:47], s[26:27], 0x4
	s_load_b128 s[56:59], s[26:27], 0x24
	s_load_b256 s[48:55], s[28:29], 0x0
	s_add_co_i32 s38, s38, 4
	s_wait_xcnt 0x0
	s_add_nc_u64 s[26:27], s[26:27], 48
	s_cmp_eq_u32 s24, s38
	s_add_nc_u64 s[28:29], s[28:29], 32
	s_wait_kmcnt 0x0
	v_mul_hi_u32 v4, s41, v1
	s_delay_alu instid0(VALU_DEP_1) | instskip(NEXT) | instid1(VALU_DEP_1)
	v_add_nc_u32_e32 v4, v1, v4
	v_lshrrev_b32_e32 v4, s42, v4
	s_delay_alu instid0(VALU_DEP_1) | instskip(NEXT) | instid1(VALU_DEP_1)
	v_mul_hi_u32 v5, s44, v4
	v_add_nc_u32_e32 v5, v4, v5
	s_delay_alu instid0(VALU_DEP_1) | instskip(NEXT) | instid1(VALU_DEP_1)
	v_lshrrev_b32_e32 v5, s45, v5
	v_mul_hi_u32 v6, s47, v5
	s_delay_alu instid0(VALU_DEP_1) | instskip(SKIP_1) | instid1(VALU_DEP_1)
	v_add_nc_u32_e32 v6, v5, v6
	v_mul_lo_u32 v7, v4, s40
	v_sub_nc_u32_e32 v1, v1, v7
	v_mul_lo_u32 v7, v5, s43
	s_delay_alu instid0(VALU_DEP_4) | instskip(NEXT) | instid1(VALU_DEP_3)
	v_lshrrev_b32_e32 v6, s56, v6
	v_mad_u32 v3, v1, s49, v3
	v_mad_u32 v1, v1, s48, v2
	s_delay_alu instid0(VALU_DEP_4) | instskip(NEXT) | instid1(VALU_DEP_4)
	v_sub_nc_u32_e32 v2, v4, v7
	v_mul_hi_u32 v8, s58, v6
	v_mul_lo_u32 v4, v6, s46
	s_delay_alu instid0(VALU_DEP_3) | instskip(SKIP_1) | instid1(VALU_DEP_4)
	v_mad_u32 v3, v2, s51, v3
	v_mad_u32 v2, v2, s50, v1
	v_add_nc_u32_e32 v7, v6, v8
	s_delay_alu instid0(VALU_DEP_1) | instskip(NEXT) | instid1(VALU_DEP_1)
	v_dual_sub_nc_u32 v4, v5, v4 :: v_dual_lshrrev_b32 v1, s59, v7
	v_mad_u32 v3, v4, s53, v3
	s_delay_alu instid0(VALU_DEP_4) | instskip(NEXT) | instid1(VALU_DEP_3)
	v_mad_u32 v2, v4, s52, v2
	v_mul_lo_u32 v5, v1, s57
	s_delay_alu instid0(VALU_DEP_1) | instskip(NEXT) | instid1(VALU_DEP_1)
	v_sub_nc_u32_e32 v4, v6, v5
	v_mad_u32 v3, v4, s55, v3
	s_delay_alu instid0(VALU_DEP_4)
	v_mad_u32 v2, v4, s54, v2
	s_cbranch_scc0 .LBB240_160
	s_branch .LBB240_180
.LBB240_161:
                                        ; implicit-def: $vgpr3
	s_branch .LBB240_184
.LBB240_162:
	v_dual_mov_b32 v3, 0 :: v_dual_mov_b32 v2, 0
	s_branch .LBB240_183
.LBB240_163:
	v_mov_b64_e32 v[2:3], 0
	v_mov_b32_e32 v1, v0
	s_mov_b32 s24, 0
.LBB240_164:
	s_and_b32 s28, s25, 3
	s_mov_b32 s25, 0
	s_cmp_eq_u32 s28, 0
	s_cbranch_scc1 .LBB240_167
; %bb.165:
	s_lshl_b32 s26, s24, 3
	s_mov_b32 s27, s25
	s_mul_u64 s[38:39], s[24:25], 12
	s_add_nc_u64 s[26:27], s[2:3], s[26:27]
	s_delay_alu instid0(SALU_CYCLE_1)
	s_add_nc_u64 s[24:25], s[26:27], 0xc4
	s_add_nc_u64 s[26:27], s[2:3], s[38:39]
.LBB240_166:                            ; =>This Inner Loop Header: Depth=1
	s_load_b96 s[40:42], s[26:27], 0x4
	s_load_b64 s[38:39], s[24:25], 0x0
	s_add_co_i32 s28, s28, -1
	s_wait_xcnt 0x0
	s_add_nc_u64 s[26:27], s[26:27], 12
	s_cmp_lg_u32 s28, 0
	s_add_nc_u64 s[24:25], s[24:25], 8
	s_wait_kmcnt 0x0
	v_mul_hi_u32 v4, s41, v1
	s_delay_alu instid0(VALU_DEP_1) | instskip(NEXT) | instid1(VALU_DEP_1)
	v_add_nc_u32_e32 v4, v1, v4
	v_lshrrev_b32_e32 v4, s42, v4
	s_delay_alu instid0(VALU_DEP_1) | instskip(NEXT) | instid1(VALU_DEP_1)
	v_mul_lo_u32 v5, v4, s40
	v_sub_nc_u32_e32 v1, v1, v5
	s_delay_alu instid0(VALU_DEP_1)
	v_mad_u32 v3, v1, s39, v3
	v_mad_u32 v2, v1, s38, v2
	v_mov_b32_e32 v1, v4
	s_cbranch_scc1 .LBB240_166
.LBB240_167:
	s_cbranch_execnz .LBB240_170
.LBB240_168:
	v_mov_b32_e32 v1, 0
	s_and_not1_b32 vcc_lo, exec_lo, s34
	s_delay_alu instid0(VALU_DEP_1) | instskip(NEXT) | instid1(VALU_DEP_1)
	v_mul_u64_e32 v[2:3], s[16:17], v[0:1]
	v_add_nc_u32_e32 v2, v0, v3
	s_delay_alu instid0(VALU_DEP_1) | instskip(NEXT) | instid1(VALU_DEP_1)
	v_lshrrev_b32_e32 v4, s10, v2
	v_mul_lo_u32 v2, v4, s8
	s_delay_alu instid0(VALU_DEP_1) | instskip(NEXT) | instid1(VALU_DEP_1)
	v_sub_nc_u32_e32 v2, v0, v2
	v_mul_lo_u32 v3, v2, s13
	v_mul_lo_u32 v2, v2, s12
	s_cbranch_vccnz .LBB240_170
; %bb.169:
	v_mov_b32_e32 v5, v1
	s_delay_alu instid0(VALU_DEP_1) | instskip(NEXT) | instid1(VALU_DEP_1)
	v_mul_u64_e32 v[6:7], s[20:21], v[4:5]
	v_add_nc_u32_e32 v1, v4, v7
	s_delay_alu instid0(VALU_DEP_1) | instskip(NEXT) | instid1(VALU_DEP_1)
	v_lshrrev_b32_e32 v1, s19, v1
	v_mul_lo_u32 v1, v1, s11
	s_delay_alu instid0(VALU_DEP_1) | instskip(NEXT) | instid1(VALU_DEP_1)
	v_sub_nc_u32_e32 v1, v4, v1
	v_mad_u32 v2, v1, s14, v2
	v_mad_u32 v3, v1, s15, v3
.LBB240_170:
	global_load_u8 v1, v3, s[6:7]
	v_add_nc_u32_e32 v0, 0x80, v0
	s_wait_loadcnt 0x0
	v_lshlrev_b32_e32 v3, 25, v1
	v_lshlrev_b16 v1, 8, v1
	s_delay_alu instid0(VALU_DEP_1) | instskip(NEXT) | instid1(VALU_DEP_3)
	v_and_or_b32 v5, 0x7f00, v1, 0.5
	v_lshrrev_b32_e32 v4, 4, v3
	v_bfe_i32 v1, v1, 0, 16
	s_delay_alu instid0(VALU_DEP_3) | instskip(NEXT) | instid1(VALU_DEP_3)
	v_add_f32_e32 v5, -0.5, v5
	v_or_b32_e32 v4, 0x70000000, v4
	s_delay_alu instid0(VALU_DEP_1) | instskip(SKIP_1) | instid1(VALU_DEP_2)
	v_mul_f32_e32 v4, 0x7800000, v4
	v_cmp_gt_u32_e32 vcc_lo, 0x8000000, v3
	v_cndmask_b32_e32 v3, v4, v5, vcc_lo
	s_delay_alu instid0(VALU_DEP_1) | instskip(NEXT) | instid1(VALU_DEP_1)
	v_and_or_b32 v1, 0x80000000, v1, v3
	v_cmp_eq_f32_e32 vcc_lo, s9, v1
	v_cndmask_b32_e64 v3, 0, 1, vcc_lo
	v_cmp_neq_f32_e32 vcc_lo, s9, v1
	v_cndmask_b32_e64 v1, 0, 1, vcc_lo
	s_delay_alu instid0(VALU_DEP_1) | instskip(NEXT) | instid1(VALU_DEP_1)
	v_cndmask_b32_e64 v1, v1, v3, s0
	v_and_b32_e32 v1, 1, v1
	global_store_b8 v2, v1, s[4:5]
	s_wait_xcnt 0x0
	s_or_b32 exec_lo, exec_lo, s18
	s_delay_alu instid0(SALU_CYCLE_1)
	s_mov_b32 s18, exec_lo
	v_cmpx_gt_i32_e64 s35, v0
	s_cbranch_execnz .LBB240_156
.LBB240_171:
	s_or_b32 exec_lo, exec_lo, s18
	s_delay_alu instid0(SALU_CYCLE_1)
	s_mov_b32 s18, exec_lo
	v_cmpx_gt_i32_e64 s35, v0
	s_cbranch_execz .LBB240_187
.LBB240_172:
	s_and_not1_b32 vcc_lo, exec_lo, s1
	s_cbranch_vccnz .LBB240_177
; %bb.173:
	s_and_not1_b32 vcc_lo, exec_lo, s37
	s_cbranch_vccnz .LBB240_178
; %bb.174:
	s_add_co_i32 s25, s36, 1
	s_cmp_eq_u32 s31, 2
	s_cbranch_scc1 .LBB240_195
; %bb.175:
	v_dual_mov_b32 v2, 0 :: v_dual_mov_b32 v3, 0
	v_mov_b32_e32 v1, v0
	s_and_b32 s24, s25, 28
	s_mov_b32 s38, 0
	s_mov_b64 s[26:27], s[2:3]
	s_mov_b64 s[28:29], s[22:23]
.LBB240_176:                            ; =>This Inner Loop Header: Depth=1
	s_clause 0x1
	s_load_b256 s[40:47], s[26:27], 0x4
	s_load_b128 s[56:59], s[26:27], 0x24
	s_load_b256 s[48:55], s[28:29], 0x0
	s_add_co_i32 s38, s38, 4
	s_wait_xcnt 0x0
	s_add_nc_u64 s[26:27], s[26:27], 48
	s_cmp_eq_u32 s24, s38
	s_add_nc_u64 s[28:29], s[28:29], 32
	s_wait_kmcnt 0x0
	v_mul_hi_u32 v4, s41, v1
	s_delay_alu instid0(VALU_DEP_1) | instskip(NEXT) | instid1(VALU_DEP_1)
	v_add_nc_u32_e32 v4, v1, v4
	v_lshrrev_b32_e32 v4, s42, v4
	s_delay_alu instid0(VALU_DEP_1) | instskip(NEXT) | instid1(VALU_DEP_1)
	v_mul_hi_u32 v5, s44, v4
	v_add_nc_u32_e32 v5, v4, v5
	s_delay_alu instid0(VALU_DEP_1) | instskip(NEXT) | instid1(VALU_DEP_1)
	v_lshrrev_b32_e32 v5, s45, v5
	v_mul_hi_u32 v6, s47, v5
	s_delay_alu instid0(VALU_DEP_1) | instskip(SKIP_1) | instid1(VALU_DEP_1)
	v_add_nc_u32_e32 v6, v5, v6
	v_mul_lo_u32 v7, v4, s40
	v_sub_nc_u32_e32 v1, v1, v7
	v_mul_lo_u32 v7, v5, s43
	s_delay_alu instid0(VALU_DEP_4) | instskip(NEXT) | instid1(VALU_DEP_3)
	v_lshrrev_b32_e32 v6, s56, v6
	v_mad_u32 v3, v1, s49, v3
	v_mad_u32 v1, v1, s48, v2
	s_delay_alu instid0(VALU_DEP_4) | instskip(NEXT) | instid1(VALU_DEP_4)
	v_sub_nc_u32_e32 v2, v4, v7
	v_mul_hi_u32 v8, s58, v6
	v_mul_lo_u32 v4, v6, s46
	s_delay_alu instid0(VALU_DEP_3) | instskip(SKIP_1) | instid1(VALU_DEP_4)
	v_mad_u32 v3, v2, s51, v3
	v_mad_u32 v2, v2, s50, v1
	v_add_nc_u32_e32 v7, v6, v8
	s_delay_alu instid0(VALU_DEP_1) | instskip(NEXT) | instid1(VALU_DEP_1)
	v_dual_sub_nc_u32 v4, v5, v4 :: v_dual_lshrrev_b32 v1, s59, v7
	v_mad_u32 v3, v4, s53, v3
	s_delay_alu instid0(VALU_DEP_4) | instskip(NEXT) | instid1(VALU_DEP_3)
	v_mad_u32 v2, v4, s52, v2
	v_mul_lo_u32 v5, v1, s57
	s_delay_alu instid0(VALU_DEP_1) | instskip(NEXT) | instid1(VALU_DEP_1)
	v_sub_nc_u32_e32 v4, v6, v5
	v_mad_u32 v3, v4, s55, v3
	s_delay_alu instid0(VALU_DEP_4)
	v_mad_u32 v2, v4, s54, v2
	s_cbranch_scc0 .LBB240_176
	s_branch .LBB240_196
.LBB240_177:
                                        ; implicit-def: $vgpr3
	s_branch .LBB240_200
.LBB240_178:
	v_dual_mov_b32 v3, 0 :: v_dual_mov_b32 v2, 0
	s_branch .LBB240_199
.LBB240_179:
	v_mov_b64_e32 v[2:3], 0
	v_mov_b32_e32 v1, v0
	s_mov_b32 s24, 0
.LBB240_180:
	s_and_b32 s28, s25, 3
	s_mov_b32 s25, 0
	s_cmp_eq_u32 s28, 0
	s_cbranch_scc1 .LBB240_183
; %bb.181:
	s_lshl_b32 s26, s24, 3
	s_mov_b32 s27, s25
	s_mul_u64 s[38:39], s[24:25], 12
	s_add_nc_u64 s[26:27], s[2:3], s[26:27]
	s_delay_alu instid0(SALU_CYCLE_1)
	s_add_nc_u64 s[24:25], s[26:27], 0xc4
	s_add_nc_u64 s[26:27], s[2:3], s[38:39]
.LBB240_182:                            ; =>This Inner Loop Header: Depth=1
	s_load_b96 s[40:42], s[26:27], 0x4
	s_load_b64 s[38:39], s[24:25], 0x0
	s_add_co_i32 s28, s28, -1
	s_wait_xcnt 0x0
	s_add_nc_u64 s[26:27], s[26:27], 12
	s_cmp_lg_u32 s28, 0
	s_add_nc_u64 s[24:25], s[24:25], 8
	s_wait_kmcnt 0x0
	v_mul_hi_u32 v4, s41, v1
	s_delay_alu instid0(VALU_DEP_1) | instskip(NEXT) | instid1(VALU_DEP_1)
	v_add_nc_u32_e32 v4, v1, v4
	v_lshrrev_b32_e32 v4, s42, v4
	s_delay_alu instid0(VALU_DEP_1) | instskip(NEXT) | instid1(VALU_DEP_1)
	v_mul_lo_u32 v5, v4, s40
	v_sub_nc_u32_e32 v1, v1, v5
	s_delay_alu instid0(VALU_DEP_1)
	v_mad_u32 v3, v1, s39, v3
	v_mad_u32 v2, v1, s38, v2
	v_mov_b32_e32 v1, v4
	s_cbranch_scc1 .LBB240_182
.LBB240_183:
	s_cbranch_execnz .LBB240_186
.LBB240_184:
	v_mov_b32_e32 v1, 0
	s_and_not1_b32 vcc_lo, exec_lo, s34
	s_delay_alu instid0(VALU_DEP_1) | instskip(NEXT) | instid1(VALU_DEP_1)
	v_mul_u64_e32 v[2:3], s[16:17], v[0:1]
	v_add_nc_u32_e32 v2, v0, v3
	s_delay_alu instid0(VALU_DEP_1) | instskip(NEXT) | instid1(VALU_DEP_1)
	v_lshrrev_b32_e32 v4, s10, v2
	v_mul_lo_u32 v2, v4, s8
	s_delay_alu instid0(VALU_DEP_1) | instskip(NEXT) | instid1(VALU_DEP_1)
	v_sub_nc_u32_e32 v2, v0, v2
	v_mul_lo_u32 v3, v2, s13
	v_mul_lo_u32 v2, v2, s12
	s_cbranch_vccnz .LBB240_186
; %bb.185:
	v_mov_b32_e32 v5, v1
	s_delay_alu instid0(VALU_DEP_1) | instskip(NEXT) | instid1(VALU_DEP_1)
	v_mul_u64_e32 v[6:7], s[20:21], v[4:5]
	v_add_nc_u32_e32 v1, v4, v7
	s_delay_alu instid0(VALU_DEP_1) | instskip(NEXT) | instid1(VALU_DEP_1)
	v_lshrrev_b32_e32 v1, s19, v1
	v_mul_lo_u32 v1, v1, s11
	s_delay_alu instid0(VALU_DEP_1) | instskip(NEXT) | instid1(VALU_DEP_1)
	v_sub_nc_u32_e32 v1, v4, v1
	v_mad_u32 v2, v1, s14, v2
	v_mad_u32 v3, v1, s15, v3
.LBB240_186:
	global_load_u8 v1, v3, s[6:7]
	v_add_nc_u32_e32 v0, 0x80, v0
	s_wait_loadcnt 0x0
	v_lshlrev_b32_e32 v3, 25, v1
	v_lshlrev_b16 v1, 8, v1
	s_delay_alu instid0(VALU_DEP_1) | instskip(NEXT) | instid1(VALU_DEP_3)
	v_and_or_b32 v5, 0x7f00, v1, 0.5
	v_lshrrev_b32_e32 v4, 4, v3
	v_bfe_i32 v1, v1, 0, 16
	s_delay_alu instid0(VALU_DEP_3) | instskip(NEXT) | instid1(VALU_DEP_3)
	v_add_f32_e32 v5, -0.5, v5
	v_or_b32_e32 v4, 0x70000000, v4
	s_delay_alu instid0(VALU_DEP_1) | instskip(SKIP_1) | instid1(VALU_DEP_2)
	v_mul_f32_e32 v4, 0x7800000, v4
	v_cmp_gt_u32_e32 vcc_lo, 0x8000000, v3
	v_cndmask_b32_e32 v3, v4, v5, vcc_lo
	s_delay_alu instid0(VALU_DEP_1) | instskip(NEXT) | instid1(VALU_DEP_1)
	v_and_or_b32 v1, 0x80000000, v1, v3
	v_cmp_eq_f32_e32 vcc_lo, s9, v1
	v_cndmask_b32_e64 v3, 0, 1, vcc_lo
	v_cmp_neq_f32_e32 vcc_lo, s9, v1
	v_cndmask_b32_e64 v1, 0, 1, vcc_lo
	s_delay_alu instid0(VALU_DEP_1) | instskip(NEXT) | instid1(VALU_DEP_1)
	v_cndmask_b32_e64 v1, v1, v3, s0
	v_and_b32_e32 v1, 1, v1
	global_store_b8 v2, v1, s[4:5]
	s_wait_xcnt 0x0
	s_or_b32 exec_lo, exec_lo, s18
	s_delay_alu instid0(SALU_CYCLE_1)
	s_mov_b32 s18, exec_lo
	v_cmpx_gt_i32_e64 s35, v0
	s_cbranch_execnz .LBB240_172
.LBB240_187:
	s_or_b32 exec_lo, exec_lo, s18
	s_delay_alu instid0(SALU_CYCLE_1)
	s_mov_b32 s18, exec_lo
	v_cmpx_gt_i32_e64 s35, v0
	s_cbranch_execz .LBB240_203
.LBB240_188:
	s_and_not1_b32 vcc_lo, exec_lo, s1
	s_cbranch_vccnz .LBB240_193
; %bb.189:
	s_and_not1_b32 vcc_lo, exec_lo, s37
	s_cbranch_vccnz .LBB240_194
; %bb.190:
	s_add_co_i32 s25, s36, 1
	s_cmp_eq_u32 s31, 2
	s_cbranch_scc1 .LBB240_211
; %bb.191:
	v_dual_mov_b32 v2, 0 :: v_dual_mov_b32 v3, 0
	v_mov_b32_e32 v1, v0
	s_and_b32 s24, s25, 28
	s_mov_b32 s38, 0
	s_mov_b64 s[26:27], s[2:3]
	s_mov_b64 s[28:29], s[22:23]
.LBB240_192:                            ; =>This Inner Loop Header: Depth=1
	s_clause 0x1
	s_load_b256 s[40:47], s[26:27], 0x4
	s_load_b128 s[56:59], s[26:27], 0x24
	s_load_b256 s[48:55], s[28:29], 0x0
	s_add_co_i32 s38, s38, 4
	s_wait_xcnt 0x0
	s_add_nc_u64 s[26:27], s[26:27], 48
	s_cmp_eq_u32 s24, s38
	s_add_nc_u64 s[28:29], s[28:29], 32
	s_wait_kmcnt 0x0
	v_mul_hi_u32 v4, s41, v1
	s_delay_alu instid0(VALU_DEP_1) | instskip(NEXT) | instid1(VALU_DEP_1)
	v_add_nc_u32_e32 v4, v1, v4
	v_lshrrev_b32_e32 v4, s42, v4
	s_delay_alu instid0(VALU_DEP_1) | instskip(NEXT) | instid1(VALU_DEP_1)
	v_mul_hi_u32 v5, s44, v4
	v_add_nc_u32_e32 v5, v4, v5
	s_delay_alu instid0(VALU_DEP_1) | instskip(NEXT) | instid1(VALU_DEP_1)
	v_lshrrev_b32_e32 v5, s45, v5
	v_mul_hi_u32 v6, s47, v5
	s_delay_alu instid0(VALU_DEP_1) | instskip(SKIP_1) | instid1(VALU_DEP_1)
	v_add_nc_u32_e32 v6, v5, v6
	v_mul_lo_u32 v7, v4, s40
	v_sub_nc_u32_e32 v1, v1, v7
	v_mul_lo_u32 v7, v5, s43
	s_delay_alu instid0(VALU_DEP_4) | instskip(NEXT) | instid1(VALU_DEP_3)
	v_lshrrev_b32_e32 v6, s56, v6
	v_mad_u32 v3, v1, s49, v3
	v_mad_u32 v1, v1, s48, v2
	s_delay_alu instid0(VALU_DEP_4) | instskip(NEXT) | instid1(VALU_DEP_4)
	v_sub_nc_u32_e32 v2, v4, v7
	v_mul_hi_u32 v8, s58, v6
	v_mul_lo_u32 v4, v6, s46
	s_delay_alu instid0(VALU_DEP_3) | instskip(SKIP_1) | instid1(VALU_DEP_4)
	v_mad_u32 v3, v2, s51, v3
	v_mad_u32 v2, v2, s50, v1
	v_add_nc_u32_e32 v7, v6, v8
	s_delay_alu instid0(VALU_DEP_1) | instskip(NEXT) | instid1(VALU_DEP_1)
	v_dual_sub_nc_u32 v4, v5, v4 :: v_dual_lshrrev_b32 v1, s59, v7
	v_mad_u32 v3, v4, s53, v3
	s_delay_alu instid0(VALU_DEP_4) | instskip(NEXT) | instid1(VALU_DEP_3)
	v_mad_u32 v2, v4, s52, v2
	v_mul_lo_u32 v5, v1, s57
	s_delay_alu instid0(VALU_DEP_1) | instskip(NEXT) | instid1(VALU_DEP_1)
	v_sub_nc_u32_e32 v4, v6, v5
	v_mad_u32 v3, v4, s55, v3
	s_delay_alu instid0(VALU_DEP_4)
	v_mad_u32 v2, v4, s54, v2
	s_cbranch_scc0 .LBB240_192
	s_branch .LBB240_212
.LBB240_193:
                                        ; implicit-def: $vgpr3
	s_branch .LBB240_216
.LBB240_194:
	v_dual_mov_b32 v3, 0 :: v_dual_mov_b32 v2, 0
	s_branch .LBB240_215
.LBB240_195:
	v_mov_b64_e32 v[2:3], 0
	v_mov_b32_e32 v1, v0
	s_mov_b32 s24, 0
.LBB240_196:
	s_and_b32 s28, s25, 3
	s_mov_b32 s25, 0
	s_cmp_eq_u32 s28, 0
	s_cbranch_scc1 .LBB240_199
; %bb.197:
	s_lshl_b32 s26, s24, 3
	s_mov_b32 s27, s25
	s_mul_u64 s[38:39], s[24:25], 12
	s_add_nc_u64 s[26:27], s[2:3], s[26:27]
	s_delay_alu instid0(SALU_CYCLE_1)
	s_add_nc_u64 s[24:25], s[26:27], 0xc4
	s_add_nc_u64 s[26:27], s[2:3], s[38:39]
.LBB240_198:                            ; =>This Inner Loop Header: Depth=1
	s_load_b96 s[40:42], s[26:27], 0x4
	s_load_b64 s[38:39], s[24:25], 0x0
	s_add_co_i32 s28, s28, -1
	s_wait_xcnt 0x0
	s_add_nc_u64 s[26:27], s[26:27], 12
	s_cmp_lg_u32 s28, 0
	s_add_nc_u64 s[24:25], s[24:25], 8
	s_wait_kmcnt 0x0
	v_mul_hi_u32 v4, s41, v1
	s_delay_alu instid0(VALU_DEP_1) | instskip(NEXT) | instid1(VALU_DEP_1)
	v_add_nc_u32_e32 v4, v1, v4
	v_lshrrev_b32_e32 v4, s42, v4
	s_delay_alu instid0(VALU_DEP_1) | instskip(NEXT) | instid1(VALU_DEP_1)
	v_mul_lo_u32 v5, v4, s40
	v_sub_nc_u32_e32 v1, v1, v5
	s_delay_alu instid0(VALU_DEP_1)
	v_mad_u32 v3, v1, s39, v3
	v_mad_u32 v2, v1, s38, v2
	v_mov_b32_e32 v1, v4
	s_cbranch_scc1 .LBB240_198
.LBB240_199:
	s_cbranch_execnz .LBB240_202
.LBB240_200:
	v_mov_b32_e32 v1, 0
	s_and_not1_b32 vcc_lo, exec_lo, s34
	s_delay_alu instid0(VALU_DEP_1) | instskip(NEXT) | instid1(VALU_DEP_1)
	v_mul_u64_e32 v[2:3], s[16:17], v[0:1]
	v_add_nc_u32_e32 v2, v0, v3
	s_delay_alu instid0(VALU_DEP_1) | instskip(NEXT) | instid1(VALU_DEP_1)
	v_lshrrev_b32_e32 v4, s10, v2
	v_mul_lo_u32 v2, v4, s8
	s_delay_alu instid0(VALU_DEP_1) | instskip(NEXT) | instid1(VALU_DEP_1)
	v_sub_nc_u32_e32 v2, v0, v2
	v_mul_lo_u32 v3, v2, s13
	v_mul_lo_u32 v2, v2, s12
	s_cbranch_vccnz .LBB240_202
; %bb.201:
	v_mov_b32_e32 v5, v1
	s_delay_alu instid0(VALU_DEP_1) | instskip(NEXT) | instid1(VALU_DEP_1)
	v_mul_u64_e32 v[6:7], s[20:21], v[4:5]
	v_add_nc_u32_e32 v1, v4, v7
	s_delay_alu instid0(VALU_DEP_1) | instskip(NEXT) | instid1(VALU_DEP_1)
	v_lshrrev_b32_e32 v1, s19, v1
	v_mul_lo_u32 v1, v1, s11
	s_delay_alu instid0(VALU_DEP_1) | instskip(NEXT) | instid1(VALU_DEP_1)
	v_sub_nc_u32_e32 v1, v4, v1
	v_mad_u32 v2, v1, s14, v2
	v_mad_u32 v3, v1, s15, v3
.LBB240_202:
	global_load_u8 v1, v3, s[6:7]
	v_add_nc_u32_e32 v0, 0x80, v0
	s_wait_loadcnt 0x0
	v_lshlrev_b32_e32 v3, 25, v1
	v_lshlrev_b16 v1, 8, v1
	s_delay_alu instid0(VALU_DEP_1) | instskip(NEXT) | instid1(VALU_DEP_3)
	v_and_or_b32 v5, 0x7f00, v1, 0.5
	v_lshrrev_b32_e32 v4, 4, v3
	v_bfe_i32 v1, v1, 0, 16
	s_delay_alu instid0(VALU_DEP_3) | instskip(NEXT) | instid1(VALU_DEP_3)
	v_add_f32_e32 v5, -0.5, v5
	v_or_b32_e32 v4, 0x70000000, v4
	s_delay_alu instid0(VALU_DEP_1) | instskip(SKIP_1) | instid1(VALU_DEP_2)
	v_mul_f32_e32 v4, 0x7800000, v4
	v_cmp_gt_u32_e32 vcc_lo, 0x8000000, v3
	v_cndmask_b32_e32 v3, v4, v5, vcc_lo
	s_delay_alu instid0(VALU_DEP_1) | instskip(NEXT) | instid1(VALU_DEP_1)
	v_and_or_b32 v1, 0x80000000, v1, v3
	v_cmp_eq_f32_e32 vcc_lo, s9, v1
	v_cndmask_b32_e64 v3, 0, 1, vcc_lo
	v_cmp_neq_f32_e32 vcc_lo, s9, v1
	v_cndmask_b32_e64 v1, 0, 1, vcc_lo
	s_delay_alu instid0(VALU_DEP_1) | instskip(NEXT) | instid1(VALU_DEP_1)
	v_cndmask_b32_e64 v1, v1, v3, s0
	v_and_b32_e32 v1, 1, v1
	global_store_b8 v2, v1, s[4:5]
	s_wait_xcnt 0x0
	s_or_b32 exec_lo, exec_lo, s18
	s_delay_alu instid0(SALU_CYCLE_1)
	s_mov_b32 s18, exec_lo
	v_cmpx_gt_i32_e64 s35, v0
	s_cbranch_execnz .LBB240_188
.LBB240_203:
	s_or_b32 exec_lo, exec_lo, s18
	s_delay_alu instid0(SALU_CYCLE_1)
	s_mov_b32 s18, exec_lo
	v_cmpx_gt_i32_e64 s35, v0
	s_cbranch_execz .LBB240_219
.LBB240_204:
	s_and_not1_b32 vcc_lo, exec_lo, s1
	s_cbranch_vccnz .LBB240_209
; %bb.205:
	s_and_not1_b32 vcc_lo, exec_lo, s37
	s_cbranch_vccnz .LBB240_210
; %bb.206:
	s_add_co_i32 s25, s36, 1
	s_cmp_eq_u32 s31, 2
	s_cbranch_scc1 .LBB240_222
; %bb.207:
	v_dual_mov_b32 v2, 0 :: v_dual_mov_b32 v3, 0
	v_mov_b32_e32 v1, v0
	s_and_b32 s24, s25, 28
	s_mov_b32 s38, 0
	s_mov_b64 s[26:27], s[2:3]
	s_mov_b64 s[28:29], s[22:23]
.LBB240_208:                            ; =>This Inner Loop Header: Depth=1
	s_clause 0x1
	s_load_b256 s[40:47], s[26:27], 0x4
	s_load_b128 s[56:59], s[26:27], 0x24
	s_load_b256 s[48:55], s[28:29], 0x0
	s_add_co_i32 s38, s38, 4
	s_wait_xcnt 0x0
	s_add_nc_u64 s[26:27], s[26:27], 48
	s_cmp_eq_u32 s24, s38
	s_add_nc_u64 s[28:29], s[28:29], 32
	s_wait_kmcnt 0x0
	v_mul_hi_u32 v4, s41, v1
	s_delay_alu instid0(VALU_DEP_1) | instskip(NEXT) | instid1(VALU_DEP_1)
	v_add_nc_u32_e32 v4, v1, v4
	v_lshrrev_b32_e32 v4, s42, v4
	s_delay_alu instid0(VALU_DEP_1) | instskip(NEXT) | instid1(VALU_DEP_1)
	v_mul_hi_u32 v5, s44, v4
	v_add_nc_u32_e32 v5, v4, v5
	s_delay_alu instid0(VALU_DEP_1) | instskip(NEXT) | instid1(VALU_DEP_1)
	v_lshrrev_b32_e32 v5, s45, v5
	v_mul_hi_u32 v6, s47, v5
	s_delay_alu instid0(VALU_DEP_1) | instskip(SKIP_1) | instid1(VALU_DEP_1)
	v_add_nc_u32_e32 v6, v5, v6
	v_mul_lo_u32 v7, v4, s40
	v_sub_nc_u32_e32 v1, v1, v7
	v_mul_lo_u32 v7, v5, s43
	s_delay_alu instid0(VALU_DEP_4) | instskip(NEXT) | instid1(VALU_DEP_3)
	v_lshrrev_b32_e32 v6, s56, v6
	v_mad_u32 v3, v1, s49, v3
	v_mad_u32 v1, v1, s48, v2
	s_delay_alu instid0(VALU_DEP_4) | instskip(NEXT) | instid1(VALU_DEP_4)
	v_sub_nc_u32_e32 v2, v4, v7
	v_mul_hi_u32 v8, s58, v6
	v_mul_lo_u32 v4, v6, s46
	s_delay_alu instid0(VALU_DEP_3) | instskip(SKIP_1) | instid1(VALU_DEP_4)
	v_mad_u32 v3, v2, s51, v3
	v_mad_u32 v2, v2, s50, v1
	v_add_nc_u32_e32 v7, v6, v8
	s_delay_alu instid0(VALU_DEP_1) | instskip(NEXT) | instid1(VALU_DEP_1)
	v_dual_sub_nc_u32 v4, v5, v4 :: v_dual_lshrrev_b32 v1, s59, v7
	v_mad_u32 v3, v4, s53, v3
	s_delay_alu instid0(VALU_DEP_4) | instskip(NEXT) | instid1(VALU_DEP_3)
	v_mad_u32 v2, v4, s52, v2
	v_mul_lo_u32 v5, v1, s57
	s_delay_alu instid0(VALU_DEP_1) | instskip(NEXT) | instid1(VALU_DEP_1)
	v_sub_nc_u32_e32 v4, v6, v5
	v_mad_u32 v3, v4, s55, v3
	s_delay_alu instid0(VALU_DEP_4)
	v_mad_u32 v2, v4, s54, v2
	s_cbranch_scc0 .LBB240_208
	s_branch .LBB240_223
.LBB240_209:
                                        ; implicit-def: $vgpr3
	s_branch .LBB240_227
.LBB240_210:
	v_dual_mov_b32 v3, 0 :: v_dual_mov_b32 v2, 0
	s_branch .LBB240_226
.LBB240_211:
	v_mov_b64_e32 v[2:3], 0
	v_mov_b32_e32 v1, v0
	s_mov_b32 s24, 0
.LBB240_212:
	s_and_b32 s28, s25, 3
	s_mov_b32 s25, 0
	s_cmp_eq_u32 s28, 0
	s_cbranch_scc1 .LBB240_215
; %bb.213:
	s_lshl_b32 s26, s24, 3
	s_mov_b32 s27, s25
	s_mul_u64 s[38:39], s[24:25], 12
	s_add_nc_u64 s[26:27], s[2:3], s[26:27]
	s_delay_alu instid0(SALU_CYCLE_1)
	s_add_nc_u64 s[24:25], s[26:27], 0xc4
	s_add_nc_u64 s[26:27], s[2:3], s[38:39]
.LBB240_214:                            ; =>This Inner Loop Header: Depth=1
	s_load_b96 s[40:42], s[26:27], 0x4
	s_load_b64 s[38:39], s[24:25], 0x0
	s_add_co_i32 s28, s28, -1
	s_wait_xcnt 0x0
	s_add_nc_u64 s[26:27], s[26:27], 12
	s_cmp_lg_u32 s28, 0
	s_add_nc_u64 s[24:25], s[24:25], 8
	s_wait_kmcnt 0x0
	v_mul_hi_u32 v4, s41, v1
	s_delay_alu instid0(VALU_DEP_1) | instskip(NEXT) | instid1(VALU_DEP_1)
	v_add_nc_u32_e32 v4, v1, v4
	v_lshrrev_b32_e32 v4, s42, v4
	s_delay_alu instid0(VALU_DEP_1) | instskip(NEXT) | instid1(VALU_DEP_1)
	v_mul_lo_u32 v5, v4, s40
	v_sub_nc_u32_e32 v1, v1, v5
	s_delay_alu instid0(VALU_DEP_1)
	v_mad_u32 v3, v1, s39, v3
	v_mad_u32 v2, v1, s38, v2
	v_mov_b32_e32 v1, v4
	s_cbranch_scc1 .LBB240_214
.LBB240_215:
	s_cbranch_execnz .LBB240_218
.LBB240_216:
	v_mov_b32_e32 v1, 0
	s_and_not1_b32 vcc_lo, exec_lo, s34
	s_delay_alu instid0(VALU_DEP_1) | instskip(NEXT) | instid1(VALU_DEP_1)
	v_mul_u64_e32 v[2:3], s[16:17], v[0:1]
	v_add_nc_u32_e32 v2, v0, v3
	s_delay_alu instid0(VALU_DEP_1) | instskip(NEXT) | instid1(VALU_DEP_1)
	v_lshrrev_b32_e32 v4, s10, v2
	v_mul_lo_u32 v2, v4, s8
	s_delay_alu instid0(VALU_DEP_1) | instskip(NEXT) | instid1(VALU_DEP_1)
	v_sub_nc_u32_e32 v2, v0, v2
	v_mul_lo_u32 v3, v2, s13
	v_mul_lo_u32 v2, v2, s12
	s_cbranch_vccnz .LBB240_218
; %bb.217:
	v_mov_b32_e32 v5, v1
	s_delay_alu instid0(VALU_DEP_1) | instskip(NEXT) | instid1(VALU_DEP_1)
	v_mul_u64_e32 v[6:7], s[20:21], v[4:5]
	v_add_nc_u32_e32 v1, v4, v7
	s_delay_alu instid0(VALU_DEP_1) | instskip(NEXT) | instid1(VALU_DEP_1)
	v_lshrrev_b32_e32 v1, s19, v1
	v_mul_lo_u32 v1, v1, s11
	s_delay_alu instid0(VALU_DEP_1) | instskip(NEXT) | instid1(VALU_DEP_1)
	v_sub_nc_u32_e32 v1, v4, v1
	v_mad_u32 v2, v1, s14, v2
	v_mad_u32 v3, v1, s15, v3
.LBB240_218:
	global_load_u8 v1, v3, s[6:7]
	v_add_nc_u32_e32 v0, 0x80, v0
	s_wait_loadcnt 0x0
	v_lshlrev_b32_e32 v3, 25, v1
	v_lshlrev_b16 v1, 8, v1
	s_delay_alu instid0(VALU_DEP_1) | instskip(NEXT) | instid1(VALU_DEP_3)
	v_and_or_b32 v5, 0x7f00, v1, 0.5
	v_lshrrev_b32_e32 v4, 4, v3
	v_bfe_i32 v1, v1, 0, 16
	s_delay_alu instid0(VALU_DEP_3) | instskip(NEXT) | instid1(VALU_DEP_3)
	v_add_f32_e32 v5, -0.5, v5
	v_or_b32_e32 v4, 0x70000000, v4
	s_delay_alu instid0(VALU_DEP_1) | instskip(SKIP_1) | instid1(VALU_DEP_2)
	v_mul_f32_e32 v4, 0x7800000, v4
	v_cmp_gt_u32_e32 vcc_lo, 0x8000000, v3
	v_cndmask_b32_e32 v3, v4, v5, vcc_lo
	s_delay_alu instid0(VALU_DEP_1) | instskip(NEXT) | instid1(VALU_DEP_1)
	v_and_or_b32 v1, 0x80000000, v1, v3
	v_cmp_eq_f32_e32 vcc_lo, s9, v1
	v_cndmask_b32_e64 v3, 0, 1, vcc_lo
	v_cmp_neq_f32_e32 vcc_lo, s9, v1
	v_cndmask_b32_e64 v1, 0, 1, vcc_lo
	s_delay_alu instid0(VALU_DEP_1) | instskip(NEXT) | instid1(VALU_DEP_1)
	v_cndmask_b32_e64 v1, v1, v3, s0
	v_and_b32_e32 v1, 1, v1
	global_store_b8 v2, v1, s[4:5]
	s_wait_xcnt 0x0
	s_or_b32 exec_lo, exec_lo, s18
	s_delay_alu instid0(SALU_CYCLE_1)
	s_mov_b32 s18, exec_lo
	v_cmpx_gt_i32_e64 s35, v0
	s_cbranch_execnz .LBB240_204
.LBB240_219:
	s_or_b32 exec_lo, exec_lo, s18
	s_delay_alu instid0(SALU_CYCLE_1)
	s_mov_b32 s18, exec_lo
	v_cmpx_gt_i32_e64 s35, v0
	s_cbranch_execnz .LBB240_230
.LBB240_220:
	s_or_b32 exec_lo, exec_lo, s18
                                        ; implicit-def: $vgpr16
                                        ; implicit-def: $vgpr0
	s_and_not1_saveexec_b32 s0, s33
	s_cbranch_execnz .LBB240_8
.LBB240_221:
	s_endpgm
.LBB240_222:
	v_mov_b64_e32 v[2:3], 0
	v_mov_b32_e32 v1, v0
	s_mov_b32 s24, 0
.LBB240_223:
	s_and_b32 s28, s25, 3
	s_mov_b32 s25, 0
	s_cmp_eq_u32 s28, 0
	s_cbranch_scc1 .LBB240_226
; %bb.224:
	s_lshl_b32 s26, s24, 3
	s_mov_b32 s27, s25
	s_mul_u64 s[38:39], s[24:25], 12
	s_add_nc_u64 s[26:27], s[2:3], s[26:27]
	s_delay_alu instid0(SALU_CYCLE_1)
	s_add_nc_u64 s[24:25], s[26:27], 0xc4
	s_add_nc_u64 s[26:27], s[2:3], s[38:39]
.LBB240_225:                            ; =>This Inner Loop Header: Depth=1
	s_load_b96 s[40:42], s[26:27], 0x4
	s_load_b64 s[38:39], s[24:25], 0x0
	s_add_co_i32 s28, s28, -1
	s_wait_xcnt 0x0
	s_add_nc_u64 s[26:27], s[26:27], 12
	s_cmp_lg_u32 s28, 0
	s_add_nc_u64 s[24:25], s[24:25], 8
	s_wait_kmcnt 0x0
	v_mul_hi_u32 v4, s41, v1
	s_delay_alu instid0(VALU_DEP_1) | instskip(NEXT) | instid1(VALU_DEP_1)
	v_add_nc_u32_e32 v4, v1, v4
	v_lshrrev_b32_e32 v4, s42, v4
	s_delay_alu instid0(VALU_DEP_1) | instskip(NEXT) | instid1(VALU_DEP_1)
	v_mul_lo_u32 v5, v4, s40
	v_sub_nc_u32_e32 v1, v1, v5
	s_delay_alu instid0(VALU_DEP_1)
	v_mad_u32 v3, v1, s39, v3
	v_mad_u32 v2, v1, s38, v2
	v_mov_b32_e32 v1, v4
	s_cbranch_scc1 .LBB240_225
.LBB240_226:
	s_cbranch_execnz .LBB240_229
.LBB240_227:
	v_mov_b32_e32 v1, 0
	s_and_not1_b32 vcc_lo, exec_lo, s34
	s_delay_alu instid0(VALU_DEP_1) | instskip(NEXT) | instid1(VALU_DEP_1)
	v_mul_u64_e32 v[2:3], s[16:17], v[0:1]
	v_add_nc_u32_e32 v2, v0, v3
	s_delay_alu instid0(VALU_DEP_1) | instskip(NEXT) | instid1(VALU_DEP_1)
	v_lshrrev_b32_e32 v4, s10, v2
	v_mul_lo_u32 v2, v4, s8
	s_delay_alu instid0(VALU_DEP_1) | instskip(NEXT) | instid1(VALU_DEP_1)
	v_sub_nc_u32_e32 v2, v0, v2
	v_mul_lo_u32 v3, v2, s13
	v_mul_lo_u32 v2, v2, s12
	s_cbranch_vccnz .LBB240_229
; %bb.228:
	v_mov_b32_e32 v5, v1
	s_delay_alu instid0(VALU_DEP_1) | instskip(NEXT) | instid1(VALU_DEP_1)
	v_mul_u64_e32 v[6:7], s[20:21], v[4:5]
	v_add_nc_u32_e32 v1, v4, v7
	s_delay_alu instid0(VALU_DEP_1) | instskip(NEXT) | instid1(VALU_DEP_1)
	v_lshrrev_b32_e32 v1, s19, v1
	v_mul_lo_u32 v1, v1, s11
	s_delay_alu instid0(VALU_DEP_1) | instskip(NEXT) | instid1(VALU_DEP_1)
	v_sub_nc_u32_e32 v1, v4, v1
	v_mad_u32 v2, v1, s14, v2
	v_mad_u32 v3, v1, s15, v3
.LBB240_229:
	global_load_u8 v1, v3, s[6:7]
	v_add_nc_u32_e32 v0, 0x80, v0
	s_wait_loadcnt 0x0
	v_lshlrev_b32_e32 v3, 25, v1
	v_lshlrev_b16 v1, 8, v1
	s_delay_alu instid0(VALU_DEP_1) | instskip(NEXT) | instid1(VALU_DEP_3)
	v_and_or_b32 v5, 0x7f00, v1, 0.5
	v_lshrrev_b32_e32 v4, 4, v3
	v_bfe_i32 v1, v1, 0, 16
	s_delay_alu instid0(VALU_DEP_3) | instskip(NEXT) | instid1(VALU_DEP_3)
	v_add_f32_e32 v5, -0.5, v5
	v_or_b32_e32 v4, 0x70000000, v4
	s_delay_alu instid0(VALU_DEP_1) | instskip(SKIP_1) | instid1(VALU_DEP_2)
	v_mul_f32_e32 v4, 0x7800000, v4
	v_cmp_gt_u32_e32 vcc_lo, 0x8000000, v3
	v_cndmask_b32_e32 v3, v4, v5, vcc_lo
	s_delay_alu instid0(VALU_DEP_1) | instskip(NEXT) | instid1(VALU_DEP_1)
	v_and_or_b32 v1, 0x80000000, v1, v3
	v_cmp_eq_f32_e32 vcc_lo, s9, v1
	v_cndmask_b32_e64 v3, 0, 1, vcc_lo
	v_cmp_neq_f32_e32 vcc_lo, s9, v1
	v_cndmask_b32_e64 v1, 0, 1, vcc_lo
	s_delay_alu instid0(VALU_DEP_1) | instskip(NEXT) | instid1(VALU_DEP_1)
	v_cndmask_b32_e64 v1, v1, v3, s0
	v_and_b32_e32 v1, 1, v1
	global_store_b8 v2, v1, s[4:5]
	s_wait_xcnt 0x0
	s_or_b32 exec_lo, exec_lo, s18
	s_delay_alu instid0(SALU_CYCLE_1)
	s_mov_b32 s18, exec_lo
	v_cmpx_gt_i32_e64 s35, v0
	s_cbranch_execz .LBB240_220
.LBB240_230:
	s_and_not1_b32 vcc_lo, exec_lo, s1
	s_cbranch_vccnz .LBB240_235
; %bb.231:
	s_and_not1_b32 vcc_lo, exec_lo, s37
	s_cbranch_vccnz .LBB240_236
; %bb.232:
	s_add_co_i32 s36, s36, 1
	s_cmp_eq_u32 s31, 2
	s_cbranch_scc1 .LBB240_237
; %bb.233:
	v_dual_mov_b32 v2, 0 :: v_dual_mov_b32 v3, 0
	v_mov_b32_e32 v1, v0
	s_and_b32 s24, s36, 28
	s_mov_b32 s25, 0
	s_mov_b64 s[26:27], s[2:3]
.LBB240_234:                            ; =>This Inner Loop Header: Depth=1
	s_clause 0x1
	s_load_b256 s[40:47], s[26:27], 0x4
	s_load_b128 s[56:59], s[26:27], 0x24
	s_load_b256 s[48:55], s[22:23], 0x0
	s_add_co_i32 s25, s25, 4
	s_wait_xcnt 0x0
	s_add_nc_u64 s[26:27], s[26:27], 48
	s_cmp_eq_u32 s24, s25
	s_add_nc_u64 s[22:23], s[22:23], 32
	s_wait_kmcnt 0x0
	v_mul_hi_u32 v4, s41, v1
	s_delay_alu instid0(VALU_DEP_1) | instskip(NEXT) | instid1(VALU_DEP_1)
	v_add_nc_u32_e32 v4, v1, v4
	v_lshrrev_b32_e32 v4, s42, v4
	s_delay_alu instid0(VALU_DEP_1) | instskip(NEXT) | instid1(VALU_DEP_1)
	v_mul_hi_u32 v5, s44, v4
	v_add_nc_u32_e32 v5, v4, v5
	s_delay_alu instid0(VALU_DEP_1) | instskip(NEXT) | instid1(VALU_DEP_1)
	v_lshrrev_b32_e32 v5, s45, v5
	v_mul_hi_u32 v6, s47, v5
	s_delay_alu instid0(VALU_DEP_1) | instskip(SKIP_1) | instid1(VALU_DEP_1)
	v_add_nc_u32_e32 v6, v5, v6
	v_mul_lo_u32 v7, v4, s40
	v_sub_nc_u32_e32 v1, v1, v7
	v_mul_lo_u32 v7, v5, s43
	s_delay_alu instid0(VALU_DEP_4) | instskip(NEXT) | instid1(VALU_DEP_3)
	v_lshrrev_b32_e32 v6, s56, v6
	v_mad_u32 v3, v1, s49, v3
	v_mad_u32 v1, v1, s48, v2
	s_delay_alu instid0(VALU_DEP_4) | instskip(NEXT) | instid1(VALU_DEP_4)
	v_sub_nc_u32_e32 v2, v4, v7
	v_mul_hi_u32 v8, s58, v6
	v_mul_lo_u32 v4, v6, s46
	s_delay_alu instid0(VALU_DEP_3) | instskip(SKIP_1) | instid1(VALU_DEP_4)
	v_mad_u32 v3, v2, s51, v3
	v_mad_u32 v2, v2, s50, v1
	v_add_nc_u32_e32 v7, v6, v8
	s_delay_alu instid0(VALU_DEP_1) | instskip(NEXT) | instid1(VALU_DEP_1)
	v_dual_sub_nc_u32 v4, v5, v4 :: v_dual_lshrrev_b32 v1, s59, v7
	v_mad_u32 v3, v4, s53, v3
	s_delay_alu instid0(VALU_DEP_4) | instskip(NEXT) | instid1(VALU_DEP_3)
	v_mad_u32 v2, v4, s52, v2
	v_mul_lo_u32 v5, v1, s57
	s_delay_alu instid0(VALU_DEP_1) | instskip(NEXT) | instid1(VALU_DEP_1)
	v_sub_nc_u32_e32 v4, v6, v5
	v_mad_u32 v3, v4, s55, v3
	s_delay_alu instid0(VALU_DEP_4)
	v_mad_u32 v2, v4, s54, v2
	s_cbranch_scc0 .LBB240_234
	s_branch .LBB240_238
.LBB240_235:
                                        ; implicit-def: $vgpr3
	s_branch .LBB240_242
.LBB240_236:
	v_dual_mov_b32 v3, 0 :: v_dual_mov_b32 v2, 0
	s_branch .LBB240_241
.LBB240_237:
	v_mov_b64_e32 v[2:3], 0
	v_mov_b32_e32 v1, v0
	s_mov_b32 s24, 0
.LBB240_238:
	s_and_b32 s26, s36, 3
	s_mov_b32 s25, 0
	s_cmp_eq_u32 s26, 0
	s_cbranch_scc1 .LBB240_241
; %bb.239:
	s_lshl_b32 s22, s24, 3
	s_mov_b32 s23, s25
	s_mul_u64 s[24:25], s[24:25], 12
	s_add_nc_u64 s[22:23], s[2:3], s[22:23]
	s_add_nc_u64 s[24:25], s[2:3], s[24:25]
	;; [unrolled: 1-line block ×3, first 2 shown]
.LBB240_240:                            ; =>This Inner Loop Header: Depth=1
	s_load_b96 s[36:38], s[24:25], 0x4
	s_load_b64 s[28:29], s[22:23], 0x0
	s_add_co_i32 s26, s26, -1
	s_wait_xcnt 0x0
	s_add_nc_u64 s[24:25], s[24:25], 12
	s_cmp_lg_u32 s26, 0
	s_add_nc_u64 s[22:23], s[22:23], 8
	s_wait_kmcnt 0x0
	v_mul_hi_u32 v4, s37, v1
	s_delay_alu instid0(VALU_DEP_1) | instskip(NEXT) | instid1(VALU_DEP_1)
	v_add_nc_u32_e32 v4, v1, v4
	v_lshrrev_b32_e32 v4, s38, v4
	s_delay_alu instid0(VALU_DEP_1) | instskip(NEXT) | instid1(VALU_DEP_1)
	v_mul_lo_u32 v5, v4, s36
	v_sub_nc_u32_e32 v1, v1, v5
	s_delay_alu instid0(VALU_DEP_1)
	v_mad_u32 v3, v1, s29, v3
	v_mad_u32 v2, v1, s28, v2
	v_mov_b32_e32 v1, v4
	s_cbranch_scc1 .LBB240_240
.LBB240_241:
	s_cbranch_execnz .LBB240_244
.LBB240_242:
	v_mov_b32_e32 v1, 0
	s_and_not1_b32 vcc_lo, exec_lo, s34
	s_delay_alu instid0(VALU_DEP_1) | instskip(NEXT) | instid1(VALU_DEP_1)
	v_mul_u64_e32 v[2:3], s[16:17], v[0:1]
	v_add_nc_u32_e32 v2, v0, v3
	s_delay_alu instid0(VALU_DEP_1) | instskip(NEXT) | instid1(VALU_DEP_1)
	v_lshrrev_b32_e32 v4, s10, v2
	v_mul_lo_u32 v2, v4, s8
	s_delay_alu instid0(VALU_DEP_1) | instskip(NEXT) | instid1(VALU_DEP_1)
	v_sub_nc_u32_e32 v0, v0, v2
	v_mul_lo_u32 v3, v0, s13
	v_mul_lo_u32 v2, v0, s12
	s_cbranch_vccnz .LBB240_244
; %bb.243:
	v_mov_b32_e32 v5, v1
	s_delay_alu instid0(VALU_DEP_1) | instskip(NEXT) | instid1(VALU_DEP_1)
	v_mul_u64_e32 v[0:1], s[20:21], v[4:5]
	v_add_nc_u32_e32 v0, v4, v1
	s_delay_alu instid0(VALU_DEP_1) | instskip(NEXT) | instid1(VALU_DEP_1)
	v_lshrrev_b32_e32 v0, s19, v0
	v_mul_lo_u32 v0, v0, s11
	s_delay_alu instid0(VALU_DEP_1) | instskip(NEXT) | instid1(VALU_DEP_1)
	v_sub_nc_u32_e32 v0, v4, v0
	v_mad_u32 v2, v0, s14, v2
	v_mad_u32 v3, v0, s15, v3
.LBB240_244:
	global_load_u8 v0, v3, s[6:7]
	s_wait_loadcnt 0x0
	v_lshlrev_b32_e32 v1, 25, v0
	v_lshlrev_b16 v0, 8, v0
	s_delay_alu instid0(VALU_DEP_2) | instskip(NEXT) | instid1(VALU_DEP_2)
	v_cmp_gt_u32_e32 vcc_lo, 0x8000000, v1
	v_and_or_b32 v4, 0x7f00, v0, 0.5
	s_wait_xcnt 0x0
	v_lshrrev_b32_e32 v3, 4, v1
	v_bfe_i32 v0, v0, 0, 16
	s_delay_alu instid0(VALU_DEP_3) | instskip(NEXT) | instid1(VALU_DEP_3)
	v_add_f32_e32 v4, -0.5, v4
	v_or_b32_e32 v3, 0x70000000, v3
	s_delay_alu instid0(VALU_DEP_1) | instskip(NEXT) | instid1(VALU_DEP_1)
	v_mul_f32_e32 v3, 0x7800000, v3
	v_cndmask_b32_e32 v1, v3, v4, vcc_lo
	s_delay_alu instid0(VALU_DEP_1) | instskip(NEXT) | instid1(VALU_DEP_1)
	v_and_or_b32 v0, 0x80000000, v0, v1
	v_cmp_eq_f32_e32 vcc_lo, s9, v0
	v_cndmask_b32_e64 v1, 0, 1, vcc_lo
	v_cmp_neq_f32_e32 vcc_lo, s9, v0
	v_cndmask_b32_e64 v0, 0, 1, vcc_lo
	s_delay_alu instid0(VALU_DEP_1) | instskip(NEXT) | instid1(VALU_DEP_1)
	v_cndmask_b32_e64 v0, v0, v1, s0
	v_and_b32_e32 v0, 1, v0
	global_store_b8 v2, v0, s[4:5]
	s_wait_xcnt 0x0
	s_or_b32 exec_lo, exec_lo, s18
                                        ; implicit-def: $vgpr16
                                        ; implicit-def: $vgpr0
	s_and_not1_saveexec_b32 s0, s33
	s_cbranch_execz .LBB240_221
	s_branch .LBB240_8
	.section	.rodata,"a",@progbits
	.p2align	6, 0x0
	.amdhsa_kernel _ZN2at6native32elementwise_kernel_manual_unrollILi128ELi8EZNS0_22gpu_kernel_impl_nocastINS0_13AUnaryFunctorIN3c1011Float8_e5m2ES5_bNS0_12_GLOBAL__N_116CompareEqFunctorIS5_EEEEEEvRNS_18TensorIteratorBaseERKT_EUlibE_EEviT1_
		.amdhsa_group_segment_fixed_size 0
		.amdhsa_private_segment_fixed_size 0
		.amdhsa_kernarg_size 360
		.amdhsa_user_sgpr_count 2
		.amdhsa_user_sgpr_dispatch_ptr 0
		.amdhsa_user_sgpr_queue_ptr 0
		.amdhsa_user_sgpr_kernarg_segment_ptr 1
		.amdhsa_user_sgpr_dispatch_id 0
		.amdhsa_user_sgpr_kernarg_preload_length 0
		.amdhsa_user_sgpr_kernarg_preload_offset 0
		.amdhsa_user_sgpr_private_segment_size 0
		.amdhsa_wavefront_size32 1
		.amdhsa_uses_dynamic_stack 0
		.amdhsa_enable_private_segment 0
		.amdhsa_system_sgpr_workgroup_id_x 1
		.amdhsa_system_sgpr_workgroup_id_y 0
		.amdhsa_system_sgpr_workgroup_id_z 0
		.amdhsa_system_sgpr_workgroup_info 0
		.amdhsa_system_vgpr_workitem_id 0
		.amdhsa_next_free_vgpr 47
		.amdhsa_next_free_sgpr 60
		.amdhsa_named_barrier_count 0
		.amdhsa_reserve_vcc 1
		.amdhsa_float_round_mode_32 0
		.amdhsa_float_round_mode_16_64 0
		.amdhsa_float_denorm_mode_32 3
		.amdhsa_float_denorm_mode_16_64 3
		.amdhsa_fp16_overflow 0
		.amdhsa_memory_ordered 1
		.amdhsa_forward_progress 1
		.amdhsa_inst_pref_size 115
		.amdhsa_round_robin_scheduling 0
		.amdhsa_exception_fp_ieee_invalid_op 0
		.amdhsa_exception_fp_denorm_src 0
		.amdhsa_exception_fp_ieee_div_zero 0
		.amdhsa_exception_fp_ieee_overflow 0
		.amdhsa_exception_fp_ieee_underflow 0
		.amdhsa_exception_fp_ieee_inexact 0
		.amdhsa_exception_int_div_zero 0
	.end_amdhsa_kernel
	.section	.text._ZN2at6native32elementwise_kernel_manual_unrollILi128ELi8EZNS0_22gpu_kernel_impl_nocastINS0_13AUnaryFunctorIN3c1011Float8_e5m2ES5_bNS0_12_GLOBAL__N_116CompareEqFunctorIS5_EEEEEEvRNS_18TensorIteratorBaseERKT_EUlibE_EEviT1_,"axG",@progbits,_ZN2at6native32elementwise_kernel_manual_unrollILi128ELi8EZNS0_22gpu_kernel_impl_nocastINS0_13AUnaryFunctorIN3c1011Float8_e5m2ES5_bNS0_12_GLOBAL__N_116CompareEqFunctorIS5_EEEEEEvRNS_18TensorIteratorBaseERKT_EUlibE_EEviT1_,comdat
.Lfunc_end240:
	.size	_ZN2at6native32elementwise_kernel_manual_unrollILi128ELi8EZNS0_22gpu_kernel_impl_nocastINS0_13AUnaryFunctorIN3c1011Float8_e5m2ES5_bNS0_12_GLOBAL__N_116CompareEqFunctorIS5_EEEEEEvRNS_18TensorIteratorBaseERKT_EUlibE_EEviT1_, .Lfunc_end240-_ZN2at6native32elementwise_kernel_manual_unrollILi128ELi8EZNS0_22gpu_kernel_impl_nocastINS0_13AUnaryFunctorIN3c1011Float8_e5m2ES5_bNS0_12_GLOBAL__N_116CompareEqFunctorIS5_EEEEEEvRNS_18TensorIteratorBaseERKT_EUlibE_EEviT1_
                                        ; -- End function
	.set _ZN2at6native32elementwise_kernel_manual_unrollILi128ELi8EZNS0_22gpu_kernel_impl_nocastINS0_13AUnaryFunctorIN3c1011Float8_e5m2ES5_bNS0_12_GLOBAL__N_116CompareEqFunctorIS5_EEEEEEvRNS_18TensorIteratorBaseERKT_EUlibE_EEviT1_.num_vgpr, 47
	.set _ZN2at6native32elementwise_kernel_manual_unrollILi128ELi8EZNS0_22gpu_kernel_impl_nocastINS0_13AUnaryFunctorIN3c1011Float8_e5m2ES5_bNS0_12_GLOBAL__N_116CompareEqFunctorIS5_EEEEEEvRNS_18TensorIteratorBaseERKT_EUlibE_EEviT1_.num_agpr, 0
	.set _ZN2at6native32elementwise_kernel_manual_unrollILi128ELi8EZNS0_22gpu_kernel_impl_nocastINS0_13AUnaryFunctorIN3c1011Float8_e5m2ES5_bNS0_12_GLOBAL__N_116CompareEqFunctorIS5_EEEEEEvRNS_18TensorIteratorBaseERKT_EUlibE_EEviT1_.numbered_sgpr, 60
	.set _ZN2at6native32elementwise_kernel_manual_unrollILi128ELi8EZNS0_22gpu_kernel_impl_nocastINS0_13AUnaryFunctorIN3c1011Float8_e5m2ES5_bNS0_12_GLOBAL__N_116CompareEqFunctorIS5_EEEEEEvRNS_18TensorIteratorBaseERKT_EUlibE_EEviT1_.num_named_barrier, 0
	.set _ZN2at6native32elementwise_kernel_manual_unrollILi128ELi8EZNS0_22gpu_kernel_impl_nocastINS0_13AUnaryFunctorIN3c1011Float8_e5m2ES5_bNS0_12_GLOBAL__N_116CompareEqFunctorIS5_EEEEEEvRNS_18TensorIteratorBaseERKT_EUlibE_EEviT1_.private_seg_size, 0
	.set _ZN2at6native32elementwise_kernel_manual_unrollILi128ELi8EZNS0_22gpu_kernel_impl_nocastINS0_13AUnaryFunctorIN3c1011Float8_e5m2ES5_bNS0_12_GLOBAL__N_116CompareEqFunctorIS5_EEEEEEvRNS_18TensorIteratorBaseERKT_EUlibE_EEviT1_.uses_vcc, 1
	.set _ZN2at6native32elementwise_kernel_manual_unrollILi128ELi8EZNS0_22gpu_kernel_impl_nocastINS0_13AUnaryFunctorIN3c1011Float8_e5m2ES5_bNS0_12_GLOBAL__N_116CompareEqFunctorIS5_EEEEEEvRNS_18TensorIteratorBaseERKT_EUlibE_EEviT1_.uses_flat_scratch, 0
	.set _ZN2at6native32elementwise_kernel_manual_unrollILi128ELi8EZNS0_22gpu_kernel_impl_nocastINS0_13AUnaryFunctorIN3c1011Float8_e5m2ES5_bNS0_12_GLOBAL__N_116CompareEqFunctorIS5_EEEEEEvRNS_18TensorIteratorBaseERKT_EUlibE_EEviT1_.has_dyn_sized_stack, 0
	.set _ZN2at6native32elementwise_kernel_manual_unrollILi128ELi8EZNS0_22gpu_kernel_impl_nocastINS0_13AUnaryFunctorIN3c1011Float8_e5m2ES5_bNS0_12_GLOBAL__N_116CompareEqFunctorIS5_EEEEEEvRNS_18TensorIteratorBaseERKT_EUlibE_EEviT1_.has_recursion, 0
	.set _ZN2at6native32elementwise_kernel_manual_unrollILi128ELi8EZNS0_22gpu_kernel_impl_nocastINS0_13AUnaryFunctorIN3c1011Float8_e5m2ES5_bNS0_12_GLOBAL__N_116CompareEqFunctorIS5_EEEEEEvRNS_18TensorIteratorBaseERKT_EUlibE_EEviT1_.has_indirect_call, 0
	.section	.AMDGPU.csdata,"",@progbits
; Kernel info:
; codeLenInByte = 14664
; TotalNumSgprs: 62
; NumVgprs: 47
; ScratchSize: 0
; MemoryBound: 0
; FloatMode: 240
; IeeeMode: 1
; LDSByteSize: 0 bytes/workgroup (compile time only)
; SGPRBlocks: 0
; VGPRBlocks: 2
; NumSGPRsForWavesPerEU: 62
; NumVGPRsForWavesPerEU: 47
; NamedBarCnt: 0
; Occupancy: 16
; WaveLimiterHint : 1
; COMPUTE_PGM_RSRC2:SCRATCH_EN: 0
; COMPUTE_PGM_RSRC2:USER_SGPR: 2
; COMPUTE_PGM_RSRC2:TRAP_HANDLER: 0
; COMPUTE_PGM_RSRC2:TGID_X_EN: 1
; COMPUTE_PGM_RSRC2:TGID_Y_EN: 0
; COMPUTE_PGM_RSRC2:TGID_Z_EN: 0
; COMPUTE_PGM_RSRC2:TIDIG_COMP_CNT: 0
	.section	.text._ZN2at6native32elementwise_kernel_manual_unrollILi128ELi4EZNS0_15gpu_kernel_implINS0_13AUnaryFunctorIN3c1011Float8_e5m2ES5_bNS0_12_GLOBAL__N_116CompareEqFunctorIS5_EEEEEEvRNS_18TensorIteratorBaseERKT_EUlibE_EEviT1_,"axG",@progbits,_ZN2at6native32elementwise_kernel_manual_unrollILi128ELi4EZNS0_15gpu_kernel_implINS0_13AUnaryFunctorIN3c1011Float8_e5m2ES5_bNS0_12_GLOBAL__N_116CompareEqFunctorIS5_EEEEEEvRNS_18TensorIteratorBaseERKT_EUlibE_EEviT1_,comdat
	.globl	_ZN2at6native32elementwise_kernel_manual_unrollILi128ELi4EZNS0_15gpu_kernel_implINS0_13AUnaryFunctorIN3c1011Float8_e5m2ES5_bNS0_12_GLOBAL__N_116CompareEqFunctorIS5_EEEEEEvRNS_18TensorIteratorBaseERKT_EUlibE_EEviT1_ ; -- Begin function _ZN2at6native32elementwise_kernel_manual_unrollILi128ELi4EZNS0_15gpu_kernel_implINS0_13AUnaryFunctorIN3c1011Float8_e5m2ES5_bNS0_12_GLOBAL__N_116CompareEqFunctorIS5_EEEEEEvRNS_18TensorIteratorBaseERKT_EUlibE_EEviT1_
	.p2align	8
	.type	_ZN2at6native32elementwise_kernel_manual_unrollILi128ELi4EZNS0_15gpu_kernel_implINS0_13AUnaryFunctorIN3c1011Float8_e5m2ES5_bNS0_12_GLOBAL__N_116CompareEqFunctorIS5_EEEEEEvRNS_18TensorIteratorBaseERKT_EUlibE_EEviT1_,@function
_ZN2at6native32elementwise_kernel_manual_unrollILi128ELi4EZNS0_15gpu_kernel_implINS0_13AUnaryFunctorIN3c1011Float8_e5m2ES5_bNS0_12_GLOBAL__N_116CompareEqFunctorIS5_EEEEEEvRNS_18TensorIteratorBaseERKT_EUlibE_EEviT1_: ; @_ZN2at6native32elementwise_kernel_manual_unrollILi128ELi4EZNS0_15gpu_kernel_implINS0_13AUnaryFunctorIN3c1011Float8_e5m2ES5_bNS0_12_GLOBAL__N_116CompareEqFunctorIS5_EEEEEEvRNS_18TensorIteratorBaseERKT_EUlibE_EEviT1_
; %bb.0:
	s_load_b32 s3, s[0:1], 0x28
	s_bfe_u32 s4, ttmp6, 0x4000c
	s_load_b32 s16, s[0:1], 0x0
	s_add_co_i32 s13, s4, 1
	s_load_b256 s[4:11], s[0:1], 0x8
	s_and_b32 s2, ttmp6, 15
	s_wait_xcnt 0x0
	s_mul_i32 s0, ttmp9, s13
	s_getreg_b32 s12, hwreg(HW_REG_IB_STS2, 6, 4)
	s_add_co_i32 s2, s2, s0
	s_mov_b32 s15, 0
	s_wait_kmcnt 0x0
	s_bfe_u32 s13, s3, 0x80008
	s_cmp_eq_u32 s12, 0
	s_mov_b32 s12, 0
	s_cselect_b32 s0, ttmp9, s2
	s_delay_alu instid0(SALU_CYCLE_1) | instskip(SKIP_1) | instid1(VALU_DEP_1)
	v_lshl_or_b32 v4, s0, 9, v0
	s_mov_b32 s0, exec_lo
	v_or_b32_e32 v0, 0x180, v4
	s_delay_alu instid0(VALU_DEP_1)
	v_cmpx_le_i32_e64 s16, v0
	s_xor_b32 s14, exec_lo, s0
	s_cbranch_execz .LBB241_1699
; %bb.1:
	s_cmp_eq_u32 s10, 0
	s_mov_b32 s20, 0
	s_cselect_b32 s0, -1, 0
	s_lshl_b32 s1, s11, 8
	s_lshl_b32 s2, s11, 25
	s_and_b32 s1, s1, 0x7f00
	s_lshr_b32 s15, s2, 4
	s_or_b32 s1, s1, 0.5
	s_or_b32 s15, s15, 0x70000000
	s_add_f32 s1, s1, -0.5
	s_mul_f32 s15, s15, 0x7800000
	s_cmp_lt_u32 s2, 0x8000000
	s_mov_b32 s18, 0
	s_mov_b32 s17, 0
	s_cselect_b32 s1, s1, s15
	s_lshl_b32 s2, s11, 24
	s_mov_b32 s19, exec_lo
	s_and_b32 s2, s2, 0x80000000
	s_delay_alu instid0(SALU_CYCLE_1)
	s_or_b32 s15, s2, s1
	s_mov_b32 s1, -1
	v_cmpx_gt_i32_e64 s16, v4
	s_cbranch_execz .LBB241_419
; %bb.2:
	v_mul_lo_u32 v0, v4, s9
	s_and_b32 s1, 0xffff, s13
	s_delay_alu instid0(SALU_CYCLE_1) | instskip(NEXT) | instid1(VALU_DEP_1)
	s_cmp_lt_i32 s1, 11
	v_ashrrev_i32_e32 v1, 31, v0
	s_delay_alu instid0(VALU_DEP_1)
	v_add_nc_u64_e32 v[0:1], s[6:7], v[0:1]
	s_cbranch_scc1 .LBB241_17
; %bb.3:
	s_cmp_gt_i32 s1, 25
	s_cbranch_scc0 .LBB241_26
; %bb.4:
	s_cmp_gt_i32 s1, 28
	s_cbranch_scc0 .LBB241_29
	;; [unrolled: 3-line block ×4, first 2 shown]
; %bb.7:
	s_cmp_eq_u32 s1, 46
	s_cbranch_scc0 .LBB241_35
; %bb.8:
	global_load_b32 v2, v[0:1], off
	s_mov_b32 s2, exec_lo
                                        ; implicit-def: $vgpr3
	s_wait_loadcnt 0x0
	v_lshlrev_b32_e32 v2, 16, v2
	s_delay_alu instid0(VALU_DEP_1) | instskip(NEXT) | instid1(VALU_DEP_1)
	v_and_b32_e32 v5, 0x7fffffff, v2
	v_cmpx_gt_u32_e32 0x47800000, v5
	s_xor_b32 s2, exec_lo, s2
	s_cbranch_execz .LBB241_14
; %bb.9:
	s_mov_b32 s18, exec_lo
                                        ; implicit-def: $vgpr3
	v_cmpx_lt_u32_e32 0x387fffff, v5
	s_xor_b32 s18, exec_lo, s18
; %bb.10:
	v_bfe_u32 v3, v2, 21, 1
	s_delay_alu instid0(VALU_DEP_1) | instskip(NEXT) | instid1(VALU_DEP_1)
	v_add3_u32 v3, v2, v3, 0x80fffff
	v_lshrrev_b32_e32 v3, 21, v3
; %bb.11:
	s_and_not1_saveexec_b32 s18, s18
; %bb.12:
	v_add_f32_e64 v3, 0x43000000, |v2|
; %bb.13:
	s_or_b32 exec_lo, exec_lo, s18
                                        ; implicit-def: $vgpr5
.LBB241_14:
	s_and_not1_saveexec_b32 s2, s2
; %bb.15:
	v_mov_b32_e32 v3, 0x7f
	v_cmp_lt_u32_e32 vcc_lo, 0x7f800000, v5
	s_delay_alu instid0(VALU_DEP_2)
	v_cndmask_b32_e32 v3, 0x7c, v3, vcc_lo
; %bb.16:
	s_or_b32 exec_lo, exec_lo, s2
	v_lshrrev_b32_e32 v2, 24, v2
	s_mov_b32 s2, -1
	s_mov_b32 s18, 0
	s_delay_alu instid0(VALU_DEP_1)
	v_and_or_b32 v2, 0x80, v2, v3
	s_branch .LBB241_37
.LBB241_17:
	s_mov_b32 s2, 0
                                        ; implicit-def: $vgpr2
	s_cbranch_execnz .LBB241_281
.LBB241_18:
	s_and_not1_b32 vcc_lo, exec_lo, s2
	s_cbranch_vccnz .LBB241_416
.LBB241_19:
	s_wait_loadcnt 0x0
	s_delay_alu instid0(VALU_DEP_1) | instskip(SKIP_1) | instid1(SALU_CYCLE_1)
	v_lshlrev_b16 v1, 8, v2
	s_and_b32 s17, s3, 0xff
	s_cmp_lt_i32 s17, 11
	s_delay_alu instid0(VALU_DEP_1) | instskip(SKIP_2) | instid1(VALU_DEP_2)
	v_and_or_b32 v3, 0x7f00, v1, 0.5
	v_lshlrev_b32_e32 v0, 25, v2
	v_bfe_i32 v1, v1, 0, 16
	v_dual_add_f32 v3, -0.5, v3 :: v_dual_lshrrev_b32 v2, 4, v0
	v_cmp_gt_u32_e32 vcc_lo, 0x8000000, v0
	s_delay_alu instid0(VALU_DEP_2) | instskip(NEXT) | instid1(VALU_DEP_1)
	v_or_b32_e32 v2, 0x70000000, v2
	v_mul_f32_e32 v2, 0x7800000, v2
	s_delay_alu instid0(VALU_DEP_1) | instskip(NEXT) | instid1(VALU_DEP_1)
	v_cndmask_b32_e32 v0, v2, v3, vcc_lo
	v_and_or_b32 v1, 0x80000000, v1, v0
	v_mul_lo_u32 v0, v4, s8
	s_delay_alu instid0(VALU_DEP_2) | instskip(SKIP_3) | instid1(VALU_DEP_1)
	v_cmp_eq_f32_e32 vcc_lo, s15, v1
	v_cndmask_b32_e64 v2, 0, 1, vcc_lo
	v_cmp_neq_f32_e32 vcc_lo, s15, v1
	v_cndmask_b32_e64 v1, 0, 1, vcc_lo
	v_dual_cndmask_b32 v2, v1, v2, s0 :: v_dual_ashrrev_i32 v1, 31, v0
	s_delay_alu instid0(VALU_DEP_1) | instskip(NEXT) | instid1(VALU_DEP_2)
	v_and_b32_e32 v2, 1, v2
	v_add_nc_u64_e32 v[0:1], s[4:5], v[0:1]
	s_delay_alu instid0(VALU_DEP_2)
	v_cmp_eq_u32_e64 s1, 1, v2
	s_cbranch_scc1 .LBB241_27
; %bb.20:
	s_and_b32 s21, 0xffff, s17
	s_delay_alu instid0(SALU_CYCLE_1)
	s_cmp_gt_i32 s21, 25
	s_cbranch_scc0 .LBB241_30
; %bb.21:
	s_cmp_gt_i32 s21, 28
	s_cbranch_scc0 .LBB241_32
; %bb.22:
	;; [unrolled: 3-line block ×4, first 2 shown]
	s_mov_b32 s23, 0
	s_mov_b32 s2, -1
	s_cmp_eq_u32 s21, 46
	s_mov_b32 s22, 0
	s_cbranch_scc0 .LBB241_49
; %bb.25:
	v_cndmask_b32_e64 v2, 0, 1.0, s1
	s_mov_b32 s22, -1
	s_mov_b32 s2, 0
	s_delay_alu instid0(VALU_DEP_1) | instskip(NEXT) | instid1(VALU_DEP_1)
	v_bfe_u32 v3, v2, 16, 1
	v_add3_u32 v2, v2, v3, 0x7fff
	s_delay_alu instid0(VALU_DEP_1)
	v_lshrrev_b32_e32 v2, 16, v2
	global_store_b32 v[0:1], v2, off
	s_branch .LBB241_49
.LBB241_26:
	s_mov_b32 s2, 0
                                        ; implicit-def: $vgpr2
	s_cbranch_execnz .LBB241_215
	s_branch .LBB241_280
.LBB241_27:
	s_mov_b32 s2, 0
	s_mov_b32 s22, 0
	s_cbranch_execnz .LBB241_118
.LBB241_28:
	s_and_not1_b32 vcc_lo, exec_lo, s22
	s_cbranch_vccnz .LBB241_417
	s_branch .LBB241_156
.LBB241_29:
	s_mov_b32 s17, -1
	s_mov_b32 s2, 0
                                        ; implicit-def: $vgpr2
	s_branch .LBB241_172
.LBB241_30:
	s_mov_b32 s23, -1
	s_mov_b32 s2, 0
	s_mov_b32 s22, 0
	s_branch .LBB241_76
.LBB241_31:
	s_mov_b32 s17, -1
	s_mov_b32 s2, 0
                                        ; implicit-def: $vgpr2
	s_branch .LBB241_159
.LBB241_32:
	s_mov_b32 s23, -1
	s_mov_b32 s2, 0
	s_mov_b32 s22, 0
	s_branch .LBB241_59
.LBB241_33:
	s_mov_b32 s17, -1
	s_branch .LBB241_36
.LBB241_34:
	s_mov_b32 s23, -1
	s_mov_b32 s2, 0
	s_mov_b32 s22, 0
	s_branch .LBB241_55
.LBB241_35:
	s_mov_b32 s18, -1
.LBB241_36:
	s_mov_b32 s2, 0
                                        ; implicit-def: $vgpr2
.LBB241_37:
	s_and_b32 vcc_lo, exec_lo, s17
	s_cbranch_vccz .LBB241_158
; %bb.38:
	s_cmp_eq_u32 s1, 44
	s_cbranch_scc0 .LBB241_157
; %bb.39:
	global_load_u8 v2, v[0:1], off
	s_mov_b32 s2, exec_lo
	s_wait_loadcnt 0x0
	v_lshlrev_b32_e32 v3, 23, v2
	v_cmp_ne_u32_e32 vcc_lo, 0xff, v2
	s_delay_alu instid0(VALU_DEP_2) | instskip(SKIP_1) | instid1(VALU_DEP_2)
	v_cndmask_b32_e32 v3, 0x7f800001, v3, vcc_lo
	v_cmp_ne_u32_e32 vcc_lo, 0, v2
                                        ; implicit-def: $vgpr2
	v_cndmask_b32_e32 v3, 0x400000, v3, vcc_lo
	s_delay_alu instid0(VALU_DEP_1)
	v_cmpx_gt_u32_e32 0x47800000, v3
	s_xor_b32 s2, exec_lo, s2
	s_cbranch_execz .LBB241_45
; %bb.40:
	s_mov_b32 s17, exec_lo
                                        ; implicit-def: $vgpr2
	v_cmpx_lt_u32_e32 0x387fffff, v3
	s_xor_b32 s17, exec_lo, s17
; %bb.41:
	v_bfe_u32 v2, v3, 21, 1
	s_delay_alu instid0(VALU_DEP_1) | instskip(NEXT) | instid1(VALU_DEP_1)
	v_add3_u32 v2, v3, v2, 0x80fffff
                                        ; implicit-def: $vgpr3
	v_lshrrev_b32_e32 v2, 21, v2
; %bb.42:
	s_and_not1_saveexec_b32 s17, s17
; %bb.43:
	v_add_f32_e32 v2, 0x43000000, v3
; %bb.44:
	s_or_b32 exec_lo, exec_lo, s17
                                        ; implicit-def: $vgpr3
.LBB241_45:
	s_and_not1_saveexec_b32 s2, s2
; %bb.46:
	v_mov_b32_e32 v2, 0x7f
	v_cmp_lt_u32_e32 vcc_lo, 0x7f800000, v3
	s_delay_alu instid0(VALU_DEP_2)
	v_cndmask_b32_e32 v2, 0x7c, v2, vcc_lo
; %bb.47:
	s_or_b32 exec_lo, exec_lo, s2
	s_mov_b32 s2, -1
	s_mov_b32 s18, 0
	s_branch .LBB241_158
.LBB241_48:
	s_mov_b32 s23, -1
	s_mov_b32 s2, 0
	s_mov_b32 s22, 0
.LBB241_49:
	s_and_b32 vcc_lo, exec_lo, s23
	s_cbranch_vccz .LBB241_54
; %bb.50:
	s_cmp_eq_u32 s21, 44
	s_mov_b32 s2, -1
	s_cbranch_scc0 .LBB241_54
; %bb.51:
	v_cndmask_b32_e64 v5, 0, 1.0, s1
	s_mov_b32 s22, exec_lo
	s_wait_xcnt 0x0
	s_delay_alu instid0(VALU_DEP_1) | instskip(NEXT) | instid1(VALU_DEP_1)
	v_dual_mov_b32 v3, 0xff :: v_dual_lshrrev_b32 v2, 23, v5
	v_cmpx_ne_u32_e32 0xff, v2
; %bb.52:
	v_and_b32_e32 v3, 0x400000, v5
	v_and_or_b32 v5, 0x3fffff, v5, v2
	s_delay_alu instid0(VALU_DEP_2) | instskip(NEXT) | instid1(VALU_DEP_2)
	v_cmp_ne_u32_e32 vcc_lo, 0, v3
	v_cmp_ne_u32_e64 s2, 0, v5
	s_and_b32 s2, vcc_lo, s2
	s_delay_alu instid0(SALU_CYCLE_1) | instskip(NEXT) | instid1(VALU_DEP_1)
	v_cndmask_b32_e64 v3, 0, 1, s2
	v_add_nc_u32_e32 v3, v2, v3
; %bb.53:
	s_or_b32 exec_lo, exec_lo, s22
	s_mov_b32 s22, -1
	s_mov_b32 s2, 0
	global_store_b8 v[0:1], v3, off
.LBB241_54:
	s_mov_b32 s23, 0
.LBB241_55:
	s_delay_alu instid0(SALU_CYCLE_1)
	s_and_b32 vcc_lo, exec_lo, s23
	s_cbranch_vccz .LBB241_58
; %bb.56:
	s_cmp_eq_u32 s21, 29
	s_mov_b32 s2, -1
	s_cbranch_scc0 .LBB241_58
; %bb.57:
	s_mov_b32 s2, 0
	s_wait_xcnt 0x0
	v_cndmask_b32_e64 v2, 0, 1, s1
	v_mov_b32_e32 v3, s2
	s_mov_b32 s22, -1
	s_mov_b32 s23, 0
	global_store_b64 v[0:1], v[2:3], off
	s_branch .LBB241_59
.LBB241_58:
	s_mov_b32 s23, 0
.LBB241_59:
	s_delay_alu instid0(SALU_CYCLE_1)
	s_and_b32 vcc_lo, exec_lo, s23
	s_cbranch_vccz .LBB241_75
; %bb.60:
	s_cmp_lt_i32 s21, 27
	s_mov_b32 s22, -1
	s_cbranch_scc1 .LBB241_66
; %bb.61:
	s_cmp_gt_i32 s21, 27
	s_cbranch_scc0 .LBB241_63
; %bb.62:
	s_wait_xcnt 0x0
	v_cndmask_b32_e64 v2, 0, 1, s1
	s_mov_b32 s22, 0
	global_store_b32 v[0:1], v2, off
.LBB241_63:
	s_and_not1_b32 vcc_lo, exec_lo, s22
	s_cbranch_vccnz .LBB241_65
; %bb.64:
	s_wait_xcnt 0x0
	v_cndmask_b32_e64 v2, 0, 1, s1
	global_store_b16 v[0:1], v2, off
.LBB241_65:
	s_mov_b32 s22, 0
.LBB241_66:
	s_delay_alu instid0(SALU_CYCLE_1)
	s_and_not1_b32 vcc_lo, exec_lo, s22
	s_cbranch_vccnz .LBB241_74
; %bb.67:
	s_wait_xcnt 0x0
	v_cndmask_b32_e64 v3, 0, 1.0, s1
	v_mov_b32_e32 v5, 0x80
	s_mov_b32 s22, exec_lo
	s_delay_alu instid0(VALU_DEP_2)
	v_cmpx_gt_u32_e32 0x43800000, v3
	s_cbranch_execz .LBB241_73
; %bb.68:
	s_mov_b32 s23, 0
	s_mov_b32 s24, exec_lo
                                        ; implicit-def: $vgpr2
	v_cmpx_lt_u32_e32 0x3bffffff, v3
	s_xor_b32 s24, exec_lo, s24
	s_cbranch_execz .LBB241_462
; %bb.69:
	v_bfe_u32 v2, v3, 20, 1
	s_mov_b32 s23, exec_lo
	s_delay_alu instid0(VALU_DEP_1) | instskip(NEXT) | instid1(VALU_DEP_1)
	v_add3_u32 v2, v3, v2, 0x487ffff
                                        ; implicit-def: $vgpr3
	v_lshrrev_b32_e32 v2, 20, v2
	s_and_not1_saveexec_b32 s24, s24
	s_cbranch_execnz .LBB241_463
.LBB241_70:
	s_or_b32 exec_lo, exec_lo, s24
	v_mov_b32_e32 v5, 0
	s_and_saveexec_b32 s24, s23
.LBB241_71:
	v_mov_b32_e32 v5, v2
.LBB241_72:
	s_or_b32 exec_lo, exec_lo, s24
.LBB241_73:
	s_delay_alu instid0(SALU_CYCLE_1)
	s_or_b32 exec_lo, exec_lo, s22
	global_store_b8 v[0:1], v5, off
.LBB241_74:
	s_mov_b32 s22, -1
.LBB241_75:
	s_mov_b32 s23, 0
.LBB241_76:
	s_delay_alu instid0(SALU_CYCLE_1)
	s_and_b32 vcc_lo, exec_lo, s23
	s_cbranch_vccz .LBB241_117
; %bb.77:
	s_cmp_gt_i32 s21, 22
	s_mov_b32 s23, -1
	s_cbranch_scc0 .LBB241_109
; %bb.78:
	s_cmp_lt_i32 s21, 24
	s_mov_b32 s22, -1
	s_cbranch_scc1 .LBB241_98
; %bb.79:
	s_cmp_gt_i32 s21, 24
	s_cbranch_scc0 .LBB241_87
; %bb.80:
	s_wait_xcnt 0x0
	v_cndmask_b32_e64 v3, 0, 1.0, s1
	v_mov_b32_e32 v5, 0x80
	s_mov_b32 s22, exec_lo
	s_delay_alu instid0(VALU_DEP_2)
	v_cmpx_gt_u32_e32 0x47800000, v3
	s_cbranch_execz .LBB241_86
; %bb.81:
	s_mov_b32 s23, 0
	s_mov_b32 s24, exec_lo
                                        ; implicit-def: $vgpr2
	v_cmpx_lt_u32_e32 0x37ffffff, v3
	s_xor_b32 s24, exec_lo, s24
	s_cbranch_execz .LBB241_466
; %bb.82:
	v_bfe_u32 v2, v3, 21, 1
	s_mov_b32 s23, exec_lo
	s_delay_alu instid0(VALU_DEP_1) | instskip(NEXT) | instid1(VALU_DEP_1)
	v_add3_u32 v2, v3, v2, 0x88fffff
                                        ; implicit-def: $vgpr3
	v_lshrrev_b32_e32 v2, 21, v2
	s_and_not1_saveexec_b32 s24, s24
	s_cbranch_execnz .LBB241_467
.LBB241_83:
	s_or_b32 exec_lo, exec_lo, s24
	v_mov_b32_e32 v5, 0
	s_and_saveexec_b32 s24, s23
.LBB241_84:
	v_mov_b32_e32 v5, v2
.LBB241_85:
	s_or_b32 exec_lo, exec_lo, s24
.LBB241_86:
	s_delay_alu instid0(SALU_CYCLE_1)
	s_or_b32 exec_lo, exec_lo, s22
	s_mov_b32 s22, 0
	global_store_b8 v[0:1], v5, off
.LBB241_87:
	s_and_b32 vcc_lo, exec_lo, s22
	s_cbranch_vccz .LBB241_97
; %bb.88:
	s_wait_xcnt 0x0
	v_cndmask_b32_e64 v3, 0, 1.0, s1
	s_mov_b32 s22, exec_lo
                                        ; implicit-def: $vgpr2
	s_delay_alu instid0(VALU_DEP_1)
	v_cmpx_gt_u32_e32 0x43f00000, v3
	s_xor_b32 s22, exec_lo, s22
	s_cbranch_execz .LBB241_94
; %bb.89:
	s_mov_b32 s23, exec_lo
                                        ; implicit-def: $vgpr2
	v_cmpx_lt_u32_e32 0x3c7fffff, v3
	s_xor_b32 s23, exec_lo, s23
; %bb.90:
	v_bfe_u32 v2, v3, 20, 1
	s_delay_alu instid0(VALU_DEP_1) | instskip(NEXT) | instid1(VALU_DEP_1)
	v_add3_u32 v2, v3, v2, 0x407ffff
	v_and_b32_e32 v3, 0xff00000, v2
	v_lshrrev_b32_e32 v2, 20, v2
	s_delay_alu instid0(VALU_DEP_2) | instskip(NEXT) | instid1(VALU_DEP_2)
	v_cmp_ne_u32_e32 vcc_lo, 0x7f00000, v3
                                        ; implicit-def: $vgpr3
	v_cndmask_b32_e32 v2, 0x7e, v2, vcc_lo
; %bb.91:
	s_and_not1_saveexec_b32 s23, s23
; %bb.92:
	v_add_f32_e32 v2, 0x46800000, v3
; %bb.93:
	s_or_b32 exec_lo, exec_lo, s23
                                        ; implicit-def: $vgpr3
.LBB241_94:
	s_and_not1_saveexec_b32 s22, s22
; %bb.95:
	v_mov_b32_e32 v2, 0x7f
	v_cmp_lt_u32_e32 vcc_lo, 0x7f800000, v3
	s_delay_alu instid0(VALU_DEP_2)
	v_cndmask_b32_e32 v2, 0x7e, v2, vcc_lo
; %bb.96:
	s_or_b32 exec_lo, exec_lo, s22
	global_store_b8 v[0:1], v2, off
.LBB241_97:
	s_mov_b32 s22, 0
.LBB241_98:
	s_delay_alu instid0(SALU_CYCLE_1)
	s_and_not1_b32 vcc_lo, exec_lo, s22
	s_cbranch_vccnz .LBB241_108
; %bb.99:
	s_wait_xcnt 0x0
	v_cndmask_b32_e64 v3, 0, 1.0, s1
	s_mov_b32 s22, exec_lo
                                        ; implicit-def: $vgpr2
	s_delay_alu instid0(VALU_DEP_1)
	v_cmpx_gt_u32_e32 0x47800000, v3
	s_xor_b32 s22, exec_lo, s22
	s_cbranch_execz .LBB241_105
; %bb.100:
	s_mov_b32 s23, exec_lo
                                        ; implicit-def: $vgpr2
	v_cmpx_lt_u32_e32 0x387fffff, v3
	s_xor_b32 s23, exec_lo, s23
; %bb.101:
	v_bfe_u32 v2, v3, 21, 1
	s_delay_alu instid0(VALU_DEP_1) | instskip(NEXT) | instid1(VALU_DEP_1)
	v_add3_u32 v2, v3, v2, 0x80fffff
                                        ; implicit-def: $vgpr3
	v_lshrrev_b32_e32 v2, 21, v2
; %bb.102:
	s_and_not1_saveexec_b32 s23, s23
; %bb.103:
	v_add_f32_e32 v2, 0x43000000, v3
; %bb.104:
	s_or_b32 exec_lo, exec_lo, s23
                                        ; implicit-def: $vgpr3
.LBB241_105:
	s_and_not1_saveexec_b32 s22, s22
; %bb.106:
	v_mov_b32_e32 v2, 0x7f
	v_cmp_lt_u32_e32 vcc_lo, 0x7f800000, v3
	s_delay_alu instid0(VALU_DEP_2)
	v_cndmask_b32_e32 v2, 0x7c, v2, vcc_lo
; %bb.107:
	s_or_b32 exec_lo, exec_lo, s22
	global_store_b8 v[0:1], v2, off
.LBB241_108:
	s_mov_b32 s23, 0
	s_mov_b32 s22, -1
.LBB241_109:
	s_and_not1_b32 vcc_lo, exec_lo, s23
	s_cbranch_vccnz .LBB241_117
; %bb.110:
	s_cmp_gt_i32 s21, 14
	s_mov_b32 s23, -1
	s_cbranch_scc0 .LBB241_114
; %bb.111:
	s_cmp_eq_u32 s21, 15
	s_mov_b32 s2, -1
	s_cbranch_scc0 .LBB241_113
; %bb.112:
	s_wait_xcnt 0x0
	v_cndmask_b32_e64 v2, 0, 1.0, s1
	s_mov_b32 s22, -1
	s_mov_b32 s2, 0
	s_delay_alu instid0(VALU_DEP_1) | instskip(NEXT) | instid1(VALU_DEP_1)
	v_bfe_u32 v3, v2, 16, 1
	v_add3_u32 v2, v2, v3, 0x7fff
	global_store_d16_hi_b16 v[0:1], v2, off
.LBB241_113:
	s_mov_b32 s23, 0
.LBB241_114:
	s_delay_alu instid0(SALU_CYCLE_1)
	s_and_b32 vcc_lo, exec_lo, s23
	s_cbranch_vccz .LBB241_117
; %bb.115:
	s_cmp_eq_u32 s21, 11
	s_mov_b32 s2, -1
	s_cbranch_scc0 .LBB241_117
; %bb.116:
	s_wait_xcnt 0x0
	v_cndmask_b32_e64 v2, 0, 1, s1
	s_mov_b32 s22, -1
	s_mov_b32 s2, 0
	global_store_b8 v[0:1], v2, off
.LBB241_117:
	s_branch .LBB241_28
.LBB241_118:
	s_and_b32 s17, 0xffff, s17
	s_mov_b32 s21, -1
	s_cmp_lt_i32 s17, 5
	s_cbranch_scc1 .LBB241_139
; %bb.119:
	s_cmp_lt_i32 s17, 8
	s_cbranch_scc1 .LBB241_129
; %bb.120:
	;; [unrolled: 3-line block ×3, first 2 shown]
	s_cmp_gt_i32 s17, 9
	s_cbranch_scc0 .LBB241_123
; %bb.122:
	s_wait_xcnt 0x0
	v_cndmask_b32_e64 v2, 0, 1, s1
	v_mov_b32_e32 v8, 0
	s_mov_b32 s21, 0
	s_delay_alu instid0(VALU_DEP_2) | instskip(NEXT) | instid1(VALU_DEP_2)
	v_cvt_f64_u32_e32 v[6:7], v2
	v_mov_b32_e32 v9, v8
	global_store_b128 v[0:1], v[6:9], off
.LBB241_123:
	s_and_not1_b32 vcc_lo, exec_lo, s21
	s_cbranch_vccnz .LBB241_125
; %bb.124:
	s_wait_xcnt 0x0
	v_cndmask_b32_e64 v2, 0, 1.0, s1
	v_mov_b32_e32 v3, 0
	global_store_b64 v[0:1], v[2:3], off
.LBB241_125:
	s_mov_b32 s21, 0
.LBB241_126:
	s_delay_alu instid0(SALU_CYCLE_1)
	s_and_not1_b32 vcc_lo, exec_lo, s21
	s_cbranch_vccnz .LBB241_128
; %bb.127:
	s_wait_xcnt 0x0
	v_cndmask_b32_e64 v2, 0, 1.0, s1
	s_delay_alu instid0(VALU_DEP_1) | instskip(NEXT) | instid1(VALU_DEP_1)
	v_cvt_f16_f32_e32 v2, v2
	v_and_b32_e32 v2, 0xffff, v2
	global_store_b32 v[0:1], v2, off
.LBB241_128:
	s_mov_b32 s21, 0
.LBB241_129:
	s_delay_alu instid0(SALU_CYCLE_1)
	s_and_not1_b32 vcc_lo, exec_lo, s21
	s_cbranch_vccnz .LBB241_138
; %bb.130:
	s_cmp_lt_i32 s17, 6
	s_mov_b32 s21, -1
	s_cbranch_scc1 .LBB241_136
; %bb.131:
	s_cmp_gt_i32 s17, 6
	s_cbranch_scc0 .LBB241_133
; %bb.132:
	s_wait_xcnt 0x0
	v_cndmask_b32_e64 v2, 0, 1, s1
	s_mov_b32 s21, 0
	s_delay_alu instid0(VALU_DEP_1)
	v_cvt_f64_u32_e32 v[2:3], v2
	global_store_b64 v[0:1], v[2:3], off
.LBB241_133:
	s_and_not1_b32 vcc_lo, exec_lo, s21
	s_cbranch_vccnz .LBB241_135
; %bb.134:
	s_wait_xcnt 0x0
	v_cndmask_b32_e64 v2, 0, 1.0, s1
	global_store_b32 v[0:1], v2, off
.LBB241_135:
	s_mov_b32 s21, 0
.LBB241_136:
	s_delay_alu instid0(SALU_CYCLE_1)
	s_and_not1_b32 vcc_lo, exec_lo, s21
	s_cbranch_vccnz .LBB241_138
; %bb.137:
	s_wait_xcnt 0x0
	v_cndmask_b32_e64 v2, 0, 1.0, s1
	s_delay_alu instid0(VALU_DEP_1)
	v_cvt_f16_f32_e32 v2, v2
	global_store_b16 v[0:1], v2, off
.LBB241_138:
	s_mov_b32 s21, 0
.LBB241_139:
	s_delay_alu instid0(SALU_CYCLE_1)
	s_and_not1_b32 vcc_lo, exec_lo, s21
	s_cbranch_vccnz .LBB241_155
; %bb.140:
	s_cmp_lt_i32 s17, 2
	s_mov_b32 s21, -1
	s_cbranch_scc1 .LBB241_150
; %bb.141:
	s_cmp_lt_i32 s17, 3
	s_cbranch_scc1 .LBB241_147
; %bb.142:
	s_cmp_gt_i32 s17, 3
	s_cbranch_scc0 .LBB241_144
; %bb.143:
	s_mov_b32 s21, 0
	s_wait_xcnt 0x0
	v_cndmask_b32_e64 v2, 0, 1, s1
	v_mov_b32_e32 v3, s21
	global_store_b64 v[0:1], v[2:3], off
.LBB241_144:
	s_and_not1_b32 vcc_lo, exec_lo, s21
	s_cbranch_vccnz .LBB241_146
; %bb.145:
	s_wait_xcnt 0x0
	v_cndmask_b32_e64 v2, 0, 1, s1
	global_store_b32 v[0:1], v2, off
.LBB241_146:
	s_mov_b32 s21, 0
.LBB241_147:
	s_delay_alu instid0(SALU_CYCLE_1)
	s_and_not1_b32 vcc_lo, exec_lo, s21
	s_cbranch_vccnz .LBB241_149
; %bb.148:
	s_wait_xcnt 0x0
	v_cndmask_b32_e64 v2, 0, 1, s1
	global_store_b16 v[0:1], v2, off
.LBB241_149:
	s_mov_b32 s21, 0
.LBB241_150:
	s_delay_alu instid0(SALU_CYCLE_1)
	s_and_not1_b32 vcc_lo, exec_lo, s21
	s_cbranch_vccnz .LBB241_155
; %bb.151:
	s_wait_xcnt 0x0
	v_cndmask_b32_e64 v2, 0, 1, s1
	s_cmp_gt_i32 s17, 0
	s_mov_b32 s1, -1
	s_cbranch_scc0 .LBB241_153
; %bb.152:
	s_mov_b32 s1, 0
	global_store_b8 v[0:1], v2, off
.LBB241_153:
	s_and_not1_b32 vcc_lo, exec_lo, s1
	s_cbranch_vccnz .LBB241_155
; %bb.154:
	global_store_b8 v[0:1], v2, off
.LBB241_155:
.LBB241_156:
	v_add_nc_u32_e32 v4, 0x80, v4
	s_mov_b32 s1, -1
	s_branch .LBB241_418
.LBB241_157:
	s_mov_b32 s18, -1
                                        ; implicit-def: $vgpr2
.LBB241_158:
	s_mov_b32 s17, 0
.LBB241_159:
	s_delay_alu instid0(SALU_CYCLE_1)
	s_and_b32 vcc_lo, exec_lo, s17
	s_cbranch_vccz .LBB241_171
; %bb.160:
	s_cmp_eq_u32 s1, 29
	s_cbranch_scc0 .LBB241_170
; %bb.161:
	global_load_b64 v[2:3], v[0:1], off
	s_mov_b32 s2, exec_lo
	s_wait_loadcnt 0x0
	v_clz_i32_u32_e32 v5, v3
	s_delay_alu instid0(VALU_DEP_1) | instskip(NEXT) | instid1(VALU_DEP_1)
	v_min_u32_e32 v5, 32, v5
	v_lshlrev_b64_e32 v[2:3], v5, v[2:3]
	s_delay_alu instid0(VALU_DEP_1) | instskip(NEXT) | instid1(VALU_DEP_1)
	v_min_u32_e32 v2, 1, v2
	v_dual_sub_nc_u32 v3, 32, v5 :: v_dual_bitop2_b32 v2, v3, v2 bitop3:0x54
	s_delay_alu instid0(VALU_DEP_1) | instskip(NEXT) | instid1(VALU_DEP_1)
	v_cvt_f32_u32_e32 v2, v2
	v_ldexp_f32 v3, v2, v3
                                        ; implicit-def: $vgpr2
	s_delay_alu instid0(VALU_DEP_1)
	v_cmpx_gt_u32_e32 0x47800000, v3
	s_xor_b32 s2, exec_lo, s2
	s_cbranch_execz .LBB241_167
; %bb.162:
	s_mov_b32 s17, exec_lo
                                        ; implicit-def: $vgpr2
	v_cmpx_lt_u32_e32 0x387fffff, v3
	s_xor_b32 s17, exec_lo, s17
; %bb.163:
	v_bfe_u32 v2, v3, 21, 1
	s_delay_alu instid0(VALU_DEP_1) | instskip(NEXT) | instid1(VALU_DEP_1)
	v_add3_u32 v2, v3, v2, 0x80fffff
                                        ; implicit-def: $vgpr3
	v_lshrrev_b32_e32 v2, 21, v2
; %bb.164:
	s_and_not1_saveexec_b32 s17, s17
; %bb.165:
	v_add_f32_e32 v2, 0x43000000, v3
; %bb.166:
	s_or_b32 exec_lo, exec_lo, s17
                                        ; implicit-def: $vgpr3
.LBB241_167:
	s_and_not1_saveexec_b32 s2, s2
; %bb.168:
	v_mov_b32_e32 v2, 0x7f
	v_cmp_lt_u32_e32 vcc_lo, 0x7f800000, v3
	s_delay_alu instid0(VALU_DEP_2)
	v_cndmask_b32_e32 v2, 0x7c, v2, vcc_lo
; %bb.169:
	s_or_b32 exec_lo, exec_lo, s2
	s_mov_b32 s2, -1
	s_mov_b32 s18, 0
	s_branch .LBB241_171
.LBB241_170:
	s_mov_b32 s18, -1
                                        ; implicit-def: $vgpr2
.LBB241_171:
	s_mov_b32 s17, 0
.LBB241_172:
	s_delay_alu instid0(SALU_CYCLE_1)
	s_and_b32 vcc_lo, exec_lo, s17
	s_cbranch_vccz .LBB241_214
; %bb.173:
	s_cmp_lt_i32 s1, 27
	s_cbranch_scc1 .LBB241_184
; %bb.174:
	s_cmp_gt_i32 s1, 27
	s_cbranch_scc0 .LBB241_185
; %bb.175:
	global_load_b32 v2, v[0:1], off
	s_mov_b32 s2, exec_lo
	s_wait_loadcnt 0x0
	v_cvt_f32_u32_e32 v3, v2
                                        ; implicit-def: $vgpr2
	s_delay_alu instid0(VALU_DEP_1)
	v_cmpx_gt_u32_e32 0x47800000, v3
	s_xor_b32 s2, exec_lo, s2
	s_cbranch_execz .LBB241_181
; %bb.176:
	s_mov_b32 s17, exec_lo
                                        ; implicit-def: $vgpr2
	v_cmpx_lt_u32_e32 0x387fffff, v3
	s_xor_b32 s17, exec_lo, s17
; %bb.177:
	v_bfe_u32 v2, v3, 21, 1
	s_delay_alu instid0(VALU_DEP_1) | instskip(NEXT) | instid1(VALU_DEP_1)
	v_add3_u32 v2, v3, v2, 0x80fffff
                                        ; implicit-def: $vgpr3
	v_lshrrev_b32_e32 v2, 21, v2
; %bb.178:
	s_and_not1_saveexec_b32 s17, s17
; %bb.179:
	v_add_f32_e32 v2, 0x43000000, v3
; %bb.180:
	s_or_b32 exec_lo, exec_lo, s17
                                        ; implicit-def: $vgpr3
.LBB241_181:
	s_and_not1_saveexec_b32 s2, s2
; %bb.182:
	v_mov_b32_e32 v2, 0x7f
	v_cmp_lt_u32_e32 vcc_lo, 0x7f800000, v3
	s_delay_alu instid0(VALU_DEP_2)
	v_cndmask_b32_e32 v2, 0x7c, v2, vcc_lo
; %bb.183:
	s_or_b32 exec_lo, exec_lo, s2
	s_mov_b32 s2, 0
	s_branch .LBB241_186
.LBB241_184:
	s_mov_b32 s2, -1
                                        ; implicit-def: $vgpr2
	s_branch .LBB241_197
.LBB241_185:
	s_mov_b32 s2, -1
                                        ; implicit-def: $vgpr2
.LBB241_186:
	s_delay_alu instid0(SALU_CYCLE_1)
	s_and_b32 vcc_lo, exec_lo, s2
	s_cbranch_vccz .LBB241_196
; %bb.187:
	global_load_u16 v2, v[0:1], off
	s_mov_b32 s2, exec_lo
	s_wait_loadcnt 0x0
	v_cvt_f32_u32_e32 v3, v2
                                        ; implicit-def: $vgpr2
	s_delay_alu instid0(VALU_DEP_1)
	v_cmpx_gt_u32_e32 0x47800000, v3
	s_xor_b32 s2, exec_lo, s2
	s_cbranch_execz .LBB241_193
; %bb.188:
	s_mov_b32 s17, exec_lo
                                        ; implicit-def: $vgpr2
	v_cmpx_lt_u32_e32 0x387fffff, v3
	s_xor_b32 s17, exec_lo, s17
; %bb.189:
	v_bfe_u32 v2, v3, 21, 1
	s_delay_alu instid0(VALU_DEP_1) | instskip(NEXT) | instid1(VALU_DEP_1)
	v_add3_u32 v2, v3, v2, 0x80fffff
                                        ; implicit-def: $vgpr3
	v_lshrrev_b32_e32 v2, 21, v2
; %bb.190:
	s_and_not1_saveexec_b32 s17, s17
; %bb.191:
	v_add_f32_e32 v2, 0x43000000, v3
; %bb.192:
	s_or_b32 exec_lo, exec_lo, s17
                                        ; implicit-def: $vgpr3
.LBB241_193:
	s_and_not1_saveexec_b32 s2, s2
; %bb.194:
	v_mov_b32_e32 v2, 0x7f
	v_cmp_lt_u32_e32 vcc_lo, 0x7f800000, v3
	s_delay_alu instid0(VALU_DEP_2)
	v_cndmask_b32_e32 v2, 0x7c, v2, vcc_lo
; %bb.195:
	s_or_b32 exec_lo, exec_lo, s2
.LBB241_196:
	s_mov_b32 s2, 0
.LBB241_197:
	s_delay_alu instid0(SALU_CYCLE_1)
	s_and_not1_b32 vcc_lo, exec_lo, s2
	s_cbranch_vccnz .LBB241_213
; %bb.198:
	global_load_u8 v3, v[0:1], off
	s_mov_b32 s2, 0
	s_mov_b32 s17, exec_lo
	s_wait_loadcnt 0x0
	v_cmpx_lt_i16_e32 0x7f, v3
	s_xor_b32 s17, exec_lo, s17
	s_cbranch_execz .LBB241_234
; %bb.199:
	s_mov_b32 s2, -1
	s_mov_b32 s21, exec_lo
	v_cmpx_eq_u16_e32 0x80, v3
; %bb.200:
	s_xor_b32 s2, exec_lo, -1
; %bb.201:
	s_or_b32 exec_lo, exec_lo, s21
	s_delay_alu instid0(SALU_CYCLE_1)
	s_and_b32 s2, s2, exec_lo
	s_or_saveexec_b32 s17, s17
	v_mov_b32_e32 v2, 0x7f800001
	s_xor_b32 exec_lo, exec_lo, s17
	s_cbranch_execnz .LBB241_235
.LBB241_202:
	s_or_b32 exec_lo, exec_lo, s17
	s_and_saveexec_b32 s17, s2
	s_cbranch_execz .LBB241_204
.LBB241_203:
	v_and_b32_e32 v2, 0xffff, v3
	s_delay_alu instid0(VALU_DEP_1) | instskip(SKIP_1) | instid1(VALU_DEP_2)
	v_dual_lshlrev_b32 v3, 24, v3 :: v_dual_bitop2_b32 v5, 7, v2 bitop3:0x40
	v_bfe_u32 v8, v2, 3, 4
	v_and_b32_e32 v3, 0x80000000, v3
	s_delay_alu instid0(VALU_DEP_3) | instskip(NEXT) | instid1(VALU_DEP_3)
	v_clz_i32_u32_e32 v6, v5
	v_cmp_eq_u32_e32 vcc_lo, 0, v8
	s_delay_alu instid0(VALU_DEP_2) | instskip(NEXT) | instid1(VALU_DEP_1)
	v_min_u32_e32 v6, 32, v6
	v_subrev_nc_u32_e32 v7, 28, v6
	v_sub_nc_u32_e32 v6, 29, v6
	s_delay_alu instid0(VALU_DEP_2) | instskip(NEXT) | instid1(VALU_DEP_2)
	v_lshlrev_b32_e32 v2, v7, v2
	v_cndmask_b32_e32 v6, v8, v6, vcc_lo
	s_delay_alu instid0(VALU_DEP_2) | instskip(NEXT) | instid1(VALU_DEP_1)
	v_and_b32_e32 v2, 7, v2
	v_cndmask_b32_e32 v2, v5, v2, vcc_lo
	s_delay_alu instid0(VALU_DEP_3) | instskip(NEXT) | instid1(VALU_DEP_2)
	v_lshl_add_u32 v5, v6, 23, 0x3b800000
	v_lshlrev_b32_e32 v2, 20, v2
	s_delay_alu instid0(VALU_DEP_1)
	v_or3_b32 v2, v3, v5, v2
.LBB241_204:
	s_or_b32 exec_lo, exec_lo, s17
	s_delay_alu instid0(VALU_DEP_1) | instskip(SKIP_1) | instid1(VALU_DEP_1)
	v_and_b32_e32 v5, 0x7fffffff, v2
	s_mov_b32 s2, exec_lo
                                        ; implicit-def: $vgpr3
	v_cmpx_gt_u32_e32 0x47800000, v5
	s_xor_b32 s2, exec_lo, s2
	s_cbranch_execz .LBB241_210
; %bb.205:
	s_mov_b32 s17, exec_lo
                                        ; implicit-def: $vgpr3
	v_cmpx_lt_u32_e32 0x387fffff, v5
	s_xor_b32 s17, exec_lo, s17
; %bb.206:
	v_bfe_u32 v3, v2, 21, 1
	s_delay_alu instid0(VALU_DEP_1) | instskip(NEXT) | instid1(VALU_DEP_1)
	v_add3_u32 v3, v2, v3, 0x80fffff
	v_lshrrev_b32_e32 v3, 21, v3
; %bb.207:
	s_and_not1_saveexec_b32 s17, s17
; %bb.208:
	v_add_f32_e64 v3, 0x43000000, |v2|
; %bb.209:
	s_or_b32 exec_lo, exec_lo, s17
                                        ; implicit-def: $vgpr5
.LBB241_210:
	s_and_not1_saveexec_b32 s2, s2
; %bb.211:
	v_mov_b32_e32 v3, 0x7f
	v_cmp_lt_u32_e32 vcc_lo, 0x7f800000, v5
	s_delay_alu instid0(VALU_DEP_2)
	v_cndmask_b32_e32 v3, 0x7c, v3, vcc_lo
; %bb.212:
	s_or_b32 exec_lo, exec_lo, s2
	v_lshrrev_b32_e32 v2, 24, v2
	s_delay_alu instid0(VALU_DEP_1)
	v_and_or_b32 v2, 0x80, v2, v3
.LBB241_213:
	s_mov_b32 s2, -1
.LBB241_214:
	s_branch .LBB241_280
.LBB241_215:
	s_cmp_gt_i32 s1, 22
	s_cbranch_scc0 .LBB241_233
; %bb.216:
	s_cmp_lt_i32 s1, 24
	s_cbranch_scc1 .LBB241_236
; %bb.217:
	s_cmp_gt_i32 s1, 24
	s_cbranch_scc0 .LBB241_237
; %bb.218:
	global_load_u8 v3, v[0:1], off
	s_mov_b32 s2, 0
	s_mov_b32 s17, exec_lo
	s_wait_loadcnt 0x0
	v_cmpx_lt_i16_e32 0x7f, v3
	s_xor_b32 s17, exec_lo, s17
	s_cbranch_execz .LBB241_248
; %bb.219:
	s_mov_b32 s2, -1
	s_mov_b32 s21, exec_lo
	v_cmpx_eq_u16_e32 0x80, v3
; %bb.220:
	s_xor_b32 s2, exec_lo, -1
; %bb.221:
	s_or_b32 exec_lo, exec_lo, s21
	s_delay_alu instid0(SALU_CYCLE_1)
	s_and_b32 s2, s2, exec_lo
	s_or_saveexec_b32 s17, s17
	v_mov_b32_e32 v2, 0x7f800001
	s_xor_b32 exec_lo, exec_lo, s17
	s_cbranch_execnz .LBB241_249
.LBB241_222:
	s_or_b32 exec_lo, exec_lo, s17
	s_and_saveexec_b32 s17, s2
	s_cbranch_execz .LBB241_224
.LBB241_223:
	v_and_b32_e32 v2, 0xffff, v3
	s_delay_alu instid0(VALU_DEP_1) | instskip(SKIP_1) | instid1(VALU_DEP_2)
	v_dual_lshlrev_b32 v3, 24, v3 :: v_dual_bitop2_b32 v5, 3, v2 bitop3:0x40
	v_bfe_u32 v8, v2, 2, 5
	v_and_b32_e32 v3, 0x80000000, v3
	s_delay_alu instid0(VALU_DEP_3) | instskip(NEXT) | instid1(VALU_DEP_3)
	v_clz_i32_u32_e32 v6, v5
	v_cmp_eq_u32_e32 vcc_lo, 0, v8
	s_delay_alu instid0(VALU_DEP_2) | instskip(NEXT) | instid1(VALU_DEP_1)
	v_min_u32_e32 v6, 32, v6
	v_subrev_nc_u32_e32 v7, 29, v6
	v_sub_nc_u32_e32 v6, 30, v6
	s_delay_alu instid0(VALU_DEP_2) | instskip(NEXT) | instid1(VALU_DEP_2)
	v_lshlrev_b32_e32 v2, v7, v2
	v_cndmask_b32_e32 v6, v8, v6, vcc_lo
	s_delay_alu instid0(VALU_DEP_2) | instskip(NEXT) | instid1(VALU_DEP_1)
	v_and_b32_e32 v2, 3, v2
	v_cndmask_b32_e32 v2, v5, v2, vcc_lo
	s_delay_alu instid0(VALU_DEP_3) | instskip(NEXT) | instid1(VALU_DEP_2)
	v_lshl_add_u32 v5, v6, 23, 0x37800000
	v_lshlrev_b32_e32 v2, 21, v2
	s_delay_alu instid0(VALU_DEP_1)
	v_or3_b32 v2, v3, v5, v2
.LBB241_224:
	s_or_b32 exec_lo, exec_lo, s17
	s_delay_alu instid0(VALU_DEP_1) | instskip(SKIP_1) | instid1(VALU_DEP_1)
	v_and_b32_e32 v5, 0x7fffffff, v2
	s_mov_b32 s2, exec_lo
                                        ; implicit-def: $vgpr3
	v_cmpx_gt_u32_e32 0x47800000, v5
	s_xor_b32 s2, exec_lo, s2
	s_cbranch_execz .LBB241_230
; %bb.225:
	s_mov_b32 s17, exec_lo
                                        ; implicit-def: $vgpr3
	v_cmpx_lt_u32_e32 0x387fffff, v5
	s_xor_b32 s17, exec_lo, s17
; %bb.226:
	v_bfe_u32 v3, v2, 21, 1
	s_delay_alu instid0(VALU_DEP_1) | instskip(NEXT) | instid1(VALU_DEP_1)
	v_add3_u32 v3, v2, v3, 0x80fffff
	v_lshrrev_b32_e32 v3, 21, v3
; %bb.227:
	s_and_not1_saveexec_b32 s17, s17
; %bb.228:
	v_add_f32_e64 v3, 0x43000000, |v2|
; %bb.229:
	s_or_b32 exec_lo, exec_lo, s17
                                        ; implicit-def: $vgpr5
.LBB241_230:
	s_and_not1_saveexec_b32 s2, s2
; %bb.231:
	v_mov_b32_e32 v3, 0x7f
	v_cmp_lt_u32_e32 vcc_lo, 0x7f800000, v5
	s_delay_alu instid0(VALU_DEP_2)
	v_cndmask_b32_e32 v3, 0x7c, v3, vcc_lo
; %bb.232:
	s_or_b32 exec_lo, exec_lo, s2
	v_lshrrev_b32_e32 v2, 24, v2
	s_mov_b32 s2, 0
	s_delay_alu instid0(VALU_DEP_1)
	v_and_or_b32 v2, 0x80, v2, v3
	s_branch .LBB241_238
.LBB241_233:
	s_mov_b32 s17, -1
                                        ; implicit-def: $vgpr2
	s_branch .LBB241_254
.LBB241_234:
	s_or_saveexec_b32 s17, s17
	v_mov_b32_e32 v2, 0x7f800001
	s_xor_b32 exec_lo, exec_lo, s17
	s_cbranch_execz .LBB241_202
.LBB241_235:
	v_cmp_ne_u16_e32 vcc_lo, 0, v3
	v_mov_b32_e32 v2, 0
	s_and_not1_b32 s2, s2, exec_lo
	s_and_b32 s21, vcc_lo, exec_lo
	s_delay_alu instid0(SALU_CYCLE_1)
	s_or_b32 s2, s2, s21
	s_or_b32 exec_lo, exec_lo, s17
	s_and_saveexec_b32 s17, s2
	s_cbranch_execnz .LBB241_203
	s_branch .LBB241_204
.LBB241_236:
	s_mov_b32 s2, -1
                                        ; implicit-def: $vgpr2
	s_branch .LBB241_251
.LBB241_237:
	s_mov_b32 s2, -1
                                        ; implicit-def: $vgpr2
.LBB241_238:
	s_delay_alu instid0(SALU_CYCLE_1)
	s_and_b32 vcc_lo, exec_lo, s2
	s_cbranch_vccz .LBB241_250
; %bb.239:
	global_load_u8 v2, v[0:1], off
	s_mov_b32 s2, exec_lo
	s_wait_loadcnt 0x0
	v_lshlrev_b32_e32 v2, 24, v2
	s_delay_alu instid0(VALU_DEP_1) | instskip(NEXT) | instid1(VALU_DEP_1)
	v_and_b32_e32 v3, 0x7f000000, v2
	v_clz_i32_u32_e32 v5, v3
	v_cmp_ne_u32_e32 vcc_lo, 0, v3
	v_add_nc_u32_e32 v7, 0x1000000, v3
	s_delay_alu instid0(VALU_DEP_3) | instskip(NEXT) | instid1(VALU_DEP_1)
	v_min_u32_e32 v5, 32, v5
	v_sub_nc_u32_e64 v5, v5, 4 clamp
	s_delay_alu instid0(VALU_DEP_1) | instskip(NEXT) | instid1(VALU_DEP_1)
	v_lshlrev_b32_e32 v6, v5, v3
                                        ; implicit-def: $vgpr3
	v_dual_lshlrev_b32 v5, 23, v5 :: v_dual_lshrrev_b32 v6, 4, v6
	s_delay_alu instid0(VALU_DEP_1) | instskip(NEXT) | instid1(VALU_DEP_1)
	v_dual_sub_nc_u32 v5, v6, v5 :: v_dual_ashrrev_i32 v6, 8, v7
	v_add_nc_u32_e32 v5, 0x3c000000, v5
	s_delay_alu instid0(VALU_DEP_1) | instskip(NEXT) | instid1(VALU_DEP_1)
	v_and_or_b32 v5, 0x7f800000, v6, v5
	v_cndmask_b32_e32 v6, 0, v5, vcc_lo
	s_delay_alu instid0(VALU_DEP_1) | instskip(NEXT) | instid1(VALU_DEP_1)
	v_and_or_b32 v2, 0x80000000, v2, v6
	v_and_b32_e32 v5, 0x7fffffff, v2
	s_delay_alu instid0(VALU_DEP_1)
	v_cmpx_gt_u32_e32 0x47800000, v5
	s_xor_b32 s2, exec_lo, s2
	s_cbranch_execz .LBB241_245
; %bb.240:
	s_mov_b32 s17, exec_lo
                                        ; implicit-def: $vgpr3
	v_cmpx_lt_u32_e32 0x387fffff, v5
	s_xor_b32 s17, exec_lo, s17
; %bb.241:
	v_bfe_u32 v3, v6, 21, 1
	s_delay_alu instid0(VALU_DEP_1) | instskip(NEXT) | instid1(VALU_DEP_1)
	v_add3_u32 v3, v2, v3, 0x80fffff
	v_lshrrev_b32_e32 v3, 21, v3
; %bb.242:
	s_and_not1_saveexec_b32 s17, s17
; %bb.243:
	v_add_f32_e64 v3, 0x43000000, |v2|
; %bb.244:
	s_or_b32 exec_lo, exec_lo, s17
                                        ; implicit-def: $vgpr5
.LBB241_245:
	s_and_not1_saveexec_b32 s2, s2
; %bb.246:
	v_mov_b32_e32 v3, 0x7f
	v_cmp_lt_u32_e32 vcc_lo, 0x7f800000, v5
	s_delay_alu instid0(VALU_DEP_2)
	v_cndmask_b32_e32 v3, 0x7c, v3, vcc_lo
; %bb.247:
	s_or_b32 exec_lo, exec_lo, s2
	v_lshrrev_b32_e32 v2, 24, v2
	s_mov_b32 s2, 0
	s_delay_alu instid0(VALU_DEP_1)
	v_and_or_b32 v2, 0x80, v2, v3
	s_branch .LBB241_251
.LBB241_248:
	s_or_saveexec_b32 s17, s17
	v_mov_b32_e32 v2, 0x7f800001
	s_xor_b32 exec_lo, exec_lo, s17
	s_cbranch_execz .LBB241_222
.LBB241_249:
	v_cmp_ne_u16_e32 vcc_lo, 0, v3
	v_mov_b32_e32 v2, 0
	s_and_not1_b32 s2, s2, exec_lo
	s_and_b32 s21, vcc_lo, exec_lo
	s_delay_alu instid0(SALU_CYCLE_1)
	s_or_b32 s2, s2, s21
	s_or_b32 exec_lo, exec_lo, s17
	s_and_saveexec_b32 s17, s2
	s_cbranch_execnz .LBB241_223
	s_branch .LBB241_224
.LBB241_250:
	s_mov_b32 s2, 0
.LBB241_251:
	s_delay_alu instid0(SALU_CYCLE_1)
	s_and_not1_b32 vcc_lo, exec_lo, s2
	s_cbranch_vccnz .LBB241_253
; %bb.252:
	global_load_u8 v2, v[0:1], off
.LBB241_253:
	s_mov_b32 s17, 0
	s_mov_b32 s2, -1
.LBB241_254:
	s_and_not1_b32 vcc_lo, exec_lo, s17
	s_cbranch_vccnz .LBB241_280
; %bb.255:
	s_cmp_gt_i32 s1, 14
	s_cbranch_scc0 .LBB241_266
; %bb.256:
	s_cmp_eq_u32 s1, 15
	s_cbranch_scc0 .LBB241_267
; %bb.257:
	s_wait_loadcnt 0x0
	global_load_u16 v2, v[0:1], off
	s_mov_b32 s2, exec_lo
                                        ; implicit-def: $vgpr3
	s_wait_loadcnt 0x0
	v_lshlrev_b32_e32 v5, 16, v2
	s_delay_alu instid0(VALU_DEP_1) | instskip(NEXT) | instid1(VALU_DEP_1)
	v_and_b32_e32 v6, 0x7fffffff, v5
	v_cmpx_gt_u32_e32 0x47800000, v6
	s_xor_b32 s2, exec_lo, s2
	s_cbranch_execz .LBB241_263
; %bb.258:
	s_mov_b32 s17, exec_lo
                                        ; implicit-def: $vgpr3
	v_cmpx_lt_u32_e32 0x387fffff, v6
	s_xor_b32 s17, exec_lo, s17
; %bb.259:
	v_bfe_u32 v3, v2, 5, 1
	s_delay_alu instid0(VALU_DEP_1) | instskip(NEXT) | instid1(VALU_DEP_1)
	v_add3_u32 v3, v5, v3, 0x80fffff
                                        ; implicit-def: $vgpr5
	v_lshrrev_b32_e32 v3, 21, v3
; %bb.260:
	s_and_not1_saveexec_b32 s17, s17
; %bb.261:
	v_add_f32_e64 v3, 0x43000000, |v5|
; %bb.262:
	s_or_b32 exec_lo, exec_lo, s17
                                        ; implicit-def: $vgpr6
.LBB241_263:
	s_and_not1_saveexec_b32 s2, s2
; %bb.264:
	v_mov_b32_e32 v3, 0x7f
	v_cmp_lt_u32_e32 vcc_lo, 0x7f800000, v6
	s_delay_alu instid0(VALU_DEP_2)
	v_cndmask_b32_e32 v3, 0x7c, v3, vcc_lo
; %bb.265:
	s_or_b32 exec_lo, exec_lo, s2
	v_lshrrev_b32_e32 v2, 8, v2
	s_mov_b32 s2, -1
	s_mov_b32 s18, 0
	s_mov_b32 s17, 0
	s_delay_alu instid0(VALU_DEP_1)
	v_and_or_b32 v2, 0x80, v2, v3
	s_branch .LBB241_268
.LBB241_266:
	s_mov_b32 s17, -1
                                        ; implicit-def: $vgpr2
	s_branch .LBB241_268
.LBB241_267:
	s_mov_b32 s18, -1
                                        ; implicit-def: $vgpr2
	s_mov_b32 s17, 0
.LBB241_268:
	s_delay_alu instid0(SALU_CYCLE_1)
	s_and_b32 vcc_lo, exec_lo, s17
	s_cbranch_vccz .LBB241_280
; %bb.269:
	s_cmp_eq_u32 s1, 11
	s_cbranch_scc0 .LBB241_279
; %bb.270:
	s_wait_loadcnt 0x0
	global_load_u8 v2, v[0:1], off
	s_mov_b32 s2, exec_lo
	s_wait_loadcnt 0x0
	v_cmp_ne_u16_e32 vcc_lo, 0, v2
                                        ; implicit-def: $vgpr2
	v_cndmask_b32_e64 v3, 0, 1.0, vcc_lo
	s_delay_alu instid0(VALU_DEP_1)
	v_cmpx_gt_u32_e32 0x47800000, v3
	s_xor_b32 s2, exec_lo, s2
	s_cbranch_execz .LBB241_276
; %bb.271:
	s_mov_b32 s17, exec_lo
                                        ; implicit-def: $vgpr2
	v_cmpx_lt_u32_e32 0x387fffff, v3
	s_xor_b32 s17, exec_lo, s17
; %bb.272:
	v_bfe_u32 v2, v3, 21, 1
	s_delay_alu instid0(VALU_DEP_1) | instskip(NEXT) | instid1(VALU_DEP_1)
	v_add3_u32 v2, v3, v2, 0x80fffff
                                        ; implicit-def: $vgpr3
	v_lshrrev_b32_e32 v2, 21, v2
; %bb.273:
	s_and_not1_saveexec_b32 s17, s17
; %bb.274:
	v_add_f32_e32 v2, 0x43000000, v3
; %bb.275:
	s_or_b32 exec_lo, exec_lo, s17
                                        ; implicit-def: $vgpr3
.LBB241_276:
	s_and_not1_saveexec_b32 s2, s2
; %bb.277:
	v_mov_b32_e32 v2, 0x7f
	v_cmp_lt_u32_e32 vcc_lo, 0x7f800000, v3
	s_delay_alu instid0(VALU_DEP_2)
	v_cndmask_b32_e32 v2, 0x7c, v2, vcc_lo
; %bb.278:
	s_or_b32 exec_lo, exec_lo, s2
	s_mov_b32 s2, -1
	s_mov_b32 s18, 0
	s_branch .LBB241_280
.LBB241_279:
	s_mov_b32 s18, -1
                                        ; implicit-def: $vgpr2
.LBB241_280:
	s_branch .LBB241_18
.LBB241_281:
	s_cmp_lt_i32 s1, 5
	s_cbranch_scc1 .LBB241_294
; %bb.282:
	s_cmp_lt_i32 s1, 8
	s_cbranch_scc1 .LBB241_295
; %bb.283:
	;; [unrolled: 3-line block ×3, first 2 shown]
	s_cmp_gt_i32 s1, 9
	s_cbranch_scc0 .LBB241_297
; %bb.285:
	s_wait_loadcnt 0x0
	global_load_b64 v[2:3], v[0:1], off
	s_mov_b32 s2, exec_lo
	s_wait_loadcnt 0x0
	v_cvt_f32_f64_e32 v2, v[2:3]
                                        ; implicit-def: $vgpr3
	s_delay_alu instid0(VALU_DEP_1) | instskip(NEXT) | instid1(VALU_DEP_1)
	v_and_b32_e32 v5, 0x7fffffff, v2
	v_cmpx_gt_u32_e32 0x47800000, v5
	s_xor_b32 s2, exec_lo, s2
	s_cbranch_execz .LBB241_291
; %bb.286:
	s_mov_b32 s17, exec_lo
                                        ; implicit-def: $vgpr3
	v_cmpx_lt_u32_e32 0x387fffff, v5
	s_xor_b32 s17, exec_lo, s17
; %bb.287:
	v_bfe_u32 v3, v2, 21, 1
	s_delay_alu instid0(VALU_DEP_1) | instskip(NEXT) | instid1(VALU_DEP_1)
	v_add3_u32 v3, v2, v3, 0x80fffff
	v_lshrrev_b32_e32 v3, 21, v3
; %bb.288:
	s_and_not1_saveexec_b32 s17, s17
; %bb.289:
	v_add_f32_e64 v3, 0x43000000, |v2|
; %bb.290:
	s_or_b32 exec_lo, exec_lo, s17
                                        ; implicit-def: $vgpr5
.LBB241_291:
	s_and_not1_saveexec_b32 s2, s2
; %bb.292:
	v_mov_b32_e32 v3, 0x7f
	v_cmp_lt_u32_e32 vcc_lo, 0x7f800000, v5
	s_delay_alu instid0(VALU_DEP_2)
	v_cndmask_b32_e32 v3, 0x7c, v3, vcc_lo
; %bb.293:
	s_or_b32 exec_lo, exec_lo, s2
	v_lshrrev_b32_e32 v2, 24, v2
	s_mov_b32 s2, 0
	s_delay_alu instid0(VALU_DEP_1)
	v_and_or_b32 v2, 0x80, v2, v3
	s_branch .LBB241_298
.LBB241_294:
                                        ; implicit-def: $vgpr2
	s_branch .LBB241_356
.LBB241_295:
	s_mov_b32 s2, -1
                                        ; implicit-def: $vgpr2
	s_branch .LBB241_320
.LBB241_296:
	s_mov_b32 s2, -1
                                        ; implicit-def: $vgpr2
	s_branch .LBB241_309
.LBB241_297:
	s_mov_b32 s2, -1
                                        ; implicit-def: $vgpr2
.LBB241_298:
	s_delay_alu instid0(SALU_CYCLE_1)
	s_and_b32 vcc_lo, exec_lo, s2
	s_cbranch_vccz .LBB241_308
; %bb.299:
	s_wait_loadcnt 0x0
	global_load_b32 v2, v[0:1], off
	s_mov_b32 s2, exec_lo
                                        ; implicit-def: $vgpr3
	s_wait_loadcnt 0x0
	v_and_b32_e32 v5, 0x7fffffff, v2
	s_delay_alu instid0(VALU_DEP_1)
	v_cmpx_gt_u32_e32 0x47800000, v5
	s_xor_b32 s2, exec_lo, s2
	s_cbranch_execz .LBB241_305
; %bb.300:
	s_mov_b32 s17, exec_lo
                                        ; implicit-def: $vgpr3
	v_cmpx_lt_u32_e32 0x387fffff, v5
	s_xor_b32 s17, exec_lo, s17
; %bb.301:
	v_bfe_u32 v3, v2, 21, 1
	s_delay_alu instid0(VALU_DEP_1) | instskip(NEXT) | instid1(VALU_DEP_1)
	v_add3_u32 v3, v2, v3, 0x80fffff
	v_lshrrev_b32_e32 v3, 21, v3
; %bb.302:
	s_and_not1_saveexec_b32 s17, s17
; %bb.303:
	v_add_f32_e64 v3, 0x43000000, |v2|
; %bb.304:
	s_or_b32 exec_lo, exec_lo, s17
                                        ; implicit-def: $vgpr5
.LBB241_305:
	s_and_not1_saveexec_b32 s2, s2
; %bb.306:
	v_mov_b32_e32 v3, 0x7f
	v_cmp_lt_u32_e32 vcc_lo, 0x7f800000, v5
	s_delay_alu instid0(VALU_DEP_2)
	v_cndmask_b32_e32 v3, 0x7c, v3, vcc_lo
; %bb.307:
	s_or_b32 exec_lo, exec_lo, s2
	v_lshrrev_b32_e32 v2, 24, v2
	s_mov_b32 s2, 0
	s_delay_alu instid0(VALU_DEP_1)
	v_and_or_b32 v2, 0x80, v2, v3
	s_branch .LBB241_309
.LBB241_308:
	s_mov_b32 s2, 0
.LBB241_309:
	s_delay_alu instid0(SALU_CYCLE_1)
	s_and_not1_b32 vcc_lo, exec_lo, s2
	s_cbranch_vccnz .LBB241_319
; %bb.310:
	s_wait_loadcnt 0x0
	global_load_b32 v2, v[0:1], off
	s_mov_b32 s2, exec_lo
                                        ; implicit-def: $vgpr3
	s_wait_loadcnt 0x0
	v_cvt_f32_f16_e32 v2, v2
	s_delay_alu instid0(VALU_DEP_1) | instskip(NEXT) | instid1(VALU_DEP_1)
	v_and_b32_e32 v5, 0x7fffffff, v2
	v_cmpx_gt_u32_e32 0x47800000, v5
	s_xor_b32 s2, exec_lo, s2
	s_cbranch_execz .LBB241_316
; %bb.311:
	s_mov_b32 s17, exec_lo
                                        ; implicit-def: $vgpr3
	v_cmpx_lt_u32_e32 0x387fffff, v5
	s_xor_b32 s17, exec_lo, s17
; %bb.312:
	v_bfe_u32 v3, v2, 21, 1
	s_delay_alu instid0(VALU_DEP_1) | instskip(NEXT) | instid1(VALU_DEP_1)
	v_add3_u32 v3, v2, v3, 0x80fffff
	v_lshrrev_b32_e32 v3, 21, v3
; %bb.313:
	s_and_not1_saveexec_b32 s17, s17
; %bb.314:
	v_add_f32_e64 v3, 0x43000000, |v2|
; %bb.315:
	s_or_b32 exec_lo, exec_lo, s17
                                        ; implicit-def: $vgpr5
.LBB241_316:
	s_and_not1_saveexec_b32 s2, s2
; %bb.317:
	v_mov_b32_e32 v3, 0x7f
	v_cmp_lt_u32_e32 vcc_lo, 0x7f800000, v5
	s_delay_alu instid0(VALU_DEP_2)
	v_cndmask_b32_e32 v3, 0x7c, v3, vcc_lo
; %bb.318:
	s_or_b32 exec_lo, exec_lo, s2
	v_lshrrev_b32_e32 v2, 24, v2
	s_delay_alu instid0(VALU_DEP_1)
	v_and_or_b32 v2, 0x80, v2, v3
.LBB241_319:
	s_mov_b32 s2, 0
.LBB241_320:
	s_delay_alu instid0(SALU_CYCLE_1)
	s_and_not1_b32 vcc_lo, exec_lo, s2
	s_cbranch_vccnz .LBB241_355
; %bb.321:
	s_cmp_lt_i32 s1, 6
	s_cbranch_scc1 .LBB241_332
; %bb.322:
	s_cmp_gt_i32 s1, 6
	s_cbranch_scc0 .LBB241_333
; %bb.323:
	s_wait_loadcnt 0x0
	global_load_b64 v[2:3], v[0:1], off
	s_mov_b32 s2, exec_lo
	s_wait_loadcnt 0x0
	v_cvt_f32_f64_e32 v2, v[2:3]
                                        ; implicit-def: $vgpr3
	s_delay_alu instid0(VALU_DEP_1) | instskip(NEXT) | instid1(VALU_DEP_1)
	v_and_b32_e32 v5, 0x7fffffff, v2
	v_cmpx_gt_u32_e32 0x47800000, v5
	s_xor_b32 s2, exec_lo, s2
	s_cbranch_execz .LBB241_329
; %bb.324:
	s_mov_b32 s17, exec_lo
                                        ; implicit-def: $vgpr3
	v_cmpx_lt_u32_e32 0x387fffff, v5
	s_xor_b32 s17, exec_lo, s17
; %bb.325:
	v_bfe_u32 v3, v2, 21, 1
	s_delay_alu instid0(VALU_DEP_1) | instskip(NEXT) | instid1(VALU_DEP_1)
	v_add3_u32 v3, v2, v3, 0x80fffff
	v_lshrrev_b32_e32 v3, 21, v3
; %bb.326:
	s_and_not1_saveexec_b32 s17, s17
; %bb.327:
	v_add_f32_e64 v3, 0x43000000, |v2|
; %bb.328:
	s_or_b32 exec_lo, exec_lo, s17
                                        ; implicit-def: $vgpr5
.LBB241_329:
	s_and_not1_saveexec_b32 s2, s2
; %bb.330:
	v_mov_b32_e32 v3, 0x7f
	v_cmp_lt_u32_e32 vcc_lo, 0x7f800000, v5
	s_delay_alu instid0(VALU_DEP_2)
	v_cndmask_b32_e32 v3, 0x7c, v3, vcc_lo
; %bb.331:
	s_or_b32 exec_lo, exec_lo, s2
	v_lshrrev_b32_e32 v2, 24, v2
	s_mov_b32 s2, 0
	s_delay_alu instid0(VALU_DEP_1)
	v_and_or_b32 v2, 0x80, v2, v3
	s_branch .LBB241_334
.LBB241_332:
	s_mov_b32 s2, -1
                                        ; implicit-def: $vgpr2
	s_branch .LBB241_345
.LBB241_333:
	s_mov_b32 s2, -1
                                        ; implicit-def: $vgpr2
.LBB241_334:
	s_delay_alu instid0(SALU_CYCLE_1)
	s_and_b32 vcc_lo, exec_lo, s2
	s_cbranch_vccz .LBB241_344
; %bb.335:
	s_wait_loadcnt 0x0
	global_load_b32 v2, v[0:1], off
	s_mov_b32 s2, exec_lo
                                        ; implicit-def: $vgpr3
	s_wait_loadcnt 0x0
	v_and_b32_e32 v5, 0x7fffffff, v2
	s_delay_alu instid0(VALU_DEP_1)
	v_cmpx_gt_u32_e32 0x47800000, v5
	s_xor_b32 s2, exec_lo, s2
	s_cbranch_execz .LBB241_341
; %bb.336:
	s_mov_b32 s17, exec_lo
                                        ; implicit-def: $vgpr3
	v_cmpx_lt_u32_e32 0x387fffff, v5
	s_xor_b32 s17, exec_lo, s17
; %bb.337:
	v_bfe_u32 v3, v2, 21, 1
	s_delay_alu instid0(VALU_DEP_1) | instskip(NEXT) | instid1(VALU_DEP_1)
	v_add3_u32 v3, v2, v3, 0x80fffff
	v_lshrrev_b32_e32 v3, 21, v3
; %bb.338:
	s_and_not1_saveexec_b32 s17, s17
; %bb.339:
	v_add_f32_e64 v3, 0x43000000, |v2|
; %bb.340:
	s_or_b32 exec_lo, exec_lo, s17
                                        ; implicit-def: $vgpr5
.LBB241_341:
	s_and_not1_saveexec_b32 s2, s2
; %bb.342:
	v_mov_b32_e32 v3, 0x7f
	v_cmp_lt_u32_e32 vcc_lo, 0x7f800000, v5
	s_delay_alu instid0(VALU_DEP_2)
	v_cndmask_b32_e32 v3, 0x7c, v3, vcc_lo
; %bb.343:
	s_or_b32 exec_lo, exec_lo, s2
	v_lshrrev_b32_e32 v2, 24, v2
	s_mov_b32 s2, 0
	s_delay_alu instid0(VALU_DEP_1)
	v_and_or_b32 v2, 0x80, v2, v3
	s_branch .LBB241_345
.LBB241_344:
	s_mov_b32 s2, 0
.LBB241_345:
	s_delay_alu instid0(SALU_CYCLE_1)
	s_and_not1_b32 vcc_lo, exec_lo, s2
	s_cbranch_vccnz .LBB241_355
; %bb.346:
	s_wait_loadcnt 0x0
	global_load_u16 v2, v[0:1], off
	s_mov_b32 s2, exec_lo
                                        ; implicit-def: $vgpr3
	s_wait_loadcnt 0x0
	v_cvt_f32_f16_e32 v2, v2
	s_delay_alu instid0(VALU_DEP_1) | instskip(NEXT) | instid1(VALU_DEP_1)
	v_and_b32_e32 v5, 0x7fffffff, v2
	v_cmpx_gt_u32_e32 0x47800000, v5
	s_xor_b32 s2, exec_lo, s2
	s_cbranch_execz .LBB241_352
; %bb.347:
	s_mov_b32 s17, exec_lo
                                        ; implicit-def: $vgpr3
	v_cmpx_lt_u32_e32 0x387fffff, v5
	s_xor_b32 s17, exec_lo, s17
; %bb.348:
	v_bfe_u32 v3, v2, 21, 1
	s_delay_alu instid0(VALU_DEP_1) | instskip(NEXT) | instid1(VALU_DEP_1)
	v_add3_u32 v3, v2, v3, 0x80fffff
	v_lshrrev_b32_e32 v3, 21, v3
; %bb.349:
	s_and_not1_saveexec_b32 s17, s17
; %bb.350:
	v_add_f32_e64 v3, 0x43000000, |v2|
; %bb.351:
	s_or_b32 exec_lo, exec_lo, s17
                                        ; implicit-def: $vgpr5
.LBB241_352:
	s_and_not1_saveexec_b32 s2, s2
; %bb.353:
	v_mov_b32_e32 v3, 0x7f
	v_cmp_lt_u32_e32 vcc_lo, 0x7f800000, v5
	s_delay_alu instid0(VALU_DEP_2)
	v_cndmask_b32_e32 v3, 0x7c, v3, vcc_lo
; %bb.354:
	s_or_b32 exec_lo, exec_lo, s2
	v_lshrrev_b32_e32 v2, 24, v2
	s_delay_alu instid0(VALU_DEP_1)
	v_and_or_b32 v2, 0x80, v2, v3
.LBB241_355:
	s_cbranch_execnz .LBB241_415
.LBB241_356:
	s_cmp_lt_i32 s1, 2
	s_cbranch_scc1 .LBB241_368
; %bb.357:
	s_cmp_lt_i32 s1, 3
	s_cbranch_scc1 .LBB241_369
; %bb.358:
	s_cmp_gt_i32 s1, 3
	s_cbranch_scc0 .LBB241_370
; %bb.359:
	s_wait_loadcnt 0x0
	global_load_b64 v[2:3], v[0:1], off
	s_mov_b32 s2, exec_lo
	s_wait_loadcnt 0x0
	v_xor_b32_e32 v5, v2, v3
	v_cls_i32_e32 v6, v3
	s_delay_alu instid0(VALU_DEP_2) | instskip(NEXT) | instid1(VALU_DEP_1)
	v_ashrrev_i32_e32 v5, 31, v5
	v_add_nc_u32_e32 v5, 32, v5
	s_delay_alu instid0(VALU_DEP_1) | instskip(NEXT) | instid1(VALU_DEP_1)
	v_add_min_u32_e64 v5, v6, -1, v5
	v_lshlrev_b64_e32 v[2:3], v5, v[2:3]
	s_delay_alu instid0(VALU_DEP_1) | instskip(NEXT) | instid1(VALU_DEP_1)
	v_min_u32_e32 v2, 1, v2
	v_dual_sub_nc_u32 v3, 32, v5 :: v_dual_bitop2_b32 v2, v3, v2 bitop3:0x54
	s_delay_alu instid0(VALU_DEP_1) | instskip(NEXT) | instid1(VALU_DEP_1)
	v_cvt_f32_i32_e32 v2, v2
	v_ldexp_f32 v2, v2, v3
                                        ; implicit-def: $vgpr3
	s_delay_alu instid0(VALU_DEP_1) | instskip(NEXT) | instid1(VALU_DEP_1)
	v_and_b32_e32 v5, 0x7fffffff, v2
	v_cmpx_gt_u32_e32 0x47800000, v5
	s_xor_b32 s2, exec_lo, s2
	s_cbranch_execz .LBB241_365
; %bb.360:
	s_mov_b32 s17, exec_lo
                                        ; implicit-def: $vgpr3
	v_cmpx_lt_u32_e32 0x387fffff, v5
	s_xor_b32 s17, exec_lo, s17
; %bb.361:
	v_bfe_u32 v3, v2, 21, 1
	s_delay_alu instid0(VALU_DEP_1) | instskip(NEXT) | instid1(VALU_DEP_1)
	v_add3_u32 v3, v2, v3, 0x80fffff
	v_lshrrev_b32_e32 v3, 21, v3
; %bb.362:
	s_and_not1_saveexec_b32 s17, s17
; %bb.363:
	v_add_f32_e64 v3, 0x43000000, |v2|
; %bb.364:
	s_or_b32 exec_lo, exec_lo, s17
                                        ; implicit-def: $vgpr5
.LBB241_365:
	s_and_not1_saveexec_b32 s2, s2
; %bb.366:
	v_mov_b32_e32 v3, 0x7f
	v_cmp_lt_u32_e32 vcc_lo, 0x7f800000, v5
	s_delay_alu instid0(VALU_DEP_2)
	v_cndmask_b32_e32 v3, 0x7c, v3, vcc_lo
; %bb.367:
	s_or_b32 exec_lo, exec_lo, s2
	v_lshrrev_b32_e32 v2, 24, v2
	s_mov_b32 s2, 0
	s_delay_alu instid0(VALU_DEP_1)
	v_and_or_b32 v2, 0x80, v2, v3
	s_branch .LBB241_371
.LBB241_368:
	s_mov_b32 s2, -1
                                        ; implicit-def: $vgpr2
	s_branch .LBB241_393
.LBB241_369:
	s_mov_b32 s2, -1
                                        ; implicit-def: $vgpr2
	s_branch .LBB241_382
.LBB241_370:
	s_mov_b32 s2, -1
                                        ; implicit-def: $vgpr2
.LBB241_371:
	s_delay_alu instid0(SALU_CYCLE_1)
	s_and_b32 vcc_lo, exec_lo, s2
	s_cbranch_vccz .LBB241_381
; %bb.372:
	s_wait_loadcnt 0x0
	global_load_b32 v2, v[0:1], off
	s_mov_b32 s2, exec_lo
                                        ; implicit-def: $vgpr3
	s_wait_loadcnt 0x0
	v_cvt_f32_i32_e32 v2, v2
	s_delay_alu instid0(VALU_DEP_1) | instskip(NEXT) | instid1(VALU_DEP_1)
	v_and_b32_e32 v5, 0x7fffffff, v2
	v_cmpx_gt_u32_e32 0x47800000, v5
	s_xor_b32 s2, exec_lo, s2
	s_cbranch_execz .LBB241_378
; %bb.373:
	s_mov_b32 s17, exec_lo
                                        ; implicit-def: $vgpr3
	v_cmpx_lt_u32_e32 0x387fffff, v5
	s_xor_b32 s17, exec_lo, s17
; %bb.374:
	v_bfe_u32 v3, v2, 21, 1
	s_delay_alu instid0(VALU_DEP_1) | instskip(NEXT) | instid1(VALU_DEP_1)
	v_add3_u32 v3, v2, v3, 0x80fffff
	v_lshrrev_b32_e32 v3, 21, v3
; %bb.375:
	s_and_not1_saveexec_b32 s17, s17
; %bb.376:
	v_add_f32_e64 v3, 0x43000000, |v2|
; %bb.377:
	s_or_b32 exec_lo, exec_lo, s17
                                        ; implicit-def: $vgpr5
.LBB241_378:
	s_and_not1_saveexec_b32 s2, s2
; %bb.379:
	v_mov_b32_e32 v3, 0x7f
	v_cmp_lt_u32_e32 vcc_lo, 0x7f800000, v5
	s_delay_alu instid0(VALU_DEP_2)
	v_cndmask_b32_e32 v3, 0x7c, v3, vcc_lo
; %bb.380:
	s_or_b32 exec_lo, exec_lo, s2
	v_lshrrev_b32_e32 v2, 24, v2
	s_mov_b32 s2, 0
	s_delay_alu instid0(VALU_DEP_1)
	v_and_or_b32 v2, 0x80, v2, v3
	s_branch .LBB241_382
.LBB241_381:
	s_mov_b32 s2, 0
.LBB241_382:
	s_delay_alu instid0(SALU_CYCLE_1)
	s_and_not1_b32 vcc_lo, exec_lo, s2
	s_cbranch_vccnz .LBB241_392
; %bb.383:
	s_wait_loadcnt 0x0
	global_load_i16 v2, v[0:1], off
	s_mov_b32 s2, exec_lo
                                        ; implicit-def: $vgpr3
	s_wait_loadcnt 0x0
	v_cvt_f32_i32_e32 v2, v2
	s_delay_alu instid0(VALU_DEP_1) | instskip(NEXT) | instid1(VALU_DEP_1)
	v_and_b32_e32 v5, 0x7fffffff, v2
	v_cmpx_gt_u32_e32 0x47800000, v5
	s_xor_b32 s2, exec_lo, s2
	s_cbranch_execz .LBB241_389
; %bb.384:
	s_mov_b32 s17, exec_lo
                                        ; implicit-def: $vgpr3
	v_cmpx_lt_u32_e32 0x387fffff, v5
	s_xor_b32 s17, exec_lo, s17
; %bb.385:
	v_bfe_u32 v3, v2, 21, 1
	s_delay_alu instid0(VALU_DEP_1) | instskip(NEXT) | instid1(VALU_DEP_1)
	v_add3_u32 v3, v2, v3, 0x80fffff
	v_lshrrev_b32_e32 v3, 21, v3
; %bb.386:
	s_and_not1_saveexec_b32 s17, s17
; %bb.387:
	v_add_f32_e64 v3, 0x43000000, |v2|
; %bb.388:
	s_or_b32 exec_lo, exec_lo, s17
                                        ; implicit-def: $vgpr5
.LBB241_389:
	s_and_not1_saveexec_b32 s2, s2
; %bb.390:
	v_mov_b32_e32 v3, 0x7f
	v_cmp_lt_u32_e32 vcc_lo, 0x7f800000, v5
	s_delay_alu instid0(VALU_DEP_2)
	v_cndmask_b32_e32 v3, 0x7c, v3, vcc_lo
; %bb.391:
	s_or_b32 exec_lo, exec_lo, s2
	v_lshrrev_b32_e32 v2, 24, v2
	s_delay_alu instid0(VALU_DEP_1)
	v_and_or_b32 v2, 0x80, v2, v3
.LBB241_392:
	s_mov_b32 s2, 0
.LBB241_393:
	s_delay_alu instid0(SALU_CYCLE_1)
	s_and_not1_b32 vcc_lo, exec_lo, s2
	s_cbranch_vccnz .LBB241_415
; %bb.394:
	s_cmp_gt_i32 s1, 0
	s_cbranch_scc0 .LBB241_404
; %bb.395:
	s_wait_loadcnt 0x0
	global_load_i8 v2, v[0:1], off
	s_mov_b32 s1, exec_lo
                                        ; implicit-def: $vgpr3
	s_wait_loadcnt 0x0
	v_cvt_f32_i32_e32 v2, v2
	s_delay_alu instid0(VALU_DEP_1) | instskip(NEXT) | instid1(VALU_DEP_1)
	v_and_b32_e32 v5, 0x7fffffff, v2
	v_cmpx_gt_u32_e32 0x47800000, v5
	s_xor_b32 s1, exec_lo, s1
	s_cbranch_execz .LBB241_401
; %bb.396:
	s_mov_b32 s2, exec_lo
                                        ; implicit-def: $vgpr3
	v_cmpx_lt_u32_e32 0x387fffff, v5
	s_xor_b32 s2, exec_lo, s2
; %bb.397:
	v_bfe_u32 v3, v2, 21, 1
	s_delay_alu instid0(VALU_DEP_1) | instskip(NEXT) | instid1(VALU_DEP_1)
	v_add3_u32 v3, v2, v3, 0x80fffff
	v_lshrrev_b32_e32 v3, 21, v3
; %bb.398:
	s_and_not1_saveexec_b32 s2, s2
; %bb.399:
	v_add_f32_e64 v3, 0x43000000, |v2|
; %bb.400:
	s_or_b32 exec_lo, exec_lo, s2
                                        ; implicit-def: $vgpr5
.LBB241_401:
	s_and_not1_saveexec_b32 s1, s1
; %bb.402:
	v_mov_b32_e32 v3, 0x7f
	v_cmp_lt_u32_e32 vcc_lo, 0x7f800000, v5
	s_delay_alu instid0(VALU_DEP_2)
	v_cndmask_b32_e32 v3, 0x7c, v3, vcc_lo
; %bb.403:
	s_or_b32 exec_lo, exec_lo, s1
	v_lshrrev_b32_e32 v2, 24, v2
	s_mov_b32 s1, 0
	s_delay_alu instid0(VALU_DEP_1)
	v_and_or_b32 v2, 0x80, v2, v3
	s_branch .LBB241_405
.LBB241_404:
	s_mov_b32 s1, -1
                                        ; implicit-def: $vgpr2
.LBB241_405:
	s_delay_alu instid0(SALU_CYCLE_1)
	s_and_b32 vcc_lo, exec_lo, s1
	s_cbranch_vccz .LBB241_415
; %bb.406:
	global_load_u8 v0, v[0:1], off
	s_mov_b32 s1, exec_lo
                                        ; implicit-def: $vgpr2
	s_wait_loadcnt 0x0
	v_cvt_f32_ubyte0_e32 v0, v0
	s_delay_alu instid0(VALU_DEP_1)
	v_cmpx_gt_u32_e32 0x47800000, v0
	s_xor_b32 s1, exec_lo, s1
	s_cbranch_execz .LBB241_412
; %bb.407:
	s_mov_b32 s2, exec_lo
                                        ; implicit-def: $vgpr2
	v_cmpx_lt_u32_e32 0x387fffff, v0
	s_xor_b32 s2, exec_lo, s2
; %bb.408:
	v_bfe_u32 v1, v0, 21, 1
	s_delay_alu instid0(VALU_DEP_1) | instskip(NEXT) | instid1(VALU_DEP_1)
	v_add3_u32 v0, v0, v1, 0x80fffff
	v_lshrrev_b32_e32 v2, 21, v0
                                        ; implicit-def: $vgpr0
; %bb.409:
	s_and_not1_saveexec_b32 s2, s2
; %bb.410:
	v_add_f32_e32 v2, 0x43000000, v0
; %bb.411:
	s_or_b32 exec_lo, exec_lo, s2
                                        ; implicit-def: $vgpr0
.LBB241_412:
	s_and_not1_saveexec_b32 s1, s1
; %bb.413:
	v_mov_b32_e32 v1, 0x7f
	v_cmp_lt_u32_e32 vcc_lo, 0x7f800000, v0
	s_delay_alu instid0(VALU_DEP_2)
	v_cndmask_b32_e32 v2, 0x7c, v1, vcc_lo
; %bb.414:
	s_or_b32 exec_lo, exec_lo, s1
.LBB241_415:
	s_branch .LBB241_19
.LBB241_416:
	s_mov_b32 s2, 0
.LBB241_417:
	s_mov_b32 s1, 0
                                        ; implicit-def: $vgpr4
.LBB241_418:
	s_and_b32 s17, s2, exec_lo
	s_and_b32 s18, s18, exec_lo
	s_or_not1_b32 s1, s1, exec_lo
.LBB241_419:
	s_wait_xcnt 0x0
	s_or_b32 exec_lo, exec_lo, s19
	s_mov_b32 s21, 0
	s_mov_b32 s2, 0
                                        ; implicit-def: $vgpr0_vgpr1
                                        ; implicit-def: $vgpr2
	s_and_saveexec_b32 s19, s1
	s_cbranch_execz .LBB241_436
; %bb.420:
	s_mov_b32 s24, -1
	s_mov_b32 s20, s18
	s_mov_b32 s21, s17
	s_mov_b32 s22, exec_lo
	v_cmpx_gt_i32_e64 s16, v4
	s_cbranch_execz .LBB241_857
; %bb.421:
	v_mul_lo_u32 v0, v4, s9
	s_and_b32 s1, 0xffff, s13
	s_delay_alu instid0(SALU_CYCLE_1) | instskip(NEXT) | instid1(VALU_DEP_1)
	s_cmp_lt_i32 s1, 11
	v_ashrrev_i32_e32 v1, 31, v0
	s_delay_alu instid0(VALU_DEP_1)
	v_add_nc_u64_e32 v[0:1], s[6:7], v[0:1]
	s_cbranch_scc1 .LBB241_447
; %bb.422:
	s_cmp_gt_i32 s1, 25
	s_cbranch_scc0 .LBB241_456
; %bb.423:
	s_cmp_gt_i32 s1, 28
	s_cbranch_scc0 .LBB241_458
	;; [unrolled: 3-line block ×4, first 2 shown]
; %bb.426:
	s_cmp_eq_u32 s1, 46
	s_mov_b32 s21, 0
	s_cbranch_scc0 .LBB241_468
; %bb.427:
	s_wait_loadcnt 0x0
	global_load_b32 v2, v[0:1], off
	s_mov_b32 s2, exec_lo
                                        ; implicit-def: $vgpr3
	s_wait_loadcnt 0x0
	v_lshlrev_b32_e32 v2, 16, v2
	s_delay_alu instid0(VALU_DEP_1) | instskip(SKIP_1) | instid1(VALU_DEP_1)
	v_and_b32_e32 v5, 0x7fffffff, v2
	s_wait_xcnt 0x0
	v_cmpx_gt_u32_e32 0x47800000, v5
	s_xor_b32 s2, exec_lo, s2
	s_cbranch_execz .LBB241_433
; %bb.428:
	s_mov_b32 s20, exec_lo
                                        ; implicit-def: $vgpr3
	v_cmpx_lt_u32_e32 0x387fffff, v5
	s_xor_b32 s20, exec_lo, s20
; %bb.429:
	v_bfe_u32 v3, v2, 21, 1
	s_delay_alu instid0(VALU_DEP_1) | instskip(NEXT) | instid1(VALU_DEP_1)
	v_add3_u32 v3, v2, v3, 0x80fffff
	v_lshrrev_b32_e32 v3, 21, v3
; %bb.430:
	s_and_not1_saveexec_b32 s20, s20
; %bb.431:
	v_add_f32_e64 v3, 0x43000000, |v2|
; %bb.432:
	s_or_b32 exec_lo, exec_lo, s20
                                        ; implicit-def: $vgpr5
.LBB241_433:
	s_and_not1_saveexec_b32 s2, s2
; %bb.434:
	v_mov_b32_e32 v3, 0x7f
	v_cmp_lt_u32_e32 vcc_lo, 0x7f800000, v5
	s_delay_alu instid0(VALU_DEP_2)
	v_cndmask_b32_e32 v3, 0x7c, v3, vcc_lo
; %bb.435:
	s_or_b32 exec_lo, exec_lo, s2
	v_lshrrev_b32_e32 v2, 24, v2
	s_mov_b32 s2, -1
	s_mov_b32 s20, 0
	s_delay_alu instid0(VALU_DEP_1)
	v_and_or_b32 v2, 0x80, v2, v3
	s_branch .LBB241_470
.LBB241_436:
	s_or_b32 exec_lo, exec_lo, s19
	s_mov_b32 s1, 0
	s_and_saveexec_b32 s16, s18
	s_cbranch_execnz .LBB241_1443
.LBB241_437:
	s_or_b32 exec_lo, exec_lo, s16
	s_and_saveexec_b32 s16, s20
	s_cbranch_execz .LBB241_1444
.LBB241_438:
	s_wait_loadcnt 0x0
	global_load_u8 v2, v[0:1], off
	s_mov_b32 s18, exec_lo
	s_wait_loadcnt 0x0
	v_cmp_ne_u16_e32 vcc_lo, 0, v2
                                        ; implicit-def: $vgpr2
	v_cndmask_b32_e64 v3, 0, 1.0, vcc_lo
	s_wait_xcnt 0x0
	s_delay_alu instid0(VALU_DEP_1)
	v_cmpx_gt_u32_e32 0x47800000, v3
	s_xor_b32 s18, exec_lo, s18
	s_cbranch_execz .LBB241_444
; %bb.439:
	s_mov_b32 s19, exec_lo
                                        ; implicit-def: $vgpr2
	v_cmpx_lt_u32_e32 0x387fffff, v3
	s_xor_b32 s19, exec_lo, s19
; %bb.440:
	v_bfe_u32 v2, v3, 21, 1
	s_delay_alu instid0(VALU_DEP_1) | instskip(NEXT) | instid1(VALU_DEP_1)
	v_add3_u32 v2, v3, v2, 0x80fffff
                                        ; implicit-def: $vgpr3
	v_lshrrev_b32_e32 v2, 21, v2
; %bb.441:
	s_and_not1_saveexec_b32 s19, s19
; %bb.442:
	v_add_f32_e32 v2, 0x43000000, v3
; %bb.443:
	s_or_b32 exec_lo, exec_lo, s19
                                        ; implicit-def: $vgpr3
.LBB241_444:
	s_and_not1_saveexec_b32 s18, s18
; %bb.445:
	v_mov_b32_e32 v2, 0x7f
	v_cmp_lt_u32_e32 vcc_lo, 0x7f800000, v3
	s_delay_alu instid0(VALU_DEP_2)
	v_cndmask_b32_e32 v2, 0x7c, v2, vcc_lo
; %bb.446:
	s_or_b32 exec_lo, exec_lo, s18
	s_delay_alu instid0(SALU_CYCLE_1)
	s_or_b32 s2, s2, exec_lo
	s_or_b32 exec_lo, exec_lo, s16
	s_and_saveexec_b32 s16, s21
	s_cbranch_execz .LBB241_1578
	s_branch .LBB241_1445
.LBB241_447:
	s_mov_b32 s20, s18
                                        ; implicit-def: $vgpr2
	s_cbranch_execnz .LBB241_718
.LBB241_448:
	s_and_not1_b32 vcc_lo, exec_lo, s2
	s_cbranch_vccnz .LBB241_854
.LBB241_449:
	s_wait_loadcnt 0x0
	s_delay_alu instid0(VALU_DEP_1) | instskip(SKIP_1) | instid1(SALU_CYCLE_1)
	v_lshlrev_b16 v1, 8, v2
	s_and_b32 s21, s3, 0xff
	s_cmp_lt_i32 s21, 11
	s_delay_alu instid0(VALU_DEP_1) | instskip(SKIP_2) | instid1(VALU_DEP_2)
	v_and_or_b32 v3, 0x7f00, v1, 0.5
	v_lshlrev_b32_e32 v0, 25, v2
	v_bfe_i32 v1, v1, 0, 16
	v_dual_add_f32 v3, -0.5, v3 :: v_dual_lshrrev_b32 v2, 4, v0
	v_cmp_gt_u32_e32 vcc_lo, 0x8000000, v0
	s_delay_alu instid0(VALU_DEP_2) | instskip(NEXT) | instid1(VALU_DEP_1)
	v_or_b32_e32 v2, 0x70000000, v2
	v_mul_f32_e32 v2, 0x7800000, v2
	s_delay_alu instid0(VALU_DEP_1) | instskip(NEXT) | instid1(VALU_DEP_1)
	v_cndmask_b32_e32 v0, v2, v3, vcc_lo
	v_and_or_b32 v1, 0x80000000, v1, v0
	v_mul_lo_u32 v0, v4, s8
	s_delay_alu instid0(VALU_DEP_2) | instskip(SKIP_3) | instid1(VALU_DEP_1)
	v_cmp_eq_f32_e32 vcc_lo, s15, v1
	v_cndmask_b32_e64 v2, 0, 1, vcc_lo
	v_cmp_neq_f32_e32 vcc_lo, s15, v1
	v_cndmask_b32_e64 v1, 0, 1, vcc_lo
	v_dual_cndmask_b32 v2, v1, v2, s0 :: v_dual_ashrrev_i32 v1, 31, v0
	s_delay_alu instid0(VALU_DEP_1) | instskip(NEXT) | instid1(VALU_DEP_2)
	v_and_b32_e32 v2, 1, v2
	v_add_nc_u64_e32 v[0:1], s[4:5], v[0:1]
	s_delay_alu instid0(VALU_DEP_2)
	v_cmp_eq_u32_e64 s1, 1, v2
	s_cbranch_scc1 .LBB241_457
; %bb.450:
	s_and_b32 s23, 0xffff, s21
	s_delay_alu instid0(SALU_CYCLE_1)
	s_cmp_gt_i32 s23, 25
	s_cbranch_scc0 .LBB241_459
; %bb.451:
	s_cmp_gt_i32 s23, 28
	s_cbranch_scc0 .LBB241_461
; %bb.452:
	;; [unrolled: 3-line block ×4, first 2 shown]
	s_mov_b32 s25, 0
	s_mov_b32 s2, -1
	s_cmp_eq_u32 s23, 46
	s_mov_b32 s24, 0
	s_cbranch_scc0 .LBB241_482
; %bb.455:
	v_cndmask_b32_e64 v2, 0, 1.0, s1
	s_mov_b32 s24, -1
	s_mov_b32 s2, 0
	s_delay_alu instid0(VALU_DEP_1) | instskip(NEXT) | instid1(VALU_DEP_1)
	v_bfe_u32 v3, v2, 16, 1
	v_add3_u32 v2, v2, v3, 0x7fff
	s_delay_alu instid0(VALU_DEP_1)
	v_lshrrev_b32_e32 v2, 16, v2
	global_store_b32 v[0:1], v2, off
	s_branch .LBB241_482
.LBB241_456:
	s_mov_b32 s21, -1
	s_mov_b32 s20, s18
                                        ; implicit-def: $vgpr2
	s_branch .LBB241_651
.LBB241_457:
	s_mov_b32 s23, -1
	s_mov_b32 s24, 0
	s_mov_b32 s2, s17
	s_branch .LBB241_551
.LBB241_458:
	s_mov_b32 s21, -1
	s_mov_b32 s20, s18
                                        ; implicit-def: $vgpr2
	s_branch .LBB241_608
.LBB241_459:
	s_mov_b32 s25, -1
	s_mov_b32 s24, 0
	s_mov_b32 s2, s17
	s_branch .LBB241_509
.LBB241_460:
	s_mov_b32 s21, -1
	s_mov_b32 s20, s18
                                        ; implicit-def: $vgpr2
	s_branch .LBB241_595
.LBB241_461:
	s_mov_b32 s25, -1
	s_mov_b32 s24, 0
	s_mov_b32 s2, s17
	s_branch .LBB241_492
.LBB241_462:
	s_and_not1_saveexec_b32 s24, s24
	s_cbranch_execz .LBB241_70
.LBB241_463:
	v_add_f32_e32 v2, 0x46000000, v3
	s_and_not1_b32 s23, s23, exec_lo
	s_delay_alu instid0(VALU_DEP_1) | instskip(NEXT) | instid1(VALU_DEP_1)
	v_and_b32_e32 v2, 0xff, v2
	v_cmp_ne_u32_e32 vcc_lo, 0, v2
	s_and_b32 s25, vcc_lo, exec_lo
	s_delay_alu instid0(SALU_CYCLE_1)
	s_or_b32 s23, s23, s25
	s_or_b32 exec_lo, exec_lo, s24
	v_mov_b32_e32 v5, 0
	s_and_saveexec_b32 s24, s23
	s_cbranch_execnz .LBB241_71
	s_branch .LBB241_72
.LBB241_464:
	s_mov_b32 s21, -1
	s_mov_b32 s20, s18
	s_branch .LBB241_469
.LBB241_465:
	s_mov_b32 s25, -1
	s_mov_b32 s24, 0
	s_mov_b32 s2, s17
	s_branch .LBB241_488
.LBB241_466:
	s_and_not1_saveexec_b32 s24, s24
	s_cbranch_execz .LBB241_83
.LBB241_467:
	v_add_f32_e32 v2, 0x42800000, v3
	s_and_not1_b32 s23, s23, exec_lo
	s_delay_alu instid0(VALU_DEP_1) | instskip(NEXT) | instid1(VALU_DEP_1)
	v_and_b32_e32 v2, 0xff, v2
	v_cmp_ne_u32_e32 vcc_lo, 0, v2
	s_and_b32 s25, vcc_lo, exec_lo
	s_delay_alu instid0(SALU_CYCLE_1)
	s_or_b32 s23, s23, s25
	s_or_b32 exec_lo, exec_lo, s24
	v_mov_b32_e32 v5, 0
	s_and_saveexec_b32 s24, s23
	s_cbranch_execnz .LBB241_84
	s_branch .LBB241_85
.LBB241_468:
	s_mov_b32 s20, -1
.LBB241_469:
                                        ; implicit-def: $vgpr2
.LBB241_470:
	s_and_b32 vcc_lo, exec_lo, s21
	s_cbranch_vccz .LBB241_594
; %bb.471:
	s_cmp_eq_u32 s1, 44
	s_cbranch_scc0 .LBB241_593
; %bb.472:
	s_wait_loadcnt 0x0
	global_load_u8 v2, v[0:1], off
	s_mov_b32 s2, exec_lo
	s_wait_loadcnt 0x0
	v_lshlrev_b32_e32 v3, 23, v2
	v_cmp_ne_u32_e32 vcc_lo, 0xff, v2
	s_delay_alu instid0(VALU_DEP_2) | instskip(SKIP_1) | instid1(VALU_DEP_2)
	v_cndmask_b32_e32 v3, 0x7f800001, v3, vcc_lo
	v_cmp_ne_u32_e32 vcc_lo, 0, v2
                                        ; implicit-def: $vgpr2
	v_cndmask_b32_e32 v3, 0x400000, v3, vcc_lo
	s_wait_xcnt 0x0
	s_delay_alu instid0(VALU_DEP_1)
	v_cmpx_gt_u32_e32 0x47800000, v3
	s_xor_b32 s2, exec_lo, s2
	s_cbranch_execz .LBB241_478
; %bb.473:
	s_mov_b32 s20, exec_lo
                                        ; implicit-def: $vgpr2
	v_cmpx_lt_u32_e32 0x387fffff, v3
	s_xor_b32 s20, exec_lo, s20
; %bb.474:
	v_bfe_u32 v2, v3, 21, 1
	s_delay_alu instid0(VALU_DEP_1) | instskip(NEXT) | instid1(VALU_DEP_1)
	v_add3_u32 v2, v3, v2, 0x80fffff
                                        ; implicit-def: $vgpr3
	v_lshrrev_b32_e32 v2, 21, v2
; %bb.475:
	s_and_not1_saveexec_b32 s20, s20
; %bb.476:
	v_add_f32_e32 v2, 0x43000000, v3
; %bb.477:
	s_or_b32 exec_lo, exec_lo, s20
                                        ; implicit-def: $vgpr3
.LBB241_478:
	s_and_not1_saveexec_b32 s2, s2
; %bb.479:
	v_mov_b32_e32 v2, 0x7f
	v_cmp_lt_u32_e32 vcc_lo, 0x7f800000, v3
	s_delay_alu instid0(VALU_DEP_2)
	v_cndmask_b32_e32 v2, 0x7c, v2, vcc_lo
; %bb.480:
	s_or_b32 exec_lo, exec_lo, s2
	s_mov_b32 s2, -1
	s_mov_b32 s20, 0
	s_branch .LBB241_594
.LBB241_481:
	s_mov_b32 s25, -1
	s_mov_b32 s24, 0
	s_mov_b32 s2, s17
.LBB241_482:
	s_and_b32 vcc_lo, exec_lo, s25
	s_cbranch_vccz .LBB241_487
; %bb.483:
	s_cmp_eq_u32 s23, 44
	s_mov_b32 s2, -1
	s_cbranch_scc0 .LBB241_487
; %bb.484:
	v_cndmask_b32_e64 v5, 0, 1.0, s1
	s_mov_b32 s24, exec_lo
	s_wait_xcnt 0x0
	s_delay_alu instid0(VALU_DEP_1) | instskip(NEXT) | instid1(VALU_DEP_1)
	v_dual_mov_b32 v3, 0xff :: v_dual_lshrrev_b32 v2, 23, v5
	v_cmpx_ne_u32_e32 0xff, v2
; %bb.485:
	v_and_b32_e32 v3, 0x400000, v5
	v_and_or_b32 v5, 0x3fffff, v5, v2
	s_delay_alu instid0(VALU_DEP_2) | instskip(NEXT) | instid1(VALU_DEP_2)
	v_cmp_ne_u32_e32 vcc_lo, 0, v3
	v_cmp_ne_u32_e64 s2, 0, v5
	s_and_b32 s2, vcc_lo, s2
	s_delay_alu instid0(SALU_CYCLE_1) | instskip(NEXT) | instid1(VALU_DEP_1)
	v_cndmask_b32_e64 v3, 0, 1, s2
	v_add_nc_u32_e32 v3, v2, v3
; %bb.486:
	s_or_b32 exec_lo, exec_lo, s24
	s_mov_b32 s24, -1
	s_mov_b32 s2, 0
	global_store_b8 v[0:1], v3, off
.LBB241_487:
	s_mov_b32 s25, 0
.LBB241_488:
	s_delay_alu instid0(SALU_CYCLE_1)
	s_and_b32 vcc_lo, exec_lo, s25
	s_cbranch_vccz .LBB241_491
; %bb.489:
	s_cmp_eq_u32 s23, 29
	s_mov_b32 s2, -1
	s_cbranch_scc0 .LBB241_491
; %bb.490:
	s_mov_b32 s2, 0
	s_wait_xcnt 0x0
	v_cndmask_b32_e64 v2, 0, 1, s1
	v_mov_b32_e32 v3, s2
	s_mov_b32 s24, -1
	s_mov_b32 s25, 0
	global_store_b64 v[0:1], v[2:3], off
	s_branch .LBB241_492
.LBB241_491:
	s_mov_b32 s25, 0
.LBB241_492:
	s_delay_alu instid0(SALU_CYCLE_1)
	s_and_b32 vcc_lo, exec_lo, s25
	s_cbranch_vccz .LBB241_508
; %bb.493:
	s_cmp_lt_i32 s23, 27
	s_mov_b32 s24, -1
	s_cbranch_scc1 .LBB241_499
; %bb.494:
	s_cmp_gt_i32 s23, 27
	s_cbranch_scc0 .LBB241_496
; %bb.495:
	s_wait_xcnt 0x0
	v_cndmask_b32_e64 v2, 0, 1, s1
	s_mov_b32 s24, 0
	global_store_b32 v[0:1], v2, off
.LBB241_496:
	s_and_not1_b32 vcc_lo, exec_lo, s24
	s_cbranch_vccnz .LBB241_498
; %bb.497:
	s_wait_xcnt 0x0
	v_cndmask_b32_e64 v2, 0, 1, s1
	global_store_b16 v[0:1], v2, off
.LBB241_498:
	s_mov_b32 s24, 0
.LBB241_499:
	s_delay_alu instid0(SALU_CYCLE_1)
	s_and_not1_b32 vcc_lo, exec_lo, s24
	s_cbranch_vccnz .LBB241_507
; %bb.500:
	s_wait_xcnt 0x0
	v_cndmask_b32_e64 v3, 0, 1.0, s1
	v_mov_b32_e32 v5, 0x80
	s_mov_b32 s24, exec_lo
	s_delay_alu instid0(VALU_DEP_2)
	v_cmpx_gt_u32_e32 0x43800000, v3
	s_cbranch_execz .LBB241_506
; %bb.501:
	s_mov_b32 s25, 0
	s_mov_b32 s26, exec_lo
                                        ; implicit-def: $vgpr2
	v_cmpx_lt_u32_e32 0x3bffffff, v3
	s_xor_b32 s26, exec_lo, s26
	s_cbranch_execz .LBB241_878
; %bb.502:
	v_bfe_u32 v2, v3, 20, 1
	s_mov_b32 s25, exec_lo
	s_delay_alu instid0(VALU_DEP_1) | instskip(NEXT) | instid1(VALU_DEP_1)
	v_add3_u32 v2, v3, v2, 0x487ffff
                                        ; implicit-def: $vgpr3
	v_lshrrev_b32_e32 v2, 20, v2
	s_and_not1_saveexec_b32 s26, s26
	s_cbranch_execnz .LBB241_879
.LBB241_503:
	s_or_b32 exec_lo, exec_lo, s26
	v_mov_b32_e32 v5, 0
	s_and_saveexec_b32 s26, s25
.LBB241_504:
	v_mov_b32_e32 v5, v2
.LBB241_505:
	s_or_b32 exec_lo, exec_lo, s26
.LBB241_506:
	s_delay_alu instid0(SALU_CYCLE_1)
	s_or_b32 exec_lo, exec_lo, s24
	global_store_b8 v[0:1], v5, off
.LBB241_507:
	s_mov_b32 s24, -1
.LBB241_508:
	s_mov_b32 s25, 0
.LBB241_509:
	s_delay_alu instid0(SALU_CYCLE_1)
	s_and_b32 vcc_lo, exec_lo, s25
	s_cbranch_vccz .LBB241_550
; %bb.510:
	s_cmp_gt_i32 s23, 22
	s_mov_b32 s25, -1
	s_cbranch_scc0 .LBB241_542
; %bb.511:
	s_cmp_lt_i32 s23, 24
	s_mov_b32 s24, -1
	s_cbranch_scc1 .LBB241_531
; %bb.512:
	s_cmp_gt_i32 s23, 24
	s_cbranch_scc0 .LBB241_520
; %bb.513:
	s_wait_xcnt 0x0
	v_cndmask_b32_e64 v3, 0, 1.0, s1
	v_mov_b32_e32 v5, 0x80
	s_mov_b32 s24, exec_lo
	s_delay_alu instid0(VALU_DEP_2)
	v_cmpx_gt_u32_e32 0x47800000, v3
	s_cbranch_execz .LBB241_519
; %bb.514:
	s_mov_b32 s25, 0
	s_mov_b32 s26, exec_lo
                                        ; implicit-def: $vgpr2
	v_cmpx_lt_u32_e32 0x37ffffff, v3
	s_xor_b32 s26, exec_lo, s26
	s_cbranch_execz .LBB241_881
; %bb.515:
	v_bfe_u32 v2, v3, 21, 1
	s_mov_b32 s25, exec_lo
	s_delay_alu instid0(VALU_DEP_1) | instskip(NEXT) | instid1(VALU_DEP_1)
	v_add3_u32 v2, v3, v2, 0x88fffff
                                        ; implicit-def: $vgpr3
	v_lshrrev_b32_e32 v2, 21, v2
	s_and_not1_saveexec_b32 s26, s26
	s_cbranch_execnz .LBB241_882
.LBB241_516:
	s_or_b32 exec_lo, exec_lo, s26
	v_mov_b32_e32 v5, 0
	s_and_saveexec_b32 s26, s25
.LBB241_517:
	v_mov_b32_e32 v5, v2
.LBB241_518:
	s_or_b32 exec_lo, exec_lo, s26
.LBB241_519:
	s_delay_alu instid0(SALU_CYCLE_1)
	s_or_b32 exec_lo, exec_lo, s24
	s_mov_b32 s24, 0
	global_store_b8 v[0:1], v5, off
.LBB241_520:
	s_and_b32 vcc_lo, exec_lo, s24
	s_cbranch_vccz .LBB241_530
; %bb.521:
	s_wait_xcnt 0x0
	v_cndmask_b32_e64 v3, 0, 1.0, s1
	s_mov_b32 s24, exec_lo
                                        ; implicit-def: $vgpr2
	s_delay_alu instid0(VALU_DEP_1)
	v_cmpx_gt_u32_e32 0x43f00000, v3
	s_xor_b32 s24, exec_lo, s24
	s_cbranch_execz .LBB241_527
; %bb.522:
	s_mov_b32 s25, exec_lo
                                        ; implicit-def: $vgpr2
	v_cmpx_lt_u32_e32 0x3c7fffff, v3
	s_xor_b32 s25, exec_lo, s25
; %bb.523:
	v_bfe_u32 v2, v3, 20, 1
	s_delay_alu instid0(VALU_DEP_1) | instskip(NEXT) | instid1(VALU_DEP_1)
	v_add3_u32 v2, v3, v2, 0x407ffff
	v_and_b32_e32 v3, 0xff00000, v2
	v_lshrrev_b32_e32 v2, 20, v2
	s_delay_alu instid0(VALU_DEP_2) | instskip(NEXT) | instid1(VALU_DEP_2)
	v_cmp_ne_u32_e32 vcc_lo, 0x7f00000, v3
                                        ; implicit-def: $vgpr3
	v_cndmask_b32_e32 v2, 0x7e, v2, vcc_lo
; %bb.524:
	s_and_not1_saveexec_b32 s25, s25
; %bb.525:
	v_add_f32_e32 v2, 0x46800000, v3
; %bb.526:
	s_or_b32 exec_lo, exec_lo, s25
                                        ; implicit-def: $vgpr3
.LBB241_527:
	s_and_not1_saveexec_b32 s24, s24
; %bb.528:
	v_mov_b32_e32 v2, 0x7f
	v_cmp_lt_u32_e32 vcc_lo, 0x7f800000, v3
	s_delay_alu instid0(VALU_DEP_2)
	v_cndmask_b32_e32 v2, 0x7e, v2, vcc_lo
; %bb.529:
	s_or_b32 exec_lo, exec_lo, s24
	global_store_b8 v[0:1], v2, off
.LBB241_530:
	s_mov_b32 s24, 0
.LBB241_531:
	s_delay_alu instid0(SALU_CYCLE_1)
	s_and_not1_b32 vcc_lo, exec_lo, s24
	s_cbranch_vccnz .LBB241_541
; %bb.532:
	s_wait_xcnt 0x0
	v_cndmask_b32_e64 v3, 0, 1.0, s1
	s_mov_b32 s24, exec_lo
                                        ; implicit-def: $vgpr2
	s_delay_alu instid0(VALU_DEP_1)
	v_cmpx_gt_u32_e32 0x47800000, v3
	s_xor_b32 s24, exec_lo, s24
	s_cbranch_execz .LBB241_538
; %bb.533:
	s_mov_b32 s25, exec_lo
                                        ; implicit-def: $vgpr2
	v_cmpx_lt_u32_e32 0x387fffff, v3
	s_xor_b32 s25, exec_lo, s25
; %bb.534:
	v_bfe_u32 v2, v3, 21, 1
	s_delay_alu instid0(VALU_DEP_1) | instskip(NEXT) | instid1(VALU_DEP_1)
	v_add3_u32 v2, v3, v2, 0x80fffff
                                        ; implicit-def: $vgpr3
	v_lshrrev_b32_e32 v2, 21, v2
; %bb.535:
	s_and_not1_saveexec_b32 s25, s25
; %bb.536:
	v_add_f32_e32 v2, 0x43000000, v3
; %bb.537:
	s_or_b32 exec_lo, exec_lo, s25
                                        ; implicit-def: $vgpr3
.LBB241_538:
	s_and_not1_saveexec_b32 s24, s24
; %bb.539:
	v_mov_b32_e32 v2, 0x7f
	v_cmp_lt_u32_e32 vcc_lo, 0x7f800000, v3
	s_delay_alu instid0(VALU_DEP_2)
	v_cndmask_b32_e32 v2, 0x7c, v2, vcc_lo
; %bb.540:
	s_or_b32 exec_lo, exec_lo, s24
	global_store_b8 v[0:1], v2, off
.LBB241_541:
	s_mov_b32 s25, 0
	s_mov_b32 s24, -1
.LBB241_542:
	s_and_not1_b32 vcc_lo, exec_lo, s25
	s_cbranch_vccnz .LBB241_550
; %bb.543:
	s_cmp_gt_i32 s23, 14
	s_mov_b32 s25, -1
	s_cbranch_scc0 .LBB241_547
; %bb.544:
	s_cmp_eq_u32 s23, 15
	s_mov_b32 s2, -1
	s_cbranch_scc0 .LBB241_546
; %bb.545:
	s_wait_xcnt 0x0
	v_cndmask_b32_e64 v2, 0, 1.0, s1
	s_mov_b32 s24, -1
	s_mov_b32 s2, 0
	s_delay_alu instid0(VALU_DEP_1) | instskip(NEXT) | instid1(VALU_DEP_1)
	v_bfe_u32 v3, v2, 16, 1
	v_add3_u32 v2, v2, v3, 0x7fff
	global_store_d16_hi_b16 v[0:1], v2, off
.LBB241_546:
	s_mov_b32 s25, 0
.LBB241_547:
	s_delay_alu instid0(SALU_CYCLE_1)
	s_and_b32 vcc_lo, exec_lo, s25
	s_cbranch_vccz .LBB241_550
; %bb.548:
	s_cmp_eq_u32 s23, 11
	s_mov_b32 s2, -1
	s_cbranch_scc0 .LBB241_550
; %bb.549:
	s_wait_xcnt 0x0
	v_cndmask_b32_e64 v2, 0, 1, s1
	s_mov_b32 s24, -1
	s_mov_b32 s2, 0
	global_store_b8 v[0:1], v2, off
.LBB241_550:
	s_mov_b32 s23, 0
.LBB241_551:
	s_delay_alu instid0(SALU_CYCLE_1)
	s_and_b32 vcc_lo, exec_lo, s23
	s_cbranch_vccz .LBB241_590
; %bb.552:
	s_and_b32 s21, 0xffff, s21
	s_mov_b32 s23, -1
	s_cmp_lt_i32 s21, 5
	s_cbranch_scc1 .LBB241_573
; %bb.553:
	s_cmp_lt_i32 s21, 8
	s_cbranch_scc1 .LBB241_563
; %bb.554:
	;; [unrolled: 3-line block ×3, first 2 shown]
	s_cmp_gt_i32 s21, 9
	s_cbranch_scc0 .LBB241_557
; %bb.556:
	s_wait_xcnt 0x0
	v_cndmask_b32_e64 v2, 0, 1, s1
	v_mov_b32_e32 v8, 0
	s_mov_b32 s23, 0
	s_delay_alu instid0(VALU_DEP_2) | instskip(NEXT) | instid1(VALU_DEP_2)
	v_cvt_f64_u32_e32 v[6:7], v2
	v_mov_b32_e32 v9, v8
	global_store_b128 v[0:1], v[6:9], off
.LBB241_557:
	s_and_not1_b32 vcc_lo, exec_lo, s23
	s_cbranch_vccnz .LBB241_559
; %bb.558:
	s_wait_xcnt 0x0
	v_cndmask_b32_e64 v2, 0, 1.0, s1
	v_mov_b32_e32 v3, 0
	global_store_b64 v[0:1], v[2:3], off
.LBB241_559:
	s_mov_b32 s23, 0
.LBB241_560:
	s_delay_alu instid0(SALU_CYCLE_1)
	s_and_not1_b32 vcc_lo, exec_lo, s23
	s_cbranch_vccnz .LBB241_562
; %bb.561:
	s_wait_xcnt 0x0
	v_cndmask_b32_e64 v2, 0, 1.0, s1
	s_delay_alu instid0(VALU_DEP_1) | instskip(NEXT) | instid1(VALU_DEP_1)
	v_cvt_f16_f32_e32 v2, v2
	v_and_b32_e32 v2, 0xffff, v2
	global_store_b32 v[0:1], v2, off
.LBB241_562:
	s_mov_b32 s23, 0
.LBB241_563:
	s_delay_alu instid0(SALU_CYCLE_1)
	s_and_not1_b32 vcc_lo, exec_lo, s23
	s_cbranch_vccnz .LBB241_572
; %bb.564:
	s_cmp_lt_i32 s21, 6
	s_mov_b32 s23, -1
	s_cbranch_scc1 .LBB241_570
; %bb.565:
	s_cmp_gt_i32 s21, 6
	s_cbranch_scc0 .LBB241_567
; %bb.566:
	s_wait_xcnt 0x0
	v_cndmask_b32_e64 v2, 0, 1, s1
	s_mov_b32 s23, 0
	s_delay_alu instid0(VALU_DEP_1)
	v_cvt_f64_u32_e32 v[2:3], v2
	global_store_b64 v[0:1], v[2:3], off
.LBB241_567:
	s_and_not1_b32 vcc_lo, exec_lo, s23
	s_cbranch_vccnz .LBB241_569
; %bb.568:
	s_wait_xcnt 0x0
	v_cndmask_b32_e64 v2, 0, 1.0, s1
	global_store_b32 v[0:1], v2, off
.LBB241_569:
	s_mov_b32 s23, 0
.LBB241_570:
	s_delay_alu instid0(SALU_CYCLE_1)
	s_and_not1_b32 vcc_lo, exec_lo, s23
	s_cbranch_vccnz .LBB241_572
; %bb.571:
	s_wait_xcnt 0x0
	v_cndmask_b32_e64 v2, 0, 1.0, s1
	s_delay_alu instid0(VALU_DEP_1)
	v_cvt_f16_f32_e32 v2, v2
	global_store_b16 v[0:1], v2, off
.LBB241_572:
	s_mov_b32 s23, 0
.LBB241_573:
	s_delay_alu instid0(SALU_CYCLE_1)
	s_and_not1_b32 vcc_lo, exec_lo, s23
	s_cbranch_vccnz .LBB241_589
; %bb.574:
	s_cmp_lt_i32 s21, 2
	s_mov_b32 s23, -1
	s_cbranch_scc1 .LBB241_584
; %bb.575:
	s_cmp_lt_i32 s21, 3
	s_cbranch_scc1 .LBB241_581
; %bb.576:
	s_cmp_gt_i32 s21, 3
	s_cbranch_scc0 .LBB241_578
; %bb.577:
	s_mov_b32 s23, 0
	s_wait_xcnt 0x0
	v_cndmask_b32_e64 v2, 0, 1, s1
	v_mov_b32_e32 v3, s23
	global_store_b64 v[0:1], v[2:3], off
.LBB241_578:
	s_and_not1_b32 vcc_lo, exec_lo, s23
	s_cbranch_vccnz .LBB241_580
; %bb.579:
	s_wait_xcnt 0x0
	v_cndmask_b32_e64 v2, 0, 1, s1
	global_store_b32 v[0:1], v2, off
.LBB241_580:
	s_mov_b32 s23, 0
.LBB241_581:
	s_delay_alu instid0(SALU_CYCLE_1)
	s_and_not1_b32 vcc_lo, exec_lo, s23
	s_cbranch_vccnz .LBB241_583
; %bb.582:
	s_wait_xcnt 0x0
	v_cndmask_b32_e64 v2, 0, 1, s1
	global_store_b16 v[0:1], v2, off
.LBB241_583:
	s_mov_b32 s23, 0
.LBB241_584:
	s_delay_alu instid0(SALU_CYCLE_1)
	s_and_not1_b32 vcc_lo, exec_lo, s23
	s_cbranch_vccnz .LBB241_589
; %bb.585:
	s_wait_xcnt 0x0
	v_cndmask_b32_e64 v2, 0, 1, s1
	s_cmp_gt_i32 s21, 0
	s_mov_b32 s1, -1
	s_cbranch_scc0 .LBB241_587
; %bb.586:
	s_mov_b32 s1, 0
	global_store_b8 v[0:1], v2, off
.LBB241_587:
	s_and_not1_b32 vcc_lo, exec_lo, s1
	s_cbranch_vccnz .LBB241_589
; %bb.588:
	global_store_b8 v[0:1], v2, off
.LBB241_589:
	s_mov_b32 s24, -1
.LBB241_590:
	s_delay_alu instid0(SALU_CYCLE_1)
	s_and_not1_b32 vcc_lo, exec_lo, s24
	s_cbranch_vccnz .LBB241_592
; %bb.591:
	v_add_nc_u32_e32 v4, 0x80, v4
	s_mov_b32 s1, -1
	s_branch .LBB241_856
.LBB241_592:
	s_mov_b32 s1, 0
	s_branch .LBB241_855
.LBB241_593:
	s_mov_b32 s20, -1
                                        ; implicit-def: $vgpr2
.LBB241_594:
	s_mov_b32 s21, 0
.LBB241_595:
	s_delay_alu instid0(SALU_CYCLE_1)
	s_and_b32 vcc_lo, exec_lo, s21
	s_cbranch_vccz .LBB241_607
; %bb.596:
	s_cmp_eq_u32 s1, 29
	s_cbranch_scc0 .LBB241_606
; %bb.597:
	s_wait_loadcnt 0x0
	global_load_b64 v[2:3], v[0:1], off
	s_mov_b32 s2, exec_lo
	s_wait_loadcnt 0x0
	v_clz_i32_u32_e32 v5, v3
	s_delay_alu instid0(VALU_DEP_1) | instskip(NEXT) | instid1(VALU_DEP_1)
	v_min_u32_e32 v5, 32, v5
	v_lshlrev_b64_e32 v[2:3], v5, v[2:3]
	s_delay_alu instid0(VALU_DEP_1) | instskip(NEXT) | instid1(VALU_DEP_1)
	v_min_u32_e32 v2, 1, v2
	v_dual_sub_nc_u32 v3, 32, v5 :: v_dual_bitop2_b32 v2, v3, v2 bitop3:0x54
	s_delay_alu instid0(VALU_DEP_1) | instskip(NEXT) | instid1(VALU_DEP_1)
	v_cvt_f32_u32_e32 v2, v2
	v_ldexp_f32 v3, v2, v3
                                        ; implicit-def: $vgpr2
	s_wait_xcnt 0x0
	s_delay_alu instid0(VALU_DEP_1)
	v_cmpx_gt_u32_e32 0x47800000, v3
	s_xor_b32 s2, exec_lo, s2
	s_cbranch_execz .LBB241_603
; %bb.598:
	s_mov_b32 s20, exec_lo
                                        ; implicit-def: $vgpr2
	v_cmpx_lt_u32_e32 0x387fffff, v3
	s_xor_b32 s20, exec_lo, s20
; %bb.599:
	v_bfe_u32 v2, v3, 21, 1
	s_delay_alu instid0(VALU_DEP_1) | instskip(NEXT) | instid1(VALU_DEP_1)
	v_add3_u32 v2, v3, v2, 0x80fffff
                                        ; implicit-def: $vgpr3
	v_lshrrev_b32_e32 v2, 21, v2
; %bb.600:
	s_and_not1_saveexec_b32 s20, s20
; %bb.601:
	v_add_f32_e32 v2, 0x43000000, v3
; %bb.602:
	s_or_b32 exec_lo, exec_lo, s20
                                        ; implicit-def: $vgpr3
.LBB241_603:
	s_and_not1_saveexec_b32 s2, s2
; %bb.604:
	v_mov_b32_e32 v2, 0x7f
	v_cmp_lt_u32_e32 vcc_lo, 0x7f800000, v3
	s_delay_alu instid0(VALU_DEP_2)
	v_cndmask_b32_e32 v2, 0x7c, v2, vcc_lo
; %bb.605:
	s_or_b32 exec_lo, exec_lo, s2
	s_mov_b32 s2, -1
	s_mov_b32 s20, 0
	s_branch .LBB241_607
.LBB241_606:
	s_mov_b32 s20, -1
                                        ; implicit-def: $vgpr2
.LBB241_607:
	s_mov_b32 s21, 0
.LBB241_608:
	s_delay_alu instid0(SALU_CYCLE_1)
	s_and_b32 vcc_lo, exec_lo, s21
	s_cbranch_vccz .LBB241_650
; %bb.609:
	s_cmp_lt_i32 s1, 27
	s_cbranch_scc1 .LBB241_620
; %bb.610:
	s_cmp_gt_i32 s1, 27
	s_cbranch_scc0 .LBB241_621
; %bb.611:
	s_wait_loadcnt 0x0
	global_load_b32 v2, v[0:1], off
	s_mov_b32 s2, exec_lo
	s_wait_loadcnt 0x0
	v_cvt_f32_u32_e32 v3, v2
                                        ; implicit-def: $vgpr2
	s_wait_xcnt 0x0
	s_delay_alu instid0(VALU_DEP_1)
	v_cmpx_gt_u32_e32 0x47800000, v3
	s_xor_b32 s2, exec_lo, s2
	s_cbranch_execz .LBB241_617
; %bb.612:
	s_mov_b32 s21, exec_lo
                                        ; implicit-def: $vgpr2
	v_cmpx_lt_u32_e32 0x387fffff, v3
	s_xor_b32 s21, exec_lo, s21
; %bb.613:
	v_bfe_u32 v2, v3, 21, 1
	s_delay_alu instid0(VALU_DEP_1) | instskip(NEXT) | instid1(VALU_DEP_1)
	v_add3_u32 v2, v3, v2, 0x80fffff
                                        ; implicit-def: $vgpr3
	v_lshrrev_b32_e32 v2, 21, v2
; %bb.614:
	s_and_not1_saveexec_b32 s21, s21
; %bb.615:
	v_add_f32_e32 v2, 0x43000000, v3
; %bb.616:
	s_or_b32 exec_lo, exec_lo, s21
                                        ; implicit-def: $vgpr3
.LBB241_617:
	s_and_not1_saveexec_b32 s2, s2
; %bb.618:
	v_mov_b32_e32 v2, 0x7f
	v_cmp_lt_u32_e32 vcc_lo, 0x7f800000, v3
	s_delay_alu instid0(VALU_DEP_2)
	v_cndmask_b32_e32 v2, 0x7c, v2, vcc_lo
; %bb.619:
	s_or_b32 exec_lo, exec_lo, s2
	s_mov_b32 s2, 0
	s_branch .LBB241_622
.LBB241_620:
	s_mov_b32 s2, -1
                                        ; implicit-def: $vgpr2
	s_branch .LBB241_633
.LBB241_621:
	s_mov_b32 s2, -1
                                        ; implicit-def: $vgpr2
.LBB241_622:
	s_delay_alu instid0(SALU_CYCLE_1)
	s_and_b32 vcc_lo, exec_lo, s2
	s_cbranch_vccz .LBB241_632
; %bb.623:
	s_wait_loadcnt 0x0
	global_load_u16 v2, v[0:1], off
	s_mov_b32 s2, exec_lo
	s_wait_loadcnt 0x0
	v_cvt_f32_u32_e32 v3, v2
                                        ; implicit-def: $vgpr2
	s_wait_xcnt 0x0
	s_delay_alu instid0(VALU_DEP_1)
	v_cmpx_gt_u32_e32 0x47800000, v3
	s_xor_b32 s2, exec_lo, s2
	s_cbranch_execz .LBB241_629
; %bb.624:
	s_mov_b32 s21, exec_lo
                                        ; implicit-def: $vgpr2
	v_cmpx_lt_u32_e32 0x387fffff, v3
	s_xor_b32 s21, exec_lo, s21
; %bb.625:
	v_bfe_u32 v2, v3, 21, 1
	s_delay_alu instid0(VALU_DEP_1) | instskip(NEXT) | instid1(VALU_DEP_1)
	v_add3_u32 v2, v3, v2, 0x80fffff
                                        ; implicit-def: $vgpr3
	v_lshrrev_b32_e32 v2, 21, v2
; %bb.626:
	s_and_not1_saveexec_b32 s21, s21
; %bb.627:
	v_add_f32_e32 v2, 0x43000000, v3
; %bb.628:
	s_or_b32 exec_lo, exec_lo, s21
                                        ; implicit-def: $vgpr3
.LBB241_629:
	s_and_not1_saveexec_b32 s2, s2
; %bb.630:
	v_mov_b32_e32 v2, 0x7f
	v_cmp_lt_u32_e32 vcc_lo, 0x7f800000, v3
	s_delay_alu instid0(VALU_DEP_2)
	v_cndmask_b32_e32 v2, 0x7c, v2, vcc_lo
; %bb.631:
	s_or_b32 exec_lo, exec_lo, s2
.LBB241_632:
	s_mov_b32 s2, 0
.LBB241_633:
	s_delay_alu instid0(SALU_CYCLE_1)
	s_and_not1_b32 vcc_lo, exec_lo, s2
	s_cbranch_vccnz .LBB241_649
; %bb.634:
	global_load_u8 v3, v[0:1], off
	s_mov_b32 s2, 0
	s_mov_b32 s21, exec_lo
	s_wait_loadcnt 0x0
	v_cmpx_lt_i16_e32 0x7f, v3
	s_xor_b32 s21, exec_lo, s21
	s_cbranch_execz .LBB241_671
; %bb.635:
	s_mov_b32 s2, -1
	s_mov_b32 s23, exec_lo
	v_cmpx_eq_u16_e32 0x80, v3
; %bb.636:
	s_xor_b32 s2, exec_lo, -1
; %bb.637:
	s_or_b32 exec_lo, exec_lo, s23
	s_delay_alu instid0(SALU_CYCLE_1)
	s_and_b32 s2, s2, exec_lo
	s_or_saveexec_b32 s21, s21
	v_mov_b32_e32 v2, 0x7f800001
	s_xor_b32 exec_lo, exec_lo, s21
	s_cbranch_execnz .LBB241_672
.LBB241_638:
	s_or_b32 exec_lo, exec_lo, s21
	s_and_saveexec_b32 s21, s2
	s_cbranch_execz .LBB241_640
.LBB241_639:
	v_and_b32_e32 v2, 0xffff, v3
	s_delay_alu instid0(VALU_DEP_1) | instskip(SKIP_1) | instid1(VALU_DEP_2)
	v_dual_lshlrev_b32 v3, 24, v3 :: v_dual_bitop2_b32 v5, 7, v2 bitop3:0x40
	v_bfe_u32 v8, v2, 3, 4
	v_and_b32_e32 v3, 0x80000000, v3
	s_delay_alu instid0(VALU_DEP_3) | instskip(NEXT) | instid1(VALU_DEP_3)
	v_clz_i32_u32_e32 v6, v5
	v_cmp_eq_u32_e32 vcc_lo, 0, v8
	s_delay_alu instid0(VALU_DEP_2) | instskip(NEXT) | instid1(VALU_DEP_1)
	v_min_u32_e32 v6, 32, v6
	v_subrev_nc_u32_e32 v7, 28, v6
	v_sub_nc_u32_e32 v6, 29, v6
	s_delay_alu instid0(VALU_DEP_2) | instskip(NEXT) | instid1(VALU_DEP_2)
	v_lshlrev_b32_e32 v2, v7, v2
	v_cndmask_b32_e32 v6, v8, v6, vcc_lo
	s_delay_alu instid0(VALU_DEP_2) | instskip(NEXT) | instid1(VALU_DEP_1)
	v_and_b32_e32 v2, 7, v2
	v_cndmask_b32_e32 v2, v5, v2, vcc_lo
	s_delay_alu instid0(VALU_DEP_3) | instskip(NEXT) | instid1(VALU_DEP_2)
	v_lshl_add_u32 v5, v6, 23, 0x3b800000
	v_lshlrev_b32_e32 v2, 20, v2
	s_delay_alu instid0(VALU_DEP_1)
	v_or3_b32 v2, v3, v5, v2
.LBB241_640:
	s_or_b32 exec_lo, exec_lo, s21
	s_delay_alu instid0(VALU_DEP_1) | instskip(SKIP_1) | instid1(VALU_DEP_1)
	v_and_b32_e32 v5, 0x7fffffff, v2
	s_mov_b32 s2, exec_lo
                                        ; implicit-def: $vgpr3
	v_cmpx_gt_u32_e32 0x47800000, v5
	s_xor_b32 s2, exec_lo, s2
	s_cbranch_execz .LBB241_646
; %bb.641:
	s_mov_b32 s21, exec_lo
                                        ; implicit-def: $vgpr3
	v_cmpx_lt_u32_e32 0x387fffff, v5
	s_xor_b32 s21, exec_lo, s21
; %bb.642:
	v_bfe_u32 v3, v2, 21, 1
	s_delay_alu instid0(VALU_DEP_1) | instskip(NEXT) | instid1(VALU_DEP_1)
	v_add3_u32 v3, v2, v3, 0x80fffff
	v_lshrrev_b32_e32 v3, 21, v3
; %bb.643:
	s_and_not1_saveexec_b32 s21, s21
; %bb.644:
	v_add_f32_e64 v3, 0x43000000, |v2|
; %bb.645:
	s_or_b32 exec_lo, exec_lo, s21
                                        ; implicit-def: $vgpr5
.LBB241_646:
	s_and_not1_saveexec_b32 s2, s2
; %bb.647:
	v_mov_b32_e32 v3, 0x7f
	v_cmp_lt_u32_e32 vcc_lo, 0x7f800000, v5
	s_delay_alu instid0(VALU_DEP_2)
	v_cndmask_b32_e32 v3, 0x7c, v3, vcc_lo
; %bb.648:
	s_or_b32 exec_lo, exec_lo, s2
	v_lshrrev_b32_e32 v2, 24, v2
	s_delay_alu instid0(VALU_DEP_1)
	v_and_or_b32 v2, 0x80, v2, v3
.LBB241_649:
	s_mov_b32 s2, -1
.LBB241_650:
	s_mov_b32 s21, 0
.LBB241_651:
	s_delay_alu instid0(SALU_CYCLE_1)
	s_and_b32 vcc_lo, exec_lo, s21
	s_cbranch_vccz .LBB241_717
; %bb.652:
	s_cmp_gt_i32 s1, 22
	s_cbranch_scc0 .LBB241_670
; %bb.653:
	s_cmp_lt_i32 s1, 24
	s_cbranch_scc1 .LBB241_673
; %bb.654:
	s_cmp_gt_i32 s1, 24
	s_cbranch_scc0 .LBB241_674
; %bb.655:
	global_load_u8 v3, v[0:1], off
	s_mov_b32 s2, 0
	s_mov_b32 s21, exec_lo
	s_wait_loadcnt 0x0
	v_cmpx_lt_i16_e32 0x7f, v3
	s_xor_b32 s21, exec_lo, s21
	s_cbranch_execz .LBB241_702
; %bb.656:
	s_mov_b32 s2, -1
	s_mov_b32 s23, exec_lo
	v_cmpx_eq_u16_e32 0x80, v3
; %bb.657:
	s_xor_b32 s2, exec_lo, -1
; %bb.658:
	s_or_b32 exec_lo, exec_lo, s23
	s_delay_alu instid0(SALU_CYCLE_1)
	s_and_b32 s2, s2, exec_lo
	s_or_saveexec_b32 s21, s21
	v_mov_b32_e32 v2, 0x7f800001
	s_xor_b32 exec_lo, exec_lo, s21
	s_cbranch_execnz .LBB241_703
.LBB241_659:
	s_or_b32 exec_lo, exec_lo, s21
	s_and_saveexec_b32 s21, s2
	s_cbranch_execz .LBB241_661
.LBB241_660:
	v_and_b32_e32 v2, 0xffff, v3
	s_delay_alu instid0(VALU_DEP_1) | instskip(SKIP_1) | instid1(VALU_DEP_2)
	v_dual_lshlrev_b32 v3, 24, v3 :: v_dual_bitop2_b32 v5, 3, v2 bitop3:0x40
	v_bfe_u32 v8, v2, 2, 5
	v_and_b32_e32 v3, 0x80000000, v3
	s_delay_alu instid0(VALU_DEP_3) | instskip(NEXT) | instid1(VALU_DEP_3)
	v_clz_i32_u32_e32 v6, v5
	v_cmp_eq_u32_e32 vcc_lo, 0, v8
	s_delay_alu instid0(VALU_DEP_2) | instskip(NEXT) | instid1(VALU_DEP_1)
	v_min_u32_e32 v6, 32, v6
	v_subrev_nc_u32_e32 v7, 29, v6
	v_sub_nc_u32_e32 v6, 30, v6
	s_delay_alu instid0(VALU_DEP_2) | instskip(NEXT) | instid1(VALU_DEP_2)
	v_lshlrev_b32_e32 v2, v7, v2
	v_cndmask_b32_e32 v6, v8, v6, vcc_lo
	s_delay_alu instid0(VALU_DEP_2) | instskip(NEXT) | instid1(VALU_DEP_1)
	v_and_b32_e32 v2, 3, v2
	v_cndmask_b32_e32 v2, v5, v2, vcc_lo
	s_delay_alu instid0(VALU_DEP_3) | instskip(NEXT) | instid1(VALU_DEP_2)
	v_lshl_add_u32 v5, v6, 23, 0x37800000
	v_lshlrev_b32_e32 v2, 21, v2
	s_delay_alu instid0(VALU_DEP_1)
	v_or3_b32 v2, v3, v5, v2
.LBB241_661:
	s_or_b32 exec_lo, exec_lo, s21
	s_delay_alu instid0(VALU_DEP_1) | instskip(SKIP_1) | instid1(VALU_DEP_1)
	v_and_b32_e32 v5, 0x7fffffff, v2
	s_mov_b32 s2, exec_lo
                                        ; implicit-def: $vgpr3
	v_cmpx_gt_u32_e32 0x47800000, v5
	s_xor_b32 s2, exec_lo, s2
	s_cbranch_execz .LBB241_667
; %bb.662:
	s_mov_b32 s21, exec_lo
                                        ; implicit-def: $vgpr3
	v_cmpx_lt_u32_e32 0x387fffff, v5
	s_xor_b32 s21, exec_lo, s21
; %bb.663:
	v_bfe_u32 v3, v2, 21, 1
	s_delay_alu instid0(VALU_DEP_1) | instskip(NEXT) | instid1(VALU_DEP_1)
	v_add3_u32 v3, v2, v3, 0x80fffff
	v_lshrrev_b32_e32 v3, 21, v3
; %bb.664:
	s_and_not1_saveexec_b32 s21, s21
; %bb.665:
	v_add_f32_e64 v3, 0x43000000, |v2|
; %bb.666:
	s_or_b32 exec_lo, exec_lo, s21
                                        ; implicit-def: $vgpr5
.LBB241_667:
	s_and_not1_saveexec_b32 s2, s2
; %bb.668:
	v_mov_b32_e32 v3, 0x7f
	v_cmp_lt_u32_e32 vcc_lo, 0x7f800000, v5
	s_delay_alu instid0(VALU_DEP_2)
	v_cndmask_b32_e32 v3, 0x7c, v3, vcc_lo
; %bb.669:
	s_or_b32 exec_lo, exec_lo, s2
	v_lshrrev_b32_e32 v2, 24, v2
	s_mov_b32 s2, 0
	s_delay_alu instid0(VALU_DEP_1)
	v_and_or_b32 v2, 0x80, v2, v3
	s_branch .LBB241_675
.LBB241_670:
	s_mov_b32 s21, -1
                                        ; implicit-def: $vgpr2
	s_branch .LBB241_689
.LBB241_671:
	s_or_saveexec_b32 s21, s21
	v_mov_b32_e32 v2, 0x7f800001
	s_xor_b32 exec_lo, exec_lo, s21
	s_cbranch_execz .LBB241_638
.LBB241_672:
	v_cmp_ne_u16_e32 vcc_lo, 0, v3
	v_mov_b32_e32 v2, 0
	s_and_not1_b32 s2, s2, exec_lo
	s_and_b32 s23, vcc_lo, exec_lo
	s_delay_alu instid0(SALU_CYCLE_1)
	s_or_b32 s2, s2, s23
	s_or_b32 exec_lo, exec_lo, s21
	s_and_saveexec_b32 s21, s2
	s_cbranch_execnz .LBB241_639
	s_branch .LBB241_640
.LBB241_673:
	s_mov_b32 s2, -1
                                        ; implicit-def: $vgpr2
	s_branch .LBB241_686
.LBB241_674:
	s_mov_b32 s2, -1
                                        ; implicit-def: $vgpr2
.LBB241_675:
	s_delay_alu instid0(SALU_CYCLE_1)
	s_and_b32 vcc_lo, exec_lo, s2
	s_cbranch_vccz .LBB241_685
; %bb.676:
	s_wait_loadcnt 0x0
	global_load_u8 v2, v[0:1], off
	s_mov_b32 s2, exec_lo
	s_wait_loadcnt 0x0
	v_lshlrev_b32_e32 v2, 24, v2
	s_delay_alu instid0(VALU_DEP_1) | instskip(NEXT) | instid1(VALU_DEP_1)
	v_and_b32_e32 v3, 0x7f000000, v2
	v_clz_i32_u32_e32 v5, v3
	v_cmp_ne_u32_e32 vcc_lo, 0, v3
	v_add_nc_u32_e32 v7, 0x1000000, v3
	s_delay_alu instid0(VALU_DEP_3) | instskip(NEXT) | instid1(VALU_DEP_1)
	v_min_u32_e32 v5, 32, v5
	v_sub_nc_u32_e64 v5, v5, 4 clamp
	s_delay_alu instid0(VALU_DEP_1) | instskip(NEXT) | instid1(VALU_DEP_1)
	v_lshlrev_b32_e32 v6, v5, v3
                                        ; implicit-def: $vgpr3
	v_dual_lshlrev_b32 v5, 23, v5 :: v_dual_lshrrev_b32 v6, 4, v6
	s_delay_alu instid0(VALU_DEP_1) | instskip(NEXT) | instid1(VALU_DEP_1)
	v_dual_sub_nc_u32 v5, v6, v5 :: v_dual_ashrrev_i32 v6, 8, v7
	v_add_nc_u32_e32 v5, 0x3c000000, v5
	s_delay_alu instid0(VALU_DEP_1) | instskip(NEXT) | instid1(VALU_DEP_1)
	v_and_or_b32 v5, 0x7f800000, v6, v5
	v_cndmask_b32_e32 v6, 0, v5, vcc_lo
	s_delay_alu instid0(VALU_DEP_1) | instskip(NEXT) | instid1(VALU_DEP_1)
	v_and_or_b32 v2, 0x80000000, v2, v6
	v_and_b32_e32 v5, 0x7fffffff, v2
	s_wait_xcnt 0x0
	s_delay_alu instid0(VALU_DEP_1)
	v_cmpx_gt_u32_e32 0x47800000, v5
	s_xor_b32 s2, exec_lo, s2
	s_cbranch_execz .LBB241_682
; %bb.677:
	s_mov_b32 s21, exec_lo
                                        ; implicit-def: $vgpr3
	v_cmpx_lt_u32_e32 0x387fffff, v5
	s_xor_b32 s21, exec_lo, s21
; %bb.678:
	v_bfe_u32 v3, v6, 21, 1
	s_delay_alu instid0(VALU_DEP_1) | instskip(NEXT) | instid1(VALU_DEP_1)
	v_add3_u32 v3, v2, v3, 0x80fffff
	v_lshrrev_b32_e32 v3, 21, v3
; %bb.679:
	s_and_not1_saveexec_b32 s21, s21
; %bb.680:
	v_add_f32_e64 v3, 0x43000000, |v2|
; %bb.681:
	s_or_b32 exec_lo, exec_lo, s21
                                        ; implicit-def: $vgpr5
.LBB241_682:
	s_and_not1_saveexec_b32 s2, s2
; %bb.683:
	v_mov_b32_e32 v3, 0x7f
	v_cmp_lt_u32_e32 vcc_lo, 0x7f800000, v5
	s_delay_alu instid0(VALU_DEP_2)
	v_cndmask_b32_e32 v3, 0x7c, v3, vcc_lo
; %bb.684:
	s_or_b32 exec_lo, exec_lo, s2
	v_lshrrev_b32_e32 v2, 24, v2
	s_delay_alu instid0(VALU_DEP_1)
	v_and_or_b32 v2, 0x80, v2, v3
.LBB241_685:
	s_mov_b32 s2, 0
.LBB241_686:
	s_delay_alu instid0(SALU_CYCLE_1)
	s_and_not1_b32 vcc_lo, exec_lo, s2
	s_cbranch_vccnz .LBB241_688
; %bb.687:
	s_wait_loadcnt 0x0
	global_load_u8 v2, v[0:1], off
.LBB241_688:
	s_mov_b32 s21, 0
	s_mov_b32 s2, -1
.LBB241_689:
	s_and_not1_b32 vcc_lo, exec_lo, s21
	s_cbranch_vccnz .LBB241_717
; %bb.690:
	s_cmp_gt_i32 s1, 14
	s_cbranch_scc0 .LBB241_701
; %bb.691:
	s_cmp_eq_u32 s1, 15
	s_cbranch_scc0 .LBB241_704
; %bb.692:
	s_wait_loadcnt 0x0
	global_load_u16 v2, v[0:1], off
	s_mov_b32 s2, exec_lo
                                        ; implicit-def: $vgpr3
	s_wait_loadcnt 0x0
	v_lshlrev_b32_e32 v5, 16, v2
	s_delay_alu instid0(VALU_DEP_1) | instskip(SKIP_1) | instid1(VALU_DEP_1)
	v_and_b32_e32 v6, 0x7fffffff, v5
	s_wait_xcnt 0x0
	v_cmpx_gt_u32_e32 0x47800000, v6
	s_xor_b32 s2, exec_lo, s2
	s_cbranch_execz .LBB241_698
; %bb.693:
	s_mov_b32 s20, exec_lo
                                        ; implicit-def: $vgpr3
	v_cmpx_lt_u32_e32 0x387fffff, v6
	s_xor_b32 s20, exec_lo, s20
; %bb.694:
	v_bfe_u32 v3, v2, 5, 1
	s_delay_alu instid0(VALU_DEP_1) | instskip(NEXT) | instid1(VALU_DEP_1)
	v_add3_u32 v3, v5, v3, 0x80fffff
                                        ; implicit-def: $vgpr5
	v_lshrrev_b32_e32 v3, 21, v3
; %bb.695:
	s_and_not1_saveexec_b32 s20, s20
; %bb.696:
	v_add_f32_e64 v3, 0x43000000, |v5|
; %bb.697:
	s_or_b32 exec_lo, exec_lo, s20
                                        ; implicit-def: $vgpr6
.LBB241_698:
	s_and_not1_saveexec_b32 s2, s2
; %bb.699:
	v_mov_b32_e32 v3, 0x7f
	v_cmp_lt_u32_e32 vcc_lo, 0x7f800000, v6
	s_delay_alu instid0(VALU_DEP_2)
	v_cndmask_b32_e32 v3, 0x7c, v3, vcc_lo
; %bb.700:
	s_or_b32 exec_lo, exec_lo, s2
	v_lshrrev_b32_e32 v2, 8, v2
	s_mov_b32 s2, -1
	s_mov_b32 s20, 0
	s_mov_b32 s21, 0
	s_delay_alu instid0(VALU_DEP_1)
	v_and_or_b32 v2, 0x80, v2, v3
	s_branch .LBB241_705
.LBB241_701:
	s_mov_b32 s21, -1
                                        ; implicit-def: $vgpr2
	s_branch .LBB241_705
.LBB241_702:
	s_or_saveexec_b32 s21, s21
	v_mov_b32_e32 v2, 0x7f800001
	s_xor_b32 exec_lo, exec_lo, s21
	s_cbranch_execz .LBB241_659
.LBB241_703:
	v_cmp_ne_u16_e32 vcc_lo, 0, v3
	v_mov_b32_e32 v2, 0
	s_and_not1_b32 s2, s2, exec_lo
	s_and_b32 s23, vcc_lo, exec_lo
	s_delay_alu instid0(SALU_CYCLE_1)
	s_or_b32 s2, s2, s23
	s_or_b32 exec_lo, exec_lo, s21
	s_and_saveexec_b32 s21, s2
	s_cbranch_execnz .LBB241_660
	s_branch .LBB241_661
.LBB241_704:
	s_mov_b32 s20, -1
                                        ; implicit-def: $vgpr2
	s_mov_b32 s21, 0
.LBB241_705:
	s_delay_alu instid0(SALU_CYCLE_1)
	s_and_b32 vcc_lo, exec_lo, s21
	s_cbranch_vccz .LBB241_717
; %bb.706:
	s_cmp_eq_u32 s1, 11
	s_cbranch_scc0 .LBB241_716
; %bb.707:
	s_wait_loadcnt 0x0
	global_load_u8 v2, v[0:1], off
	s_mov_b32 s2, exec_lo
	s_wait_loadcnt 0x0
	v_cmp_ne_u16_e32 vcc_lo, 0, v2
                                        ; implicit-def: $vgpr2
	v_cndmask_b32_e64 v3, 0, 1.0, vcc_lo
	s_wait_xcnt 0x0
	s_delay_alu instid0(VALU_DEP_1)
	v_cmpx_gt_u32_e32 0x47800000, v3
	s_xor_b32 s2, exec_lo, s2
	s_cbranch_execz .LBB241_713
; %bb.708:
	s_mov_b32 s20, exec_lo
                                        ; implicit-def: $vgpr2
	v_cmpx_lt_u32_e32 0x387fffff, v3
	s_xor_b32 s20, exec_lo, s20
; %bb.709:
	v_bfe_u32 v2, v3, 21, 1
	s_delay_alu instid0(VALU_DEP_1) | instskip(NEXT) | instid1(VALU_DEP_1)
	v_add3_u32 v2, v3, v2, 0x80fffff
                                        ; implicit-def: $vgpr3
	v_lshrrev_b32_e32 v2, 21, v2
; %bb.710:
	s_and_not1_saveexec_b32 s20, s20
; %bb.711:
	v_add_f32_e32 v2, 0x43000000, v3
; %bb.712:
	s_or_b32 exec_lo, exec_lo, s20
                                        ; implicit-def: $vgpr3
.LBB241_713:
	s_and_not1_saveexec_b32 s2, s2
; %bb.714:
	v_mov_b32_e32 v2, 0x7f
	v_cmp_lt_u32_e32 vcc_lo, 0x7f800000, v3
	s_delay_alu instid0(VALU_DEP_2)
	v_cndmask_b32_e32 v2, 0x7c, v2, vcc_lo
; %bb.715:
	s_or_b32 exec_lo, exec_lo, s2
	s_mov_b32 s2, -1
	s_mov_b32 s20, 0
	s_branch .LBB241_717
.LBB241_716:
	s_mov_b32 s20, -1
                                        ; implicit-def: $vgpr2
.LBB241_717:
	s_branch .LBB241_448
.LBB241_718:
	s_cmp_lt_i32 s1, 5
	s_cbranch_scc1 .LBB241_731
; %bb.719:
	s_cmp_lt_i32 s1, 8
	s_cbranch_scc1 .LBB241_732
; %bb.720:
	;; [unrolled: 3-line block ×3, first 2 shown]
	s_cmp_gt_i32 s1, 9
	s_cbranch_scc0 .LBB241_734
; %bb.722:
	s_wait_loadcnt 0x0
	global_load_b64 v[2:3], v[0:1], off
	s_mov_b32 s2, exec_lo
	s_wait_loadcnt 0x0
	v_cvt_f32_f64_e32 v2, v[2:3]
                                        ; implicit-def: $vgpr3
	s_delay_alu instid0(VALU_DEP_1) | instskip(SKIP_1) | instid1(VALU_DEP_1)
	v_and_b32_e32 v5, 0x7fffffff, v2
	s_wait_xcnt 0x0
	v_cmpx_gt_u32_e32 0x47800000, v5
	s_xor_b32 s2, exec_lo, s2
	s_cbranch_execz .LBB241_728
; %bb.723:
	s_mov_b32 s21, exec_lo
                                        ; implicit-def: $vgpr3
	v_cmpx_lt_u32_e32 0x387fffff, v5
	s_xor_b32 s21, exec_lo, s21
; %bb.724:
	v_bfe_u32 v3, v2, 21, 1
	s_delay_alu instid0(VALU_DEP_1) | instskip(NEXT) | instid1(VALU_DEP_1)
	v_add3_u32 v3, v2, v3, 0x80fffff
	v_lshrrev_b32_e32 v3, 21, v3
; %bb.725:
	s_and_not1_saveexec_b32 s21, s21
; %bb.726:
	v_add_f32_e64 v3, 0x43000000, |v2|
; %bb.727:
	s_or_b32 exec_lo, exec_lo, s21
                                        ; implicit-def: $vgpr5
.LBB241_728:
	s_and_not1_saveexec_b32 s2, s2
; %bb.729:
	v_mov_b32_e32 v3, 0x7f
	v_cmp_lt_u32_e32 vcc_lo, 0x7f800000, v5
	s_delay_alu instid0(VALU_DEP_2)
	v_cndmask_b32_e32 v3, 0x7c, v3, vcc_lo
; %bb.730:
	s_or_b32 exec_lo, exec_lo, s2
	v_lshrrev_b32_e32 v2, 24, v2
	s_mov_b32 s2, 0
	s_delay_alu instid0(VALU_DEP_1)
	v_and_or_b32 v2, 0x80, v2, v3
	s_branch .LBB241_735
.LBB241_731:
	s_mov_b32 s2, -1
                                        ; implicit-def: $vgpr2
	s_branch .LBB241_793
.LBB241_732:
	s_mov_b32 s2, -1
                                        ; implicit-def: $vgpr2
	s_branch .LBB241_757
.LBB241_733:
	s_mov_b32 s2, -1
                                        ; implicit-def: $vgpr2
	s_branch .LBB241_746
.LBB241_734:
	s_mov_b32 s2, -1
                                        ; implicit-def: $vgpr2
.LBB241_735:
	s_delay_alu instid0(SALU_CYCLE_1)
	s_and_b32 vcc_lo, exec_lo, s2
	s_cbranch_vccz .LBB241_745
; %bb.736:
	s_wait_loadcnt 0x0
	global_load_b32 v2, v[0:1], off
	s_mov_b32 s2, exec_lo
                                        ; implicit-def: $vgpr3
	s_wait_loadcnt 0x0
	v_and_b32_e32 v5, 0x7fffffff, v2
	s_wait_xcnt 0x0
	s_delay_alu instid0(VALU_DEP_1)
	v_cmpx_gt_u32_e32 0x47800000, v5
	s_xor_b32 s2, exec_lo, s2
	s_cbranch_execz .LBB241_742
; %bb.737:
	s_mov_b32 s21, exec_lo
                                        ; implicit-def: $vgpr3
	v_cmpx_lt_u32_e32 0x387fffff, v5
	s_xor_b32 s21, exec_lo, s21
; %bb.738:
	v_bfe_u32 v3, v2, 21, 1
	s_delay_alu instid0(VALU_DEP_1) | instskip(NEXT) | instid1(VALU_DEP_1)
	v_add3_u32 v3, v2, v3, 0x80fffff
	v_lshrrev_b32_e32 v3, 21, v3
; %bb.739:
	s_and_not1_saveexec_b32 s21, s21
; %bb.740:
	v_add_f32_e64 v3, 0x43000000, |v2|
; %bb.741:
	s_or_b32 exec_lo, exec_lo, s21
                                        ; implicit-def: $vgpr5
.LBB241_742:
	s_and_not1_saveexec_b32 s2, s2
; %bb.743:
	v_mov_b32_e32 v3, 0x7f
	v_cmp_lt_u32_e32 vcc_lo, 0x7f800000, v5
	s_delay_alu instid0(VALU_DEP_2)
	v_cndmask_b32_e32 v3, 0x7c, v3, vcc_lo
; %bb.744:
	s_or_b32 exec_lo, exec_lo, s2
	v_lshrrev_b32_e32 v2, 24, v2
	s_delay_alu instid0(VALU_DEP_1)
	v_and_or_b32 v2, 0x80, v2, v3
.LBB241_745:
	s_mov_b32 s2, 0
.LBB241_746:
	s_delay_alu instid0(SALU_CYCLE_1)
	s_and_not1_b32 vcc_lo, exec_lo, s2
	s_cbranch_vccnz .LBB241_756
; %bb.747:
	s_wait_loadcnt 0x0
	global_load_b32 v2, v[0:1], off
	s_mov_b32 s2, exec_lo
                                        ; implicit-def: $vgpr3
	s_wait_loadcnt 0x0
	v_cvt_f32_f16_e32 v2, v2
	s_delay_alu instid0(VALU_DEP_1) | instskip(SKIP_1) | instid1(VALU_DEP_1)
	v_and_b32_e32 v5, 0x7fffffff, v2
	s_wait_xcnt 0x0
	v_cmpx_gt_u32_e32 0x47800000, v5
	s_xor_b32 s2, exec_lo, s2
	s_cbranch_execz .LBB241_753
; %bb.748:
	s_mov_b32 s21, exec_lo
                                        ; implicit-def: $vgpr3
	v_cmpx_lt_u32_e32 0x387fffff, v5
	s_xor_b32 s21, exec_lo, s21
; %bb.749:
	v_bfe_u32 v3, v2, 21, 1
	s_delay_alu instid0(VALU_DEP_1) | instskip(NEXT) | instid1(VALU_DEP_1)
	v_add3_u32 v3, v2, v3, 0x80fffff
	v_lshrrev_b32_e32 v3, 21, v3
; %bb.750:
	s_and_not1_saveexec_b32 s21, s21
; %bb.751:
	v_add_f32_e64 v3, 0x43000000, |v2|
; %bb.752:
	s_or_b32 exec_lo, exec_lo, s21
                                        ; implicit-def: $vgpr5
.LBB241_753:
	s_and_not1_saveexec_b32 s2, s2
; %bb.754:
	v_mov_b32_e32 v3, 0x7f
	v_cmp_lt_u32_e32 vcc_lo, 0x7f800000, v5
	s_delay_alu instid0(VALU_DEP_2)
	v_cndmask_b32_e32 v3, 0x7c, v3, vcc_lo
; %bb.755:
	s_or_b32 exec_lo, exec_lo, s2
	v_lshrrev_b32_e32 v2, 24, v2
	s_delay_alu instid0(VALU_DEP_1)
	v_and_or_b32 v2, 0x80, v2, v3
.LBB241_756:
	s_mov_b32 s2, 0
.LBB241_757:
	s_delay_alu instid0(SALU_CYCLE_1)
	s_and_not1_b32 vcc_lo, exec_lo, s2
	s_cbranch_vccnz .LBB241_792
; %bb.758:
	s_cmp_lt_i32 s1, 6
	s_cbranch_scc1 .LBB241_769
; %bb.759:
	s_cmp_gt_i32 s1, 6
	s_cbranch_scc0 .LBB241_770
; %bb.760:
	s_wait_loadcnt 0x0
	global_load_b64 v[2:3], v[0:1], off
	s_mov_b32 s2, exec_lo
	s_wait_loadcnt 0x0
	v_cvt_f32_f64_e32 v2, v[2:3]
                                        ; implicit-def: $vgpr3
	s_delay_alu instid0(VALU_DEP_1) | instskip(SKIP_1) | instid1(VALU_DEP_1)
	v_and_b32_e32 v5, 0x7fffffff, v2
	s_wait_xcnt 0x0
	v_cmpx_gt_u32_e32 0x47800000, v5
	s_xor_b32 s2, exec_lo, s2
	s_cbranch_execz .LBB241_766
; %bb.761:
	s_mov_b32 s21, exec_lo
                                        ; implicit-def: $vgpr3
	v_cmpx_lt_u32_e32 0x387fffff, v5
	s_xor_b32 s21, exec_lo, s21
; %bb.762:
	v_bfe_u32 v3, v2, 21, 1
	s_delay_alu instid0(VALU_DEP_1) | instskip(NEXT) | instid1(VALU_DEP_1)
	v_add3_u32 v3, v2, v3, 0x80fffff
	v_lshrrev_b32_e32 v3, 21, v3
; %bb.763:
	s_and_not1_saveexec_b32 s21, s21
; %bb.764:
	v_add_f32_e64 v3, 0x43000000, |v2|
; %bb.765:
	s_or_b32 exec_lo, exec_lo, s21
                                        ; implicit-def: $vgpr5
.LBB241_766:
	s_and_not1_saveexec_b32 s2, s2
; %bb.767:
	v_mov_b32_e32 v3, 0x7f
	v_cmp_lt_u32_e32 vcc_lo, 0x7f800000, v5
	s_delay_alu instid0(VALU_DEP_2)
	v_cndmask_b32_e32 v3, 0x7c, v3, vcc_lo
; %bb.768:
	s_or_b32 exec_lo, exec_lo, s2
	v_lshrrev_b32_e32 v2, 24, v2
	s_mov_b32 s2, 0
	s_delay_alu instid0(VALU_DEP_1)
	v_and_or_b32 v2, 0x80, v2, v3
	s_branch .LBB241_771
.LBB241_769:
	s_mov_b32 s2, -1
                                        ; implicit-def: $vgpr2
	s_branch .LBB241_782
.LBB241_770:
	s_mov_b32 s2, -1
                                        ; implicit-def: $vgpr2
.LBB241_771:
	s_delay_alu instid0(SALU_CYCLE_1)
	s_and_b32 vcc_lo, exec_lo, s2
	s_cbranch_vccz .LBB241_781
; %bb.772:
	s_wait_loadcnt 0x0
	global_load_b32 v2, v[0:1], off
	s_mov_b32 s2, exec_lo
                                        ; implicit-def: $vgpr3
	s_wait_loadcnt 0x0
	v_and_b32_e32 v5, 0x7fffffff, v2
	s_wait_xcnt 0x0
	s_delay_alu instid0(VALU_DEP_1)
	v_cmpx_gt_u32_e32 0x47800000, v5
	s_xor_b32 s2, exec_lo, s2
	s_cbranch_execz .LBB241_778
; %bb.773:
	s_mov_b32 s21, exec_lo
                                        ; implicit-def: $vgpr3
	v_cmpx_lt_u32_e32 0x387fffff, v5
	s_xor_b32 s21, exec_lo, s21
; %bb.774:
	v_bfe_u32 v3, v2, 21, 1
	s_delay_alu instid0(VALU_DEP_1) | instskip(NEXT) | instid1(VALU_DEP_1)
	v_add3_u32 v3, v2, v3, 0x80fffff
	v_lshrrev_b32_e32 v3, 21, v3
; %bb.775:
	s_and_not1_saveexec_b32 s21, s21
; %bb.776:
	v_add_f32_e64 v3, 0x43000000, |v2|
; %bb.777:
	s_or_b32 exec_lo, exec_lo, s21
                                        ; implicit-def: $vgpr5
.LBB241_778:
	s_and_not1_saveexec_b32 s2, s2
; %bb.779:
	v_mov_b32_e32 v3, 0x7f
	v_cmp_lt_u32_e32 vcc_lo, 0x7f800000, v5
	s_delay_alu instid0(VALU_DEP_2)
	v_cndmask_b32_e32 v3, 0x7c, v3, vcc_lo
; %bb.780:
	s_or_b32 exec_lo, exec_lo, s2
	v_lshrrev_b32_e32 v2, 24, v2
	s_delay_alu instid0(VALU_DEP_1)
	v_and_or_b32 v2, 0x80, v2, v3
.LBB241_781:
	s_mov_b32 s2, 0
.LBB241_782:
	s_delay_alu instid0(SALU_CYCLE_1)
	s_and_not1_b32 vcc_lo, exec_lo, s2
	s_cbranch_vccnz .LBB241_792
; %bb.783:
	s_wait_loadcnt 0x0
	global_load_u16 v2, v[0:1], off
	s_mov_b32 s2, exec_lo
                                        ; implicit-def: $vgpr3
	s_wait_loadcnt 0x0
	v_cvt_f32_f16_e32 v2, v2
	s_delay_alu instid0(VALU_DEP_1) | instskip(SKIP_1) | instid1(VALU_DEP_1)
	v_and_b32_e32 v5, 0x7fffffff, v2
	s_wait_xcnt 0x0
	v_cmpx_gt_u32_e32 0x47800000, v5
	s_xor_b32 s2, exec_lo, s2
	s_cbranch_execz .LBB241_789
; %bb.784:
	s_mov_b32 s21, exec_lo
                                        ; implicit-def: $vgpr3
	v_cmpx_lt_u32_e32 0x387fffff, v5
	s_xor_b32 s21, exec_lo, s21
; %bb.785:
	v_bfe_u32 v3, v2, 21, 1
	s_delay_alu instid0(VALU_DEP_1) | instskip(NEXT) | instid1(VALU_DEP_1)
	v_add3_u32 v3, v2, v3, 0x80fffff
	v_lshrrev_b32_e32 v3, 21, v3
; %bb.786:
	s_and_not1_saveexec_b32 s21, s21
; %bb.787:
	v_add_f32_e64 v3, 0x43000000, |v2|
; %bb.788:
	s_or_b32 exec_lo, exec_lo, s21
                                        ; implicit-def: $vgpr5
.LBB241_789:
	s_and_not1_saveexec_b32 s2, s2
; %bb.790:
	v_mov_b32_e32 v3, 0x7f
	v_cmp_lt_u32_e32 vcc_lo, 0x7f800000, v5
	s_delay_alu instid0(VALU_DEP_2)
	v_cndmask_b32_e32 v3, 0x7c, v3, vcc_lo
; %bb.791:
	s_or_b32 exec_lo, exec_lo, s2
	v_lshrrev_b32_e32 v2, 24, v2
	s_delay_alu instid0(VALU_DEP_1)
	v_and_or_b32 v2, 0x80, v2, v3
.LBB241_792:
	s_mov_b32 s2, 0
.LBB241_793:
	s_delay_alu instid0(SALU_CYCLE_1)
	s_and_not1_b32 vcc_lo, exec_lo, s2
	s_cbranch_vccnz .LBB241_853
; %bb.794:
	s_cmp_lt_i32 s1, 2
	s_cbranch_scc1 .LBB241_806
; %bb.795:
	s_cmp_lt_i32 s1, 3
	s_cbranch_scc1 .LBB241_807
; %bb.796:
	s_cmp_gt_i32 s1, 3
	s_cbranch_scc0 .LBB241_808
; %bb.797:
	s_wait_loadcnt 0x0
	global_load_b64 v[2:3], v[0:1], off
	s_mov_b32 s2, exec_lo
	s_wait_loadcnt 0x0
	v_xor_b32_e32 v5, v2, v3
	v_cls_i32_e32 v6, v3
	s_delay_alu instid0(VALU_DEP_2) | instskip(NEXT) | instid1(VALU_DEP_1)
	v_ashrrev_i32_e32 v5, 31, v5
	v_add_nc_u32_e32 v5, 32, v5
	s_delay_alu instid0(VALU_DEP_1) | instskip(NEXT) | instid1(VALU_DEP_1)
	v_add_min_u32_e64 v5, v6, -1, v5
	v_lshlrev_b64_e32 v[2:3], v5, v[2:3]
	s_delay_alu instid0(VALU_DEP_1) | instskip(NEXT) | instid1(VALU_DEP_1)
	v_min_u32_e32 v2, 1, v2
	v_dual_sub_nc_u32 v3, 32, v5 :: v_dual_bitop2_b32 v2, v3, v2 bitop3:0x54
	s_delay_alu instid0(VALU_DEP_1) | instskip(NEXT) | instid1(VALU_DEP_1)
	v_cvt_f32_i32_e32 v2, v2
	v_ldexp_f32 v2, v2, v3
                                        ; implicit-def: $vgpr3
	s_delay_alu instid0(VALU_DEP_1) | instskip(SKIP_1) | instid1(VALU_DEP_1)
	v_and_b32_e32 v5, 0x7fffffff, v2
	s_wait_xcnt 0x0
	v_cmpx_gt_u32_e32 0x47800000, v5
	s_xor_b32 s2, exec_lo, s2
	s_cbranch_execz .LBB241_803
; %bb.798:
	s_mov_b32 s21, exec_lo
                                        ; implicit-def: $vgpr3
	v_cmpx_lt_u32_e32 0x387fffff, v5
	s_xor_b32 s21, exec_lo, s21
; %bb.799:
	v_bfe_u32 v3, v2, 21, 1
	s_delay_alu instid0(VALU_DEP_1) | instskip(NEXT) | instid1(VALU_DEP_1)
	v_add3_u32 v3, v2, v3, 0x80fffff
	v_lshrrev_b32_e32 v3, 21, v3
; %bb.800:
	s_and_not1_saveexec_b32 s21, s21
; %bb.801:
	v_add_f32_e64 v3, 0x43000000, |v2|
; %bb.802:
	s_or_b32 exec_lo, exec_lo, s21
                                        ; implicit-def: $vgpr5
.LBB241_803:
	s_and_not1_saveexec_b32 s2, s2
; %bb.804:
	v_mov_b32_e32 v3, 0x7f
	v_cmp_lt_u32_e32 vcc_lo, 0x7f800000, v5
	s_delay_alu instid0(VALU_DEP_2)
	v_cndmask_b32_e32 v3, 0x7c, v3, vcc_lo
; %bb.805:
	s_or_b32 exec_lo, exec_lo, s2
	v_lshrrev_b32_e32 v2, 24, v2
	s_mov_b32 s2, 0
	s_delay_alu instid0(VALU_DEP_1)
	v_and_or_b32 v2, 0x80, v2, v3
	s_branch .LBB241_809
.LBB241_806:
	s_mov_b32 s2, -1
                                        ; implicit-def: $vgpr2
	s_branch .LBB241_831
.LBB241_807:
	s_mov_b32 s2, -1
                                        ; implicit-def: $vgpr2
	s_branch .LBB241_820
.LBB241_808:
	s_mov_b32 s2, -1
                                        ; implicit-def: $vgpr2
.LBB241_809:
	s_delay_alu instid0(SALU_CYCLE_1)
	s_and_b32 vcc_lo, exec_lo, s2
	s_cbranch_vccz .LBB241_819
; %bb.810:
	s_wait_loadcnt 0x0
	global_load_b32 v2, v[0:1], off
	s_mov_b32 s2, exec_lo
                                        ; implicit-def: $vgpr3
	s_wait_loadcnt 0x0
	v_cvt_f32_i32_e32 v2, v2
	s_delay_alu instid0(VALU_DEP_1) | instskip(SKIP_1) | instid1(VALU_DEP_1)
	v_and_b32_e32 v5, 0x7fffffff, v2
	s_wait_xcnt 0x0
	v_cmpx_gt_u32_e32 0x47800000, v5
	s_xor_b32 s2, exec_lo, s2
	s_cbranch_execz .LBB241_816
; %bb.811:
	s_mov_b32 s21, exec_lo
                                        ; implicit-def: $vgpr3
	v_cmpx_lt_u32_e32 0x387fffff, v5
	s_xor_b32 s21, exec_lo, s21
; %bb.812:
	v_bfe_u32 v3, v2, 21, 1
	s_delay_alu instid0(VALU_DEP_1) | instskip(NEXT) | instid1(VALU_DEP_1)
	v_add3_u32 v3, v2, v3, 0x80fffff
	v_lshrrev_b32_e32 v3, 21, v3
; %bb.813:
	s_and_not1_saveexec_b32 s21, s21
; %bb.814:
	v_add_f32_e64 v3, 0x43000000, |v2|
; %bb.815:
	s_or_b32 exec_lo, exec_lo, s21
                                        ; implicit-def: $vgpr5
.LBB241_816:
	s_and_not1_saveexec_b32 s2, s2
; %bb.817:
	v_mov_b32_e32 v3, 0x7f
	v_cmp_lt_u32_e32 vcc_lo, 0x7f800000, v5
	s_delay_alu instid0(VALU_DEP_2)
	v_cndmask_b32_e32 v3, 0x7c, v3, vcc_lo
; %bb.818:
	s_or_b32 exec_lo, exec_lo, s2
	v_lshrrev_b32_e32 v2, 24, v2
	s_delay_alu instid0(VALU_DEP_1)
	v_and_or_b32 v2, 0x80, v2, v3
.LBB241_819:
	s_mov_b32 s2, 0
.LBB241_820:
	s_delay_alu instid0(SALU_CYCLE_1)
	s_and_not1_b32 vcc_lo, exec_lo, s2
	s_cbranch_vccnz .LBB241_830
; %bb.821:
	s_wait_loadcnt 0x0
	global_load_i16 v2, v[0:1], off
	s_mov_b32 s2, exec_lo
                                        ; implicit-def: $vgpr3
	s_wait_loadcnt 0x0
	v_cvt_f32_i32_e32 v2, v2
	s_delay_alu instid0(VALU_DEP_1) | instskip(SKIP_1) | instid1(VALU_DEP_1)
	v_and_b32_e32 v5, 0x7fffffff, v2
	s_wait_xcnt 0x0
	v_cmpx_gt_u32_e32 0x47800000, v5
	s_xor_b32 s2, exec_lo, s2
	s_cbranch_execz .LBB241_827
; %bb.822:
	s_mov_b32 s21, exec_lo
                                        ; implicit-def: $vgpr3
	v_cmpx_lt_u32_e32 0x387fffff, v5
	s_xor_b32 s21, exec_lo, s21
; %bb.823:
	v_bfe_u32 v3, v2, 21, 1
	s_delay_alu instid0(VALU_DEP_1) | instskip(NEXT) | instid1(VALU_DEP_1)
	v_add3_u32 v3, v2, v3, 0x80fffff
	v_lshrrev_b32_e32 v3, 21, v3
; %bb.824:
	s_and_not1_saveexec_b32 s21, s21
; %bb.825:
	v_add_f32_e64 v3, 0x43000000, |v2|
; %bb.826:
	s_or_b32 exec_lo, exec_lo, s21
                                        ; implicit-def: $vgpr5
.LBB241_827:
	s_and_not1_saveexec_b32 s2, s2
; %bb.828:
	v_mov_b32_e32 v3, 0x7f
	v_cmp_lt_u32_e32 vcc_lo, 0x7f800000, v5
	s_delay_alu instid0(VALU_DEP_2)
	v_cndmask_b32_e32 v3, 0x7c, v3, vcc_lo
; %bb.829:
	s_or_b32 exec_lo, exec_lo, s2
	v_lshrrev_b32_e32 v2, 24, v2
	s_delay_alu instid0(VALU_DEP_1)
	v_and_or_b32 v2, 0x80, v2, v3
.LBB241_830:
	s_mov_b32 s2, 0
.LBB241_831:
	s_delay_alu instid0(SALU_CYCLE_1)
	s_and_not1_b32 vcc_lo, exec_lo, s2
	s_cbranch_vccnz .LBB241_853
; %bb.832:
	s_cmp_gt_i32 s1, 0
	s_cbranch_scc0 .LBB241_842
; %bb.833:
	s_wait_loadcnt 0x0
	global_load_i8 v2, v[0:1], off
	s_mov_b32 s1, exec_lo
                                        ; implicit-def: $vgpr3
	s_wait_loadcnt 0x0
	v_cvt_f32_i32_e32 v2, v2
	s_delay_alu instid0(VALU_DEP_1) | instskip(SKIP_1) | instid1(VALU_DEP_1)
	v_and_b32_e32 v5, 0x7fffffff, v2
	s_wait_xcnt 0x0
	v_cmpx_gt_u32_e32 0x47800000, v5
	s_xor_b32 s1, exec_lo, s1
	s_cbranch_execz .LBB241_839
; %bb.834:
	s_mov_b32 s2, exec_lo
                                        ; implicit-def: $vgpr3
	v_cmpx_lt_u32_e32 0x387fffff, v5
	s_xor_b32 s2, exec_lo, s2
; %bb.835:
	v_bfe_u32 v3, v2, 21, 1
	s_delay_alu instid0(VALU_DEP_1) | instskip(NEXT) | instid1(VALU_DEP_1)
	v_add3_u32 v3, v2, v3, 0x80fffff
	v_lshrrev_b32_e32 v3, 21, v3
; %bb.836:
	s_and_not1_saveexec_b32 s2, s2
; %bb.837:
	v_add_f32_e64 v3, 0x43000000, |v2|
; %bb.838:
	s_or_b32 exec_lo, exec_lo, s2
                                        ; implicit-def: $vgpr5
.LBB241_839:
	s_and_not1_saveexec_b32 s1, s1
; %bb.840:
	v_mov_b32_e32 v3, 0x7f
	v_cmp_lt_u32_e32 vcc_lo, 0x7f800000, v5
	s_delay_alu instid0(VALU_DEP_2)
	v_cndmask_b32_e32 v3, 0x7c, v3, vcc_lo
; %bb.841:
	s_or_b32 exec_lo, exec_lo, s1
	v_lshrrev_b32_e32 v2, 24, v2
	s_mov_b32 s1, 0
	s_delay_alu instid0(VALU_DEP_1)
	v_and_or_b32 v2, 0x80, v2, v3
	s_branch .LBB241_843
.LBB241_842:
	s_mov_b32 s1, -1
                                        ; implicit-def: $vgpr2
.LBB241_843:
	s_delay_alu instid0(SALU_CYCLE_1)
	s_and_b32 vcc_lo, exec_lo, s1
	s_cbranch_vccz .LBB241_853
; %bb.844:
	global_load_u8 v0, v[0:1], off
	s_mov_b32 s1, exec_lo
                                        ; implicit-def: $vgpr2
	s_wait_loadcnt 0x0
	v_cvt_f32_ubyte0_e32 v0, v0
	s_delay_alu instid0(VALU_DEP_1)
	v_cmpx_gt_u32_e32 0x47800000, v0
	s_xor_b32 s1, exec_lo, s1
	s_cbranch_execz .LBB241_850
; %bb.845:
	s_mov_b32 s2, exec_lo
                                        ; implicit-def: $vgpr2
	v_cmpx_lt_u32_e32 0x387fffff, v0
	s_xor_b32 s2, exec_lo, s2
; %bb.846:
	v_bfe_u32 v1, v0, 21, 1
	s_delay_alu instid0(VALU_DEP_1) | instskip(NEXT) | instid1(VALU_DEP_1)
	v_add3_u32 v0, v0, v1, 0x80fffff
	v_lshrrev_b32_e32 v2, 21, v0
                                        ; implicit-def: $vgpr0
; %bb.847:
	s_and_not1_saveexec_b32 s2, s2
; %bb.848:
	v_add_f32_e32 v2, 0x43000000, v0
; %bb.849:
	s_or_b32 exec_lo, exec_lo, s2
                                        ; implicit-def: $vgpr0
.LBB241_850:
	s_and_not1_saveexec_b32 s1, s1
; %bb.851:
	v_mov_b32_e32 v1, 0x7f
	v_cmp_lt_u32_e32 vcc_lo, 0x7f800000, v0
	s_delay_alu instid0(VALU_DEP_2)
	v_cndmask_b32_e32 v2, 0x7c, v1, vcc_lo
; %bb.852:
	s_or_b32 exec_lo, exec_lo, s1
.LBB241_853:
	s_branch .LBB241_449
.LBB241_854:
	s_mov_b32 s1, 0
	s_mov_b32 s2, s17
.LBB241_855:
                                        ; implicit-def: $vgpr4
.LBB241_856:
	s_and_not1_b32 s21, s17, exec_lo
	s_and_b32 s2, s2, exec_lo
	s_and_not1_b32 s23, s18, exec_lo
	s_and_b32 s20, s20, exec_lo
	s_or_b32 s21, s21, s2
	s_or_b32 s20, s23, s20
	s_or_not1_b32 s24, s1, exec_lo
.LBB241_857:
	s_wait_xcnt 0x0
	s_or_b32 exec_lo, exec_lo, s22
	s_mov_b32 s1, 0
	s_mov_b32 s23, 0
	;; [unrolled: 1-line block ×3, first 2 shown]
                                        ; implicit-def: $vgpr0_vgpr1
                                        ; implicit-def: $vgpr2
	s_and_saveexec_b32 s22, s24
	s_cbranch_execz .LBB241_1442
; %bb.858:
	s_mov_b32 s27, -1
	s_mov_b32 s1, s20
	s_mov_b32 s2, s21
	s_mov_b32 s23, exec_lo
	v_cmpx_gt_i32_e64 s16, v4
	s_cbranch_execz .LBB241_1285
; %bb.859:
	v_mul_lo_u32 v0, v4, s9
	s_and_b32 s1, 0xffff, s13
	s_delay_alu instid0(SALU_CYCLE_1) | instskip(NEXT) | instid1(VALU_DEP_1)
	s_cmp_lt_i32 s1, 11
	v_ashrrev_i32_e32 v1, 31, v0
	s_delay_alu instid0(VALU_DEP_1)
	v_add_nc_u64_e32 v[0:1], s[6:7], v[0:1]
	s_cbranch_scc1 .LBB241_874
; %bb.860:
	s_cmp_gt_i32 s1, 25
	s_cbranch_scc0 .LBB241_875
; %bb.861:
	s_cmp_gt_i32 s1, 28
	s_cbranch_scc0 .LBB241_876
	;; [unrolled: 3-line block ×4, first 2 shown]
; %bb.864:
	s_cmp_eq_u32 s1, 46
	s_mov_b32 s25, 0
	s_cbranch_scc0 .LBB241_883
; %bb.865:
	s_wait_loadcnt 0x0
	global_load_b32 v2, v[0:1], off
	s_mov_b32 s2, exec_lo
                                        ; implicit-def: $vgpr3
	s_wait_loadcnt 0x0
	v_lshlrev_b32_e32 v2, 16, v2
	s_delay_alu instid0(VALU_DEP_1) | instskip(SKIP_1) | instid1(VALU_DEP_1)
	v_and_b32_e32 v5, 0x7fffffff, v2
	s_wait_xcnt 0x0
	v_cmpx_gt_u32_e32 0x47800000, v5
	s_xor_b32 s2, exec_lo, s2
	s_cbranch_execz .LBB241_871
; %bb.866:
	s_mov_b32 s24, exec_lo
                                        ; implicit-def: $vgpr3
	v_cmpx_lt_u32_e32 0x387fffff, v5
	s_xor_b32 s24, exec_lo, s24
; %bb.867:
	v_bfe_u32 v3, v2, 21, 1
	s_delay_alu instid0(VALU_DEP_1) | instskip(NEXT) | instid1(VALU_DEP_1)
	v_add3_u32 v3, v2, v3, 0x80fffff
	v_lshrrev_b32_e32 v3, 21, v3
; %bb.868:
	s_and_not1_saveexec_b32 s24, s24
; %bb.869:
	v_add_f32_e64 v3, 0x43000000, |v2|
; %bb.870:
	s_or_b32 exec_lo, exec_lo, s24
                                        ; implicit-def: $vgpr5
.LBB241_871:
	s_and_not1_saveexec_b32 s2, s2
; %bb.872:
	v_mov_b32_e32 v3, 0x7f
	v_cmp_lt_u32_e32 vcc_lo, 0x7f800000, v5
	s_delay_alu instid0(VALU_DEP_2)
	v_cndmask_b32_e32 v3, 0x7c, v3, vcc_lo
; %bb.873:
	s_or_b32 exec_lo, exec_lo, s2
	v_lshrrev_b32_e32 v2, 24, v2
	s_mov_b32 s2, -1
	s_mov_b32 s24, 0
	s_delay_alu instid0(VALU_DEP_1)
	v_and_or_b32 v2, 0x80, v2, v3
	s_branch .LBB241_885
.LBB241_874:
	s_mov_b32 s25, -1
	s_mov_b32 s2, 0
	s_mov_b32 s24, s20
                                        ; implicit-def: $vgpr2
	s_branch .LBB241_1021
.LBB241_875:
	s_mov_b32 s25, -1
	s_mov_b32 s2, 0
	s_mov_b32 s24, s20
                                        ; implicit-def: $vgpr2
	s_branch .LBB241_954
.LBB241_876:
	s_mov_b32 s25, -1
	s_mov_b32 s2, 0
	s_mov_b32 s24, s20
                                        ; implicit-def: $vgpr2
	s_branch .LBB241_911
.LBB241_877:
	s_mov_b32 s25, -1
	s_mov_b32 s2, 0
	s_mov_b32 s24, s20
                                        ; implicit-def: $vgpr2
	s_branch .LBB241_898
.LBB241_878:
	s_and_not1_saveexec_b32 s26, s26
	s_cbranch_execz .LBB241_503
.LBB241_879:
	v_add_f32_e32 v2, 0x46000000, v3
	s_and_not1_b32 s25, s25, exec_lo
	s_delay_alu instid0(VALU_DEP_1) | instskip(NEXT) | instid1(VALU_DEP_1)
	v_and_b32_e32 v2, 0xff, v2
	v_cmp_ne_u32_e32 vcc_lo, 0, v2
	s_and_b32 s27, vcc_lo, exec_lo
	s_delay_alu instid0(SALU_CYCLE_1)
	s_or_b32 s25, s25, s27
	s_or_b32 exec_lo, exec_lo, s26
	v_mov_b32_e32 v5, 0
	s_and_saveexec_b32 s26, s25
	s_cbranch_execnz .LBB241_504
	s_branch .LBB241_505
.LBB241_880:
	s_mov_b32 s25, -1
	s_mov_b32 s2, 0
	s_mov_b32 s24, s20
	s_branch .LBB241_884
.LBB241_881:
	s_and_not1_saveexec_b32 s26, s26
	s_cbranch_execz .LBB241_516
.LBB241_882:
	v_add_f32_e32 v2, 0x42800000, v3
	s_and_not1_b32 s25, s25, exec_lo
	s_delay_alu instid0(VALU_DEP_1) | instskip(NEXT) | instid1(VALU_DEP_1)
	v_and_b32_e32 v2, 0xff, v2
	v_cmp_ne_u32_e32 vcc_lo, 0, v2
	s_and_b32 s27, vcc_lo, exec_lo
	s_delay_alu instid0(SALU_CYCLE_1)
	s_or_b32 s25, s25, s27
	s_or_b32 exec_lo, exec_lo, s26
	v_mov_b32_e32 v5, 0
	s_and_saveexec_b32 s26, s25
	s_cbranch_execnz .LBB241_517
	s_branch .LBB241_518
.LBB241_883:
	s_mov_b32 s24, -1
	s_mov_b32 s2, 0
.LBB241_884:
                                        ; implicit-def: $vgpr2
.LBB241_885:
	s_and_b32 vcc_lo, exec_lo, s25
	s_cbranch_vccz .LBB241_897
; %bb.886:
	s_cmp_eq_u32 s1, 44
	s_cbranch_scc0 .LBB241_896
; %bb.887:
	s_wait_loadcnt 0x0
	global_load_u8 v2, v[0:1], off
	s_mov_b32 s2, exec_lo
	s_wait_loadcnt 0x0
	v_lshlrev_b32_e32 v3, 23, v2
	v_cmp_ne_u32_e32 vcc_lo, 0xff, v2
	s_delay_alu instid0(VALU_DEP_2) | instskip(SKIP_1) | instid1(VALU_DEP_2)
	v_cndmask_b32_e32 v3, 0x7f800001, v3, vcc_lo
	v_cmp_ne_u32_e32 vcc_lo, 0, v2
                                        ; implicit-def: $vgpr2
	v_cndmask_b32_e32 v3, 0x400000, v3, vcc_lo
	s_wait_xcnt 0x0
	s_delay_alu instid0(VALU_DEP_1)
	v_cmpx_gt_u32_e32 0x47800000, v3
	s_xor_b32 s2, exec_lo, s2
	s_cbranch_execz .LBB241_893
; %bb.888:
	s_mov_b32 s24, exec_lo
                                        ; implicit-def: $vgpr2
	v_cmpx_lt_u32_e32 0x387fffff, v3
	s_xor_b32 s24, exec_lo, s24
; %bb.889:
	v_bfe_u32 v2, v3, 21, 1
	s_delay_alu instid0(VALU_DEP_1) | instskip(NEXT) | instid1(VALU_DEP_1)
	v_add3_u32 v2, v3, v2, 0x80fffff
                                        ; implicit-def: $vgpr3
	v_lshrrev_b32_e32 v2, 21, v2
; %bb.890:
	s_and_not1_saveexec_b32 s24, s24
; %bb.891:
	v_add_f32_e32 v2, 0x43000000, v3
; %bb.892:
	s_or_b32 exec_lo, exec_lo, s24
                                        ; implicit-def: $vgpr3
.LBB241_893:
	s_and_not1_saveexec_b32 s2, s2
; %bb.894:
	v_mov_b32_e32 v2, 0x7f
	v_cmp_lt_u32_e32 vcc_lo, 0x7f800000, v3
	s_delay_alu instid0(VALU_DEP_2)
	v_cndmask_b32_e32 v2, 0x7c, v2, vcc_lo
; %bb.895:
	s_or_b32 exec_lo, exec_lo, s2
	s_mov_b32 s2, -1
	s_mov_b32 s24, 0
	s_branch .LBB241_897
.LBB241_896:
	s_mov_b32 s24, -1
                                        ; implicit-def: $vgpr2
.LBB241_897:
	s_mov_b32 s25, 0
.LBB241_898:
	s_delay_alu instid0(SALU_CYCLE_1)
	s_and_b32 vcc_lo, exec_lo, s25
	s_cbranch_vccz .LBB241_910
; %bb.899:
	s_cmp_eq_u32 s1, 29
	s_cbranch_scc0 .LBB241_909
; %bb.900:
	s_wait_loadcnt 0x0
	global_load_b64 v[2:3], v[0:1], off
	s_mov_b32 s2, exec_lo
	s_wait_loadcnt 0x0
	v_clz_i32_u32_e32 v5, v3
	s_delay_alu instid0(VALU_DEP_1) | instskip(NEXT) | instid1(VALU_DEP_1)
	v_min_u32_e32 v5, 32, v5
	v_lshlrev_b64_e32 v[2:3], v5, v[2:3]
	s_delay_alu instid0(VALU_DEP_1) | instskip(NEXT) | instid1(VALU_DEP_1)
	v_min_u32_e32 v2, 1, v2
	v_dual_sub_nc_u32 v3, 32, v5 :: v_dual_bitop2_b32 v2, v3, v2 bitop3:0x54
	s_delay_alu instid0(VALU_DEP_1) | instskip(NEXT) | instid1(VALU_DEP_1)
	v_cvt_f32_u32_e32 v2, v2
	v_ldexp_f32 v3, v2, v3
                                        ; implicit-def: $vgpr2
	s_wait_xcnt 0x0
	s_delay_alu instid0(VALU_DEP_1)
	v_cmpx_gt_u32_e32 0x47800000, v3
	s_xor_b32 s2, exec_lo, s2
	s_cbranch_execz .LBB241_906
; %bb.901:
	s_mov_b32 s24, exec_lo
                                        ; implicit-def: $vgpr2
	v_cmpx_lt_u32_e32 0x387fffff, v3
	s_xor_b32 s24, exec_lo, s24
; %bb.902:
	v_bfe_u32 v2, v3, 21, 1
	s_delay_alu instid0(VALU_DEP_1) | instskip(NEXT) | instid1(VALU_DEP_1)
	v_add3_u32 v2, v3, v2, 0x80fffff
                                        ; implicit-def: $vgpr3
	v_lshrrev_b32_e32 v2, 21, v2
; %bb.903:
	s_and_not1_saveexec_b32 s24, s24
; %bb.904:
	v_add_f32_e32 v2, 0x43000000, v3
; %bb.905:
	s_or_b32 exec_lo, exec_lo, s24
                                        ; implicit-def: $vgpr3
.LBB241_906:
	s_and_not1_saveexec_b32 s2, s2
; %bb.907:
	v_mov_b32_e32 v2, 0x7f
	v_cmp_lt_u32_e32 vcc_lo, 0x7f800000, v3
	s_delay_alu instid0(VALU_DEP_2)
	v_cndmask_b32_e32 v2, 0x7c, v2, vcc_lo
; %bb.908:
	s_or_b32 exec_lo, exec_lo, s2
	s_mov_b32 s2, -1
	s_mov_b32 s24, 0
	s_branch .LBB241_910
.LBB241_909:
	s_mov_b32 s24, -1
                                        ; implicit-def: $vgpr2
.LBB241_910:
	s_mov_b32 s25, 0
.LBB241_911:
	s_delay_alu instid0(SALU_CYCLE_1)
	s_and_b32 vcc_lo, exec_lo, s25
	s_cbranch_vccz .LBB241_953
; %bb.912:
	s_cmp_lt_i32 s1, 27
	s_cbranch_scc1 .LBB241_923
; %bb.913:
	s_cmp_gt_i32 s1, 27
	s_cbranch_scc0 .LBB241_924
; %bb.914:
	s_wait_loadcnt 0x0
	global_load_b32 v2, v[0:1], off
	s_mov_b32 s2, exec_lo
	s_wait_loadcnt 0x0
	v_cvt_f32_u32_e32 v3, v2
                                        ; implicit-def: $vgpr2
	s_wait_xcnt 0x0
	s_delay_alu instid0(VALU_DEP_1)
	v_cmpx_gt_u32_e32 0x47800000, v3
	s_xor_b32 s2, exec_lo, s2
	s_cbranch_execz .LBB241_920
; %bb.915:
	s_mov_b32 s25, exec_lo
                                        ; implicit-def: $vgpr2
	v_cmpx_lt_u32_e32 0x387fffff, v3
	s_xor_b32 s25, exec_lo, s25
; %bb.916:
	v_bfe_u32 v2, v3, 21, 1
	s_delay_alu instid0(VALU_DEP_1) | instskip(NEXT) | instid1(VALU_DEP_1)
	v_add3_u32 v2, v3, v2, 0x80fffff
                                        ; implicit-def: $vgpr3
	v_lshrrev_b32_e32 v2, 21, v2
; %bb.917:
	s_and_not1_saveexec_b32 s25, s25
; %bb.918:
	v_add_f32_e32 v2, 0x43000000, v3
; %bb.919:
	s_or_b32 exec_lo, exec_lo, s25
                                        ; implicit-def: $vgpr3
.LBB241_920:
	s_and_not1_saveexec_b32 s2, s2
; %bb.921:
	v_mov_b32_e32 v2, 0x7f
	v_cmp_lt_u32_e32 vcc_lo, 0x7f800000, v3
	s_delay_alu instid0(VALU_DEP_2)
	v_cndmask_b32_e32 v2, 0x7c, v2, vcc_lo
; %bb.922:
	s_or_b32 exec_lo, exec_lo, s2
	s_mov_b32 s2, 0
	s_branch .LBB241_925
.LBB241_923:
	s_mov_b32 s2, -1
                                        ; implicit-def: $vgpr2
	s_branch .LBB241_936
.LBB241_924:
	s_mov_b32 s2, -1
                                        ; implicit-def: $vgpr2
.LBB241_925:
	s_delay_alu instid0(SALU_CYCLE_1)
	s_and_b32 vcc_lo, exec_lo, s2
	s_cbranch_vccz .LBB241_935
; %bb.926:
	s_wait_loadcnt 0x0
	global_load_u16 v2, v[0:1], off
	s_mov_b32 s2, exec_lo
	s_wait_loadcnt 0x0
	v_cvt_f32_u32_e32 v3, v2
                                        ; implicit-def: $vgpr2
	s_wait_xcnt 0x0
	s_delay_alu instid0(VALU_DEP_1)
	v_cmpx_gt_u32_e32 0x47800000, v3
	s_xor_b32 s2, exec_lo, s2
	s_cbranch_execz .LBB241_932
; %bb.927:
	s_mov_b32 s25, exec_lo
                                        ; implicit-def: $vgpr2
	v_cmpx_lt_u32_e32 0x387fffff, v3
	s_xor_b32 s25, exec_lo, s25
; %bb.928:
	v_bfe_u32 v2, v3, 21, 1
	s_delay_alu instid0(VALU_DEP_1) | instskip(NEXT) | instid1(VALU_DEP_1)
	v_add3_u32 v2, v3, v2, 0x80fffff
                                        ; implicit-def: $vgpr3
	v_lshrrev_b32_e32 v2, 21, v2
; %bb.929:
	s_and_not1_saveexec_b32 s25, s25
; %bb.930:
	v_add_f32_e32 v2, 0x43000000, v3
; %bb.931:
	s_or_b32 exec_lo, exec_lo, s25
                                        ; implicit-def: $vgpr3
.LBB241_932:
	s_and_not1_saveexec_b32 s2, s2
; %bb.933:
	v_mov_b32_e32 v2, 0x7f
	v_cmp_lt_u32_e32 vcc_lo, 0x7f800000, v3
	s_delay_alu instid0(VALU_DEP_2)
	v_cndmask_b32_e32 v2, 0x7c, v2, vcc_lo
; %bb.934:
	s_or_b32 exec_lo, exec_lo, s2
.LBB241_935:
	s_mov_b32 s2, 0
.LBB241_936:
	s_delay_alu instid0(SALU_CYCLE_1)
	s_and_not1_b32 vcc_lo, exec_lo, s2
	s_cbranch_vccnz .LBB241_952
; %bb.937:
	global_load_u8 v3, v[0:1], off
	s_mov_b32 s2, 0
	s_mov_b32 s25, exec_lo
	s_wait_loadcnt 0x0
	v_cmpx_lt_i16_e32 0x7f, v3
	s_xor_b32 s25, exec_lo, s25
	s_cbranch_execz .LBB241_974
; %bb.938:
	s_mov_b32 s2, -1
	s_mov_b32 s26, exec_lo
	v_cmpx_eq_u16_e32 0x80, v3
; %bb.939:
	s_xor_b32 s2, exec_lo, -1
; %bb.940:
	s_or_b32 exec_lo, exec_lo, s26
	s_delay_alu instid0(SALU_CYCLE_1)
	s_and_b32 s2, s2, exec_lo
	s_or_saveexec_b32 s25, s25
	v_mov_b32_e32 v2, 0x7f800001
	s_xor_b32 exec_lo, exec_lo, s25
	s_cbranch_execnz .LBB241_975
.LBB241_941:
	s_or_b32 exec_lo, exec_lo, s25
	s_and_saveexec_b32 s25, s2
	s_cbranch_execz .LBB241_943
.LBB241_942:
	v_and_b32_e32 v2, 0xffff, v3
	s_delay_alu instid0(VALU_DEP_1) | instskip(SKIP_1) | instid1(VALU_DEP_2)
	v_dual_lshlrev_b32 v3, 24, v3 :: v_dual_bitop2_b32 v5, 7, v2 bitop3:0x40
	v_bfe_u32 v8, v2, 3, 4
	v_and_b32_e32 v3, 0x80000000, v3
	s_delay_alu instid0(VALU_DEP_3) | instskip(NEXT) | instid1(VALU_DEP_3)
	v_clz_i32_u32_e32 v6, v5
	v_cmp_eq_u32_e32 vcc_lo, 0, v8
	s_delay_alu instid0(VALU_DEP_2) | instskip(NEXT) | instid1(VALU_DEP_1)
	v_min_u32_e32 v6, 32, v6
	v_subrev_nc_u32_e32 v7, 28, v6
	v_sub_nc_u32_e32 v6, 29, v6
	s_delay_alu instid0(VALU_DEP_2) | instskip(NEXT) | instid1(VALU_DEP_2)
	v_lshlrev_b32_e32 v2, v7, v2
	v_cndmask_b32_e32 v6, v8, v6, vcc_lo
	s_delay_alu instid0(VALU_DEP_2) | instskip(NEXT) | instid1(VALU_DEP_1)
	v_and_b32_e32 v2, 7, v2
	v_cndmask_b32_e32 v2, v5, v2, vcc_lo
	s_delay_alu instid0(VALU_DEP_3) | instskip(NEXT) | instid1(VALU_DEP_2)
	v_lshl_add_u32 v5, v6, 23, 0x3b800000
	v_lshlrev_b32_e32 v2, 20, v2
	s_delay_alu instid0(VALU_DEP_1)
	v_or3_b32 v2, v3, v5, v2
.LBB241_943:
	s_or_b32 exec_lo, exec_lo, s25
	s_delay_alu instid0(VALU_DEP_1) | instskip(SKIP_1) | instid1(VALU_DEP_1)
	v_and_b32_e32 v5, 0x7fffffff, v2
	s_mov_b32 s2, exec_lo
                                        ; implicit-def: $vgpr3
	v_cmpx_gt_u32_e32 0x47800000, v5
	s_xor_b32 s2, exec_lo, s2
	s_cbranch_execz .LBB241_949
; %bb.944:
	s_mov_b32 s25, exec_lo
                                        ; implicit-def: $vgpr3
	v_cmpx_lt_u32_e32 0x387fffff, v5
	s_xor_b32 s25, exec_lo, s25
; %bb.945:
	v_bfe_u32 v3, v2, 21, 1
	s_delay_alu instid0(VALU_DEP_1) | instskip(NEXT) | instid1(VALU_DEP_1)
	v_add3_u32 v3, v2, v3, 0x80fffff
	v_lshrrev_b32_e32 v3, 21, v3
; %bb.946:
	s_and_not1_saveexec_b32 s25, s25
; %bb.947:
	v_add_f32_e64 v3, 0x43000000, |v2|
; %bb.948:
	s_or_b32 exec_lo, exec_lo, s25
                                        ; implicit-def: $vgpr5
.LBB241_949:
	s_and_not1_saveexec_b32 s2, s2
; %bb.950:
	v_mov_b32_e32 v3, 0x7f
	v_cmp_lt_u32_e32 vcc_lo, 0x7f800000, v5
	s_delay_alu instid0(VALU_DEP_2)
	v_cndmask_b32_e32 v3, 0x7c, v3, vcc_lo
; %bb.951:
	s_or_b32 exec_lo, exec_lo, s2
	v_lshrrev_b32_e32 v2, 24, v2
	s_delay_alu instid0(VALU_DEP_1)
	v_and_or_b32 v2, 0x80, v2, v3
.LBB241_952:
	s_mov_b32 s2, -1
.LBB241_953:
	s_mov_b32 s25, 0
.LBB241_954:
	s_delay_alu instid0(SALU_CYCLE_1)
	s_and_b32 vcc_lo, exec_lo, s25
	s_cbranch_vccz .LBB241_1020
; %bb.955:
	s_cmp_gt_i32 s1, 22
	s_cbranch_scc0 .LBB241_973
; %bb.956:
	s_cmp_lt_i32 s1, 24
	s_cbranch_scc1 .LBB241_976
; %bb.957:
	s_cmp_gt_i32 s1, 24
	s_cbranch_scc0 .LBB241_977
; %bb.958:
	global_load_u8 v3, v[0:1], off
	s_mov_b32 s2, 0
	s_mov_b32 s25, exec_lo
	s_wait_loadcnt 0x0
	v_cmpx_lt_i16_e32 0x7f, v3
	s_xor_b32 s25, exec_lo, s25
	s_cbranch_execz .LBB241_1005
; %bb.959:
	s_mov_b32 s2, -1
	s_mov_b32 s26, exec_lo
	v_cmpx_eq_u16_e32 0x80, v3
; %bb.960:
	s_xor_b32 s2, exec_lo, -1
; %bb.961:
	s_or_b32 exec_lo, exec_lo, s26
	s_delay_alu instid0(SALU_CYCLE_1)
	s_and_b32 s2, s2, exec_lo
	s_or_saveexec_b32 s25, s25
	v_mov_b32_e32 v2, 0x7f800001
	s_xor_b32 exec_lo, exec_lo, s25
	s_cbranch_execnz .LBB241_1006
.LBB241_962:
	s_or_b32 exec_lo, exec_lo, s25
	s_and_saveexec_b32 s25, s2
	s_cbranch_execz .LBB241_964
.LBB241_963:
	v_and_b32_e32 v2, 0xffff, v3
	s_delay_alu instid0(VALU_DEP_1) | instskip(SKIP_1) | instid1(VALU_DEP_2)
	v_dual_lshlrev_b32 v3, 24, v3 :: v_dual_bitop2_b32 v5, 3, v2 bitop3:0x40
	v_bfe_u32 v8, v2, 2, 5
	v_and_b32_e32 v3, 0x80000000, v3
	s_delay_alu instid0(VALU_DEP_3) | instskip(NEXT) | instid1(VALU_DEP_3)
	v_clz_i32_u32_e32 v6, v5
	v_cmp_eq_u32_e32 vcc_lo, 0, v8
	s_delay_alu instid0(VALU_DEP_2) | instskip(NEXT) | instid1(VALU_DEP_1)
	v_min_u32_e32 v6, 32, v6
	v_subrev_nc_u32_e32 v7, 29, v6
	v_sub_nc_u32_e32 v6, 30, v6
	s_delay_alu instid0(VALU_DEP_2) | instskip(NEXT) | instid1(VALU_DEP_2)
	v_lshlrev_b32_e32 v2, v7, v2
	v_cndmask_b32_e32 v6, v8, v6, vcc_lo
	s_delay_alu instid0(VALU_DEP_2) | instskip(NEXT) | instid1(VALU_DEP_1)
	v_and_b32_e32 v2, 3, v2
	v_cndmask_b32_e32 v2, v5, v2, vcc_lo
	s_delay_alu instid0(VALU_DEP_3) | instskip(NEXT) | instid1(VALU_DEP_2)
	v_lshl_add_u32 v5, v6, 23, 0x37800000
	v_lshlrev_b32_e32 v2, 21, v2
	s_delay_alu instid0(VALU_DEP_1)
	v_or3_b32 v2, v3, v5, v2
.LBB241_964:
	s_or_b32 exec_lo, exec_lo, s25
	s_delay_alu instid0(VALU_DEP_1) | instskip(SKIP_1) | instid1(VALU_DEP_1)
	v_and_b32_e32 v5, 0x7fffffff, v2
	s_mov_b32 s2, exec_lo
                                        ; implicit-def: $vgpr3
	v_cmpx_gt_u32_e32 0x47800000, v5
	s_xor_b32 s2, exec_lo, s2
	s_cbranch_execz .LBB241_970
; %bb.965:
	s_mov_b32 s25, exec_lo
                                        ; implicit-def: $vgpr3
	v_cmpx_lt_u32_e32 0x387fffff, v5
	s_xor_b32 s25, exec_lo, s25
; %bb.966:
	v_bfe_u32 v3, v2, 21, 1
	s_delay_alu instid0(VALU_DEP_1) | instskip(NEXT) | instid1(VALU_DEP_1)
	v_add3_u32 v3, v2, v3, 0x80fffff
	v_lshrrev_b32_e32 v3, 21, v3
; %bb.967:
	s_and_not1_saveexec_b32 s25, s25
; %bb.968:
	v_add_f32_e64 v3, 0x43000000, |v2|
; %bb.969:
	s_or_b32 exec_lo, exec_lo, s25
                                        ; implicit-def: $vgpr5
.LBB241_970:
	s_and_not1_saveexec_b32 s2, s2
; %bb.971:
	v_mov_b32_e32 v3, 0x7f
	v_cmp_lt_u32_e32 vcc_lo, 0x7f800000, v5
	s_delay_alu instid0(VALU_DEP_2)
	v_cndmask_b32_e32 v3, 0x7c, v3, vcc_lo
; %bb.972:
	s_or_b32 exec_lo, exec_lo, s2
	v_lshrrev_b32_e32 v2, 24, v2
	s_mov_b32 s2, 0
	s_delay_alu instid0(VALU_DEP_1)
	v_and_or_b32 v2, 0x80, v2, v3
	s_branch .LBB241_978
.LBB241_973:
	s_mov_b32 s25, -1
                                        ; implicit-def: $vgpr2
	s_branch .LBB241_992
.LBB241_974:
	s_or_saveexec_b32 s25, s25
	v_mov_b32_e32 v2, 0x7f800001
	s_xor_b32 exec_lo, exec_lo, s25
	s_cbranch_execz .LBB241_941
.LBB241_975:
	v_cmp_ne_u16_e32 vcc_lo, 0, v3
	v_mov_b32_e32 v2, 0
	s_and_not1_b32 s2, s2, exec_lo
	s_and_b32 s26, vcc_lo, exec_lo
	s_delay_alu instid0(SALU_CYCLE_1)
	s_or_b32 s2, s2, s26
	s_or_b32 exec_lo, exec_lo, s25
	s_and_saveexec_b32 s25, s2
	s_cbranch_execnz .LBB241_942
	s_branch .LBB241_943
.LBB241_976:
	s_mov_b32 s2, -1
                                        ; implicit-def: $vgpr2
	s_branch .LBB241_989
.LBB241_977:
	s_mov_b32 s2, -1
                                        ; implicit-def: $vgpr2
.LBB241_978:
	s_delay_alu instid0(SALU_CYCLE_1)
	s_and_b32 vcc_lo, exec_lo, s2
	s_cbranch_vccz .LBB241_988
; %bb.979:
	s_wait_loadcnt 0x0
	global_load_u8 v2, v[0:1], off
	s_mov_b32 s2, exec_lo
	s_wait_loadcnt 0x0
	v_lshlrev_b32_e32 v2, 24, v2
	s_delay_alu instid0(VALU_DEP_1) | instskip(NEXT) | instid1(VALU_DEP_1)
	v_and_b32_e32 v3, 0x7f000000, v2
	v_clz_i32_u32_e32 v5, v3
	v_cmp_ne_u32_e32 vcc_lo, 0, v3
	v_add_nc_u32_e32 v7, 0x1000000, v3
	s_delay_alu instid0(VALU_DEP_3) | instskip(NEXT) | instid1(VALU_DEP_1)
	v_min_u32_e32 v5, 32, v5
	v_sub_nc_u32_e64 v5, v5, 4 clamp
	s_delay_alu instid0(VALU_DEP_1) | instskip(NEXT) | instid1(VALU_DEP_1)
	v_lshlrev_b32_e32 v6, v5, v3
                                        ; implicit-def: $vgpr3
	v_dual_lshlrev_b32 v5, 23, v5 :: v_dual_lshrrev_b32 v6, 4, v6
	s_delay_alu instid0(VALU_DEP_1) | instskip(NEXT) | instid1(VALU_DEP_1)
	v_dual_sub_nc_u32 v5, v6, v5 :: v_dual_ashrrev_i32 v6, 8, v7
	v_add_nc_u32_e32 v5, 0x3c000000, v5
	s_delay_alu instid0(VALU_DEP_1) | instskip(NEXT) | instid1(VALU_DEP_1)
	v_and_or_b32 v5, 0x7f800000, v6, v5
	v_cndmask_b32_e32 v6, 0, v5, vcc_lo
	s_delay_alu instid0(VALU_DEP_1) | instskip(NEXT) | instid1(VALU_DEP_1)
	v_and_or_b32 v2, 0x80000000, v2, v6
	v_and_b32_e32 v5, 0x7fffffff, v2
	s_wait_xcnt 0x0
	s_delay_alu instid0(VALU_DEP_1)
	v_cmpx_gt_u32_e32 0x47800000, v5
	s_xor_b32 s2, exec_lo, s2
	s_cbranch_execz .LBB241_985
; %bb.980:
	s_mov_b32 s25, exec_lo
                                        ; implicit-def: $vgpr3
	v_cmpx_lt_u32_e32 0x387fffff, v5
	s_xor_b32 s25, exec_lo, s25
; %bb.981:
	v_bfe_u32 v3, v6, 21, 1
	s_delay_alu instid0(VALU_DEP_1) | instskip(NEXT) | instid1(VALU_DEP_1)
	v_add3_u32 v3, v2, v3, 0x80fffff
	v_lshrrev_b32_e32 v3, 21, v3
; %bb.982:
	s_and_not1_saveexec_b32 s25, s25
; %bb.983:
	v_add_f32_e64 v3, 0x43000000, |v2|
; %bb.984:
	s_or_b32 exec_lo, exec_lo, s25
                                        ; implicit-def: $vgpr5
.LBB241_985:
	s_and_not1_saveexec_b32 s2, s2
; %bb.986:
	v_mov_b32_e32 v3, 0x7f
	v_cmp_lt_u32_e32 vcc_lo, 0x7f800000, v5
	s_delay_alu instid0(VALU_DEP_2)
	v_cndmask_b32_e32 v3, 0x7c, v3, vcc_lo
; %bb.987:
	s_or_b32 exec_lo, exec_lo, s2
	v_lshrrev_b32_e32 v2, 24, v2
	s_delay_alu instid0(VALU_DEP_1)
	v_and_or_b32 v2, 0x80, v2, v3
.LBB241_988:
	s_mov_b32 s2, 0
.LBB241_989:
	s_delay_alu instid0(SALU_CYCLE_1)
	s_and_not1_b32 vcc_lo, exec_lo, s2
	s_cbranch_vccnz .LBB241_991
; %bb.990:
	s_wait_loadcnt 0x0
	global_load_u8 v2, v[0:1], off
.LBB241_991:
	s_mov_b32 s25, 0
	s_mov_b32 s2, -1
.LBB241_992:
	s_and_not1_b32 vcc_lo, exec_lo, s25
	s_cbranch_vccnz .LBB241_1020
; %bb.993:
	s_cmp_gt_i32 s1, 14
	s_cbranch_scc0 .LBB241_1004
; %bb.994:
	s_cmp_eq_u32 s1, 15
	s_cbranch_scc0 .LBB241_1007
; %bb.995:
	s_wait_loadcnt 0x0
	global_load_u16 v2, v[0:1], off
	s_mov_b32 s2, exec_lo
                                        ; implicit-def: $vgpr3
	s_wait_loadcnt 0x0
	v_lshlrev_b32_e32 v5, 16, v2
	s_delay_alu instid0(VALU_DEP_1) | instskip(SKIP_1) | instid1(VALU_DEP_1)
	v_and_b32_e32 v6, 0x7fffffff, v5
	s_wait_xcnt 0x0
	v_cmpx_gt_u32_e32 0x47800000, v6
	s_xor_b32 s2, exec_lo, s2
	s_cbranch_execz .LBB241_1001
; %bb.996:
	s_mov_b32 s24, exec_lo
                                        ; implicit-def: $vgpr3
	v_cmpx_lt_u32_e32 0x387fffff, v6
	s_xor_b32 s24, exec_lo, s24
; %bb.997:
	v_bfe_u32 v3, v2, 5, 1
	s_delay_alu instid0(VALU_DEP_1) | instskip(NEXT) | instid1(VALU_DEP_1)
	v_add3_u32 v3, v5, v3, 0x80fffff
                                        ; implicit-def: $vgpr5
	v_lshrrev_b32_e32 v3, 21, v3
; %bb.998:
	s_and_not1_saveexec_b32 s24, s24
; %bb.999:
	v_add_f32_e64 v3, 0x43000000, |v5|
; %bb.1000:
	s_or_b32 exec_lo, exec_lo, s24
                                        ; implicit-def: $vgpr6
.LBB241_1001:
	s_and_not1_saveexec_b32 s2, s2
; %bb.1002:
	v_mov_b32_e32 v3, 0x7f
	v_cmp_lt_u32_e32 vcc_lo, 0x7f800000, v6
	s_delay_alu instid0(VALU_DEP_2)
	v_cndmask_b32_e32 v3, 0x7c, v3, vcc_lo
; %bb.1003:
	s_or_b32 exec_lo, exec_lo, s2
	v_lshrrev_b32_e32 v2, 8, v2
	s_mov_b32 s2, -1
	s_mov_b32 s24, 0
	s_mov_b32 s25, 0
	s_delay_alu instid0(VALU_DEP_1)
	v_and_or_b32 v2, 0x80, v2, v3
	s_branch .LBB241_1008
.LBB241_1004:
	s_mov_b32 s25, -1
                                        ; implicit-def: $vgpr2
	s_branch .LBB241_1008
.LBB241_1005:
	s_or_saveexec_b32 s25, s25
	v_mov_b32_e32 v2, 0x7f800001
	s_xor_b32 exec_lo, exec_lo, s25
	s_cbranch_execz .LBB241_962
.LBB241_1006:
	v_cmp_ne_u16_e32 vcc_lo, 0, v3
	v_mov_b32_e32 v2, 0
	s_and_not1_b32 s2, s2, exec_lo
	s_and_b32 s26, vcc_lo, exec_lo
	s_delay_alu instid0(SALU_CYCLE_1)
	s_or_b32 s2, s2, s26
	s_or_b32 exec_lo, exec_lo, s25
	s_and_saveexec_b32 s25, s2
	s_cbranch_execnz .LBB241_963
	s_branch .LBB241_964
.LBB241_1007:
	s_mov_b32 s24, -1
                                        ; implicit-def: $vgpr2
	s_mov_b32 s25, 0
.LBB241_1008:
	s_delay_alu instid0(SALU_CYCLE_1)
	s_and_b32 vcc_lo, exec_lo, s25
	s_cbranch_vccz .LBB241_1020
; %bb.1009:
	s_cmp_eq_u32 s1, 11
	s_cbranch_scc0 .LBB241_1019
; %bb.1010:
	s_wait_loadcnt 0x0
	global_load_u8 v2, v[0:1], off
	s_mov_b32 s2, exec_lo
	s_wait_loadcnt 0x0
	v_cmp_ne_u16_e32 vcc_lo, 0, v2
                                        ; implicit-def: $vgpr2
	v_cndmask_b32_e64 v3, 0, 1.0, vcc_lo
	s_wait_xcnt 0x0
	s_delay_alu instid0(VALU_DEP_1)
	v_cmpx_gt_u32_e32 0x47800000, v3
	s_xor_b32 s2, exec_lo, s2
	s_cbranch_execz .LBB241_1016
; %bb.1011:
	s_mov_b32 s24, exec_lo
                                        ; implicit-def: $vgpr2
	v_cmpx_lt_u32_e32 0x387fffff, v3
	s_xor_b32 s24, exec_lo, s24
; %bb.1012:
	v_bfe_u32 v2, v3, 21, 1
	s_delay_alu instid0(VALU_DEP_1) | instskip(NEXT) | instid1(VALU_DEP_1)
	v_add3_u32 v2, v3, v2, 0x80fffff
                                        ; implicit-def: $vgpr3
	v_lshrrev_b32_e32 v2, 21, v2
; %bb.1013:
	s_and_not1_saveexec_b32 s24, s24
; %bb.1014:
	v_add_f32_e32 v2, 0x43000000, v3
; %bb.1015:
	s_or_b32 exec_lo, exec_lo, s24
                                        ; implicit-def: $vgpr3
.LBB241_1016:
	s_and_not1_saveexec_b32 s2, s2
; %bb.1017:
	v_mov_b32_e32 v2, 0x7f
	v_cmp_lt_u32_e32 vcc_lo, 0x7f800000, v3
	s_delay_alu instid0(VALU_DEP_2)
	v_cndmask_b32_e32 v2, 0x7c, v2, vcc_lo
; %bb.1018:
	s_or_b32 exec_lo, exec_lo, s2
	s_mov_b32 s2, -1
	s_mov_b32 s24, 0
	s_branch .LBB241_1020
.LBB241_1019:
	s_mov_b32 s24, -1
                                        ; implicit-def: $vgpr2
.LBB241_1020:
	s_mov_b32 s25, 0
.LBB241_1021:
	s_delay_alu instid0(SALU_CYCLE_1)
	s_and_b32 vcc_lo, exec_lo, s25
	s_cbranch_vccz .LBB241_1158
; %bb.1022:
	s_cmp_lt_i32 s1, 5
	s_cbranch_scc1 .LBB241_1035
; %bb.1023:
	s_cmp_lt_i32 s1, 8
	s_cbranch_scc1 .LBB241_1036
	;; [unrolled: 3-line block ×3, first 2 shown]
; %bb.1025:
	s_cmp_gt_i32 s1, 9
	s_cbranch_scc0 .LBB241_1038
; %bb.1026:
	s_wait_loadcnt 0x0
	global_load_b64 v[2:3], v[0:1], off
	s_mov_b32 s2, exec_lo
	s_wait_loadcnt 0x0
	v_cvt_f32_f64_e32 v2, v[2:3]
                                        ; implicit-def: $vgpr3
	s_delay_alu instid0(VALU_DEP_1) | instskip(SKIP_1) | instid1(VALU_DEP_1)
	v_and_b32_e32 v5, 0x7fffffff, v2
	s_wait_xcnt 0x0
	v_cmpx_gt_u32_e32 0x47800000, v5
	s_xor_b32 s2, exec_lo, s2
	s_cbranch_execz .LBB241_1032
; %bb.1027:
	s_mov_b32 s25, exec_lo
                                        ; implicit-def: $vgpr3
	v_cmpx_lt_u32_e32 0x387fffff, v5
	s_xor_b32 s25, exec_lo, s25
; %bb.1028:
	v_bfe_u32 v3, v2, 21, 1
	s_delay_alu instid0(VALU_DEP_1) | instskip(NEXT) | instid1(VALU_DEP_1)
	v_add3_u32 v3, v2, v3, 0x80fffff
	v_lshrrev_b32_e32 v3, 21, v3
; %bb.1029:
	s_and_not1_saveexec_b32 s25, s25
; %bb.1030:
	v_add_f32_e64 v3, 0x43000000, |v2|
; %bb.1031:
	s_or_b32 exec_lo, exec_lo, s25
                                        ; implicit-def: $vgpr5
.LBB241_1032:
	s_and_not1_saveexec_b32 s2, s2
; %bb.1033:
	v_mov_b32_e32 v3, 0x7f
	v_cmp_lt_u32_e32 vcc_lo, 0x7f800000, v5
	s_delay_alu instid0(VALU_DEP_2)
	v_cndmask_b32_e32 v3, 0x7c, v3, vcc_lo
; %bb.1034:
	s_or_b32 exec_lo, exec_lo, s2
	v_lshrrev_b32_e32 v2, 24, v2
	s_mov_b32 s2, 0
	s_delay_alu instid0(VALU_DEP_1)
	v_and_or_b32 v2, 0x80, v2, v3
	s_branch .LBB241_1039
.LBB241_1035:
	s_mov_b32 s2, -1
                                        ; implicit-def: $vgpr2
	s_branch .LBB241_1097
.LBB241_1036:
	s_mov_b32 s2, -1
                                        ; implicit-def: $vgpr2
	s_branch .LBB241_1061
.LBB241_1037:
	s_mov_b32 s2, -1
                                        ; implicit-def: $vgpr2
	s_branch .LBB241_1050
.LBB241_1038:
	s_mov_b32 s2, -1
                                        ; implicit-def: $vgpr2
.LBB241_1039:
	s_delay_alu instid0(SALU_CYCLE_1)
	s_and_b32 vcc_lo, exec_lo, s2
	s_cbranch_vccz .LBB241_1049
; %bb.1040:
	s_wait_loadcnt 0x0
	global_load_b32 v2, v[0:1], off
	s_mov_b32 s2, exec_lo
                                        ; implicit-def: $vgpr3
	s_wait_loadcnt 0x0
	v_and_b32_e32 v5, 0x7fffffff, v2
	s_wait_xcnt 0x0
	s_delay_alu instid0(VALU_DEP_1)
	v_cmpx_gt_u32_e32 0x47800000, v5
	s_xor_b32 s2, exec_lo, s2
	s_cbranch_execz .LBB241_1046
; %bb.1041:
	s_mov_b32 s25, exec_lo
                                        ; implicit-def: $vgpr3
	v_cmpx_lt_u32_e32 0x387fffff, v5
	s_xor_b32 s25, exec_lo, s25
; %bb.1042:
	v_bfe_u32 v3, v2, 21, 1
	s_delay_alu instid0(VALU_DEP_1) | instskip(NEXT) | instid1(VALU_DEP_1)
	v_add3_u32 v3, v2, v3, 0x80fffff
	v_lshrrev_b32_e32 v3, 21, v3
; %bb.1043:
	s_and_not1_saveexec_b32 s25, s25
; %bb.1044:
	v_add_f32_e64 v3, 0x43000000, |v2|
; %bb.1045:
	s_or_b32 exec_lo, exec_lo, s25
                                        ; implicit-def: $vgpr5
.LBB241_1046:
	s_and_not1_saveexec_b32 s2, s2
; %bb.1047:
	v_mov_b32_e32 v3, 0x7f
	v_cmp_lt_u32_e32 vcc_lo, 0x7f800000, v5
	s_delay_alu instid0(VALU_DEP_2)
	v_cndmask_b32_e32 v3, 0x7c, v3, vcc_lo
; %bb.1048:
	s_or_b32 exec_lo, exec_lo, s2
	v_lshrrev_b32_e32 v2, 24, v2
	s_delay_alu instid0(VALU_DEP_1)
	v_and_or_b32 v2, 0x80, v2, v3
.LBB241_1049:
	s_mov_b32 s2, 0
.LBB241_1050:
	s_delay_alu instid0(SALU_CYCLE_1)
	s_and_not1_b32 vcc_lo, exec_lo, s2
	s_cbranch_vccnz .LBB241_1060
; %bb.1051:
	s_wait_loadcnt 0x0
	global_load_b32 v2, v[0:1], off
	s_mov_b32 s2, exec_lo
                                        ; implicit-def: $vgpr3
	s_wait_loadcnt 0x0
	v_cvt_f32_f16_e32 v2, v2
	s_delay_alu instid0(VALU_DEP_1) | instskip(SKIP_1) | instid1(VALU_DEP_1)
	v_and_b32_e32 v5, 0x7fffffff, v2
	s_wait_xcnt 0x0
	v_cmpx_gt_u32_e32 0x47800000, v5
	s_xor_b32 s2, exec_lo, s2
	s_cbranch_execz .LBB241_1057
; %bb.1052:
	s_mov_b32 s25, exec_lo
                                        ; implicit-def: $vgpr3
	v_cmpx_lt_u32_e32 0x387fffff, v5
	s_xor_b32 s25, exec_lo, s25
; %bb.1053:
	v_bfe_u32 v3, v2, 21, 1
	s_delay_alu instid0(VALU_DEP_1) | instskip(NEXT) | instid1(VALU_DEP_1)
	v_add3_u32 v3, v2, v3, 0x80fffff
	v_lshrrev_b32_e32 v3, 21, v3
; %bb.1054:
	s_and_not1_saveexec_b32 s25, s25
; %bb.1055:
	v_add_f32_e64 v3, 0x43000000, |v2|
; %bb.1056:
	s_or_b32 exec_lo, exec_lo, s25
                                        ; implicit-def: $vgpr5
.LBB241_1057:
	s_and_not1_saveexec_b32 s2, s2
; %bb.1058:
	v_mov_b32_e32 v3, 0x7f
	v_cmp_lt_u32_e32 vcc_lo, 0x7f800000, v5
	s_delay_alu instid0(VALU_DEP_2)
	v_cndmask_b32_e32 v3, 0x7c, v3, vcc_lo
; %bb.1059:
	s_or_b32 exec_lo, exec_lo, s2
	v_lshrrev_b32_e32 v2, 24, v2
	s_delay_alu instid0(VALU_DEP_1)
	v_and_or_b32 v2, 0x80, v2, v3
.LBB241_1060:
	s_mov_b32 s2, 0
.LBB241_1061:
	s_delay_alu instid0(SALU_CYCLE_1)
	s_and_not1_b32 vcc_lo, exec_lo, s2
	s_cbranch_vccnz .LBB241_1096
; %bb.1062:
	s_cmp_lt_i32 s1, 6
	s_cbranch_scc1 .LBB241_1073
; %bb.1063:
	s_cmp_gt_i32 s1, 6
	s_cbranch_scc0 .LBB241_1074
; %bb.1064:
	s_wait_loadcnt 0x0
	global_load_b64 v[2:3], v[0:1], off
	s_mov_b32 s2, exec_lo
	s_wait_loadcnt 0x0
	v_cvt_f32_f64_e32 v2, v[2:3]
                                        ; implicit-def: $vgpr3
	s_delay_alu instid0(VALU_DEP_1) | instskip(SKIP_1) | instid1(VALU_DEP_1)
	v_and_b32_e32 v5, 0x7fffffff, v2
	s_wait_xcnt 0x0
	v_cmpx_gt_u32_e32 0x47800000, v5
	s_xor_b32 s2, exec_lo, s2
	s_cbranch_execz .LBB241_1070
; %bb.1065:
	s_mov_b32 s25, exec_lo
                                        ; implicit-def: $vgpr3
	v_cmpx_lt_u32_e32 0x387fffff, v5
	s_xor_b32 s25, exec_lo, s25
; %bb.1066:
	v_bfe_u32 v3, v2, 21, 1
	s_delay_alu instid0(VALU_DEP_1) | instskip(NEXT) | instid1(VALU_DEP_1)
	v_add3_u32 v3, v2, v3, 0x80fffff
	v_lshrrev_b32_e32 v3, 21, v3
; %bb.1067:
	s_and_not1_saveexec_b32 s25, s25
; %bb.1068:
	v_add_f32_e64 v3, 0x43000000, |v2|
; %bb.1069:
	s_or_b32 exec_lo, exec_lo, s25
                                        ; implicit-def: $vgpr5
.LBB241_1070:
	s_and_not1_saveexec_b32 s2, s2
; %bb.1071:
	v_mov_b32_e32 v3, 0x7f
	v_cmp_lt_u32_e32 vcc_lo, 0x7f800000, v5
	s_delay_alu instid0(VALU_DEP_2)
	v_cndmask_b32_e32 v3, 0x7c, v3, vcc_lo
; %bb.1072:
	s_or_b32 exec_lo, exec_lo, s2
	v_lshrrev_b32_e32 v2, 24, v2
	s_mov_b32 s2, 0
	s_delay_alu instid0(VALU_DEP_1)
	v_and_or_b32 v2, 0x80, v2, v3
	s_branch .LBB241_1075
.LBB241_1073:
	s_mov_b32 s2, -1
                                        ; implicit-def: $vgpr2
	s_branch .LBB241_1086
.LBB241_1074:
	s_mov_b32 s2, -1
                                        ; implicit-def: $vgpr2
.LBB241_1075:
	s_delay_alu instid0(SALU_CYCLE_1)
	s_and_b32 vcc_lo, exec_lo, s2
	s_cbranch_vccz .LBB241_1085
; %bb.1076:
	s_wait_loadcnt 0x0
	global_load_b32 v2, v[0:1], off
	s_mov_b32 s2, exec_lo
                                        ; implicit-def: $vgpr3
	s_wait_loadcnt 0x0
	v_and_b32_e32 v5, 0x7fffffff, v2
	s_wait_xcnt 0x0
	s_delay_alu instid0(VALU_DEP_1)
	v_cmpx_gt_u32_e32 0x47800000, v5
	s_xor_b32 s2, exec_lo, s2
	s_cbranch_execz .LBB241_1082
; %bb.1077:
	s_mov_b32 s25, exec_lo
                                        ; implicit-def: $vgpr3
	v_cmpx_lt_u32_e32 0x387fffff, v5
	s_xor_b32 s25, exec_lo, s25
; %bb.1078:
	v_bfe_u32 v3, v2, 21, 1
	s_delay_alu instid0(VALU_DEP_1) | instskip(NEXT) | instid1(VALU_DEP_1)
	v_add3_u32 v3, v2, v3, 0x80fffff
	v_lshrrev_b32_e32 v3, 21, v3
; %bb.1079:
	s_and_not1_saveexec_b32 s25, s25
; %bb.1080:
	v_add_f32_e64 v3, 0x43000000, |v2|
; %bb.1081:
	s_or_b32 exec_lo, exec_lo, s25
                                        ; implicit-def: $vgpr5
.LBB241_1082:
	s_and_not1_saveexec_b32 s2, s2
; %bb.1083:
	v_mov_b32_e32 v3, 0x7f
	v_cmp_lt_u32_e32 vcc_lo, 0x7f800000, v5
	s_delay_alu instid0(VALU_DEP_2)
	v_cndmask_b32_e32 v3, 0x7c, v3, vcc_lo
; %bb.1084:
	s_or_b32 exec_lo, exec_lo, s2
	v_lshrrev_b32_e32 v2, 24, v2
	s_delay_alu instid0(VALU_DEP_1)
	v_and_or_b32 v2, 0x80, v2, v3
.LBB241_1085:
	s_mov_b32 s2, 0
.LBB241_1086:
	s_delay_alu instid0(SALU_CYCLE_1)
	s_and_not1_b32 vcc_lo, exec_lo, s2
	s_cbranch_vccnz .LBB241_1096
; %bb.1087:
	s_wait_loadcnt 0x0
	global_load_u16 v2, v[0:1], off
	s_mov_b32 s2, exec_lo
                                        ; implicit-def: $vgpr3
	s_wait_loadcnt 0x0
	v_cvt_f32_f16_e32 v2, v2
	s_delay_alu instid0(VALU_DEP_1) | instskip(SKIP_1) | instid1(VALU_DEP_1)
	v_and_b32_e32 v5, 0x7fffffff, v2
	s_wait_xcnt 0x0
	v_cmpx_gt_u32_e32 0x47800000, v5
	s_xor_b32 s2, exec_lo, s2
	s_cbranch_execz .LBB241_1093
; %bb.1088:
	s_mov_b32 s25, exec_lo
                                        ; implicit-def: $vgpr3
	v_cmpx_lt_u32_e32 0x387fffff, v5
	s_xor_b32 s25, exec_lo, s25
; %bb.1089:
	v_bfe_u32 v3, v2, 21, 1
	s_delay_alu instid0(VALU_DEP_1) | instskip(NEXT) | instid1(VALU_DEP_1)
	v_add3_u32 v3, v2, v3, 0x80fffff
	v_lshrrev_b32_e32 v3, 21, v3
; %bb.1090:
	s_and_not1_saveexec_b32 s25, s25
; %bb.1091:
	v_add_f32_e64 v3, 0x43000000, |v2|
; %bb.1092:
	s_or_b32 exec_lo, exec_lo, s25
                                        ; implicit-def: $vgpr5
.LBB241_1093:
	s_and_not1_saveexec_b32 s2, s2
; %bb.1094:
	v_mov_b32_e32 v3, 0x7f
	v_cmp_lt_u32_e32 vcc_lo, 0x7f800000, v5
	s_delay_alu instid0(VALU_DEP_2)
	v_cndmask_b32_e32 v3, 0x7c, v3, vcc_lo
; %bb.1095:
	s_or_b32 exec_lo, exec_lo, s2
	v_lshrrev_b32_e32 v2, 24, v2
	s_delay_alu instid0(VALU_DEP_1)
	v_and_or_b32 v2, 0x80, v2, v3
.LBB241_1096:
	s_mov_b32 s2, 0
.LBB241_1097:
	s_delay_alu instid0(SALU_CYCLE_1)
	s_and_not1_b32 vcc_lo, exec_lo, s2
	s_cbranch_vccnz .LBB241_1157
; %bb.1098:
	s_cmp_lt_i32 s1, 2
	s_cbranch_scc1 .LBB241_1110
; %bb.1099:
	s_cmp_lt_i32 s1, 3
	s_cbranch_scc1 .LBB241_1111
; %bb.1100:
	s_cmp_gt_i32 s1, 3
	s_cbranch_scc0 .LBB241_1112
; %bb.1101:
	s_wait_loadcnt 0x0
	global_load_b64 v[2:3], v[0:1], off
	s_mov_b32 s2, exec_lo
	s_wait_loadcnt 0x0
	v_xor_b32_e32 v5, v2, v3
	v_cls_i32_e32 v6, v3
	s_delay_alu instid0(VALU_DEP_2) | instskip(NEXT) | instid1(VALU_DEP_1)
	v_ashrrev_i32_e32 v5, 31, v5
	v_add_nc_u32_e32 v5, 32, v5
	s_delay_alu instid0(VALU_DEP_1) | instskip(NEXT) | instid1(VALU_DEP_1)
	v_add_min_u32_e64 v5, v6, -1, v5
	v_lshlrev_b64_e32 v[2:3], v5, v[2:3]
	s_delay_alu instid0(VALU_DEP_1) | instskip(NEXT) | instid1(VALU_DEP_1)
	v_min_u32_e32 v2, 1, v2
	v_dual_sub_nc_u32 v3, 32, v5 :: v_dual_bitop2_b32 v2, v3, v2 bitop3:0x54
	s_delay_alu instid0(VALU_DEP_1) | instskip(NEXT) | instid1(VALU_DEP_1)
	v_cvt_f32_i32_e32 v2, v2
	v_ldexp_f32 v2, v2, v3
                                        ; implicit-def: $vgpr3
	s_delay_alu instid0(VALU_DEP_1) | instskip(SKIP_1) | instid1(VALU_DEP_1)
	v_and_b32_e32 v5, 0x7fffffff, v2
	s_wait_xcnt 0x0
	v_cmpx_gt_u32_e32 0x47800000, v5
	s_xor_b32 s2, exec_lo, s2
	s_cbranch_execz .LBB241_1107
; %bb.1102:
	s_mov_b32 s25, exec_lo
                                        ; implicit-def: $vgpr3
	v_cmpx_lt_u32_e32 0x387fffff, v5
	s_xor_b32 s25, exec_lo, s25
; %bb.1103:
	v_bfe_u32 v3, v2, 21, 1
	s_delay_alu instid0(VALU_DEP_1) | instskip(NEXT) | instid1(VALU_DEP_1)
	v_add3_u32 v3, v2, v3, 0x80fffff
	v_lshrrev_b32_e32 v3, 21, v3
; %bb.1104:
	s_and_not1_saveexec_b32 s25, s25
; %bb.1105:
	v_add_f32_e64 v3, 0x43000000, |v2|
; %bb.1106:
	s_or_b32 exec_lo, exec_lo, s25
                                        ; implicit-def: $vgpr5
.LBB241_1107:
	s_and_not1_saveexec_b32 s2, s2
; %bb.1108:
	v_mov_b32_e32 v3, 0x7f
	v_cmp_lt_u32_e32 vcc_lo, 0x7f800000, v5
	s_delay_alu instid0(VALU_DEP_2)
	v_cndmask_b32_e32 v3, 0x7c, v3, vcc_lo
; %bb.1109:
	s_or_b32 exec_lo, exec_lo, s2
	v_lshrrev_b32_e32 v2, 24, v2
	s_mov_b32 s2, 0
	s_delay_alu instid0(VALU_DEP_1)
	v_and_or_b32 v2, 0x80, v2, v3
	s_branch .LBB241_1113
.LBB241_1110:
	s_mov_b32 s2, -1
                                        ; implicit-def: $vgpr2
	s_branch .LBB241_1135
.LBB241_1111:
	s_mov_b32 s2, -1
                                        ; implicit-def: $vgpr2
	s_branch .LBB241_1124
.LBB241_1112:
	s_mov_b32 s2, -1
                                        ; implicit-def: $vgpr2
.LBB241_1113:
	s_delay_alu instid0(SALU_CYCLE_1)
	s_and_b32 vcc_lo, exec_lo, s2
	s_cbranch_vccz .LBB241_1123
; %bb.1114:
	s_wait_loadcnt 0x0
	global_load_b32 v2, v[0:1], off
	s_mov_b32 s2, exec_lo
                                        ; implicit-def: $vgpr3
	s_wait_loadcnt 0x0
	v_cvt_f32_i32_e32 v2, v2
	s_delay_alu instid0(VALU_DEP_1) | instskip(SKIP_1) | instid1(VALU_DEP_1)
	v_and_b32_e32 v5, 0x7fffffff, v2
	s_wait_xcnt 0x0
	v_cmpx_gt_u32_e32 0x47800000, v5
	s_xor_b32 s2, exec_lo, s2
	s_cbranch_execz .LBB241_1120
; %bb.1115:
	s_mov_b32 s25, exec_lo
                                        ; implicit-def: $vgpr3
	v_cmpx_lt_u32_e32 0x387fffff, v5
	s_xor_b32 s25, exec_lo, s25
; %bb.1116:
	v_bfe_u32 v3, v2, 21, 1
	s_delay_alu instid0(VALU_DEP_1) | instskip(NEXT) | instid1(VALU_DEP_1)
	v_add3_u32 v3, v2, v3, 0x80fffff
	v_lshrrev_b32_e32 v3, 21, v3
; %bb.1117:
	s_and_not1_saveexec_b32 s25, s25
; %bb.1118:
	v_add_f32_e64 v3, 0x43000000, |v2|
; %bb.1119:
	s_or_b32 exec_lo, exec_lo, s25
                                        ; implicit-def: $vgpr5
.LBB241_1120:
	s_and_not1_saveexec_b32 s2, s2
; %bb.1121:
	v_mov_b32_e32 v3, 0x7f
	v_cmp_lt_u32_e32 vcc_lo, 0x7f800000, v5
	s_delay_alu instid0(VALU_DEP_2)
	v_cndmask_b32_e32 v3, 0x7c, v3, vcc_lo
; %bb.1122:
	s_or_b32 exec_lo, exec_lo, s2
	v_lshrrev_b32_e32 v2, 24, v2
	s_delay_alu instid0(VALU_DEP_1)
	v_and_or_b32 v2, 0x80, v2, v3
.LBB241_1123:
	s_mov_b32 s2, 0
.LBB241_1124:
	s_delay_alu instid0(SALU_CYCLE_1)
	s_and_not1_b32 vcc_lo, exec_lo, s2
	s_cbranch_vccnz .LBB241_1134
; %bb.1125:
	s_wait_loadcnt 0x0
	global_load_i16 v2, v[0:1], off
	s_mov_b32 s2, exec_lo
                                        ; implicit-def: $vgpr3
	s_wait_loadcnt 0x0
	v_cvt_f32_i32_e32 v2, v2
	s_delay_alu instid0(VALU_DEP_1) | instskip(SKIP_1) | instid1(VALU_DEP_1)
	v_and_b32_e32 v5, 0x7fffffff, v2
	s_wait_xcnt 0x0
	v_cmpx_gt_u32_e32 0x47800000, v5
	s_xor_b32 s2, exec_lo, s2
	s_cbranch_execz .LBB241_1131
; %bb.1126:
	s_mov_b32 s25, exec_lo
                                        ; implicit-def: $vgpr3
	v_cmpx_lt_u32_e32 0x387fffff, v5
	s_xor_b32 s25, exec_lo, s25
; %bb.1127:
	v_bfe_u32 v3, v2, 21, 1
	s_delay_alu instid0(VALU_DEP_1) | instskip(NEXT) | instid1(VALU_DEP_1)
	v_add3_u32 v3, v2, v3, 0x80fffff
	v_lshrrev_b32_e32 v3, 21, v3
; %bb.1128:
	s_and_not1_saveexec_b32 s25, s25
; %bb.1129:
	v_add_f32_e64 v3, 0x43000000, |v2|
; %bb.1130:
	s_or_b32 exec_lo, exec_lo, s25
                                        ; implicit-def: $vgpr5
.LBB241_1131:
	s_and_not1_saveexec_b32 s2, s2
; %bb.1132:
	v_mov_b32_e32 v3, 0x7f
	v_cmp_lt_u32_e32 vcc_lo, 0x7f800000, v5
	s_delay_alu instid0(VALU_DEP_2)
	v_cndmask_b32_e32 v3, 0x7c, v3, vcc_lo
; %bb.1133:
	s_or_b32 exec_lo, exec_lo, s2
	v_lshrrev_b32_e32 v2, 24, v2
	s_delay_alu instid0(VALU_DEP_1)
	v_and_or_b32 v2, 0x80, v2, v3
.LBB241_1134:
	s_mov_b32 s2, 0
.LBB241_1135:
	s_delay_alu instid0(SALU_CYCLE_1)
	s_and_not1_b32 vcc_lo, exec_lo, s2
	s_cbranch_vccnz .LBB241_1157
; %bb.1136:
	s_cmp_gt_i32 s1, 0
	s_cbranch_scc0 .LBB241_1146
; %bb.1137:
	s_wait_loadcnt 0x0
	global_load_i8 v2, v[0:1], off
	s_mov_b32 s1, exec_lo
                                        ; implicit-def: $vgpr3
	s_wait_loadcnt 0x0
	v_cvt_f32_i32_e32 v2, v2
	s_delay_alu instid0(VALU_DEP_1) | instskip(SKIP_1) | instid1(VALU_DEP_1)
	v_and_b32_e32 v5, 0x7fffffff, v2
	s_wait_xcnt 0x0
	v_cmpx_gt_u32_e32 0x47800000, v5
	s_xor_b32 s1, exec_lo, s1
	s_cbranch_execz .LBB241_1143
; %bb.1138:
	s_mov_b32 s2, exec_lo
                                        ; implicit-def: $vgpr3
	v_cmpx_lt_u32_e32 0x387fffff, v5
	s_xor_b32 s2, exec_lo, s2
; %bb.1139:
	v_bfe_u32 v3, v2, 21, 1
	s_delay_alu instid0(VALU_DEP_1) | instskip(NEXT) | instid1(VALU_DEP_1)
	v_add3_u32 v3, v2, v3, 0x80fffff
	v_lshrrev_b32_e32 v3, 21, v3
; %bb.1140:
	s_and_not1_saveexec_b32 s2, s2
; %bb.1141:
	v_add_f32_e64 v3, 0x43000000, |v2|
; %bb.1142:
	s_or_b32 exec_lo, exec_lo, s2
                                        ; implicit-def: $vgpr5
.LBB241_1143:
	s_and_not1_saveexec_b32 s1, s1
; %bb.1144:
	v_mov_b32_e32 v3, 0x7f
	v_cmp_lt_u32_e32 vcc_lo, 0x7f800000, v5
	s_delay_alu instid0(VALU_DEP_2)
	v_cndmask_b32_e32 v3, 0x7c, v3, vcc_lo
; %bb.1145:
	s_or_b32 exec_lo, exec_lo, s1
	v_lshrrev_b32_e32 v2, 24, v2
	s_mov_b32 s1, 0
	s_delay_alu instid0(VALU_DEP_1)
	v_and_or_b32 v2, 0x80, v2, v3
	s_branch .LBB241_1147
.LBB241_1146:
	s_mov_b32 s1, -1
                                        ; implicit-def: $vgpr2
.LBB241_1147:
	s_delay_alu instid0(SALU_CYCLE_1)
	s_and_b32 vcc_lo, exec_lo, s1
	s_cbranch_vccz .LBB241_1157
; %bb.1148:
	global_load_u8 v0, v[0:1], off
	s_mov_b32 s1, exec_lo
                                        ; implicit-def: $vgpr2
	s_wait_loadcnt 0x0
	v_cvt_f32_ubyte0_e32 v0, v0
	s_delay_alu instid0(VALU_DEP_1)
	v_cmpx_gt_u32_e32 0x47800000, v0
	s_xor_b32 s1, exec_lo, s1
	s_cbranch_execz .LBB241_1154
; %bb.1149:
	s_mov_b32 s2, exec_lo
                                        ; implicit-def: $vgpr2
	v_cmpx_lt_u32_e32 0x387fffff, v0
	s_xor_b32 s2, exec_lo, s2
; %bb.1150:
	v_bfe_u32 v1, v0, 21, 1
	s_delay_alu instid0(VALU_DEP_1) | instskip(NEXT) | instid1(VALU_DEP_1)
	v_add3_u32 v0, v0, v1, 0x80fffff
	v_lshrrev_b32_e32 v2, 21, v0
                                        ; implicit-def: $vgpr0
; %bb.1151:
	s_and_not1_saveexec_b32 s2, s2
; %bb.1152:
	v_add_f32_e32 v2, 0x43000000, v0
; %bb.1153:
	s_or_b32 exec_lo, exec_lo, s2
                                        ; implicit-def: $vgpr0
.LBB241_1154:
	s_and_not1_saveexec_b32 s1, s1
; %bb.1155:
	v_mov_b32_e32 v1, 0x7f
	v_cmp_lt_u32_e32 vcc_lo, 0x7f800000, v0
	s_delay_alu instid0(VALU_DEP_2)
	v_cndmask_b32_e32 v2, 0x7c, v1, vcc_lo
; %bb.1156:
	s_or_b32 exec_lo, exec_lo, s1
.LBB241_1157:
	s_mov_b32 s2, -1
.LBB241_1158:
	s_delay_alu instid0(SALU_CYCLE_1)
	s_and_not1_b32 vcc_lo, exec_lo, s2
	s_cbranch_vccnz .LBB241_1166
; %bb.1159:
	s_wait_loadcnt 0x0
	v_lshlrev_b16 v1, 8, v2
	s_and_b32 s25, s3, 0xff
	s_delay_alu instid0(SALU_CYCLE_1) | instskip(NEXT) | instid1(VALU_DEP_1)
	s_cmp_lt_i32 s25, 11
	v_and_or_b32 v3, 0x7f00, v1, 0.5
	v_lshlrev_b32_e32 v0, 25, v2
	v_bfe_i32 v1, v1, 0, 16
	s_delay_alu instid0(VALU_DEP_2) | instskip(SKIP_1) | instid1(VALU_DEP_2)
	v_dual_add_f32 v3, -0.5, v3 :: v_dual_lshrrev_b32 v2, 4, v0
	v_cmp_gt_u32_e32 vcc_lo, 0x8000000, v0
	v_or_b32_e32 v2, 0x70000000, v2
	s_delay_alu instid0(VALU_DEP_1) | instskip(NEXT) | instid1(VALU_DEP_1)
	v_mul_f32_e32 v2, 0x7800000, v2
	v_cndmask_b32_e32 v0, v2, v3, vcc_lo
	s_delay_alu instid0(VALU_DEP_1) | instskip(SKIP_1) | instid1(VALU_DEP_2)
	v_and_or_b32 v1, 0x80000000, v1, v0
	v_mul_lo_u32 v0, v4, s8
	v_cmp_eq_f32_e32 vcc_lo, s15, v1
	v_cndmask_b32_e64 v2, 0, 1, vcc_lo
	v_cmp_neq_f32_e32 vcc_lo, s15, v1
	v_cndmask_b32_e64 v1, 0, 1, vcc_lo
	s_delay_alu instid0(VALU_DEP_1) | instskip(NEXT) | instid1(VALU_DEP_1)
	v_dual_cndmask_b32 v2, v1, v2, s0 :: v_dual_ashrrev_i32 v1, 31, v0
	v_and_b32_e32 v2, 1, v2
	s_delay_alu instid0(VALU_DEP_2) | instskip(NEXT) | instid1(VALU_DEP_2)
	v_add_nc_u64_e32 v[0:1], s[4:5], v[0:1]
	v_cmp_eq_u32_e64 s1, 1, v2
	s_cbranch_scc1 .LBB241_1167
; %bb.1160:
	s_and_b32 s26, 0xffff, s25
	s_delay_alu instid0(SALU_CYCLE_1)
	s_cmp_gt_i32 s26, 25
	s_cbranch_scc0 .LBB241_1168
; %bb.1161:
	s_cmp_gt_i32 s26, 28
	s_cbranch_scc0 .LBB241_1169
; %bb.1162:
	;; [unrolled: 3-line block ×4, first 2 shown]
	s_mov_b32 s28, 0
	s_mov_b32 s2, -1
	s_cmp_eq_u32 s26, 46
	s_mov_b32 s27, 0
	s_cbranch_scc0 .LBB241_1172
; %bb.1165:
	v_cndmask_b32_e64 v2, 0, 1.0, s1
	s_mov_b32 s27, -1
	s_mov_b32 s2, 0
	s_delay_alu instid0(VALU_DEP_1) | instskip(NEXT) | instid1(VALU_DEP_1)
	v_bfe_u32 v3, v2, 16, 1
	v_add3_u32 v2, v2, v3, 0x7fff
	s_delay_alu instid0(VALU_DEP_1)
	v_lshrrev_b32_e32 v2, 16, v2
	global_store_b32 v[0:1], v2, off
	s_branch .LBB241_1172
.LBB241_1166:
	s_mov_b32 s25, 0
	s_mov_b32 s2, s21
	s_branch .LBB241_1283
.LBB241_1167:
	s_mov_b32 s26, -1
	s_mov_b32 s27, 0
	s_mov_b32 s2, s21
	s_branch .LBB241_1241
.LBB241_1168:
	s_mov_b32 s28, -1
	s_mov_b32 s27, 0
	s_mov_b32 s2, s21
	s_branch .LBB241_1199
.LBB241_1169:
	s_mov_b32 s28, -1
	s_mov_b32 s27, 0
	s_mov_b32 s2, s21
	s_branch .LBB241_1182
.LBB241_1170:
	s_mov_b32 s28, -1
	s_mov_b32 s27, 0
	s_mov_b32 s2, s21
	s_branch .LBB241_1178
.LBB241_1171:
	s_mov_b32 s28, -1
	s_mov_b32 s27, 0
	s_mov_b32 s2, s21
.LBB241_1172:
	s_and_b32 vcc_lo, exec_lo, s28
	s_cbranch_vccz .LBB241_1177
; %bb.1173:
	s_cmp_eq_u32 s26, 44
	s_mov_b32 s2, -1
	s_cbranch_scc0 .LBB241_1177
; %bb.1174:
	v_cndmask_b32_e64 v5, 0, 1.0, s1
	s_mov_b32 s27, exec_lo
	s_wait_xcnt 0x0
	s_delay_alu instid0(VALU_DEP_1) | instskip(NEXT) | instid1(VALU_DEP_1)
	v_dual_mov_b32 v3, 0xff :: v_dual_lshrrev_b32 v2, 23, v5
	v_cmpx_ne_u32_e32 0xff, v2
; %bb.1175:
	v_and_b32_e32 v3, 0x400000, v5
	v_and_or_b32 v5, 0x3fffff, v5, v2
	s_delay_alu instid0(VALU_DEP_2) | instskip(NEXT) | instid1(VALU_DEP_2)
	v_cmp_ne_u32_e32 vcc_lo, 0, v3
	v_cmp_ne_u32_e64 s2, 0, v5
	s_and_b32 s2, vcc_lo, s2
	s_delay_alu instid0(SALU_CYCLE_1) | instskip(NEXT) | instid1(VALU_DEP_1)
	v_cndmask_b32_e64 v3, 0, 1, s2
	v_add_nc_u32_e32 v3, v2, v3
; %bb.1176:
	s_or_b32 exec_lo, exec_lo, s27
	s_mov_b32 s27, -1
	s_mov_b32 s2, 0
	global_store_b8 v[0:1], v3, off
.LBB241_1177:
	s_mov_b32 s28, 0
.LBB241_1178:
	s_delay_alu instid0(SALU_CYCLE_1)
	s_and_b32 vcc_lo, exec_lo, s28
	s_cbranch_vccz .LBB241_1181
; %bb.1179:
	s_cmp_eq_u32 s26, 29
	s_mov_b32 s2, -1
	s_cbranch_scc0 .LBB241_1181
; %bb.1180:
	s_mov_b32 s2, 0
	s_wait_xcnt 0x0
	v_cndmask_b32_e64 v2, 0, 1, s1
	v_mov_b32_e32 v3, s2
	s_mov_b32 s27, -1
	s_mov_b32 s28, 0
	global_store_b64 v[0:1], v[2:3], off
	s_branch .LBB241_1182
.LBB241_1181:
	s_mov_b32 s28, 0
.LBB241_1182:
	s_delay_alu instid0(SALU_CYCLE_1)
	s_and_b32 vcc_lo, exec_lo, s28
	s_cbranch_vccz .LBB241_1198
; %bb.1183:
	s_cmp_lt_i32 s26, 27
	s_mov_b32 s27, -1
	s_cbranch_scc1 .LBB241_1189
; %bb.1184:
	s_cmp_gt_i32 s26, 27
	s_cbranch_scc0 .LBB241_1186
; %bb.1185:
	s_wait_xcnt 0x0
	v_cndmask_b32_e64 v2, 0, 1, s1
	s_mov_b32 s27, 0
	global_store_b32 v[0:1], v2, off
.LBB241_1186:
	s_and_not1_b32 vcc_lo, exec_lo, s27
	s_cbranch_vccnz .LBB241_1188
; %bb.1187:
	s_wait_xcnt 0x0
	v_cndmask_b32_e64 v2, 0, 1, s1
	global_store_b16 v[0:1], v2, off
.LBB241_1188:
	s_mov_b32 s27, 0
.LBB241_1189:
	s_delay_alu instid0(SALU_CYCLE_1)
	s_and_not1_b32 vcc_lo, exec_lo, s27
	s_cbranch_vccnz .LBB241_1197
; %bb.1190:
	s_wait_xcnt 0x0
	v_cndmask_b32_e64 v3, 0, 1.0, s1
	v_mov_b32_e32 v5, 0x80
	s_mov_b32 s27, exec_lo
	s_delay_alu instid0(VALU_DEP_2)
	v_cmpx_gt_u32_e32 0x43800000, v3
	s_cbranch_execz .LBB241_1196
; %bb.1191:
	s_mov_b32 s28, 0
	s_mov_b32 s29, exec_lo
                                        ; implicit-def: $vgpr2
	v_cmpx_lt_u32_e32 0x3bffffff, v3
	s_xor_b32 s29, exec_lo, s29
	s_cbranch_execz .LBB241_1306
; %bb.1192:
	v_bfe_u32 v2, v3, 20, 1
	s_mov_b32 s28, exec_lo
	s_delay_alu instid0(VALU_DEP_1) | instskip(NEXT) | instid1(VALU_DEP_1)
	v_add3_u32 v2, v3, v2, 0x487ffff
                                        ; implicit-def: $vgpr3
	v_lshrrev_b32_e32 v2, 20, v2
	s_and_not1_saveexec_b32 s29, s29
	s_cbranch_execnz .LBB241_1307
.LBB241_1193:
	s_or_b32 exec_lo, exec_lo, s29
	v_mov_b32_e32 v5, 0
	s_and_saveexec_b32 s29, s28
.LBB241_1194:
	v_mov_b32_e32 v5, v2
.LBB241_1195:
	s_or_b32 exec_lo, exec_lo, s29
.LBB241_1196:
	s_delay_alu instid0(SALU_CYCLE_1)
	s_or_b32 exec_lo, exec_lo, s27
	global_store_b8 v[0:1], v5, off
.LBB241_1197:
	s_mov_b32 s27, -1
.LBB241_1198:
	s_mov_b32 s28, 0
.LBB241_1199:
	s_delay_alu instid0(SALU_CYCLE_1)
	s_and_b32 vcc_lo, exec_lo, s28
	s_cbranch_vccz .LBB241_1240
; %bb.1200:
	s_cmp_gt_i32 s26, 22
	s_mov_b32 s28, -1
	s_cbranch_scc0 .LBB241_1232
; %bb.1201:
	s_cmp_lt_i32 s26, 24
	s_mov_b32 s27, -1
	s_cbranch_scc1 .LBB241_1221
; %bb.1202:
	s_cmp_gt_i32 s26, 24
	s_cbranch_scc0 .LBB241_1210
; %bb.1203:
	s_wait_xcnt 0x0
	v_cndmask_b32_e64 v3, 0, 1.0, s1
	v_mov_b32_e32 v5, 0x80
	s_mov_b32 s27, exec_lo
	s_delay_alu instid0(VALU_DEP_2)
	v_cmpx_gt_u32_e32 0x47800000, v3
	s_cbranch_execz .LBB241_1209
; %bb.1204:
	s_mov_b32 s28, 0
	s_mov_b32 s29, exec_lo
                                        ; implicit-def: $vgpr2
	v_cmpx_lt_u32_e32 0x37ffffff, v3
	s_xor_b32 s29, exec_lo, s29
	s_cbranch_execz .LBB241_1309
; %bb.1205:
	v_bfe_u32 v2, v3, 21, 1
	s_mov_b32 s28, exec_lo
	s_delay_alu instid0(VALU_DEP_1) | instskip(NEXT) | instid1(VALU_DEP_1)
	v_add3_u32 v2, v3, v2, 0x88fffff
                                        ; implicit-def: $vgpr3
	v_lshrrev_b32_e32 v2, 21, v2
	s_and_not1_saveexec_b32 s29, s29
	s_cbranch_execnz .LBB241_1310
.LBB241_1206:
	s_or_b32 exec_lo, exec_lo, s29
	v_mov_b32_e32 v5, 0
	s_and_saveexec_b32 s29, s28
.LBB241_1207:
	v_mov_b32_e32 v5, v2
.LBB241_1208:
	s_or_b32 exec_lo, exec_lo, s29
.LBB241_1209:
	s_delay_alu instid0(SALU_CYCLE_1)
	s_or_b32 exec_lo, exec_lo, s27
	s_mov_b32 s27, 0
	global_store_b8 v[0:1], v5, off
.LBB241_1210:
	s_and_b32 vcc_lo, exec_lo, s27
	s_cbranch_vccz .LBB241_1220
; %bb.1211:
	s_wait_xcnt 0x0
	v_cndmask_b32_e64 v3, 0, 1.0, s1
	s_mov_b32 s27, exec_lo
                                        ; implicit-def: $vgpr2
	s_delay_alu instid0(VALU_DEP_1)
	v_cmpx_gt_u32_e32 0x43f00000, v3
	s_xor_b32 s27, exec_lo, s27
	s_cbranch_execz .LBB241_1217
; %bb.1212:
	s_mov_b32 s28, exec_lo
                                        ; implicit-def: $vgpr2
	v_cmpx_lt_u32_e32 0x3c7fffff, v3
	s_xor_b32 s28, exec_lo, s28
; %bb.1213:
	v_bfe_u32 v2, v3, 20, 1
	s_delay_alu instid0(VALU_DEP_1) | instskip(NEXT) | instid1(VALU_DEP_1)
	v_add3_u32 v2, v3, v2, 0x407ffff
	v_and_b32_e32 v3, 0xff00000, v2
	v_lshrrev_b32_e32 v2, 20, v2
	s_delay_alu instid0(VALU_DEP_2) | instskip(NEXT) | instid1(VALU_DEP_2)
	v_cmp_ne_u32_e32 vcc_lo, 0x7f00000, v3
                                        ; implicit-def: $vgpr3
	v_cndmask_b32_e32 v2, 0x7e, v2, vcc_lo
; %bb.1214:
	s_and_not1_saveexec_b32 s28, s28
; %bb.1215:
	v_add_f32_e32 v2, 0x46800000, v3
; %bb.1216:
	s_or_b32 exec_lo, exec_lo, s28
                                        ; implicit-def: $vgpr3
.LBB241_1217:
	s_and_not1_saveexec_b32 s27, s27
; %bb.1218:
	v_mov_b32_e32 v2, 0x7f
	v_cmp_lt_u32_e32 vcc_lo, 0x7f800000, v3
	s_delay_alu instid0(VALU_DEP_2)
	v_cndmask_b32_e32 v2, 0x7e, v2, vcc_lo
; %bb.1219:
	s_or_b32 exec_lo, exec_lo, s27
	global_store_b8 v[0:1], v2, off
.LBB241_1220:
	s_mov_b32 s27, 0
.LBB241_1221:
	s_delay_alu instid0(SALU_CYCLE_1)
	s_and_not1_b32 vcc_lo, exec_lo, s27
	s_cbranch_vccnz .LBB241_1231
; %bb.1222:
	s_wait_xcnt 0x0
	v_cndmask_b32_e64 v3, 0, 1.0, s1
	s_mov_b32 s27, exec_lo
                                        ; implicit-def: $vgpr2
	s_delay_alu instid0(VALU_DEP_1)
	v_cmpx_gt_u32_e32 0x47800000, v3
	s_xor_b32 s27, exec_lo, s27
	s_cbranch_execz .LBB241_1228
; %bb.1223:
	s_mov_b32 s28, exec_lo
                                        ; implicit-def: $vgpr2
	v_cmpx_lt_u32_e32 0x387fffff, v3
	s_xor_b32 s28, exec_lo, s28
; %bb.1224:
	v_bfe_u32 v2, v3, 21, 1
	s_delay_alu instid0(VALU_DEP_1) | instskip(NEXT) | instid1(VALU_DEP_1)
	v_add3_u32 v2, v3, v2, 0x80fffff
                                        ; implicit-def: $vgpr3
	v_lshrrev_b32_e32 v2, 21, v2
; %bb.1225:
	s_and_not1_saveexec_b32 s28, s28
; %bb.1226:
	v_add_f32_e32 v2, 0x43000000, v3
; %bb.1227:
	s_or_b32 exec_lo, exec_lo, s28
                                        ; implicit-def: $vgpr3
.LBB241_1228:
	s_and_not1_saveexec_b32 s27, s27
; %bb.1229:
	v_mov_b32_e32 v2, 0x7f
	v_cmp_lt_u32_e32 vcc_lo, 0x7f800000, v3
	s_delay_alu instid0(VALU_DEP_2)
	v_cndmask_b32_e32 v2, 0x7c, v2, vcc_lo
; %bb.1230:
	s_or_b32 exec_lo, exec_lo, s27
	global_store_b8 v[0:1], v2, off
.LBB241_1231:
	s_mov_b32 s28, 0
	s_mov_b32 s27, -1
.LBB241_1232:
	s_and_not1_b32 vcc_lo, exec_lo, s28
	s_cbranch_vccnz .LBB241_1240
; %bb.1233:
	s_cmp_gt_i32 s26, 14
	s_mov_b32 s28, -1
	s_cbranch_scc0 .LBB241_1237
; %bb.1234:
	s_cmp_eq_u32 s26, 15
	s_mov_b32 s2, -1
	s_cbranch_scc0 .LBB241_1236
; %bb.1235:
	s_wait_xcnt 0x0
	v_cndmask_b32_e64 v2, 0, 1.0, s1
	s_mov_b32 s27, -1
	s_mov_b32 s2, 0
	s_delay_alu instid0(VALU_DEP_1) | instskip(NEXT) | instid1(VALU_DEP_1)
	v_bfe_u32 v3, v2, 16, 1
	v_add3_u32 v2, v2, v3, 0x7fff
	global_store_d16_hi_b16 v[0:1], v2, off
.LBB241_1236:
	s_mov_b32 s28, 0
.LBB241_1237:
	s_delay_alu instid0(SALU_CYCLE_1)
	s_and_b32 vcc_lo, exec_lo, s28
	s_cbranch_vccz .LBB241_1240
; %bb.1238:
	s_cmp_eq_u32 s26, 11
	s_mov_b32 s2, -1
	s_cbranch_scc0 .LBB241_1240
; %bb.1239:
	s_wait_xcnt 0x0
	v_cndmask_b32_e64 v2, 0, 1, s1
	s_mov_b32 s27, -1
	s_mov_b32 s2, 0
	global_store_b8 v[0:1], v2, off
.LBB241_1240:
	s_mov_b32 s26, 0
.LBB241_1241:
	s_delay_alu instid0(SALU_CYCLE_1)
	s_and_b32 vcc_lo, exec_lo, s26
	s_cbranch_vccz .LBB241_1280
; %bb.1242:
	s_and_b32 s25, 0xffff, s25
	s_mov_b32 s26, -1
	s_cmp_lt_i32 s25, 5
	s_cbranch_scc1 .LBB241_1263
; %bb.1243:
	s_cmp_lt_i32 s25, 8
	s_cbranch_scc1 .LBB241_1253
; %bb.1244:
	;; [unrolled: 3-line block ×3, first 2 shown]
	s_cmp_gt_i32 s25, 9
	s_cbranch_scc0 .LBB241_1247
; %bb.1246:
	s_wait_xcnt 0x0
	v_cndmask_b32_e64 v2, 0, 1, s1
	v_mov_b32_e32 v8, 0
	s_mov_b32 s26, 0
	s_delay_alu instid0(VALU_DEP_2) | instskip(NEXT) | instid1(VALU_DEP_2)
	v_cvt_f64_u32_e32 v[6:7], v2
	v_mov_b32_e32 v9, v8
	global_store_b128 v[0:1], v[6:9], off
.LBB241_1247:
	s_and_not1_b32 vcc_lo, exec_lo, s26
	s_cbranch_vccnz .LBB241_1249
; %bb.1248:
	s_wait_xcnt 0x0
	v_cndmask_b32_e64 v2, 0, 1.0, s1
	v_mov_b32_e32 v3, 0
	global_store_b64 v[0:1], v[2:3], off
.LBB241_1249:
	s_mov_b32 s26, 0
.LBB241_1250:
	s_delay_alu instid0(SALU_CYCLE_1)
	s_and_not1_b32 vcc_lo, exec_lo, s26
	s_cbranch_vccnz .LBB241_1252
; %bb.1251:
	s_wait_xcnt 0x0
	v_cndmask_b32_e64 v2, 0, 1.0, s1
	s_delay_alu instid0(VALU_DEP_1) | instskip(NEXT) | instid1(VALU_DEP_1)
	v_cvt_f16_f32_e32 v2, v2
	v_and_b32_e32 v2, 0xffff, v2
	global_store_b32 v[0:1], v2, off
.LBB241_1252:
	s_mov_b32 s26, 0
.LBB241_1253:
	s_delay_alu instid0(SALU_CYCLE_1)
	s_and_not1_b32 vcc_lo, exec_lo, s26
	s_cbranch_vccnz .LBB241_1262
; %bb.1254:
	s_cmp_lt_i32 s25, 6
	s_mov_b32 s26, -1
	s_cbranch_scc1 .LBB241_1260
; %bb.1255:
	s_cmp_gt_i32 s25, 6
	s_cbranch_scc0 .LBB241_1257
; %bb.1256:
	s_wait_xcnt 0x0
	v_cndmask_b32_e64 v2, 0, 1, s1
	s_mov_b32 s26, 0
	s_delay_alu instid0(VALU_DEP_1)
	v_cvt_f64_u32_e32 v[2:3], v2
	global_store_b64 v[0:1], v[2:3], off
.LBB241_1257:
	s_and_not1_b32 vcc_lo, exec_lo, s26
	s_cbranch_vccnz .LBB241_1259
; %bb.1258:
	s_wait_xcnt 0x0
	v_cndmask_b32_e64 v2, 0, 1.0, s1
	global_store_b32 v[0:1], v2, off
.LBB241_1259:
	s_mov_b32 s26, 0
.LBB241_1260:
	s_delay_alu instid0(SALU_CYCLE_1)
	s_and_not1_b32 vcc_lo, exec_lo, s26
	s_cbranch_vccnz .LBB241_1262
; %bb.1261:
	s_wait_xcnt 0x0
	v_cndmask_b32_e64 v2, 0, 1.0, s1
	s_delay_alu instid0(VALU_DEP_1)
	v_cvt_f16_f32_e32 v2, v2
	global_store_b16 v[0:1], v2, off
.LBB241_1262:
	s_mov_b32 s26, 0
.LBB241_1263:
	s_delay_alu instid0(SALU_CYCLE_1)
	s_and_not1_b32 vcc_lo, exec_lo, s26
	s_cbranch_vccnz .LBB241_1279
; %bb.1264:
	s_cmp_lt_i32 s25, 2
	s_mov_b32 s26, -1
	s_cbranch_scc1 .LBB241_1274
; %bb.1265:
	s_cmp_lt_i32 s25, 3
	s_cbranch_scc1 .LBB241_1271
; %bb.1266:
	s_cmp_gt_i32 s25, 3
	s_cbranch_scc0 .LBB241_1268
; %bb.1267:
	s_mov_b32 s26, 0
	s_wait_xcnt 0x0
	v_cndmask_b32_e64 v2, 0, 1, s1
	v_mov_b32_e32 v3, s26
	global_store_b64 v[0:1], v[2:3], off
.LBB241_1268:
	s_and_not1_b32 vcc_lo, exec_lo, s26
	s_cbranch_vccnz .LBB241_1270
; %bb.1269:
	s_wait_xcnt 0x0
	v_cndmask_b32_e64 v2, 0, 1, s1
	global_store_b32 v[0:1], v2, off
.LBB241_1270:
	s_mov_b32 s26, 0
.LBB241_1271:
	s_delay_alu instid0(SALU_CYCLE_1)
	s_and_not1_b32 vcc_lo, exec_lo, s26
	s_cbranch_vccnz .LBB241_1273
; %bb.1272:
	s_wait_xcnt 0x0
	v_cndmask_b32_e64 v2, 0, 1, s1
	global_store_b16 v[0:1], v2, off
.LBB241_1273:
	s_mov_b32 s26, 0
.LBB241_1274:
	s_delay_alu instid0(SALU_CYCLE_1)
	s_and_not1_b32 vcc_lo, exec_lo, s26
	s_cbranch_vccnz .LBB241_1279
; %bb.1275:
	s_wait_xcnt 0x0
	v_cndmask_b32_e64 v2, 0, 1, s1
	s_cmp_gt_i32 s25, 0
	s_mov_b32 s1, -1
	s_cbranch_scc0 .LBB241_1277
; %bb.1276:
	s_mov_b32 s1, 0
	global_store_b8 v[0:1], v2, off
.LBB241_1277:
	s_and_not1_b32 vcc_lo, exec_lo, s1
	s_cbranch_vccnz .LBB241_1279
; %bb.1278:
	global_store_b8 v[0:1], v2, off
.LBB241_1279:
	s_mov_b32 s27, -1
.LBB241_1280:
	s_delay_alu instid0(SALU_CYCLE_1)
	s_and_not1_b32 vcc_lo, exec_lo, s27
	s_cbranch_vccnz .LBB241_1282
; %bb.1281:
	v_add_nc_u32_e32 v4, 0x80, v4
	s_mov_b32 s25, -1
	s_branch .LBB241_1284
.LBB241_1282:
	s_mov_b32 s25, 0
.LBB241_1283:
                                        ; implicit-def: $vgpr4
.LBB241_1284:
	s_and_not1_b32 s1, s21, exec_lo
	s_and_b32 s2, s2, exec_lo
	s_and_not1_b32 s26, s20, exec_lo
	s_and_b32 s24, s24, exec_lo
	s_or_b32 s2, s1, s2
	s_or_b32 s1, s26, s24
	s_or_not1_b32 s27, s25, exec_lo
.LBB241_1285:
	s_wait_xcnt 0x0
	s_or_b32 exec_lo, exec_lo, s23
	s_mov_b32 s24, 0
	s_mov_b32 s25, 0
	;; [unrolled: 1-line block ×3, first 2 shown]
                                        ; implicit-def: $vgpr0_vgpr1
                                        ; implicit-def: $vgpr2
	s_and_saveexec_b32 s23, s27
	s_cbranch_execz .LBB241_1441
; %bb.1286:
	v_cmp_gt_i32_e32 vcc_lo, s16, v4
	s_mov_b32 s28, s1
	s_mov_b32 s27, 0
	;; [unrolled: 1-line block ×3, first 2 shown]
                                        ; implicit-def: $vgpr0_vgpr1
                                        ; implicit-def: $vgpr2
	s_and_saveexec_b32 s16, vcc_lo
	s_cbranch_execz .LBB241_1440
; %bb.1287:
	v_mul_lo_u32 v0, v4, s9
	s_and_b32 s24, 0xffff, s13
	s_delay_alu instid0(SALU_CYCLE_1) | instskip(NEXT) | instid1(VALU_DEP_1)
	s_cmp_lt_i32 s24, 11
	v_ashrrev_i32_e32 v1, 31, v0
	s_delay_alu instid0(VALU_DEP_1)
	v_add_nc_u64_e32 v[0:1], s[6:7], v[0:1]
	s_cbranch_scc1 .LBB241_1302
; %bb.1288:
	s_cmp_gt_i32 s24, 25
	s_cbranch_scc0 .LBB241_1303
; %bb.1289:
	s_cmp_gt_i32 s24, 28
	s_cbranch_scc0 .LBB241_1304
; %bb.1290:
	s_cmp_gt_i32 s24, 43
	s_cbranch_scc0 .LBB241_1305
; %bb.1291:
	s_cmp_gt_i32 s24, 45
	s_cbranch_scc0 .LBB241_1308
; %bb.1292:
	s_cmp_eq_u32 s24, 46
	s_mov_b32 s28, 0
	s_cbranch_scc0 .LBB241_1311
; %bb.1293:
	s_wait_loadcnt 0x0
	global_load_b32 v2, v[0:1], off
	s_mov_b32 s25, exec_lo
                                        ; implicit-def: $vgpr3
	s_wait_loadcnt 0x0
	v_lshlrev_b32_e32 v2, 16, v2
	s_delay_alu instid0(VALU_DEP_1) | instskip(SKIP_1) | instid1(VALU_DEP_1)
	v_and_b32_e32 v5, 0x7fffffff, v2
	s_wait_xcnt 0x0
	v_cmpx_gt_u32_e32 0x47800000, v5
	s_xor_b32 s25, exec_lo, s25
	s_cbranch_execz .LBB241_1299
; %bb.1294:
	s_mov_b32 s27, exec_lo
                                        ; implicit-def: $vgpr3
	v_cmpx_lt_u32_e32 0x387fffff, v5
	s_xor_b32 s27, exec_lo, s27
; %bb.1295:
	v_bfe_u32 v3, v2, 21, 1
	s_delay_alu instid0(VALU_DEP_1) | instskip(NEXT) | instid1(VALU_DEP_1)
	v_add3_u32 v3, v2, v3, 0x80fffff
	v_lshrrev_b32_e32 v3, 21, v3
; %bb.1296:
	s_and_not1_saveexec_b32 s27, s27
; %bb.1297:
	v_add_f32_e64 v3, 0x43000000, |v2|
; %bb.1298:
	s_or_b32 exec_lo, exec_lo, s27
                                        ; implicit-def: $vgpr5
.LBB241_1299:
	s_and_not1_saveexec_b32 s25, s25
; %bb.1300:
	v_mov_b32_e32 v3, 0x7f
	v_cmp_lt_u32_e32 vcc_lo, 0x7f800000, v5
	s_delay_alu instid0(VALU_DEP_2)
	v_cndmask_b32_e32 v3, 0x7c, v3, vcc_lo
; %bb.1301:
	s_or_b32 exec_lo, exec_lo, s25
	v_lshrrev_b32_e32 v2, 24, v2
	s_mov_b32 s25, 0
	s_mov_b32 s27, -1
	s_delay_alu instid0(VALU_DEP_1)
	v_and_or_b32 v2, 0x80, v2, v3
	s_branch .LBB241_1313
.LBB241_1302:
	s_mov_b32 s24, -1
	s_mov_b32 s25, s1
                                        ; implicit-def: $vgpr2
	s_branch .LBB241_1439
.LBB241_1303:
	s_mov_b32 s28, -1
	s_mov_b32 s25, s1
                                        ; implicit-def: $vgpr2
	s_branch .LBB241_1382
.LBB241_1304:
	s_mov_b32 s28, -1
	s_mov_b32 s25, s1
                                        ; implicit-def: $vgpr2
	s_branch .LBB241_1339
.LBB241_1305:
	s_mov_b32 s28, -1
	s_mov_b32 s25, s1
                                        ; implicit-def: $vgpr2
	s_branch .LBB241_1326
.LBB241_1306:
	s_and_not1_saveexec_b32 s29, s29
	s_cbranch_execz .LBB241_1193
.LBB241_1307:
	v_add_f32_e32 v2, 0x46000000, v3
	s_and_not1_b32 s28, s28, exec_lo
	s_delay_alu instid0(VALU_DEP_1) | instskip(NEXT) | instid1(VALU_DEP_1)
	v_and_b32_e32 v2, 0xff, v2
	v_cmp_ne_u32_e32 vcc_lo, 0, v2
	s_and_b32 s30, vcc_lo, exec_lo
	s_delay_alu instid0(SALU_CYCLE_1)
	s_or_b32 s28, s28, s30
	s_or_b32 exec_lo, exec_lo, s29
	v_mov_b32_e32 v5, 0
	s_and_saveexec_b32 s29, s28
	s_cbranch_execnz .LBB241_1194
	s_branch .LBB241_1195
.LBB241_1308:
	s_mov_b32 s28, -1
	s_mov_b32 s25, s1
	s_branch .LBB241_1312
.LBB241_1309:
	s_and_not1_saveexec_b32 s29, s29
	s_cbranch_execz .LBB241_1206
.LBB241_1310:
	v_add_f32_e32 v2, 0x42800000, v3
	s_and_not1_b32 s28, s28, exec_lo
	s_delay_alu instid0(VALU_DEP_1) | instskip(NEXT) | instid1(VALU_DEP_1)
	v_and_b32_e32 v2, 0xff, v2
	v_cmp_ne_u32_e32 vcc_lo, 0, v2
	s_and_b32 s30, vcc_lo, exec_lo
	s_delay_alu instid0(SALU_CYCLE_1)
	s_or_b32 s28, s28, s30
	s_or_b32 exec_lo, exec_lo, s29
	v_mov_b32_e32 v5, 0
	s_and_saveexec_b32 s29, s28
	s_cbranch_execnz .LBB241_1207
	s_branch .LBB241_1208
.LBB241_1311:
	s_mov_b32 s25, -1
.LBB241_1312:
                                        ; implicit-def: $vgpr2
.LBB241_1313:
	s_and_b32 vcc_lo, exec_lo, s28
	s_cbranch_vccz .LBB241_1325
; %bb.1314:
	s_cmp_eq_u32 s24, 44
	s_cbranch_scc0 .LBB241_1324
; %bb.1315:
	s_wait_loadcnt 0x0
	global_load_u8 v2, v[0:1], off
	s_mov_b32 s25, exec_lo
	s_wait_loadcnt 0x0
	v_lshlrev_b32_e32 v3, 23, v2
	v_cmp_ne_u32_e32 vcc_lo, 0xff, v2
	s_delay_alu instid0(VALU_DEP_2) | instskip(SKIP_1) | instid1(VALU_DEP_2)
	v_cndmask_b32_e32 v3, 0x7f800001, v3, vcc_lo
	v_cmp_ne_u32_e32 vcc_lo, 0, v2
                                        ; implicit-def: $vgpr2
	v_cndmask_b32_e32 v3, 0x400000, v3, vcc_lo
	s_wait_xcnt 0x0
	s_delay_alu instid0(VALU_DEP_1)
	v_cmpx_gt_u32_e32 0x47800000, v3
	s_xor_b32 s25, exec_lo, s25
	s_cbranch_execz .LBB241_1321
; %bb.1316:
	s_mov_b32 s27, exec_lo
                                        ; implicit-def: $vgpr2
	v_cmpx_lt_u32_e32 0x387fffff, v3
	s_xor_b32 s27, exec_lo, s27
; %bb.1317:
	v_bfe_u32 v2, v3, 21, 1
	s_delay_alu instid0(VALU_DEP_1) | instskip(NEXT) | instid1(VALU_DEP_1)
	v_add3_u32 v2, v3, v2, 0x80fffff
                                        ; implicit-def: $vgpr3
	v_lshrrev_b32_e32 v2, 21, v2
; %bb.1318:
	s_and_not1_saveexec_b32 s27, s27
; %bb.1319:
	v_add_f32_e32 v2, 0x43000000, v3
; %bb.1320:
	s_or_b32 exec_lo, exec_lo, s27
                                        ; implicit-def: $vgpr3
.LBB241_1321:
	s_and_not1_saveexec_b32 s25, s25
; %bb.1322:
	v_mov_b32_e32 v2, 0x7f
	v_cmp_lt_u32_e32 vcc_lo, 0x7f800000, v3
	s_delay_alu instid0(VALU_DEP_2)
	v_cndmask_b32_e32 v2, 0x7c, v2, vcc_lo
; %bb.1323:
	s_or_b32 exec_lo, exec_lo, s25
	s_mov_b32 s25, 0
	s_mov_b32 s27, -1
	s_branch .LBB241_1325
.LBB241_1324:
	s_mov_b32 s25, -1
                                        ; implicit-def: $vgpr2
.LBB241_1325:
	s_mov_b32 s28, 0
.LBB241_1326:
	s_delay_alu instid0(SALU_CYCLE_1)
	s_and_b32 vcc_lo, exec_lo, s28
	s_cbranch_vccz .LBB241_1338
; %bb.1327:
	s_cmp_eq_u32 s24, 29
	s_cbranch_scc0 .LBB241_1337
; %bb.1328:
	s_wait_loadcnt 0x0
	global_load_b64 v[2:3], v[0:1], off
	s_mov_b32 s25, exec_lo
	s_wait_loadcnt 0x0
	v_clz_i32_u32_e32 v5, v3
	s_delay_alu instid0(VALU_DEP_1) | instskip(NEXT) | instid1(VALU_DEP_1)
	v_min_u32_e32 v5, 32, v5
	v_lshlrev_b64_e32 v[2:3], v5, v[2:3]
	s_delay_alu instid0(VALU_DEP_1) | instskip(NEXT) | instid1(VALU_DEP_1)
	v_min_u32_e32 v2, 1, v2
	v_dual_sub_nc_u32 v3, 32, v5 :: v_dual_bitop2_b32 v2, v3, v2 bitop3:0x54
	s_delay_alu instid0(VALU_DEP_1) | instskip(NEXT) | instid1(VALU_DEP_1)
	v_cvt_f32_u32_e32 v2, v2
	v_ldexp_f32 v3, v2, v3
                                        ; implicit-def: $vgpr2
	s_wait_xcnt 0x0
	s_delay_alu instid0(VALU_DEP_1)
	v_cmpx_gt_u32_e32 0x47800000, v3
	s_xor_b32 s25, exec_lo, s25
	s_cbranch_execz .LBB241_1334
; %bb.1329:
	s_mov_b32 s27, exec_lo
                                        ; implicit-def: $vgpr2
	v_cmpx_lt_u32_e32 0x387fffff, v3
	s_xor_b32 s27, exec_lo, s27
; %bb.1330:
	v_bfe_u32 v2, v3, 21, 1
	s_delay_alu instid0(VALU_DEP_1) | instskip(NEXT) | instid1(VALU_DEP_1)
	v_add3_u32 v2, v3, v2, 0x80fffff
                                        ; implicit-def: $vgpr3
	v_lshrrev_b32_e32 v2, 21, v2
; %bb.1331:
	s_and_not1_saveexec_b32 s27, s27
; %bb.1332:
	v_add_f32_e32 v2, 0x43000000, v3
; %bb.1333:
	s_or_b32 exec_lo, exec_lo, s27
                                        ; implicit-def: $vgpr3
.LBB241_1334:
	s_and_not1_saveexec_b32 s25, s25
; %bb.1335:
	v_mov_b32_e32 v2, 0x7f
	v_cmp_lt_u32_e32 vcc_lo, 0x7f800000, v3
	s_delay_alu instid0(VALU_DEP_2)
	v_cndmask_b32_e32 v2, 0x7c, v2, vcc_lo
; %bb.1336:
	s_or_b32 exec_lo, exec_lo, s25
	s_mov_b32 s25, 0
	s_mov_b32 s27, -1
	s_branch .LBB241_1338
.LBB241_1337:
	s_mov_b32 s25, -1
                                        ; implicit-def: $vgpr2
.LBB241_1338:
	s_mov_b32 s28, 0
.LBB241_1339:
	s_delay_alu instid0(SALU_CYCLE_1)
	s_and_b32 vcc_lo, exec_lo, s28
	s_cbranch_vccz .LBB241_1381
; %bb.1340:
	s_cmp_lt_i32 s24, 27
	s_cbranch_scc1 .LBB241_1351
; %bb.1341:
	s_cmp_gt_i32 s24, 27
	s_cbranch_scc0 .LBB241_1352
; %bb.1342:
	s_wait_loadcnt 0x0
	global_load_b32 v2, v[0:1], off
	s_mov_b32 s27, exec_lo
	s_wait_loadcnt 0x0
	v_cvt_f32_u32_e32 v3, v2
                                        ; implicit-def: $vgpr2
	s_wait_xcnt 0x0
	s_delay_alu instid0(VALU_DEP_1)
	v_cmpx_gt_u32_e32 0x47800000, v3
	s_xor_b32 s27, exec_lo, s27
	s_cbranch_execz .LBB241_1348
; %bb.1343:
	s_mov_b32 s28, exec_lo
                                        ; implicit-def: $vgpr2
	v_cmpx_lt_u32_e32 0x387fffff, v3
	s_xor_b32 s28, exec_lo, s28
; %bb.1344:
	v_bfe_u32 v2, v3, 21, 1
	s_delay_alu instid0(VALU_DEP_1) | instskip(NEXT) | instid1(VALU_DEP_1)
	v_add3_u32 v2, v3, v2, 0x80fffff
                                        ; implicit-def: $vgpr3
	v_lshrrev_b32_e32 v2, 21, v2
; %bb.1345:
	s_and_not1_saveexec_b32 s28, s28
; %bb.1346:
	v_add_f32_e32 v2, 0x43000000, v3
; %bb.1347:
	s_or_b32 exec_lo, exec_lo, s28
                                        ; implicit-def: $vgpr3
.LBB241_1348:
	s_and_not1_saveexec_b32 s27, s27
; %bb.1349:
	v_mov_b32_e32 v2, 0x7f
	v_cmp_lt_u32_e32 vcc_lo, 0x7f800000, v3
	s_delay_alu instid0(VALU_DEP_2)
	v_cndmask_b32_e32 v2, 0x7c, v2, vcc_lo
; %bb.1350:
	s_or_b32 exec_lo, exec_lo, s27
	s_mov_b32 s27, 0
	s_branch .LBB241_1353
.LBB241_1351:
	s_mov_b32 s27, -1
                                        ; implicit-def: $vgpr2
	s_branch .LBB241_1364
.LBB241_1352:
	s_mov_b32 s27, -1
                                        ; implicit-def: $vgpr2
.LBB241_1353:
	s_delay_alu instid0(SALU_CYCLE_1)
	s_and_b32 vcc_lo, exec_lo, s27
	s_cbranch_vccz .LBB241_1363
; %bb.1354:
	s_wait_loadcnt 0x0
	global_load_u16 v2, v[0:1], off
	s_mov_b32 s27, exec_lo
	s_wait_loadcnt 0x0
	v_cvt_f32_u32_e32 v3, v2
                                        ; implicit-def: $vgpr2
	s_wait_xcnt 0x0
	s_delay_alu instid0(VALU_DEP_1)
	v_cmpx_gt_u32_e32 0x47800000, v3
	s_xor_b32 s27, exec_lo, s27
	s_cbranch_execz .LBB241_1360
; %bb.1355:
	s_mov_b32 s28, exec_lo
                                        ; implicit-def: $vgpr2
	v_cmpx_lt_u32_e32 0x387fffff, v3
	s_xor_b32 s28, exec_lo, s28
; %bb.1356:
	v_bfe_u32 v2, v3, 21, 1
	s_delay_alu instid0(VALU_DEP_1) | instskip(NEXT) | instid1(VALU_DEP_1)
	v_add3_u32 v2, v3, v2, 0x80fffff
                                        ; implicit-def: $vgpr3
	v_lshrrev_b32_e32 v2, 21, v2
; %bb.1357:
	s_and_not1_saveexec_b32 s28, s28
; %bb.1358:
	v_add_f32_e32 v2, 0x43000000, v3
; %bb.1359:
	s_or_b32 exec_lo, exec_lo, s28
                                        ; implicit-def: $vgpr3
.LBB241_1360:
	s_and_not1_saveexec_b32 s27, s27
; %bb.1361:
	v_mov_b32_e32 v2, 0x7f
	v_cmp_lt_u32_e32 vcc_lo, 0x7f800000, v3
	s_delay_alu instid0(VALU_DEP_2)
	v_cndmask_b32_e32 v2, 0x7c, v2, vcc_lo
; %bb.1362:
	s_or_b32 exec_lo, exec_lo, s27
.LBB241_1363:
	s_mov_b32 s27, 0
.LBB241_1364:
	s_delay_alu instid0(SALU_CYCLE_1)
	s_and_not1_b32 vcc_lo, exec_lo, s27
	s_cbranch_vccnz .LBB241_1380
; %bb.1365:
	global_load_u8 v3, v[0:1], off
	s_mov_b32 s27, 0
	s_mov_b32 s28, exec_lo
	s_wait_loadcnt 0x0
	v_cmpx_lt_i16_e32 0x7f, v3
	s_xor_b32 s28, exec_lo, s28
	s_cbranch_execz .LBB241_1402
; %bb.1366:
	s_mov_b32 s27, -1
	s_mov_b32 s29, exec_lo
	v_cmpx_eq_u16_e32 0x80, v3
; %bb.1367:
	s_xor_b32 s27, exec_lo, -1
; %bb.1368:
	s_or_b32 exec_lo, exec_lo, s29
	s_delay_alu instid0(SALU_CYCLE_1)
	s_and_b32 s27, s27, exec_lo
	s_or_saveexec_b32 s28, s28
	v_mov_b32_e32 v2, 0x7f800001
	s_xor_b32 exec_lo, exec_lo, s28
	s_cbranch_execnz .LBB241_1403
.LBB241_1369:
	s_or_b32 exec_lo, exec_lo, s28
	s_and_saveexec_b32 s28, s27
	s_cbranch_execz .LBB241_1371
.LBB241_1370:
	v_and_b32_e32 v2, 0xffff, v3
	s_delay_alu instid0(VALU_DEP_1) | instskip(SKIP_1) | instid1(VALU_DEP_2)
	v_dual_lshlrev_b32 v3, 24, v3 :: v_dual_bitop2_b32 v5, 7, v2 bitop3:0x40
	v_bfe_u32 v8, v2, 3, 4
	v_and_b32_e32 v3, 0x80000000, v3
	s_delay_alu instid0(VALU_DEP_3) | instskip(NEXT) | instid1(VALU_DEP_3)
	v_clz_i32_u32_e32 v6, v5
	v_cmp_eq_u32_e32 vcc_lo, 0, v8
	s_delay_alu instid0(VALU_DEP_2) | instskip(NEXT) | instid1(VALU_DEP_1)
	v_min_u32_e32 v6, 32, v6
	v_subrev_nc_u32_e32 v7, 28, v6
	v_sub_nc_u32_e32 v6, 29, v6
	s_delay_alu instid0(VALU_DEP_2) | instskip(NEXT) | instid1(VALU_DEP_2)
	v_lshlrev_b32_e32 v2, v7, v2
	v_cndmask_b32_e32 v6, v8, v6, vcc_lo
	s_delay_alu instid0(VALU_DEP_2) | instskip(NEXT) | instid1(VALU_DEP_1)
	v_and_b32_e32 v2, 7, v2
	v_cndmask_b32_e32 v2, v5, v2, vcc_lo
	s_delay_alu instid0(VALU_DEP_3) | instskip(NEXT) | instid1(VALU_DEP_2)
	v_lshl_add_u32 v5, v6, 23, 0x3b800000
	v_lshlrev_b32_e32 v2, 20, v2
	s_delay_alu instid0(VALU_DEP_1)
	v_or3_b32 v2, v3, v5, v2
.LBB241_1371:
	s_or_b32 exec_lo, exec_lo, s28
	s_delay_alu instid0(VALU_DEP_1) | instskip(SKIP_1) | instid1(VALU_DEP_1)
	v_and_b32_e32 v5, 0x7fffffff, v2
	s_mov_b32 s27, exec_lo
                                        ; implicit-def: $vgpr3
	v_cmpx_gt_u32_e32 0x47800000, v5
	s_xor_b32 s27, exec_lo, s27
	s_cbranch_execz .LBB241_1377
; %bb.1372:
	s_mov_b32 s28, exec_lo
                                        ; implicit-def: $vgpr3
	v_cmpx_lt_u32_e32 0x387fffff, v5
	s_xor_b32 s28, exec_lo, s28
; %bb.1373:
	v_bfe_u32 v3, v2, 21, 1
	s_delay_alu instid0(VALU_DEP_1) | instskip(NEXT) | instid1(VALU_DEP_1)
	v_add3_u32 v3, v2, v3, 0x80fffff
	v_lshrrev_b32_e32 v3, 21, v3
; %bb.1374:
	s_and_not1_saveexec_b32 s28, s28
; %bb.1375:
	v_add_f32_e64 v3, 0x43000000, |v2|
; %bb.1376:
	s_or_b32 exec_lo, exec_lo, s28
                                        ; implicit-def: $vgpr5
.LBB241_1377:
	s_and_not1_saveexec_b32 s27, s27
; %bb.1378:
	v_mov_b32_e32 v3, 0x7f
	v_cmp_lt_u32_e32 vcc_lo, 0x7f800000, v5
	s_delay_alu instid0(VALU_DEP_2)
	v_cndmask_b32_e32 v3, 0x7c, v3, vcc_lo
; %bb.1379:
	s_or_b32 exec_lo, exec_lo, s27
	v_lshrrev_b32_e32 v2, 24, v2
	s_delay_alu instid0(VALU_DEP_1)
	v_and_or_b32 v2, 0x80, v2, v3
.LBB241_1380:
	s_mov_b32 s27, -1
.LBB241_1381:
	s_mov_b32 s28, 0
.LBB241_1382:
	s_delay_alu instid0(SALU_CYCLE_1)
	s_and_b32 vcc_lo, exec_lo, s28
	s_cbranch_vccz .LBB241_1438
; %bb.1383:
	s_cmp_gt_i32 s24, 22
	s_cbranch_scc0 .LBB241_1401
; %bb.1384:
	s_cmp_lt_i32 s24, 24
	s_cbranch_scc1 .LBB241_1404
; %bb.1385:
	s_cmp_gt_i32 s24, 24
	s_cbranch_scc0 .LBB241_1405
; %bb.1386:
	global_load_u8 v3, v[0:1], off
	s_mov_b32 s27, exec_lo
	s_wait_loadcnt 0x0
	v_cmpx_lt_i16_e32 0x7f, v3
	s_xor_b32 s27, exec_lo, s27
	s_cbranch_execz .LBB241_1433
; %bb.1387:
	s_mov_b32 s26, -1
	s_mov_b32 s28, exec_lo
	v_cmpx_eq_u16_e32 0x80, v3
; %bb.1388:
	s_xor_b32 s26, exec_lo, -1
; %bb.1389:
	s_or_b32 exec_lo, exec_lo, s28
	s_delay_alu instid0(SALU_CYCLE_1)
	s_and_b32 s26, s26, exec_lo
	s_or_saveexec_b32 s27, s27
	v_mov_b32_e32 v2, 0x7f800001
	s_xor_b32 exec_lo, exec_lo, s27
	s_cbranch_execnz .LBB241_1434
.LBB241_1390:
	s_or_b32 exec_lo, exec_lo, s27
	s_and_saveexec_b32 s27, s26
	s_cbranch_execz .LBB241_1392
.LBB241_1391:
	v_and_b32_e32 v2, 0xffff, v3
	s_delay_alu instid0(VALU_DEP_1) | instskip(SKIP_1) | instid1(VALU_DEP_2)
	v_dual_lshlrev_b32 v3, 24, v3 :: v_dual_bitop2_b32 v5, 3, v2 bitop3:0x40
	v_bfe_u32 v8, v2, 2, 5
	v_and_b32_e32 v3, 0x80000000, v3
	s_delay_alu instid0(VALU_DEP_3) | instskip(NEXT) | instid1(VALU_DEP_3)
	v_clz_i32_u32_e32 v6, v5
	v_cmp_eq_u32_e32 vcc_lo, 0, v8
	s_delay_alu instid0(VALU_DEP_2) | instskip(NEXT) | instid1(VALU_DEP_1)
	v_min_u32_e32 v6, 32, v6
	v_subrev_nc_u32_e32 v7, 29, v6
	v_sub_nc_u32_e32 v6, 30, v6
	s_delay_alu instid0(VALU_DEP_2) | instskip(NEXT) | instid1(VALU_DEP_2)
	v_lshlrev_b32_e32 v2, v7, v2
	v_cndmask_b32_e32 v6, v8, v6, vcc_lo
	s_delay_alu instid0(VALU_DEP_2) | instskip(NEXT) | instid1(VALU_DEP_1)
	v_and_b32_e32 v2, 3, v2
	v_cndmask_b32_e32 v2, v5, v2, vcc_lo
	s_delay_alu instid0(VALU_DEP_3) | instskip(NEXT) | instid1(VALU_DEP_2)
	v_lshl_add_u32 v5, v6, 23, 0x37800000
	v_lshlrev_b32_e32 v2, 21, v2
	s_delay_alu instid0(VALU_DEP_1)
	v_or3_b32 v2, v3, v5, v2
.LBB241_1392:
	s_or_b32 exec_lo, exec_lo, s27
	s_delay_alu instid0(VALU_DEP_1) | instskip(SKIP_1) | instid1(VALU_DEP_1)
	v_and_b32_e32 v5, 0x7fffffff, v2
	s_mov_b32 s26, exec_lo
                                        ; implicit-def: $vgpr3
	v_cmpx_gt_u32_e32 0x47800000, v5
	s_xor_b32 s26, exec_lo, s26
	s_cbranch_execz .LBB241_1398
; %bb.1393:
	s_mov_b32 s27, exec_lo
                                        ; implicit-def: $vgpr3
	v_cmpx_lt_u32_e32 0x387fffff, v5
	s_xor_b32 s27, exec_lo, s27
; %bb.1394:
	v_bfe_u32 v3, v2, 21, 1
	s_delay_alu instid0(VALU_DEP_1) | instskip(NEXT) | instid1(VALU_DEP_1)
	v_add3_u32 v3, v2, v3, 0x80fffff
	v_lshrrev_b32_e32 v3, 21, v3
; %bb.1395:
	s_and_not1_saveexec_b32 s27, s27
; %bb.1396:
	v_add_f32_e64 v3, 0x43000000, |v2|
; %bb.1397:
	s_or_b32 exec_lo, exec_lo, s27
                                        ; implicit-def: $vgpr5
.LBB241_1398:
	s_and_not1_saveexec_b32 s26, s26
; %bb.1399:
	v_mov_b32_e32 v3, 0x7f
	v_cmp_lt_u32_e32 vcc_lo, 0x7f800000, v5
	s_delay_alu instid0(VALU_DEP_2)
	v_cndmask_b32_e32 v3, 0x7c, v3, vcc_lo
; %bb.1400:
	s_or_b32 exec_lo, exec_lo, s26
	v_lshrrev_b32_e32 v2, 24, v2
	s_mov_b32 s26, 0
	s_delay_alu instid0(VALU_DEP_1)
	v_and_or_b32 v2, 0x80, v2, v3
	s_branch .LBB241_1406
.LBB241_1401:
	s_mov_b32 s26, -1
                                        ; implicit-def: $vgpr2
	s_branch .LBB241_1420
.LBB241_1402:
	s_or_saveexec_b32 s28, s28
	v_mov_b32_e32 v2, 0x7f800001
	s_xor_b32 exec_lo, exec_lo, s28
	s_cbranch_execz .LBB241_1369
.LBB241_1403:
	v_cmp_ne_u16_e32 vcc_lo, 0, v3
	v_mov_b32_e32 v2, 0
	s_and_not1_b32 s27, s27, exec_lo
	s_and_b32 s29, vcc_lo, exec_lo
	s_delay_alu instid0(SALU_CYCLE_1)
	s_or_b32 s27, s27, s29
	s_or_b32 exec_lo, exec_lo, s28
	s_and_saveexec_b32 s28, s27
	s_cbranch_execnz .LBB241_1370
	s_branch .LBB241_1371
.LBB241_1404:
	s_mov_b32 s26, -1
                                        ; implicit-def: $vgpr2
	s_branch .LBB241_1417
.LBB241_1405:
	s_mov_b32 s26, -1
                                        ; implicit-def: $vgpr2
.LBB241_1406:
	s_delay_alu instid0(SALU_CYCLE_1)
	s_and_b32 vcc_lo, exec_lo, s26
	s_cbranch_vccz .LBB241_1416
; %bb.1407:
	s_wait_loadcnt 0x0
	global_load_u8 v2, v[0:1], off
	s_mov_b32 s26, exec_lo
	s_wait_loadcnt 0x0
	v_lshlrev_b32_e32 v2, 24, v2
	s_delay_alu instid0(VALU_DEP_1) | instskip(NEXT) | instid1(VALU_DEP_1)
	v_and_b32_e32 v3, 0x7f000000, v2
	v_clz_i32_u32_e32 v5, v3
	v_cmp_ne_u32_e32 vcc_lo, 0, v3
	v_add_nc_u32_e32 v7, 0x1000000, v3
	s_delay_alu instid0(VALU_DEP_3) | instskip(NEXT) | instid1(VALU_DEP_1)
	v_min_u32_e32 v5, 32, v5
	v_sub_nc_u32_e64 v5, v5, 4 clamp
	s_delay_alu instid0(VALU_DEP_1) | instskip(NEXT) | instid1(VALU_DEP_1)
	v_lshlrev_b32_e32 v6, v5, v3
                                        ; implicit-def: $vgpr3
	v_dual_lshlrev_b32 v5, 23, v5 :: v_dual_lshrrev_b32 v6, 4, v6
	s_delay_alu instid0(VALU_DEP_1) | instskip(NEXT) | instid1(VALU_DEP_1)
	v_dual_sub_nc_u32 v5, v6, v5 :: v_dual_ashrrev_i32 v6, 8, v7
	v_add_nc_u32_e32 v5, 0x3c000000, v5
	s_delay_alu instid0(VALU_DEP_1) | instskip(NEXT) | instid1(VALU_DEP_1)
	v_and_or_b32 v5, 0x7f800000, v6, v5
	v_cndmask_b32_e32 v6, 0, v5, vcc_lo
	s_delay_alu instid0(VALU_DEP_1) | instskip(NEXT) | instid1(VALU_DEP_1)
	v_and_or_b32 v2, 0x80000000, v2, v6
	v_and_b32_e32 v5, 0x7fffffff, v2
	s_wait_xcnt 0x0
	s_delay_alu instid0(VALU_DEP_1)
	v_cmpx_gt_u32_e32 0x47800000, v5
	s_xor_b32 s26, exec_lo, s26
	s_cbranch_execz .LBB241_1413
; %bb.1408:
	s_mov_b32 s27, exec_lo
                                        ; implicit-def: $vgpr3
	v_cmpx_lt_u32_e32 0x387fffff, v5
	s_xor_b32 s27, exec_lo, s27
; %bb.1409:
	v_bfe_u32 v3, v6, 21, 1
	s_delay_alu instid0(VALU_DEP_1) | instskip(NEXT) | instid1(VALU_DEP_1)
	v_add3_u32 v3, v2, v3, 0x80fffff
	v_lshrrev_b32_e32 v3, 21, v3
; %bb.1410:
	s_and_not1_saveexec_b32 s27, s27
; %bb.1411:
	v_add_f32_e64 v3, 0x43000000, |v2|
; %bb.1412:
	s_or_b32 exec_lo, exec_lo, s27
                                        ; implicit-def: $vgpr5
.LBB241_1413:
	s_and_not1_saveexec_b32 s26, s26
; %bb.1414:
	v_mov_b32_e32 v3, 0x7f
	v_cmp_lt_u32_e32 vcc_lo, 0x7f800000, v5
	s_delay_alu instid0(VALU_DEP_2)
	v_cndmask_b32_e32 v3, 0x7c, v3, vcc_lo
; %bb.1415:
	s_or_b32 exec_lo, exec_lo, s26
	v_lshrrev_b32_e32 v2, 24, v2
	s_delay_alu instid0(VALU_DEP_1)
	v_and_or_b32 v2, 0x80, v2, v3
.LBB241_1416:
	s_mov_b32 s26, 0
.LBB241_1417:
	s_delay_alu instid0(SALU_CYCLE_1)
	s_and_not1_b32 vcc_lo, exec_lo, s26
	s_cbranch_vccnz .LBB241_1419
; %bb.1418:
	s_wait_loadcnt 0x0
	global_load_u8 v2, v[0:1], off
.LBB241_1419:
	s_mov_b32 s26, 0
	s_mov_b32 s27, -1
.LBB241_1420:
	s_and_not1_b32 vcc_lo, exec_lo, s26
	s_mov_b32 s26, 0
	s_cbranch_vccnz .LBB241_1438
; %bb.1421:
	s_cmp_gt_i32 s24, 14
	s_cbranch_scc0 .LBB241_1432
; %bb.1422:
	s_cmp_eq_u32 s24, 15
	s_cbranch_scc0 .LBB241_1435
; %bb.1423:
	s_wait_loadcnt 0x0
	global_load_u16 v2, v[0:1], off
	s_mov_b32 s25, exec_lo
                                        ; implicit-def: $vgpr3
	s_wait_loadcnt 0x0
	v_lshlrev_b32_e32 v5, 16, v2
	s_delay_alu instid0(VALU_DEP_1) | instskip(SKIP_1) | instid1(VALU_DEP_1)
	v_and_b32_e32 v6, 0x7fffffff, v5
	s_wait_xcnt 0x0
	v_cmpx_gt_u32_e32 0x47800000, v6
	s_xor_b32 s25, exec_lo, s25
	s_cbranch_execz .LBB241_1429
; %bb.1424:
	s_mov_b32 s26, exec_lo
                                        ; implicit-def: $vgpr3
	v_cmpx_lt_u32_e32 0x387fffff, v6
	s_xor_b32 s26, exec_lo, s26
; %bb.1425:
	v_bfe_u32 v3, v2, 5, 1
	s_delay_alu instid0(VALU_DEP_1) | instskip(NEXT) | instid1(VALU_DEP_1)
	v_add3_u32 v3, v5, v3, 0x80fffff
                                        ; implicit-def: $vgpr5
	v_lshrrev_b32_e32 v3, 21, v3
; %bb.1426:
	s_and_not1_saveexec_b32 s26, s26
; %bb.1427:
	v_add_f32_e64 v3, 0x43000000, |v5|
; %bb.1428:
	s_or_b32 exec_lo, exec_lo, s26
                                        ; implicit-def: $vgpr6
.LBB241_1429:
	s_and_not1_saveexec_b32 s25, s25
; %bb.1430:
	v_mov_b32_e32 v3, 0x7f
	v_cmp_lt_u32_e32 vcc_lo, 0x7f800000, v6
	s_delay_alu instid0(VALU_DEP_2)
	v_cndmask_b32_e32 v3, 0x7c, v3, vcc_lo
; %bb.1431:
	s_or_b32 exec_lo, exec_lo, s25
	v_lshrrev_b32_e32 v2, 8, v2
	s_mov_b32 s25, 0
	s_mov_b32 s27, -1
	s_mov_b32 s26, 0
	s_delay_alu instid0(VALU_DEP_1)
	v_and_or_b32 v2, 0x80, v2, v3
	s_branch .LBB241_1436
.LBB241_1432:
	s_mov_b32 s26, -1
                                        ; implicit-def: $vgpr2
	s_branch .LBB241_1436
.LBB241_1433:
	s_or_saveexec_b32 s27, s27
	v_mov_b32_e32 v2, 0x7f800001
	s_xor_b32 exec_lo, exec_lo, s27
	s_cbranch_execz .LBB241_1390
.LBB241_1434:
	v_cmp_ne_u16_e32 vcc_lo, 0, v3
	v_mov_b32_e32 v2, 0
	s_and_not1_b32 s26, s26, exec_lo
	s_and_b32 s28, vcc_lo, exec_lo
	s_delay_alu instid0(SALU_CYCLE_1)
	s_or_b32 s26, s26, s28
	s_or_b32 exec_lo, exec_lo, s27
	s_and_saveexec_b32 s27, s26
	s_cbranch_execnz .LBB241_1391
	s_branch .LBB241_1392
.LBB241_1435:
	s_mov_b32 s25, -1
                                        ; implicit-def: $vgpr2
	s_mov_b32 s26, 0
.LBB241_1436:
	s_delay_alu instid0(SALU_CYCLE_1)
	s_and_b32 vcc_lo, exec_lo, s26
	s_mov_b32 s26, 0
	s_cbranch_vccz .LBB241_1438
; %bb.1437:
	s_cmp_lg_u32 s24, 11
	s_mov_b32 s26, -1
	s_cselect_b32 s24, -1, 0
	s_and_not1_b32 s25, s25, exec_lo
	s_and_b32 s24, s24, exec_lo
	s_delay_alu instid0(SALU_CYCLE_1)
	s_or_b32 s25, s25, s24
.LBB241_1438:
	s_mov_b32 s24, 0
.LBB241_1439:
	s_and_not1_b32 s28, s1, exec_lo
	s_and_b32 s25, s25, exec_lo
	s_and_b32 s29, s27, exec_lo
	;; [unrolled: 1-line block ×4, first 2 shown]
	s_or_b32 s28, s28, s25
.LBB241_1440:
	s_wait_xcnt 0x0
	s_or_b32 exec_lo, exec_lo, s16
	s_delay_alu instid0(SALU_CYCLE_1)
	s_and_not1_b32 s1, s1, exec_lo
	s_and_b32 s16, s28, exec_lo
	s_and_b32 s26, s29, exec_lo
	;; [unrolled: 1-line block ×4, first 2 shown]
	s_or_b32 s1, s1, s16
.LBB241_1441:
	s_or_b32 exec_lo, exec_lo, s23
	s_delay_alu instid0(SALU_CYCLE_1)
	s_and_not1_b32 s16, s21, exec_lo
	s_and_b32 s2, s2, exec_lo
	s_and_b32 s23, s25, exec_lo
	s_or_b32 s21, s16, s2
	s_and_not1_b32 s16, s20, exec_lo
	s_and_b32 s20, s1, exec_lo
	s_and_b32 s2, s26, exec_lo
	;; [unrolled: 1-line block ×3, first 2 shown]
	s_or_b32 s20, s16, s20
.LBB241_1442:
	s_or_b32 exec_lo, exec_lo, s22
	s_delay_alu instid0(SALU_CYCLE_1)
	s_and_not1_b32 s16, s17, exec_lo
	s_and_b32 s17, s21, exec_lo
	s_and_b32 s2, s2, exec_lo
	s_or_b32 s17, s16, s17
	s_and_not1_b32 s16, s18, exec_lo
	s_and_b32 s18, s20, exec_lo
	s_and_b32 s21, s23, exec_lo
	;; [unrolled: 1-line block ×3, first 2 shown]
	s_or_b32 s18, s16, s18
	s_or_b32 exec_lo, exec_lo, s19
	s_mov_b32 s1, 0
	s_and_saveexec_b32 s16, s18
	s_cbranch_execz .LBB241_437
.LBB241_1443:
	s_mov_b32 s1, exec_lo
	s_and_not1_b32 s20, s20, exec_lo
	s_trap 2
	s_or_b32 exec_lo, exec_lo, s16
	s_and_saveexec_b32 s16, s20
	s_cbranch_execnz .LBB241_438
.LBB241_1444:
	s_or_b32 exec_lo, exec_lo, s16
	s_and_saveexec_b32 s16, s21
	s_cbranch_execz .LBB241_1578
.LBB241_1445:
	s_sext_i32_i16 s18, s13
	s_delay_alu instid0(SALU_CYCLE_1)
	s_cmp_lt_i32 s18, 5
	s_cbranch_scc1 .LBB241_1458
; %bb.1446:
	s_cmp_lt_i32 s18, 8
	s_cbranch_scc1 .LBB241_1459
; %bb.1447:
	;; [unrolled: 3-line block ×3, first 2 shown]
	s_cmp_gt_i32 s18, 9
	s_cbranch_scc0 .LBB241_1461
; %bb.1449:
	s_wait_loadcnt 0x0
	global_load_b64 v[2:3], v[0:1], off
	s_mov_b32 s18, exec_lo
	s_wait_loadcnt 0x0
	v_cvt_f32_f64_e32 v2, v[2:3]
                                        ; implicit-def: $vgpr3
	s_delay_alu instid0(VALU_DEP_1) | instskip(SKIP_1) | instid1(VALU_DEP_1)
	v_and_b32_e32 v5, 0x7fffffff, v2
	s_wait_xcnt 0x0
	v_cmpx_gt_u32_e32 0x47800000, v5
	s_xor_b32 s18, exec_lo, s18
	s_cbranch_execz .LBB241_1455
; %bb.1450:
	s_mov_b32 s19, exec_lo
                                        ; implicit-def: $vgpr3
	v_cmpx_lt_u32_e32 0x387fffff, v5
	s_xor_b32 s19, exec_lo, s19
; %bb.1451:
	v_bfe_u32 v3, v2, 21, 1
	s_delay_alu instid0(VALU_DEP_1) | instskip(NEXT) | instid1(VALU_DEP_1)
	v_add3_u32 v3, v2, v3, 0x80fffff
	v_lshrrev_b32_e32 v3, 21, v3
; %bb.1452:
	s_and_not1_saveexec_b32 s19, s19
; %bb.1453:
	v_add_f32_e64 v3, 0x43000000, |v2|
; %bb.1454:
	s_or_b32 exec_lo, exec_lo, s19
                                        ; implicit-def: $vgpr5
.LBB241_1455:
	s_and_not1_saveexec_b32 s18, s18
; %bb.1456:
	v_mov_b32_e32 v3, 0x7f
	v_cmp_lt_u32_e32 vcc_lo, 0x7f800000, v5
	s_delay_alu instid0(VALU_DEP_2)
	v_cndmask_b32_e32 v3, 0x7c, v3, vcc_lo
; %bb.1457:
	s_or_b32 exec_lo, exec_lo, s18
	v_lshrrev_b32_e32 v2, 24, v2
	s_mov_b32 s18, 0
	s_delay_alu instid0(VALU_DEP_1)
	v_and_or_b32 v2, 0x80, v2, v3
	s_branch .LBB241_1462
.LBB241_1458:
                                        ; implicit-def: $vgpr2
	s_branch .LBB241_1519
.LBB241_1459:
                                        ; implicit-def: $vgpr2
	s_branch .LBB241_1484
.LBB241_1460:
	s_mov_b32 s18, -1
                                        ; implicit-def: $vgpr2
	s_branch .LBB241_1473
.LBB241_1461:
	s_mov_b32 s18, -1
                                        ; implicit-def: $vgpr2
.LBB241_1462:
	s_delay_alu instid0(SALU_CYCLE_1)
	s_and_b32 vcc_lo, exec_lo, s18
	s_cbranch_vccz .LBB241_1472
; %bb.1463:
	s_wait_loadcnt 0x0
	global_load_b32 v2, v[0:1], off
	s_mov_b32 s18, exec_lo
                                        ; implicit-def: $vgpr3
	s_wait_loadcnt 0x0
	v_and_b32_e32 v5, 0x7fffffff, v2
	s_wait_xcnt 0x0
	s_delay_alu instid0(VALU_DEP_1)
	v_cmpx_gt_u32_e32 0x47800000, v5
	s_xor_b32 s18, exec_lo, s18
	s_cbranch_execz .LBB241_1469
; %bb.1464:
	s_mov_b32 s19, exec_lo
                                        ; implicit-def: $vgpr3
	v_cmpx_lt_u32_e32 0x387fffff, v5
	s_xor_b32 s19, exec_lo, s19
; %bb.1465:
	v_bfe_u32 v3, v2, 21, 1
	s_delay_alu instid0(VALU_DEP_1) | instskip(NEXT) | instid1(VALU_DEP_1)
	v_add3_u32 v3, v2, v3, 0x80fffff
	v_lshrrev_b32_e32 v3, 21, v3
; %bb.1466:
	s_and_not1_saveexec_b32 s19, s19
; %bb.1467:
	v_add_f32_e64 v3, 0x43000000, |v2|
; %bb.1468:
	s_or_b32 exec_lo, exec_lo, s19
                                        ; implicit-def: $vgpr5
.LBB241_1469:
	s_and_not1_saveexec_b32 s18, s18
; %bb.1470:
	v_mov_b32_e32 v3, 0x7f
	v_cmp_lt_u32_e32 vcc_lo, 0x7f800000, v5
	s_delay_alu instid0(VALU_DEP_2)
	v_cndmask_b32_e32 v3, 0x7c, v3, vcc_lo
; %bb.1471:
	s_or_b32 exec_lo, exec_lo, s18
	v_lshrrev_b32_e32 v2, 24, v2
	s_delay_alu instid0(VALU_DEP_1)
	v_and_or_b32 v2, 0x80, v2, v3
.LBB241_1472:
	s_mov_b32 s18, 0
.LBB241_1473:
	s_delay_alu instid0(SALU_CYCLE_1)
	s_and_not1_b32 vcc_lo, exec_lo, s18
	s_cbranch_vccnz .LBB241_1483
; %bb.1474:
	s_wait_loadcnt 0x0
	global_load_b32 v2, v[0:1], off
	s_mov_b32 s18, exec_lo
                                        ; implicit-def: $vgpr3
	s_wait_loadcnt 0x0
	v_cvt_f32_f16_e32 v2, v2
	s_delay_alu instid0(VALU_DEP_1) | instskip(SKIP_1) | instid1(VALU_DEP_1)
	v_and_b32_e32 v5, 0x7fffffff, v2
	s_wait_xcnt 0x0
	v_cmpx_gt_u32_e32 0x47800000, v5
	s_xor_b32 s18, exec_lo, s18
	s_cbranch_execz .LBB241_1480
; %bb.1475:
	s_mov_b32 s19, exec_lo
                                        ; implicit-def: $vgpr3
	v_cmpx_lt_u32_e32 0x387fffff, v5
	s_xor_b32 s19, exec_lo, s19
; %bb.1476:
	v_bfe_u32 v3, v2, 21, 1
	s_delay_alu instid0(VALU_DEP_1) | instskip(NEXT) | instid1(VALU_DEP_1)
	v_add3_u32 v3, v2, v3, 0x80fffff
	v_lshrrev_b32_e32 v3, 21, v3
; %bb.1477:
	s_and_not1_saveexec_b32 s19, s19
; %bb.1478:
	v_add_f32_e64 v3, 0x43000000, |v2|
; %bb.1479:
	s_or_b32 exec_lo, exec_lo, s19
                                        ; implicit-def: $vgpr5
.LBB241_1480:
	s_and_not1_saveexec_b32 s18, s18
; %bb.1481:
	v_mov_b32_e32 v3, 0x7f
	v_cmp_lt_u32_e32 vcc_lo, 0x7f800000, v5
	s_delay_alu instid0(VALU_DEP_2)
	v_cndmask_b32_e32 v3, 0x7c, v3, vcc_lo
; %bb.1482:
	s_or_b32 exec_lo, exec_lo, s18
	v_lshrrev_b32_e32 v2, 24, v2
	s_delay_alu instid0(VALU_DEP_1)
	v_and_or_b32 v2, 0x80, v2, v3
.LBB241_1483:
	s_cbranch_execnz .LBB241_1518
.LBB241_1484:
	s_sext_i32_i16 s18, s13
	s_delay_alu instid0(SALU_CYCLE_1)
	s_cmp_lt_i32 s18, 6
	s_cbranch_scc1 .LBB241_1495
; %bb.1485:
	s_cmp_gt_i32 s18, 6
	s_cbranch_scc0 .LBB241_1496
; %bb.1486:
	s_wait_loadcnt 0x0
	global_load_b64 v[2:3], v[0:1], off
	s_mov_b32 s18, exec_lo
	s_wait_loadcnt 0x0
	v_cvt_f32_f64_e32 v2, v[2:3]
                                        ; implicit-def: $vgpr3
	s_delay_alu instid0(VALU_DEP_1) | instskip(SKIP_1) | instid1(VALU_DEP_1)
	v_and_b32_e32 v5, 0x7fffffff, v2
	s_wait_xcnt 0x0
	v_cmpx_gt_u32_e32 0x47800000, v5
	s_xor_b32 s18, exec_lo, s18
	s_cbranch_execz .LBB241_1492
; %bb.1487:
	s_mov_b32 s19, exec_lo
                                        ; implicit-def: $vgpr3
	v_cmpx_lt_u32_e32 0x387fffff, v5
	s_xor_b32 s19, exec_lo, s19
; %bb.1488:
	v_bfe_u32 v3, v2, 21, 1
	s_delay_alu instid0(VALU_DEP_1) | instskip(NEXT) | instid1(VALU_DEP_1)
	v_add3_u32 v3, v2, v3, 0x80fffff
	v_lshrrev_b32_e32 v3, 21, v3
; %bb.1489:
	s_and_not1_saveexec_b32 s19, s19
; %bb.1490:
	v_add_f32_e64 v3, 0x43000000, |v2|
; %bb.1491:
	s_or_b32 exec_lo, exec_lo, s19
                                        ; implicit-def: $vgpr5
.LBB241_1492:
	s_and_not1_saveexec_b32 s18, s18
; %bb.1493:
	v_mov_b32_e32 v3, 0x7f
	v_cmp_lt_u32_e32 vcc_lo, 0x7f800000, v5
	s_delay_alu instid0(VALU_DEP_2)
	v_cndmask_b32_e32 v3, 0x7c, v3, vcc_lo
; %bb.1494:
	s_or_b32 exec_lo, exec_lo, s18
	v_lshrrev_b32_e32 v2, 24, v2
	s_mov_b32 s18, 0
	s_delay_alu instid0(VALU_DEP_1)
	v_and_or_b32 v2, 0x80, v2, v3
	s_branch .LBB241_1497
.LBB241_1495:
	s_mov_b32 s18, -1
                                        ; implicit-def: $vgpr2
	s_branch .LBB241_1508
.LBB241_1496:
	s_mov_b32 s18, -1
                                        ; implicit-def: $vgpr2
.LBB241_1497:
	s_delay_alu instid0(SALU_CYCLE_1)
	s_and_b32 vcc_lo, exec_lo, s18
	s_cbranch_vccz .LBB241_1507
; %bb.1498:
	s_wait_loadcnt 0x0
	global_load_b32 v2, v[0:1], off
	s_mov_b32 s18, exec_lo
                                        ; implicit-def: $vgpr3
	s_wait_loadcnt 0x0
	v_and_b32_e32 v5, 0x7fffffff, v2
	s_wait_xcnt 0x0
	s_delay_alu instid0(VALU_DEP_1)
	v_cmpx_gt_u32_e32 0x47800000, v5
	s_xor_b32 s18, exec_lo, s18
	s_cbranch_execz .LBB241_1504
; %bb.1499:
	s_mov_b32 s19, exec_lo
                                        ; implicit-def: $vgpr3
	v_cmpx_lt_u32_e32 0x387fffff, v5
	s_xor_b32 s19, exec_lo, s19
; %bb.1500:
	v_bfe_u32 v3, v2, 21, 1
	s_delay_alu instid0(VALU_DEP_1) | instskip(NEXT) | instid1(VALU_DEP_1)
	v_add3_u32 v3, v2, v3, 0x80fffff
	v_lshrrev_b32_e32 v3, 21, v3
; %bb.1501:
	s_and_not1_saveexec_b32 s19, s19
; %bb.1502:
	v_add_f32_e64 v3, 0x43000000, |v2|
; %bb.1503:
	s_or_b32 exec_lo, exec_lo, s19
                                        ; implicit-def: $vgpr5
.LBB241_1504:
	s_and_not1_saveexec_b32 s18, s18
; %bb.1505:
	v_mov_b32_e32 v3, 0x7f
	v_cmp_lt_u32_e32 vcc_lo, 0x7f800000, v5
	s_delay_alu instid0(VALU_DEP_2)
	v_cndmask_b32_e32 v3, 0x7c, v3, vcc_lo
; %bb.1506:
	s_or_b32 exec_lo, exec_lo, s18
	v_lshrrev_b32_e32 v2, 24, v2
	s_delay_alu instid0(VALU_DEP_1)
	v_and_or_b32 v2, 0x80, v2, v3
.LBB241_1507:
	s_mov_b32 s18, 0
.LBB241_1508:
	s_delay_alu instid0(SALU_CYCLE_1)
	s_and_not1_b32 vcc_lo, exec_lo, s18
	s_cbranch_vccnz .LBB241_1518
; %bb.1509:
	s_wait_loadcnt 0x0
	global_load_u16 v2, v[0:1], off
	s_mov_b32 s18, exec_lo
                                        ; implicit-def: $vgpr3
	s_wait_loadcnt 0x0
	v_cvt_f32_f16_e32 v2, v2
	s_delay_alu instid0(VALU_DEP_1) | instskip(SKIP_1) | instid1(VALU_DEP_1)
	v_and_b32_e32 v5, 0x7fffffff, v2
	s_wait_xcnt 0x0
	v_cmpx_gt_u32_e32 0x47800000, v5
	s_xor_b32 s18, exec_lo, s18
	s_cbranch_execz .LBB241_1515
; %bb.1510:
	s_mov_b32 s19, exec_lo
                                        ; implicit-def: $vgpr3
	v_cmpx_lt_u32_e32 0x387fffff, v5
	s_xor_b32 s19, exec_lo, s19
; %bb.1511:
	v_bfe_u32 v3, v2, 21, 1
	s_delay_alu instid0(VALU_DEP_1) | instskip(NEXT) | instid1(VALU_DEP_1)
	v_add3_u32 v3, v2, v3, 0x80fffff
	v_lshrrev_b32_e32 v3, 21, v3
; %bb.1512:
	s_and_not1_saveexec_b32 s19, s19
; %bb.1513:
	v_add_f32_e64 v3, 0x43000000, |v2|
; %bb.1514:
	s_or_b32 exec_lo, exec_lo, s19
                                        ; implicit-def: $vgpr5
.LBB241_1515:
	s_and_not1_saveexec_b32 s18, s18
; %bb.1516:
	v_mov_b32_e32 v3, 0x7f
	v_cmp_lt_u32_e32 vcc_lo, 0x7f800000, v5
	s_delay_alu instid0(VALU_DEP_2)
	v_cndmask_b32_e32 v3, 0x7c, v3, vcc_lo
; %bb.1517:
	s_or_b32 exec_lo, exec_lo, s18
	v_lshrrev_b32_e32 v2, 24, v2
	s_delay_alu instid0(VALU_DEP_1)
	v_and_or_b32 v2, 0x80, v2, v3
.LBB241_1518:
	s_cbranch_execnz .LBB241_1577
.LBB241_1519:
	s_sext_i32_i16 s18, s13
	s_delay_alu instid0(SALU_CYCLE_1)
	s_cmp_lt_i32 s18, 2
	s_cbranch_scc1 .LBB241_1531
; %bb.1520:
	s_cmp_lt_i32 s18, 3
	s_cbranch_scc1 .LBB241_1532
; %bb.1521:
	s_cmp_gt_i32 s18, 3
	s_cbranch_scc0 .LBB241_1533
; %bb.1522:
	s_wait_loadcnt 0x0
	global_load_b64 v[2:3], v[0:1], off
	s_mov_b32 s18, exec_lo
	s_wait_loadcnt 0x0
	v_xor_b32_e32 v5, v2, v3
	v_cls_i32_e32 v6, v3
	s_delay_alu instid0(VALU_DEP_2) | instskip(NEXT) | instid1(VALU_DEP_1)
	v_ashrrev_i32_e32 v5, 31, v5
	v_add_nc_u32_e32 v5, 32, v5
	s_delay_alu instid0(VALU_DEP_1) | instskip(NEXT) | instid1(VALU_DEP_1)
	v_add_min_u32_e64 v5, v6, -1, v5
	v_lshlrev_b64_e32 v[2:3], v5, v[2:3]
	s_delay_alu instid0(VALU_DEP_1) | instskip(NEXT) | instid1(VALU_DEP_1)
	v_min_u32_e32 v2, 1, v2
	v_dual_sub_nc_u32 v3, 32, v5 :: v_dual_bitop2_b32 v2, v3, v2 bitop3:0x54
	s_delay_alu instid0(VALU_DEP_1) | instskip(NEXT) | instid1(VALU_DEP_1)
	v_cvt_f32_i32_e32 v2, v2
	v_ldexp_f32 v2, v2, v3
                                        ; implicit-def: $vgpr3
	s_delay_alu instid0(VALU_DEP_1) | instskip(SKIP_1) | instid1(VALU_DEP_1)
	v_and_b32_e32 v5, 0x7fffffff, v2
	s_wait_xcnt 0x0
	v_cmpx_gt_u32_e32 0x47800000, v5
	s_xor_b32 s18, exec_lo, s18
	s_cbranch_execz .LBB241_1528
; %bb.1523:
	s_mov_b32 s19, exec_lo
                                        ; implicit-def: $vgpr3
	v_cmpx_lt_u32_e32 0x387fffff, v5
	s_xor_b32 s19, exec_lo, s19
; %bb.1524:
	v_bfe_u32 v3, v2, 21, 1
	s_delay_alu instid0(VALU_DEP_1) | instskip(NEXT) | instid1(VALU_DEP_1)
	v_add3_u32 v3, v2, v3, 0x80fffff
	v_lshrrev_b32_e32 v3, 21, v3
; %bb.1525:
	s_and_not1_saveexec_b32 s19, s19
; %bb.1526:
	v_add_f32_e64 v3, 0x43000000, |v2|
; %bb.1527:
	s_or_b32 exec_lo, exec_lo, s19
                                        ; implicit-def: $vgpr5
.LBB241_1528:
	s_and_not1_saveexec_b32 s18, s18
; %bb.1529:
	v_mov_b32_e32 v3, 0x7f
	v_cmp_lt_u32_e32 vcc_lo, 0x7f800000, v5
	s_delay_alu instid0(VALU_DEP_2)
	v_cndmask_b32_e32 v3, 0x7c, v3, vcc_lo
; %bb.1530:
	s_or_b32 exec_lo, exec_lo, s18
	v_lshrrev_b32_e32 v2, 24, v2
	s_mov_b32 s18, 0
	s_delay_alu instid0(VALU_DEP_1)
	v_and_or_b32 v2, 0x80, v2, v3
	s_branch .LBB241_1534
.LBB241_1531:
                                        ; implicit-def: $vgpr2
	s_branch .LBB241_1556
.LBB241_1532:
	s_mov_b32 s18, -1
                                        ; implicit-def: $vgpr2
	s_branch .LBB241_1545
.LBB241_1533:
	s_mov_b32 s18, -1
                                        ; implicit-def: $vgpr2
.LBB241_1534:
	s_delay_alu instid0(SALU_CYCLE_1)
	s_and_b32 vcc_lo, exec_lo, s18
	s_cbranch_vccz .LBB241_1544
; %bb.1535:
	s_wait_loadcnt 0x0
	global_load_b32 v2, v[0:1], off
	s_mov_b32 s18, exec_lo
                                        ; implicit-def: $vgpr3
	s_wait_loadcnt 0x0
	v_cvt_f32_i32_e32 v2, v2
	s_delay_alu instid0(VALU_DEP_1) | instskip(SKIP_1) | instid1(VALU_DEP_1)
	v_and_b32_e32 v5, 0x7fffffff, v2
	s_wait_xcnt 0x0
	v_cmpx_gt_u32_e32 0x47800000, v5
	s_xor_b32 s18, exec_lo, s18
	s_cbranch_execz .LBB241_1541
; %bb.1536:
	s_mov_b32 s19, exec_lo
                                        ; implicit-def: $vgpr3
	v_cmpx_lt_u32_e32 0x387fffff, v5
	s_xor_b32 s19, exec_lo, s19
; %bb.1537:
	v_bfe_u32 v3, v2, 21, 1
	s_delay_alu instid0(VALU_DEP_1) | instskip(NEXT) | instid1(VALU_DEP_1)
	v_add3_u32 v3, v2, v3, 0x80fffff
	v_lshrrev_b32_e32 v3, 21, v3
; %bb.1538:
	s_and_not1_saveexec_b32 s19, s19
; %bb.1539:
	v_add_f32_e64 v3, 0x43000000, |v2|
; %bb.1540:
	s_or_b32 exec_lo, exec_lo, s19
                                        ; implicit-def: $vgpr5
.LBB241_1541:
	s_and_not1_saveexec_b32 s18, s18
; %bb.1542:
	v_mov_b32_e32 v3, 0x7f
	v_cmp_lt_u32_e32 vcc_lo, 0x7f800000, v5
	s_delay_alu instid0(VALU_DEP_2)
	v_cndmask_b32_e32 v3, 0x7c, v3, vcc_lo
; %bb.1543:
	s_or_b32 exec_lo, exec_lo, s18
	v_lshrrev_b32_e32 v2, 24, v2
	s_delay_alu instid0(VALU_DEP_1)
	v_and_or_b32 v2, 0x80, v2, v3
.LBB241_1544:
	s_mov_b32 s18, 0
.LBB241_1545:
	s_delay_alu instid0(SALU_CYCLE_1)
	s_and_not1_b32 vcc_lo, exec_lo, s18
	s_cbranch_vccnz .LBB241_1555
; %bb.1546:
	s_wait_loadcnt 0x0
	global_load_i16 v2, v[0:1], off
	s_mov_b32 s18, exec_lo
                                        ; implicit-def: $vgpr3
	s_wait_loadcnt 0x0
	v_cvt_f32_i32_e32 v2, v2
	s_delay_alu instid0(VALU_DEP_1) | instskip(SKIP_1) | instid1(VALU_DEP_1)
	v_and_b32_e32 v5, 0x7fffffff, v2
	s_wait_xcnt 0x0
	v_cmpx_gt_u32_e32 0x47800000, v5
	s_xor_b32 s18, exec_lo, s18
	s_cbranch_execz .LBB241_1552
; %bb.1547:
	s_mov_b32 s19, exec_lo
                                        ; implicit-def: $vgpr3
	v_cmpx_lt_u32_e32 0x387fffff, v5
	s_xor_b32 s19, exec_lo, s19
; %bb.1548:
	v_bfe_u32 v3, v2, 21, 1
	s_delay_alu instid0(VALU_DEP_1) | instskip(NEXT) | instid1(VALU_DEP_1)
	v_add3_u32 v3, v2, v3, 0x80fffff
	v_lshrrev_b32_e32 v3, 21, v3
; %bb.1549:
	s_and_not1_saveexec_b32 s19, s19
; %bb.1550:
	v_add_f32_e64 v3, 0x43000000, |v2|
; %bb.1551:
	s_or_b32 exec_lo, exec_lo, s19
                                        ; implicit-def: $vgpr5
.LBB241_1552:
	s_and_not1_saveexec_b32 s18, s18
; %bb.1553:
	v_mov_b32_e32 v3, 0x7f
	v_cmp_lt_u32_e32 vcc_lo, 0x7f800000, v5
	s_delay_alu instid0(VALU_DEP_2)
	v_cndmask_b32_e32 v3, 0x7c, v3, vcc_lo
; %bb.1554:
	s_or_b32 exec_lo, exec_lo, s18
	v_lshrrev_b32_e32 v2, 24, v2
	s_delay_alu instid0(VALU_DEP_1)
	v_and_or_b32 v2, 0x80, v2, v3
.LBB241_1555:
	s_cbranch_execnz .LBB241_1577
.LBB241_1556:
	s_sext_i32_i16 s18, s13
	s_delay_alu instid0(SALU_CYCLE_1)
	s_cmp_gt_i32 s18, 0
	s_cbranch_scc0 .LBB241_1566
; %bb.1557:
	s_wait_loadcnt 0x0
	global_load_i8 v2, v[0:1], off
	s_mov_b32 s18, exec_lo
                                        ; implicit-def: $vgpr3
	s_wait_loadcnt 0x0
	v_cvt_f32_i32_e32 v2, v2
	s_delay_alu instid0(VALU_DEP_1) | instskip(SKIP_1) | instid1(VALU_DEP_1)
	v_and_b32_e32 v5, 0x7fffffff, v2
	s_wait_xcnt 0x0
	v_cmpx_gt_u32_e32 0x47800000, v5
	s_xor_b32 s18, exec_lo, s18
	s_cbranch_execz .LBB241_1563
; %bb.1558:
	s_mov_b32 s19, exec_lo
                                        ; implicit-def: $vgpr3
	v_cmpx_lt_u32_e32 0x387fffff, v5
	s_xor_b32 s19, exec_lo, s19
; %bb.1559:
	v_bfe_u32 v3, v2, 21, 1
	s_delay_alu instid0(VALU_DEP_1) | instskip(NEXT) | instid1(VALU_DEP_1)
	v_add3_u32 v3, v2, v3, 0x80fffff
	v_lshrrev_b32_e32 v3, 21, v3
; %bb.1560:
	s_and_not1_saveexec_b32 s19, s19
; %bb.1561:
	v_add_f32_e64 v3, 0x43000000, |v2|
; %bb.1562:
	s_or_b32 exec_lo, exec_lo, s19
                                        ; implicit-def: $vgpr5
.LBB241_1563:
	s_and_not1_saveexec_b32 s18, s18
; %bb.1564:
	v_mov_b32_e32 v3, 0x7f
	v_cmp_lt_u32_e32 vcc_lo, 0x7f800000, v5
	s_delay_alu instid0(VALU_DEP_2)
	v_cndmask_b32_e32 v3, 0x7c, v3, vcc_lo
; %bb.1565:
	s_or_b32 exec_lo, exec_lo, s18
	v_lshrrev_b32_e32 v2, 24, v2
	s_mov_b32 s18, 0
	s_delay_alu instid0(VALU_DEP_1)
	v_and_or_b32 v2, 0x80, v2, v3
	s_branch .LBB241_1567
.LBB241_1566:
	s_mov_b32 s18, -1
                                        ; implicit-def: $vgpr2
.LBB241_1567:
	s_delay_alu instid0(SALU_CYCLE_1)
	s_and_b32 vcc_lo, exec_lo, s18
	s_cbranch_vccz .LBB241_1577
; %bb.1568:
	global_load_u8 v0, v[0:1], off
	s_mov_b32 s18, exec_lo
                                        ; implicit-def: $vgpr2
	s_wait_loadcnt 0x0
	v_cvt_f32_ubyte0_e32 v0, v0
	s_delay_alu instid0(VALU_DEP_1)
	v_cmpx_gt_u32_e32 0x47800000, v0
	s_xor_b32 s18, exec_lo, s18
	s_cbranch_execz .LBB241_1574
; %bb.1569:
	s_mov_b32 s19, exec_lo
                                        ; implicit-def: $vgpr2
	v_cmpx_lt_u32_e32 0x387fffff, v0
	s_xor_b32 s19, exec_lo, s19
; %bb.1570:
	v_bfe_u32 v1, v0, 21, 1
	s_delay_alu instid0(VALU_DEP_1) | instskip(NEXT) | instid1(VALU_DEP_1)
	v_add3_u32 v0, v0, v1, 0x80fffff
	v_lshrrev_b32_e32 v2, 21, v0
                                        ; implicit-def: $vgpr0
; %bb.1571:
	s_and_not1_saveexec_b32 s19, s19
; %bb.1572:
	v_add_f32_e32 v2, 0x43000000, v0
; %bb.1573:
	s_or_b32 exec_lo, exec_lo, s19
                                        ; implicit-def: $vgpr0
.LBB241_1574:
	s_and_not1_saveexec_b32 s18, s18
; %bb.1575:
	v_mov_b32_e32 v1, 0x7f
	v_cmp_lt_u32_e32 vcc_lo, 0x7f800000, v0
	s_delay_alu instid0(VALU_DEP_2)
	v_cndmask_b32_e32 v2, 0x7c, v1, vcc_lo
; %bb.1576:
	s_or_b32 exec_lo, exec_lo, s18
.LBB241_1577:
	s_delay_alu instid0(SALU_CYCLE_1)
	s_or_b32 s2, s2, exec_lo
.LBB241_1578:
	s_or_b32 exec_lo, exec_lo, s16
	s_mov_b32 s21, 0
	s_mov_b32 s20, 0
                                        ; implicit-def: $sgpr16
                                        ; implicit-def: $sgpr18
                                        ; implicit-def: $vgpr0_vgpr1
	s_and_saveexec_b32 s19, s2
	s_cbranch_execz .LBB241_1586
; %bb.1579:
	s_wait_loadcnt 0x0
	v_lshlrev_b16 v1, 8, v2
	s_and_b32 s18, s3, 0xff
	s_delay_alu instid0(SALU_CYCLE_1) | instskip(NEXT) | instid1(VALU_DEP_1)
	s_cmp_lt_i32 s18, 11
	v_and_or_b32 v3, 0x7f00, v1, 0.5
	v_lshlrev_b32_e32 v0, 25, v2
	v_bfe_i32 v1, v1, 0, 16
	s_delay_alu instid0(VALU_DEP_2) | instskip(SKIP_1) | instid1(VALU_DEP_2)
	v_dual_add_f32 v3, -0.5, v3 :: v_dual_lshrrev_b32 v2, 4, v0
	v_cmp_gt_u32_e32 vcc_lo, 0x8000000, v0
	v_or_b32_e32 v2, 0x70000000, v2
	s_delay_alu instid0(VALU_DEP_1) | instskip(NEXT) | instid1(VALU_DEP_1)
	v_mul_f32_e32 v2, 0x7800000, v2
	v_cndmask_b32_e32 v0, v2, v3, vcc_lo
	s_delay_alu instid0(VALU_DEP_1) | instskip(SKIP_1) | instid1(VALU_DEP_2)
	v_and_or_b32 v1, 0x80000000, v1, v0
	v_mul_lo_u32 v0, v4, s8
	v_cmp_eq_f32_e32 vcc_lo, s15, v1
	v_cndmask_b32_e64 v2, 0, 1, vcc_lo
	v_cmp_neq_f32_e32 vcc_lo, s15, v1
	v_cndmask_b32_e64 v1, 0, 1, vcc_lo
	s_delay_alu instid0(VALU_DEP_1) | instskip(NEXT) | instid1(VALU_DEP_1)
	v_dual_cndmask_b32 v2, v1, v2, s0 :: v_dual_ashrrev_i32 v1, 31, v0
	v_and_b32_e32 v2, 1, v2
	s_delay_alu instid0(VALU_DEP_2) | instskip(NEXT) | instid1(VALU_DEP_2)
	v_add_nc_u64_e32 v[0:1], s[4:5], v[0:1]
	v_cmp_eq_u32_e64 s16, 1, v2
	s_cbranch_scc1 .LBB241_1589
; %bb.1580:
	s_and_b32 s2, 0xffff, s18
	s_mov_b32 s15, -1
	s_cmp_gt_i32 s2, 25
	s_mov_b32 s0, s17
	s_cbranch_scc0 .LBB241_1617
; %bb.1581:
	s_cmp_gt_i32 s2, 28
	s_mov_b32 s0, s17
	s_cbranch_scc0 .LBB241_1601
; %bb.1582:
	;; [unrolled: 4-line block ×4, first 2 shown]
	s_cmp_eq_u32 s2, 46
	s_mov_b32 s0, -1
	s_cbranch_scc0 .LBB241_1590
; %bb.1585:
	v_cndmask_b32_e64 v2, 0, 1.0, s16
	s_mov_b32 s0, 0
	s_mov_b32 s15, 0
	s_delay_alu instid0(VALU_DEP_1) | instskip(NEXT) | instid1(VALU_DEP_1)
	v_bfe_u32 v3, v2, 16, 1
	v_add3_u32 v2, v2, v3, 0x7fff
	s_delay_alu instid0(VALU_DEP_1)
	v_lshrrev_b32_e32 v2, 16, v2
	global_store_b32 v[0:1], v2, off
	s_branch .LBB241_1591
.LBB241_1586:
	s_or_b32 exec_lo, exec_lo, s19
	s_and_saveexec_b32 s0, s17
	s_cbranch_execnz .LBB241_1659
.LBB241_1587:
	s_or_b32 exec_lo, exec_lo, s0
	s_and_saveexec_b32 s0, s21
	s_delay_alu instid0(SALU_CYCLE_1)
	s_xor_b32 s0, exec_lo, s0
	s_cbranch_execz .LBB241_1660
.LBB241_1588:
	s_wait_loadcnt 0x0
	v_cndmask_b32_e64 v2, 0, 1, s16
	global_store_b8 v[0:1], v2, off
	s_wait_xcnt 0x0
	s_or_b32 exec_lo, exec_lo, s0
	s_and_saveexec_b32 s0, s20
	s_delay_alu instid0(SALU_CYCLE_1)
	s_xor_b32 s0, exec_lo, s0
	s_cbranch_execz .LBB241_1698
	s_branch .LBB241_1661
.LBB241_1589:
	s_mov_b32 s15, -1
	s_mov_b32 s0, s17
	s_branch .LBB241_1658
.LBB241_1590:
	s_mov_b32 s15, 0
.LBB241_1591:
	s_delay_alu instid0(SALU_CYCLE_1)
	s_and_b32 vcc_lo, exec_lo, s15
	s_cbranch_vccz .LBB241_1596
; %bb.1592:
	s_cmp_eq_u32 s2, 44
	s_mov_b32 s0, -1
	s_cbranch_scc0 .LBB241_1596
; %bb.1593:
	v_cndmask_b32_e64 v4, 0, 1.0, s16
	s_mov_b32 s15, exec_lo
	s_wait_xcnt 0x0
	s_delay_alu instid0(VALU_DEP_1) | instskip(NEXT) | instid1(VALU_DEP_1)
	v_dual_mov_b32 v3, 0xff :: v_dual_lshrrev_b32 v2, 23, v4
	v_cmpx_ne_u32_e32 0xff, v2
; %bb.1594:
	v_and_b32_e32 v3, 0x400000, v4
	v_and_or_b32 v4, 0x3fffff, v4, v2
	s_delay_alu instid0(VALU_DEP_2) | instskip(NEXT) | instid1(VALU_DEP_2)
	v_cmp_ne_u32_e32 vcc_lo, 0, v3
	v_cmp_ne_u32_e64 s0, 0, v4
	s_and_b32 s0, vcc_lo, s0
	s_delay_alu instid0(SALU_CYCLE_1) | instskip(NEXT) | instid1(VALU_DEP_1)
	v_cndmask_b32_e64 v3, 0, 1, s0
	v_add_nc_u32_e32 v3, v2, v3
; %bb.1595:
	s_or_b32 exec_lo, exec_lo, s15
	s_mov_b32 s0, 0
	global_store_b8 v[0:1], v3, off
.LBB241_1596:
	s_mov_b32 s15, 0
.LBB241_1597:
	s_delay_alu instid0(SALU_CYCLE_1)
	s_and_b32 vcc_lo, exec_lo, s15
	s_cbranch_vccz .LBB241_1600
; %bb.1598:
	s_cmp_eq_u32 s2, 29
	s_mov_b32 s0, -1
	s_cbranch_scc0 .LBB241_1600
; %bb.1599:
	s_mov_b32 s0, 0
	s_wait_xcnt 0x0
	v_cndmask_b32_e64 v2, 0, 1, s16
	v_mov_b32_e32 v3, s0
	s_mov_b32 s15, 0
	global_store_b64 v[0:1], v[2:3], off
	s_branch .LBB241_1601
.LBB241_1600:
	s_mov_b32 s15, 0
.LBB241_1601:
	s_delay_alu instid0(SALU_CYCLE_1)
	s_and_b32 vcc_lo, exec_lo, s15
	s_cbranch_vccz .LBB241_1616
; %bb.1602:
	s_cmp_lt_i32 s2, 27
	s_mov_b32 s15, -1
	s_cbranch_scc1 .LBB241_1608
; %bb.1603:
	s_wait_xcnt 0x0
	v_cndmask_b32_e64 v2, 0, 1, s16
	s_cmp_gt_i32 s2, 27
	s_cbranch_scc0 .LBB241_1605
; %bb.1604:
	s_mov_b32 s15, 0
	global_store_b32 v[0:1], v2, off
.LBB241_1605:
	s_and_not1_b32 vcc_lo, exec_lo, s15
	s_cbranch_vccnz .LBB241_1607
; %bb.1606:
	global_store_b16 v[0:1], v2, off
.LBB241_1607:
	s_mov_b32 s15, 0
.LBB241_1608:
	s_delay_alu instid0(SALU_CYCLE_1)
	s_and_not1_b32 vcc_lo, exec_lo, s15
	s_cbranch_vccnz .LBB241_1616
; %bb.1609:
	s_wait_xcnt 0x0
	v_cndmask_b32_e64 v3, 0, 1.0, s16
	v_mov_b32_e32 v4, 0x80
	s_mov_b32 s15, exec_lo
	s_delay_alu instid0(VALU_DEP_2)
	v_cmpx_gt_u32_e32 0x43800000, v3
	s_cbranch_execz .LBB241_1615
; %bb.1610:
	s_mov_b32 s21, exec_lo
                                        ; implicit-def: $vgpr2
	v_cmpx_lt_u32_e32 0x3bffffff, v3
	s_xor_b32 s21, exec_lo, s21
	s_cbranch_execz .LBB241_1721
; %bb.1611:
	v_bfe_u32 v2, v3, 20, 1
	s_mov_b32 s20, exec_lo
	s_delay_alu instid0(VALU_DEP_1) | instskip(NEXT) | instid1(VALU_DEP_1)
	v_add3_u32 v2, v3, v2, 0x487ffff
                                        ; implicit-def: $vgpr3
	v_lshrrev_b32_e32 v2, 20, v2
	s_and_not1_saveexec_b32 s21, s21
	s_cbranch_execnz .LBB241_1722
.LBB241_1612:
	s_or_b32 exec_lo, exec_lo, s21
	v_mov_b32_e32 v4, 0
	s_and_saveexec_b32 s21, s20
.LBB241_1613:
	v_mov_b32_e32 v4, v2
.LBB241_1614:
	s_or_b32 exec_lo, exec_lo, s21
.LBB241_1615:
	s_delay_alu instid0(SALU_CYCLE_1)
	s_or_b32 exec_lo, exec_lo, s15
	global_store_b8 v[0:1], v4, off
.LBB241_1616:
	s_mov_b32 s15, 0
.LBB241_1617:
	s_delay_alu instid0(SALU_CYCLE_1)
	s_and_b32 vcc_lo, exec_lo, s15
	s_mov_b32 s15, 0
	s_cbranch_vccz .LBB241_1657
; %bb.1618:
	s_cmp_gt_i32 s2, 22
	s_mov_b32 s20, -1
	s_cbranch_scc0 .LBB241_1650
; %bb.1619:
	s_cmp_lt_i32 s2, 24
	s_cbranch_scc1 .LBB241_1639
; %bb.1620:
	s_cmp_gt_i32 s2, 24
	s_cbranch_scc0 .LBB241_1628
; %bb.1621:
	s_wait_xcnt 0x0
	v_cndmask_b32_e64 v3, 0, 1.0, s16
	v_mov_b32_e32 v4, 0x80
	s_mov_b32 s20, exec_lo
	s_delay_alu instid0(VALU_DEP_2)
	v_cmpx_gt_u32_e32 0x47800000, v3
	s_cbranch_execz .LBB241_1627
; %bb.1622:
	s_mov_b32 s21, 0
	s_mov_b32 s22, exec_lo
                                        ; implicit-def: $vgpr2
	v_cmpx_lt_u32_e32 0x37ffffff, v3
	s_xor_b32 s22, exec_lo, s22
	s_cbranch_execz .LBB241_2013
; %bb.1623:
	v_bfe_u32 v2, v3, 21, 1
	s_mov_b32 s21, exec_lo
	s_delay_alu instid0(VALU_DEP_1) | instskip(NEXT) | instid1(VALU_DEP_1)
	v_add3_u32 v2, v3, v2, 0x88fffff
                                        ; implicit-def: $vgpr3
	v_lshrrev_b32_e32 v2, 21, v2
	s_and_not1_saveexec_b32 s22, s22
	s_cbranch_execnz .LBB241_2014
.LBB241_1624:
	s_or_b32 exec_lo, exec_lo, s22
	v_mov_b32_e32 v4, 0
	s_and_saveexec_b32 s22, s21
.LBB241_1625:
	v_mov_b32_e32 v4, v2
.LBB241_1626:
	s_or_b32 exec_lo, exec_lo, s22
.LBB241_1627:
	s_delay_alu instid0(SALU_CYCLE_1)
	s_or_b32 exec_lo, exec_lo, s20
	s_mov_b32 s20, 0
	global_store_b8 v[0:1], v4, off
.LBB241_1628:
	s_and_b32 vcc_lo, exec_lo, s20
	s_cbranch_vccz .LBB241_1638
; %bb.1629:
	s_wait_xcnt 0x0
	v_cndmask_b32_e64 v3, 0, 1.0, s16
	s_mov_b32 s20, exec_lo
                                        ; implicit-def: $vgpr2
	s_delay_alu instid0(VALU_DEP_1)
	v_cmpx_gt_u32_e32 0x43f00000, v3
	s_xor_b32 s20, exec_lo, s20
	s_cbranch_execz .LBB241_1635
; %bb.1630:
	s_mov_b32 s21, exec_lo
                                        ; implicit-def: $vgpr2
	v_cmpx_lt_u32_e32 0x3c7fffff, v3
	s_xor_b32 s21, exec_lo, s21
; %bb.1631:
	v_bfe_u32 v2, v3, 20, 1
	s_delay_alu instid0(VALU_DEP_1) | instskip(NEXT) | instid1(VALU_DEP_1)
	v_add3_u32 v2, v3, v2, 0x407ffff
	v_and_b32_e32 v3, 0xff00000, v2
	v_lshrrev_b32_e32 v2, 20, v2
	s_delay_alu instid0(VALU_DEP_2) | instskip(NEXT) | instid1(VALU_DEP_2)
	v_cmp_ne_u32_e32 vcc_lo, 0x7f00000, v3
                                        ; implicit-def: $vgpr3
	v_cndmask_b32_e32 v2, 0x7e, v2, vcc_lo
; %bb.1632:
	s_and_not1_saveexec_b32 s21, s21
; %bb.1633:
	v_add_f32_e32 v2, 0x46800000, v3
; %bb.1634:
	s_or_b32 exec_lo, exec_lo, s21
                                        ; implicit-def: $vgpr3
.LBB241_1635:
	s_and_not1_saveexec_b32 s20, s20
; %bb.1636:
	v_mov_b32_e32 v2, 0x7f
	v_cmp_lt_u32_e32 vcc_lo, 0x7f800000, v3
	s_delay_alu instid0(VALU_DEP_2)
	v_cndmask_b32_e32 v2, 0x7e, v2, vcc_lo
; %bb.1637:
	s_or_b32 exec_lo, exec_lo, s20
	global_store_b8 v[0:1], v2, off
.LBB241_1638:
	s_mov_b32 s20, 0
.LBB241_1639:
	s_delay_alu instid0(SALU_CYCLE_1)
	s_and_not1_b32 vcc_lo, exec_lo, s20
	s_cbranch_vccnz .LBB241_1649
; %bb.1640:
	s_wait_xcnt 0x0
	v_cndmask_b32_e64 v3, 0, 1.0, s16
	s_mov_b32 s20, exec_lo
                                        ; implicit-def: $vgpr2
	s_delay_alu instid0(VALU_DEP_1)
	v_cmpx_gt_u32_e32 0x47800000, v3
	s_xor_b32 s20, exec_lo, s20
	s_cbranch_execz .LBB241_1646
; %bb.1641:
	s_mov_b32 s21, exec_lo
                                        ; implicit-def: $vgpr2
	v_cmpx_lt_u32_e32 0x387fffff, v3
	s_xor_b32 s21, exec_lo, s21
; %bb.1642:
	v_bfe_u32 v2, v3, 21, 1
	s_delay_alu instid0(VALU_DEP_1) | instskip(NEXT) | instid1(VALU_DEP_1)
	v_add3_u32 v2, v3, v2, 0x80fffff
                                        ; implicit-def: $vgpr3
	v_lshrrev_b32_e32 v2, 21, v2
; %bb.1643:
	s_and_not1_saveexec_b32 s21, s21
; %bb.1644:
	v_add_f32_e32 v2, 0x43000000, v3
; %bb.1645:
	s_or_b32 exec_lo, exec_lo, s21
                                        ; implicit-def: $vgpr3
.LBB241_1646:
	s_and_not1_saveexec_b32 s20, s20
; %bb.1647:
	v_mov_b32_e32 v2, 0x7f
	v_cmp_lt_u32_e32 vcc_lo, 0x7f800000, v3
	s_delay_alu instid0(VALU_DEP_2)
	v_cndmask_b32_e32 v2, 0x7c, v2, vcc_lo
; %bb.1648:
	s_or_b32 exec_lo, exec_lo, s20
	global_store_b8 v[0:1], v2, off
.LBB241_1649:
	s_mov_b32 s20, 0
.LBB241_1650:
	s_delay_alu instid0(SALU_CYCLE_1)
	s_and_not1_b32 vcc_lo, exec_lo, s20
	s_mov_b32 s21, 0
	s_cbranch_vccnz .LBB241_1658
; %bb.1651:
	s_cmp_gt_i32 s2, 14
	s_mov_b32 s20, -1
	s_cbranch_scc0 .LBB241_1655
; %bb.1652:
	s_cmp_eq_u32 s2, 15
	s_mov_b32 s0, -1
	s_cbranch_scc0 .LBB241_1654
; %bb.1653:
	s_wait_xcnt 0x0
	v_cndmask_b32_e64 v2, 0, 1.0, s16
	s_mov_b32 s0, 0
	s_delay_alu instid0(VALU_DEP_1) | instskip(NEXT) | instid1(VALU_DEP_1)
	v_bfe_u32 v3, v2, 16, 1
	v_add3_u32 v2, v2, v3, 0x7fff
	global_store_d16_hi_b16 v[0:1], v2, off
.LBB241_1654:
	s_mov_b32 s20, 0
.LBB241_1655:
	s_delay_alu instid0(SALU_CYCLE_1)
	s_and_b32 vcc_lo, exec_lo, s20
	s_cbranch_vccz .LBB241_1658
; %bb.1656:
	s_cmp_lg_u32 s2, 11
	s_mov_b32 s21, -1
	s_cselect_b32 s2, -1, 0
	s_and_not1_b32 s0, s0, exec_lo
	s_and_b32 s2, s2, exec_lo
	s_delay_alu instid0(SALU_CYCLE_1)
	s_or_b32 s0, s0, s2
	s_branch .LBB241_1658
.LBB241_1657:
	s_mov_b32 s21, 0
.LBB241_1658:
	s_and_not1_b32 s2, s17, exec_lo
	s_and_b32 s0, s0, exec_lo
	s_and_b32 s20, s15, exec_lo
	;; [unrolled: 1-line block ×3, first 2 shown]
	s_or_b32 s17, s2, s0
	s_wait_xcnt 0x0
	s_or_b32 exec_lo, exec_lo, s19
	s_and_saveexec_b32 s0, s17
	s_cbranch_execz .LBB241_1587
.LBB241_1659:
	s_or_b32 s1, s1, exec_lo
	s_and_not1_b32 s21, s21, exec_lo
	s_trap 2
	s_or_b32 exec_lo, exec_lo, s0
	s_and_saveexec_b32 s0, s21
	s_delay_alu instid0(SALU_CYCLE_1)
	s_xor_b32 s0, exec_lo, s0
	s_cbranch_execnz .LBB241_1588
.LBB241_1660:
	s_or_b32 exec_lo, exec_lo, s0
	s_and_saveexec_b32 s0, s20
	s_delay_alu instid0(SALU_CYCLE_1)
	s_xor_b32 s0, exec_lo, s0
	s_cbranch_execz .LBB241_1698
.LBB241_1661:
	s_sext_i32_i16 s15, s18
	s_mov_b32 s2, -1
	s_cmp_lt_i32 s15, 5
	s_cbranch_scc1 .LBB241_1682
; %bb.1662:
	s_cmp_lt_i32 s15, 8
	s_cbranch_scc1 .LBB241_1672
; %bb.1663:
	;; [unrolled: 3-line block ×3, first 2 shown]
	s_cmp_gt_i32 s15, 9
	s_cbranch_scc0 .LBB241_1666
; %bb.1665:
	s_wait_loadcnt 0x0
	v_cndmask_b32_e64 v2, 0, 1, s16
	v_mov_b32_e32 v4, 0
	s_mov_b32 s2, 0
	s_delay_alu instid0(VALU_DEP_2) | instskip(NEXT) | instid1(VALU_DEP_2)
	v_cvt_f64_u32_e32 v[2:3], v2
	v_mov_b32_e32 v5, v4
	global_store_b128 v[0:1], v[2:5], off
.LBB241_1666:
	s_and_not1_b32 vcc_lo, exec_lo, s2
	s_cbranch_vccnz .LBB241_1668
; %bb.1667:
	s_wait_loadcnt 0x0
	v_cndmask_b32_e64 v2, 0, 1.0, s16
	v_mov_b32_e32 v3, 0
	global_store_b64 v[0:1], v[2:3], off
.LBB241_1668:
	s_mov_b32 s2, 0
.LBB241_1669:
	s_delay_alu instid0(SALU_CYCLE_1)
	s_and_not1_b32 vcc_lo, exec_lo, s2
	s_cbranch_vccnz .LBB241_1671
; %bb.1670:
	s_wait_loadcnt 0x0
	v_cndmask_b32_e64 v2, 0, 1.0, s16
	s_delay_alu instid0(VALU_DEP_1) | instskip(NEXT) | instid1(VALU_DEP_1)
	v_cvt_f16_f32_e32 v2, v2
	v_and_b32_e32 v2, 0xffff, v2
	global_store_b32 v[0:1], v2, off
.LBB241_1671:
	s_mov_b32 s2, 0
.LBB241_1672:
	s_delay_alu instid0(SALU_CYCLE_1)
	s_and_not1_b32 vcc_lo, exec_lo, s2
	s_cbranch_vccnz .LBB241_1681
; %bb.1673:
	s_sext_i32_i16 s15, s18
	s_mov_b32 s2, -1
	s_cmp_lt_i32 s15, 6
	s_cbranch_scc1 .LBB241_1679
; %bb.1674:
	s_cmp_gt_i32 s15, 6
	s_cbranch_scc0 .LBB241_1676
; %bb.1675:
	s_wait_loadcnt 0x0
	v_cndmask_b32_e64 v2, 0, 1, s16
	s_mov_b32 s2, 0
	s_delay_alu instid0(VALU_DEP_1)
	v_cvt_f64_u32_e32 v[2:3], v2
	global_store_b64 v[0:1], v[2:3], off
.LBB241_1676:
	s_and_not1_b32 vcc_lo, exec_lo, s2
	s_cbranch_vccnz .LBB241_1678
; %bb.1677:
	s_wait_loadcnt 0x0
	v_cndmask_b32_e64 v2, 0, 1.0, s16
	global_store_b32 v[0:1], v2, off
.LBB241_1678:
	s_mov_b32 s2, 0
.LBB241_1679:
	s_delay_alu instid0(SALU_CYCLE_1)
	s_and_not1_b32 vcc_lo, exec_lo, s2
	s_cbranch_vccnz .LBB241_1681
; %bb.1680:
	s_wait_loadcnt 0x0
	v_cndmask_b32_e64 v2, 0, 1.0, s16
	s_delay_alu instid0(VALU_DEP_1)
	v_cvt_f16_f32_e32 v2, v2
	global_store_b16 v[0:1], v2, off
.LBB241_1681:
	s_mov_b32 s2, 0
.LBB241_1682:
	s_delay_alu instid0(SALU_CYCLE_1)
	s_and_not1_b32 vcc_lo, exec_lo, s2
	s_cbranch_vccnz .LBB241_1698
; %bb.1683:
	s_sext_i32_i16 s15, s18
	s_mov_b32 s2, -1
	s_cmp_lt_i32 s15, 2
	s_cbranch_scc1 .LBB241_1693
; %bb.1684:
	s_cmp_lt_i32 s15, 3
	s_cbranch_scc1 .LBB241_1690
; %bb.1685:
	s_cmp_gt_i32 s15, 3
	s_cbranch_scc0 .LBB241_1687
; %bb.1686:
	s_mov_b32 s2, 0
	s_wait_loadcnt 0x0
	v_cndmask_b32_e64 v2, 0, 1, s16
	v_mov_b32_e32 v3, s2
	global_store_b64 v[0:1], v[2:3], off
.LBB241_1687:
	s_and_not1_b32 vcc_lo, exec_lo, s2
	s_cbranch_vccnz .LBB241_1689
; %bb.1688:
	s_wait_loadcnt 0x0
	v_cndmask_b32_e64 v2, 0, 1, s16
	global_store_b32 v[0:1], v2, off
.LBB241_1689:
	s_mov_b32 s2, 0
.LBB241_1690:
	s_delay_alu instid0(SALU_CYCLE_1)
	s_and_not1_b32 vcc_lo, exec_lo, s2
	s_cbranch_vccnz .LBB241_1692
; %bb.1691:
	s_wait_loadcnt 0x0
	v_cndmask_b32_e64 v2, 0, 1, s16
	global_store_b16 v[0:1], v2, off
.LBB241_1692:
	s_mov_b32 s2, 0
.LBB241_1693:
	s_delay_alu instid0(SALU_CYCLE_1)
	s_and_not1_b32 vcc_lo, exec_lo, s2
	s_cbranch_vccnz .LBB241_1698
; %bb.1694:
	s_wait_loadcnt 0x0
	v_cndmask_b32_e64 v2, 0, 1, s16
	s_sext_i32_i16 s2, s18
	s_delay_alu instid0(SALU_CYCLE_1)
	s_cmp_gt_i32 s2, 0
	s_mov_b32 s2, -1
	s_cbranch_scc0 .LBB241_1696
; %bb.1695:
	s_mov_b32 s2, 0
	global_store_b8 v[0:1], v2, off
.LBB241_1696:
	s_and_not1_b32 vcc_lo, exec_lo, s2
	s_cbranch_vccnz .LBB241_1698
; %bb.1697:
	global_store_b8 v[0:1], v2, off
.LBB241_1698:
	s_wait_xcnt 0x0
	s_or_b32 exec_lo, exec_lo, s0
	s_delay_alu instid0(SALU_CYCLE_1)
	s_and_b32 s15, s1, exec_lo
                                        ; implicit-def: $vgpr4
.LBB241_1699:
	s_or_saveexec_b32 s14, s14
	s_mov_b32 s0, 0
                                        ; implicit-def: $sgpr1
                                        ; implicit-def: $sgpr16
                                        ; implicit-def: $vgpr0_vgpr1
	s_xor_b32 exec_lo, exec_lo, s14
	s_cbranch_execz .LBB241_3317
; %bb.1700:
	v_mul_lo_u32 v0, s9, v4
	s_and_b32 s0, 0xffff, s13
	s_delay_alu instid0(SALU_CYCLE_1) | instskip(NEXT) | instid1(VALU_DEP_1)
	s_cmp_lt_i32 s0, 11
	v_ashrrev_i32_e32 v1, 31, v0
	s_wait_loadcnt 0x0
	s_delay_alu instid0(VALU_DEP_1)
	v_add_nc_u64_e32 v[2:3], s[6:7], v[0:1]
	s_cbranch_scc1 .LBB241_1715
; %bb.1701:
	s_cmp_gt_i32 s0, 25
	s_mov_b32 s2, 0
	s_cbranch_scc0 .LBB241_1717
; %bb.1702:
	s_cmp_gt_i32 s0, 28
	s_cbranch_scc0 .LBB241_1718
; %bb.1703:
	s_cmp_gt_i32 s0, 43
	;; [unrolled: 3-line block ×3, first 2 shown]
	s_cbranch_scc0 .LBB241_1720
; %bb.1705:
	s_cmp_eq_u32 s0, 46
	s_cbranch_scc0 .LBB241_1723
; %bb.1706:
	global_load_b32 v1, v[2:3], off
	s_mov_b32 s1, exec_lo
                                        ; implicit-def: $vgpr5
	s_wait_loadcnt 0x0
	v_lshlrev_b32_e32 v1, 16, v1
	s_delay_alu instid0(VALU_DEP_1) | instskip(SKIP_1) | instid1(VALU_DEP_1)
	v_and_b32_e32 v6, 0x7fffffff, v1
	s_wait_xcnt 0x0
	v_cmpx_gt_u32_e32 0x47800000, v6
	s_xor_b32 s1, exec_lo, s1
	s_cbranch_execz .LBB241_1712
; %bb.1707:
	s_mov_b32 s13, exec_lo
                                        ; implicit-def: $vgpr5
	v_cmpx_lt_u32_e32 0x387fffff, v6
	s_xor_b32 s13, exec_lo, s13
; %bb.1708:
	v_bfe_u32 v5, v1, 21, 1
	s_delay_alu instid0(VALU_DEP_1) | instskip(NEXT) | instid1(VALU_DEP_1)
	v_add3_u32 v5, v1, v5, 0x80fffff
	v_lshrrev_b32_e32 v5, 21, v5
; %bb.1709:
	s_and_not1_saveexec_b32 s13, s13
; %bb.1710:
	v_add_f32_e64 v5, 0x43000000, |v1|
; %bb.1711:
	s_or_b32 exec_lo, exec_lo, s13
                                        ; implicit-def: $vgpr6
.LBB241_1712:
	s_and_not1_saveexec_b32 s1, s1
; %bb.1713:
	v_mov_b32_e32 v5, 0x7f
	v_cmp_lt_u32_e32 vcc_lo, 0x7f800000, v6
	s_delay_alu instid0(VALU_DEP_2)
	v_cndmask_b32_e32 v5, 0x7c, v5, vcc_lo
; %bb.1714:
	s_or_b32 exec_lo, exec_lo, s1
	v_lshrrev_b32_e32 v1, 24, v1
	s_mov_b32 s1, 0
	s_mov_b32 s13, -1
	s_delay_alu instid0(VALU_DEP_1)
	v_and_or_b32 v5, 0x80, v1, v5
	s_branch .LBB241_1725
.LBB241_1715:
	s_mov_b32 s13, 0
	s_mov_b32 s12, s15
                                        ; implicit-def: $vgpr5
	s_cbranch_execnz .LBB241_1857
.LBB241_1716:
	s_and_not1_b32 vcc_lo, exec_lo, s13
	s_cbranch_vccz .LBB241_1991
	s_branch .LBB241_3315
.LBB241_1717:
	s_mov_b32 s13, 0
	s_mov_b32 s1, 0
                                        ; implicit-def: $vgpr5
	s_cbranch_execnz .LBB241_1793
	s_branch .LBB241_1845
.LBB241_1718:
	s_mov_b32 s13, 0
	s_mov_b32 s1, 0
                                        ; implicit-def: $vgpr5
	s_cbranch_execnz .LBB241_1751
	s_branch .LBB241_1792
.LBB241_1719:
	s_mov_b32 s12, -1
	s_mov_b32 s13, 0
	s_mov_b32 s1, 0
                                        ; implicit-def: $vgpr5
	s_branch .LBB241_1738
.LBB241_1720:
	s_mov_b32 s12, -1
	s_mov_b32 s13, 0
	s_mov_b32 s1, 0
	s_branch .LBB241_1724
.LBB241_1721:
	s_and_not1_saveexec_b32 s21, s21
	s_cbranch_execz .LBB241_1612
.LBB241_1722:
	v_add_f32_e32 v2, 0x46000000, v3
	s_and_not1_b32 s20, s20, exec_lo
	s_delay_alu instid0(VALU_DEP_1) | instskip(NEXT) | instid1(VALU_DEP_1)
	v_and_b32_e32 v2, 0xff, v2
	v_cmp_ne_u32_e32 vcc_lo, 0, v2
	s_and_b32 s22, vcc_lo, exec_lo
	s_delay_alu instid0(SALU_CYCLE_1)
	s_or_b32 s20, s20, s22
	s_or_b32 exec_lo, exec_lo, s21
	v_mov_b32_e32 v4, 0
	s_and_saveexec_b32 s21, s20
	s_cbranch_execnz .LBB241_1613
	s_branch .LBB241_1614
.LBB241_1723:
	s_mov_b32 s1, -1
	s_mov_b32 s13, 0
.LBB241_1724:
                                        ; implicit-def: $vgpr5
.LBB241_1725:
	s_and_b32 vcc_lo, exec_lo, s12
	s_cbranch_vccz .LBB241_1737
; %bb.1726:
	s_cmp_eq_u32 s0, 44
	s_cbranch_scc0 .LBB241_1736
; %bb.1727:
	global_load_u8 v1, v[2:3], off
	s_mov_b32 s1, exec_lo
	s_wait_loadcnt 0x0
	v_lshlrev_b32_e32 v5, 23, v1
	v_cmp_ne_u32_e32 vcc_lo, 0xff, v1
	s_delay_alu instid0(VALU_DEP_2) | instskip(SKIP_1) | instid1(VALU_DEP_2)
	v_cndmask_b32_e32 v5, 0x7f800001, v5, vcc_lo
	v_cmp_ne_u32_e32 vcc_lo, 0, v1
	v_cndmask_b32_e32 v1, 0x400000, v5, vcc_lo
                                        ; implicit-def: $vgpr5
	s_wait_xcnt 0x0
	s_delay_alu instid0(VALU_DEP_1)
	v_cmpx_gt_u32_e32 0x47800000, v1
	s_xor_b32 s1, exec_lo, s1
	s_cbranch_execz .LBB241_1733
; %bb.1728:
	s_mov_b32 s12, exec_lo
                                        ; implicit-def: $vgpr5
	v_cmpx_lt_u32_e32 0x387fffff, v1
	s_xor_b32 s12, exec_lo, s12
; %bb.1729:
	v_bfe_u32 v5, v1, 21, 1
	s_delay_alu instid0(VALU_DEP_1) | instskip(NEXT) | instid1(VALU_DEP_1)
	v_add3_u32 v1, v1, v5, 0x80fffff
	v_lshrrev_b32_e32 v5, 21, v1
                                        ; implicit-def: $vgpr1
; %bb.1730:
	s_and_not1_saveexec_b32 s12, s12
; %bb.1731:
	v_add_f32_e32 v5, 0x43000000, v1
; %bb.1732:
	s_or_b32 exec_lo, exec_lo, s12
                                        ; implicit-def: $vgpr1
.LBB241_1733:
	s_and_not1_saveexec_b32 s1, s1
; %bb.1734:
	v_mov_b32_e32 v5, 0x7f
	v_cmp_lt_u32_e32 vcc_lo, 0x7f800000, v1
	s_delay_alu instid0(VALU_DEP_2)
	v_cndmask_b32_e32 v5, 0x7c, v5, vcc_lo
; %bb.1735:
	s_or_b32 exec_lo, exec_lo, s1
	s_mov_b32 s1, 0
	s_mov_b32 s13, -1
	s_branch .LBB241_1737
.LBB241_1736:
	s_mov_b32 s1, -1
                                        ; implicit-def: $vgpr5
.LBB241_1737:
	s_mov_b32 s12, 0
.LBB241_1738:
	s_delay_alu instid0(SALU_CYCLE_1)
	s_and_b32 vcc_lo, exec_lo, s12
	s_cbranch_vccz .LBB241_1750
; %bb.1739:
	s_cmp_eq_u32 s0, 29
	s_cbranch_scc0 .LBB241_1749
; %bb.1740:
	global_load_b64 v[6:7], v[2:3], off
	s_mov_b32 s1, exec_lo
	s_wait_loadcnt 0x0
	v_clz_i32_u32_e32 v1, v7
	s_delay_alu instid0(VALU_DEP_1) | instskip(NEXT) | instid1(VALU_DEP_1)
	v_min_u32_e32 v1, 32, v1
	v_lshlrev_b64_e32 v[6:7], v1, v[6:7]
	v_sub_nc_u32_e32 v1, 32, v1
	s_delay_alu instid0(VALU_DEP_2) | instskip(NEXT) | instid1(VALU_DEP_1)
	v_min_u32_e32 v5, 1, v6
	v_or_b32_e32 v5, v7, v5
	s_delay_alu instid0(VALU_DEP_1) | instskip(NEXT) | instid1(VALU_DEP_1)
	v_cvt_f32_u32_e32 v5, v5
	v_ldexp_f32 v1, v5, v1
                                        ; implicit-def: $vgpr5
	s_wait_xcnt 0x0
	s_delay_alu instid0(VALU_DEP_1)
	v_cmpx_gt_u32_e32 0x47800000, v1
	s_xor_b32 s1, exec_lo, s1
	s_cbranch_execz .LBB241_1746
; %bb.1741:
	s_mov_b32 s12, exec_lo
                                        ; implicit-def: $vgpr5
	v_cmpx_lt_u32_e32 0x387fffff, v1
	s_xor_b32 s12, exec_lo, s12
; %bb.1742:
	v_bfe_u32 v5, v1, 21, 1
	s_delay_alu instid0(VALU_DEP_1) | instskip(NEXT) | instid1(VALU_DEP_1)
	v_add3_u32 v1, v1, v5, 0x80fffff
	v_lshrrev_b32_e32 v5, 21, v1
                                        ; implicit-def: $vgpr1
; %bb.1743:
	s_and_not1_saveexec_b32 s12, s12
; %bb.1744:
	v_add_f32_e32 v5, 0x43000000, v1
; %bb.1745:
	s_or_b32 exec_lo, exec_lo, s12
                                        ; implicit-def: $vgpr1
.LBB241_1746:
	s_and_not1_saveexec_b32 s1, s1
; %bb.1747:
	v_mov_b32_e32 v5, 0x7f
	v_cmp_lt_u32_e32 vcc_lo, 0x7f800000, v1
	s_delay_alu instid0(VALU_DEP_2)
	v_cndmask_b32_e32 v5, 0x7c, v5, vcc_lo
; %bb.1748:
	s_or_b32 exec_lo, exec_lo, s1
	s_mov_b32 s1, 0
	s_mov_b32 s13, -1
	s_branch .LBB241_1750
.LBB241_1749:
	s_mov_b32 s1, -1
                                        ; implicit-def: $vgpr5
.LBB241_1750:
	s_branch .LBB241_1792
.LBB241_1751:
	s_cmp_lt_i32 s0, 27
	s_cbranch_scc1 .LBB241_1762
; %bb.1752:
	s_cmp_gt_i32 s0, 27
	s_cbranch_scc0 .LBB241_1763
; %bb.1753:
	global_load_b32 v1, v[2:3], off
	s_mov_b32 s12, exec_lo
                                        ; implicit-def: $vgpr5
	s_wait_loadcnt 0x0
	v_cvt_f32_u32_e32 v1, v1
	s_wait_xcnt 0x0
	s_delay_alu instid0(VALU_DEP_1)
	v_cmpx_gt_u32_e32 0x47800000, v1
	s_xor_b32 s12, exec_lo, s12
	s_cbranch_execz .LBB241_1759
; %bb.1754:
	s_mov_b32 s13, exec_lo
                                        ; implicit-def: $vgpr5
	v_cmpx_lt_u32_e32 0x387fffff, v1
	s_xor_b32 s13, exec_lo, s13
; %bb.1755:
	v_bfe_u32 v5, v1, 21, 1
	s_delay_alu instid0(VALU_DEP_1) | instskip(NEXT) | instid1(VALU_DEP_1)
	v_add3_u32 v1, v1, v5, 0x80fffff
	v_lshrrev_b32_e32 v5, 21, v1
                                        ; implicit-def: $vgpr1
; %bb.1756:
	s_and_not1_saveexec_b32 s13, s13
; %bb.1757:
	v_add_f32_e32 v5, 0x43000000, v1
; %bb.1758:
	s_or_b32 exec_lo, exec_lo, s13
                                        ; implicit-def: $vgpr1
.LBB241_1759:
	s_and_not1_saveexec_b32 s12, s12
; %bb.1760:
	v_mov_b32_e32 v5, 0x7f
	v_cmp_lt_u32_e32 vcc_lo, 0x7f800000, v1
	s_delay_alu instid0(VALU_DEP_2)
	v_cndmask_b32_e32 v5, 0x7c, v5, vcc_lo
; %bb.1761:
	s_or_b32 exec_lo, exec_lo, s12
	s_mov_b32 s12, 0
	s_branch .LBB241_1764
.LBB241_1762:
	s_mov_b32 s12, -1
                                        ; implicit-def: $vgpr5
	s_branch .LBB241_1775
.LBB241_1763:
	s_mov_b32 s12, -1
                                        ; implicit-def: $vgpr5
.LBB241_1764:
	s_delay_alu instid0(SALU_CYCLE_1)
	s_and_b32 vcc_lo, exec_lo, s12
	s_cbranch_vccz .LBB241_1774
; %bb.1765:
	global_load_u16 v1, v[2:3], off
	s_mov_b32 s12, exec_lo
                                        ; implicit-def: $vgpr5
	s_wait_loadcnt 0x0
	v_cvt_f32_u32_e32 v1, v1
	s_wait_xcnt 0x0
	s_delay_alu instid0(VALU_DEP_1)
	v_cmpx_gt_u32_e32 0x47800000, v1
	s_xor_b32 s12, exec_lo, s12
	s_cbranch_execz .LBB241_1771
; %bb.1766:
	s_mov_b32 s13, exec_lo
                                        ; implicit-def: $vgpr5
	v_cmpx_lt_u32_e32 0x387fffff, v1
	s_xor_b32 s13, exec_lo, s13
; %bb.1767:
	v_bfe_u32 v5, v1, 21, 1
	s_delay_alu instid0(VALU_DEP_1) | instskip(NEXT) | instid1(VALU_DEP_1)
	v_add3_u32 v1, v1, v5, 0x80fffff
	v_lshrrev_b32_e32 v5, 21, v1
                                        ; implicit-def: $vgpr1
; %bb.1768:
	s_and_not1_saveexec_b32 s13, s13
; %bb.1769:
	v_add_f32_e32 v5, 0x43000000, v1
; %bb.1770:
	s_or_b32 exec_lo, exec_lo, s13
                                        ; implicit-def: $vgpr1
.LBB241_1771:
	s_and_not1_saveexec_b32 s12, s12
; %bb.1772:
	v_mov_b32_e32 v5, 0x7f
	v_cmp_lt_u32_e32 vcc_lo, 0x7f800000, v1
	s_delay_alu instid0(VALU_DEP_2)
	v_cndmask_b32_e32 v5, 0x7c, v5, vcc_lo
; %bb.1773:
	s_or_b32 exec_lo, exec_lo, s12
.LBB241_1774:
	s_mov_b32 s12, 0
.LBB241_1775:
	s_delay_alu instid0(SALU_CYCLE_1)
	s_and_not1_b32 vcc_lo, exec_lo, s12
	s_cbranch_vccnz .LBB241_1791
; %bb.1776:
	global_load_u8 v5, v[2:3], off
	s_mov_b32 s12, 0
	s_mov_b32 s13, exec_lo
	s_wait_loadcnt 0x0
	v_cmpx_lt_i16_e32 0x7f, v5
	s_xor_b32 s13, exec_lo, s13
	s_cbranch_execz .LBB241_1812
; %bb.1777:
	s_mov_b32 s12, -1
	s_mov_b32 s16, exec_lo
	v_cmpx_eq_u16_e32 0x80, v5
; %bb.1778:
	s_xor_b32 s12, exec_lo, -1
; %bb.1779:
	s_or_b32 exec_lo, exec_lo, s16
	s_delay_alu instid0(SALU_CYCLE_1)
	s_and_b32 s12, s12, exec_lo
	s_or_saveexec_b32 s13, s13
	v_mov_b32_e32 v1, 0x7f800001
	s_xor_b32 exec_lo, exec_lo, s13
	s_cbranch_execnz .LBB241_1813
.LBB241_1780:
	s_or_b32 exec_lo, exec_lo, s13
	s_and_saveexec_b32 s13, s12
	s_cbranch_execz .LBB241_1782
.LBB241_1781:
	v_and_b32_e32 v1, 0xffff, v5
	s_delay_alu instid0(VALU_DEP_1) | instskip(SKIP_1) | instid1(VALU_DEP_2)
	v_and_b32_e32 v6, 7, v1
	v_bfe_u32 v9, v1, 3, 4
	v_clz_i32_u32_e32 v7, v6
	s_delay_alu instid0(VALU_DEP_2) | instskip(NEXT) | instid1(VALU_DEP_2)
	v_cmp_eq_u32_e32 vcc_lo, 0, v9
	v_min_u32_e32 v7, 32, v7
	s_delay_alu instid0(VALU_DEP_1) | instskip(NEXT) | instid1(VALU_DEP_1)
	v_subrev_nc_u32_e32 v8, 28, v7
	v_dual_lshlrev_b32 v1, v8, v1 :: v_dual_sub_nc_u32 v7, 29, v7
	s_delay_alu instid0(VALU_DEP_1) | instskip(NEXT) | instid1(VALU_DEP_2)
	v_and_b32_e32 v1, 7, v1
	v_dual_lshlrev_b32 v5, 24, v5 :: v_dual_cndmask_b32 v7, v9, v7, vcc_lo
	s_delay_alu instid0(VALU_DEP_2) | instskip(NEXT) | instid1(VALU_DEP_2)
	v_cndmask_b32_e32 v1, v6, v1, vcc_lo
	v_and_b32_e32 v5, 0x80000000, v5
	s_delay_alu instid0(VALU_DEP_3) | instskip(NEXT) | instid1(VALU_DEP_3)
	v_lshl_add_u32 v6, v7, 23, 0x3b800000
	v_lshlrev_b32_e32 v1, 20, v1
	s_delay_alu instid0(VALU_DEP_1)
	v_or3_b32 v1, v5, v6, v1
.LBB241_1782:
	s_or_b32 exec_lo, exec_lo, s13
	s_delay_alu instid0(VALU_DEP_1) | instskip(SKIP_1) | instid1(VALU_DEP_1)
	v_and_b32_e32 v6, 0x7fffffff, v1
	s_mov_b32 s12, exec_lo
                                        ; implicit-def: $vgpr5
	v_cmpx_gt_u32_e32 0x47800000, v6
	s_xor_b32 s12, exec_lo, s12
	s_cbranch_execz .LBB241_1788
; %bb.1783:
	s_mov_b32 s13, exec_lo
                                        ; implicit-def: $vgpr5
	v_cmpx_lt_u32_e32 0x387fffff, v6
	s_xor_b32 s13, exec_lo, s13
; %bb.1784:
	v_bfe_u32 v5, v1, 21, 1
	s_delay_alu instid0(VALU_DEP_1) | instskip(NEXT) | instid1(VALU_DEP_1)
	v_add3_u32 v5, v1, v5, 0x80fffff
	v_lshrrev_b32_e32 v5, 21, v5
; %bb.1785:
	s_and_not1_saveexec_b32 s13, s13
; %bb.1786:
	v_add_f32_e64 v5, 0x43000000, |v1|
; %bb.1787:
	s_or_b32 exec_lo, exec_lo, s13
                                        ; implicit-def: $vgpr6
.LBB241_1788:
	s_and_not1_saveexec_b32 s12, s12
; %bb.1789:
	v_mov_b32_e32 v5, 0x7f
	v_cmp_lt_u32_e32 vcc_lo, 0x7f800000, v6
	s_delay_alu instid0(VALU_DEP_2)
	v_cndmask_b32_e32 v5, 0x7c, v5, vcc_lo
; %bb.1790:
	s_or_b32 exec_lo, exec_lo, s12
	v_lshrrev_b32_e32 v1, 24, v1
	s_delay_alu instid0(VALU_DEP_1)
	v_and_or_b32 v5, 0x80, v1, v5
.LBB241_1791:
	s_mov_b32 s13, -1
.LBB241_1792:
	s_branch .LBB241_1845
.LBB241_1793:
	s_cmp_gt_i32 s0, 22
	s_cbranch_scc0 .LBB241_1811
; %bb.1794:
	s_cmp_lt_i32 s0, 24
	s_cbranch_scc1 .LBB241_1814
; %bb.1795:
	s_cmp_gt_i32 s0, 24
	s_cbranch_scc0 .LBB241_1815
; %bb.1796:
	global_load_u8 v5, v[2:3], off
	s_mov_b32 s12, exec_lo
	s_wait_loadcnt 0x0
	v_cmpx_lt_i16_e32 0x7f, v5
	s_xor_b32 s12, exec_lo, s12
	s_cbranch_execz .LBB241_1826
; %bb.1797:
	s_mov_b32 s2, -1
	s_mov_b32 s13, exec_lo
	v_cmpx_eq_u16_e32 0x80, v5
; %bb.1798:
	s_xor_b32 s2, exec_lo, -1
; %bb.1799:
	s_or_b32 exec_lo, exec_lo, s13
	s_delay_alu instid0(SALU_CYCLE_1)
	s_and_b32 s2, s2, exec_lo
	s_or_saveexec_b32 s12, s12
	v_mov_b32_e32 v1, 0x7f800001
	s_xor_b32 exec_lo, exec_lo, s12
	s_cbranch_execnz .LBB241_1827
.LBB241_1800:
	s_or_b32 exec_lo, exec_lo, s12
	s_and_saveexec_b32 s12, s2
	s_cbranch_execz .LBB241_1802
.LBB241_1801:
	v_and_b32_e32 v1, 0xffff, v5
	s_delay_alu instid0(VALU_DEP_1) | instskip(SKIP_1) | instid1(VALU_DEP_2)
	v_and_b32_e32 v6, 3, v1
	v_bfe_u32 v9, v1, 2, 5
	v_clz_i32_u32_e32 v7, v6
	s_delay_alu instid0(VALU_DEP_2) | instskip(NEXT) | instid1(VALU_DEP_2)
	v_cmp_eq_u32_e32 vcc_lo, 0, v9
	v_min_u32_e32 v7, 32, v7
	s_delay_alu instid0(VALU_DEP_1) | instskip(NEXT) | instid1(VALU_DEP_1)
	v_subrev_nc_u32_e32 v8, 29, v7
	v_dual_lshlrev_b32 v1, v8, v1 :: v_dual_sub_nc_u32 v7, 30, v7
	s_delay_alu instid0(VALU_DEP_1) | instskip(NEXT) | instid1(VALU_DEP_2)
	v_and_b32_e32 v1, 3, v1
	v_dual_lshlrev_b32 v5, 24, v5 :: v_dual_cndmask_b32 v7, v9, v7, vcc_lo
	s_delay_alu instid0(VALU_DEP_2) | instskip(NEXT) | instid1(VALU_DEP_2)
	v_cndmask_b32_e32 v1, v6, v1, vcc_lo
	v_and_b32_e32 v5, 0x80000000, v5
	s_delay_alu instid0(VALU_DEP_3) | instskip(NEXT) | instid1(VALU_DEP_3)
	v_lshl_add_u32 v6, v7, 23, 0x37800000
	v_lshlrev_b32_e32 v1, 21, v1
	s_delay_alu instid0(VALU_DEP_1)
	v_or3_b32 v1, v5, v6, v1
.LBB241_1802:
	s_or_b32 exec_lo, exec_lo, s12
	s_delay_alu instid0(VALU_DEP_1) | instskip(SKIP_1) | instid1(VALU_DEP_1)
	v_and_b32_e32 v6, 0x7fffffff, v1
	s_mov_b32 s2, exec_lo
                                        ; implicit-def: $vgpr5
	v_cmpx_gt_u32_e32 0x47800000, v6
	s_xor_b32 s2, exec_lo, s2
	s_cbranch_execz .LBB241_1808
; %bb.1803:
	s_mov_b32 s12, exec_lo
                                        ; implicit-def: $vgpr5
	v_cmpx_lt_u32_e32 0x387fffff, v6
	s_xor_b32 s12, exec_lo, s12
; %bb.1804:
	v_bfe_u32 v5, v1, 21, 1
	s_delay_alu instid0(VALU_DEP_1) | instskip(NEXT) | instid1(VALU_DEP_1)
	v_add3_u32 v5, v1, v5, 0x80fffff
	v_lshrrev_b32_e32 v5, 21, v5
; %bb.1805:
	s_and_not1_saveexec_b32 s12, s12
; %bb.1806:
	v_add_f32_e64 v5, 0x43000000, |v1|
; %bb.1807:
	s_or_b32 exec_lo, exec_lo, s12
                                        ; implicit-def: $vgpr6
.LBB241_1808:
	s_and_not1_saveexec_b32 s2, s2
; %bb.1809:
	v_mov_b32_e32 v5, 0x7f
	v_cmp_lt_u32_e32 vcc_lo, 0x7f800000, v6
	s_delay_alu instid0(VALU_DEP_2)
	v_cndmask_b32_e32 v5, 0x7c, v5, vcc_lo
; %bb.1810:
	s_or_b32 exec_lo, exec_lo, s2
	v_lshrrev_b32_e32 v1, 24, v1
	s_mov_b32 s2, 0
	s_delay_alu instid0(VALU_DEP_1)
	v_and_or_b32 v5, 0x80, v1, v5
	s_branch .LBB241_1816
.LBB241_1811:
                                        ; implicit-def: $vgpr5
	s_mov_b32 s2, 0
	s_branch .LBB241_1832
.LBB241_1812:
	s_or_saveexec_b32 s13, s13
	v_mov_b32_e32 v1, 0x7f800001
	s_xor_b32 exec_lo, exec_lo, s13
	s_cbranch_execz .LBB241_1780
.LBB241_1813:
	v_cmp_ne_u16_e32 vcc_lo, 0, v5
	v_mov_b32_e32 v1, 0
	s_and_not1_b32 s12, s12, exec_lo
	s_and_b32 s16, vcc_lo, exec_lo
	s_delay_alu instid0(SALU_CYCLE_1)
	s_or_b32 s12, s12, s16
	s_or_b32 exec_lo, exec_lo, s13
	s_and_saveexec_b32 s13, s12
	s_cbranch_execnz .LBB241_1781
	s_branch .LBB241_1782
.LBB241_1814:
	s_mov_b32 s2, -1
                                        ; implicit-def: $vgpr5
	s_branch .LBB241_1829
.LBB241_1815:
	s_mov_b32 s2, -1
                                        ; implicit-def: $vgpr5
.LBB241_1816:
	s_delay_alu instid0(SALU_CYCLE_1)
	s_and_b32 vcc_lo, exec_lo, s2
	s_cbranch_vccz .LBB241_1828
; %bb.1817:
	global_load_u8 v1, v[2:3], off
	s_mov_b32 s2, exec_lo
	s_wait_loadcnt 0x0
	v_lshlrev_b32_e32 v1, 24, v1
	s_delay_alu instid0(VALU_DEP_1) | instskip(NEXT) | instid1(VALU_DEP_1)
	v_and_b32_e32 v5, 0x7f000000, v1
	v_clz_i32_u32_e32 v6, v5
	v_cmp_ne_u32_e32 vcc_lo, 0, v5
	v_add_nc_u32_e32 v8, 0x1000000, v5
	s_delay_alu instid0(VALU_DEP_3) | instskip(NEXT) | instid1(VALU_DEP_1)
	v_min_u32_e32 v6, 32, v6
	v_sub_nc_u32_e64 v6, v6, 4 clamp
	s_delay_alu instid0(VALU_DEP_1) | instskip(NEXT) | instid1(VALU_DEP_1)
	v_dual_lshlrev_b32 v7, v6, v5 :: v_dual_lshlrev_b32 v6, 23, v6
                                        ; implicit-def: $vgpr5
	v_lshrrev_b32_e32 v7, 4, v7
	s_delay_alu instid0(VALU_DEP_1) | instskip(NEXT) | instid1(VALU_DEP_1)
	v_dual_sub_nc_u32 v6, v7, v6 :: v_dual_ashrrev_i32 v7, 8, v8
	v_add_nc_u32_e32 v6, 0x3c000000, v6
	s_delay_alu instid0(VALU_DEP_1) | instskip(NEXT) | instid1(VALU_DEP_1)
	v_and_or_b32 v6, 0x7f800000, v7, v6
	v_cndmask_b32_e32 v7, 0, v6, vcc_lo
	s_delay_alu instid0(VALU_DEP_1) | instskip(NEXT) | instid1(VALU_DEP_1)
	v_and_or_b32 v1, 0x80000000, v1, v7
	v_and_b32_e32 v6, 0x7fffffff, v1
	s_wait_xcnt 0x0
	s_delay_alu instid0(VALU_DEP_1)
	v_cmpx_gt_u32_e32 0x47800000, v6
	s_xor_b32 s2, exec_lo, s2
	s_cbranch_execz .LBB241_1823
; %bb.1818:
	s_mov_b32 s12, exec_lo
                                        ; implicit-def: $vgpr5
	v_cmpx_lt_u32_e32 0x387fffff, v6
	s_xor_b32 s12, exec_lo, s12
; %bb.1819:
	v_bfe_u32 v5, v7, 21, 1
	s_delay_alu instid0(VALU_DEP_1) | instskip(NEXT) | instid1(VALU_DEP_1)
	v_add3_u32 v5, v1, v5, 0x80fffff
	v_lshrrev_b32_e32 v5, 21, v5
; %bb.1820:
	s_and_not1_saveexec_b32 s12, s12
; %bb.1821:
	v_add_f32_e64 v5, 0x43000000, |v1|
; %bb.1822:
	s_or_b32 exec_lo, exec_lo, s12
                                        ; implicit-def: $vgpr6
.LBB241_1823:
	s_and_not1_saveexec_b32 s2, s2
; %bb.1824:
	v_mov_b32_e32 v5, 0x7f
	v_cmp_lt_u32_e32 vcc_lo, 0x7f800000, v6
	s_delay_alu instid0(VALU_DEP_2)
	v_cndmask_b32_e32 v5, 0x7c, v5, vcc_lo
; %bb.1825:
	s_or_b32 exec_lo, exec_lo, s2
	v_lshrrev_b32_e32 v1, 24, v1
	s_mov_b32 s2, 0
	s_delay_alu instid0(VALU_DEP_1)
	v_and_or_b32 v5, 0x80, v1, v5
	s_branch .LBB241_1829
.LBB241_1826:
	s_or_saveexec_b32 s12, s12
	v_mov_b32_e32 v1, 0x7f800001
	s_xor_b32 exec_lo, exec_lo, s12
	s_cbranch_execz .LBB241_1800
.LBB241_1827:
	v_cmp_ne_u16_e32 vcc_lo, 0, v5
	v_mov_b32_e32 v1, 0
	s_and_not1_b32 s2, s2, exec_lo
	s_and_b32 s13, vcc_lo, exec_lo
	s_delay_alu instid0(SALU_CYCLE_1)
	s_or_b32 s2, s2, s13
	s_or_b32 exec_lo, exec_lo, s12
	s_and_saveexec_b32 s12, s2
	s_cbranch_execnz .LBB241_1801
	s_branch .LBB241_1802
.LBB241_1828:
	s_mov_b32 s2, 0
.LBB241_1829:
	s_delay_alu instid0(SALU_CYCLE_1)
	s_and_not1_b32 vcc_lo, exec_lo, s2
	s_cbranch_vccnz .LBB241_1831
; %bb.1830:
	global_load_u8 v5, v[2:3], off
.LBB241_1831:
	s_mov_b32 s13, -1
	s_mov_b32 s2, 0
	s_cbranch_execnz .LBB241_1845
.LBB241_1832:
	s_cmp_gt_i32 s0, 14
	s_cbranch_scc0 .LBB241_1843
; %bb.1833:
	s_cmp_eq_u32 s0, 15
	s_cbranch_scc0 .LBB241_1873
; %bb.1834:
	global_load_u16 v1, v[2:3], off
	s_mov_b32 s1, exec_lo
                                        ; implicit-def: $vgpr5
	s_wait_loadcnt 0x0
	v_lshlrev_b32_e32 v6, 16, v1
	s_delay_alu instid0(VALU_DEP_1) | instskip(SKIP_1) | instid1(VALU_DEP_1)
	v_and_b32_e32 v7, 0x7fffffff, v6
	s_wait_xcnt 0x0
	v_cmpx_gt_u32_e32 0x47800000, v7
	s_xor_b32 s1, exec_lo, s1
	s_cbranch_execz .LBB241_1840
; %bb.1835:
	s_mov_b32 s2, exec_lo
                                        ; implicit-def: $vgpr5
	v_cmpx_lt_u32_e32 0x387fffff, v7
	s_xor_b32 s2, exec_lo, s2
; %bb.1836:
	v_bfe_u32 v5, v1, 5, 1
	s_delay_alu instid0(VALU_DEP_1) | instskip(NEXT) | instid1(VALU_DEP_1)
	v_add3_u32 v5, v6, v5, 0x80fffff
                                        ; implicit-def: $vgpr6
	v_lshrrev_b32_e32 v5, 21, v5
; %bb.1837:
	s_and_not1_saveexec_b32 s2, s2
; %bb.1838:
	v_add_f32_e64 v5, 0x43000000, |v6|
; %bb.1839:
	s_or_b32 exec_lo, exec_lo, s2
                                        ; implicit-def: $vgpr7
.LBB241_1840:
	s_and_not1_saveexec_b32 s1, s1
; %bb.1841:
	v_mov_b32_e32 v5, 0x7f
	v_cmp_lt_u32_e32 vcc_lo, 0x7f800000, v7
	s_delay_alu instid0(VALU_DEP_2)
	v_cndmask_b32_e32 v5, 0x7c, v5, vcc_lo
; %bb.1842:
	s_or_b32 exec_lo, exec_lo, s1
	v_lshrrev_b32_e32 v1, 8, v1
	s_mov_b32 s1, 0
	s_mov_b32 s13, -1
	s_delay_alu instid0(VALU_DEP_1)
	v_and_or_b32 v5, 0x80, v1, v5
	s_mov_b32 s2, 0
	s_branch .LBB241_1845
.LBB241_1843:
                                        ; implicit-def: $vgpr5
	s_mov_b32 s2, 0
	s_cbranch_execz .LBB241_1845
; %bb.1844:
	s_cmp_lg_u32 s0, 11
	s_mov_b32 s2, -1
	s_cselect_b32 s1, -1, 0
.LBB241_1845:
	s_delay_alu instid0(SALU_CYCLE_1)
	s_and_b32 vcc_lo, exec_lo, s1
	s_mov_b32 s12, s15
	s_cbranch_vccnz .LBB241_2011
; %bb.1846:
	s_and_not1_b32 vcc_lo, exec_lo, s2
	s_cbranch_vccnz .LBB241_1856
.LBB241_1847:
	global_load_u8 v1, v[2:3], off
	s_mov_b32 s1, exec_lo
                                        ; implicit-def: $vgpr5
	s_wait_loadcnt 0x0
	v_cmp_ne_u16_e32 vcc_lo, 0, v1
	v_cndmask_b32_e64 v1, 0, 1.0, vcc_lo
	s_wait_xcnt 0x0
	s_delay_alu instid0(VALU_DEP_1)
	v_cmpx_gt_u32_e32 0x47800000, v1
	s_xor_b32 s1, exec_lo, s1
	s_cbranch_execz .LBB241_1853
; %bb.1848:
	s_mov_b32 s2, exec_lo
                                        ; implicit-def: $vgpr5
	v_cmpx_lt_u32_e32 0x387fffff, v1
	s_xor_b32 s2, exec_lo, s2
; %bb.1849:
	v_bfe_u32 v5, v1, 21, 1
	s_delay_alu instid0(VALU_DEP_1) | instskip(NEXT) | instid1(VALU_DEP_1)
	v_add3_u32 v1, v1, v5, 0x80fffff
	v_lshrrev_b32_e32 v5, 21, v1
                                        ; implicit-def: $vgpr1
; %bb.1850:
	s_and_not1_saveexec_b32 s2, s2
; %bb.1851:
	v_add_f32_e32 v5, 0x43000000, v1
; %bb.1852:
	s_or_b32 exec_lo, exec_lo, s2
                                        ; implicit-def: $vgpr1
.LBB241_1853:
	s_and_not1_saveexec_b32 s1, s1
; %bb.1854:
	v_mov_b32_e32 v5, 0x7f
	v_cmp_lt_u32_e32 vcc_lo, 0x7f800000, v1
	s_delay_alu instid0(VALU_DEP_2)
	v_cndmask_b32_e32 v5, 0x7c, v5, vcc_lo
; %bb.1855:
	s_or_b32 exec_lo, exec_lo, s1
	s_mov_b32 s13, -1
.LBB241_1856:
	s_branch .LBB241_1716
.LBB241_1857:
	s_cmp_lt_i32 s0, 5
	s_cbranch_scc1 .LBB241_1870
; %bb.1858:
	s_cmp_lt_i32 s0, 8
	s_cbranch_scc1 .LBB241_1871
; %bb.1859:
	;; [unrolled: 3-line block ×3, first 2 shown]
	s_cmp_gt_i32 s0, 9
	s_cbranch_scc0 .LBB241_1874
; %bb.1861:
	global_load_b64 v[6:7], v[2:3], off
	s_mov_b32 s1, exec_lo
                                        ; implicit-def: $vgpr5
	s_wait_loadcnt 0x0
	v_cvt_f32_f64_e32 v1, v[6:7]
	s_delay_alu instid0(VALU_DEP_1) | instskip(SKIP_1) | instid1(VALU_DEP_1)
	v_and_b32_e32 v6, 0x7fffffff, v1
	s_wait_xcnt 0x0
	v_cmpx_gt_u32_e32 0x47800000, v6
	s_xor_b32 s1, exec_lo, s1
	s_cbranch_execz .LBB241_1867
; %bb.1862:
	s_mov_b32 s2, exec_lo
                                        ; implicit-def: $vgpr5
	v_cmpx_lt_u32_e32 0x387fffff, v6
	s_xor_b32 s2, exec_lo, s2
; %bb.1863:
	v_bfe_u32 v5, v1, 21, 1
	s_delay_alu instid0(VALU_DEP_1) | instskip(NEXT) | instid1(VALU_DEP_1)
	v_add3_u32 v5, v1, v5, 0x80fffff
	v_lshrrev_b32_e32 v5, 21, v5
; %bb.1864:
	s_and_not1_saveexec_b32 s2, s2
; %bb.1865:
	v_add_f32_e64 v5, 0x43000000, |v1|
; %bb.1866:
	s_or_b32 exec_lo, exec_lo, s2
                                        ; implicit-def: $vgpr6
.LBB241_1867:
	s_and_not1_saveexec_b32 s1, s1
; %bb.1868:
	v_mov_b32_e32 v5, 0x7f
	v_cmp_lt_u32_e32 vcc_lo, 0x7f800000, v6
	s_delay_alu instid0(VALU_DEP_2)
	v_cndmask_b32_e32 v5, 0x7c, v5, vcc_lo
; %bb.1869:
	s_or_b32 exec_lo, exec_lo, s1
	v_lshrrev_b32_e32 v1, 24, v1
	s_mov_b32 s1, 0
	s_delay_alu instid0(VALU_DEP_1)
	v_and_or_b32 v5, 0x80, v1, v5
	s_branch .LBB241_1875
.LBB241_1870:
                                        ; implicit-def: $vgpr5
	s_branch .LBB241_1932
.LBB241_1871:
                                        ; implicit-def: $vgpr5
	s_branch .LBB241_1897
.LBB241_1872:
	s_mov_b32 s1, -1
                                        ; implicit-def: $vgpr5
	s_branch .LBB241_1886
.LBB241_1873:
	s_mov_b32 s1, -1
                                        ; implicit-def: $vgpr5
	s_mov_b32 s2, 0
	s_branch .LBB241_1845
.LBB241_1874:
	s_mov_b32 s1, -1
                                        ; implicit-def: $vgpr5
.LBB241_1875:
	s_delay_alu instid0(SALU_CYCLE_1)
	s_and_b32 vcc_lo, exec_lo, s1
	s_cbranch_vccz .LBB241_1885
; %bb.1876:
	global_load_b32 v1, v[2:3], off
	s_mov_b32 s1, exec_lo
                                        ; implicit-def: $vgpr5
	s_wait_loadcnt 0x0
	v_and_b32_e32 v6, 0x7fffffff, v1
	s_wait_xcnt 0x0
	s_delay_alu instid0(VALU_DEP_1)
	v_cmpx_gt_u32_e32 0x47800000, v6
	s_xor_b32 s1, exec_lo, s1
	s_cbranch_execz .LBB241_1882
; %bb.1877:
	s_mov_b32 s2, exec_lo
                                        ; implicit-def: $vgpr5
	v_cmpx_lt_u32_e32 0x387fffff, v6
	s_xor_b32 s2, exec_lo, s2
; %bb.1878:
	v_bfe_u32 v5, v1, 21, 1
	s_delay_alu instid0(VALU_DEP_1) | instskip(NEXT) | instid1(VALU_DEP_1)
	v_add3_u32 v5, v1, v5, 0x80fffff
	v_lshrrev_b32_e32 v5, 21, v5
; %bb.1879:
	s_and_not1_saveexec_b32 s2, s2
; %bb.1880:
	v_add_f32_e64 v5, 0x43000000, |v1|
; %bb.1881:
	s_or_b32 exec_lo, exec_lo, s2
                                        ; implicit-def: $vgpr6
.LBB241_1882:
	s_and_not1_saveexec_b32 s1, s1
; %bb.1883:
	v_mov_b32_e32 v5, 0x7f
	v_cmp_lt_u32_e32 vcc_lo, 0x7f800000, v6
	s_delay_alu instid0(VALU_DEP_2)
	v_cndmask_b32_e32 v5, 0x7c, v5, vcc_lo
; %bb.1884:
	s_or_b32 exec_lo, exec_lo, s1
	v_lshrrev_b32_e32 v1, 24, v1
	s_mov_b32 s1, 0
	s_delay_alu instid0(VALU_DEP_1)
	v_and_or_b32 v5, 0x80, v1, v5
	s_branch .LBB241_1886
.LBB241_1885:
	s_mov_b32 s1, 0
.LBB241_1886:
	s_delay_alu instid0(SALU_CYCLE_1)
	s_and_not1_b32 vcc_lo, exec_lo, s1
	s_cbranch_vccnz .LBB241_1896
; %bb.1887:
	global_load_b32 v1, v[2:3], off
	s_mov_b32 s1, exec_lo
                                        ; implicit-def: $vgpr5
	s_wait_loadcnt 0x0
	v_cvt_f32_f16_e32 v1, v1
	s_delay_alu instid0(VALU_DEP_1) | instskip(SKIP_1) | instid1(VALU_DEP_1)
	v_and_b32_e32 v6, 0x7fffffff, v1
	s_wait_xcnt 0x0
	v_cmpx_gt_u32_e32 0x47800000, v6
	s_xor_b32 s1, exec_lo, s1
	s_cbranch_execz .LBB241_1893
; %bb.1888:
	s_mov_b32 s2, exec_lo
                                        ; implicit-def: $vgpr5
	v_cmpx_lt_u32_e32 0x387fffff, v6
	s_xor_b32 s2, exec_lo, s2
; %bb.1889:
	v_bfe_u32 v5, v1, 21, 1
	s_delay_alu instid0(VALU_DEP_1) | instskip(NEXT) | instid1(VALU_DEP_1)
	v_add3_u32 v5, v1, v5, 0x80fffff
	v_lshrrev_b32_e32 v5, 21, v5
; %bb.1890:
	s_and_not1_saveexec_b32 s2, s2
; %bb.1891:
	v_add_f32_e64 v5, 0x43000000, |v1|
; %bb.1892:
	s_or_b32 exec_lo, exec_lo, s2
                                        ; implicit-def: $vgpr6
.LBB241_1893:
	s_and_not1_saveexec_b32 s1, s1
; %bb.1894:
	v_mov_b32_e32 v5, 0x7f
	v_cmp_lt_u32_e32 vcc_lo, 0x7f800000, v6
	s_delay_alu instid0(VALU_DEP_2)
	v_cndmask_b32_e32 v5, 0x7c, v5, vcc_lo
; %bb.1895:
	s_or_b32 exec_lo, exec_lo, s1
	v_lshrrev_b32_e32 v1, 24, v1
	s_delay_alu instid0(VALU_DEP_1)
	v_and_or_b32 v5, 0x80, v1, v5
.LBB241_1896:
	s_cbranch_execnz .LBB241_1931
.LBB241_1897:
	s_cmp_lt_i32 s0, 6
	s_cbranch_scc1 .LBB241_1908
; %bb.1898:
	s_cmp_gt_i32 s0, 6
	s_cbranch_scc0 .LBB241_1909
; %bb.1899:
	global_load_b64 v[6:7], v[2:3], off
	s_mov_b32 s1, exec_lo
                                        ; implicit-def: $vgpr5
	s_wait_loadcnt 0x0
	v_cvt_f32_f64_e32 v1, v[6:7]
	s_delay_alu instid0(VALU_DEP_1) | instskip(SKIP_1) | instid1(VALU_DEP_1)
	v_and_b32_e32 v6, 0x7fffffff, v1
	s_wait_xcnt 0x0
	v_cmpx_gt_u32_e32 0x47800000, v6
	s_xor_b32 s1, exec_lo, s1
	s_cbranch_execz .LBB241_1905
; %bb.1900:
	s_mov_b32 s2, exec_lo
                                        ; implicit-def: $vgpr5
	v_cmpx_lt_u32_e32 0x387fffff, v6
	s_xor_b32 s2, exec_lo, s2
; %bb.1901:
	v_bfe_u32 v5, v1, 21, 1
	s_delay_alu instid0(VALU_DEP_1) | instskip(NEXT) | instid1(VALU_DEP_1)
	v_add3_u32 v5, v1, v5, 0x80fffff
	v_lshrrev_b32_e32 v5, 21, v5
; %bb.1902:
	s_and_not1_saveexec_b32 s2, s2
; %bb.1903:
	v_add_f32_e64 v5, 0x43000000, |v1|
; %bb.1904:
	s_or_b32 exec_lo, exec_lo, s2
                                        ; implicit-def: $vgpr6
.LBB241_1905:
	s_and_not1_saveexec_b32 s1, s1
; %bb.1906:
	v_mov_b32_e32 v5, 0x7f
	v_cmp_lt_u32_e32 vcc_lo, 0x7f800000, v6
	s_delay_alu instid0(VALU_DEP_2)
	v_cndmask_b32_e32 v5, 0x7c, v5, vcc_lo
; %bb.1907:
	s_or_b32 exec_lo, exec_lo, s1
	v_lshrrev_b32_e32 v1, 24, v1
	s_mov_b32 s1, 0
	s_delay_alu instid0(VALU_DEP_1)
	v_and_or_b32 v5, 0x80, v1, v5
	s_branch .LBB241_1910
.LBB241_1908:
	s_mov_b32 s1, -1
                                        ; implicit-def: $vgpr5
	s_branch .LBB241_1921
.LBB241_1909:
	s_mov_b32 s1, -1
                                        ; implicit-def: $vgpr5
.LBB241_1910:
	s_delay_alu instid0(SALU_CYCLE_1)
	s_and_b32 vcc_lo, exec_lo, s1
	s_cbranch_vccz .LBB241_1920
; %bb.1911:
	global_load_b32 v1, v[2:3], off
	s_mov_b32 s1, exec_lo
                                        ; implicit-def: $vgpr5
	s_wait_loadcnt 0x0
	v_and_b32_e32 v6, 0x7fffffff, v1
	s_wait_xcnt 0x0
	s_delay_alu instid0(VALU_DEP_1)
	v_cmpx_gt_u32_e32 0x47800000, v6
	s_xor_b32 s1, exec_lo, s1
	s_cbranch_execz .LBB241_1917
; %bb.1912:
	s_mov_b32 s2, exec_lo
                                        ; implicit-def: $vgpr5
	v_cmpx_lt_u32_e32 0x387fffff, v6
	s_xor_b32 s2, exec_lo, s2
; %bb.1913:
	v_bfe_u32 v5, v1, 21, 1
	s_delay_alu instid0(VALU_DEP_1) | instskip(NEXT) | instid1(VALU_DEP_1)
	v_add3_u32 v5, v1, v5, 0x80fffff
	v_lshrrev_b32_e32 v5, 21, v5
; %bb.1914:
	s_and_not1_saveexec_b32 s2, s2
; %bb.1915:
	v_add_f32_e64 v5, 0x43000000, |v1|
; %bb.1916:
	s_or_b32 exec_lo, exec_lo, s2
                                        ; implicit-def: $vgpr6
.LBB241_1917:
	s_and_not1_saveexec_b32 s1, s1
; %bb.1918:
	v_mov_b32_e32 v5, 0x7f
	v_cmp_lt_u32_e32 vcc_lo, 0x7f800000, v6
	s_delay_alu instid0(VALU_DEP_2)
	v_cndmask_b32_e32 v5, 0x7c, v5, vcc_lo
; %bb.1919:
	s_or_b32 exec_lo, exec_lo, s1
	v_lshrrev_b32_e32 v1, 24, v1
	s_mov_b32 s1, 0
	s_delay_alu instid0(VALU_DEP_1)
	v_and_or_b32 v5, 0x80, v1, v5
	s_branch .LBB241_1921
.LBB241_1920:
	s_mov_b32 s1, 0
.LBB241_1921:
	s_delay_alu instid0(SALU_CYCLE_1)
	s_and_not1_b32 vcc_lo, exec_lo, s1
	s_cbranch_vccnz .LBB241_1931
; %bb.1922:
	global_load_u16 v1, v[2:3], off
	s_mov_b32 s1, exec_lo
                                        ; implicit-def: $vgpr5
	s_wait_loadcnt 0x0
	v_cvt_f32_f16_e32 v1, v1
	s_delay_alu instid0(VALU_DEP_1) | instskip(SKIP_1) | instid1(VALU_DEP_1)
	v_and_b32_e32 v6, 0x7fffffff, v1
	s_wait_xcnt 0x0
	v_cmpx_gt_u32_e32 0x47800000, v6
	s_xor_b32 s1, exec_lo, s1
	s_cbranch_execz .LBB241_1928
; %bb.1923:
	s_mov_b32 s2, exec_lo
                                        ; implicit-def: $vgpr5
	v_cmpx_lt_u32_e32 0x387fffff, v6
	s_xor_b32 s2, exec_lo, s2
; %bb.1924:
	v_bfe_u32 v5, v1, 21, 1
	s_delay_alu instid0(VALU_DEP_1) | instskip(NEXT) | instid1(VALU_DEP_1)
	v_add3_u32 v5, v1, v5, 0x80fffff
	v_lshrrev_b32_e32 v5, 21, v5
; %bb.1925:
	s_and_not1_saveexec_b32 s2, s2
; %bb.1926:
	v_add_f32_e64 v5, 0x43000000, |v1|
; %bb.1927:
	s_or_b32 exec_lo, exec_lo, s2
                                        ; implicit-def: $vgpr6
.LBB241_1928:
	s_and_not1_saveexec_b32 s1, s1
; %bb.1929:
	v_mov_b32_e32 v5, 0x7f
	v_cmp_lt_u32_e32 vcc_lo, 0x7f800000, v6
	s_delay_alu instid0(VALU_DEP_2)
	v_cndmask_b32_e32 v5, 0x7c, v5, vcc_lo
; %bb.1930:
	s_or_b32 exec_lo, exec_lo, s1
	v_lshrrev_b32_e32 v1, 24, v1
	s_delay_alu instid0(VALU_DEP_1)
	v_and_or_b32 v5, 0x80, v1, v5
.LBB241_1931:
	s_cbranch_execnz .LBB241_1990
.LBB241_1932:
	s_cmp_lt_i32 s0, 2
	s_cbranch_scc1 .LBB241_1944
; %bb.1933:
	s_cmp_lt_i32 s0, 3
	s_cbranch_scc1 .LBB241_1945
; %bb.1934:
	s_cmp_gt_i32 s0, 3
	s_cbranch_scc0 .LBB241_1946
; %bb.1935:
	global_load_b64 v[6:7], v[2:3], off
	s_mov_b32 s1, exec_lo
	s_wait_loadcnt 0x0
	v_xor_b32_e32 v1, v6, v7
	v_cls_i32_e32 v5, v7
	s_delay_alu instid0(VALU_DEP_2) | instskip(NEXT) | instid1(VALU_DEP_1)
	v_ashrrev_i32_e32 v1, 31, v1
	v_add_nc_u32_e32 v1, 32, v1
	s_delay_alu instid0(VALU_DEP_1) | instskip(NEXT) | instid1(VALU_DEP_1)
	v_add_min_u32_e64 v1, v5, -1, v1
	v_lshlrev_b64_e32 v[6:7], v1, v[6:7]
	v_sub_nc_u32_e32 v1, 32, v1
	s_delay_alu instid0(VALU_DEP_2) | instskip(NEXT) | instid1(VALU_DEP_1)
	v_min_u32_e32 v5, 1, v6
	v_or_b32_e32 v5, v7, v5
	s_delay_alu instid0(VALU_DEP_1) | instskip(NEXT) | instid1(VALU_DEP_1)
	v_cvt_f32_i32_e32 v5, v5
	v_ldexp_f32 v1, v5, v1
                                        ; implicit-def: $vgpr5
	s_delay_alu instid0(VALU_DEP_1) | instskip(SKIP_1) | instid1(VALU_DEP_1)
	v_and_b32_e32 v6, 0x7fffffff, v1
	s_wait_xcnt 0x0
	v_cmpx_gt_u32_e32 0x47800000, v6
	s_xor_b32 s1, exec_lo, s1
	s_cbranch_execz .LBB241_1941
; %bb.1936:
	s_mov_b32 s2, exec_lo
                                        ; implicit-def: $vgpr5
	v_cmpx_lt_u32_e32 0x387fffff, v6
	s_xor_b32 s2, exec_lo, s2
; %bb.1937:
	v_bfe_u32 v5, v1, 21, 1
	s_delay_alu instid0(VALU_DEP_1) | instskip(NEXT) | instid1(VALU_DEP_1)
	v_add3_u32 v5, v1, v5, 0x80fffff
	v_lshrrev_b32_e32 v5, 21, v5
; %bb.1938:
	s_and_not1_saveexec_b32 s2, s2
; %bb.1939:
	v_add_f32_e64 v5, 0x43000000, |v1|
; %bb.1940:
	s_or_b32 exec_lo, exec_lo, s2
                                        ; implicit-def: $vgpr6
.LBB241_1941:
	s_and_not1_saveexec_b32 s1, s1
; %bb.1942:
	v_mov_b32_e32 v5, 0x7f
	v_cmp_lt_u32_e32 vcc_lo, 0x7f800000, v6
	s_delay_alu instid0(VALU_DEP_2)
	v_cndmask_b32_e32 v5, 0x7c, v5, vcc_lo
; %bb.1943:
	s_or_b32 exec_lo, exec_lo, s1
	v_lshrrev_b32_e32 v1, 24, v1
	s_mov_b32 s1, 0
	s_delay_alu instid0(VALU_DEP_1)
	v_and_or_b32 v5, 0x80, v1, v5
	s_branch .LBB241_1947
.LBB241_1944:
                                        ; implicit-def: $vgpr5
	s_branch .LBB241_1969
.LBB241_1945:
	s_mov_b32 s1, -1
                                        ; implicit-def: $vgpr5
	s_branch .LBB241_1958
.LBB241_1946:
	s_mov_b32 s1, -1
                                        ; implicit-def: $vgpr5
.LBB241_1947:
	s_delay_alu instid0(SALU_CYCLE_1)
	s_and_b32 vcc_lo, exec_lo, s1
	s_cbranch_vccz .LBB241_1957
; %bb.1948:
	global_load_b32 v1, v[2:3], off
	s_mov_b32 s1, exec_lo
                                        ; implicit-def: $vgpr5
	s_wait_loadcnt 0x0
	v_cvt_f32_i32_e32 v1, v1
	s_delay_alu instid0(VALU_DEP_1) | instskip(SKIP_1) | instid1(VALU_DEP_1)
	v_and_b32_e32 v6, 0x7fffffff, v1
	s_wait_xcnt 0x0
	v_cmpx_gt_u32_e32 0x47800000, v6
	s_xor_b32 s1, exec_lo, s1
	s_cbranch_execz .LBB241_1954
; %bb.1949:
	s_mov_b32 s2, exec_lo
                                        ; implicit-def: $vgpr5
	v_cmpx_lt_u32_e32 0x387fffff, v6
	s_xor_b32 s2, exec_lo, s2
; %bb.1950:
	v_bfe_u32 v5, v1, 21, 1
	s_delay_alu instid0(VALU_DEP_1) | instskip(NEXT) | instid1(VALU_DEP_1)
	v_add3_u32 v5, v1, v5, 0x80fffff
	v_lshrrev_b32_e32 v5, 21, v5
; %bb.1951:
	s_and_not1_saveexec_b32 s2, s2
; %bb.1952:
	v_add_f32_e64 v5, 0x43000000, |v1|
; %bb.1953:
	s_or_b32 exec_lo, exec_lo, s2
                                        ; implicit-def: $vgpr6
.LBB241_1954:
	s_and_not1_saveexec_b32 s1, s1
; %bb.1955:
	v_mov_b32_e32 v5, 0x7f
	v_cmp_lt_u32_e32 vcc_lo, 0x7f800000, v6
	s_delay_alu instid0(VALU_DEP_2)
	v_cndmask_b32_e32 v5, 0x7c, v5, vcc_lo
; %bb.1956:
	s_or_b32 exec_lo, exec_lo, s1
	v_lshrrev_b32_e32 v1, 24, v1
	s_mov_b32 s1, 0
	s_delay_alu instid0(VALU_DEP_1)
	v_and_or_b32 v5, 0x80, v1, v5
	s_branch .LBB241_1958
.LBB241_1957:
	s_mov_b32 s1, 0
.LBB241_1958:
	s_delay_alu instid0(SALU_CYCLE_1)
	s_and_not1_b32 vcc_lo, exec_lo, s1
	s_cbranch_vccnz .LBB241_1968
; %bb.1959:
	global_load_i16 v1, v[2:3], off
	s_mov_b32 s1, exec_lo
                                        ; implicit-def: $vgpr5
	s_wait_loadcnt 0x0
	v_cvt_f32_i32_e32 v1, v1
	s_delay_alu instid0(VALU_DEP_1) | instskip(SKIP_1) | instid1(VALU_DEP_1)
	v_and_b32_e32 v6, 0x7fffffff, v1
	s_wait_xcnt 0x0
	v_cmpx_gt_u32_e32 0x47800000, v6
	s_xor_b32 s1, exec_lo, s1
	s_cbranch_execz .LBB241_1965
; %bb.1960:
	s_mov_b32 s2, exec_lo
                                        ; implicit-def: $vgpr5
	v_cmpx_lt_u32_e32 0x387fffff, v6
	s_xor_b32 s2, exec_lo, s2
; %bb.1961:
	v_bfe_u32 v5, v1, 21, 1
	s_delay_alu instid0(VALU_DEP_1) | instskip(NEXT) | instid1(VALU_DEP_1)
	v_add3_u32 v5, v1, v5, 0x80fffff
	v_lshrrev_b32_e32 v5, 21, v5
; %bb.1962:
	s_and_not1_saveexec_b32 s2, s2
; %bb.1963:
	v_add_f32_e64 v5, 0x43000000, |v1|
; %bb.1964:
	s_or_b32 exec_lo, exec_lo, s2
                                        ; implicit-def: $vgpr6
.LBB241_1965:
	s_and_not1_saveexec_b32 s1, s1
; %bb.1966:
	v_mov_b32_e32 v5, 0x7f
	v_cmp_lt_u32_e32 vcc_lo, 0x7f800000, v6
	s_delay_alu instid0(VALU_DEP_2)
	v_cndmask_b32_e32 v5, 0x7c, v5, vcc_lo
; %bb.1967:
	s_or_b32 exec_lo, exec_lo, s1
	v_lshrrev_b32_e32 v1, 24, v1
	s_delay_alu instid0(VALU_DEP_1)
	v_and_or_b32 v5, 0x80, v1, v5
.LBB241_1968:
	s_cbranch_execnz .LBB241_1990
.LBB241_1969:
	s_cmp_gt_i32 s0, 0
	s_cbranch_scc0 .LBB241_1979
; %bb.1970:
	global_load_i8 v1, v[2:3], off
	s_mov_b32 s1, exec_lo
                                        ; implicit-def: $vgpr5
	s_wait_loadcnt 0x0
	v_cvt_f32_i32_e32 v1, v1
	s_delay_alu instid0(VALU_DEP_1) | instskip(SKIP_1) | instid1(VALU_DEP_1)
	v_and_b32_e32 v6, 0x7fffffff, v1
	s_wait_xcnt 0x0
	v_cmpx_gt_u32_e32 0x47800000, v6
	s_xor_b32 s1, exec_lo, s1
	s_cbranch_execz .LBB241_1976
; %bb.1971:
	s_mov_b32 s2, exec_lo
                                        ; implicit-def: $vgpr5
	v_cmpx_lt_u32_e32 0x387fffff, v6
	s_xor_b32 s2, exec_lo, s2
; %bb.1972:
	v_bfe_u32 v5, v1, 21, 1
	s_delay_alu instid0(VALU_DEP_1) | instskip(NEXT) | instid1(VALU_DEP_1)
	v_add3_u32 v5, v1, v5, 0x80fffff
	v_lshrrev_b32_e32 v5, 21, v5
; %bb.1973:
	s_and_not1_saveexec_b32 s2, s2
; %bb.1974:
	v_add_f32_e64 v5, 0x43000000, |v1|
; %bb.1975:
	s_or_b32 exec_lo, exec_lo, s2
                                        ; implicit-def: $vgpr6
.LBB241_1976:
	s_and_not1_saveexec_b32 s1, s1
; %bb.1977:
	v_mov_b32_e32 v5, 0x7f
	v_cmp_lt_u32_e32 vcc_lo, 0x7f800000, v6
	s_delay_alu instid0(VALU_DEP_2)
	v_cndmask_b32_e32 v5, 0x7c, v5, vcc_lo
; %bb.1978:
	s_or_b32 exec_lo, exec_lo, s1
	v_lshrrev_b32_e32 v1, 24, v1
	s_mov_b32 s1, 0
	s_delay_alu instid0(VALU_DEP_1)
	v_and_or_b32 v5, 0x80, v1, v5
	s_branch .LBB241_1980
.LBB241_1979:
	s_mov_b32 s1, -1
                                        ; implicit-def: $vgpr5
.LBB241_1980:
	s_delay_alu instid0(SALU_CYCLE_1)
	s_and_b32 vcc_lo, exec_lo, s1
	s_cbranch_vccz .LBB241_1990
; %bb.1981:
	global_load_u8 v1, v[2:3], off
	s_mov_b32 s1, exec_lo
                                        ; implicit-def: $vgpr5
	s_wait_loadcnt 0x0
	v_cvt_f32_ubyte0_e32 v1, v1
	s_wait_xcnt 0x0
	s_delay_alu instid0(VALU_DEP_1)
	v_cmpx_gt_u32_e32 0x47800000, v1
	s_xor_b32 s1, exec_lo, s1
	s_cbranch_execz .LBB241_1987
; %bb.1982:
	s_mov_b32 s2, exec_lo
                                        ; implicit-def: $vgpr5
	v_cmpx_lt_u32_e32 0x387fffff, v1
	s_xor_b32 s2, exec_lo, s2
; %bb.1983:
	v_bfe_u32 v2, v1, 21, 1
	s_delay_alu instid0(VALU_DEP_1) | instskip(NEXT) | instid1(VALU_DEP_1)
	v_add3_u32 v1, v1, v2, 0x80fffff
	v_lshrrev_b32_e32 v5, 21, v1
                                        ; implicit-def: $vgpr1
; %bb.1984:
	s_and_not1_saveexec_b32 s2, s2
; %bb.1985:
	v_add_f32_e32 v5, 0x43000000, v1
; %bb.1986:
	s_or_b32 exec_lo, exec_lo, s2
                                        ; implicit-def: $vgpr1
.LBB241_1987:
	s_and_not1_saveexec_b32 s1, s1
; %bb.1988:
	v_mov_b32_e32 v2, 0x7f
	v_cmp_lt_u32_e32 vcc_lo, 0x7f800000, v1
	s_delay_alu instid0(VALU_DEP_2)
	v_cndmask_b32_e32 v5, 0x7c, v2, vcc_lo
; %bb.1989:
	s_or_b32 exec_lo, exec_lo, s1
.LBB241_1990:
.LBB241_1991:
	s_lshl_b32 s1, s9, 7
	s_cmp_lt_i32 s0, 11
	v_add_nc_u32_e32 v0, s1, v0
	s_delay_alu instid0(VALU_DEP_1) | instskip(SKIP_1) | instid1(VALU_DEP_1)
	v_ashrrev_i32_e32 v1, 31, v0
	s_wait_xcnt 0x0
	v_add_nc_u64_e32 v[2:3], s[6:7], v[0:1]
	s_cbranch_scc1 .LBB241_2006
; %bb.1992:
	s_cmp_gt_i32 s0, 25
	s_mov_b32 s9, 0
	s_cbranch_scc0 .LBB241_2008
; %bb.1993:
	s_cmp_gt_i32 s0, 28
	s_cbranch_scc0 .LBB241_2009
; %bb.1994:
	s_cmp_gt_i32 s0, 43
	;; [unrolled: 3-line block ×3, first 2 shown]
	s_cbranch_scc0 .LBB241_2012
; %bb.1996:
	s_cmp_eq_u32 s0, 46
	s_mov_b32 s16, 0
	s_cbranch_scc0 .LBB241_2015
; %bb.1997:
	global_load_b32 v1, v[2:3], off
	s_mov_b32 s2, exec_lo
                                        ; implicit-def: $vgpr6
	s_wait_loadcnt 0x0
	v_lshlrev_b32_e32 v1, 16, v1
	s_delay_alu instid0(VALU_DEP_1) | instskip(SKIP_1) | instid1(VALU_DEP_1)
	v_and_b32_e32 v7, 0x7fffffff, v1
	s_wait_xcnt 0x0
	v_cmpx_gt_u32_e32 0x47800000, v7
	s_xor_b32 s2, exec_lo, s2
	s_cbranch_execz .LBB241_2003
; %bb.1998:
	s_mov_b32 s13, exec_lo
                                        ; implicit-def: $vgpr6
	v_cmpx_lt_u32_e32 0x387fffff, v7
	s_xor_b32 s13, exec_lo, s13
; %bb.1999:
	v_bfe_u32 v6, v1, 21, 1
	s_delay_alu instid0(VALU_DEP_1) | instskip(NEXT) | instid1(VALU_DEP_1)
	v_add3_u32 v6, v1, v6, 0x80fffff
	v_lshrrev_b32_e32 v6, 21, v6
; %bb.2000:
	s_and_not1_saveexec_b32 s13, s13
; %bb.2001:
	v_add_f32_e64 v6, 0x43000000, |v1|
; %bb.2002:
	s_or_b32 exec_lo, exec_lo, s13
                                        ; implicit-def: $vgpr7
.LBB241_2003:
	s_and_not1_saveexec_b32 s2, s2
; %bb.2004:
	v_mov_b32_e32 v6, 0x7f
	v_cmp_lt_u32_e32 vcc_lo, 0x7f800000, v7
	s_delay_alu instid0(VALU_DEP_2)
	v_cndmask_b32_e32 v6, 0x7c, v6, vcc_lo
; %bb.2005:
	s_or_b32 exec_lo, exec_lo, s2
	v_lshrrev_b32_e32 v1, 24, v1
	s_mov_b32 s2, 0
	s_mov_b32 s13, -1
	s_delay_alu instid0(VALU_DEP_1)
	v_and_or_b32 v6, 0x80, v1, v6
	s_branch .LBB241_2017
.LBB241_2006:
	s_mov_b32 s13, 0
                                        ; implicit-def: $vgpr6
	s_cbranch_execnz .LBB241_2153
.LBB241_2007:
	s_and_not1_b32 vcc_lo, exec_lo, s13
	s_cbranch_vccnz .LBB241_3315
	s_branch .LBB241_2288
.LBB241_2008:
	s_mov_b32 s13, 0
	s_mov_b32 s2, 0
                                        ; implicit-def: $vgpr6
	s_cbranch_execnz .LBB241_2086
	s_branch .LBB241_2141
.LBB241_2009:
	s_mov_b32 s16, -1
	s_mov_b32 s13, 0
	s_mov_b32 s2, 0
                                        ; implicit-def: $vgpr6
	s_branch .LBB241_2043
.LBB241_2010:
	s_mov_b32 s16, -1
	s_mov_b32 s13, 0
	s_mov_b32 s2, 0
                                        ; implicit-def: $vgpr6
	s_branch .LBB241_2030
.LBB241_2011:
	s_or_b32 s12, s15, exec_lo
	s_trap 2
	s_cbranch_execz .LBB241_1847
	s_branch .LBB241_1856
.LBB241_2012:
	s_mov_b32 s16, -1
	s_mov_b32 s13, 0
	s_mov_b32 s2, 0
	s_branch .LBB241_2016
.LBB241_2013:
	s_and_not1_saveexec_b32 s22, s22
	s_cbranch_execz .LBB241_1624
.LBB241_2014:
	v_add_f32_e32 v2, 0x42800000, v3
	s_and_not1_b32 s21, s21, exec_lo
	s_delay_alu instid0(VALU_DEP_1) | instskip(NEXT) | instid1(VALU_DEP_1)
	v_and_b32_e32 v2, 0xff, v2
	v_cmp_ne_u32_e32 vcc_lo, 0, v2
	s_and_b32 s23, vcc_lo, exec_lo
	s_delay_alu instid0(SALU_CYCLE_1)
	s_or_b32 s21, s21, s23
	s_or_b32 exec_lo, exec_lo, s22
	v_mov_b32_e32 v4, 0
	s_and_saveexec_b32 s22, s21
	s_cbranch_execnz .LBB241_1625
	s_branch .LBB241_1626
.LBB241_2015:
	s_mov_b32 s2, -1
	s_mov_b32 s13, 0
.LBB241_2016:
                                        ; implicit-def: $vgpr6
.LBB241_2017:
	s_and_b32 vcc_lo, exec_lo, s16
	s_cbranch_vccz .LBB241_2029
; %bb.2018:
	s_cmp_eq_u32 s0, 44
	s_cbranch_scc0 .LBB241_2028
; %bb.2019:
	global_load_u8 v1, v[2:3], off
	s_mov_b32 s2, exec_lo
	s_wait_loadcnt 0x0
	v_lshlrev_b32_e32 v6, 23, v1
	v_cmp_ne_u32_e32 vcc_lo, 0xff, v1
	s_delay_alu instid0(VALU_DEP_2) | instskip(SKIP_1) | instid1(VALU_DEP_2)
	v_cndmask_b32_e32 v6, 0x7f800001, v6, vcc_lo
	v_cmp_ne_u32_e32 vcc_lo, 0, v1
	v_cndmask_b32_e32 v1, 0x400000, v6, vcc_lo
                                        ; implicit-def: $vgpr6
	s_wait_xcnt 0x0
	s_delay_alu instid0(VALU_DEP_1)
	v_cmpx_gt_u32_e32 0x47800000, v1
	s_xor_b32 s2, exec_lo, s2
	s_cbranch_execz .LBB241_2025
; %bb.2020:
	s_mov_b32 s13, exec_lo
                                        ; implicit-def: $vgpr6
	v_cmpx_lt_u32_e32 0x387fffff, v1
	s_xor_b32 s13, exec_lo, s13
; %bb.2021:
	v_bfe_u32 v6, v1, 21, 1
	s_delay_alu instid0(VALU_DEP_1) | instskip(NEXT) | instid1(VALU_DEP_1)
	v_add3_u32 v1, v1, v6, 0x80fffff
	v_lshrrev_b32_e32 v6, 21, v1
                                        ; implicit-def: $vgpr1
; %bb.2022:
	s_and_not1_saveexec_b32 s13, s13
; %bb.2023:
	v_add_f32_e32 v6, 0x43000000, v1
; %bb.2024:
	s_or_b32 exec_lo, exec_lo, s13
                                        ; implicit-def: $vgpr1
.LBB241_2025:
	s_and_not1_saveexec_b32 s2, s2
; %bb.2026:
	v_mov_b32_e32 v6, 0x7f
	v_cmp_lt_u32_e32 vcc_lo, 0x7f800000, v1
	s_delay_alu instid0(VALU_DEP_2)
	v_cndmask_b32_e32 v6, 0x7c, v6, vcc_lo
; %bb.2027:
	s_or_b32 exec_lo, exec_lo, s2
	s_mov_b32 s2, 0
	s_mov_b32 s13, -1
	s_branch .LBB241_2029
.LBB241_2028:
	s_mov_b32 s2, -1
                                        ; implicit-def: $vgpr6
.LBB241_2029:
	s_mov_b32 s16, 0
.LBB241_2030:
	s_delay_alu instid0(SALU_CYCLE_1)
	s_and_b32 vcc_lo, exec_lo, s16
	s_cbranch_vccz .LBB241_2042
; %bb.2031:
	s_cmp_eq_u32 s0, 29
	s_cbranch_scc0 .LBB241_2041
; %bb.2032:
	global_load_b64 v[6:7], v[2:3], off
	s_mov_b32 s2, exec_lo
	s_wait_loadcnt 0x0
	v_clz_i32_u32_e32 v1, v7
	s_delay_alu instid0(VALU_DEP_1) | instskip(NEXT) | instid1(VALU_DEP_1)
	v_min_u32_e32 v1, 32, v1
	v_lshlrev_b64_e32 v[6:7], v1, v[6:7]
	v_sub_nc_u32_e32 v1, 32, v1
	s_delay_alu instid0(VALU_DEP_2) | instskip(NEXT) | instid1(VALU_DEP_1)
	v_min_u32_e32 v6, 1, v6
	v_or_b32_e32 v6, v7, v6
	s_delay_alu instid0(VALU_DEP_1) | instskip(NEXT) | instid1(VALU_DEP_1)
	v_cvt_f32_u32_e32 v6, v6
	v_ldexp_f32 v1, v6, v1
                                        ; implicit-def: $vgpr6
	s_wait_xcnt 0x0
	s_delay_alu instid0(VALU_DEP_1)
	v_cmpx_gt_u32_e32 0x47800000, v1
	s_xor_b32 s2, exec_lo, s2
	s_cbranch_execz .LBB241_2038
; %bb.2033:
	s_mov_b32 s13, exec_lo
                                        ; implicit-def: $vgpr6
	v_cmpx_lt_u32_e32 0x387fffff, v1
	s_xor_b32 s13, exec_lo, s13
; %bb.2034:
	v_bfe_u32 v6, v1, 21, 1
	s_delay_alu instid0(VALU_DEP_1) | instskip(NEXT) | instid1(VALU_DEP_1)
	v_add3_u32 v1, v1, v6, 0x80fffff
	v_lshrrev_b32_e32 v6, 21, v1
                                        ; implicit-def: $vgpr1
; %bb.2035:
	s_and_not1_saveexec_b32 s13, s13
; %bb.2036:
	v_add_f32_e32 v6, 0x43000000, v1
; %bb.2037:
	s_or_b32 exec_lo, exec_lo, s13
                                        ; implicit-def: $vgpr1
.LBB241_2038:
	s_and_not1_saveexec_b32 s2, s2
; %bb.2039:
	v_mov_b32_e32 v6, 0x7f
	v_cmp_lt_u32_e32 vcc_lo, 0x7f800000, v1
	s_delay_alu instid0(VALU_DEP_2)
	v_cndmask_b32_e32 v6, 0x7c, v6, vcc_lo
; %bb.2040:
	s_or_b32 exec_lo, exec_lo, s2
	s_mov_b32 s2, 0
	s_mov_b32 s13, -1
	s_branch .LBB241_2042
.LBB241_2041:
	s_mov_b32 s2, -1
                                        ; implicit-def: $vgpr6
.LBB241_2042:
	s_mov_b32 s16, 0
.LBB241_2043:
	s_delay_alu instid0(SALU_CYCLE_1)
	s_and_b32 vcc_lo, exec_lo, s16
	s_cbranch_vccz .LBB241_2085
; %bb.2044:
	s_cmp_lt_i32 s0, 27
	s_cbranch_scc1 .LBB241_2055
; %bb.2045:
	s_cmp_gt_i32 s0, 27
	s_cbranch_scc0 .LBB241_2056
; %bb.2046:
	global_load_b32 v1, v[2:3], off
	s_mov_b32 s13, exec_lo
                                        ; implicit-def: $vgpr6
	s_wait_loadcnt 0x0
	v_cvt_f32_u32_e32 v1, v1
	s_wait_xcnt 0x0
	s_delay_alu instid0(VALU_DEP_1)
	v_cmpx_gt_u32_e32 0x47800000, v1
	s_xor_b32 s13, exec_lo, s13
	s_cbranch_execz .LBB241_2052
; %bb.2047:
	s_mov_b32 s16, exec_lo
                                        ; implicit-def: $vgpr6
	v_cmpx_lt_u32_e32 0x387fffff, v1
	s_xor_b32 s16, exec_lo, s16
; %bb.2048:
	v_bfe_u32 v6, v1, 21, 1
	s_delay_alu instid0(VALU_DEP_1) | instskip(NEXT) | instid1(VALU_DEP_1)
	v_add3_u32 v1, v1, v6, 0x80fffff
	v_lshrrev_b32_e32 v6, 21, v1
                                        ; implicit-def: $vgpr1
; %bb.2049:
	s_and_not1_saveexec_b32 s16, s16
; %bb.2050:
	v_add_f32_e32 v6, 0x43000000, v1
; %bb.2051:
	s_or_b32 exec_lo, exec_lo, s16
                                        ; implicit-def: $vgpr1
.LBB241_2052:
	s_and_not1_saveexec_b32 s13, s13
; %bb.2053:
	v_mov_b32_e32 v6, 0x7f
	v_cmp_lt_u32_e32 vcc_lo, 0x7f800000, v1
	s_delay_alu instid0(VALU_DEP_2)
	v_cndmask_b32_e32 v6, 0x7c, v6, vcc_lo
; %bb.2054:
	s_or_b32 exec_lo, exec_lo, s13
	s_mov_b32 s13, 0
	s_branch .LBB241_2057
.LBB241_2055:
	s_mov_b32 s13, -1
                                        ; implicit-def: $vgpr6
	s_branch .LBB241_2068
.LBB241_2056:
	s_mov_b32 s13, -1
                                        ; implicit-def: $vgpr6
.LBB241_2057:
	s_delay_alu instid0(SALU_CYCLE_1)
	s_and_b32 vcc_lo, exec_lo, s13
	s_cbranch_vccz .LBB241_2067
; %bb.2058:
	global_load_u16 v1, v[2:3], off
	s_mov_b32 s13, exec_lo
                                        ; implicit-def: $vgpr6
	s_wait_loadcnt 0x0
	v_cvt_f32_u32_e32 v1, v1
	s_wait_xcnt 0x0
	s_delay_alu instid0(VALU_DEP_1)
	v_cmpx_gt_u32_e32 0x47800000, v1
	s_xor_b32 s13, exec_lo, s13
	s_cbranch_execz .LBB241_2064
; %bb.2059:
	s_mov_b32 s16, exec_lo
                                        ; implicit-def: $vgpr6
	v_cmpx_lt_u32_e32 0x387fffff, v1
	s_xor_b32 s16, exec_lo, s16
; %bb.2060:
	v_bfe_u32 v6, v1, 21, 1
	s_delay_alu instid0(VALU_DEP_1) | instskip(NEXT) | instid1(VALU_DEP_1)
	v_add3_u32 v1, v1, v6, 0x80fffff
	v_lshrrev_b32_e32 v6, 21, v1
                                        ; implicit-def: $vgpr1
; %bb.2061:
	s_and_not1_saveexec_b32 s16, s16
; %bb.2062:
	v_add_f32_e32 v6, 0x43000000, v1
; %bb.2063:
	s_or_b32 exec_lo, exec_lo, s16
                                        ; implicit-def: $vgpr1
.LBB241_2064:
	s_and_not1_saveexec_b32 s13, s13
; %bb.2065:
	v_mov_b32_e32 v6, 0x7f
	v_cmp_lt_u32_e32 vcc_lo, 0x7f800000, v1
	s_delay_alu instid0(VALU_DEP_2)
	v_cndmask_b32_e32 v6, 0x7c, v6, vcc_lo
; %bb.2066:
	s_or_b32 exec_lo, exec_lo, s13
.LBB241_2067:
	s_mov_b32 s13, 0
.LBB241_2068:
	s_delay_alu instid0(SALU_CYCLE_1)
	s_and_not1_b32 vcc_lo, exec_lo, s13
	s_cbranch_vccnz .LBB241_2084
; %bb.2069:
	global_load_u8 v6, v[2:3], off
	s_mov_b32 s13, 0
	s_mov_b32 s16, exec_lo
	s_wait_loadcnt 0x0
	v_cmpx_lt_i16_e32 0x7f, v6
	s_xor_b32 s16, exec_lo, s16
	s_cbranch_execz .LBB241_2105
; %bb.2070:
	s_mov_b32 s13, -1
	s_mov_b32 s17, exec_lo
	v_cmpx_eq_u16_e32 0x80, v6
; %bb.2071:
	s_xor_b32 s13, exec_lo, -1
; %bb.2072:
	s_or_b32 exec_lo, exec_lo, s17
	s_delay_alu instid0(SALU_CYCLE_1)
	s_and_b32 s13, s13, exec_lo
	s_or_saveexec_b32 s16, s16
	v_mov_b32_e32 v1, 0x7f800001
	s_xor_b32 exec_lo, exec_lo, s16
	s_cbranch_execnz .LBB241_2106
.LBB241_2073:
	s_or_b32 exec_lo, exec_lo, s16
	s_and_saveexec_b32 s16, s13
	s_cbranch_execz .LBB241_2075
.LBB241_2074:
	v_and_b32_e32 v1, 0xffff, v6
	s_delay_alu instid0(VALU_DEP_1) | instskip(SKIP_1) | instid1(VALU_DEP_2)
	v_and_b32_e32 v7, 7, v1
	v_bfe_u32 v10, v1, 3, 4
	v_clz_i32_u32_e32 v8, v7
	s_delay_alu instid0(VALU_DEP_2) | instskip(NEXT) | instid1(VALU_DEP_2)
	v_cmp_eq_u32_e32 vcc_lo, 0, v10
	v_min_u32_e32 v8, 32, v8
	s_delay_alu instid0(VALU_DEP_1) | instskip(NEXT) | instid1(VALU_DEP_1)
	v_subrev_nc_u32_e32 v9, 28, v8
	v_dual_lshlrev_b32 v1, v9, v1 :: v_dual_sub_nc_u32 v8, 29, v8
	s_delay_alu instid0(VALU_DEP_1) | instskip(NEXT) | instid1(VALU_DEP_1)
	v_dual_lshlrev_b32 v6, 24, v6 :: v_dual_bitop2_b32 v1, 7, v1 bitop3:0x40
	v_dual_cndmask_b32 v8, v10, v8 :: v_dual_cndmask_b32 v1, v7, v1
	s_delay_alu instid0(VALU_DEP_2) | instskip(NEXT) | instid1(VALU_DEP_2)
	v_and_b32_e32 v6, 0x80000000, v6
	v_lshl_add_u32 v7, v8, 23, 0x3b800000
	s_delay_alu instid0(VALU_DEP_3) | instskip(NEXT) | instid1(VALU_DEP_1)
	v_lshlrev_b32_e32 v1, 20, v1
	v_or3_b32 v1, v6, v7, v1
.LBB241_2075:
	s_or_b32 exec_lo, exec_lo, s16
	s_delay_alu instid0(VALU_DEP_1) | instskip(SKIP_1) | instid1(VALU_DEP_1)
	v_and_b32_e32 v7, 0x7fffffff, v1
	s_mov_b32 s13, exec_lo
                                        ; implicit-def: $vgpr6
	v_cmpx_gt_u32_e32 0x47800000, v7
	s_xor_b32 s13, exec_lo, s13
	s_cbranch_execz .LBB241_2081
; %bb.2076:
	s_mov_b32 s16, exec_lo
                                        ; implicit-def: $vgpr6
	v_cmpx_lt_u32_e32 0x387fffff, v7
	s_xor_b32 s16, exec_lo, s16
; %bb.2077:
	v_bfe_u32 v6, v1, 21, 1
	s_delay_alu instid0(VALU_DEP_1) | instskip(NEXT) | instid1(VALU_DEP_1)
	v_add3_u32 v6, v1, v6, 0x80fffff
	v_lshrrev_b32_e32 v6, 21, v6
; %bb.2078:
	s_and_not1_saveexec_b32 s16, s16
; %bb.2079:
	v_add_f32_e64 v6, 0x43000000, |v1|
; %bb.2080:
	s_or_b32 exec_lo, exec_lo, s16
                                        ; implicit-def: $vgpr7
.LBB241_2081:
	s_and_not1_saveexec_b32 s13, s13
; %bb.2082:
	v_mov_b32_e32 v6, 0x7f
	v_cmp_lt_u32_e32 vcc_lo, 0x7f800000, v7
	s_delay_alu instid0(VALU_DEP_2)
	v_cndmask_b32_e32 v6, 0x7c, v6, vcc_lo
; %bb.2083:
	s_or_b32 exec_lo, exec_lo, s13
	v_lshrrev_b32_e32 v1, 24, v1
	s_delay_alu instid0(VALU_DEP_1)
	v_and_or_b32 v6, 0x80, v1, v6
.LBB241_2084:
	s_mov_b32 s13, -1
.LBB241_2085:
	s_branch .LBB241_2141
.LBB241_2086:
	s_cmp_gt_i32 s0, 22
	s_cbranch_scc0 .LBB241_2104
; %bb.2087:
	s_cmp_lt_i32 s0, 24
	s_cbranch_scc1 .LBB241_2107
; %bb.2088:
	s_cmp_gt_i32 s0, 24
	s_cbranch_scc0 .LBB241_2108
; %bb.2089:
	global_load_u8 v6, v[2:3], off
	s_mov_b32 s13, exec_lo
	s_wait_loadcnt 0x0
	v_cmpx_lt_i16_e32 0x7f, v6
	s_xor_b32 s13, exec_lo, s13
	s_cbranch_execz .LBB241_2119
; %bb.2090:
	s_mov_b32 s9, -1
	s_mov_b32 s16, exec_lo
	v_cmpx_eq_u16_e32 0x80, v6
; %bb.2091:
	s_xor_b32 s9, exec_lo, -1
; %bb.2092:
	s_or_b32 exec_lo, exec_lo, s16
	s_delay_alu instid0(SALU_CYCLE_1)
	s_and_b32 s9, s9, exec_lo
	s_or_saveexec_b32 s13, s13
	v_mov_b32_e32 v1, 0x7f800001
	s_xor_b32 exec_lo, exec_lo, s13
	s_cbranch_execnz .LBB241_2120
.LBB241_2093:
	s_or_b32 exec_lo, exec_lo, s13
	s_and_saveexec_b32 s13, s9
	s_cbranch_execz .LBB241_2095
.LBB241_2094:
	v_and_b32_e32 v1, 0xffff, v6
	s_delay_alu instid0(VALU_DEP_1) | instskip(SKIP_1) | instid1(VALU_DEP_2)
	v_and_b32_e32 v7, 3, v1
	v_bfe_u32 v10, v1, 2, 5
	v_clz_i32_u32_e32 v8, v7
	s_delay_alu instid0(VALU_DEP_2) | instskip(NEXT) | instid1(VALU_DEP_2)
	v_cmp_eq_u32_e32 vcc_lo, 0, v10
	v_min_u32_e32 v8, 32, v8
	s_delay_alu instid0(VALU_DEP_1) | instskip(NEXT) | instid1(VALU_DEP_1)
	v_subrev_nc_u32_e32 v9, 29, v8
	v_dual_lshlrev_b32 v1, v9, v1 :: v_dual_sub_nc_u32 v8, 30, v8
	s_delay_alu instid0(VALU_DEP_1) | instskip(NEXT) | instid1(VALU_DEP_1)
	v_dual_lshlrev_b32 v6, 24, v6 :: v_dual_bitop2_b32 v1, 3, v1 bitop3:0x40
	v_dual_cndmask_b32 v8, v10, v8 :: v_dual_cndmask_b32 v1, v7, v1
	s_delay_alu instid0(VALU_DEP_2) | instskip(NEXT) | instid1(VALU_DEP_2)
	v_and_b32_e32 v6, 0x80000000, v6
	v_lshl_add_u32 v7, v8, 23, 0x37800000
	s_delay_alu instid0(VALU_DEP_3) | instskip(NEXT) | instid1(VALU_DEP_1)
	v_lshlrev_b32_e32 v1, 21, v1
	v_or3_b32 v1, v6, v7, v1
.LBB241_2095:
	s_or_b32 exec_lo, exec_lo, s13
	s_delay_alu instid0(VALU_DEP_1) | instskip(SKIP_1) | instid1(VALU_DEP_1)
	v_and_b32_e32 v7, 0x7fffffff, v1
	s_mov_b32 s9, exec_lo
                                        ; implicit-def: $vgpr6
	v_cmpx_gt_u32_e32 0x47800000, v7
	s_xor_b32 s9, exec_lo, s9
	s_cbranch_execz .LBB241_2101
; %bb.2096:
	s_mov_b32 s13, exec_lo
                                        ; implicit-def: $vgpr6
	v_cmpx_lt_u32_e32 0x387fffff, v7
	s_xor_b32 s13, exec_lo, s13
; %bb.2097:
	v_bfe_u32 v6, v1, 21, 1
	s_delay_alu instid0(VALU_DEP_1) | instskip(NEXT) | instid1(VALU_DEP_1)
	v_add3_u32 v6, v1, v6, 0x80fffff
	v_lshrrev_b32_e32 v6, 21, v6
; %bb.2098:
	s_and_not1_saveexec_b32 s13, s13
; %bb.2099:
	v_add_f32_e64 v6, 0x43000000, |v1|
; %bb.2100:
	s_or_b32 exec_lo, exec_lo, s13
                                        ; implicit-def: $vgpr7
.LBB241_2101:
	s_and_not1_saveexec_b32 s9, s9
; %bb.2102:
	v_mov_b32_e32 v6, 0x7f
	v_cmp_lt_u32_e32 vcc_lo, 0x7f800000, v7
	s_delay_alu instid0(VALU_DEP_2)
	v_cndmask_b32_e32 v6, 0x7c, v6, vcc_lo
; %bb.2103:
	s_or_b32 exec_lo, exec_lo, s9
	v_lshrrev_b32_e32 v1, 24, v1
	s_mov_b32 s9, 0
	s_delay_alu instid0(VALU_DEP_1)
	v_and_or_b32 v6, 0x80, v1, v6
	s_branch .LBB241_2109
.LBB241_2104:
	s_mov_b32 s9, -1
                                        ; implicit-def: $vgpr6
	s_branch .LBB241_2125
.LBB241_2105:
	s_or_saveexec_b32 s16, s16
	v_mov_b32_e32 v1, 0x7f800001
	s_xor_b32 exec_lo, exec_lo, s16
	s_cbranch_execz .LBB241_2073
.LBB241_2106:
	v_cmp_ne_u16_e32 vcc_lo, 0, v6
	v_mov_b32_e32 v1, 0
	s_and_not1_b32 s13, s13, exec_lo
	s_and_b32 s17, vcc_lo, exec_lo
	s_delay_alu instid0(SALU_CYCLE_1)
	s_or_b32 s13, s13, s17
	s_or_b32 exec_lo, exec_lo, s16
	s_and_saveexec_b32 s16, s13
	s_cbranch_execnz .LBB241_2074
	s_branch .LBB241_2075
.LBB241_2107:
	s_mov_b32 s9, -1
                                        ; implicit-def: $vgpr6
	s_branch .LBB241_2122
.LBB241_2108:
	s_mov_b32 s9, -1
                                        ; implicit-def: $vgpr6
.LBB241_2109:
	s_delay_alu instid0(SALU_CYCLE_1)
	s_and_b32 vcc_lo, exec_lo, s9
	s_cbranch_vccz .LBB241_2121
; %bb.2110:
	global_load_u8 v1, v[2:3], off
	s_mov_b32 s9, exec_lo
	s_wait_loadcnt 0x0
	v_lshlrev_b32_e32 v1, 24, v1
	s_delay_alu instid0(VALU_DEP_1) | instskip(NEXT) | instid1(VALU_DEP_1)
	v_and_b32_e32 v6, 0x7f000000, v1
	v_clz_i32_u32_e32 v7, v6
	v_cmp_ne_u32_e32 vcc_lo, 0, v6
	v_add_nc_u32_e32 v9, 0x1000000, v6
	s_delay_alu instid0(VALU_DEP_3) | instskip(NEXT) | instid1(VALU_DEP_1)
	v_min_u32_e32 v7, 32, v7
	v_sub_nc_u32_e64 v7, v7, 4 clamp
	s_delay_alu instid0(VALU_DEP_1) | instskip(NEXT) | instid1(VALU_DEP_1)
	v_lshlrev_b32_e32 v8, v7, v6
                                        ; implicit-def: $vgpr6
	v_dual_lshlrev_b32 v7, 23, v7 :: v_dual_lshrrev_b32 v8, 4, v8
	s_delay_alu instid0(VALU_DEP_1) | instskip(NEXT) | instid1(VALU_DEP_1)
	v_dual_sub_nc_u32 v7, v8, v7 :: v_dual_ashrrev_i32 v8, 8, v9
	v_add_nc_u32_e32 v7, 0x3c000000, v7
	s_delay_alu instid0(VALU_DEP_1) | instskip(NEXT) | instid1(VALU_DEP_1)
	v_and_or_b32 v7, 0x7f800000, v8, v7
	v_cndmask_b32_e32 v8, 0, v7, vcc_lo
	s_delay_alu instid0(VALU_DEP_1) | instskip(NEXT) | instid1(VALU_DEP_1)
	v_and_or_b32 v1, 0x80000000, v1, v8
	v_and_b32_e32 v7, 0x7fffffff, v1
	s_wait_xcnt 0x0
	s_delay_alu instid0(VALU_DEP_1)
	v_cmpx_gt_u32_e32 0x47800000, v7
	s_xor_b32 s9, exec_lo, s9
	s_cbranch_execz .LBB241_2116
; %bb.2111:
	s_mov_b32 s13, exec_lo
                                        ; implicit-def: $vgpr6
	v_cmpx_lt_u32_e32 0x387fffff, v7
	s_xor_b32 s13, exec_lo, s13
; %bb.2112:
	v_bfe_u32 v6, v8, 21, 1
	s_delay_alu instid0(VALU_DEP_1) | instskip(NEXT) | instid1(VALU_DEP_1)
	v_add3_u32 v6, v1, v6, 0x80fffff
	v_lshrrev_b32_e32 v6, 21, v6
; %bb.2113:
	s_and_not1_saveexec_b32 s13, s13
; %bb.2114:
	v_add_f32_e64 v6, 0x43000000, |v1|
; %bb.2115:
	s_or_b32 exec_lo, exec_lo, s13
                                        ; implicit-def: $vgpr7
.LBB241_2116:
	s_and_not1_saveexec_b32 s9, s9
; %bb.2117:
	v_mov_b32_e32 v6, 0x7f
	v_cmp_lt_u32_e32 vcc_lo, 0x7f800000, v7
	s_delay_alu instid0(VALU_DEP_2)
	v_cndmask_b32_e32 v6, 0x7c, v6, vcc_lo
; %bb.2118:
	s_or_b32 exec_lo, exec_lo, s9
	v_lshrrev_b32_e32 v1, 24, v1
	s_mov_b32 s9, 0
	s_delay_alu instid0(VALU_DEP_1)
	v_and_or_b32 v6, 0x80, v1, v6
	s_branch .LBB241_2122
.LBB241_2119:
	s_or_saveexec_b32 s13, s13
	v_mov_b32_e32 v1, 0x7f800001
	s_xor_b32 exec_lo, exec_lo, s13
	s_cbranch_execz .LBB241_2093
.LBB241_2120:
	v_cmp_ne_u16_e32 vcc_lo, 0, v6
	v_mov_b32_e32 v1, 0
	s_and_not1_b32 s9, s9, exec_lo
	s_and_b32 s16, vcc_lo, exec_lo
	s_delay_alu instid0(SALU_CYCLE_1)
	s_or_b32 s9, s9, s16
	s_or_b32 exec_lo, exec_lo, s13
	s_and_saveexec_b32 s13, s9
	s_cbranch_execnz .LBB241_2094
	s_branch .LBB241_2095
.LBB241_2121:
	s_mov_b32 s9, 0
.LBB241_2122:
	s_delay_alu instid0(SALU_CYCLE_1)
	s_and_not1_b32 vcc_lo, exec_lo, s9
	s_cbranch_vccnz .LBB241_2124
; %bb.2123:
	global_load_u8 v6, v[2:3], off
.LBB241_2124:
	s_mov_b32 s9, 0
	s_mov_b32 s13, -1
.LBB241_2125:
	s_and_not1_b32 vcc_lo, exec_lo, s9
	s_mov_b32 s9, 0
	s_cbranch_vccnz .LBB241_2141
; %bb.2126:
	s_cmp_gt_i32 s0, 14
	s_cbranch_scc0 .LBB241_2137
; %bb.2127:
	s_cmp_eq_u32 s0, 15
	s_cbranch_scc0 .LBB241_2138
; %bb.2128:
	global_load_u16 v1, v[2:3], off
	s_mov_b32 s2, exec_lo
                                        ; implicit-def: $vgpr6
	s_wait_loadcnt 0x0
	v_lshlrev_b32_e32 v7, 16, v1
	s_delay_alu instid0(VALU_DEP_1) | instskip(SKIP_1) | instid1(VALU_DEP_1)
	v_and_b32_e32 v8, 0x7fffffff, v7
	s_wait_xcnt 0x0
	v_cmpx_gt_u32_e32 0x47800000, v8
	s_xor_b32 s2, exec_lo, s2
	s_cbranch_execz .LBB241_2134
; %bb.2129:
	s_mov_b32 s9, exec_lo
                                        ; implicit-def: $vgpr6
	v_cmpx_lt_u32_e32 0x387fffff, v8
	s_xor_b32 s9, exec_lo, s9
; %bb.2130:
	v_bfe_u32 v6, v1, 5, 1
	s_delay_alu instid0(VALU_DEP_1) | instskip(NEXT) | instid1(VALU_DEP_1)
	v_add3_u32 v6, v7, v6, 0x80fffff
                                        ; implicit-def: $vgpr7
	v_lshrrev_b32_e32 v6, 21, v6
; %bb.2131:
	s_and_not1_saveexec_b32 s9, s9
; %bb.2132:
	v_add_f32_e64 v6, 0x43000000, |v7|
; %bb.2133:
	s_or_b32 exec_lo, exec_lo, s9
                                        ; implicit-def: $vgpr8
.LBB241_2134:
	s_and_not1_saveexec_b32 s2, s2
; %bb.2135:
	v_mov_b32_e32 v6, 0x7f
	v_cmp_lt_u32_e32 vcc_lo, 0x7f800000, v8
	s_delay_alu instid0(VALU_DEP_2)
	v_cndmask_b32_e32 v6, 0x7c, v6, vcc_lo
; %bb.2136:
	s_or_b32 exec_lo, exec_lo, s2
	v_lshrrev_b32_e32 v1, 8, v1
	s_mov_b32 s2, 0
	s_mov_b32 s13, -1
	s_mov_b32 s9, 0
	s_delay_alu instid0(VALU_DEP_1)
	v_and_or_b32 v6, 0x80, v1, v6
	s_branch .LBB241_2139
.LBB241_2137:
	s_mov_b32 s9, -1
                                        ; implicit-def: $vgpr6
	s_branch .LBB241_2139
.LBB241_2138:
	s_mov_b32 s2, -1
                                        ; implicit-def: $vgpr6
	s_mov_b32 s9, 0
.LBB241_2139:
	s_delay_alu instid0(SALU_CYCLE_1)
	s_and_b32 vcc_lo, exec_lo, s9
	s_mov_b32 s9, 0
	s_cbranch_vccz .LBB241_2141
; %bb.2140:
	s_cmp_lg_u32 s0, 11
	s_mov_b32 s9, -1
	s_cselect_b32 s2, -1, 0
.LBB241_2141:
	s_delay_alu instid0(SALU_CYCLE_1)
	s_and_b32 vcc_lo, exec_lo, s2
	s_cbranch_vccnz .LBB241_2308
; %bb.2142:
	s_and_not1_b32 vcc_lo, exec_lo, s9
	s_cbranch_vccnz .LBB241_2152
.LBB241_2143:
	global_load_u8 v1, v[2:3], off
	s_mov_b32 s2, exec_lo
                                        ; implicit-def: $vgpr6
	s_wait_loadcnt 0x0
	v_cmp_ne_u16_e32 vcc_lo, 0, v1
	v_cndmask_b32_e64 v1, 0, 1.0, vcc_lo
	s_wait_xcnt 0x0
	s_delay_alu instid0(VALU_DEP_1)
	v_cmpx_gt_u32_e32 0x47800000, v1
	s_xor_b32 s2, exec_lo, s2
	s_cbranch_execz .LBB241_2149
; %bb.2144:
	s_mov_b32 s9, exec_lo
                                        ; implicit-def: $vgpr6
	v_cmpx_lt_u32_e32 0x387fffff, v1
	s_xor_b32 s9, exec_lo, s9
; %bb.2145:
	v_bfe_u32 v6, v1, 21, 1
	s_delay_alu instid0(VALU_DEP_1) | instskip(NEXT) | instid1(VALU_DEP_1)
	v_add3_u32 v1, v1, v6, 0x80fffff
	v_lshrrev_b32_e32 v6, 21, v1
                                        ; implicit-def: $vgpr1
; %bb.2146:
	s_and_not1_saveexec_b32 s9, s9
; %bb.2147:
	v_add_f32_e32 v6, 0x43000000, v1
; %bb.2148:
	s_or_b32 exec_lo, exec_lo, s9
                                        ; implicit-def: $vgpr1
.LBB241_2149:
	s_and_not1_saveexec_b32 s2, s2
; %bb.2150:
	v_mov_b32_e32 v6, 0x7f
	v_cmp_lt_u32_e32 vcc_lo, 0x7f800000, v1
	s_delay_alu instid0(VALU_DEP_2)
	v_cndmask_b32_e32 v6, 0x7c, v6, vcc_lo
; %bb.2151:
	s_or_b32 exec_lo, exec_lo, s2
	s_mov_b32 s13, -1
.LBB241_2152:
	s_branch .LBB241_2007
.LBB241_2153:
	s_cmp_lt_i32 s0, 5
	s_cbranch_scc1 .LBB241_2166
; %bb.2154:
	s_cmp_lt_i32 s0, 8
	s_cbranch_scc1 .LBB241_2167
; %bb.2155:
	s_cmp_lt_i32 s0, 9
	s_cbranch_scc1 .LBB241_2168
; %bb.2156:
	s_cmp_gt_i32 s0, 9
	s_cbranch_scc0 .LBB241_2169
; %bb.2157:
	s_wait_loadcnt 0x0
	global_load_b64 v[6:7], v[2:3], off
	s_mov_b32 s2, exec_lo
	s_wait_loadcnt 0x0
	v_cvt_f32_f64_e32 v1, v[6:7]
                                        ; implicit-def: $vgpr6
	s_delay_alu instid0(VALU_DEP_1) | instskip(SKIP_1) | instid1(VALU_DEP_1)
	v_and_b32_e32 v7, 0x7fffffff, v1
	s_wait_xcnt 0x0
	v_cmpx_gt_u32_e32 0x47800000, v7
	s_xor_b32 s2, exec_lo, s2
	s_cbranch_execz .LBB241_2163
; %bb.2158:
	s_mov_b32 s9, exec_lo
                                        ; implicit-def: $vgpr6
	v_cmpx_lt_u32_e32 0x387fffff, v7
	s_xor_b32 s9, exec_lo, s9
; %bb.2159:
	v_bfe_u32 v6, v1, 21, 1
	s_delay_alu instid0(VALU_DEP_1) | instskip(NEXT) | instid1(VALU_DEP_1)
	v_add3_u32 v6, v1, v6, 0x80fffff
	v_lshrrev_b32_e32 v6, 21, v6
; %bb.2160:
	s_and_not1_saveexec_b32 s9, s9
; %bb.2161:
	v_add_f32_e64 v6, 0x43000000, |v1|
; %bb.2162:
	s_or_b32 exec_lo, exec_lo, s9
                                        ; implicit-def: $vgpr7
.LBB241_2163:
	s_and_not1_saveexec_b32 s2, s2
; %bb.2164:
	v_mov_b32_e32 v6, 0x7f
	v_cmp_lt_u32_e32 vcc_lo, 0x7f800000, v7
	s_delay_alu instid0(VALU_DEP_2)
	v_cndmask_b32_e32 v6, 0x7c, v6, vcc_lo
; %bb.2165:
	s_or_b32 exec_lo, exec_lo, s2
	v_lshrrev_b32_e32 v1, 24, v1
	s_mov_b32 s2, 0
	s_delay_alu instid0(VALU_DEP_1)
	v_and_or_b32 v6, 0x80, v1, v6
	s_branch .LBB241_2170
.LBB241_2166:
                                        ; implicit-def: $vgpr6
	s_branch .LBB241_2228
.LBB241_2167:
	s_mov_b32 s2, -1
                                        ; implicit-def: $vgpr6
	s_branch .LBB241_2192
.LBB241_2168:
	s_mov_b32 s2, -1
                                        ; implicit-def: $vgpr6
	s_branch .LBB241_2181
.LBB241_2169:
	s_mov_b32 s2, -1
                                        ; implicit-def: $vgpr6
.LBB241_2170:
	s_delay_alu instid0(SALU_CYCLE_1)
	s_and_b32 vcc_lo, exec_lo, s2
	s_cbranch_vccz .LBB241_2180
; %bb.2171:
	global_load_b32 v1, v[2:3], off
	s_mov_b32 s2, exec_lo
                                        ; implicit-def: $vgpr6
	s_wait_loadcnt 0x0
	v_and_b32_e32 v7, 0x7fffffff, v1
	s_wait_xcnt 0x0
	s_delay_alu instid0(VALU_DEP_1)
	v_cmpx_gt_u32_e32 0x47800000, v7
	s_xor_b32 s2, exec_lo, s2
	s_cbranch_execz .LBB241_2177
; %bb.2172:
	s_mov_b32 s9, exec_lo
                                        ; implicit-def: $vgpr6
	v_cmpx_lt_u32_e32 0x387fffff, v7
	s_xor_b32 s9, exec_lo, s9
; %bb.2173:
	v_bfe_u32 v6, v1, 21, 1
	s_delay_alu instid0(VALU_DEP_1) | instskip(NEXT) | instid1(VALU_DEP_1)
	v_add3_u32 v6, v1, v6, 0x80fffff
	v_lshrrev_b32_e32 v6, 21, v6
; %bb.2174:
	s_and_not1_saveexec_b32 s9, s9
; %bb.2175:
	v_add_f32_e64 v6, 0x43000000, |v1|
; %bb.2176:
	s_or_b32 exec_lo, exec_lo, s9
                                        ; implicit-def: $vgpr7
.LBB241_2177:
	s_and_not1_saveexec_b32 s2, s2
; %bb.2178:
	v_mov_b32_e32 v6, 0x7f
	v_cmp_lt_u32_e32 vcc_lo, 0x7f800000, v7
	s_delay_alu instid0(VALU_DEP_2)
	v_cndmask_b32_e32 v6, 0x7c, v6, vcc_lo
; %bb.2179:
	s_or_b32 exec_lo, exec_lo, s2
	v_lshrrev_b32_e32 v1, 24, v1
	s_mov_b32 s2, 0
	s_delay_alu instid0(VALU_DEP_1)
	v_and_or_b32 v6, 0x80, v1, v6
	s_branch .LBB241_2181
.LBB241_2180:
	s_mov_b32 s2, 0
.LBB241_2181:
	s_delay_alu instid0(SALU_CYCLE_1)
	s_and_not1_b32 vcc_lo, exec_lo, s2
	s_cbranch_vccnz .LBB241_2191
; %bb.2182:
	global_load_b32 v1, v[2:3], off
	s_mov_b32 s2, exec_lo
                                        ; implicit-def: $vgpr6
	s_wait_loadcnt 0x0
	v_cvt_f32_f16_e32 v1, v1
	s_delay_alu instid0(VALU_DEP_1) | instskip(SKIP_1) | instid1(VALU_DEP_1)
	v_and_b32_e32 v7, 0x7fffffff, v1
	s_wait_xcnt 0x0
	v_cmpx_gt_u32_e32 0x47800000, v7
	s_xor_b32 s2, exec_lo, s2
	s_cbranch_execz .LBB241_2188
; %bb.2183:
	s_mov_b32 s9, exec_lo
                                        ; implicit-def: $vgpr6
	v_cmpx_lt_u32_e32 0x387fffff, v7
	s_xor_b32 s9, exec_lo, s9
; %bb.2184:
	v_bfe_u32 v6, v1, 21, 1
	s_delay_alu instid0(VALU_DEP_1) | instskip(NEXT) | instid1(VALU_DEP_1)
	v_add3_u32 v6, v1, v6, 0x80fffff
	v_lshrrev_b32_e32 v6, 21, v6
; %bb.2185:
	s_and_not1_saveexec_b32 s9, s9
; %bb.2186:
	v_add_f32_e64 v6, 0x43000000, |v1|
; %bb.2187:
	s_or_b32 exec_lo, exec_lo, s9
                                        ; implicit-def: $vgpr7
.LBB241_2188:
	s_and_not1_saveexec_b32 s2, s2
; %bb.2189:
	v_mov_b32_e32 v6, 0x7f
	v_cmp_lt_u32_e32 vcc_lo, 0x7f800000, v7
	s_delay_alu instid0(VALU_DEP_2)
	v_cndmask_b32_e32 v6, 0x7c, v6, vcc_lo
; %bb.2190:
	s_or_b32 exec_lo, exec_lo, s2
	v_lshrrev_b32_e32 v1, 24, v1
	s_delay_alu instid0(VALU_DEP_1)
	v_and_or_b32 v6, 0x80, v1, v6
.LBB241_2191:
	s_mov_b32 s2, 0
.LBB241_2192:
	s_delay_alu instid0(SALU_CYCLE_1)
	s_and_not1_b32 vcc_lo, exec_lo, s2
	s_cbranch_vccnz .LBB241_2227
; %bb.2193:
	s_cmp_lt_i32 s0, 6
	s_cbranch_scc1 .LBB241_2204
; %bb.2194:
	s_cmp_gt_i32 s0, 6
	s_cbranch_scc0 .LBB241_2205
; %bb.2195:
	s_wait_loadcnt 0x0
	global_load_b64 v[6:7], v[2:3], off
	s_mov_b32 s2, exec_lo
	s_wait_loadcnt 0x0
	v_cvt_f32_f64_e32 v1, v[6:7]
                                        ; implicit-def: $vgpr6
	s_delay_alu instid0(VALU_DEP_1) | instskip(SKIP_1) | instid1(VALU_DEP_1)
	v_and_b32_e32 v7, 0x7fffffff, v1
	s_wait_xcnt 0x0
	v_cmpx_gt_u32_e32 0x47800000, v7
	s_xor_b32 s2, exec_lo, s2
	s_cbranch_execz .LBB241_2201
; %bb.2196:
	s_mov_b32 s9, exec_lo
                                        ; implicit-def: $vgpr6
	v_cmpx_lt_u32_e32 0x387fffff, v7
	s_xor_b32 s9, exec_lo, s9
; %bb.2197:
	v_bfe_u32 v6, v1, 21, 1
	s_delay_alu instid0(VALU_DEP_1) | instskip(NEXT) | instid1(VALU_DEP_1)
	v_add3_u32 v6, v1, v6, 0x80fffff
	v_lshrrev_b32_e32 v6, 21, v6
; %bb.2198:
	s_and_not1_saveexec_b32 s9, s9
; %bb.2199:
	v_add_f32_e64 v6, 0x43000000, |v1|
; %bb.2200:
	s_or_b32 exec_lo, exec_lo, s9
                                        ; implicit-def: $vgpr7
.LBB241_2201:
	s_and_not1_saveexec_b32 s2, s2
; %bb.2202:
	v_mov_b32_e32 v6, 0x7f
	v_cmp_lt_u32_e32 vcc_lo, 0x7f800000, v7
	s_delay_alu instid0(VALU_DEP_2)
	v_cndmask_b32_e32 v6, 0x7c, v6, vcc_lo
; %bb.2203:
	s_or_b32 exec_lo, exec_lo, s2
	v_lshrrev_b32_e32 v1, 24, v1
	s_mov_b32 s2, 0
	s_delay_alu instid0(VALU_DEP_1)
	v_and_or_b32 v6, 0x80, v1, v6
	s_branch .LBB241_2206
.LBB241_2204:
	s_mov_b32 s2, -1
                                        ; implicit-def: $vgpr6
	s_branch .LBB241_2217
.LBB241_2205:
	s_mov_b32 s2, -1
                                        ; implicit-def: $vgpr6
.LBB241_2206:
	s_delay_alu instid0(SALU_CYCLE_1)
	s_and_b32 vcc_lo, exec_lo, s2
	s_cbranch_vccz .LBB241_2216
; %bb.2207:
	global_load_b32 v1, v[2:3], off
	s_mov_b32 s2, exec_lo
                                        ; implicit-def: $vgpr6
	s_wait_loadcnt 0x0
	v_and_b32_e32 v7, 0x7fffffff, v1
	s_wait_xcnt 0x0
	s_delay_alu instid0(VALU_DEP_1)
	v_cmpx_gt_u32_e32 0x47800000, v7
	s_xor_b32 s2, exec_lo, s2
	s_cbranch_execz .LBB241_2213
; %bb.2208:
	s_mov_b32 s9, exec_lo
                                        ; implicit-def: $vgpr6
	v_cmpx_lt_u32_e32 0x387fffff, v7
	s_xor_b32 s9, exec_lo, s9
; %bb.2209:
	v_bfe_u32 v6, v1, 21, 1
	s_delay_alu instid0(VALU_DEP_1) | instskip(NEXT) | instid1(VALU_DEP_1)
	v_add3_u32 v6, v1, v6, 0x80fffff
	v_lshrrev_b32_e32 v6, 21, v6
; %bb.2210:
	s_and_not1_saveexec_b32 s9, s9
; %bb.2211:
	v_add_f32_e64 v6, 0x43000000, |v1|
; %bb.2212:
	s_or_b32 exec_lo, exec_lo, s9
                                        ; implicit-def: $vgpr7
.LBB241_2213:
	s_and_not1_saveexec_b32 s2, s2
; %bb.2214:
	v_mov_b32_e32 v6, 0x7f
	v_cmp_lt_u32_e32 vcc_lo, 0x7f800000, v7
	s_delay_alu instid0(VALU_DEP_2)
	v_cndmask_b32_e32 v6, 0x7c, v6, vcc_lo
; %bb.2215:
	s_or_b32 exec_lo, exec_lo, s2
	v_lshrrev_b32_e32 v1, 24, v1
	s_mov_b32 s2, 0
	s_delay_alu instid0(VALU_DEP_1)
	v_and_or_b32 v6, 0x80, v1, v6
	s_branch .LBB241_2217
.LBB241_2216:
	s_mov_b32 s2, 0
.LBB241_2217:
	s_delay_alu instid0(SALU_CYCLE_1)
	s_and_not1_b32 vcc_lo, exec_lo, s2
	s_cbranch_vccnz .LBB241_2227
; %bb.2218:
	global_load_u16 v1, v[2:3], off
	s_mov_b32 s2, exec_lo
                                        ; implicit-def: $vgpr6
	s_wait_loadcnt 0x0
	v_cvt_f32_f16_e32 v1, v1
	s_delay_alu instid0(VALU_DEP_1) | instskip(SKIP_1) | instid1(VALU_DEP_1)
	v_and_b32_e32 v7, 0x7fffffff, v1
	s_wait_xcnt 0x0
	v_cmpx_gt_u32_e32 0x47800000, v7
	s_xor_b32 s2, exec_lo, s2
	s_cbranch_execz .LBB241_2224
; %bb.2219:
	s_mov_b32 s9, exec_lo
                                        ; implicit-def: $vgpr6
	v_cmpx_lt_u32_e32 0x387fffff, v7
	s_xor_b32 s9, exec_lo, s9
; %bb.2220:
	v_bfe_u32 v6, v1, 21, 1
	s_delay_alu instid0(VALU_DEP_1) | instskip(NEXT) | instid1(VALU_DEP_1)
	v_add3_u32 v6, v1, v6, 0x80fffff
	v_lshrrev_b32_e32 v6, 21, v6
; %bb.2221:
	s_and_not1_saveexec_b32 s9, s9
; %bb.2222:
	v_add_f32_e64 v6, 0x43000000, |v1|
; %bb.2223:
	s_or_b32 exec_lo, exec_lo, s9
                                        ; implicit-def: $vgpr7
.LBB241_2224:
	s_and_not1_saveexec_b32 s2, s2
; %bb.2225:
	v_mov_b32_e32 v6, 0x7f
	v_cmp_lt_u32_e32 vcc_lo, 0x7f800000, v7
	s_delay_alu instid0(VALU_DEP_2)
	v_cndmask_b32_e32 v6, 0x7c, v6, vcc_lo
; %bb.2226:
	s_or_b32 exec_lo, exec_lo, s2
	v_lshrrev_b32_e32 v1, 24, v1
	s_delay_alu instid0(VALU_DEP_1)
	v_and_or_b32 v6, 0x80, v1, v6
.LBB241_2227:
	s_cbranch_execnz .LBB241_2287
.LBB241_2228:
	s_cmp_lt_i32 s0, 2
	s_cbranch_scc1 .LBB241_2240
; %bb.2229:
	s_cmp_lt_i32 s0, 3
	s_cbranch_scc1 .LBB241_2241
; %bb.2230:
	s_cmp_gt_i32 s0, 3
	s_cbranch_scc0 .LBB241_2242
; %bb.2231:
	s_wait_loadcnt 0x0
	global_load_b64 v[6:7], v[2:3], off
	s_mov_b32 s2, exec_lo
	s_wait_loadcnt 0x0
	v_xor_b32_e32 v1, v6, v7
	v_cls_i32_e32 v8, v7
	s_delay_alu instid0(VALU_DEP_2) | instskip(NEXT) | instid1(VALU_DEP_1)
	v_ashrrev_i32_e32 v1, 31, v1
	v_add_nc_u32_e32 v1, 32, v1
	s_delay_alu instid0(VALU_DEP_1) | instskip(NEXT) | instid1(VALU_DEP_1)
	v_add_min_u32_e64 v1, v8, -1, v1
	v_lshlrev_b64_e32 v[6:7], v1, v[6:7]
	v_sub_nc_u32_e32 v1, 32, v1
	s_delay_alu instid0(VALU_DEP_2) | instskip(NEXT) | instid1(VALU_DEP_1)
	v_min_u32_e32 v6, 1, v6
	v_or_b32_e32 v6, v7, v6
	s_delay_alu instid0(VALU_DEP_1) | instskip(NEXT) | instid1(VALU_DEP_1)
	v_cvt_f32_i32_e32 v6, v6
	v_ldexp_f32 v1, v6, v1
                                        ; implicit-def: $vgpr6
	s_delay_alu instid0(VALU_DEP_1) | instskip(SKIP_1) | instid1(VALU_DEP_1)
	v_and_b32_e32 v7, 0x7fffffff, v1
	s_wait_xcnt 0x0
	v_cmpx_gt_u32_e32 0x47800000, v7
	s_xor_b32 s2, exec_lo, s2
	s_cbranch_execz .LBB241_2237
; %bb.2232:
	s_mov_b32 s9, exec_lo
                                        ; implicit-def: $vgpr6
	v_cmpx_lt_u32_e32 0x387fffff, v7
	s_xor_b32 s9, exec_lo, s9
; %bb.2233:
	v_bfe_u32 v6, v1, 21, 1
	s_delay_alu instid0(VALU_DEP_1) | instskip(NEXT) | instid1(VALU_DEP_1)
	v_add3_u32 v6, v1, v6, 0x80fffff
	v_lshrrev_b32_e32 v6, 21, v6
; %bb.2234:
	s_and_not1_saveexec_b32 s9, s9
; %bb.2235:
	v_add_f32_e64 v6, 0x43000000, |v1|
; %bb.2236:
	s_or_b32 exec_lo, exec_lo, s9
                                        ; implicit-def: $vgpr7
.LBB241_2237:
	s_and_not1_saveexec_b32 s2, s2
; %bb.2238:
	v_mov_b32_e32 v6, 0x7f
	v_cmp_lt_u32_e32 vcc_lo, 0x7f800000, v7
	s_delay_alu instid0(VALU_DEP_2)
	v_cndmask_b32_e32 v6, 0x7c, v6, vcc_lo
; %bb.2239:
	s_or_b32 exec_lo, exec_lo, s2
	v_lshrrev_b32_e32 v1, 24, v1
	s_mov_b32 s2, 0
	s_delay_alu instid0(VALU_DEP_1)
	v_and_or_b32 v6, 0x80, v1, v6
	s_branch .LBB241_2243
.LBB241_2240:
	s_mov_b32 s2, -1
                                        ; implicit-def: $vgpr6
	s_branch .LBB241_2265
.LBB241_2241:
	s_mov_b32 s2, -1
                                        ; implicit-def: $vgpr6
	s_branch .LBB241_2254
.LBB241_2242:
	s_mov_b32 s2, -1
                                        ; implicit-def: $vgpr6
.LBB241_2243:
	s_delay_alu instid0(SALU_CYCLE_1)
	s_and_b32 vcc_lo, exec_lo, s2
	s_cbranch_vccz .LBB241_2253
; %bb.2244:
	global_load_b32 v1, v[2:3], off
	s_mov_b32 s2, exec_lo
                                        ; implicit-def: $vgpr6
	s_wait_loadcnt 0x0
	v_cvt_f32_i32_e32 v1, v1
	s_delay_alu instid0(VALU_DEP_1) | instskip(SKIP_1) | instid1(VALU_DEP_1)
	v_and_b32_e32 v7, 0x7fffffff, v1
	s_wait_xcnt 0x0
	v_cmpx_gt_u32_e32 0x47800000, v7
	s_xor_b32 s2, exec_lo, s2
	s_cbranch_execz .LBB241_2250
; %bb.2245:
	s_mov_b32 s9, exec_lo
                                        ; implicit-def: $vgpr6
	v_cmpx_lt_u32_e32 0x387fffff, v7
	s_xor_b32 s9, exec_lo, s9
; %bb.2246:
	v_bfe_u32 v6, v1, 21, 1
	s_delay_alu instid0(VALU_DEP_1) | instskip(NEXT) | instid1(VALU_DEP_1)
	v_add3_u32 v6, v1, v6, 0x80fffff
	v_lshrrev_b32_e32 v6, 21, v6
; %bb.2247:
	s_and_not1_saveexec_b32 s9, s9
; %bb.2248:
	v_add_f32_e64 v6, 0x43000000, |v1|
; %bb.2249:
	s_or_b32 exec_lo, exec_lo, s9
                                        ; implicit-def: $vgpr7
.LBB241_2250:
	s_and_not1_saveexec_b32 s2, s2
; %bb.2251:
	v_mov_b32_e32 v6, 0x7f
	v_cmp_lt_u32_e32 vcc_lo, 0x7f800000, v7
	s_delay_alu instid0(VALU_DEP_2)
	v_cndmask_b32_e32 v6, 0x7c, v6, vcc_lo
; %bb.2252:
	s_or_b32 exec_lo, exec_lo, s2
	v_lshrrev_b32_e32 v1, 24, v1
	s_mov_b32 s2, 0
	s_delay_alu instid0(VALU_DEP_1)
	v_and_or_b32 v6, 0x80, v1, v6
	s_branch .LBB241_2254
.LBB241_2253:
	s_mov_b32 s2, 0
.LBB241_2254:
	s_delay_alu instid0(SALU_CYCLE_1)
	s_and_not1_b32 vcc_lo, exec_lo, s2
	s_cbranch_vccnz .LBB241_2264
; %bb.2255:
	global_load_i16 v1, v[2:3], off
	s_mov_b32 s2, exec_lo
                                        ; implicit-def: $vgpr6
	s_wait_loadcnt 0x0
	v_cvt_f32_i32_e32 v1, v1
	s_delay_alu instid0(VALU_DEP_1) | instskip(SKIP_1) | instid1(VALU_DEP_1)
	v_and_b32_e32 v7, 0x7fffffff, v1
	s_wait_xcnt 0x0
	v_cmpx_gt_u32_e32 0x47800000, v7
	s_xor_b32 s2, exec_lo, s2
	s_cbranch_execz .LBB241_2261
; %bb.2256:
	s_mov_b32 s9, exec_lo
                                        ; implicit-def: $vgpr6
	v_cmpx_lt_u32_e32 0x387fffff, v7
	s_xor_b32 s9, exec_lo, s9
; %bb.2257:
	v_bfe_u32 v6, v1, 21, 1
	s_delay_alu instid0(VALU_DEP_1) | instskip(NEXT) | instid1(VALU_DEP_1)
	v_add3_u32 v6, v1, v6, 0x80fffff
	v_lshrrev_b32_e32 v6, 21, v6
; %bb.2258:
	s_and_not1_saveexec_b32 s9, s9
; %bb.2259:
	v_add_f32_e64 v6, 0x43000000, |v1|
; %bb.2260:
	s_or_b32 exec_lo, exec_lo, s9
                                        ; implicit-def: $vgpr7
.LBB241_2261:
	s_and_not1_saveexec_b32 s2, s2
; %bb.2262:
	v_mov_b32_e32 v6, 0x7f
	v_cmp_lt_u32_e32 vcc_lo, 0x7f800000, v7
	s_delay_alu instid0(VALU_DEP_2)
	v_cndmask_b32_e32 v6, 0x7c, v6, vcc_lo
; %bb.2263:
	s_or_b32 exec_lo, exec_lo, s2
	v_lshrrev_b32_e32 v1, 24, v1
	s_delay_alu instid0(VALU_DEP_1)
	v_and_or_b32 v6, 0x80, v1, v6
.LBB241_2264:
	s_mov_b32 s2, 0
.LBB241_2265:
	s_delay_alu instid0(SALU_CYCLE_1)
	s_and_not1_b32 vcc_lo, exec_lo, s2
	s_cbranch_vccnz .LBB241_2287
; %bb.2266:
	s_cmp_gt_i32 s0, 0
	s_cbranch_scc0 .LBB241_2276
; %bb.2267:
	global_load_i8 v1, v[2:3], off
	s_mov_b32 s2, exec_lo
                                        ; implicit-def: $vgpr6
	s_wait_loadcnt 0x0
	v_cvt_f32_i32_e32 v1, v1
	s_delay_alu instid0(VALU_DEP_1) | instskip(SKIP_1) | instid1(VALU_DEP_1)
	v_and_b32_e32 v7, 0x7fffffff, v1
	s_wait_xcnt 0x0
	v_cmpx_gt_u32_e32 0x47800000, v7
	s_xor_b32 s2, exec_lo, s2
	s_cbranch_execz .LBB241_2273
; %bb.2268:
	s_mov_b32 s9, exec_lo
                                        ; implicit-def: $vgpr6
	v_cmpx_lt_u32_e32 0x387fffff, v7
	s_xor_b32 s9, exec_lo, s9
; %bb.2269:
	v_bfe_u32 v6, v1, 21, 1
	s_delay_alu instid0(VALU_DEP_1) | instskip(NEXT) | instid1(VALU_DEP_1)
	v_add3_u32 v6, v1, v6, 0x80fffff
	v_lshrrev_b32_e32 v6, 21, v6
; %bb.2270:
	s_and_not1_saveexec_b32 s9, s9
; %bb.2271:
	v_add_f32_e64 v6, 0x43000000, |v1|
; %bb.2272:
	s_or_b32 exec_lo, exec_lo, s9
                                        ; implicit-def: $vgpr7
.LBB241_2273:
	s_and_not1_saveexec_b32 s2, s2
; %bb.2274:
	v_mov_b32_e32 v6, 0x7f
	v_cmp_lt_u32_e32 vcc_lo, 0x7f800000, v7
	s_delay_alu instid0(VALU_DEP_2)
	v_cndmask_b32_e32 v6, 0x7c, v6, vcc_lo
; %bb.2275:
	s_or_b32 exec_lo, exec_lo, s2
	v_lshrrev_b32_e32 v1, 24, v1
	s_mov_b32 s2, 0
	s_delay_alu instid0(VALU_DEP_1)
	v_and_or_b32 v6, 0x80, v1, v6
	s_branch .LBB241_2277
.LBB241_2276:
	s_mov_b32 s2, -1
                                        ; implicit-def: $vgpr6
.LBB241_2277:
	s_delay_alu instid0(SALU_CYCLE_1)
	s_and_b32 vcc_lo, exec_lo, s2
	s_cbranch_vccz .LBB241_2287
; %bb.2278:
	global_load_u8 v1, v[2:3], off
	s_mov_b32 s2, exec_lo
                                        ; implicit-def: $vgpr6
	s_wait_loadcnt 0x0
	v_cvt_f32_ubyte0_e32 v1, v1
	s_wait_xcnt 0x0
	s_delay_alu instid0(VALU_DEP_1)
	v_cmpx_gt_u32_e32 0x47800000, v1
	s_xor_b32 s2, exec_lo, s2
	s_cbranch_execz .LBB241_2284
; %bb.2279:
	s_mov_b32 s9, exec_lo
                                        ; implicit-def: $vgpr6
	v_cmpx_lt_u32_e32 0x387fffff, v1
	s_xor_b32 s9, exec_lo, s9
; %bb.2280:
	v_bfe_u32 v2, v1, 21, 1
	s_delay_alu instid0(VALU_DEP_1) | instskip(NEXT) | instid1(VALU_DEP_1)
	v_add3_u32 v1, v1, v2, 0x80fffff
	v_lshrrev_b32_e32 v6, 21, v1
                                        ; implicit-def: $vgpr1
; %bb.2281:
	s_and_not1_saveexec_b32 s9, s9
; %bb.2282:
	v_add_f32_e32 v6, 0x43000000, v1
; %bb.2283:
	s_or_b32 exec_lo, exec_lo, s9
                                        ; implicit-def: $vgpr1
.LBB241_2284:
	s_and_not1_saveexec_b32 s2, s2
; %bb.2285:
	v_mov_b32_e32 v2, 0x7f
	v_cmp_lt_u32_e32 vcc_lo, 0x7f800000, v1
	s_delay_alu instid0(VALU_DEP_2)
	v_cndmask_b32_e32 v6, 0x7c, v2, vcc_lo
; %bb.2286:
	s_or_b32 exec_lo, exec_lo, s2
.LBB241_2287:
.LBB241_2288:
	v_add_nc_u32_e32 v0, s1, v0
	s_cmp_lt_i32 s0, 11
	s_delay_alu instid0(VALU_DEP_1) | instskip(SKIP_1) | instid1(VALU_DEP_1)
	v_ashrrev_i32_e32 v1, 31, v0
	s_wait_xcnt 0x0
	v_add_nc_u64_e32 v[2:3], s[6:7], v[0:1]
	s_cbranch_scc1 .LBB241_2303
; %bb.2289:
	s_cmp_gt_i32 s0, 25
	s_mov_b32 s9, 0
	s_cbranch_scc0 .LBB241_2305
; %bb.2290:
	s_cmp_gt_i32 s0, 28
	s_cbranch_scc0 .LBB241_2306
; %bb.2291:
	s_cmp_gt_i32 s0, 43
	;; [unrolled: 3-line block ×3, first 2 shown]
	s_cbranch_scc0 .LBB241_2309
; %bb.2293:
	s_cmp_eq_u32 s0, 46
	s_mov_b32 s16, 0
	s_cbranch_scc0 .LBB241_2310
; %bb.2294:
	global_load_b32 v1, v[2:3], off
	s_mov_b32 s2, exec_lo
                                        ; implicit-def: $vgpr7
	s_wait_loadcnt 0x0
	v_lshlrev_b32_e32 v1, 16, v1
	s_delay_alu instid0(VALU_DEP_1) | instskip(SKIP_1) | instid1(VALU_DEP_1)
	v_and_b32_e32 v8, 0x7fffffff, v1
	s_wait_xcnt 0x0
	v_cmpx_gt_u32_e32 0x47800000, v8
	s_xor_b32 s2, exec_lo, s2
	s_cbranch_execz .LBB241_2300
; %bb.2295:
	s_mov_b32 s13, exec_lo
                                        ; implicit-def: $vgpr7
	v_cmpx_lt_u32_e32 0x387fffff, v8
	s_xor_b32 s13, exec_lo, s13
; %bb.2296:
	v_bfe_u32 v7, v1, 21, 1
	s_delay_alu instid0(VALU_DEP_1) | instskip(NEXT) | instid1(VALU_DEP_1)
	v_add3_u32 v7, v1, v7, 0x80fffff
	v_lshrrev_b32_e32 v7, 21, v7
; %bb.2297:
	s_and_not1_saveexec_b32 s13, s13
; %bb.2298:
	v_add_f32_e64 v7, 0x43000000, |v1|
; %bb.2299:
	s_or_b32 exec_lo, exec_lo, s13
                                        ; implicit-def: $vgpr8
.LBB241_2300:
	s_and_not1_saveexec_b32 s2, s2
; %bb.2301:
	v_mov_b32_e32 v7, 0x7f
	v_cmp_lt_u32_e32 vcc_lo, 0x7f800000, v8
	s_delay_alu instid0(VALU_DEP_2)
	v_cndmask_b32_e32 v7, 0x7c, v7, vcc_lo
; %bb.2302:
	s_or_b32 exec_lo, exec_lo, s2
	v_lshrrev_b32_e32 v1, 24, v1
	s_mov_b32 s2, 0
	s_mov_b32 s13, -1
	s_delay_alu instid0(VALU_DEP_1)
	v_and_or_b32 v7, 0x80, v1, v7
	s_branch .LBB241_2312
.LBB241_2303:
	s_mov_b32 s13, 0
                                        ; implicit-def: $vgpr7
	s_cbranch_execnz .LBB241_2449
.LBB241_2304:
	s_and_not1_b32 vcc_lo, exec_lo, s13
	s_cbranch_vccnz .LBB241_3315
	s_branch .LBB241_2585
.LBB241_2305:
	s_mov_b32 s16, -1
	s_mov_b32 s13, 0
	s_mov_b32 s2, 0
                                        ; implicit-def: $vgpr7
	s_branch .LBB241_2381
.LBB241_2306:
	s_mov_b32 s16, -1
	s_mov_b32 s13, 0
	s_mov_b32 s2, 0
                                        ; implicit-def: $vgpr7
	s_branch .LBB241_2338
.LBB241_2307:
	s_mov_b32 s16, -1
	s_mov_b32 s13, 0
	s_mov_b32 s2, 0
                                        ; implicit-def: $vgpr7
	s_branch .LBB241_2325
.LBB241_2308:
	s_or_b32 s12, s12, exec_lo
	s_trap 2
	s_cbranch_execz .LBB241_2143
	s_branch .LBB241_2152
.LBB241_2309:
	s_mov_b32 s16, -1
	s_mov_b32 s13, 0
	s_mov_b32 s2, 0
	s_branch .LBB241_2311
.LBB241_2310:
	s_mov_b32 s2, -1
	s_mov_b32 s13, 0
.LBB241_2311:
                                        ; implicit-def: $vgpr7
.LBB241_2312:
	s_and_b32 vcc_lo, exec_lo, s16
	s_cbranch_vccz .LBB241_2324
; %bb.2313:
	s_cmp_eq_u32 s0, 44
	s_cbranch_scc0 .LBB241_2323
; %bb.2314:
	global_load_u8 v1, v[2:3], off
	s_mov_b32 s2, exec_lo
	s_wait_loadcnt 0x0
	v_lshlrev_b32_e32 v7, 23, v1
	v_cmp_ne_u32_e32 vcc_lo, 0xff, v1
	s_delay_alu instid0(VALU_DEP_2) | instskip(SKIP_1) | instid1(VALU_DEP_2)
	v_cndmask_b32_e32 v7, 0x7f800001, v7, vcc_lo
	v_cmp_ne_u32_e32 vcc_lo, 0, v1
	v_cndmask_b32_e32 v1, 0x400000, v7, vcc_lo
                                        ; implicit-def: $vgpr7
	s_wait_xcnt 0x0
	s_delay_alu instid0(VALU_DEP_1)
	v_cmpx_gt_u32_e32 0x47800000, v1
	s_xor_b32 s2, exec_lo, s2
	s_cbranch_execz .LBB241_2320
; %bb.2315:
	s_mov_b32 s13, exec_lo
                                        ; implicit-def: $vgpr7
	v_cmpx_lt_u32_e32 0x387fffff, v1
	s_xor_b32 s13, exec_lo, s13
; %bb.2316:
	v_bfe_u32 v7, v1, 21, 1
	s_delay_alu instid0(VALU_DEP_1) | instskip(NEXT) | instid1(VALU_DEP_1)
	v_add3_u32 v1, v1, v7, 0x80fffff
	v_lshrrev_b32_e32 v7, 21, v1
                                        ; implicit-def: $vgpr1
; %bb.2317:
	s_and_not1_saveexec_b32 s13, s13
; %bb.2318:
	v_add_f32_e32 v7, 0x43000000, v1
; %bb.2319:
	s_or_b32 exec_lo, exec_lo, s13
                                        ; implicit-def: $vgpr1
.LBB241_2320:
	s_and_not1_saveexec_b32 s2, s2
; %bb.2321:
	v_mov_b32_e32 v7, 0x7f
	v_cmp_lt_u32_e32 vcc_lo, 0x7f800000, v1
	s_delay_alu instid0(VALU_DEP_2)
	v_cndmask_b32_e32 v7, 0x7c, v7, vcc_lo
; %bb.2322:
	s_or_b32 exec_lo, exec_lo, s2
	s_mov_b32 s2, 0
	s_mov_b32 s13, -1
	s_branch .LBB241_2324
.LBB241_2323:
	s_mov_b32 s2, -1
                                        ; implicit-def: $vgpr7
.LBB241_2324:
	s_mov_b32 s16, 0
.LBB241_2325:
	s_delay_alu instid0(SALU_CYCLE_1)
	s_and_b32 vcc_lo, exec_lo, s16
	s_cbranch_vccz .LBB241_2337
; %bb.2326:
	s_cmp_eq_u32 s0, 29
	s_cbranch_scc0 .LBB241_2336
; %bb.2327:
	global_load_b64 v[8:9], v[2:3], off
	s_mov_b32 s2, exec_lo
	s_wait_loadcnt 0x0
	v_clz_i32_u32_e32 v1, v9
	s_delay_alu instid0(VALU_DEP_1) | instskip(NEXT) | instid1(VALU_DEP_1)
	v_min_u32_e32 v1, 32, v1
	v_lshlrev_b64_e32 v[8:9], v1, v[8:9]
	v_sub_nc_u32_e32 v1, 32, v1
	s_delay_alu instid0(VALU_DEP_2) | instskip(NEXT) | instid1(VALU_DEP_1)
	v_min_u32_e32 v7, 1, v8
	v_or_b32_e32 v7, v9, v7
	s_delay_alu instid0(VALU_DEP_1) | instskip(NEXT) | instid1(VALU_DEP_1)
	v_cvt_f32_u32_e32 v7, v7
	v_ldexp_f32 v1, v7, v1
                                        ; implicit-def: $vgpr7
	s_wait_xcnt 0x0
	s_delay_alu instid0(VALU_DEP_1)
	v_cmpx_gt_u32_e32 0x47800000, v1
	s_xor_b32 s2, exec_lo, s2
	s_cbranch_execz .LBB241_2333
; %bb.2328:
	s_mov_b32 s13, exec_lo
                                        ; implicit-def: $vgpr7
	v_cmpx_lt_u32_e32 0x387fffff, v1
	s_xor_b32 s13, exec_lo, s13
; %bb.2329:
	v_bfe_u32 v7, v1, 21, 1
	s_delay_alu instid0(VALU_DEP_1) | instskip(NEXT) | instid1(VALU_DEP_1)
	v_add3_u32 v1, v1, v7, 0x80fffff
	v_lshrrev_b32_e32 v7, 21, v1
                                        ; implicit-def: $vgpr1
; %bb.2330:
	s_and_not1_saveexec_b32 s13, s13
; %bb.2331:
	v_add_f32_e32 v7, 0x43000000, v1
; %bb.2332:
	s_or_b32 exec_lo, exec_lo, s13
                                        ; implicit-def: $vgpr1
.LBB241_2333:
	s_and_not1_saveexec_b32 s2, s2
; %bb.2334:
	v_mov_b32_e32 v7, 0x7f
	v_cmp_lt_u32_e32 vcc_lo, 0x7f800000, v1
	s_delay_alu instid0(VALU_DEP_2)
	v_cndmask_b32_e32 v7, 0x7c, v7, vcc_lo
; %bb.2335:
	s_or_b32 exec_lo, exec_lo, s2
	s_mov_b32 s2, 0
	s_mov_b32 s13, -1
	s_branch .LBB241_2337
.LBB241_2336:
	s_mov_b32 s2, -1
                                        ; implicit-def: $vgpr7
.LBB241_2337:
	s_mov_b32 s16, 0
.LBB241_2338:
	s_delay_alu instid0(SALU_CYCLE_1)
	s_and_b32 vcc_lo, exec_lo, s16
	s_cbranch_vccz .LBB241_2380
; %bb.2339:
	s_cmp_lt_i32 s0, 27
	s_cbranch_scc1 .LBB241_2350
; %bb.2340:
	s_cmp_gt_i32 s0, 27
	s_cbranch_scc0 .LBB241_2351
; %bb.2341:
	global_load_b32 v1, v[2:3], off
	s_mov_b32 s13, exec_lo
                                        ; implicit-def: $vgpr7
	s_wait_loadcnt 0x0
	v_cvt_f32_u32_e32 v1, v1
	s_wait_xcnt 0x0
	s_delay_alu instid0(VALU_DEP_1)
	v_cmpx_gt_u32_e32 0x47800000, v1
	s_xor_b32 s13, exec_lo, s13
	s_cbranch_execz .LBB241_2347
; %bb.2342:
	s_mov_b32 s16, exec_lo
                                        ; implicit-def: $vgpr7
	v_cmpx_lt_u32_e32 0x387fffff, v1
	s_xor_b32 s16, exec_lo, s16
; %bb.2343:
	v_bfe_u32 v7, v1, 21, 1
	s_delay_alu instid0(VALU_DEP_1) | instskip(NEXT) | instid1(VALU_DEP_1)
	v_add3_u32 v1, v1, v7, 0x80fffff
	v_lshrrev_b32_e32 v7, 21, v1
                                        ; implicit-def: $vgpr1
; %bb.2344:
	s_and_not1_saveexec_b32 s16, s16
; %bb.2345:
	v_add_f32_e32 v7, 0x43000000, v1
; %bb.2346:
	s_or_b32 exec_lo, exec_lo, s16
                                        ; implicit-def: $vgpr1
.LBB241_2347:
	s_and_not1_saveexec_b32 s13, s13
; %bb.2348:
	v_mov_b32_e32 v7, 0x7f
	v_cmp_lt_u32_e32 vcc_lo, 0x7f800000, v1
	s_delay_alu instid0(VALU_DEP_2)
	v_cndmask_b32_e32 v7, 0x7c, v7, vcc_lo
; %bb.2349:
	s_or_b32 exec_lo, exec_lo, s13
	s_mov_b32 s13, 0
	s_branch .LBB241_2352
.LBB241_2350:
	s_mov_b32 s13, -1
                                        ; implicit-def: $vgpr7
	s_branch .LBB241_2363
.LBB241_2351:
	s_mov_b32 s13, -1
                                        ; implicit-def: $vgpr7
.LBB241_2352:
	s_delay_alu instid0(SALU_CYCLE_1)
	s_and_b32 vcc_lo, exec_lo, s13
	s_cbranch_vccz .LBB241_2362
; %bb.2353:
	global_load_u16 v1, v[2:3], off
	s_mov_b32 s13, exec_lo
                                        ; implicit-def: $vgpr7
	s_wait_loadcnt 0x0
	v_cvt_f32_u32_e32 v1, v1
	s_wait_xcnt 0x0
	s_delay_alu instid0(VALU_DEP_1)
	v_cmpx_gt_u32_e32 0x47800000, v1
	s_xor_b32 s13, exec_lo, s13
	s_cbranch_execz .LBB241_2359
; %bb.2354:
	s_mov_b32 s16, exec_lo
                                        ; implicit-def: $vgpr7
	v_cmpx_lt_u32_e32 0x387fffff, v1
	s_xor_b32 s16, exec_lo, s16
; %bb.2355:
	v_bfe_u32 v7, v1, 21, 1
	s_delay_alu instid0(VALU_DEP_1) | instskip(NEXT) | instid1(VALU_DEP_1)
	v_add3_u32 v1, v1, v7, 0x80fffff
	v_lshrrev_b32_e32 v7, 21, v1
                                        ; implicit-def: $vgpr1
; %bb.2356:
	s_and_not1_saveexec_b32 s16, s16
; %bb.2357:
	v_add_f32_e32 v7, 0x43000000, v1
; %bb.2358:
	s_or_b32 exec_lo, exec_lo, s16
                                        ; implicit-def: $vgpr1
.LBB241_2359:
	s_and_not1_saveexec_b32 s13, s13
; %bb.2360:
	v_mov_b32_e32 v7, 0x7f
	v_cmp_lt_u32_e32 vcc_lo, 0x7f800000, v1
	s_delay_alu instid0(VALU_DEP_2)
	v_cndmask_b32_e32 v7, 0x7c, v7, vcc_lo
; %bb.2361:
	s_or_b32 exec_lo, exec_lo, s13
.LBB241_2362:
	s_mov_b32 s13, 0
.LBB241_2363:
	s_delay_alu instid0(SALU_CYCLE_1)
	s_and_not1_b32 vcc_lo, exec_lo, s13
	s_cbranch_vccnz .LBB241_2379
; %bb.2364:
	global_load_u8 v7, v[2:3], off
	s_mov_b32 s13, 0
	s_mov_b32 s16, exec_lo
	s_wait_loadcnt 0x0
	v_cmpx_lt_i16_e32 0x7f, v7
	s_xor_b32 s16, exec_lo, s16
	s_cbranch_execz .LBB241_2401
; %bb.2365:
	s_mov_b32 s13, -1
	s_mov_b32 s17, exec_lo
	v_cmpx_eq_u16_e32 0x80, v7
; %bb.2366:
	s_xor_b32 s13, exec_lo, -1
; %bb.2367:
	s_or_b32 exec_lo, exec_lo, s17
	s_delay_alu instid0(SALU_CYCLE_1)
	s_and_b32 s13, s13, exec_lo
	s_or_saveexec_b32 s16, s16
	v_mov_b32_e32 v1, 0x7f800001
	s_xor_b32 exec_lo, exec_lo, s16
	s_cbranch_execnz .LBB241_2402
.LBB241_2368:
	s_or_b32 exec_lo, exec_lo, s16
	s_and_saveexec_b32 s16, s13
	s_cbranch_execz .LBB241_2370
.LBB241_2369:
	v_and_b32_e32 v1, 0xffff, v7
	s_delay_alu instid0(VALU_DEP_1) | instskip(SKIP_1) | instid1(VALU_DEP_2)
	v_dual_lshlrev_b32 v7, 24, v7 :: v_dual_bitop2_b32 v8, 7, v1 bitop3:0x40
	v_bfe_u32 v11, v1, 3, 4
	v_and_b32_e32 v7, 0x80000000, v7
	s_delay_alu instid0(VALU_DEP_3) | instskip(NEXT) | instid1(VALU_DEP_3)
	v_clz_i32_u32_e32 v9, v8
	v_cmp_eq_u32_e32 vcc_lo, 0, v11
	s_delay_alu instid0(VALU_DEP_2) | instskip(NEXT) | instid1(VALU_DEP_1)
	v_min_u32_e32 v9, 32, v9
	v_subrev_nc_u32_e32 v10, 28, v9
	v_sub_nc_u32_e32 v9, 29, v9
	s_delay_alu instid0(VALU_DEP_2) | instskip(NEXT) | instid1(VALU_DEP_2)
	v_lshlrev_b32_e32 v1, v10, v1
	v_cndmask_b32_e32 v9, v11, v9, vcc_lo
	s_delay_alu instid0(VALU_DEP_2) | instskip(NEXT) | instid1(VALU_DEP_1)
	v_and_b32_e32 v1, 7, v1
	v_cndmask_b32_e32 v1, v8, v1, vcc_lo
	s_delay_alu instid0(VALU_DEP_3) | instskip(NEXT) | instid1(VALU_DEP_2)
	v_lshl_add_u32 v8, v9, 23, 0x3b800000
	v_lshlrev_b32_e32 v1, 20, v1
	s_delay_alu instid0(VALU_DEP_1)
	v_or3_b32 v1, v7, v8, v1
.LBB241_2370:
	s_or_b32 exec_lo, exec_lo, s16
	s_delay_alu instid0(VALU_DEP_1) | instskip(SKIP_1) | instid1(VALU_DEP_1)
	v_and_b32_e32 v8, 0x7fffffff, v1
	s_mov_b32 s13, exec_lo
                                        ; implicit-def: $vgpr7
	v_cmpx_gt_u32_e32 0x47800000, v8
	s_xor_b32 s13, exec_lo, s13
	s_cbranch_execz .LBB241_2376
; %bb.2371:
	s_mov_b32 s16, exec_lo
                                        ; implicit-def: $vgpr7
	v_cmpx_lt_u32_e32 0x387fffff, v8
	s_xor_b32 s16, exec_lo, s16
; %bb.2372:
	v_bfe_u32 v7, v1, 21, 1
	s_delay_alu instid0(VALU_DEP_1) | instskip(NEXT) | instid1(VALU_DEP_1)
	v_add3_u32 v7, v1, v7, 0x80fffff
	v_lshrrev_b32_e32 v7, 21, v7
; %bb.2373:
	s_and_not1_saveexec_b32 s16, s16
; %bb.2374:
	v_add_f32_e64 v7, 0x43000000, |v1|
; %bb.2375:
	s_or_b32 exec_lo, exec_lo, s16
                                        ; implicit-def: $vgpr8
.LBB241_2376:
	s_and_not1_saveexec_b32 s13, s13
; %bb.2377:
	v_mov_b32_e32 v7, 0x7f
	v_cmp_lt_u32_e32 vcc_lo, 0x7f800000, v8
	s_delay_alu instid0(VALU_DEP_2)
	v_cndmask_b32_e32 v7, 0x7c, v7, vcc_lo
; %bb.2378:
	s_or_b32 exec_lo, exec_lo, s13
	v_lshrrev_b32_e32 v1, 24, v1
	s_delay_alu instid0(VALU_DEP_1)
	v_and_or_b32 v7, 0x80, v1, v7
.LBB241_2379:
	s_mov_b32 s13, -1
.LBB241_2380:
	s_mov_b32 s16, 0
.LBB241_2381:
	s_delay_alu instid0(SALU_CYCLE_1)
	s_and_b32 vcc_lo, exec_lo, s16
	s_cbranch_vccz .LBB241_2437
; %bb.2382:
	s_cmp_gt_i32 s0, 22
	s_cbranch_scc0 .LBB241_2400
; %bb.2383:
	s_cmp_lt_i32 s0, 24
	s_cbranch_scc1 .LBB241_2403
; %bb.2384:
	s_cmp_gt_i32 s0, 24
	s_cbranch_scc0 .LBB241_2404
; %bb.2385:
	global_load_u8 v7, v[2:3], off
	s_mov_b32 s13, exec_lo
	s_wait_loadcnt 0x0
	v_cmpx_lt_i16_e32 0x7f, v7
	s_xor_b32 s13, exec_lo, s13
	s_cbranch_execz .LBB241_2415
; %bb.2386:
	s_mov_b32 s9, -1
	s_mov_b32 s16, exec_lo
	v_cmpx_eq_u16_e32 0x80, v7
; %bb.2387:
	s_xor_b32 s9, exec_lo, -1
; %bb.2388:
	s_or_b32 exec_lo, exec_lo, s16
	s_delay_alu instid0(SALU_CYCLE_1)
	s_and_b32 s9, s9, exec_lo
	s_or_saveexec_b32 s13, s13
	v_mov_b32_e32 v1, 0x7f800001
	s_xor_b32 exec_lo, exec_lo, s13
	s_cbranch_execnz .LBB241_2416
.LBB241_2389:
	s_or_b32 exec_lo, exec_lo, s13
	s_and_saveexec_b32 s13, s9
	s_cbranch_execz .LBB241_2391
.LBB241_2390:
	v_and_b32_e32 v1, 0xffff, v7
	s_delay_alu instid0(VALU_DEP_1) | instskip(SKIP_1) | instid1(VALU_DEP_2)
	v_dual_lshlrev_b32 v7, 24, v7 :: v_dual_bitop2_b32 v8, 3, v1 bitop3:0x40
	v_bfe_u32 v11, v1, 2, 5
	v_and_b32_e32 v7, 0x80000000, v7
	s_delay_alu instid0(VALU_DEP_3) | instskip(NEXT) | instid1(VALU_DEP_3)
	v_clz_i32_u32_e32 v9, v8
	v_cmp_eq_u32_e32 vcc_lo, 0, v11
	s_delay_alu instid0(VALU_DEP_2) | instskip(NEXT) | instid1(VALU_DEP_1)
	v_min_u32_e32 v9, 32, v9
	v_subrev_nc_u32_e32 v10, 29, v9
	v_sub_nc_u32_e32 v9, 30, v9
	s_delay_alu instid0(VALU_DEP_2) | instskip(NEXT) | instid1(VALU_DEP_2)
	v_lshlrev_b32_e32 v1, v10, v1
	v_cndmask_b32_e32 v9, v11, v9, vcc_lo
	s_delay_alu instid0(VALU_DEP_2) | instskip(NEXT) | instid1(VALU_DEP_1)
	v_and_b32_e32 v1, 3, v1
	v_cndmask_b32_e32 v1, v8, v1, vcc_lo
	s_delay_alu instid0(VALU_DEP_3) | instskip(NEXT) | instid1(VALU_DEP_2)
	v_lshl_add_u32 v8, v9, 23, 0x37800000
	v_lshlrev_b32_e32 v1, 21, v1
	s_delay_alu instid0(VALU_DEP_1)
	v_or3_b32 v1, v7, v8, v1
.LBB241_2391:
	s_or_b32 exec_lo, exec_lo, s13
	s_delay_alu instid0(VALU_DEP_1) | instskip(SKIP_1) | instid1(VALU_DEP_1)
	v_and_b32_e32 v8, 0x7fffffff, v1
	s_mov_b32 s9, exec_lo
                                        ; implicit-def: $vgpr7
	v_cmpx_gt_u32_e32 0x47800000, v8
	s_xor_b32 s9, exec_lo, s9
	s_cbranch_execz .LBB241_2397
; %bb.2392:
	s_mov_b32 s13, exec_lo
                                        ; implicit-def: $vgpr7
	v_cmpx_lt_u32_e32 0x387fffff, v8
	s_xor_b32 s13, exec_lo, s13
; %bb.2393:
	v_bfe_u32 v7, v1, 21, 1
	s_delay_alu instid0(VALU_DEP_1) | instskip(NEXT) | instid1(VALU_DEP_1)
	v_add3_u32 v7, v1, v7, 0x80fffff
	v_lshrrev_b32_e32 v7, 21, v7
; %bb.2394:
	s_and_not1_saveexec_b32 s13, s13
; %bb.2395:
	v_add_f32_e64 v7, 0x43000000, |v1|
; %bb.2396:
	s_or_b32 exec_lo, exec_lo, s13
                                        ; implicit-def: $vgpr8
.LBB241_2397:
	s_and_not1_saveexec_b32 s9, s9
; %bb.2398:
	v_mov_b32_e32 v7, 0x7f
	v_cmp_lt_u32_e32 vcc_lo, 0x7f800000, v8
	s_delay_alu instid0(VALU_DEP_2)
	v_cndmask_b32_e32 v7, 0x7c, v7, vcc_lo
; %bb.2399:
	s_or_b32 exec_lo, exec_lo, s9
	v_lshrrev_b32_e32 v1, 24, v1
	s_mov_b32 s9, 0
	s_delay_alu instid0(VALU_DEP_1)
	v_and_or_b32 v7, 0x80, v1, v7
	s_branch .LBB241_2405
.LBB241_2400:
	s_mov_b32 s9, -1
                                        ; implicit-def: $vgpr7
	s_branch .LBB241_2421
.LBB241_2401:
	s_or_saveexec_b32 s16, s16
	v_mov_b32_e32 v1, 0x7f800001
	s_xor_b32 exec_lo, exec_lo, s16
	s_cbranch_execz .LBB241_2368
.LBB241_2402:
	v_cmp_ne_u16_e32 vcc_lo, 0, v7
	v_mov_b32_e32 v1, 0
	s_and_not1_b32 s13, s13, exec_lo
	s_and_b32 s17, vcc_lo, exec_lo
	s_delay_alu instid0(SALU_CYCLE_1)
	s_or_b32 s13, s13, s17
	s_or_b32 exec_lo, exec_lo, s16
	s_and_saveexec_b32 s16, s13
	s_cbranch_execnz .LBB241_2369
	s_branch .LBB241_2370
.LBB241_2403:
	s_mov_b32 s9, -1
                                        ; implicit-def: $vgpr7
	s_branch .LBB241_2418
.LBB241_2404:
	s_mov_b32 s9, -1
                                        ; implicit-def: $vgpr7
.LBB241_2405:
	s_delay_alu instid0(SALU_CYCLE_1)
	s_and_b32 vcc_lo, exec_lo, s9
	s_cbranch_vccz .LBB241_2417
; %bb.2406:
	global_load_u8 v1, v[2:3], off
	s_mov_b32 s9, exec_lo
	s_wait_loadcnt 0x0
	v_lshlrev_b32_e32 v1, 24, v1
	s_delay_alu instid0(VALU_DEP_1) | instskip(NEXT) | instid1(VALU_DEP_1)
	v_and_b32_e32 v7, 0x7f000000, v1
	v_clz_i32_u32_e32 v8, v7
	v_cmp_ne_u32_e32 vcc_lo, 0, v7
	v_add_nc_u32_e32 v10, 0x1000000, v7
	s_delay_alu instid0(VALU_DEP_3) | instskip(NEXT) | instid1(VALU_DEP_1)
	v_min_u32_e32 v8, 32, v8
	v_sub_nc_u32_e64 v8, v8, 4 clamp
	s_delay_alu instid0(VALU_DEP_1) | instskip(NEXT) | instid1(VALU_DEP_1)
	v_lshlrev_b32_e32 v9, v8, v7
                                        ; implicit-def: $vgpr7
	v_dual_lshlrev_b32 v8, 23, v8 :: v_dual_lshrrev_b32 v9, 4, v9
	s_delay_alu instid0(VALU_DEP_1) | instskip(NEXT) | instid1(VALU_DEP_1)
	v_dual_sub_nc_u32 v8, v9, v8 :: v_dual_ashrrev_i32 v9, 8, v10
	v_add_nc_u32_e32 v8, 0x3c000000, v8
	s_delay_alu instid0(VALU_DEP_1) | instskip(NEXT) | instid1(VALU_DEP_1)
	v_and_or_b32 v8, 0x7f800000, v9, v8
	v_cndmask_b32_e32 v9, 0, v8, vcc_lo
	s_delay_alu instid0(VALU_DEP_1) | instskip(NEXT) | instid1(VALU_DEP_1)
	v_and_or_b32 v1, 0x80000000, v1, v9
	v_and_b32_e32 v8, 0x7fffffff, v1
	s_wait_xcnt 0x0
	s_delay_alu instid0(VALU_DEP_1)
	v_cmpx_gt_u32_e32 0x47800000, v8
	s_xor_b32 s9, exec_lo, s9
	s_cbranch_execz .LBB241_2412
; %bb.2407:
	s_mov_b32 s13, exec_lo
                                        ; implicit-def: $vgpr7
	v_cmpx_lt_u32_e32 0x387fffff, v8
	s_xor_b32 s13, exec_lo, s13
; %bb.2408:
	v_bfe_u32 v7, v9, 21, 1
	s_delay_alu instid0(VALU_DEP_1) | instskip(NEXT) | instid1(VALU_DEP_1)
	v_add3_u32 v7, v1, v7, 0x80fffff
	v_lshrrev_b32_e32 v7, 21, v7
; %bb.2409:
	s_and_not1_saveexec_b32 s13, s13
; %bb.2410:
	v_add_f32_e64 v7, 0x43000000, |v1|
; %bb.2411:
	s_or_b32 exec_lo, exec_lo, s13
                                        ; implicit-def: $vgpr8
.LBB241_2412:
	s_and_not1_saveexec_b32 s9, s9
; %bb.2413:
	v_mov_b32_e32 v7, 0x7f
	v_cmp_lt_u32_e32 vcc_lo, 0x7f800000, v8
	s_delay_alu instid0(VALU_DEP_2)
	v_cndmask_b32_e32 v7, 0x7c, v7, vcc_lo
; %bb.2414:
	s_or_b32 exec_lo, exec_lo, s9
	v_lshrrev_b32_e32 v1, 24, v1
	s_mov_b32 s9, 0
	s_delay_alu instid0(VALU_DEP_1)
	v_and_or_b32 v7, 0x80, v1, v7
	s_branch .LBB241_2418
.LBB241_2415:
	s_or_saveexec_b32 s13, s13
	v_mov_b32_e32 v1, 0x7f800001
	s_xor_b32 exec_lo, exec_lo, s13
	s_cbranch_execz .LBB241_2389
.LBB241_2416:
	v_cmp_ne_u16_e32 vcc_lo, 0, v7
	v_mov_b32_e32 v1, 0
	s_and_not1_b32 s9, s9, exec_lo
	s_and_b32 s16, vcc_lo, exec_lo
	s_delay_alu instid0(SALU_CYCLE_1)
	s_or_b32 s9, s9, s16
	s_or_b32 exec_lo, exec_lo, s13
	s_and_saveexec_b32 s13, s9
	s_cbranch_execnz .LBB241_2390
	s_branch .LBB241_2391
.LBB241_2417:
	s_mov_b32 s9, 0
.LBB241_2418:
	s_delay_alu instid0(SALU_CYCLE_1)
	s_and_not1_b32 vcc_lo, exec_lo, s9
	s_cbranch_vccnz .LBB241_2420
; %bb.2419:
	global_load_u8 v7, v[2:3], off
.LBB241_2420:
	s_mov_b32 s9, 0
	s_mov_b32 s13, -1
.LBB241_2421:
	s_and_not1_b32 vcc_lo, exec_lo, s9
	s_mov_b32 s9, 0
	s_cbranch_vccnz .LBB241_2437
; %bb.2422:
	s_cmp_gt_i32 s0, 14
	s_cbranch_scc0 .LBB241_2433
; %bb.2423:
	s_cmp_eq_u32 s0, 15
	s_cbranch_scc0 .LBB241_2434
; %bb.2424:
	global_load_u16 v1, v[2:3], off
	s_mov_b32 s2, exec_lo
                                        ; implicit-def: $vgpr7
	s_wait_loadcnt 0x0
	v_lshlrev_b32_e32 v8, 16, v1
	s_delay_alu instid0(VALU_DEP_1) | instskip(SKIP_1) | instid1(VALU_DEP_1)
	v_and_b32_e32 v9, 0x7fffffff, v8
	s_wait_xcnt 0x0
	v_cmpx_gt_u32_e32 0x47800000, v9
	s_xor_b32 s2, exec_lo, s2
	s_cbranch_execz .LBB241_2430
; %bb.2425:
	s_mov_b32 s9, exec_lo
                                        ; implicit-def: $vgpr7
	v_cmpx_lt_u32_e32 0x387fffff, v9
	s_xor_b32 s9, exec_lo, s9
; %bb.2426:
	v_bfe_u32 v7, v1, 5, 1
	s_delay_alu instid0(VALU_DEP_1) | instskip(NEXT) | instid1(VALU_DEP_1)
	v_add3_u32 v7, v8, v7, 0x80fffff
                                        ; implicit-def: $vgpr8
	v_lshrrev_b32_e32 v7, 21, v7
; %bb.2427:
	s_and_not1_saveexec_b32 s9, s9
; %bb.2428:
	v_add_f32_e64 v7, 0x43000000, |v8|
; %bb.2429:
	s_or_b32 exec_lo, exec_lo, s9
                                        ; implicit-def: $vgpr9
.LBB241_2430:
	s_and_not1_saveexec_b32 s2, s2
; %bb.2431:
	v_mov_b32_e32 v7, 0x7f
	v_cmp_lt_u32_e32 vcc_lo, 0x7f800000, v9
	s_delay_alu instid0(VALU_DEP_2)
	v_cndmask_b32_e32 v7, 0x7c, v7, vcc_lo
; %bb.2432:
	s_or_b32 exec_lo, exec_lo, s2
	v_lshrrev_b32_e32 v1, 8, v1
	s_mov_b32 s2, 0
	s_mov_b32 s13, -1
	s_mov_b32 s9, 0
	s_delay_alu instid0(VALU_DEP_1)
	v_and_or_b32 v7, 0x80, v1, v7
	s_branch .LBB241_2435
.LBB241_2433:
	s_mov_b32 s9, -1
                                        ; implicit-def: $vgpr7
	s_branch .LBB241_2435
.LBB241_2434:
	s_mov_b32 s2, -1
                                        ; implicit-def: $vgpr7
	s_mov_b32 s9, 0
.LBB241_2435:
	s_delay_alu instid0(SALU_CYCLE_1)
	s_and_b32 vcc_lo, exec_lo, s9
	s_mov_b32 s9, 0
	s_cbranch_vccz .LBB241_2437
; %bb.2436:
	s_cmp_lg_u32 s0, 11
	s_mov_b32 s9, -1
	s_cselect_b32 s2, -1, 0
.LBB241_2437:
	s_delay_alu instid0(SALU_CYCLE_1)
	s_and_b32 vcc_lo, exec_lo, s2
	s_cbranch_vccnz .LBB241_2604
; %bb.2438:
	s_and_not1_b32 vcc_lo, exec_lo, s9
	s_cbranch_vccnz .LBB241_2448
.LBB241_2439:
	global_load_u8 v1, v[2:3], off
	s_mov_b32 s2, exec_lo
                                        ; implicit-def: $vgpr7
	s_wait_loadcnt 0x0
	v_cmp_ne_u16_e32 vcc_lo, 0, v1
	v_cndmask_b32_e64 v1, 0, 1.0, vcc_lo
	s_wait_xcnt 0x0
	s_delay_alu instid0(VALU_DEP_1)
	v_cmpx_gt_u32_e32 0x47800000, v1
	s_xor_b32 s2, exec_lo, s2
	s_cbranch_execz .LBB241_2445
; %bb.2440:
	s_mov_b32 s9, exec_lo
                                        ; implicit-def: $vgpr7
	v_cmpx_lt_u32_e32 0x387fffff, v1
	s_xor_b32 s9, exec_lo, s9
; %bb.2441:
	v_bfe_u32 v7, v1, 21, 1
	s_delay_alu instid0(VALU_DEP_1) | instskip(NEXT) | instid1(VALU_DEP_1)
	v_add3_u32 v1, v1, v7, 0x80fffff
	v_lshrrev_b32_e32 v7, 21, v1
                                        ; implicit-def: $vgpr1
; %bb.2442:
	s_and_not1_saveexec_b32 s9, s9
; %bb.2443:
	v_add_f32_e32 v7, 0x43000000, v1
; %bb.2444:
	s_or_b32 exec_lo, exec_lo, s9
                                        ; implicit-def: $vgpr1
.LBB241_2445:
	s_and_not1_saveexec_b32 s2, s2
; %bb.2446:
	v_mov_b32_e32 v7, 0x7f
	v_cmp_lt_u32_e32 vcc_lo, 0x7f800000, v1
	s_delay_alu instid0(VALU_DEP_2)
	v_cndmask_b32_e32 v7, 0x7c, v7, vcc_lo
; %bb.2447:
	s_or_b32 exec_lo, exec_lo, s2
	s_mov_b32 s13, -1
.LBB241_2448:
	s_branch .LBB241_2304
.LBB241_2449:
	s_cmp_lt_i32 s0, 5
	s_cbranch_scc1 .LBB241_2462
; %bb.2450:
	s_cmp_lt_i32 s0, 8
	s_cbranch_scc1 .LBB241_2463
; %bb.2451:
	;; [unrolled: 3-line block ×3, first 2 shown]
	s_cmp_gt_i32 s0, 9
	s_cbranch_scc0 .LBB241_2465
; %bb.2453:
	global_load_b64 v[8:9], v[2:3], off
	s_mov_b32 s2, exec_lo
                                        ; implicit-def: $vgpr7
	s_wait_loadcnt 0x0
	v_cvt_f32_f64_e32 v1, v[8:9]
	s_delay_alu instid0(VALU_DEP_1) | instskip(SKIP_1) | instid1(VALU_DEP_1)
	v_and_b32_e32 v8, 0x7fffffff, v1
	s_wait_xcnt 0x0
	v_cmpx_gt_u32_e32 0x47800000, v8
	s_xor_b32 s2, exec_lo, s2
	s_cbranch_execz .LBB241_2459
; %bb.2454:
	s_mov_b32 s9, exec_lo
                                        ; implicit-def: $vgpr7
	v_cmpx_lt_u32_e32 0x387fffff, v8
	s_xor_b32 s9, exec_lo, s9
; %bb.2455:
	v_bfe_u32 v7, v1, 21, 1
	s_delay_alu instid0(VALU_DEP_1) | instskip(NEXT) | instid1(VALU_DEP_1)
	v_add3_u32 v7, v1, v7, 0x80fffff
	v_lshrrev_b32_e32 v7, 21, v7
; %bb.2456:
	s_and_not1_saveexec_b32 s9, s9
; %bb.2457:
	v_add_f32_e64 v7, 0x43000000, |v1|
; %bb.2458:
	s_or_b32 exec_lo, exec_lo, s9
                                        ; implicit-def: $vgpr8
.LBB241_2459:
	s_and_not1_saveexec_b32 s2, s2
; %bb.2460:
	v_mov_b32_e32 v7, 0x7f
	v_cmp_lt_u32_e32 vcc_lo, 0x7f800000, v8
	s_delay_alu instid0(VALU_DEP_2)
	v_cndmask_b32_e32 v7, 0x7c, v7, vcc_lo
; %bb.2461:
	s_or_b32 exec_lo, exec_lo, s2
	v_lshrrev_b32_e32 v1, 24, v1
	s_mov_b32 s2, 0
	s_delay_alu instid0(VALU_DEP_1)
	v_and_or_b32 v7, 0x80, v1, v7
	s_branch .LBB241_2466
.LBB241_2462:
	s_mov_b32 s2, -1
                                        ; implicit-def: $vgpr7
	s_branch .LBB241_2524
.LBB241_2463:
	s_mov_b32 s2, -1
                                        ; implicit-def: $vgpr7
	s_branch .LBB241_2488
.LBB241_2464:
	s_mov_b32 s2, -1
                                        ; implicit-def: $vgpr7
	s_branch .LBB241_2477
.LBB241_2465:
	s_mov_b32 s2, -1
                                        ; implicit-def: $vgpr7
.LBB241_2466:
	s_delay_alu instid0(SALU_CYCLE_1)
	s_and_b32 vcc_lo, exec_lo, s2
	s_cbranch_vccz .LBB241_2476
; %bb.2467:
	global_load_b32 v1, v[2:3], off
	s_mov_b32 s2, exec_lo
                                        ; implicit-def: $vgpr7
	s_wait_loadcnt 0x0
	v_and_b32_e32 v8, 0x7fffffff, v1
	s_wait_xcnt 0x0
	s_delay_alu instid0(VALU_DEP_1)
	v_cmpx_gt_u32_e32 0x47800000, v8
	s_xor_b32 s2, exec_lo, s2
	s_cbranch_execz .LBB241_2473
; %bb.2468:
	s_mov_b32 s9, exec_lo
                                        ; implicit-def: $vgpr7
	v_cmpx_lt_u32_e32 0x387fffff, v8
	s_xor_b32 s9, exec_lo, s9
; %bb.2469:
	v_bfe_u32 v7, v1, 21, 1
	s_delay_alu instid0(VALU_DEP_1) | instskip(NEXT) | instid1(VALU_DEP_1)
	v_add3_u32 v7, v1, v7, 0x80fffff
	v_lshrrev_b32_e32 v7, 21, v7
; %bb.2470:
	s_and_not1_saveexec_b32 s9, s9
; %bb.2471:
	v_add_f32_e64 v7, 0x43000000, |v1|
; %bb.2472:
	s_or_b32 exec_lo, exec_lo, s9
                                        ; implicit-def: $vgpr8
.LBB241_2473:
	s_and_not1_saveexec_b32 s2, s2
; %bb.2474:
	v_mov_b32_e32 v7, 0x7f
	v_cmp_lt_u32_e32 vcc_lo, 0x7f800000, v8
	s_delay_alu instid0(VALU_DEP_2)
	v_cndmask_b32_e32 v7, 0x7c, v7, vcc_lo
; %bb.2475:
	s_or_b32 exec_lo, exec_lo, s2
	v_lshrrev_b32_e32 v1, 24, v1
	s_mov_b32 s2, 0
	s_delay_alu instid0(VALU_DEP_1)
	v_and_or_b32 v7, 0x80, v1, v7
	s_branch .LBB241_2477
.LBB241_2476:
	s_mov_b32 s2, 0
.LBB241_2477:
	s_delay_alu instid0(SALU_CYCLE_1)
	s_and_not1_b32 vcc_lo, exec_lo, s2
	s_cbranch_vccnz .LBB241_2487
; %bb.2478:
	global_load_b32 v1, v[2:3], off
	s_mov_b32 s2, exec_lo
                                        ; implicit-def: $vgpr7
	s_wait_loadcnt 0x0
	v_cvt_f32_f16_e32 v1, v1
	s_delay_alu instid0(VALU_DEP_1) | instskip(SKIP_1) | instid1(VALU_DEP_1)
	v_and_b32_e32 v8, 0x7fffffff, v1
	s_wait_xcnt 0x0
	v_cmpx_gt_u32_e32 0x47800000, v8
	s_xor_b32 s2, exec_lo, s2
	s_cbranch_execz .LBB241_2484
; %bb.2479:
	s_mov_b32 s9, exec_lo
                                        ; implicit-def: $vgpr7
	v_cmpx_lt_u32_e32 0x387fffff, v8
	s_xor_b32 s9, exec_lo, s9
; %bb.2480:
	v_bfe_u32 v7, v1, 21, 1
	s_delay_alu instid0(VALU_DEP_1) | instskip(NEXT) | instid1(VALU_DEP_1)
	v_add3_u32 v7, v1, v7, 0x80fffff
	v_lshrrev_b32_e32 v7, 21, v7
; %bb.2481:
	s_and_not1_saveexec_b32 s9, s9
; %bb.2482:
	v_add_f32_e64 v7, 0x43000000, |v1|
; %bb.2483:
	s_or_b32 exec_lo, exec_lo, s9
                                        ; implicit-def: $vgpr8
.LBB241_2484:
	s_and_not1_saveexec_b32 s2, s2
; %bb.2485:
	v_mov_b32_e32 v7, 0x7f
	v_cmp_lt_u32_e32 vcc_lo, 0x7f800000, v8
	s_delay_alu instid0(VALU_DEP_2)
	v_cndmask_b32_e32 v7, 0x7c, v7, vcc_lo
; %bb.2486:
	s_or_b32 exec_lo, exec_lo, s2
	v_lshrrev_b32_e32 v1, 24, v1
	s_delay_alu instid0(VALU_DEP_1)
	v_and_or_b32 v7, 0x80, v1, v7
.LBB241_2487:
	s_mov_b32 s2, 0
.LBB241_2488:
	s_delay_alu instid0(SALU_CYCLE_1)
	s_and_not1_b32 vcc_lo, exec_lo, s2
	s_cbranch_vccnz .LBB241_2523
; %bb.2489:
	s_cmp_lt_i32 s0, 6
	s_cbranch_scc1 .LBB241_2500
; %bb.2490:
	s_cmp_gt_i32 s0, 6
	s_cbranch_scc0 .LBB241_2501
; %bb.2491:
	global_load_b64 v[8:9], v[2:3], off
	s_mov_b32 s2, exec_lo
                                        ; implicit-def: $vgpr7
	s_wait_loadcnt 0x0
	v_cvt_f32_f64_e32 v1, v[8:9]
	s_delay_alu instid0(VALU_DEP_1) | instskip(SKIP_1) | instid1(VALU_DEP_1)
	v_and_b32_e32 v8, 0x7fffffff, v1
	s_wait_xcnt 0x0
	v_cmpx_gt_u32_e32 0x47800000, v8
	s_xor_b32 s2, exec_lo, s2
	s_cbranch_execz .LBB241_2497
; %bb.2492:
	s_mov_b32 s9, exec_lo
                                        ; implicit-def: $vgpr7
	v_cmpx_lt_u32_e32 0x387fffff, v8
	s_xor_b32 s9, exec_lo, s9
; %bb.2493:
	v_bfe_u32 v7, v1, 21, 1
	s_delay_alu instid0(VALU_DEP_1) | instskip(NEXT) | instid1(VALU_DEP_1)
	v_add3_u32 v7, v1, v7, 0x80fffff
	v_lshrrev_b32_e32 v7, 21, v7
; %bb.2494:
	s_and_not1_saveexec_b32 s9, s9
; %bb.2495:
	v_add_f32_e64 v7, 0x43000000, |v1|
; %bb.2496:
	s_or_b32 exec_lo, exec_lo, s9
                                        ; implicit-def: $vgpr8
.LBB241_2497:
	s_and_not1_saveexec_b32 s2, s2
; %bb.2498:
	v_mov_b32_e32 v7, 0x7f
	v_cmp_lt_u32_e32 vcc_lo, 0x7f800000, v8
	s_delay_alu instid0(VALU_DEP_2)
	v_cndmask_b32_e32 v7, 0x7c, v7, vcc_lo
; %bb.2499:
	s_or_b32 exec_lo, exec_lo, s2
	v_lshrrev_b32_e32 v1, 24, v1
	s_mov_b32 s2, 0
	s_delay_alu instid0(VALU_DEP_1)
	v_and_or_b32 v7, 0x80, v1, v7
	s_branch .LBB241_2502
.LBB241_2500:
	s_mov_b32 s2, -1
                                        ; implicit-def: $vgpr7
	s_branch .LBB241_2513
.LBB241_2501:
	s_mov_b32 s2, -1
                                        ; implicit-def: $vgpr7
.LBB241_2502:
	s_delay_alu instid0(SALU_CYCLE_1)
	s_and_b32 vcc_lo, exec_lo, s2
	s_cbranch_vccz .LBB241_2512
; %bb.2503:
	global_load_b32 v1, v[2:3], off
	s_mov_b32 s2, exec_lo
                                        ; implicit-def: $vgpr7
	s_wait_loadcnt 0x0
	v_and_b32_e32 v8, 0x7fffffff, v1
	s_wait_xcnt 0x0
	s_delay_alu instid0(VALU_DEP_1)
	v_cmpx_gt_u32_e32 0x47800000, v8
	s_xor_b32 s2, exec_lo, s2
	s_cbranch_execz .LBB241_2509
; %bb.2504:
	s_mov_b32 s9, exec_lo
                                        ; implicit-def: $vgpr7
	v_cmpx_lt_u32_e32 0x387fffff, v8
	s_xor_b32 s9, exec_lo, s9
; %bb.2505:
	v_bfe_u32 v7, v1, 21, 1
	s_delay_alu instid0(VALU_DEP_1) | instskip(NEXT) | instid1(VALU_DEP_1)
	v_add3_u32 v7, v1, v7, 0x80fffff
	v_lshrrev_b32_e32 v7, 21, v7
; %bb.2506:
	s_and_not1_saveexec_b32 s9, s9
; %bb.2507:
	v_add_f32_e64 v7, 0x43000000, |v1|
; %bb.2508:
	s_or_b32 exec_lo, exec_lo, s9
                                        ; implicit-def: $vgpr8
.LBB241_2509:
	s_and_not1_saveexec_b32 s2, s2
; %bb.2510:
	v_mov_b32_e32 v7, 0x7f
	v_cmp_lt_u32_e32 vcc_lo, 0x7f800000, v8
	s_delay_alu instid0(VALU_DEP_2)
	v_cndmask_b32_e32 v7, 0x7c, v7, vcc_lo
; %bb.2511:
	s_or_b32 exec_lo, exec_lo, s2
	v_lshrrev_b32_e32 v1, 24, v1
	s_mov_b32 s2, 0
	s_delay_alu instid0(VALU_DEP_1)
	v_and_or_b32 v7, 0x80, v1, v7
	s_branch .LBB241_2513
.LBB241_2512:
	s_mov_b32 s2, 0
.LBB241_2513:
	s_delay_alu instid0(SALU_CYCLE_1)
	s_and_not1_b32 vcc_lo, exec_lo, s2
	s_cbranch_vccnz .LBB241_2523
; %bb.2514:
	global_load_u16 v1, v[2:3], off
	s_mov_b32 s2, exec_lo
                                        ; implicit-def: $vgpr7
	s_wait_loadcnt 0x0
	v_cvt_f32_f16_e32 v1, v1
	s_delay_alu instid0(VALU_DEP_1) | instskip(SKIP_1) | instid1(VALU_DEP_1)
	v_and_b32_e32 v8, 0x7fffffff, v1
	s_wait_xcnt 0x0
	v_cmpx_gt_u32_e32 0x47800000, v8
	s_xor_b32 s2, exec_lo, s2
	s_cbranch_execz .LBB241_2520
; %bb.2515:
	s_mov_b32 s9, exec_lo
                                        ; implicit-def: $vgpr7
	v_cmpx_lt_u32_e32 0x387fffff, v8
	s_xor_b32 s9, exec_lo, s9
; %bb.2516:
	v_bfe_u32 v7, v1, 21, 1
	s_delay_alu instid0(VALU_DEP_1) | instskip(NEXT) | instid1(VALU_DEP_1)
	v_add3_u32 v7, v1, v7, 0x80fffff
	v_lshrrev_b32_e32 v7, 21, v7
; %bb.2517:
	s_and_not1_saveexec_b32 s9, s9
; %bb.2518:
	v_add_f32_e64 v7, 0x43000000, |v1|
; %bb.2519:
	s_or_b32 exec_lo, exec_lo, s9
                                        ; implicit-def: $vgpr8
.LBB241_2520:
	s_and_not1_saveexec_b32 s2, s2
; %bb.2521:
	v_mov_b32_e32 v7, 0x7f
	v_cmp_lt_u32_e32 vcc_lo, 0x7f800000, v8
	s_delay_alu instid0(VALU_DEP_2)
	v_cndmask_b32_e32 v7, 0x7c, v7, vcc_lo
; %bb.2522:
	s_or_b32 exec_lo, exec_lo, s2
	v_lshrrev_b32_e32 v1, 24, v1
	s_delay_alu instid0(VALU_DEP_1)
	v_and_or_b32 v7, 0x80, v1, v7
.LBB241_2523:
	s_mov_b32 s2, 0
.LBB241_2524:
	s_delay_alu instid0(SALU_CYCLE_1)
	s_and_not1_b32 vcc_lo, exec_lo, s2
	s_cbranch_vccnz .LBB241_2584
; %bb.2525:
	s_cmp_lt_i32 s0, 2
	s_cbranch_scc1 .LBB241_2537
; %bb.2526:
	s_cmp_lt_i32 s0, 3
	s_cbranch_scc1 .LBB241_2538
; %bb.2527:
	s_cmp_gt_i32 s0, 3
	s_cbranch_scc0 .LBB241_2539
; %bb.2528:
	global_load_b64 v[8:9], v[2:3], off
	s_mov_b32 s2, exec_lo
	s_wait_loadcnt 0x0
	v_xor_b32_e32 v1, v8, v9
	v_cls_i32_e32 v7, v9
	s_delay_alu instid0(VALU_DEP_2) | instskip(NEXT) | instid1(VALU_DEP_1)
	v_ashrrev_i32_e32 v1, 31, v1
	v_add_nc_u32_e32 v1, 32, v1
	s_delay_alu instid0(VALU_DEP_1) | instskip(NEXT) | instid1(VALU_DEP_1)
	v_add_min_u32_e64 v1, v7, -1, v1
	v_lshlrev_b64_e32 v[8:9], v1, v[8:9]
	v_sub_nc_u32_e32 v1, 32, v1
	s_delay_alu instid0(VALU_DEP_2) | instskip(NEXT) | instid1(VALU_DEP_1)
	v_min_u32_e32 v7, 1, v8
	v_or_b32_e32 v7, v9, v7
	s_delay_alu instid0(VALU_DEP_1) | instskip(NEXT) | instid1(VALU_DEP_1)
	v_cvt_f32_i32_e32 v7, v7
	v_ldexp_f32 v1, v7, v1
                                        ; implicit-def: $vgpr7
	s_delay_alu instid0(VALU_DEP_1) | instskip(SKIP_1) | instid1(VALU_DEP_1)
	v_and_b32_e32 v8, 0x7fffffff, v1
	s_wait_xcnt 0x0
	v_cmpx_gt_u32_e32 0x47800000, v8
	s_xor_b32 s2, exec_lo, s2
	s_cbranch_execz .LBB241_2534
; %bb.2529:
	s_mov_b32 s9, exec_lo
                                        ; implicit-def: $vgpr7
	v_cmpx_lt_u32_e32 0x387fffff, v8
	s_xor_b32 s9, exec_lo, s9
; %bb.2530:
	v_bfe_u32 v7, v1, 21, 1
	s_delay_alu instid0(VALU_DEP_1) | instskip(NEXT) | instid1(VALU_DEP_1)
	v_add3_u32 v7, v1, v7, 0x80fffff
	v_lshrrev_b32_e32 v7, 21, v7
; %bb.2531:
	s_and_not1_saveexec_b32 s9, s9
; %bb.2532:
	v_add_f32_e64 v7, 0x43000000, |v1|
; %bb.2533:
	s_or_b32 exec_lo, exec_lo, s9
                                        ; implicit-def: $vgpr8
.LBB241_2534:
	s_and_not1_saveexec_b32 s2, s2
; %bb.2535:
	v_mov_b32_e32 v7, 0x7f
	v_cmp_lt_u32_e32 vcc_lo, 0x7f800000, v8
	s_delay_alu instid0(VALU_DEP_2)
	v_cndmask_b32_e32 v7, 0x7c, v7, vcc_lo
; %bb.2536:
	s_or_b32 exec_lo, exec_lo, s2
	v_lshrrev_b32_e32 v1, 24, v1
	s_mov_b32 s2, 0
	s_delay_alu instid0(VALU_DEP_1)
	v_and_or_b32 v7, 0x80, v1, v7
	s_branch .LBB241_2540
.LBB241_2537:
	s_mov_b32 s2, -1
                                        ; implicit-def: $vgpr7
	s_branch .LBB241_2562
.LBB241_2538:
	s_mov_b32 s2, -1
                                        ; implicit-def: $vgpr7
	s_branch .LBB241_2551
.LBB241_2539:
	s_mov_b32 s2, -1
                                        ; implicit-def: $vgpr7
.LBB241_2540:
	s_delay_alu instid0(SALU_CYCLE_1)
	s_and_b32 vcc_lo, exec_lo, s2
	s_cbranch_vccz .LBB241_2550
; %bb.2541:
	global_load_b32 v1, v[2:3], off
	s_mov_b32 s2, exec_lo
                                        ; implicit-def: $vgpr7
	s_wait_loadcnt 0x0
	v_cvt_f32_i32_e32 v1, v1
	s_delay_alu instid0(VALU_DEP_1) | instskip(SKIP_1) | instid1(VALU_DEP_1)
	v_and_b32_e32 v8, 0x7fffffff, v1
	s_wait_xcnt 0x0
	v_cmpx_gt_u32_e32 0x47800000, v8
	s_xor_b32 s2, exec_lo, s2
	s_cbranch_execz .LBB241_2547
; %bb.2542:
	s_mov_b32 s9, exec_lo
                                        ; implicit-def: $vgpr7
	v_cmpx_lt_u32_e32 0x387fffff, v8
	s_xor_b32 s9, exec_lo, s9
; %bb.2543:
	v_bfe_u32 v7, v1, 21, 1
	s_delay_alu instid0(VALU_DEP_1) | instskip(NEXT) | instid1(VALU_DEP_1)
	v_add3_u32 v7, v1, v7, 0x80fffff
	v_lshrrev_b32_e32 v7, 21, v7
; %bb.2544:
	s_and_not1_saveexec_b32 s9, s9
; %bb.2545:
	v_add_f32_e64 v7, 0x43000000, |v1|
; %bb.2546:
	s_or_b32 exec_lo, exec_lo, s9
                                        ; implicit-def: $vgpr8
.LBB241_2547:
	s_and_not1_saveexec_b32 s2, s2
; %bb.2548:
	v_mov_b32_e32 v7, 0x7f
	v_cmp_lt_u32_e32 vcc_lo, 0x7f800000, v8
	s_delay_alu instid0(VALU_DEP_2)
	v_cndmask_b32_e32 v7, 0x7c, v7, vcc_lo
; %bb.2549:
	s_or_b32 exec_lo, exec_lo, s2
	v_lshrrev_b32_e32 v1, 24, v1
	s_mov_b32 s2, 0
	s_delay_alu instid0(VALU_DEP_1)
	v_and_or_b32 v7, 0x80, v1, v7
	s_branch .LBB241_2551
.LBB241_2550:
	s_mov_b32 s2, 0
.LBB241_2551:
	s_delay_alu instid0(SALU_CYCLE_1)
	s_and_not1_b32 vcc_lo, exec_lo, s2
	s_cbranch_vccnz .LBB241_2561
; %bb.2552:
	global_load_i16 v1, v[2:3], off
	s_mov_b32 s2, exec_lo
                                        ; implicit-def: $vgpr7
	s_wait_loadcnt 0x0
	v_cvt_f32_i32_e32 v1, v1
	s_delay_alu instid0(VALU_DEP_1) | instskip(SKIP_1) | instid1(VALU_DEP_1)
	v_and_b32_e32 v8, 0x7fffffff, v1
	s_wait_xcnt 0x0
	v_cmpx_gt_u32_e32 0x47800000, v8
	s_xor_b32 s2, exec_lo, s2
	s_cbranch_execz .LBB241_2558
; %bb.2553:
	s_mov_b32 s9, exec_lo
                                        ; implicit-def: $vgpr7
	v_cmpx_lt_u32_e32 0x387fffff, v8
	s_xor_b32 s9, exec_lo, s9
; %bb.2554:
	v_bfe_u32 v7, v1, 21, 1
	s_delay_alu instid0(VALU_DEP_1) | instskip(NEXT) | instid1(VALU_DEP_1)
	v_add3_u32 v7, v1, v7, 0x80fffff
	v_lshrrev_b32_e32 v7, 21, v7
; %bb.2555:
	s_and_not1_saveexec_b32 s9, s9
; %bb.2556:
	v_add_f32_e64 v7, 0x43000000, |v1|
; %bb.2557:
	s_or_b32 exec_lo, exec_lo, s9
                                        ; implicit-def: $vgpr8
.LBB241_2558:
	s_and_not1_saveexec_b32 s2, s2
; %bb.2559:
	v_mov_b32_e32 v7, 0x7f
	v_cmp_lt_u32_e32 vcc_lo, 0x7f800000, v8
	s_delay_alu instid0(VALU_DEP_2)
	v_cndmask_b32_e32 v7, 0x7c, v7, vcc_lo
; %bb.2560:
	s_or_b32 exec_lo, exec_lo, s2
	v_lshrrev_b32_e32 v1, 24, v1
	s_delay_alu instid0(VALU_DEP_1)
	v_and_or_b32 v7, 0x80, v1, v7
.LBB241_2561:
	s_mov_b32 s2, 0
.LBB241_2562:
	s_delay_alu instid0(SALU_CYCLE_1)
	s_and_not1_b32 vcc_lo, exec_lo, s2
	s_cbranch_vccnz .LBB241_2584
; %bb.2563:
	s_cmp_gt_i32 s0, 0
	s_cbranch_scc0 .LBB241_2573
; %bb.2564:
	global_load_i8 v1, v[2:3], off
	s_mov_b32 s2, exec_lo
                                        ; implicit-def: $vgpr7
	s_wait_loadcnt 0x0
	v_cvt_f32_i32_e32 v1, v1
	s_delay_alu instid0(VALU_DEP_1) | instskip(SKIP_1) | instid1(VALU_DEP_1)
	v_and_b32_e32 v8, 0x7fffffff, v1
	s_wait_xcnt 0x0
	v_cmpx_gt_u32_e32 0x47800000, v8
	s_xor_b32 s2, exec_lo, s2
	s_cbranch_execz .LBB241_2570
; %bb.2565:
	s_mov_b32 s9, exec_lo
                                        ; implicit-def: $vgpr7
	v_cmpx_lt_u32_e32 0x387fffff, v8
	s_xor_b32 s9, exec_lo, s9
; %bb.2566:
	v_bfe_u32 v7, v1, 21, 1
	s_delay_alu instid0(VALU_DEP_1) | instskip(NEXT) | instid1(VALU_DEP_1)
	v_add3_u32 v7, v1, v7, 0x80fffff
	v_lshrrev_b32_e32 v7, 21, v7
; %bb.2567:
	s_and_not1_saveexec_b32 s9, s9
; %bb.2568:
	v_add_f32_e64 v7, 0x43000000, |v1|
; %bb.2569:
	s_or_b32 exec_lo, exec_lo, s9
                                        ; implicit-def: $vgpr8
.LBB241_2570:
	s_and_not1_saveexec_b32 s2, s2
; %bb.2571:
	v_mov_b32_e32 v7, 0x7f
	v_cmp_lt_u32_e32 vcc_lo, 0x7f800000, v8
	s_delay_alu instid0(VALU_DEP_2)
	v_cndmask_b32_e32 v7, 0x7c, v7, vcc_lo
; %bb.2572:
	s_or_b32 exec_lo, exec_lo, s2
	v_lshrrev_b32_e32 v1, 24, v1
	s_mov_b32 s2, 0
	s_delay_alu instid0(VALU_DEP_1)
	v_and_or_b32 v7, 0x80, v1, v7
	s_branch .LBB241_2574
.LBB241_2573:
	s_mov_b32 s2, -1
                                        ; implicit-def: $vgpr7
.LBB241_2574:
	s_delay_alu instid0(SALU_CYCLE_1)
	s_and_b32 vcc_lo, exec_lo, s2
	s_cbranch_vccz .LBB241_2584
; %bb.2575:
	global_load_u8 v1, v[2:3], off
	s_mov_b32 s2, exec_lo
                                        ; implicit-def: $vgpr7
	s_wait_loadcnt 0x0
	v_cvt_f32_ubyte0_e32 v1, v1
	s_wait_xcnt 0x0
	s_delay_alu instid0(VALU_DEP_1)
	v_cmpx_gt_u32_e32 0x47800000, v1
	s_xor_b32 s2, exec_lo, s2
	s_cbranch_execz .LBB241_2581
; %bb.2576:
	s_mov_b32 s9, exec_lo
                                        ; implicit-def: $vgpr7
	v_cmpx_lt_u32_e32 0x387fffff, v1
	s_xor_b32 s9, exec_lo, s9
; %bb.2577:
	v_bfe_u32 v2, v1, 21, 1
	s_delay_alu instid0(VALU_DEP_1) | instskip(NEXT) | instid1(VALU_DEP_1)
	v_add3_u32 v1, v1, v2, 0x80fffff
	v_lshrrev_b32_e32 v7, 21, v1
                                        ; implicit-def: $vgpr1
; %bb.2578:
	s_and_not1_saveexec_b32 s9, s9
; %bb.2579:
	v_add_f32_e32 v7, 0x43000000, v1
; %bb.2580:
	s_or_b32 exec_lo, exec_lo, s9
                                        ; implicit-def: $vgpr1
.LBB241_2581:
	s_and_not1_saveexec_b32 s2, s2
; %bb.2582:
	v_mov_b32_e32 v2, 0x7f
	v_cmp_lt_u32_e32 vcc_lo, 0x7f800000, v1
	s_delay_alu instid0(VALU_DEP_2)
	v_cndmask_b32_e32 v7, 0x7c, v2, vcc_lo
; %bb.2583:
	s_or_b32 exec_lo, exec_lo, s2
.LBB241_2584:
.LBB241_2585:
	v_add_nc_u32_e32 v0, s1, v0
	s_cmp_lt_i32 s0, 11
	s_delay_alu instid0(VALU_DEP_1) | instskip(NEXT) | instid1(VALU_DEP_1)
	v_ashrrev_i32_e32 v1, 31, v0
	v_add_nc_u64_e32 v[0:1], s[6:7], v[0:1]
	s_cbranch_scc1 .LBB241_2600
; %bb.2586:
	s_cmp_gt_i32 s0, 25
	s_mov_b32 s2, 0
	s_cbranch_scc0 .LBB241_2601
; %bb.2587:
	s_cmp_gt_i32 s0, 28
	s_cbranch_scc0 .LBB241_2602
; %bb.2588:
	s_cmp_gt_i32 s0, 43
	s_cbranch_scc0 .LBB241_2603
; %bb.2589:
	s_cmp_gt_i32 s0, 45
	s_cbranch_scc0 .LBB241_2605
; %bb.2590:
	s_cmp_eq_u32 s0, 46
	s_mov_b32 s7, 0
	s_cbranch_scc0 .LBB241_2606
; %bb.2591:
	global_load_b32 v2, v[0:1], off
	s_mov_b32 s1, exec_lo
                                        ; implicit-def: $vgpr3
	s_wait_loadcnt 0x0
	v_lshlrev_b32_e32 v2, 16, v2
	s_delay_alu instid0(VALU_DEP_1) | instskip(SKIP_1) | instid1(VALU_DEP_1)
	v_and_b32_e32 v8, 0x7fffffff, v2
	s_wait_xcnt 0x0
	v_cmpx_gt_u32_e32 0x47800000, v8
	s_xor_b32 s1, exec_lo, s1
	s_cbranch_execz .LBB241_2597
; %bb.2592:
	s_mov_b32 s6, exec_lo
                                        ; implicit-def: $vgpr3
	v_cmpx_lt_u32_e32 0x387fffff, v8
	s_xor_b32 s6, exec_lo, s6
; %bb.2593:
	v_bfe_u32 v3, v2, 21, 1
	s_delay_alu instid0(VALU_DEP_1) | instskip(NEXT) | instid1(VALU_DEP_1)
	v_add3_u32 v3, v2, v3, 0x80fffff
	v_lshrrev_b32_e32 v3, 21, v3
; %bb.2594:
	s_and_not1_saveexec_b32 s6, s6
; %bb.2595:
	v_add_f32_e64 v3, 0x43000000, |v2|
; %bb.2596:
	s_or_b32 exec_lo, exec_lo, s6
                                        ; implicit-def: $vgpr8
.LBB241_2597:
	s_and_not1_saveexec_b32 s1, s1
; %bb.2598:
	v_mov_b32_e32 v3, 0x7f
	v_cmp_lt_u32_e32 vcc_lo, 0x7f800000, v8
	s_delay_alu instid0(VALU_DEP_2)
	v_cndmask_b32_e32 v3, 0x7c, v3, vcc_lo
; %bb.2599:
	s_or_b32 exec_lo, exec_lo, s1
	v_lshrrev_b32_e32 v2, 24, v2
	s_mov_b32 s1, 0
	s_mov_b32 s6, -1
	s_delay_alu instid0(VALU_DEP_1)
	v_and_or_b32 v8, 0x80, v2, v3
	s_branch .LBB241_2608
.LBB241_2600:
	s_mov_b32 s1, -1
	s_mov_b32 s6, 0
                                        ; implicit-def: $vgpr8
	s_branch .LBB241_2745
.LBB241_2601:
	s_mov_b32 s7, -1
	s_mov_b32 s6, 0
	s_mov_b32 s1, 0
                                        ; implicit-def: $vgpr8
	s_branch .LBB241_2677
.LBB241_2602:
	s_mov_b32 s7, -1
	s_mov_b32 s6, 0
	s_mov_b32 s1, 0
                                        ; implicit-def: $vgpr8
	s_branch .LBB241_2634
.LBB241_2603:
	s_mov_b32 s7, -1
	s_mov_b32 s6, 0
	s_mov_b32 s1, 0
                                        ; implicit-def: $vgpr8
	s_branch .LBB241_2621
.LBB241_2604:
	s_or_b32 s12, s12, exec_lo
	s_trap 2
	s_cbranch_execz .LBB241_2439
	s_branch .LBB241_2448
.LBB241_2605:
	s_mov_b32 s7, -1
	s_mov_b32 s6, 0
	s_mov_b32 s1, 0
	s_branch .LBB241_2607
.LBB241_2606:
	s_mov_b32 s1, -1
	s_mov_b32 s6, 0
.LBB241_2607:
                                        ; implicit-def: $vgpr8
.LBB241_2608:
	s_and_b32 vcc_lo, exec_lo, s7
	s_cbranch_vccz .LBB241_2620
; %bb.2609:
	s_cmp_eq_u32 s0, 44
	s_cbranch_scc0 .LBB241_2619
; %bb.2610:
	global_load_u8 v2, v[0:1], off
	s_mov_b32 s1, exec_lo
                                        ; implicit-def: $vgpr8
	s_wait_loadcnt 0x0
	v_lshlrev_b32_e32 v3, 23, v2
	v_cmp_ne_u32_e32 vcc_lo, 0xff, v2
	s_delay_alu instid0(VALU_DEP_2) | instskip(SKIP_1) | instid1(VALU_DEP_2)
	v_cndmask_b32_e32 v3, 0x7f800001, v3, vcc_lo
	v_cmp_ne_u32_e32 vcc_lo, 0, v2
	v_cndmask_b32_e32 v2, 0x400000, v3, vcc_lo
	s_wait_xcnt 0x0
	s_delay_alu instid0(VALU_DEP_1)
	v_cmpx_gt_u32_e32 0x47800000, v2
	s_xor_b32 s1, exec_lo, s1
	s_cbranch_execz .LBB241_2616
; %bb.2611:
	s_mov_b32 s6, exec_lo
                                        ; implicit-def: $vgpr8
	v_cmpx_lt_u32_e32 0x387fffff, v2
	s_xor_b32 s6, exec_lo, s6
; %bb.2612:
	v_bfe_u32 v3, v2, 21, 1
	s_delay_alu instid0(VALU_DEP_1) | instskip(NEXT) | instid1(VALU_DEP_1)
	v_add3_u32 v2, v2, v3, 0x80fffff
	v_lshrrev_b32_e32 v8, 21, v2
                                        ; implicit-def: $vgpr2
; %bb.2613:
	s_and_not1_saveexec_b32 s6, s6
; %bb.2614:
	v_add_f32_e32 v8, 0x43000000, v2
; %bb.2615:
	s_or_b32 exec_lo, exec_lo, s6
                                        ; implicit-def: $vgpr2
.LBB241_2616:
	s_and_not1_saveexec_b32 s1, s1
; %bb.2617:
	v_mov_b32_e32 v3, 0x7f
	v_cmp_lt_u32_e32 vcc_lo, 0x7f800000, v2
	s_delay_alu instid0(VALU_DEP_2)
	v_cndmask_b32_e32 v8, 0x7c, v3, vcc_lo
; %bb.2618:
	s_or_b32 exec_lo, exec_lo, s1
	s_mov_b32 s1, 0
	s_mov_b32 s6, -1
	s_branch .LBB241_2620
.LBB241_2619:
	s_mov_b32 s1, -1
                                        ; implicit-def: $vgpr8
.LBB241_2620:
	s_mov_b32 s7, 0
.LBB241_2621:
	s_delay_alu instid0(SALU_CYCLE_1)
	s_and_b32 vcc_lo, exec_lo, s7
	s_cbranch_vccz .LBB241_2633
; %bb.2622:
	s_cmp_eq_u32 s0, 29
	s_cbranch_scc0 .LBB241_2632
; %bb.2623:
	global_load_b64 v[2:3], v[0:1], off
	s_mov_b32 s1, exec_lo
	s_wait_loadcnt 0x0
	v_clz_i32_u32_e32 v8, v3
	s_delay_alu instid0(VALU_DEP_1) | instskip(NEXT) | instid1(VALU_DEP_1)
	v_min_u32_e32 v8, 32, v8
	v_lshlrev_b64_e32 v[2:3], v8, v[2:3]
	s_delay_alu instid0(VALU_DEP_1) | instskip(NEXT) | instid1(VALU_DEP_1)
	v_min_u32_e32 v2, 1, v2
	v_dual_sub_nc_u32 v3, 32, v8 :: v_dual_bitop2_b32 v2, v3, v2 bitop3:0x54
                                        ; implicit-def: $vgpr8
	s_delay_alu instid0(VALU_DEP_1) | instskip(NEXT) | instid1(VALU_DEP_1)
	v_cvt_f32_u32_e32 v2, v2
	v_ldexp_f32 v2, v2, v3
	s_wait_xcnt 0x0
	s_delay_alu instid0(VALU_DEP_1)
	v_cmpx_gt_u32_e32 0x47800000, v2
	s_xor_b32 s1, exec_lo, s1
	s_cbranch_execz .LBB241_2629
; %bb.2624:
	s_mov_b32 s6, exec_lo
                                        ; implicit-def: $vgpr8
	v_cmpx_lt_u32_e32 0x387fffff, v2
	s_xor_b32 s6, exec_lo, s6
; %bb.2625:
	v_bfe_u32 v3, v2, 21, 1
	s_delay_alu instid0(VALU_DEP_1) | instskip(NEXT) | instid1(VALU_DEP_1)
	v_add3_u32 v2, v2, v3, 0x80fffff
	v_lshrrev_b32_e32 v8, 21, v2
                                        ; implicit-def: $vgpr2
; %bb.2626:
	s_and_not1_saveexec_b32 s6, s6
; %bb.2627:
	v_add_f32_e32 v8, 0x43000000, v2
; %bb.2628:
	s_or_b32 exec_lo, exec_lo, s6
                                        ; implicit-def: $vgpr2
.LBB241_2629:
	s_and_not1_saveexec_b32 s1, s1
; %bb.2630:
	v_mov_b32_e32 v3, 0x7f
	v_cmp_lt_u32_e32 vcc_lo, 0x7f800000, v2
	s_delay_alu instid0(VALU_DEP_2)
	v_cndmask_b32_e32 v8, 0x7c, v3, vcc_lo
; %bb.2631:
	s_or_b32 exec_lo, exec_lo, s1
	s_mov_b32 s1, 0
	s_mov_b32 s6, -1
	s_branch .LBB241_2633
.LBB241_2632:
	s_mov_b32 s1, -1
                                        ; implicit-def: $vgpr8
.LBB241_2633:
	s_mov_b32 s7, 0
.LBB241_2634:
	s_delay_alu instid0(SALU_CYCLE_1)
	s_and_b32 vcc_lo, exec_lo, s7
	s_cbranch_vccz .LBB241_2676
; %bb.2635:
	s_cmp_lt_i32 s0, 27
	s_cbranch_scc1 .LBB241_2646
; %bb.2636:
	s_cmp_gt_i32 s0, 27
	s_cbranch_scc0 .LBB241_2647
; %bb.2637:
	global_load_b32 v2, v[0:1], off
	s_mov_b32 s6, exec_lo
                                        ; implicit-def: $vgpr8
	s_wait_loadcnt 0x0
	v_cvt_f32_u32_e32 v2, v2
	s_wait_xcnt 0x0
	s_delay_alu instid0(VALU_DEP_1)
	v_cmpx_gt_u32_e32 0x47800000, v2
	s_xor_b32 s6, exec_lo, s6
	s_cbranch_execz .LBB241_2643
; %bb.2638:
	s_mov_b32 s7, exec_lo
                                        ; implicit-def: $vgpr8
	v_cmpx_lt_u32_e32 0x387fffff, v2
	s_xor_b32 s7, exec_lo, s7
; %bb.2639:
	v_bfe_u32 v3, v2, 21, 1
	s_delay_alu instid0(VALU_DEP_1) | instskip(NEXT) | instid1(VALU_DEP_1)
	v_add3_u32 v2, v2, v3, 0x80fffff
	v_lshrrev_b32_e32 v8, 21, v2
                                        ; implicit-def: $vgpr2
; %bb.2640:
	s_and_not1_saveexec_b32 s7, s7
; %bb.2641:
	v_add_f32_e32 v8, 0x43000000, v2
; %bb.2642:
	s_or_b32 exec_lo, exec_lo, s7
                                        ; implicit-def: $vgpr2
.LBB241_2643:
	s_and_not1_saveexec_b32 s6, s6
; %bb.2644:
	v_mov_b32_e32 v3, 0x7f
	v_cmp_lt_u32_e32 vcc_lo, 0x7f800000, v2
	s_delay_alu instid0(VALU_DEP_2)
	v_cndmask_b32_e32 v8, 0x7c, v3, vcc_lo
; %bb.2645:
	s_or_b32 exec_lo, exec_lo, s6
	s_mov_b32 s6, 0
	s_branch .LBB241_2648
.LBB241_2646:
	s_mov_b32 s6, -1
                                        ; implicit-def: $vgpr8
	s_branch .LBB241_2659
.LBB241_2647:
	s_mov_b32 s6, -1
                                        ; implicit-def: $vgpr8
.LBB241_2648:
	s_delay_alu instid0(SALU_CYCLE_1)
	s_and_b32 vcc_lo, exec_lo, s6
	s_cbranch_vccz .LBB241_2658
; %bb.2649:
	global_load_u16 v2, v[0:1], off
	s_mov_b32 s6, exec_lo
                                        ; implicit-def: $vgpr8
	s_wait_loadcnt 0x0
	v_cvt_f32_u32_e32 v2, v2
	s_wait_xcnt 0x0
	s_delay_alu instid0(VALU_DEP_1)
	v_cmpx_gt_u32_e32 0x47800000, v2
	s_xor_b32 s6, exec_lo, s6
	s_cbranch_execz .LBB241_2655
; %bb.2650:
	s_mov_b32 s7, exec_lo
                                        ; implicit-def: $vgpr8
	v_cmpx_lt_u32_e32 0x387fffff, v2
	s_xor_b32 s7, exec_lo, s7
; %bb.2651:
	v_bfe_u32 v3, v2, 21, 1
	s_delay_alu instid0(VALU_DEP_1) | instskip(NEXT) | instid1(VALU_DEP_1)
	v_add3_u32 v2, v2, v3, 0x80fffff
	v_lshrrev_b32_e32 v8, 21, v2
                                        ; implicit-def: $vgpr2
; %bb.2652:
	s_and_not1_saveexec_b32 s7, s7
; %bb.2653:
	v_add_f32_e32 v8, 0x43000000, v2
; %bb.2654:
	s_or_b32 exec_lo, exec_lo, s7
                                        ; implicit-def: $vgpr2
.LBB241_2655:
	s_and_not1_saveexec_b32 s6, s6
; %bb.2656:
	v_mov_b32_e32 v3, 0x7f
	v_cmp_lt_u32_e32 vcc_lo, 0x7f800000, v2
	s_delay_alu instid0(VALU_DEP_2)
	v_cndmask_b32_e32 v8, 0x7c, v3, vcc_lo
; %bb.2657:
	s_or_b32 exec_lo, exec_lo, s6
.LBB241_2658:
	s_mov_b32 s6, 0
.LBB241_2659:
	s_delay_alu instid0(SALU_CYCLE_1)
	s_and_not1_b32 vcc_lo, exec_lo, s6
	s_cbranch_vccnz .LBB241_2675
; %bb.2660:
	global_load_u8 v3, v[0:1], off
	s_mov_b32 s6, 0
	s_mov_b32 s7, exec_lo
	s_wait_loadcnt 0x0
	v_cmpx_lt_i16_e32 0x7f, v3
	s_xor_b32 s7, exec_lo, s7
	s_cbranch_execz .LBB241_2697
; %bb.2661:
	s_mov_b32 s6, -1
	s_mov_b32 s9, exec_lo
	v_cmpx_eq_u16_e32 0x80, v3
; %bb.2662:
	s_xor_b32 s6, exec_lo, -1
; %bb.2663:
	s_or_b32 exec_lo, exec_lo, s9
	s_delay_alu instid0(SALU_CYCLE_1)
	s_and_b32 s6, s6, exec_lo
	s_or_saveexec_b32 s7, s7
	v_mov_b32_e32 v2, 0x7f800001
	s_xor_b32 exec_lo, exec_lo, s7
	s_cbranch_execnz .LBB241_2698
.LBB241_2664:
	s_or_b32 exec_lo, exec_lo, s7
	s_and_saveexec_b32 s7, s6
	s_cbranch_execz .LBB241_2666
.LBB241_2665:
	v_and_b32_e32 v2, 0xffff, v3
	s_delay_alu instid0(VALU_DEP_1) | instskip(SKIP_1) | instid1(VALU_DEP_2)
	v_and_b32_e32 v8, 7, v2
	v_bfe_u32 v11, v2, 3, 4
	v_clz_i32_u32_e32 v9, v8
	s_delay_alu instid0(VALU_DEP_2) | instskip(NEXT) | instid1(VALU_DEP_2)
	v_cmp_eq_u32_e32 vcc_lo, 0, v11
	v_min_u32_e32 v9, 32, v9
	s_delay_alu instid0(VALU_DEP_1) | instskip(NEXT) | instid1(VALU_DEP_1)
	v_subrev_nc_u32_e32 v10, 28, v9
	v_dual_lshlrev_b32 v2, v10, v2 :: v_dual_sub_nc_u32 v9, 29, v9
	s_delay_alu instid0(VALU_DEP_1) | instskip(NEXT) | instid1(VALU_DEP_1)
	v_dual_lshlrev_b32 v3, 24, v3 :: v_dual_bitop2_b32 v2, 7, v2 bitop3:0x40
	v_dual_cndmask_b32 v9, v11, v9 :: v_dual_cndmask_b32 v2, v8, v2
	s_delay_alu instid0(VALU_DEP_2) | instskip(NEXT) | instid1(VALU_DEP_2)
	v_and_b32_e32 v3, 0x80000000, v3
	v_lshl_add_u32 v8, v9, 23, 0x3b800000
	s_delay_alu instid0(VALU_DEP_3) | instskip(NEXT) | instid1(VALU_DEP_1)
	v_lshlrev_b32_e32 v2, 20, v2
	v_or3_b32 v2, v3, v8, v2
.LBB241_2666:
	s_or_b32 exec_lo, exec_lo, s7
	s_delay_alu instid0(VALU_DEP_1) | instskip(SKIP_1) | instid1(VALU_DEP_1)
	v_and_b32_e32 v8, 0x7fffffff, v2
	s_mov_b32 s6, exec_lo
                                        ; implicit-def: $vgpr3
	v_cmpx_gt_u32_e32 0x47800000, v8
	s_xor_b32 s6, exec_lo, s6
	s_cbranch_execz .LBB241_2672
; %bb.2667:
	s_mov_b32 s7, exec_lo
                                        ; implicit-def: $vgpr3
	v_cmpx_lt_u32_e32 0x387fffff, v8
	s_xor_b32 s7, exec_lo, s7
; %bb.2668:
	v_bfe_u32 v3, v2, 21, 1
	s_delay_alu instid0(VALU_DEP_1) | instskip(NEXT) | instid1(VALU_DEP_1)
	v_add3_u32 v3, v2, v3, 0x80fffff
	v_lshrrev_b32_e32 v3, 21, v3
; %bb.2669:
	s_and_not1_saveexec_b32 s7, s7
; %bb.2670:
	v_add_f32_e64 v3, 0x43000000, |v2|
; %bb.2671:
	s_or_b32 exec_lo, exec_lo, s7
                                        ; implicit-def: $vgpr8
.LBB241_2672:
	s_and_not1_saveexec_b32 s6, s6
; %bb.2673:
	v_mov_b32_e32 v3, 0x7f
	v_cmp_lt_u32_e32 vcc_lo, 0x7f800000, v8
	s_delay_alu instid0(VALU_DEP_2)
	v_cndmask_b32_e32 v3, 0x7c, v3, vcc_lo
; %bb.2674:
	s_or_b32 exec_lo, exec_lo, s6
	v_lshrrev_b32_e32 v2, 24, v2
	s_delay_alu instid0(VALU_DEP_1)
	v_and_or_b32 v8, 0x80, v2, v3
.LBB241_2675:
	s_mov_b32 s6, -1
.LBB241_2676:
	s_mov_b32 s7, 0
.LBB241_2677:
	s_delay_alu instid0(SALU_CYCLE_1)
	s_and_b32 vcc_lo, exec_lo, s7
	s_cbranch_vccz .LBB241_2733
; %bb.2678:
	s_cmp_gt_i32 s0, 22
	s_cbranch_scc0 .LBB241_2696
; %bb.2679:
	s_cmp_lt_i32 s0, 24
	s_cbranch_scc1 .LBB241_2699
; %bb.2680:
	s_cmp_gt_i32 s0, 24
	s_cbranch_scc0 .LBB241_2700
; %bb.2681:
	global_load_u8 v3, v[0:1], off
	s_mov_b32 s6, exec_lo
	s_wait_loadcnt 0x0
	v_cmpx_lt_i16_e32 0x7f, v3
	s_xor_b32 s6, exec_lo, s6
	s_cbranch_execz .LBB241_2711
; %bb.2682:
	s_mov_b32 s2, -1
	s_mov_b32 s7, exec_lo
	v_cmpx_eq_u16_e32 0x80, v3
; %bb.2683:
	s_xor_b32 s2, exec_lo, -1
; %bb.2684:
	s_or_b32 exec_lo, exec_lo, s7
	s_delay_alu instid0(SALU_CYCLE_1)
	s_and_b32 s2, s2, exec_lo
	s_or_saveexec_b32 s6, s6
	v_mov_b32_e32 v2, 0x7f800001
	s_xor_b32 exec_lo, exec_lo, s6
	s_cbranch_execnz .LBB241_2712
.LBB241_2685:
	s_or_b32 exec_lo, exec_lo, s6
	s_and_saveexec_b32 s6, s2
	s_cbranch_execz .LBB241_2687
.LBB241_2686:
	v_and_b32_e32 v2, 0xffff, v3
	s_delay_alu instid0(VALU_DEP_1) | instskip(SKIP_1) | instid1(VALU_DEP_2)
	v_and_b32_e32 v8, 3, v2
	v_bfe_u32 v11, v2, 2, 5
	v_clz_i32_u32_e32 v9, v8
	s_delay_alu instid0(VALU_DEP_2) | instskip(NEXT) | instid1(VALU_DEP_2)
	v_cmp_eq_u32_e32 vcc_lo, 0, v11
	v_min_u32_e32 v9, 32, v9
	s_delay_alu instid0(VALU_DEP_1) | instskip(NEXT) | instid1(VALU_DEP_1)
	v_subrev_nc_u32_e32 v10, 29, v9
	v_dual_lshlrev_b32 v2, v10, v2 :: v_dual_sub_nc_u32 v9, 30, v9
	s_delay_alu instid0(VALU_DEP_1) | instskip(NEXT) | instid1(VALU_DEP_1)
	v_dual_lshlrev_b32 v3, 24, v3 :: v_dual_bitop2_b32 v2, 3, v2 bitop3:0x40
	v_dual_cndmask_b32 v9, v11, v9 :: v_dual_cndmask_b32 v2, v8, v2
	s_delay_alu instid0(VALU_DEP_2) | instskip(NEXT) | instid1(VALU_DEP_2)
	v_and_b32_e32 v3, 0x80000000, v3
	v_lshl_add_u32 v8, v9, 23, 0x37800000
	s_delay_alu instid0(VALU_DEP_3) | instskip(NEXT) | instid1(VALU_DEP_1)
	v_lshlrev_b32_e32 v2, 21, v2
	v_or3_b32 v2, v3, v8, v2
.LBB241_2687:
	s_or_b32 exec_lo, exec_lo, s6
	s_delay_alu instid0(VALU_DEP_1) | instskip(SKIP_1) | instid1(VALU_DEP_1)
	v_and_b32_e32 v8, 0x7fffffff, v2
	s_mov_b32 s2, exec_lo
                                        ; implicit-def: $vgpr3
	v_cmpx_gt_u32_e32 0x47800000, v8
	s_xor_b32 s2, exec_lo, s2
	s_cbranch_execz .LBB241_2693
; %bb.2688:
	s_mov_b32 s6, exec_lo
                                        ; implicit-def: $vgpr3
	v_cmpx_lt_u32_e32 0x387fffff, v8
	s_xor_b32 s6, exec_lo, s6
; %bb.2689:
	v_bfe_u32 v3, v2, 21, 1
	s_delay_alu instid0(VALU_DEP_1) | instskip(NEXT) | instid1(VALU_DEP_1)
	v_add3_u32 v3, v2, v3, 0x80fffff
	v_lshrrev_b32_e32 v3, 21, v3
; %bb.2690:
	s_and_not1_saveexec_b32 s6, s6
; %bb.2691:
	v_add_f32_e64 v3, 0x43000000, |v2|
; %bb.2692:
	s_or_b32 exec_lo, exec_lo, s6
                                        ; implicit-def: $vgpr8
.LBB241_2693:
	s_and_not1_saveexec_b32 s2, s2
; %bb.2694:
	v_mov_b32_e32 v3, 0x7f
	v_cmp_lt_u32_e32 vcc_lo, 0x7f800000, v8
	s_delay_alu instid0(VALU_DEP_2)
	v_cndmask_b32_e32 v3, 0x7c, v3, vcc_lo
; %bb.2695:
	s_or_b32 exec_lo, exec_lo, s2
	v_lshrrev_b32_e32 v2, 24, v2
	s_mov_b32 s2, 0
	s_delay_alu instid0(VALU_DEP_1)
	v_and_or_b32 v8, 0x80, v2, v3
	s_branch .LBB241_2701
.LBB241_2696:
	s_mov_b32 s2, -1
                                        ; implicit-def: $vgpr8
	s_branch .LBB241_2717
.LBB241_2697:
	s_or_saveexec_b32 s7, s7
	v_mov_b32_e32 v2, 0x7f800001
	s_xor_b32 exec_lo, exec_lo, s7
	s_cbranch_execz .LBB241_2664
.LBB241_2698:
	v_cmp_ne_u16_e32 vcc_lo, 0, v3
	v_mov_b32_e32 v2, 0
	s_and_not1_b32 s6, s6, exec_lo
	s_and_b32 s9, vcc_lo, exec_lo
	s_delay_alu instid0(SALU_CYCLE_1)
	s_or_b32 s6, s6, s9
	s_or_b32 exec_lo, exec_lo, s7
	s_and_saveexec_b32 s7, s6
	s_cbranch_execnz .LBB241_2665
	s_branch .LBB241_2666
.LBB241_2699:
	s_mov_b32 s2, -1
                                        ; implicit-def: $vgpr8
	s_branch .LBB241_2714
.LBB241_2700:
	s_mov_b32 s2, -1
                                        ; implicit-def: $vgpr8
.LBB241_2701:
	s_delay_alu instid0(SALU_CYCLE_1)
	s_and_b32 vcc_lo, exec_lo, s2
	s_cbranch_vccz .LBB241_2713
; %bb.2702:
	global_load_u8 v2, v[0:1], off
	s_mov_b32 s2, exec_lo
	s_wait_loadcnt 0x0
	v_lshlrev_b32_e32 v2, 24, v2
	s_delay_alu instid0(VALU_DEP_1) | instskip(NEXT) | instid1(VALU_DEP_1)
	v_and_b32_e32 v3, 0x7f000000, v2
	v_clz_i32_u32_e32 v8, v3
	v_cmp_ne_u32_e32 vcc_lo, 0, v3
	v_add_nc_u32_e32 v10, 0x1000000, v3
	s_delay_alu instid0(VALU_DEP_3) | instskip(NEXT) | instid1(VALU_DEP_1)
	v_min_u32_e32 v8, 32, v8
	v_sub_nc_u32_e64 v8, v8, 4 clamp
	s_delay_alu instid0(VALU_DEP_1) | instskip(NEXT) | instid1(VALU_DEP_1)
	v_lshlrev_b32_e32 v9, v8, v3
                                        ; implicit-def: $vgpr3
	v_dual_lshlrev_b32 v8, 23, v8 :: v_dual_lshrrev_b32 v9, 4, v9
	s_delay_alu instid0(VALU_DEP_1) | instskip(NEXT) | instid1(VALU_DEP_1)
	v_dual_sub_nc_u32 v8, v9, v8 :: v_dual_ashrrev_i32 v9, 8, v10
	v_add_nc_u32_e32 v8, 0x3c000000, v8
	s_delay_alu instid0(VALU_DEP_1) | instskip(NEXT) | instid1(VALU_DEP_1)
	v_and_or_b32 v8, 0x7f800000, v9, v8
	v_cndmask_b32_e32 v9, 0, v8, vcc_lo
	s_delay_alu instid0(VALU_DEP_1) | instskip(NEXT) | instid1(VALU_DEP_1)
	v_and_or_b32 v2, 0x80000000, v2, v9
	v_and_b32_e32 v8, 0x7fffffff, v2
	s_wait_xcnt 0x0
	s_delay_alu instid0(VALU_DEP_1)
	v_cmpx_gt_u32_e32 0x47800000, v8
	s_xor_b32 s2, exec_lo, s2
	s_cbranch_execz .LBB241_2708
; %bb.2703:
	s_mov_b32 s6, exec_lo
                                        ; implicit-def: $vgpr3
	v_cmpx_lt_u32_e32 0x387fffff, v8
	s_xor_b32 s6, exec_lo, s6
; %bb.2704:
	v_bfe_u32 v3, v9, 21, 1
	s_delay_alu instid0(VALU_DEP_1) | instskip(NEXT) | instid1(VALU_DEP_1)
	v_add3_u32 v3, v2, v3, 0x80fffff
	v_lshrrev_b32_e32 v3, 21, v3
; %bb.2705:
	s_and_not1_saveexec_b32 s6, s6
; %bb.2706:
	v_add_f32_e64 v3, 0x43000000, |v2|
; %bb.2707:
	s_or_b32 exec_lo, exec_lo, s6
                                        ; implicit-def: $vgpr8
.LBB241_2708:
	s_and_not1_saveexec_b32 s2, s2
; %bb.2709:
	v_mov_b32_e32 v3, 0x7f
	v_cmp_lt_u32_e32 vcc_lo, 0x7f800000, v8
	s_delay_alu instid0(VALU_DEP_2)
	v_cndmask_b32_e32 v3, 0x7c, v3, vcc_lo
; %bb.2710:
	s_or_b32 exec_lo, exec_lo, s2
	v_lshrrev_b32_e32 v2, 24, v2
	s_mov_b32 s2, 0
	s_delay_alu instid0(VALU_DEP_1)
	v_and_or_b32 v8, 0x80, v2, v3
	s_branch .LBB241_2714
.LBB241_2711:
	s_or_saveexec_b32 s6, s6
	v_mov_b32_e32 v2, 0x7f800001
	s_xor_b32 exec_lo, exec_lo, s6
	s_cbranch_execz .LBB241_2685
.LBB241_2712:
	v_cmp_ne_u16_e32 vcc_lo, 0, v3
	v_mov_b32_e32 v2, 0
	s_and_not1_b32 s2, s2, exec_lo
	s_and_b32 s7, vcc_lo, exec_lo
	s_delay_alu instid0(SALU_CYCLE_1)
	s_or_b32 s2, s2, s7
	s_or_b32 exec_lo, exec_lo, s6
	s_and_saveexec_b32 s6, s2
	s_cbranch_execnz .LBB241_2686
	s_branch .LBB241_2687
.LBB241_2713:
	s_mov_b32 s2, 0
.LBB241_2714:
	s_delay_alu instid0(SALU_CYCLE_1)
	s_and_not1_b32 vcc_lo, exec_lo, s2
	s_cbranch_vccnz .LBB241_2716
; %bb.2715:
	global_load_u8 v8, v[0:1], off
.LBB241_2716:
	s_mov_b32 s2, 0
	s_mov_b32 s6, -1
.LBB241_2717:
	s_and_not1_b32 vcc_lo, exec_lo, s2
	s_mov_b32 s2, 0
	s_cbranch_vccnz .LBB241_2733
; %bb.2718:
	s_cmp_gt_i32 s0, 14
	s_cbranch_scc0 .LBB241_2729
; %bb.2719:
	s_cmp_eq_u32 s0, 15
	s_cbranch_scc0 .LBB241_2730
; %bb.2720:
	global_load_u16 v2, v[0:1], off
	s_mov_b32 s1, exec_lo
                                        ; implicit-def: $vgpr3
	s_wait_loadcnt 0x0
	v_lshlrev_b32_e32 v8, 16, v2
	s_delay_alu instid0(VALU_DEP_1) | instskip(SKIP_1) | instid1(VALU_DEP_1)
	v_and_b32_e32 v9, 0x7fffffff, v8
	s_wait_xcnt 0x0
	v_cmpx_gt_u32_e32 0x47800000, v9
	s_xor_b32 s1, exec_lo, s1
	s_cbranch_execz .LBB241_2726
; %bb.2721:
	s_mov_b32 s2, exec_lo
                                        ; implicit-def: $vgpr3
	v_cmpx_lt_u32_e32 0x387fffff, v9
	s_xor_b32 s2, exec_lo, s2
; %bb.2722:
	v_bfe_u32 v3, v2, 5, 1
	s_delay_alu instid0(VALU_DEP_1) | instskip(NEXT) | instid1(VALU_DEP_1)
	v_add3_u32 v3, v8, v3, 0x80fffff
                                        ; implicit-def: $vgpr8
	v_lshrrev_b32_e32 v3, 21, v3
; %bb.2723:
	s_and_not1_saveexec_b32 s2, s2
; %bb.2724:
	v_add_f32_e64 v3, 0x43000000, |v8|
; %bb.2725:
	s_or_b32 exec_lo, exec_lo, s2
                                        ; implicit-def: $vgpr9
.LBB241_2726:
	s_and_not1_saveexec_b32 s1, s1
; %bb.2727:
	v_mov_b32_e32 v3, 0x7f
	v_cmp_lt_u32_e32 vcc_lo, 0x7f800000, v9
	s_delay_alu instid0(VALU_DEP_2)
	v_cndmask_b32_e32 v3, 0x7c, v3, vcc_lo
; %bb.2728:
	s_or_b32 exec_lo, exec_lo, s1
	v_lshrrev_b32_e32 v2, 8, v2
	s_mov_b32 s1, 0
	s_mov_b32 s6, -1
	s_mov_b32 s2, 0
	s_delay_alu instid0(VALU_DEP_1)
	v_and_or_b32 v8, 0x80, v2, v3
	s_branch .LBB241_2731
.LBB241_2729:
	s_mov_b32 s2, -1
                                        ; implicit-def: $vgpr8
	s_branch .LBB241_2731
.LBB241_2730:
	s_mov_b32 s1, -1
                                        ; implicit-def: $vgpr8
	s_mov_b32 s2, 0
.LBB241_2731:
	s_delay_alu instid0(SALU_CYCLE_1)
	s_and_b32 vcc_lo, exec_lo, s2
	s_mov_b32 s2, 0
	s_cbranch_vccz .LBB241_2733
; %bb.2732:
	s_cmp_lg_u32 s0, 11
	s_mov_b32 s2, -1
	s_cselect_b32 s1, -1, 0
.LBB241_2733:
	s_delay_alu instid0(SALU_CYCLE_1)
	s_and_b32 vcc_lo, exec_lo, s1
	s_cbranch_vccnz .LBB241_3361
; %bb.2734:
	s_and_not1_b32 vcc_lo, exec_lo, s2
	s_cbranch_vccnz .LBB241_2744
.LBB241_2735:
	global_load_u8 v2, v[0:1], off
	s_mov_b32 s1, exec_lo
                                        ; implicit-def: $vgpr8
	s_wait_loadcnt 0x0
	v_cmp_ne_u16_e32 vcc_lo, 0, v2
	v_cndmask_b32_e64 v2, 0, 1.0, vcc_lo
	s_wait_xcnt 0x0
	s_delay_alu instid0(VALU_DEP_1)
	v_cmpx_gt_u32_e32 0x47800000, v2
	s_xor_b32 s1, exec_lo, s1
	s_cbranch_execz .LBB241_2741
; %bb.2736:
	s_mov_b32 s2, exec_lo
                                        ; implicit-def: $vgpr8
	v_cmpx_lt_u32_e32 0x387fffff, v2
	s_xor_b32 s2, exec_lo, s2
; %bb.2737:
	v_bfe_u32 v3, v2, 21, 1
	s_delay_alu instid0(VALU_DEP_1) | instskip(NEXT) | instid1(VALU_DEP_1)
	v_add3_u32 v2, v2, v3, 0x80fffff
	v_lshrrev_b32_e32 v8, 21, v2
                                        ; implicit-def: $vgpr2
; %bb.2738:
	s_and_not1_saveexec_b32 s2, s2
; %bb.2739:
	v_add_f32_e32 v8, 0x43000000, v2
; %bb.2740:
	s_or_b32 exec_lo, exec_lo, s2
                                        ; implicit-def: $vgpr2
.LBB241_2741:
	s_and_not1_saveexec_b32 s1, s1
; %bb.2742:
	v_mov_b32_e32 v3, 0x7f
	v_cmp_lt_u32_e32 vcc_lo, 0x7f800000, v2
	s_delay_alu instid0(VALU_DEP_2)
	v_cndmask_b32_e32 v8, 0x7c, v3, vcc_lo
; %bb.2743:
	s_or_b32 exec_lo, exec_lo, s1
	s_mov_b32 s6, -1
.LBB241_2744:
	s_mov_b32 s1, 0
.LBB241_2745:
	s_delay_alu instid0(SALU_CYCLE_1)
	s_and_b32 vcc_lo, exec_lo, s1
	s_cbranch_vccz .LBB241_2882
; %bb.2746:
	s_cmp_lt_i32 s0, 5
	s_cbranch_scc1 .LBB241_2759
; %bb.2747:
	s_cmp_lt_i32 s0, 8
	s_cbranch_scc1 .LBB241_2760
	;; [unrolled: 3-line block ×3, first 2 shown]
; %bb.2749:
	s_cmp_gt_i32 s0, 9
	s_cbranch_scc0 .LBB241_2762
; %bb.2750:
	global_load_b64 v[2:3], v[0:1], off
	s_mov_b32 s1, exec_lo
	s_wait_loadcnt 0x0
	v_cvt_f32_f64_e32 v2, v[2:3]
                                        ; implicit-def: $vgpr3
	s_delay_alu instid0(VALU_DEP_1) | instskip(SKIP_1) | instid1(VALU_DEP_1)
	v_and_b32_e32 v8, 0x7fffffff, v2
	s_wait_xcnt 0x0
	v_cmpx_gt_u32_e32 0x47800000, v8
	s_xor_b32 s1, exec_lo, s1
	s_cbranch_execz .LBB241_2756
; %bb.2751:
	s_mov_b32 s2, exec_lo
                                        ; implicit-def: $vgpr3
	v_cmpx_lt_u32_e32 0x387fffff, v8
	s_xor_b32 s2, exec_lo, s2
; %bb.2752:
	v_bfe_u32 v3, v2, 21, 1
	s_delay_alu instid0(VALU_DEP_1) | instskip(NEXT) | instid1(VALU_DEP_1)
	v_add3_u32 v3, v2, v3, 0x80fffff
	v_lshrrev_b32_e32 v3, 21, v3
; %bb.2753:
	s_and_not1_saveexec_b32 s2, s2
; %bb.2754:
	v_add_f32_e64 v3, 0x43000000, |v2|
; %bb.2755:
	s_or_b32 exec_lo, exec_lo, s2
                                        ; implicit-def: $vgpr8
.LBB241_2756:
	s_and_not1_saveexec_b32 s1, s1
; %bb.2757:
	v_mov_b32_e32 v3, 0x7f
	v_cmp_lt_u32_e32 vcc_lo, 0x7f800000, v8
	s_delay_alu instid0(VALU_DEP_2)
	v_cndmask_b32_e32 v3, 0x7c, v3, vcc_lo
; %bb.2758:
	s_or_b32 exec_lo, exec_lo, s1
	v_lshrrev_b32_e32 v2, 24, v2
	s_mov_b32 s1, 0
	s_delay_alu instid0(VALU_DEP_1)
	v_and_or_b32 v8, 0x80, v2, v3
	s_branch .LBB241_2763
.LBB241_2759:
	s_mov_b32 s1, -1
                                        ; implicit-def: $vgpr8
	s_branch .LBB241_2821
.LBB241_2760:
	s_mov_b32 s1, -1
                                        ; implicit-def: $vgpr8
	s_branch .LBB241_2785
.LBB241_2761:
	s_mov_b32 s1, -1
                                        ; implicit-def: $vgpr8
	s_branch .LBB241_2774
.LBB241_2762:
	s_mov_b32 s1, -1
                                        ; implicit-def: $vgpr8
.LBB241_2763:
	s_delay_alu instid0(SALU_CYCLE_1)
	s_and_b32 vcc_lo, exec_lo, s1
	s_cbranch_vccz .LBB241_2773
; %bb.2764:
	global_load_b32 v2, v[0:1], off
	s_mov_b32 s1, exec_lo
                                        ; implicit-def: $vgpr3
	s_wait_loadcnt 0x0
	v_and_b32_e32 v8, 0x7fffffff, v2
	s_wait_xcnt 0x0
	s_delay_alu instid0(VALU_DEP_1)
	v_cmpx_gt_u32_e32 0x47800000, v8
	s_xor_b32 s1, exec_lo, s1
	s_cbranch_execz .LBB241_2770
; %bb.2765:
	s_mov_b32 s2, exec_lo
                                        ; implicit-def: $vgpr3
	v_cmpx_lt_u32_e32 0x387fffff, v8
	s_xor_b32 s2, exec_lo, s2
; %bb.2766:
	v_bfe_u32 v3, v2, 21, 1
	s_delay_alu instid0(VALU_DEP_1) | instskip(NEXT) | instid1(VALU_DEP_1)
	v_add3_u32 v3, v2, v3, 0x80fffff
	v_lshrrev_b32_e32 v3, 21, v3
; %bb.2767:
	s_and_not1_saveexec_b32 s2, s2
; %bb.2768:
	v_add_f32_e64 v3, 0x43000000, |v2|
; %bb.2769:
	s_or_b32 exec_lo, exec_lo, s2
                                        ; implicit-def: $vgpr8
.LBB241_2770:
	s_and_not1_saveexec_b32 s1, s1
; %bb.2771:
	v_mov_b32_e32 v3, 0x7f
	v_cmp_lt_u32_e32 vcc_lo, 0x7f800000, v8
	s_delay_alu instid0(VALU_DEP_2)
	v_cndmask_b32_e32 v3, 0x7c, v3, vcc_lo
; %bb.2772:
	s_or_b32 exec_lo, exec_lo, s1
	v_lshrrev_b32_e32 v2, 24, v2
	s_mov_b32 s1, 0
	s_delay_alu instid0(VALU_DEP_1)
	v_and_or_b32 v8, 0x80, v2, v3
	s_branch .LBB241_2774
.LBB241_2773:
	s_mov_b32 s1, 0
.LBB241_2774:
	s_delay_alu instid0(SALU_CYCLE_1)
	s_and_not1_b32 vcc_lo, exec_lo, s1
	s_cbranch_vccnz .LBB241_2784
; %bb.2775:
	global_load_b32 v2, v[0:1], off
	s_mov_b32 s1, exec_lo
                                        ; implicit-def: $vgpr3
	s_wait_loadcnt 0x0
	v_cvt_f32_f16_e32 v2, v2
	s_delay_alu instid0(VALU_DEP_1) | instskip(SKIP_1) | instid1(VALU_DEP_1)
	v_and_b32_e32 v8, 0x7fffffff, v2
	s_wait_xcnt 0x0
	v_cmpx_gt_u32_e32 0x47800000, v8
	s_xor_b32 s1, exec_lo, s1
	s_cbranch_execz .LBB241_2781
; %bb.2776:
	s_mov_b32 s2, exec_lo
                                        ; implicit-def: $vgpr3
	v_cmpx_lt_u32_e32 0x387fffff, v8
	s_xor_b32 s2, exec_lo, s2
; %bb.2777:
	v_bfe_u32 v3, v2, 21, 1
	s_delay_alu instid0(VALU_DEP_1) | instskip(NEXT) | instid1(VALU_DEP_1)
	v_add3_u32 v3, v2, v3, 0x80fffff
	v_lshrrev_b32_e32 v3, 21, v3
; %bb.2778:
	s_and_not1_saveexec_b32 s2, s2
; %bb.2779:
	v_add_f32_e64 v3, 0x43000000, |v2|
; %bb.2780:
	s_or_b32 exec_lo, exec_lo, s2
                                        ; implicit-def: $vgpr8
.LBB241_2781:
	s_and_not1_saveexec_b32 s1, s1
; %bb.2782:
	v_mov_b32_e32 v3, 0x7f
	v_cmp_lt_u32_e32 vcc_lo, 0x7f800000, v8
	s_delay_alu instid0(VALU_DEP_2)
	v_cndmask_b32_e32 v3, 0x7c, v3, vcc_lo
; %bb.2783:
	s_or_b32 exec_lo, exec_lo, s1
	v_lshrrev_b32_e32 v2, 24, v2
	s_delay_alu instid0(VALU_DEP_1)
	v_and_or_b32 v8, 0x80, v2, v3
.LBB241_2784:
	s_mov_b32 s1, 0
.LBB241_2785:
	s_delay_alu instid0(SALU_CYCLE_1)
	s_and_not1_b32 vcc_lo, exec_lo, s1
	s_cbranch_vccnz .LBB241_2820
; %bb.2786:
	s_cmp_lt_i32 s0, 6
	s_cbranch_scc1 .LBB241_2797
; %bb.2787:
	s_cmp_gt_i32 s0, 6
	s_cbranch_scc0 .LBB241_2798
; %bb.2788:
	global_load_b64 v[2:3], v[0:1], off
	s_mov_b32 s1, exec_lo
	s_wait_loadcnt 0x0
	v_cvt_f32_f64_e32 v2, v[2:3]
                                        ; implicit-def: $vgpr3
	s_delay_alu instid0(VALU_DEP_1) | instskip(SKIP_1) | instid1(VALU_DEP_1)
	v_and_b32_e32 v8, 0x7fffffff, v2
	s_wait_xcnt 0x0
	v_cmpx_gt_u32_e32 0x47800000, v8
	s_xor_b32 s1, exec_lo, s1
	s_cbranch_execz .LBB241_2794
; %bb.2789:
	s_mov_b32 s2, exec_lo
                                        ; implicit-def: $vgpr3
	v_cmpx_lt_u32_e32 0x387fffff, v8
	s_xor_b32 s2, exec_lo, s2
; %bb.2790:
	v_bfe_u32 v3, v2, 21, 1
	s_delay_alu instid0(VALU_DEP_1) | instskip(NEXT) | instid1(VALU_DEP_1)
	v_add3_u32 v3, v2, v3, 0x80fffff
	v_lshrrev_b32_e32 v3, 21, v3
; %bb.2791:
	s_and_not1_saveexec_b32 s2, s2
; %bb.2792:
	v_add_f32_e64 v3, 0x43000000, |v2|
; %bb.2793:
	s_or_b32 exec_lo, exec_lo, s2
                                        ; implicit-def: $vgpr8
.LBB241_2794:
	s_and_not1_saveexec_b32 s1, s1
; %bb.2795:
	v_mov_b32_e32 v3, 0x7f
	v_cmp_lt_u32_e32 vcc_lo, 0x7f800000, v8
	s_delay_alu instid0(VALU_DEP_2)
	v_cndmask_b32_e32 v3, 0x7c, v3, vcc_lo
; %bb.2796:
	s_or_b32 exec_lo, exec_lo, s1
	v_lshrrev_b32_e32 v2, 24, v2
	s_mov_b32 s1, 0
	s_delay_alu instid0(VALU_DEP_1)
	v_and_or_b32 v8, 0x80, v2, v3
	s_branch .LBB241_2799
.LBB241_2797:
	s_mov_b32 s1, -1
                                        ; implicit-def: $vgpr8
	s_branch .LBB241_2810
.LBB241_2798:
	s_mov_b32 s1, -1
                                        ; implicit-def: $vgpr8
.LBB241_2799:
	s_delay_alu instid0(SALU_CYCLE_1)
	s_and_b32 vcc_lo, exec_lo, s1
	s_cbranch_vccz .LBB241_2809
; %bb.2800:
	global_load_b32 v2, v[0:1], off
	s_mov_b32 s1, exec_lo
                                        ; implicit-def: $vgpr3
	s_wait_loadcnt 0x0
	v_and_b32_e32 v8, 0x7fffffff, v2
	s_wait_xcnt 0x0
	s_delay_alu instid0(VALU_DEP_1)
	v_cmpx_gt_u32_e32 0x47800000, v8
	s_xor_b32 s1, exec_lo, s1
	s_cbranch_execz .LBB241_2806
; %bb.2801:
	s_mov_b32 s2, exec_lo
                                        ; implicit-def: $vgpr3
	v_cmpx_lt_u32_e32 0x387fffff, v8
	s_xor_b32 s2, exec_lo, s2
; %bb.2802:
	v_bfe_u32 v3, v2, 21, 1
	s_delay_alu instid0(VALU_DEP_1) | instskip(NEXT) | instid1(VALU_DEP_1)
	v_add3_u32 v3, v2, v3, 0x80fffff
	v_lshrrev_b32_e32 v3, 21, v3
; %bb.2803:
	s_and_not1_saveexec_b32 s2, s2
; %bb.2804:
	v_add_f32_e64 v3, 0x43000000, |v2|
; %bb.2805:
	s_or_b32 exec_lo, exec_lo, s2
                                        ; implicit-def: $vgpr8
.LBB241_2806:
	s_and_not1_saveexec_b32 s1, s1
; %bb.2807:
	v_mov_b32_e32 v3, 0x7f
	v_cmp_lt_u32_e32 vcc_lo, 0x7f800000, v8
	s_delay_alu instid0(VALU_DEP_2)
	v_cndmask_b32_e32 v3, 0x7c, v3, vcc_lo
; %bb.2808:
	s_or_b32 exec_lo, exec_lo, s1
	v_lshrrev_b32_e32 v2, 24, v2
	s_mov_b32 s1, 0
	s_delay_alu instid0(VALU_DEP_1)
	v_and_or_b32 v8, 0x80, v2, v3
	s_branch .LBB241_2810
.LBB241_2809:
	s_mov_b32 s1, 0
.LBB241_2810:
	s_delay_alu instid0(SALU_CYCLE_1)
	s_and_not1_b32 vcc_lo, exec_lo, s1
	s_cbranch_vccnz .LBB241_2820
; %bb.2811:
	global_load_u16 v2, v[0:1], off
	s_mov_b32 s1, exec_lo
                                        ; implicit-def: $vgpr3
	s_wait_loadcnt 0x0
	v_cvt_f32_f16_e32 v2, v2
	s_delay_alu instid0(VALU_DEP_1) | instskip(SKIP_1) | instid1(VALU_DEP_1)
	v_and_b32_e32 v8, 0x7fffffff, v2
	s_wait_xcnt 0x0
	v_cmpx_gt_u32_e32 0x47800000, v8
	s_xor_b32 s1, exec_lo, s1
	s_cbranch_execz .LBB241_2817
; %bb.2812:
	s_mov_b32 s2, exec_lo
                                        ; implicit-def: $vgpr3
	v_cmpx_lt_u32_e32 0x387fffff, v8
	s_xor_b32 s2, exec_lo, s2
; %bb.2813:
	v_bfe_u32 v3, v2, 21, 1
	s_delay_alu instid0(VALU_DEP_1) | instskip(NEXT) | instid1(VALU_DEP_1)
	v_add3_u32 v3, v2, v3, 0x80fffff
	v_lshrrev_b32_e32 v3, 21, v3
; %bb.2814:
	s_and_not1_saveexec_b32 s2, s2
; %bb.2815:
	v_add_f32_e64 v3, 0x43000000, |v2|
; %bb.2816:
	s_or_b32 exec_lo, exec_lo, s2
                                        ; implicit-def: $vgpr8
.LBB241_2817:
	s_and_not1_saveexec_b32 s1, s1
; %bb.2818:
	v_mov_b32_e32 v3, 0x7f
	v_cmp_lt_u32_e32 vcc_lo, 0x7f800000, v8
	s_delay_alu instid0(VALU_DEP_2)
	v_cndmask_b32_e32 v3, 0x7c, v3, vcc_lo
; %bb.2819:
	s_or_b32 exec_lo, exec_lo, s1
	v_lshrrev_b32_e32 v2, 24, v2
	s_delay_alu instid0(VALU_DEP_1)
	v_and_or_b32 v8, 0x80, v2, v3
.LBB241_2820:
	s_mov_b32 s1, 0
.LBB241_2821:
	s_delay_alu instid0(SALU_CYCLE_1)
	s_and_not1_b32 vcc_lo, exec_lo, s1
	s_cbranch_vccnz .LBB241_2881
; %bb.2822:
	s_cmp_lt_i32 s0, 2
	s_cbranch_scc1 .LBB241_2834
; %bb.2823:
	s_cmp_lt_i32 s0, 3
	s_cbranch_scc1 .LBB241_2835
; %bb.2824:
	s_cmp_gt_i32 s0, 3
	s_cbranch_scc0 .LBB241_2836
; %bb.2825:
	global_load_b64 v[2:3], v[0:1], off
	s_mov_b32 s1, exec_lo
	s_wait_loadcnt 0x0
	v_xor_b32_e32 v8, v2, v3
	v_cls_i32_e32 v9, v3
	s_delay_alu instid0(VALU_DEP_2) | instskip(NEXT) | instid1(VALU_DEP_1)
	v_ashrrev_i32_e32 v8, 31, v8
	v_add_nc_u32_e32 v8, 32, v8
	s_delay_alu instid0(VALU_DEP_1) | instskip(NEXT) | instid1(VALU_DEP_1)
	v_add_min_u32_e64 v8, v9, -1, v8
	v_lshlrev_b64_e32 v[2:3], v8, v[2:3]
	s_delay_alu instid0(VALU_DEP_1) | instskip(NEXT) | instid1(VALU_DEP_1)
	v_min_u32_e32 v2, 1, v2
	v_dual_sub_nc_u32 v3, 32, v8 :: v_dual_bitop2_b32 v2, v3, v2 bitop3:0x54
	s_delay_alu instid0(VALU_DEP_1) | instskip(NEXT) | instid1(VALU_DEP_1)
	v_cvt_f32_i32_e32 v2, v2
	v_ldexp_f32 v2, v2, v3
                                        ; implicit-def: $vgpr3
	s_delay_alu instid0(VALU_DEP_1) | instskip(SKIP_1) | instid1(VALU_DEP_1)
	v_and_b32_e32 v8, 0x7fffffff, v2
	s_wait_xcnt 0x0
	v_cmpx_gt_u32_e32 0x47800000, v8
	s_xor_b32 s1, exec_lo, s1
	s_cbranch_execz .LBB241_2831
; %bb.2826:
	s_mov_b32 s2, exec_lo
                                        ; implicit-def: $vgpr3
	v_cmpx_lt_u32_e32 0x387fffff, v8
	s_xor_b32 s2, exec_lo, s2
; %bb.2827:
	v_bfe_u32 v3, v2, 21, 1
	s_delay_alu instid0(VALU_DEP_1) | instskip(NEXT) | instid1(VALU_DEP_1)
	v_add3_u32 v3, v2, v3, 0x80fffff
	v_lshrrev_b32_e32 v3, 21, v3
; %bb.2828:
	s_and_not1_saveexec_b32 s2, s2
; %bb.2829:
	v_add_f32_e64 v3, 0x43000000, |v2|
; %bb.2830:
	s_or_b32 exec_lo, exec_lo, s2
                                        ; implicit-def: $vgpr8
.LBB241_2831:
	s_and_not1_saveexec_b32 s1, s1
; %bb.2832:
	v_mov_b32_e32 v3, 0x7f
	v_cmp_lt_u32_e32 vcc_lo, 0x7f800000, v8
	s_delay_alu instid0(VALU_DEP_2)
	v_cndmask_b32_e32 v3, 0x7c, v3, vcc_lo
; %bb.2833:
	s_or_b32 exec_lo, exec_lo, s1
	v_lshrrev_b32_e32 v2, 24, v2
	s_mov_b32 s1, 0
	s_delay_alu instid0(VALU_DEP_1)
	v_and_or_b32 v8, 0x80, v2, v3
	s_branch .LBB241_2837
.LBB241_2834:
	s_mov_b32 s1, -1
                                        ; implicit-def: $vgpr8
	s_branch .LBB241_2859
.LBB241_2835:
	s_mov_b32 s1, -1
                                        ; implicit-def: $vgpr8
	s_branch .LBB241_2848
.LBB241_2836:
	s_mov_b32 s1, -1
                                        ; implicit-def: $vgpr8
.LBB241_2837:
	s_delay_alu instid0(SALU_CYCLE_1)
	s_and_b32 vcc_lo, exec_lo, s1
	s_cbranch_vccz .LBB241_2847
; %bb.2838:
	global_load_b32 v2, v[0:1], off
	s_mov_b32 s1, exec_lo
                                        ; implicit-def: $vgpr3
	s_wait_loadcnt 0x0
	v_cvt_f32_i32_e32 v2, v2
	s_delay_alu instid0(VALU_DEP_1) | instskip(SKIP_1) | instid1(VALU_DEP_1)
	v_and_b32_e32 v8, 0x7fffffff, v2
	s_wait_xcnt 0x0
	v_cmpx_gt_u32_e32 0x47800000, v8
	s_xor_b32 s1, exec_lo, s1
	s_cbranch_execz .LBB241_2844
; %bb.2839:
	s_mov_b32 s2, exec_lo
                                        ; implicit-def: $vgpr3
	v_cmpx_lt_u32_e32 0x387fffff, v8
	s_xor_b32 s2, exec_lo, s2
; %bb.2840:
	v_bfe_u32 v3, v2, 21, 1
	s_delay_alu instid0(VALU_DEP_1) | instskip(NEXT) | instid1(VALU_DEP_1)
	v_add3_u32 v3, v2, v3, 0x80fffff
	v_lshrrev_b32_e32 v3, 21, v3
; %bb.2841:
	s_and_not1_saveexec_b32 s2, s2
; %bb.2842:
	v_add_f32_e64 v3, 0x43000000, |v2|
; %bb.2843:
	s_or_b32 exec_lo, exec_lo, s2
                                        ; implicit-def: $vgpr8
.LBB241_2844:
	s_and_not1_saveexec_b32 s1, s1
; %bb.2845:
	v_mov_b32_e32 v3, 0x7f
	v_cmp_lt_u32_e32 vcc_lo, 0x7f800000, v8
	s_delay_alu instid0(VALU_DEP_2)
	v_cndmask_b32_e32 v3, 0x7c, v3, vcc_lo
; %bb.2846:
	s_or_b32 exec_lo, exec_lo, s1
	v_lshrrev_b32_e32 v2, 24, v2
	s_mov_b32 s1, 0
	s_delay_alu instid0(VALU_DEP_1)
	v_and_or_b32 v8, 0x80, v2, v3
	s_branch .LBB241_2848
.LBB241_2847:
	s_mov_b32 s1, 0
.LBB241_2848:
	s_delay_alu instid0(SALU_CYCLE_1)
	s_and_not1_b32 vcc_lo, exec_lo, s1
	s_cbranch_vccnz .LBB241_2858
; %bb.2849:
	global_load_i16 v2, v[0:1], off
	s_mov_b32 s1, exec_lo
                                        ; implicit-def: $vgpr3
	s_wait_loadcnt 0x0
	v_cvt_f32_i32_e32 v2, v2
	s_delay_alu instid0(VALU_DEP_1) | instskip(SKIP_1) | instid1(VALU_DEP_1)
	v_and_b32_e32 v8, 0x7fffffff, v2
	s_wait_xcnt 0x0
	v_cmpx_gt_u32_e32 0x47800000, v8
	s_xor_b32 s1, exec_lo, s1
	s_cbranch_execz .LBB241_2855
; %bb.2850:
	s_mov_b32 s2, exec_lo
                                        ; implicit-def: $vgpr3
	v_cmpx_lt_u32_e32 0x387fffff, v8
	s_xor_b32 s2, exec_lo, s2
; %bb.2851:
	v_bfe_u32 v3, v2, 21, 1
	s_delay_alu instid0(VALU_DEP_1) | instskip(NEXT) | instid1(VALU_DEP_1)
	v_add3_u32 v3, v2, v3, 0x80fffff
	v_lshrrev_b32_e32 v3, 21, v3
; %bb.2852:
	s_and_not1_saveexec_b32 s2, s2
; %bb.2853:
	v_add_f32_e64 v3, 0x43000000, |v2|
; %bb.2854:
	s_or_b32 exec_lo, exec_lo, s2
                                        ; implicit-def: $vgpr8
.LBB241_2855:
	s_and_not1_saveexec_b32 s1, s1
; %bb.2856:
	v_mov_b32_e32 v3, 0x7f
	v_cmp_lt_u32_e32 vcc_lo, 0x7f800000, v8
	s_delay_alu instid0(VALU_DEP_2)
	v_cndmask_b32_e32 v3, 0x7c, v3, vcc_lo
; %bb.2857:
	s_or_b32 exec_lo, exec_lo, s1
	v_lshrrev_b32_e32 v2, 24, v2
	s_delay_alu instid0(VALU_DEP_1)
	v_and_or_b32 v8, 0x80, v2, v3
.LBB241_2858:
	s_mov_b32 s1, 0
.LBB241_2859:
	s_delay_alu instid0(SALU_CYCLE_1)
	s_and_not1_b32 vcc_lo, exec_lo, s1
	s_cbranch_vccnz .LBB241_2881
; %bb.2860:
	s_cmp_gt_i32 s0, 0
	s_cbranch_scc0 .LBB241_2870
; %bb.2861:
	global_load_i8 v2, v[0:1], off
	s_mov_b32 s0, exec_lo
                                        ; implicit-def: $vgpr3
	s_wait_loadcnt 0x0
	v_cvt_f32_i32_e32 v2, v2
	s_delay_alu instid0(VALU_DEP_1) | instskip(SKIP_1) | instid1(VALU_DEP_1)
	v_and_b32_e32 v8, 0x7fffffff, v2
	s_wait_xcnt 0x0
	v_cmpx_gt_u32_e32 0x47800000, v8
	s_xor_b32 s0, exec_lo, s0
	s_cbranch_execz .LBB241_2867
; %bb.2862:
	s_mov_b32 s1, exec_lo
                                        ; implicit-def: $vgpr3
	v_cmpx_lt_u32_e32 0x387fffff, v8
	s_xor_b32 s1, exec_lo, s1
; %bb.2863:
	v_bfe_u32 v3, v2, 21, 1
	s_delay_alu instid0(VALU_DEP_1) | instskip(NEXT) | instid1(VALU_DEP_1)
	v_add3_u32 v3, v2, v3, 0x80fffff
	v_lshrrev_b32_e32 v3, 21, v3
; %bb.2864:
	s_and_not1_saveexec_b32 s1, s1
; %bb.2865:
	v_add_f32_e64 v3, 0x43000000, |v2|
; %bb.2866:
	s_or_b32 exec_lo, exec_lo, s1
                                        ; implicit-def: $vgpr8
.LBB241_2867:
	s_and_not1_saveexec_b32 s0, s0
; %bb.2868:
	v_mov_b32_e32 v3, 0x7f
	v_cmp_lt_u32_e32 vcc_lo, 0x7f800000, v8
	s_delay_alu instid0(VALU_DEP_2)
	v_cndmask_b32_e32 v3, 0x7c, v3, vcc_lo
; %bb.2869:
	s_or_b32 exec_lo, exec_lo, s0
	v_lshrrev_b32_e32 v2, 24, v2
	s_mov_b32 s0, 0
	s_delay_alu instid0(VALU_DEP_1)
	v_and_or_b32 v8, 0x80, v2, v3
	s_branch .LBB241_2871
.LBB241_2870:
	s_mov_b32 s0, -1
                                        ; implicit-def: $vgpr8
.LBB241_2871:
	s_delay_alu instid0(SALU_CYCLE_1)
	s_and_b32 vcc_lo, exec_lo, s0
	s_cbranch_vccz .LBB241_2881
; %bb.2872:
	global_load_u8 v0, v[0:1], off
	s_mov_b32 s0, exec_lo
                                        ; implicit-def: $vgpr8
	s_wait_loadcnt 0x0
	v_cvt_f32_ubyte0_e32 v0, v0
	s_delay_alu instid0(VALU_DEP_1)
	v_cmpx_gt_u32_e32 0x47800000, v0
	s_xor_b32 s0, exec_lo, s0
	s_cbranch_execz .LBB241_2878
; %bb.2873:
	s_mov_b32 s1, exec_lo
                                        ; implicit-def: $vgpr8
	v_cmpx_lt_u32_e32 0x387fffff, v0
	s_xor_b32 s1, exec_lo, s1
; %bb.2874:
	v_bfe_u32 v1, v0, 21, 1
	s_delay_alu instid0(VALU_DEP_1) | instskip(NEXT) | instid1(VALU_DEP_1)
	v_add3_u32 v0, v0, v1, 0x80fffff
	v_lshrrev_b32_e32 v8, 21, v0
                                        ; implicit-def: $vgpr0
; %bb.2875:
	s_and_not1_saveexec_b32 s1, s1
; %bb.2876:
	v_add_f32_e32 v8, 0x43000000, v0
; %bb.2877:
	s_or_b32 exec_lo, exec_lo, s1
                                        ; implicit-def: $vgpr0
.LBB241_2878:
	s_and_not1_saveexec_b32 s0, s0
; %bb.2879:
	v_mov_b32_e32 v1, 0x7f
	v_cmp_lt_u32_e32 vcc_lo, 0x7f800000, v0
	s_delay_alu instid0(VALU_DEP_2)
	v_cndmask_b32_e32 v8, 0x7c, v1, vcc_lo
; %bb.2880:
	s_or_b32 exec_lo, exec_lo, s0
.LBB241_2881:
	s_mov_b32 s6, -1
.LBB241_2882:
	s_delay_alu instid0(SALU_CYCLE_1)
	s_and_not1_b32 vcc_lo, exec_lo, s6
	s_cbranch_vccnz .LBB241_3315
; %bb.2883:
	s_wait_loadcnt 0x0
	v_perm_b32 v0, v5, s11, 0x5040100
	s_movk_i32 s2, 0x7f00
	s_cmp_eq_u32 s10, 0
	s_mov_b32 s7, 0
	s_cselect_b32 s0, -1, 0
	v_pk_lshlrev_b16 v9, 8, v0 op_sel_hi:[0,1]
	s_lshl_b32 s1, s11, 25
	s_delay_alu instid0(SALU_CYCLE_1) | instskip(SKIP_1) | instid1(VALU_DEP_1)
	s_lshr_b32 s6, s1, 4
	s_cmp_lt_u32 s1, 0x8000000
	v_and_b32_e32 v0, 0x7f007f00, v9
	v_lshlrev_b32_e32 v5, 25, v5
	v_bitop3_b32 v2, v9, s2, 0x7f007f00 bitop3:0x80
	s_mov_b32 s2, 0x7800000
	s_delay_alu instid0(VALU_DEP_3) | instskip(NEXT) | instid1(VALU_DEP_2)
	v_dual_ashrrev_i32 v10, 16, v9 :: v_dual_lshrrev_b32 v3, 16, v0
	v_dual_lshrrev_b32 v1, 4, v5 :: v_dual_bitop2_b32 v2, 0.5, v2 bitop3:0x54
	v_or_b32_e64 v0, 0x70000000, s6
	v_cmp_gt_u32_e32 vcc_lo, 0x8000000, v5
	s_delay_alu instid0(VALU_DEP_4) | instskip(NEXT) | instid1(VALU_DEP_4)
	v_or_b32_e32 v3, 0.5, v3
	v_or_b32_e32 v1, 0x70000000, v1
	v_bfe_i32 v9, v9, 0, 16
	v_and_b32_e32 v10, 0x80000000, v10
	s_delay_alu instid0(VALU_DEP_4) | instskip(NEXT) | instid1(VALU_DEP_4)
	v_pk_add_f32 v[2:3], v[2:3], -0.5 op_sel_hi:[1,0]
	v_pk_mul_f32 v[0:1], v[0:1], s[2:3] op_sel_hi:[1,0]
	s_delay_alu instid0(VALU_DEP_4) | instskip(SKIP_1) | instid1(VALU_DEP_2)
	v_and_b32_e32 v9, 0x80000000, v9
	s_mov_b32 s2, -1
	v_cndmask_b32_e32 v1, v1, v3, vcc_lo
	s_cselect_b32 vcc_lo, -1, 0
	s_and_b32 s16, s3, 0xff
	v_cndmask_b32_e32 v0, v0, v2, vcc_lo
	s_cmp_lt_i32 s16, 11
	v_or_b32_e32 v1, v10, v1
	s_delay_alu instid0(VALU_DEP_2) | instskip(SKIP_1) | instid1(VALU_DEP_2)
	v_or_b32_e32 v5, v9, v0
	v_mul_lo_u32 v0, s8, v4
	v_cmp_eq_f32_e32 vcc_lo, v5, v1
	v_cndmask_b32_e64 v2, 0, 1, vcc_lo
	v_cmp_neq_f32_e32 vcc_lo, v5, v1
	v_cndmask_b32_e64 v1, 0, 1, vcc_lo
	s_delay_alu instid0(VALU_DEP_1) | instskip(NEXT) | instid1(VALU_DEP_1)
	v_dual_cndmask_b32 v2, v1, v2, s0 :: v_dual_ashrrev_i32 v1, 31, v0
	v_and_b32_e32 v4, 1, v2
	s_delay_alu instid0(VALU_DEP_2) | instskip(NEXT) | instid1(VALU_DEP_2)
	v_add_nc_u64_e32 v[2:3], s[4:5], v[0:1]
	v_cmp_eq_u32_e64 s1, 1, v4
	s_cbranch_scc1 .LBB241_2962
; %bb.2884:
	s_and_b32 s3, 0xffff, s16
	s_mov_b32 s9, -1
	s_mov_b32 s6, 0
	s_cmp_gt_i32 s3, 25
	s_mov_b32 s2, 0
	s_cbranch_scc0 .LBB241_2917
; %bb.2885:
	s_cmp_gt_i32 s3, 28
	s_cbranch_scc0 .LBB241_2900
; %bb.2886:
	s_cmp_gt_i32 s3, 43
	s_cbranch_scc0 .LBB241_2896
; %bb.2887:
	s_cmp_gt_i32 s3, 45
	s_cbranch_scc0 .LBB241_2890
; %bb.2888:
	s_mov_b32 s2, -1
	s_mov_b32 s9, 0
	s_cmp_eq_u32 s3, 46
	s_cbranch_scc0 .LBB241_2890
; %bb.2889:
	v_cndmask_b32_e64 v1, 0, 1.0, s1
	s_mov_b32 s2, 0
	s_mov_b32 s7, -1
	s_delay_alu instid0(VALU_DEP_1) | instskip(NEXT) | instid1(VALU_DEP_1)
	v_bfe_u32 v4, v1, 16, 1
	v_add3_u32 v1, v1, v4, 0x7fff
	s_delay_alu instid0(VALU_DEP_1)
	v_lshrrev_b32_e32 v1, 16, v1
	global_store_b32 v[2:3], v1, off
.LBB241_2890:
	s_and_b32 vcc_lo, exec_lo, s9
	s_cbranch_vccz .LBB241_2895
; %bb.2891:
	s_cmp_eq_u32 s3, 44
	s_mov_b32 s2, -1
	s_cbranch_scc0 .LBB241_2895
; %bb.2892:
	v_cndmask_b32_e64 v9, 0, 1.0, s1
	s_mov_b32 s7, exec_lo
	s_wait_xcnt 0x0
	s_delay_alu instid0(VALU_DEP_1) | instskip(NEXT) | instid1(VALU_DEP_1)
	v_dual_mov_b32 v4, 0xff :: v_dual_lshrrev_b32 v1, 23, v9
	v_cmpx_ne_u32_e32 0xff, v1
; %bb.2893:
	v_and_b32_e32 v4, 0x400000, v9
	v_and_or_b32 v9, 0x3fffff, v9, v1
	s_delay_alu instid0(VALU_DEP_2) | instskip(NEXT) | instid1(VALU_DEP_2)
	v_cmp_ne_u32_e32 vcc_lo, 0, v4
	v_cmp_ne_u32_e64 s2, 0, v9
	s_and_b32 s2, vcc_lo, s2
	s_delay_alu instid0(SALU_CYCLE_1) | instskip(NEXT) | instid1(VALU_DEP_1)
	v_cndmask_b32_e64 v4, 0, 1, s2
	v_add_nc_u32_e32 v4, v1, v4
; %bb.2894:
	s_or_b32 exec_lo, exec_lo, s7
	s_mov_b32 s2, 0
	s_mov_b32 s7, -1
	global_store_b8 v[2:3], v4, off
.LBB241_2895:
	s_mov_b32 s9, 0
.LBB241_2896:
	s_delay_alu instid0(SALU_CYCLE_1)
	s_and_b32 vcc_lo, exec_lo, s9
	s_cbranch_vccz .LBB241_2899
; %bb.2897:
	s_cmp_eq_u32 s3, 29
	s_mov_b32 s2, -1
	s_cbranch_scc0 .LBB241_2899
; %bb.2898:
	s_mov_b32 s2, 0
	v_cndmask_b32_e64 v10, 0, 1, s1
	v_mov_b32_e32 v11, s2
	s_mov_b32 s7, -1
	global_store_b64 v[2:3], v[10:11], off
.LBB241_2899:
	s_mov_b32 s9, 0
.LBB241_2900:
	s_delay_alu instid0(SALU_CYCLE_1)
	s_and_b32 vcc_lo, exec_lo, s9
	s_cbranch_vccz .LBB241_2916
; %bb.2901:
	s_cmp_lt_i32 s3, 27
	s_mov_b32 s7, -1
	s_cbranch_scc1 .LBB241_2907
; %bb.2902:
	s_cmp_gt_i32 s3, 27
	s_cbranch_scc0 .LBB241_2904
; %bb.2903:
	s_wait_xcnt 0x0
	v_cndmask_b32_e64 v1, 0, 1, s1
	s_mov_b32 s7, 0
	global_store_b32 v[2:3], v1, off
.LBB241_2904:
	s_and_not1_b32 vcc_lo, exec_lo, s7
	s_cbranch_vccnz .LBB241_2906
; %bb.2905:
	s_wait_xcnt 0x0
	v_cndmask_b32_e64 v1, 0, 1, s1
	global_store_b16 v[2:3], v1, off
.LBB241_2906:
	s_mov_b32 s7, 0
.LBB241_2907:
	s_delay_alu instid0(SALU_CYCLE_1)
	s_and_not1_b32 vcc_lo, exec_lo, s7
	s_cbranch_vccnz .LBB241_2915
; %bb.2908:
	s_wait_xcnt 0x0
	v_cndmask_b32_e64 v4, 0, 1.0, s1
	v_mov_b32_e32 v9, 0x80
	s_mov_b32 s7, exec_lo
	s_delay_alu instid0(VALU_DEP_2)
	v_cmpx_gt_u32_e32 0x43800000, v4
	s_cbranch_execz .LBB241_2914
; %bb.2909:
	s_mov_b32 s9, 0
	s_mov_b32 s10, exec_lo
                                        ; implicit-def: $vgpr1
	v_cmpx_lt_u32_e32 0x3bffffff, v4
	s_xor_b32 s10, exec_lo, s10
	s_cbranch_execz .LBB241_3362
; %bb.2910:
	v_bfe_u32 v1, v4, 20, 1
	s_mov_b32 s9, exec_lo
	s_delay_alu instid0(VALU_DEP_1) | instskip(NEXT) | instid1(VALU_DEP_1)
	v_add3_u32 v1, v4, v1, 0x487ffff
                                        ; implicit-def: $vgpr4
	v_lshrrev_b32_e32 v1, 20, v1
	s_and_not1_saveexec_b32 s10, s10
	s_cbranch_execnz .LBB241_3363
.LBB241_2911:
	s_or_b32 exec_lo, exec_lo, s10
	v_mov_b32_e32 v9, 0
	s_and_saveexec_b32 s10, s9
.LBB241_2912:
	v_mov_b32_e32 v9, v1
.LBB241_2913:
	s_or_b32 exec_lo, exec_lo, s10
.LBB241_2914:
	s_delay_alu instid0(SALU_CYCLE_1)
	s_or_b32 exec_lo, exec_lo, s7
	global_store_b8 v[2:3], v9, off
.LBB241_2915:
	s_mov_b32 s7, -1
.LBB241_2916:
	s_mov_b32 s9, 0
.LBB241_2917:
	s_delay_alu instid0(SALU_CYCLE_1)
	s_and_b32 vcc_lo, exec_lo, s9
	s_cbranch_vccz .LBB241_2957
; %bb.2918:
	s_cmp_gt_i32 s3, 22
	s_mov_b32 s6, -1
	s_cbranch_scc0 .LBB241_2950
; %bb.2919:
	s_cmp_lt_i32 s3, 24
	s_cbranch_scc1 .LBB241_2939
; %bb.2920:
	s_cmp_gt_i32 s3, 24
	s_cbranch_scc0 .LBB241_2928
; %bb.2921:
	s_wait_xcnt 0x0
	v_cndmask_b32_e64 v4, 0, 1.0, s1
	v_mov_b32_e32 v9, 0x80
	s_mov_b32 s6, exec_lo
	s_delay_alu instid0(VALU_DEP_2)
	v_cmpx_gt_u32_e32 0x47800000, v4
	s_cbranch_execz .LBB241_2927
; %bb.2922:
	s_mov_b32 s7, 0
	s_mov_b32 s9, exec_lo
                                        ; implicit-def: $vgpr1
	v_cmpx_lt_u32_e32 0x37ffffff, v4
	s_xor_b32 s9, exec_lo, s9
	s_cbranch_execz .LBB241_3365
; %bb.2923:
	v_bfe_u32 v1, v4, 21, 1
	s_mov_b32 s7, exec_lo
	s_delay_alu instid0(VALU_DEP_1) | instskip(NEXT) | instid1(VALU_DEP_1)
	v_add3_u32 v1, v4, v1, 0x88fffff
                                        ; implicit-def: $vgpr4
	v_lshrrev_b32_e32 v1, 21, v1
	s_and_not1_saveexec_b32 s9, s9
	s_cbranch_execnz .LBB241_3366
.LBB241_2924:
	s_or_b32 exec_lo, exec_lo, s9
	v_mov_b32_e32 v9, 0
	s_and_saveexec_b32 s9, s7
.LBB241_2925:
	v_mov_b32_e32 v9, v1
.LBB241_2926:
	s_or_b32 exec_lo, exec_lo, s9
.LBB241_2927:
	s_delay_alu instid0(SALU_CYCLE_1)
	s_or_b32 exec_lo, exec_lo, s6
	s_mov_b32 s6, 0
	global_store_b8 v[2:3], v9, off
.LBB241_2928:
	s_and_b32 vcc_lo, exec_lo, s6
	s_cbranch_vccz .LBB241_2938
; %bb.2929:
	s_wait_xcnt 0x0
	v_cndmask_b32_e64 v4, 0, 1.0, s1
	s_mov_b32 s6, exec_lo
                                        ; implicit-def: $vgpr1
	s_delay_alu instid0(VALU_DEP_1)
	v_cmpx_gt_u32_e32 0x43f00000, v4
	s_xor_b32 s6, exec_lo, s6
	s_cbranch_execz .LBB241_2935
; %bb.2930:
	s_mov_b32 s7, exec_lo
                                        ; implicit-def: $vgpr1
	v_cmpx_lt_u32_e32 0x3c7fffff, v4
	s_xor_b32 s7, exec_lo, s7
; %bb.2931:
	v_bfe_u32 v1, v4, 20, 1
	s_delay_alu instid0(VALU_DEP_1) | instskip(NEXT) | instid1(VALU_DEP_1)
	v_add3_u32 v1, v4, v1, 0x407ffff
	v_and_b32_e32 v4, 0xff00000, v1
	v_lshrrev_b32_e32 v1, 20, v1
	s_delay_alu instid0(VALU_DEP_2) | instskip(NEXT) | instid1(VALU_DEP_2)
	v_cmp_ne_u32_e32 vcc_lo, 0x7f00000, v4
                                        ; implicit-def: $vgpr4
	v_cndmask_b32_e32 v1, 0x7e, v1, vcc_lo
; %bb.2932:
	s_and_not1_saveexec_b32 s7, s7
; %bb.2933:
	v_add_f32_e32 v1, 0x46800000, v4
; %bb.2934:
	s_or_b32 exec_lo, exec_lo, s7
                                        ; implicit-def: $vgpr4
.LBB241_2935:
	s_and_not1_saveexec_b32 s6, s6
; %bb.2936:
	v_mov_b32_e32 v1, 0x7f
	v_cmp_lt_u32_e32 vcc_lo, 0x7f800000, v4
	s_delay_alu instid0(VALU_DEP_2)
	v_cndmask_b32_e32 v1, 0x7e, v1, vcc_lo
; %bb.2937:
	s_or_b32 exec_lo, exec_lo, s6
	global_store_b8 v[2:3], v1, off
.LBB241_2938:
	s_mov_b32 s6, 0
.LBB241_2939:
	s_delay_alu instid0(SALU_CYCLE_1)
	s_and_not1_b32 vcc_lo, exec_lo, s6
	s_cbranch_vccnz .LBB241_2949
; %bb.2940:
	s_wait_xcnt 0x0
	v_cndmask_b32_e64 v4, 0, 1.0, s1
	s_mov_b32 s6, exec_lo
                                        ; implicit-def: $vgpr1
	s_delay_alu instid0(VALU_DEP_1)
	v_cmpx_gt_u32_e32 0x47800000, v4
	s_xor_b32 s6, exec_lo, s6
	s_cbranch_execz .LBB241_2946
; %bb.2941:
	s_mov_b32 s7, exec_lo
                                        ; implicit-def: $vgpr1
	v_cmpx_lt_u32_e32 0x387fffff, v4
	s_xor_b32 s7, exec_lo, s7
; %bb.2942:
	v_bfe_u32 v1, v4, 21, 1
	s_delay_alu instid0(VALU_DEP_1) | instskip(NEXT) | instid1(VALU_DEP_1)
	v_add3_u32 v1, v4, v1, 0x80fffff
                                        ; implicit-def: $vgpr4
	v_lshrrev_b32_e32 v1, 21, v1
; %bb.2943:
	s_and_not1_saveexec_b32 s7, s7
; %bb.2944:
	v_add_f32_e32 v1, 0x43000000, v4
; %bb.2945:
	s_or_b32 exec_lo, exec_lo, s7
                                        ; implicit-def: $vgpr4
.LBB241_2946:
	s_and_not1_saveexec_b32 s6, s6
; %bb.2947:
	v_mov_b32_e32 v1, 0x7f
	v_cmp_lt_u32_e32 vcc_lo, 0x7f800000, v4
	s_delay_alu instid0(VALU_DEP_2)
	v_cndmask_b32_e32 v1, 0x7c, v1, vcc_lo
; %bb.2948:
	s_or_b32 exec_lo, exec_lo, s6
	global_store_b8 v[2:3], v1, off
.LBB241_2949:
	s_mov_b32 s6, 0
	s_mov_b32 s7, -1
.LBB241_2950:
	s_and_not1_b32 vcc_lo, exec_lo, s6
	s_mov_b32 s6, 0
	s_cbranch_vccnz .LBB241_2957
; %bb.2951:
	s_cmp_gt_i32 s3, 14
	s_mov_b32 s6, -1
	s_cbranch_scc0 .LBB241_2955
; %bb.2952:
	s_cmp_eq_u32 s3, 15
	s_mov_b32 s2, -1
	s_cbranch_scc0 .LBB241_2954
; %bb.2953:
	s_wait_xcnt 0x0
	v_cndmask_b32_e64 v1, 0, 1.0, s1
	s_mov_b32 s2, 0
	s_mov_b32 s7, -1
	s_delay_alu instid0(VALU_DEP_1) | instskip(NEXT) | instid1(VALU_DEP_1)
	v_bfe_u32 v4, v1, 16, 1
	v_add3_u32 v1, v1, v4, 0x7fff
	global_store_d16_hi_b16 v[2:3], v1, off
.LBB241_2954:
	s_mov_b32 s6, 0
.LBB241_2955:
	s_delay_alu instid0(SALU_CYCLE_1)
	s_and_b32 vcc_lo, exec_lo, s6
	s_mov_b32 s6, 0
	s_cbranch_vccz .LBB241_2957
; %bb.2956:
	s_cmp_lg_u32 s3, 11
	s_mov_b32 s6, -1
	s_cselect_b32 s2, -1, 0
.LBB241_2957:
	s_delay_alu instid0(SALU_CYCLE_1)
	s_and_b32 vcc_lo, exec_lo, s2
	s_cbranch_vccnz .LBB241_3364
; %bb.2958:
	s_and_not1_b32 vcc_lo, exec_lo, s6
	s_cbranch_vccnz .LBB241_2960
.LBB241_2959:
	s_wait_xcnt 0x0
	v_cndmask_b32_e64 v1, 0, 1, s1
	s_mov_b32 s7, -1
	global_store_b8 v[2:3], v1, off
.LBB241_2960:
.LBB241_2961:
	s_and_not1_b32 vcc_lo, exec_lo, s7
	s_cbranch_vccnz .LBB241_3315
	s_branch .LBB241_3001
.LBB241_2962:
	s_and_b32 vcc_lo, exec_lo, s2
	s_cbranch_vccz .LBB241_2961
; %bb.2963:
	s_and_b32 s2, 0xffff, s16
	s_mov_b32 s3, -1
	s_cmp_lt_i32 s2, 5
	s_cbranch_scc1 .LBB241_2984
; %bb.2964:
	s_cmp_lt_i32 s2, 8
	s_cbranch_scc1 .LBB241_2974
; %bb.2965:
	;; [unrolled: 3-line block ×3, first 2 shown]
	s_cmp_gt_i32 s2, 9
	s_cbranch_scc0 .LBB241_2968
; %bb.2967:
	s_wait_xcnt 0x0
	v_cndmask_b32_e64 v1, 0, 1, s1
	v_mov_b32_e32 v12, 0
	s_mov_b32 s3, 0
	s_delay_alu instid0(VALU_DEP_2) | instskip(NEXT) | instid1(VALU_DEP_2)
	v_cvt_f64_u32_e32 v[10:11], v1
	v_mov_b32_e32 v13, v12
	global_store_b128 v[2:3], v[10:13], off
.LBB241_2968:
	s_and_not1_b32 vcc_lo, exec_lo, s3
	s_cbranch_vccnz .LBB241_2970
; %bb.2969:
	s_wait_xcnt 0x0
	v_cndmask_b32_e64 v10, 0, 1.0, s1
	v_mov_b32_e32 v11, 0
	global_store_b64 v[2:3], v[10:11], off
.LBB241_2970:
	s_mov_b32 s3, 0
.LBB241_2971:
	s_delay_alu instid0(SALU_CYCLE_1)
	s_and_not1_b32 vcc_lo, exec_lo, s3
	s_cbranch_vccnz .LBB241_2973
; %bb.2972:
	s_wait_xcnt 0x0
	v_cndmask_b32_e64 v1, 0, 1.0, s1
	s_delay_alu instid0(VALU_DEP_1) | instskip(NEXT) | instid1(VALU_DEP_1)
	v_cvt_f16_f32_e32 v1, v1
	v_and_b32_e32 v1, 0xffff, v1
	global_store_b32 v[2:3], v1, off
.LBB241_2973:
	s_mov_b32 s3, 0
.LBB241_2974:
	s_delay_alu instid0(SALU_CYCLE_1)
	s_and_not1_b32 vcc_lo, exec_lo, s3
	s_cbranch_vccnz .LBB241_2983
; %bb.2975:
	s_cmp_lt_i32 s2, 6
	s_mov_b32 s3, -1
	s_cbranch_scc1 .LBB241_2981
; %bb.2976:
	s_cmp_gt_i32 s2, 6
	s_cbranch_scc0 .LBB241_2978
; %bb.2977:
	s_wait_xcnt 0x0
	v_cndmask_b32_e64 v1, 0, 1, s1
	s_mov_b32 s3, 0
	s_delay_alu instid0(VALU_DEP_1)
	v_cvt_f64_u32_e32 v[10:11], v1
	global_store_b64 v[2:3], v[10:11], off
.LBB241_2978:
	s_and_not1_b32 vcc_lo, exec_lo, s3
	s_cbranch_vccnz .LBB241_2980
; %bb.2979:
	s_wait_xcnt 0x0
	v_cndmask_b32_e64 v1, 0, 1.0, s1
	global_store_b32 v[2:3], v1, off
.LBB241_2980:
	s_mov_b32 s3, 0
.LBB241_2981:
	s_delay_alu instid0(SALU_CYCLE_1)
	s_and_not1_b32 vcc_lo, exec_lo, s3
	s_cbranch_vccnz .LBB241_2983
; %bb.2982:
	s_wait_xcnt 0x0
	v_cndmask_b32_e64 v1, 0, 1.0, s1
	s_delay_alu instid0(VALU_DEP_1)
	v_cvt_f16_f32_e32 v1, v1
	global_store_b16 v[2:3], v1, off
.LBB241_2983:
	s_mov_b32 s3, 0
.LBB241_2984:
	s_delay_alu instid0(SALU_CYCLE_1)
	s_and_not1_b32 vcc_lo, exec_lo, s3
	s_cbranch_vccnz .LBB241_3000
; %bb.2985:
	s_cmp_lt_i32 s2, 2
	s_mov_b32 s3, -1
	s_cbranch_scc1 .LBB241_2995
; %bb.2986:
	s_cmp_lt_i32 s2, 3
	s_cbranch_scc1 .LBB241_2992
; %bb.2987:
	s_cmp_gt_i32 s2, 3
	s_cbranch_scc0 .LBB241_2989
; %bb.2988:
	s_mov_b32 s3, 0
	s_wait_xcnt 0x0
	v_cndmask_b32_e64 v10, 0, 1, s1
	v_mov_b32_e32 v11, s3
	global_store_b64 v[2:3], v[10:11], off
.LBB241_2989:
	s_and_not1_b32 vcc_lo, exec_lo, s3
	s_cbranch_vccnz .LBB241_2991
; %bb.2990:
	s_wait_xcnt 0x0
	v_cndmask_b32_e64 v1, 0, 1, s1
	global_store_b32 v[2:3], v1, off
.LBB241_2991:
	s_mov_b32 s3, 0
.LBB241_2992:
	s_delay_alu instid0(SALU_CYCLE_1)
	s_and_not1_b32 vcc_lo, exec_lo, s3
	s_cbranch_vccnz .LBB241_2994
; %bb.2993:
	s_wait_xcnt 0x0
	v_cndmask_b32_e64 v1, 0, 1, s1
	global_store_b16 v[2:3], v1, off
.LBB241_2994:
	s_mov_b32 s3, 0
.LBB241_2995:
	s_delay_alu instid0(SALU_CYCLE_1)
	s_and_not1_b32 vcc_lo, exec_lo, s3
	s_cbranch_vccnz .LBB241_3000
; %bb.2996:
	s_wait_xcnt 0x0
	v_cndmask_b32_e64 v1, 0, 1, s1
	s_cmp_gt_i32 s2, 0
	s_mov_b32 s1, -1
	s_cbranch_scc0 .LBB241_2998
; %bb.2997:
	s_mov_b32 s1, 0
	global_store_b8 v[2:3], v1, off
.LBB241_2998:
	s_and_not1_b32 vcc_lo, exec_lo, s1
	s_cbranch_vccnz .LBB241_3000
; %bb.2999:
	global_store_b8 v[2:3], v1, off
.LBB241_3000:
.LBB241_3001:
	s_wait_xcnt 0x0
	v_lshlrev_b16 v2, 8, v6
	s_lshl_b32 s3, s8, 7
	s_cmp_lt_i32 s16, 11
	v_add_nc_u32_e32 v0, s3, v0
	s_delay_alu instid0(VALU_DEP_2) | instskip(SKIP_2) | instid1(VALU_DEP_2)
	v_and_or_b32 v4, 0x7f00, v2, 0.5
	v_lshlrev_b32_e32 v1, 25, v6
	v_bfe_i32 v2, v2, 0, 16
	v_dual_add_f32 v4, -0.5, v4 :: v_dual_lshrrev_b32 v3, 4, v1
	v_cmp_gt_u32_e32 vcc_lo, 0x8000000, v1
	s_delay_alu instid0(VALU_DEP_2) | instskip(NEXT) | instid1(VALU_DEP_1)
	v_or_b32_e32 v3, 0x70000000, v3
	v_mul_f32_e32 v3, 0x7800000, v3
	s_delay_alu instid0(VALU_DEP_1) | instskip(NEXT) | instid1(VALU_DEP_1)
	v_cndmask_b32_e32 v1, v3, v4, vcc_lo
	v_and_or_b32 v1, 0x80000000, v2, v1
	s_delay_alu instid0(VALU_DEP_1) | instskip(SKIP_3) | instid1(VALU_DEP_1)
	v_cmp_eq_f32_e32 vcc_lo, v5, v1
	v_cndmask_b32_e64 v2, 0, 1, vcc_lo
	v_cmp_neq_f32_e32 vcc_lo, v5, v1
	v_cndmask_b32_e64 v1, 0, 1, vcc_lo
	v_dual_cndmask_b32 v2, v1, v2, s0 :: v_dual_ashrrev_i32 v1, 31, v0
	s_delay_alu instid0(VALU_DEP_1) | instskip(NEXT) | instid1(VALU_DEP_2)
	v_and_b32_e32 v4, 1, v2
	v_add_nc_u64_e32 v[2:3], s[4:5], v[0:1]
	s_delay_alu instid0(VALU_DEP_2)
	v_cmp_eq_u32_e64 s1, 1, v4
	s_cbranch_scc1 .LBB241_3079
; %bb.3002:
	s_and_b32 s6, 0xffff, s16
	s_mov_b32 s9, -1
	s_mov_b32 s7, 0
	s_cmp_gt_i32 s6, 25
	s_mov_b32 s8, 0
	s_mov_b32 s2, 0
	s_cbranch_scc0 .LBB241_3035
; %bb.3003:
	s_cmp_gt_i32 s6, 28
	s_cbranch_scc0 .LBB241_3018
; %bb.3004:
	s_cmp_gt_i32 s6, 43
	;; [unrolled: 3-line block ×3, first 2 shown]
	s_cbranch_scc0 .LBB241_3008
; %bb.3006:
	s_mov_b32 s2, -1
	s_mov_b32 s9, 0
	s_cmp_eq_u32 s6, 46
	s_cbranch_scc0 .LBB241_3008
; %bb.3007:
	v_cndmask_b32_e64 v1, 0, 1.0, s1
	s_mov_b32 s2, 0
	s_mov_b32 s8, -1
	s_delay_alu instid0(VALU_DEP_1) | instskip(NEXT) | instid1(VALU_DEP_1)
	v_bfe_u32 v4, v1, 16, 1
	v_add3_u32 v1, v1, v4, 0x7fff
	s_delay_alu instid0(VALU_DEP_1)
	v_lshrrev_b32_e32 v1, 16, v1
	global_store_b32 v[2:3], v1, off
.LBB241_3008:
	s_and_b32 vcc_lo, exec_lo, s9
	s_cbranch_vccz .LBB241_3013
; %bb.3009:
	s_cmp_eq_u32 s6, 44
	s_mov_b32 s2, -1
	s_cbranch_scc0 .LBB241_3013
; %bb.3010:
	v_cndmask_b32_e64 v6, 0, 1.0, s1
	s_mov_b32 s8, exec_lo
	s_wait_xcnt 0x0
	s_delay_alu instid0(VALU_DEP_1) | instskip(NEXT) | instid1(VALU_DEP_1)
	v_dual_mov_b32 v4, 0xff :: v_dual_lshrrev_b32 v1, 23, v6
	v_cmpx_ne_u32_e32 0xff, v1
; %bb.3011:
	v_and_b32_e32 v4, 0x400000, v6
	v_and_or_b32 v6, 0x3fffff, v6, v1
	s_delay_alu instid0(VALU_DEP_2) | instskip(NEXT) | instid1(VALU_DEP_2)
	v_cmp_ne_u32_e32 vcc_lo, 0, v4
	v_cmp_ne_u32_e64 s2, 0, v6
	s_and_b32 s2, vcc_lo, s2
	s_delay_alu instid0(SALU_CYCLE_1) | instskip(NEXT) | instid1(VALU_DEP_1)
	v_cndmask_b32_e64 v4, 0, 1, s2
	v_add_nc_u32_e32 v4, v1, v4
; %bb.3012:
	s_or_b32 exec_lo, exec_lo, s8
	s_mov_b32 s2, 0
	s_mov_b32 s8, -1
	global_store_b8 v[2:3], v4, off
.LBB241_3013:
	s_mov_b32 s9, 0
.LBB241_3014:
	s_delay_alu instid0(SALU_CYCLE_1)
	s_and_b32 vcc_lo, exec_lo, s9
	s_cbranch_vccz .LBB241_3017
; %bb.3015:
	s_cmp_eq_u32 s6, 29
	s_mov_b32 s2, -1
	s_cbranch_scc0 .LBB241_3017
; %bb.3016:
	s_mov_b32 s2, 0
	v_cndmask_b32_e64 v10, 0, 1, s1
	v_mov_b32_e32 v11, s2
	s_mov_b32 s8, -1
	global_store_b64 v[2:3], v[10:11], off
.LBB241_3017:
	s_mov_b32 s9, 0
.LBB241_3018:
	s_delay_alu instid0(SALU_CYCLE_1)
	s_and_b32 vcc_lo, exec_lo, s9
	s_cbranch_vccz .LBB241_3034
; %bb.3019:
	s_cmp_lt_i32 s6, 27
	s_mov_b32 s8, -1
	s_cbranch_scc1 .LBB241_3025
; %bb.3020:
	s_cmp_gt_i32 s6, 27
	s_cbranch_scc0 .LBB241_3022
; %bb.3021:
	s_wait_xcnt 0x0
	v_cndmask_b32_e64 v1, 0, 1, s1
	s_mov_b32 s8, 0
	global_store_b32 v[2:3], v1, off
.LBB241_3022:
	s_and_not1_b32 vcc_lo, exec_lo, s8
	s_cbranch_vccnz .LBB241_3024
; %bb.3023:
	s_wait_xcnt 0x0
	v_cndmask_b32_e64 v1, 0, 1, s1
	global_store_b16 v[2:3], v1, off
.LBB241_3024:
	s_mov_b32 s8, 0
.LBB241_3025:
	s_delay_alu instid0(SALU_CYCLE_1)
	s_and_not1_b32 vcc_lo, exec_lo, s8
	s_cbranch_vccnz .LBB241_3033
; %bb.3026:
	s_wait_xcnt 0x0
	v_cndmask_b32_e64 v4, 0, 1.0, s1
	v_mov_b32_e32 v6, 0x80
	s_mov_b32 s8, exec_lo
	s_delay_alu instid0(VALU_DEP_2)
	v_cmpx_gt_u32_e32 0x43800000, v4
	s_cbranch_execz .LBB241_3032
; %bb.3027:
	s_mov_b32 s9, 0
	s_mov_b32 s10, exec_lo
                                        ; implicit-def: $vgpr1
	v_cmpx_lt_u32_e32 0x3bffffff, v4
	s_xor_b32 s10, exec_lo, s10
	s_cbranch_execz .LBB241_3367
; %bb.3028:
	v_bfe_u32 v1, v4, 20, 1
	s_mov_b32 s9, exec_lo
	s_delay_alu instid0(VALU_DEP_1) | instskip(NEXT) | instid1(VALU_DEP_1)
	v_add3_u32 v1, v4, v1, 0x487ffff
                                        ; implicit-def: $vgpr4
	v_lshrrev_b32_e32 v1, 20, v1
	s_and_not1_saveexec_b32 s10, s10
	s_cbranch_execnz .LBB241_3368
.LBB241_3029:
	s_or_b32 exec_lo, exec_lo, s10
	v_mov_b32_e32 v6, 0
	s_and_saveexec_b32 s10, s9
.LBB241_3030:
	v_mov_b32_e32 v6, v1
.LBB241_3031:
	s_or_b32 exec_lo, exec_lo, s10
.LBB241_3032:
	s_delay_alu instid0(SALU_CYCLE_1)
	s_or_b32 exec_lo, exec_lo, s8
	global_store_b8 v[2:3], v6, off
.LBB241_3033:
	s_mov_b32 s8, -1
.LBB241_3034:
	s_mov_b32 s9, 0
.LBB241_3035:
	s_delay_alu instid0(SALU_CYCLE_1)
	s_and_b32 vcc_lo, exec_lo, s9
	s_cbranch_vccz .LBB241_3075
; %bb.3036:
	s_cmp_gt_i32 s6, 22
	s_mov_b32 s7, -1
	s_cbranch_scc0 .LBB241_3068
; %bb.3037:
	s_cmp_lt_i32 s6, 24
	s_cbranch_scc1 .LBB241_3057
; %bb.3038:
	s_cmp_gt_i32 s6, 24
	s_cbranch_scc0 .LBB241_3046
; %bb.3039:
	s_wait_xcnt 0x0
	v_cndmask_b32_e64 v4, 0, 1.0, s1
	v_mov_b32_e32 v6, 0x80
	s_mov_b32 s7, exec_lo
	s_delay_alu instid0(VALU_DEP_2)
	v_cmpx_gt_u32_e32 0x47800000, v4
	s_cbranch_execz .LBB241_3045
; %bb.3040:
	s_mov_b32 s8, 0
	s_mov_b32 s9, exec_lo
                                        ; implicit-def: $vgpr1
	v_cmpx_lt_u32_e32 0x37ffffff, v4
	s_xor_b32 s9, exec_lo, s9
	s_cbranch_execz .LBB241_3370
; %bb.3041:
	v_bfe_u32 v1, v4, 21, 1
	s_mov_b32 s8, exec_lo
	s_delay_alu instid0(VALU_DEP_1) | instskip(NEXT) | instid1(VALU_DEP_1)
	v_add3_u32 v1, v4, v1, 0x88fffff
                                        ; implicit-def: $vgpr4
	v_lshrrev_b32_e32 v1, 21, v1
	s_and_not1_saveexec_b32 s9, s9
	s_cbranch_execnz .LBB241_3371
.LBB241_3042:
	s_or_b32 exec_lo, exec_lo, s9
	v_mov_b32_e32 v6, 0
	s_and_saveexec_b32 s9, s8
.LBB241_3043:
	v_mov_b32_e32 v6, v1
.LBB241_3044:
	s_or_b32 exec_lo, exec_lo, s9
.LBB241_3045:
	s_delay_alu instid0(SALU_CYCLE_1)
	s_or_b32 exec_lo, exec_lo, s7
	s_mov_b32 s7, 0
	global_store_b8 v[2:3], v6, off
.LBB241_3046:
	s_and_b32 vcc_lo, exec_lo, s7
	s_cbranch_vccz .LBB241_3056
; %bb.3047:
	s_wait_xcnt 0x0
	v_cndmask_b32_e64 v4, 0, 1.0, s1
	s_mov_b32 s7, exec_lo
                                        ; implicit-def: $vgpr1
	s_delay_alu instid0(VALU_DEP_1)
	v_cmpx_gt_u32_e32 0x43f00000, v4
	s_xor_b32 s7, exec_lo, s7
	s_cbranch_execz .LBB241_3053
; %bb.3048:
	s_mov_b32 s8, exec_lo
                                        ; implicit-def: $vgpr1
	v_cmpx_lt_u32_e32 0x3c7fffff, v4
	s_xor_b32 s8, exec_lo, s8
; %bb.3049:
	v_bfe_u32 v1, v4, 20, 1
	s_delay_alu instid0(VALU_DEP_1) | instskip(NEXT) | instid1(VALU_DEP_1)
	v_add3_u32 v1, v4, v1, 0x407ffff
	v_and_b32_e32 v4, 0xff00000, v1
	v_lshrrev_b32_e32 v1, 20, v1
	s_delay_alu instid0(VALU_DEP_2) | instskip(NEXT) | instid1(VALU_DEP_2)
	v_cmp_ne_u32_e32 vcc_lo, 0x7f00000, v4
                                        ; implicit-def: $vgpr4
	v_cndmask_b32_e32 v1, 0x7e, v1, vcc_lo
; %bb.3050:
	s_and_not1_saveexec_b32 s8, s8
; %bb.3051:
	v_add_f32_e32 v1, 0x46800000, v4
; %bb.3052:
	s_or_b32 exec_lo, exec_lo, s8
                                        ; implicit-def: $vgpr4
.LBB241_3053:
	s_and_not1_saveexec_b32 s7, s7
; %bb.3054:
	v_mov_b32_e32 v1, 0x7f
	v_cmp_lt_u32_e32 vcc_lo, 0x7f800000, v4
	s_delay_alu instid0(VALU_DEP_2)
	v_cndmask_b32_e32 v1, 0x7e, v1, vcc_lo
; %bb.3055:
	s_or_b32 exec_lo, exec_lo, s7
	global_store_b8 v[2:3], v1, off
.LBB241_3056:
	s_mov_b32 s7, 0
.LBB241_3057:
	s_delay_alu instid0(SALU_CYCLE_1)
	s_and_not1_b32 vcc_lo, exec_lo, s7
	s_cbranch_vccnz .LBB241_3067
; %bb.3058:
	s_wait_xcnt 0x0
	v_cndmask_b32_e64 v4, 0, 1.0, s1
	s_mov_b32 s7, exec_lo
                                        ; implicit-def: $vgpr1
	s_delay_alu instid0(VALU_DEP_1)
	v_cmpx_gt_u32_e32 0x47800000, v4
	s_xor_b32 s7, exec_lo, s7
	s_cbranch_execz .LBB241_3064
; %bb.3059:
	s_mov_b32 s8, exec_lo
                                        ; implicit-def: $vgpr1
	v_cmpx_lt_u32_e32 0x387fffff, v4
	s_xor_b32 s8, exec_lo, s8
; %bb.3060:
	v_bfe_u32 v1, v4, 21, 1
	s_delay_alu instid0(VALU_DEP_1) | instskip(NEXT) | instid1(VALU_DEP_1)
	v_add3_u32 v1, v4, v1, 0x80fffff
                                        ; implicit-def: $vgpr4
	v_lshrrev_b32_e32 v1, 21, v1
; %bb.3061:
	s_and_not1_saveexec_b32 s8, s8
; %bb.3062:
	v_add_f32_e32 v1, 0x43000000, v4
; %bb.3063:
	s_or_b32 exec_lo, exec_lo, s8
                                        ; implicit-def: $vgpr4
.LBB241_3064:
	s_and_not1_saveexec_b32 s7, s7
; %bb.3065:
	v_mov_b32_e32 v1, 0x7f
	v_cmp_lt_u32_e32 vcc_lo, 0x7f800000, v4
	s_delay_alu instid0(VALU_DEP_2)
	v_cndmask_b32_e32 v1, 0x7c, v1, vcc_lo
; %bb.3066:
	s_or_b32 exec_lo, exec_lo, s7
	global_store_b8 v[2:3], v1, off
.LBB241_3067:
	s_mov_b32 s7, 0
	s_mov_b32 s8, -1
.LBB241_3068:
	s_and_not1_b32 vcc_lo, exec_lo, s7
	s_mov_b32 s7, 0
	s_cbranch_vccnz .LBB241_3075
; %bb.3069:
	s_cmp_gt_i32 s6, 14
	s_mov_b32 s7, -1
	s_cbranch_scc0 .LBB241_3073
; %bb.3070:
	s_cmp_eq_u32 s6, 15
	s_mov_b32 s2, -1
	s_cbranch_scc0 .LBB241_3072
; %bb.3071:
	s_wait_xcnt 0x0
	v_cndmask_b32_e64 v1, 0, 1.0, s1
	s_mov_b32 s2, 0
	s_mov_b32 s8, -1
	s_delay_alu instid0(VALU_DEP_1) | instskip(NEXT) | instid1(VALU_DEP_1)
	v_bfe_u32 v4, v1, 16, 1
	v_add3_u32 v1, v1, v4, 0x7fff
	global_store_d16_hi_b16 v[2:3], v1, off
.LBB241_3072:
	s_mov_b32 s7, 0
.LBB241_3073:
	s_delay_alu instid0(SALU_CYCLE_1)
	s_and_b32 vcc_lo, exec_lo, s7
	s_mov_b32 s7, 0
	s_cbranch_vccz .LBB241_3075
; %bb.3074:
	s_cmp_lg_u32 s6, 11
	s_mov_b32 s7, -1
	s_cselect_b32 s2, -1, 0
.LBB241_3075:
	s_delay_alu instid0(SALU_CYCLE_1)
	s_and_b32 vcc_lo, exec_lo, s2
	s_cbranch_vccnz .LBB241_3369
; %bb.3076:
	s_and_not1_b32 vcc_lo, exec_lo, s7
	s_cbranch_vccnz .LBB241_3078
.LBB241_3077:
	s_wait_xcnt 0x0
	v_cndmask_b32_e64 v1, 0, 1, s1
	s_mov_b32 s8, -1
	global_store_b8 v[2:3], v1, off
.LBB241_3078:
	s_mov_b32 s2, 0
	s_branch .LBB241_3080
.LBB241_3079:
	s_mov_b32 s2, -1
	s_mov_b32 s8, 0
.LBB241_3080:
	s_and_b32 vcc_lo, exec_lo, s2
	s_cbranch_vccz .LBB241_3119
; %bb.3081:
	s_and_b32 s2, 0xffff, s16
	s_mov_b32 s6, -1
	s_cmp_lt_i32 s2, 5
	s_cbranch_scc1 .LBB241_3102
; %bb.3082:
	s_cmp_lt_i32 s2, 8
	s_cbranch_scc1 .LBB241_3092
; %bb.3083:
	;; [unrolled: 3-line block ×3, first 2 shown]
	s_cmp_gt_i32 s2, 9
	s_cbranch_scc0 .LBB241_3086
; %bb.3085:
	s_wait_xcnt 0x0
	v_cndmask_b32_e64 v1, 0, 1, s1
	v_mov_b32_e32 v12, 0
	s_mov_b32 s6, 0
	s_delay_alu instid0(VALU_DEP_2) | instskip(NEXT) | instid1(VALU_DEP_2)
	v_cvt_f64_u32_e32 v[10:11], v1
	v_mov_b32_e32 v13, v12
	global_store_b128 v[2:3], v[10:13], off
.LBB241_3086:
	s_and_not1_b32 vcc_lo, exec_lo, s6
	s_cbranch_vccnz .LBB241_3088
; %bb.3087:
	s_wait_xcnt 0x0
	v_cndmask_b32_e64 v10, 0, 1.0, s1
	v_mov_b32_e32 v11, 0
	global_store_b64 v[2:3], v[10:11], off
.LBB241_3088:
	s_mov_b32 s6, 0
.LBB241_3089:
	s_delay_alu instid0(SALU_CYCLE_1)
	s_and_not1_b32 vcc_lo, exec_lo, s6
	s_cbranch_vccnz .LBB241_3091
; %bb.3090:
	s_wait_xcnt 0x0
	v_cndmask_b32_e64 v1, 0, 1.0, s1
	s_delay_alu instid0(VALU_DEP_1) | instskip(NEXT) | instid1(VALU_DEP_1)
	v_cvt_f16_f32_e32 v1, v1
	v_and_b32_e32 v1, 0xffff, v1
	global_store_b32 v[2:3], v1, off
.LBB241_3091:
	s_mov_b32 s6, 0
.LBB241_3092:
	s_delay_alu instid0(SALU_CYCLE_1)
	s_and_not1_b32 vcc_lo, exec_lo, s6
	s_cbranch_vccnz .LBB241_3101
; %bb.3093:
	s_cmp_lt_i32 s2, 6
	s_mov_b32 s6, -1
	s_cbranch_scc1 .LBB241_3099
; %bb.3094:
	s_cmp_gt_i32 s2, 6
	s_cbranch_scc0 .LBB241_3096
; %bb.3095:
	s_wait_xcnt 0x0
	v_cndmask_b32_e64 v1, 0, 1, s1
	s_mov_b32 s6, 0
	s_delay_alu instid0(VALU_DEP_1)
	v_cvt_f64_u32_e32 v[10:11], v1
	global_store_b64 v[2:3], v[10:11], off
.LBB241_3096:
	s_and_not1_b32 vcc_lo, exec_lo, s6
	s_cbranch_vccnz .LBB241_3098
; %bb.3097:
	s_wait_xcnt 0x0
	v_cndmask_b32_e64 v1, 0, 1.0, s1
	global_store_b32 v[2:3], v1, off
.LBB241_3098:
	s_mov_b32 s6, 0
.LBB241_3099:
	s_delay_alu instid0(SALU_CYCLE_1)
	s_and_not1_b32 vcc_lo, exec_lo, s6
	s_cbranch_vccnz .LBB241_3101
; %bb.3100:
	s_wait_xcnt 0x0
	v_cndmask_b32_e64 v1, 0, 1.0, s1
	s_delay_alu instid0(VALU_DEP_1)
	v_cvt_f16_f32_e32 v1, v1
	global_store_b16 v[2:3], v1, off
.LBB241_3101:
	s_mov_b32 s6, 0
.LBB241_3102:
	s_delay_alu instid0(SALU_CYCLE_1)
	s_and_not1_b32 vcc_lo, exec_lo, s6
	s_cbranch_vccnz .LBB241_3118
; %bb.3103:
	s_cmp_lt_i32 s2, 2
	s_mov_b32 s6, -1
	s_cbranch_scc1 .LBB241_3113
; %bb.3104:
	s_cmp_lt_i32 s2, 3
	s_cbranch_scc1 .LBB241_3110
; %bb.3105:
	s_cmp_gt_i32 s2, 3
	s_cbranch_scc0 .LBB241_3107
; %bb.3106:
	s_mov_b32 s6, 0
	s_wait_xcnt 0x0
	v_cndmask_b32_e64 v10, 0, 1, s1
	v_mov_b32_e32 v11, s6
	global_store_b64 v[2:3], v[10:11], off
.LBB241_3107:
	s_and_not1_b32 vcc_lo, exec_lo, s6
	s_cbranch_vccnz .LBB241_3109
; %bb.3108:
	s_wait_xcnt 0x0
	v_cndmask_b32_e64 v1, 0, 1, s1
	global_store_b32 v[2:3], v1, off
.LBB241_3109:
	s_mov_b32 s6, 0
.LBB241_3110:
	s_delay_alu instid0(SALU_CYCLE_1)
	s_and_not1_b32 vcc_lo, exec_lo, s6
	s_cbranch_vccnz .LBB241_3112
; %bb.3111:
	s_wait_xcnt 0x0
	v_cndmask_b32_e64 v1, 0, 1, s1
	global_store_b16 v[2:3], v1, off
.LBB241_3112:
	s_mov_b32 s6, 0
.LBB241_3113:
	s_delay_alu instid0(SALU_CYCLE_1)
	s_and_not1_b32 vcc_lo, exec_lo, s6
	s_cbranch_vccnz .LBB241_3118
; %bb.3114:
	s_wait_xcnt 0x0
	v_cndmask_b32_e64 v1, 0, 1, s1
	s_cmp_gt_i32 s2, 0
	s_mov_b32 s1, -1
	s_cbranch_scc0 .LBB241_3116
; %bb.3115:
	s_mov_b32 s1, 0
	global_store_b8 v[2:3], v1, off
.LBB241_3116:
	s_and_not1_b32 vcc_lo, exec_lo, s1
	s_cbranch_vccnz .LBB241_3118
; %bb.3117:
	global_store_b8 v[2:3], v1, off
.LBB241_3118:
	s_mov_b32 s8, -1
.LBB241_3119:
	s_delay_alu instid0(SALU_CYCLE_1)
	s_and_not1_b32 vcc_lo, exec_lo, s8
	s_cbranch_vccnz .LBB241_3315
; %bb.3120:
	s_wait_xcnt 0x0
	v_lshlrev_b16 v2, 8, v7
	s_cmp_lt_i32 s16, 11
	v_add_nc_u32_e32 v0, s3, v0
	s_delay_alu instid0(VALU_DEP_2) | instskip(SKIP_2) | instid1(VALU_DEP_2)
	v_and_or_b32 v4, 0x7f00, v2, 0.5
	v_lshlrev_b32_e32 v1, 25, v7
	v_bfe_i32 v2, v2, 0, 16
	v_dual_add_f32 v4, -0.5, v4 :: v_dual_lshrrev_b32 v3, 4, v1
	v_cmp_gt_u32_e32 vcc_lo, 0x8000000, v1
	s_delay_alu instid0(VALU_DEP_2) | instskip(NEXT) | instid1(VALU_DEP_1)
	v_or_b32_e32 v3, 0x70000000, v3
	v_mul_f32_e32 v3, 0x7800000, v3
	s_delay_alu instid0(VALU_DEP_1) | instskip(NEXT) | instid1(VALU_DEP_1)
	v_cndmask_b32_e32 v1, v3, v4, vcc_lo
	v_and_or_b32 v1, 0x80000000, v2, v1
	s_delay_alu instid0(VALU_DEP_1) | instskip(SKIP_3) | instid1(VALU_DEP_1)
	v_cmp_eq_f32_e32 vcc_lo, v5, v1
	v_cndmask_b32_e64 v2, 0, 1, vcc_lo
	v_cmp_neq_f32_e32 vcc_lo, v5, v1
	v_cndmask_b32_e64 v1, 0, 1, vcc_lo
	v_dual_cndmask_b32 v2, v1, v2, s0 :: v_dual_ashrrev_i32 v1, 31, v0
	s_delay_alu instid0(VALU_DEP_1) | instskip(NEXT) | instid1(VALU_DEP_2)
	v_and_b32_e32 v4, 1, v2
	v_add_nc_u64_e32 v[2:3], s[4:5], v[0:1]
	s_delay_alu instid0(VALU_DEP_2)
	v_cmp_eq_u32_e64 s1, 1, v4
	s_cbranch_scc1 .LBB241_3198
; %bb.3121:
	s_and_b32 s6, 0xffff, s16
	s_mov_b32 s9, -1
	s_mov_b32 s7, 0
	s_cmp_gt_i32 s6, 25
	s_mov_b32 s8, 0
	s_mov_b32 s2, 0
	s_cbranch_scc0 .LBB241_3154
; %bb.3122:
	s_cmp_gt_i32 s6, 28
	s_cbranch_scc0 .LBB241_3137
; %bb.3123:
	s_cmp_gt_i32 s6, 43
	;; [unrolled: 3-line block ×3, first 2 shown]
	s_cbranch_scc0 .LBB241_3127
; %bb.3125:
	s_mov_b32 s2, -1
	s_mov_b32 s9, 0
	s_cmp_eq_u32 s6, 46
	s_cbranch_scc0 .LBB241_3127
; %bb.3126:
	v_cndmask_b32_e64 v1, 0, 1.0, s1
	s_mov_b32 s2, 0
	s_mov_b32 s8, -1
	s_delay_alu instid0(VALU_DEP_1) | instskip(NEXT) | instid1(VALU_DEP_1)
	v_bfe_u32 v4, v1, 16, 1
	v_add3_u32 v1, v1, v4, 0x7fff
	s_delay_alu instid0(VALU_DEP_1)
	v_lshrrev_b32_e32 v1, 16, v1
	global_store_b32 v[2:3], v1, off
.LBB241_3127:
	s_and_b32 vcc_lo, exec_lo, s9
	s_cbranch_vccz .LBB241_3132
; %bb.3128:
	s_cmp_eq_u32 s6, 44
	s_mov_b32 s2, -1
	s_cbranch_scc0 .LBB241_3132
; %bb.3129:
	v_cndmask_b32_e64 v6, 0, 1.0, s1
	s_mov_b32 s8, exec_lo
	s_wait_xcnt 0x0
	s_delay_alu instid0(VALU_DEP_1) | instskip(NEXT) | instid1(VALU_DEP_1)
	v_dual_mov_b32 v4, 0xff :: v_dual_lshrrev_b32 v1, 23, v6
	v_cmpx_ne_u32_e32 0xff, v1
; %bb.3130:
	v_and_b32_e32 v4, 0x400000, v6
	v_and_or_b32 v6, 0x3fffff, v6, v1
	s_delay_alu instid0(VALU_DEP_2) | instskip(NEXT) | instid1(VALU_DEP_2)
	v_cmp_ne_u32_e32 vcc_lo, 0, v4
	v_cmp_ne_u32_e64 s2, 0, v6
	s_and_b32 s2, vcc_lo, s2
	s_delay_alu instid0(SALU_CYCLE_1) | instskip(NEXT) | instid1(VALU_DEP_1)
	v_cndmask_b32_e64 v4, 0, 1, s2
	v_add_nc_u32_e32 v4, v1, v4
; %bb.3131:
	s_or_b32 exec_lo, exec_lo, s8
	s_mov_b32 s2, 0
	s_mov_b32 s8, -1
	global_store_b8 v[2:3], v4, off
.LBB241_3132:
	s_mov_b32 s9, 0
.LBB241_3133:
	s_delay_alu instid0(SALU_CYCLE_1)
	s_and_b32 vcc_lo, exec_lo, s9
	s_cbranch_vccz .LBB241_3136
; %bb.3134:
	s_cmp_eq_u32 s6, 29
	s_mov_b32 s2, -1
	s_cbranch_scc0 .LBB241_3136
; %bb.3135:
	s_mov_b32 s2, 0
	v_cndmask_b32_e64 v6, 0, 1, s1
	v_mov_b32_e32 v7, s2
	s_mov_b32 s8, -1
	global_store_b64 v[2:3], v[6:7], off
.LBB241_3136:
	s_mov_b32 s9, 0
.LBB241_3137:
	s_delay_alu instid0(SALU_CYCLE_1)
	s_and_b32 vcc_lo, exec_lo, s9
	s_cbranch_vccz .LBB241_3153
; %bb.3138:
	s_cmp_lt_i32 s6, 27
	s_mov_b32 s8, -1
	s_cbranch_scc1 .LBB241_3144
; %bb.3139:
	s_cmp_gt_i32 s6, 27
	s_cbranch_scc0 .LBB241_3141
; %bb.3140:
	s_wait_xcnt 0x0
	v_cndmask_b32_e64 v1, 0, 1, s1
	s_mov_b32 s8, 0
	global_store_b32 v[2:3], v1, off
.LBB241_3141:
	s_and_not1_b32 vcc_lo, exec_lo, s8
	s_cbranch_vccnz .LBB241_3143
; %bb.3142:
	s_wait_xcnt 0x0
	v_cndmask_b32_e64 v1, 0, 1, s1
	global_store_b16 v[2:3], v1, off
.LBB241_3143:
	s_mov_b32 s8, 0
.LBB241_3144:
	s_delay_alu instid0(SALU_CYCLE_1)
	s_and_not1_b32 vcc_lo, exec_lo, s8
	s_cbranch_vccnz .LBB241_3152
; %bb.3145:
	s_wait_xcnt 0x0
	v_cndmask_b32_e64 v4, 0, 1.0, s1
	v_mov_b32_e32 v6, 0x80
	s_mov_b32 s8, exec_lo
	s_delay_alu instid0(VALU_DEP_2)
	v_cmpx_gt_u32_e32 0x43800000, v4
	s_cbranch_execz .LBB241_3151
; %bb.3146:
	s_mov_b32 s9, 0
	s_mov_b32 s10, exec_lo
                                        ; implicit-def: $vgpr1
	v_cmpx_lt_u32_e32 0x3bffffff, v4
	s_xor_b32 s10, exec_lo, s10
	s_cbranch_execz .LBB241_3372
; %bb.3147:
	v_bfe_u32 v1, v4, 20, 1
	s_mov_b32 s9, exec_lo
	s_delay_alu instid0(VALU_DEP_1) | instskip(NEXT) | instid1(VALU_DEP_1)
	v_add3_u32 v1, v4, v1, 0x487ffff
                                        ; implicit-def: $vgpr4
	v_lshrrev_b32_e32 v1, 20, v1
	s_and_not1_saveexec_b32 s10, s10
	s_cbranch_execnz .LBB241_3373
.LBB241_3148:
	s_or_b32 exec_lo, exec_lo, s10
	v_mov_b32_e32 v6, 0
	s_and_saveexec_b32 s10, s9
.LBB241_3149:
	v_mov_b32_e32 v6, v1
.LBB241_3150:
	s_or_b32 exec_lo, exec_lo, s10
.LBB241_3151:
	s_delay_alu instid0(SALU_CYCLE_1)
	s_or_b32 exec_lo, exec_lo, s8
	global_store_b8 v[2:3], v6, off
.LBB241_3152:
	s_mov_b32 s8, -1
.LBB241_3153:
	s_mov_b32 s9, 0
.LBB241_3154:
	s_delay_alu instid0(SALU_CYCLE_1)
	s_and_b32 vcc_lo, exec_lo, s9
	s_cbranch_vccz .LBB241_3194
; %bb.3155:
	s_cmp_gt_i32 s6, 22
	s_mov_b32 s7, -1
	s_cbranch_scc0 .LBB241_3187
; %bb.3156:
	s_cmp_lt_i32 s6, 24
	s_cbranch_scc1 .LBB241_3176
; %bb.3157:
	s_cmp_gt_i32 s6, 24
	s_cbranch_scc0 .LBB241_3165
; %bb.3158:
	s_wait_xcnt 0x0
	v_cndmask_b32_e64 v4, 0, 1.0, s1
	v_mov_b32_e32 v6, 0x80
	s_mov_b32 s7, exec_lo
	s_delay_alu instid0(VALU_DEP_2)
	v_cmpx_gt_u32_e32 0x47800000, v4
	s_cbranch_execz .LBB241_3164
; %bb.3159:
	s_mov_b32 s8, 0
	s_mov_b32 s9, exec_lo
                                        ; implicit-def: $vgpr1
	v_cmpx_lt_u32_e32 0x37ffffff, v4
	s_xor_b32 s9, exec_lo, s9
	s_cbranch_execz .LBB241_3375
; %bb.3160:
	v_bfe_u32 v1, v4, 21, 1
	s_mov_b32 s8, exec_lo
	s_delay_alu instid0(VALU_DEP_1) | instskip(NEXT) | instid1(VALU_DEP_1)
	v_add3_u32 v1, v4, v1, 0x88fffff
                                        ; implicit-def: $vgpr4
	v_lshrrev_b32_e32 v1, 21, v1
	s_and_not1_saveexec_b32 s9, s9
	s_cbranch_execnz .LBB241_3376
.LBB241_3161:
	s_or_b32 exec_lo, exec_lo, s9
	v_mov_b32_e32 v6, 0
	s_and_saveexec_b32 s9, s8
.LBB241_3162:
	v_mov_b32_e32 v6, v1
.LBB241_3163:
	s_or_b32 exec_lo, exec_lo, s9
.LBB241_3164:
	s_delay_alu instid0(SALU_CYCLE_1)
	s_or_b32 exec_lo, exec_lo, s7
	s_mov_b32 s7, 0
	global_store_b8 v[2:3], v6, off
.LBB241_3165:
	s_and_b32 vcc_lo, exec_lo, s7
	s_cbranch_vccz .LBB241_3175
; %bb.3166:
	s_wait_xcnt 0x0
	v_cndmask_b32_e64 v4, 0, 1.0, s1
	s_mov_b32 s7, exec_lo
                                        ; implicit-def: $vgpr1
	s_delay_alu instid0(VALU_DEP_1)
	v_cmpx_gt_u32_e32 0x43f00000, v4
	s_xor_b32 s7, exec_lo, s7
	s_cbranch_execz .LBB241_3172
; %bb.3167:
	s_mov_b32 s8, exec_lo
                                        ; implicit-def: $vgpr1
	v_cmpx_lt_u32_e32 0x3c7fffff, v4
	s_xor_b32 s8, exec_lo, s8
; %bb.3168:
	v_bfe_u32 v1, v4, 20, 1
	s_delay_alu instid0(VALU_DEP_1) | instskip(NEXT) | instid1(VALU_DEP_1)
	v_add3_u32 v1, v4, v1, 0x407ffff
	v_and_b32_e32 v4, 0xff00000, v1
	v_lshrrev_b32_e32 v1, 20, v1
	s_delay_alu instid0(VALU_DEP_2) | instskip(NEXT) | instid1(VALU_DEP_2)
	v_cmp_ne_u32_e32 vcc_lo, 0x7f00000, v4
                                        ; implicit-def: $vgpr4
	v_cndmask_b32_e32 v1, 0x7e, v1, vcc_lo
; %bb.3169:
	s_and_not1_saveexec_b32 s8, s8
; %bb.3170:
	v_add_f32_e32 v1, 0x46800000, v4
; %bb.3171:
	s_or_b32 exec_lo, exec_lo, s8
                                        ; implicit-def: $vgpr4
.LBB241_3172:
	s_and_not1_saveexec_b32 s7, s7
; %bb.3173:
	v_mov_b32_e32 v1, 0x7f
	v_cmp_lt_u32_e32 vcc_lo, 0x7f800000, v4
	s_delay_alu instid0(VALU_DEP_2)
	v_cndmask_b32_e32 v1, 0x7e, v1, vcc_lo
; %bb.3174:
	s_or_b32 exec_lo, exec_lo, s7
	global_store_b8 v[2:3], v1, off
.LBB241_3175:
	s_mov_b32 s7, 0
.LBB241_3176:
	s_delay_alu instid0(SALU_CYCLE_1)
	s_and_not1_b32 vcc_lo, exec_lo, s7
	s_cbranch_vccnz .LBB241_3186
; %bb.3177:
	s_wait_xcnt 0x0
	v_cndmask_b32_e64 v4, 0, 1.0, s1
	s_mov_b32 s7, exec_lo
                                        ; implicit-def: $vgpr1
	s_delay_alu instid0(VALU_DEP_1)
	v_cmpx_gt_u32_e32 0x47800000, v4
	s_xor_b32 s7, exec_lo, s7
	s_cbranch_execz .LBB241_3183
; %bb.3178:
	s_mov_b32 s8, exec_lo
                                        ; implicit-def: $vgpr1
	v_cmpx_lt_u32_e32 0x387fffff, v4
	s_xor_b32 s8, exec_lo, s8
; %bb.3179:
	v_bfe_u32 v1, v4, 21, 1
	s_delay_alu instid0(VALU_DEP_1) | instskip(NEXT) | instid1(VALU_DEP_1)
	v_add3_u32 v1, v4, v1, 0x80fffff
                                        ; implicit-def: $vgpr4
	v_lshrrev_b32_e32 v1, 21, v1
; %bb.3180:
	s_and_not1_saveexec_b32 s8, s8
; %bb.3181:
	v_add_f32_e32 v1, 0x43000000, v4
; %bb.3182:
	s_or_b32 exec_lo, exec_lo, s8
                                        ; implicit-def: $vgpr4
.LBB241_3183:
	s_and_not1_saveexec_b32 s7, s7
; %bb.3184:
	v_mov_b32_e32 v1, 0x7f
	v_cmp_lt_u32_e32 vcc_lo, 0x7f800000, v4
	s_delay_alu instid0(VALU_DEP_2)
	v_cndmask_b32_e32 v1, 0x7c, v1, vcc_lo
; %bb.3185:
	s_or_b32 exec_lo, exec_lo, s7
	global_store_b8 v[2:3], v1, off
.LBB241_3186:
	s_mov_b32 s7, 0
	s_mov_b32 s8, -1
.LBB241_3187:
	s_and_not1_b32 vcc_lo, exec_lo, s7
	s_mov_b32 s7, 0
	s_cbranch_vccnz .LBB241_3194
; %bb.3188:
	s_cmp_gt_i32 s6, 14
	s_mov_b32 s7, -1
	s_cbranch_scc0 .LBB241_3192
; %bb.3189:
	s_cmp_eq_u32 s6, 15
	s_mov_b32 s2, -1
	s_cbranch_scc0 .LBB241_3191
; %bb.3190:
	s_wait_xcnt 0x0
	v_cndmask_b32_e64 v1, 0, 1.0, s1
	s_mov_b32 s2, 0
	s_mov_b32 s8, -1
	s_delay_alu instid0(VALU_DEP_1) | instskip(NEXT) | instid1(VALU_DEP_1)
	v_bfe_u32 v4, v1, 16, 1
	v_add3_u32 v1, v1, v4, 0x7fff
	global_store_d16_hi_b16 v[2:3], v1, off
.LBB241_3191:
	s_mov_b32 s7, 0
.LBB241_3192:
	s_delay_alu instid0(SALU_CYCLE_1)
	s_and_b32 vcc_lo, exec_lo, s7
	s_mov_b32 s7, 0
	s_cbranch_vccz .LBB241_3194
; %bb.3193:
	s_cmp_lg_u32 s6, 11
	s_mov_b32 s7, -1
	s_cselect_b32 s2, -1, 0
.LBB241_3194:
	s_delay_alu instid0(SALU_CYCLE_1)
	s_and_b32 vcc_lo, exec_lo, s2
	s_cbranch_vccnz .LBB241_3374
; %bb.3195:
	s_and_not1_b32 vcc_lo, exec_lo, s7
	s_cbranch_vccnz .LBB241_3197
.LBB241_3196:
	s_wait_xcnt 0x0
	v_cndmask_b32_e64 v1, 0, 1, s1
	s_mov_b32 s8, -1
	global_store_b8 v[2:3], v1, off
.LBB241_3197:
	s_mov_b32 s2, 0
	s_branch .LBB241_3199
.LBB241_3198:
	s_mov_b32 s2, -1
	s_mov_b32 s8, 0
.LBB241_3199:
	s_and_b32 vcc_lo, exec_lo, s2
	s_cbranch_vccz .LBB241_3238
; %bb.3200:
	s_and_b32 s2, 0xffff, s16
	s_mov_b32 s6, -1
	s_cmp_lt_i32 s2, 5
	s_cbranch_scc1 .LBB241_3221
; %bb.3201:
	s_cmp_lt_i32 s2, 8
	s_cbranch_scc1 .LBB241_3211
; %bb.3202:
	;; [unrolled: 3-line block ×3, first 2 shown]
	s_cmp_gt_i32 s2, 9
	s_cbranch_scc0 .LBB241_3205
; %bb.3204:
	s_wait_xcnt 0x0
	v_cndmask_b32_e64 v1, 0, 1, s1
	v_mov_b32_e32 v12, 0
	s_mov_b32 s6, 0
	s_delay_alu instid0(VALU_DEP_2) | instskip(NEXT) | instid1(VALU_DEP_2)
	v_cvt_f64_u32_e32 v[10:11], v1
	v_mov_b32_e32 v13, v12
	global_store_b128 v[2:3], v[10:13], off
.LBB241_3205:
	s_and_not1_b32 vcc_lo, exec_lo, s6
	s_cbranch_vccnz .LBB241_3207
; %bb.3206:
	s_wait_xcnt 0x0
	v_cndmask_b32_e64 v6, 0, 1.0, s1
	v_mov_b32_e32 v7, 0
	global_store_b64 v[2:3], v[6:7], off
.LBB241_3207:
	s_mov_b32 s6, 0
.LBB241_3208:
	s_delay_alu instid0(SALU_CYCLE_1)
	s_and_not1_b32 vcc_lo, exec_lo, s6
	s_cbranch_vccnz .LBB241_3210
; %bb.3209:
	s_wait_xcnt 0x0
	v_cndmask_b32_e64 v1, 0, 1.0, s1
	s_delay_alu instid0(VALU_DEP_1) | instskip(NEXT) | instid1(VALU_DEP_1)
	v_cvt_f16_f32_e32 v1, v1
	v_and_b32_e32 v1, 0xffff, v1
	global_store_b32 v[2:3], v1, off
.LBB241_3210:
	s_mov_b32 s6, 0
.LBB241_3211:
	s_delay_alu instid0(SALU_CYCLE_1)
	s_and_not1_b32 vcc_lo, exec_lo, s6
	s_cbranch_vccnz .LBB241_3220
; %bb.3212:
	s_cmp_lt_i32 s2, 6
	s_mov_b32 s6, -1
	s_cbranch_scc1 .LBB241_3218
; %bb.3213:
	s_cmp_gt_i32 s2, 6
	s_cbranch_scc0 .LBB241_3215
; %bb.3214:
	s_wait_xcnt 0x0
	v_cndmask_b32_e64 v1, 0, 1, s1
	s_mov_b32 s6, 0
	s_delay_alu instid0(VALU_DEP_1)
	v_cvt_f64_u32_e32 v[6:7], v1
	global_store_b64 v[2:3], v[6:7], off
.LBB241_3215:
	s_and_not1_b32 vcc_lo, exec_lo, s6
	s_cbranch_vccnz .LBB241_3217
; %bb.3216:
	s_wait_xcnt 0x0
	v_cndmask_b32_e64 v1, 0, 1.0, s1
	global_store_b32 v[2:3], v1, off
.LBB241_3217:
	s_mov_b32 s6, 0
.LBB241_3218:
	s_delay_alu instid0(SALU_CYCLE_1)
	s_and_not1_b32 vcc_lo, exec_lo, s6
	s_cbranch_vccnz .LBB241_3220
; %bb.3219:
	s_wait_xcnt 0x0
	v_cndmask_b32_e64 v1, 0, 1.0, s1
	s_delay_alu instid0(VALU_DEP_1)
	v_cvt_f16_f32_e32 v1, v1
	global_store_b16 v[2:3], v1, off
.LBB241_3220:
	s_mov_b32 s6, 0
.LBB241_3221:
	s_delay_alu instid0(SALU_CYCLE_1)
	s_and_not1_b32 vcc_lo, exec_lo, s6
	s_cbranch_vccnz .LBB241_3237
; %bb.3222:
	s_cmp_lt_i32 s2, 2
	s_mov_b32 s6, -1
	s_cbranch_scc1 .LBB241_3232
; %bb.3223:
	s_cmp_lt_i32 s2, 3
	s_cbranch_scc1 .LBB241_3229
; %bb.3224:
	s_cmp_gt_i32 s2, 3
	s_cbranch_scc0 .LBB241_3226
; %bb.3225:
	s_mov_b32 s6, 0
	s_wait_xcnt 0x0
	v_cndmask_b32_e64 v6, 0, 1, s1
	v_mov_b32_e32 v7, s6
	global_store_b64 v[2:3], v[6:7], off
.LBB241_3226:
	s_and_not1_b32 vcc_lo, exec_lo, s6
	s_cbranch_vccnz .LBB241_3228
; %bb.3227:
	s_wait_xcnt 0x0
	v_cndmask_b32_e64 v1, 0, 1, s1
	global_store_b32 v[2:3], v1, off
.LBB241_3228:
	s_mov_b32 s6, 0
.LBB241_3229:
	s_delay_alu instid0(SALU_CYCLE_1)
	s_and_not1_b32 vcc_lo, exec_lo, s6
	s_cbranch_vccnz .LBB241_3231
; %bb.3230:
	s_wait_xcnt 0x0
	v_cndmask_b32_e64 v1, 0, 1, s1
	global_store_b16 v[2:3], v1, off
.LBB241_3231:
	s_mov_b32 s6, 0
.LBB241_3232:
	s_delay_alu instid0(SALU_CYCLE_1)
	s_and_not1_b32 vcc_lo, exec_lo, s6
	s_cbranch_vccnz .LBB241_3237
; %bb.3233:
	s_wait_xcnt 0x0
	v_cndmask_b32_e64 v1, 0, 1, s1
	s_cmp_gt_i32 s2, 0
	s_mov_b32 s1, -1
	s_cbranch_scc0 .LBB241_3235
; %bb.3234:
	s_mov_b32 s1, 0
	global_store_b8 v[2:3], v1, off
.LBB241_3235:
	s_and_not1_b32 vcc_lo, exec_lo, s1
	s_cbranch_vccnz .LBB241_3237
; %bb.3236:
	global_store_b8 v[2:3], v1, off
.LBB241_3237:
	s_mov_b32 s8, -1
.LBB241_3238:
	s_delay_alu instid0(SALU_CYCLE_1)
	s_and_not1_b32 vcc_lo, exec_lo, s8
	s_cbranch_vccnz .LBB241_3315
; %bb.3239:
	s_wait_xcnt 0x0
	v_lshlrev_b32_e32 v1, 25, v8
	v_lshlrev_b16 v2, 8, v8
	s_cmp_lt_i32 s16, 11
	v_add_nc_u32_e32 v0, s3, v0
	s_delay_alu instid0(VALU_DEP_3) | instskip(NEXT) | instid1(VALU_DEP_3)
	v_cmp_gt_u32_e32 vcc_lo, 0x8000000, v1
	v_and_or_b32 v4, 0x7f00, v2, 0.5
	v_lshrrev_b32_e32 v3, 4, v1
	v_bfe_i32 v2, v2, 0, 16
	s_delay_alu instid0(VALU_DEP_3) | instskip(NEXT) | instid1(VALU_DEP_3)
	v_add_f32_e32 v4, -0.5, v4
	v_or_b32_e32 v3, 0x70000000, v3
	s_delay_alu instid0(VALU_DEP_1) | instskip(NEXT) | instid1(VALU_DEP_1)
	v_mul_f32_e32 v3, 0x7800000, v3
	v_cndmask_b32_e32 v1, v3, v4, vcc_lo
	s_delay_alu instid0(VALU_DEP_1) | instskip(NEXT) | instid1(VALU_DEP_1)
	v_and_or_b32 v1, 0x80000000, v2, v1
	v_cmp_eq_f32_e32 vcc_lo, v5, v1
	v_cndmask_b32_e64 v2, 0, 1, vcc_lo
	v_cmp_neq_f32_e32 vcc_lo, v5, v1
	v_cndmask_b32_e64 v1, 0, 1, vcc_lo
	s_delay_alu instid0(VALU_DEP_1) | instskip(NEXT) | instid1(VALU_DEP_1)
	v_dual_cndmask_b32 v2, v1, v2, s0 :: v_dual_ashrrev_i32 v1, 31, v0
	v_and_b32_e32 v2, 1, v2
	s_delay_alu instid0(VALU_DEP_2) | instskip(NEXT) | instid1(VALU_DEP_2)
	v_add_nc_u64_e32 v[0:1], s[4:5], v[0:1]
	v_cmp_eq_u32_e64 s1, 1, v2
	s_cbranch_scc1 .LBB241_3360
; %bb.3240:
	s_and_b32 s2, 0xffff, s16
	s_mov_b32 s4, -1
	s_mov_b32 s3, 0
	s_cmp_gt_i32 s2, 25
	s_mov_b32 s0, 0
	s_cbranch_scc0 .LBB241_3273
; %bb.3241:
	s_cmp_gt_i32 s2, 28
	s_cbranch_scc0 .LBB241_3257
; %bb.3242:
	s_cmp_gt_i32 s2, 43
	;; [unrolled: 3-line block ×3, first 2 shown]
	s_cbranch_scc0 .LBB241_3247
; %bb.3244:
	s_cmp_eq_u32 s2, 46
	s_mov_b32 s0, -1
	s_cbranch_scc0 .LBB241_3246
; %bb.3245:
	v_cndmask_b32_e64 v2, 0, 1.0, s1
	s_mov_b32 s0, 0
	s_delay_alu instid0(VALU_DEP_1) | instskip(NEXT) | instid1(VALU_DEP_1)
	v_bfe_u32 v3, v2, 16, 1
	v_add3_u32 v2, v2, v3, 0x7fff
	s_delay_alu instid0(VALU_DEP_1)
	v_lshrrev_b32_e32 v2, 16, v2
	global_store_b32 v[0:1], v2, off
.LBB241_3246:
	s_mov_b32 s4, 0
.LBB241_3247:
	s_delay_alu instid0(SALU_CYCLE_1)
	s_and_b32 vcc_lo, exec_lo, s4
	s_cbranch_vccz .LBB241_3252
; %bb.3248:
	s_cmp_eq_u32 s2, 44
	s_mov_b32 s0, -1
	s_cbranch_scc0 .LBB241_3252
; %bb.3249:
	v_cndmask_b32_e64 v4, 0, 1.0, s1
	s_mov_b32 s4, exec_lo
	s_wait_xcnt 0x0
	s_delay_alu instid0(VALU_DEP_1) | instskip(NEXT) | instid1(VALU_DEP_1)
	v_dual_mov_b32 v3, 0xff :: v_dual_lshrrev_b32 v2, 23, v4
	v_cmpx_ne_u32_e32 0xff, v2
; %bb.3250:
	v_and_b32_e32 v3, 0x400000, v4
	v_and_or_b32 v4, 0x3fffff, v4, v2
	s_delay_alu instid0(VALU_DEP_2) | instskip(NEXT) | instid1(VALU_DEP_2)
	v_cmp_ne_u32_e32 vcc_lo, 0, v3
	v_cmp_ne_u32_e64 s0, 0, v4
	s_and_b32 s0, vcc_lo, s0
	s_delay_alu instid0(SALU_CYCLE_1) | instskip(NEXT) | instid1(VALU_DEP_1)
	v_cndmask_b32_e64 v3, 0, 1, s0
	v_add_nc_u32_e32 v3, v2, v3
; %bb.3251:
	s_or_b32 exec_lo, exec_lo, s4
	s_mov_b32 s0, 0
	global_store_b8 v[0:1], v3, off
.LBB241_3252:
	s_mov_b32 s4, 0
.LBB241_3253:
	s_delay_alu instid0(SALU_CYCLE_1)
	s_and_b32 vcc_lo, exec_lo, s4
	s_cbranch_vccz .LBB241_3256
; %bb.3254:
	s_cmp_eq_u32 s2, 29
	s_mov_b32 s0, -1
	s_cbranch_scc0 .LBB241_3256
; %bb.3255:
	s_mov_b32 s0, 0
	s_wait_xcnt 0x0
	v_cndmask_b32_e64 v2, 0, 1, s1
	v_mov_b32_e32 v3, s0
	global_store_b64 v[0:1], v[2:3], off
.LBB241_3256:
	s_mov_b32 s4, 0
.LBB241_3257:
	s_delay_alu instid0(SALU_CYCLE_1)
	s_and_b32 vcc_lo, exec_lo, s4
	s_cbranch_vccz .LBB241_3272
; %bb.3258:
	s_cmp_lt_i32 s2, 27
	s_mov_b32 s4, -1
	s_cbranch_scc1 .LBB241_3264
; %bb.3259:
	s_wait_xcnt 0x0
	v_cndmask_b32_e64 v2, 0, 1, s1
	s_cmp_gt_i32 s2, 27
	s_cbranch_scc0 .LBB241_3261
; %bb.3260:
	s_mov_b32 s4, 0
	global_store_b32 v[0:1], v2, off
.LBB241_3261:
	s_and_not1_b32 vcc_lo, exec_lo, s4
	s_cbranch_vccnz .LBB241_3263
; %bb.3262:
	global_store_b16 v[0:1], v2, off
.LBB241_3263:
	s_mov_b32 s4, 0
.LBB241_3264:
	s_delay_alu instid0(SALU_CYCLE_1)
	s_and_not1_b32 vcc_lo, exec_lo, s4
	s_cbranch_vccnz .LBB241_3272
; %bb.3265:
	s_wait_xcnt 0x0
	v_cndmask_b32_e64 v3, 0, 1.0, s1
	v_mov_b32_e32 v4, 0x80
	s_mov_b32 s4, exec_lo
	s_delay_alu instid0(VALU_DEP_2)
	v_cmpx_gt_u32_e32 0x43800000, v3
	s_cbranch_execz .LBB241_3271
; %bb.3266:
	s_mov_b32 s5, 0
	s_mov_b32 s6, exec_lo
                                        ; implicit-def: $vgpr2
	v_cmpx_lt_u32_e32 0x3bffffff, v3
	s_xor_b32 s6, exec_lo, s6
	s_cbranch_execz .LBB241_3377
; %bb.3267:
	v_bfe_u32 v2, v3, 20, 1
	s_mov_b32 s5, exec_lo
	s_delay_alu instid0(VALU_DEP_1) | instskip(NEXT) | instid1(VALU_DEP_1)
	v_add3_u32 v2, v3, v2, 0x487ffff
                                        ; implicit-def: $vgpr3
	v_lshrrev_b32_e32 v2, 20, v2
	s_and_not1_saveexec_b32 s6, s6
	s_cbranch_execnz .LBB241_3378
.LBB241_3268:
	s_or_b32 exec_lo, exec_lo, s6
	v_mov_b32_e32 v4, 0
	s_and_saveexec_b32 s6, s5
.LBB241_3269:
	v_mov_b32_e32 v4, v2
.LBB241_3270:
	s_or_b32 exec_lo, exec_lo, s6
.LBB241_3271:
	s_delay_alu instid0(SALU_CYCLE_1)
	s_or_b32 exec_lo, exec_lo, s4
	global_store_b8 v[0:1], v4, off
.LBB241_3272:
	s_mov_b32 s4, 0
.LBB241_3273:
	s_delay_alu instid0(SALU_CYCLE_1)
	s_and_b32 vcc_lo, exec_lo, s4
	s_cbranch_vccz .LBB241_3313
; %bb.3274:
	s_cmp_gt_i32 s2, 22
	s_mov_b32 s3, -1
	s_cbranch_scc0 .LBB241_3306
; %bb.3275:
	s_cmp_lt_i32 s2, 24
	s_cbranch_scc1 .LBB241_3295
; %bb.3276:
	s_cmp_gt_i32 s2, 24
	s_cbranch_scc0 .LBB241_3284
; %bb.3277:
	s_wait_xcnt 0x0
	v_cndmask_b32_e64 v3, 0, 1.0, s1
	v_mov_b32_e32 v4, 0x80
	s_mov_b32 s3, exec_lo
	s_delay_alu instid0(VALU_DEP_2)
	v_cmpx_gt_u32_e32 0x47800000, v3
	s_cbranch_execz .LBB241_3283
; %bb.3278:
	s_mov_b32 s4, 0
	s_mov_b32 s5, exec_lo
                                        ; implicit-def: $vgpr2
	v_cmpx_lt_u32_e32 0x37ffffff, v3
	s_xor_b32 s5, exec_lo, s5
	s_cbranch_execz .LBB241_3380
; %bb.3279:
	v_bfe_u32 v2, v3, 21, 1
	s_mov_b32 s4, exec_lo
	s_delay_alu instid0(VALU_DEP_1) | instskip(NEXT) | instid1(VALU_DEP_1)
	v_add3_u32 v2, v3, v2, 0x88fffff
                                        ; implicit-def: $vgpr3
	v_lshrrev_b32_e32 v2, 21, v2
	s_and_not1_saveexec_b32 s5, s5
	s_cbranch_execnz .LBB241_3381
.LBB241_3280:
	s_or_b32 exec_lo, exec_lo, s5
	v_mov_b32_e32 v4, 0
	s_and_saveexec_b32 s5, s4
.LBB241_3281:
	v_mov_b32_e32 v4, v2
.LBB241_3282:
	s_or_b32 exec_lo, exec_lo, s5
.LBB241_3283:
	s_delay_alu instid0(SALU_CYCLE_1)
	s_or_b32 exec_lo, exec_lo, s3
	s_mov_b32 s3, 0
	global_store_b8 v[0:1], v4, off
.LBB241_3284:
	s_and_b32 vcc_lo, exec_lo, s3
	s_cbranch_vccz .LBB241_3294
; %bb.3285:
	s_wait_xcnt 0x0
	v_cndmask_b32_e64 v3, 0, 1.0, s1
	s_mov_b32 s3, exec_lo
                                        ; implicit-def: $vgpr2
	s_delay_alu instid0(VALU_DEP_1)
	v_cmpx_gt_u32_e32 0x43f00000, v3
	s_xor_b32 s3, exec_lo, s3
	s_cbranch_execz .LBB241_3291
; %bb.3286:
	s_mov_b32 s4, exec_lo
                                        ; implicit-def: $vgpr2
	v_cmpx_lt_u32_e32 0x3c7fffff, v3
	s_xor_b32 s4, exec_lo, s4
; %bb.3287:
	v_bfe_u32 v2, v3, 20, 1
	s_delay_alu instid0(VALU_DEP_1) | instskip(NEXT) | instid1(VALU_DEP_1)
	v_add3_u32 v2, v3, v2, 0x407ffff
	v_and_b32_e32 v3, 0xff00000, v2
	v_lshrrev_b32_e32 v2, 20, v2
	s_delay_alu instid0(VALU_DEP_2) | instskip(NEXT) | instid1(VALU_DEP_2)
	v_cmp_ne_u32_e32 vcc_lo, 0x7f00000, v3
                                        ; implicit-def: $vgpr3
	v_cndmask_b32_e32 v2, 0x7e, v2, vcc_lo
; %bb.3288:
	s_and_not1_saveexec_b32 s4, s4
; %bb.3289:
	v_add_f32_e32 v2, 0x46800000, v3
; %bb.3290:
	s_or_b32 exec_lo, exec_lo, s4
                                        ; implicit-def: $vgpr3
.LBB241_3291:
	s_and_not1_saveexec_b32 s3, s3
; %bb.3292:
	v_mov_b32_e32 v2, 0x7f
	v_cmp_lt_u32_e32 vcc_lo, 0x7f800000, v3
	s_delay_alu instid0(VALU_DEP_2)
	v_cndmask_b32_e32 v2, 0x7e, v2, vcc_lo
; %bb.3293:
	s_or_b32 exec_lo, exec_lo, s3
	global_store_b8 v[0:1], v2, off
.LBB241_3294:
	s_mov_b32 s3, 0
.LBB241_3295:
	s_delay_alu instid0(SALU_CYCLE_1)
	s_and_not1_b32 vcc_lo, exec_lo, s3
	s_cbranch_vccnz .LBB241_3305
; %bb.3296:
	s_wait_xcnt 0x0
	v_cndmask_b32_e64 v3, 0, 1.0, s1
	s_mov_b32 s3, exec_lo
                                        ; implicit-def: $vgpr2
	s_delay_alu instid0(VALU_DEP_1)
	v_cmpx_gt_u32_e32 0x47800000, v3
	s_xor_b32 s3, exec_lo, s3
	s_cbranch_execz .LBB241_3302
; %bb.3297:
	s_mov_b32 s4, exec_lo
                                        ; implicit-def: $vgpr2
	v_cmpx_lt_u32_e32 0x387fffff, v3
	s_xor_b32 s4, exec_lo, s4
; %bb.3298:
	v_bfe_u32 v2, v3, 21, 1
	s_delay_alu instid0(VALU_DEP_1) | instskip(NEXT) | instid1(VALU_DEP_1)
	v_add3_u32 v2, v3, v2, 0x80fffff
                                        ; implicit-def: $vgpr3
	v_lshrrev_b32_e32 v2, 21, v2
; %bb.3299:
	s_and_not1_saveexec_b32 s4, s4
; %bb.3300:
	v_add_f32_e32 v2, 0x43000000, v3
; %bb.3301:
	s_or_b32 exec_lo, exec_lo, s4
                                        ; implicit-def: $vgpr3
.LBB241_3302:
	s_and_not1_saveexec_b32 s3, s3
; %bb.3303:
	v_mov_b32_e32 v2, 0x7f
	v_cmp_lt_u32_e32 vcc_lo, 0x7f800000, v3
	s_delay_alu instid0(VALU_DEP_2)
	v_cndmask_b32_e32 v2, 0x7c, v2, vcc_lo
; %bb.3304:
	s_or_b32 exec_lo, exec_lo, s3
	global_store_b8 v[0:1], v2, off
.LBB241_3305:
	s_mov_b32 s3, 0
.LBB241_3306:
	s_delay_alu instid0(SALU_CYCLE_1)
	s_and_not1_b32 vcc_lo, exec_lo, s3
	s_mov_b32 s3, 0
	s_cbranch_vccnz .LBB241_3313
; %bb.3307:
	s_cmp_gt_i32 s2, 14
	s_mov_b32 s3, -1
	s_cbranch_scc0 .LBB241_3311
; %bb.3308:
	s_cmp_eq_u32 s2, 15
	s_mov_b32 s0, -1
	s_cbranch_scc0 .LBB241_3310
; %bb.3309:
	s_wait_xcnt 0x0
	v_cndmask_b32_e64 v2, 0, 1.0, s1
	s_mov_b32 s0, 0
	s_delay_alu instid0(VALU_DEP_1) | instskip(NEXT) | instid1(VALU_DEP_1)
	v_bfe_u32 v3, v2, 16, 1
	v_add3_u32 v2, v2, v3, 0x7fff
	global_store_d16_hi_b16 v[0:1], v2, off
.LBB241_3310:
	s_mov_b32 s3, 0
.LBB241_3311:
	s_delay_alu instid0(SALU_CYCLE_1)
	s_and_b32 vcc_lo, exec_lo, s3
	s_mov_b32 s3, 0
	s_cbranch_vccz .LBB241_3313
; %bb.3312:
	s_cmp_lg_u32 s2, 11
	s_mov_b32 s3, -1
	s_cselect_b32 s0, -1, 0
.LBB241_3313:
	s_delay_alu instid0(SALU_CYCLE_1)
	s_and_b32 vcc_lo, exec_lo, s0
	s_cbranch_vccnz .LBB241_3379
.LBB241_3314:
	s_mov_b32 s0, 0
	s_branch .LBB241_3316
.LBB241_3315:
	s_mov_b32 s0, 0
	s_mov_b32 s3, 0
                                        ; implicit-def: $sgpr1
                                        ; implicit-def: $sgpr16
                                        ; implicit-def: $vgpr0_vgpr1
.LBB241_3316:
	s_and_not1_b32 s2, s15, exec_lo
	s_and_b32 s4, s12, exec_lo
	s_and_b32 s0, s0, exec_lo
	;; [unrolled: 1-line block ×3, first 2 shown]
	s_or_b32 s15, s2, s4
.LBB241_3317:
	s_wait_xcnt 0x0
	s_or_b32 exec_lo, exec_lo, s14
	s_and_saveexec_b32 s2, s15
	s_cbranch_execz .LBB241_3320
; %bb.3318:
	; divergent unreachable
	s_or_b32 exec_lo, exec_lo, s2
	s_and_saveexec_b32 s2, s12
	s_delay_alu instid0(SALU_CYCLE_1)
	s_xor_b32 s2, exec_lo, s2
	s_cbranch_execnz .LBB241_3321
.LBB241_3319:
	s_or_b32 exec_lo, exec_lo, s2
	s_and_saveexec_b32 s2, s0
	s_cbranch_execnz .LBB241_3322
	s_branch .LBB241_3359
.LBB241_3320:
	s_or_b32 exec_lo, exec_lo, s2
	s_and_saveexec_b32 s2, s12
	s_delay_alu instid0(SALU_CYCLE_1)
	s_xor_b32 s2, exec_lo, s2
	s_cbranch_execz .LBB241_3319
.LBB241_3321:
	s_wait_loadcnt 0x0
	v_cndmask_b32_e64 v2, 0, 1, s1
	global_store_b8 v[0:1], v2, off
	s_wait_xcnt 0x0
	s_or_b32 exec_lo, exec_lo, s2
	s_and_saveexec_b32 s2, s0
	s_cbranch_execz .LBB241_3359
.LBB241_3322:
	s_sext_i32_i16 s2, s16
	s_mov_b32 s0, -1
	s_cmp_lt_i32 s2, 5
	s_cbranch_scc1 .LBB241_3343
; %bb.3323:
	s_cmp_lt_i32 s2, 8
	s_cbranch_scc1 .LBB241_3333
; %bb.3324:
	s_cmp_lt_i32 s2, 9
	s_cbranch_scc1 .LBB241_3330
; %bb.3325:
	s_cmp_gt_i32 s2, 9
	s_cbranch_scc0 .LBB241_3327
; %bb.3326:
	s_wait_loadcnt 0x0
	v_cndmask_b32_e64 v2, 0, 1, s1
	v_mov_b32_e32 v4, 0
	s_mov_b32 s0, 0
	s_delay_alu instid0(VALU_DEP_2) | instskip(NEXT) | instid1(VALU_DEP_2)
	v_cvt_f64_u32_e32 v[2:3], v2
	v_mov_b32_e32 v5, v4
	global_store_b128 v[0:1], v[2:5], off
.LBB241_3327:
	s_and_not1_b32 vcc_lo, exec_lo, s0
	s_cbranch_vccnz .LBB241_3329
; %bb.3328:
	s_wait_loadcnt 0x0
	v_cndmask_b32_e64 v2, 0, 1.0, s1
	v_mov_b32_e32 v3, 0
	global_store_b64 v[0:1], v[2:3], off
.LBB241_3329:
	s_mov_b32 s0, 0
.LBB241_3330:
	s_delay_alu instid0(SALU_CYCLE_1)
	s_and_not1_b32 vcc_lo, exec_lo, s0
	s_cbranch_vccnz .LBB241_3332
; %bb.3331:
	s_wait_loadcnt 0x0
	v_cndmask_b32_e64 v2, 0, 1.0, s1
	s_delay_alu instid0(VALU_DEP_1) | instskip(NEXT) | instid1(VALU_DEP_1)
	v_cvt_f16_f32_e32 v2, v2
	v_and_b32_e32 v2, 0xffff, v2
	global_store_b32 v[0:1], v2, off
.LBB241_3332:
	s_mov_b32 s0, 0
.LBB241_3333:
	s_delay_alu instid0(SALU_CYCLE_1)
	s_and_not1_b32 vcc_lo, exec_lo, s0
	s_cbranch_vccnz .LBB241_3342
; %bb.3334:
	s_sext_i32_i16 s2, s16
	s_mov_b32 s0, -1
	s_cmp_lt_i32 s2, 6
	s_cbranch_scc1 .LBB241_3340
; %bb.3335:
	s_cmp_gt_i32 s2, 6
	s_cbranch_scc0 .LBB241_3337
; %bb.3336:
	s_wait_loadcnt 0x0
	v_cndmask_b32_e64 v2, 0, 1, s1
	s_mov_b32 s0, 0
	s_delay_alu instid0(VALU_DEP_1)
	v_cvt_f64_u32_e32 v[2:3], v2
	global_store_b64 v[0:1], v[2:3], off
.LBB241_3337:
	s_and_not1_b32 vcc_lo, exec_lo, s0
	s_cbranch_vccnz .LBB241_3339
; %bb.3338:
	s_wait_loadcnt 0x0
	v_cndmask_b32_e64 v2, 0, 1.0, s1
	global_store_b32 v[0:1], v2, off
.LBB241_3339:
	s_mov_b32 s0, 0
.LBB241_3340:
	s_delay_alu instid0(SALU_CYCLE_1)
	s_and_not1_b32 vcc_lo, exec_lo, s0
	s_cbranch_vccnz .LBB241_3342
; %bb.3341:
	s_wait_loadcnt 0x0
	v_cndmask_b32_e64 v2, 0, 1.0, s1
	s_delay_alu instid0(VALU_DEP_1)
	v_cvt_f16_f32_e32 v2, v2
	global_store_b16 v[0:1], v2, off
.LBB241_3342:
	s_mov_b32 s0, 0
.LBB241_3343:
	s_delay_alu instid0(SALU_CYCLE_1)
	s_and_not1_b32 vcc_lo, exec_lo, s0
	s_cbranch_vccnz .LBB241_3359
; %bb.3344:
	s_sext_i32_i16 s2, s16
	s_mov_b32 s0, -1
	s_cmp_lt_i32 s2, 2
	s_cbranch_scc1 .LBB241_3354
; %bb.3345:
	s_cmp_lt_i32 s2, 3
	s_cbranch_scc1 .LBB241_3351
; %bb.3346:
	s_cmp_gt_i32 s2, 3
	s_cbranch_scc0 .LBB241_3348
; %bb.3347:
	s_mov_b32 s0, 0
	s_wait_loadcnt 0x0
	v_cndmask_b32_e64 v2, 0, 1, s1
	v_mov_b32_e32 v3, s0
	global_store_b64 v[0:1], v[2:3], off
.LBB241_3348:
	s_and_not1_b32 vcc_lo, exec_lo, s0
	s_cbranch_vccnz .LBB241_3350
; %bb.3349:
	s_wait_loadcnt 0x0
	v_cndmask_b32_e64 v2, 0, 1, s1
	global_store_b32 v[0:1], v2, off
.LBB241_3350:
	s_mov_b32 s0, 0
.LBB241_3351:
	s_delay_alu instid0(SALU_CYCLE_1)
	s_and_not1_b32 vcc_lo, exec_lo, s0
	s_cbranch_vccnz .LBB241_3353
; %bb.3352:
	s_wait_loadcnt 0x0
	v_cndmask_b32_e64 v2, 0, 1, s1
	global_store_b16 v[0:1], v2, off
.LBB241_3353:
	s_mov_b32 s0, 0
.LBB241_3354:
	s_delay_alu instid0(SALU_CYCLE_1)
	s_and_not1_b32 vcc_lo, exec_lo, s0
	s_cbranch_vccnz .LBB241_3359
; %bb.3355:
	s_wait_loadcnt 0x0
	v_cndmask_b32_e64 v2, 0, 1, s1
	s_sext_i32_i16 s0, s16
	s_delay_alu instid0(SALU_CYCLE_1)
	s_cmp_gt_i32 s0, 0
	s_mov_b32 s0, -1
	s_cbranch_scc0 .LBB241_3357
; %bb.3356:
	s_mov_b32 s0, 0
	global_store_b8 v[0:1], v2, off
.LBB241_3357:
	s_and_not1_b32 vcc_lo, exec_lo, s0
	s_cbranch_vccnz .LBB241_3359
; %bb.3358:
	global_store_b8 v[0:1], v2, off
	s_endpgm
.LBB241_3359:
	s_endpgm
.LBB241_3360:
	s_mov_b32 s3, 0
	s_mov_b32 s0, -1
	s_branch .LBB241_3316
.LBB241_3361:
	s_or_b32 s12, s12, exec_lo
	s_trap 2
	s_cbranch_execz .LBB241_2735
	s_branch .LBB241_2744
.LBB241_3362:
	s_and_not1_saveexec_b32 s10, s10
	s_cbranch_execz .LBB241_2911
.LBB241_3363:
	v_add_f32_e32 v1, 0x46000000, v4
	s_and_not1_b32 s9, s9, exec_lo
	s_delay_alu instid0(VALU_DEP_1) | instskip(NEXT) | instid1(VALU_DEP_1)
	v_and_b32_e32 v1, 0xff, v1
	v_cmp_ne_u32_e32 vcc_lo, 0, v1
	s_and_b32 s11, vcc_lo, exec_lo
	s_delay_alu instid0(SALU_CYCLE_1)
	s_or_b32 s9, s9, s11
	s_or_b32 exec_lo, exec_lo, s10
	v_mov_b32_e32 v9, 0
	s_and_saveexec_b32 s10, s9
	s_cbranch_execnz .LBB241_2912
	s_branch .LBB241_2913
.LBB241_3364:
	s_or_b32 s12, s12, exec_lo
	s_trap 2
	s_cbranch_execz .LBB241_2959
	s_branch .LBB241_2960
.LBB241_3365:
	s_and_not1_saveexec_b32 s9, s9
	s_cbranch_execz .LBB241_2924
.LBB241_3366:
	v_add_f32_e32 v1, 0x42800000, v4
	s_and_not1_b32 s7, s7, exec_lo
	s_delay_alu instid0(VALU_DEP_1) | instskip(NEXT) | instid1(VALU_DEP_1)
	v_and_b32_e32 v1, 0xff, v1
	v_cmp_ne_u32_e32 vcc_lo, 0, v1
	s_and_b32 s10, vcc_lo, exec_lo
	s_delay_alu instid0(SALU_CYCLE_1)
	s_or_b32 s7, s7, s10
	s_or_b32 exec_lo, exec_lo, s9
	v_mov_b32_e32 v9, 0
	s_and_saveexec_b32 s9, s7
	s_cbranch_execnz .LBB241_2925
	s_branch .LBB241_2926
.LBB241_3367:
	s_and_not1_saveexec_b32 s10, s10
	s_cbranch_execz .LBB241_3029
.LBB241_3368:
	v_add_f32_e32 v1, 0x46000000, v4
	s_and_not1_b32 s9, s9, exec_lo
	s_delay_alu instid0(VALU_DEP_1) | instskip(NEXT) | instid1(VALU_DEP_1)
	v_and_b32_e32 v1, 0xff, v1
	v_cmp_ne_u32_e32 vcc_lo, 0, v1
	s_and_b32 s11, vcc_lo, exec_lo
	s_delay_alu instid0(SALU_CYCLE_1)
	s_or_b32 s9, s9, s11
	s_or_b32 exec_lo, exec_lo, s10
	v_mov_b32_e32 v6, 0
	s_and_saveexec_b32 s10, s9
	s_cbranch_execnz .LBB241_3030
	s_branch .LBB241_3031
.LBB241_3369:
	s_or_b32 s12, s12, exec_lo
	s_trap 2
	s_cbranch_execz .LBB241_3077
	s_branch .LBB241_3078
.LBB241_3370:
	s_and_not1_saveexec_b32 s9, s9
	s_cbranch_execz .LBB241_3042
.LBB241_3371:
	v_add_f32_e32 v1, 0x42800000, v4
	s_and_not1_b32 s8, s8, exec_lo
	s_delay_alu instid0(VALU_DEP_1) | instskip(NEXT) | instid1(VALU_DEP_1)
	v_and_b32_e32 v1, 0xff, v1
	v_cmp_ne_u32_e32 vcc_lo, 0, v1
	s_and_b32 s10, vcc_lo, exec_lo
	s_delay_alu instid0(SALU_CYCLE_1)
	s_or_b32 s8, s8, s10
	s_or_b32 exec_lo, exec_lo, s9
	v_mov_b32_e32 v6, 0
	s_and_saveexec_b32 s9, s8
	s_cbranch_execnz .LBB241_3043
	s_branch .LBB241_3044
.LBB241_3372:
	s_and_not1_saveexec_b32 s10, s10
	s_cbranch_execz .LBB241_3148
.LBB241_3373:
	v_add_f32_e32 v1, 0x46000000, v4
	s_and_not1_b32 s9, s9, exec_lo
	s_delay_alu instid0(VALU_DEP_1) | instskip(NEXT) | instid1(VALU_DEP_1)
	v_and_b32_e32 v1, 0xff, v1
	v_cmp_ne_u32_e32 vcc_lo, 0, v1
	s_and_b32 s11, vcc_lo, exec_lo
	s_delay_alu instid0(SALU_CYCLE_1)
	s_or_b32 s9, s9, s11
	s_or_b32 exec_lo, exec_lo, s10
	v_mov_b32_e32 v6, 0
	s_and_saveexec_b32 s10, s9
	s_cbranch_execnz .LBB241_3149
	s_branch .LBB241_3150
.LBB241_3374:
	s_or_b32 s12, s12, exec_lo
	s_trap 2
	s_cbranch_execz .LBB241_3196
	s_branch .LBB241_3197
.LBB241_3375:
	s_and_not1_saveexec_b32 s9, s9
	s_cbranch_execz .LBB241_3161
.LBB241_3376:
	v_add_f32_e32 v1, 0x42800000, v4
	s_and_not1_b32 s8, s8, exec_lo
	s_delay_alu instid0(VALU_DEP_1) | instskip(NEXT) | instid1(VALU_DEP_1)
	v_and_b32_e32 v1, 0xff, v1
	v_cmp_ne_u32_e32 vcc_lo, 0, v1
	s_and_b32 s10, vcc_lo, exec_lo
	s_delay_alu instid0(SALU_CYCLE_1)
	s_or_b32 s8, s8, s10
	s_or_b32 exec_lo, exec_lo, s9
	v_mov_b32_e32 v6, 0
	s_and_saveexec_b32 s9, s8
	s_cbranch_execnz .LBB241_3162
	s_branch .LBB241_3163
.LBB241_3377:
	s_and_not1_saveexec_b32 s6, s6
	s_cbranch_execz .LBB241_3268
.LBB241_3378:
	v_add_f32_e32 v2, 0x46000000, v3
	s_and_not1_b32 s5, s5, exec_lo
	s_delay_alu instid0(VALU_DEP_1) | instskip(NEXT) | instid1(VALU_DEP_1)
	v_and_b32_e32 v2, 0xff, v2
	v_cmp_ne_u32_e32 vcc_lo, 0, v2
	s_and_b32 s7, vcc_lo, exec_lo
	s_delay_alu instid0(SALU_CYCLE_1)
	s_or_b32 s5, s5, s7
	s_or_b32 exec_lo, exec_lo, s6
	v_mov_b32_e32 v4, 0
	s_and_saveexec_b32 s6, s5
	s_cbranch_execnz .LBB241_3269
	s_branch .LBB241_3270
.LBB241_3379:
	s_mov_b32 s3, 0
	s_or_b32 s12, s12, exec_lo
	s_trap 2
	s_branch .LBB241_3314
.LBB241_3380:
	s_and_not1_saveexec_b32 s5, s5
	s_cbranch_execz .LBB241_3280
.LBB241_3381:
	v_add_f32_e32 v2, 0x42800000, v3
	s_and_not1_b32 s4, s4, exec_lo
	s_delay_alu instid0(VALU_DEP_1) | instskip(NEXT) | instid1(VALU_DEP_1)
	v_and_b32_e32 v2, 0xff, v2
	v_cmp_ne_u32_e32 vcc_lo, 0, v2
	s_and_b32 s6, vcc_lo, exec_lo
	s_delay_alu instid0(SALU_CYCLE_1)
	s_or_b32 s4, s4, s6
	s_or_b32 exec_lo, exec_lo, s5
	v_mov_b32_e32 v4, 0
	s_and_saveexec_b32 s5, s4
	s_cbranch_execnz .LBB241_3281
	s_branch .LBB241_3282
	.section	.rodata,"a",@progbits
	.p2align	6, 0x0
	.amdhsa_kernel _ZN2at6native32elementwise_kernel_manual_unrollILi128ELi4EZNS0_15gpu_kernel_implINS0_13AUnaryFunctorIN3c1011Float8_e5m2ES5_bNS0_12_GLOBAL__N_116CompareEqFunctorIS5_EEEEEEvRNS_18TensorIteratorBaseERKT_EUlibE_EEviT1_
		.amdhsa_group_segment_fixed_size 0
		.amdhsa_private_segment_fixed_size 0
		.amdhsa_kernarg_size 48
		.amdhsa_user_sgpr_count 2
		.amdhsa_user_sgpr_dispatch_ptr 0
		.amdhsa_user_sgpr_queue_ptr 0
		.amdhsa_user_sgpr_kernarg_segment_ptr 1
		.amdhsa_user_sgpr_dispatch_id 0
		.amdhsa_user_sgpr_kernarg_preload_length 0
		.amdhsa_user_sgpr_kernarg_preload_offset 0
		.amdhsa_user_sgpr_private_segment_size 0
		.amdhsa_wavefront_size32 1
		.amdhsa_uses_dynamic_stack 0
		.amdhsa_enable_private_segment 0
		.amdhsa_system_sgpr_workgroup_id_x 1
		.amdhsa_system_sgpr_workgroup_id_y 0
		.amdhsa_system_sgpr_workgroup_id_z 0
		.amdhsa_system_sgpr_workgroup_info 0
		.amdhsa_system_vgpr_workitem_id 0
		.amdhsa_next_free_vgpr 14
		.amdhsa_next_free_sgpr 31
		.amdhsa_named_barrier_count 0
		.amdhsa_reserve_vcc 1
		.amdhsa_float_round_mode_32 0
		.amdhsa_float_round_mode_16_64 0
		.amdhsa_float_denorm_mode_32 3
		.amdhsa_float_denorm_mode_16_64 3
		.amdhsa_fp16_overflow 0
		.amdhsa_memory_ordered 1
		.amdhsa_forward_progress 1
		.amdhsa_inst_pref_size 255
		.amdhsa_round_robin_scheduling 0
		.amdhsa_exception_fp_ieee_invalid_op 0
		.amdhsa_exception_fp_denorm_src 0
		.amdhsa_exception_fp_ieee_div_zero 0
		.amdhsa_exception_fp_ieee_overflow 0
		.amdhsa_exception_fp_ieee_underflow 0
		.amdhsa_exception_fp_ieee_inexact 0
		.amdhsa_exception_int_div_zero 0
	.end_amdhsa_kernel
	.section	.text._ZN2at6native32elementwise_kernel_manual_unrollILi128ELi4EZNS0_15gpu_kernel_implINS0_13AUnaryFunctorIN3c1011Float8_e5m2ES5_bNS0_12_GLOBAL__N_116CompareEqFunctorIS5_EEEEEEvRNS_18TensorIteratorBaseERKT_EUlibE_EEviT1_,"axG",@progbits,_ZN2at6native32elementwise_kernel_manual_unrollILi128ELi4EZNS0_15gpu_kernel_implINS0_13AUnaryFunctorIN3c1011Float8_e5m2ES5_bNS0_12_GLOBAL__N_116CompareEqFunctorIS5_EEEEEEvRNS_18TensorIteratorBaseERKT_EUlibE_EEviT1_,comdat
.Lfunc_end241:
	.size	_ZN2at6native32elementwise_kernel_manual_unrollILi128ELi4EZNS0_15gpu_kernel_implINS0_13AUnaryFunctorIN3c1011Float8_e5m2ES5_bNS0_12_GLOBAL__N_116CompareEqFunctorIS5_EEEEEEvRNS_18TensorIteratorBaseERKT_EUlibE_EEviT1_, .Lfunc_end241-_ZN2at6native32elementwise_kernel_manual_unrollILi128ELi4EZNS0_15gpu_kernel_implINS0_13AUnaryFunctorIN3c1011Float8_e5m2ES5_bNS0_12_GLOBAL__N_116CompareEqFunctorIS5_EEEEEEvRNS_18TensorIteratorBaseERKT_EUlibE_EEviT1_
                                        ; -- End function
	.set _ZN2at6native32elementwise_kernel_manual_unrollILi128ELi4EZNS0_15gpu_kernel_implINS0_13AUnaryFunctorIN3c1011Float8_e5m2ES5_bNS0_12_GLOBAL__N_116CompareEqFunctorIS5_EEEEEEvRNS_18TensorIteratorBaseERKT_EUlibE_EEviT1_.num_vgpr, 14
	.set _ZN2at6native32elementwise_kernel_manual_unrollILi128ELi4EZNS0_15gpu_kernel_implINS0_13AUnaryFunctorIN3c1011Float8_e5m2ES5_bNS0_12_GLOBAL__N_116CompareEqFunctorIS5_EEEEEEvRNS_18TensorIteratorBaseERKT_EUlibE_EEviT1_.num_agpr, 0
	.set _ZN2at6native32elementwise_kernel_manual_unrollILi128ELi4EZNS0_15gpu_kernel_implINS0_13AUnaryFunctorIN3c1011Float8_e5m2ES5_bNS0_12_GLOBAL__N_116CompareEqFunctorIS5_EEEEEEvRNS_18TensorIteratorBaseERKT_EUlibE_EEviT1_.numbered_sgpr, 31
	.set _ZN2at6native32elementwise_kernel_manual_unrollILi128ELi4EZNS0_15gpu_kernel_implINS0_13AUnaryFunctorIN3c1011Float8_e5m2ES5_bNS0_12_GLOBAL__N_116CompareEqFunctorIS5_EEEEEEvRNS_18TensorIteratorBaseERKT_EUlibE_EEviT1_.num_named_barrier, 0
	.set _ZN2at6native32elementwise_kernel_manual_unrollILi128ELi4EZNS0_15gpu_kernel_implINS0_13AUnaryFunctorIN3c1011Float8_e5m2ES5_bNS0_12_GLOBAL__N_116CompareEqFunctorIS5_EEEEEEvRNS_18TensorIteratorBaseERKT_EUlibE_EEviT1_.private_seg_size, 0
	.set _ZN2at6native32elementwise_kernel_manual_unrollILi128ELi4EZNS0_15gpu_kernel_implINS0_13AUnaryFunctorIN3c1011Float8_e5m2ES5_bNS0_12_GLOBAL__N_116CompareEqFunctorIS5_EEEEEEvRNS_18TensorIteratorBaseERKT_EUlibE_EEviT1_.uses_vcc, 1
	.set _ZN2at6native32elementwise_kernel_manual_unrollILi128ELi4EZNS0_15gpu_kernel_implINS0_13AUnaryFunctorIN3c1011Float8_e5m2ES5_bNS0_12_GLOBAL__N_116CompareEqFunctorIS5_EEEEEEvRNS_18TensorIteratorBaseERKT_EUlibE_EEviT1_.uses_flat_scratch, 0
	.set _ZN2at6native32elementwise_kernel_manual_unrollILi128ELi4EZNS0_15gpu_kernel_implINS0_13AUnaryFunctorIN3c1011Float8_e5m2ES5_bNS0_12_GLOBAL__N_116CompareEqFunctorIS5_EEEEEEvRNS_18TensorIteratorBaseERKT_EUlibE_EEviT1_.has_dyn_sized_stack, 0
	.set _ZN2at6native32elementwise_kernel_manual_unrollILi128ELi4EZNS0_15gpu_kernel_implINS0_13AUnaryFunctorIN3c1011Float8_e5m2ES5_bNS0_12_GLOBAL__N_116CompareEqFunctorIS5_EEEEEEvRNS_18TensorIteratorBaseERKT_EUlibE_EEviT1_.has_recursion, 0
	.set _ZN2at6native32elementwise_kernel_manual_unrollILi128ELi4EZNS0_15gpu_kernel_implINS0_13AUnaryFunctorIN3c1011Float8_e5m2ES5_bNS0_12_GLOBAL__N_116CompareEqFunctorIS5_EEEEEEvRNS_18TensorIteratorBaseERKT_EUlibE_EEviT1_.has_indirect_call, 0
	.section	.AMDGPU.csdata,"",@progbits
; Kernel info:
; codeLenInByte = 60904
; TotalNumSgprs: 33
; NumVgprs: 14
; ScratchSize: 0
; MemoryBound: 0
; FloatMode: 240
; IeeeMode: 1
; LDSByteSize: 0 bytes/workgroup (compile time only)
; SGPRBlocks: 0
; VGPRBlocks: 0
; NumSGPRsForWavesPerEU: 33
; NumVGPRsForWavesPerEU: 14
; NamedBarCnt: 0
; Occupancy: 16
; WaveLimiterHint : 0
; COMPUTE_PGM_RSRC2:SCRATCH_EN: 0
; COMPUTE_PGM_RSRC2:USER_SGPR: 2
; COMPUTE_PGM_RSRC2:TRAP_HANDLER: 0
; COMPUTE_PGM_RSRC2:TGID_X_EN: 1
; COMPUTE_PGM_RSRC2:TGID_Y_EN: 0
; COMPUTE_PGM_RSRC2:TGID_Z_EN: 0
; COMPUTE_PGM_RSRC2:TIDIG_COMP_CNT: 0
	.section	.text._ZN2at6native32elementwise_kernel_manual_unrollILi128ELi4EZNS0_15gpu_kernel_implINS0_13AUnaryFunctorIN3c1011Float8_e5m2ES5_bNS0_12_GLOBAL__N_116CompareEqFunctorIS5_EEEEEEvRNS_18TensorIteratorBaseERKT_EUlibE0_EEviT1_,"axG",@progbits,_ZN2at6native32elementwise_kernel_manual_unrollILi128ELi4EZNS0_15gpu_kernel_implINS0_13AUnaryFunctorIN3c1011Float8_e5m2ES5_bNS0_12_GLOBAL__N_116CompareEqFunctorIS5_EEEEEEvRNS_18TensorIteratorBaseERKT_EUlibE0_EEviT1_,comdat
	.globl	_ZN2at6native32elementwise_kernel_manual_unrollILi128ELi4EZNS0_15gpu_kernel_implINS0_13AUnaryFunctorIN3c1011Float8_e5m2ES5_bNS0_12_GLOBAL__N_116CompareEqFunctorIS5_EEEEEEvRNS_18TensorIteratorBaseERKT_EUlibE0_EEviT1_ ; -- Begin function _ZN2at6native32elementwise_kernel_manual_unrollILi128ELi4EZNS0_15gpu_kernel_implINS0_13AUnaryFunctorIN3c1011Float8_e5m2ES5_bNS0_12_GLOBAL__N_116CompareEqFunctorIS5_EEEEEEvRNS_18TensorIteratorBaseERKT_EUlibE0_EEviT1_
	.p2align	8
	.type	_ZN2at6native32elementwise_kernel_manual_unrollILi128ELi4EZNS0_15gpu_kernel_implINS0_13AUnaryFunctorIN3c1011Float8_e5m2ES5_bNS0_12_GLOBAL__N_116CompareEqFunctorIS5_EEEEEEvRNS_18TensorIteratorBaseERKT_EUlibE0_EEviT1_,@function
_ZN2at6native32elementwise_kernel_manual_unrollILi128ELi4EZNS0_15gpu_kernel_implINS0_13AUnaryFunctorIN3c1011Float8_e5m2ES5_bNS0_12_GLOBAL__N_116CompareEqFunctorIS5_EEEEEEvRNS_18TensorIteratorBaseERKT_EUlibE0_EEviT1_: ; @_ZN2at6native32elementwise_kernel_manual_unrollILi128ELi4EZNS0_15gpu_kernel_implINS0_13AUnaryFunctorIN3c1011Float8_e5m2ES5_bNS0_12_GLOBAL__N_116CompareEqFunctorIS5_EEEEEEvRNS_18TensorIteratorBaseERKT_EUlibE0_EEviT1_
; %bb.0:
	s_clause 0x1
	s_load_b32 s19, s[0:1], 0x8
	s_load_b32 s39, s[0:1], 0x0
	s_bfe_u32 s2, ttmp6, 0x4000c
	s_and_b32 s3, ttmp6, 15
	s_add_co_i32 s2, s2, 1
	s_getreg_b32 s4, hwreg(HW_REG_IB_STS2, 6, 4)
	s_mul_i32 s2, ttmp9, s2
	s_mov_b32 s34, 0
	s_add_co_i32 s3, s3, s2
	s_cmp_eq_u32 s4, 0
	s_mov_b32 s28, -1
	s_cselect_b32 s2, ttmp9, s3
	s_add_nc_u64 s[20:21], s[0:1], 8
	v_lshl_or_b32 v0, s2, 9, v0
	s_mov_b32 s8, 0
	s_wait_xcnt 0x0
	s_mov_b32 s0, exec_lo
	s_delay_alu instid0(VALU_DEP_1) | instskip(SKIP_2) | instid1(SALU_CYCLE_1)
	v_or_b32_e32 v9, 0x180, v0
	s_wait_kmcnt 0x0
	s_add_co_i32 s33, s19, -1
	s_cmp_gt_u32 s33, 1
	s_cselect_b32 s35, -1, 0
	v_cmpx_le_i32_e64 s39, v9
	s_xor_b32 s36, exec_lo, s0
	s_cbranch_execz .LBB242_1764
; %bb.1:
	s_load_b96 s[16:18], s[20:21], 0x158
	s_cmp_lg_u32 s19, 0
	s_clause 0x1
	s_load_b128 s[8:11], s[20:21], 0x4
	s_load_b64 s[2:3], s[20:21], 0x14
	s_cselect_b32 s41, -1, 0
	s_min_u32 s40, s33, 15
	s_cmp_gt_u32 s19, 1
	s_clause 0x1
	s_load_b128 s[12:15], s[20:21], 0xc4
	s_load_b128 s[4:7], s[20:21], 0x148
	s_cselect_b32 s38, -1, 0
	s_mov_b32 s23, 0
	s_add_nc_u64 s[26:27], s[20:21], 0xc4
	s_mov_b32 s25, s23
	s_mov_b32 s43, s23
	;; [unrolled: 1-line block ×3, first 2 shown]
	s_mov_b32 s44, exec_lo
	s_wait_kmcnt 0x0
	s_bfe_u32 s37, s18, 0x80008
	s_cmp_eq_u32 s16, 0
	s_mov_b32 s24, s2
	s_cselect_b32 s0, -1, 0
	s_lshl_b32 s1, s17, 8
	s_lshl_b32 s16, s17, 25
	s_and_b32 s1, s1, 0x7f00
	s_lshr_b32 s22, s16, 4
	s_or_b32 s1, s1, 0.5
	s_or_b32 s22, s22, 0x70000000
	s_add_f32 s1, s1, -0.5
	s_mul_f32 s22, s22, 0x7800000
	s_cmp_lt_u32 s16, 0x8000000
	s_delay_alu instid0(SALU_CYCLE_2) | instskip(SKIP_3) | instid1(SALU_CYCLE_1)
	s_cselect_b32 s1, s1, s22
	s_lshl_b32 s16, s17, 24
	s_mov_b32 s22, s9
	s_and_b32 s9, s16, 0x80000000
	s_or_b32 s9, s9, s1
	v_cmpx_gt_i32_e64 s39, v0
	s_cbranch_execz .LBB242_434
; %bb.2:
	s_and_not1_b32 vcc_lo, exec_lo, s35
	s_cbranch_vccnz .LBB242_8
; %bb.3:
	s_and_not1_b32 vcc_lo, exec_lo, s41
	s_cbranch_vccnz .LBB242_9
; %bb.4:
	s_add_co_i32 s1, s40, 1
	s_cmp_eq_u32 s33, 2
	s_cbranch_scc1 .LBB242_10
; %bb.5:
	v_dual_mov_b32 v2, 0 :: v_dual_mov_b32 v4, 0
	v_mov_b32_e32 v1, v0
	s_and_b32 s16, s1, 28
	s_mov_b32 s2, 0
	s_mov_b64 s[28:29], s[20:21]
	s_mov_b64 s[30:31], s[26:27]
.LBB242_6:                              ; =>This Inner Loop Header: Depth=1
	s_clause 0x1
	s_load_b256 s[48:55], s[28:29], 0x4
	s_load_b128 s[64:67], s[28:29], 0x24
	s_load_b256 s[56:63], s[30:31], 0x0
	s_add_co_i32 s2, s2, 4
	s_wait_xcnt 0x0
	s_add_nc_u64 s[28:29], s[28:29], 48
	s_cmp_lg_u32 s16, s2
	s_add_nc_u64 s[30:31], s[30:31], 32
	s_wait_kmcnt 0x0
	v_mul_hi_u32 v3, s49, v1
	s_delay_alu instid0(VALU_DEP_1) | instskip(NEXT) | instid1(VALU_DEP_1)
	v_add_nc_u32_e32 v3, v1, v3
	v_lshrrev_b32_e32 v3, s50, v3
	s_delay_alu instid0(VALU_DEP_1) | instskip(NEXT) | instid1(VALU_DEP_1)
	v_mul_hi_u32 v5, s52, v3
	v_add_nc_u32_e32 v5, v3, v5
	s_delay_alu instid0(VALU_DEP_1) | instskip(NEXT) | instid1(VALU_DEP_1)
	v_lshrrev_b32_e32 v5, s53, v5
	v_mul_hi_u32 v6, s55, v5
	s_delay_alu instid0(VALU_DEP_1) | instskip(SKIP_1) | instid1(VALU_DEP_1)
	v_add_nc_u32_e32 v6, v5, v6
	v_mul_lo_u32 v7, v3, s48
	v_sub_nc_u32_e32 v1, v1, v7
	v_mul_lo_u32 v7, v5, s51
	s_delay_alu instid0(VALU_DEP_4) | instskip(NEXT) | instid1(VALU_DEP_3)
	v_lshrrev_b32_e32 v6, s64, v6
	v_mad_u32 v4, v1, s57, v4
	v_mad_u32 v1, v1, s56, v2
	s_delay_alu instid0(VALU_DEP_4) | instskip(NEXT) | instid1(VALU_DEP_4)
	v_sub_nc_u32_e32 v2, v3, v7
	v_mul_hi_u32 v8, s66, v6
	v_mul_lo_u32 v3, v6, s54
	s_delay_alu instid0(VALU_DEP_3) | instskip(SKIP_1) | instid1(VALU_DEP_3)
	v_mad_u32 v4, v2, s59, v4
	v_mad_u32 v2, v2, s58, v1
	v_dual_add_nc_u32 v7, v6, v8 :: v_dual_sub_nc_u32 v3, v5, v3
	s_delay_alu instid0(VALU_DEP_1) | instskip(NEXT) | instid1(VALU_DEP_2)
	v_lshrrev_b32_e32 v1, s67, v7
	v_mad_u32 v4, v3, s61, v4
	s_delay_alu instid0(VALU_DEP_4) | instskip(NEXT) | instid1(VALU_DEP_3)
	v_mad_u32 v2, v3, s60, v2
	v_mul_lo_u32 v5, v1, s65
	s_delay_alu instid0(VALU_DEP_1) | instskip(NEXT) | instid1(VALU_DEP_1)
	v_sub_nc_u32_e32 v3, v6, v5
	v_mad_u32 v4, v3, s63, v4
	s_delay_alu instid0(VALU_DEP_4)
	v_mad_u32 v2, v3, s62, v2
	s_cbranch_scc1 .LBB242_6
; %bb.7:
	s_delay_alu instid0(VALU_DEP_2)
	v_mov_b32_e32 v3, v4
	s_and_b32 s1, s1, 3
	s_mov_b32 s17, 0
	s_cmp_eq_u32 s1, 0
	s_cbranch_scc0 .LBB242_11
	s_branch .LBB242_14
.LBB242_8:
                                        ; implicit-def: $vgpr4
                                        ; implicit-def: $vgpr2
	s_branch .LBB242_15
.LBB242_9:
	v_dual_mov_b32 v4, 0 :: v_dual_mov_b32 v2, 0
	s_branch .LBB242_14
.LBB242_10:
	v_mov_b64_e32 v[2:3], 0
	v_mov_b32_e32 v1, v0
	s_mov_b32 s16, 0
                                        ; implicit-def: $vgpr4
	s_and_b32 s1, s1, 3
	s_mov_b32 s17, 0
	s_cmp_eq_u32 s1, 0
	s_cbranch_scc1 .LBB242_14
.LBB242_11:
	s_lshl_b32 s28, s16, 3
	s_mov_b32 s29, s17
	s_mul_u64 s[30:31], s[16:17], 12
	s_add_nc_u64 s[28:29], s[20:21], s[28:29]
	s_delay_alu instid0(SALU_CYCLE_1)
	s_add_nc_u64 s[16:17], s[28:29], 0xc4
	s_add_nc_u64 s[28:29], s[20:21], s[30:31]
.LBB242_12:                             ; =>This Inner Loop Header: Depth=1
	s_load_b96 s[48:50], s[28:29], 0x4
	s_load_b64 s[30:31], s[16:17], 0x0
	s_add_co_i32 s1, s1, -1
	s_wait_xcnt 0x0
	s_add_nc_u64 s[28:29], s[28:29], 12
	s_cmp_lg_u32 s1, 0
	s_add_nc_u64 s[16:17], s[16:17], 8
	s_wait_kmcnt 0x0
	v_mul_hi_u32 v4, s49, v1
	s_delay_alu instid0(VALU_DEP_1) | instskip(NEXT) | instid1(VALU_DEP_1)
	v_add_nc_u32_e32 v4, v1, v4
	v_lshrrev_b32_e32 v4, s50, v4
	s_delay_alu instid0(VALU_DEP_1) | instskip(NEXT) | instid1(VALU_DEP_1)
	v_mul_lo_u32 v5, v4, s48
	v_sub_nc_u32_e32 v1, v1, v5
	s_delay_alu instid0(VALU_DEP_1)
	v_mad_u32 v3, v1, s31, v3
	v_mad_u32 v2, v1, s30, v2
	v_mov_b32_e32 v1, v4
	s_cbranch_scc1 .LBB242_12
; %bb.13:
	s_delay_alu instid0(VALU_DEP_3)
	v_mov_b32_e32 v4, v3
.LBB242_14:
	s_cbranch_execnz .LBB242_17
.LBB242_15:
	v_mov_b32_e32 v1, 0
	s_and_not1_b32 vcc_lo, exec_lo, s38
	s_delay_alu instid0(VALU_DEP_1) | instskip(NEXT) | instid1(VALU_DEP_1)
	v_mul_u64_e32 v[2:3], s[22:23], v[0:1]
	v_add_nc_u32_e32 v2, v0, v3
	s_delay_alu instid0(VALU_DEP_1) | instskip(NEXT) | instid1(VALU_DEP_1)
	v_lshrrev_b32_e32 v6, s10, v2
	v_mul_lo_u32 v2, v6, s8
	s_delay_alu instid0(VALU_DEP_1) | instskip(NEXT) | instid1(VALU_DEP_1)
	v_sub_nc_u32_e32 v2, v0, v2
	v_mul_lo_u32 v4, v2, s13
	v_mul_lo_u32 v2, v2, s12
	s_cbranch_vccnz .LBB242_17
; %bb.16:
	v_mov_b32_e32 v7, v1
	s_delay_alu instid0(VALU_DEP_1) | instskip(NEXT) | instid1(VALU_DEP_1)
	v_mul_u64_e32 v[8:9], s[24:25], v[6:7]
	v_add_nc_u32_e32 v1, v6, v9
	s_delay_alu instid0(VALU_DEP_1) | instskip(NEXT) | instid1(VALU_DEP_1)
	v_lshrrev_b32_e32 v1, s3, v1
	v_mul_lo_u32 v1, v1, s11
	s_delay_alu instid0(VALU_DEP_1) | instskip(NEXT) | instid1(VALU_DEP_1)
	v_sub_nc_u32_e32 v1, v6, v1
	v_mad_u32 v2, v1, s14, v2
	v_mad_u32 v4, v1, s15, v4
.LBB242_17:
	v_mov_b32_e32 v5, 0
	s_and_b32 s1, 0xffff, s37
	s_delay_alu instid0(SALU_CYCLE_1) | instskip(NEXT) | instid1(VALU_DEP_1)
	s_cmp_lt_i32 s1, 11
	v_add_nc_u64_e32 v[4:5], s[6:7], v[4:5]
	s_cbranch_scc1 .LBB242_32
; %bb.18:
	s_cmp_gt_i32 s1, 25
	s_cbranch_scc0 .LBB242_41
; %bb.19:
	s_cmp_gt_i32 s1, 28
	s_cbranch_scc0 .LBB242_44
	;; [unrolled: 3-line block ×4, first 2 shown]
; %bb.22:
	s_cmp_eq_u32 s1, 46
	s_mov_b32 s17, 0
	s_cbranch_scc0 .LBB242_50
; %bb.23:
	global_load_b32 v1, v[4:5], off
	s_mov_b32 s2, exec_lo
                                        ; implicit-def: $vgpr3
	s_wait_loadcnt 0x0
	v_lshlrev_b32_e32 v1, 16, v1
	s_delay_alu instid0(VALU_DEP_1) | instskip(NEXT) | instid1(VALU_DEP_1)
	v_and_b32_e32 v6, 0x7fffffff, v1
	v_cmpx_gt_u32_e32 0x47800000, v6
	s_xor_b32 s2, exec_lo, s2
	s_cbranch_execz .LBB242_29
; %bb.24:
	s_mov_b32 s16, exec_lo
                                        ; implicit-def: $vgpr3
	v_cmpx_lt_u32_e32 0x387fffff, v6
	s_xor_b32 s16, exec_lo, s16
; %bb.25:
	v_bfe_u32 v3, v1, 21, 1
	s_delay_alu instid0(VALU_DEP_1) | instskip(NEXT) | instid1(VALU_DEP_1)
	v_add3_u32 v3, v1, v3, 0x80fffff
	v_lshrrev_b32_e32 v3, 21, v3
; %bb.26:
	s_and_not1_saveexec_b32 s16, s16
; %bb.27:
	v_add_f32_e64 v3, 0x43000000, |v1|
; %bb.28:
	s_or_b32 exec_lo, exec_lo, s16
                                        ; implicit-def: $vgpr6
.LBB242_29:
	s_and_not1_saveexec_b32 s2, s2
; %bb.30:
	v_mov_b32_e32 v3, 0x7f
	v_cmp_lt_u32_e32 vcc_lo, 0x7f800000, v6
	s_delay_alu instid0(VALU_DEP_2)
	v_cndmask_b32_e32 v3, 0x7c, v3, vcc_lo
; %bb.31:
	s_or_b32 exec_lo, exec_lo, s2
	v_lshrrev_b32_e32 v1, 24, v1
	s_mov_b32 s2, -1
	s_mov_b32 s16, 0
	s_delay_alu instid0(VALU_DEP_1)
	v_and_or_b32 v1, 0x80, v1, v3
	s_branch .LBB242_52
.LBB242_32:
	s_mov_b32 s16, 0
	s_mov_b32 s2, 0
                                        ; implicit-def: $vgpr1
	s_cbranch_execnz .LBB242_296
.LBB242_33:
	s_and_not1_b32 vcc_lo, exec_lo, s2
	s_cbranch_vccnz .LBB242_431
.LBB242_34:
	s_wait_loadcnt 0x0
	s_delay_alu instid0(VALU_DEP_1) | instskip(SKIP_2) | instid1(SALU_CYCLE_1)
	v_lshlrev_b32_e32 v3, 25, v1
	v_lshlrev_b16 v1, 8, v1
	s_and_b32 s17, s18, 0xff
	s_cmp_lt_i32 s17, 11
	s_delay_alu instid0(VALU_DEP_1) | instskip(SKIP_2) | instid1(VALU_DEP_3)
	v_and_or_b32 v5, 0x7f00, v1, 0.5
	v_lshrrev_b32_e32 v4, 4, v3
	v_bfe_i32 v1, v1, 0, 16
	v_add_f32_e32 v5, -0.5, v5
	s_delay_alu instid0(VALU_DEP_3) | instskip(NEXT) | instid1(VALU_DEP_1)
	v_or_b32_e32 v4, 0x70000000, v4
	v_mul_f32_e32 v4, 0x7800000, v4
	v_cmp_gt_u32_e32 vcc_lo, 0x8000000, v3
	s_delay_alu instid0(VALU_DEP_2) | instskip(NEXT) | instid1(VALU_DEP_1)
	v_cndmask_b32_e32 v3, v4, v5, vcc_lo
	v_and_or_b32 v1, 0x80000000, v1, v3
	s_delay_alu instid0(VALU_DEP_1) | instskip(SKIP_3) | instid1(VALU_DEP_1)
	v_cmp_eq_f32_e32 vcc_lo, s9, v1
	v_cndmask_b32_e64 v3, 0, 1, vcc_lo
	v_cmp_neq_f32_e32 vcc_lo, s9, v1
	v_cndmask_b32_e64 v1, 0, 1, vcc_lo
	v_dual_cndmask_b32 v1, v1, v3, s0 :: v_dual_mov_b32 v3, 0
	s_delay_alu instid0(VALU_DEP_1) | instskip(NEXT) | instid1(VALU_DEP_2)
	v_and_b32_e32 v1, 1, v1
	v_add_nc_u64_e32 v[2:3], s[4:5], v[2:3]
	s_delay_alu instid0(VALU_DEP_2)
	v_cmp_eq_u32_e64 s1, 1, v1
	s_cbranch_scc1 .LBB242_42
; %bb.35:
	s_and_b32 s28, 0xffff, s17
	s_delay_alu instid0(SALU_CYCLE_1)
	s_cmp_gt_i32 s28, 25
	s_cbranch_scc0 .LBB242_45
; %bb.36:
	s_cmp_gt_i32 s28, 28
	s_cbranch_scc0 .LBB242_47
; %bb.37:
	;; [unrolled: 3-line block ×4, first 2 shown]
	s_mov_b32 s30, 0
	s_mov_b32 s2, -1
	s_cmp_eq_u32 s28, 46
	s_mov_b32 s29, 0
	s_cbranch_scc0 .LBB242_64
; %bb.40:
	v_cndmask_b32_e64 v1, 0, 1.0, s1
	s_mov_b32 s29, -1
	s_mov_b32 s2, 0
	s_delay_alu instid0(VALU_DEP_1) | instskip(NEXT) | instid1(VALU_DEP_1)
	v_bfe_u32 v4, v1, 16, 1
	v_add3_u32 v1, v1, v4, 0x7fff
	s_delay_alu instid0(VALU_DEP_1)
	v_lshrrev_b32_e32 v1, 16, v1
	global_store_b32 v[2:3], v1, off
	s_branch .LBB242_64
.LBB242_41:
	s_mov_b32 s16, 0
	s_mov_b32 s2, 0
                                        ; implicit-def: $vgpr1
	s_cbranch_execnz .LBB242_230
	s_branch .LBB242_295
.LBB242_42:
	s_mov_b32 s2, 0
	s_mov_b32 s29, 0
	s_cbranch_execnz .LBB242_133
.LBB242_43:
	s_and_not1_b32 vcc_lo, exec_lo, s29
	s_cbranch_vccz .LBB242_171
	s_branch .LBB242_432
.LBB242_44:
	s_mov_b32 s17, -1
	s_mov_b32 s16, 0
	s_mov_b32 s2, 0
                                        ; implicit-def: $vgpr1
	s_branch .LBB242_187
.LBB242_45:
	s_mov_b32 s30, -1
	s_mov_b32 s2, 0
	s_mov_b32 s29, 0
	s_branch .LBB242_91
.LBB242_46:
	s_mov_b32 s17, -1
	s_mov_b32 s16, 0
	s_mov_b32 s2, 0
                                        ; implicit-def: $vgpr1
	s_branch .LBB242_174
.LBB242_47:
	s_mov_b32 s30, -1
	s_mov_b32 s2, 0
	s_mov_b32 s29, 0
	s_branch .LBB242_74
.LBB242_48:
	s_mov_b32 s17, -1
	s_mov_b32 s16, 0
	s_branch .LBB242_51
.LBB242_49:
	s_mov_b32 s30, -1
	s_mov_b32 s2, 0
	s_mov_b32 s29, 0
	s_branch .LBB242_70
.LBB242_50:
	s_mov_b32 s16, -1
.LBB242_51:
	s_mov_b32 s2, 0
                                        ; implicit-def: $vgpr1
.LBB242_52:
	s_and_b32 vcc_lo, exec_lo, s17
	s_cbranch_vccz .LBB242_173
; %bb.53:
	s_cmp_eq_u32 s1, 44
	s_cbranch_scc0 .LBB242_172
; %bb.54:
	global_load_u8 v1, v[4:5], off
	s_mov_b32 s2, exec_lo
	s_wait_loadcnt 0x0
	v_lshlrev_b32_e32 v3, 23, v1
	v_cmp_ne_u32_e32 vcc_lo, 0xff, v1
	s_delay_alu instid0(VALU_DEP_2) | instskip(SKIP_1) | instid1(VALU_DEP_2)
	v_cndmask_b32_e32 v3, 0x7f800001, v3, vcc_lo
	v_cmp_ne_u32_e32 vcc_lo, 0, v1
                                        ; implicit-def: $vgpr1
	v_cndmask_b32_e32 v3, 0x400000, v3, vcc_lo
	s_delay_alu instid0(VALU_DEP_1)
	v_cmpx_gt_u32_e32 0x47800000, v3
	s_xor_b32 s2, exec_lo, s2
	s_cbranch_execz .LBB242_60
; %bb.55:
	s_mov_b32 s16, exec_lo
                                        ; implicit-def: $vgpr1
	v_cmpx_lt_u32_e32 0x387fffff, v3
	s_xor_b32 s16, exec_lo, s16
; %bb.56:
	v_bfe_u32 v1, v3, 21, 1
	s_delay_alu instid0(VALU_DEP_1) | instskip(NEXT) | instid1(VALU_DEP_1)
	v_add3_u32 v1, v3, v1, 0x80fffff
                                        ; implicit-def: $vgpr3
	v_lshrrev_b32_e32 v1, 21, v1
; %bb.57:
	s_and_not1_saveexec_b32 s16, s16
; %bb.58:
	v_add_f32_e32 v1, 0x43000000, v3
; %bb.59:
	s_or_b32 exec_lo, exec_lo, s16
                                        ; implicit-def: $vgpr3
.LBB242_60:
	s_and_not1_saveexec_b32 s2, s2
; %bb.61:
	v_mov_b32_e32 v1, 0x7f
	v_cmp_lt_u32_e32 vcc_lo, 0x7f800000, v3
	s_delay_alu instid0(VALU_DEP_2)
	v_cndmask_b32_e32 v1, 0x7c, v1, vcc_lo
; %bb.62:
	s_or_b32 exec_lo, exec_lo, s2
	s_mov_b32 s2, -1
	s_mov_b32 s16, 0
	s_branch .LBB242_173
.LBB242_63:
	s_mov_b32 s30, -1
	s_mov_b32 s2, 0
	s_mov_b32 s29, 0
.LBB242_64:
	s_and_b32 vcc_lo, exec_lo, s30
	s_cbranch_vccz .LBB242_69
; %bb.65:
	s_cmp_eq_u32 s28, 44
	s_mov_b32 s2, -1
	s_cbranch_scc0 .LBB242_69
; %bb.66:
	v_cndmask_b32_e64 v5, 0, 1.0, s1
	s_mov_b32 s29, exec_lo
	s_wait_xcnt 0x0
	s_delay_alu instid0(VALU_DEP_1) | instskip(NEXT) | instid1(VALU_DEP_1)
	v_dual_mov_b32 v4, 0xff :: v_dual_lshrrev_b32 v1, 23, v5
	v_cmpx_ne_u32_e32 0xff, v1
; %bb.67:
	v_and_b32_e32 v4, 0x400000, v5
	v_and_or_b32 v5, 0x3fffff, v5, v1
	s_delay_alu instid0(VALU_DEP_2) | instskip(NEXT) | instid1(VALU_DEP_2)
	v_cmp_ne_u32_e32 vcc_lo, 0, v4
	v_cmp_ne_u32_e64 s2, 0, v5
	s_and_b32 s2, vcc_lo, s2
	s_delay_alu instid0(SALU_CYCLE_1) | instskip(NEXT) | instid1(VALU_DEP_1)
	v_cndmask_b32_e64 v4, 0, 1, s2
	v_add_nc_u32_e32 v4, v1, v4
; %bb.68:
	s_or_b32 exec_lo, exec_lo, s29
	s_mov_b32 s29, -1
	s_mov_b32 s2, 0
	global_store_b8 v[2:3], v4, off
.LBB242_69:
	s_mov_b32 s30, 0
.LBB242_70:
	s_delay_alu instid0(SALU_CYCLE_1)
	s_and_b32 vcc_lo, exec_lo, s30
	s_cbranch_vccz .LBB242_73
; %bb.71:
	s_cmp_eq_u32 s28, 29
	s_mov_b32 s2, -1
	s_cbranch_scc0 .LBB242_73
; %bb.72:
	s_mov_b32 s2, 0
	s_wait_xcnt 0x0
	v_cndmask_b32_e64 v4, 0, 1, s1
	v_mov_b32_e32 v5, s2
	s_mov_b32 s29, -1
	s_mov_b32 s30, 0
	global_store_b64 v[2:3], v[4:5], off
	s_branch .LBB242_74
.LBB242_73:
	s_mov_b32 s30, 0
.LBB242_74:
	s_delay_alu instid0(SALU_CYCLE_1)
	s_and_b32 vcc_lo, exec_lo, s30
	s_cbranch_vccz .LBB242_90
; %bb.75:
	s_cmp_lt_i32 s28, 27
	s_mov_b32 s29, -1
	s_cbranch_scc1 .LBB242_81
; %bb.76:
	s_cmp_gt_i32 s28, 27
	s_cbranch_scc0 .LBB242_78
; %bb.77:
	s_wait_xcnt 0x0
	v_cndmask_b32_e64 v1, 0, 1, s1
	s_mov_b32 s29, 0
	global_store_b32 v[2:3], v1, off
.LBB242_78:
	s_and_not1_b32 vcc_lo, exec_lo, s29
	s_cbranch_vccnz .LBB242_80
; %bb.79:
	s_wait_xcnt 0x0
	v_cndmask_b32_e64 v1, 0, 1, s1
	global_store_b16 v[2:3], v1, off
.LBB242_80:
	s_mov_b32 s29, 0
.LBB242_81:
	s_delay_alu instid0(SALU_CYCLE_1)
	s_and_not1_b32 vcc_lo, exec_lo, s29
	s_cbranch_vccnz .LBB242_89
; %bb.82:
	s_wait_xcnt 0x0
	v_cndmask_b32_e64 v4, 0, 1.0, s1
	v_mov_b32_e32 v5, 0x80
	s_mov_b32 s29, exec_lo
	s_delay_alu instid0(VALU_DEP_2)
	v_cmpx_gt_u32_e32 0x43800000, v4
	s_cbranch_execz .LBB242_88
; %bb.83:
	s_mov_b32 s30, 0
	s_mov_b32 s31, exec_lo
                                        ; implicit-def: $vgpr1
	v_cmpx_lt_u32_e32 0x3bffffff, v4
	s_xor_b32 s31, exec_lo, s31
	s_cbranch_execz .LBB242_493
; %bb.84:
	v_bfe_u32 v1, v4, 20, 1
	s_mov_b32 s30, exec_lo
	s_delay_alu instid0(VALU_DEP_1) | instskip(NEXT) | instid1(VALU_DEP_1)
	v_add3_u32 v1, v4, v1, 0x487ffff
                                        ; implicit-def: $vgpr4
	v_lshrrev_b32_e32 v1, 20, v1
	s_and_not1_saveexec_b32 s31, s31
	s_cbranch_execnz .LBB242_494
.LBB242_85:
	s_or_b32 exec_lo, exec_lo, s31
	v_mov_b32_e32 v5, 0
	s_and_saveexec_b32 s31, s30
.LBB242_86:
	v_mov_b32_e32 v5, v1
.LBB242_87:
	s_or_b32 exec_lo, exec_lo, s31
.LBB242_88:
	s_delay_alu instid0(SALU_CYCLE_1)
	s_or_b32 exec_lo, exec_lo, s29
	global_store_b8 v[2:3], v5, off
.LBB242_89:
	s_mov_b32 s29, -1
.LBB242_90:
	s_mov_b32 s30, 0
.LBB242_91:
	s_delay_alu instid0(SALU_CYCLE_1)
	s_and_b32 vcc_lo, exec_lo, s30
	s_cbranch_vccz .LBB242_132
; %bb.92:
	s_cmp_gt_i32 s28, 22
	s_mov_b32 s30, -1
	s_cbranch_scc0 .LBB242_124
; %bb.93:
	s_cmp_lt_i32 s28, 24
	s_mov_b32 s29, -1
	s_cbranch_scc1 .LBB242_113
; %bb.94:
	s_cmp_gt_i32 s28, 24
	s_cbranch_scc0 .LBB242_102
; %bb.95:
	s_wait_xcnt 0x0
	v_cndmask_b32_e64 v4, 0, 1.0, s1
	v_mov_b32_e32 v5, 0x80
	s_mov_b32 s29, exec_lo
	s_delay_alu instid0(VALU_DEP_2)
	v_cmpx_gt_u32_e32 0x47800000, v4
	s_cbranch_execz .LBB242_101
; %bb.96:
	s_mov_b32 s30, 0
	s_mov_b32 s31, exec_lo
                                        ; implicit-def: $vgpr1
	v_cmpx_lt_u32_e32 0x37ffffff, v4
	s_xor_b32 s31, exec_lo, s31
	s_cbranch_execz .LBB242_497
; %bb.97:
	v_bfe_u32 v1, v4, 21, 1
	s_mov_b32 s30, exec_lo
	s_delay_alu instid0(VALU_DEP_1) | instskip(NEXT) | instid1(VALU_DEP_1)
	v_add3_u32 v1, v4, v1, 0x88fffff
                                        ; implicit-def: $vgpr4
	v_lshrrev_b32_e32 v1, 21, v1
	s_and_not1_saveexec_b32 s31, s31
	s_cbranch_execnz .LBB242_498
.LBB242_98:
	s_or_b32 exec_lo, exec_lo, s31
	v_mov_b32_e32 v5, 0
	s_and_saveexec_b32 s31, s30
.LBB242_99:
	v_mov_b32_e32 v5, v1
.LBB242_100:
	s_or_b32 exec_lo, exec_lo, s31
.LBB242_101:
	s_delay_alu instid0(SALU_CYCLE_1)
	s_or_b32 exec_lo, exec_lo, s29
	s_mov_b32 s29, 0
	global_store_b8 v[2:3], v5, off
.LBB242_102:
	s_and_b32 vcc_lo, exec_lo, s29
	s_cbranch_vccz .LBB242_112
; %bb.103:
	s_wait_xcnt 0x0
	v_cndmask_b32_e64 v4, 0, 1.0, s1
	s_mov_b32 s29, exec_lo
                                        ; implicit-def: $vgpr1
	s_delay_alu instid0(VALU_DEP_1)
	v_cmpx_gt_u32_e32 0x43f00000, v4
	s_xor_b32 s29, exec_lo, s29
	s_cbranch_execz .LBB242_109
; %bb.104:
	s_mov_b32 s30, exec_lo
                                        ; implicit-def: $vgpr1
	v_cmpx_lt_u32_e32 0x3c7fffff, v4
	s_xor_b32 s30, exec_lo, s30
; %bb.105:
	v_bfe_u32 v1, v4, 20, 1
	s_delay_alu instid0(VALU_DEP_1) | instskip(NEXT) | instid1(VALU_DEP_1)
	v_add3_u32 v1, v4, v1, 0x407ffff
	v_and_b32_e32 v4, 0xff00000, v1
	v_lshrrev_b32_e32 v1, 20, v1
	s_delay_alu instid0(VALU_DEP_2) | instskip(NEXT) | instid1(VALU_DEP_2)
	v_cmp_ne_u32_e32 vcc_lo, 0x7f00000, v4
                                        ; implicit-def: $vgpr4
	v_cndmask_b32_e32 v1, 0x7e, v1, vcc_lo
; %bb.106:
	s_and_not1_saveexec_b32 s30, s30
; %bb.107:
	v_add_f32_e32 v1, 0x46800000, v4
; %bb.108:
	s_or_b32 exec_lo, exec_lo, s30
                                        ; implicit-def: $vgpr4
.LBB242_109:
	s_and_not1_saveexec_b32 s29, s29
; %bb.110:
	v_mov_b32_e32 v1, 0x7f
	v_cmp_lt_u32_e32 vcc_lo, 0x7f800000, v4
	s_delay_alu instid0(VALU_DEP_2)
	v_cndmask_b32_e32 v1, 0x7e, v1, vcc_lo
; %bb.111:
	s_or_b32 exec_lo, exec_lo, s29
	global_store_b8 v[2:3], v1, off
.LBB242_112:
	s_mov_b32 s29, 0
.LBB242_113:
	s_delay_alu instid0(SALU_CYCLE_1)
	s_and_not1_b32 vcc_lo, exec_lo, s29
	s_cbranch_vccnz .LBB242_123
; %bb.114:
	s_wait_xcnt 0x0
	v_cndmask_b32_e64 v4, 0, 1.0, s1
	s_mov_b32 s29, exec_lo
                                        ; implicit-def: $vgpr1
	s_delay_alu instid0(VALU_DEP_1)
	v_cmpx_gt_u32_e32 0x47800000, v4
	s_xor_b32 s29, exec_lo, s29
	s_cbranch_execz .LBB242_120
; %bb.115:
	s_mov_b32 s30, exec_lo
                                        ; implicit-def: $vgpr1
	v_cmpx_lt_u32_e32 0x387fffff, v4
	s_xor_b32 s30, exec_lo, s30
; %bb.116:
	v_bfe_u32 v1, v4, 21, 1
	s_delay_alu instid0(VALU_DEP_1) | instskip(NEXT) | instid1(VALU_DEP_1)
	v_add3_u32 v1, v4, v1, 0x80fffff
                                        ; implicit-def: $vgpr4
	v_lshrrev_b32_e32 v1, 21, v1
; %bb.117:
	s_and_not1_saveexec_b32 s30, s30
; %bb.118:
	v_add_f32_e32 v1, 0x43000000, v4
; %bb.119:
	s_or_b32 exec_lo, exec_lo, s30
                                        ; implicit-def: $vgpr4
.LBB242_120:
	s_and_not1_saveexec_b32 s29, s29
; %bb.121:
	v_mov_b32_e32 v1, 0x7f
	v_cmp_lt_u32_e32 vcc_lo, 0x7f800000, v4
	s_delay_alu instid0(VALU_DEP_2)
	v_cndmask_b32_e32 v1, 0x7c, v1, vcc_lo
; %bb.122:
	s_or_b32 exec_lo, exec_lo, s29
	global_store_b8 v[2:3], v1, off
.LBB242_123:
	s_mov_b32 s30, 0
	s_mov_b32 s29, -1
.LBB242_124:
	s_and_not1_b32 vcc_lo, exec_lo, s30
	s_cbranch_vccnz .LBB242_132
; %bb.125:
	s_cmp_gt_i32 s28, 14
	s_mov_b32 s30, -1
	s_cbranch_scc0 .LBB242_129
; %bb.126:
	s_cmp_eq_u32 s28, 15
	s_mov_b32 s2, -1
	s_cbranch_scc0 .LBB242_128
; %bb.127:
	s_wait_xcnt 0x0
	v_cndmask_b32_e64 v1, 0, 1.0, s1
	s_mov_b32 s29, -1
	s_mov_b32 s2, 0
	s_delay_alu instid0(VALU_DEP_1) | instskip(NEXT) | instid1(VALU_DEP_1)
	v_bfe_u32 v4, v1, 16, 1
	v_add3_u32 v1, v1, v4, 0x7fff
	global_store_d16_hi_b16 v[2:3], v1, off
.LBB242_128:
	s_mov_b32 s30, 0
.LBB242_129:
	s_delay_alu instid0(SALU_CYCLE_1)
	s_and_b32 vcc_lo, exec_lo, s30
	s_cbranch_vccz .LBB242_132
; %bb.130:
	s_cmp_eq_u32 s28, 11
	s_mov_b32 s2, -1
	s_cbranch_scc0 .LBB242_132
; %bb.131:
	s_wait_xcnt 0x0
	v_cndmask_b32_e64 v1, 0, 1, s1
	s_mov_b32 s29, -1
	s_mov_b32 s2, 0
	global_store_b8 v[2:3], v1, off
.LBB242_132:
	s_branch .LBB242_43
.LBB242_133:
	s_and_b32 s17, 0xffff, s17
	s_mov_b32 s28, -1
	s_cmp_lt_i32 s17, 5
	s_cbranch_scc1 .LBB242_154
; %bb.134:
	s_cmp_lt_i32 s17, 8
	s_cbranch_scc1 .LBB242_144
; %bb.135:
	;; [unrolled: 3-line block ×3, first 2 shown]
	s_cmp_gt_i32 s17, 9
	s_cbranch_scc0 .LBB242_138
; %bb.137:
	s_wait_xcnt 0x0
	v_cndmask_b32_e64 v1, 0, 1, s1
	v_mov_b32_e32 v6, 0
	s_mov_b32 s28, 0
	s_delay_alu instid0(VALU_DEP_2) | instskip(NEXT) | instid1(VALU_DEP_2)
	v_cvt_f64_u32_e32 v[4:5], v1
	v_mov_b32_e32 v7, v6
	global_store_b128 v[2:3], v[4:7], off
.LBB242_138:
	s_and_not1_b32 vcc_lo, exec_lo, s28
	s_cbranch_vccnz .LBB242_140
; %bb.139:
	s_wait_xcnt 0x0
	v_cndmask_b32_e64 v4, 0, 1.0, s1
	v_mov_b32_e32 v5, 0
	global_store_b64 v[2:3], v[4:5], off
.LBB242_140:
	s_mov_b32 s28, 0
.LBB242_141:
	s_delay_alu instid0(SALU_CYCLE_1)
	s_and_not1_b32 vcc_lo, exec_lo, s28
	s_cbranch_vccnz .LBB242_143
; %bb.142:
	s_wait_xcnt 0x0
	v_cndmask_b32_e64 v1, 0, 1.0, s1
	s_delay_alu instid0(VALU_DEP_1) | instskip(NEXT) | instid1(VALU_DEP_1)
	v_cvt_f16_f32_e32 v1, v1
	v_and_b32_e32 v1, 0xffff, v1
	global_store_b32 v[2:3], v1, off
.LBB242_143:
	s_mov_b32 s28, 0
.LBB242_144:
	s_delay_alu instid0(SALU_CYCLE_1)
	s_and_not1_b32 vcc_lo, exec_lo, s28
	s_cbranch_vccnz .LBB242_153
; %bb.145:
	s_cmp_lt_i32 s17, 6
	s_mov_b32 s28, -1
	s_cbranch_scc1 .LBB242_151
; %bb.146:
	s_cmp_gt_i32 s17, 6
	s_cbranch_scc0 .LBB242_148
; %bb.147:
	s_wait_xcnt 0x0
	v_cndmask_b32_e64 v1, 0, 1, s1
	s_mov_b32 s28, 0
	s_delay_alu instid0(VALU_DEP_1)
	v_cvt_f64_u32_e32 v[4:5], v1
	global_store_b64 v[2:3], v[4:5], off
.LBB242_148:
	s_and_not1_b32 vcc_lo, exec_lo, s28
	s_cbranch_vccnz .LBB242_150
; %bb.149:
	s_wait_xcnt 0x0
	v_cndmask_b32_e64 v1, 0, 1.0, s1
	global_store_b32 v[2:3], v1, off
.LBB242_150:
	s_mov_b32 s28, 0
.LBB242_151:
	s_delay_alu instid0(SALU_CYCLE_1)
	s_and_not1_b32 vcc_lo, exec_lo, s28
	s_cbranch_vccnz .LBB242_153
; %bb.152:
	s_wait_xcnt 0x0
	v_cndmask_b32_e64 v1, 0, 1.0, s1
	s_delay_alu instid0(VALU_DEP_1)
	v_cvt_f16_f32_e32 v1, v1
	global_store_b16 v[2:3], v1, off
.LBB242_153:
	s_mov_b32 s28, 0
.LBB242_154:
	s_delay_alu instid0(SALU_CYCLE_1)
	s_and_not1_b32 vcc_lo, exec_lo, s28
	s_cbranch_vccnz .LBB242_170
; %bb.155:
	s_cmp_lt_i32 s17, 2
	s_mov_b32 s28, -1
	s_cbranch_scc1 .LBB242_165
; %bb.156:
	s_cmp_lt_i32 s17, 3
	s_cbranch_scc1 .LBB242_162
; %bb.157:
	s_cmp_gt_i32 s17, 3
	s_cbranch_scc0 .LBB242_159
; %bb.158:
	s_mov_b32 s28, 0
	s_wait_xcnt 0x0
	v_cndmask_b32_e64 v4, 0, 1, s1
	v_mov_b32_e32 v5, s28
	global_store_b64 v[2:3], v[4:5], off
.LBB242_159:
	s_and_not1_b32 vcc_lo, exec_lo, s28
	s_cbranch_vccnz .LBB242_161
; %bb.160:
	s_wait_xcnt 0x0
	v_cndmask_b32_e64 v1, 0, 1, s1
	global_store_b32 v[2:3], v1, off
.LBB242_161:
	s_mov_b32 s28, 0
.LBB242_162:
	s_delay_alu instid0(SALU_CYCLE_1)
	s_and_not1_b32 vcc_lo, exec_lo, s28
	s_cbranch_vccnz .LBB242_164
; %bb.163:
	s_wait_xcnt 0x0
	v_cndmask_b32_e64 v1, 0, 1, s1
	global_store_b16 v[2:3], v1, off
.LBB242_164:
	s_mov_b32 s28, 0
.LBB242_165:
	s_delay_alu instid0(SALU_CYCLE_1)
	s_and_not1_b32 vcc_lo, exec_lo, s28
	s_cbranch_vccnz .LBB242_170
; %bb.166:
	s_cmp_gt_i32 s17, 0
	s_mov_b32 s17, -1
	s_cbranch_scc0 .LBB242_168
; %bb.167:
	s_wait_xcnt 0x0
	v_cndmask_b32_e64 v1, 0, 1, s1
	s_mov_b32 s17, 0
	global_store_b8 v[2:3], v1, off
.LBB242_168:
	s_and_not1_b32 vcc_lo, exec_lo, s17
	s_cbranch_vccnz .LBB242_170
; %bb.169:
	s_wait_xcnt 0x0
	v_cndmask_b32_e64 v1, 0, 1, s1
	global_store_b8 v[2:3], v1, off
.LBB242_170:
.LBB242_171:
	v_add_nc_u32_e32 v0, 0x80, v0
	s_mov_b32 s1, -1
	s_branch .LBB242_433
.LBB242_172:
	s_mov_b32 s16, -1
                                        ; implicit-def: $vgpr1
.LBB242_173:
	s_mov_b32 s17, 0
.LBB242_174:
	s_delay_alu instid0(SALU_CYCLE_1)
	s_and_b32 vcc_lo, exec_lo, s17
	s_cbranch_vccz .LBB242_186
; %bb.175:
	s_cmp_eq_u32 s1, 29
	s_cbranch_scc0 .LBB242_185
; %bb.176:
	global_load_b64 v[6:7], v[4:5], off
	s_mov_b32 s2, exec_lo
	s_wait_loadcnt 0x0
	v_clz_i32_u32_e32 v1, v7
	s_delay_alu instid0(VALU_DEP_1) | instskip(NEXT) | instid1(VALU_DEP_1)
	v_min_u32_e32 v1, 32, v1
	v_lshlrev_b64_e32 v[6:7], v1, v[6:7]
	v_sub_nc_u32_e32 v1, 32, v1
	s_delay_alu instid0(VALU_DEP_2) | instskip(NEXT) | instid1(VALU_DEP_1)
	v_min_u32_e32 v3, 1, v6
	v_or_b32_e32 v3, v7, v3
	s_delay_alu instid0(VALU_DEP_1) | instskip(NEXT) | instid1(VALU_DEP_1)
	v_cvt_f32_u32_e32 v3, v3
	v_ldexp_f32 v3, v3, v1
                                        ; implicit-def: $vgpr1
	s_delay_alu instid0(VALU_DEP_1)
	v_cmpx_gt_u32_e32 0x47800000, v3
	s_xor_b32 s2, exec_lo, s2
	s_cbranch_execz .LBB242_182
; %bb.177:
	s_mov_b32 s16, exec_lo
                                        ; implicit-def: $vgpr1
	v_cmpx_lt_u32_e32 0x387fffff, v3
	s_xor_b32 s16, exec_lo, s16
; %bb.178:
	v_bfe_u32 v1, v3, 21, 1
	s_delay_alu instid0(VALU_DEP_1) | instskip(NEXT) | instid1(VALU_DEP_1)
	v_add3_u32 v1, v3, v1, 0x80fffff
                                        ; implicit-def: $vgpr3
	v_lshrrev_b32_e32 v1, 21, v1
; %bb.179:
	s_and_not1_saveexec_b32 s16, s16
; %bb.180:
	v_add_f32_e32 v1, 0x43000000, v3
; %bb.181:
	s_or_b32 exec_lo, exec_lo, s16
                                        ; implicit-def: $vgpr3
.LBB242_182:
	s_and_not1_saveexec_b32 s2, s2
; %bb.183:
	v_mov_b32_e32 v1, 0x7f
	v_cmp_lt_u32_e32 vcc_lo, 0x7f800000, v3
	s_delay_alu instid0(VALU_DEP_2)
	v_cndmask_b32_e32 v1, 0x7c, v1, vcc_lo
; %bb.184:
	s_or_b32 exec_lo, exec_lo, s2
	s_mov_b32 s2, -1
	s_mov_b32 s16, 0
	s_branch .LBB242_186
.LBB242_185:
	s_mov_b32 s16, -1
                                        ; implicit-def: $vgpr1
.LBB242_186:
	s_mov_b32 s17, 0
.LBB242_187:
	s_delay_alu instid0(SALU_CYCLE_1)
	s_and_b32 vcc_lo, exec_lo, s17
	s_cbranch_vccz .LBB242_229
; %bb.188:
	s_cmp_lt_i32 s1, 27
	s_cbranch_scc1 .LBB242_199
; %bb.189:
	s_cmp_gt_i32 s1, 27
	s_cbranch_scc0 .LBB242_200
; %bb.190:
	global_load_b32 v1, v[4:5], off
	s_mov_b32 s2, exec_lo
	s_wait_loadcnt 0x0
	v_cvt_f32_u32_e32 v3, v1
                                        ; implicit-def: $vgpr1
	s_delay_alu instid0(VALU_DEP_1)
	v_cmpx_gt_u32_e32 0x47800000, v3
	s_xor_b32 s2, exec_lo, s2
	s_cbranch_execz .LBB242_196
; %bb.191:
	s_mov_b32 s17, exec_lo
                                        ; implicit-def: $vgpr1
	v_cmpx_lt_u32_e32 0x387fffff, v3
	s_xor_b32 s17, exec_lo, s17
; %bb.192:
	v_bfe_u32 v1, v3, 21, 1
	s_delay_alu instid0(VALU_DEP_1) | instskip(NEXT) | instid1(VALU_DEP_1)
	v_add3_u32 v1, v3, v1, 0x80fffff
                                        ; implicit-def: $vgpr3
	v_lshrrev_b32_e32 v1, 21, v1
; %bb.193:
	s_and_not1_saveexec_b32 s17, s17
; %bb.194:
	v_add_f32_e32 v1, 0x43000000, v3
; %bb.195:
	s_or_b32 exec_lo, exec_lo, s17
                                        ; implicit-def: $vgpr3
.LBB242_196:
	s_and_not1_saveexec_b32 s2, s2
; %bb.197:
	v_mov_b32_e32 v1, 0x7f
	v_cmp_lt_u32_e32 vcc_lo, 0x7f800000, v3
	s_delay_alu instid0(VALU_DEP_2)
	v_cndmask_b32_e32 v1, 0x7c, v1, vcc_lo
; %bb.198:
	s_or_b32 exec_lo, exec_lo, s2
	s_mov_b32 s2, 0
	s_branch .LBB242_201
.LBB242_199:
	s_mov_b32 s2, -1
                                        ; implicit-def: $vgpr1
	s_branch .LBB242_212
.LBB242_200:
	s_mov_b32 s2, -1
                                        ; implicit-def: $vgpr1
.LBB242_201:
	s_delay_alu instid0(SALU_CYCLE_1)
	s_and_b32 vcc_lo, exec_lo, s2
	s_cbranch_vccz .LBB242_211
; %bb.202:
	global_load_u16 v1, v[4:5], off
	s_mov_b32 s2, exec_lo
	s_wait_loadcnt 0x0
	v_cvt_f32_u32_e32 v3, v1
                                        ; implicit-def: $vgpr1
	s_delay_alu instid0(VALU_DEP_1)
	v_cmpx_gt_u32_e32 0x47800000, v3
	s_xor_b32 s2, exec_lo, s2
	s_cbranch_execz .LBB242_208
; %bb.203:
	s_mov_b32 s17, exec_lo
                                        ; implicit-def: $vgpr1
	v_cmpx_lt_u32_e32 0x387fffff, v3
	s_xor_b32 s17, exec_lo, s17
; %bb.204:
	v_bfe_u32 v1, v3, 21, 1
	s_delay_alu instid0(VALU_DEP_1) | instskip(NEXT) | instid1(VALU_DEP_1)
	v_add3_u32 v1, v3, v1, 0x80fffff
                                        ; implicit-def: $vgpr3
	v_lshrrev_b32_e32 v1, 21, v1
; %bb.205:
	s_and_not1_saveexec_b32 s17, s17
; %bb.206:
	v_add_f32_e32 v1, 0x43000000, v3
; %bb.207:
	s_or_b32 exec_lo, exec_lo, s17
                                        ; implicit-def: $vgpr3
.LBB242_208:
	s_and_not1_saveexec_b32 s2, s2
; %bb.209:
	v_mov_b32_e32 v1, 0x7f
	v_cmp_lt_u32_e32 vcc_lo, 0x7f800000, v3
	s_delay_alu instid0(VALU_DEP_2)
	v_cndmask_b32_e32 v1, 0x7c, v1, vcc_lo
; %bb.210:
	s_or_b32 exec_lo, exec_lo, s2
.LBB242_211:
	s_mov_b32 s2, 0
.LBB242_212:
	s_delay_alu instid0(SALU_CYCLE_1)
	s_and_not1_b32 vcc_lo, exec_lo, s2
	s_cbranch_vccnz .LBB242_228
; %bb.213:
	global_load_u8 v3, v[4:5], off
	s_mov_b32 s2, 0
	s_mov_b32 s17, exec_lo
	s_wait_loadcnt 0x0
	v_cmpx_lt_i16_e32 0x7f, v3
	s_xor_b32 s17, exec_lo, s17
	s_cbranch_execz .LBB242_249
; %bb.214:
	s_mov_b32 s2, -1
	s_mov_b32 s28, exec_lo
	v_cmpx_eq_u16_e32 0x80, v3
; %bb.215:
	s_xor_b32 s2, exec_lo, -1
; %bb.216:
	s_or_b32 exec_lo, exec_lo, s28
	s_delay_alu instid0(SALU_CYCLE_1)
	s_and_b32 s2, s2, exec_lo
	s_or_saveexec_b32 s17, s17
	v_mov_b32_e32 v1, 0x7f800001
	s_xor_b32 exec_lo, exec_lo, s17
	s_cbranch_execnz .LBB242_250
.LBB242_217:
	s_or_b32 exec_lo, exec_lo, s17
	s_and_saveexec_b32 s17, s2
	s_cbranch_execz .LBB242_219
.LBB242_218:
	v_and_b32_e32 v1, 0xffff, v3
	s_delay_alu instid0(VALU_DEP_1) | instskip(SKIP_1) | instid1(VALU_DEP_2)
	v_and_b32_e32 v6, 7, v1
	v_bfe_u32 v9, v1, 3, 4
	v_clz_i32_u32_e32 v7, v6
	s_delay_alu instid0(VALU_DEP_2) | instskip(NEXT) | instid1(VALU_DEP_2)
	v_cmp_eq_u32_e32 vcc_lo, 0, v9
	v_min_u32_e32 v7, 32, v7
	s_delay_alu instid0(VALU_DEP_1) | instskip(NEXT) | instid1(VALU_DEP_1)
	v_subrev_nc_u32_e32 v8, 28, v7
	v_dual_lshlrev_b32 v1, v8, v1 :: v_dual_sub_nc_u32 v7, 29, v7
	s_delay_alu instid0(VALU_DEP_1) | instskip(NEXT) | instid1(VALU_DEP_1)
	v_dual_lshlrev_b32 v3, 24, v3 :: v_dual_bitop2_b32 v1, 7, v1 bitop3:0x40
	v_dual_cndmask_b32 v1, v6, v1, vcc_lo :: v_dual_cndmask_b32 v7, v9, v7, vcc_lo
	s_delay_alu instid0(VALU_DEP_2) | instskip(NEXT) | instid1(VALU_DEP_2)
	v_and_b32_e32 v3, 0x80000000, v3
	v_lshlrev_b32_e32 v1, 20, v1
	s_delay_alu instid0(VALU_DEP_3) | instskip(NEXT) | instid1(VALU_DEP_1)
	v_lshl_add_u32 v6, v7, 23, 0x3b800000
	v_or3_b32 v1, v3, v6, v1
.LBB242_219:
	s_or_b32 exec_lo, exec_lo, s17
	s_delay_alu instid0(VALU_DEP_1) | instskip(SKIP_1) | instid1(VALU_DEP_1)
	v_and_b32_e32 v6, 0x7fffffff, v1
	s_mov_b32 s2, exec_lo
                                        ; implicit-def: $vgpr3
	v_cmpx_gt_u32_e32 0x47800000, v6
	s_xor_b32 s2, exec_lo, s2
	s_cbranch_execz .LBB242_225
; %bb.220:
	s_mov_b32 s17, exec_lo
                                        ; implicit-def: $vgpr3
	v_cmpx_lt_u32_e32 0x387fffff, v6
	s_xor_b32 s17, exec_lo, s17
; %bb.221:
	v_bfe_u32 v3, v1, 21, 1
	s_delay_alu instid0(VALU_DEP_1) | instskip(NEXT) | instid1(VALU_DEP_1)
	v_add3_u32 v3, v1, v3, 0x80fffff
	v_lshrrev_b32_e32 v3, 21, v3
; %bb.222:
	s_and_not1_saveexec_b32 s17, s17
; %bb.223:
	v_add_f32_e64 v3, 0x43000000, |v1|
; %bb.224:
	s_or_b32 exec_lo, exec_lo, s17
                                        ; implicit-def: $vgpr6
.LBB242_225:
	s_and_not1_saveexec_b32 s2, s2
; %bb.226:
	v_mov_b32_e32 v3, 0x7f
	v_cmp_lt_u32_e32 vcc_lo, 0x7f800000, v6
	s_delay_alu instid0(VALU_DEP_2)
	v_cndmask_b32_e32 v3, 0x7c, v3, vcc_lo
; %bb.227:
	s_or_b32 exec_lo, exec_lo, s2
	v_lshrrev_b32_e32 v1, 24, v1
	s_delay_alu instid0(VALU_DEP_1)
	v_and_or_b32 v1, 0x80, v1, v3
.LBB242_228:
	s_mov_b32 s2, -1
.LBB242_229:
	s_branch .LBB242_295
.LBB242_230:
	s_cmp_gt_i32 s1, 22
	s_cbranch_scc0 .LBB242_248
; %bb.231:
	s_cmp_lt_i32 s1, 24
	s_cbranch_scc1 .LBB242_251
; %bb.232:
	s_cmp_gt_i32 s1, 24
	s_cbranch_scc0 .LBB242_252
; %bb.233:
	global_load_u8 v3, v[4:5], off
	s_mov_b32 s2, 0
	s_mov_b32 s17, exec_lo
	s_wait_loadcnt 0x0
	v_cmpx_lt_i16_e32 0x7f, v3
	s_xor_b32 s17, exec_lo, s17
	s_cbranch_execz .LBB242_263
; %bb.234:
	s_mov_b32 s2, -1
	s_mov_b32 s28, exec_lo
	v_cmpx_eq_u16_e32 0x80, v3
; %bb.235:
	s_xor_b32 s2, exec_lo, -1
; %bb.236:
	s_or_b32 exec_lo, exec_lo, s28
	s_delay_alu instid0(SALU_CYCLE_1)
	s_and_b32 s2, s2, exec_lo
	s_or_saveexec_b32 s17, s17
	v_mov_b32_e32 v1, 0x7f800001
	s_xor_b32 exec_lo, exec_lo, s17
	s_cbranch_execnz .LBB242_264
.LBB242_237:
	s_or_b32 exec_lo, exec_lo, s17
	s_and_saveexec_b32 s17, s2
	s_cbranch_execz .LBB242_239
.LBB242_238:
	v_and_b32_e32 v1, 0xffff, v3
	s_delay_alu instid0(VALU_DEP_1) | instskip(SKIP_1) | instid1(VALU_DEP_2)
	v_and_b32_e32 v6, 3, v1
	v_bfe_u32 v9, v1, 2, 5
	v_clz_i32_u32_e32 v7, v6
	s_delay_alu instid0(VALU_DEP_2) | instskip(NEXT) | instid1(VALU_DEP_2)
	v_cmp_eq_u32_e32 vcc_lo, 0, v9
	v_min_u32_e32 v7, 32, v7
	s_delay_alu instid0(VALU_DEP_1) | instskip(NEXT) | instid1(VALU_DEP_1)
	v_subrev_nc_u32_e32 v8, 29, v7
	v_dual_lshlrev_b32 v1, v8, v1 :: v_dual_sub_nc_u32 v7, 30, v7
	s_delay_alu instid0(VALU_DEP_1) | instskip(NEXT) | instid1(VALU_DEP_1)
	v_dual_lshlrev_b32 v3, 24, v3 :: v_dual_bitop2_b32 v1, 3, v1 bitop3:0x40
	v_dual_cndmask_b32 v1, v6, v1, vcc_lo :: v_dual_cndmask_b32 v7, v9, v7, vcc_lo
	s_delay_alu instid0(VALU_DEP_2) | instskip(NEXT) | instid1(VALU_DEP_2)
	v_and_b32_e32 v3, 0x80000000, v3
	v_lshlrev_b32_e32 v1, 21, v1
	s_delay_alu instid0(VALU_DEP_3) | instskip(NEXT) | instid1(VALU_DEP_1)
	v_lshl_add_u32 v6, v7, 23, 0x37800000
	v_or3_b32 v1, v3, v6, v1
.LBB242_239:
	s_or_b32 exec_lo, exec_lo, s17
	s_delay_alu instid0(VALU_DEP_1) | instskip(SKIP_1) | instid1(VALU_DEP_1)
	v_and_b32_e32 v6, 0x7fffffff, v1
	s_mov_b32 s2, exec_lo
                                        ; implicit-def: $vgpr3
	v_cmpx_gt_u32_e32 0x47800000, v6
	s_xor_b32 s2, exec_lo, s2
	s_cbranch_execz .LBB242_245
; %bb.240:
	s_mov_b32 s17, exec_lo
                                        ; implicit-def: $vgpr3
	v_cmpx_lt_u32_e32 0x387fffff, v6
	s_xor_b32 s17, exec_lo, s17
; %bb.241:
	v_bfe_u32 v3, v1, 21, 1
	s_delay_alu instid0(VALU_DEP_1) | instskip(NEXT) | instid1(VALU_DEP_1)
	v_add3_u32 v3, v1, v3, 0x80fffff
	v_lshrrev_b32_e32 v3, 21, v3
; %bb.242:
	s_and_not1_saveexec_b32 s17, s17
; %bb.243:
	v_add_f32_e64 v3, 0x43000000, |v1|
; %bb.244:
	s_or_b32 exec_lo, exec_lo, s17
                                        ; implicit-def: $vgpr6
.LBB242_245:
	s_and_not1_saveexec_b32 s2, s2
; %bb.246:
	v_mov_b32_e32 v3, 0x7f
	v_cmp_lt_u32_e32 vcc_lo, 0x7f800000, v6
	s_delay_alu instid0(VALU_DEP_2)
	v_cndmask_b32_e32 v3, 0x7c, v3, vcc_lo
; %bb.247:
	s_or_b32 exec_lo, exec_lo, s2
	v_lshrrev_b32_e32 v1, 24, v1
	s_mov_b32 s2, 0
	s_delay_alu instid0(VALU_DEP_1)
	v_and_or_b32 v1, 0x80, v1, v3
	s_branch .LBB242_253
.LBB242_248:
	s_mov_b32 s17, -1
                                        ; implicit-def: $vgpr1
	s_branch .LBB242_269
.LBB242_249:
	s_or_saveexec_b32 s17, s17
	v_mov_b32_e32 v1, 0x7f800001
	s_xor_b32 exec_lo, exec_lo, s17
	s_cbranch_execz .LBB242_217
.LBB242_250:
	v_cmp_ne_u16_e32 vcc_lo, 0, v3
	v_mov_b32_e32 v1, 0
	s_and_not1_b32 s2, s2, exec_lo
	s_and_b32 s28, vcc_lo, exec_lo
	s_delay_alu instid0(SALU_CYCLE_1)
	s_or_b32 s2, s2, s28
	s_or_b32 exec_lo, exec_lo, s17
	s_and_saveexec_b32 s17, s2
	s_cbranch_execnz .LBB242_218
	s_branch .LBB242_219
.LBB242_251:
	s_mov_b32 s2, -1
                                        ; implicit-def: $vgpr1
	s_branch .LBB242_266
.LBB242_252:
	s_mov_b32 s2, -1
                                        ; implicit-def: $vgpr1
.LBB242_253:
	s_delay_alu instid0(SALU_CYCLE_1)
	s_and_b32 vcc_lo, exec_lo, s2
	s_cbranch_vccz .LBB242_265
; %bb.254:
	global_load_u8 v1, v[4:5], off
	s_mov_b32 s2, exec_lo
	s_wait_loadcnt 0x0
	v_lshlrev_b32_e32 v1, 24, v1
	s_delay_alu instid0(VALU_DEP_1) | instskip(NEXT) | instid1(VALU_DEP_1)
	v_and_b32_e32 v3, 0x7f000000, v1
	v_clz_i32_u32_e32 v6, v3
	v_cmp_ne_u32_e32 vcc_lo, 0, v3
	v_add_nc_u32_e32 v8, 0x1000000, v3
	s_delay_alu instid0(VALU_DEP_3) | instskip(NEXT) | instid1(VALU_DEP_1)
	v_min_u32_e32 v6, 32, v6
	v_sub_nc_u32_e64 v6, v6, 4 clamp
	s_delay_alu instid0(VALU_DEP_1) | instskip(NEXT) | instid1(VALU_DEP_1)
	v_lshlrev_b32_e32 v7, v6, v3
                                        ; implicit-def: $vgpr3
	v_dual_lshlrev_b32 v6, 23, v6 :: v_dual_lshrrev_b32 v7, 4, v7
	s_delay_alu instid0(VALU_DEP_1) | instskip(NEXT) | instid1(VALU_DEP_1)
	v_dual_sub_nc_u32 v6, v7, v6 :: v_dual_ashrrev_i32 v7, 8, v8
	v_add_nc_u32_e32 v6, 0x3c000000, v6
	s_delay_alu instid0(VALU_DEP_1) | instskip(NEXT) | instid1(VALU_DEP_1)
	v_and_or_b32 v6, 0x7f800000, v7, v6
	v_cndmask_b32_e32 v7, 0, v6, vcc_lo
	s_delay_alu instid0(VALU_DEP_1) | instskip(NEXT) | instid1(VALU_DEP_1)
	v_and_or_b32 v1, 0x80000000, v1, v7
	v_and_b32_e32 v6, 0x7fffffff, v1
	s_delay_alu instid0(VALU_DEP_1)
	v_cmpx_gt_u32_e32 0x47800000, v6
	s_xor_b32 s2, exec_lo, s2
	s_cbranch_execz .LBB242_260
; %bb.255:
	s_mov_b32 s17, exec_lo
                                        ; implicit-def: $vgpr3
	v_cmpx_lt_u32_e32 0x387fffff, v6
	s_xor_b32 s17, exec_lo, s17
; %bb.256:
	v_bfe_u32 v3, v7, 21, 1
	s_delay_alu instid0(VALU_DEP_1) | instskip(NEXT) | instid1(VALU_DEP_1)
	v_add3_u32 v3, v1, v3, 0x80fffff
	v_lshrrev_b32_e32 v3, 21, v3
; %bb.257:
	s_and_not1_saveexec_b32 s17, s17
; %bb.258:
	v_add_f32_e64 v3, 0x43000000, |v1|
; %bb.259:
	s_or_b32 exec_lo, exec_lo, s17
                                        ; implicit-def: $vgpr6
.LBB242_260:
	s_and_not1_saveexec_b32 s2, s2
; %bb.261:
	v_mov_b32_e32 v3, 0x7f
	v_cmp_lt_u32_e32 vcc_lo, 0x7f800000, v6
	s_delay_alu instid0(VALU_DEP_2)
	v_cndmask_b32_e32 v3, 0x7c, v3, vcc_lo
; %bb.262:
	s_or_b32 exec_lo, exec_lo, s2
	v_lshrrev_b32_e32 v1, 24, v1
	s_mov_b32 s2, 0
	s_delay_alu instid0(VALU_DEP_1)
	v_and_or_b32 v1, 0x80, v1, v3
	s_branch .LBB242_266
.LBB242_263:
	s_or_saveexec_b32 s17, s17
	v_mov_b32_e32 v1, 0x7f800001
	s_xor_b32 exec_lo, exec_lo, s17
	s_cbranch_execz .LBB242_237
.LBB242_264:
	v_cmp_ne_u16_e32 vcc_lo, 0, v3
	v_mov_b32_e32 v1, 0
	s_and_not1_b32 s2, s2, exec_lo
	s_and_b32 s28, vcc_lo, exec_lo
	s_delay_alu instid0(SALU_CYCLE_1)
	s_or_b32 s2, s2, s28
	s_or_b32 exec_lo, exec_lo, s17
	s_and_saveexec_b32 s17, s2
	s_cbranch_execnz .LBB242_238
	s_branch .LBB242_239
.LBB242_265:
	s_mov_b32 s2, 0
.LBB242_266:
	s_delay_alu instid0(SALU_CYCLE_1)
	s_and_not1_b32 vcc_lo, exec_lo, s2
	s_cbranch_vccnz .LBB242_268
; %bb.267:
	global_load_u8 v1, v[4:5], off
.LBB242_268:
	s_mov_b32 s17, 0
	s_mov_b32 s2, -1
.LBB242_269:
	s_and_not1_b32 vcc_lo, exec_lo, s17
	s_cbranch_vccnz .LBB242_295
; %bb.270:
	s_cmp_gt_i32 s1, 14
	s_cbranch_scc0 .LBB242_281
; %bb.271:
	s_cmp_eq_u32 s1, 15
	s_cbranch_scc0 .LBB242_282
; %bb.272:
	s_wait_loadcnt 0x0
	global_load_u16 v1, v[4:5], off
	s_mov_b32 s2, exec_lo
                                        ; implicit-def: $vgpr3
	s_wait_loadcnt 0x0
	v_lshlrev_b32_e32 v6, 16, v1
	s_delay_alu instid0(VALU_DEP_1) | instskip(NEXT) | instid1(VALU_DEP_1)
	v_and_b32_e32 v7, 0x7fffffff, v6
	v_cmpx_gt_u32_e32 0x47800000, v7
	s_xor_b32 s2, exec_lo, s2
	s_cbranch_execz .LBB242_278
; %bb.273:
	s_mov_b32 s16, exec_lo
                                        ; implicit-def: $vgpr3
	v_cmpx_lt_u32_e32 0x387fffff, v7
	s_xor_b32 s16, exec_lo, s16
; %bb.274:
	v_bfe_u32 v3, v1, 5, 1
	s_delay_alu instid0(VALU_DEP_1) | instskip(NEXT) | instid1(VALU_DEP_1)
	v_add3_u32 v3, v6, v3, 0x80fffff
                                        ; implicit-def: $vgpr6
	v_lshrrev_b32_e32 v3, 21, v3
; %bb.275:
	s_and_not1_saveexec_b32 s16, s16
; %bb.276:
	v_add_f32_e64 v3, 0x43000000, |v6|
; %bb.277:
	s_or_b32 exec_lo, exec_lo, s16
                                        ; implicit-def: $vgpr7
.LBB242_278:
	s_and_not1_saveexec_b32 s2, s2
; %bb.279:
	v_mov_b32_e32 v3, 0x7f
	v_cmp_lt_u32_e32 vcc_lo, 0x7f800000, v7
	s_delay_alu instid0(VALU_DEP_2)
	v_cndmask_b32_e32 v3, 0x7c, v3, vcc_lo
; %bb.280:
	s_or_b32 exec_lo, exec_lo, s2
	v_lshrrev_b32_e32 v1, 8, v1
	s_mov_b32 s2, -1
	s_mov_b32 s16, 0
	s_mov_b32 s17, 0
	s_delay_alu instid0(VALU_DEP_1)
	v_and_or_b32 v1, 0x80, v1, v3
	s_branch .LBB242_283
.LBB242_281:
	s_mov_b32 s17, -1
                                        ; implicit-def: $vgpr1
	s_branch .LBB242_283
.LBB242_282:
	s_mov_b32 s16, -1
                                        ; implicit-def: $vgpr1
	s_mov_b32 s17, 0
.LBB242_283:
	s_delay_alu instid0(SALU_CYCLE_1)
	s_and_b32 vcc_lo, exec_lo, s17
	s_cbranch_vccz .LBB242_295
; %bb.284:
	s_cmp_eq_u32 s1, 11
	s_cbranch_scc0 .LBB242_294
; %bb.285:
	s_wait_loadcnt 0x0
	global_load_u8 v1, v[4:5], off
	s_mov_b32 s2, exec_lo
	s_wait_loadcnt 0x0
	v_cmp_ne_u16_e32 vcc_lo, 0, v1
                                        ; implicit-def: $vgpr1
	v_cndmask_b32_e64 v3, 0, 1.0, vcc_lo
	s_delay_alu instid0(VALU_DEP_1)
	v_cmpx_gt_u32_e32 0x47800000, v3
	s_xor_b32 s2, exec_lo, s2
	s_cbranch_execz .LBB242_291
; %bb.286:
	s_mov_b32 s16, exec_lo
                                        ; implicit-def: $vgpr1
	v_cmpx_lt_u32_e32 0x387fffff, v3
	s_xor_b32 s16, exec_lo, s16
; %bb.287:
	v_bfe_u32 v1, v3, 21, 1
	s_delay_alu instid0(VALU_DEP_1) | instskip(NEXT) | instid1(VALU_DEP_1)
	v_add3_u32 v1, v3, v1, 0x80fffff
                                        ; implicit-def: $vgpr3
	v_lshrrev_b32_e32 v1, 21, v1
; %bb.288:
	s_and_not1_saveexec_b32 s16, s16
; %bb.289:
	v_add_f32_e32 v1, 0x43000000, v3
; %bb.290:
	s_or_b32 exec_lo, exec_lo, s16
                                        ; implicit-def: $vgpr3
.LBB242_291:
	s_and_not1_saveexec_b32 s2, s2
; %bb.292:
	v_mov_b32_e32 v1, 0x7f
	v_cmp_lt_u32_e32 vcc_lo, 0x7f800000, v3
	s_delay_alu instid0(VALU_DEP_2)
	v_cndmask_b32_e32 v1, 0x7c, v1, vcc_lo
; %bb.293:
	s_or_b32 exec_lo, exec_lo, s2
	s_mov_b32 s2, -1
	s_mov_b32 s16, 0
	s_branch .LBB242_295
.LBB242_294:
	s_mov_b32 s16, -1
                                        ; implicit-def: $vgpr1
.LBB242_295:
	s_branch .LBB242_33
.LBB242_296:
	s_cmp_lt_i32 s1, 5
	s_cbranch_scc1 .LBB242_309
; %bb.297:
	s_cmp_lt_i32 s1, 8
	s_cbranch_scc1 .LBB242_310
; %bb.298:
	;; [unrolled: 3-line block ×3, first 2 shown]
	s_cmp_gt_i32 s1, 9
	s_cbranch_scc0 .LBB242_312
; %bb.300:
	global_load_b64 v[6:7], v[4:5], off
	s_mov_b32 s2, exec_lo
                                        ; implicit-def: $vgpr3
	s_wait_loadcnt 0x0
	v_cvt_f32_f64_e32 v1, v[6:7]
	s_delay_alu instid0(VALU_DEP_1) | instskip(NEXT) | instid1(VALU_DEP_1)
	v_and_b32_e32 v6, 0x7fffffff, v1
	v_cmpx_gt_u32_e32 0x47800000, v6
	s_xor_b32 s2, exec_lo, s2
	s_cbranch_execz .LBB242_306
; %bb.301:
	s_mov_b32 s17, exec_lo
                                        ; implicit-def: $vgpr3
	v_cmpx_lt_u32_e32 0x387fffff, v6
	s_xor_b32 s17, exec_lo, s17
; %bb.302:
	v_bfe_u32 v3, v1, 21, 1
	s_delay_alu instid0(VALU_DEP_1) | instskip(NEXT) | instid1(VALU_DEP_1)
	v_add3_u32 v3, v1, v3, 0x80fffff
	v_lshrrev_b32_e32 v3, 21, v3
; %bb.303:
	s_and_not1_saveexec_b32 s17, s17
; %bb.304:
	v_add_f32_e64 v3, 0x43000000, |v1|
; %bb.305:
	s_or_b32 exec_lo, exec_lo, s17
                                        ; implicit-def: $vgpr6
.LBB242_306:
	s_and_not1_saveexec_b32 s2, s2
; %bb.307:
	v_mov_b32_e32 v3, 0x7f
	v_cmp_lt_u32_e32 vcc_lo, 0x7f800000, v6
	s_delay_alu instid0(VALU_DEP_2)
	v_cndmask_b32_e32 v3, 0x7c, v3, vcc_lo
; %bb.308:
	s_or_b32 exec_lo, exec_lo, s2
	v_lshrrev_b32_e32 v1, 24, v1
	s_mov_b32 s2, 0
	s_delay_alu instid0(VALU_DEP_1)
	v_and_or_b32 v1, 0x80, v1, v3
	s_branch .LBB242_313
.LBB242_309:
                                        ; implicit-def: $vgpr1
	s_branch .LBB242_371
.LBB242_310:
	s_mov_b32 s2, -1
                                        ; implicit-def: $vgpr1
	s_branch .LBB242_335
.LBB242_311:
	s_mov_b32 s2, -1
                                        ; implicit-def: $vgpr1
	s_branch .LBB242_324
.LBB242_312:
	s_mov_b32 s2, -1
                                        ; implicit-def: $vgpr1
.LBB242_313:
	s_delay_alu instid0(SALU_CYCLE_1)
	s_and_b32 vcc_lo, exec_lo, s2
	s_cbranch_vccz .LBB242_323
; %bb.314:
	s_wait_loadcnt 0x0
	global_load_b32 v1, v[4:5], off
	s_mov_b32 s2, exec_lo
                                        ; implicit-def: $vgpr3
	s_wait_loadcnt 0x0
	v_and_b32_e32 v6, 0x7fffffff, v1
	s_delay_alu instid0(VALU_DEP_1)
	v_cmpx_gt_u32_e32 0x47800000, v6
	s_xor_b32 s2, exec_lo, s2
	s_cbranch_execz .LBB242_320
; %bb.315:
	s_mov_b32 s17, exec_lo
                                        ; implicit-def: $vgpr3
	v_cmpx_lt_u32_e32 0x387fffff, v6
	s_xor_b32 s17, exec_lo, s17
; %bb.316:
	v_bfe_u32 v3, v1, 21, 1
	s_delay_alu instid0(VALU_DEP_1) | instskip(NEXT) | instid1(VALU_DEP_1)
	v_add3_u32 v3, v1, v3, 0x80fffff
	v_lshrrev_b32_e32 v3, 21, v3
; %bb.317:
	s_and_not1_saveexec_b32 s17, s17
; %bb.318:
	v_add_f32_e64 v3, 0x43000000, |v1|
; %bb.319:
	s_or_b32 exec_lo, exec_lo, s17
                                        ; implicit-def: $vgpr6
.LBB242_320:
	s_and_not1_saveexec_b32 s2, s2
; %bb.321:
	v_mov_b32_e32 v3, 0x7f
	v_cmp_lt_u32_e32 vcc_lo, 0x7f800000, v6
	s_delay_alu instid0(VALU_DEP_2)
	v_cndmask_b32_e32 v3, 0x7c, v3, vcc_lo
; %bb.322:
	s_or_b32 exec_lo, exec_lo, s2
	v_lshrrev_b32_e32 v1, 24, v1
	s_mov_b32 s2, 0
	s_delay_alu instid0(VALU_DEP_1)
	v_and_or_b32 v1, 0x80, v1, v3
	s_branch .LBB242_324
.LBB242_323:
	s_mov_b32 s2, 0
.LBB242_324:
	s_delay_alu instid0(SALU_CYCLE_1)
	s_and_not1_b32 vcc_lo, exec_lo, s2
	s_cbranch_vccnz .LBB242_334
; %bb.325:
	s_wait_loadcnt 0x0
	global_load_b32 v1, v[4:5], off
	s_mov_b32 s2, exec_lo
                                        ; implicit-def: $vgpr3
	s_wait_loadcnt 0x0
	v_cvt_f32_f16_e32 v1, v1
	s_delay_alu instid0(VALU_DEP_1) | instskip(NEXT) | instid1(VALU_DEP_1)
	v_and_b32_e32 v6, 0x7fffffff, v1
	v_cmpx_gt_u32_e32 0x47800000, v6
	s_xor_b32 s2, exec_lo, s2
	s_cbranch_execz .LBB242_331
; %bb.326:
	s_mov_b32 s17, exec_lo
                                        ; implicit-def: $vgpr3
	v_cmpx_lt_u32_e32 0x387fffff, v6
	s_xor_b32 s17, exec_lo, s17
; %bb.327:
	v_bfe_u32 v3, v1, 21, 1
	s_delay_alu instid0(VALU_DEP_1) | instskip(NEXT) | instid1(VALU_DEP_1)
	v_add3_u32 v3, v1, v3, 0x80fffff
	v_lshrrev_b32_e32 v3, 21, v3
; %bb.328:
	s_and_not1_saveexec_b32 s17, s17
; %bb.329:
	v_add_f32_e64 v3, 0x43000000, |v1|
; %bb.330:
	s_or_b32 exec_lo, exec_lo, s17
                                        ; implicit-def: $vgpr6
.LBB242_331:
	s_and_not1_saveexec_b32 s2, s2
; %bb.332:
	v_mov_b32_e32 v3, 0x7f
	v_cmp_lt_u32_e32 vcc_lo, 0x7f800000, v6
	s_delay_alu instid0(VALU_DEP_2)
	v_cndmask_b32_e32 v3, 0x7c, v3, vcc_lo
; %bb.333:
	s_or_b32 exec_lo, exec_lo, s2
	v_lshrrev_b32_e32 v1, 24, v1
	s_delay_alu instid0(VALU_DEP_1)
	v_and_or_b32 v1, 0x80, v1, v3
.LBB242_334:
	s_mov_b32 s2, 0
.LBB242_335:
	s_delay_alu instid0(SALU_CYCLE_1)
	s_and_not1_b32 vcc_lo, exec_lo, s2
	s_cbranch_vccnz .LBB242_370
; %bb.336:
	s_cmp_lt_i32 s1, 6
	s_cbranch_scc1 .LBB242_347
; %bb.337:
	s_cmp_gt_i32 s1, 6
	s_cbranch_scc0 .LBB242_348
; %bb.338:
	global_load_b64 v[6:7], v[4:5], off
	s_mov_b32 s2, exec_lo
                                        ; implicit-def: $vgpr3
	s_wait_loadcnt 0x0
	v_cvt_f32_f64_e32 v1, v[6:7]
	s_delay_alu instid0(VALU_DEP_1) | instskip(NEXT) | instid1(VALU_DEP_1)
	v_and_b32_e32 v6, 0x7fffffff, v1
	v_cmpx_gt_u32_e32 0x47800000, v6
	s_xor_b32 s2, exec_lo, s2
	s_cbranch_execz .LBB242_344
; %bb.339:
	s_mov_b32 s17, exec_lo
                                        ; implicit-def: $vgpr3
	v_cmpx_lt_u32_e32 0x387fffff, v6
	s_xor_b32 s17, exec_lo, s17
; %bb.340:
	v_bfe_u32 v3, v1, 21, 1
	s_delay_alu instid0(VALU_DEP_1) | instskip(NEXT) | instid1(VALU_DEP_1)
	v_add3_u32 v3, v1, v3, 0x80fffff
	v_lshrrev_b32_e32 v3, 21, v3
; %bb.341:
	s_and_not1_saveexec_b32 s17, s17
; %bb.342:
	v_add_f32_e64 v3, 0x43000000, |v1|
; %bb.343:
	s_or_b32 exec_lo, exec_lo, s17
                                        ; implicit-def: $vgpr6
.LBB242_344:
	s_and_not1_saveexec_b32 s2, s2
; %bb.345:
	v_mov_b32_e32 v3, 0x7f
	v_cmp_lt_u32_e32 vcc_lo, 0x7f800000, v6
	s_delay_alu instid0(VALU_DEP_2)
	v_cndmask_b32_e32 v3, 0x7c, v3, vcc_lo
; %bb.346:
	s_or_b32 exec_lo, exec_lo, s2
	v_lshrrev_b32_e32 v1, 24, v1
	s_mov_b32 s2, 0
	s_delay_alu instid0(VALU_DEP_1)
	v_and_or_b32 v1, 0x80, v1, v3
	s_branch .LBB242_349
.LBB242_347:
	s_mov_b32 s2, -1
                                        ; implicit-def: $vgpr1
	s_branch .LBB242_360
.LBB242_348:
	s_mov_b32 s2, -1
                                        ; implicit-def: $vgpr1
.LBB242_349:
	s_delay_alu instid0(SALU_CYCLE_1)
	s_and_b32 vcc_lo, exec_lo, s2
	s_cbranch_vccz .LBB242_359
; %bb.350:
	s_wait_loadcnt 0x0
	global_load_b32 v1, v[4:5], off
	s_mov_b32 s2, exec_lo
                                        ; implicit-def: $vgpr3
	s_wait_loadcnt 0x0
	v_and_b32_e32 v6, 0x7fffffff, v1
	s_delay_alu instid0(VALU_DEP_1)
	v_cmpx_gt_u32_e32 0x47800000, v6
	s_xor_b32 s2, exec_lo, s2
	s_cbranch_execz .LBB242_356
; %bb.351:
	s_mov_b32 s17, exec_lo
                                        ; implicit-def: $vgpr3
	v_cmpx_lt_u32_e32 0x387fffff, v6
	s_xor_b32 s17, exec_lo, s17
; %bb.352:
	v_bfe_u32 v3, v1, 21, 1
	s_delay_alu instid0(VALU_DEP_1) | instskip(NEXT) | instid1(VALU_DEP_1)
	v_add3_u32 v3, v1, v3, 0x80fffff
	v_lshrrev_b32_e32 v3, 21, v3
; %bb.353:
	s_and_not1_saveexec_b32 s17, s17
; %bb.354:
	v_add_f32_e64 v3, 0x43000000, |v1|
; %bb.355:
	s_or_b32 exec_lo, exec_lo, s17
                                        ; implicit-def: $vgpr6
.LBB242_356:
	s_and_not1_saveexec_b32 s2, s2
; %bb.357:
	v_mov_b32_e32 v3, 0x7f
	v_cmp_lt_u32_e32 vcc_lo, 0x7f800000, v6
	s_delay_alu instid0(VALU_DEP_2)
	v_cndmask_b32_e32 v3, 0x7c, v3, vcc_lo
; %bb.358:
	s_or_b32 exec_lo, exec_lo, s2
	v_lshrrev_b32_e32 v1, 24, v1
	s_mov_b32 s2, 0
	s_delay_alu instid0(VALU_DEP_1)
	v_and_or_b32 v1, 0x80, v1, v3
	s_branch .LBB242_360
.LBB242_359:
	s_mov_b32 s2, 0
.LBB242_360:
	s_delay_alu instid0(SALU_CYCLE_1)
	s_and_not1_b32 vcc_lo, exec_lo, s2
	s_cbranch_vccnz .LBB242_370
; %bb.361:
	s_wait_loadcnt 0x0
	global_load_u16 v1, v[4:5], off
	s_mov_b32 s2, exec_lo
                                        ; implicit-def: $vgpr3
	s_wait_loadcnt 0x0
	v_cvt_f32_f16_e32 v1, v1
	s_delay_alu instid0(VALU_DEP_1) | instskip(NEXT) | instid1(VALU_DEP_1)
	v_and_b32_e32 v6, 0x7fffffff, v1
	v_cmpx_gt_u32_e32 0x47800000, v6
	s_xor_b32 s2, exec_lo, s2
	s_cbranch_execz .LBB242_367
; %bb.362:
	s_mov_b32 s17, exec_lo
                                        ; implicit-def: $vgpr3
	v_cmpx_lt_u32_e32 0x387fffff, v6
	s_xor_b32 s17, exec_lo, s17
; %bb.363:
	v_bfe_u32 v3, v1, 21, 1
	s_delay_alu instid0(VALU_DEP_1) | instskip(NEXT) | instid1(VALU_DEP_1)
	v_add3_u32 v3, v1, v3, 0x80fffff
	v_lshrrev_b32_e32 v3, 21, v3
; %bb.364:
	s_and_not1_saveexec_b32 s17, s17
; %bb.365:
	v_add_f32_e64 v3, 0x43000000, |v1|
; %bb.366:
	s_or_b32 exec_lo, exec_lo, s17
                                        ; implicit-def: $vgpr6
.LBB242_367:
	s_and_not1_saveexec_b32 s2, s2
; %bb.368:
	v_mov_b32_e32 v3, 0x7f
	v_cmp_lt_u32_e32 vcc_lo, 0x7f800000, v6
	s_delay_alu instid0(VALU_DEP_2)
	v_cndmask_b32_e32 v3, 0x7c, v3, vcc_lo
; %bb.369:
	s_or_b32 exec_lo, exec_lo, s2
	v_lshrrev_b32_e32 v1, 24, v1
	s_delay_alu instid0(VALU_DEP_1)
	v_and_or_b32 v1, 0x80, v1, v3
.LBB242_370:
	s_cbranch_execnz .LBB242_430
.LBB242_371:
	s_cmp_lt_i32 s1, 2
	s_cbranch_scc1 .LBB242_383
; %bb.372:
	s_cmp_lt_i32 s1, 3
	s_cbranch_scc1 .LBB242_384
; %bb.373:
	s_cmp_gt_i32 s1, 3
	s_cbranch_scc0 .LBB242_385
; %bb.374:
	global_load_b64 v[6:7], v[4:5], off
	s_mov_b32 s2, exec_lo
	s_wait_loadcnt 0x0
	v_xor_b32_e32 v1, v6, v7
	v_cls_i32_e32 v3, v7
	s_delay_alu instid0(VALU_DEP_2) | instskip(NEXT) | instid1(VALU_DEP_1)
	v_ashrrev_i32_e32 v1, 31, v1
	v_add_nc_u32_e32 v1, 32, v1
	s_delay_alu instid0(VALU_DEP_1) | instskip(NEXT) | instid1(VALU_DEP_1)
	v_add_min_u32_e64 v1, v3, -1, v1
	v_lshlrev_b64_e32 v[6:7], v1, v[6:7]
	v_sub_nc_u32_e32 v1, 32, v1
	s_delay_alu instid0(VALU_DEP_2) | instskip(NEXT) | instid1(VALU_DEP_1)
	v_min_u32_e32 v3, 1, v6
	v_or_b32_e32 v3, v7, v3
	s_delay_alu instid0(VALU_DEP_1) | instskip(NEXT) | instid1(VALU_DEP_1)
	v_cvt_f32_i32_e32 v3, v3
	v_ldexp_f32 v1, v3, v1
                                        ; implicit-def: $vgpr3
	s_delay_alu instid0(VALU_DEP_1) | instskip(NEXT) | instid1(VALU_DEP_1)
	v_and_b32_e32 v6, 0x7fffffff, v1
	v_cmpx_gt_u32_e32 0x47800000, v6
	s_xor_b32 s2, exec_lo, s2
	s_cbranch_execz .LBB242_380
; %bb.375:
	s_mov_b32 s17, exec_lo
                                        ; implicit-def: $vgpr3
	v_cmpx_lt_u32_e32 0x387fffff, v6
	s_xor_b32 s17, exec_lo, s17
; %bb.376:
	v_bfe_u32 v3, v1, 21, 1
	s_delay_alu instid0(VALU_DEP_1) | instskip(NEXT) | instid1(VALU_DEP_1)
	v_add3_u32 v3, v1, v3, 0x80fffff
	v_lshrrev_b32_e32 v3, 21, v3
; %bb.377:
	s_and_not1_saveexec_b32 s17, s17
; %bb.378:
	v_add_f32_e64 v3, 0x43000000, |v1|
; %bb.379:
	s_or_b32 exec_lo, exec_lo, s17
                                        ; implicit-def: $vgpr6
.LBB242_380:
	s_and_not1_saveexec_b32 s2, s2
; %bb.381:
	v_mov_b32_e32 v3, 0x7f
	v_cmp_lt_u32_e32 vcc_lo, 0x7f800000, v6
	s_delay_alu instid0(VALU_DEP_2)
	v_cndmask_b32_e32 v3, 0x7c, v3, vcc_lo
; %bb.382:
	s_or_b32 exec_lo, exec_lo, s2
	v_lshrrev_b32_e32 v1, 24, v1
	s_mov_b32 s2, 0
	s_delay_alu instid0(VALU_DEP_1)
	v_and_or_b32 v1, 0x80, v1, v3
	s_branch .LBB242_386
.LBB242_383:
	s_mov_b32 s2, -1
                                        ; implicit-def: $vgpr1
	s_branch .LBB242_408
.LBB242_384:
	s_mov_b32 s2, -1
                                        ; implicit-def: $vgpr1
	s_branch .LBB242_397
.LBB242_385:
	s_mov_b32 s2, -1
                                        ; implicit-def: $vgpr1
.LBB242_386:
	s_delay_alu instid0(SALU_CYCLE_1)
	s_and_b32 vcc_lo, exec_lo, s2
	s_cbranch_vccz .LBB242_396
; %bb.387:
	s_wait_loadcnt 0x0
	global_load_b32 v1, v[4:5], off
	s_mov_b32 s2, exec_lo
                                        ; implicit-def: $vgpr3
	s_wait_loadcnt 0x0
	v_cvt_f32_i32_e32 v1, v1
	s_delay_alu instid0(VALU_DEP_1) | instskip(NEXT) | instid1(VALU_DEP_1)
	v_and_b32_e32 v6, 0x7fffffff, v1
	v_cmpx_gt_u32_e32 0x47800000, v6
	s_xor_b32 s2, exec_lo, s2
	s_cbranch_execz .LBB242_393
; %bb.388:
	s_mov_b32 s17, exec_lo
                                        ; implicit-def: $vgpr3
	v_cmpx_lt_u32_e32 0x387fffff, v6
	s_xor_b32 s17, exec_lo, s17
; %bb.389:
	v_bfe_u32 v3, v1, 21, 1
	s_delay_alu instid0(VALU_DEP_1) | instskip(NEXT) | instid1(VALU_DEP_1)
	v_add3_u32 v3, v1, v3, 0x80fffff
	v_lshrrev_b32_e32 v3, 21, v3
; %bb.390:
	s_and_not1_saveexec_b32 s17, s17
; %bb.391:
	v_add_f32_e64 v3, 0x43000000, |v1|
; %bb.392:
	s_or_b32 exec_lo, exec_lo, s17
                                        ; implicit-def: $vgpr6
.LBB242_393:
	s_and_not1_saveexec_b32 s2, s2
; %bb.394:
	v_mov_b32_e32 v3, 0x7f
	v_cmp_lt_u32_e32 vcc_lo, 0x7f800000, v6
	s_delay_alu instid0(VALU_DEP_2)
	v_cndmask_b32_e32 v3, 0x7c, v3, vcc_lo
; %bb.395:
	s_or_b32 exec_lo, exec_lo, s2
	v_lshrrev_b32_e32 v1, 24, v1
	s_mov_b32 s2, 0
	s_delay_alu instid0(VALU_DEP_1)
	v_and_or_b32 v1, 0x80, v1, v3
	s_branch .LBB242_397
.LBB242_396:
	s_mov_b32 s2, 0
.LBB242_397:
	s_delay_alu instid0(SALU_CYCLE_1)
	s_and_not1_b32 vcc_lo, exec_lo, s2
	s_cbranch_vccnz .LBB242_407
; %bb.398:
	s_wait_loadcnt 0x0
	global_load_i16 v1, v[4:5], off
	s_mov_b32 s2, exec_lo
                                        ; implicit-def: $vgpr3
	s_wait_loadcnt 0x0
	v_cvt_f32_i32_e32 v1, v1
	s_delay_alu instid0(VALU_DEP_1) | instskip(NEXT) | instid1(VALU_DEP_1)
	v_and_b32_e32 v6, 0x7fffffff, v1
	v_cmpx_gt_u32_e32 0x47800000, v6
	s_xor_b32 s2, exec_lo, s2
	s_cbranch_execz .LBB242_404
; %bb.399:
	s_mov_b32 s17, exec_lo
                                        ; implicit-def: $vgpr3
	v_cmpx_lt_u32_e32 0x387fffff, v6
	s_xor_b32 s17, exec_lo, s17
; %bb.400:
	v_bfe_u32 v3, v1, 21, 1
	s_delay_alu instid0(VALU_DEP_1) | instskip(NEXT) | instid1(VALU_DEP_1)
	v_add3_u32 v3, v1, v3, 0x80fffff
	v_lshrrev_b32_e32 v3, 21, v3
; %bb.401:
	s_and_not1_saveexec_b32 s17, s17
; %bb.402:
	v_add_f32_e64 v3, 0x43000000, |v1|
; %bb.403:
	s_or_b32 exec_lo, exec_lo, s17
                                        ; implicit-def: $vgpr6
.LBB242_404:
	s_and_not1_saveexec_b32 s2, s2
; %bb.405:
	v_mov_b32_e32 v3, 0x7f
	v_cmp_lt_u32_e32 vcc_lo, 0x7f800000, v6
	s_delay_alu instid0(VALU_DEP_2)
	v_cndmask_b32_e32 v3, 0x7c, v3, vcc_lo
; %bb.406:
	s_or_b32 exec_lo, exec_lo, s2
	v_lshrrev_b32_e32 v1, 24, v1
	s_delay_alu instid0(VALU_DEP_1)
	v_and_or_b32 v1, 0x80, v1, v3
.LBB242_407:
	s_mov_b32 s2, 0
.LBB242_408:
	s_delay_alu instid0(SALU_CYCLE_1)
	s_and_not1_b32 vcc_lo, exec_lo, s2
	s_cbranch_vccnz .LBB242_430
; %bb.409:
	s_cmp_gt_i32 s1, 0
	s_cbranch_scc0 .LBB242_419
; %bb.410:
	s_wait_loadcnt 0x0
	global_load_i8 v1, v[4:5], off
	s_mov_b32 s1, exec_lo
                                        ; implicit-def: $vgpr3
	s_wait_loadcnt 0x0
	v_cvt_f32_i32_e32 v1, v1
	s_delay_alu instid0(VALU_DEP_1) | instskip(NEXT) | instid1(VALU_DEP_1)
	v_and_b32_e32 v6, 0x7fffffff, v1
	v_cmpx_gt_u32_e32 0x47800000, v6
	s_xor_b32 s1, exec_lo, s1
	s_cbranch_execz .LBB242_416
; %bb.411:
	s_mov_b32 s2, exec_lo
                                        ; implicit-def: $vgpr3
	v_cmpx_lt_u32_e32 0x387fffff, v6
	s_xor_b32 s2, exec_lo, s2
; %bb.412:
	v_bfe_u32 v3, v1, 21, 1
	s_delay_alu instid0(VALU_DEP_1) | instskip(NEXT) | instid1(VALU_DEP_1)
	v_add3_u32 v3, v1, v3, 0x80fffff
	v_lshrrev_b32_e32 v3, 21, v3
; %bb.413:
	s_and_not1_saveexec_b32 s2, s2
; %bb.414:
	v_add_f32_e64 v3, 0x43000000, |v1|
; %bb.415:
	s_or_b32 exec_lo, exec_lo, s2
                                        ; implicit-def: $vgpr6
.LBB242_416:
	s_and_not1_saveexec_b32 s1, s1
; %bb.417:
	v_mov_b32_e32 v3, 0x7f
	v_cmp_lt_u32_e32 vcc_lo, 0x7f800000, v6
	s_delay_alu instid0(VALU_DEP_2)
	v_cndmask_b32_e32 v3, 0x7c, v3, vcc_lo
; %bb.418:
	s_or_b32 exec_lo, exec_lo, s1
	v_lshrrev_b32_e32 v1, 24, v1
	s_mov_b32 s1, 0
	s_delay_alu instid0(VALU_DEP_1)
	v_and_or_b32 v1, 0x80, v1, v3
	s_branch .LBB242_420
.LBB242_419:
	s_mov_b32 s1, -1
                                        ; implicit-def: $vgpr1
.LBB242_420:
	s_delay_alu instid0(SALU_CYCLE_1)
	s_and_b32 vcc_lo, exec_lo, s1
	s_cbranch_vccz .LBB242_430
; %bb.421:
	s_wait_loadcnt 0x0
	global_load_u8 v1, v[4:5], off
	s_mov_b32 s1, exec_lo
	s_wait_loadcnt 0x0
	v_cvt_f32_ubyte0_e32 v3, v1
                                        ; implicit-def: $vgpr1
	s_delay_alu instid0(VALU_DEP_1)
	v_cmpx_gt_u32_e32 0x47800000, v3
	s_xor_b32 s1, exec_lo, s1
	s_cbranch_execz .LBB242_427
; %bb.422:
	s_mov_b32 s2, exec_lo
                                        ; implicit-def: $vgpr1
	v_cmpx_lt_u32_e32 0x387fffff, v3
	s_xor_b32 s2, exec_lo, s2
; %bb.423:
	v_bfe_u32 v1, v3, 21, 1
	s_delay_alu instid0(VALU_DEP_1) | instskip(NEXT) | instid1(VALU_DEP_1)
	v_add3_u32 v1, v3, v1, 0x80fffff
                                        ; implicit-def: $vgpr3
	v_lshrrev_b32_e32 v1, 21, v1
; %bb.424:
	s_and_not1_saveexec_b32 s2, s2
; %bb.425:
	v_add_f32_e32 v1, 0x43000000, v3
; %bb.426:
	s_or_b32 exec_lo, exec_lo, s2
                                        ; implicit-def: $vgpr3
.LBB242_427:
	s_and_not1_saveexec_b32 s1, s1
; %bb.428:
	v_mov_b32_e32 v1, 0x7f
	v_cmp_lt_u32_e32 vcc_lo, 0x7f800000, v3
	s_delay_alu instid0(VALU_DEP_2)
	v_cndmask_b32_e32 v1, 0x7c, v1, vcc_lo
; %bb.429:
	s_or_b32 exec_lo, exec_lo, s1
.LBB242_430:
	s_branch .LBB242_34
.LBB242_431:
	s_mov_b32 s2, 0
.LBB242_432:
	s_mov_b32 s1, 0
                                        ; implicit-def: $vgpr0
.LBB242_433:
	s_and_b32 s42, s2, exec_lo
	s_and_b32 s43, s16, exec_lo
	s_or_not1_b32 s28, s1, exec_lo
.LBB242_434:
	s_wait_xcnt 0x0
	s_or_b32 exec_lo, exec_lo, s44
	s_mov_b32 s16, 0
	s_mov_b32 s2, 0
                                        ; implicit-def: $vgpr4_vgpr5
                                        ; implicit-def: $vgpr2
                                        ; implicit-def: $vgpr3
	s_and_saveexec_b32 s44, s28
	s_cbranch_execz .LBB242_442
; %bb.435:
	s_mov_b32 s17, -1
	s_mov_b32 s45, s43
	s_mov_b32 s46, s42
	s_mov_b32 s47, exec_lo
	v_cmpx_gt_i32_e64 s39, v0
	s_cbranch_execz .LBB242_888
; %bb.436:
	s_and_not1_b32 vcc_lo, exec_lo, s35
	s_cbranch_vccnz .LBB242_453
; %bb.437:
	s_and_not1_b32 vcc_lo, exec_lo, s41
	s_cbranch_vccnz .LBB242_454
; %bb.438:
	s_add_co_i32 s1, s40, 1
	s_cmp_eq_u32 s33, 2
	s_cbranch_scc1 .LBB242_455
; %bb.439:
	v_dual_mov_b32 v2, 0 :: v_dual_mov_b32 v4, 0
	s_wait_loadcnt 0x0
	v_mov_b32_e32 v1, v0
	s_and_b32 s16, s1, 28
	s_mov_b64 s[28:29], s[20:21]
	s_mov_b64 s[30:31], s[26:27]
.LBB242_440:                            ; =>This Inner Loop Header: Depth=1
	s_clause 0x1
	s_load_b256 s[48:55], s[28:29], 0x4
	s_load_b128 s[64:67], s[28:29], 0x24
	s_load_b256 s[56:63], s[30:31], 0x0
	s_add_co_i32 s2, s2, 4
	s_wait_xcnt 0x0
	s_add_nc_u64 s[28:29], s[28:29], 48
	s_cmp_eq_u32 s16, s2
	s_add_nc_u64 s[30:31], s[30:31], 32
	s_wait_kmcnt 0x0
	v_mul_hi_u32 v3, s49, v1
	s_delay_alu instid0(VALU_DEP_1) | instskip(NEXT) | instid1(VALU_DEP_1)
	v_add_nc_u32_e32 v3, v1, v3
	v_lshrrev_b32_e32 v3, s50, v3
	s_delay_alu instid0(VALU_DEP_1) | instskip(NEXT) | instid1(VALU_DEP_1)
	v_mul_hi_u32 v5, s52, v3
	v_add_nc_u32_e32 v5, v3, v5
	s_delay_alu instid0(VALU_DEP_1) | instskip(NEXT) | instid1(VALU_DEP_1)
	v_lshrrev_b32_e32 v5, s53, v5
	v_mul_hi_u32 v6, s55, v5
	s_delay_alu instid0(VALU_DEP_1) | instskip(SKIP_1) | instid1(VALU_DEP_1)
	v_add_nc_u32_e32 v6, v5, v6
	v_mul_lo_u32 v7, v3, s48
	v_sub_nc_u32_e32 v1, v1, v7
	v_mul_lo_u32 v7, v5, s51
	s_delay_alu instid0(VALU_DEP_4) | instskip(NEXT) | instid1(VALU_DEP_3)
	v_lshrrev_b32_e32 v6, s64, v6
	v_mad_u32 v4, v1, s57, v4
	v_mad_u32 v1, v1, s56, v2
	s_delay_alu instid0(VALU_DEP_4) | instskip(NEXT) | instid1(VALU_DEP_4)
	v_sub_nc_u32_e32 v2, v3, v7
	v_mul_hi_u32 v8, s66, v6
	v_mul_lo_u32 v3, v6, s54
	s_delay_alu instid0(VALU_DEP_3) | instskip(SKIP_1) | instid1(VALU_DEP_3)
	v_mad_u32 v4, v2, s59, v4
	v_mad_u32 v2, v2, s58, v1
	v_dual_add_nc_u32 v7, v6, v8 :: v_dual_sub_nc_u32 v3, v5, v3
	s_delay_alu instid0(VALU_DEP_1) | instskip(NEXT) | instid1(VALU_DEP_2)
	v_lshrrev_b32_e32 v1, s67, v7
	v_mad_u32 v4, v3, s61, v4
	s_delay_alu instid0(VALU_DEP_4) | instskip(NEXT) | instid1(VALU_DEP_3)
	v_mad_u32 v2, v3, s60, v2
	v_mul_lo_u32 v5, v1, s65
	s_delay_alu instid0(VALU_DEP_1) | instskip(NEXT) | instid1(VALU_DEP_1)
	v_sub_nc_u32_e32 v3, v6, v5
	v_mad_u32 v4, v3, s63, v4
	s_delay_alu instid0(VALU_DEP_4)
	v_mad_u32 v2, v3, s62, v2
	s_cbranch_scc0 .LBB242_440
; %bb.441:
	s_delay_alu instid0(VALU_DEP_2)
	v_mov_b32_e32 v3, v4
	s_branch .LBB242_456
.LBB242_442:
	s_or_b32 exec_lo, exec_lo, s44
	s_mov_b32 s1, 0
	s_and_saveexec_b32 s3, s43
	s_cbranch_execnz .LBB242_1508
.LBB242_443:
	s_or_b32 exec_lo, exec_lo, s3
	s_and_saveexec_b32 s3, s23
	s_cbranch_execz .LBB242_1509
.LBB242_444:
	global_load_u8 v0, v[4:5], off
	s_mov_b32 s6, exec_lo
                                        ; implicit-def: $vgpr3
	s_wait_loadcnt 0x0
	v_cmp_ne_u16_e32 vcc_lo, 0, v0
	v_cndmask_b32_e64 v0, 0, 1.0, vcc_lo
	s_wait_xcnt 0x0
	s_delay_alu instid0(VALU_DEP_1)
	v_cmpx_gt_u32_e32 0x47800000, v0
	s_xor_b32 s6, exec_lo, s6
	s_cbranch_execz .LBB242_450
; %bb.445:
	s_mov_b32 s7, exec_lo
                                        ; implicit-def: $vgpr3
	v_cmpx_lt_u32_e32 0x387fffff, v0
	s_xor_b32 s7, exec_lo, s7
; %bb.446:
	v_bfe_u32 v1, v0, 21, 1
	s_delay_alu instid0(VALU_DEP_1) | instskip(NEXT) | instid1(VALU_DEP_1)
	v_add3_u32 v0, v0, v1, 0x80fffff
	v_lshrrev_b32_e32 v3, 21, v0
                                        ; implicit-def: $vgpr0
; %bb.447:
	s_and_not1_saveexec_b32 s7, s7
; %bb.448:
	v_add_f32_e32 v3, 0x43000000, v0
; %bb.449:
	s_or_b32 exec_lo, exec_lo, s7
                                        ; implicit-def: $vgpr0
.LBB242_450:
	s_and_not1_saveexec_b32 s6, s6
; %bb.451:
	v_mov_b32_e32 v1, 0x7f
	v_cmp_lt_u32_e32 vcc_lo, 0x7f800000, v0
	s_delay_alu instid0(VALU_DEP_2)
	v_cndmask_b32_e32 v3, 0x7c, v1, vcc_lo
; %bb.452:
	s_or_b32 exec_lo, exec_lo, s6
	s_delay_alu instid0(SALU_CYCLE_1)
	s_or_b32 s2, s2, exec_lo
	s_or_b32 exec_lo, exec_lo, s3
	s_and_saveexec_b32 s3, s16
	s_cbranch_execz .LBB242_1643
	s_branch .LBB242_1510
.LBB242_453:
                                        ; implicit-def: $vgpr4
                                        ; implicit-def: $vgpr2
	s_branch .LBB242_461
.LBB242_454:
	v_dual_mov_b32 v4, 0 :: v_dual_mov_b32 v2, 0
	s_branch .LBB242_460
.LBB242_455:
	v_mov_b64_e32 v[2:3], 0
	s_wait_loadcnt 0x0
	v_mov_b32_e32 v1, v0
                                        ; implicit-def: $vgpr4
.LBB242_456:
	s_and_b32 s1, s1, 3
	s_mov_b32 s17, 0
	s_cmp_eq_u32 s1, 0
	s_cbranch_scc1 .LBB242_460
; %bb.457:
	s_lshl_b32 s28, s16, 3
	s_mov_b32 s29, s17
	s_mul_u64 s[30:31], s[16:17], 12
	s_add_nc_u64 s[28:29], s[20:21], s[28:29]
	s_delay_alu instid0(SALU_CYCLE_1)
	s_add_nc_u64 s[16:17], s[28:29], 0xc4
	s_add_nc_u64 s[28:29], s[20:21], s[30:31]
.LBB242_458:                            ; =>This Inner Loop Header: Depth=1
	s_load_b96 s[48:50], s[28:29], 0x4
	s_load_b64 s[30:31], s[16:17], 0x0
	s_add_co_i32 s1, s1, -1
	s_wait_xcnt 0x0
	s_add_nc_u64 s[28:29], s[28:29], 12
	s_cmp_lg_u32 s1, 0
	s_add_nc_u64 s[16:17], s[16:17], 8
	s_wait_kmcnt 0x0
	v_mul_hi_u32 v4, s49, v1
	s_delay_alu instid0(VALU_DEP_1) | instskip(NEXT) | instid1(VALU_DEP_1)
	v_add_nc_u32_e32 v4, v1, v4
	v_lshrrev_b32_e32 v4, s50, v4
	s_delay_alu instid0(VALU_DEP_1) | instskip(NEXT) | instid1(VALU_DEP_1)
	v_mul_lo_u32 v5, v4, s48
	v_sub_nc_u32_e32 v1, v1, v5
	s_delay_alu instid0(VALU_DEP_1)
	v_mad_u32 v3, v1, s31, v3
	v_mad_u32 v2, v1, s30, v2
	v_mov_b32_e32 v1, v4
	s_cbranch_scc1 .LBB242_458
; %bb.459:
	s_delay_alu instid0(VALU_DEP_3)
	v_mov_b32_e32 v4, v3
.LBB242_460:
	s_cbranch_execnz .LBB242_463
.LBB242_461:
	s_wait_loadcnt 0x0
	v_mov_b32_e32 v1, 0
	s_and_not1_b32 vcc_lo, exec_lo, s38
	s_delay_alu instid0(VALU_DEP_1) | instskip(NEXT) | instid1(VALU_DEP_1)
	v_mul_u64_e32 v[2:3], s[22:23], v[0:1]
	v_add_nc_u32_e32 v2, v0, v3
	s_delay_alu instid0(VALU_DEP_1) | instskip(NEXT) | instid1(VALU_DEP_1)
	v_lshrrev_b32_e32 v6, s10, v2
	v_mul_lo_u32 v2, v6, s8
	s_delay_alu instid0(VALU_DEP_1) | instskip(NEXT) | instid1(VALU_DEP_1)
	v_sub_nc_u32_e32 v2, v0, v2
	v_mul_lo_u32 v4, v2, s13
	v_mul_lo_u32 v2, v2, s12
	s_cbranch_vccnz .LBB242_463
; %bb.462:
	v_mov_b32_e32 v7, v1
	s_delay_alu instid0(VALU_DEP_1) | instskip(NEXT) | instid1(VALU_DEP_1)
	v_mul_u64_e32 v[8:9], s[24:25], v[6:7]
	v_add_nc_u32_e32 v1, v6, v9
	s_delay_alu instid0(VALU_DEP_1) | instskip(NEXT) | instid1(VALU_DEP_1)
	v_lshrrev_b32_e32 v1, s3, v1
	v_mul_lo_u32 v1, v1, s11
	s_delay_alu instid0(VALU_DEP_1) | instskip(NEXT) | instid1(VALU_DEP_1)
	v_sub_nc_u32_e32 v1, v6, v1
	v_mad_u32 v2, v1, s14, v2
	v_mad_u32 v4, v1, s15, v4
.LBB242_463:
	v_mov_b32_e32 v5, 0
	s_and_b32 s1, 0xffff, s37
	s_delay_alu instid0(SALU_CYCLE_1) | instskip(NEXT) | instid1(VALU_DEP_1)
	s_cmp_lt_i32 s1, 11
	v_add_nc_u64_e32 v[4:5], s[6:7], v[4:5]
	s_cbranch_scc1 .LBB242_478
; %bb.464:
	s_cmp_gt_i32 s1, 25
	s_cbranch_scc0 .LBB242_487
; %bb.465:
	s_cmp_gt_i32 s1, 28
	s_cbranch_scc0 .LBB242_489
	;; [unrolled: 3-line block ×4, first 2 shown]
; %bb.468:
	s_cmp_eq_u32 s1, 46
	s_mov_b32 s17, 0
	s_cbranch_scc0 .LBB242_499
; %bb.469:
	s_wait_loadcnt 0x0
	global_load_b32 v1, v[4:5], off
	s_mov_b32 s2, exec_lo
                                        ; implicit-def: $vgpr3
	s_wait_loadcnt 0x0
	v_lshlrev_b32_e32 v1, 16, v1
	s_delay_alu instid0(VALU_DEP_1) | instskip(SKIP_1) | instid1(VALU_DEP_1)
	v_and_b32_e32 v6, 0x7fffffff, v1
	s_wait_xcnt 0x0
	v_cmpx_gt_u32_e32 0x47800000, v6
	s_xor_b32 s2, exec_lo, s2
	s_cbranch_execz .LBB242_475
; %bb.470:
	s_mov_b32 s16, exec_lo
                                        ; implicit-def: $vgpr3
	v_cmpx_lt_u32_e32 0x387fffff, v6
	s_xor_b32 s16, exec_lo, s16
; %bb.471:
	v_bfe_u32 v3, v1, 21, 1
	s_delay_alu instid0(VALU_DEP_1) | instskip(NEXT) | instid1(VALU_DEP_1)
	v_add3_u32 v3, v1, v3, 0x80fffff
	v_lshrrev_b32_e32 v3, 21, v3
; %bb.472:
	s_and_not1_saveexec_b32 s16, s16
; %bb.473:
	v_add_f32_e64 v3, 0x43000000, |v1|
; %bb.474:
	s_or_b32 exec_lo, exec_lo, s16
                                        ; implicit-def: $vgpr6
.LBB242_475:
	s_and_not1_saveexec_b32 s2, s2
; %bb.476:
	v_mov_b32_e32 v3, 0x7f
	v_cmp_lt_u32_e32 vcc_lo, 0x7f800000, v6
	s_delay_alu instid0(VALU_DEP_2)
	v_cndmask_b32_e32 v3, 0x7c, v3, vcc_lo
; %bb.477:
	s_or_b32 exec_lo, exec_lo, s2
	v_lshrrev_b32_e32 v1, 24, v1
	s_mov_b32 s2, -1
	s_mov_b32 s16, 0
	s_delay_alu instid0(VALU_DEP_1)
	v_and_or_b32 v1, 0x80, v1, v3
	s_branch .LBB242_501
.LBB242_478:
	s_mov_b32 s2, 0
	s_mov_b32 s16, s43
                                        ; implicit-def: $vgpr1
	s_cbranch_execnz .LBB242_749
.LBB242_479:
	s_and_not1_b32 vcc_lo, exec_lo, s2
	s_cbranch_vccnz .LBB242_885
.LBB242_480:
	s_wait_loadcnt 0x0
	s_delay_alu instid0(VALU_DEP_1) | instskip(SKIP_2) | instid1(SALU_CYCLE_1)
	v_lshlrev_b32_e32 v3, 25, v1
	v_lshlrev_b16 v1, 8, v1
	s_and_b32 s17, s18, 0xff
	s_cmp_lt_i32 s17, 11
	s_wait_xcnt 0x0
	s_delay_alu instid0(VALU_DEP_1) | instskip(SKIP_2) | instid1(VALU_DEP_3)
	v_and_or_b32 v5, 0x7f00, v1, 0.5
	v_lshrrev_b32_e32 v4, 4, v3
	v_bfe_i32 v1, v1, 0, 16
	v_add_f32_e32 v5, -0.5, v5
	s_delay_alu instid0(VALU_DEP_3) | instskip(NEXT) | instid1(VALU_DEP_1)
	v_or_b32_e32 v4, 0x70000000, v4
	v_mul_f32_e32 v4, 0x7800000, v4
	v_cmp_gt_u32_e32 vcc_lo, 0x8000000, v3
	s_delay_alu instid0(VALU_DEP_2) | instskip(NEXT) | instid1(VALU_DEP_1)
	v_cndmask_b32_e32 v3, v4, v5, vcc_lo
	v_and_or_b32 v1, 0x80000000, v1, v3
	s_delay_alu instid0(VALU_DEP_1) | instskip(SKIP_3) | instid1(VALU_DEP_1)
	v_cmp_eq_f32_e32 vcc_lo, s9, v1
	v_cndmask_b32_e64 v3, 0, 1, vcc_lo
	v_cmp_neq_f32_e32 vcc_lo, s9, v1
	v_cndmask_b32_e64 v1, 0, 1, vcc_lo
	v_dual_cndmask_b32 v1, v1, v3, s0 :: v_dual_mov_b32 v3, 0
	s_delay_alu instid0(VALU_DEP_1) | instskip(NEXT) | instid1(VALU_DEP_2)
	v_and_b32_e32 v1, 1, v1
	v_add_nc_u64_e32 v[2:3], s[4:5], v[2:3]
	s_delay_alu instid0(VALU_DEP_2)
	v_cmp_eq_u32_e64 s1, 1, v1
	s_cbranch_scc1 .LBB242_488
; %bb.481:
	s_and_b32 s28, 0xffff, s17
	s_delay_alu instid0(SALU_CYCLE_1)
	s_cmp_gt_i32 s28, 25
	s_cbranch_scc0 .LBB242_490
; %bb.482:
	s_cmp_gt_i32 s28, 28
	s_cbranch_scc0 .LBB242_492
; %bb.483:
	;; [unrolled: 3-line block ×4, first 2 shown]
	s_mov_b32 s30, 0
	s_mov_b32 s2, -1
	s_cmp_eq_u32 s28, 46
	s_mov_b32 s29, 0
	s_cbranch_scc0 .LBB242_513
; %bb.486:
	v_cndmask_b32_e64 v1, 0, 1.0, s1
	s_mov_b32 s29, -1
	s_mov_b32 s2, 0
	s_delay_alu instid0(VALU_DEP_1) | instskip(NEXT) | instid1(VALU_DEP_1)
	v_bfe_u32 v4, v1, 16, 1
	v_add3_u32 v1, v1, v4, 0x7fff
	s_delay_alu instid0(VALU_DEP_1)
	v_lshrrev_b32_e32 v1, 16, v1
	global_store_b32 v[2:3], v1, off
	s_branch .LBB242_513
.LBB242_487:
	s_mov_b32 s17, -1
	s_mov_b32 s2, 0
	s_mov_b32 s16, s43
                                        ; implicit-def: $vgpr1
	s_branch .LBB242_682
.LBB242_488:
	s_mov_b32 s28, -1
	s_mov_b32 s29, 0
	s_mov_b32 s2, s42
	s_branch .LBB242_582
.LBB242_489:
	s_mov_b32 s17, -1
	s_mov_b32 s2, 0
	s_mov_b32 s16, s43
                                        ; implicit-def: $vgpr1
	s_branch .LBB242_639
.LBB242_490:
	s_mov_b32 s30, -1
	s_mov_b32 s29, 0
	s_mov_b32 s2, s42
	s_branch .LBB242_540
.LBB242_491:
	s_mov_b32 s17, -1
	s_mov_b32 s2, 0
	s_mov_b32 s16, s43
                                        ; implicit-def: $vgpr1
	s_branch .LBB242_626
.LBB242_492:
	s_mov_b32 s30, -1
	s_mov_b32 s29, 0
	s_mov_b32 s2, s42
	s_branch .LBB242_523
.LBB242_493:
	s_and_not1_saveexec_b32 s31, s31
	s_cbranch_execz .LBB242_85
.LBB242_494:
	v_add_f32_e32 v1, 0x46000000, v4
	s_and_not1_b32 s30, s30, exec_lo
	s_delay_alu instid0(VALU_DEP_1) | instskip(NEXT) | instid1(VALU_DEP_1)
	v_and_b32_e32 v1, 0xff, v1
	v_cmp_ne_u32_e32 vcc_lo, 0, v1
	s_and_b32 s42, vcc_lo, exec_lo
	s_delay_alu instid0(SALU_CYCLE_1)
	s_or_b32 s30, s30, s42
	s_or_b32 exec_lo, exec_lo, s31
	v_mov_b32_e32 v5, 0
	s_and_saveexec_b32 s31, s30
	s_cbranch_execnz .LBB242_86
	s_branch .LBB242_87
.LBB242_495:
	s_mov_b32 s17, -1
	s_mov_b32 s2, 0
	s_mov_b32 s16, s43
	s_branch .LBB242_500
.LBB242_496:
	s_mov_b32 s30, -1
	s_mov_b32 s29, 0
	s_mov_b32 s2, s42
	s_branch .LBB242_519
.LBB242_497:
	s_and_not1_saveexec_b32 s31, s31
	s_cbranch_execz .LBB242_98
.LBB242_498:
	v_add_f32_e32 v1, 0x42800000, v4
	s_and_not1_b32 s30, s30, exec_lo
	s_delay_alu instid0(VALU_DEP_1) | instskip(NEXT) | instid1(VALU_DEP_1)
	v_and_b32_e32 v1, 0xff, v1
	v_cmp_ne_u32_e32 vcc_lo, 0, v1
	s_and_b32 s42, vcc_lo, exec_lo
	s_delay_alu instid0(SALU_CYCLE_1)
	s_or_b32 s30, s30, s42
	s_or_b32 exec_lo, exec_lo, s31
	v_mov_b32_e32 v5, 0
	s_and_saveexec_b32 s31, s30
	s_cbranch_execnz .LBB242_99
	s_branch .LBB242_100
.LBB242_499:
	s_mov_b32 s16, -1
	s_mov_b32 s2, 0
.LBB242_500:
                                        ; implicit-def: $vgpr1
.LBB242_501:
	s_and_b32 vcc_lo, exec_lo, s17
	s_cbranch_vccz .LBB242_625
; %bb.502:
	s_cmp_eq_u32 s1, 44
	s_cbranch_scc0 .LBB242_624
; %bb.503:
	s_wait_loadcnt 0x0
	global_load_u8 v1, v[4:5], off
	s_mov_b32 s2, exec_lo
	s_wait_loadcnt 0x0
	v_lshlrev_b32_e32 v3, 23, v1
	v_cmp_ne_u32_e32 vcc_lo, 0xff, v1
	s_delay_alu instid0(VALU_DEP_2) | instskip(SKIP_1) | instid1(VALU_DEP_2)
	v_cndmask_b32_e32 v3, 0x7f800001, v3, vcc_lo
	v_cmp_ne_u32_e32 vcc_lo, 0, v1
                                        ; implicit-def: $vgpr1
	v_cndmask_b32_e32 v3, 0x400000, v3, vcc_lo
	s_wait_xcnt 0x0
	s_delay_alu instid0(VALU_DEP_1)
	v_cmpx_gt_u32_e32 0x47800000, v3
	s_xor_b32 s2, exec_lo, s2
	s_cbranch_execz .LBB242_509
; %bb.504:
	s_mov_b32 s16, exec_lo
                                        ; implicit-def: $vgpr1
	v_cmpx_lt_u32_e32 0x387fffff, v3
	s_xor_b32 s16, exec_lo, s16
; %bb.505:
	v_bfe_u32 v1, v3, 21, 1
	s_delay_alu instid0(VALU_DEP_1) | instskip(NEXT) | instid1(VALU_DEP_1)
	v_add3_u32 v1, v3, v1, 0x80fffff
                                        ; implicit-def: $vgpr3
	v_lshrrev_b32_e32 v1, 21, v1
; %bb.506:
	s_and_not1_saveexec_b32 s16, s16
; %bb.507:
	v_add_f32_e32 v1, 0x43000000, v3
; %bb.508:
	s_or_b32 exec_lo, exec_lo, s16
                                        ; implicit-def: $vgpr3
.LBB242_509:
	s_and_not1_saveexec_b32 s2, s2
; %bb.510:
	v_mov_b32_e32 v1, 0x7f
	v_cmp_lt_u32_e32 vcc_lo, 0x7f800000, v3
	s_delay_alu instid0(VALU_DEP_2)
	v_cndmask_b32_e32 v1, 0x7c, v1, vcc_lo
; %bb.511:
	s_or_b32 exec_lo, exec_lo, s2
	s_mov_b32 s2, -1
	s_mov_b32 s16, 0
	s_branch .LBB242_625
.LBB242_512:
	s_mov_b32 s30, -1
	s_mov_b32 s29, 0
	s_mov_b32 s2, s42
.LBB242_513:
	s_and_b32 vcc_lo, exec_lo, s30
	s_cbranch_vccz .LBB242_518
; %bb.514:
	s_cmp_eq_u32 s28, 44
	s_mov_b32 s2, -1
	s_cbranch_scc0 .LBB242_518
; %bb.515:
	v_cndmask_b32_e64 v5, 0, 1.0, s1
	s_mov_b32 s29, exec_lo
	s_wait_xcnt 0x0
	s_delay_alu instid0(VALU_DEP_1) | instskip(NEXT) | instid1(VALU_DEP_1)
	v_dual_mov_b32 v4, 0xff :: v_dual_lshrrev_b32 v1, 23, v5
	v_cmpx_ne_u32_e32 0xff, v1
; %bb.516:
	v_and_b32_e32 v4, 0x400000, v5
	v_and_or_b32 v5, 0x3fffff, v5, v1
	s_delay_alu instid0(VALU_DEP_2) | instskip(NEXT) | instid1(VALU_DEP_2)
	v_cmp_ne_u32_e32 vcc_lo, 0, v4
	v_cmp_ne_u32_e64 s2, 0, v5
	s_and_b32 s2, vcc_lo, s2
	s_delay_alu instid0(SALU_CYCLE_1) | instskip(NEXT) | instid1(VALU_DEP_1)
	v_cndmask_b32_e64 v4, 0, 1, s2
	v_add_nc_u32_e32 v4, v1, v4
; %bb.517:
	s_or_b32 exec_lo, exec_lo, s29
	s_mov_b32 s29, -1
	s_mov_b32 s2, 0
	global_store_b8 v[2:3], v4, off
.LBB242_518:
	s_mov_b32 s30, 0
.LBB242_519:
	s_delay_alu instid0(SALU_CYCLE_1)
	s_and_b32 vcc_lo, exec_lo, s30
	s_cbranch_vccz .LBB242_522
; %bb.520:
	s_cmp_eq_u32 s28, 29
	s_mov_b32 s2, -1
	s_cbranch_scc0 .LBB242_522
; %bb.521:
	s_mov_b32 s2, 0
	s_wait_xcnt 0x0
	v_cndmask_b32_e64 v4, 0, 1, s1
	v_mov_b32_e32 v5, s2
	s_mov_b32 s29, -1
	s_mov_b32 s30, 0
	global_store_b64 v[2:3], v[4:5], off
	s_branch .LBB242_523
.LBB242_522:
	s_mov_b32 s30, 0
.LBB242_523:
	s_delay_alu instid0(SALU_CYCLE_1)
	s_and_b32 vcc_lo, exec_lo, s30
	s_cbranch_vccz .LBB242_539
; %bb.524:
	s_cmp_lt_i32 s28, 27
	s_mov_b32 s29, -1
	s_cbranch_scc1 .LBB242_530
; %bb.525:
	s_cmp_gt_i32 s28, 27
	s_cbranch_scc0 .LBB242_527
; %bb.526:
	s_wait_xcnt 0x0
	v_cndmask_b32_e64 v1, 0, 1, s1
	s_mov_b32 s29, 0
	global_store_b32 v[2:3], v1, off
.LBB242_527:
	s_and_not1_b32 vcc_lo, exec_lo, s29
	s_cbranch_vccnz .LBB242_529
; %bb.528:
	s_wait_xcnt 0x0
	v_cndmask_b32_e64 v1, 0, 1, s1
	global_store_b16 v[2:3], v1, off
.LBB242_529:
	s_mov_b32 s29, 0
.LBB242_530:
	s_delay_alu instid0(SALU_CYCLE_1)
	s_and_not1_b32 vcc_lo, exec_lo, s29
	s_cbranch_vccnz .LBB242_538
; %bb.531:
	s_wait_xcnt 0x0
	v_cndmask_b32_e64 v4, 0, 1.0, s1
	v_mov_b32_e32 v5, 0x80
	s_mov_b32 s29, exec_lo
	s_delay_alu instid0(VALU_DEP_2)
	v_cmpx_gt_u32_e32 0x43800000, v4
	s_cbranch_execz .LBB242_537
; %bb.532:
	s_mov_b32 s30, 0
	s_mov_b32 s31, exec_lo
                                        ; implicit-def: $vgpr1
	v_cmpx_lt_u32_e32 0x3bffffff, v4
	s_xor_b32 s31, exec_lo, s31
	s_cbranch_execz .LBB242_926
; %bb.533:
	v_bfe_u32 v1, v4, 20, 1
	s_mov_b32 s30, exec_lo
	s_delay_alu instid0(VALU_DEP_1) | instskip(NEXT) | instid1(VALU_DEP_1)
	v_add3_u32 v1, v4, v1, 0x487ffff
                                        ; implicit-def: $vgpr4
	v_lshrrev_b32_e32 v1, 20, v1
	s_and_not1_saveexec_b32 s31, s31
	s_cbranch_execnz .LBB242_927
.LBB242_534:
	s_or_b32 exec_lo, exec_lo, s31
	v_mov_b32_e32 v5, 0
	s_and_saveexec_b32 s31, s30
.LBB242_535:
	v_mov_b32_e32 v5, v1
.LBB242_536:
	s_or_b32 exec_lo, exec_lo, s31
.LBB242_537:
	s_delay_alu instid0(SALU_CYCLE_1)
	s_or_b32 exec_lo, exec_lo, s29
	global_store_b8 v[2:3], v5, off
.LBB242_538:
	s_mov_b32 s29, -1
.LBB242_539:
	s_mov_b32 s30, 0
.LBB242_540:
	s_delay_alu instid0(SALU_CYCLE_1)
	s_and_b32 vcc_lo, exec_lo, s30
	s_cbranch_vccz .LBB242_581
; %bb.541:
	s_cmp_gt_i32 s28, 22
	s_mov_b32 s30, -1
	s_cbranch_scc0 .LBB242_573
; %bb.542:
	s_cmp_lt_i32 s28, 24
	s_mov_b32 s29, -1
	s_cbranch_scc1 .LBB242_562
; %bb.543:
	s_cmp_gt_i32 s28, 24
	s_cbranch_scc0 .LBB242_551
; %bb.544:
	s_wait_xcnt 0x0
	v_cndmask_b32_e64 v4, 0, 1.0, s1
	v_mov_b32_e32 v5, 0x80
	s_mov_b32 s29, exec_lo
	s_delay_alu instid0(VALU_DEP_2)
	v_cmpx_gt_u32_e32 0x47800000, v4
	s_cbranch_execz .LBB242_550
; %bb.545:
	s_mov_b32 s30, 0
	s_mov_b32 s31, exec_lo
                                        ; implicit-def: $vgpr1
	v_cmpx_lt_u32_e32 0x37ffffff, v4
	s_xor_b32 s31, exec_lo, s31
	s_cbranch_execz .LBB242_929
; %bb.546:
	v_bfe_u32 v1, v4, 21, 1
	s_mov_b32 s30, exec_lo
	s_delay_alu instid0(VALU_DEP_1) | instskip(NEXT) | instid1(VALU_DEP_1)
	v_add3_u32 v1, v4, v1, 0x88fffff
                                        ; implicit-def: $vgpr4
	v_lshrrev_b32_e32 v1, 21, v1
	s_and_not1_saveexec_b32 s31, s31
	s_cbranch_execnz .LBB242_930
.LBB242_547:
	s_or_b32 exec_lo, exec_lo, s31
	v_mov_b32_e32 v5, 0
	s_and_saveexec_b32 s31, s30
.LBB242_548:
	v_mov_b32_e32 v5, v1
.LBB242_549:
	s_or_b32 exec_lo, exec_lo, s31
.LBB242_550:
	s_delay_alu instid0(SALU_CYCLE_1)
	s_or_b32 exec_lo, exec_lo, s29
	s_mov_b32 s29, 0
	global_store_b8 v[2:3], v5, off
.LBB242_551:
	s_and_b32 vcc_lo, exec_lo, s29
	s_cbranch_vccz .LBB242_561
; %bb.552:
	s_wait_xcnt 0x0
	v_cndmask_b32_e64 v4, 0, 1.0, s1
	s_mov_b32 s29, exec_lo
                                        ; implicit-def: $vgpr1
	s_delay_alu instid0(VALU_DEP_1)
	v_cmpx_gt_u32_e32 0x43f00000, v4
	s_xor_b32 s29, exec_lo, s29
	s_cbranch_execz .LBB242_558
; %bb.553:
	s_mov_b32 s30, exec_lo
                                        ; implicit-def: $vgpr1
	v_cmpx_lt_u32_e32 0x3c7fffff, v4
	s_xor_b32 s30, exec_lo, s30
; %bb.554:
	v_bfe_u32 v1, v4, 20, 1
	s_delay_alu instid0(VALU_DEP_1) | instskip(NEXT) | instid1(VALU_DEP_1)
	v_add3_u32 v1, v4, v1, 0x407ffff
	v_and_b32_e32 v4, 0xff00000, v1
	v_lshrrev_b32_e32 v1, 20, v1
	s_delay_alu instid0(VALU_DEP_2) | instskip(NEXT) | instid1(VALU_DEP_2)
	v_cmp_ne_u32_e32 vcc_lo, 0x7f00000, v4
                                        ; implicit-def: $vgpr4
	v_cndmask_b32_e32 v1, 0x7e, v1, vcc_lo
; %bb.555:
	s_and_not1_saveexec_b32 s30, s30
; %bb.556:
	v_add_f32_e32 v1, 0x46800000, v4
; %bb.557:
	s_or_b32 exec_lo, exec_lo, s30
                                        ; implicit-def: $vgpr4
.LBB242_558:
	s_and_not1_saveexec_b32 s29, s29
; %bb.559:
	v_mov_b32_e32 v1, 0x7f
	v_cmp_lt_u32_e32 vcc_lo, 0x7f800000, v4
	s_delay_alu instid0(VALU_DEP_2)
	v_cndmask_b32_e32 v1, 0x7e, v1, vcc_lo
; %bb.560:
	s_or_b32 exec_lo, exec_lo, s29
	global_store_b8 v[2:3], v1, off
.LBB242_561:
	s_mov_b32 s29, 0
.LBB242_562:
	s_delay_alu instid0(SALU_CYCLE_1)
	s_and_not1_b32 vcc_lo, exec_lo, s29
	s_cbranch_vccnz .LBB242_572
; %bb.563:
	s_wait_xcnt 0x0
	v_cndmask_b32_e64 v4, 0, 1.0, s1
	s_mov_b32 s29, exec_lo
                                        ; implicit-def: $vgpr1
	s_delay_alu instid0(VALU_DEP_1)
	v_cmpx_gt_u32_e32 0x47800000, v4
	s_xor_b32 s29, exec_lo, s29
	s_cbranch_execz .LBB242_569
; %bb.564:
	s_mov_b32 s30, exec_lo
                                        ; implicit-def: $vgpr1
	v_cmpx_lt_u32_e32 0x387fffff, v4
	s_xor_b32 s30, exec_lo, s30
; %bb.565:
	v_bfe_u32 v1, v4, 21, 1
	s_delay_alu instid0(VALU_DEP_1) | instskip(NEXT) | instid1(VALU_DEP_1)
	v_add3_u32 v1, v4, v1, 0x80fffff
                                        ; implicit-def: $vgpr4
	v_lshrrev_b32_e32 v1, 21, v1
; %bb.566:
	s_and_not1_saveexec_b32 s30, s30
; %bb.567:
	v_add_f32_e32 v1, 0x43000000, v4
; %bb.568:
	s_or_b32 exec_lo, exec_lo, s30
                                        ; implicit-def: $vgpr4
.LBB242_569:
	s_and_not1_saveexec_b32 s29, s29
; %bb.570:
	v_mov_b32_e32 v1, 0x7f
	v_cmp_lt_u32_e32 vcc_lo, 0x7f800000, v4
	s_delay_alu instid0(VALU_DEP_2)
	v_cndmask_b32_e32 v1, 0x7c, v1, vcc_lo
; %bb.571:
	s_or_b32 exec_lo, exec_lo, s29
	global_store_b8 v[2:3], v1, off
.LBB242_572:
	s_mov_b32 s30, 0
	s_mov_b32 s29, -1
.LBB242_573:
	s_and_not1_b32 vcc_lo, exec_lo, s30
	s_cbranch_vccnz .LBB242_581
; %bb.574:
	s_cmp_gt_i32 s28, 14
	s_mov_b32 s30, -1
	s_cbranch_scc0 .LBB242_578
; %bb.575:
	s_cmp_eq_u32 s28, 15
	s_mov_b32 s2, -1
	s_cbranch_scc0 .LBB242_577
; %bb.576:
	s_wait_xcnt 0x0
	v_cndmask_b32_e64 v1, 0, 1.0, s1
	s_mov_b32 s29, -1
	s_mov_b32 s2, 0
	s_delay_alu instid0(VALU_DEP_1) | instskip(NEXT) | instid1(VALU_DEP_1)
	v_bfe_u32 v4, v1, 16, 1
	v_add3_u32 v1, v1, v4, 0x7fff
	global_store_d16_hi_b16 v[2:3], v1, off
.LBB242_577:
	s_mov_b32 s30, 0
.LBB242_578:
	s_delay_alu instid0(SALU_CYCLE_1)
	s_and_b32 vcc_lo, exec_lo, s30
	s_cbranch_vccz .LBB242_581
; %bb.579:
	s_cmp_eq_u32 s28, 11
	s_mov_b32 s2, -1
	s_cbranch_scc0 .LBB242_581
; %bb.580:
	s_wait_xcnt 0x0
	v_cndmask_b32_e64 v1, 0, 1, s1
	s_mov_b32 s29, -1
	s_mov_b32 s2, 0
	global_store_b8 v[2:3], v1, off
.LBB242_581:
	s_mov_b32 s28, 0
.LBB242_582:
	s_delay_alu instid0(SALU_CYCLE_1)
	s_and_b32 vcc_lo, exec_lo, s28
	s_cbranch_vccz .LBB242_621
; %bb.583:
	s_and_b32 s17, 0xffff, s17
	s_mov_b32 s28, -1
	s_cmp_lt_i32 s17, 5
	s_cbranch_scc1 .LBB242_604
; %bb.584:
	s_cmp_lt_i32 s17, 8
	s_cbranch_scc1 .LBB242_594
; %bb.585:
	;; [unrolled: 3-line block ×3, first 2 shown]
	s_cmp_gt_i32 s17, 9
	s_cbranch_scc0 .LBB242_588
; %bb.587:
	s_wait_xcnt 0x0
	v_cndmask_b32_e64 v1, 0, 1, s1
	v_mov_b32_e32 v6, 0
	s_mov_b32 s28, 0
	s_delay_alu instid0(VALU_DEP_2) | instskip(NEXT) | instid1(VALU_DEP_2)
	v_cvt_f64_u32_e32 v[4:5], v1
	v_mov_b32_e32 v7, v6
	global_store_b128 v[2:3], v[4:7], off
.LBB242_588:
	s_and_not1_b32 vcc_lo, exec_lo, s28
	s_cbranch_vccnz .LBB242_590
; %bb.589:
	s_wait_xcnt 0x0
	v_cndmask_b32_e64 v4, 0, 1.0, s1
	v_mov_b32_e32 v5, 0
	global_store_b64 v[2:3], v[4:5], off
.LBB242_590:
	s_mov_b32 s28, 0
.LBB242_591:
	s_delay_alu instid0(SALU_CYCLE_1)
	s_and_not1_b32 vcc_lo, exec_lo, s28
	s_cbranch_vccnz .LBB242_593
; %bb.592:
	s_wait_xcnt 0x0
	v_cndmask_b32_e64 v1, 0, 1.0, s1
	s_delay_alu instid0(VALU_DEP_1) | instskip(NEXT) | instid1(VALU_DEP_1)
	v_cvt_f16_f32_e32 v1, v1
	v_and_b32_e32 v1, 0xffff, v1
	global_store_b32 v[2:3], v1, off
.LBB242_593:
	s_mov_b32 s28, 0
.LBB242_594:
	s_delay_alu instid0(SALU_CYCLE_1)
	s_and_not1_b32 vcc_lo, exec_lo, s28
	s_cbranch_vccnz .LBB242_603
; %bb.595:
	s_cmp_lt_i32 s17, 6
	s_mov_b32 s28, -1
	s_cbranch_scc1 .LBB242_601
; %bb.596:
	s_cmp_gt_i32 s17, 6
	s_cbranch_scc0 .LBB242_598
; %bb.597:
	s_wait_xcnt 0x0
	v_cndmask_b32_e64 v1, 0, 1, s1
	s_mov_b32 s28, 0
	s_delay_alu instid0(VALU_DEP_1)
	v_cvt_f64_u32_e32 v[4:5], v1
	global_store_b64 v[2:3], v[4:5], off
.LBB242_598:
	s_and_not1_b32 vcc_lo, exec_lo, s28
	s_cbranch_vccnz .LBB242_600
; %bb.599:
	s_wait_xcnt 0x0
	v_cndmask_b32_e64 v1, 0, 1.0, s1
	global_store_b32 v[2:3], v1, off
.LBB242_600:
	s_mov_b32 s28, 0
.LBB242_601:
	s_delay_alu instid0(SALU_CYCLE_1)
	s_and_not1_b32 vcc_lo, exec_lo, s28
	s_cbranch_vccnz .LBB242_603
; %bb.602:
	s_wait_xcnt 0x0
	v_cndmask_b32_e64 v1, 0, 1.0, s1
	s_delay_alu instid0(VALU_DEP_1)
	v_cvt_f16_f32_e32 v1, v1
	global_store_b16 v[2:3], v1, off
.LBB242_603:
	s_mov_b32 s28, 0
.LBB242_604:
	s_delay_alu instid0(SALU_CYCLE_1)
	s_and_not1_b32 vcc_lo, exec_lo, s28
	s_cbranch_vccnz .LBB242_620
; %bb.605:
	s_cmp_lt_i32 s17, 2
	s_mov_b32 s28, -1
	s_cbranch_scc1 .LBB242_615
; %bb.606:
	s_cmp_lt_i32 s17, 3
	s_cbranch_scc1 .LBB242_612
; %bb.607:
	s_cmp_gt_i32 s17, 3
	s_cbranch_scc0 .LBB242_609
; %bb.608:
	s_mov_b32 s28, 0
	s_wait_xcnt 0x0
	v_cndmask_b32_e64 v4, 0, 1, s1
	v_mov_b32_e32 v5, s28
	global_store_b64 v[2:3], v[4:5], off
.LBB242_609:
	s_and_not1_b32 vcc_lo, exec_lo, s28
	s_cbranch_vccnz .LBB242_611
; %bb.610:
	s_wait_xcnt 0x0
	v_cndmask_b32_e64 v1, 0, 1, s1
	global_store_b32 v[2:3], v1, off
.LBB242_611:
	s_mov_b32 s28, 0
.LBB242_612:
	s_delay_alu instid0(SALU_CYCLE_1)
	s_and_not1_b32 vcc_lo, exec_lo, s28
	s_cbranch_vccnz .LBB242_614
; %bb.613:
	s_wait_xcnt 0x0
	v_cndmask_b32_e64 v1, 0, 1, s1
	global_store_b16 v[2:3], v1, off
.LBB242_614:
	s_mov_b32 s28, 0
.LBB242_615:
	s_delay_alu instid0(SALU_CYCLE_1)
	s_and_not1_b32 vcc_lo, exec_lo, s28
	s_cbranch_vccnz .LBB242_620
; %bb.616:
	s_wait_xcnt 0x0
	v_cndmask_b32_e64 v1, 0, 1, s1
	s_cmp_gt_i32 s17, 0
	s_mov_b32 s1, -1
	s_cbranch_scc0 .LBB242_618
; %bb.617:
	s_mov_b32 s1, 0
	global_store_b8 v[2:3], v1, off
.LBB242_618:
	s_and_not1_b32 vcc_lo, exec_lo, s1
	s_cbranch_vccnz .LBB242_620
; %bb.619:
	global_store_b8 v[2:3], v1, off
.LBB242_620:
	s_mov_b32 s29, -1
.LBB242_621:
	s_delay_alu instid0(SALU_CYCLE_1)
	s_and_not1_b32 vcc_lo, exec_lo, s29
	s_cbranch_vccnz .LBB242_623
; %bb.622:
	v_add_nc_u32_e32 v0, 0x80, v0
	s_mov_b32 s1, -1
	s_branch .LBB242_887
.LBB242_623:
	s_mov_b32 s1, 0
	s_branch .LBB242_886
.LBB242_624:
	s_mov_b32 s16, -1
                                        ; implicit-def: $vgpr1
.LBB242_625:
	s_mov_b32 s17, 0
.LBB242_626:
	s_delay_alu instid0(SALU_CYCLE_1)
	s_and_b32 vcc_lo, exec_lo, s17
	s_cbranch_vccz .LBB242_638
; %bb.627:
	s_cmp_eq_u32 s1, 29
	s_cbranch_scc0 .LBB242_637
; %bb.628:
	global_load_b64 v[6:7], v[4:5], off
	s_mov_b32 s2, exec_lo
	s_wait_loadcnt 0x0
	v_clz_i32_u32_e32 v1, v7
	s_delay_alu instid0(VALU_DEP_1) | instskip(NEXT) | instid1(VALU_DEP_1)
	v_min_u32_e32 v1, 32, v1
	v_lshlrev_b64_e32 v[6:7], v1, v[6:7]
	v_sub_nc_u32_e32 v1, 32, v1
	s_delay_alu instid0(VALU_DEP_2) | instskip(NEXT) | instid1(VALU_DEP_1)
	v_min_u32_e32 v3, 1, v6
	v_or_b32_e32 v3, v7, v3
	s_delay_alu instid0(VALU_DEP_1) | instskip(NEXT) | instid1(VALU_DEP_1)
	v_cvt_f32_u32_e32 v3, v3
	v_ldexp_f32 v3, v3, v1
                                        ; implicit-def: $vgpr1
	s_wait_xcnt 0x0
	s_delay_alu instid0(VALU_DEP_1)
	v_cmpx_gt_u32_e32 0x47800000, v3
	s_xor_b32 s2, exec_lo, s2
	s_cbranch_execz .LBB242_634
; %bb.629:
	s_mov_b32 s16, exec_lo
                                        ; implicit-def: $vgpr1
	v_cmpx_lt_u32_e32 0x387fffff, v3
	s_xor_b32 s16, exec_lo, s16
; %bb.630:
	v_bfe_u32 v1, v3, 21, 1
	s_delay_alu instid0(VALU_DEP_1) | instskip(NEXT) | instid1(VALU_DEP_1)
	v_add3_u32 v1, v3, v1, 0x80fffff
                                        ; implicit-def: $vgpr3
	v_lshrrev_b32_e32 v1, 21, v1
; %bb.631:
	s_and_not1_saveexec_b32 s16, s16
; %bb.632:
	v_add_f32_e32 v1, 0x43000000, v3
; %bb.633:
	s_or_b32 exec_lo, exec_lo, s16
                                        ; implicit-def: $vgpr3
.LBB242_634:
	s_and_not1_saveexec_b32 s2, s2
; %bb.635:
	v_mov_b32_e32 v1, 0x7f
	v_cmp_lt_u32_e32 vcc_lo, 0x7f800000, v3
	s_delay_alu instid0(VALU_DEP_2)
	v_cndmask_b32_e32 v1, 0x7c, v1, vcc_lo
; %bb.636:
	s_or_b32 exec_lo, exec_lo, s2
	s_mov_b32 s2, -1
	s_mov_b32 s16, 0
	s_branch .LBB242_638
.LBB242_637:
	s_mov_b32 s16, -1
                                        ; implicit-def: $vgpr1
.LBB242_638:
	s_mov_b32 s17, 0
.LBB242_639:
	s_delay_alu instid0(SALU_CYCLE_1)
	s_and_b32 vcc_lo, exec_lo, s17
	s_cbranch_vccz .LBB242_681
; %bb.640:
	s_cmp_lt_i32 s1, 27
	s_cbranch_scc1 .LBB242_651
; %bb.641:
	s_cmp_gt_i32 s1, 27
	s_cbranch_scc0 .LBB242_652
; %bb.642:
	s_wait_loadcnt 0x0
	global_load_b32 v1, v[4:5], off
	s_mov_b32 s2, exec_lo
	s_wait_loadcnt 0x0
	v_cvt_f32_u32_e32 v3, v1
                                        ; implicit-def: $vgpr1
	s_wait_xcnt 0x0
	s_delay_alu instid0(VALU_DEP_1)
	v_cmpx_gt_u32_e32 0x47800000, v3
	s_xor_b32 s2, exec_lo, s2
	s_cbranch_execz .LBB242_648
; %bb.643:
	s_mov_b32 s17, exec_lo
                                        ; implicit-def: $vgpr1
	v_cmpx_lt_u32_e32 0x387fffff, v3
	s_xor_b32 s17, exec_lo, s17
; %bb.644:
	v_bfe_u32 v1, v3, 21, 1
	s_delay_alu instid0(VALU_DEP_1) | instskip(NEXT) | instid1(VALU_DEP_1)
	v_add3_u32 v1, v3, v1, 0x80fffff
                                        ; implicit-def: $vgpr3
	v_lshrrev_b32_e32 v1, 21, v1
; %bb.645:
	s_and_not1_saveexec_b32 s17, s17
; %bb.646:
	v_add_f32_e32 v1, 0x43000000, v3
; %bb.647:
	s_or_b32 exec_lo, exec_lo, s17
                                        ; implicit-def: $vgpr3
.LBB242_648:
	s_and_not1_saveexec_b32 s2, s2
; %bb.649:
	v_mov_b32_e32 v1, 0x7f
	v_cmp_lt_u32_e32 vcc_lo, 0x7f800000, v3
	s_delay_alu instid0(VALU_DEP_2)
	v_cndmask_b32_e32 v1, 0x7c, v1, vcc_lo
; %bb.650:
	s_or_b32 exec_lo, exec_lo, s2
	s_mov_b32 s2, 0
	s_branch .LBB242_653
.LBB242_651:
	s_mov_b32 s2, -1
                                        ; implicit-def: $vgpr1
	s_branch .LBB242_664
.LBB242_652:
	s_mov_b32 s2, -1
                                        ; implicit-def: $vgpr1
.LBB242_653:
	s_delay_alu instid0(SALU_CYCLE_1)
	s_and_b32 vcc_lo, exec_lo, s2
	s_cbranch_vccz .LBB242_663
; %bb.654:
	s_wait_loadcnt 0x0
	global_load_u16 v1, v[4:5], off
	s_mov_b32 s2, exec_lo
	s_wait_loadcnt 0x0
	v_cvt_f32_u32_e32 v3, v1
                                        ; implicit-def: $vgpr1
	s_wait_xcnt 0x0
	s_delay_alu instid0(VALU_DEP_1)
	v_cmpx_gt_u32_e32 0x47800000, v3
	s_xor_b32 s2, exec_lo, s2
	s_cbranch_execz .LBB242_660
; %bb.655:
	s_mov_b32 s17, exec_lo
                                        ; implicit-def: $vgpr1
	v_cmpx_lt_u32_e32 0x387fffff, v3
	s_xor_b32 s17, exec_lo, s17
; %bb.656:
	v_bfe_u32 v1, v3, 21, 1
	s_delay_alu instid0(VALU_DEP_1) | instskip(NEXT) | instid1(VALU_DEP_1)
	v_add3_u32 v1, v3, v1, 0x80fffff
                                        ; implicit-def: $vgpr3
	v_lshrrev_b32_e32 v1, 21, v1
; %bb.657:
	s_and_not1_saveexec_b32 s17, s17
; %bb.658:
	v_add_f32_e32 v1, 0x43000000, v3
; %bb.659:
	s_or_b32 exec_lo, exec_lo, s17
                                        ; implicit-def: $vgpr3
.LBB242_660:
	s_and_not1_saveexec_b32 s2, s2
; %bb.661:
	v_mov_b32_e32 v1, 0x7f
	v_cmp_lt_u32_e32 vcc_lo, 0x7f800000, v3
	s_delay_alu instid0(VALU_DEP_2)
	v_cndmask_b32_e32 v1, 0x7c, v1, vcc_lo
; %bb.662:
	s_or_b32 exec_lo, exec_lo, s2
.LBB242_663:
	s_mov_b32 s2, 0
.LBB242_664:
	s_delay_alu instid0(SALU_CYCLE_1)
	s_and_not1_b32 vcc_lo, exec_lo, s2
	s_cbranch_vccnz .LBB242_680
; %bb.665:
	global_load_u8 v3, v[4:5], off
	s_mov_b32 s2, 0
	s_mov_b32 s17, exec_lo
	s_wait_loadcnt 0x0
	v_cmpx_lt_i16_e32 0x7f, v3
	s_xor_b32 s17, exec_lo, s17
	s_cbranch_execz .LBB242_702
; %bb.666:
	s_mov_b32 s2, -1
	s_mov_b32 s28, exec_lo
	v_cmpx_eq_u16_e32 0x80, v3
; %bb.667:
	s_xor_b32 s2, exec_lo, -1
; %bb.668:
	s_or_b32 exec_lo, exec_lo, s28
	s_delay_alu instid0(SALU_CYCLE_1)
	s_and_b32 s2, s2, exec_lo
	s_or_saveexec_b32 s17, s17
	v_mov_b32_e32 v1, 0x7f800001
	s_xor_b32 exec_lo, exec_lo, s17
	s_cbranch_execnz .LBB242_703
.LBB242_669:
	s_or_b32 exec_lo, exec_lo, s17
	s_and_saveexec_b32 s17, s2
	s_cbranch_execz .LBB242_671
.LBB242_670:
	v_and_b32_e32 v1, 0xffff, v3
	s_delay_alu instid0(VALU_DEP_1) | instskip(SKIP_1) | instid1(VALU_DEP_2)
	v_and_b32_e32 v6, 7, v1
	v_bfe_u32 v9, v1, 3, 4
	v_clz_i32_u32_e32 v7, v6
	s_delay_alu instid0(VALU_DEP_2) | instskip(NEXT) | instid1(VALU_DEP_2)
	v_cmp_eq_u32_e32 vcc_lo, 0, v9
	v_min_u32_e32 v7, 32, v7
	s_delay_alu instid0(VALU_DEP_1) | instskip(NEXT) | instid1(VALU_DEP_1)
	v_subrev_nc_u32_e32 v8, 28, v7
	v_dual_lshlrev_b32 v1, v8, v1 :: v_dual_sub_nc_u32 v7, 29, v7
	s_delay_alu instid0(VALU_DEP_1) | instskip(NEXT) | instid1(VALU_DEP_1)
	v_dual_lshlrev_b32 v3, 24, v3 :: v_dual_bitop2_b32 v1, 7, v1 bitop3:0x40
	v_dual_cndmask_b32 v1, v6, v1, vcc_lo :: v_dual_cndmask_b32 v7, v9, v7, vcc_lo
	s_delay_alu instid0(VALU_DEP_2) | instskip(NEXT) | instid1(VALU_DEP_2)
	v_and_b32_e32 v3, 0x80000000, v3
	v_lshlrev_b32_e32 v1, 20, v1
	s_delay_alu instid0(VALU_DEP_3) | instskip(NEXT) | instid1(VALU_DEP_1)
	v_lshl_add_u32 v6, v7, 23, 0x3b800000
	v_or3_b32 v1, v3, v6, v1
.LBB242_671:
	s_or_b32 exec_lo, exec_lo, s17
	s_delay_alu instid0(VALU_DEP_1) | instskip(SKIP_1) | instid1(VALU_DEP_1)
	v_and_b32_e32 v6, 0x7fffffff, v1
	s_mov_b32 s2, exec_lo
                                        ; implicit-def: $vgpr3
	v_cmpx_gt_u32_e32 0x47800000, v6
	s_xor_b32 s2, exec_lo, s2
	s_cbranch_execz .LBB242_677
; %bb.672:
	s_mov_b32 s17, exec_lo
                                        ; implicit-def: $vgpr3
	v_cmpx_lt_u32_e32 0x387fffff, v6
	s_xor_b32 s17, exec_lo, s17
; %bb.673:
	v_bfe_u32 v3, v1, 21, 1
	s_delay_alu instid0(VALU_DEP_1) | instskip(NEXT) | instid1(VALU_DEP_1)
	v_add3_u32 v3, v1, v3, 0x80fffff
	v_lshrrev_b32_e32 v3, 21, v3
; %bb.674:
	s_and_not1_saveexec_b32 s17, s17
; %bb.675:
	v_add_f32_e64 v3, 0x43000000, |v1|
; %bb.676:
	s_or_b32 exec_lo, exec_lo, s17
                                        ; implicit-def: $vgpr6
.LBB242_677:
	s_and_not1_saveexec_b32 s2, s2
; %bb.678:
	v_mov_b32_e32 v3, 0x7f
	v_cmp_lt_u32_e32 vcc_lo, 0x7f800000, v6
	s_delay_alu instid0(VALU_DEP_2)
	v_cndmask_b32_e32 v3, 0x7c, v3, vcc_lo
; %bb.679:
	s_or_b32 exec_lo, exec_lo, s2
	v_lshrrev_b32_e32 v1, 24, v1
	s_delay_alu instid0(VALU_DEP_1)
	v_and_or_b32 v1, 0x80, v1, v3
.LBB242_680:
	s_mov_b32 s2, -1
.LBB242_681:
	s_mov_b32 s17, 0
.LBB242_682:
	s_delay_alu instid0(SALU_CYCLE_1)
	s_and_b32 vcc_lo, exec_lo, s17
	s_cbranch_vccz .LBB242_748
; %bb.683:
	s_cmp_gt_i32 s1, 22
	s_cbranch_scc0 .LBB242_701
; %bb.684:
	s_cmp_lt_i32 s1, 24
	s_cbranch_scc1 .LBB242_704
; %bb.685:
	s_cmp_gt_i32 s1, 24
	s_cbranch_scc0 .LBB242_705
; %bb.686:
	global_load_u8 v3, v[4:5], off
	s_mov_b32 s2, 0
	s_mov_b32 s17, exec_lo
	s_wait_loadcnt 0x0
	v_cmpx_lt_i16_e32 0x7f, v3
	s_xor_b32 s17, exec_lo, s17
	s_cbranch_execz .LBB242_733
; %bb.687:
	s_mov_b32 s2, -1
	s_mov_b32 s28, exec_lo
	v_cmpx_eq_u16_e32 0x80, v3
; %bb.688:
	s_xor_b32 s2, exec_lo, -1
; %bb.689:
	s_or_b32 exec_lo, exec_lo, s28
	s_delay_alu instid0(SALU_CYCLE_1)
	s_and_b32 s2, s2, exec_lo
	s_or_saveexec_b32 s17, s17
	v_mov_b32_e32 v1, 0x7f800001
	s_xor_b32 exec_lo, exec_lo, s17
	s_cbranch_execnz .LBB242_734
.LBB242_690:
	s_or_b32 exec_lo, exec_lo, s17
	s_and_saveexec_b32 s17, s2
	s_cbranch_execz .LBB242_692
.LBB242_691:
	v_and_b32_e32 v1, 0xffff, v3
	s_delay_alu instid0(VALU_DEP_1) | instskip(SKIP_1) | instid1(VALU_DEP_2)
	v_and_b32_e32 v6, 3, v1
	v_bfe_u32 v9, v1, 2, 5
	v_clz_i32_u32_e32 v7, v6
	s_delay_alu instid0(VALU_DEP_2) | instskip(NEXT) | instid1(VALU_DEP_2)
	v_cmp_eq_u32_e32 vcc_lo, 0, v9
	v_min_u32_e32 v7, 32, v7
	s_delay_alu instid0(VALU_DEP_1) | instskip(NEXT) | instid1(VALU_DEP_1)
	v_subrev_nc_u32_e32 v8, 29, v7
	v_dual_lshlrev_b32 v1, v8, v1 :: v_dual_sub_nc_u32 v7, 30, v7
	s_delay_alu instid0(VALU_DEP_1) | instskip(NEXT) | instid1(VALU_DEP_1)
	v_dual_lshlrev_b32 v3, 24, v3 :: v_dual_bitop2_b32 v1, 3, v1 bitop3:0x40
	v_dual_cndmask_b32 v1, v6, v1, vcc_lo :: v_dual_cndmask_b32 v7, v9, v7, vcc_lo
	s_delay_alu instid0(VALU_DEP_2) | instskip(NEXT) | instid1(VALU_DEP_2)
	v_and_b32_e32 v3, 0x80000000, v3
	v_lshlrev_b32_e32 v1, 21, v1
	s_delay_alu instid0(VALU_DEP_3) | instskip(NEXT) | instid1(VALU_DEP_1)
	v_lshl_add_u32 v6, v7, 23, 0x37800000
	v_or3_b32 v1, v3, v6, v1
.LBB242_692:
	s_or_b32 exec_lo, exec_lo, s17
	s_delay_alu instid0(VALU_DEP_1) | instskip(SKIP_1) | instid1(VALU_DEP_1)
	v_and_b32_e32 v6, 0x7fffffff, v1
	s_mov_b32 s2, exec_lo
                                        ; implicit-def: $vgpr3
	v_cmpx_gt_u32_e32 0x47800000, v6
	s_xor_b32 s2, exec_lo, s2
	s_cbranch_execz .LBB242_698
; %bb.693:
	s_mov_b32 s17, exec_lo
                                        ; implicit-def: $vgpr3
	v_cmpx_lt_u32_e32 0x387fffff, v6
	s_xor_b32 s17, exec_lo, s17
; %bb.694:
	v_bfe_u32 v3, v1, 21, 1
	s_delay_alu instid0(VALU_DEP_1) | instskip(NEXT) | instid1(VALU_DEP_1)
	v_add3_u32 v3, v1, v3, 0x80fffff
	v_lshrrev_b32_e32 v3, 21, v3
; %bb.695:
	s_and_not1_saveexec_b32 s17, s17
; %bb.696:
	v_add_f32_e64 v3, 0x43000000, |v1|
; %bb.697:
	s_or_b32 exec_lo, exec_lo, s17
                                        ; implicit-def: $vgpr6
.LBB242_698:
	s_and_not1_saveexec_b32 s2, s2
; %bb.699:
	v_mov_b32_e32 v3, 0x7f
	v_cmp_lt_u32_e32 vcc_lo, 0x7f800000, v6
	s_delay_alu instid0(VALU_DEP_2)
	v_cndmask_b32_e32 v3, 0x7c, v3, vcc_lo
; %bb.700:
	s_or_b32 exec_lo, exec_lo, s2
	v_lshrrev_b32_e32 v1, 24, v1
	s_mov_b32 s2, 0
	s_delay_alu instid0(VALU_DEP_1)
	v_and_or_b32 v1, 0x80, v1, v3
	s_branch .LBB242_706
.LBB242_701:
	s_mov_b32 s17, -1
                                        ; implicit-def: $vgpr1
	s_branch .LBB242_720
.LBB242_702:
	s_or_saveexec_b32 s17, s17
	v_mov_b32_e32 v1, 0x7f800001
	s_xor_b32 exec_lo, exec_lo, s17
	s_cbranch_execz .LBB242_669
.LBB242_703:
	v_cmp_ne_u16_e32 vcc_lo, 0, v3
	v_mov_b32_e32 v1, 0
	s_and_not1_b32 s2, s2, exec_lo
	s_and_b32 s28, vcc_lo, exec_lo
	s_delay_alu instid0(SALU_CYCLE_1)
	s_or_b32 s2, s2, s28
	s_or_b32 exec_lo, exec_lo, s17
	s_and_saveexec_b32 s17, s2
	s_cbranch_execnz .LBB242_670
	s_branch .LBB242_671
.LBB242_704:
	s_mov_b32 s2, -1
                                        ; implicit-def: $vgpr1
	s_branch .LBB242_717
.LBB242_705:
	s_mov_b32 s2, -1
                                        ; implicit-def: $vgpr1
.LBB242_706:
	s_delay_alu instid0(SALU_CYCLE_1)
	s_and_b32 vcc_lo, exec_lo, s2
	s_cbranch_vccz .LBB242_716
; %bb.707:
	s_wait_loadcnt 0x0
	global_load_u8 v1, v[4:5], off
	s_mov_b32 s2, exec_lo
	s_wait_loadcnt 0x0
	v_lshlrev_b32_e32 v1, 24, v1
	s_delay_alu instid0(VALU_DEP_1) | instskip(NEXT) | instid1(VALU_DEP_1)
	v_and_b32_e32 v3, 0x7f000000, v1
	v_clz_i32_u32_e32 v6, v3
	v_cmp_ne_u32_e32 vcc_lo, 0, v3
	v_add_nc_u32_e32 v8, 0x1000000, v3
	s_delay_alu instid0(VALU_DEP_3) | instskip(NEXT) | instid1(VALU_DEP_1)
	v_min_u32_e32 v6, 32, v6
	v_sub_nc_u32_e64 v6, v6, 4 clamp
	s_delay_alu instid0(VALU_DEP_1) | instskip(NEXT) | instid1(VALU_DEP_1)
	v_lshlrev_b32_e32 v7, v6, v3
                                        ; implicit-def: $vgpr3
	v_dual_lshlrev_b32 v6, 23, v6 :: v_dual_lshrrev_b32 v7, 4, v7
	s_delay_alu instid0(VALU_DEP_1) | instskip(NEXT) | instid1(VALU_DEP_1)
	v_dual_sub_nc_u32 v6, v7, v6 :: v_dual_ashrrev_i32 v7, 8, v8
	v_add_nc_u32_e32 v6, 0x3c000000, v6
	s_delay_alu instid0(VALU_DEP_1) | instskip(NEXT) | instid1(VALU_DEP_1)
	v_and_or_b32 v6, 0x7f800000, v7, v6
	v_cndmask_b32_e32 v7, 0, v6, vcc_lo
	s_delay_alu instid0(VALU_DEP_1) | instskip(NEXT) | instid1(VALU_DEP_1)
	v_and_or_b32 v1, 0x80000000, v1, v7
	v_and_b32_e32 v6, 0x7fffffff, v1
	s_wait_xcnt 0x0
	s_delay_alu instid0(VALU_DEP_1)
	v_cmpx_gt_u32_e32 0x47800000, v6
	s_xor_b32 s2, exec_lo, s2
	s_cbranch_execz .LBB242_713
; %bb.708:
	s_mov_b32 s17, exec_lo
                                        ; implicit-def: $vgpr3
	v_cmpx_lt_u32_e32 0x387fffff, v6
	s_xor_b32 s17, exec_lo, s17
; %bb.709:
	v_bfe_u32 v3, v7, 21, 1
	s_delay_alu instid0(VALU_DEP_1) | instskip(NEXT) | instid1(VALU_DEP_1)
	v_add3_u32 v3, v1, v3, 0x80fffff
	v_lshrrev_b32_e32 v3, 21, v3
; %bb.710:
	s_and_not1_saveexec_b32 s17, s17
; %bb.711:
	v_add_f32_e64 v3, 0x43000000, |v1|
; %bb.712:
	s_or_b32 exec_lo, exec_lo, s17
                                        ; implicit-def: $vgpr6
.LBB242_713:
	s_and_not1_saveexec_b32 s2, s2
; %bb.714:
	v_mov_b32_e32 v3, 0x7f
	v_cmp_lt_u32_e32 vcc_lo, 0x7f800000, v6
	s_delay_alu instid0(VALU_DEP_2)
	v_cndmask_b32_e32 v3, 0x7c, v3, vcc_lo
; %bb.715:
	s_or_b32 exec_lo, exec_lo, s2
	v_lshrrev_b32_e32 v1, 24, v1
	s_delay_alu instid0(VALU_DEP_1)
	v_and_or_b32 v1, 0x80, v1, v3
.LBB242_716:
	s_mov_b32 s2, 0
.LBB242_717:
	s_delay_alu instid0(SALU_CYCLE_1)
	s_and_not1_b32 vcc_lo, exec_lo, s2
	s_cbranch_vccnz .LBB242_719
; %bb.718:
	s_wait_loadcnt 0x0
	global_load_u8 v1, v[4:5], off
.LBB242_719:
	s_mov_b32 s17, 0
	s_mov_b32 s2, -1
.LBB242_720:
	s_and_not1_b32 vcc_lo, exec_lo, s17
	s_cbranch_vccnz .LBB242_748
; %bb.721:
	s_cmp_gt_i32 s1, 14
	s_cbranch_scc0 .LBB242_732
; %bb.722:
	s_cmp_eq_u32 s1, 15
	s_cbranch_scc0 .LBB242_735
; %bb.723:
	s_wait_loadcnt 0x0
	global_load_u16 v1, v[4:5], off
	s_mov_b32 s2, exec_lo
                                        ; implicit-def: $vgpr3
	s_wait_loadcnt 0x0
	v_lshlrev_b32_e32 v6, 16, v1
	s_delay_alu instid0(VALU_DEP_1) | instskip(SKIP_1) | instid1(VALU_DEP_1)
	v_and_b32_e32 v7, 0x7fffffff, v6
	s_wait_xcnt 0x0
	v_cmpx_gt_u32_e32 0x47800000, v7
	s_xor_b32 s2, exec_lo, s2
	s_cbranch_execz .LBB242_729
; %bb.724:
	s_mov_b32 s16, exec_lo
                                        ; implicit-def: $vgpr3
	v_cmpx_lt_u32_e32 0x387fffff, v7
	s_xor_b32 s16, exec_lo, s16
; %bb.725:
	v_bfe_u32 v3, v1, 5, 1
	s_delay_alu instid0(VALU_DEP_1) | instskip(NEXT) | instid1(VALU_DEP_1)
	v_add3_u32 v3, v6, v3, 0x80fffff
                                        ; implicit-def: $vgpr6
	v_lshrrev_b32_e32 v3, 21, v3
; %bb.726:
	s_and_not1_saveexec_b32 s16, s16
; %bb.727:
	v_add_f32_e64 v3, 0x43000000, |v6|
; %bb.728:
	s_or_b32 exec_lo, exec_lo, s16
                                        ; implicit-def: $vgpr7
.LBB242_729:
	s_and_not1_saveexec_b32 s2, s2
; %bb.730:
	v_mov_b32_e32 v3, 0x7f
	v_cmp_lt_u32_e32 vcc_lo, 0x7f800000, v7
	s_delay_alu instid0(VALU_DEP_2)
	v_cndmask_b32_e32 v3, 0x7c, v3, vcc_lo
; %bb.731:
	s_or_b32 exec_lo, exec_lo, s2
	v_lshrrev_b32_e32 v1, 8, v1
	s_mov_b32 s2, -1
	s_mov_b32 s16, 0
	s_mov_b32 s17, 0
	s_delay_alu instid0(VALU_DEP_1)
	v_and_or_b32 v1, 0x80, v1, v3
	s_branch .LBB242_736
.LBB242_732:
	s_mov_b32 s17, -1
                                        ; implicit-def: $vgpr1
	s_branch .LBB242_736
.LBB242_733:
	s_or_saveexec_b32 s17, s17
	v_mov_b32_e32 v1, 0x7f800001
	s_xor_b32 exec_lo, exec_lo, s17
	s_cbranch_execz .LBB242_690
.LBB242_734:
	v_cmp_ne_u16_e32 vcc_lo, 0, v3
	v_mov_b32_e32 v1, 0
	s_and_not1_b32 s2, s2, exec_lo
	s_and_b32 s28, vcc_lo, exec_lo
	s_delay_alu instid0(SALU_CYCLE_1)
	s_or_b32 s2, s2, s28
	s_or_b32 exec_lo, exec_lo, s17
	s_and_saveexec_b32 s17, s2
	s_cbranch_execnz .LBB242_691
	s_branch .LBB242_692
.LBB242_735:
	s_mov_b32 s16, -1
                                        ; implicit-def: $vgpr1
	s_mov_b32 s17, 0
.LBB242_736:
	s_delay_alu instid0(SALU_CYCLE_1)
	s_and_b32 vcc_lo, exec_lo, s17
	s_cbranch_vccz .LBB242_748
; %bb.737:
	s_cmp_eq_u32 s1, 11
	s_cbranch_scc0 .LBB242_747
; %bb.738:
	s_wait_loadcnt 0x0
	global_load_u8 v1, v[4:5], off
	s_mov_b32 s2, exec_lo
	s_wait_loadcnt 0x0
	v_cmp_ne_u16_e32 vcc_lo, 0, v1
                                        ; implicit-def: $vgpr1
	v_cndmask_b32_e64 v3, 0, 1.0, vcc_lo
	s_wait_xcnt 0x0
	s_delay_alu instid0(VALU_DEP_1)
	v_cmpx_gt_u32_e32 0x47800000, v3
	s_xor_b32 s2, exec_lo, s2
	s_cbranch_execz .LBB242_744
; %bb.739:
	s_mov_b32 s16, exec_lo
                                        ; implicit-def: $vgpr1
	v_cmpx_lt_u32_e32 0x387fffff, v3
	s_xor_b32 s16, exec_lo, s16
; %bb.740:
	v_bfe_u32 v1, v3, 21, 1
	s_delay_alu instid0(VALU_DEP_1) | instskip(NEXT) | instid1(VALU_DEP_1)
	v_add3_u32 v1, v3, v1, 0x80fffff
                                        ; implicit-def: $vgpr3
	v_lshrrev_b32_e32 v1, 21, v1
; %bb.741:
	s_and_not1_saveexec_b32 s16, s16
; %bb.742:
	v_add_f32_e32 v1, 0x43000000, v3
; %bb.743:
	s_or_b32 exec_lo, exec_lo, s16
                                        ; implicit-def: $vgpr3
.LBB242_744:
	s_and_not1_saveexec_b32 s2, s2
; %bb.745:
	v_mov_b32_e32 v1, 0x7f
	v_cmp_lt_u32_e32 vcc_lo, 0x7f800000, v3
	s_delay_alu instid0(VALU_DEP_2)
	v_cndmask_b32_e32 v1, 0x7c, v1, vcc_lo
; %bb.746:
	s_or_b32 exec_lo, exec_lo, s2
	s_mov_b32 s2, -1
	s_mov_b32 s16, 0
	s_branch .LBB242_748
.LBB242_747:
	s_mov_b32 s16, -1
                                        ; implicit-def: $vgpr1
.LBB242_748:
	s_branch .LBB242_479
.LBB242_749:
	s_cmp_lt_i32 s1, 5
	s_cbranch_scc1 .LBB242_762
; %bb.750:
	s_cmp_lt_i32 s1, 8
	s_cbranch_scc1 .LBB242_763
; %bb.751:
	;; [unrolled: 3-line block ×3, first 2 shown]
	s_cmp_gt_i32 s1, 9
	s_cbranch_scc0 .LBB242_765
; %bb.753:
	global_load_b64 v[6:7], v[4:5], off
	s_mov_b32 s2, exec_lo
                                        ; implicit-def: $vgpr3
	s_wait_loadcnt 0x0
	v_cvt_f32_f64_e32 v1, v[6:7]
	s_delay_alu instid0(VALU_DEP_1) | instskip(SKIP_1) | instid1(VALU_DEP_1)
	v_and_b32_e32 v6, 0x7fffffff, v1
	s_wait_xcnt 0x0
	v_cmpx_gt_u32_e32 0x47800000, v6
	s_xor_b32 s2, exec_lo, s2
	s_cbranch_execz .LBB242_759
; %bb.754:
	s_mov_b32 s17, exec_lo
                                        ; implicit-def: $vgpr3
	v_cmpx_lt_u32_e32 0x387fffff, v6
	s_xor_b32 s17, exec_lo, s17
; %bb.755:
	v_bfe_u32 v3, v1, 21, 1
	s_delay_alu instid0(VALU_DEP_1) | instskip(NEXT) | instid1(VALU_DEP_1)
	v_add3_u32 v3, v1, v3, 0x80fffff
	v_lshrrev_b32_e32 v3, 21, v3
; %bb.756:
	s_and_not1_saveexec_b32 s17, s17
; %bb.757:
	v_add_f32_e64 v3, 0x43000000, |v1|
; %bb.758:
	s_or_b32 exec_lo, exec_lo, s17
                                        ; implicit-def: $vgpr6
.LBB242_759:
	s_and_not1_saveexec_b32 s2, s2
; %bb.760:
	v_mov_b32_e32 v3, 0x7f
	v_cmp_lt_u32_e32 vcc_lo, 0x7f800000, v6
	s_delay_alu instid0(VALU_DEP_2)
	v_cndmask_b32_e32 v3, 0x7c, v3, vcc_lo
; %bb.761:
	s_or_b32 exec_lo, exec_lo, s2
	v_lshrrev_b32_e32 v1, 24, v1
	s_mov_b32 s2, 0
	s_delay_alu instid0(VALU_DEP_1)
	v_and_or_b32 v1, 0x80, v1, v3
	s_branch .LBB242_766
.LBB242_762:
	s_mov_b32 s2, -1
                                        ; implicit-def: $vgpr1
	s_branch .LBB242_824
.LBB242_763:
	s_mov_b32 s2, -1
                                        ; implicit-def: $vgpr1
	s_branch .LBB242_788
.LBB242_764:
	s_mov_b32 s2, -1
                                        ; implicit-def: $vgpr1
	s_branch .LBB242_777
.LBB242_765:
	s_mov_b32 s2, -1
                                        ; implicit-def: $vgpr1
.LBB242_766:
	s_delay_alu instid0(SALU_CYCLE_1)
	s_and_b32 vcc_lo, exec_lo, s2
	s_cbranch_vccz .LBB242_776
; %bb.767:
	s_wait_loadcnt 0x0
	global_load_b32 v1, v[4:5], off
	s_mov_b32 s2, exec_lo
                                        ; implicit-def: $vgpr3
	s_wait_loadcnt 0x0
	v_and_b32_e32 v6, 0x7fffffff, v1
	s_wait_xcnt 0x0
	s_delay_alu instid0(VALU_DEP_1)
	v_cmpx_gt_u32_e32 0x47800000, v6
	s_xor_b32 s2, exec_lo, s2
	s_cbranch_execz .LBB242_773
; %bb.768:
	s_mov_b32 s17, exec_lo
                                        ; implicit-def: $vgpr3
	v_cmpx_lt_u32_e32 0x387fffff, v6
	s_xor_b32 s17, exec_lo, s17
; %bb.769:
	v_bfe_u32 v3, v1, 21, 1
	s_delay_alu instid0(VALU_DEP_1) | instskip(NEXT) | instid1(VALU_DEP_1)
	v_add3_u32 v3, v1, v3, 0x80fffff
	v_lshrrev_b32_e32 v3, 21, v3
; %bb.770:
	s_and_not1_saveexec_b32 s17, s17
; %bb.771:
	v_add_f32_e64 v3, 0x43000000, |v1|
; %bb.772:
	s_or_b32 exec_lo, exec_lo, s17
                                        ; implicit-def: $vgpr6
.LBB242_773:
	s_and_not1_saveexec_b32 s2, s2
; %bb.774:
	v_mov_b32_e32 v3, 0x7f
	v_cmp_lt_u32_e32 vcc_lo, 0x7f800000, v6
	s_delay_alu instid0(VALU_DEP_2)
	v_cndmask_b32_e32 v3, 0x7c, v3, vcc_lo
; %bb.775:
	s_or_b32 exec_lo, exec_lo, s2
	v_lshrrev_b32_e32 v1, 24, v1
	s_delay_alu instid0(VALU_DEP_1)
	v_and_or_b32 v1, 0x80, v1, v3
.LBB242_776:
	s_mov_b32 s2, 0
.LBB242_777:
	s_delay_alu instid0(SALU_CYCLE_1)
	s_and_not1_b32 vcc_lo, exec_lo, s2
	s_cbranch_vccnz .LBB242_787
; %bb.778:
	s_wait_loadcnt 0x0
	global_load_b32 v1, v[4:5], off
	s_mov_b32 s2, exec_lo
                                        ; implicit-def: $vgpr3
	s_wait_loadcnt 0x0
	v_cvt_f32_f16_e32 v1, v1
	s_delay_alu instid0(VALU_DEP_1) | instskip(SKIP_1) | instid1(VALU_DEP_1)
	v_and_b32_e32 v6, 0x7fffffff, v1
	s_wait_xcnt 0x0
	v_cmpx_gt_u32_e32 0x47800000, v6
	s_xor_b32 s2, exec_lo, s2
	s_cbranch_execz .LBB242_784
; %bb.779:
	s_mov_b32 s17, exec_lo
                                        ; implicit-def: $vgpr3
	v_cmpx_lt_u32_e32 0x387fffff, v6
	s_xor_b32 s17, exec_lo, s17
; %bb.780:
	v_bfe_u32 v3, v1, 21, 1
	s_delay_alu instid0(VALU_DEP_1) | instskip(NEXT) | instid1(VALU_DEP_1)
	v_add3_u32 v3, v1, v3, 0x80fffff
	v_lshrrev_b32_e32 v3, 21, v3
; %bb.781:
	s_and_not1_saveexec_b32 s17, s17
; %bb.782:
	v_add_f32_e64 v3, 0x43000000, |v1|
; %bb.783:
	s_or_b32 exec_lo, exec_lo, s17
                                        ; implicit-def: $vgpr6
.LBB242_784:
	s_and_not1_saveexec_b32 s2, s2
; %bb.785:
	v_mov_b32_e32 v3, 0x7f
	v_cmp_lt_u32_e32 vcc_lo, 0x7f800000, v6
	s_delay_alu instid0(VALU_DEP_2)
	v_cndmask_b32_e32 v3, 0x7c, v3, vcc_lo
; %bb.786:
	s_or_b32 exec_lo, exec_lo, s2
	v_lshrrev_b32_e32 v1, 24, v1
	s_delay_alu instid0(VALU_DEP_1)
	v_and_or_b32 v1, 0x80, v1, v3
.LBB242_787:
	s_mov_b32 s2, 0
.LBB242_788:
	s_delay_alu instid0(SALU_CYCLE_1)
	s_and_not1_b32 vcc_lo, exec_lo, s2
	s_cbranch_vccnz .LBB242_823
; %bb.789:
	s_cmp_lt_i32 s1, 6
	s_cbranch_scc1 .LBB242_800
; %bb.790:
	s_cmp_gt_i32 s1, 6
	s_cbranch_scc0 .LBB242_801
; %bb.791:
	global_load_b64 v[6:7], v[4:5], off
	s_mov_b32 s2, exec_lo
                                        ; implicit-def: $vgpr3
	s_wait_loadcnt 0x0
	v_cvt_f32_f64_e32 v1, v[6:7]
	s_delay_alu instid0(VALU_DEP_1) | instskip(SKIP_1) | instid1(VALU_DEP_1)
	v_and_b32_e32 v6, 0x7fffffff, v1
	s_wait_xcnt 0x0
	v_cmpx_gt_u32_e32 0x47800000, v6
	s_xor_b32 s2, exec_lo, s2
	s_cbranch_execz .LBB242_797
; %bb.792:
	s_mov_b32 s17, exec_lo
                                        ; implicit-def: $vgpr3
	v_cmpx_lt_u32_e32 0x387fffff, v6
	s_xor_b32 s17, exec_lo, s17
; %bb.793:
	v_bfe_u32 v3, v1, 21, 1
	s_delay_alu instid0(VALU_DEP_1) | instskip(NEXT) | instid1(VALU_DEP_1)
	v_add3_u32 v3, v1, v3, 0x80fffff
	v_lshrrev_b32_e32 v3, 21, v3
; %bb.794:
	s_and_not1_saveexec_b32 s17, s17
; %bb.795:
	v_add_f32_e64 v3, 0x43000000, |v1|
; %bb.796:
	s_or_b32 exec_lo, exec_lo, s17
                                        ; implicit-def: $vgpr6
.LBB242_797:
	s_and_not1_saveexec_b32 s2, s2
; %bb.798:
	v_mov_b32_e32 v3, 0x7f
	v_cmp_lt_u32_e32 vcc_lo, 0x7f800000, v6
	s_delay_alu instid0(VALU_DEP_2)
	v_cndmask_b32_e32 v3, 0x7c, v3, vcc_lo
; %bb.799:
	s_or_b32 exec_lo, exec_lo, s2
	v_lshrrev_b32_e32 v1, 24, v1
	s_mov_b32 s2, 0
	s_delay_alu instid0(VALU_DEP_1)
	v_and_or_b32 v1, 0x80, v1, v3
	s_branch .LBB242_802
.LBB242_800:
	s_mov_b32 s2, -1
                                        ; implicit-def: $vgpr1
	s_branch .LBB242_813
.LBB242_801:
	s_mov_b32 s2, -1
                                        ; implicit-def: $vgpr1
.LBB242_802:
	s_delay_alu instid0(SALU_CYCLE_1)
	s_and_b32 vcc_lo, exec_lo, s2
	s_cbranch_vccz .LBB242_812
; %bb.803:
	s_wait_loadcnt 0x0
	global_load_b32 v1, v[4:5], off
	s_mov_b32 s2, exec_lo
                                        ; implicit-def: $vgpr3
	s_wait_loadcnt 0x0
	v_and_b32_e32 v6, 0x7fffffff, v1
	s_wait_xcnt 0x0
	s_delay_alu instid0(VALU_DEP_1)
	v_cmpx_gt_u32_e32 0x47800000, v6
	s_xor_b32 s2, exec_lo, s2
	s_cbranch_execz .LBB242_809
; %bb.804:
	s_mov_b32 s17, exec_lo
                                        ; implicit-def: $vgpr3
	v_cmpx_lt_u32_e32 0x387fffff, v6
	s_xor_b32 s17, exec_lo, s17
; %bb.805:
	v_bfe_u32 v3, v1, 21, 1
	s_delay_alu instid0(VALU_DEP_1) | instskip(NEXT) | instid1(VALU_DEP_1)
	v_add3_u32 v3, v1, v3, 0x80fffff
	v_lshrrev_b32_e32 v3, 21, v3
; %bb.806:
	s_and_not1_saveexec_b32 s17, s17
; %bb.807:
	v_add_f32_e64 v3, 0x43000000, |v1|
; %bb.808:
	s_or_b32 exec_lo, exec_lo, s17
                                        ; implicit-def: $vgpr6
.LBB242_809:
	s_and_not1_saveexec_b32 s2, s2
; %bb.810:
	v_mov_b32_e32 v3, 0x7f
	v_cmp_lt_u32_e32 vcc_lo, 0x7f800000, v6
	s_delay_alu instid0(VALU_DEP_2)
	v_cndmask_b32_e32 v3, 0x7c, v3, vcc_lo
; %bb.811:
	s_or_b32 exec_lo, exec_lo, s2
	v_lshrrev_b32_e32 v1, 24, v1
	s_delay_alu instid0(VALU_DEP_1)
	v_and_or_b32 v1, 0x80, v1, v3
.LBB242_812:
	s_mov_b32 s2, 0
.LBB242_813:
	s_delay_alu instid0(SALU_CYCLE_1)
	s_and_not1_b32 vcc_lo, exec_lo, s2
	s_cbranch_vccnz .LBB242_823
; %bb.814:
	s_wait_loadcnt 0x0
	global_load_u16 v1, v[4:5], off
	s_mov_b32 s2, exec_lo
                                        ; implicit-def: $vgpr3
	s_wait_loadcnt 0x0
	v_cvt_f32_f16_e32 v1, v1
	s_delay_alu instid0(VALU_DEP_1) | instskip(SKIP_1) | instid1(VALU_DEP_1)
	v_and_b32_e32 v6, 0x7fffffff, v1
	s_wait_xcnt 0x0
	v_cmpx_gt_u32_e32 0x47800000, v6
	s_xor_b32 s2, exec_lo, s2
	s_cbranch_execz .LBB242_820
; %bb.815:
	s_mov_b32 s17, exec_lo
                                        ; implicit-def: $vgpr3
	v_cmpx_lt_u32_e32 0x387fffff, v6
	s_xor_b32 s17, exec_lo, s17
; %bb.816:
	v_bfe_u32 v3, v1, 21, 1
	s_delay_alu instid0(VALU_DEP_1) | instskip(NEXT) | instid1(VALU_DEP_1)
	v_add3_u32 v3, v1, v3, 0x80fffff
	v_lshrrev_b32_e32 v3, 21, v3
; %bb.817:
	s_and_not1_saveexec_b32 s17, s17
; %bb.818:
	v_add_f32_e64 v3, 0x43000000, |v1|
; %bb.819:
	s_or_b32 exec_lo, exec_lo, s17
                                        ; implicit-def: $vgpr6
.LBB242_820:
	s_and_not1_saveexec_b32 s2, s2
; %bb.821:
	v_mov_b32_e32 v3, 0x7f
	v_cmp_lt_u32_e32 vcc_lo, 0x7f800000, v6
	s_delay_alu instid0(VALU_DEP_2)
	v_cndmask_b32_e32 v3, 0x7c, v3, vcc_lo
; %bb.822:
	s_or_b32 exec_lo, exec_lo, s2
	v_lshrrev_b32_e32 v1, 24, v1
	s_delay_alu instid0(VALU_DEP_1)
	v_and_or_b32 v1, 0x80, v1, v3
.LBB242_823:
	s_mov_b32 s2, 0
.LBB242_824:
	s_delay_alu instid0(SALU_CYCLE_1)
	s_and_not1_b32 vcc_lo, exec_lo, s2
	s_cbranch_vccnz .LBB242_884
; %bb.825:
	s_cmp_lt_i32 s1, 2
	s_cbranch_scc1 .LBB242_837
; %bb.826:
	s_cmp_lt_i32 s1, 3
	s_cbranch_scc1 .LBB242_838
; %bb.827:
	s_cmp_gt_i32 s1, 3
	s_cbranch_scc0 .LBB242_839
; %bb.828:
	global_load_b64 v[6:7], v[4:5], off
	s_mov_b32 s2, exec_lo
	s_wait_loadcnt 0x0
	v_xor_b32_e32 v1, v6, v7
	v_cls_i32_e32 v3, v7
	s_delay_alu instid0(VALU_DEP_2) | instskip(NEXT) | instid1(VALU_DEP_1)
	v_ashrrev_i32_e32 v1, 31, v1
	v_add_nc_u32_e32 v1, 32, v1
	s_delay_alu instid0(VALU_DEP_1) | instskip(NEXT) | instid1(VALU_DEP_1)
	v_add_min_u32_e64 v1, v3, -1, v1
	v_lshlrev_b64_e32 v[6:7], v1, v[6:7]
	v_sub_nc_u32_e32 v1, 32, v1
	s_delay_alu instid0(VALU_DEP_2) | instskip(NEXT) | instid1(VALU_DEP_1)
	v_min_u32_e32 v3, 1, v6
	v_or_b32_e32 v3, v7, v3
	s_delay_alu instid0(VALU_DEP_1) | instskip(NEXT) | instid1(VALU_DEP_1)
	v_cvt_f32_i32_e32 v3, v3
	v_ldexp_f32 v1, v3, v1
                                        ; implicit-def: $vgpr3
	s_delay_alu instid0(VALU_DEP_1) | instskip(SKIP_1) | instid1(VALU_DEP_1)
	v_and_b32_e32 v6, 0x7fffffff, v1
	s_wait_xcnt 0x0
	v_cmpx_gt_u32_e32 0x47800000, v6
	s_xor_b32 s2, exec_lo, s2
	s_cbranch_execz .LBB242_834
; %bb.829:
	s_mov_b32 s17, exec_lo
                                        ; implicit-def: $vgpr3
	v_cmpx_lt_u32_e32 0x387fffff, v6
	s_xor_b32 s17, exec_lo, s17
; %bb.830:
	v_bfe_u32 v3, v1, 21, 1
	s_delay_alu instid0(VALU_DEP_1) | instskip(NEXT) | instid1(VALU_DEP_1)
	v_add3_u32 v3, v1, v3, 0x80fffff
	v_lshrrev_b32_e32 v3, 21, v3
; %bb.831:
	s_and_not1_saveexec_b32 s17, s17
; %bb.832:
	v_add_f32_e64 v3, 0x43000000, |v1|
; %bb.833:
	s_or_b32 exec_lo, exec_lo, s17
                                        ; implicit-def: $vgpr6
.LBB242_834:
	s_and_not1_saveexec_b32 s2, s2
; %bb.835:
	v_mov_b32_e32 v3, 0x7f
	v_cmp_lt_u32_e32 vcc_lo, 0x7f800000, v6
	s_delay_alu instid0(VALU_DEP_2)
	v_cndmask_b32_e32 v3, 0x7c, v3, vcc_lo
; %bb.836:
	s_or_b32 exec_lo, exec_lo, s2
	v_lshrrev_b32_e32 v1, 24, v1
	s_mov_b32 s2, 0
	s_delay_alu instid0(VALU_DEP_1)
	v_and_or_b32 v1, 0x80, v1, v3
	s_branch .LBB242_840
.LBB242_837:
	s_mov_b32 s2, -1
                                        ; implicit-def: $vgpr1
	s_branch .LBB242_862
.LBB242_838:
	s_mov_b32 s2, -1
                                        ; implicit-def: $vgpr1
	s_branch .LBB242_851
.LBB242_839:
	s_mov_b32 s2, -1
                                        ; implicit-def: $vgpr1
.LBB242_840:
	s_delay_alu instid0(SALU_CYCLE_1)
	s_and_b32 vcc_lo, exec_lo, s2
	s_cbranch_vccz .LBB242_850
; %bb.841:
	s_wait_loadcnt 0x0
	global_load_b32 v1, v[4:5], off
	s_mov_b32 s2, exec_lo
                                        ; implicit-def: $vgpr3
	s_wait_loadcnt 0x0
	v_cvt_f32_i32_e32 v1, v1
	s_delay_alu instid0(VALU_DEP_1) | instskip(SKIP_1) | instid1(VALU_DEP_1)
	v_and_b32_e32 v6, 0x7fffffff, v1
	s_wait_xcnt 0x0
	v_cmpx_gt_u32_e32 0x47800000, v6
	s_xor_b32 s2, exec_lo, s2
	s_cbranch_execz .LBB242_847
; %bb.842:
	s_mov_b32 s17, exec_lo
                                        ; implicit-def: $vgpr3
	v_cmpx_lt_u32_e32 0x387fffff, v6
	s_xor_b32 s17, exec_lo, s17
; %bb.843:
	v_bfe_u32 v3, v1, 21, 1
	s_delay_alu instid0(VALU_DEP_1) | instskip(NEXT) | instid1(VALU_DEP_1)
	v_add3_u32 v3, v1, v3, 0x80fffff
	v_lshrrev_b32_e32 v3, 21, v3
; %bb.844:
	s_and_not1_saveexec_b32 s17, s17
; %bb.845:
	v_add_f32_e64 v3, 0x43000000, |v1|
; %bb.846:
	s_or_b32 exec_lo, exec_lo, s17
                                        ; implicit-def: $vgpr6
.LBB242_847:
	s_and_not1_saveexec_b32 s2, s2
; %bb.848:
	v_mov_b32_e32 v3, 0x7f
	v_cmp_lt_u32_e32 vcc_lo, 0x7f800000, v6
	s_delay_alu instid0(VALU_DEP_2)
	v_cndmask_b32_e32 v3, 0x7c, v3, vcc_lo
; %bb.849:
	s_or_b32 exec_lo, exec_lo, s2
	v_lshrrev_b32_e32 v1, 24, v1
	s_delay_alu instid0(VALU_DEP_1)
	v_and_or_b32 v1, 0x80, v1, v3
.LBB242_850:
	s_mov_b32 s2, 0
.LBB242_851:
	s_delay_alu instid0(SALU_CYCLE_1)
	s_and_not1_b32 vcc_lo, exec_lo, s2
	s_cbranch_vccnz .LBB242_861
; %bb.852:
	s_wait_loadcnt 0x0
	global_load_i16 v1, v[4:5], off
	s_mov_b32 s2, exec_lo
                                        ; implicit-def: $vgpr3
	s_wait_loadcnt 0x0
	v_cvt_f32_i32_e32 v1, v1
	s_delay_alu instid0(VALU_DEP_1) | instskip(SKIP_1) | instid1(VALU_DEP_1)
	v_and_b32_e32 v6, 0x7fffffff, v1
	s_wait_xcnt 0x0
	v_cmpx_gt_u32_e32 0x47800000, v6
	s_xor_b32 s2, exec_lo, s2
	s_cbranch_execz .LBB242_858
; %bb.853:
	s_mov_b32 s17, exec_lo
                                        ; implicit-def: $vgpr3
	v_cmpx_lt_u32_e32 0x387fffff, v6
	s_xor_b32 s17, exec_lo, s17
; %bb.854:
	v_bfe_u32 v3, v1, 21, 1
	s_delay_alu instid0(VALU_DEP_1) | instskip(NEXT) | instid1(VALU_DEP_1)
	v_add3_u32 v3, v1, v3, 0x80fffff
	v_lshrrev_b32_e32 v3, 21, v3
; %bb.855:
	s_and_not1_saveexec_b32 s17, s17
; %bb.856:
	v_add_f32_e64 v3, 0x43000000, |v1|
; %bb.857:
	s_or_b32 exec_lo, exec_lo, s17
                                        ; implicit-def: $vgpr6
.LBB242_858:
	s_and_not1_saveexec_b32 s2, s2
; %bb.859:
	v_mov_b32_e32 v3, 0x7f
	v_cmp_lt_u32_e32 vcc_lo, 0x7f800000, v6
	s_delay_alu instid0(VALU_DEP_2)
	v_cndmask_b32_e32 v3, 0x7c, v3, vcc_lo
; %bb.860:
	s_or_b32 exec_lo, exec_lo, s2
	v_lshrrev_b32_e32 v1, 24, v1
	s_delay_alu instid0(VALU_DEP_1)
	v_and_or_b32 v1, 0x80, v1, v3
.LBB242_861:
	s_mov_b32 s2, 0
.LBB242_862:
	s_delay_alu instid0(SALU_CYCLE_1)
	s_and_not1_b32 vcc_lo, exec_lo, s2
	s_cbranch_vccnz .LBB242_884
; %bb.863:
	s_cmp_gt_i32 s1, 0
	s_cbranch_scc0 .LBB242_873
; %bb.864:
	s_wait_loadcnt 0x0
	global_load_i8 v1, v[4:5], off
	s_mov_b32 s1, exec_lo
                                        ; implicit-def: $vgpr3
	s_wait_loadcnt 0x0
	v_cvt_f32_i32_e32 v1, v1
	s_delay_alu instid0(VALU_DEP_1) | instskip(SKIP_1) | instid1(VALU_DEP_1)
	v_and_b32_e32 v6, 0x7fffffff, v1
	s_wait_xcnt 0x0
	v_cmpx_gt_u32_e32 0x47800000, v6
	s_xor_b32 s1, exec_lo, s1
	s_cbranch_execz .LBB242_870
; %bb.865:
	s_mov_b32 s2, exec_lo
                                        ; implicit-def: $vgpr3
	v_cmpx_lt_u32_e32 0x387fffff, v6
	s_xor_b32 s2, exec_lo, s2
; %bb.866:
	v_bfe_u32 v3, v1, 21, 1
	s_delay_alu instid0(VALU_DEP_1) | instskip(NEXT) | instid1(VALU_DEP_1)
	v_add3_u32 v3, v1, v3, 0x80fffff
	v_lshrrev_b32_e32 v3, 21, v3
; %bb.867:
	s_and_not1_saveexec_b32 s2, s2
; %bb.868:
	v_add_f32_e64 v3, 0x43000000, |v1|
; %bb.869:
	s_or_b32 exec_lo, exec_lo, s2
                                        ; implicit-def: $vgpr6
.LBB242_870:
	s_and_not1_saveexec_b32 s1, s1
; %bb.871:
	v_mov_b32_e32 v3, 0x7f
	v_cmp_lt_u32_e32 vcc_lo, 0x7f800000, v6
	s_delay_alu instid0(VALU_DEP_2)
	v_cndmask_b32_e32 v3, 0x7c, v3, vcc_lo
; %bb.872:
	s_or_b32 exec_lo, exec_lo, s1
	v_lshrrev_b32_e32 v1, 24, v1
	s_mov_b32 s1, 0
	s_delay_alu instid0(VALU_DEP_1)
	v_and_or_b32 v1, 0x80, v1, v3
	s_branch .LBB242_874
.LBB242_873:
	s_mov_b32 s1, -1
                                        ; implicit-def: $vgpr1
.LBB242_874:
	s_delay_alu instid0(SALU_CYCLE_1)
	s_and_b32 vcc_lo, exec_lo, s1
	s_cbranch_vccz .LBB242_884
; %bb.875:
	s_wait_loadcnt 0x0
	global_load_u8 v1, v[4:5], off
	s_mov_b32 s1, exec_lo
	s_wait_loadcnt 0x0
	v_cvt_f32_ubyte0_e32 v3, v1
                                        ; implicit-def: $vgpr1
	s_wait_xcnt 0x0
	s_delay_alu instid0(VALU_DEP_1)
	v_cmpx_gt_u32_e32 0x47800000, v3
	s_xor_b32 s1, exec_lo, s1
	s_cbranch_execz .LBB242_881
; %bb.876:
	s_mov_b32 s2, exec_lo
                                        ; implicit-def: $vgpr1
	v_cmpx_lt_u32_e32 0x387fffff, v3
	s_xor_b32 s2, exec_lo, s2
; %bb.877:
	v_bfe_u32 v1, v3, 21, 1
	s_delay_alu instid0(VALU_DEP_1) | instskip(NEXT) | instid1(VALU_DEP_1)
	v_add3_u32 v1, v3, v1, 0x80fffff
                                        ; implicit-def: $vgpr3
	v_lshrrev_b32_e32 v1, 21, v1
; %bb.878:
	s_and_not1_saveexec_b32 s2, s2
; %bb.879:
	v_add_f32_e32 v1, 0x43000000, v3
; %bb.880:
	s_or_b32 exec_lo, exec_lo, s2
                                        ; implicit-def: $vgpr3
.LBB242_881:
	s_and_not1_saveexec_b32 s1, s1
; %bb.882:
	v_mov_b32_e32 v1, 0x7f
	v_cmp_lt_u32_e32 vcc_lo, 0x7f800000, v3
	s_delay_alu instid0(VALU_DEP_2)
	v_cndmask_b32_e32 v1, 0x7c, v1, vcc_lo
; %bb.883:
	s_or_b32 exec_lo, exec_lo, s1
.LBB242_884:
	s_branch .LBB242_480
.LBB242_885:
	s_mov_b32 s1, 0
	s_mov_b32 s2, s42
.LBB242_886:
                                        ; implicit-def: $vgpr0
.LBB242_887:
	s_and_not1_b32 s17, s42, exec_lo
	s_and_b32 s2, s2, exec_lo
	s_and_not1_b32 s28, s43, exec_lo
	s_and_b32 s16, s16, exec_lo
	s_or_b32 s46, s17, s2
	s_or_b32 s45, s28, s16
	s_or_not1_b32 s17, s1, exec_lo
.LBB242_888:
	s_wait_xcnt 0x0
	s_or_b32 exec_lo, exec_lo, s47
	s_mov_b32 s1, 0
	s_mov_b32 s16, 0
	;; [unrolled: 1-line block ×3, first 2 shown]
                                        ; implicit-def: $vgpr4_vgpr5
                                        ; implicit-def: $vgpr2
                                        ; implicit-def: $vgpr3
	s_and_saveexec_b32 s47, s17
	s_cbranch_execz .LBB242_1507
; %bb.889:
	s_mov_b32 s29, -1
	s_mov_b32 s1, s45
	s_mov_b32 s2, s46
	s_mov_b32 s48, exec_lo
	v_cmpx_gt_i32_e64 s39, v0
	s_cbranch_execz .LBB242_1333
; %bb.890:
	s_and_not1_b32 vcc_lo, exec_lo, s35
	s_cbranch_vccnz .LBB242_896
; %bb.891:
	s_and_not1_b32 vcc_lo, exec_lo, s41
	s_cbranch_vccnz .LBB242_897
; %bb.892:
	s_add_co_i32 s1, s40, 1
	s_cmp_eq_u32 s33, 2
	s_cbranch_scc1 .LBB242_898
; %bb.893:
	v_dual_mov_b32 v2, 0 :: v_dual_mov_b32 v4, 0
	s_wait_loadcnt 0x0
	v_mov_b32_e32 v1, v0
	s_and_b32 s16, s1, 28
	s_mov_b32 s2, 0
	s_mov_b64 s[28:29], s[20:21]
	s_mov_b64 s[30:31], s[26:27]
.LBB242_894:                            ; =>This Inner Loop Header: Depth=1
	s_clause 0x1
	s_load_b256 s[52:59], s[28:29], 0x4
	s_load_b128 s[68:71], s[28:29], 0x24
	s_load_b256 s[60:67], s[30:31], 0x0
	s_add_co_i32 s2, s2, 4
	s_wait_xcnt 0x0
	s_add_nc_u64 s[28:29], s[28:29], 48
	s_cmp_eq_u32 s16, s2
	s_add_nc_u64 s[30:31], s[30:31], 32
	s_wait_kmcnt 0x0
	v_mul_hi_u32 v3, s53, v1
	s_delay_alu instid0(VALU_DEP_1) | instskip(NEXT) | instid1(VALU_DEP_1)
	v_add_nc_u32_e32 v3, v1, v3
	v_lshrrev_b32_e32 v3, s54, v3
	s_delay_alu instid0(VALU_DEP_1) | instskip(NEXT) | instid1(VALU_DEP_1)
	v_mul_hi_u32 v5, s56, v3
	v_add_nc_u32_e32 v5, v3, v5
	s_delay_alu instid0(VALU_DEP_1) | instskip(NEXT) | instid1(VALU_DEP_1)
	v_lshrrev_b32_e32 v5, s57, v5
	v_mul_hi_u32 v6, s59, v5
	s_delay_alu instid0(VALU_DEP_1) | instskip(SKIP_1) | instid1(VALU_DEP_1)
	v_add_nc_u32_e32 v6, v5, v6
	v_mul_lo_u32 v7, v3, s52
	v_sub_nc_u32_e32 v1, v1, v7
	v_mul_lo_u32 v7, v5, s55
	s_delay_alu instid0(VALU_DEP_4) | instskip(NEXT) | instid1(VALU_DEP_3)
	v_lshrrev_b32_e32 v6, s68, v6
	v_mad_u32 v4, v1, s61, v4
	v_mad_u32 v1, v1, s60, v2
	s_delay_alu instid0(VALU_DEP_4) | instskip(NEXT) | instid1(VALU_DEP_4)
	v_sub_nc_u32_e32 v2, v3, v7
	v_mul_hi_u32 v8, s70, v6
	v_mul_lo_u32 v3, v6, s58
	s_delay_alu instid0(VALU_DEP_3) | instskip(SKIP_1) | instid1(VALU_DEP_3)
	v_mad_u32 v4, v2, s63, v4
	v_mad_u32 v2, v2, s62, v1
	v_dual_add_nc_u32 v7, v6, v8 :: v_dual_sub_nc_u32 v3, v5, v3
	s_delay_alu instid0(VALU_DEP_1) | instskip(NEXT) | instid1(VALU_DEP_2)
	v_lshrrev_b32_e32 v1, s71, v7
	v_mad_u32 v4, v3, s65, v4
	s_delay_alu instid0(VALU_DEP_4) | instskip(NEXT) | instid1(VALU_DEP_3)
	v_mad_u32 v2, v3, s64, v2
	v_mul_lo_u32 v5, v1, s69
	s_delay_alu instid0(VALU_DEP_1) | instskip(NEXT) | instid1(VALU_DEP_1)
	v_sub_nc_u32_e32 v3, v6, v5
	v_mad_u32 v4, v3, s67, v4
	s_delay_alu instid0(VALU_DEP_4)
	v_mad_u32 v2, v3, s66, v2
	s_cbranch_scc0 .LBB242_894
; %bb.895:
	s_delay_alu instid0(VALU_DEP_2)
	v_mov_b32_e32 v3, v4
	s_branch .LBB242_899
.LBB242_896:
	s_mov_b32 s1, -1
                                        ; implicit-def: $vgpr4
                                        ; implicit-def: $vgpr2
	s_branch .LBB242_904
.LBB242_897:
	v_dual_mov_b32 v4, 0 :: v_dual_mov_b32 v2, 0
	s_branch .LBB242_903
.LBB242_898:
	v_mov_b64_e32 v[2:3], 0
	s_wait_loadcnt 0x0
	v_mov_b32_e32 v1, v0
                                        ; implicit-def: $vgpr4
.LBB242_899:
	s_and_b32 s1, s1, 3
	s_mov_b32 s17, 0
	s_cmp_eq_u32 s1, 0
	s_cbranch_scc1 .LBB242_903
; %bb.900:
	s_lshl_b32 s28, s16, 3
	s_mov_b32 s29, s17
	s_mul_u64 s[30:31], s[16:17], 12
	s_add_nc_u64 s[28:29], s[20:21], s[28:29]
	s_delay_alu instid0(SALU_CYCLE_1)
	s_add_nc_u64 s[16:17], s[28:29], 0xc4
	s_add_nc_u64 s[28:29], s[20:21], s[30:31]
.LBB242_901:                            ; =>This Inner Loop Header: Depth=1
	s_load_b96 s[52:54], s[28:29], 0x4
	s_load_b64 s[30:31], s[16:17], 0x0
	s_add_co_i32 s1, s1, -1
	s_wait_xcnt 0x0
	s_add_nc_u64 s[28:29], s[28:29], 12
	s_cmp_lg_u32 s1, 0
	s_add_nc_u64 s[16:17], s[16:17], 8
	s_wait_kmcnt 0x0
	v_mul_hi_u32 v4, s53, v1
	s_delay_alu instid0(VALU_DEP_1) | instskip(NEXT) | instid1(VALU_DEP_1)
	v_add_nc_u32_e32 v4, v1, v4
	v_lshrrev_b32_e32 v4, s54, v4
	s_delay_alu instid0(VALU_DEP_1) | instskip(NEXT) | instid1(VALU_DEP_1)
	v_mul_lo_u32 v5, v4, s52
	v_sub_nc_u32_e32 v1, v1, v5
	s_delay_alu instid0(VALU_DEP_1)
	v_mad_u32 v3, v1, s31, v3
	v_mad_u32 v2, v1, s30, v2
	v_mov_b32_e32 v1, v4
	s_cbranch_scc1 .LBB242_901
; %bb.902:
	s_delay_alu instid0(VALU_DEP_3)
	v_mov_b32_e32 v4, v3
.LBB242_903:
	s_mov_b32 s1, 0
.LBB242_904:
	s_delay_alu instid0(SALU_CYCLE_1)
	s_and_not1_b32 vcc_lo, exec_lo, s1
	s_cbranch_vccnz .LBB242_907
; %bb.905:
	s_wait_loadcnt 0x0
	v_mov_b32_e32 v1, 0
	s_and_not1_b32 vcc_lo, exec_lo, s38
	s_delay_alu instid0(VALU_DEP_1) | instskip(NEXT) | instid1(VALU_DEP_1)
	v_mul_u64_e32 v[2:3], s[22:23], v[0:1]
	v_add_nc_u32_e32 v2, v0, v3
	s_delay_alu instid0(VALU_DEP_1) | instskip(NEXT) | instid1(VALU_DEP_1)
	v_lshrrev_b32_e32 v6, s10, v2
	v_mul_lo_u32 v2, v6, s8
	s_delay_alu instid0(VALU_DEP_1) | instskip(NEXT) | instid1(VALU_DEP_1)
	v_sub_nc_u32_e32 v2, v0, v2
	v_mul_lo_u32 v4, v2, s13
	v_mul_lo_u32 v2, v2, s12
	s_cbranch_vccnz .LBB242_907
; %bb.906:
	v_mov_b32_e32 v7, v1
	s_delay_alu instid0(VALU_DEP_1) | instskip(NEXT) | instid1(VALU_DEP_1)
	v_mul_u64_e32 v[8:9], s[24:25], v[6:7]
	v_add_nc_u32_e32 v1, v6, v9
	s_delay_alu instid0(VALU_DEP_1) | instskip(NEXT) | instid1(VALU_DEP_1)
	v_lshrrev_b32_e32 v1, s3, v1
	v_mul_lo_u32 v1, v1, s11
	s_delay_alu instid0(VALU_DEP_1) | instskip(NEXT) | instid1(VALU_DEP_1)
	v_sub_nc_u32_e32 v1, v6, v1
	v_mad_u32 v2, v1, s14, v2
	v_mad_u32 v4, v1, s15, v4
.LBB242_907:
	v_mov_b32_e32 v5, 0
	s_and_b32 s1, 0xffff, s37
	s_delay_alu instid0(SALU_CYCLE_1) | instskip(NEXT) | instid1(VALU_DEP_1)
	s_cmp_lt_i32 s1, 11
	v_add_nc_u64_e32 v[4:5], s[6:7], v[4:5]
	s_cbranch_scc1 .LBB242_922
; %bb.908:
	s_cmp_gt_i32 s1, 25
	s_cbranch_scc0 .LBB242_923
; %bb.909:
	s_cmp_gt_i32 s1, 28
	s_cbranch_scc0 .LBB242_924
	;; [unrolled: 3-line block ×4, first 2 shown]
; %bb.912:
	s_cmp_eq_u32 s1, 46
	s_mov_b32 s17, 0
	s_cbranch_scc0 .LBB242_931
; %bb.913:
	s_wait_loadcnt 0x0
	global_load_b32 v1, v[4:5], off
	s_mov_b32 s2, exec_lo
                                        ; implicit-def: $vgpr3
	s_wait_loadcnt 0x0
	v_lshlrev_b32_e32 v1, 16, v1
	s_delay_alu instid0(VALU_DEP_1) | instskip(SKIP_1) | instid1(VALU_DEP_1)
	v_and_b32_e32 v6, 0x7fffffff, v1
	s_wait_xcnt 0x0
	v_cmpx_gt_u32_e32 0x47800000, v6
	s_xor_b32 s2, exec_lo, s2
	s_cbranch_execz .LBB242_919
; %bb.914:
	s_mov_b32 s16, exec_lo
                                        ; implicit-def: $vgpr3
	v_cmpx_lt_u32_e32 0x387fffff, v6
	s_xor_b32 s16, exec_lo, s16
; %bb.915:
	v_bfe_u32 v3, v1, 21, 1
	s_delay_alu instid0(VALU_DEP_1) | instskip(NEXT) | instid1(VALU_DEP_1)
	v_add3_u32 v3, v1, v3, 0x80fffff
	v_lshrrev_b32_e32 v3, 21, v3
; %bb.916:
	s_and_not1_saveexec_b32 s16, s16
; %bb.917:
	v_add_f32_e64 v3, 0x43000000, |v1|
; %bb.918:
	s_or_b32 exec_lo, exec_lo, s16
                                        ; implicit-def: $vgpr6
.LBB242_919:
	s_and_not1_saveexec_b32 s2, s2
; %bb.920:
	v_mov_b32_e32 v3, 0x7f
	v_cmp_lt_u32_e32 vcc_lo, 0x7f800000, v6
	s_delay_alu instid0(VALU_DEP_2)
	v_cndmask_b32_e32 v3, 0x7c, v3, vcc_lo
; %bb.921:
	s_or_b32 exec_lo, exec_lo, s2
	v_lshrrev_b32_e32 v1, 24, v1
	s_mov_b32 s2, -1
	s_mov_b32 s16, 0
	s_delay_alu instid0(VALU_DEP_1)
	v_and_or_b32 v1, 0x80, v1, v3
	s_branch .LBB242_933
.LBB242_922:
	s_mov_b32 s17, -1
	s_mov_b32 s2, 0
	s_mov_b32 s16, s45
                                        ; implicit-def: $vgpr1
	s_branch .LBB242_1069
.LBB242_923:
	s_mov_b32 s17, -1
	s_mov_b32 s2, 0
	s_mov_b32 s16, s45
                                        ; implicit-def: $vgpr1
	s_branch .LBB242_1002
.LBB242_924:
	s_mov_b32 s17, -1
	s_mov_b32 s2, 0
	s_mov_b32 s16, s45
                                        ; implicit-def: $vgpr1
	s_branch .LBB242_959
.LBB242_925:
	s_mov_b32 s17, -1
	s_mov_b32 s2, 0
	s_mov_b32 s16, s45
                                        ; implicit-def: $vgpr1
	s_branch .LBB242_946
.LBB242_926:
	s_and_not1_saveexec_b32 s31, s31
	s_cbranch_execz .LBB242_534
.LBB242_927:
	v_add_f32_e32 v1, 0x46000000, v4
	s_and_not1_b32 s30, s30, exec_lo
	s_delay_alu instid0(VALU_DEP_1) | instskip(NEXT) | instid1(VALU_DEP_1)
	v_and_b32_e32 v1, 0xff, v1
	v_cmp_ne_u32_e32 vcc_lo, 0, v1
	s_and_b32 s45, vcc_lo, exec_lo
	s_delay_alu instid0(SALU_CYCLE_1)
	s_or_b32 s30, s30, s45
	s_or_b32 exec_lo, exec_lo, s31
	v_mov_b32_e32 v5, 0
	s_and_saveexec_b32 s31, s30
	s_cbranch_execnz .LBB242_535
	s_branch .LBB242_536
.LBB242_928:
	s_mov_b32 s17, -1
	s_mov_b32 s2, 0
	s_mov_b32 s16, s45
	s_branch .LBB242_932
.LBB242_929:
	s_and_not1_saveexec_b32 s31, s31
	s_cbranch_execz .LBB242_547
.LBB242_930:
	v_add_f32_e32 v1, 0x42800000, v4
	s_and_not1_b32 s30, s30, exec_lo
	s_delay_alu instid0(VALU_DEP_1) | instskip(NEXT) | instid1(VALU_DEP_1)
	v_and_b32_e32 v1, 0xff, v1
	v_cmp_ne_u32_e32 vcc_lo, 0, v1
	s_and_b32 s45, vcc_lo, exec_lo
	s_delay_alu instid0(SALU_CYCLE_1)
	s_or_b32 s30, s30, s45
	s_or_b32 exec_lo, exec_lo, s31
	v_mov_b32_e32 v5, 0
	s_and_saveexec_b32 s31, s30
	s_cbranch_execnz .LBB242_548
	s_branch .LBB242_549
.LBB242_931:
	s_mov_b32 s16, -1
	s_mov_b32 s2, 0
.LBB242_932:
                                        ; implicit-def: $vgpr1
.LBB242_933:
	s_and_b32 vcc_lo, exec_lo, s17
	s_cbranch_vccz .LBB242_945
; %bb.934:
	s_cmp_eq_u32 s1, 44
	s_cbranch_scc0 .LBB242_944
; %bb.935:
	s_wait_loadcnt 0x0
	global_load_u8 v1, v[4:5], off
	s_mov_b32 s2, exec_lo
	s_wait_loadcnt 0x0
	v_lshlrev_b32_e32 v3, 23, v1
	v_cmp_ne_u32_e32 vcc_lo, 0xff, v1
	s_delay_alu instid0(VALU_DEP_2) | instskip(SKIP_1) | instid1(VALU_DEP_2)
	v_cndmask_b32_e32 v3, 0x7f800001, v3, vcc_lo
	v_cmp_ne_u32_e32 vcc_lo, 0, v1
                                        ; implicit-def: $vgpr1
	v_cndmask_b32_e32 v3, 0x400000, v3, vcc_lo
	s_wait_xcnt 0x0
	s_delay_alu instid0(VALU_DEP_1)
	v_cmpx_gt_u32_e32 0x47800000, v3
	s_xor_b32 s2, exec_lo, s2
	s_cbranch_execz .LBB242_941
; %bb.936:
	s_mov_b32 s16, exec_lo
                                        ; implicit-def: $vgpr1
	v_cmpx_lt_u32_e32 0x387fffff, v3
	s_xor_b32 s16, exec_lo, s16
; %bb.937:
	v_bfe_u32 v1, v3, 21, 1
	s_delay_alu instid0(VALU_DEP_1) | instskip(NEXT) | instid1(VALU_DEP_1)
	v_add3_u32 v1, v3, v1, 0x80fffff
                                        ; implicit-def: $vgpr3
	v_lshrrev_b32_e32 v1, 21, v1
; %bb.938:
	s_and_not1_saveexec_b32 s16, s16
; %bb.939:
	v_add_f32_e32 v1, 0x43000000, v3
; %bb.940:
	s_or_b32 exec_lo, exec_lo, s16
                                        ; implicit-def: $vgpr3
.LBB242_941:
	s_and_not1_saveexec_b32 s2, s2
; %bb.942:
	v_mov_b32_e32 v1, 0x7f
	v_cmp_lt_u32_e32 vcc_lo, 0x7f800000, v3
	s_delay_alu instid0(VALU_DEP_2)
	v_cndmask_b32_e32 v1, 0x7c, v1, vcc_lo
; %bb.943:
	s_or_b32 exec_lo, exec_lo, s2
	s_mov_b32 s2, -1
	s_mov_b32 s16, 0
	s_branch .LBB242_945
.LBB242_944:
	s_mov_b32 s16, -1
                                        ; implicit-def: $vgpr1
.LBB242_945:
	s_mov_b32 s17, 0
.LBB242_946:
	s_delay_alu instid0(SALU_CYCLE_1)
	s_and_b32 vcc_lo, exec_lo, s17
	s_cbranch_vccz .LBB242_958
; %bb.947:
	s_cmp_eq_u32 s1, 29
	s_cbranch_scc0 .LBB242_957
; %bb.948:
	global_load_b64 v[6:7], v[4:5], off
	s_mov_b32 s2, exec_lo
	s_wait_loadcnt 0x0
	v_clz_i32_u32_e32 v1, v7
	s_delay_alu instid0(VALU_DEP_1) | instskip(NEXT) | instid1(VALU_DEP_1)
	v_min_u32_e32 v1, 32, v1
	v_lshlrev_b64_e32 v[6:7], v1, v[6:7]
	v_sub_nc_u32_e32 v1, 32, v1
	s_delay_alu instid0(VALU_DEP_2) | instskip(NEXT) | instid1(VALU_DEP_1)
	v_min_u32_e32 v3, 1, v6
	v_or_b32_e32 v3, v7, v3
	s_delay_alu instid0(VALU_DEP_1) | instskip(NEXT) | instid1(VALU_DEP_1)
	v_cvt_f32_u32_e32 v3, v3
	v_ldexp_f32 v3, v3, v1
                                        ; implicit-def: $vgpr1
	s_wait_xcnt 0x0
	s_delay_alu instid0(VALU_DEP_1)
	v_cmpx_gt_u32_e32 0x47800000, v3
	s_xor_b32 s2, exec_lo, s2
	s_cbranch_execz .LBB242_954
; %bb.949:
	s_mov_b32 s16, exec_lo
                                        ; implicit-def: $vgpr1
	v_cmpx_lt_u32_e32 0x387fffff, v3
	s_xor_b32 s16, exec_lo, s16
; %bb.950:
	v_bfe_u32 v1, v3, 21, 1
	s_delay_alu instid0(VALU_DEP_1) | instskip(NEXT) | instid1(VALU_DEP_1)
	v_add3_u32 v1, v3, v1, 0x80fffff
                                        ; implicit-def: $vgpr3
	v_lshrrev_b32_e32 v1, 21, v1
; %bb.951:
	s_and_not1_saveexec_b32 s16, s16
; %bb.952:
	v_add_f32_e32 v1, 0x43000000, v3
; %bb.953:
	s_or_b32 exec_lo, exec_lo, s16
                                        ; implicit-def: $vgpr3
.LBB242_954:
	s_and_not1_saveexec_b32 s2, s2
; %bb.955:
	v_mov_b32_e32 v1, 0x7f
	v_cmp_lt_u32_e32 vcc_lo, 0x7f800000, v3
	s_delay_alu instid0(VALU_DEP_2)
	v_cndmask_b32_e32 v1, 0x7c, v1, vcc_lo
; %bb.956:
	s_or_b32 exec_lo, exec_lo, s2
	s_mov_b32 s2, -1
	s_mov_b32 s16, 0
	s_branch .LBB242_958
.LBB242_957:
	s_mov_b32 s16, -1
                                        ; implicit-def: $vgpr1
.LBB242_958:
	s_mov_b32 s17, 0
.LBB242_959:
	s_delay_alu instid0(SALU_CYCLE_1)
	s_and_b32 vcc_lo, exec_lo, s17
	s_cbranch_vccz .LBB242_1001
; %bb.960:
	s_cmp_lt_i32 s1, 27
	s_cbranch_scc1 .LBB242_971
; %bb.961:
	s_cmp_gt_i32 s1, 27
	s_cbranch_scc0 .LBB242_972
; %bb.962:
	s_wait_loadcnt 0x0
	global_load_b32 v1, v[4:5], off
	s_mov_b32 s2, exec_lo
	s_wait_loadcnt 0x0
	v_cvt_f32_u32_e32 v3, v1
                                        ; implicit-def: $vgpr1
	s_wait_xcnt 0x0
	s_delay_alu instid0(VALU_DEP_1)
	v_cmpx_gt_u32_e32 0x47800000, v3
	s_xor_b32 s2, exec_lo, s2
	s_cbranch_execz .LBB242_968
; %bb.963:
	s_mov_b32 s17, exec_lo
                                        ; implicit-def: $vgpr1
	v_cmpx_lt_u32_e32 0x387fffff, v3
	s_xor_b32 s17, exec_lo, s17
; %bb.964:
	v_bfe_u32 v1, v3, 21, 1
	s_delay_alu instid0(VALU_DEP_1) | instskip(NEXT) | instid1(VALU_DEP_1)
	v_add3_u32 v1, v3, v1, 0x80fffff
                                        ; implicit-def: $vgpr3
	v_lshrrev_b32_e32 v1, 21, v1
; %bb.965:
	s_and_not1_saveexec_b32 s17, s17
; %bb.966:
	v_add_f32_e32 v1, 0x43000000, v3
; %bb.967:
	s_or_b32 exec_lo, exec_lo, s17
                                        ; implicit-def: $vgpr3
.LBB242_968:
	s_and_not1_saveexec_b32 s2, s2
; %bb.969:
	v_mov_b32_e32 v1, 0x7f
	v_cmp_lt_u32_e32 vcc_lo, 0x7f800000, v3
	s_delay_alu instid0(VALU_DEP_2)
	v_cndmask_b32_e32 v1, 0x7c, v1, vcc_lo
; %bb.970:
	s_or_b32 exec_lo, exec_lo, s2
	s_mov_b32 s2, 0
	s_branch .LBB242_973
.LBB242_971:
	s_mov_b32 s2, -1
                                        ; implicit-def: $vgpr1
	s_branch .LBB242_984
.LBB242_972:
	s_mov_b32 s2, -1
                                        ; implicit-def: $vgpr1
.LBB242_973:
	s_delay_alu instid0(SALU_CYCLE_1)
	s_and_b32 vcc_lo, exec_lo, s2
	s_cbranch_vccz .LBB242_983
; %bb.974:
	s_wait_loadcnt 0x0
	global_load_u16 v1, v[4:5], off
	s_mov_b32 s2, exec_lo
	s_wait_loadcnt 0x0
	v_cvt_f32_u32_e32 v3, v1
                                        ; implicit-def: $vgpr1
	s_wait_xcnt 0x0
	s_delay_alu instid0(VALU_DEP_1)
	v_cmpx_gt_u32_e32 0x47800000, v3
	s_xor_b32 s2, exec_lo, s2
	s_cbranch_execz .LBB242_980
; %bb.975:
	s_mov_b32 s17, exec_lo
                                        ; implicit-def: $vgpr1
	v_cmpx_lt_u32_e32 0x387fffff, v3
	s_xor_b32 s17, exec_lo, s17
; %bb.976:
	v_bfe_u32 v1, v3, 21, 1
	s_delay_alu instid0(VALU_DEP_1) | instskip(NEXT) | instid1(VALU_DEP_1)
	v_add3_u32 v1, v3, v1, 0x80fffff
                                        ; implicit-def: $vgpr3
	v_lshrrev_b32_e32 v1, 21, v1
; %bb.977:
	s_and_not1_saveexec_b32 s17, s17
; %bb.978:
	v_add_f32_e32 v1, 0x43000000, v3
; %bb.979:
	s_or_b32 exec_lo, exec_lo, s17
                                        ; implicit-def: $vgpr3
.LBB242_980:
	s_and_not1_saveexec_b32 s2, s2
; %bb.981:
	v_mov_b32_e32 v1, 0x7f
	v_cmp_lt_u32_e32 vcc_lo, 0x7f800000, v3
	s_delay_alu instid0(VALU_DEP_2)
	v_cndmask_b32_e32 v1, 0x7c, v1, vcc_lo
; %bb.982:
	s_or_b32 exec_lo, exec_lo, s2
.LBB242_983:
	s_mov_b32 s2, 0
.LBB242_984:
	s_delay_alu instid0(SALU_CYCLE_1)
	s_and_not1_b32 vcc_lo, exec_lo, s2
	s_cbranch_vccnz .LBB242_1000
; %bb.985:
	global_load_u8 v3, v[4:5], off
	s_mov_b32 s2, 0
	s_mov_b32 s17, exec_lo
	s_wait_loadcnt 0x0
	v_cmpx_lt_i16_e32 0x7f, v3
	s_xor_b32 s17, exec_lo, s17
	s_cbranch_execz .LBB242_1022
; %bb.986:
	s_mov_b32 s2, -1
	s_mov_b32 s28, exec_lo
	v_cmpx_eq_u16_e32 0x80, v3
; %bb.987:
	s_xor_b32 s2, exec_lo, -1
; %bb.988:
	s_or_b32 exec_lo, exec_lo, s28
	s_delay_alu instid0(SALU_CYCLE_1)
	s_and_b32 s2, s2, exec_lo
	s_or_saveexec_b32 s17, s17
	v_mov_b32_e32 v1, 0x7f800001
	s_xor_b32 exec_lo, exec_lo, s17
	s_cbranch_execnz .LBB242_1023
.LBB242_989:
	s_or_b32 exec_lo, exec_lo, s17
	s_and_saveexec_b32 s17, s2
	s_cbranch_execz .LBB242_991
.LBB242_990:
	v_and_b32_e32 v1, 0xffff, v3
	s_delay_alu instid0(VALU_DEP_1) | instskip(SKIP_1) | instid1(VALU_DEP_2)
	v_and_b32_e32 v6, 7, v1
	v_bfe_u32 v9, v1, 3, 4
	v_clz_i32_u32_e32 v7, v6
	s_delay_alu instid0(VALU_DEP_2) | instskip(NEXT) | instid1(VALU_DEP_2)
	v_cmp_eq_u32_e32 vcc_lo, 0, v9
	v_min_u32_e32 v7, 32, v7
	s_delay_alu instid0(VALU_DEP_1) | instskip(NEXT) | instid1(VALU_DEP_1)
	v_subrev_nc_u32_e32 v8, 28, v7
	v_dual_lshlrev_b32 v1, v8, v1 :: v_dual_sub_nc_u32 v7, 29, v7
	s_delay_alu instid0(VALU_DEP_1) | instskip(NEXT) | instid1(VALU_DEP_1)
	v_dual_lshlrev_b32 v3, 24, v3 :: v_dual_bitop2_b32 v1, 7, v1 bitop3:0x40
	v_dual_cndmask_b32 v1, v6, v1, vcc_lo :: v_dual_cndmask_b32 v7, v9, v7, vcc_lo
	s_delay_alu instid0(VALU_DEP_2) | instskip(NEXT) | instid1(VALU_DEP_2)
	v_and_b32_e32 v3, 0x80000000, v3
	v_lshlrev_b32_e32 v1, 20, v1
	s_delay_alu instid0(VALU_DEP_3) | instskip(NEXT) | instid1(VALU_DEP_1)
	v_lshl_add_u32 v6, v7, 23, 0x3b800000
	v_or3_b32 v1, v3, v6, v1
.LBB242_991:
	s_or_b32 exec_lo, exec_lo, s17
	s_delay_alu instid0(VALU_DEP_1) | instskip(SKIP_1) | instid1(VALU_DEP_1)
	v_and_b32_e32 v6, 0x7fffffff, v1
	s_mov_b32 s2, exec_lo
                                        ; implicit-def: $vgpr3
	v_cmpx_gt_u32_e32 0x47800000, v6
	s_xor_b32 s2, exec_lo, s2
	s_cbranch_execz .LBB242_997
; %bb.992:
	s_mov_b32 s17, exec_lo
                                        ; implicit-def: $vgpr3
	v_cmpx_lt_u32_e32 0x387fffff, v6
	s_xor_b32 s17, exec_lo, s17
; %bb.993:
	v_bfe_u32 v3, v1, 21, 1
	s_delay_alu instid0(VALU_DEP_1) | instskip(NEXT) | instid1(VALU_DEP_1)
	v_add3_u32 v3, v1, v3, 0x80fffff
	v_lshrrev_b32_e32 v3, 21, v3
; %bb.994:
	s_and_not1_saveexec_b32 s17, s17
; %bb.995:
	v_add_f32_e64 v3, 0x43000000, |v1|
; %bb.996:
	s_or_b32 exec_lo, exec_lo, s17
                                        ; implicit-def: $vgpr6
.LBB242_997:
	s_and_not1_saveexec_b32 s2, s2
; %bb.998:
	v_mov_b32_e32 v3, 0x7f
	v_cmp_lt_u32_e32 vcc_lo, 0x7f800000, v6
	s_delay_alu instid0(VALU_DEP_2)
	v_cndmask_b32_e32 v3, 0x7c, v3, vcc_lo
; %bb.999:
	s_or_b32 exec_lo, exec_lo, s2
	v_lshrrev_b32_e32 v1, 24, v1
	s_delay_alu instid0(VALU_DEP_1)
	v_and_or_b32 v1, 0x80, v1, v3
.LBB242_1000:
	s_mov_b32 s2, -1
.LBB242_1001:
	s_mov_b32 s17, 0
.LBB242_1002:
	s_delay_alu instid0(SALU_CYCLE_1)
	s_and_b32 vcc_lo, exec_lo, s17
	s_cbranch_vccz .LBB242_1068
; %bb.1003:
	s_cmp_gt_i32 s1, 22
	s_cbranch_scc0 .LBB242_1021
; %bb.1004:
	s_cmp_lt_i32 s1, 24
	s_cbranch_scc1 .LBB242_1024
; %bb.1005:
	s_cmp_gt_i32 s1, 24
	s_cbranch_scc0 .LBB242_1025
; %bb.1006:
	global_load_u8 v3, v[4:5], off
	s_mov_b32 s2, 0
	s_mov_b32 s17, exec_lo
	s_wait_loadcnt 0x0
	v_cmpx_lt_i16_e32 0x7f, v3
	s_xor_b32 s17, exec_lo, s17
	s_cbranch_execz .LBB242_1053
; %bb.1007:
	s_mov_b32 s2, -1
	s_mov_b32 s28, exec_lo
	v_cmpx_eq_u16_e32 0x80, v3
; %bb.1008:
	s_xor_b32 s2, exec_lo, -1
; %bb.1009:
	s_or_b32 exec_lo, exec_lo, s28
	s_delay_alu instid0(SALU_CYCLE_1)
	s_and_b32 s2, s2, exec_lo
	s_or_saveexec_b32 s17, s17
	v_mov_b32_e32 v1, 0x7f800001
	s_xor_b32 exec_lo, exec_lo, s17
	s_cbranch_execnz .LBB242_1054
.LBB242_1010:
	s_or_b32 exec_lo, exec_lo, s17
	s_and_saveexec_b32 s17, s2
	s_cbranch_execz .LBB242_1012
.LBB242_1011:
	v_and_b32_e32 v1, 0xffff, v3
	s_delay_alu instid0(VALU_DEP_1) | instskip(SKIP_1) | instid1(VALU_DEP_2)
	v_and_b32_e32 v6, 3, v1
	v_bfe_u32 v9, v1, 2, 5
	v_clz_i32_u32_e32 v7, v6
	s_delay_alu instid0(VALU_DEP_2) | instskip(NEXT) | instid1(VALU_DEP_2)
	v_cmp_eq_u32_e32 vcc_lo, 0, v9
	v_min_u32_e32 v7, 32, v7
	s_delay_alu instid0(VALU_DEP_1) | instskip(NEXT) | instid1(VALU_DEP_1)
	v_subrev_nc_u32_e32 v8, 29, v7
	v_dual_lshlrev_b32 v1, v8, v1 :: v_dual_sub_nc_u32 v7, 30, v7
	s_delay_alu instid0(VALU_DEP_1) | instskip(NEXT) | instid1(VALU_DEP_1)
	v_dual_lshlrev_b32 v3, 24, v3 :: v_dual_bitop2_b32 v1, 3, v1 bitop3:0x40
	v_dual_cndmask_b32 v1, v6, v1, vcc_lo :: v_dual_cndmask_b32 v7, v9, v7, vcc_lo
	s_delay_alu instid0(VALU_DEP_2) | instskip(NEXT) | instid1(VALU_DEP_2)
	v_and_b32_e32 v3, 0x80000000, v3
	v_lshlrev_b32_e32 v1, 21, v1
	s_delay_alu instid0(VALU_DEP_3) | instskip(NEXT) | instid1(VALU_DEP_1)
	v_lshl_add_u32 v6, v7, 23, 0x37800000
	v_or3_b32 v1, v3, v6, v1
.LBB242_1012:
	s_or_b32 exec_lo, exec_lo, s17
	s_delay_alu instid0(VALU_DEP_1) | instskip(SKIP_1) | instid1(VALU_DEP_1)
	v_and_b32_e32 v6, 0x7fffffff, v1
	s_mov_b32 s2, exec_lo
                                        ; implicit-def: $vgpr3
	v_cmpx_gt_u32_e32 0x47800000, v6
	s_xor_b32 s2, exec_lo, s2
	s_cbranch_execz .LBB242_1018
; %bb.1013:
	s_mov_b32 s17, exec_lo
                                        ; implicit-def: $vgpr3
	v_cmpx_lt_u32_e32 0x387fffff, v6
	s_xor_b32 s17, exec_lo, s17
; %bb.1014:
	v_bfe_u32 v3, v1, 21, 1
	s_delay_alu instid0(VALU_DEP_1) | instskip(NEXT) | instid1(VALU_DEP_1)
	v_add3_u32 v3, v1, v3, 0x80fffff
	v_lshrrev_b32_e32 v3, 21, v3
; %bb.1015:
	s_and_not1_saveexec_b32 s17, s17
; %bb.1016:
	v_add_f32_e64 v3, 0x43000000, |v1|
; %bb.1017:
	s_or_b32 exec_lo, exec_lo, s17
                                        ; implicit-def: $vgpr6
.LBB242_1018:
	s_and_not1_saveexec_b32 s2, s2
; %bb.1019:
	v_mov_b32_e32 v3, 0x7f
	v_cmp_lt_u32_e32 vcc_lo, 0x7f800000, v6
	s_delay_alu instid0(VALU_DEP_2)
	v_cndmask_b32_e32 v3, 0x7c, v3, vcc_lo
; %bb.1020:
	s_or_b32 exec_lo, exec_lo, s2
	v_lshrrev_b32_e32 v1, 24, v1
	s_mov_b32 s2, 0
	s_delay_alu instid0(VALU_DEP_1)
	v_and_or_b32 v1, 0x80, v1, v3
	s_branch .LBB242_1026
.LBB242_1021:
	s_mov_b32 s17, -1
                                        ; implicit-def: $vgpr1
	s_branch .LBB242_1040
.LBB242_1022:
	s_or_saveexec_b32 s17, s17
	v_mov_b32_e32 v1, 0x7f800001
	s_xor_b32 exec_lo, exec_lo, s17
	s_cbranch_execz .LBB242_989
.LBB242_1023:
	v_cmp_ne_u16_e32 vcc_lo, 0, v3
	v_mov_b32_e32 v1, 0
	s_and_not1_b32 s2, s2, exec_lo
	s_and_b32 s28, vcc_lo, exec_lo
	s_delay_alu instid0(SALU_CYCLE_1)
	s_or_b32 s2, s2, s28
	s_or_b32 exec_lo, exec_lo, s17
	s_and_saveexec_b32 s17, s2
	s_cbranch_execnz .LBB242_990
	s_branch .LBB242_991
.LBB242_1024:
	s_mov_b32 s2, -1
                                        ; implicit-def: $vgpr1
	s_branch .LBB242_1037
.LBB242_1025:
	s_mov_b32 s2, -1
                                        ; implicit-def: $vgpr1
.LBB242_1026:
	s_delay_alu instid0(SALU_CYCLE_1)
	s_and_b32 vcc_lo, exec_lo, s2
	s_cbranch_vccz .LBB242_1036
; %bb.1027:
	s_wait_loadcnt 0x0
	global_load_u8 v1, v[4:5], off
	s_mov_b32 s2, exec_lo
	s_wait_loadcnt 0x0
	v_lshlrev_b32_e32 v1, 24, v1
	s_delay_alu instid0(VALU_DEP_1) | instskip(NEXT) | instid1(VALU_DEP_1)
	v_and_b32_e32 v3, 0x7f000000, v1
	v_clz_i32_u32_e32 v6, v3
	v_cmp_ne_u32_e32 vcc_lo, 0, v3
	v_add_nc_u32_e32 v8, 0x1000000, v3
	s_delay_alu instid0(VALU_DEP_3) | instskip(NEXT) | instid1(VALU_DEP_1)
	v_min_u32_e32 v6, 32, v6
	v_sub_nc_u32_e64 v6, v6, 4 clamp
	s_delay_alu instid0(VALU_DEP_1) | instskip(NEXT) | instid1(VALU_DEP_1)
	v_lshlrev_b32_e32 v7, v6, v3
                                        ; implicit-def: $vgpr3
	v_dual_lshlrev_b32 v6, 23, v6 :: v_dual_lshrrev_b32 v7, 4, v7
	s_delay_alu instid0(VALU_DEP_1) | instskip(NEXT) | instid1(VALU_DEP_1)
	v_dual_sub_nc_u32 v6, v7, v6 :: v_dual_ashrrev_i32 v7, 8, v8
	v_add_nc_u32_e32 v6, 0x3c000000, v6
	s_delay_alu instid0(VALU_DEP_1) | instskip(NEXT) | instid1(VALU_DEP_1)
	v_and_or_b32 v6, 0x7f800000, v7, v6
	v_cndmask_b32_e32 v7, 0, v6, vcc_lo
	s_delay_alu instid0(VALU_DEP_1) | instskip(NEXT) | instid1(VALU_DEP_1)
	v_and_or_b32 v1, 0x80000000, v1, v7
	v_and_b32_e32 v6, 0x7fffffff, v1
	s_wait_xcnt 0x0
	s_delay_alu instid0(VALU_DEP_1)
	v_cmpx_gt_u32_e32 0x47800000, v6
	s_xor_b32 s2, exec_lo, s2
	s_cbranch_execz .LBB242_1033
; %bb.1028:
	s_mov_b32 s17, exec_lo
                                        ; implicit-def: $vgpr3
	v_cmpx_lt_u32_e32 0x387fffff, v6
	s_xor_b32 s17, exec_lo, s17
; %bb.1029:
	v_bfe_u32 v3, v7, 21, 1
	s_delay_alu instid0(VALU_DEP_1) | instskip(NEXT) | instid1(VALU_DEP_1)
	v_add3_u32 v3, v1, v3, 0x80fffff
	v_lshrrev_b32_e32 v3, 21, v3
; %bb.1030:
	s_and_not1_saveexec_b32 s17, s17
; %bb.1031:
	v_add_f32_e64 v3, 0x43000000, |v1|
; %bb.1032:
	s_or_b32 exec_lo, exec_lo, s17
                                        ; implicit-def: $vgpr6
.LBB242_1033:
	s_and_not1_saveexec_b32 s2, s2
; %bb.1034:
	v_mov_b32_e32 v3, 0x7f
	v_cmp_lt_u32_e32 vcc_lo, 0x7f800000, v6
	s_delay_alu instid0(VALU_DEP_2)
	v_cndmask_b32_e32 v3, 0x7c, v3, vcc_lo
; %bb.1035:
	s_or_b32 exec_lo, exec_lo, s2
	v_lshrrev_b32_e32 v1, 24, v1
	s_delay_alu instid0(VALU_DEP_1)
	v_and_or_b32 v1, 0x80, v1, v3
.LBB242_1036:
	s_mov_b32 s2, 0
.LBB242_1037:
	s_delay_alu instid0(SALU_CYCLE_1)
	s_and_not1_b32 vcc_lo, exec_lo, s2
	s_cbranch_vccnz .LBB242_1039
; %bb.1038:
	s_wait_loadcnt 0x0
	global_load_u8 v1, v[4:5], off
.LBB242_1039:
	s_mov_b32 s17, 0
	s_mov_b32 s2, -1
.LBB242_1040:
	s_and_not1_b32 vcc_lo, exec_lo, s17
	s_cbranch_vccnz .LBB242_1068
; %bb.1041:
	s_cmp_gt_i32 s1, 14
	s_cbranch_scc0 .LBB242_1052
; %bb.1042:
	s_cmp_eq_u32 s1, 15
	s_cbranch_scc0 .LBB242_1055
; %bb.1043:
	s_wait_loadcnt 0x0
	global_load_u16 v1, v[4:5], off
	s_mov_b32 s2, exec_lo
                                        ; implicit-def: $vgpr3
	s_wait_loadcnt 0x0
	v_lshlrev_b32_e32 v6, 16, v1
	s_delay_alu instid0(VALU_DEP_1) | instskip(SKIP_1) | instid1(VALU_DEP_1)
	v_and_b32_e32 v7, 0x7fffffff, v6
	s_wait_xcnt 0x0
	v_cmpx_gt_u32_e32 0x47800000, v7
	s_xor_b32 s2, exec_lo, s2
	s_cbranch_execz .LBB242_1049
; %bb.1044:
	s_mov_b32 s16, exec_lo
                                        ; implicit-def: $vgpr3
	v_cmpx_lt_u32_e32 0x387fffff, v7
	s_xor_b32 s16, exec_lo, s16
; %bb.1045:
	v_bfe_u32 v3, v1, 5, 1
	s_delay_alu instid0(VALU_DEP_1) | instskip(NEXT) | instid1(VALU_DEP_1)
	v_add3_u32 v3, v6, v3, 0x80fffff
                                        ; implicit-def: $vgpr6
	v_lshrrev_b32_e32 v3, 21, v3
; %bb.1046:
	s_and_not1_saveexec_b32 s16, s16
; %bb.1047:
	v_add_f32_e64 v3, 0x43000000, |v6|
; %bb.1048:
	s_or_b32 exec_lo, exec_lo, s16
                                        ; implicit-def: $vgpr7
.LBB242_1049:
	s_and_not1_saveexec_b32 s2, s2
; %bb.1050:
	v_mov_b32_e32 v3, 0x7f
	v_cmp_lt_u32_e32 vcc_lo, 0x7f800000, v7
	s_delay_alu instid0(VALU_DEP_2)
	v_cndmask_b32_e32 v3, 0x7c, v3, vcc_lo
; %bb.1051:
	s_or_b32 exec_lo, exec_lo, s2
	v_lshrrev_b32_e32 v1, 8, v1
	s_mov_b32 s2, -1
	s_mov_b32 s16, 0
	s_mov_b32 s17, 0
	s_delay_alu instid0(VALU_DEP_1)
	v_and_or_b32 v1, 0x80, v1, v3
	s_branch .LBB242_1056
.LBB242_1052:
	s_mov_b32 s17, -1
                                        ; implicit-def: $vgpr1
	s_branch .LBB242_1056
.LBB242_1053:
	s_or_saveexec_b32 s17, s17
	v_mov_b32_e32 v1, 0x7f800001
	s_xor_b32 exec_lo, exec_lo, s17
	s_cbranch_execz .LBB242_1010
.LBB242_1054:
	v_cmp_ne_u16_e32 vcc_lo, 0, v3
	v_mov_b32_e32 v1, 0
	s_and_not1_b32 s2, s2, exec_lo
	s_and_b32 s28, vcc_lo, exec_lo
	s_delay_alu instid0(SALU_CYCLE_1)
	s_or_b32 s2, s2, s28
	s_or_b32 exec_lo, exec_lo, s17
	s_and_saveexec_b32 s17, s2
	s_cbranch_execnz .LBB242_1011
	s_branch .LBB242_1012
.LBB242_1055:
	s_mov_b32 s16, -1
                                        ; implicit-def: $vgpr1
	s_mov_b32 s17, 0
.LBB242_1056:
	s_delay_alu instid0(SALU_CYCLE_1)
	s_and_b32 vcc_lo, exec_lo, s17
	s_cbranch_vccz .LBB242_1068
; %bb.1057:
	s_cmp_eq_u32 s1, 11
	s_cbranch_scc0 .LBB242_1067
; %bb.1058:
	s_wait_loadcnt 0x0
	global_load_u8 v1, v[4:5], off
	s_mov_b32 s2, exec_lo
	s_wait_loadcnt 0x0
	v_cmp_ne_u16_e32 vcc_lo, 0, v1
                                        ; implicit-def: $vgpr1
	v_cndmask_b32_e64 v3, 0, 1.0, vcc_lo
	s_wait_xcnt 0x0
	s_delay_alu instid0(VALU_DEP_1)
	v_cmpx_gt_u32_e32 0x47800000, v3
	s_xor_b32 s2, exec_lo, s2
	s_cbranch_execz .LBB242_1064
; %bb.1059:
	s_mov_b32 s16, exec_lo
                                        ; implicit-def: $vgpr1
	v_cmpx_lt_u32_e32 0x387fffff, v3
	s_xor_b32 s16, exec_lo, s16
; %bb.1060:
	v_bfe_u32 v1, v3, 21, 1
	s_delay_alu instid0(VALU_DEP_1) | instskip(NEXT) | instid1(VALU_DEP_1)
	v_add3_u32 v1, v3, v1, 0x80fffff
                                        ; implicit-def: $vgpr3
	v_lshrrev_b32_e32 v1, 21, v1
; %bb.1061:
	s_and_not1_saveexec_b32 s16, s16
; %bb.1062:
	v_add_f32_e32 v1, 0x43000000, v3
; %bb.1063:
	s_or_b32 exec_lo, exec_lo, s16
                                        ; implicit-def: $vgpr3
.LBB242_1064:
	s_and_not1_saveexec_b32 s2, s2
; %bb.1065:
	v_mov_b32_e32 v1, 0x7f
	v_cmp_lt_u32_e32 vcc_lo, 0x7f800000, v3
	s_delay_alu instid0(VALU_DEP_2)
	v_cndmask_b32_e32 v1, 0x7c, v1, vcc_lo
; %bb.1066:
	s_or_b32 exec_lo, exec_lo, s2
	s_mov_b32 s2, -1
	s_mov_b32 s16, 0
	s_branch .LBB242_1068
.LBB242_1067:
	s_mov_b32 s16, -1
                                        ; implicit-def: $vgpr1
.LBB242_1068:
	s_mov_b32 s17, 0
.LBB242_1069:
	s_delay_alu instid0(SALU_CYCLE_1)
	s_and_b32 vcc_lo, exec_lo, s17
	s_cbranch_vccz .LBB242_1206
; %bb.1070:
	s_cmp_lt_i32 s1, 5
	s_cbranch_scc1 .LBB242_1083
; %bb.1071:
	s_cmp_lt_i32 s1, 8
	s_cbranch_scc1 .LBB242_1084
	;; [unrolled: 3-line block ×3, first 2 shown]
; %bb.1073:
	s_cmp_gt_i32 s1, 9
	s_cbranch_scc0 .LBB242_1086
; %bb.1074:
	global_load_b64 v[6:7], v[4:5], off
	s_mov_b32 s2, exec_lo
                                        ; implicit-def: $vgpr3
	s_wait_loadcnt 0x0
	v_cvt_f32_f64_e32 v1, v[6:7]
	s_delay_alu instid0(VALU_DEP_1) | instskip(SKIP_1) | instid1(VALU_DEP_1)
	v_and_b32_e32 v6, 0x7fffffff, v1
	s_wait_xcnt 0x0
	v_cmpx_gt_u32_e32 0x47800000, v6
	s_xor_b32 s2, exec_lo, s2
	s_cbranch_execz .LBB242_1080
; %bb.1075:
	s_mov_b32 s17, exec_lo
                                        ; implicit-def: $vgpr3
	v_cmpx_lt_u32_e32 0x387fffff, v6
	s_xor_b32 s17, exec_lo, s17
; %bb.1076:
	v_bfe_u32 v3, v1, 21, 1
	s_delay_alu instid0(VALU_DEP_1) | instskip(NEXT) | instid1(VALU_DEP_1)
	v_add3_u32 v3, v1, v3, 0x80fffff
	v_lshrrev_b32_e32 v3, 21, v3
; %bb.1077:
	s_and_not1_saveexec_b32 s17, s17
; %bb.1078:
	v_add_f32_e64 v3, 0x43000000, |v1|
; %bb.1079:
	s_or_b32 exec_lo, exec_lo, s17
                                        ; implicit-def: $vgpr6
.LBB242_1080:
	s_and_not1_saveexec_b32 s2, s2
; %bb.1081:
	v_mov_b32_e32 v3, 0x7f
	v_cmp_lt_u32_e32 vcc_lo, 0x7f800000, v6
	s_delay_alu instid0(VALU_DEP_2)
	v_cndmask_b32_e32 v3, 0x7c, v3, vcc_lo
; %bb.1082:
	s_or_b32 exec_lo, exec_lo, s2
	v_lshrrev_b32_e32 v1, 24, v1
	s_mov_b32 s2, 0
	s_delay_alu instid0(VALU_DEP_1)
	v_and_or_b32 v1, 0x80, v1, v3
	s_branch .LBB242_1087
.LBB242_1083:
	s_mov_b32 s2, -1
                                        ; implicit-def: $vgpr1
	s_branch .LBB242_1145
.LBB242_1084:
	s_mov_b32 s2, -1
                                        ; implicit-def: $vgpr1
	s_branch .LBB242_1109
.LBB242_1085:
	s_mov_b32 s2, -1
                                        ; implicit-def: $vgpr1
	s_branch .LBB242_1098
.LBB242_1086:
	s_mov_b32 s2, -1
                                        ; implicit-def: $vgpr1
.LBB242_1087:
	s_delay_alu instid0(SALU_CYCLE_1)
	s_and_b32 vcc_lo, exec_lo, s2
	s_cbranch_vccz .LBB242_1097
; %bb.1088:
	s_wait_loadcnt 0x0
	global_load_b32 v1, v[4:5], off
	s_mov_b32 s2, exec_lo
                                        ; implicit-def: $vgpr3
	s_wait_loadcnt 0x0
	v_and_b32_e32 v6, 0x7fffffff, v1
	s_wait_xcnt 0x0
	s_delay_alu instid0(VALU_DEP_1)
	v_cmpx_gt_u32_e32 0x47800000, v6
	s_xor_b32 s2, exec_lo, s2
	s_cbranch_execz .LBB242_1094
; %bb.1089:
	s_mov_b32 s17, exec_lo
                                        ; implicit-def: $vgpr3
	v_cmpx_lt_u32_e32 0x387fffff, v6
	s_xor_b32 s17, exec_lo, s17
; %bb.1090:
	v_bfe_u32 v3, v1, 21, 1
	s_delay_alu instid0(VALU_DEP_1) | instskip(NEXT) | instid1(VALU_DEP_1)
	v_add3_u32 v3, v1, v3, 0x80fffff
	v_lshrrev_b32_e32 v3, 21, v3
; %bb.1091:
	s_and_not1_saveexec_b32 s17, s17
; %bb.1092:
	v_add_f32_e64 v3, 0x43000000, |v1|
; %bb.1093:
	s_or_b32 exec_lo, exec_lo, s17
                                        ; implicit-def: $vgpr6
.LBB242_1094:
	s_and_not1_saveexec_b32 s2, s2
; %bb.1095:
	v_mov_b32_e32 v3, 0x7f
	v_cmp_lt_u32_e32 vcc_lo, 0x7f800000, v6
	s_delay_alu instid0(VALU_DEP_2)
	v_cndmask_b32_e32 v3, 0x7c, v3, vcc_lo
; %bb.1096:
	s_or_b32 exec_lo, exec_lo, s2
	v_lshrrev_b32_e32 v1, 24, v1
	s_delay_alu instid0(VALU_DEP_1)
	v_and_or_b32 v1, 0x80, v1, v3
.LBB242_1097:
	s_mov_b32 s2, 0
.LBB242_1098:
	s_delay_alu instid0(SALU_CYCLE_1)
	s_and_not1_b32 vcc_lo, exec_lo, s2
	s_cbranch_vccnz .LBB242_1108
; %bb.1099:
	s_wait_loadcnt 0x0
	global_load_b32 v1, v[4:5], off
	s_mov_b32 s2, exec_lo
                                        ; implicit-def: $vgpr3
	s_wait_loadcnt 0x0
	v_cvt_f32_f16_e32 v1, v1
	s_delay_alu instid0(VALU_DEP_1) | instskip(SKIP_1) | instid1(VALU_DEP_1)
	v_and_b32_e32 v6, 0x7fffffff, v1
	s_wait_xcnt 0x0
	v_cmpx_gt_u32_e32 0x47800000, v6
	s_xor_b32 s2, exec_lo, s2
	s_cbranch_execz .LBB242_1105
; %bb.1100:
	s_mov_b32 s17, exec_lo
                                        ; implicit-def: $vgpr3
	v_cmpx_lt_u32_e32 0x387fffff, v6
	s_xor_b32 s17, exec_lo, s17
; %bb.1101:
	v_bfe_u32 v3, v1, 21, 1
	s_delay_alu instid0(VALU_DEP_1) | instskip(NEXT) | instid1(VALU_DEP_1)
	v_add3_u32 v3, v1, v3, 0x80fffff
	v_lshrrev_b32_e32 v3, 21, v3
; %bb.1102:
	s_and_not1_saveexec_b32 s17, s17
; %bb.1103:
	v_add_f32_e64 v3, 0x43000000, |v1|
; %bb.1104:
	s_or_b32 exec_lo, exec_lo, s17
                                        ; implicit-def: $vgpr6
.LBB242_1105:
	s_and_not1_saveexec_b32 s2, s2
; %bb.1106:
	v_mov_b32_e32 v3, 0x7f
	v_cmp_lt_u32_e32 vcc_lo, 0x7f800000, v6
	s_delay_alu instid0(VALU_DEP_2)
	v_cndmask_b32_e32 v3, 0x7c, v3, vcc_lo
; %bb.1107:
	s_or_b32 exec_lo, exec_lo, s2
	v_lshrrev_b32_e32 v1, 24, v1
	s_delay_alu instid0(VALU_DEP_1)
	v_and_or_b32 v1, 0x80, v1, v3
.LBB242_1108:
	s_mov_b32 s2, 0
.LBB242_1109:
	s_delay_alu instid0(SALU_CYCLE_1)
	s_and_not1_b32 vcc_lo, exec_lo, s2
	s_cbranch_vccnz .LBB242_1144
; %bb.1110:
	s_cmp_lt_i32 s1, 6
	s_cbranch_scc1 .LBB242_1121
; %bb.1111:
	s_cmp_gt_i32 s1, 6
	s_cbranch_scc0 .LBB242_1122
; %bb.1112:
	global_load_b64 v[6:7], v[4:5], off
	s_mov_b32 s2, exec_lo
                                        ; implicit-def: $vgpr3
	s_wait_loadcnt 0x0
	v_cvt_f32_f64_e32 v1, v[6:7]
	s_delay_alu instid0(VALU_DEP_1) | instskip(SKIP_1) | instid1(VALU_DEP_1)
	v_and_b32_e32 v6, 0x7fffffff, v1
	s_wait_xcnt 0x0
	v_cmpx_gt_u32_e32 0x47800000, v6
	s_xor_b32 s2, exec_lo, s2
	s_cbranch_execz .LBB242_1118
; %bb.1113:
	s_mov_b32 s17, exec_lo
                                        ; implicit-def: $vgpr3
	v_cmpx_lt_u32_e32 0x387fffff, v6
	s_xor_b32 s17, exec_lo, s17
; %bb.1114:
	v_bfe_u32 v3, v1, 21, 1
	s_delay_alu instid0(VALU_DEP_1) | instskip(NEXT) | instid1(VALU_DEP_1)
	v_add3_u32 v3, v1, v3, 0x80fffff
	v_lshrrev_b32_e32 v3, 21, v3
; %bb.1115:
	s_and_not1_saveexec_b32 s17, s17
; %bb.1116:
	v_add_f32_e64 v3, 0x43000000, |v1|
; %bb.1117:
	s_or_b32 exec_lo, exec_lo, s17
                                        ; implicit-def: $vgpr6
.LBB242_1118:
	s_and_not1_saveexec_b32 s2, s2
; %bb.1119:
	v_mov_b32_e32 v3, 0x7f
	v_cmp_lt_u32_e32 vcc_lo, 0x7f800000, v6
	s_delay_alu instid0(VALU_DEP_2)
	v_cndmask_b32_e32 v3, 0x7c, v3, vcc_lo
; %bb.1120:
	s_or_b32 exec_lo, exec_lo, s2
	v_lshrrev_b32_e32 v1, 24, v1
	s_mov_b32 s2, 0
	s_delay_alu instid0(VALU_DEP_1)
	v_and_or_b32 v1, 0x80, v1, v3
	s_branch .LBB242_1123
.LBB242_1121:
	s_mov_b32 s2, -1
                                        ; implicit-def: $vgpr1
	s_branch .LBB242_1134
.LBB242_1122:
	s_mov_b32 s2, -1
                                        ; implicit-def: $vgpr1
.LBB242_1123:
	s_delay_alu instid0(SALU_CYCLE_1)
	s_and_b32 vcc_lo, exec_lo, s2
	s_cbranch_vccz .LBB242_1133
; %bb.1124:
	s_wait_loadcnt 0x0
	global_load_b32 v1, v[4:5], off
	s_mov_b32 s2, exec_lo
                                        ; implicit-def: $vgpr3
	s_wait_loadcnt 0x0
	v_and_b32_e32 v6, 0x7fffffff, v1
	s_wait_xcnt 0x0
	s_delay_alu instid0(VALU_DEP_1)
	v_cmpx_gt_u32_e32 0x47800000, v6
	s_xor_b32 s2, exec_lo, s2
	s_cbranch_execz .LBB242_1130
; %bb.1125:
	s_mov_b32 s17, exec_lo
                                        ; implicit-def: $vgpr3
	v_cmpx_lt_u32_e32 0x387fffff, v6
	s_xor_b32 s17, exec_lo, s17
; %bb.1126:
	v_bfe_u32 v3, v1, 21, 1
	s_delay_alu instid0(VALU_DEP_1) | instskip(NEXT) | instid1(VALU_DEP_1)
	v_add3_u32 v3, v1, v3, 0x80fffff
	v_lshrrev_b32_e32 v3, 21, v3
; %bb.1127:
	s_and_not1_saveexec_b32 s17, s17
; %bb.1128:
	v_add_f32_e64 v3, 0x43000000, |v1|
; %bb.1129:
	s_or_b32 exec_lo, exec_lo, s17
                                        ; implicit-def: $vgpr6
.LBB242_1130:
	s_and_not1_saveexec_b32 s2, s2
; %bb.1131:
	v_mov_b32_e32 v3, 0x7f
	v_cmp_lt_u32_e32 vcc_lo, 0x7f800000, v6
	s_delay_alu instid0(VALU_DEP_2)
	v_cndmask_b32_e32 v3, 0x7c, v3, vcc_lo
; %bb.1132:
	s_or_b32 exec_lo, exec_lo, s2
	v_lshrrev_b32_e32 v1, 24, v1
	s_delay_alu instid0(VALU_DEP_1)
	v_and_or_b32 v1, 0x80, v1, v3
.LBB242_1133:
	s_mov_b32 s2, 0
.LBB242_1134:
	s_delay_alu instid0(SALU_CYCLE_1)
	s_and_not1_b32 vcc_lo, exec_lo, s2
	s_cbranch_vccnz .LBB242_1144
; %bb.1135:
	s_wait_loadcnt 0x0
	global_load_u16 v1, v[4:5], off
	s_mov_b32 s2, exec_lo
                                        ; implicit-def: $vgpr3
	s_wait_loadcnt 0x0
	v_cvt_f32_f16_e32 v1, v1
	s_delay_alu instid0(VALU_DEP_1) | instskip(SKIP_1) | instid1(VALU_DEP_1)
	v_and_b32_e32 v6, 0x7fffffff, v1
	s_wait_xcnt 0x0
	v_cmpx_gt_u32_e32 0x47800000, v6
	s_xor_b32 s2, exec_lo, s2
	s_cbranch_execz .LBB242_1141
; %bb.1136:
	s_mov_b32 s17, exec_lo
                                        ; implicit-def: $vgpr3
	v_cmpx_lt_u32_e32 0x387fffff, v6
	s_xor_b32 s17, exec_lo, s17
; %bb.1137:
	v_bfe_u32 v3, v1, 21, 1
	s_delay_alu instid0(VALU_DEP_1) | instskip(NEXT) | instid1(VALU_DEP_1)
	v_add3_u32 v3, v1, v3, 0x80fffff
	v_lshrrev_b32_e32 v3, 21, v3
; %bb.1138:
	s_and_not1_saveexec_b32 s17, s17
; %bb.1139:
	v_add_f32_e64 v3, 0x43000000, |v1|
; %bb.1140:
	s_or_b32 exec_lo, exec_lo, s17
                                        ; implicit-def: $vgpr6
.LBB242_1141:
	s_and_not1_saveexec_b32 s2, s2
; %bb.1142:
	v_mov_b32_e32 v3, 0x7f
	v_cmp_lt_u32_e32 vcc_lo, 0x7f800000, v6
	s_delay_alu instid0(VALU_DEP_2)
	v_cndmask_b32_e32 v3, 0x7c, v3, vcc_lo
; %bb.1143:
	s_or_b32 exec_lo, exec_lo, s2
	v_lshrrev_b32_e32 v1, 24, v1
	s_delay_alu instid0(VALU_DEP_1)
	v_and_or_b32 v1, 0x80, v1, v3
.LBB242_1144:
	s_mov_b32 s2, 0
.LBB242_1145:
	s_delay_alu instid0(SALU_CYCLE_1)
	s_and_not1_b32 vcc_lo, exec_lo, s2
	s_cbranch_vccnz .LBB242_1205
; %bb.1146:
	s_cmp_lt_i32 s1, 2
	s_cbranch_scc1 .LBB242_1158
; %bb.1147:
	s_cmp_lt_i32 s1, 3
	s_cbranch_scc1 .LBB242_1159
; %bb.1148:
	s_cmp_gt_i32 s1, 3
	s_cbranch_scc0 .LBB242_1160
; %bb.1149:
	global_load_b64 v[6:7], v[4:5], off
	s_mov_b32 s2, exec_lo
	s_wait_loadcnt 0x0
	v_xor_b32_e32 v1, v6, v7
	v_cls_i32_e32 v3, v7
	s_delay_alu instid0(VALU_DEP_2) | instskip(NEXT) | instid1(VALU_DEP_1)
	v_ashrrev_i32_e32 v1, 31, v1
	v_add_nc_u32_e32 v1, 32, v1
	s_delay_alu instid0(VALU_DEP_1) | instskip(NEXT) | instid1(VALU_DEP_1)
	v_add_min_u32_e64 v1, v3, -1, v1
	v_lshlrev_b64_e32 v[6:7], v1, v[6:7]
	v_sub_nc_u32_e32 v1, 32, v1
	s_delay_alu instid0(VALU_DEP_2) | instskip(NEXT) | instid1(VALU_DEP_1)
	v_min_u32_e32 v3, 1, v6
	v_or_b32_e32 v3, v7, v3
	s_delay_alu instid0(VALU_DEP_1) | instskip(NEXT) | instid1(VALU_DEP_1)
	v_cvt_f32_i32_e32 v3, v3
	v_ldexp_f32 v1, v3, v1
                                        ; implicit-def: $vgpr3
	s_delay_alu instid0(VALU_DEP_1) | instskip(SKIP_1) | instid1(VALU_DEP_1)
	v_and_b32_e32 v6, 0x7fffffff, v1
	s_wait_xcnt 0x0
	v_cmpx_gt_u32_e32 0x47800000, v6
	s_xor_b32 s2, exec_lo, s2
	s_cbranch_execz .LBB242_1155
; %bb.1150:
	s_mov_b32 s17, exec_lo
                                        ; implicit-def: $vgpr3
	v_cmpx_lt_u32_e32 0x387fffff, v6
	s_xor_b32 s17, exec_lo, s17
; %bb.1151:
	v_bfe_u32 v3, v1, 21, 1
	s_delay_alu instid0(VALU_DEP_1) | instskip(NEXT) | instid1(VALU_DEP_1)
	v_add3_u32 v3, v1, v3, 0x80fffff
	v_lshrrev_b32_e32 v3, 21, v3
; %bb.1152:
	s_and_not1_saveexec_b32 s17, s17
; %bb.1153:
	v_add_f32_e64 v3, 0x43000000, |v1|
; %bb.1154:
	s_or_b32 exec_lo, exec_lo, s17
                                        ; implicit-def: $vgpr6
.LBB242_1155:
	s_and_not1_saveexec_b32 s2, s2
; %bb.1156:
	v_mov_b32_e32 v3, 0x7f
	v_cmp_lt_u32_e32 vcc_lo, 0x7f800000, v6
	s_delay_alu instid0(VALU_DEP_2)
	v_cndmask_b32_e32 v3, 0x7c, v3, vcc_lo
; %bb.1157:
	s_or_b32 exec_lo, exec_lo, s2
	v_lshrrev_b32_e32 v1, 24, v1
	s_mov_b32 s2, 0
	s_delay_alu instid0(VALU_DEP_1)
	v_and_or_b32 v1, 0x80, v1, v3
	s_branch .LBB242_1161
.LBB242_1158:
	s_mov_b32 s2, -1
                                        ; implicit-def: $vgpr1
	s_branch .LBB242_1183
.LBB242_1159:
	s_mov_b32 s2, -1
                                        ; implicit-def: $vgpr1
	s_branch .LBB242_1172
.LBB242_1160:
	s_mov_b32 s2, -1
                                        ; implicit-def: $vgpr1
.LBB242_1161:
	s_delay_alu instid0(SALU_CYCLE_1)
	s_and_b32 vcc_lo, exec_lo, s2
	s_cbranch_vccz .LBB242_1171
; %bb.1162:
	s_wait_loadcnt 0x0
	global_load_b32 v1, v[4:5], off
	s_mov_b32 s2, exec_lo
                                        ; implicit-def: $vgpr3
	s_wait_loadcnt 0x0
	v_cvt_f32_i32_e32 v1, v1
	s_delay_alu instid0(VALU_DEP_1) | instskip(SKIP_1) | instid1(VALU_DEP_1)
	v_and_b32_e32 v6, 0x7fffffff, v1
	s_wait_xcnt 0x0
	v_cmpx_gt_u32_e32 0x47800000, v6
	s_xor_b32 s2, exec_lo, s2
	s_cbranch_execz .LBB242_1168
; %bb.1163:
	s_mov_b32 s17, exec_lo
                                        ; implicit-def: $vgpr3
	v_cmpx_lt_u32_e32 0x387fffff, v6
	s_xor_b32 s17, exec_lo, s17
; %bb.1164:
	v_bfe_u32 v3, v1, 21, 1
	s_delay_alu instid0(VALU_DEP_1) | instskip(NEXT) | instid1(VALU_DEP_1)
	v_add3_u32 v3, v1, v3, 0x80fffff
	v_lshrrev_b32_e32 v3, 21, v3
; %bb.1165:
	s_and_not1_saveexec_b32 s17, s17
; %bb.1166:
	v_add_f32_e64 v3, 0x43000000, |v1|
; %bb.1167:
	s_or_b32 exec_lo, exec_lo, s17
                                        ; implicit-def: $vgpr6
.LBB242_1168:
	s_and_not1_saveexec_b32 s2, s2
; %bb.1169:
	v_mov_b32_e32 v3, 0x7f
	v_cmp_lt_u32_e32 vcc_lo, 0x7f800000, v6
	s_delay_alu instid0(VALU_DEP_2)
	v_cndmask_b32_e32 v3, 0x7c, v3, vcc_lo
; %bb.1170:
	s_or_b32 exec_lo, exec_lo, s2
	v_lshrrev_b32_e32 v1, 24, v1
	s_delay_alu instid0(VALU_DEP_1)
	v_and_or_b32 v1, 0x80, v1, v3
.LBB242_1171:
	s_mov_b32 s2, 0
.LBB242_1172:
	s_delay_alu instid0(SALU_CYCLE_1)
	s_and_not1_b32 vcc_lo, exec_lo, s2
	s_cbranch_vccnz .LBB242_1182
; %bb.1173:
	s_wait_loadcnt 0x0
	global_load_i16 v1, v[4:5], off
	s_mov_b32 s2, exec_lo
                                        ; implicit-def: $vgpr3
	s_wait_loadcnt 0x0
	v_cvt_f32_i32_e32 v1, v1
	s_delay_alu instid0(VALU_DEP_1) | instskip(SKIP_1) | instid1(VALU_DEP_1)
	v_and_b32_e32 v6, 0x7fffffff, v1
	s_wait_xcnt 0x0
	v_cmpx_gt_u32_e32 0x47800000, v6
	s_xor_b32 s2, exec_lo, s2
	s_cbranch_execz .LBB242_1179
; %bb.1174:
	s_mov_b32 s17, exec_lo
                                        ; implicit-def: $vgpr3
	v_cmpx_lt_u32_e32 0x387fffff, v6
	s_xor_b32 s17, exec_lo, s17
; %bb.1175:
	v_bfe_u32 v3, v1, 21, 1
	s_delay_alu instid0(VALU_DEP_1) | instskip(NEXT) | instid1(VALU_DEP_1)
	v_add3_u32 v3, v1, v3, 0x80fffff
	v_lshrrev_b32_e32 v3, 21, v3
; %bb.1176:
	s_and_not1_saveexec_b32 s17, s17
; %bb.1177:
	v_add_f32_e64 v3, 0x43000000, |v1|
; %bb.1178:
	s_or_b32 exec_lo, exec_lo, s17
                                        ; implicit-def: $vgpr6
.LBB242_1179:
	s_and_not1_saveexec_b32 s2, s2
; %bb.1180:
	v_mov_b32_e32 v3, 0x7f
	v_cmp_lt_u32_e32 vcc_lo, 0x7f800000, v6
	s_delay_alu instid0(VALU_DEP_2)
	v_cndmask_b32_e32 v3, 0x7c, v3, vcc_lo
; %bb.1181:
	s_or_b32 exec_lo, exec_lo, s2
	v_lshrrev_b32_e32 v1, 24, v1
	s_delay_alu instid0(VALU_DEP_1)
	v_and_or_b32 v1, 0x80, v1, v3
.LBB242_1182:
	s_mov_b32 s2, 0
.LBB242_1183:
	s_delay_alu instid0(SALU_CYCLE_1)
	s_and_not1_b32 vcc_lo, exec_lo, s2
	s_cbranch_vccnz .LBB242_1205
; %bb.1184:
	s_cmp_gt_i32 s1, 0
	s_cbranch_scc0 .LBB242_1194
; %bb.1185:
	s_wait_loadcnt 0x0
	global_load_i8 v1, v[4:5], off
	s_mov_b32 s1, exec_lo
                                        ; implicit-def: $vgpr3
	s_wait_loadcnt 0x0
	v_cvt_f32_i32_e32 v1, v1
	s_delay_alu instid0(VALU_DEP_1) | instskip(SKIP_1) | instid1(VALU_DEP_1)
	v_and_b32_e32 v6, 0x7fffffff, v1
	s_wait_xcnt 0x0
	v_cmpx_gt_u32_e32 0x47800000, v6
	s_xor_b32 s1, exec_lo, s1
	s_cbranch_execz .LBB242_1191
; %bb.1186:
	s_mov_b32 s2, exec_lo
                                        ; implicit-def: $vgpr3
	v_cmpx_lt_u32_e32 0x387fffff, v6
	s_xor_b32 s2, exec_lo, s2
; %bb.1187:
	v_bfe_u32 v3, v1, 21, 1
	s_delay_alu instid0(VALU_DEP_1) | instskip(NEXT) | instid1(VALU_DEP_1)
	v_add3_u32 v3, v1, v3, 0x80fffff
	v_lshrrev_b32_e32 v3, 21, v3
; %bb.1188:
	s_and_not1_saveexec_b32 s2, s2
; %bb.1189:
	v_add_f32_e64 v3, 0x43000000, |v1|
; %bb.1190:
	s_or_b32 exec_lo, exec_lo, s2
                                        ; implicit-def: $vgpr6
.LBB242_1191:
	s_and_not1_saveexec_b32 s1, s1
; %bb.1192:
	v_mov_b32_e32 v3, 0x7f
	v_cmp_lt_u32_e32 vcc_lo, 0x7f800000, v6
	s_delay_alu instid0(VALU_DEP_2)
	v_cndmask_b32_e32 v3, 0x7c, v3, vcc_lo
; %bb.1193:
	s_or_b32 exec_lo, exec_lo, s1
	v_lshrrev_b32_e32 v1, 24, v1
	s_mov_b32 s1, 0
	s_delay_alu instid0(VALU_DEP_1)
	v_and_or_b32 v1, 0x80, v1, v3
	s_branch .LBB242_1195
.LBB242_1194:
	s_mov_b32 s1, -1
                                        ; implicit-def: $vgpr1
.LBB242_1195:
	s_delay_alu instid0(SALU_CYCLE_1)
	s_and_b32 vcc_lo, exec_lo, s1
	s_cbranch_vccz .LBB242_1205
; %bb.1196:
	s_wait_loadcnt 0x0
	global_load_u8 v1, v[4:5], off
	s_mov_b32 s1, exec_lo
	s_wait_loadcnt 0x0
	v_cvt_f32_ubyte0_e32 v3, v1
                                        ; implicit-def: $vgpr1
	s_wait_xcnt 0x0
	s_delay_alu instid0(VALU_DEP_1)
	v_cmpx_gt_u32_e32 0x47800000, v3
	s_xor_b32 s1, exec_lo, s1
	s_cbranch_execz .LBB242_1202
; %bb.1197:
	s_mov_b32 s2, exec_lo
                                        ; implicit-def: $vgpr1
	v_cmpx_lt_u32_e32 0x387fffff, v3
	s_xor_b32 s2, exec_lo, s2
; %bb.1198:
	v_bfe_u32 v1, v3, 21, 1
	s_delay_alu instid0(VALU_DEP_1) | instskip(NEXT) | instid1(VALU_DEP_1)
	v_add3_u32 v1, v3, v1, 0x80fffff
                                        ; implicit-def: $vgpr3
	v_lshrrev_b32_e32 v1, 21, v1
; %bb.1199:
	s_and_not1_saveexec_b32 s2, s2
; %bb.1200:
	v_add_f32_e32 v1, 0x43000000, v3
; %bb.1201:
	s_or_b32 exec_lo, exec_lo, s2
                                        ; implicit-def: $vgpr3
.LBB242_1202:
	s_and_not1_saveexec_b32 s1, s1
; %bb.1203:
	v_mov_b32_e32 v1, 0x7f
	v_cmp_lt_u32_e32 vcc_lo, 0x7f800000, v3
	s_delay_alu instid0(VALU_DEP_2)
	v_cndmask_b32_e32 v1, 0x7c, v1, vcc_lo
; %bb.1204:
	s_or_b32 exec_lo, exec_lo, s1
.LBB242_1205:
	s_mov_b32 s2, -1
.LBB242_1206:
	s_delay_alu instid0(SALU_CYCLE_1)
	s_and_not1_b32 vcc_lo, exec_lo, s2
	s_cbranch_vccnz .LBB242_1214
; %bb.1207:
	s_wait_loadcnt 0x0
	v_lshlrev_b32_e32 v3, 25, v1
	v_lshlrev_b16 v1, 8, v1
	s_and_b32 s17, s18, 0xff
	s_delay_alu instid0(SALU_CYCLE_1) | instskip(SKIP_1) | instid1(VALU_DEP_1)
	s_cmp_lt_i32 s17, 11
	s_wait_xcnt 0x0
	v_and_or_b32 v5, 0x7f00, v1, 0.5
	v_lshrrev_b32_e32 v4, 4, v3
	v_bfe_i32 v1, v1, 0, 16
	s_delay_alu instid0(VALU_DEP_3) | instskip(NEXT) | instid1(VALU_DEP_3)
	v_add_f32_e32 v5, -0.5, v5
	v_or_b32_e32 v4, 0x70000000, v4
	s_delay_alu instid0(VALU_DEP_1) | instskip(SKIP_1) | instid1(VALU_DEP_2)
	v_mul_f32_e32 v4, 0x7800000, v4
	v_cmp_gt_u32_e32 vcc_lo, 0x8000000, v3
	v_cndmask_b32_e32 v3, v4, v5, vcc_lo
	s_delay_alu instid0(VALU_DEP_1) | instskip(NEXT) | instid1(VALU_DEP_1)
	v_and_or_b32 v1, 0x80000000, v1, v3
	v_cmp_eq_f32_e32 vcc_lo, s9, v1
	v_cndmask_b32_e64 v3, 0, 1, vcc_lo
	v_cmp_neq_f32_e32 vcc_lo, s9, v1
	v_cndmask_b32_e64 v1, 0, 1, vcc_lo
	s_delay_alu instid0(VALU_DEP_1) | instskip(NEXT) | instid1(VALU_DEP_1)
	v_dual_cndmask_b32 v1, v1, v3, s0 :: v_dual_mov_b32 v3, 0
	v_and_b32_e32 v1, 1, v1
	s_delay_alu instid0(VALU_DEP_2) | instskip(NEXT) | instid1(VALU_DEP_2)
	v_add_nc_u64_e32 v[2:3], s[4:5], v[2:3]
	v_cmp_eq_u32_e64 s1, 1, v1
	s_cbranch_scc1 .LBB242_1215
; %bb.1208:
	s_and_b32 s28, 0xffff, s17
	s_delay_alu instid0(SALU_CYCLE_1)
	s_cmp_gt_i32 s28, 25
	s_cbranch_scc0 .LBB242_1216
; %bb.1209:
	s_cmp_gt_i32 s28, 28
	s_cbranch_scc0 .LBB242_1217
; %bb.1210:
	;; [unrolled: 3-line block ×4, first 2 shown]
	s_mov_b32 s30, 0
	s_mov_b32 s2, -1
	s_cmp_eq_u32 s28, 46
	s_mov_b32 s29, 0
	s_cbranch_scc0 .LBB242_1220
; %bb.1213:
	v_cndmask_b32_e64 v1, 0, 1.0, s1
	s_mov_b32 s29, -1
	s_mov_b32 s2, 0
	s_delay_alu instid0(VALU_DEP_1) | instskip(NEXT) | instid1(VALU_DEP_1)
	v_bfe_u32 v4, v1, 16, 1
	v_add3_u32 v1, v1, v4, 0x7fff
	s_delay_alu instid0(VALU_DEP_1)
	v_lshrrev_b32_e32 v1, 16, v1
	global_store_b32 v[2:3], v1, off
	s_branch .LBB242_1220
.LBB242_1214:
	s_mov_b32 s17, 0
	s_mov_b32 s2, s46
	s_branch .LBB242_1331
.LBB242_1215:
	s_mov_b32 s28, -1
	s_mov_b32 s29, 0
	s_mov_b32 s2, s46
	s_branch .LBB242_1289
.LBB242_1216:
	s_mov_b32 s30, -1
	s_mov_b32 s29, 0
	s_mov_b32 s2, s46
	s_branch .LBB242_1247
.LBB242_1217:
	s_mov_b32 s30, -1
	s_mov_b32 s29, 0
	s_mov_b32 s2, s46
	s_branch .LBB242_1230
.LBB242_1218:
	s_mov_b32 s30, -1
	s_mov_b32 s29, 0
	s_mov_b32 s2, s46
	s_branch .LBB242_1226
.LBB242_1219:
	s_mov_b32 s30, -1
	s_mov_b32 s29, 0
	s_mov_b32 s2, s46
.LBB242_1220:
	s_and_b32 vcc_lo, exec_lo, s30
	s_cbranch_vccz .LBB242_1225
; %bb.1221:
	s_cmp_eq_u32 s28, 44
	s_mov_b32 s2, -1
	s_cbranch_scc0 .LBB242_1225
; %bb.1222:
	v_cndmask_b32_e64 v5, 0, 1.0, s1
	s_mov_b32 s29, exec_lo
	s_wait_xcnt 0x0
	s_delay_alu instid0(VALU_DEP_1) | instskip(NEXT) | instid1(VALU_DEP_1)
	v_dual_mov_b32 v4, 0xff :: v_dual_lshrrev_b32 v1, 23, v5
	v_cmpx_ne_u32_e32 0xff, v1
; %bb.1223:
	v_and_b32_e32 v4, 0x400000, v5
	v_and_or_b32 v5, 0x3fffff, v5, v1
	s_delay_alu instid0(VALU_DEP_2) | instskip(NEXT) | instid1(VALU_DEP_2)
	v_cmp_ne_u32_e32 vcc_lo, 0, v4
	v_cmp_ne_u32_e64 s2, 0, v5
	s_and_b32 s2, vcc_lo, s2
	s_delay_alu instid0(SALU_CYCLE_1) | instskip(NEXT) | instid1(VALU_DEP_1)
	v_cndmask_b32_e64 v4, 0, 1, s2
	v_add_nc_u32_e32 v4, v1, v4
; %bb.1224:
	s_or_b32 exec_lo, exec_lo, s29
	s_mov_b32 s29, -1
	s_mov_b32 s2, 0
	global_store_b8 v[2:3], v4, off
.LBB242_1225:
	s_mov_b32 s30, 0
.LBB242_1226:
	s_delay_alu instid0(SALU_CYCLE_1)
	s_and_b32 vcc_lo, exec_lo, s30
	s_cbranch_vccz .LBB242_1229
; %bb.1227:
	s_cmp_eq_u32 s28, 29
	s_mov_b32 s2, -1
	s_cbranch_scc0 .LBB242_1229
; %bb.1228:
	s_mov_b32 s2, 0
	s_wait_xcnt 0x0
	v_cndmask_b32_e64 v4, 0, 1, s1
	v_mov_b32_e32 v5, s2
	s_mov_b32 s29, -1
	s_mov_b32 s30, 0
	global_store_b64 v[2:3], v[4:5], off
	s_branch .LBB242_1230
.LBB242_1229:
	s_mov_b32 s30, 0
.LBB242_1230:
	s_delay_alu instid0(SALU_CYCLE_1)
	s_and_b32 vcc_lo, exec_lo, s30
	s_cbranch_vccz .LBB242_1246
; %bb.1231:
	s_cmp_lt_i32 s28, 27
	s_mov_b32 s29, -1
	s_cbranch_scc1 .LBB242_1237
; %bb.1232:
	s_cmp_gt_i32 s28, 27
	s_cbranch_scc0 .LBB242_1234
; %bb.1233:
	s_wait_xcnt 0x0
	v_cndmask_b32_e64 v1, 0, 1, s1
	s_mov_b32 s29, 0
	global_store_b32 v[2:3], v1, off
.LBB242_1234:
	s_and_not1_b32 vcc_lo, exec_lo, s29
	s_cbranch_vccnz .LBB242_1236
; %bb.1235:
	s_wait_xcnt 0x0
	v_cndmask_b32_e64 v1, 0, 1, s1
	global_store_b16 v[2:3], v1, off
.LBB242_1236:
	s_mov_b32 s29, 0
.LBB242_1237:
	s_delay_alu instid0(SALU_CYCLE_1)
	s_and_not1_b32 vcc_lo, exec_lo, s29
	s_cbranch_vccnz .LBB242_1245
; %bb.1238:
	s_wait_xcnt 0x0
	v_cndmask_b32_e64 v4, 0, 1.0, s1
	v_mov_b32_e32 v5, 0x80
	s_mov_b32 s29, exec_lo
	s_delay_alu instid0(VALU_DEP_2)
	v_cmpx_gt_u32_e32 0x43800000, v4
	s_cbranch_execz .LBB242_1244
; %bb.1239:
	s_mov_b32 s30, 0
	s_mov_b32 s31, exec_lo
                                        ; implicit-def: $vgpr1
	v_cmpx_lt_u32_e32 0x3bffffff, v4
	s_xor_b32 s31, exec_lo, s31
	s_cbranch_execz .LBB242_1371
; %bb.1240:
	v_bfe_u32 v1, v4, 20, 1
	s_mov_b32 s30, exec_lo
	s_delay_alu instid0(VALU_DEP_1) | instskip(NEXT) | instid1(VALU_DEP_1)
	v_add3_u32 v1, v4, v1, 0x487ffff
                                        ; implicit-def: $vgpr4
	v_lshrrev_b32_e32 v1, 20, v1
	s_and_not1_saveexec_b32 s31, s31
	s_cbranch_execnz .LBB242_1372
.LBB242_1241:
	s_or_b32 exec_lo, exec_lo, s31
	v_mov_b32_e32 v5, 0
	s_and_saveexec_b32 s31, s30
.LBB242_1242:
	v_mov_b32_e32 v5, v1
.LBB242_1243:
	s_or_b32 exec_lo, exec_lo, s31
.LBB242_1244:
	s_delay_alu instid0(SALU_CYCLE_1)
	s_or_b32 exec_lo, exec_lo, s29
	global_store_b8 v[2:3], v5, off
.LBB242_1245:
	s_mov_b32 s29, -1
.LBB242_1246:
	s_mov_b32 s30, 0
.LBB242_1247:
	s_delay_alu instid0(SALU_CYCLE_1)
	s_and_b32 vcc_lo, exec_lo, s30
	s_cbranch_vccz .LBB242_1288
; %bb.1248:
	s_cmp_gt_i32 s28, 22
	s_mov_b32 s30, -1
	s_cbranch_scc0 .LBB242_1280
; %bb.1249:
	s_cmp_lt_i32 s28, 24
	s_mov_b32 s29, -1
	s_cbranch_scc1 .LBB242_1269
; %bb.1250:
	s_cmp_gt_i32 s28, 24
	s_cbranch_scc0 .LBB242_1258
; %bb.1251:
	s_wait_xcnt 0x0
	v_cndmask_b32_e64 v4, 0, 1.0, s1
	v_mov_b32_e32 v5, 0x80
	s_mov_b32 s29, exec_lo
	s_delay_alu instid0(VALU_DEP_2)
	v_cmpx_gt_u32_e32 0x47800000, v4
	s_cbranch_execz .LBB242_1257
; %bb.1252:
	s_mov_b32 s30, 0
	s_mov_b32 s31, exec_lo
                                        ; implicit-def: $vgpr1
	v_cmpx_lt_u32_e32 0x37ffffff, v4
	s_xor_b32 s31, exec_lo, s31
	s_cbranch_execz .LBB242_1374
; %bb.1253:
	v_bfe_u32 v1, v4, 21, 1
	s_mov_b32 s30, exec_lo
	s_delay_alu instid0(VALU_DEP_1) | instskip(NEXT) | instid1(VALU_DEP_1)
	v_add3_u32 v1, v4, v1, 0x88fffff
                                        ; implicit-def: $vgpr4
	v_lshrrev_b32_e32 v1, 21, v1
	s_and_not1_saveexec_b32 s31, s31
	s_cbranch_execnz .LBB242_1375
.LBB242_1254:
	s_or_b32 exec_lo, exec_lo, s31
	v_mov_b32_e32 v5, 0
	s_and_saveexec_b32 s31, s30
.LBB242_1255:
	v_mov_b32_e32 v5, v1
.LBB242_1256:
	s_or_b32 exec_lo, exec_lo, s31
.LBB242_1257:
	s_delay_alu instid0(SALU_CYCLE_1)
	s_or_b32 exec_lo, exec_lo, s29
	s_mov_b32 s29, 0
	global_store_b8 v[2:3], v5, off
.LBB242_1258:
	s_and_b32 vcc_lo, exec_lo, s29
	s_cbranch_vccz .LBB242_1268
; %bb.1259:
	s_wait_xcnt 0x0
	v_cndmask_b32_e64 v4, 0, 1.0, s1
	s_mov_b32 s29, exec_lo
                                        ; implicit-def: $vgpr1
	s_delay_alu instid0(VALU_DEP_1)
	v_cmpx_gt_u32_e32 0x43f00000, v4
	s_xor_b32 s29, exec_lo, s29
	s_cbranch_execz .LBB242_1265
; %bb.1260:
	s_mov_b32 s30, exec_lo
                                        ; implicit-def: $vgpr1
	v_cmpx_lt_u32_e32 0x3c7fffff, v4
	s_xor_b32 s30, exec_lo, s30
; %bb.1261:
	v_bfe_u32 v1, v4, 20, 1
	s_delay_alu instid0(VALU_DEP_1) | instskip(NEXT) | instid1(VALU_DEP_1)
	v_add3_u32 v1, v4, v1, 0x407ffff
	v_and_b32_e32 v4, 0xff00000, v1
	v_lshrrev_b32_e32 v1, 20, v1
	s_delay_alu instid0(VALU_DEP_2) | instskip(NEXT) | instid1(VALU_DEP_2)
	v_cmp_ne_u32_e32 vcc_lo, 0x7f00000, v4
                                        ; implicit-def: $vgpr4
	v_cndmask_b32_e32 v1, 0x7e, v1, vcc_lo
; %bb.1262:
	s_and_not1_saveexec_b32 s30, s30
; %bb.1263:
	v_add_f32_e32 v1, 0x46800000, v4
; %bb.1264:
	s_or_b32 exec_lo, exec_lo, s30
                                        ; implicit-def: $vgpr4
.LBB242_1265:
	s_and_not1_saveexec_b32 s29, s29
; %bb.1266:
	v_mov_b32_e32 v1, 0x7f
	v_cmp_lt_u32_e32 vcc_lo, 0x7f800000, v4
	s_delay_alu instid0(VALU_DEP_2)
	v_cndmask_b32_e32 v1, 0x7e, v1, vcc_lo
; %bb.1267:
	s_or_b32 exec_lo, exec_lo, s29
	global_store_b8 v[2:3], v1, off
.LBB242_1268:
	s_mov_b32 s29, 0
.LBB242_1269:
	s_delay_alu instid0(SALU_CYCLE_1)
	s_and_not1_b32 vcc_lo, exec_lo, s29
	s_cbranch_vccnz .LBB242_1279
; %bb.1270:
	s_wait_xcnt 0x0
	v_cndmask_b32_e64 v4, 0, 1.0, s1
	s_mov_b32 s29, exec_lo
                                        ; implicit-def: $vgpr1
	s_delay_alu instid0(VALU_DEP_1)
	v_cmpx_gt_u32_e32 0x47800000, v4
	s_xor_b32 s29, exec_lo, s29
	s_cbranch_execz .LBB242_1276
; %bb.1271:
	s_mov_b32 s30, exec_lo
                                        ; implicit-def: $vgpr1
	v_cmpx_lt_u32_e32 0x387fffff, v4
	s_xor_b32 s30, exec_lo, s30
; %bb.1272:
	v_bfe_u32 v1, v4, 21, 1
	s_delay_alu instid0(VALU_DEP_1) | instskip(NEXT) | instid1(VALU_DEP_1)
	v_add3_u32 v1, v4, v1, 0x80fffff
                                        ; implicit-def: $vgpr4
	v_lshrrev_b32_e32 v1, 21, v1
; %bb.1273:
	s_and_not1_saveexec_b32 s30, s30
; %bb.1274:
	v_add_f32_e32 v1, 0x43000000, v4
; %bb.1275:
	s_or_b32 exec_lo, exec_lo, s30
                                        ; implicit-def: $vgpr4
.LBB242_1276:
	s_and_not1_saveexec_b32 s29, s29
; %bb.1277:
	v_mov_b32_e32 v1, 0x7f
	v_cmp_lt_u32_e32 vcc_lo, 0x7f800000, v4
	s_delay_alu instid0(VALU_DEP_2)
	v_cndmask_b32_e32 v1, 0x7c, v1, vcc_lo
; %bb.1278:
	s_or_b32 exec_lo, exec_lo, s29
	global_store_b8 v[2:3], v1, off
.LBB242_1279:
	s_mov_b32 s30, 0
	s_mov_b32 s29, -1
.LBB242_1280:
	s_and_not1_b32 vcc_lo, exec_lo, s30
	s_cbranch_vccnz .LBB242_1288
; %bb.1281:
	s_cmp_gt_i32 s28, 14
	s_mov_b32 s30, -1
	s_cbranch_scc0 .LBB242_1285
; %bb.1282:
	s_cmp_eq_u32 s28, 15
	s_mov_b32 s2, -1
	s_cbranch_scc0 .LBB242_1284
; %bb.1283:
	s_wait_xcnt 0x0
	v_cndmask_b32_e64 v1, 0, 1.0, s1
	s_mov_b32 s29, -1
	s_mov_b32 s2, 0
	s_delay_alu instid0(VALU_DEP_1) | instskip(NEXT) | instid1(VALU_DEP_1)
	v_bfe_u32 v4, v1, 16, 1
	v_add3_u32 v1, v1, v4, 0x7fff
	global_store_d16_hi_b16 v[2:3], v1, off
.LBB242_1284:
	s_mov_b32 s30, 0
.LBB242_1285:
	s_delay_alu instid0(SALU_CYCLE_1)
	s_and_b32 vcc_lo, exec_lo, s30
	s_cbranch_vccz .LBB242_1288
; %bb.1286:
	s_cmp_eq_u32 s28, 11
	s_mov_b32 s2, -1
	s_cbranch_scc0 .LBB242_1288
; %bb.1287:
	s_wait_xcnt 0x0
	v_cndmask_b32_e64 v1, 0, 1, s1
	s_mov_b32 s29, -1
	s_mov_b32 s2, 0
	global_store_b8 v[2:3], v1, off
.LBB242_1288:
	s_mov_b32 s28, 0
.LBB242_1289:
	s_delay_alu instid0(SALU_CYCLE_1)
	s_and_b32 vcc_lo, exec_lo, s28
	s_cbranch_vccz .LBB242_1328
; %bb.1290:
	s_and_b32 s17, 0xffff, s17
	s_mov_b32 s28, -1
	s_cmp_lt_i32 s17, 5
	s_cbranch_scc1 .LBB242_1311
; %bb.1291:
	s_cmp_lt_i32 s17, 8
	s_cbranch_scc1 .LBB242_1301
; %bb.1292:
	;; [unrolled: 3-line block ×3, first 2 shown]
	s_cmp_gt_i32 s17, 9
	s_cbranch_scc0 .LBB242_1295
; %bb.1294:
	s_wait_xcnt 0x0
	v_cndmask_b32_e64 v1, 0, 1, s1
	v_mov_b32_e32 v6, 0
	s_mov_b32 s28, 0
	s_delay_alu instid0(VALU_DEP_2) | instskip(NEXT) | instid1(VALU_DEP_2)
	v_cvt_f64_u32_e32 v[4:5], v1
	v_mov_b32_e32 v7, v6
	global_store_b128 v[2:3], v[4:7], off
.LBB242_1295:
	s_and_not1_b32 vcc_lo, exec_lo, s28
	s_cbranch_vccnz .LBB242_1297
; %bb.1296:
	s_wait_xcnt 0x0
	v_cndmask_b32_e64 v4, 0, 1.0, s1
	v_mov_b32_e32 v5, 0
	global_store_b64 v[2:3], v[4:5], off
.LBB242_1297:
	s_mov_b32 s28, 0
.LBB242_1298:
	s_delay_alu instid0(SALU_CYCLE_1)
	s_and_not1_b32 vcc_lo, exec_lo, s28
	s_cbranch_vccnz .LBB242_1300
; %bb.1299:
	s_wait_xcnt 0x0
	v_cndmask_b32_e64 v1, 0, 1.0, s1
	s_delay_alu instid0(VALU_DEP_1) | instskip(NEXT) | instid1(VALU_DEP_1)
	v_cvt_f16_f32_e32 v1, v1
	v_and_b32_e32 v1, 0xffff, v1
	global_store_b32 v[2:3], v1, off
.LBB242_1300:
	s_mov_b32 s28, 0
.LBB242_1301:
	s_delay_alu instid0(SALU_CYCLE_1)
	s_and_not1_b32 vcc_lo, exec_lo, s28
	s_cbranch_vccnz .LBB242_1310
; %bb.1302:
	s_cmp_lt_i32 s17, 6
	s_mov_b32 s28, -1
	s_cbranch_scc1 .LBB242_1308
; %bb.1303:
	s_cmp_gt_i32 s17, 6
	s_cbranch_scc0 .LBB242_1305
; %bb.1304:
	s_wait_xcnt 0x0
	v_cndmask_b32_e64 v1, 0, 1, s1
	s_mov_b32 s28, 0
	s_delay_alu instid0(VALU_DEP_1)
	v_cvt_f64_u32_e32 v[4:5], v1
	global_store_b64 v[2:3], v[4:5], off
.LBB242_1305:
	s_and_not1_b32 vcc_lo, exec_lo, s28
	s_cbranch_vccnz .LBB242_1307
; %bb.1306:
	s_wait_xcnt 0x0
	v_cndmask_b32_e64 v1, 0, 1.0, s1
	global_store_b32 v[2:3], v1, off
.LBB242_1307:
	s_mov_b32 s28, 0
.LBB242_1308:
	s_delay_alu instid0(SALU_CYCLE_1)
	s_and_not1_b32 vcc_lo, exec_lo, s28
	s_cbranch_vccnz .LBB242_1310
; %bb.1309:
	s_wait_xcnt 0x0
	v_cndmask_b32_e64 v1, 0, 1.0, s1
	s_delay_alu instid0(VALU_DEP_1)
	v_cvt_f16_f32_e32 v1, v1
	global_store_b16 v[2:3], v1, off
.LBB242_1310:
	s_mov_b32 s28, 0
.LBB242_1311:
	s_delay_alu instid0(SALU_CYCLE_1)
	s_and_not1_b32 vcc_lo, exec_lo, s28
	s_cbranch_vccnz .LBB242_1327
; %bb.1312:
	s_cmp_lt_i32 s17, 2
	s_mov_b32 s28, -1
	s_cbranch_scc1 .LBB242_1322
; %bb.1313:
	s_cmp_lt_i32 s17, 3
	s_cbranch_scc1 .LBB242_1319
; %bb.1314:
	s_cmp_gt_i32 s17, 3
	s_cbranch_scc0 .LBB242_1316
; %bb.1315:
	s_mov_b32 s28, 0
	s_wait_xcnt 0x0
	v_cndmask_b32_e64 v4, 0, 1, s1
	v_mov_b32_e32 v5, s28
	global_store_b64 v[2:3], v[4:5], off
.LBB242_1316:
	s_and_not1_b32 vcc_lo, exec_lo, s28
	s_cbranch_vccnz .LBB242_1318
; %bb.1317:
	s_wait_xcnt 0x0
	v_cndmask_b32_e64 v1, 0, 1, s1
	global_store_b32 v[2:3], v1, off
.LBB242_1318:
	s_mov_b32 s28, 0
.LBB242_1319:
	s_delay_alu instid0(SALU_CYCLE_1)
	s_and_not1_b32 vcc_lo, exec_lo, s28
	s_cbranch_vccnz .LBB242_1321
; %bb.1320:
	s_wait_xcnt 0x0
	v_cndmask_b32_e64 v1, 0, 1, s1
	global_store_b16 v[2:3], v1, off
.LBB242_1321:
	s_mov_b32 s28, 0
.LBB242_1322:
	s_delay_alu instid0(SALU_CYCLE_1)
	s_and_not1_b32 vcc_lo, exec_lo, s28
	s_cbranch_vccnz .LBB242_1327
; %bb.1323:
	s_wait_xcnt 0x0
	v_cndmask_b32_e64 v1, 0, 1, s1
	s_cmp_gt_i32 s17, 0
	s_mov_b32 s1, -1
	s_cbranch_scc0 .LBB242_1325
; %bb.1324:
	s_mov_b32 s1, 0
	global_store_b8 v[2:3], v1, off
.LBB242_1325:
	s_and_not1_b32 vcc_lo, exec_lo, s1
	s_cbranch_vccnz .LBB242_1327
; %bb.1326:
	global_store_b8 v[2:3], v1, off
.LBB242_1327:
	s_mov_b32 s29, -1
.LBB242_1328:
	s_delay_alu instid0(SALU_CYCLE_1)
	s_and_not1_b32 vcc_lo, exec_lo, s29
	s_cbranch_vccnz .LBB242_1330
; %bb.1329:
	v_add_nc_u32_e32 v0, 0x80, v0
	s_mov_b32 s17, -1
	s_branch .LBB242_1332
.LBB242_1330:
	s_mov_b32 s17, 0
.LBB242_1331:
                                        ; implicit-def: $vgpr0
.LBB242_1332:
	s_and_not1_b32 s1, s46, exec_lo
	s_and_b32 s2, s2, exec_lo
	s_and_not1_b32 s28, s45, exec_lo
	s_and_b32 s16, s16, exec_lo
	s_or_b32 s2, s1, s2
	s_or_b32 s1, s28, s16
	s_or_not1_b32 s29, s17, exec_lo
.LBB242_1333:
	s_wait_xcnt 0x0
	s_or_b32 exec_lo, exec_lo, s48
	s_mov_b32 s17, 0
	s_mov_b32 s16, 0
	;; [unrolled: 1-line block ×3, first 2 shown]
                                        ; implicit-def: $vgpr4_vgpr5
                                        ; implicit-def: $vgpr2
                                        ; implicit-def: $vgpr3
	s_and_saveexec_b32 s30, s29
	s_cbranch_execz .LBB242_1506
; %bb.1334:
	s_mov_b32 s29, s1
	s_mov_b32 s31, exec_lo
                                        ; implicit-def: $vgpr4_vgpr5
                                        ; implicit-def: $vgpr2
                                        ; implicit-def: $vgpr3
	v_cmpx_gt_i32_e64 s39, v0
	s_cbranch_execz .LBB242_1505
; %bb.1335:
	s_and_not1_b32 vcc_lo, exec_lo, s35
	s_cbranch_vccnz .LBB242_1341
; %bb.1336:
	s_and_not1_b32 vcc_lo, exec_lo, s41
	s_cbranch_vccnz .LBB242_1342
; %bb.1337:
	s_add_co_i32 s40, s40, 1
	s_cmp_eq_u32 s33, 2
	s_cbranch_scc1 .LBB242_1343
; %bb.1338:
	v_dual_mov_b32 v2, 0 :: v_dual_mov_b32 v4, 0
	s_wait_loadcnt 0x0
	v_mov_b32_e32 v1, v0
	s_and_b32 s16, s40, 28
	s_mov_b64 s[28:29], s[20:21]
.LBB242_1339:                           ; =>This Inner Loop Header: Depth=1
	s_clause 0x1
	s_load_b256 s[48:55], s[28:29], 0x4
	s_load_b128 s[64:67], s[28:29], 0x24
	s_load_b256 s[56:63], s[26:27], 0x0
	s_add_co_i32 s17, s17, 4
	s_wait_xcnt 0x0
	s_add_nc_u64 s[28:29], s[28:29], 48
	s_cmp_eq_u32 s16, s17
	s_add_nc_u64 s[26:27], s[26:27], 32
	s_wait_kmcnt 0x0
	v_mul_hi_u32 v3, s49, v1
	s_delay_alu instid0(VALU_DEP_1) | instskip(NEXT) | instid1(VALU_DEP_1)
	v_add_nc_u32_e32 v3, v1, v3
	v_lshrrev_b32_e32 v3, s50, v3
	s_delay_alu instid0(VALU_DEP_1) | instskip(NEXT) | instid1(VALU_DEP_1)
	v_mul_hi_u32 v5, s52, v3
	v_add_nc_u32_e32 v5, v3, v5
	s_delay_alu instid0(VALU_DEP_1) | instskip(NEXT) | instid1(VALU_DEP_1)
	v_lshrrev_b32_e32 v5, s53, v5
	v_mul_hi_u32 v6, s55, v5
	s_delay_alu instid0(VALU_DEP_1) | instskip(SKIP_1) | instid1(VALU_DEP_1)
	v_add_nc_u32_e32 v6, v5, v6
	v_mul_lo_u32 v7, v3, s48
	v_sub_nc_u32_e32 v1, v1, v7
	v_mul_lo_u32 v7, v5, s51
	s_delay_alu instid0(VALU_DEP_4) | instskip(NEXT) | instid1(VALU_DEP_3)
	v_lshrrev_b32_e32 v6, s64, v6
	v_mad_u32 v4, v1, s57, v4
	v_mad_u32 v1, v1, s56, v2
	s_delay_alu instid0(VALU_DEP_4) | instskip(NEXT) | instid1(VALU_DEP_4)
	v_sub_nc_u32_e32 v2, v3, v7
	v_mul_hi_u32 v8, s66, v6
	v_mul_lo_u32 v3, v6, s54
	s_delay_alu instid0(VALU_DEP_3) | instskip(SKIP_1) | instid1(VALU_DEP_3)
	v_mad_u32 v4, v2, s59, v4
	v_mad_u32 v2, v2, s58, v1
	v_dual_add_nc_u32 v7, v6, v8 :: v_dual_sub_nc_u32 v3, v5, v3
	s_delay_alu instid0(VALU_DEP_1) | instskip(NEXT) | instid1(VALU_DEP_2)
	v_lshrrev_b32_e32 v1, s67, v7
	v_mad_u32 v4, v3, s61, v4
	s_delay_alu instid0(VALU_DEP_4) | instskip(NEXT) | instid1(VALU_DEP_3)
	v_mad_u32 v2, v3, s60, v2
	v_mul_lo_u32 v5, v1, s65
	s_delay_alu instid0(VALU_DEP_1) | instskip(NEXT) | instid1(VALU_DEP_1)
	v_sub_nc_u32_e32 v3, v6, v5
	v_mad_u32 v4, v3, s63, v4
	s_delay_alu instid0(VALU_DEP_4)
	v_mad_u32 v2, v3, s62, v2
	s_cbranch_scc0 .LBB242_1339
; %bb.1340:
	s_delay_alu instid0(VALU_DEP_2)
	v_mov_b32_e32 v3, v4
	s_branch .LBB242_1344
.LBB242_1341:
	s_mov_b32 s16, -1
                                        ; implicit-def: $vgpr4
                                        ; implicit-def: $vgpr2
	s_branch .LBB242_1349
.LBB242_1342:
	v_dual_mov_b32 v4, 0 :: v_dual_mov_b32 v2, 0
	s_branch .LBB242_1348
.LBB242_1343:
	v_mov_b64_e32 v[2:3], 0
	s_wait_loadcnt 0x0
	v_mov_b32_e32 v1, v0
                                        ; implicit-def: $vgpr4
.LBB242_1344:
	s_and_b32 s28, s40, 3
	s_mov_b32 s17, 0
	s_cmp_eq_u32 s28, 0
	s_cbranch_scc1 .LBB242_1348
; %bb.1345:
	s_lshl_b32 s26, s16, 3
	s_mov_b32 s27, s17
	s_mul_u64 s[40:41], s[16:17], 12
	s_add_nc_u64 s[26:27], s[20:21], s[26:27]
	s_delay_alu instid0(SALU_CYCLE_1)
	s_add_nc_u64 s[16:17], s[26:27], 0xc4
	s_add_nc_u64 s[26:27], s[20:21], s[40:41]
.LBB242_1346:                           ; =>This Inner Loop Header: Depth=1
	s_load_b96 s[48:50], s[26:27], 0x4
	s_load_b64 s[40:41], s[16:17], 0x0
	s_add_co_i32 s28, s28, -1
	s_wait_xcnt 0x0
	s_add_nc_u64 s[26:27], s[26:27], 12
	s_cmp_lg_u32 s28, 0
	s_add_nc_u64 s[16:17], s[16:17], 8
	s_wait_kmcnt 0x0
	v_mul_hi_u32 v4, s49, v1
	s_delay_alu instid0(VALU_DEP_1) | instskip(NEXT) | instid1(VALU_DEP_1)
	v_add_nc_u32_e32 v4, v1, v4
	v_lshrrev_b32_e32 v4, s50, v4
	s_delay_alu instid0(VALU_DEP_1) | instskip(NEXT) | instid1(VALU_DEP_1)
	v_mul_lo_u32 v5, v4, s48
	v_sub_nc_u32_e32 v1, v1, v5
	s_delay_alu instid0(VALU_DEP_1)
	v_mad_u32 v3, v1, s41, v3
	v_mad_u32 v2, v1, s40, v2
	v_mov_b32_e32 v1, v4
	s_cbranch_scc1 .LBB242_1346
; %bb.1347:
	s_delay_alu instid0(VALU_DEP_3)
	v_mov_b32_e32 v4, v3
.LBB242_1348:
	s_mov_b32 s16, 0
.LBB242_1349:
	s_delay_alu instid0(SALU_CYCLE_1)
	s_and_not1_b32 vcc_lo, exec_lo, s16
	s_cbranch_vccnz .LBB242_1352
; %bb.1350:
	s_wait_loadcnt 0x0
	v_mov_b32_e32 v1, 0
	s_and_not1_b32 vcc_lo, exec_lo, s38
	s_delay_alu instid0(VALU_DEP_1) | instskip(NEXT) | instid1(VALU_DEP_1)
	v_mul_u64_e32 v[2:3], s[22:23], v[0:1]
	v_add_nc_u32_e32 v2, v0, v3
	s_delay_alu instid0(VALU_DEP_1) | instskip(NEXT) | instid1(VALU_DEP_1)
	v_lshrrev_b32_e32 v6, s10, v2
	v_mul_lo_u32 v2, v6, s8
	s_delay_alu instid0(VALU_DEP_1) | instskip(NEXT) | instid1(VALU_DEP_1)
	v_sub_nc_u32_e32 v0, v0, v2
	v_mul_lo_u32 v4, v0, s13
	v_mul_lo_u32 v2, v0, s12
	s_cbranch_vccnz .LBB242_1352
; %bb.1351:
	v_mov_b32_e32 v7, v1
	s_delay_alu instid0(VALU_DEP_1) | instskip(NEXT) | instid1(VALU_DEP_1)
	v_mul_u64_e32 v[0:1], s[24:25], v[6:7]
	v_add_nc_u32_e32 v0, v6, v1
	s_delay_alu instid0(VALU_DEP_1) | instskip(NEXT) | instid1(VALU_DEP_1)
	v_lshrrev_b32_e32 v0, s3, v0
	v_mul_lo_u32 v0, v0, s11
	s_delay_alu instid0(VALU_DEP_1) | instskip(NEXT) | instid1(VALU_DEP_1)
	v_sub_nc_u32_e32 v0, v6, v0
	v_mad_u32 v2, v0, s14, v2
	v_mad_u32 v4, v0, s15, v4
.LBB242_1352:
	v_mov_b32_e32 v5, 0
	s_and_b32 s3, 0xffff, s37
	s_delay_alu instid0(SALU_CYCLE_1) | instskip(NEXT) | instid1(VALU_DEP_1)
	s_cmp_lt_i32 s3, 11
	v_add_nc_u64_e32 v[4:5], s[6:7], v[4:5]
	s_cbranch_scc1 .LBB242_1367
; %bb.1353:
	s_cmp_gt_i32 s3, 25
	s_mov_b32 s7, 0
	s_cbranch_scc0 .LBB242_1368
; %bb.1354:
	s_cmp_gt_i32 s3, 28
	s_cbranch_scc0 .LBB242_1369
; %bb.1355:
	s_cmp_gt_i32 s3, 43
	;; [unrolled: 3-line block ×3, first 2 shown]
	s_cbranch_scc0 .LBB242_1373
; %bb.1357:
	s_cmp_eq_u32 s3, 46
	s_mov_b32 s10, 0
	s_cbranch_scc0 .LBB242_1376
; %bb.1358:
	global_load_b32 v0, v[4:5], off
	s_mov_b32 s6, exec_lo
                                        ; implicit-def: $vgpr1
	s_wait_loadcnt 0x0
	v_lshlrev_b32_e32 v0, 16, v0
	s_delay_alu instid0(VALU_DEP_1) | instskip(SKIP_1) | instid1(VALU_DEP_1)
	v_and_b32_e32 v3, 0x7fffffff, v0
	s_wait_xcnt 0x0
	v_cmpx_gt_u32_e32 0x47800000, v3
	s_xor_b32 s6, exec_lo, s6
	s_cbranch_execz .LBB242_1364
; %bb.1359:
	s_mov_b32 s8, exec_lo
                                        ; implicit-def: $vgpr1
	v_cmpx_lt_u32_e32 0x387fffff, v3
	s_xor_b32 s8, exec_lo, s8
; %bb.1360:
	v_bfe_u32 v1, v0, 21, 1
	s_delay_alu instid0(VALU_DEP_1) | instskip(NEXT) | instid1(VALU_DEP_1)
	v_add3_u32 v1, v0, v1, 0x80fffff
	v_lshrrev_b32_e32 v1, 21, v1
; %bb.1361:
	s_and_not1_saveexec_b32 s8, s8
; %bb.1362:
	v_add_f32_e64 v1, 0x43000000, |v0|
; %bb.1363:
	s_or_b32 exec_lo, exec_lo, s8
                                        ; implicit-def: $vgpr3
.LBB242_1364:
	s_and_not1_saveexec_b32 s6, s6
; %bb.1365:
	v_mov_b32_e32 v1, 0x7f
	v_cmp_lt_u32_e32 vcc_lo, 0x7f800000, v3
	s_delay_alu instid0(VALU_DEP_2)
	v_cndmask_b32_e32 v1, 0x7c, v1, vcc_lo
; %bb.1366:
	s_or_b32 exec_lo, exec_lo, s6
	v_lshrrev_b32_e32 v0, 24, v0
	s_mov_b32 s6, 0
	s_mov_b32 s8, -1
	s_delay_alu instid0(VALU_DEP_1)
	v_and_or_b32 v3, 0x80, v0, v1
	s_branch .LBB242_1378
.LBB242_1367:
	s_mov_b32 s3, -1
	s_mov_b32 s8, 0
	s_mov_b32 s7, 0
	;; [unrolled: 1-line block ×3, first 2 shown]
                                        ; implicit-def: $vgpr3
	s_branch .LBB242_1504
.LBB242_1368:
	s_mov_b32 s10, -1
	s_mov_b32 s8, 0
	s_mov_b32 s6, s1
                                        ; implicit-def: $vgpr3
	s_branch .LBB242_1447
.LBB242_1369:
	s_mov_b32 s10, -1
	s_mov_b32 s8, 0
	s_mov_b32 s6, s1
                                        ; implicit-def: $vgpr3
	s_branch .LBB242_1404
.LBB242_1370:
	s_mov_b32 s10, -1
	s_mov_b32 s8, 0
	s_mov_b32 s6, s1
                                        ; implicit-def: $vgpr3
	s_branch .LBB242_1391
.LBB242_1371:
	s_and_not1_saveexec_b32 s31, s31
	s_cbranch_execz .LBB242_1241
.LBB242_1372:
	v_add_f32_e32 v1, 0x46000000, v4
	s_and_not1_b32 s30, s30, exec_lo
	s_delay_alu instid0(VALU_DEP_1) | instskip(NEXT) | instid1(VALU_DEP_1)
	v_and_b32_e32 v1, 0xff, v1
	v_cmp_ne_u32_e32 vcc_lo, 0, v1
	s_and_b32 s49, vcc_lo, exec_lo
	s_delay_alu instid0(SALU_CYCLE_1)
	s_or_b32 s30, s30, s49
	s_or_b32 exec_lo, exec_lo, s31
	v_mov_b32_e32 v5, 0
	s_and_saveexec_b32 s31, s30
	s_cbranch_execnz .LBB242_1242
	s_branch .LBB242_1243
.LBB242_1373:
	s_mov_b32 s10, -1
	s_mov_b32 s8, 0
	s_mov_b32 s6, s1
	s_branch .LBB242_1377
.LBB242_1374:
	s_and_not1_saveexec_b32 s31, s31
	s_cbranch_execz .LBB242_1254
.LBB242_1375:
	v_add_f32_e32 v1, 0x42800000, v4
	s_and_not1_b32 s30, s30, exec_lo
	s_delay_alu instid0(VALU_DEP_1) | instskip(NEXT) | instid1(VALU_DEP_1)
	v_and_b32_e32 v1, 0xff, v1
	v_cmp_ne_u32_e32 vcc_lo, 0, v1
	s_and_b32 s49, vcc_lo, exec_lo
	s_delay_alu instid0(SALU_CYCLE_1)
	s_or_b32 s30, s30, s49
	s_or_b32 exec_lo, exec_lo, s31
	v_mov_b32_e32 v5, 0
	s_and_saveexec_b32 s31, s30
	s_cbranch_execnz .LBB242_1255
	s_branch .LBB242_1256
.LBB242_1376:
	s_mov_b32 s6, -1
	s_mov_b32 s8, 0
.LBB242_1377:
                                        ; implicit-def: $vgpr3
.LBB242_1378:
	s_and_b32 vcc_lo, exec_lo, s10
	s_cbranch_vccz .LBB242_1390
; %bb.1379:
	s_cmp_eq_u32 s3, 44
	s_cbranch_scc0 .LBB242_1389
; %bb.1380:
	global_load_u8 v0, v[4:5], off
	s_mov_b32 s6, exec_lo
                                        ; implicit-def: $vgpr3
	s_wait_loadcnt 0x0
	v_lshlrev_b32_e32 v1, 23, v0
	v_cmp_ne_u32_e32 vcc_lo, 0xff, v0
	s_delay_alu instid0(VALU_DEP_2) | instskip(SKIP_1) | instid1(VALU_DEP_2)
	v_cndmask_b32_e32 v1, 0x7f800001, v1, vcc_lo
	v_cmp_ne_u32_e32 vcc_lo, 0, v0
	v_cndmask_b32_e32 v0, 0x400000, v1, vcc_lo
	s_wait_xcnt 0x0
	s_delay_alu instid0(VALU_DEP_1)
	v_cmpx_gt_u32_e32 0x47800000, v0
	s_xor_b32 s6, exec_lo, s6
	s_cbranch_execz .LBB242_1386
; %bb.1381:
	s_mov_b32 s8, exec_lo
                                        ; implicit-def: $vgpr3
	v_cmpx_lt_u32_e32 0x387fffff, v0
	s_xor_b32 s8, exec_lo, s8
; %bb.1382:
	v_bfe_u32 v1, v0, 21, 1
	s_delay_alu instid0(VALU_DEP_1) | instskip(NEXT) | instid1(VALU_DEP_1)
	v_add3_u32 v0, v0, v1, 0x80fffff
	v_lshrrev_b32_e32 v3, 21, v0
                                        ; implicit-def: $vgpr0
; %bb.1383:
	s_and_not1_saveexec_b32 s8, s8
; %bb.1384:
	v_add_f32_e32 v3, 0x43000000, v0
; %bb.1385:
	s_or_b32 exec_lo, exec_lo, s8
                                        ; implicit-def: $vgpr0
.LBB242_1386:
	s_and_not1_saveexec_b32 s6, s6
; %bb.1387:
	v_mov_b32_e32 v1, 0x7f
	v_cmp_lt_u32_e32 vcc_lo, 0x7f800000, v0
	s_delay_alu instid0(VALU_DEP_2)
	v_cndmask_b32_e32 v3, 0x7c, v1, vcc_lo
; %bb.1388:
	s_or_b32 exec_lo, exec_lo, s6
	s_mov_b32 s6, 0
	s_mov_b32 s8, -1
	s_branch .LBB242_1390
.LBB242_1389:
	s_mov_b32 s6, -1
                                        ; implicit-def: $vgpr3
.LBB242_1390:
	s_mov_b32 s10, 0
.LBB242_1391:
	s_delay_alu instid0(SALU_CYCLE_1)
	s_and_b32 vcc_lo, exec_lo, s10
	s_cbranch_vccz .LBB242_1403
; %bb.1392:
	s_cmp_eq_u32 s3, 29
	s_cbranch_scc0 .LBB242_1402
; %bb.1393:
	s_wait_loadcnt 0x0
	global_load_b64 v[0:1], v[4:5], off
	s_mov_b32 s6, exec_lo
	s_wait_loadcnt 0x0
	v_clz_i32_u32_e32 v3, v1
	s_delay_alu instid0(VALU_DEP_1) | instskip(NEXT) | instid1(VALU_DEP_1)
	v_min_u32_e32 v3, 32, v3
	v_lshlrev_b64_e32 v[0:1], v3, v[0:1]
	s_delay_alu instid0(VALU_DEP_1) | instskip(NEXT) | instid1(VALU_DEP_1)
	v_min_u32_e32 v0, 1, v0
	v_dual_sub_nc_u32 v1, 32, v3 :: v_dual_bitop2_b32 v0, v1, v0 bitop3:0x54
                                        ; implicit-def: $vgpr3
	s_delay_alu instid0(VALU_DEP_1) | instskip(NEXT) | instid1(VALU_DEP_1)
	v_cvt_f32_u32_e32 v0, v0
	v_ldexp_f32 v0, v0, v1
	s_wait_xcnt 0x0
	s_delay_alu instid0(VALU_DEP_1)
	v_cmpx_gt_u32_e32 0x47800000, v0
	s_xor_b32 s6, exec_lo, s6
	s_cbranch_execz .LBB242_1399
; %bb.1394:
	s_mov_b32 s8, exec_lo
                                        ; implicit-def: $vgpr3
	v_cmpx_lt_u32_e32 0x387fffff, v0
	s_xor_b32 s8, exec_lo, s8
; %bb.1395:
	v_bfe_u32 v1, v0, 21, 1
	s_delay_alu instid0(VALU_DEP_1) | instskip(NEXT) | instid1(VALU_DEP_1)
	v_add3_u32 v0, v0, v1, 0x80fffff
	v_lshrrev_b32_e32 v3, 21, v0
                                        ; implicit-def: $vgpr0
; %bb.1396:
	s_and_not1_saveexec_b32 s8, s8
; %bb.1397:
	v_add_f32_e32 v3, 0x43000000, v0
; %bb.1398:
	s_or_b32 exec_lo, exec_lo, s8
                                        ; implicit-def: $vgpr0
.LBB242_1399:
	s_and_not1_saveexec_b32 s6, s6
; %bb.1400:
	v_mov_b32_e32 v1, 0x7f
	v_cmp_lt_u32_e32 vcc_lo, 0x7f800000, v0
	s_delay_alu instid0(VALU_DEP_2)
	v_cndmask_b32_e32 v3, 0x7c, v1, vcc_lo
; %bb.1401:
	s_or_b32 exec_lo, exec_lo, s6
	s_mov_b32 s6, 0
	s_mov_b32 s8, -1
	s_branch .LBB242_1403
.LBB242_1402:
	s_mov_b32 s6, -1
                                        ; implicit-def: $vgpr3
.LBB242_1403:
	s_mov_b32 s10, 0
.LBB242_1404:
	s_delay_alu instid0(SALU_CYCLE_1)
	s_and_b32 vcc_lo, exec_lo, s10
	s_cbranch_vccz .LBB242_1446
; %bb.1405:
	s_cmp_lt_i32 s3, 27
	s_cbranch_scc1 .LBB242_1416
; %bb.1406:
	s_cmp_gt_i32 s3, 27
	s_cbranch_scc0 .LBB242_1417
; %bb.1407:
	global_load_b32 v0, v[4:5], off
	s_mov_b32 s8, exec_lo
                                        ; implicit-def: $vgpr3
	s_wait_loadcnt 0x0
	v_cvt_f32_u32_e32 v0, v0
	s_wait_xcnt 0x0
	s_delay_alu instid0(VALU_DEP_1)
	v_cmpx_gt_u32_e32 0x47800000, v0
	s_xor_b32 s8, exec_lo, s8
	s_cbranch_execz .LBB242_1413
; %bb.1408:
	s_mov_b32 s10, exec_lo
                                        ; implicit-def: $vgpr3
	v_cmpx_lt_u32_e32 0x387fffff, v0
	s_xor_b32 s10, exec_lo, s10
; %bb.1409:
	v_bfe_u32 v1, v0, 21, 1
	s_delay_alu instid0(VALU_DEP_1) | instskip(NEXT) | instid1(VALU_DEP_1)
	v_add3_u32 v0, v0, v1, 0x80fffff
	v_lshrrev_b32_e32 v3, 21, v0
                                        ; implicit-def: $vgpr0
; %bb.1410:
	s_and_not1_saveexec_b32 s10, s10
; %bb.1411:
	v_add_f32_e32 v3, 0x43000000, v0
; %bb.1412:
	s_or_b32 exec_lo, exec_lo, s10
                                        ; implicit-def: $vgpr0
.LBB242_1413:
	s_and_not1_saveexec_b32 s8, s8
; %bb.1414:
	v_mov_b32_e32 v1, 0x7f
	v_cmp_lt_u32_e32 vcc_lo, 0x7f800000, v0
	s_delay_alu instid0(VALU_DEP_2)
	v_cndmask_b32_e32 v3, 0x7c, v1, vcc_lo
; %bb.1415:
	s_or_b32 exec_lo, exec_lo, s8
	s_mov_b32 s8, 0
	s_branch .LBB242_1418
.LBB242_1416:
	s_mov_b32 s8, -1
                                        ; implicit-def: $vgpr3
	s_branch .LBB242_1429
.LBB242_1417:
	s_mov_b32 s8, -1
                                        ; implicit-def: $vgpr3
.LBB242_1418:
	s_delay_alu instid0(SALU_CYCLE_1)
	s_and_b32 vcc_lo, exec_lo, s8
	s_cbranch_vccz .LBB242_1428
; %bb.1419:
	global_load_u16 v0, v[4:5], off
	s_mov_b32 s8, exec_lo
                                        ; implicit-def: $vgpr3
	s_wait_loadcnt 0x0
	v_cvt_f32_u32_e32 v0, v0
	s_wait_xcnt 0x0
	s_delay_alu instid0(VALU_DEP_1)
	v_cmpx_gt_u32_e32 0x47800000, v0
	s_xor_b32 s8, exec_lo, s8
	s_cbranch_execz .LBB242_1425
; %bb.1420:
	s_mov_b32 s10, exec_lo
                                        ; implicit-def: $vgpr3
	v_cmpx_lt_u32_e32 0x387fffff, v0
	s_xor_b32 s10, exec_lo, s10
; %bb.1421:
	v_bfe_u32 v1, v0, 21, 1
	s_delay_alu instid0(VALU_DEP_1) | instskip(NEXT) | instid1(VALU_DEP_1)
	v_add3_u32 v0, v0, v1, 0x80fffff
	v_lshrrev_b32_e32 v3, 21, v0
                                        ; implicit-def: $vgpr0
; %bb.1422:
	s_and_not1_saveexec_b32 s10, s10
; %bb.1423:
	v_add_f32_e32 v3, 0x43000000, v0
; %bb.1424:
	s_or_b32 exec_lo, exec_lo, s10
                                        ; implicit-def: $vgpr0
.LBB242_1425:
	s_and_not1_saveexec_b32 s8, s8
; %bb.1426:
	v_mov_b32_e32 v1, 0x7f
	v_cmp_lt_u32_e32 vcc_lo, 0x7f800000, v0
	s_delay_alu instid0(VALU_DEP_2)
	v_cndmask_b32_e32 v3, 0x7c, v1, vcc_lo
; %bb.1427:
	s_or_b32 exec_lo, exec_lo, s8
.LBB242_1428:
	s_mov_b32 s8, 0
.LBB242_1429:
	s_delay_alu instid0(SALU_CYCLE_1)
	s_and_not1_b32 vcc_lo, exec_lo, s8
	s_cbranch_vccnz .LBB242_1445
; %bb.1430:
	s_wait_loadcnt 0x0
	global_load_u8 v1, v[4:5], off
	s_mov_b32 s8, 0
	s_mov_b32 s10, exec_lo
	s_wait_loadcnt 0x0
	v_cmpx_lt_i16_e32 0x7f, v1
	s_xor_b32 s10, exec_lo, s10
	s_cbranch_execz .LBB242_1467
; %bb.1431:
	s_mov_b32 s8, -1
	s_mov_b32 s11, exec_lo
	v_cmpx_eq_u16_e32 0x80, v1
; %bb.1432:
	s_xor_b32 s8, exec_lo, -1
; %bb.1433:
	s_or_b32 exec_lo, exec_lo, s11
	s_delay_alu instid0(SALU_CYCLE_1)
	s_and_b32 s8, s8, exec_lo
	s_or_saveexec_b32 s10, s10
	v_mov_b32_e32 v0, 0x7f800001
	s_xor_b32 exec_lo, exec_lo, s10
	s_cbranch_execnz .LBB242_1468
.LBB242_1434:
	s_or_b32 exec_lo, exec_lo, s10
	s_and_saveexec_b32 s10, s8
	s_cbranch_execz .LBB242_1436
.LBB242_1435:
	v_and_b32_e32 v0, 0xffff, v1
	s_delay_alu instid0(VALU_DEP_1) | instskip(SKIP_1) | instid1(VALU_DEP_2)
	v_and_b32_e32 v3, 7, v0
	v_bfe_u32 v8, v0, 3, 4
	v_clz_i32_u32_e32 v6, v3
	s_delay_alu instid0(VALU_DEP_2) | instskip(NEXT) | instid1(VALU_DEP_2)
	v_cmp_eq_u32_e32 vcc_lo, 0, v8
	v_min_u32_e32 v6, 32, v6
	s_delay_alu instid0(VALU_DEP_1) | instskip(NEXT) | instid1(VALU_DEP_1)
	v_subrev_nc_u32_e32 v7, 28, v6
	v_dual_lshlrev_b32 v0, v7, v0 :: v_dual_sub_nc_u32 v6, 29, v6
	s_delay_alu instid0(VALU_DEP_1) | instskip(NEXT) | instid1(VALU_DEP_1)
	v_dual_lshlrev_b32 v1, 24, v1 :: v_dual_bitop2_b32 v0, 7, v0 bitop3:0x40
	v_dual_cndmask_b32 v6, v8, v6, vcc_lo :: v_dual_cndmask_b32 v0, v3, v0, vcc_lo
	s_delay_alu instid0(VALU_DEP_2) | instskip(NEXT) | instid1(VALU_DEP_2)
	v_and_b32_e32 v1, 0x80000000, v1
	v_lshl_add_u32 v3, v6, 23, 0x3b800000
	s_delay_alu instid0(VALU_DEP_3) | instskip(NEXT) | instid1(VALU_DEP_1)
	v_lshlrev_b32_e32 v0, 20, v0
	v_or3_b32 v0, v1, v3, v0
.LBB242_1436:
	s_or_b32 exec_lo, exec_lo, s10
	s_delay_alu instid0(VALU_DEP_1) | instskip(SKIP_1) | instid1(VALU_DEP_1)
	v_and_b32_e32 v3, 0x7fffffff, v0
	s_mov_b32 s8, exec_lo
                                        ; implicit-def: $vgpr1
	v_cmpx_gt_u32_e32 0x47800000, v3
	s_xor_b32 s8, exec_lo, s8
	s_cbranch_execz .LBB242_1442
; %bb.1437:
	s_mov_b32 s10, exec_lo
                                        ; implicit-def: $vgpr1
	v_cmpx_lt_u32_e32 0x387fffff, v3
	s_xor_b32 s10, exec_lo, s10
; %bb.1438:
	v_bfe_u32 v1, v0, 21, 1
	s_delay_alu instid0(VALU_DEP_1) | instskip(NEXT) | instid1(VALU_DEP_1)
	v_add3_u32 v1, v0, v1, 0x80fffff
	v_lshrrev_b32_e32 v1, 21, v1
; %bb.1439:
	s_and_not1_saveexec_b32 s10, s10
; %bb.1440:
	v_add_f32_e64 v1, 0x43000000, |v0|
; %bb.1441:
	s_or_b32 exec_lo, exec_lo, s10
                                        ; implicit-def: $vgpr3
.LBB242_1442:
	s_and_not1_saveexec_b32 s8, s8
; %bb.1443:
	v_mov_b32_e32 v1, 0x7f
	v_cmp_lt_u32_e32 vcc_lo, 0x7f800000, v3
	s_delay_alu instid0(VALU_DEP_2)
	v_cndmask_b32_e32 v1, 0x7c, v1, vcc_lo
; %bb.1444:
	s_or_b32 exec_lo, exec_lo, s8
	v_lshrrev_b32_e32 v0, 24, v0
	s_delay_alu instid0(VALU_DEP_1)
	v_and_or_b32 v3, 0x80, v0, v1
.LBB242_1445:
	s_mov_b32 s8, -1
.LBB242_1446:
	s_mov_b32 s10, 0
.LBB242_1447:
	s_delay_alu instid0(SALU_CYCLE_1)
	s_and_b32 vcc_lo, exec_lo, s10
	s_cbranch_vccz .LBB242_1503
; %bb.1448:
	s_cmp_gt_i32 s3, 22
	s_cbranch_scc0 .LBB242_1466
; %bb.1449:
	s_cmp_lt_i32 s3, 24
	s_cbranch_scc1 .LBB242_1469
; %bb.1450:
	s_cmp_gt_i32 s3, 24
	s_cbranch_scc0 .LBB242_1470
; %bb.1451:
	s_wait_loadcnt 0x0
	global_load_u8 v1, v[4:5], off
	s_mov_b32 s8, exec_lo
	s_wait_loadcnt 0x0
	v_cmpx_lt_i16_e32 0x7f, v1
	s_xor_b32 s8, exec_lo, s8
	s_cbranch_execz .LBB242_1498
; %bb.1452:
	s_mov_b32 s7, -1
	s_mov_b32 s10, exec_lo
	v_cmpx_eq_u16_e32 0x80, v1
; %bb.1453:
	s_xor_b32 s7, exec_lo, -1
; %bb.1454:
	s_or_b32 exec_lo, exec_lo, s10
	s_delay_alu instid0(SALU_CYCLE_1)
	s_and_b32 s7, s7, exec_lo
	s_or_saveexec_b32 s8, s8
	v_mov_b32_e32 v0, 0x7f800001
	s_xor_b32 exec_lo, exec_lo, s8
	s_cbranch_execnz .LBB242_1499
.LBB242_1455:
	s_or_b32 exec_lo, exec_lo, s8
	s_and_saveexec_b32 s8, s7
	s_cbranch_execz .LBB242_1457
.LBB242_1456:
	v_and_b32_e32 v0, 0xffff, v1
	s_delay_alu instid0(VALU_DEP_1) | instskip(SKIP_1) | instid1(VALU_DEP_2)
	v_and_b32_e32 v3, 3, v0
	v_bfe_u32 v8, v0, 2, 5
	v_clz_i32_u32_e32 v6, v3
	s_delay_alu instid0(VALU_DEP_2) | instskip(NEXT) | instid1(VALU_DEP_2)
	v_cmp_eq_u32_e32 vcc_lo, 0, v8
	v_min_u32_e32 v6, 32, v6
	s_delay_alu instid0(VALU_DEP_1) | instskip(NEXT) | instid1(VALU_DEP_1)
	v_subrev_nc_u32_e32 v7, 29, v6
	v_dual_lshlrev_b32 v0, v7, v0 :: v_dual_sub_nc_u32 v6, 30, v6
	s_delay_alu instid0(VALU_DEP_1) | instskip(NEXT) | instid1(VALU_DEP_1)
	v_dual_lshlrev_b32 v1, 24, v1 :: v_dual_bitop2_b32 v0, 3, v0 bitop3:0x40
	v_dual_cndmask_b32 v6, v8, v6, vcc_lo :: v_dual_cndmask_b32 v0, v3, v0, vcc_lo
	s_delay_alu instid0(VALU_DEP_2) | instskip(NEXT) | instid1(VALU_DEP_2)
	v_and_b32_e32 v1, 0x80000000, v1
	v_lshl_add_u32 v3, v6, 23, 0x37800000
	s_delay_alu instid0(VALU_DEP_3) | instskip(NEXT) | instid1(VALU_DEP_1)
	v_lshlrev_b32_e32 v0, 21, v0
	v_or3_b32 v0, v1, v3, v0
.LBB242_1457:
	s_or_b32 exec_lo, exec_lo, s8
	s_delay_alu instid0(VALU_DEP_1) | instskip(SKIP_1) | instid1(VALU_DEP_1)
	v_and_b32_e32 v3, 0x7fffffff, v0
	s_mov_b32 s7, exec_lo
                                        ; implicit-def: $vgpr1
	v_cmpx_gt_u32_e32 0x47800000, v3
	s_xor_b32 s7, exec_lo, s7
	s_cbranch_execz .LBB242_1463
; %bb.1458:
	s_mov_b32 s8, exec_lo
                                        ; implicit-def: $vgpr1
	v_cmpx_lt_u32_e32 0x387fffff, v3
	s_xor_b32 s8, exec_lo, s8
; %bb.1459:
	v_bfe_u32 v1, v0, 21, 1
	s_delay_alu instid0(VALU_DEP_1) | instskip(NEXT) | instid1(VALU_DEP_1)
	v_add3_u32 v1, v0, v1, 0x80fffff
	v_lshrrev_b32_e32 v1, 21, v1
; %bb.1460:
	s_and_not1_saveexec_b32 s8, s8
; %bb.1461:
	v_add_f32_e64 v1, 0x43000000, |v0|
; %bb.1462:
	s_or_b32 exec_lo, exec_lo, s8
                                        ; implicit-def: $vgpr3
.LBB242_1463:
	s_and_not1_saveexec_b32 s7, s7
; %bb.1464:
	v_mov_b32_e32 v1, 0x7f
	v_cmp_lt_u32_e32 vcc_lo, 0x7f800000, v3
	s_delay_alu instid0(VALU_DEP_2)
	v_cndmask_b32_e32 v1, 0x7c, v1, vcc_lo
; %bb.1465:
	s_or_b32 exec_lo, exec_lo, s7
	v_lshrrev_b32_e32 v0, 24, v0
	s_mov_b32 s7, 0
	s_delay_alu instid0(VALU_DEP_1)
	v_and_or_b32 v3, 0x80, v0, v1
	s_branch .LBB242_1471
.LBB242_1466:
	s_mov_b32 s7, -1
                                        ; implicit-def: $vgpr3
	s_branch .LBB242_1485
.LBB242_1467:
	s_or_saveexec_b32 s10, s10
	v_mov_b32_e32 v0, 0x7f800001
	s_xor_b32 exec_lo, exec_lo, s10
	s_cbranch_execz .LBB242_1434
.LBB242_1468:
	v_cmp_ne_u16_e32 vcc_lo, 0, v1
	v_mov_b32_e32 v0, 0
	s_and_not1_b32 s8, s8, exec_lo
	s_and_b32 s11, vcc_lo, exec_lo
	s_delay_alu instid0(SALU_CYCLE_1)
	s_or_b32 s8, s8, s11
	s_or_b32 exec_lo, exec_lo, s10
	s_and_saveexec_b32 s10, s8
	s_cbranch_execnz .LBB242_1435
	s_branch .LBB242_1436
.LBB242_1469:
	s_mov_b32 s7, -1
                                        ; implicit-def: $vgpr3
	s_branch .LBB242_1482
.LBB242_1470:
	s_mov_b32 s7, -1
                                        ; implicit-def: $vgpr3
.LBB242_1471:
	s_delay_alu instid0(SALU_CYCLE_1)
	s_and_b32 vcc_lo, exec_lo, s7
	s_cbranch_vccz .LBB242_1481
; %bb.1472:
	global_load_u8 v0, v[4:5], off
	s_mov_b32 s7, exec_lo
	s_wait_loadcnt 0x0
	v_lshlrev_b32_e32 v0, 24, v0
	s_delay_alu instid0(VALU_DEP_1) | instskip(NEXT) | instid1(VALU_DEP_1)
	v_and_b32_e32 v1, 0x7f000000, v0
	v_clz_i32_u32_e32 v3, v1
	v_cmp_ne_u32_e32 vcc_lo, 0, v1
	v_add_nc_u32_e32 v7, 0x1000000, v1
	s_delay_alu instid0(VALU_DEP_3) | instskip(NEXT) | instid1(VALU_DEP_1)
	v_min_u32_e32 v3, 32, v3
	v_sub_nc_u32_e64 v3, v3, 4 clamp
	s_delay_alu instid0(VALU_DEP_1) | instskip(NEXT) | instid1(VALU_DEP_1)
	v_lshlrev_b32_e32 v6, v3, v1
                                        ; implicit-def: $vgpr1
	v_dual_lshlrev_b32 v3, 23, v3 :: v_dual_lshrrev_b32 v6, 4, v6
	s_delay_alu instid0(VALU_DEP_1) | instskip(SKIP_1) | instid1(VALU_DEP_2)
	v_sub_nc_u32_e32 v3, v6, v3
	v_ashrrev_i32_e32 v6, 8, v7
	v_add_nc_u32_e32 v3, 0x3c000000, v3
	s_delay_alu instid0(VALU_DEP_1) | instskip(NEXT) | instid1(VALU_DEP_1)
	v_and_or_b32 v3, 0x7f800000, v6, v3
	v_cndmask_b32_e32 v6, 0, v3, vcc_lo
	s_delay_alu instid0(VALU_DEP_1) | instskip(NEXT) | instid1(VALU_DEP_1)
	v_and_or_b32 v0, 0x80000000, v0, v6
	v_and_b32_e32 v3, 0x7fffffff, v0
	s_wait_xcnt 0x0
	s_delay_alu instid0(VALU_DEP_1)
	v_cmpx_gt_u32_e32 0x47800000, v3
	s_xor_b32 s7, exec_lo, s7
	s_cbranch_execz .LBB242_1478
; %bb.1473:
	s_mov_b32 s8, exec_lo
                                        ; implicit-def: $vgpr1
	v_cmpx_lt_u32_e32 0x387fffff, v3
	s_xor_b32 s8, exec_lo, s8
; %bb.1474:
	v_bfe_u32 v1, v6, 21, 1
	s_delay_alu instid0(VALU_DEP_1) | instskip(NEXT) | instid1(VALU_DEP_1)
	v_add3_u32 v1, v0, v1, 0x80fffff
	v_lshrrev_b32_e32 v1, 21, v1
; %bb.1475:
	s_and_not1_saveexec_b32 s8, s8
; %bb.1476:
	v_add_f32_e64 v1, 0x43000000, |v0|
; %bb.1477:
	s_or_b32 exec_lo, exec_lo, s8
                                        ; implicit-def: $vgpr3
.LBB242_1478:
	s_and_not1_saveexec_b32 s7, s7
; %bb.1479:
	v_mov_b32_e32 v1, 0x7f
	v_cmp_lt_u32_e32 vcc_lo, 0x7f800000, v3
	s_delay_alu instid0(VALU_DEP_2)
	v_cndmask_b32_e32 v1, 0x7c, v1, vcc_lo
; %bb.1480:
	s_or_b32 exec_lo, exec_lo, s7
	v_lshrrev_b32_e32 v0, 24, v0
	s_delay_alu instid0(VALU_DEP_1)
	v_and_or_b32 v3, 0x80, v0, v1
.LBB242_1481:
	s_mov_b32 s7, 0
.LBB242_1482:
	s_delay_alu instid0(SALU_CYCLE_1)
	s_and_not1_b32 vcc_lo, exec_lo, s7
	s_cbranch_vccnz .LBB242_1484
; %bb.1483:
	global_load_u8 v3, v[4:5], off
.LBB242_1484:
	s_mov_b32 s7, 0
	s_mov_b32 s8, -1
.LBB242_1485:
	s_and_not1_b32 vcc_lo, exec_lo, s7
	s_mov_b32 s7, 0
	s_cbranch_vccnz .LBB242_1503
; %bb.1486:
	s_cmp_gt_i32 s3, 14
	s_cbranch_scc0 .LBB242_1497
; %bb.1487:
	s_cmp_eq_u32 s3, 15
	s_cbranch_scc0 .LBB242_1500
; %bb.1488:
	global_load_u16 v0, v[4:5], off
	s_mov_b32 s6, exec_lo
                                        ; implicit-def: $vgpr1
	s_wait_loadcnt 0x0
	v_lshlrev_b32_e32 v3, 16, v0
	s_delay_alu instid0(VALU_DEP_1) | instskip(SKIP_1) | instid1(VALU_DEP_1)
	v_and_b32_e32 v6, 0x7fffffff, v3
	s_wait_xcnt 0x0
	v_cmpx_gt_u32_e32 0x47800000, v6
	s_xor_b32 s6, exec_lo, s6
	s_cbranch_execz .LBB242_1494
; %bb.1489:
	s_mov_b32 s7, exec_lo
                                        ; implicit-def: $vgpr1
	v_cmpx_lt_u32_e32 0x387fffff, v6
	s_xor_b32 s7, exec_lo, s7
; %bb.1490:
	v_bfe_u32 v1, v0, 5, 1
	s_delay_alu instid0(VALU_DEP_1) | instskip(NEXT) | instid1(VALU_DEP_1)
	v_add3_u32 v1, v3, v1, 0x80fffff
                                        ; implicit-def: $vgpr3
	v_lshrrev_b32_e32 v1, 21, v1
; %bb.1491:
	s_and_not1_saveexec_b32 s7, s7
; %bb.1492:
	v_add_f32_e64 v1, 0x43000000, |v3|
; %bb.1493:
	s_or_b32 exec_lo, exec_lo, s7
                                        ; implicit-def: $vgpr6
.LBB242_1494:
	s_and_not1_saveexec_b32 s6, s6
; %bb.1495:
	v_mov_b32_e32 v1, 0x7f
	v_cmp_lt_u32_e32 vcc_lo, 0x7f800000, v6
	s_delay_alu instid0(VALU_DEP_2)
	v_cndmask_b32_e32 v1, 0x7c, v1, vcc_lo
; %bb.1496:
	s_or_b32 exec_lo, exec_lo, s6
	v_lshrrev_b32_e32 v0, 8, v0
	s_mov_b32 s6, 0
	s_mov_b32 s8, -1
	s_mov_b32 s7, 0
	s_delay_alu instid0(VALU_DEP_1)
	v_and_or_b32 v3, 0x80, v0, v1
	s_branch .LBB242_1501
.LBB242_1497:
	s_mov_b32 s7, -1
                                        ; implicit-def: $vgpr3
	s_branch .LBB242_1501
.LBB242_1498:
	s_or_saveexec_b32 s8, s8
	v_mov_b32_e32 v0, 0x7f800001
	s_xor_b32 exec_lo, exec_lo, s8
	s_cbranch_execz .LBB242_1455
.LBB242_1499:
	v_cmp_ne_u16_e32 vcc_lo, 0, v1
	v_mov_b32_e32 v0, 0
	s_and_not1_b32 s7, s7, exec_lo
	s_and_b32 s10, vcc_lo, exec_lo
	s_delay_alu instid0(SALU_CYCLE_1)
	s_or_b32 s7, s7, s10
	s_or_b32 exec_lo, exec_lo, s8
	s_and_saveexec_b32 s8, s7
	s_cbranch_execnz .LBB242_1456
	s_branch .LBB242_1457
.LBB242_1500:
	s_mov_b32 s6, -1
                                        ; implicit-def: $vgpr3
	s_mov_b32 s7, 0
.LBB242_1501:
	s_delay_alu instid0(SALU_CYCLE_1)
	s_and_b32 vcc_lo, exec_lo, s7
	s_mov_b32 s7, 0
	s_cbranch_vccz .LBB242_1503
; %bb.1502:
	s_cmp_lg_u32 s3, 11
	s_mov_b32 s7, -1
	s_cselect_b32 s3, -1, 0
	s_and_not1_b32 s6, s6, exec_lo
	s_and_b32 s3, s3, exec_lo
	s_delay_alu instid0(SALU_CYCLE_1)
	s_or_b32 s6, s6, s3
.LBB242_1503:
	s_mov_b32 s3, 0
.LBB242_1504:
	s_delay_alu instid0(SALU_CYCLE_1)
	s_and_b32 s16, s3, exec_lo
	s_and_not1_b32 s3, s1, exec_lo
	s_and_b32 s6, s6, exec_lo
	s_and_b32 s28, s8, exec_lo
	;; [unrolled: 1-line block ×3, first 2 shown]
	s_or_b32 s29, s3, s6
.LBB242_1505:
	s_wait_xcnt 0x0
	s_or_b32 exec_lo, exec_lo, s31
	s_delay_alu instid0(SALU_CYCLE_1)
	s_and_not1_b32 s1, s1, exec_lo
	s_and_b32 s3, s29, exec_lo
	s_and_b32 s28, s28, exec_lo
	;; [unrolled: 1-line block ×4, first 2 shown]
	s_or_b32 s1, s1, s3
.LBB242_1506:
	s_or_b32 exec_lo, exec_lo, s30
	s_delay_alu instid0(SALU_CYCLE_1)
	s_and_not1_b32 s3, s46, exec_lo
	s_and_b32 s2, s2, exec_lo
	s_and_b32 s6, s1, exec_lo
	s_or_b32 s46, s3, s2
	s_and_not1_b32 s3, s45, exec_lo
	s_and_b32 s2, s28, exec_lo
	s_and_b32 s16, s16, exec_lo
	;; [unrolled: 1-line block ×3, first 2 shown]
	s_or_b32 s45, s3, s6
.LBB242_1507:
	s_or_b32 exec_lo, exec_lo, s47
	s_delay_alu instid0(SALU_CYCLE_1)
	s_and_not1_b32 s3, s42, exec_lo
	s_and_b32 s6, s46, exec_lo
	s_and_b32 s2, s2, exec_lo
	s_or_b32 s42, s3, s6
	s_and_not1_b32 s3, s43, exec_lo
	s_and_b32 s6, s45, exec_lo
	s_and_b32 s16, s16, exec_lo
	;; [unrolled: 1-line block ×3, first 2 shown]
	s_or_b32 s43, s3, s6
	s_or_b32 exec_lo, exec_lo, s44
	s_mov_b32 s1, 0
	s_and_saveexec_b32 s3, s43
	s_cbranch_execz .LBB242_443
.LBB242_1508:
	s_mov_b32 s1, exec_lo
	s_and_not1_b32 s23, s23, exec_lo
	s_trap 2
	s_or_b32 exec_lo, exec_lo, s3
	s_and_saveexec_b32 s3, s23
	s_cbranch_execnz .LBB242_444
.LBB242_1509:
	s_or_b32 exec_lo, exec_lo, s3
	s_and_saveexec_b32 s3, s16
	s_cbranch_execz .LBB242_1643
.LBB242_1510:
	s_sext_i32_i16 s6, s37
	s_delay_alu instid0(SALU_CYCLE_1)
	s_cmp_lt_i32 s6, 5
	s_cbranch_scc1 .LBB242_1523
; %bb.1511:
	s_cmp_lt_i32 s6, 8
	s_cbranch_scc1 .LBB242_1524
; %bb.1512:
	;; [unrolled: 3-line block ×3, first 2 shown]
	s_cmp_gt_i32 s6, 9
	s_cbranch_scc0 .LBB242_1526
; %bb.1514:
	s_wait_loadcnt 0x0
	global_load_b64 v[0:1], v[4:5], off
	s_mov_b32 s6, exec_lo
	s_wait_loadcnt 0x0
	v_cvt_f32_f64_e32 v0, v[0:1]
                                        ; implicit-def: $vgpr1
	s_delay_alu instid0(VALU_DEP_1) | instskip(SKIP_1) | instid1(VALU_DEP_1)
	v_and_b32_e32 v3, 0x7fffffff, v0
	s_wait_xcnt 0x0
	v_cmpx_gt_u32_e32 0x47800000, v3
	s_xor_b32 s6, exec_lo, s6
	s_cbranch_execz .LBB242_1520
; %bb.1515:
	s_mov_b32 s7, exec_lo
                                        ; implicit-def: $vgpr1
	v_cmpx_lt_u32_e32 0x387fffff, v3
	s_xor_b32 s7, exec_lo, s7
; %bb.1516:
	v_bfe_u32 v1, v0, 21, 1
	s_delay_alu instid0(VALU_DEP_1) | instskip(NEXT) | instid1(VALU_DEP_1)
	v_add3_u32 v1, v0, v1, 0x80fffff
	v_lshrrev_b32_e32 v1, 21, v1
; %bb.1517:
	s_and_not1_saveexec_b32 s7, s7
; %bb.1518:
	v_add_f32_e64 v1, 0x43000000, |v0|
; %bb.1519:
	s_or_b32 exec_lo, exec_lo, s7
                                        ; implicit-def: $vgpr3
.LBB242_1520:
	s_and_not1_saveexec_b32 s6, s6
; %bb.1521:
	v_mov_b32_e32 v1, 0x7f
	v_cmp_lt_u32_e32 vcc_lo, 0x7f800000, v3
	s_delay_alu instid0(VALU_DEP_2)
	v_cndmask_b32_e32 v1, 0x7c, v1, vcc_lo
; %bb.1522:
	s_or_b32 exec_lo, exec_lo, s6
	v_lshrrev_b32_e32 v0, 24, v0
	s_mov_b32 s6, 0
	s_delay_alu instid0(VALU_DEP_1)
	v_and_or_b32 v3, 0x80, v0, v1
	s_branch .LBB242_1527
.LBB242_1523:
                                        ; implicit-def: $vgpr3
	s_branch .LBB242_1584
.LBB242_1524:
                                        ; implicit-def: $vgpr3
	s_branch .LBB242_1549
.LBB242_1525:
	s_mov_b32 s6, -1
                                        ; implicit-def: $vgpr3
	s_branch .LBB242_1538
.LBB242_1526:
	s_mov_b32 s6, -1
                                        ; implicit-def: $vgpr3
.LBB242_1527:
	s_delay_alu instid0(SALU_CYCLE_1)
	s_and_b32 vcc_lo, exec_lo, s6
	s_cbranch_vccz .LBB242_1537
; %bb.1528:
	global_load_b32 v0, v[4:5], off
	s_mov_b32 s6, exec_lo
                                        ; implicit-def: $vgpr1
	s_wait_loadcnt 0x0
	v_and_b32_e32 v3, 0x7fffffff, v0
	s_wait_xcnt 0x0
	s_delay_alu instid0(VALU_DEP_1)
	v_cmpx_gt_u32_e32 0x47800000, v3
	s_xor_b32 s6, exec_lo, s6
	s_cbranch_execz .LBB242_1534
; %bb.1529:
	s_mov_b32 s7, exec_lo
                                        ; implicit-def: $vgpr1
	v_cmpx_lt_u32_e32 0x387fffff, v3
	s_xor_b32 s7, exec_lo, s7
; %bb.1530:
	v_bfe_u32 v1, v0, 21, 1
	s_delay_alu instid0(VALU_DEP_1) | instskip(NEXT) | instid1(VALU_DEP_1)
	v_add3_u32 v1, v0, v1, 0x80fffff
	v_lshrrev_b32_e32 v1, 21, v1
; %bb.1531:
	s_and_not1_saveexec_b32 s7, s7
; %bb.1532:
	v_add_f32_e64 v1, 0x43000000, |v0|
; %bb.1533:
	s_or_b32 exec_lo, exec_lo, s7
                                        ; implicit-def: $vgpr3
.LBB242_1534:
	s_and_not1_saveexec_b32 s6, s6
; %bb.1535:
	v_mov_b32_e32 v1, 0x7f
	v_cmp_lt_u32_e32 vcc_lo, 0x7f800000, v3
	s_delay_alu instid0(VALU_DEP_2)
	v_cndmask_b32_e32 v1, 0x7c, v1, vcc_lo
; %bb.1536:
	s_or_b32 exec_lo, exec_lo, s6
	v_lshrrev_b32_e32 v0, 24, v0
	s_delay_alu instid0(VALU_DEP_1)
	v_and_or_b32 v3, 0x80, v0, v1
.LBB242_1537:
	s_mov_b32 s6, 0
.LBB242_1538:
	s_delay_alu instid0(SALU_CYCLE_1)
	s_and_not1_b32 vcc_lo, exec_lo, s6
	s_cbranch_vccnz .LBB242_1548
; %bb.1539:
	global_load_b32 v0, v[4:5], off
	s_mov_b32 s6, exec_lo
                                        ; implicit-def: $vgpr1
	s_wait_loadcnt 0x0
	v_cvt_f32_f16_e32 v0, v0
	s_delay_alu instid0(VALU_DEP_1) | instskip(SKIP_1) | instid1(VALU_DEP_1)
	v_and_b32_e32 v3, 0x7fffffff, v0
	s_wait_xcnt 0x0
	v_cmpx_gt_u32_e32 0x47800000, v3
	s_xor_b32 s6, exec_lo, s6
	s_cbranch_execz .LBB242_1545
; %bb.1540:
	s_mov_b32 s7, exec_lo
                                        ; implicit-def: $vgpr1
	v_cmpx_lt_u32_e32 0x387fffff, v3
	s_xor_b32 s7, exec_lo, s7
; %bb.1541:
	v_bfe_u32 v1, v0, 21, 1
	s_delay_alu instid0(VALU_DEP_1) | instskip(NEXT) | instid1(VALU_DEP_1)
	v_add3_u32 v1, v0, v1, 0x80fffff
	v_lshrrev_b32_e32 v1, 21, v1
; %bb.1542:
	s_and_not1_saveexec_b32 s7, s7
; %bb.1543:
	v_add_f32_e64 v1, 0x43000000, |v0|
; %bb.1544:
	s_or_b32 exec_lo, exec_lo, s7
                                        ; implicit-def: $vgpr3
.LBB242_1545:
	s_and_not1_saveexec_b32 s6, s6
; %bb.1546:
	v_mov_b32_e32 v1, 0x7f
	v_cmp_lt_u32_e32 vcc_lo, 0x7f800000, v3
	s_delay_alu instid0(VALU_DEP_2)
	v_cndmask_b32_e32 v1, 0x7c, v1, vcc_lo
; %bb.1547:
	s_or_b32 exec_lo, exec_lo, s6
	v_lshrrev_b32_e32 v0, 24, v0
	s_delay_alu instid0(VALU_DEP_1)
	v_and_or_b32 v3, 0x80, v0, v1
.LBB242_1548:
	s_cbranch_execnz .LBB242_1583
.LBB242_1549:
	s_sext_i32_i16 s6, s37
	s_delay_alu instid0(SALU_CYCLE_1)
	s_cmp_lt_i32 s6, 6
	s_cbranch_scc1 .LBB242_1560
; %bb.1550:
	s_cmp_gt_i32 s6, 6
	s_cbranch_scc0 .LBB242_1561
; %bb.1551:
	s_wait_loadcnt 0x0
	global_load_b64 v[0:1], v[4:5], off
	s_mov_b32 s6, exec_lo
	s_wait_loadcnt 0x0
	v_cvt_f32_f64_e32 v0, v[0:1]
                                        ; implicit-def: $vgpr1
	s_delay_alu instid0(VALU_DEP_1) | instskip(SKIP_1) | instid1(VALU_DEP_1)
	v_and_b32_e32 v3, 0x7fffffff, v0
	s_wait_xcnt 0x0
	v_cmpx_gt_u32_e32 0x47800000, v3
	s_xor_b32 s6, exec_lo, s6
	s_cbranch_execz .LBB242_1557
; %bb.1552:
	s_mov_b32 s7, exec_lo
                                        ; implicit-def: $vgpr1
	v_cmpx_lt_u32_e32 0x387fffff, v3
	s_xor_b32 s7, exec_lo, s7
; %bb.1553:
	v_bfe_u32 v1, v0, 21, 1
	s_delay_alu instid0(VALU_DEP_1) | instskip(NEXT) | instid1(VALU_DEP_1)
	v_add3_u32 v1, v0, v1, 0x80fffff
	v_lshrrev_b32_e32 v1, 21, v1
; %bb.1554:
	s_and_not1_saveexec_b32 s7, s7
; %bb.1555:
	v_add_f32_e64 v1, 0x43000000, |v0|
; %bb.1556:
	s_or_b32 exec_lo, exec_lo, s7
                                        ; implicit-def: $vgpr3
.LBB242_1557:
	s_and_not1_saveexec_b32 s6, s6
; %bb.1558:
	v_mov_b32_e32 v1, 0x7f
	v_cmp_lt_u32_e32 vcc_lo, 0x7f800000, v3
	s_delay_alu instid0(VALU_DEP_2)
	v_cndmask_b32_e32 v1, 0x7c, v1, vcc_lo
; %bb.1559:
	s_or_b32 exec_lo, exec_lo, s6
	v_lshrrev_b32_e32 v0, 24, v0
	s_mov_b32 s6, 0
	s_delay_alu instid0(VALU_DEP_1)
	v_and_or_b32 v3, 0x80, v0, v1
	s_branch .LBB242_1562
.LBB242_1560:
	s_mov_b32 s6, -1
                                        ; implicit-def: $vgpr3
	s_branch .LBB242_1573
.LBB242_1561:
	s_mov_b32 s6, -1
                                        ; implicit-def: $vgpr3
.LBB242_1562:
	s_delay_alu instid0(SALU_CYCLE_1)
	s_and_b32 vcc_lo, exec_lo, s6
	s_cbranch_vccz .LBB242_1572
; %bb.1563:
	global_load_b32 v0, v[4:5], off
	s_mov_b32 s6, exec_lo
                                        ; implicit-def: $vgpr1
	s_wait_loadcnt 0x0
	v_and_b32_e32 v3, 0x7fffffff, v0
	s_wait_xcnt 0x0
	s_delay_alu instid0(VALU_DEP_1)
	v_cmpx_gt_u32_e32 0x47800000, v3
	s_xor_b32 s6, exec_lo, s6
	s_cbranch_execz .LBB242_1569
; %bb.1564:
	s_mov_b32 s7, exec_lo
                                        ; implicit-def: $vgpr1
	v_cmpx_lt_u32_e32 0x387fffff, v3
	s_xor_b32 s7, exec_lo, s7
; %bb.1565:
	v_bfe_u32 v1, v0, 21, 1
	s_delay_alu instid0(VALU_DEP_1) | instskip(NEXT) | instid1(VALU_DEP_1)
	v_add3_u32 v1, v0, v1, 0x80fffff
	v_lshrrev_b32_e32 v1, 21, v1
; %bb.1566:
	s_and_not1_saveexec_b32 s7, s7
; %bb.1567:
	v_add_f32_e64 v1, 0x43000000, |v0|
; %bb.1568:
	s_or_b32 exec_lo, exec_lo, s7
                                        ; implicit-def: $vgpr3
.LBB242_1569:
	s_and_not1_saveexec_b32 s6, s6
; %bb.1570:
	v_mov_b32_e32 v1, 0x7f
	v_cmp_lt_u32_e32 vcc_lo, 0x7f800000, v3
	s_delay_alu instid0(VALU_DEP_2)
	v_cndmask_b32_e32 v1, 0x7c, v1, vcc_lo
; %bb.1571:
	s_or_b32 exec_lo, exec_lo, s6
	v_lshrrev_b32_e32 v0, 24, v0
	s_delay_alu instid0(VALU_DEP_1)
	v_and_or_b32 v3, 0x80, v0, v1
.LBB242_1572:
	s_mov_b32 s6, 0
.LBB242_1573:
	s_delay_alu instid0(SALU_CYCLE_1)
	s_and_not1_b32 vcc_lo, exec_lo, s6
	s_cbranch_vccnz .LBB242_1583
; %bb.1574:
	global_load_u16 v0, v[4:5], off
	s_mov_b32 s6, exec_lo
                                        ; implicit-def: $vgpr1
	s_wait_loadcnt 0x0
	v_cvt_f32_f16_e32 v0, v0
	s_delay_alu instid0(VALU_DEP_1) | instskip(SKIP_1) | instid1(VALU_DEP_1)
	v_and_b32_e32 v3, 0x7fffffff, v0
	s_wait_xcnt 0x0
	v_cmpx_gt_u32_e32 0x47800000, v3
	s_xor_b32 s6, exec_lo, s6
	s_cbranch_execz .LBB242_1580
; %bb.1575:
	s_mov_b32 s7, exec_lo
                                        ; implicit-def: $vgpr1
	v_cmpx_lt_u32_e32 0x387fffff, v3
	s_xor_b32 s7, exec_lo, s7
; %bb.1576:
	v_bfe_u32 v1, v0, 21, 1
	s_delay_alu instid0(VALU_DEP_1) | instskip(NEXT) | instid1(VALU_DEP_1)
	v_add3_u32 v1, v0, v1, 0x80fffff
	v_lshrrev_b32_e32 v1, 21, v1
; %bb.1577:
	s_and_not1_saveexec_b32 s7, s7
; %bb.1578:
	v_add_f32_e64 v1, 0x43000000, |v0|
; %bb.1579:
	s_or_b32 exec_lo, exec_lo, s7
                                        ; implicit-def: $vgpr3
.LBB242_1580:
	s_and_not1_saveexec_b32 s6, s6
; %bb.1581:
	v_mov_b32_e32 v1, 0x7f
	v_cmp_lt_u32_e32 vcc_lo, 0x7f800000, v3
	s_delay_alu instid0(VALU_DEP_2)
	v_cndmask_b32_e32 v1, 0x7c, v1, vcc_lo
; %bb.1582:
	s_or_b32 exec_lo, exec_lo, s6
	v_lshrrev_b32_e32 v0, 24, v0
	s_delay_alu instid0(VALU_DEP_1)
	v_and_or_b32 v3, 0x80, v0, v1
.LBB242_1583:
	s_cbranch_execnz .LBB242_1642
.LBB242_1584:
	s_sext_i32_i16 s6, s37
	s_delay_alu instid0(SALU_CYCLE_1)
	s_cmp_lt_i32 s6, 2
	s_cbranch_scc1 .LBB242_1596
; %bb.1585:
	s_cmp_lt_i32 s6, 3
	s_cbranch_scc1 .LBB242_1597
; %bb.1586:
	s_cmp_gt_i32 s6, 3
	s_cbranch_scc0 .LBB242_1598
; %bb.1587:
	s_wait_loadcnt 0x0
	global_load_b64 v[0:1], v[4:5], off
	s_mov_b32 s6, exec_lo
	s_wait_loadcnt 0x0
	v_xor_b32_e32 v3, v0, v1
	v_cls_i32_e32 v6, v1
	s_delay_alu instid0(VALU_DEP_2) | instskip(NEXT) | instid1(VALU_DEP_1)
	v_ashrrev_i32_e32 v3, 31, v3
	v_add_nc_u32_e32 v3, 32, v3
	s_delay_alu instid0(VALU_DEP_1) | instskip(NEXT) | instid1(VALU_DEP_1)
	v_add_min_u32_e64 v3, v6, -1, v3
	v_lshlrev_b64_e32 v[0:1], v3, v[0:1]
	s_delay_alu instid0(VALU_DEP_1) | instskip(NEXT) | instid1(VALU_DEP_1)
	v_min_u32_e32 v0, 1, v0
	v_dual_sub_nc_u32 v1, 32, v3 :: v_dual_bitop2_b32 v0, v1, v0 bitop3:0x54
	s_delay_alu instid0(VALU_DEP_1) | instskip(NEXT) | instid1(VALU_DEP_1)
	v_cvt_f32_i32_e32 v0, v0
	v_ldexp_f32 v0, v0, v1
                                        ; implicit-def: $vgpr1
	s_delay_alu instid0(VALU_DEP_1) | instskip(SKIP_1) | instid1(VALU_DEP_1)
	v_and_b32_e32 v3, 0x7fffffff, v0
	s_wait_xcnt 0x0
	v_cmpx_gt_u32_e32 0x47800000, v3
	s_xor_b32 s6, exec_lo, s6
	s_cbranch_execz .LBB242_1593
; %bb.1588:
	s_mov_b32 s7, exec_lo
                                        ; implicit-def: $vgpr1
	v_cmpx_lt_u32_e32 0x387fffff, v3
	s_xor_b32 s7, exec_lo, s7
; %bb.1589:
	v_bfe_u32 v1, v0, 21, 1
	s_delay_alu instid0(VALU_DEP_1) | instskip(NEXT) | instid1(VALU_DEP_1)
	v_add3_u32 v1, v0, v1, 0x80fffff
	v_lshrrev_b32_e32 v1, 21, v1
; %bb.1590:
	s_and_not1_saveexec_b32 s7, s7
; %bb.1591:
	v_add_f32_e64 v1, 0x43000000, |v0|
; %bb.1592:
	s_or_b32 exec_lo, exec_lo, s7
                                        ; implicit-def: $vgpr3
.LBB242_1593:
	s_and_not1_saveexec_b32 s6, s6
; %bb.1594:
	v_mov_b32_e32 v1, 0x7f
	v_cmp_lt_u32_e32 vcc_lo, 0x7f800000, v3
	s_delay_alu instid0(VALU_DEP_2)
	v_cndmask_b32_e32 v1, 0x7c, v1, vcc_lo
; %bb.1595:
	s_or_b32 exec_lo, exec_lo, s6
	v_lshrrev_b32_e32 v0, 24, v0
	s_mov_b32 s6, 0
	s_delay_alu instid0(VALU_DEP_1)
	v_and_or_b32 v3, 0x80, v0, v1
	s_branch .LBB242_1599
.LBB242_1596:
                                        ; implicit-def: $vgpr3
	s_branch .LBB242_1621
.LBB242_1597:
	s_mov_b32 s6, -1
                                        ; implicit-def: $vgpr3
	s_branch .LBB242_1610
.LBB242_1598:
	s_mov_b32 s6, -1
                                        ; implicit-def: $vgpr3
.LBB242_1599:
	s_delay_alu instid0(SALU_CYCLE_1)
	s_and_b32 vcc_lo, exec_lo, s6
	s_cbranch_vccz .LBB242_1609
; %bb.1600:
	global_load_b32 v0, v[4:5], off
	s_mov_b32 s6, exec_lo
                                        ; implicit-def: $vgpr1
	s_wait_loadcnt 0x0
	v_cvt_f32_i32_e32 v0, v0
	s_delay_alu instid0(VALU_DEP_1) | instskip(SKIP_1) | instid1(VALU_DEP_1)
	v_and_b32_e32 v3, 0x7fffffff, v0
	s_wait_xcnt 0x0
	v_cmpx_gt_u32_e32 0x47800000, v3
	s_xor_b32 s6, exec_lo, s6
	s_cbranch_execz .LBB242_1606
; %bb.1601:
	s_mov_b32 s7, exec_lo
                                        ; implicit-def: $vgpr1
	v_cmpx_lt_u32_e32 0x387fffff, v3
	s_xor_b32 s7, exec_lo, s7
; %bb.1602:
	v_bfe_u32 v1, v0, 21, 1
	s_delay_alu instid0(VALU_DEP_1) | instskip(NEXT) | instid1(VALU_DEP_1)
	v_add3_u32 v1, v0, v1, 0x80fffff
	v_lshrrev_b32_e32 v1, 21, v1
; %bb.1603:
	s_and_not1_saveexec_b32 s7, s7
; %bb.1604:
	v_add_f32_e64 v1, 0x43000000, |v0|
; %bb.1605:
	s_or_b32 exec_lo, exec_lo, s7
                                        ; implicit-def: $vgpr3
.LBB242_1606:
	s_and_not1_saveexec_b32 s6, s6
; %bb.1607:
	v_mov_b32_e32 v1, 0x7f
	v_cmp_lt_u32_e32 vcc_lo, 0x7f800000, v3
	s_delay_alu instid0(VALU_DEP_2)
	v_cndmask_b32_e32 v1, 0x7c, v1, vcc_lo
; %bb.1608:
	s_or_b32 exec_lo, exec_lo, s6
	v_lshrrev_b32_e32 v0, 24, v0
	s_delay_alu instid0(VALU_DEP_1)
	v_and_or_b32 v3, 0x80, v0, v1
.LBB242_1609:
	s_mov_b32 s6, 0
.LBB242_1610:
	s_delay_alu instid0(SALU_CYCLE_1)
	s_and_not1_b32 vcc_lo, exec_lo, s6
	s_cbranch_vccnz .LBB242_1620
; %bb.1611:
	global_load_i16 v0, v[4:5], off
	s_mov_b32 s6, exec_lo
                                        ; implicit-def: $vgpr1
	s_wait_loadcnt 0x0
	v_cvt_f32_i32_e32 v0, v0
	s_delay_alu instid0(VALU_DEP_1) | instskip(SKIP_1) | instid1(VALU_DEP_1)
	v_and_b32_e32 v3, 0x7fffffff, v0
	s_wait_xcnt 0x0
	v_cmpx_gt_u32_e32 0x47800000, v3
	s_xor_b32 s6, exec_lo, s6
	s_cbranch_execz .LBB242_1617
; %bb.1612:
	s_mov_b32 s7, exec_lo
                                        ; implicit-def: $vgpr1
	v_cmpx_lt_u32_e32 0x387fffff, v3
	s_xor_b32 s7, exec_lo, s7
; %bb.1613:
	v_bfe_u32 v1, v0, 21, 1
	s_delay_alu instid0(VALU_DEP_1) | instskip(NEXT) | instid1(VALU_DEP_1)
	v_add3_u32 v1, v0, v1, 0x80fffff
	v_lshrrev_b32_e32 v1, 21, v1
; %bb.1614:
	s_and_not1_saveexec_b32 s7, s7
; %bb.1615:
	v_add_f32_e64 v1, 0x43000000, |v0|
; %bb.1616:
	s_or_b32 exec_lo, exec_lo, s7
                                        ; implicit-def: $vgpr3
.LBB242_1617:
	s_and_not1_saveexec_b32 s6, s6
; %bb.1618:
	v_mov_b32_e32 v1, 0x7f
	v_cmp_lt_u32_e32 vcc_lo, 0x7f800000, v3
	s_delay_alu instid0(VALU_DEP_2)
	v_cndmask_b32_e32 v1, 0x7c, v1, vcc_lo
; %bb.1619:
	s_or_b32 exec_lo, exec_lo, s6
	v_lshrrev_b32_e32 v0, 24, v0
	s_delay_alu instid0(VALU_DEP_1)
	v_and_or_b32 v3, 0x80, v0, v1
.LBB242_1620:
	s_cbranch_execnz .LBB242_1642
.LBB242_1621:
	s_sext_i32_i16 s6, s37
	s_delay_alu instid0(SALU_CYCLE_1)
	s_cmp_gt_i32 s6, 0
	s_cbranch_scc0 .LBB242_1631
; %bb.1622:
	global_load_i8 v0, v[4:5], off
	s_mov_b32 s6, exec_lo
                                        ; implicit-def: $vgpr1
	s_wait_loadcnt 0x0
	v_cvt_f32_i32_e32 v0, v0
	s_delay_alu instid0(VALU_DEP_1) | instskip(SKIP_1) | instid1(VALU_DEP_1)
	v_and_b32_e32 v3, 0x7fffffff, v0
	s_wait_xcnt 0x0
	v_cmpx_gt_u32_e32 0x47800000, v3
	s_xor_b32 s6, exec_lo, s6
	s_cbranch_execz .LBB242_1628
; %bb.1623:
	s_mov_b32 s7, exec_lo
                                        ; implicit-def: $vgpr1
	v_cmpx_lt_u32_e32 0x387fffff, v3
	s_xor_b32 s7, exec_lo, s7
; %bb.1624:
	v_bfe_u32 v1, v0, 21, 1
	s_delay_alu instid0(VALU_DEP_1) | instskip(NEXT) | instid1(VALU_DEP_1)
	v_add3_u32 v1, v0, v1, 0x80fffff
	v_lshrrev_b32_e32 v1, 21, v1
; %bb.1625:
	s_and_not1_saveexec_b32 s7, s7
; %bb.1626:
	v_add_f32_e64 v1, 0x43000000, |v0|
; %bb.1627:
	s_or_b32 exec_lo, exec_lo, s7
                                        ; implicit-def: $vgpr3
.LBB242_1628:
	s_and_not1_saveexec_b32 s6, s6
; %bb.1629:
	v_mov_b32_e32 v1, 0x7f
	v_cmp_lt_u32_e32 vcc_lo, 0x7f800000, v3
	s_delay_alu instid0(VALU_DEP_2)
	v_cndmask_b32_e32 v1, 0x7c, v1, vcc_lo
; %bb.1630:
	s_or_b32 exec_lo, exec_lo, s6
	v_lshrrev_b32_e32 v0, 24, v0
	s_mov_b32 s6, 0
	s_delay_alu instid0(VALU_DEP_1)
	v_and_or_b32 v3, 0x80, v0, v1
	s_branch .LBB242_1632
.LBB242_1631:
	s_mov_b32 s6, -1
                                        ; implicit-def: $vgpr3
.LBB242_1632:
	s_delay_alu instid0(SALU_CYCLE_1)
	s_and_b32 vcc_lo, exec_lo, s6
	s_cbranch_vccz .LBB242_1642
; %bb.1633:
	global_load_u8 v0, v[4:5], off
	s_mov_b32 s6, exec_lo
                                        ; implicit-def: $vgpr3
	s_wait_loadcnt 0x0
	v_cvt_f32_ubyte0_e32 v0, v0
	s_wait_xcnt 0x0
	s_delay_alu instid0(VALU_DEP_1)
	v_cmpx_gt_u32_e32 0x47800000, v0
	s_xor_b32 s6, exec_lo, s6
	s_cbranch_execz .LBB242_1639
; %bb.1634:
	s_mov_b32 s7, exec_lo
                                        ; implicit-def: $vgpr3
	v_cmpx_lt_u32_e32 0x387fffff, v0
	s_xor_b32 s7, exec_lo, s7
; %bb.1635:
	v_bfe_u32 v1, v0, 21, 1
	s_delay_alu instid0(VALU_DEP_1) | instskip(NEXT) | instid1(VALU_DEP_1)
	v_add3_u32 v0, v0, v1, 0x80fffff
	v_lshrrev_b32_e32 v3, 21, v0
                                        ; implicit-def: $vgpr0
; %bb.1636:
	s_and_not1_saveexec_b32 s7, s7
; %bb.1637:
	v_add_f32_e32 v3, 0x43000000, v0
; %bb.1638:
	s_or_b32 exec_lo, exec_lo, s7
                                        ; implicit-def: $vgpr0
.LBB242_1639:
	s_and_not1_saveexec_b32 s6, s6
; %bb.1640:
	v_mov_b32_e32 v1, 0x7f
	v_cmp_lt_u32_e32 vcc_lo, 0x7f800000, v0
	s_delay_alu instid0(VALU_DEP_2)
	v_cndmask_b32_e32 v3, 0x7c, v1, vcc_lo
; %bb.1641:
	s_or_b32 exec_lo, exec_lo, s6
.LBB242_1642:
	s_delay_alu instid0(SALU_CYCLE_1)
	s_or_b32 s2, s2, exec_lo
.LBB242_1643:
	s_or_b32 exec_lo, exec_lo, s3
	s_mov_b32 s10, 0
	s_mov_b32 s8, 0
                                        ; implicit-def: $sgpr3
                                        ; implicit-def: $sgpr6
                                        ; implicit-def: $vgpr0_vgpr1
	s_and_saveexec_b32 s7, s2
	s_cbranch_execz .LBB242_1651
; %bb.1644:
	s_wait_loadcnt 0x0
	v_lshlrev_b16 v1, 8, v3
	s_and_b32 s6, s18, 0xff
	s_delay_alu instid0(SALU_CYCLE_1) | instskip(NEXT) | instid1(VALU_DEP_1)
	s_cmp_lt_i32 s6, 11
	v_and_or_b32 v4, 0x7f00, v1, 0.5
	v_lshlrev_b32_e32 v0, 25, v3
	v_bfe_i32 v1, v1, 0, 16
	s_delay_alu instid0(VALU_DEP_3) | instskip(NEXT) | instid1(VALU_DEP_3)
	v_add_f32_e32 v4, -0.5, v4
	v_lshrrev_b32_e32 v3, 4, v0
	v_cmp_gt_u32_e32 vcc_lo, 0x8000000, v0
	s_delay_alu instid0(VALU_DEP_2) | instskip(NEXT) | instid1(VALU_DEP_1)
	v_or_b32_e32 v3, 0x70000000, v3
	v_mul_f32_e32 v3, 0x7800000, v3
	s_delay_alu instid0(VALU_DEP_1) | instskip(NEXT) | instid1(VALU_DEP_1)
	v_dual_cndmask_b32 v0, v3, v4 :: v_dual_mov_b32 v3, 0
	v_and_or_b32 v0, 0x80000000, v1, v0
	s_delay_alu instid0(VALU_DEP_1) | instskip(SKIP_3) | instid1(VALU_DEP_1)
	v_cmp_eq_f32_e32 vcc_lo, s9, v0
	v_cndmask_b32_e64 v1, 0, 1, vcc_lo
	v_cmp_neq_f32_e32 vcc_lo, s9, v0
	v_cndmask_b32_e64 v0, 0, 1, vcc_lo
	v_cndmask_b32_e64 v0, v0, v1, s0
	s_delay_alu instid0(VALU_DEP_1) | instskip(SKIP_1) | instid1(VALU_DEP_2)
	v_and_b32_e32 v4, 1, v0
	v_add_nc_u64_e32 v[0:1], s[4:5], v[2:3]
	v_cmp_eq_u32_e64 s3, 1, v4
	s_cbranch_scc1 .LBB242_1654
; %bb.1645:
	s_and_b32 s2, 0xffff, s6
	s_mov_b32 s4, -1
	s_cmp_gt_i32 s2, 25
	s_mov_b32 s0, s42
	s_cbranch_scc0 .LBB242_1682
; %bb.1646:
	s_cmp_gt_i32 s2, 28
	s_mov_b32 s0, s42
	s_cbranch_scc0 .LBB242_1666
; %bb.1647:
	;; [unrolled: 4-line block ×4, first 2 shown]
	s_cmp_eq_u32 s2, 46
	s_mov_b32 s0, -1
	s_cbranch_scc0 .LBB242_1655
; %bb.1650:
	v_cndmask_b32_e64 v2, 0, 1.0, s3
	s_mov_b32 s0, 0
	s_mov_b32 s4, 0
	s_delay_alu instid0(VALU_DEP_1) | instskip(NEXT) | instid1(VALU_DEP_1)
	v_bfe_u32 v3, v2, 16, 1
	v_add3_u32 v2, v2, v3, 0x7fff
	s_delay_alu instid0(VALU_DEP_1)
	v_lshrrev_b32_e32 v2, 16, v2
	global_store_b32 v[0:1], v2, off
	s_branch .LBB242_1656
.LBB242_1651:
	s_or_b32 exec_lo, exec_lo, s7
	s_and_saveexec_b32 s0, s42
	s_cbranch_execnz .LBB242_1724
.LBB242_1652:
	s_or_b32 exec_lo, exec_lo, s0
	s_and_saveexec_b32 s0, s10
	s_delay_alu instid0(SALU_CYCLE_1)
	s_xor_b32 s0, exec_lo, s0
	s_cbranch_execz .LBB242_1725
.LBB242_1653:
	v_cndmask_b32_e64 v2, 0, 1, s3
	s_wait_loadcnt 0x0
	global_store_b8 v[0:1], v2, off
	s_wait_xcnt 0x0
	s_or_b32 exec_lo, exec_lo, s0
	s_and_saveexec_b32 s0, s8
	s_delay_alu instid0(SALU_CYCLE_1)
	s_xor_b32 s0, exec_lo, s0
	s_cbranch_execz .LBB242_1763
	s_branch .LBB242_1726
.LBB242_1654:
	s_mov_b32 s5, 0
	s_mov_b32 s4, -1
	s_mov_b32 s0, s42
	s_branch .LBB242_1723
.LBB242_1655:
	s_mov_b32 s4, 0
.LBB242_1656:
	s_delay_alu instid0(SALU_CYCLE_1)
	s_and_b32 vcc_lo, exec_lo, s4
	s_cbranch_vccz .LBB242_1661
; %bb.1657:
	s_cmp_eq_u32 s2, 44
	s_mov_b32 s0, -1
	s_cbranch_scc0 .LBB242_1661
; %bb.1658:
	v_cndmask_b32_e64 v4, 0, 1.0, s3
	s_mov_b32 s4, exec_lo
	s_wait_xcnt 0x0
	s_delay_alu instid0(VALU_DEP_1) | instskip(NEXT) | instid1(VALU_DEP_1)
	v_dual_mov_b32 v3, 0xff :: v_dual_lshrrev_b32 v2, 23, v4
	v_cmpx_ne_u32_e32 0xff, v2
; %bb.1659:
	v_and_b32_e32 v3, 0x400000, v4
	v_and_or_b32 v4, 0x3fffff, v4, v2
	s_delay_alu instid0(VALU_DEP_2) | instskip(NEXT) | instid1(VALU_DEP_2)
	v_cmp_ne_u32_e32 vcc_lo, 0, v3
	v_cmp_ne_u32_e64 s0, 0, v4
	s_and_b32 s0, vcc_lo, s0
	s_delay_alu instid0(SALU_CYCLE_1) | instskip(NEXT) | instid1(VALU_DEP_1)
	v_cndmask_b32_e64 v3, 0, 1, s0
	v_add_nc_u32_e32 v3, v2, v3
; %bb.1660:
	s_or_b32 exec_lo, exec_lo, s4
	s_mov_b32 s0, 0
	global_store_b8 v[0:1], v3, off
.LBB242_1661:
	s_mov_b32 s4, 0
.LBB242_1662:
	s_delay_alu instid0(SALU_CYCLE_1)
	s_and_b32 vcc_lo, exec_lo, s4
	s_cbranch_vccz .LBB242_1665
; %bb.1663:
	s_cmp_eq_u32 s2, 29
	s_mov_b32 s0, -1
	s_cbranch_scc0 .LBB242_1665
; %bb.1664:
	s_mov_b32 s0, 0
	s_wait_xcnt 0x0
	v_cndmask_b32_e64 v2, 0, 1, s3
	v_mov_b32_e32 v3, s0
	s_mov_b32 s4, 0
	global_store_b64 v[0:1], v[2:3], off
	s_branch .LBB242_1666
.LBB242_1665:
	s_mov_b32 s4, 0
.LBB242_1666:
	s_delay_alu instid0(SALU_CYCLE_1)
	s_and_b32 vcc_lo, exec_lo, s4
	s_cbranch_vccz .LBB242_1681
; %bb.1667:
	s_cmp_lt_i32 s2, 27
	s_mov_b32 s4, -1
	s_cbranch_scc1 .LBB242_1673
; %bb.1668:
	s_cmp_gt_i32 s2, 27
	s_cbranch_scc0 .LBB242_1670
; %bb.1669:
	s_wait_xcnt 0x0
	v_cndmask_b32_e64 v2, 0, 1, s3
	s_mov_b32 s4, 0
	global_store_b32 v[0:1], v2, off
.LBB242_1670:
	s_and_not1_b32 vcc_lo, exec_lo, s4
	s_cbranch_vccnz .LBB242_1672
; %bb.1671:
	s_wait_xcnt 0x0
	v_cndmask_b32_e64 v2, 0, 1, s3
	global_store_b16 v[0:1], v2, off
.LBB242_1672:
	s_mov_b32 s4, 0
.LBB242_1673:
	s_delay_alu instid0(SALU_CYCLE_1)
	s_and_not1_b32 vcc_lo, exec_lo, s4
	s_cbranch_vccnz .LBB242_1681
; %bb.1674:
	s_wait_xcnt 0x0
	v_cndmask_b32_e64 v3, 0, 1.0, s3
	v_mov_b32_e32 v4, 0x80
	s_mov_b32 s4, exec_lo
	s_delay_alu instid0(VALU_DEP_2)
	v_cmpx_gt_u32_e32 0x43800000, v3
	s_cbranch_execz .LBB242_1680
; %bb.1675:
	s_mov_b32 s5, 0
	s_mov_b32 s8, exec_lo
                                        ; implicit-def: $vgpr2
	v_cmpx_lt_u32_e32 0x3bffffff, v3
	s_xor_b32 s8, exec_lo, s8
	s_cbranch_execz .LBB242_1846
; %bb.1676:
	v_bfe_u32 v2, v3, 20, 1
	s_mov_b32 s5, exec_lo
	s_delay_alu instid0(VALU_DEP_1) | instskip(NEXT) | instid1(VALU_DEP_1)
	v_add3_u32 v2, v3, v2, 0x487ffff
                                        ; implicit-def: $vgpr3
	v_lshrrev_b32_e32 v2, 20, v2
	s_and_not1_saveexec_b32 s8, s8
	s_cbranch_execnz .LBB242_1847
.LBB242_1677:
	s_or_b32 exec_lo, exec_lo, s8
	v_mov_b32_e32 v4, 0
	s_and_saveexec_b32 s8, s5
.LBB242_1678:
	v_mov_b32_e32 v4, v2
.LBB242_1679:
	s_or_b32 exec_lo, exec_lo, s8
.LBB242_1680:
	s_delay_alu instid0(SALU_CYCLE_1)
	s_or_b32 exec_lo, exec_lo, s4
	global_store_b8 v[0:1], v4, off
.LBB242_1681:
	s_mov_b32 s4, 0
.LBB242_1682:
	s_delay_alu instid0(SALU_CYCLE_1)
	s_and_b32 vcc_lo, exec_lo, s4
	s_mov_b32 s4, 0
	s_cbranch_vccz .LBB242_1722
; %bb.1683:
	s_cmp_gt_i32 s2, 22
	s_mov_b32 s5, -1
	s_cbranch_scc0 .LBB242_1715
; %bb.1684:
	s_cmp_lt_i32 s2, 24
	s_cbranch_scc1 .LBB242_1704
; %bb.1685:
	s_cmp_gt_i32 s2, 24
	s_cbranch_scc0 .LBB242_1693
; %bb.1686:
	s_wait_xcnt 0x0
	v_cndmask_b32_e64 v3, 0, 1.0, s3
	v_mov_b32_e32 v4, 0x80
	s_mov_b32 s5, exec_lo
	s_delay_alu instid0(VALU_DEP_2)
	v_cmpx_gt_u32_e32 0x47800000, v3
	s_cbranch_execz .LBB242_1692
; %bb.1687:
	s_mov_b32 s8, 0
	s_mov_b32 s9, exec_lo
                                        ; implicit-def: $vgpr2
	v_cmpx_lt_u32_e32 0x37ffffff, v3
	s_xor_b32 s9, exec_lo, s9
	s_cbranch_execz .LBB242_2138
; %bb.1688:
	v_bfe_u32 v2, v3, 21, 1
	s_mov_b32 s8, exec_lo
	s_delay_alu instid0(VALU_DEP_1) | instskip(NEXT) | instid1(VALU_DEP_1)
	v_add3_u32 v2, v3, v2, 0x88fffff
                                        ; implicit-def: $vgpr3
	v_lshrrev_b32_e32 v2, 21, v2
	s_and_not1_saveexec_b32 s9, s9
	s_cbranch_execnz .LBB242_2139
.LBB242_1689:
	s_or_b32 exec_lo, exec_lo, s9
	v_mov_b32_e32 v4, 0
	s_and_saveexec_b32 s9, s8
.LBB242_1690:
	v_mov_b32_e32 v4, v2
.LBB242_1691:
	s_or_b32 exec_lo, exec_lo, s9
.LBB242_1692:
	s_delay_alu instid0(SALU_CYCLE_1)
	s_or_b32 exec_lo, exec_lo, s5
	s_mov_b32 s5, 0
	global_store_b8 v[0:1], v4, off
.LBB242_1693:
	s_and_b32 vcc_lo, exec_lo, s5
	s_cbranch_vccz .LBB242_1703
; %bb.1694:
	s_wait_xcnt 0x0
	v_cndmask_b32_e64 v3, 0, 1.0, s3
	s_mov_b32 s5, exec_lo
                                        ; implicit-def: $vgpr2
	s_delay_alu instid0(VALU_DEP_1)
	v_cmpx_gt_u32_e32 0x43f00000, v3
	s_xor_b32 s5, exec_lo, s5
	s_cbranch_execz .LBB242_1700
; %bb.1695:
	s_mov_b32 s8, exec_lo
                                        ; implicit-def: $vgpr2
	v_cmpx_lt_u32_e32 0x3c7fffff, v3
	s_xor_b32 s8, exec_lo, s8
; %bb.1696:
	v_bfe_u32 v2, v3, 20, 1
	s_delay_alu instid0(VALU_DEP_1) | instskip(NEXT) | instid1(VALU_DEP_1)
	v_add3_u32 v2, v3, v2, 0x407ffff
	v_and_b32_e32 v3, 0xff00000, v2
	v_lshrrev_b32_e32 v2, 20, v2
	s_delay_alu instid0(VALU_DEP_2) | instskip(NEXT) | instid1(VALU_DEP_2)
	v_cmp_ne_u32_e32 vcc_lo, 0x7f00000, v3
                                        ; implicit-def: $vgpr3
	v_cndmask_b32_e32 v2, 0x7e, v2, vcc_lo
; %bb.1697:
	s_and_not1_saveexec_b32 s8, s8
; %bb.1698:
	v_add_f32_e32 v2, 0x46800000, v3
; %bb.1699:
	s_or_b32 exec_lo, exec_lo, s8
                                        ; implicit-def: $vgpr3
.LBB242_1700:
	s_and_not1_saveexec_b32 s5, s5
; %bb.1701:
	v_mov_b32_e32 v2, 0x7f
	v_cmp_lt_u32_e32 vcc_lo, 0x7f800000, v3
	s_delay_alu instid0(VALU_DEP_2)
	v_cndmask_b32_e32 v2, 0x7e, v2, vcc_lo
; %bb.1702:
	s_or_b32 exec_lo, exec_lo, s5
	global_store_b8 v[0:1], v2, off
.LBB242_1703:
	s_mov_b32 s5, 0
.LBB242_1704:
	s_delay_alu instid0(SALU_CYCLE_1)
	s_and_not1_b32 vcc_lo, exec_lo, s5
	s_cbranch_vccnz .LBB242_1714
; %bb.1705:
	s_wait_xcnt 0x0
	v_cndmask_b32_e64 v3, 0, 1.0, s3
	s_mov_b32 s5, exec_lo
                                        ; implicit-def: $vgpr2
	s_delay_alu instid0(VALU_DEP_1)
	v_cmpx_gt_u32_e32 0x47800000, v3
	s_xor_b32 s5, exec_lo, s5
	s_cbranch_execz .LBB242_1711
; %bb.1706:
	s_mov_b32 s8, exec_lo
                                        ; implicit-def: $vgpr2
	v_cmpx_lt_u32_e32 0x387fffff, v3
	s_xor_b32 s8, exec_lo, s8
; %bb.1707:
	v_bfe_u32 v2, v3, 21, 1
	s_delay_alu instid0(VALU_DEP_1) | instskip(NEXT) | instid1(VALU_DEP_1)
	v_add3_u32 v2, v3, v2, 0x80fffff
                                        ; implicit-def: $vgpr3
	v_lshrrev_b32_e32 v2, 21, v2
; %bb.1708:
	s_and_not1_saveexec_b32 s8, s8
; %bb.1709:
	v_add_f32_e32 v2, 0x43000000, v3
; %bb.1710:
	s_or_b32 exec_lo, exec_lo, s8
                                        ; implicit-def: $vgpr3
.LBB242_1711:
	s_and_not1_saveexec_b32 s5, s5
; %bb.1712:
	v_mov_b32_e32 v2, 0x7f
	v_cmp_lt_u32_e32 vcc_lo, 0x7f800000, v3
	s_delay_alu instid0(VALU_DEP_2)
	v_cndmask_b32_e32 v2, 0x7c, v2, vcc_lo
; %bb.1713:
	s_or_b32 exec_lo, exec_lo, s5
	global_store_b8 v[0:1], v2, off
.LBB242_1714:
	s_mov_b32 s5, 0
.LBB242_1715:
	s_delay_alu instid0(SALU_CYCLE_1)
	s_and_not1_b32 vcc_lo, exec_lo, s5
	s_mov_b32 s5, 0
	s_cbranch_vccnz .LBB242_1723
; %bb.1716:
	s_cmp_gt_i32 s2, 14
	s_mov_b32 s5, -1
	s_cbranch_scc0 .LBB242_1720
; %bb.1717:
	s_cmp_eq_u32 s2, 15
	s_mov_b32 s0, -1
	s_cbranch_scc0 .LBB242_1719
; %bb.1718:
	s_wait_xcnt 0x0
	v_cndmask_b32_e64 v2, 0, 1.0, s3
	s_mov_b32 s0, 0
	s_delay_alu instid0(VALU_DEP_1) | instskip(NEXT) | instid1(VALU_DEP_1)
	v_bfe_u32 v3, v2, 16, 1
	v_add3_u32 v2, v2, v3, 0x7fff
	global_store_d16_hi_b16 v[0:1], v2, off
.LBB242_1719:
	s_mov_b32 s5, 0
.LBB242_1720:
	s_delay_alu instid0(SALU_CYCLE_1)
	s_and_b32 vcc_lo, exec_lo, s5
	s_mov_b32 s5, 0
	s_cbranch_vccz .LBB242_1723
; %bb.1721:
	s_cmp_lg_u32 s2, 11
	s_mov_b32 s5, -1
	s_cselect_b32 s2, -1, 0
	s_and_not1_b32 s0, s0, exec_lo
	s_and_b32 s2, s2, exec_lo
	s_delay_alu instid0(SALU_CYCLE_1)
	s_or_b32 s0, s0, s2
	s_branch .LBB242_1723
.LBB242_1722:
	s_mov_b32 s5, 0
.LBB242_1723:
	s_and_not1_b32 s2, s42, exec_lo
	s_and_b32 s0, s0, exec_lo
	s_and_b32 s8, s4, exec_lo
	;; [unrolled: 1-line block ×3, first 2 shown]
	s_or_b32 s42, s2, s0
	s_wait_xcnt 0x0
	s_or_b32 exec_lo, exec_lo, s7
	s_and_saveexec_b32 s0, s42
	s_cbranch_execz .LBB242_1652
.LBB242_1724:
	s_or_b32 s1, s1, exec_lo
	s_and_not1_b32 s10, s10, exec_lo
	s_trap 2
	s_or_b32 exec_lo, exec_lo, s0
	s_and_saveexec_b32 s0, s10
	s_delay_alu instid0(SALU_CYCLE_1)
	s_xor_b32 s0, exec_lo, s0
	s_cbranch_execnz .LBB242_1653
.LBB242_1725:
	s_or_b32 exec_lo, exec_lo, s0
	s_and_saveexec_b32 s0, s8
	s_delay_alu instid0(SALU_CYCLE_1)
	s_xor_b32 s0, exec_lo, s0
	s_cbranch_execz .LBB242_1763
.LBB242_1726:
	s_sext_i32_i16 s4, s6
	s_mov_b32 s2, -1
	s_cmp_lt_i32 s4, 5
	s_cbranch_scc1 .LBB242_1747
; %bb.1727:
	s_cmp_lt_i32 s4, 8
	s_cbranch_scc1 .LBB242_1737
; %bb.1728:
	;; [unrolled: 3-line block ×3, first 2 shown]
	s_cmp_gt_i32 s4, 9
	s_cbranch_scc0 .LBB242_1731
; %bb.1730:
	v_cndmask_b32_e64 v2, 0, 1, s3
	v_mov_b32_e32 v4, 0
	s_mov_b32 s2, 0
	s_wait_loadcnt 0x0
	s_delay_alu instid0(VALU_DEP_2) | instskip(NEXT) | instid1(VALU_DEP_2)
	v_cvt_f64_u32_e32 v[2:3], v2
	v_mov_b32_e32 v5, v4
	global_store_b128 v[0:1], v[2:5], off
.LBB242_1731:
	s_and_not1_b32 vcc_lo, exec_lo, s2
	s_cbranch_vccnz .LBB242_1733
; %bb.1732:
	s_wait_xcnt 0x0
	v_cndmask_b32_e64 v2, 0, 1.0, s3
	s_wait_loadcnt 0x0
	v_mov_b32_e32 v3, 0
	global_store_b64 v[0:1], v[2:3], off
.LBB242_1733:
	s_mov_b32 s2, 0
.LBB242_1734:
	s_delay_alu instid0(SALU_CYCLE_1)
	s_and_not1_b32 vcc_lo, exec_lo, s2
	s_cbranch_vccnz .LBB242_1736
; %bb.1735:
	s_wait_xcnt 0x0
	v_cndmask_b32_e64 v2, 0, 1.0, s3
	s_delay_alu instid0(VALU_DEP_1) | instskip(NEXT) | instid1(VALU_DEP_1)
	v_cvt_f16_f32_e32 v2, v2
	v_and_b32_e32 v2, 0xffff, v2
	s_wait_loadcnt 0x0
	global_store_b32 v[0:1], v2, off
.LBB242_1736:
	s_mov_b32 s2, 0
.LBB242_1737:
	s_delay_alu instid0(SALU_CYCLE_1)
	s_and_not1_b32 vcc_lo, exec_lo, s2
	s_cbranch_vccnz .LBB242_1746
; %bb.1738:
	s_sext_i32_i16 s4, s6
	s_mov_b32 s2, -1
	s_cmp_lt_i32 s4, 6
	s_cbranch_scc1 .LBB242_1744
; %bb.1739:
	s_cmp_gt_i32 s4, 6
	s_cbranch_scc0 .LBB242_1741
; %bb.1740:
	s_wait_xcnt 0x0
	v_cndmask_b32_e64 v2, 0, 1, s3
	s_mov_b32 s2, 0
	s_wait_loadcnt 0x0
	s_delay_alu instid0(VALU_DEP_1)
	v_cvt_f64_u32_e32 v[2:3], v2
	global_store_b64 v[0:1], v[2:3], off
.LBB242_1741:
	s_and_not1_b32 vcc_lo, exec_lo, s2
	s_cbranch_vccnz .LBB242_1743
; %bb.1742:
	s_wait_xcnt 0x0
	v_cndmask_b32_e64 v2, 0, 1.0, s3
	s_wait_loadcnt 0x0
	global_store_b32 v[0:1], v2, off
.LBB242_1743:
	s_mov_b32 s2, 0
.LBB242_1744:
	s_delay_alu instid0(SALU_CYCLE_1)
	s_and_not1_b32 vcc_lo, exec_lo, s2
	s_cbranch_vccnz .LBB242_1746
; %bb.1745:
	s_wait_xcnt 0x0
	v_cndmask_b32_e64 v2, 0, 1.0, s3
	s_delay_alu instid0(VALU_DEP_1)
	v_cvt_f16_f32_e32 v2, v2
	s_wait_loadcnt 0x0
	global_store_b16 v[0:1], v2, off
.LBB242_1746:
	s_mov_b32 s2, 0
.LBB242_1747:
	s_delay_alu instid0(SALU_CYCLE_1)
	s_and_not1_b32 vcc_lo, exec_lo, s2
	s_cbranch_vccnz .LBB242_1763
; %bb.1748:
	s_sext_i32_i16 s4, s6
	s_mov_b32 s2, -1
	s_cmp_lt_i32 s4, 2
	s_cbranch_scc1 .LBB242_1758
; %bb.1749:
	s_cmp_lt_i32 s4, 3
	s_cbranch_scc1 .LBB242_1755
; %bb.1750:
	s_cmp_gt_i32 s4, 3
	s_cbranch_scc0 .LBB242_1752
; %bb.1751:
	s_mov_b32 s2, 0
	s_wait_xcnt 0x0
	v_cndmask_b32_e64 v2, 0, 1, s3
	s_wait_loadcnt 0x0
	v_mov_b32_e32 v3, s2
	global_store_b64 v[0:1], v[2:3], off
.LBB242_1752:
	s_and_not1_b32 vcc_lo, exec_lo, s2
	s_cbranch_vccnz .LBB242_1754
; %bb.1753:
	s_wait_xcnt 0x0
	v_cndmask_b32_e64 v2, 0, 1, s3
	s_wait_loadcnt 0x0
	global_store_b32 v[0:1], v2, off
.LBB242_1754:
	s_mov_b32 s2, 0
.LBB242_1755:
	s_delay_alu instid0(SALU_CYCLE_1)
	s_and_not1_b32 vcc_lo, exec_lo, s2
	s_cbranch_vccnz .LBB242_1757
; %bb.1756:
	s_wait_xcnt 0x0
	v_cndmask_b32_e64 v2, 0, 1, s3
	s_wait_loadcnt 0x0
	global_store_b16 v[0:1], v2, off
.LBB242_1757:
	s_mov_b32 s2, 0
.LBB242_1758:
	s_delay_alu instid0(SALU_CYCLE_1)
	s_and_not1_b32 vcc_lo, exec_lo, s2
	s_cbranch_vccnz .LBB242_1763
; %bb.1759:
	s_sext_i32_i16 s2, s6
	s_delay_alu instid0(SALU_CYCLE_1)
	s_cmp_gt_i32 s2, 0
	s_mov_b32 s2, -1
	s_cbranch_scc0 .LBB242_1761
; %bb.1760:
	s_wait_xcnt 0x0
	v_cndmask_b32_e64 v2, 0, 1, s3
	s_mov_b32 s2, 0
	s_wait_loadcnt 0x0
	global_store_b8 v[0:1], v2, off
.LBB242_1761:
	s_and_not1_b32 vcc_lo, exec_lo, s2
	s_cbranch_vccnz .LBB242_1763
; %bb.1762:
	s_wait_xcnt 0x0
	v_cndmask_b32_e64 v2, 0, 1, s3
	s_wait_loadcnt 0x0
	global_store_b8 v[0:1], v2, off
.LBB242_1763:
	s_wait_xcnt 0x0
	s_or_b32 exec_lo, exec_lo, s0
	s_delay_alu instid0(SALU_CYCLE_1)
	s_and_b32 s8, s1, exec_lo
                                        ; implicit-def: $vgpr9
                                        ; implicit-def: $vgpr0
.LBB242_1764:
	s_or_saveexec_b32 s9, s36
	s_mov_b32 s0, 0
                                        ; implicit-def: $sgpr1
                                        ; implicit-def: $vgpr2_vgpr3
                                        ; implicit-def: $sgpr6
	s_xor_b32 exec_lo, exec_lo, s9
	s_cbranch_execz .LBB242_3442
; %bb.1765:
	s_wait_loadcnt 0x0
	v_cndmask_b32_e64 v1, 0, 1, s35
	s_and_not1_b32 vcc_lo, exec_lo, s35
	s_cbranch_vccnz .LBB242_1771
; %bb.1766:
	s_cmp_lg_u32 s19, 0
	s_mov_b32 s6, 0
	s_cbranch_scc0 .LBB242_1772
; %bb.1767:
	s_min_u32 s1, s33, 15
	s_delay_alu instid0(SALU_CYCLE_1)
	s_add_co_i32 s1, s1, 1
	s_cmp_eq_u32 s33, 2
	s_cbranch_scc1 .LBB242_1773
; %bb.1768:
	v_dual_mov_b32 v6, 0 :: v_dual_mov_b32 v14, 0
	v_mov_b32_e32 v2, v0
	s_and_b32 s0, s1, 28
	s_add_nc_u64 s[2:3], s[20:21], 0xc4
	s_mov_b32 s7, 0
	s_mov_b64 s[4:5], s[20:21]
.LBB242_1769:                           ; =>This Inner Loop Header: Depth=1
	s_clause 0x1
	s_load_b256 s[24:31], s[4:5], 0x4
	s_load_b128 s[12:15], s[4:5], 0x24
	s_load_b256 s[36:43], s[2:3], 0x0
	s_add_co_i32 s7, s7, 4
	s_wait_xcnt 0x0
	s_add_nc_u64 s[4:5], s[4:5], 48
	s_cmp_lg_u32 s0, s7
	s_add_nc_u64 s[2:3], s[2:3], 32
	s_wait_kmcnt 0x0
	v_mul_hi_u32 v3, s25, v2
	s_delay_alu instid0(VALU_DEP_1) | instskip(NEXT) | instid1(VALU_DEP_1)
	v_add_nc_u32_e32 v3, v2, v3
	v_lshrrev_b32_e32 v3, s26, v3
	s_delay_alu instid0(VALU_DEP_1) | instskip(NEXT) | instid1(VALU_DEP_1)
	v_mul_hi_u32 v4, s28, v3
	v_add_nc_u32_e32 v4, v3, v4
	s_delay_alu instid0(VALU_DEP_1) | instskip(NEXT) | instid1(VALU_DEP_1)
	v_lshrrev_b32_e32 v4, s29, v4
	v_mul_hi_u32 v5, s31, v4
	s_delay_alu instid0(VALU_DEP_1) | instskip(SKIP_1) | instid1(VALU_DEP_1)
	v_add_nc_u32_e32 v5, v4, v5
	v_mul_lo_u32 v7, v3, s24
	v_sub_nc_u32_e32 v2, v2, v7
	v_mul_lo_u32 v7, v4, s27
	s_delay_alu instid0(VALU_DEP_4) | instskip(NEXT) | instid1(VALU_DEP_3)
	v_lshrrev_b32_e32 v5, s12, v5
	v_mad_u32 v10, v2, s37, v14
	v_mad_u32 v2, v2, s36, v6
	s_delay_alu instid0(VALU_DEP_4) | instskip(NEXT) | instid1(VALU_DEP_4)
	v_sub_nc_u32_e32 v3, v3, v7
	v_mul_hi_u32 v8, s14, v5
	v_mul_lo_u32 v6, v5, s30
	s_delay_alu instid0(VALU_DEP_1) | instskip(NEXT) | instid1(VALU_DEP_4)
	v_dual_add_nc_u32 v7, v5, v8 :: v_dual_sub_nc_u32 v4, v4, v6
	v_mad_u32 v8, v3, s39, v10
	v_mad_u32 v3, v3, s38, v2
	s_delay_alu instid0(VALU_DEP_3) | instskip(NEXT) | instid1(VALU_DEP_1)
	v_lshrrev_b32_e32 v2, s15, v7
	v_mul_lo_u32 v6, v2, s13
	s_delay_alu instid0(VALU_DEP_4) | instskip(NEXT) | instid1(VALU_DEP_4)
	v_mad_u32 v7, v4, s41, v8
	v_mad_u32 v3, v4, s40, v3
	s_delay_alu instid0(VALU_DEP_3) | instskip(NEXT) | instid1(VALU_DEP_1)
	v_sub_nc_u32_e32 v4, v5, v6
	v_mad_u32 v14, v4, s43, v7
	s_delay_alu instid0(VALU_DEP_3)
	v_mad_u32 v6, v4, s42, v3
	s_cbranch_scc1 .LBB242_1769
; %bb.1770:
	s_delay_alu instid0(VALU_DEP_2)
	v_mov_b32_e32 v7, v14
	s_and_b32 s4, s1, 3
	s_mov_b32 s1, 0
	s_cmp_eq_u32 s4, 0
	s_cbranch_scc0 .LBB242_1774
	s_branch .LBB242_1777
.LBB242_1771:
	s_mov_b32 s6, -1
                                        ; implicit-def: $vgpr14
                                        ; implicit-def: $vgpr6
	s_branch .LBB242_1777
.LBB242_1772:
	v_dual_mov_b32 v14, 0 :: v_dual_mov_b32 v6, 0
	s_branch .LBB242_1777
.LBB242_1773:
	v_mov_b64_e32 v[6:7], 0
	v_mov_b32_e32 v2, v0
                                        ; implicit-def: $vgpr14
	s_and_b32 s4, s1, 3
	s_mov_b32 s1, 0
	s_cmp_eq_u32 s4, 0
	s_cbranch_scc1 .LBB242_1777
.LBB242_1774:
	s_lshl_b32 s2, s0, 3
	s_mov_b32 s3, s1
	s_mul_u64 s[10:11], s[0:1], 12
	s_add_nc_u64 s[2:3], s[20:21], s[2:3]
	s_delay_alu instid0(SALU_CYCLE_1)
	s_add_nc_u64 s[0:1], s[2:3], 0xc4
	s_add_nc_u64 s[2:3], s[20:21], s[10:11]
.LBB242_1775:                           ; =>This Inner Loop Header: Depth=1
	s_load_b96 s[12:14], s[2:3], 0x4
	s_load_b64 s[10:11], s[0:1], 0x0
	s_add_co_i32 s4, s4, -1
	s_wait_xcnt 0x0
	s_add_nc_u64 s[2:3], s[2:3], 12
	s_cmp_lg_u32 s4, 0
	s_add_nc_u64 s[0:1], s[0:1], 8
	s_wait_kmcnt 0x0
	v_mul_hi_u32 v3, s13, v2
	s_delay_alu instid0(VALU_DEP_1) | instskip(NEXT) | instid1(VALU_DEP_1)
	v_add_nc_u32_e32 v3, v2, v3
	v_lshrrev_b32_e32 v3, s14, v3
	s_delay_alu instid0(VALU_DEP_1) | instskip(NEXT) | instid1(VALU_DEP_1)
	v_mul_lo_u32 v4, v3, s12
	v_sub_nc_u32_e32 v2, v2, v4
	s_delay_alu instid0(VALU_DEP_1)
	v_mad_u32 v7, v2, s11, v7
	v_mad_u32 v6, v2, s10, v6
	v_mov_b32_e32 v2, v3
	s_cbranch_scc1 .LBB242_1775
; %bb.1776:
	s_delay_alu instid0(VALU_DEP_3)
	v_mov_b32_e32 v14, v7
.LBB242_1777:
	s_and_not1_b32 vcc_lo, exec_lo, s6
	s_cbranch_vccnz .LBB242_1780
; %bb.1778:
	s_clause 0x1
	s_load_b96 s[0:2], s[20:21], 0x4
	s_load_b64 s[4:5], s[20:21], 0xc4
	s_cmp_lt_u32 s19, 2
	s_wait_kmcnt 0x0
	v_mul_hi_u32 v2, s1, v0
	s_delay_alu instid0(VALU_DEP_1) | instskip(NEXT) | instid1(VALU_DEP_1)
	v_add_nc_u32_e32 v2, v0, v2
	v_lshrrev_b32_e32 v2, s2, v2
	s_delay_alu instid0(VALU_DEP_1) | instskip(NEXT) | instid1(VALU_DEP_1)
	v_mul_lo_u32 v3, v2, s0
	v_sub_nc_u32_e32 v3, v0, v3
	s_delay_alu instid0(VALU_DEP_1)
	v_mul_lo_u32 v14, v3, s5
	v_mul_lo_u32 v6, v3, s4
	s_cbranch_scc1 .LBB242_1780
; %bb.1779:
	s_clause 0x1
	s_load_b96 s[0:2], s[20:21], 0x10
	s_load_b64 s[4:5], s[20:21], 0xcc
	s_wait_kmcnt 0x0
	v_mul_hi_u32 v3, s1, v2
	s_delay_alu instid0(VALU_DEP_1) | instskip(NEXT) | instid1(VALU_DEP_1)
	v_add_nc_u32_e32 v3, v2, v3
	v_lshrrev_b32_e32 v3, s2, v3
	s_delay_alu instid0(VALU_DEP_1) | instskip(NEXT) | instid1(VALU_DEP_1)
	v_mul_lo_u32 v3, v3, s0
	v_sub_nc_u32_e32 v2, v2, v3
	s_delay_alu instid0(VALU_DEP_1)
	v_mad_u32 v6, v2, s4, v6
	v_mad_u32 v14, v2, s5, v14
.LBB242_1780:
	v_cmp_ne_u32_e32 vcc_lo, 1, v1
	v_add_nc_u32_e32 v2, 0x80, v0
	s_cbranch_vccnz .LBB242_1786
; %bb.1781:
	s_cmp_lg_u32 s19, 0
	s_mov_b32 s6, 0
	s_cbranch_scc0 .LBB242_1787
; %bb.1782:
	s_min_u32 s1, s33, 15
	s_delay_alu instid0(SALU_CYCLE_1)
	s_add_co_i32 s1, s1, 1
	s_cmp_eq_u32 s33, 2
	s_cbranch_scc1 .LBB242_1788
; %bb.1783:
	v_dual_mov_b32 v4, 0 :: v_dual_mov_b32 v12, 0
	v_mov_b32_e32 v3, v2
	s_and_b32 s0, s1, 28
	s_add_nc_u64 s[2:3], s[20:21], 0xc4
	s_mov_b32 s7, 0
	s_mov_b64 s[4:5], s[20:21]
.LBB242_1784:                           ; =>This Inner Loop Header: Depth=1
	s_clause 0x1
	s_load_b256 s[24:31], s[4:5], 0x4
	s_load_b128 s[12:15], s[4:5], 0x24
	s_load_b256 s[36:43], s[2:3], 0x0
	s_add_co_i32 s7, s7, 4
	s_wait_xcnt 0x0
	s_add_nc_u64 s[4:5], s[4:5], 48
	s_cmp_lg_u32 s0, s7
	s_add_nc_u64 s[2:3], s[2:3], 32
	s_wait_kmcnt 0x0
	v_mul_hi_u32 v5, s25, v3
	s_delay_alu instid0(VALU_DEP_1) | instskip(NEXT) | instid1(VALU_DEP_1)
	v_add_nc_u32_e32 v5, v3, v5
	v_lshrrev_b32_e32 v5, s26, v5
	s_delay_alu instid0(VALU_DEP_1) | instskip(NEXT) | instid1(VALU_DEP_1)
	v_mul_hi_u32 v7, s28, v5
	v_add_nc_u32_e32 v7, v5, v7
	s_delay_alu instid0(VALU_DEP_1) | instskip(NEXT) | instid1(VALU_DEP_1)
	v_lshrrev_b32_e32 v7, s29, v7
	v_mul_hi_u32 v8, s31, v7
	s_delay_alu instid0(VALU_DEP_1) | instskip(SKIP_1) | instid1(VALU_DEP_1)
	v_add_nc_u32_e32 v8, v7, v8
	v_mul_lo_u32 v10, v5, s24
	v_sub_nc_u32_e32 v3, v3, v10
	v_mul_lo_u32 v10, v7, s27
	s_delay_alu instid0(VALU_DEP_4) | instskip(NEXT) | instid1(VALU_DEP_3)
	v_lshrrev_b32_e32 v8, s12, v8
	v_mad_u32 v12, v3, s37, v12
	v_mad_u32 v3, v3, s36, v4
	s_delay_alu instid0(VALU_DEP_4) | instskip(NEXT) | instid1(VALU_DEP_4)
	v_sub_nc_u32_e32 v4, v5, v10
	v_mul_hi_u32 v11, s14, v8
	v_mul_lo_u32 v5, v8, s30
	s_delay_alu instid0(VALU_DEP_1) | instskip(NEXT) | instid1(VALU_DEP_4)
	v_dual_add_nc_u32 v10, v8, v11 :: v_dual_sub_nc_u32 v5, v7, v5
	v_mad_u32 v11, v4, s39, v12
	v_mad_u32 v4, v4, s38, v3
	s_delay_alu instid0(VALU_DEP_3) | instskip(NEXT) | instid1(VALU_DEP_1)
	v_lshrrev_b32_e32 v3, s15, v10
	v_mul_lo_u32 v7, v3, s13
	s_delay_alu instid0(VALU_DEP_4) | instskip(NEXT) | instid1(VALU_DEP_4)
	v_mad_u32 v10, v5, s41, v11
	v_mad_u32 v4, v5, s40, v4
	s_delay_alu instid0(VALU_DEP_3) | instskip(NEXT) | instid1(VALU_DEP_1)
	v_sub_nc_u32_e32 v5, v8, v7
	v_mad_u32 v12, v5, s43, v10
	s_delay_alu instid0(VALU_DEP_3)
	v_mad_u32 v4, v5, s42, v4
	s_cbranch_scc1 .LBB242_1784
; %bb.1785:
	s_delay_alu instid0(VALU_DEP_2)
	v_mov_b32_e32 v5, v12
	s_and_b32 s4, s1, 3
	s_mov_b32 s1, 0
	s_cmp_eq_u32 s4, 0
	s_cbranch_scc0 .LBB242_1789
	s_branch .LBB242_1792
.LBB242_1786:
	s_mov_b32 s6, -1
                                        ; implicit-def: $vgpr12
                                        ; implicit-def: $vgpr4
	s_branch .LBB242_1792
.LBB242_1787:
	v_dual_mov_b32 v12, 0 :: v_dual_mov_b32 v4, 0
	s_branch .LBB242_1792
.LBB242_1788:
	v_mov_b64_e32 v[4:5], 0
	v_mov_b32_e32 v3, v2
	s_mov_b32 s0, 0
                                        ; implicit-def: $vgpr12
	s_and_b32 s4, s1, 3
	s_mov_b32 s1, 0
	s_cmp_eq_u32 s4, 0
	s_cbranch_scc1 .LBB242_1792
.LBB242_1789:
	s_lshl_b32 s2, s0, 3
	s_mov_b32 s3, s1
	s_mul_u64 s[10:11], s[0:1], 12
	s_add_nc_u64 s[2:3], s[20:21], s[2:3]
	s_delay_alu instid0(SALU_CYCLE_1)
	s_add_nc_u64 s[0:1], s[2:3], 0xc4
	s_add_nc_u64 s[2:3], s[20:21], s[10:11]
.LBB242_1790:                           ; =>This Inner Loop Header: Depth=1
	s_load_b96 s[12:14], s[2:3], 0x4
	s_load_b64 s[10:11], s[0:1], 0x0
	s_add_co_i32 s4, s4, -1
	s_wait_xcnt 0x0
	s_add_nc_u64 s[2:3], s[2:3], 12
	s_cmp_lg_u32 s4, 0
	s_add_nc_u64 s[0:1], s[0:1], 8
	s_wait_kmcnt 0x0
	v_mul_hi_u32 v7, s13, v3
	s_delay_alu instid0(VALU_DEP_1) | instskip(NEXT) | instid1(VALU_DEP_1)
	v_add_nc_u32_e32 v7, v3, v7
	v_lshrrev_b32_e32 v7, s14, v7
	s_delay_alu instid0(VALU_DEP_1) | instskip(NEXT) | instid1(VALU_DEP_1)
	v_mul_lo_u32 v8, v7, s12
	v_sub_nc_u32_e32 v3, v3, v8
	s_delay_alu instid0(VALU_DEP_1)
	v_mad_u32 v5, v3, s11, v5
	v_mad_u32 v4, v3, s10, v4
	v_mov_b32_e32 v3, v7
	s_cbranch_scc1 .LBB242_1790
; %bb.1791:
	s_delay_alu instid0(VALU_DEP_3)
	v_mov_b32_e32 v12, v5
.LBB242_1792:
	s_and_not1_b32 vcc_lo, exec_lo, s6
	s_cbranch_vccnz .LBB242_1795
; %bb.1793:
	s_clause 0x1
	s_load_b96 s[0:2], s[20:21], 0x4
	s_load_b64 s[4:5], s[20:21], 0xc4
	s_cmp_lt_u32 s19, 2
	s_wait_kmcnt 0x0
	v_mul_hi_u32 v3, s1, v2
	s_delay_alu instid0(VALU_DEP_1) | instskip(NEXT) | instid1(VALU_DEP_1)
	v_add_nc_u32_e32 v3, v2, v3
	v_lshrrev_b32_e32 v3, s2, v3
	s_delay_alu instid0(VALU_DEP_1) | instskip(NEXT) | instid1(VALU_DEP_1)
	v_mul_lo_u32 v4, v3, s0
	v_sub_nc_u32_e32 v2, v2, v4
	s_delay_alu instid0(VALU_DEP_1)
	v_mul_lo_u32 v12, v2, s5
	v_mul_lo_u32 v4, v2, s4
	s_cbranch_scc1 .LBB242_1795
; %bb.1794:
	s_clause 0x1
	s_load_b96 s[0:2], s[20:21], 0x10
	s_load_b64 s[4:5], s[20:21], 0xcc
	s_wait_kmcnt 0x0
	v_mul_hi_u32 v2, s1, v3
	s_delay_alu instid0(VALU_DEP_1) | instskip(NEXT) | instid1(VALU_DEP_1)
	v_add_nc_u32_e32 v2, v3, v2
	v_lshrrev_b32_e32 v2, s2, v2
	s_delay_alu instid0(VALU_DEP_1) | instskip(NEXT) | instid1(VALU_DEP_1)
	v_mul_lo_u32 v2, v2, s0
	v_sub_nc_u32_e32 v2, v3, v2
	s_delay_alu instid0(VALU_DEP_1)
	v_mad_u32 v4, v2, s4, v4
	v_mad_u32 v12, v2, s5, v12
.LBB242_1795:
	v_cmp_ne_u32_e32 vcc_lo, 1, v1
	v_add_nc_u32_e32 v0, 0x100, v0
	s_cbranch_vccnz .LBB242_1801
; %bb.1796:
	s_cmp_lg_u32 s19, 0
	s_mov_b32 s6, 0
	s_cbranch_scc0 .LBB242_1802
; %bb.1797:
	s_min_u32 s1, s33, 15
	s_delay_alu instid0(SALU_CYCLE_1)
	s_add_co_i32 s1, s1, 1
	s_cmp_eq_u32 s33, 2
	s_cbranch_scc1 .LBB242_1803
; %bb.1798:
	v_dual_mov_b32 v2, 0 :: v_dual_mov_b32 v10, 0
	v_mov_b32_e32 v5, v0
	s_and_b32 s0, s1, 28
	s_add_nc_u64 s[2:3], s[20:21], 0xc4
	s_mov_b32 s7, 0
	s_mov_b64 s[4:5], s[20:21]
.LBB242_1799:                           ; =>This Inner Loop Header: Depth=1
	s_clause 0x1
	s_load_b256 s[24:31], s[4:5], 0x4
	s_load_b128 s[12:15], s[4:5], 0x24
	s_load_b256 s[36:43], s[2:3], 0x0
	s_add_co_i32 s7, s7, 4
	s_wait_xcnt 0x0
	s_add_nc_u64 s[4:5], s[4:5], 48
	s_cmp_lg_u32 s0, s7
	s_add_nc_u64 s[2:3], s[2:3], 32
	s_wait_kmcnt 0x0
	v_mul_hi_u32 v3, s25, v5
	s_delay_alu instid0(VALU_DEP_1) | instskip(NEXT) | instid1(VALU_DEP_1)
	v_add_nc_u32_e32 v3, v5, v3
	v_lshrrev_b32_e32 v3, s26, v3
	s_delay_alu instid0(VALU_DEP_1) | instskip(NEXT) | instid1(VALU_DEP_1)
	v_mul_hi_u32 v7, s28, v3
	v_add_nc_u32_e32 v7, v3, v7
	s_delay_alu instid0(VALU_DEP_1) | instskip(NEXT) | instid1(VALU_DEP_1)
	v_lshrrev_b32_e32 v7, s29, v7
	v_mul_hi_u32 v8, s31, v7
	s_delay_alu instid0(VALU_DEP_1) | instskip(NEXT) | instid1(VALU_DEP_1)
	v_add_nc_u32_e32 v8, v7, v8
	v_lshrrev_b32_e32 v8, s12, v8
	v_mul_lo_u32 v11, v3, s24
	s_delay_alu instid0(VALU_DEP_2) | instskip(NEXT) | instid1(VALU_DEP_2)
	v_mul_hi_u32 v13, s14, v8
	v_sub_nc_u32_e32 v5, v5, v11
	s_delay_alu instid0(VALU_DEP_1) | instskip(SKIP_1) | instid1(VALU_DEP_4)
	v_mad_u32 v10, v5, s37, v10
	v_mad_u32 v2, v5, s36, v2
	v_add_nc_u32_e32 v5, v8, v13
	s_delay_alu instid0(VALU_DEP_1) | instskip(SKIP_1) | instid1(VALU_DEP_1)
	v_lshrrev_b32_e32 v5, s15, v5
	v_mul_lo_u32 v11, v7, s27
	v_sub_nc_u32_e32 v3, v3, v11
	v_mul_lo_u32 v11, v8, s30
	s_delay_alu instid0(VALU_DEP_2) | instskip(SKIP_1) | instid1(VALU_DEP_3)
	v_mad_u32 v10, v3, s39, v10
	v_mad_u32 v2, v3, s38, v2
	v_sub_nc_u32_e32 v3, v7, v11
	v_mul_lo_u32 v7, v5, s13
	s_delay_alu instid0(VALU_DEP_2) | instskip(NEXT) | instid1(VALU_DEP_4)
	v_mad_u32 v10, v3, s41, v10
	v_mad_u32 v2, v3, s40, v2
	s_delay_alu instid0(VALU_DEP_3) | instskip(NEXT) | instid1(VALU_DEP_1)
	v_sub_nc_u32_e32 v3, v8, v7
	v_mad_u32 v10, v3, s43, v10
	s_delay_alu instid0(VALU_DEP_3)
	v_mad_u32 v2, v3, s42, v2
	s_cbranch_scc1 .LBB242_1799
; %bb.1800:
	s_delay_alu instid0(VALU_DEP_2)
	v_mov_b32_e32 v3, v10
	s_and_b32 s4, s1, 3
	s_mov_b32 s1, 0
	s_cmp_eq_u32 s4, 0
	s_cbranch_scc0 .LBB242_1804
	s_branch .LBB242_1807
.LBB242_1801:
	s_mov_b32 s6, -1
                                        ; implicit-def: $vgpr10
                                        ; implicit-def: $vgpr2
	s_branch .LBB242_1807
.LBB242_1802:
	v_dual_mov_b32 v10, 0 :: v_dual_mov_b32 v2, 0
	s_branch .LBB242_1807
.LBB242_1803:
	v_mov_b64_e32 v[2:3], 0
	v_mov_b32_e32 v5, v0
	s_mov_b32 s0, 0
                                        ; implicit-def: $vgpr10
	s_and_b32 s4, s1, 3
	s_mov_b32 s1, 0
	s_cmp_eq_u32 s4, 0
	s_cbranch_scc1 .LBB242_1807
.LBB242_1804:
	s_lshl_b32 s2, s0, 3
	s_mov_b32 s3, s1
	s_mul_u64 s[10:11], s[0:1], 12
	s_add_nc_u64 s[2:3], s[20:21], s[2:3]
	s_delay_alu instid0(SALU_CYCLE_1)
	s_add_nc_u64 s[0:1], s[2:3], 0xc4
	s_add_nc_u64 s[2:3], s[20:21], s[10:11]
.LBB242_1805:                           ; =>This Inner Loop Header: Depth=1
	s_load_b96 s[12:14], s[2:3], 0x4
	s_load_b64 s[10:11], s[0:1], 0x0
	s_add_co_i32 s4, s4, -1
	s_wait_xcnt 0x0
	s_add_nc_u64 s[2:3], s[2:3], 12
	s_cmp_lg_u32 s4, 0
	s_add_nc_u64 s[0:1], s[0:1], 8
	s_wait_kmcnt 0x0
	v_mul_hi_u32 v7, s13, v5
	s_delay_alu instid0(VALU_DEP_1) | instskip(NEXT) | instid1(VALU_DEP_1)
	v_add_nc_u32_e32 v7, v5, v7
	v_lshrrev_b32_e32 v7, s14, v7
	s_delay_alu instid0(VALU_DEP_1) | instskip(NEXT) | instid1(VALU_DEP_1)
	v_mul_lo_u32 v8, v7, s12
	v_sub_nc_u32_e32 v5, v5, v8
	s_delay_alu instid0(VALU_DEP_1)
	v_mad_u32 v3, v5, s11, v3
	v_mad_u32 v2, v5, s10, v2
	v_mov_b32_e32 v5, v7
	s_cbranch_scc1 .LBB242_1805
; %bb.1806:
	s_delay_alu instid0(VALU_DEP_3)
	v_mov_b32_e32 v10, v3
.LBB242_1807:
	s_and_not1_b32 vcc_lo, exec_lo, s6
	s_cbranch_vccnz .LBB242_1810
; %bb.1808:
	s_clause 0x1
	s_load_b96 s[0:2], s[20:21], 0x4
	s_load_b64 s[4:5], s[20:21], 0xc4
	s_cmp_lt_u32 s19, 2
	s_wait_kmcnt 0x0
	v_mul_hi_u32 v2, s1, v0
	s_delay_alu instid0(VALU_DEP_1) | instskip(NEXT) | instid1(VALU_DEP_1)
	v_add_nc_u32_e32 v2, v0, v2
	v_lshrrev_b32_e32 v3, s2, v2
	s_delay_alu instid0(VALU_DEP_1) | instskip(NEXT) | instid1(VALU_DEP_1)
	v_mul_lo_u32 v2, v3, s0
	v_sub_nc_u32_e32 v0, v0, v2
	s_delay_alu instid0(VALU_DEP_1)
	v_mul_lo_u32 v10, v0, s5
	v_mul_lo_u32 v2, v0, s4
	s_cbranch_scc1 .LBB242_1810
; %bb.1809:
	s_clause 0x1
	s_load_b96 s[0:2], s[20:21], 0x10
	s_load_b64 s[4:5], s[20:21], 0xcc
	s_wait_kmcnt 0x0
	v_mul_hi_u32 v0, s1, v3
	s_delay_alu instid0(VALU_DEP_1) | instskip(NEXT) | instid1(VALU_DEP_1)
	v_add_nc_u32_e32 v0, v3, v0
	v_lshrrev_b32_e32 v0, s2, v0
	s_delay_alu instid0(VALU_DEP_1) | instskip(NEXT) | instid1(VALU_DEP_1)
	v_mul_lo_u32 v0, v0, s0
	v_sub_nc_u32_e32 v0, v3, v0
	s_delay_alu instid0(VALU_DEP_1)
	v_mad_u32 v2, v0, s4, v2
	v_mad_u32 v10, v0, s5, v10
.LBB242_1810:
	v_cmp_ne_u32_e32 vcc_lo, 1, v1
	s_cbranch_vccnz .LBB242_1816
; %bb.1811:
	s_cmp_lg_u32 s19, 0
	s_mov_b32 s6, 0
	s_cbranch_scc0 .LBB242_1817
; %bb.1812:
	s_min_u32 s1, s33, 15
	s_delay_alu instid0(SALU_CYCLE_1)
	s_add_co_i32 s1, s1, 1
	s_cmp_eq_u32 s33, 2
	s_cbranch_scc1 .LBB242_1818
; %bb.1813:
	v_dual_mov_b32 v0, 0 :: v_dual_mov_b32 v8, 0
	v_mov_b32_e32 v3, v9
	s_and_b32 s0, s1, 28
	s_add_nc_u64 s[2:3], s[20:21], 0xc4
	s_mov_b32 s7, 0
	s_mov_b64 s[4:5], s[20:21]
.LBB242_1814:                           ; =>This Inner Loop Header: Depth=1
	s_clause 0x1
	s_load_b256 s[24:31], s[4:5], 0x4
	s_load_b128 s[12:15], s[4:5], 0x24
	s_load_b256 s[36:43], s[2:3], 0x0
	s_add_co_i32 s7, s7, 4
	s_wait_xcnt 0x0
	s_add_nc_u64 s[4:5], s[4:5], 48
	s_cmp_lg_u32 s0, s7
	s_add_nc_u64 s[2:3], s[2:3], 32
	s_wait_kmcnt 0x0
	v_mul_hi_u32 v1, s25, v3
	s_delay_alu instid0(VALU_DEP_1) | instskip(NEXT) | instid1(VALU_DEP_1)
	v_add_nc_u32_e32 v1, v3, v1
	v_lshrrev_b32_e32 v1, s26, v1
	s_delay_alu instid0(VALU_DEP_1) | instskip(NEXT) | instid1(VALU_DEP_1)
	v_mul_lo_u32 v11, v1, s24
	v_sub_nc_u32_e32 v3, v3, v11
	v_mul_hi_u32 v5, s28, v1
	s_delay_alu instid0(VALU_DEP_2) | instskip(SKIP_1) | instid1(VALU_DEP_3)
	v_mad_u32 v8, v3, s37, v8
	v_mad_u32 v0, v3, s36, v0
	v_add_nc_u32_e32 v5, v1, v5
	s_delay_alu instid0(VALU_DEP_1) | instskip(NEXT) | instid1(VALU_DEP_1)
	v_lshrrev_b32_e32 v5, s29, v5
	v_mul_lo_u32 v11, v5, s27
	s_delay_alu instid0(VALU_DEP_1) | instskip(SKIP_1) | instid1(VALU_DEP_2)
	v_sub_nc_u32_e32 v1, v1, v11
	v_mul_hi_u32 v7, s31, v5
	v_mad_u32 v8, v1, s39, v8
	v_mad_u32 v0, v1, s38, v0
	s_delay_alu instid0(VALU_DEP_3) | instskip(NEXT) | instid1(VALU_DEP_1)
	v_add_nc_u32_e32 v7, v5, v7
	v_lshrrev_b32_e32 v7, s12, v7
	s_delay_alu instid0(VALU_DEP_1) | instskip(SKIP_1) | instid1(VALU_DEP_1)
	v_mul_hi_u32 v13, s14, v7
	v_mul_lo_u32 v11, v7, s30
	v_dual_add_nc_u32 v3, v7, v13 :: v_dual_sub_nc_u32 v1, v5, v11
	s_delay_alu instid0(VALU_DEP_1) | instskip(NEXT) | instid1(VALU_DEP_2)
	v_lshrrev_b32_e32 v3, s15, v3
	v_mad_u32 v8, v1, s41, v8
	v_mad_u32 v0, v1, s40, v0
	s_delay_alu instid0(VALU_DEP_3) | instskip(NEXT) | instid1(VALU_DEP_1)
	v_mul_lo_u32 v5, v3, s13
	v_sub_nc_u32_e32 v1, v7, v5
	s_delay_alu instid0(VALU_DEP_1) | instskip(NEXT) | instid1(VALU_DEP_4)
	v_mad_u32 v8, v1, s43, v8
	v_mad_u32 v0, v1, s42, v0
	s_cbranch_scc1 .LBB242_1814
; %bb.1815:
	s_delay_alu instid0(VALU_DEP_2)
	v_mov_b32_e32 v1, v8
	s_and_b32 s4, s1, 3
	s_mov_b32 s1, 0
	s_cmp_eq_u32 s4, 0
	s_cbranch_scc0 .LBB242_1819
	s_branch .LBB242_1822
.LBB242_1816:
	s_mov_b32 s6, -1
                                        ; implicit-def: $vgpr8
                                        ; implicit-def: $vgpr0
	s_branch .LBB242_1822
.LBB242_1817:
	v_dual_mov_b32 v8, 0 :: v_dual_mov_b32 v0, 0
	s_branch .LBB242_1822
.LBB242_1818:
	v_mov_b64_e32 v[0:1], 0
	v_mov_b32_e32 v3, v9
	s_mov_b32 s0, 0
                                        ; implicit-def: $vgpr8
	s_and_b32 s4, s1, 3
	s_mov_b32 s1, 0
	s_cmp_eq_u32 s4, 0
	s_cbranch_scc1 .LBB242_1822
.LBB242_1819:
	s_lshl_b32 s2, s0, 3
	s_mov_b32 s3, s1
	s_mul_u64 s[10:11], s[0:1], 12
	s_add_nc_u64 s[2:3], s[20:21], s[2:3]
	s_delay_alu instid0(SALU_CYCLE_1)
	s_add_nc_u64 s[0:1], s[2:3], 0xc4
	s_add_nc_u64 s[2:3], s[20:21], s[10:11]
.LBB242_1820:                           ; =>This Inner Loop Header: Depth=1
	s_load_b96 s[12:14], s[2:3], 0x4
	s_load_b64 s[10:11], s[0:1], 0x0
	s_add_co_i32 s4, s4, -1
	s_wait_xcnt 0x0
	s_add_nc_u64 s[2:3], s[2:3], 12
	s_cmp_lg_u32 s4, 0
	s_add_nc_u64 s[0:1], s[0:1], 8
	s_wait_kmcnt 0x0
	v_mul_hi_u32 v5, s13, v3
	s_delay_alu instid0(VALU_DEP_1) | instskip(NEXT) | instid1(VALU_DEP_1)
	v_add_nc_u32_e32 v5, v3, v5
	v_lshrrev_b32_e32 v5, s14, v5
	s_delay_alu instid0(VALU_DEP_1) | instskip(NEXT) | instid1(VALU_DEP_1)
	v_mul_lo_u32 v7, v5, s12
	v_sub_nc_u32_e32 v3, v3, v7
	s_delay_alu instid0(VALU_DEP_1)
	v_mad_u32 v1, v3, s11, v1
	v_mad_u32 v0, v3, s10, v0
	v_mov_b32_e32 v3, v5
	s_cbranch_scc1 .LBB242_1820
; %bb.1821:
	s_delay_alu instid0(VALU_DEP_3)
	v_mov_b32_e32 v8, v1
.LBB242_1822:
	s_and_not1_b32 vcc_lo, exec_lo, s6
	s_cbranch_vccnz .LBB242_1825
; %bb.1823:
	s_clause 0x1
	s_load_b96 s[0:2], s[20:21], 0x4
	s_load_b64 s[4:5], s[20:21], 0xc4
	s_cmp_lt_u32 s19, 2
	s_wait_kmcnt 0x0
	v_mul_hi_u32 v0, s1, v9
	s_delay_alu instid0(VALU_DEP_1) | instskip(NEXT) | instid1(VALU_DEP_1)
	v_add_nc_u32_e32 v0, v9, v0
	v_lshrrev_b32_e32 v1, s2, v0
	s_delay_alu instid0(VALU_DEP_1) | instskip(NEXT) | instid1(VALU_DEP_1)
	v_mul_lo_u32 v0, v1, s0
	v_sub_nc_u32_e32 v0, v9, v0
	s_delay_alu instid0(VALU_DEP_1)
	v_mul_lo_u32 v8, v0, s5
	v_mul_lo_u32 v0, v0, s4
	s_cbranch_scc1 .LBB242_1825
; %bb.1824:
	s_clause 0x1
	s_load_b96 s[0:2], s[20:21], 0x10
	s_load_b64 s[4:5], s[20:21], 0xcc
	s_wait_kmcnt 0x0
	v_mul_hi_u32 v3, s1, v1
	s_delay_alu instid0(VALU_DEP_1) | instskip(NEXT) | instid1(VALU_DEP_1)
	v_add_nc_u32_e32 v3, v1, v3
	v_lshrrev_b32_e32 v3, s2, v3
	s_delay_alu instid0(VALU_DEP_1) | instskip(NEXT) | instid1(VALU_DEP_1)
	v_mul_lo_u32 v3, v3, s0
	v_sub_nc_u32_e32 v1, v1, v3
	s_delay_alu instid0(VALU_DEP_1)
	v_mad_u32 v0, v1, s4, v0
	v_mad_u32 v8, v1, s5, v8
.LBB242_1825:
	v_mov_b32_e32 v15, 0
	s_load_b128 s[4:7], s[20:21], 0x148
	global_load_u8 v1, v15, s[20:21] offset:353
	s_wait_kmcnt 0x0
	v_add_nc_u64_e32 v[14:15], s[6:7], v[14:15]
	s_wait_loadcnt 0x0
	v_and_b32_e32 v3, 0xffff, v1
	v_readfirstlane_b32 s0, v1
	s_delay_alu instid0(VALU_DEP_2)
	v_cmp_gt_i32_e32 vcc_lo, 11, v3
	s_cbranch_vccnz .LBB242_1840
; %bb.1826:
	s_and_b32 s1, 0xffff, s0
	s_mov_b32 s10, 0
	s_cmp_gt_i32 s1, 25
	s_cbranch_scc0 .LBB242_1842
; %bb.1827:
	s_cmp_gt_i32 s1, 28
	s_cbranch_scc0 .LBB242_1843
; %bb.1828:
	;; [unrolled: 3-line block ×4, first 2 shown]
	s_cmp_eq_u32 s1, 46
	s_mov_b32 s3, 0
	s_cbranch_scc0 .LBB242_1848
; %bb.1831:
	global_load_b32 v1, v[14:15], off
	s_mov_b32 s2, exec_lo
                                        ; implicit-def: $vgpr3
	s_wait_loadcnt 0x0
	v_lshlrev_b32_e32 v1, 16, v1
	s_delay_alu instid0(VALU_DEP_1) | instskip(SKIP_1) | instid1(VALU_DEP_1)
	v_and_b32_e32 v5, 0x7fffffff, v1
	s_wait_xcnt 0x0
	v_cmpx_gt_u32_e32 0x47800000, v5
	s_xor_b32 s2, exec_lo, s2
	s_cbranch_execz .LBB242_1837
; %bb.1832:
	s_mov_b32 s11, exec_lo
                                        ; implicit-def: $vgpr3
	v_cmpx_lt_u32_e32 0x387fffff, v5
	s_xor_b32 s11, exec_lo, s11
; %bb.1833:
	v_bfe_u32 v3, v1, 21, 1
	s_delay_alu instid0(VALU_DEP_1) | instskip(NEXT) | instid1(VALU_DEP_1)
	v_add3_u32 v3, v1, v3, 0x80fffff
	v_lshrrev_b32_e32 v3, 21, v3
; %bb.1834:
	s_and_not1_saveexec_b32 s11, s11
; %bb.1835:
	v_add_f32_e64 v3, 0x43000000, |v1|
; %bb.1836:
	s_or_b32 exec_lo, exec_lo, s11
                                        ; implicit-def: $vgpr5
.LBB242_1837:
	s_and_not1_saveexec_b32 s2, s2
; %bb.1838:
	v_mov_b32_e32 v3, 0x7f
	v_cmp_lt_u32_e32 vcc_lo, 0x7f800000, v5
	s_delay_alu instid0(VALU_DEP_2)
	v_cndmask_b32_e32 v3, 0x7c, v3, vcc_lo
; %bb.1839:
	s_or_b32 exec_lo, exec_lo, s2
	v_lshrrev_b32_e32 v1, 24, v1
	s_mov_b32 s2, 0
	s_mov_b32 s11, -1
	s_delay_alu instid0(VALU_DEP_1)
	v_and_or_b32 v1, 0x80, v1, v3
	s_branch .LBB242_1850
.LBB242_1840:
	s_mov_b32 s11, 0
	s_mov_b32 s3, s8
                                        ; implicit-def: $vgpr1
	s_cbranch_execnz .LBB242_1982
.LBB242_1841:
	s_and_not1_b32 vcc_lo, exec_lo, s11
	s_cbranch_vccz .LBB242_2116
	s_branch .LBB242_3440
.LBB242_1842:
	s_mov_b32 s11, 0
	s_mov_b32 s2, 0
                                        ; implicit-def: $vgpr1
	s_cbranch_execnz .LBB242_1918
	s_branch .LBB242_1970
.LBB242_1843:
	s_mov_b32 s11, 0
	s_mov_b32 s2, 0
                                        ; implicit-def: $vgpr1
	s_cbranch_execnz .LBB242_1876
	s_branch .LBB242_1917
.LBB242_1844:
	s_mov_b32 s3, -1
	s_mov_b32 s11, 0
	s_mov_b32 s2, 0
                                        ; implicit-def: $vgpr1
	s_branch .LBB242_1863
.LBB242_1845:
	s_mov_b32 s3, -1
	s_mov_b32 s11, 0
	s_mov_b32 s2, 0
	s_branch .LBB242_1849
.LBB242_1846:
	s_and_not1_saveexec_b32 s8, s8
	s_cbranch_execz .LBB242_1677
.LBB242_1847:
	v_add_f32_e32 v2, 0x46000000, v3
	s_and_not1_b32 s5, s5, exec_lo
	s_delay_alu instid0(VALU_DEP_1) | instskip(NEXT) | instid1(VALU_DEP_1)
	v_and_b32_e32 v2, 0xff, v2
	v_cmp_ne_u32_e32 vcc_lo, 0, v2
	s_and_b32 s9, vcc_lo, exec_lo
	s_delay_alu instid0(SALU_CYCLE_1)
	s_or_b32 s5, s5, s9
	s_or_b32 exec_lo, exec_lo, s8
	v_mov_b32_e32 v4, 0
	s_and_saveexec_b32 s8, s5
	s_cbranch_execnz .LBB242_1678
	s_branch .LBB242_1679
.LBB242_1848:
	s_mov_b32 s2, -1
	s_mov_b32 s11, 0
.LBB242_1849:
                                        ; implicit-def: $vgpr1
.LBB242_1850:
	s_and_b32 vcc_lo, exec_lo, s3
	s_cbranch_vccz .LBB242_1862
; %bb.1851:
	s_cmp_eq_u32 s1, 44
	s_cbranch_scc0 .LBB242_1861
; %bb.1852:
	global_load_u8 v1, v[14:15], off
	s_mov_b32 s2, exec_lo
	s_wait_loadcnt 0x0
	v_lshlrev_b32_e32 v3, 23, v1
	v_cmp_ne_u32_e32 vcc_lo, 0xff, v1
	s_delay_alu instid0(VALU_DEP_2) | instskip(SKIP_1) | instid1(VALU_DEP_2)
	v_cndmask_b32_e32 v3, 0x7f800001, v3, vcc_lo
	v_cmp_ne_u32_e32 vcc_lo, 0, v1
                                        ; implicit-def: $vgpr1
	v_cndmask_b32_e32 v3, 0x400000, v3, vcc_lo
	s_wait_xcnt 0x0
	s_delay_alu instid0(VALU_DEP_1)
	v_cmpx_gt_u32_e32 0x47800000, v3
	s_xor_b32 s2, exec_lo, s2
	s_cbranch_execz .LBB242_1858
; %bb.1853:
	s_mov_b32 s3, exec_lo
                                        ; implicit-def: $vgpr1
	v_cmpx_lt_u32_e32 0x387fffff, v3
	s_xor_b32 s3, exec_lo, s3
; %bb.1854:
	v_bfe_u32 v1, v3, 21, 1
	s_delay_alu instid0(VALU_DEP_1) | instskip(NEXT) | instid1(VALU_DEP_1)
	v_add3_u32 v1, v3, v1, 0x80fffff
                                        ; implicit-def: $vgpr3
	v_lshrrev_b32_e32 v1, 21, v1
; %bb.1855:
	s_and_not1_saveexec_b32 s3, s3
; %bb.1856:
	v_add_f32_e32 v1, 0x43000000, v3
; %bb.1857:
	s_or_b32 exec_lo, exec_lo, s3
                                        ; implicit-def: $vgpr3
.LBB242_1858:
	s_and_not1_saveexec_b32 s2, s2
; %bb.1859:
	v_mov_b32_e32 v1, 0x7f
	v_cmp_lt_u32_e32 vcc_lo, 0x7f800000, v3
	s_delay_alu instid0(VALU_DEP_2)
	v_cndmask_b32_e32 v1, 0x7c, v1, vcc_lo
; %bb.1860:
	s_or_b32 exec_lo, exec_lo, s2
	s_mov_b32 s2, 0
	s_mov_b32 s11, -1
	s_branch .LBB242_1862
.LBB242_1861:
	s_mov_b32 s2, -1
                                        ; implicit-def: $vgpr1
.LBB242_1862:
	s_mov_b32 s3, 0
.LBB242_1863:
	s_delay_alu instid0(SALU_CYCLE_1)
	s_and_b32 vcc_lo, exec_lo, s3
	s_cbranch_vccz .LBB242_1875
; %bb.1864:
	s_cmp_eq_u32 s1, 29
	s_cbranch_scc0 .LBB242_1874
; %bb.1865:
	global_load_b64 v[16:17], v[14:15], off
	s_mov_b32 s2, exec_lo
	s_wait_loadcnt 0x0
	v_clz_i32_u32_e32 v1, v17
	s_delay_alu instid0(VALU_DEP_1) | instskip(NEXT) | instid1(VALU_DEP_1)
	v_min_u32_e32 v1, 32, v1
	v_lshlrev_b64_e32 v[16:17], v1, v[16:17]
	v_sub_nc_u32_e32 v1, 32, v1
	s_delay_alu instid0(VALU_DEP_2) | instskip(NEXT) | instid1(VALU_DEP_1)
	v_min_u32_e32 v3, 1, v16
	v_or_b32_e32 v3, v17, v3
	s_delay_alu instid0(VALU_DEP_1) | instskip(NEXT) | instid1(VALU_DEP_1)
	v_cvt_f32_u32_e32 v3, v3
	v_ldexp_f32 v3, v3, v1
                                        ; implicit-def: $vgpr1
	s_wait_xcnt 0x0
	s_delay_alu instid0(VALU_DEP_1)
	v_cmpx_gt_u32_e32 0x47800000, v3
	s_xor_b32 s2, exec_lo, s2
	s_cbranch_execz .LBB242_1871
; %bb.1866:
	s_mov_b32 s3, exec_lo
                                        ; implicit-def: $vgpr1
	v_cmpx_lt_u32_e32 0x387fffff, v3
	s_xor_b32 s3, exec_lo, s3
; %bb.1867:
	v_bfe_u32 v1, v3, 21, 1
	s_delay_alu instid0(VALU_DEP_1) | instskip(NEXT) | instid1(VALU_DEP_1)
	v_add3_u32 v1, v3, v1, 0x80fffff
                                        ; implicit-def: $vgpr3
	v_lshrrev_b32_e32 v1, 21, v1
; %bb.1868:
	s_and_not1_saveexec_b32 s3, s3
; %bb.1869:
	v_add_f32_e32 v1, 0x43000000, v3
; %bb.1870:
	s_or_b32 exec_lo, exec_lo, s3
                                        ; implicit-def: $vgpr3
.LBB242_1871:
	s_and_not1_saveexec_b32 s2, s2
; %bb.1872:
	v_mov_b32_e32 v1, 0x7f
	v_cmp_lt_u32_e32 vcc_lo, 0x7f800000, v3
	s_delay_alu instid0(VALU_DEP_2)
	v_cndmask_b32_e32 v1, 0x7c, v1, vcc_lo
; %bb.1873:
	s_or_b32 exec_lo, exec_lo, s2
	s_mov_b32 s2, 0
	s_mov_b32 s11, -1
	s_branch .LBB242_1875
.LBB242_1874:
	s_mov_b32 s2, -1
                                        ; implicit-def: $vgpr1
.LBB242_1875:
	s_branch .LBB242_1917
.LBB242_1876:
	s_cmp_lt_i32 s1, 27
	s_cbranch_scc1 .LBB242_1887
; %bb.1877:
	s_cmp_gt_i32 s1, 27
	s_cbranch_scc0 .LBB242_1888
; %bb.1878:
	global_load_b32 v1, v[14:15], off
	s_mov_b32 s3, exec_lo
	s_wait_loadcnt 0x0
	v_cvt_f32_u32_e32 v3, v1
                                        ; implicit-def: $vgpr1
	s_wait_xcnt 0x0
	s_delay_alu instid0(VALU_DEP_1)
	v_cmpx_gt_u32_e32 0x47800000, v3
	s_xor_b32 s3, exec_lo, s3
	s_cbranch_execz .LBB242_1884
; %bb.1879:
	s_mov_b32 s11, exec_lo
                                        ; implicit-def: $vgpr1
	v_cmpx_lt_u32_e32 0x387fffff, v3
	s_xor_b32 s11, exec_lo, s11
; %bb.1880:
	v_bfe_u32 v1, v3, 21, 1
	s_delay_alu instid0(VALU_DEP_1) | instskip(NEXT) | instid1(VALU_DEP_1)
	v_add3_u32 v1, v3, v1, 0x80fffff
                                        ; implicit-def: $vgpr3
	v_lshrrev_b32_e32 v1, 21, v1
; %bb.1881:
	s_and_not1_saveexec_b32 s11, s11
; %bb.1882:
	v_add_f32_e32 v1, 0x43000000, v3
; %bb.1883:
	s_or_b32 exec_lo, exec_lo, s11
                                        ; implicit-def: $vgpr3
.LBB242_1884:
	s_and_not1_saveexec_b32 s3, s3
; %bb.1885:
	v_mov_b32_e32 v1, 0x7f
	v_cmp_lt_u32_e32 vcc_lo, 0x7f800000, v3
	s_delay_alu instid0(VALU_DEP_2)
	v_cndmask_b32_e32 v1, 0x7c, v1, vcc_lo
; %bb.1886:
	s_or_b32 exec_lo, exec_lo, s3
	s_mov_b32 s3, 0
	s_branch .LBB242_1889
.LBB242_1887:
	s_mov_b32 s3, -1
                                        ; implicit-def: $vgpr1
	s_branch .LBB242_1900
.LBB242_1888:
	s_mov_b32 s3, -1
                                        ; implicit-def: $vgpr1
.LBB242_1889:
	s_delay_alu instid0(SALU_CYCLE_1)
	s_and_b32 vcc_lo, exec_lo, s3
	s_cbranch_vccz .LBB242_1899
; %bb.1890:
	global_load_u16 v1, v[14:15], off
	s_mov_b32 s3, exec_lo
	s_wait_loadcnt 0x0
	v_cvt_f32_u32_e32 v3, v1
                                        ; implicit-def: $vgpr1
	s_wait_xcnt 0x0
	s_delay_alu instid0(VALU_DEP_1)
	v_cmpx_gt_u32_e32 0x47800000, v3
	s_xor_b32 s3, exec_lo, s3
	s_cbranch_execz .LBB242_1896
; %bb.1891:
	s_mov_b32 s11, exec_lo
                                        ; implicit-def: $vgpr1
	v_cmpx_lt_u32_e32 0x387fffff, v3
	s_xor_b32 s11, exec_lo, s11
; %bb.1892:
	v_bfe_u32 v1, v3, 21, 1
	s_delay_alu instid0(VALU_DEP_1) | instskip(NEXT) | instid1(VALU_DEP_1)
	v_add3_u32 v1, v3, v1, 0x80fffff
                                        ; implicit-def: $vgpr3
	v_lshrrev_b32_e32 v1, 21, v1
; %bb.1893:
	s_and_not1_saveexec_b32 s11, s11
; %bb.1894:
	v_add_f32_e32 v1, 0x43000000, v3
; %bb.1895:
	s_or_b32 exec_lo, exec_lo, s11
                                        ; implicit-def: $vgpr3
.LBB242_1896:
	s_and_not1_saveexec_b32 s3, s3
; %bb.1897:
	v_mov_b32_e32 v1, 0x7f
	v_cmp_lt_u32_e32 vcc_lo, 0x7f800000, v3
	s_delay_alu instid0(VALU_DEP_2)
	v_cndmask_b32_e32 v1, 0x7c, v1, vcc_lo
; %bb.1898:
	s_or_b32 exec_lo, exec_lo, s3
.LBB242_1899:
	s_mov_b32 s3, 0
.LBB242_1900:
	s_delay_alu instid0(SALU_CYCLE_1)
	s_and_not1_b32 vcc_lo, exec_lo, s3
	s_cbranch_vccnz .LBB242_1916
; %bb.1901:
	global_load_u8 v3, v[14:15], off
	s_mov_b32 s3, 0
	s_mov_b32 s11, exec_lo
	s_wait_loadcnt 0x0
	v_cmpx_lt_i16_e32 0x7f, v3
	s_xor_b32 s11, exec_lo, s11
	s_cbranch_execz .LBB242_1937
; %bb.1902:
	s_mov_b32 s3, -1
	s_mov_b32 s12, exec_lo
	v_cmpx_eq_u16_e32 0x80, v3
; %bb.1903:
	s_xor_b32 s3, exec_lo, -1
; %bb.1904:
	s_or_b32 exec_lo, exec_lo, s12
	s_delay_alu instid0(SALU_CYCLE_1)
	s_and_b32 s3, s3, exec_lo
	s_or_saveexec_b32 s11, s11
	v_mov_b32_e32 v1, 0x7f800001
	s_xor_b32 exec_lo, exec_lo, s11
	s_cbranch_execnz .LBB242_1938
.LBB242_1905:
	s_or_b32 exec_lo, exec_lo, s11
	s_and_saveexec_b32 s11, s3
	s_cbranch_execz .LBB242_1907
.LBB242_1906:
	v_and_b32_e32 v1, 0xffff, v3
	s_delay_alu instid0(VALU_DEP_1) | instskip(SKIP_1) | instid1(VALU_DEP_2)
	v_and_b32_e32 v5, 7, v1
	v_bfe_u32 v11, v1, 3, 4
	v_clz_i32_u32_e32 v7, v5
	s_delay_alu instid0(VALU_DEP_2) | instskip(NEXT) | instid1(VALU_DEP_2)
	v_cmp_eq_u32_e32 vcc_lo, 0, v11
	v_min_u32_e32 v7, 32, v7
	s_delay_alu instid0(VALU_DEP_1) | instskip(NEXT) | instid1(VALU_DEP_1)
	v_subrev_nc_u32_e32 v9, 28, v7
	v_dual_lshlrev_b32 v1, v9, v1 :: v_dual_sub_nc_u32 v7, 29, v7
	s_delay_alu instid0(VALU_DEP_1) | instskip(NEXT) | instid1(VALU_DEP_1)
	v_dual_lshlrev_b32 v3, 24, v3 :: v_dual_bitop2_b32 v1, 7, v1 bitop3:0x40
	v_dual_cndmask_b32 v1, v5, v1, vcc_lo :: v_dual_cndmask_b32 v7, v11, v7, vcc_lo
	s_delay_alu instid0(VALU_DEP_2) | instskip(NEXT) | instid1(VALU_DEP_2)
	v_and_b32_e32 v3, 0x80000000, v3
	v_lshlrev_b32_e32 v1, 20, v1
	s_delay_alu instid0(VALU_DEP_3) | instskip(NEXT) | instid1(VALU_DEP_1)
	v_lshl_add_u32 v5, v7, 23, 0x3b800000
	v_or3_b32 v1, v3, v5, v1
.LBB242_1907:
	s_or_b32 exec_lo, exec_lo, s11
	s_delay_alu instid0(VALU_DEP_1) | instskip(SKIP_1) | instid1(VALU_DEP_1)
	v_and_b32_e32 v5, 0x7fffffff, v1
	s_mov_b32 s3, exec_lo
                                        ; implicit-def: $vgpr3
	v_cmpx_gt_u32_e32 0x47800000, v5
	s_xor_b32 s3, exec_lo, s3
	s_cbranch_execz .LBB242_1913
; %bb.1908:
	s_mov_b32 s11, exec_lo
                                        ; implicit-def: $vgpr3
	v_cmpx_lt_u32_e32 0x387fffff, v5
	s_xor_b32 s11, exec_lo, s11
; %bb.1909:
	v_bfe_u32 v3, v1, 21, 1
	s_delay_alu instid0(VALU_DEP_1) | instskip(NEXT) | instid1(VALU_DEP_1)
	v_add3_u32 v3, v1, v3, 0x80fffff
	v_lshrrev_b32_e32 v3, 21, v3
; %bb.1910:
	s_and_not1_saveexec_b32 s11, s11
; %bb.1911:
	v_add_f32_e64 v3, 0x43000000, |v1|
; %bb.1912:
	s_or_b32 exec_lo, exec_lo, s11
                                        ; implicit-def: $vgpr5
.LBB242_1913:
	s_and_not1_saveexec_b32 s3, s3
; %bb.1914:
	v_mov_b32_e32 v3, 0x7f
	v_cmp_lt_u32_e32 vcc_lo, 0x7f800000, v5
	s_delay_alu instid0(VALU_DEP_2)
	v_cndmask_b32_e32 v3, 0x7c, v3, vcc_lo
; %bb.1915:
	s_or_b32 exec_lo, exec_lo, s3
	v_lshrrev_b32_e32 v1, 24, v1
	s_delay_alu instid0(VALU_DEP_1)
	v_and_or_b32 v1, 0x80, v1, v3
.LBB242_1916:
	s_mov_b32 s11, -1
.LBB242_1917:
	s_branch .LBB242_1970
.LBB242_1918:
	s_cmp_gt_i32 s1, 22
	s_cbranch_scc0 .LBB242_1936
; %bb.1919:
	s_cmp_lt_i32 s1, 24
	s_cbranch_scc1 .LBB242_1939
; %bb.1920:
	s_cmp_gt_i32 s1, 24
	s_cbranch_scc0 .LBB242_1940
; %bb.1921:
	global_load_u8 v3, v[14:15], off
	s_mov_b32 s3, 0
	s_mov_b32 s10, exec_lo
	s_wait_loadcnt 0x0
	v_cmpx_lt_i16_e32 0x7f, v3
	s_xor_b32 s10, exec_lo, s10
	s_cbranch_execz .LBB242_1951
; %bb.1922:
	s_mov_b32 s3, -1
	s_mov_b32 s11, exec_lo
	v_cmpx_eq_u16_e32 0x80, v3
; %bb.1923:
	s_xor_b32 s3, exec_lo, -1
; %bb.1924:
	s_or_b32 exec_lo, exec_lo, s11
	s_delay_alu instid0(SALU_CYCLE_1)
	s_and_b32 s3, s3, exec_lo
	s_or_saveexec_b32 s10, s10
	v_mov_b32_e32 v1, 0x7f800001
	s_xor_b32 exec_lo, exec_lo, s10
	s_cbranch_execnz .LBB242_1952
.LBB242_1925:
	s_or_b32 exec_lo, exec_lo, s10
	s_and_saveexec_b32 s10, s3
	s_cbranch_execz .LBB242_1927
.LBB242_1926:
	v_and_b32_e32 v1, 0xffff, v3
	s_delay_alu instid0(VALU_DEP_1) | instskip(SKIP_1) | instid1(VALU_DEP_2)
	v_and_b32_e32 v5, 3, v1
	v_bfe_u32 v11, v1, 2, 5
	v_clz_i32_u32_e32 v7, v5
	s_delay_alu instid0(VALU_DEP_2) | instskip(NEXT) | instid1(VALU_DEP_2)
	v_cmp_eq_u32_e32 vcc_lo, 0, v11
	v_min_u32_e32 v7, 32, v7
	s_delay_alu instid0(VALU_DEP_1) | instskip(NEXT) | instid1(VALU_DEP_1)
	v_subrev_nc_u32_e32 v9, 29, v7
	v_dual_lshlrev_b32 v1, v9, v1 :: v_dual_sub_nc_u32 v7, 30, v7
	s_delay_alu instid0(VALU_DEP_1) | instskip(NEXT) | instid1(VALU_DEP_1)
	v_dual_lshlrev_b32 v3, 24, v3 :: v_dual_bitop2_b32 v1, 3, v1 bitop3:0x40
	v_dual_cndmask_b32 v1, v5, v1, vcc_lo :: v_dual_cndmask_b32 v7, v11, v7, vcc_lo
	s_delay_alu instid0(VALU_DEP_2) | instskip(NEXT) | instid1(VALU_DEP_2)
	v_and_b32_e32 v3, 0x80000000, v3
	v_lshlrev_b32_e32 v1, 21, v1
	s_delay_alu instid0(VALU_DEP_3) | instskip(NEXT) | instid1(VALU_DEP_1)
	v_lshl_add_u32 v5, v7, 23, 0x37800000
	v_or3_b32 v1, v3, v5, v1
.LBB242_1927:
	s_or_b32 exec_lo, exec_lo, s10
	s_delay_alu instid0(VALU_DEP_1) | instskip(SKIP_1) | instid1(VALU_DEP_1)
	v_and_b32_e32 v5, 0x7fffffff, v1
	s_mov_b32 s3, exec_lo
                                        ; implicit-def: $vgpr3
	v_cmpx_gt_u32_e32 0x47800000, v5
	s_xor_b32 s3, exec_lo, s3
	s_cbranch_execz .LBB242_1933
; %bb.1928:
	s_mov_b32 s10, exec_lo
                                        ; implicit-def: $vgpr3
	v_cmpx_lt_u32_e32 0x387fffff, v5
	s_xor_b32 s10, exec_lo, s10
; %bb.1929:
	v_bfe_u32 v3, v1, 21, 1
	s_delay_alu instid0(VALU_DEP_1) | instskip(NEXT) | instid1(VALU_DEP_1)
	v_add3_u32 v3, v1, v3, 0x80fffff
	v_lshrrev_b32_e32 v3, 21, v3
; %bb.1930:
	s_and_not1_saveexec_b32 s10, s10
; %bb.1931:
	v_add_f32_e64 v3, 0x43000000, |v1|
; %bb.1932:
	s_or_b32 exec_lo, exec_lo, s10
                                        ; implicit-def: $vgpr5
.LBB242_1933:
	s_and_not1_saveexec_b32 s3, s3
; %bb.1934:
	v_mov_b32_e32 v3, 0x7f
	v_cmp_lt_u32_e32 vcc_lo, 0x7f800000, v5
	s_delay_alu instid0(VALU_DEP_2)
	v_cndmask_b32_e32 v3, 0x7c, v3, vcc_lo
; %bb.1935:
	s_or_b32 exec_lo, exec_lo, s3
	v_lshrrev_b32_e32 v1, 24, v1
	s_mov_b32 s3, 0
	s_delay_alu instid0(VALU_DEP_1)
	v_and_or_b32 v1, 0x80, v1, v3
	s_branch .LBB242_1941
.LBB242_1936:
                                        ; implicit-def: $vgpr1
	s_mov_b32 s10, 0
	s_branch .LBB242_1957
.LBB242_1937:
	s_or_saveexec_b32 s11, s11
	v_mov_b32_e32 v1, 0x7f800001
	s_xor_b32 exec_lo, exec_lo, s11
	s_cbranch_execz .LBB242_1905
.LBB242_1938:
	v_cmp_ne_u16_e32 vcc_lo, 0, v3
	v_mov_b32_e32 v1, 0
	s_and_not1_b32 s3, s3, exec_lo
	s_and_b32 s12, vcc_lo, exec_lo
	s_delay_alu instid0(SALU_CYCLE_1)
	s_or_b32 s3, s3, s12
	s_or_b32 exec_lo, exec_lo, s11
	s_and_saveexec_b32 s11, s3
	s_cbranch_execnz .LBB242_1906
	s_branch .LBB242_1907
.LBB242_1939:
	s_mov_b32 s3, -1
                                        ; implicit-def: $vgpr1
	s_branch .LBB242_1954
.LBB242_1940:
	s_mov_b32 s3, -1
                                        ; implicit-def: $vgpr1
.LBB242_1941:
	s_delay_alu instid0(SALU_CYCLE_1)
	s_and_b32 vcc_lo, exec_lo, s3
	s_cbranch_vccz .LBB242_1953
; %bb.1942:
	global_load_u8 v1, v[14:15], off
	s_mov_b32 s3, exec_lo
	s_wait_loadcnt 0x0
	v_lshlrev_b32_e32 v1, 24, v1
	s_delay_alu instid0(VALU_DEP_1) | instskip(NEXT) | instid1(VALU_DEP_1)
	v_and_b32_e32 v3, 0x7f000000, v1
	v_clz_i32_u32_e32 v5, v3
	v_add_nc_u32_e32 v9, 0x1000000, v3
	v_cmp_ne_u32_e32 vcc_lo, 0, v3
	s_delay_alu instid0(VALU_DEP_3) | instskip(NEXT) | instid1(VALU_DEP_1)
	v_min_u32_e32 v5, 32, v5
	v_sub_nc_u32_e64 v5, v5, 4 clamp
	s_delay_alu instid0(VALU_DEP_1) | instskip(NEXT) | instid1(VALU_DEP_1)
	v_lshlrev_b32_e32 v7, v5, v3
                                        ; implicit-def: $vgpr3
	v_dual_lshlrev_b32 v5, 23, v5 :: v_dual_lshrrev_b32 v7, 4, v7
	s_delay_alu instid0(VALU_DEP_1) | instskip(SKIP_1) | instid1(VALU_DEP_2)
	v_sub_nc_u32_e32 v5, v7, v5
	v_ashrrev_i32_e32 v7, 8, v9
	v_add_nc_u32_e32 v5, 0x3c000000, v5
	s_delay_alu instid0(VALU_DEP_1) | instskip(NEXT) | instid1(VALU_DEP_1)
	v_and_or_b32 v5, 0x7f800000, v7, v5
	v_cndmask_b32_e32 v7, 0, v5, vcc_lo
	s_delay_alu instid0(VALU_DEP_1) | instskip(NEXT) | instid1(VALU_DEP_1)
	v_and_or_b32 v1, 0x80000000, v1, v7
	v_and_b32_e32 v5, 0x7fffffff, v1
	s_wait_xcnt 0x0
	s_delay_alu instid0(VALU_DEP_1)
	v_cmpx_gt_u32_e32 0x47800000, v5
	s_xor_b32 s3, exec_lo, s3
	s_cbranch_execz .LBB242_1948
; %bb.1943:
	s_mov_b32 s10, exec_lo
                                        ; implicit-def: $vgpr3
	v_cmpx_lt_u32_e32 0x387fffff, v5
	s_xor_b32 s10, exec_lo, s10
; %bb.1944:
	v_bfe_u32 v3, v7, 21, 1
	s_delay_alu instid0(VALU_DEP_1) | instskip(NEXT) | instid1(VALU_DEP_1)
	v_add3_u32 v3, v1, v3, 0x80fffff
	v_lshrrev_b32_e32 v3, 21, v3
; %bb.1945:
	s_and_not1_saveexec_b32 s10, s10
; %bb.1946:
	v_add_f32_e64 v3, 0x43000000, |v1|
; %bb.1947:
	s_or_b32 exec_lo, exec_lo, s10
                                        ; implicit-def: $vgpr5
.LBB242_1948:
	s_and_not1_saveexec_b32 s3, s3
; %bb.1949:
	v_mov_b32_e32 v3, 0x7f
	v_cmp_lt_u32_e32 vcc_lo, 0x7f800000, v5
	s_delay_alu instid0(VALU_DEP_2)
	v_cndmask_b32_e32 v3, 0x7c, v3, vcc_lo
; %bb.1950:
	s_or_b32 exec_lo, exec_lo, s3
	v_lshrrev_b32_e32 v1, 24, v1
	s_mov_b32 s3, 0
	s_delay_alu instid0(VALU_DEP_1)
	v_and_or_b32 v1, 0x80, v1, v3
	s_branch .LBB242_1954
.LBB242_1951:
	s_or_saveexec_b32 s10, s10
	v_mov_b32_e32 v1, 0x7f800001
	s_xor_b32 exec_lo, exec_lo, s10
	s_cbranch_execz .LBB242_1925
.LBB242_1952:
	v_cmp_ne_u16_e32 vcc_lo, 0, v3
	v_mov_b32_e32 v1, 0
	s_and_not1_b32 s3, s3, exec_lo
	s_and_b32 s11, vcc_lo, exec_lo
	s_delay_alu instid0(SALU_CYCLE_1)
	s_or_b32 s3, s3, s11
	s_or_b32 exec_lo, exec_lo, s10
	s_and_saveexec_b32 s10, s3
	s_cbranch_execnz .LBB242_1926
	s_branch .LBB242_1927
.LBB242_1953:
	s_mov_b32 s3, 0
.LBB242_1954:
	s_delay_alu instid0(SALU_CYCLE_1)
	s_and_not1_b32 vcc_lo, exec_lo, s3
	s_cbranch_vccnz .LBB242_1956
; %bb.1955:
	global_load_u8 v1, v[14:15], off
.LBB242_1956:
	s_mov_b32 s11, -1
	s_mov_b32 s10, 0
	s_cbranch_execnz .LBB242_1970
.LBB242_1957:
	s_cmp_gt_i32 s1, 14
	s_cbranch_scc0 .LBB242_1968
; %bb.1958:
	s_cmp_eq_u32 s1, 15
	s_cbranch_scc0 .LBB242_1998
; %bb.1959:
	s_wait_loadcnt 0x0
	global_load_u16 v1, v[14:15], off
	s_mov_b32 s2, exec_lo
                                        ; implicit-def: $vgpr3
	s_wait_loadcnt 0x0
	v_lshlrev_b32_e32 v5, 16, v1
	s_delay_alu instid0(VALU_DEP_1) | instskip(SKIP_1) | instid1(VALU_DEP_1)
	v_and_b32_e32 v7, 0x7fffffff, v5
	s_wait_xcnt 0x0
	v_cmpx_gt_u32_e32 0x47800000, v7
	s_xor_b32 s2, exec_lo, s2
	s_cbranch_execz .LBB242_1965
; %bb.1960:
	s_mov_b32 s3, exec_lo
                                        ; implicit-def: $vgpr3
	v_cmpx_lt_u32_e32 0x387fffff, v7
	s_xor_b32 s3, exec_lo, s3
; %bb.1961:
	v_bfe_u32 v3, v1, 5, 1
	s_delay_alu instid0(VALU_DEP_1) | instskip(NEXT) | instid1(VALU_DEP_1)
	v_add3_u32 v3, v5, v3, 0x80fffff
                                        ; implicit-def: $vgpr5
	v_lshrrev_b32_e32 v3, 21, v3
; %bb.1962:
	s_and_not1_saveexec_b32 s3, s3
; %bb.1963:
	v_add_f32_e64 v3, 0x43000000, |v5|
; %bb.1964:
	s_or_b32 exec_lo, exec_lo, s3
                                        ; implicit-def: $vgpr7
.LBB242_1965:
	s_and_not1_saveexec_b32 s2, s2
; %bb.1966:
	v_mov_b32_e32 v3, 0x7f
	v_cmp_lt_u32_e32 vcc_lo, 0x7f800000, v7
	s_delay_alu instid0(VALU_DEP_2)
	v_cndmask_b32_e32 v3, 0x7c, v3, vcc_lo
; %bb.1967:
	s_or_b32 exec_lo, exec_lo, s2
	v_lshrrev_b32_e32 v1, 8, v1
	s_mov_b32 s2, 0
	s_mov_b32 s11, -1
	s_delay_alu instid0(VALU_DEP_1)
	v_and_or_b32 v1, 0x80, v1, v3
	s_branch .LBB242_1970
.LBB242_1968:
                                        ; implicit-def: $vgpr1
	s_cbranch_execz .LBB242_1970
; %bb.1969:
	s_cmp_lg_u32 s1, 11
	s_mov_b32 s10, -1
	s_cselect_b32 s2, -1, 0
.LBB242_1970:
	s_delay_alu instid0(SALU_CYCLE_1)
	s_and_b32 vcc_lo, exec_lo, s2
	s_mov_b32 s3, s8
	s_cbranch_vccnz .LBB242_2136
; %bb.1971:
	s_and_not1_b32 vcc_lo, exec_lo, s10
	s_cbranch_vccnz .LBB242_1981
.LBB242_1972:
	s_wait_loadcnt 0x0
	global_load_u8 v1, v[14:15], off
	s_mov_b32 s1, exec_lo
	s_wait_loadcnt 0x0
	v_cmp_ne_u16_e32 vcc_lo, 0, v1
                                        ; implicit-def: $vgpr1
	v_cndmask_b32_e64 v3, 0, 1.0, vcc_lo
	s_wait_xcnt 0x0
	s_delay_alu instid0(VALU_DEP_1)
	v_cmpx_gt_u32_e32 0x47800000, v3
	s_xor_b32 s1, exec_lo, s1
	s_cbranch_execz .LBB242_1978
; %bb.1973:
	s_mov_b32 s2, exec_lo
                                        ; implicit-def: $vgpr1
	v_cmpx_lt_u32_e32 0x387fffff, v3
	s_xor_b32 s2, exec_lo, s2
; %bb.1974:
	v_bfe_u32 v1, v3, 21, 1
	s_delay_alu instid0(VALU_DEP_1) | instskip(NEXT) | instid1(VALU_DEP_1)
	v_add3_u32 v1, v3, v1, 0x80fffff
                                        ; implicit-def: $vgpr3
	v_lshrrev_b32_e32 v1, 21, v1
; %bb.1975:
	s_and_not1_saveexec_b32 s2, s2
; %bb.1976:
	v_add_f32_e32 v1, 0x43000000, v3
; %bb.1977:
	s_or_b32 exec_lo, exec_lo, s2
                                        ; implicit-def: $vgpr3
.LBB242_1978:
	s_and_not1_saveexec_b32 s1, s1
; %bb.1979:
	v_mov_b32_e32 v1, 0x7f
	v_cmp_lt_u32_e32 vcc_lo, 0x7f800000, v3
	s_delay_alu instid0(VALU_DEP_2)
	v_cndmask_b32_e32 v1, 0x7c, v1, vcc_lo
; %bb.1980:
	s_or_b32 exec_lo, exec_lo, s1
	s_mov_b32 s11, -1
.LBB242_1981:
	s_branch .LBB242_1841
.LBB242_1982:
	s_and_b32 s1, 0xffff, s0
	s_delay_alu instid0(SALU_CYCLE_1)
	s_cmp_lt_i32 s1, 5
	s_cbranch_scc1 .LBB242_1995
; %bb.1983:
	s_cmp_lt_i32 s1, 8
	s_cbranch_scc1 .LBB242_1996
; %bb.1984:
	;; [unrolled: 3-line block ×3, first 2 shown]
	s_cmp_gt_i32 s1, 9
	s_cbranch_scc0 .LBB242_1999
; %bb.1986:
	global_load_b64 v[16:17], v[14:15], off
	s_mov_b32 s2, exec_lo
                                        ; implicit-def: $vgpr3
	s_wait_loadcnt 0x0
	v_cvt_f32_f64_e32 v1, v[16:17]
	s_delay_alu instid0(VALU_DEP_1) | instskip(SKIP_1) | instid1(VALU_DEP_1)
	v_and_b32_e32 v5, 0x7fffffff, v1
	s_wait_xcnt 0x0
	v_cmpx_gt_u32_e32 0x47800000, v5
	s_xor_b32 s2, exec_lo, s2
	s_cbranch_execz .LBB242_1992
; %bb.1987:
	s_mov_b32 s10, exec_lo
                                        ; implicit-def: $vgpr3
	v_cmpx_lt_u32_e32 0x387fffff, v5
	s_xor_b32 s10, exec_lo, s10
; %bb.1988:
	v_bfe_u32 v3, v1, 21, 1
	s_delay_alu instid0(VALU_DEP_1) | instskip(NEXT) | instid1(VALU_DEP_1)
	v_add3_u32 v3, v1, v3, 0x80fffff
	v_lshrrev_b32_e32 v3, 21, v3
; %bb.1989:
	s_and_not1_saveexec_b32 s10, s10
; %bb.1990:
	v_add_f32_e64 v3, 0x43000000, |v1|
; %bb.1991:
	s_or_b32 exec_lo, exec_lo, s10
                                        ; implicit-def: $vgpr5
.LBB242_1992:
	s_and_not1_saveexec_b32 s2, s2
; %bb.1993:
	v_mov_b32_e32 v3, 0x7f
	v_cmp_lt_u32_e32 vcc_lo, 0x7f800000, v5
	s_delay_alu instid0(VALU_DEP_2)
	v_cndmask_b32_e32 v3, 0x7c, v3, vcc_lo
; %bb.1994:
	s_or_b32 exec_lo, exec_lo, s2
	v_lshrrev_b32_e32 v1, 24, v1
	s_mov_b32 s2, 0
	s_delay_alu instid0(VALU_DEP_1)
	v_and_or_b32 v1, 0x80, v1, v3
	s_branch .LBB242_2000
.LBB242_1995:
                                        ; implicit-def: $vgpr1
	s_branch .LBB242_2057
.LBB242_1996:
                                        ; implicit-def: $vgpr1
	s_branch .LBB242_2022
.LBB242_1997:
	s_mov_b32 s2, -1
                                        ; implicit-def: $vgpr1
	s_branch .LBB242_2011
.LBB242_1998:
	s_mov_b32 s2, -1
                                        ; implicit-def: $vgpr1
	s_branch .LBB242_1970
.LBB242_1999:
	s_mov_b32 s2, -1
                                        ; implicit-def: $vgpr1
.LBB242_2000:
	s_delay_alu instid0(SALU_CYCLE_1)
	s_and_b32 vcc_lo, exec_lo, s2
	s_cbranch_vccz .LBB242_2010
; %bb.2001:
	s_wait_loadcnt 0x0
	global_load_b32 v1, v[14:15], off
	s_mov_b32 s2, exec_lo
                                        ; implicit-def: $vgpr3
	s_wait_loadcnt 0x0
	v_and_b32_e32 v5, 0x7fffffff, v1
	s_wait_xcnt 0x0
	s_delay_alu instid0(VALU_DEP_1)
	v_cmpx_gt_u32_e32 0x47800000, v5
	s_xor_b32 s2, exec_lo, s2
	s_cbranch_execz .LBB242_2007
; %bb.2002:
	s_mov_b32 s10, exec_lo
                                        ; implicit-def: $vgpr3
	v_cmpx_lt_u32_e32 0x387fffff, v5
	s_xor_b32 s10, exec_lo, s10
; %bb.2003:
	v_bfe_u32 v3, v1, 21, 1
	s_delay_alu instid0(VALU_DEP_1) | instskip(NEXT) | instid1(VALU_DEP_1)
	v_add3_u32 v3, v1, v3, 0x80fffff
	v_lshrrev_b32_e32 v3, 21, v3
; %bb.2004:
	s_and_not1_saveexec_b32 s10, s10
; %bb.2005:
	v_add_f32_e64 v3, 0x43000000, |v1|
; %bb.2006:
	s_or_b32 exec_lo, exec_lo, s10
                                        ; implicit-def: $vgpr5
.LBB242_2007:
	s_and_not1_saveexec_b32 s2, s2
; %bb.2008:
	v_mov_b32_e32 v3, 0x7f
	v_cmp_lt_u32_e32 vcc_lo, 0x7f800000, v5
	s_delay_alu instid0(VALU_DEP_2)
	v_cndmask_b32_e32 v3, 0x7c, v3, vcc_lo
; %bb.2009:
	s_or_b32 exec_lo, exec_lo, s2
	v_lshrrev_b32_e32 v1, 24, v1
	s_mov_b32 s2, 0
	s_delay_alu instid0(VALU_DEP_1)
	v_and_or_b32 v1, 0x80, v1, v3
	s_branch .LBB242_2011
.LBB242_2010:
	s_mov_b32 s2, 0
.LBB242_2011:
	s_delay_alu instid0(SALU_CYCLE_1)
	s_and_not1_b32 vcc_lo, exec_lo, s2
	s_cbranch_vccnz .LBB242_2021
; %bb.2012:
	s_wait_loadcnt 0x0
	global_load_b32 v1, v[14:15], off
	s_mov_b32 s2, exec_lo
                                        ; implicit-def: $vgpr3
	s_wait_loadcnt 0x0
	v_cvt_f32_f16_e32 v1, v1
	s_delay_alu instid0(VALU_DEP_1) | instskip(SKIP_1) | instid1(VALU_DEP_1)
	v_and_b32_e32 v5, 0x7fffffff, v1
	s_wait_xcnt 0x0
	v_cmpx_gt_u32_e32 0x47800000, v5
	s_xor_b32 s2, exec_lo, s2
	s_cbranch_execz .LBB242_2018
; %bb.2013:
	s_mov_b32 s10, exec_lo
                                        ; implicit-def: $vgpr3
	v_cmpx_lt_u32_e32 0x387fffff, v5
	s_xor_b32 s10, exec_lo, s10
; %bb.2014:
	v_bfe_u32 v3, v1, 21, 1
	s_delay_alu instid0(VALU_DEP_1) | instskip(NEXT) | instid1(VALU_DEP_1)
	v_add3_u32 v3, v1, v3, 0x80fffff
	v_lshrrev_b32_e32 v3, 21, v3
; %bb.2015:
	s_and_not1_saveexec_b32 s10, s10
; %bb.2016:
	v_add_f32_e64 v3, 0x43000000, |v1|
; %bb.2017:
	s_or_b32 exec_lo, exec_lo, s10
                                        ; implicit-def: $vgpr5
.LBB242_2018:
	s_and_not1_saveexec_b32 s2, s2
; %bb.2019:
	v_mov_b32_e32 v3, 0x7f
	v_cmp_lt_u32_e32 vcc_lo, 0x7f800000, v5
	s_delay_alu instid0(VALU_DEP_2)
	v_cndmask_b32_e32 v3, 0x7c, v3, vcc_lo
; %bb.2020:
	s_or_b32 exec_lo, exec_lo, s2
	v_lshrrev_b32_e32 v1, 24, v1
	s_delay_alu instid0(VALU_DEP_1)
	v_and_or_b32 v1, 0x80, v1, v3
.LBB242_2021:
	s_cbranch_execnz .LBB242_2056
.LBB242_2022:
	s_cmp_lt_i32 s1, 6
	s_cbranch_scc1 .LBB242_2033
; %bb.2023:
	s_cmp_gt_i32 s1, 6
	s_cbranch_scc0 .LBB242_2034
; %bb.2024:
	global_load_b64 v[16:17], v[14:15], off
	s_mov_b32 s2, exec_lo
                                        ; implicit-def: $vgpr3
	s_wait_loadcnt 0x0
	v_cvt_f32_f64_e32 v1, v[16:17]
	s_delay_alu instid0(VALU_DEP_1) | instskip(SKIP_1) | instid1(VALU_DEP_1)
	v_and_b32_e32 v5, 0x7fffffff, v1
	s_wait_xcnt 0x0
	v_cmpx_gt_u32_e32 0x47800000, v5
	s_xor_b32 s2, exec_lo, s2
	s_cbranch_execz .LBB242_2030
; %bb.2025:
	s_mov_b32 s10, exec_lo
                                        ; implicit-def: $vgpr3
	v_cmpx_lt_u32_e32 0x387fffff, v5
	s_xor_b32 s10, exec_lo, s10
; %bb.2026:
	v_bfe_u32 v3, v1, 21, 1
	s_delay_alu instid0(VALU_DEP_1) | instskip(NEXT) | instid1(VALU_DEP_1)
	v_add3_u32 v3, v1, v3, 0x80fffff
	v_lshrrev_b32_e32 v3, 21, v3
; %bb.2027:
	s_and_not1_saveexec_b32 s10, s10
; %bb.2028:
	v_add_f32_e64 v3, 0x43000000, |v1|
; %bb.2029:
	s_or_b32 exec_lo, exec_lo, s10
                                        ; implicit-def: $vgpr5
.LBB242_2030:
	s_and_not1_saveexec_b32 s2, s2
; %bb.2031:
	v_mov_b32_e32 v3, 0x7f
	v_cmp_lt_u32_e32 vcc_lo, 0x7f800000, v5
	s_delay_alu instid0(VALU_DEP_2)
	v_cndmask_b32_e32 v3, 0x7c, v3, vcc_lo
; %bb.2032:
	s_or_b32 exec_lo, exec_lo, s2
	v_lshrrev_b32_e32 v1, 24, v1
	s_mov_b32 s2, 0
	s_delay_alu instid0(VALU_DEP_1)
	v_and_or_b32 v1, 0x80, v1, v3
	s_branch .LBB242_2035
.LBB242_2033:
	s_mov_b32 s2, -1
                                        ; implicit-def: $vgpr1
	s_branch .LBB242_2046
.LBB242_2034:
	s_mov_b32 s2, -1
                                        ; implicit-def: $vgpr1
.LBB242_2035:
	s_delay_alu instid0(SALU_CYCLE_1)
	s_and_b32 vcc_lo, exec_lo, s2
	s_cbranch_vccz .LBB242_2045
; %bb.2036:
	s_wait_loadcnt 0x0
	global_load_b32 v1, v[14:15], off
	s_mov_b32 s2, exec_lo
                                        ; implicit-def: $vgpr3
	s_wait_loadcnt 0x0
	v_and_b32_e32 v5, 0x7fffffff, v1
	s_wait_xcnt 0x0
	s_delay_alu instid0(VALU_DEP_1)
	v_cmpx_gt_u32_e32 0x47800000, v5
	s_xor_b32 s2, exec_lo, s2
	s_cbranch_execz .LBB242_2042
; %bb.2037:
	s_mov_b32 s10, exec_lo
                                        ; implicit-def: $vgpr3
	v_cmpx_lt_u32_e32 0x387fffff, v5
	s_xor_b32 s10, exec_lo, s10
; %bb.2038:
	v_bfe_u32 v3, v1, 21, 1
	s_delay_alu instid0(VALU_DEP_1) | instskip(NEXT) | instid1(VALU_DEP_1)
	v_add3_u32 v3, v1, v3, 0x80fffff
	v_lshrrev_b32_e32 v3, 21, v3
; %bb.2039:
	s_and_not1_saveexec_b32 s10, s10
; %bb.2040:
	v_add_f32_e64 v3, 0x43000000, |v1|
; %bb.2041:
	s_or_b32 exec_lo, exec_lo, s10
                                        ; implicit-def: $vgpr5
.LBB242_2042:
	s_and_not1_saveexec_b32 s2, s2
; %bb.2043:
	v_mov_b32_e32 v3, 0x7f
	v_cmp_lt_u32_e32 vcc_lo, 0x7f800000, v5
	s_delay_alu instid0(VALU_DEP_2)
	v_cndmask_b32_e32 v3, 0x7c, v3, vcc_lo
; %bb.2044:
	s_or_b32 exec_lo, exec_lo, s2
	v_lshrrev_b32_e32 v1, 24, v1
	s_mov_b32 s2, 0
	s_delay_alu instid0(VALU_DEP_1)
	v_and_or_b32 v1, 0x80, v1, v3
	s_branch .LBB242_2046
.LBB242_2045:
	s_mov_b32 s2, 0
.LBB242_2046:
	s_delay_alu instid0(SALU_CYCLE_1)
	s_and_not1_b32 vcc_lo, exec_lo, s2
	s_cbranch_vccnz .LBB242_2056
; %bb.2047:
	s_wait_loadcnt 0x0
	global_load_u16 v1, v[14:15], off
	s_mov_b32 s2, exec_lo
                                        ; implicit-def: $vgpr3
	s_wait_loadcnt 0x0
	v_cvt_f32_f16_e32 v1, v1
	s_delay_alu instid0(VALU_DEP_1) | instskip(SKIP_1) | instid1(VALU_DEP_1)
	v_and_b32_e32 v5, 0x7fffffff, v1
	s_wait_xcnt 0x0
	v_cmpx_gt_u32_e32 0x47800000, v5
	s_xor_b32 s2, exec_lo, s2
	s_cbranch_execz .LBB242_2053
; %bb.2048:
	s_mov_b32 s10, exec_lo
                                        ; implicit-def: $vgpr3
	v_cmpx_lt_u32_e32 0x387fffff, v5
	s_xor_b32 s10, exec_lo, s10
; %bb.2049:
	v_bfe_u32 v3, v1, 21, 1
	s_delay_alu instid0(VALU_DEP_1) | instskip(NEXT) | instid1(VALU_DEP_1)
	v_add3_u32 v3, v1, v3, 0x80fffff
	v_lshrrev_b32_e32 v3, 21, v3
; %bb.2050:
	s_and_not1_saveexec_b32 s10, s10
; %bb.2051:
	v_add_f32_e64 v3, 0x43000000, |v1|
; %bb.2052:
	s_or_b32 exec_lo, exec_lo, s10
                                        ; implicit-def: $vgpr5
.LBB242_2053:
	s_and_not1_saveexec_b32 s2, s2
; %bb.2054:
	v_mov_b32_e32 v3, 0x7f
	v_cmp_lt_u32_e32 vcc_lo, 0x7f800000, v5
	s_delay_alu instid0(VALU_DEP_2)
	v_cndmask_b32_e32 v3, 0x7c, v3, vcc_lo
; %bb.2055:
	s_or_b32 exec_lo, exec_lo, s2
	v_lshrrev_b32_e32 v1, 24, v1
	s_delay_alu instid0(VALU_DEP_1)
	v_and_or_b32 v1, 0x80, v1, v3
.LBB242_2056:
	s_cbranch_execnz .LBB242_2115
.LBB242_2057:
	s_cmp_lt_i32 s1, 2
	s_cbranch_scc1 .LBB242_2069
; %bb.2058:
	s_cmp_lt_i32 s1, 3
	s_cbranch_scc1 .LBB242_2070
; %bb.2059:
	s_cmp_gt_i32 s1, 3
	s_cbranch_scc0 .LBB242_2071
; %bb.2060:
	global_load_b64 v[16:17], v[14:15], off
	s_mov_b32 s2, exec_lo
	s_wait_loadcnt 0x0
	v_xor_b32_e32 v1, v16, v17
	v_cls_i32_e32 v3, v17
	s_delay_alu instid0(VALU_DEP_2) | instskip(NEXT) | instid1(VALU_DEP_1)
	v_ashrrev_i32_e32 v1, 31, v1
	v_add_nc_u32_e32 v1, 32, v1
	s_delay_alu instid0(VALU_DEP_1) | instskip(NEXT) | instid1(VALU_DEP_1)
	v_add_min_u32_e64 v1, v3, -1, v1
	v_lshlrev_b64_e32 v[16:17], v1, v[16:17]
	v_sub_nc_u32_e32 v1, 32, v1
	s_delay_alu instid0(VALU_DEP_2) | instskip(NEXT) | instid1(VALU_DEP_1)
	v_min_u32_e32 v3, 1, v16
	v_or_b32_e32 v3, v17, v3
	s_delay_alu instid0(VALU_DEP_1) | instskip(NEXT) | instid1(VALU_DEP_1)
	v_cvt_f32_i32_e32 v3, v3
	v_ldexp_f32 v1, v3, v1
                                        ; implicit-def: $vgpr3
	s_delay_alu instid0(VALU_DEP_1) | instskip(SKIP_1) | instid1(VALU_DEP_1)
	v_and_b32_e32 v5, 0x7fffffff, v1
	s_wait_xcnt 0x0
	v_cmpx_gt_u32_e32 0x47800000, v5
	s_xor_b32 s2, exec_lo, s2
	s_cbranch_execz .LBB242_2066
; %bb.2061:
	s_mov_b32 s10, exec_lo
                                        ; implicit-def: $vgpr3
	v_cmpx_lt_u32_e32 0x387fffff, v5
	s_xor_b32 s10, exec_lo, s10
; %bb.2062:
	v_bfe_u32 v3, v1, 21, 1
	s_delay_alu instid0(VALU_DEP_1) | instskip(NEXT) | instid1(VALU_DEP_1)
	v_add3_u32 v3, v1, v3, 0x80fffff
	v_lshrrev_b32_e32 v3, 21, v3
; %bb.2063:
	s_and_not1_saveexec_b32 s10, s10
; %bb.2064:
	v_add_f32_e64 v3, 0x43000000, |v1|
; %bb.2065:
	s_or_b32 exec_lo, exec_lo, s10
                                        ; implicit-def: $vgpr5
.LBB242_2066:
	s_and_not1_saveexec_b32 s2, s2
; %bb.2067:
	v_mov_b32_e32 v3, 0x7f
	v_cmp_lt_u32_e32 vcc_lo, 0x7f800000, v5
	s_delay_alu instid0(VALU_DEP_2)
	v_cndmask_b32_e32 v3, 0x7c, v3, vcc_lo
; %bb.2068:
	s_or_b32 exec_lo, exec_lo, s2
	v_lshrrev_b32_e32 v1, 24, v1
	s_mov_b32 s2, 0
	s_delay_alu instid0(VALU_DEP_1)
	v_and_or_b32 v1, 0x80, v1, v3
	s_branch .LBB242_2072
.LBB242_2069:
                                        ; implicit-def: $vgpr1
	s_branch .LBB242_2094
.LBB242_2070:
	s_mov_b32 s2, -1
                                        ; implicit-def: $vgpr1
	s_branch .LBB242_2083
.LBB242_2071:
	s_mov_b32 s2, -1
                                        ; implicit-def: $vgpr1
.LBB242_2072:
	s_delay_alu instid0(SALU_CYCLE_1)
	s_and_b32 vcc_lo, exec_lo, s2
	s_cbranch_vccz .LBB242_2082
; %bb.2073:
	s_wait_loadcnt 0x0
	global_load_b32 v1, v[14:15], off
	s_mov_b32 s2, exec_lo
                                        ; implicit-def: $vgpr3
	s_wait_loadcnt 0x0
	v_cvt_f32_i32_e32 v1, v1
	s_delay_alu instid0(VALU_DEP_1) | instskip(SKIP_1) | instid1(VALU_DEP_1)
	v_and_b32_e32 v5, 0x7fffffff, v1
	s_wait_xcnt 0x0
	v_cmpx_gt_u32_e32 0x47800000, v5
	s_xor_b32 s2, exec_lo, s2
	s_cbranch_execz .LBB242_2079
; %bb.2074:
	s_mov_b32 s10, exec_lo
                                        ; implicit-def: $vgpr3
	v_cmpx_lt_u32_e32 0x387fffff, v5
	s_xor_b32 s10, exec_lo, s10
; %bb.2075:
	v_bfe_u32 v3, v1, 21, 1
	s_delay_alu instid0(VALU_DEP_1) | instskip(NEXT) | instid1(VALU_DEP_1)
	v_add3_u32 v3, v1, v3, 0x80fffff
	v_lshrrev_b32_e32 v3, 21, v3
; %bb.2076:
	s_and_not1_saveexec_b32 s10, s10
; %bb.2077:
	v_add_f32_e64 v3, 0x43000000, |v1|
; %bb.2078:
	s_or_b32 exec_lo, exec_lo, s10
                                        ; implicit-def: $vgpr5
.LBB242_2079:
	s_and_not1_saveexec_b32 s2, s2
; %bb.2080:
	v_mov_b32_e32 v3, 0x7f
	v_cmp_lt_u32_e32 vcc_lo, 0x7f800000, v5
	s_delay_alu instid0(VALU_DEP_2)
	v_cndmask_b32_e32 v3, 0x7c, v3, vcc_lo
; %bb.2081:
	s_or_b32 exec_lo, exec_lo, s2
	v_lshrrev_b32_e32 v1, 24, v1
	s_mov_b32 s2, 0
	s_delay_alu instid0(VALU_DEP_1)
	v_and_or_b32 v1, 0x80, v1, v3
	s_branch .LBB242_2083
.LBB242_2082:
	s_mov_b32 s2, 0
.LBB242_2083:
	s_delay_alu instid0(SALU_CYCLE_1)
	s_and_not1_b32 vcc_lo, exec_lo, s2
	s_cbranch_vccnz .LBB242_2093
; %bb.2084:
	s_wait_loadcnt 0x0
	global_load_i16 v1, v[14:15], off
	s_mov_b32 s2, exec_lo
                                        ; implicit-def: $vgpr3
	s_wait_loadcnt 0x0
	v_cvt_f32_i32_e32 v1, v1
	s_delay_alu instid0(VALU_DEP_1) | instskip(SKIP_1) | instid1(VALU_DEP_1)
	v_and_b32_e32 v5, 0x7fffffff, v1
	s_wait_xcnt 0x0
	v_cmpx_gt_u32_e32 0x47800000, v5
	s_xor_b32 s2, exec_lo, s2
	s_cbranch_execz .LBB242_2090
; %bb.2085:
	s_mov_b32 s10, exec_lo
                                        ; implicit-def: $vgpr3
	v_cmpx_lt_u32_e32 0x387fffff, v5
	s_xor_b32 s10, exec_lo, s10
; %bb.2086:
	v_bfe_u32 v3, v1, 21, 1
	s_delay_alu instid0(VALU_DEP_1) | instskip(NEXT) | instid1(VALU_DEP_1)
	v_add3_u32 v3, v1, v3, 0x80fffff
	v_lshrrev_b32_e32 v3, 21, v3
; %bb.2087:
	s_and_not1_saveexec_b32 s10, s10
; %bb.2088:
	v_add_f32_e64 v3, 0x43000000, |v1|
; %bb.2089:
	s_or_b32 exec_lo, exec_lo, s10
                                        ; implicit-def: $vgpr5
.LBB242_2090:
	s_and_not1_saveexec_b32 s2, s2
; %bb.2091:
	v_mov_b32_e32 v3, 0x7f
	v_cmp_lt_u32_e32 vcc_lo, 0x7f800000, v5
	s_delay_alu instid0(VALU_DEP_2)
	v_cndmask_b32_e32 v3, 0x7c, v3, vcc_lo
; %bb.2092:
	s_or_b32 exec_lo, exec_lo, s2
	v_lshrrev_b32_e32 v1, 24, v1
	s_delay_alu instid0(VALU_DEP_1)
	v_and_or_b32 v1, 0x80, v1, v3
.LBB242_2093:
	s_cbranch_execnz .LBB242_2115
.LBB242_2094:
	s_cmp_gt_i32 s1, 0
	s_cbranch_scc0 .LBB242_2104
; %bb.2095:
	s_wait_loadcnt 0x0
	global_load_i8 v1, v[14:15], off
	s_mov_b32 s1, exec_lo
                                        ; implicit-def: $vgpr3
	s_wait_loadcnt 0x0
	v_cvt_f32_i32_e32 v1, v1
	s_delay_alu instid0(VALU_DEP_1) | instskip(SKIP_1) | instid1(VALU_DEP_1)
	v_and_b32_e32 v5, 0x7fffffff, v1
	s_wait_xcnt 0x0
	v_cmpx_gt_u32_e32 0x47800000, v5
	s_xor_b32 s1, exec_lo, s1
	s_cbranch_execz .LBB242_2101
; %bb.2096:
	s_mov_b32 s2, exec_lo
                                        ; implicit-def: $vgpr3
	v_cmpx_lt_u32_e32 0x387fffff, v5
	s_xor_b32 s2, exec_lo, s2
; %bb.2097:
	v_bfe_u32 v3, v1, 21, 1
	s_delay_alu instid0(VALU_DEP_1) | instskip(NEXT) | instid1(VALU_DEP_1)
	v_add3_u32 v3, v1, v3, 0x80fffff
	v_lshrrev_b32_e32 v3, 21, v3
; %bb.2098:
	s_and_not1_saveexec_b32 s2, s2
; %bb.2099:
	v_add_f32_e64 v3, 0x43000000, |v1|
; %bb.2100:
	s_or_b32 exec_lo, exec_lo, s2
                                        ; implicit-def: $vgpr5
.LBB242_2101:
	s_and_not1_saveexec_b32 s1, s1
; %bb.2102:
	v_mov_b32_e32 v3, 0x7f
	v_cmp_lt_u32_e32 vcc_lo, 0x7f800000, v5
	s_delay_alu instid0(VALU_DEP_2)
	v_cndmask_b32_e32 v3, 0x7c, v3, vcc_lo
; %bb.2103:
	s_or_b32 exec_lo, exec_lo, s1
	v_lshrrev_b32_e32 v1, 24, v1
	s_mov_b32 s1, 0
	s_delay_alu instid0(VALU_DEP_1)
	v_and_or_b32 v1, 0x80, v1, v3
	s_branch .LBB242_2105
.LBB242_2104:
	s_mov_b32 s1, -1
                                        ; implicit-def: $vgpr1
.LBB242_2105:
	s_delay_alu instid0(SALU_CYCLE_1)
	s_and_b32 vcc_lo, exec_lo, s1
	s_cbranch_vccz .LBB242_2115
; %bb.2106:
	s_wait_loadcnt 0x0
	global_load_u8 v1, v[14:15], off
	s_mov_b32 s1, exec_lo
	s_wait_loadcnt 0x0
	v_cvt_f32_ubyte0_e32 v3, v1
                                        ; implicit-def: $vgpr1
	s_wait_xcnt 0x0
	s_delay_alu instid0(VALU_DEP_1)
	v_cmpx_gt_u32_e32 0x47800000, v3
	s_xor_b32 s1, exec_lo, s1
	s_cbranch_execz .LBB242_2112
; %bb.2107:
	s_mov_b32 s2, exec_lo
                                        ; implicit-def: $vgpr1
	v_cmpx_lt_u32_e32 0x387fffff, v3
	s_xor_b32 s2, exec_lo, s2
; %bb.2108:
	v_bfe_u32 v1, v3, 21, 1
	s_delay_alu instid0(VALU_DEP_1) | instskip(NEXT) | instid1(VALU_DEP_1)
	v_add3_u32 v1, v3, v1, 0x80fffff
                                        ; implicit-def: $vgpr3
	v_lshrrev_b32_e32 v1, 21, v1
; %bb.2109:
	s_and_not1_saveexec_b32 s2, s2
; %bb.2110:
	v_add_f32_e32 v1, 0x43000000, v3
; %bb.2111:
	s_or_b32 exec_lo, exec_lo, s2
                                        ; implicit-def: $vgpr3
.LBB242_2112:
	s_and_not1_saveexec_b32 s1, s1
; %bb.2113:
	v_mov_b32_e32 v1, 0x7f
	v_cmp_lt_u32_e32 vcc_lo, 0x7f800000, v3
	s_delay_alu instid0(VALU_DEP_2)
	v_cndmask_b32_e32 v1, 0x7c, v1, vcc_lo
; %bb.2114:
	s_or_b32 exec_lo, exec_lo, s1
.LBB242_2115:
.LBB242_2116:
	v_mov_b32_e32 v13, 0
	s_and_b32 s0, 0xffff, s0
	s_delay_alu instid0(SALU_CYCLE_1) | instskip(NEXT) | instid1(VALU_DEP_1)
	s_cmp_lt_i32 s0, 11
	v_add_nc_u64_e32 v[12:13], s[6:7], v[12:13]
	s_cbranch_scc1 .LBB242_2131
; %bb.2117:
	s_cmp_gt_i32 s0, 25
	s_mov_b32 s2, 0
	s_cbranch_scc0 .LBB242_2133
; %bb.2118:
	s_cmp_gt_i32 s0, 28
	s_cbranch_scc0 .LBB242_2134
; %bb.2119:
	s_cmp_gt_i32 s0, 43
	;; [unrolled: 3-line block ×3, first 2 shown]
	s_cbranch_scc0 .LBB242_2137
; %bb.2121:
	s_cmp_eq_u32 s0, 46
	s_mov_b32 s11, 0
	s_cbranch_scc0 .LBB242_2140
; %bb.2122:
	global_load_b32 v3, v[12:13], off
	s_mov_b32 s1, exec_lo
                                        ; implicit-def: $vgpr5
	s_wait_loadcnt 0x0
	v_lshlrev_b32_e32 v3, 16, v3
	s_delay_alu instid0(VALU_DEP_1) | instskip(SKIP_1) | instid1(VALU_DEP_1)
	v_and_b32_e32 v7, 0x7fffffff, v3
	s_wait_xcnt 0x0
	v_cmpx_gt_u32_e32 0x47800000, v7
	s_xor_b32 s1, exec_lo, s1
	s_cbranch_execz .LBB242_2128
; %bb.2123:
	s_mov_b32 s10, exec_lo
                                        ; implicit-def: $vgpr5
	v_cmpx_lt_u32_e32 0x387fffff, v7
	s_xor_b32 s10, exec_lo, s10
; %bb.2124:
	v_bfe_u32 v5, v3, 21, 1
	s_delay_alu instid0(VALU_DEP_1) | instskip(NEXT) | instid1(VALU_DEP_1)
	v_add3_u32 v5, v3, v5, 0x80fffff
	v_lshrrev_b32_e32 v5, 21, v5
; %bb.2125:
	s_and_not1_saveexec_b32 s10, s10
; %bb.2126:
	v_add_f32_e64 v5, 0x43000000, |v3|
; %bb.2127:
	s_or_b32 exec_lo, exec_lo, s10
                                        ; implicit-def: $vgpr7
.LBB242_2128:
	s_and_not1_saveexec_b32 s1, s1
; %bb.2129:
	v_mov_b32_e32 v5, 0x7f
	v_cmp_lt_u32_e32 vcc_lo, 0x7f800000, v7
	s_delay_alu instid0(VALU_DEP_2)
	v_cndmask_b32_e32 v5, 0x7c, v5, vcc_lo
; %bb.2130:
	s_or_b32 exec_lo, exec_lo, s1
	v_lshrrev_b32_e32 v3, 24, v3
	s_mov_b32 s1, 0
	s_mov_b32 s10, -1
	s_delay_alu instid0(VALU_DEP_1)
	v_and_or_b32 v3, 0x80, v3, v5
	s_branch .LBB242_2142
.LBB242_2131:
	s_mov_b32 s10, 0
                                        ; implicit-def: $vgpr3
	s_cbranch_execnz .LBB242_2278
.LBB242_2132:
	s_and_not1_b32 vcc_lo, exec_lo, s10
	s_cbranch_vccnz .LBB242_3440
	s_branch .LBB242_2413
.LBB242_2133:
	s_mov_b32 s10, 0
	s_mov_b32 s1, 0
                                        ; implicit-def: $vgpr3
	s_cbranch_execnz .LBB242_2211
	s_branch .LBB242_2266
.LBB242_2134:
	s_mov_b32 s11, -1
	s_mov_b32 s10, 0
	s_mov_b32 s1, 0
                                        ; implicit-def: $vgpr3
	s_branch .LBB242_2168
.LBB242_2135:
	s_mov_b32 s11, -1
	s_mov_b32 s10, 0
	s_mov_b32 s1, 0
                                        ; implicit-def: $vgpr3
	s_branch .LBB242_2155
.LBB242_2136:
	s_or_b32 s3, s8, exec_lo
	s_trap 2
	s_cbranch_execz .LBB242_1972
	s_branch .LBB242_1981
.LBB242_2137:
	s_mov_b32 s11, -1
	s_mov_b32 s10, 0
	s_mov_b32 s1, 0
	s_branch .LBB242_2141
.LBB242_2138:
	s_and_not1_saveexec_b32 s9, s9
	s_cbranch_execz .LBB242_1689
.LBB242_2139:
	v_add_f32_e32 v2, 0x42800000, v3
	s_and_not1_b32 s8, s8, exec_lo
	s_delay_alu instid0(VALU_DEP_1) | instskip(NEXT) | instid1(VALU_DEP_1)
	v_and_b32_e32 v2, 0xff, v2
	v_cmp_ne_u32_e32 vcc_lo, 0, v2
	s_and_b32 s10, vcc_lo, exec_lo
	s_delay_alu instid0(SALU_CYCLE_1)
	s_or_b32 s8, s8, s10
	s_or_b32 exec_lo, exec_lo, s9
	v_mov_b32_e32 v4, 0
	s_and_saveexec_b32 s9, s8
	s_cbranch_execnz .LBB242_1690
	s_branch .LBB242_1691
.LBB242_2140:
	s_mov_b32 s1, -1
	s_mov_b32 s10, 0
.LBB242_2141:
                                        ; implicit-def: $vgpr3
.LBB242_2142:
	s_and_b32 vcc_lo, exec_lo, s11
	s_cbranch_vccz .LBB242_2154
; %bb.2143:
	s_cmp_eq_u32 s0, 44
	s_cbranch_scc0 .LBB242_2153
; %bb.2144:
	global_load_u8 v3, v[12:13], off
	s_mov_b32 s1, exec_lo
	s_wait_loadcnt 0x0
	v_lshlrev_b32_e32 v5, 23, v3
	v_cmp_ne_u32_e32 vcc_lo, 0xff, v3
	s_delay_alu instid0(VALU_DEP_2) | instskip(SKIP_1) | instid1(VALU_DEP_2)
	v_cndmask_b32_e32 v5, 0x7f800001, v5, vcc_lo
	v_cmp_ne_u32_e32 vcc_lo, 0, v3
                                        ; implicit-def: $vgpr3
	v_cndmask_b32_e32 v5, 0x400000, v5, vcc_lo
	s_wait_xcnt 0x0
	s_delay_alu instid0(VALU_DEP_1)
	v_cmpx_gt_u32_e32 0x47800000, v5
	s_xor_b32 s1, exec_lo, s1
	s_cbranch_execz .LBB242_2150
; %bb.2145:
	s_mov_b32 s10, exec_lo
                                        ; implicit-def: $vgpr3
	v_cmpx_lt_u32_e32 0x387fffff, v5
	s_xor_b32 s10, exec_lo, s10
; %bb.2146:
	v_bfe_u32 v3, v5, 21, 1
	s_delay_alu instid0(VALU_DEP_1) | instskip(NEXT) | instid1(VALU_DEP_1)
	v_add3_u32 v3, v5, v3, 0x80fffff
                                        ; implicit-def: $vgpr5
	v_lshrrev_b32_e32 v3, 21, v3
; %bb.2147:
	s_and_not1_saveexec_b32 s10, s10
; %bb.2148:
	v_add_f32_e32 v3, 0x43000000, v5
; %bb.2149:
	s_or_b32 exec_lo, exec_lo, s10
                                        ; implicit-def: $vgpr5
.LBB242_2150:
	s_and_not1_saveexec_b32 s1, s1
; %bb.2151:
	v_mov_b32_e32 v3, 0x7f
	v_cmp_lt_u32_e32 vcc_lo, 0x7f800000, v5
	s_delay_alu instid0(VALU_DEP_2)
	v_cndmask_b32_e32 v3, 0x7c, v3, vcc_lo
; %bb.2152:
	s_or_b32 exec_lo, exec_lo, s1
	s_mov_b32 s1, 0
	s_mov_b32 s10, -1
	s_branch .LBB242_2154
.LBB242_2153:
	s_mov_b32 s1, -1
                                        ; implicit-def: $vgpr3
.LBB242_2154:
	s_mov_b32 s11, 0
.LBB242_2155:
	s_delay_alu instid0(SALU_CYCLE_1)
	s_and_b32 vcc_lo, exec_lo, s11
	s_cbranch_vccz .LBB242_2167
; %bb.2156:
	s_cmp_eq_u32 s0, 29
	s_cbranch_scc0 .LBB242_2166
; %bb.2157:
	global_load_b64 v[14:15], v[12:13], off
	s_mov_b32 s1, exec_lo
	s_wait_loadcnt 0x0
	v_clz_i32_u32_e32 v3, v15
	s_delay_alu instid0(VALU_DEP_1) | instskip(NEXT) | instid1(VALU_DEP_1)
	v_min_u32_e32 v3, 32, v3
	v_lshlrev_b64_e32 v[14:15], v3, v[14:15]
	v_sub_nc_u32_e32 v3, 32, v3
	s_delay_alu instid0(VALU_DEP_2) | instskip(NEXT) | instid1(VALU_DEP_1)
	v_min_u32_e32 v5, 1, v14
	v_or_b32_e32 v5, v15, v5
	s_delay_alu instid0(VALU_DEP_1) | instskip(NEXT) | instid1(VALU_DEP_1)
	v_cvt_f32_u32_e32 v5, v5
	v_ldexp_f32 v5, v5, v3
                                        ; implicit-def: $vgpr3
	s_wait_xcnt 0x0
	s_delay_alu instid0(VALU_DEP_1)
	v_cmpx_gt_u32_e32 0x47800000, v5
	s_xor_b32 s1, exec_lo, s1
	s_cbranch_execz .LBB242_2163
; %bb.2158:
	s_mov_b32 s10, exec_lo
                                        ; implicit-def: $vgpr3
	v_cmpx_lt_u32_e32 0x387fffff, v5
	s_xor_b32 s10, exec_lo, s10
; %bb.2159:
	v_bfe_u32 v3, v5, 21, 1
	s_delay_alu instid0(VALU_DEP_1) | instskip(NEXT) | instid1(VALU_DEP_1)
	v_add3_u32 v3, v5, v3, 0x80fffff
                                        ; implicit-def: $vgpr5
	v_lshrrev_b32_e32 v3, 21, v3
; %bb.2160:
	s_and_not1_saveexec_b32 s10, s10
; %bb.2161:
	v_add_f32_e32 v3, 0x43000000, v5
; %bb.2162:
	s_or_b32 exec_lo, exec_lo, s10
                                        ; implicit-def: $vgpr5
.LBB242_2163:
	s_and_not1_saveexec_b32 s1, s1
; %bb.2164:
	v_mov_b32_e32 v3, 0x7f
	v_cmp_lt_u32_e32 vcc_lo, 0x7f800000, v5
	s_delay_alu instid0(VALU_DEP_2)
	v_cndmask_b32_e32 v3, 0x7c, v3, vcc_lo
; %bb.2165:
	s_or_b32 exec_lo, exec_lo, s1
	s_mov_b32 s1, 0
	s_mov_b32 s10, -1
	s_branch .LBB242_2167
.LBB242_2166:
	s_mov_b32 s1, -1
                                        ; implicit-def: $vgpr3
.LBB242_2167:
	s_mov_b32 s11, 0
.LBB242_2168:
	s_delay_alu instid0(SALU_CYCLE_1)
	s_and_b32 vcc_lo, exec_lo, s11
	s_cbranch_vccz .LBB242_2210
; %bb.2169:
	s_cmp_lt_i32 s0, 27
	s_cbranch_scc1 .LBB242_2180
; %bb.2170:
	s_cmp_gt_i32 s0, 27
	s_cbranch_scc0 .LBB242_2181
; %bb.2171:
	global_load_b32 v3, v[12:13], off
	s_mov_b32 s10, exec_lo
	s_wait_loadcnt 0x0
	v_cvt_f32_u32_e32 v5, v3
                                        ; implicit-def: $vgpr3
	s_wait_xcnt 0x0
	s_delay_alu instid0(VALU_DEP_1)
	v_cmpx_gt_u32_e32 0x47800000, v5
	s_xor_b32 s10, exec_lo, s10
	s_cbranch_execz .LBB242_2177
; %bb.2172:
	s_mov_b32 s11, exec_lo
                                        ; implicit-def: $vgpr3
	v_cmpx_lt_u32_e32 0x387fffff, v5
	s_xor_b32 s11, exec_lo, s11
; %bb.2173:
	v_bfe_u32 v3, v5, 21, 1
	s_delay_alu instid0(VALU_DEP_1) | instskip(NEXT) | instid1(VALU_DEP_1)
	v_add3_u32 v3, v5, v3, 0x80fffff
                                        ; implicit-def: $vgpr5
	v_lshrrev_b32_e32 v3, 21, v3
; %bb.2174:
	s_and_not1_saveexec_b32 s11, s11
; %bb.2175:
	v_add_f32_e32 v3, 0x43000000, v5
; %bb.2176:
	s_or_b32 exec_lo, exec_lo, s11
                                        ; implicit-def: $vgpr5
.LBB242_2177:
	s_and_not1_saveexec_b32 s10, s10
; %bb.2178:
	v_mov_b32_e32 v3, 0x7f
	v_cmp_lt_u32_e32 vcc_lo, 0x7f800000, v5
	s_delay_alu instid0(VALU_DEP_2)
	v_cndmask_b32_e32 v3, 0x7c, v3, vcc_lo
; %bb.2179:
	s_or_b32 exec_lo, exec_lo, s10
	s_mov_b32 s10, 0
	s_branch .LBB242_2182
.LBB242_2180:
	s_mov_b32 s10, -1
                                        ; implicit-def: $vgpr3
	s_branch .LBB242_2193
.LBB242_2181:
	s_mov_b32 s10, -1
                                        ; implicit-def: $vgpr3
.LBB242_2182:
	s_delay_alu instid0(SALU_CYCLE_1)
	s_and_b32 vcc_lo, exec_lo, s10
	s_cbranch_vccz .LBB242_2192
; %bb.2183:
	global_load_u16 v3, v[12:13], off
	s_mov_b32 s10, exec_lo
	s_wait_loadcnt 0x0
	v_cvt_f32_u32_e32 v5, v3
                                        ; implicit-def: $vgpr3
	s_wait_xcnt 0x0
	s_delay_alu instid0(VALU_DEP_1)
	v_cmpx_gt_u32_e32 0x47800000, v5
	s_xor_b32 s10, exec_lo, s10
	s_cbranch_execz .LBB242_2189
; %bb.2184:
	s_mov_b32 s11, exec_lo
                                        ; implicit-def: $vgpr3
	v_cmpx_lt_u32_e32 0x387fffff, v5
	s_xor_b32 s11, exec_lo, s11
; %bb.2185:
	v_bfe_u32 v3, v5, 21, 1
	s_delay_alu instid0(VALU_DEP_1) | instskip(NEXT) | instid1(VALU_DEP_1)
	v_add3_u32 v3, v5, v3, 0x80fffff
                                        ; implicit-def: $vgpr5
	v_lshrrev_b32_e32 v3, 21, v3
; %bb.2186:
	s_and_not1_saveexec_b32 s11, s11
; %bb.2187:
	v_add_f32_e32 v3, 0x43000000, v5
; %bb.2188:
	s_or_b32 exec_lo, exec_lo, s11
                                        ; implicit-def: $vgpr5
.LBB242_2189:
	s_and_not1_saveexec_b32 s10, s10
; %bb.2190:
	v_mov_b32_e32 v3, 0x7f
	v_cmp_lt_u32_e32 vcc_lo, 0x7f800000, v5
	s_delay_alu instid0(VALU_DEP_2)
	v_cndmask_b32_e32 v3, 0x7c, v3, vcc_lo
; %bb.2191:
	s_or_b32 exec_lo, exec_lo, s10
.LBB242_2192:
	s_mov_b32 s10, 0
.LBB242_2193:
	s_delay_alu instid0(SALU_CYCLE_1)
	s_and_not1_b32 vcc_lo, exec_lo, s10
	s_cbranch_vccnz .LBB242_2209
; %bb.2194:
	global_load_u8 v5, v[12:13], off
	s_mov_b32 s10, 0
	s_mov_b32 s11, exec_lo
	s_wait_loadcnt 0x0
	v_cmpx_lt_i16_e32 0x7f, v5
	s_xor_b32 s11, exec_lo, s11
	s_cbranch_execz .LBB242_2230
; %bb.2195:
	s_mov_b32 s10, -1
	s_mov_b32 s12, exec_lo
	v_cmpx_eq_u16_e32 0x80, v5
; %bb.2196:
	s_xor_b32 s10, exec_lo, -1
; %bb.2197:
	s_or_b32 exec_lo, exec_lo, s12
	s_delay_alu instid0(SALU_CYCLE_1)
	s_and_b32 s10, s10, exec_lo
	s_or_saveexec_b32 s11, s11
	v_mov_b32_e32 v3, 0x7f800001
	s_xor_b32 exec_lo, exec_lo, s11
	s_cbranch_execnz .LBB242_2231
.LBB242_2198:
	s_or_b32 exec_lo, exec_lo, s11
	s_and_saveexec_b32 s11, s10
	s_cbranch_execz .LBB242_2200
.LBB242_2199:
	v_and_b32_e32 v3, 0xffff, v5
	s_delay_alu instid0(VALU_DEP_1) | instskip(SKIP_1) | instid1(VALU_DEP_2)
	v_and_b32_e32 v7, 7, v3
	v_bfe_u32 v14, v3, 3, 4
	v_clz_i32_u32_e32 v9, v7
	s_delay_alu instid0(VALU_DEP_2) | instskip(NEXT) | instid1(VALU_DEP_2)
	v_cmp_eq_u32_e32 vcc_lo, 0, v14
	v_min_u32_e32 v9, 32, v9
	s_delay_alu instid0(VALU_DEP_1) | instskip(NEXT) | instid1(VALU_DEP_1)
	v_subrev_nc_u32_e32 v11, 28, v9
	v_dual_lshlrev_b32 v3, v11, v3 :: v_dual_sub_nc_u32 v9, 29, v9
	s_delay_alu instid0(VALU_DEP_1) | instskip(NEXT) | instid1(VALU_DEP_1)
	v_dual_lshlrev_b32 v5, 24, v5 :: v_dual_bitop2_b32 v3, 7, v3 bitop3:0x40
	v_dual_cndmask_b32 v3, v7, v3, vcc_lo :: v_dual_cndmask_b32 v9, v14, v9, vcc_lo
	s_delay_alu instid0(VALU_DEP_2) | instskip(NEXT) | instid1(VALU_DEP_2)
	v_and_b32_e32 v5, 0x80000000, v5
	v_lshlrev_b32_e32 v3, 20, v3
	s_delay_alu instid0(VALU_DEP_3) | instskip(NEXT) | instid1(VALU_DEP_1)
	v_lshl_add_u32 v7, v9, 23, 0x3b800000
	v_or3_b32 v3, v5, v7, v3
.LBB242_2200:
	s_or_b32 exec_lo, exec_lo, s11
	s_delay_alu instid0(VALU_DEP_1) | instskip(SKIP_1) | instid1(VALU_DEP_1)
	v_and_b32_e32 v7, 0x7fffffff, v3
	s_mov_b32 s10, exec_lo
                                        ; implicit-def: $vgpr5
	v_cmpx_gt_u32_e32 0x47800000, v7
	s_xor_b32 s10, exec_lo, s10
	s_cbranch_execz .LBB242_2206
; %bb.2201:
	s_mov_b32 s11, exec_lo
                                        ; implicit-def: $vgpr5
	v_cmpx_lt_u32_e32 0x387fffff, v7
	s_xor_b32 s11, exec_lo, s11
; %bb.2202:
	v_bfe_u32 v5, v3, 21, 1
	s_delay_alu instid0(VALU_DEP_1) | instskip(NEXT) | instid1(VALU_DEP_1)
	v_add3_u32 v5, v3, v5, 0x80fffff
	v_lshrrev_b32_e32 v5, 21, v5
; %bb.2203:
	s_and_not1_saveexec_b32 s11, s11
; %bb.2204:
	v_add_f32_e64 v5, 0x43000000, |v3|
; %bb.2205:
	s_or_b32 exec_lo, exec_lo, s11
                                        ; implicit-def: $vgpr7
.LBB242_2206:
	s_and_not1_saveexec_b32 s10, s10
; %bb.2207:
	v_mov_b32_e32 v5, 0x7f
	v_cmp_lt_u32_e32 vcc_lo, 0x7f800000, v7
	s_delay_alu instid0(VALU_DEP_2)
	v_cndmask_b32_e32 v5, 0x7c, v5, vcc_lo
; %bb.2208:
	s_or_b32 exec_lo, exec_lo, s10
	v_lshrrev_b32_e32 v3, 24, v3
	s_delay_alu instid0(VALU_DEP_1)
	v_and_or_b32 v3, 0x80, v3, v5
.LBB242_2209:
	s_mov_b32 s10, -1
.LBB242_2210:
	s_branch .LBB242_2266
.LBB242_2211:
	s_cmp_gt_i32 s0, 22
	s_cbranch_scc0 .LBB242_2229
; %bb.2212:
	s_cmp_lt_i32 s0, 24
	s_cbranch_scc1 .LBB242_2232
; %bb.2213:
	s_cmp_gt_i32 s0, 24
	s_cbranch_scc0 .LBB242_2233
; %bb.2214:
	global_load_u8 v5, v[12:13], off
	s_mov_b32 s10, exec_lo
	s_wait_loadcnt 0x0
	v_cmpx_lt_i16_e32 0x7f, v5
	s_xor_b32 s10, exec_lo, s10
	s_cbranch_execz .LBB242_2244
; %bb.2215:
	s_mov_b32 s2, -1
	s_mov_b32 s11, exec_lo
	v_cmpx_eq_u16_e32 0x80, v5
; %bb.2216:
	s_xor_b32 s2, exec_lo, -1
; %bb.2217:
	s_or_b32 exec_lo, exec_lo, s11
	s_delay_alu instid0(SALU_CYCLE_1)
	s_and_b32 s2, s2, exec_lo
	s_or_saveexec_b32 s10, s10
	v_mov_b32_e32 v3, 0x7f800001
	s_xor_b32 exec_lo, exec_lo, s10
	s_cbranch_execnz .LBB242_2245
.LBB242_2218:
	s_or_b32 exec_lo, exec_lo, s10
	s_and_saveexec_b32 s10, s2
	s_cbranch_execz .LBB242_2220
.LBB242_2219:
	v_and_b32_e32 v3, 0xffff, v5
	s_delay_alu instid0(VALU_DEP_1) | instskip(SKIP_1) | instid1(VALU_DEP_2)
	v_and_b32_e32 v7, 3, v3
	v_bfe_u32 v14, v3, 2, 5
	v_clz_i32_u32_e32 v9, v7
	s_delay_alu instid0(VALU_DEP_2) | instskip(NEXT) | instid1(VALU_DEP_2)
	v_cmp_eq_u32_e32 vcc_lo, 0, v14
	v_min_u32_e32 v9, 32, v9
	s_delay_alu instid0(VALU_DEP_1) | instskip(NEXT) | instid1(VALU_DEP_1)
	v_subrev_nc_u32_e32 v11, 29, v9
	v_dual_lshlrev_b32 v3, v11, v3 :: v_dual_sub_nc_u32 v9, 30, v9
	s_delay_alu instid0(VALU_DEP_1) | instskip(NEXT) | instid1(VALU_DEP_1)
	v_dual_lshlrev_b32 v5, 24, v5 :: v_dual_bitop2_b32 v3, 3, v3 bitop3:0x40
	v_dual_cndmask_b32 v3, v7, v3, vcc_lo :: v_dual_cndmask_b32 v9, v14, v9, vcc_lo
	s_delay_alu instid0(VALU_DEP_2) | instskip(NEXT) | instid1(VALU_DEP_2)
	v_and_b32_e32 v5, 0x80000000, v5
	v_lshlrev_b32_e32 v3, 21, v3
	s_delay_alu instid0(VALU_DEP_3) | instskip(NEXT) | instid1(VALU_DEP_1)
	v_lshl_add_u32 v7, v9, 23, 0x37800000
	v_or3_b32 v3, v5, v7, v3
.LBB242_2220:
	s_or_b32 exec_lo, exec_lo, s10
	s_delay_alu instid0(VALU_DEP_1) | instskip(SKIP_1) | instid1(VALU_DEP_1)
	v_and_b32_e32 v7, 0x7fffffff, v3
	s_mov_b32 s2, exec_lo
                                        ; implicit-def: $vgpr5
	v_cmpx_gt_u32_e32 0x47800000, v7
	s_xor_b32 s2, exec_lo, s2
	s_cbranch_execz .LBB242_2226
; %bb.2221:
	s_mov_b32 s10, exec_lo
                                        ; implicit-def: $vgpr5
	v_cmpx_lt_u32_e32 0x387fffff, v7
	s_xor_b32 s10, exec_lo, s10
; %bb.2222:
	v_bfe_u32 v5, v3, 21, 1
	s_delay_alu instid0(VALU_DEP_1) | instskip(NEXT) | instid1(VALU_DEP_1)
	v_add3_u32 v5, v3, v5, 0x80fffff
	v_lshrrev_b32_e32 v5, 21, v5
; %bb.2223:
	s_and_not1_saveexec_b32 s10, s10
; %bb.2224:
	v_add_f32_e64 v5, 0x43000000, |v3|
; %bb.2225:
	s_or_b32 exec_lo, exec_lo, s10
                                        ; implicit-def: $vgpr7
.LBB242_2226:
	s_and_not1_saveexec_b32 s2, s2
; %bb.2227:
	v_mov_b32_e32 v5, 0x7f
	v_cmp_lt_u32_e32 vcc_lo, 0x7f800000, v7
	s_delay_alu instid0(VALU_DEP_2)
	v_cndmask_b32_e32 v5, 0x7c, v5, vcc_lo
; %bb.2228:
	s_or_b32 exec_lo, exec_lo, s2
	v_lshrrev_b32_e32 v3, 24, v3
	s_mov_b32 s2, 0
	s_delay_alu instid0(VALU_DEP_1)
	v_and_or_b32 v3, 0x80, v3, v5
	s_branch .LBB242_2234
.LBB242_2229:
	s_mov_b32 s2, -1
                                        ; implicit-def: $vgpr3
	s_branch .LBB242_2250
.LBB242_2230:
	s_or_saveexec_b32 s11, s11
	v_mov_b32_e32 v3, 0x7f800001
	s_xor_b32 exec_lo, exec_lo, s11
	s_cbranch_execz .LBB242_2198
.LBB242_2231:
	v_cmp_ne_u16_e32 vcc_lo, 0, v5
	v_mov_b32_e32 v3, 0
	s_and_not1_b32 s10, s10, exec_lo
	s_and_b32 s12, vcc_lo, exec_lo
	s_delay_alu instid0(SALU_CYCLE_1)
	s_or_b32 s10, s10, s12
	s_or_b32 exec_lo, exec_lo, s11
	s_and_saveexec_b32 s11, s10
	s_cbranch_execnz .LBB242_2199
	s_branch .LBB242_2200
.LBB242_2232:
	s_mov_b32 s2, -1
                                        ; implicit-def: $vgpr3
	s_branch .LBB242_2247
.LBB242_2233:
	s_mov_b32 s2, -1
                                        ; implicit-def: $vgpr3
.LBB242_2234:
	s_delay_alu instid0(SALU_CYCLE_1)
	s_and_b32 vcc_lo, exec_lo, s2
	s_cbranch_vccz .LBB242_2246
; %bb.2235:
	global_load_u8 v3, v[12:13], off
	s_mov_b32 s2, exec_lo
	s_wait_loadcnt 0x0
	v_lshlrev_b32_e32 v3, 24, v3
	s_delay_alu instid0(VALU_DEP_1) | instskip(NEXT) | instid1(VALU_DEP_1)
	v_and_b32_e32 v5, 0x7f000000, v3
	v_clz_i32_u32_e32 v7, v5
	v_add_nc_u32_e32 v11, 0x1000000, v5
	v_cmp_ne_u32_e32 vcc_lo, 0, v5
	s_delay_alu instid0(VALU_DEP_3) | instskip(NEXT) | instid1(VALU_DEP_1)
	v_min_u32_e32 v7, 32, v7
	v_sub_nc_u32_e64 v7, v7, 4 clamp
	s_delay_alu instid0(VALU_DEP_1) | instskip(NEXT) | instid1(VALU_DEP_1)
	v_lshlrev_b32_e32 v9, v7, v5
                                        ; implicit-def: $vgpr5
	v_dual_lshlrev_b32 v7, 23, v7 :: v_dual_lshrrev_b32 v9, 4, v9
	s_delay_alu instid0(VALU_DEP_1) | instskip(SKIP_1) | instid1(VALU_DEP_2)
	v_sub_nc_u32_e32 v7, v9, v7
	v_ashrrev_i32_e32 v9, 8, v11
	v_add_nc_u32_e32 v7, 0x3c000000, v7
	s_delay_alu instid0(VALU_DEP_1) | instskip(NEXT) | instid1(VALU_DEP_1)
	v_and_or_b32 v7, 0x7f800000, v9, v7
	v_cndmask_b32_e32 v9, 0, v7, vcc_lo
	s_delay_alu instid0(VALU_DEP_1) | instskip(NEXT) | instid1(VALU_DEP_1)
	v_and_or_b32 v3, 0x80000000, v3, v9
	v_and_b32_e32 v7, 0x7fffffff, v3
	s_wait_xcnt 0x0
	s_delay_alu instid0(VALU_DEP_1)
	v_cmpx_gt_u32_e32 0x47800000, v7
	s_xor_b32 s2, exec_lo, s2
	s_cbranch_execz .LBB242_2241
; %bb.2236:
	s_mov_b32 s10, exec_lo
                                        ; implicit-def: $vgpr5
	v_cmpx_lt_u32_e32 0x387fffff, v7
	s_xor_b32 s10, exec_lo, s10
; %bb.2237:
	v_bfe_u32 v5, v9, 21, 1
	s_delay_alu instid0(VALU_DEP_1) | instskip(NEXT) | instid1(VALU_DEP_1)
	v_add3_u32 v5, v3, v5, 0x80fffff
	v_lshrrev_b32_e32 v5, 21, v5
; %bb.2238:
	s_and_not1_saveexec_b32 s10, s10
; %bb.2239:
	v_add_f32_e64 v5, 0x43000000, |v3|
; %bb.2240:
	s_or_b32 exec_lo, exec_lo, s10
                                        ; implicit-def: $vgpr7
.LBB242_2241:
	s_and_not1_saveexec_b32 s2, s2
; %bb.2242:
	v_mov_b32_e32 v5, 0x7f
	v_cmp_lt_u32_e32 vcc_lo, 0x7f800000, v7
	s_delay_alu instid0(VALU_DEP_2)
	v_cndmask_b32_e32 v5, 0x7c, v5, vcc_lo
; %bb.2243:
	s_or_b32 exec_lo, exec_lo, s2
	v_lshrrev_b32_e32 v3, 24, v3
	s_mov_b32 s2, 0
	s_delay_alu instid0(VALU_DEP_1)
	v_and_or_b32 v3, 0x80, v3, v5
	s_branch .LBB242_2247
.LBB242_2244:
	s_or_saveexec_b32 s10, s10
	v_mov_b32_e32 v3, 0x7f800001
	s_xor_b32 exec_lo, exec_lo, s10
	s_cbranch_execz .LBB242_2218
.LBB242_2245:
	v_cmp_ne_u16_e32 vcc_lo, 0, v5
	v_mov_b32_e32 v3, 0
	s_and_not1_b32 s2, s2, exec_lo
	s_and_b32 s11, vcc_lo, exec_lo
	s_delay_alu instid0(SALU_CYCLE_1)
	s_or_b32 s2, s2, s11
	s_or_b32 exec_lo, exec_lo, s10
	s_and_saveexec_b32 s10, s2
	s_cbranch_execnz .LBB242_2219
	s_branch .LBB242_2220
.LBB242_2246:
	s_mov_b32 s2, 0
.LBB242_2247:
	s_delay_alu instid0(SALU_CYCLE_1)
	s_and_not1_b32 vcc_lo, exec_lo, s2
	s_cbranch_vccnz .LBB242_2249
; %bb.2248:
	global_load_u8 v3, v[12:13], off
.LBB242_2249:
	s_mov_b32 s2, 0
	s_mov_b32 s10, -1
.LBB242_2250:
	s_and_not1_b32 vcc_lo, exec_lo, s2
	s_mov_b32 s2, 0
	s_cbranch_vccnz .LBB242_2266
; %bb.2251:
	s_cmp_gt_i32 s0, 14
	s_cbranch_scc0 .LBB242_2262
; %bb.2252:
	s_cmp_eq_u32 s0, 15
	s_cbranch_scc0 .LBB242_2263
; %bb.2253:
	s_wait_loadcnt 0x0
	global_load_u16 v3, v[12:13], off
	s_mov_b32 s1, exec_lo
                                        ; implicit-def: $vgpr5
	s_wait_loadcnt 0x0
	v_lshlrev_b32_e32 v7, 16, v3
	s_delay_alu instid0(VALU_DEP_1) | instskip(SKIP_1) | instid1(VALU_DEP_1)
	v_and_b32_e32 v9, 0x7fffffff, v7
	s_wait_xcnt 0x0
	v_cmpx_gt_u32_e32 0x47800000, v9
	s_xor_b32 s1, exec_lo, s1
	s_cbranch_execz .LBB242_2259
; %bb.2254:
	s_mov_b32 s2, exec_lo
                                        ; implicit-def: $vgpr5
	v_cmpx_lt_u32_e32 0x387fffff, v9
	s_xor_b32 s2, exec_lo, s2
; %bb.2255:
	v_bfe_u32 v5, v3, 5, 1
	s_delay_alu instid0(VALU_DEP_1) | instskip(NEXT) | instid1(VALU_DEP_1)
	v_add3_u32 v5, v7, v5, 0x80fffff
                                        ; implicit-def: $vgpr7
	v_lshrrev_b32_e32 v5, 21, v5
; %bb.2256:
	s_and_not1_saveexec_b32 s2, s2
; %bb.2257:
	v_add_f32_e64 v5, 0x43000000, |v7|
; %bb.2258:
	s_or_b32 exec_lo, exec_lo, s2
                                        ; implicit-def: $vgpr9
.LBB242_2259:
	s_and_not1_saveexec_b32 s1, s1
; %bb.2260:
	v_mov_b32_e32 v5, 0x7f
	v_cmp_lt_u32_e32 vcc_lo, 0x7f800000, v9
	s_delay_alu instid0(VALU_DEP_2)
	v_cndmask_b32_e32 v5, 0x7c, v5, vcc_lo
; %bb.2261:
	s_or_b32 exec_lo, exec_lo, s1
	v_lshrrev_b32_e32 v3, 8, v3
	s_mov_b32 s1, 0
	s_mov_b32 s10, -1
	s_mov_b32 s2, 0
	s_delay_alu instid0(VALU_DEP_1)
	v_and_or_b32 v3, 0x80, v3, v5
	s_branch .LBB242_2264
.LBB242_2262:
	s_mov_b32 s2, -1
                                        ; implicit-def: $vgpr3
	s_branch .LBB242_2264
.LBB242_2263:
	s_mov_b32 s1, -1
                                        ; implicit-def: $vgpr3
	s_mov_b32 s2, 0
.LBB242_2264:
	s_delay_alu instid0(SALU_CYCLE_1)
	s_and_b32 vcc_lo, exec_lo, s2
	s_mov_b32 s2, 0
	s_cbranch_vccz .LBB242_2266
; %bb.2265:
	s_cmp_lg_u32 s0, 11
	s_mov_b32 s2, -1
	s_cselect_b32 s1, -1, 0
.LBB242_2266:
	s_delay_alu instid0(SALU_CYCLE_1)
	s_and_b32 vcc_lo, exec_lo, s1
	s_cbranch_vccnz .LBB242_2433
; %bb.2267:
	s_and_not1_b32 vcc_lo, exec_lo, s2
	s_cbranch_vccnz .LBB242_2277
.LBB242_2268:
	s_wait_loadcnt 0x0
	global_load_u8 v3, v[12:13], off
	s_mov_b32 s1, exec_lo
	s_wait_loadcnt 0x0
	v_cmp_ne_u16_e32 vcc_lo, 0, v3
                                        ; implicit-def: $vgpr3
	v_cndmask_b32_e64 v5, 0, 1.0, vcc_lo
	s_wait_xcnt 0x0
	s_delay_alu instid0(VALU_DEP_1)
	v_cmpx_gt_u32_e32 0x47800000, v5
	s_xor_b32 s1, exec_lo, s1
	s_cbranch_execz .LBB242_2274
; %bb.2269:
	s_mov_b32 s2, exec_lo
                                        ; implicit-def: $vgpr3
	v_cmpx_lt_u32_e32 0x387fffff, v5
	s_xor_b32 s2, exec_lo, s2
; %bb.2270:
	v_bfe_u32 v3, v5, 21, 1
	s_delay_alu instid0(VALU_DEP_1) | instskip(NEXT) | instid1(VALU_DEP_1)
	v_add3_u32 v3, v5, v3, 0x80fffff
                                        ; implicit-def: $vgpr5
	v_lshrrev_b32_e32 v3, 21, v3
; %bb.2271:
	s_and_not1_saveexec_b32 s2, s2
; %bb.2272:
	v_add_f32_e32 v3, 0x43000000, v5
; %bb.2273:
	s_or_b32 exec_lo, exec_lo, s2
                                        ; implicit-def: $vgpr5
.LBB242_2274:
	s_and_not1_saveexec_b32 s1, s1
; %bb.2275:
	v_mov_b32_e32 v3, 0x7f
	v_cmp_lt_u32_e32 vcc_lo, 0x7f800000, v5
	s_delay_alu instid0(VALU_DEP_2)
	v_cndmask_b32_e32 v3, 0x7c, v3, vcc_lo
; %bb.2276:
	s_or_b32 exec_lo, exec_lo, s1
	s_mov_b32 s10, -1
.LBB242_2277:
	s_branch .LBB242_2132
.LBB242_2278:
	s_cmp_lt_i32 s0, 5
	s_cbranch_scc1 .LBB242_2291
; %bb.2279:
	s_cmp_lt_i32 s0, 8
	s_cbranch_scc1 .LBB242_2292
; %bb.2280:
	;; [unrolled: 3-line block ×3, first 2 shown]
	s_cmp_gt_i32 s0, 9
	s_cbranch_scc0 .LBB242_2294
; %bb.2282:
	global_load_b64 v[14:15], v[12:13], off
	s_mov_b32 s1, exec_lo
                                        ; implicit-def: $vgpr5
	s_wait_loadcnt 0x0
	v_cvt_f32_f64_e32 v3, v[14:15]
	s_delay_alu instid0(VALU_DEP_1) | instskip(SKIP_1) | instid1(VALU_DEP_1)
	v_and_b32_e32 v7, 0x7fffffff, v3
	s_wait_xcnt 0x0
	v_cmpx_gt_u32_e32 0x47800000, v7
	s_xor_b32 s1, exec_lo, s1
	s_cbranch_execz .LBB242_2288
; %bb.2283:
	s_mov_b32 s2, exec_lo
                                        ; implicit-def: $vgpr5
	v_cmpx_lt_u32_e32 0x387fffff, v7
	s_xor_b32 s2, exec_lo, s2
; %bb.2284:
	v_bfe_u32 v5, v3, 21, 1
	s_delay_alu instid0(VALU_DEP_1) | instskip(NEXT) | instid1(VALU_DEP_1)
	v_add3_u32 v5, v3, v5, 0x80fffff
	v_lshrrev_b32_e32 v5, 21, v5
; %bb.2285:
	s_and_not1_saveexec_b32 s2, s2
; %bb.2286:
	v_add_f32_e64 v5, 0x43000000, |v3|
; %bb.2287:
	s_or_b32 exec_lo, exec_lo, s2
                                        ; implicit-def: $vgpr7
.LBB242_2288:
	s_and_not1_saveexec_b32 s1, s1
; %bb.2289:
	v_mov_b32_e32 v5, 0x7f
	v_cmp_lt_u32_e32 vcc_lo, 0x7f800000, v7
	s_delay_alu instid0(VALU_DEP_2)
	v_cndmask_b32_e32 v5, 0x7c, v5, vcc_lo
; %bb.2290:
	s_or_b32 exec_lo, exec_lo, s1
	v_lshrrev_b32_e32 v3, 24, v3
	s_mov_b32 s1, 0
	s_delay_alu instid0(VALU_DEP_1)
	v_and_or_b32 v3, 0x80, v3, v5
	s_branch .LBB242_2295
.LBB242_2291:
                                        ; implicit-def: $vgpr3
	s_branch .LBB242_2353
.LBB242_2292:
	s_mov_b32 s1, -1
                                        ; implicit-def: $vgpr3
	s_branch .LBB242_2317
.LBB242_2293:
	s_mov_b32 s1, -1
                                        ; implicit-def: $vgpr3
	s_branch .LBB242_2306
.LBB242_2294:
	s_mov_b32 s1, -1
                                        ; implicit-def: $vgpr3
.LBB242_2295:
	s_delay_alu instid0(SALU_CYCLE_1)
	s_and_b32 vcc_lo, exec_lo, s1
	s_cbranch_vccz .LBB242_2305
; %bb.2296:
	s_wait_loadcnt 0x0
	global_load_b32 v3, v[12:13], off
	s_mov_b32 s1, exec_lo
                                        ; implicit-def: $vgpr5
	s_wait_loadcnt 0x0
	v_and_b32_e32 v7, 0x7fffffff, v3
	s_wait_xcnt 0x0
	s_delay_alu instid0(VALU_DEP_1)
	v_cmpx_gt_u32_e32 0x47800000, v7
	s_xor_b32 s1, exec_lo, s1
	s_cbranch_execz .LBB242_2302
; %bb.2297:
	s_mov_b32 s2, exec_lo
                                        ; implicit-def: $vgpr5
	v_cmpx_lt_u32_e32 0x387fffff, v7
	s_xor_b32 s2, exec_lo, s2
; %bb.2298:
	v_bfe_u32 v5, v3, 21, 1
	s_delay_alu instid0(VALU_DEP_1) | instskip(NEXT) | instid1(VALU_DEP_1)
	v_add3_u32 v5, v3, v5, 0x80fffff
	v_lshrrev_b32_e32 v5, 21, v5
; %bb.2299:
	s_and_not1_saveexec_b32 s2, s2
; %bb.2300:
	v_add_f32_e64 v5, 0x43000000, |v3|
; %bb.2301:
	s_or_b32 exec_lo, exec_lo, s2
                                        ; implicit-def: $vgpr7
.LBB242_2302:
	s_and_not1_saveexec_b32 s1, s1
; %bb.2303:
	v_mov_b32_e32 v5, 0x7f
	v_cmp_lt_u32_e32 vcc_lo, 0x7f800000, v7
	s_delay_alu instid0(VALU_DEP_2)
	v_cndmask_b32_e32 v5, 0x7c, v5, vcc_lo
; %bb.2304:
	s_or_b32 exec_lo, exec_lo, s1
	v_lshrrev_b32_e32 v3, 24, v3
	s_mov_b32 s1, 0
	s_delay_alu instid0(VALU_DEP_1)
	v_and_or_b32 v3, 0x80, v3, v5
	s_branch .LBB242_2306
.LBB242_2305:
	s_mov_b32 s1, 0
.LBB242_2306:
	s_delay_alu instid0(SALU_CYCLE_1)
	s_and_not1_b32 vcc_lo, exec_lo, s1
	s_cbranch_vccnz .LBB242_2316
; %bb.2307:
	s_wait_loadcnt 0x0
	global_load_b32 v3, v[12:13], off
	s_mov_b32 s1, exec_lo
                                        ; implicit-def: $vgpr5
	s_wait_loadcnt 0x0
	v_cvt_f32_f16_e32 v3, v3
	s_delay_alu instid0(VALU_DEP_1) | instskip(SKIP_1) | instid1(VALU_DEP_1)
	v_and_b32_e32 v7, 0x7fffffff, v3
	s_wait_xcnt 0x0
	v_cmpx_gt_u32_e32 0x47800000, v7
	s_xor_b32 s1, exec_lo, s1
	s_cbranch_execz .LBB242_2313
; %bb.2308:
	s_mov_b32 s2, exec_lo
                                        ; implicit-def: $vgpr5
	v_cmpx_lt_u32_e32 0x387fffff, v7
	s_xor_b32 s2, exec_lo, s2
; %bb.2309:
	v_bfe_u32 v5, v3, 21, 1
	s_delay_alu instid0(VALU_DEP_1) | instskip(NEXT) | instid1(VALU_DEP_1)
	v_add3_u32 v5, v3, v5, 0x80fffff
	v_lshrrev_b32_e32 v5, 21, v5
; %bb.2310:
	s_and_not1_saveexec_b32 s2, s2
; %bb.2311:
	v_add_f32_e64 v5, 0x43000000, |v3|
; %bb.2312:
	s_or_b32 exec_lo, exec_lo, s2
                                        ; implicit-def: $vgpr7
.LBB242_2313:
	s_and_not1_saveexec_b32 s1, s1
; %bb.2314:
	v_mov_b32_e32 v5, 0x7f
	v_cmp_lt_u32_e32 vcc_lo, 0x7f800000, v7
	s_delay_alu instid0(VALU_DEP_2)
	v_cndmask_b32_e32 v5, 0x7c, v5, vcc_lo
; %bb.2315:
	s_or_b32 exec_lo, exec_lo, s1
	v_lshrrev_b32_e32 v3, 24, v3
	s_delay_alu instid0(VALU_DEP_1)
	v_and_or_b32 v3, 0x80, v3, v5
.LBB242_2316:
	s_mov_b32 s1, 0
.LBB242_2317:
	s_delay_alu instid0(SALU_CYCLE_1)
	s_and_not1_b32 vcc_lo, exec_lo, s1
	s_cbranch_vccnz .LBB242_2352
; %bb.2318:
	s_cmp_lt_i32 s0, 6
	s_cbranch_scc1 .LBB242_2329
; %bb.2319:
	s_cmp_gt_i32 s0, 6
	s_cbranch_scc0 .LBB242_2330
; %bb.2320:
	global_load_b64 v[14:15], v[12:13], off
	s_mov_b32 s1, exec_lo
                                        ; implicit-def: $vgpr5
	s_wait_loadcnt 0x0
	v_cvt_f32_f64_e32 v3, v[14:15]
	s_delay_alu instid0(VALU_DEP_1) | instskip(SKIP_1) | instid1(VALU_DEP_1)
	v_and_b32_e32 v7, 0x7fffffff, v3
	s_wait_xcnt 0x0
	v_cmpx_gt_u32_e32 0x47800000, v7
	s_xor_b32 s1, exec_lo, s1
	s_cbranch_execz .LBB242_2326
; %bb.2321:
	s_mov_b32 s2, exec_lo
                                        ; implicit-def: $vgpr5
	v_cmpx_lt_u32_e32 0x387fffff, v7
	s_xor_b32 s2, exec_lo, s2
; %bb.2322:
	v_bfe_u32 v5, v3, 21, 1
	s_delay_alu instid0(VALU_DEP_1) | instskip(NEXT) | instid1(VALU_DEP_1)
	v_add3_u32 v5, v3, v5, 0x80fffff
	v_lshrrev_b32_e32 v5, 21, v5
; %bb.2323:
	s_and_not1_saveexec_b32 s2, s2
; %bb.2324:
	v_add_f32_e64 v5, 0x43000000, |v3|
; %bb.2325:
	s_or_b32 exec_lo, exec_lo, s2
                                        ; implicit-def: $vgpr7
.LBB242_2326:
	s_and_not1_saveexec_b32 s1, s1
; %bb.2327:
	v_mov_b32_e32 v5, 0x7f
	v_cmp_lt_u32_e32 vcc_lo, 0x7f800000, v7
	s_delay_alu instid0(VALU_DEP_2)
	v_cndmask_b32_e32 v5, 0x7c, v5, vcc_lo
; %bb.2328:
	s_or_b32 exec_lo, exec_lo, s1
	v_lshrrev_b32_e32 v3, 24, v3
	s_mov_b32 s1, 0
	s_delay_alu instid0(VALU_DEP_1)
	v_and_or_b32 v3, 0x80, v3, v5
	s_branch .LBB242_2331
.LBB242_2329:
	s_mov_b32 s1, -1
                                        ; implicit-def: $vgpr3
	s_branch .LBB242_2342
.LBB242_2330:
	s_mov_b32 s1, -1
                                        ; implicit-def: $vgpr3
.LBB242_2331:
	s_delay_alu instid0(SALU_CYCLE_1)
	s_and_b32 vcc_lo, exec_lo, s1
	s_cbranch_vccz .LBB242_2341
; %bb.2332:
	s_wait_loadcnt 0x0
	global_load_b32 v3, v[12:13], off
	s_mov_b32 s1, exec_lo
                                        ; implicit-def: $vgpr5
	s_wait_loadcnt 0x0
	v_and_b32_e32 v7, 0x7fffffff, v3
	s_wait_xcnt 0x0
	s_delay_alu instid0(VALU_DEP_1)
	v_cmpx_gt_u32_e32 0x47800000, v7
	s_xor_b32 s1, exec_lo, s1
	s_cbranch_execz .LBB242_2338
; %bb.2333:
	s_mov_b32 s2, exec_lo
                                        ; implicit-def: $vgpr5
	v_cmpx_lt_u32_e32 0x387fffff, v7
	s_xor_b32 s2, exec_lo, s2
; %bb.2334:
	v_bfe_u32 v5, v3, 21, 1
	s_delay_alu instid0(VALU_DEP_1) | instskip(NEXT) | instid1(VALU_DEP_1)
	v_add3_u32 v5, v3, v5, 0x80fffff
	v_lshrrev_b32_e32 v5, 21, v5
; %bb.2335:
	s_and_not1_saveexec_b32 s2, s2
; %bb.2336:
	v_add_f32_e64 v5, 0x43000000, |v3|
; %bb.2337:
	s_or_b32 exec_lo, exec_lo, s2
                                        ; implicit-def: $vgpr7
.LBB242_2338:
	s_and_not1_saveexec_b32 s1, s1
; %bb.2339:
	v_mov_b32_e32 v5, 0x7f
	v_cmp_lt_u32_e32 vcc_lo, 0x7f800000, v7
	s_delay_alu instid0(VALU_DEP_2)
	v_cndmask_b32_e32 v5, 0x7c, v5, vcc_lo
; %bb.2340:
	s_or_b32 exec_lo, exec_lo, s1
	v_lshrrev_b32_e32 v3, 24, v3
	s_mov_b32 s1, 0
	s_delay_alu instid0(VALU_DEP_1)
	v_and_or_b32 v3, 0x80, v3, v5
	s_branch .LBB242_2342
.LBB242_2341:
	s_mov_b32 s1, 0
.LBB242_2342:
	s_delay_alu instid0(SALU_CYCLE_1)
	s_and_not1_b32 vcc_lo, exec_lo, s1
	s_cbranch_vccnz .LBB242_2352
; %bb.2343:
	s_wait_loadcnt 0x0
	global_load_u16 v3, v[12:13], off
	s_mov_b32 s1, exec_lo
                                        ; implicit-def: $vgpr5
	s_wait_loadcnt 0x0
	v_cvt_f32_f16_e32 v3, v3
	s_delay_alu instid0(VALU_DEP_1) | instskip(SKIP_1) | instid1(VALU_DEP_1)
	v_and_b32_e32 v7, 0x7fffffff, v3
	s_wait_xcnt 0x0
	v_cmpx_gt_u32_e32 0x47800000, v7
	s_xor_b32 s1, exec_lo, s1
	s_cbranch_execz .LBB242_2349
; %bb.2344:
	s_mov_b32 s2, exec_lo
                                        ; implicit-def: $vgpr5
	v_cmpx_lt_u32_e32 0x387fffff, v7
	s_xor_b32 s2, exec_lo, s2
; %bb.2345:
	v_bfe_u32 v5, v3, 21, 1
	s_delay_alu instid0(VALU_DEP_1) | instskip(NEXT) | instid1(VALU_DEP_1)
	v_add3_u32 v5, v3, v5, 0x80fffff
	v_lshrrev_b32_e32 v5, 21, v5
; %bb.2346:
	s_and_not1_saveexec_b32 s2, s2
; %bb.2347:
	v_add_f32_e64 v5, 0x43000000, |v3|
; %bb.2348:
	s_or_b32 exec_lo, exec_lo, s2
                                        ; implicit-def: $vgpr7
.LBB242_2349:
	s_and_not1_saveexec_b32 s1, s1
; %bb.2350:
	v_mov_b32_e32 v5, 0x7f
	v_cmp_lt_u32_e32 vcc_lo, 0x7f800000, v7
	s_delay_alu instid0(VALU_DEP_2)
	v_cndmask_b32_e32 v5, 0x7c, v5, vcc_lo
; %bb.2351:
	s_or_b32 exec_lo, exec_lo, s1
	v_lshrrev_b32_e32 v3, 24, v3
	s_delay_alu instid0(VALU_DEP_1)
	v_and_or_b32 v3, 0x80, v3, v5
.LBB242_2352:
	s_cbranch_execnz .LBB242_2412
.LBB242_2353:
	s_cmp_lt_i32 s0, 2
	s_cbranch_scc1 .LBB242_2365
; %bb.2354:
	s_cmp_lt_i32 s0, 3
	s_cbranch_scc1 .LBB242_2366
; %bb.2355:
	s_cmp_gt_i32 s0, 3
	s_cbranch_scc0 .LBB242_2367
; %bb.2356:
	global_load_b64 v[14:15], v[12:13], off
	s_mov_b32 s1, exec_lo
	s_wait_loadcnt 0x0
	v_xor_b32_e32 v3, v14, v15
	v_cls_i32_e32 v5, v15
	s_delay_alu instid0(VALU_DEP_2) | instskip(NEXT) | instid1(VALU_DEP_1)
	v_ashrrev_i32_e32 v3, 31, v3
	v_add_nc_u32_e32 v3, 32, v3
	s_delay_alu instid0(VALU_DEP_1) | instskip(NEXT) | instid1(VALU_DEP_1)
	v_add_min_u32_e64 v3, v5, -1, v3
	v_lshlrev_b64_e32 v[14:15], v3, v[14:15]
	v_sub_nc_u32_e32 v3, 32, v3
	s_delay_alu instid0(VALU_DEP_2) | instskip(NEXT) | instid1(VALU_DEP_1)
	v_min_u32_e32 v5, 1, v14
	v_or_b32_e32 v5, v15, v5
	s_delay_alu instid0(VALU_DEP_1) | instskip(NEXT) | instid1(VALU_DEP_1)
	v_cvt_f32_i32_e32 v5, v5
	v_ldexp_f32 v3, v5, v3
                                        ; implicit-def: $vgpr5
	s_delay_alu instid0(VALU_DEP_1) | instskip(SKIP_1) | instid1(VALU_DEP_1)
	v_and_b32_e32 v7, 0x7fffffff, v3
	s_wait_xcnt 0x0
	v_cmpx_gt_u32_e32 0x47800000, v7
	s_xor_b32 s1, exec_lo, s1
	s_cbranch_execz .LBB242_2362
; %bb.2357:
	s_mov_b32 s2, exec_lo
                                        ; implicit-def: $vgpr5
	v_cmpx_lt_u32_e32 0x387fffff, v7
	s_xor_b32 s2, exec_lo, s2
; %bb.2358:
	v_bfe_u32 v5, v3, 21, 1
	s_delay_alu instid0(VALU_DEP_1) | instskip(NEXT) | instid1(VALU_DEP_1)
	v_add3_u32 v5, v3, v5, 0x80fffff
	v_lshrrev_b32_e32 v5, 21, v5
; %bb.2359:
	s_and_not1_saveexec_b32 s2, s2
; %bb.2360:
	v_add_f32_e64 v5, 0x43000000, |v3|
; %bb.2361:
	s_or_b32 exec_lo, exec_lo, s2
                                        ; implicit-def: $vgpr7
.LBB242_2362:
	s_and_not1_saveexec_b32 s1, s1
; %bb.2363:
	v_mov_b32_e32 v5, 0x7f
	v_cmp_lt_u32_e32 vcc_lo, 0x7f800000, v7
	s_delay_alu instid0(VALU_DEP_2)
	v_cndmask_b32_e32 v5, 0x7c, v5, vcc_lo
; %bb.2364:
	s_or_b32 exec_lo, exec_lo, s1
	v_lshrrev_b32_e32 v3, 24, v3
	s_mov_b32 s1, 0
	s_delay_alu instid0(VALU_DEP_1)
	v_and_or_b32 v3, 0x80, v3, v5
	s_branch .LBB242_2368
.LBB242_2365:
	s_mov_b32 s1, -1
                                        ; implicit-def: $vgpr3
	s_branch .LBB242_2390
.LBB242_2366:
	s_mov_b32 s1, -1
                                        ; implicit-def: $vgpr3
	s_branch .LBB242_2379
.LBB242_2367:
	s_mov_b32 s1, -1
                                        ; implicit-def: $vgpr3
.LBB242_2368:
	s_delay_alu instid0(SALU_CYCLE_1)
	s_and_b32 vcc_lo, exec_lo, s1
	s_cbranch_vccz .LBB242_2378
; %bb.2369:
	s_wait_loadcnt 0x0
	global_load_b32 v3, v[12:13], off
	s_mov_b32 s1, exec_lo
                                        ; implicit-def: $vgpr5
	s_wait_loadcnt 0x0
	v_cvt_f32_i32_e32 v3, v3
	s_delay_alu instid0(VALU_DEP_1) | instskip(SKIP_1) | instid1(VALU_DEP_1)
	v_and_b32_e32 v7, 0x7fffffff, v3
	s_wait_xcnt 0x0
	v_cmpx_gt_u32_e32 0x47800000, v7
	s_xor_b32 s1, exec_lo, s1
	s_cbranch_execz .LBB242_2375
; %bb.2370:
	s_mov_b32 s2, exec_lo
                                        ; implicit-def: $vgpr5
	v_cmpx_lt_u32_e32 0x387fffff, v7
	s_xor_b32 s2, exec_lo, s2
; %bb.2371:
	v_bfe_u32 v5, v3, 21, 1
	s_delay_alu instid0(VALU_DEP_1) | instskip(NEXT) | instid1(VALU_DEP_1)
	v_add3_u32 v5, v3, v5, 0x80fffff
	v_lshrrev_b32_e32 v5, 21, v5
; %bb.2372:
	s_and_not1_saveexec_b32 s2, s2
; %bb.2373:
	v_add_f32_e64 v5, 0x43000000, |v3|
; %bb.2374:
	s_or_b32 exec_lo, exec_lo, s2
                                        ; implicit-def: $vgpr7
.LBB242_2375:
	s_and_not1_saveexec_b32 s1, s1
; %bb.2376:
	v_mov_b32_e32 v5, 0x7f
	v_cmp_lt_u32_e32 vcc_lo, 0x7f800000, v7
	s_delay_alu instid0(VALU_DEP_2)
	v_cndmask_b32_e32 v5, 0x7c, v5, vcc_lo
; %bb.2377:
	s_or_b32 exec_lo, exec_lo, s1
	v_lshrrev_b32_e32 v3, 24, v3
	s_mov_b32 s1, 0
	s_delay_alu instid0(VALU_DEP_1)
	v_and_or_b32 v3, 0x80, v3, v5
	s_branch .LBB242_2379
.LBB242_2378:
	s_mov_b32 s1, 0
.LBB242_2379:
	s_delay_alu instid0(SALU_CYCLE_1)
	s_and_not1_b32 vcc_lo, exec_lo, s1
	s_cbranch_vccnz .LBB242_2389
; %bb.2380:
	s_wait_loadcnt 0x0
	global_load_i16 v3, v[12:13], off
	s_mov_b32 s1, exec_lo
                                        ; implicit-def: $vgpr5
	s_wait_loadcnt 0x0
	v_cvt_f32_i32_e32 v3, v3
	s_delay_alu instid0(VALU_DEP_1) | instskip(SKIP_1) | instid1(VALU_DEP_1)
	v_and_b32_e32 v7, 0x7fffffff, v3
	s_wait_xcnt 0x0
	v_cmpx_gt_u32_e32 0x47800000, v7
	s_xor_b32 s1, exec_lo, s1
	s_cbranch_execz .LBB242_2386
; %bb.2381:
	s_mov_b32 s2, exec_lo
                                        ; implicit-def: $vgpr5
	v_cmpx_lt_u32_e32 0x387fffff, v7
	s_xor_b32 s2, exec_lo, s2
; %bb.2382:
	v_bfe_u32 v5, v3, 21, 1
	s_delay_alu instid0(VALU_DEP_1) | instskip(NEXT) | instid1(VALU_DEP_1)
	v_add3_u32 v5, v3, v5, 0x80fffff
	v_lshrrev_b32_e32 v5, 21, v5
; %bb.2383:
	s_and_not1_saveexec_b32 s2, s2
; %bb.2384:
	v_add_f32_e64 v5, 0x43000000, |v3|
; %bb.2385:
	s_or_b32 exec_lo, exec_lo, s2
                                        ; implicit-def: $vgpr7
.LBB242_2386:
	s_and_not1_saveexec_b32 s1, s1
; %bb.2387:
	v_mov_b32_e32 v5, 0x7f
	v_cmp_lt_u32_e32 vcc_lo, 0x7f800000, v7
	s_delay_alu instid0(VALU_DEP_2)
	v_cndmask_b32_e32 v5, 0x7c, v5, vcc_lo
; %bb.2388:
	s_or_b32 exec_lo, exec_lo, s1
	v_lshrrev_b32_e32 v3, 24, v3
	s_delay_alu instid0(VALU_DEP_1)
	v_and_or_b32 v3, 0x80, v3, v5
.LBB242_2389:
	s_mov_b32 s1, 0
.LBB242_2390:
	s_delay_alu instid0(SALU_CYCLE_1)
	s_and_not1_b32 vcc_lo, exec_lo, s1
	s_cbranch_vccnz .LBB242_2412
; %bb.2391:
	s_cmp_gt_i32 s0, 0
	s_cbranch_scc0 .LBB242_2401
; %bb.2392:
	s_wait_loadcnt 0x0
	global_load_i8 v3, v[12:13], off
	s_mov_b32 s1, exec_lo
                                        ; implicit-def: $vgpr5
	s_wait_loadcnt 0x0
	v_cvt_f32_i32_e32 v3, v3
	s_delay_alu instid0(VALU_DEP_1) | instskip(SKIP_1) | instid1(VALU_DEP_1)
	v_and_b32_e32 v7, 0x7fffffff, v3
	s_wait_xcnt 0x0
	v_cmpx_gt_u32_e32 0x47800000, v7
	s_xor_b32 s1, exec_lo, s1
	s_cbranch_execz .LBB242_2398
; %bb.2393:
	s_mov_b32 s2, exec_lo
                                        ; implicit-def: $vgpr5
	v_cmpx_lt_u32_e32 0x387fffff, v7
	s_xor_b32 s2, exec_lo, s2
; %bb.2394:
	v_bfe_u32 v5, v3, 21, 1
	s_delay_alu instid0(VALU_DEP_1) | instskip(NEXT) | instid1(VALU_DEP_1)
	v_add3_u32 v5, v3, v5, 0x80fffff
	v_lshrrev_b32_e32 v5, 21, v5
; %bb.2395:
	s_and_not1_saveexec_b32 s2, s2
; %bb.2396:
	v_add_f32_e64 v5, 0x43000000, |v3|
; %bb.2397:
	s_or_b32 exec_lo, exec_lo, s2
                                        ; implicit-def: $vgpr7
.LBB242_2398:
	s_and_not1_saveexec_b32 s1, s1
; %bb.2399:
	v_mov_b32_e32 v5, 0x7f
	v_cmp_lt_u32_e32 vcc_lo, 0x7f800000, v7
	s_delay_alu instid0(VALU_DEP_2)
	v_cndmask_b32_e32 v5, 0x7c, v5, vcc_lo
; %bb.2400:
	s_or_b32 exec_lo, exec_lo, s1
	v_lshrrev_b32_e32 v3, 24, v3
	s_mov_b32 s1, 0
	s_delay_alu instid0(VALU_DEP_1)
	v_and_or_b32 v3, 0x80, v3, v5
	s_branch .LBB242_2402
.LBB242_2401:
	s_mov_b32 s1, -1
                                        ; implicit-def: $vgpr3
.LBB242_2402:
	s_delay_alu instid0(SALU_CYCLE_1)
	s_and_b32 vcc_lo, exec_lo, s1
	s_cbranch_vccz .LBB242_2412
; %bb.2403:
	s_wait_loadcnt 0x0
	global_load_u8 v3, v[12:13], off
	s_mov_b32 s1, exec_lo
	s_wait_loadcnt 0x0
	v_cvt_f32_ubyte0_e32 v5, v3
                                        ; implicit-def: $vgpr3
	s_wait_xcnt 0x0
	s_delay_alu instid0(VALU_DEP_1)
	v_cmpx_gt_u32_e32 0x47800000, v5
	s_xor_b32 s1, exec_lo, s1
	s_cbranch_execz .LBB242_2409
; %bb.2404:
	s_mov_b32 s2, exec_lo
                                        ; implicit-def: $vgpr3
	v_cmpx_lt_u32_e32 0x387fffff, v5
	s_xor_b32 s2, exec_lo, s2
; %bb.2405:
	v_bfe_u32 v3, v5, 21, 1
	s_delay_alu instid0(VALU_DEP_1) | instskip(NEXT) | instid1(VALU_DEP_1)
	v_add3_u32 v3, v5, v3, 0x80fffff
                                        ; implicit-def: $vgpr5
	v_lshrrev_b32_e32 v3, 21, v3
; %bb.2406:
	s_and_not1_saveexec_b32 s2, s2
; %bb.2407:
	v_add_f32_e32 v3, 0x43000000, v5
; %bb.2408:
	s_or_b32 exec_lo, exec_lo, s2
                                        ; implicit-def: $vgpr5
.LBB242_2409:
	s_and_not1_saveexec_b32 s1, s1
; %bb.2410:
	v_mov_b32_e32 v3, 0x7f
	v_cmp_lt_u32_e32 vcc_lo, 0x7f800000, v5
	s_delay_alu instid0(VALU_DEP_2)
	v_cndmask_b32_e32 v3, 0x7c, v3, vcc_lo
; %bb.2411:
	s_or_b32 exec_lo, exec_lo, s1
.LBB242_2412:
.LBB242_2413:
	v_mov_b32_e32 v11, 0
	s_cmp_lt_i32 s0, 11
	s_delay_alu instid0(VALU_DEP_1)
	v_add_nc_u64_e32 v[10:11], s[6:7], v[10:11]
	s_cbranch_scc1 .LBB242_2428
; %bb.2414:
	s_cmp_gt_i32 s0, 25
	s_mov_b32 s2, 0
	s_cbranch_scc0 .LBB242_2430
; %bb.2415:
	s_cmp_gt_i32 s0, 28
	s_cbranch_scc0 .LBB242_2431
; %bb.2416:
	s_cmp_gt_i32 s0, 43
	;; [unrolled: 3-line block ×3, first 2 shown]
	s_cbranch_scc0 .LBB242_2434
; %bb.2418:
	s_cmp_eq_u32 s0, 46
	s_mov_b32 s11, 0
	s_cbranch_scc0 .LBB242_2435
; %bb.2419:
	global_load_b32 v5, v[10:11], off
	s_mov_b32 s1, exec_lo
                                        ; implicit-def: $vgpr7
	s_wait_loadcnt 0x0
	v_lshlrev_b32_e32 v5, 16, v5
	s_delay_alu instid0(VALU_DEP_1) | instskip(SKIP_1) | instid1(VALU_DEP_1)
	v_and_b32_e32 v9, 0x7fffffff, v5
	s_wait_xcnt 0x0
	v_cmpx_gt_u32_e32 0x47800000, v9
	s_xor_b32 s1, exec_lo, s1
	s_cbranch_execz .LBB242_2425
; %bb.2420:
	s_mov_b32 s10, exec_lo
                                        ; implicit-def: $vgpr7
	v_cmpx_lt_u32_e32 0x387fffff, v9
	s_xor_b32 s10, exec_lo, s10
; %bb.2421:
	v_bfe_u32 v7, v5, 21, 1
	s_delay_alu instid0(VALU_DEP_1) | instskip(NEXT) | instid1(VALU_DEP_1)
	v_add3_u32 v7, v5, v7, 0x80fffff
	v_lshrrev_b32_e32 v7, 21, v7
; %bb.2422:
	s_and_not1_saveexec_b32 s10, s10
; %bb.2423:
	v_add_f32_e64 v7, 0x43000000, |v5|
; %bb.2424:
	s_or_b32 exec_lo, exec_lo, s10
                                        ; implicit-def: $vgpr9
.LBB242_2425:
	s_and_not1_saveexec_b32 s1, s1
; %bb.2426:
	v_mov_b32_e32 v7, 0x7f
	v_cmp_lt_u32_e32 vcc_lo, 0x7f800000, v9
	s_delay_alu instid0(VALU_DEP_2)
	v_cndmask_b32_e32 v7, 0x7c, v7, vcc_lo
; %bb.2427:
	s_or_b32 exec_lo, exec_lo, s1
	v_lshrrev_b32_e32 v5, 24, v5
	s_mov_b32 s1, 0
	s_mov_b32 s10, -1
	s_delay_alu instid0(VALU_DEP_1)
	v_and_or_b32 v12, 0x80, v5, v7
	s_branch .LBB242_2437
.LBB242_2428:
	s_mov_b32 s10, 0
                                        ; implicit-def: $vgpr12
	s_cbranch_execnz .LBB242_2574
.LBB242_2429:
	s_and_not1_b32 vcc_lo, exec_lo, s10
	s_cbranch_vccnz .LBB242_3440
	s_branch .LBB242_2710
.LBB242_2430:
	s_mov_b32 s11, -1
	s_mov_b32 s10, 0
	s_mov_b32 s1, 0
                                        ; implicit-def: $vgpr12
	s_branch .LBB242_2506
.LBB242_2431:
	s_mov_b32 s11, -1
	s_mov_b32 s10, 0
	s_mov_b32 s1, 0
                                        ; implicit-def: $vgpr12
	s_branch .LBB242_2463
.LBB242_2432:
	s_mov_b32 s11, -1
	s_mov_b32 s10, 0
	s_mov_b32 s1, 0
                                        ; implicit-def: $vgpr12
	s_branch .LBB242_2450
.LBB242_2433:
	s_or_b32 s3, s3, exec_lo
	s_trap 2
	s_cbranch_execz .LBB242_2268
	s_branch .LBB242_2277
.LBB242_2434:
	s_mov_b32 s11, -1
	s_mov_b32 s10, 0
	s_mov_b32 s1, 0
	s_branch .LBB242_2436
.LBB242_2435:
	s_mov_b32 s1, -1
	s_mov_b32 s10, 0
.LBB242_2436:
                                        ; implicit-def: $vgpr12
.LBB242_2437:
	s_and_b32 vcc_lo, exec_lo, s11
	s_cbranch_vccz .LBB242_2449
; %bb.2438:
	s_cmp_eq_u32 s0, 44
	s_cbranch_scc0 .LBB242_2448
; %bb.2439:
	global_load_u8 v5, v[10:11], off
	s_mov_b32 s1, exec_lo
                                        ; implicit-def: $vgpr12
	s_wait_loadcnt 0x0
	v_lshlrev_b32_e32 v7, 23, v5
	v_cmp_ne_u32_e32 vcc_lo, 0xff, v5
	s_delay_alu instid0(VALU_DEP_2) | instskip(SKIP_1) | instid1(VALU_DEP_2)
	v_cndmask_b32_e32 v7, 0x7f800001, v7, vcc_lo
	v_cmp_ne_u32_e32 vcc_lo, 0, v5
	v_cndmask_b32_e32 v5, 0x400000, v7, vcc_lo
	s_wait_xcnt 0x0
	s_delay_alu instid0(VALU_DEP_1)
	v_cmpx_gt_u32_e32 0x47800000, v5
	s_xor_b32 s1, exec_lo, s1
	s_cbranch_execz .LBB242_2445
; %bb.2440:
	s_mov_b32 s10, exec_lo
                                        ; implicit-def: $vgpr12
	v_cmpx_lt_u32_e32 0x387fffff, v5
	s_xor_b32 s10, exec_lo, s10
; %bb.2441:
	v_bfe_u32 v7, v5, 21, 1
	s_delay_alu instid0(VALU_DEP_1) | instskip(NEXT) | instid1(VALU_DEP_1)
	v_add3_u32 v5, v5, v7, 0x80fffff
	v_lshrrev_b32_e32 v12, 21, v5
                                        ; implicit-def: $vgpr5
; %bb.2442:
	s_and_not1_saveexec_b32 s10, s10
; %bb.2443:
	v_add_f32_e32 v12, 0x43000000, v5
; %bb.2444:
	s_or_b32 exec_lo, exec_lo, s10
                                        ; implicit-def: $vgpr5
.LBB242_2445:
	s_and_not1_saveexec_b32 s1, s1
; %bb.2446:
	v_mov_b32_e32 v7, 0x7f
	v_cmp_lt_u32_e32 vcc_lo, 0x7f800000, v5
	s_delay_alu instid0(VALU_DEP_2)
	v_cndmask_b32_e32 v12, 0x7c, v7, vcc_lo
; %bb.2447:
	s_or_b32 exec_lo, exec_lo, s1
	s_mov_b32 s1, 0
	s_mov_b32 s10, -1
	s_branch .LBB242_2449
.LBB242_2448:
	s_mov_b32 s1, -1
                                        ; implicit-def: $vgpr12
.LBB242_2449:
	s_mov_b32 s11, 0
.LBB242_2450:
	s_delay_alu instid0(SALU_CYCLE_1)
	s_and_b32 vcc_lo, exec_lo, s11
	s_cbranch_vccz .LBB242_2462
; %bb.2451:
	s_cmp_eq_u32 s0, 29
	s_cbranch_scc0 .LBB242_2461
; %bb.2452:
	global_load_b64 v[12:13], v[10:11], off
	s_mov_b32 s1, exec_lo
	s_wait_loadcnt 0x0
	v_clz_i32_u32_e32 v5, v13
	s_delay_alu instid0(VALU_DEP_1) | instskip(NEXT) | instid1(VALU_DEP_1)
	v_min_u32_e32 v5, 32, v5
	v_lshlrev_b64_e32 v[12:13], v5, v[12:13]
	v_sub_nc_u32_e32 v5, 32, v5
	s_delay_alu instid0(VALU_DEP_2) | instskip(NEXT) | instid1(VALU_DEP_1)
	v_min_u32_e32 v7, 1, v12
                                        ; implicit-def: $vgpr12
	v_or_b32_e32 v7, v13, v7
	s_delay_alu instid0(VALU_DEP_1) | instskip(NEXT) | instid1(VALU_DEP_1)
	v_cvt_f32_u32_e32 v7, v7
	v_ldexp_f32 v5, v7, v5
	s_wait_xcnt 0x0
	s_delay_alu instid0(VALU_DEP_1)
	v_cmpx_gt_u32_e32 0x47800000, v5
	s_xor_b32 s1, exec_lo, s1
	s_cbranch_execz .LBB242_2458
; %bb.2453:
	s_mov_b32 s10, exec_lo
                                        ; implicit-def: $vgpr12
	v_cmpx_lt_u32_e32 0x387fffff, v5
	s_xor_b32 s10, exec_lo, s10
; %bb.2454:
	v_bfe_u32 v7, v5, 21, 1
	s_delay_alu instid0(VALU_DEP_1) | instskip(NEXT) | instid1(VALU_DEP_1)
	v_add3_u32 v5, v5, v7, 0x80fffff
	v_lshrrev_b32_e32 v12, 21, v5
                                        ; implicit-def: $vgpr5
; %bb.2455:
	s_and_not1_saveexec_b32 s10, s10
; %bb.2456:
	v_add_f32_e32 v12, 0x43000000, v5
; %bb.2457:
	s_or_b32 exec_lo, exec_lo, s10
                                        ; implicit-def: $vgpr5
.LBB242_2458:
	s_and_not1_saveexec_b32 s1, s1
; %bb.2459:
	v_mov_b32_e32 v7, 0x7f
	v_cmp_lt_u32_e32 vcc_lo, 0x7f800000, v5
	s_delay_alu instid0(VALU_DEP_2)
	v_cndmask_b32_e32 v12, 0x7c, v7, vcc_lo
; %bb.2460:
	s_or_b32 exec_lo, exec_lo, s1
	s_mov_b32 s1, 0
	s_mov_b32 s10, -1
	s_branch .LBB242_2462
.LBB242_2461:
	s_mov_b32 s1, -1
                                        ; implicit-def: $vgpr12
.LBB242_2462:
	s_mov_b32 s11, 0
.LBB242_2463:
	s_delay_alu instid0(SALU_CYCLE_1)
	s_and_b32 vcc_lo, exec_lo, s11
	s_cbranch_vccz .LBB242_2505
; %bb.2464:
	s_cmp_lt_i32 s0, 27
	s_cbranch_scc1 .LBB242_2475
; %bb.2465:
	s_cmp_gt_i32 s0, 27
	s_cbranch_scc0 .LBB242_2476
; %bb.2466:
	global_load_b32 v5, v[10:11], off
	s_mov_b32 s10, exec_lo
                                        ; implicit-def: $vgpr12
	s_wait_loadcnt 0x0
	v_cvt_f32_u32_e32 v5, v5
	s_wait_xcnt 0x0
	s_delay_alu instid0(VALU_DEP_1)
	v_cmpx_gt_u32_e32 0x47800000, v5
	s_xor_b32 s10, exec_lo, s10
	s_cbranch_execz .LBB242_2472
; %bb.2467:
	s_mov_b32 s11, exec_lo
                                        ; implicit-def: $vgpr12
	v_cmpx_lt_u32_e32 0x387fffff, v5
	s_xor_b32 s11, exec_lo, s11
; %bb.2468:
	v_bfe_u32 v7, v5, 21, 1
	s_delay_alu instid0(VALU_DEP_1) | instskip(NEXT) | instid1(VALU_DEP_1)
	v_add3_u32 v5, v5, v7, 0x80fffff
	v_lshrrev_b32_e32 v12, 21, v5
                                        ; implicit-def: $vgpr5
; %bb.2469:
	s_and_not1_saveexec_b32 s11, s11
; %bb.2470:
	v_add_f32_e32 v12, 0x43000000, v5
; %bb.2471:
	s_or_b32 exec_lo, exec_lo, s11
                                        ; implicit-def: $vgpr5
.LBB242_2472:
	s_and_not1_saveexec_b32 s10, s10
; %bb.2473:
	v_mov_b32_e32 v7, 0x7f
	v_cmp_lt_u32_e32 vcc_lo, 0x7f800000, v5
	s_delay_alu instid0(VALU_DEP_2)
	v_cndmask_b32_e32 v12, 0x7c, v7, vcc_lo
; %bb.2474:
	s_or_b32 exec_lo, exec_lo, s10
	s_mov_b32 s10, 0
	s_branch .LBB242_2477
.LBB242_2475:
	s_mov_b32 s10, -1
                                        ; implicit-def: $vgpr12
	s_branch .LBB242_2488
.LBB242_2476:
	s_mov_b32 s10, -1
                                        ; implicit-def: $vgpr12
.LBB242_2477:
	s_delay_alu instid0(SALU_CYCLE_1)
	s_and_b32 vcc_lo, exec_lo, s10
	s_cbranch_vccz .LBB242_2487
; %bb.2478:
	global_load_u16 v5, v[10:11], off
	s_mov_b32 s10, exec_lo
                                        ; implicit-def: $vgpr12
	s_wait_loadcnt 0x0
	v_cvt_f32_u32_e32 v5, v5
	s_wait_xcnt 0x0
	s_delay_alu instid0(VALU_DEP_1)
	v_cmpx_gt_u32_e32 0x47800000, v5
	s_xor_b32 s10, exec_lo, s10
	s_cbranch_execz .LBB242_2484
; %bb.2479:
	s_mov_b32 s11, exec_lo
                                        ; implicit-def: $vgpr12
	v_cmpx_lt_u32_e32 0x387fffff, v5
	s_xor_b32 s11, exec_lo, s11
; %bb.2480:
	v_bfe_u32 v7, v5, 21, 1
	s_delay_alu instid0(VALU_DEP_1) | instskip(NEXT) | instid1(VALU_DEP_1)
	v_add3_u32 v5, v5, v7, 0x80fffff
	v_lshrrev_b32_e32 v12, 21, v5
                                        ; implicit-def: $vgpr5
; %bb.2481:
	s_and_not1_saveexec_b32 s11, s11
; %bb.2482:
	v_add_f32_e32 v12, 0x43000000, v5
; %bb.2483:
	s_or_b32 exec_lo, exec_lo, s11
                                        ; implicit-def: $vgpr5
.LBB242_2484:
	s_and_not1_saveexec_b32 s10, s10
; %bb.2485:
	v_mov_b32_e32 v7, 0x7f
	v_cmp_lt_u32_e32 vcc_lo, 0x7f800000, v5
	s_delay_alu instid0(VALU_DEP_2)
	v_cndmask_b32_e32 v12, 0x7c, v7, vcc_lo
; %bb.2486:
	s_or_b32 exec_lo, exec_lo, s10
.LBB242_2487:
	s_mov_b32 s10, 0
.LBB242_2488:
	s_delay_alu instid0(SALU_CYCLE_1)
	s_and_not1_b32 vcc_lo, exec_lo, s10
	s_cbranch_vccnz .LBB242_2504
; %bb.2489:
	global_load_u8 v7, v[10:11], off
	s_mov_b32 s10, 0
	s_mov_b32 s11, exec_lo
	s_wait_loadcnt 0x0
	v_cmpx_lt_i16_e32 0x7f, v7
	s_xor_b32 s11, exec_lo, s11
	s_cbranch_execz .LBB242_2526
; %bb.2490:
	s_mov_b32 s10, -1
	s_mov_b32 s12, exec_lo
	v_cmpx_eq_u16_e32 0x80, v7
; %bb.2491:
	s_xor_b32 s10, exec_lo, -1
; %bb.2492:
	s_or_b32 exec_lo, exec_lo, s12
	s_delay_alu instid0(SALU_CYCLE_1)
	s_and_b32 s10, s10, exec_lo
	s_or_saveexec_b32 s11, s11
	v_mov_b32_e32 v5, 0x7f800001
	s_xor_b32 exec_lo, exec_lo, s11
	s_cbranch_execnz .LBB242_2527
.LBB242_2493:
	s_or_b32 exec_lo, exec_lo, s11
	s_and_saveexec_b32 s11, s10
	s_cbranch_execz .LBB242_2495
.LBB242_2494:
	v_and_b32_e32 v5, 0xffff, v7
	s_delay_alu instid0(VALU_DEP_1) | instskip(SKIP_1) | instid1(VALU_DEP_2)
	v_and_b32_e32 v9, 7, v5
	v_bfe_u32 v14, v5, 3, 4
	v_clz_i32_u32_e32 v12, v9
	s_delay_alu instid0(VALU_DEP_2) | instskip(NEXT) | instid1(VALU_DEP_2)
	v_cmp_eq_u32_e32 vcc_lo, 0, v14
	v_min_u32_e32 v12, 32, v12
	s_delay_alu instid0(VALU_DEP_1) | instskip(NEXT) | instid1(VALU_DEP_1)
	v_subrev_nc_u32_e32 v13, 28, v12
	v_dual_lshlrev_b32 v5, v13, v5 :: v_dual_sub_nc_u32 v12, 29, v12
	s_delay_alu instid0(VALU_DEP_1) | instskip(NEXT) | instid1(VALU_DEP_1)
	v_dual_lshlrev_b32 v7, 24, v7 :: v_dual_bitop2_b32 v5, 7, v5 bitop3:0x40
	v_dual_cndmask_b32 v12, v14, v12 :: v_dual_cndmask_b32 v5, v9, v5
	s_delay_alu instid0(VALU_DEP_2) | instskip(NEXT) | instid1(VALU_DEP_2)
	v_and_b32_e32 v7, 0x80000000, v7
	v_lshl_add_u32 v9, v12, 23, 0x3b800000
	s_delay_alu instid0(VALU_DEP_3) | instskip(NEXT) | instid1(VALU_DEP_1)
	v_lshlrev_b32_e32 v5, 20, v5
	v_or3_b32 v5, v7, v9, v5
.LBB242_2495:
	s_or_b32 exec_lo, exec_lo, s11
	s_delay_alu instid0(VALU_DEP_1) | instskip(SKIP_1) | instid1(VALU_DEP_1)
	v_and_b32_e32 v9, 0x7fffffff, v5
	s_mov_b32 s10, exec_lo
                                        ; implicit-def: $vgpr7
	v_cmpx_gt_u32_e32 0x47800000, v9
	s_xor_b32 s10, exec_lo, s10
	s_cbranch_execz .LBB242_2501
; %bb.2496:
	s_mov_b32 s11, exec_lo
                                        ; implicit-def: $vgpr7
	v_cmpx_lt_u32_e32 0x387fffff, v9
	s_xor_b32 s11, exec_lo, s11
; %bb.2497:
	v_bfe_u32 v7, v5, 21, 1
	s_delay_alu instid0(VALU_DEP_1) | instskip(NEXT) | instid1(VALU_DEP_1)
	v_add3_u32 v7, v5, v7, 0x80fffff
	v_lshrrev_b32_e32 v7, 21, v7
; %bb.2498:
	s_and_not1_saveexec_b32 s11, s11
; %bb.2499:
	v_add_f32_e64 v7, 0x43000000, |v5|
; %bb.2500:
	s_or_b32 exec_lo, exec_lo, s11
                                        ; implicit-def: $vgpr9
.LBB242_2501:
	s_and_not1_saveexec_b32 s10, s10
; %bb.2502:
	v_mov_b32_e32 v7, 0x7f
	v_cmp_lt_u32_e32 vcc_lo, 0x7f800000, v9
	s_delay_alu instid0(VALU_DEP_2)
	v_cndmask_b32_e32 v7, 0x7c, v7, vcc_lo
; %bb.2503:
	s_or_b32 exec_lo, exec_lo, s10
	v_lshrrev_b32_e32 v5, 24, v5
	s_delay_alu instid0(VALU_DEP_1)
	v_and_or_b32 v12, 0x80, v5, v7
.LBB242_2504:
	s_mov_b32 s10, -1
.LBB242_2505:
	s_mov_b32 s11, 0
.LBB242_2506:
	s_delay_alu instid0(SALU_CYCLE_1)
	s_and_b32 vcc_lo, exec_lo, s11
	s_cbranch_vccz .LBB242_2562
; %bb.2507:
	s_cmp_gt_i32 s0, 22
	s_cbranch_scc0 .LBB242_2525
; %bb.2508:
	s_cmp_lt_i32 s0, 24
	s_cbranch_scc1 .LBB242_2528
; %bb.2509:
	s_cmp_gt_i32 s0, 24
	s_cbranch_scc0 .LBB242_2529
; %bb.2510:
	global_load_u8 v7, v[10:11], off
	s_mov_b32 s10, exec_lo
	s_wait_loadcnt 0x0
	v_cmpx_lt_i16_e32 0x7f, v7
	s_xor_b32 s10, exec_lo, s10
	s_cbranch_execz .LBB242_2540
; %bb.2511:
	s_mov_b32 s2, -1
	s_mov_b32 s11, exec_lo
	v_cmpx_eq_u16_e32 0x80, v7
; %bb.2512:
	s_xor_b32 s2, exec_lo, -1
; %bb.2513:
	s_or_b32 exec_lo, exec_lo, s11
	s_delay_alu instid0(SALU_CYCLE_1)
	s_and_b32 s2, s2, exec_lo
	s_or_saveexec_b32 s10, s10
	v_mov_b32_e32 v5, 0x7f800001
	s_xor_b32 exec_lo, exec_lo, s10
	s_cbranch_execnz .LBB242_2541
.LBB242_2514:
	s_or_b32 exec_lo, exec_lo, s10
	s_and_saveexec_b32 s10, s2
	s_cbranch_execz .LBB242_2516
.LBB242_2515:
	v_and_b32_e32 v5, 0xffff, v7
	s_delay_alu instid0(VALU_DEP_1) | instskip(SKIP_1) | instid1(VALU_DEP_2)
	v_and_b32_e32 v9, 3, v5
	v_bfe_u32 v14, v5, 2, 5
	v_clz_i32_u32_e32 v12, v9
	s_delay_alu instid0(VALU_DEP_2) | instskip(NEXT) | instid1(VALU_DEP_2)
	v_cmp_eq_u32_e32 vcc_lo, 0, v14
	v_min_u32_e32 v12, 32, v12
	s_delay_alu instid0(VALU_DEP_1) | instskip(NEXT) | instid1(VALU_DEP_1)
	v_subrev_nc_u32_e32 v13, 29, v12
	v_dual_lshlrev_b32 v5, v13, v5 :: v_dual_sub_nc_u32 v12, 30, v12
	s_delay_alu instid0(VALU_DEP_1) | instskip(NEXT) | instid1(VALU_DEP_1)
	v_dual_lshlrev_b32 v7, 24, v7 :: v_dual_bitop2_b32 v5, 3, v5 bitop3:0x40
	v_dual_cndmask_b32 v12, v14, v12 :: v_dual_cndmask_b32 v5, v9, v5
	s_delay_alu instid0(VALU_DEP_2) | instskip(NEXT) | instid1(VALU_DEP_2)
	v_and_b32_e32 v7, 0x80000000, v7
	v_lshl_add_u32 v9, v12, 23, 0x37800000
	s_delay_alu instid0(VALU_DEP_3) | instskip(NEXT) | instid1(VALU_DEP_1)
	v_lshlrev_b32_e32 v5, 21, v5
	v_or3_b32 v5, v7, v9, v5
.LBB242_2516:
	s_or_b32 exec_lo, exec_lo, s10
	s_delay_alu instid0(VALU_DEP_1) | instskip(SKIP_1) | instid1(VALU_DEP_1)
	v_and_b32_e32 v9, 0x7fffffff, v5
	s_mov_b32 s2, exec_lo
                                        ; implicit-def: $vgpr7
	v_cmpx_gt_u32_e32 0x47800000, v9
	s_xor_b32 s2, exec_lo, s2
	s_cbranch_execz .LBB242_2522
; %bb.2517:
	s_mov_b32 s10, exec_lo
                                        ; implicit-def: $vgpr7
	v_cmpx_lt_u32_e32 0x387fffff, v9
	s_xor_b32 s10, exec_lo, s10
; %bb.2518:
	v_bfe_u32 v7, v5, 21, 1
	s_delay_alu instid0(VALU_DEP_1) | instskip(NEXT) | instid1(VALU_DEP_1)
	v_add3_u32 v7, v5, v7, 0x80fffff
	v_lshrrev_b32_e32 v7, 21, v7
; %bb.2519:
	s_and_not1_saveexec_b32 s10, s10
; %bb.2520:
	v_add_f32_e64 v7, 0x43000000, |v5|
; %bb.2521:
	s_or_b32 exec_lo, exec_lo, s10
                                        ; implicit-def: $vgpr9
.LBB242_2522:
	s_and_not1_saveexec_b32 s2, s2
; %bb.2523:
	v_mov_b32_e32 v7, 0x7f
	v_cmp_lt_u32_e32 vcc_lo, 0x7f800000, v9
	s_delay_alu instid0(VALU_DEP_2)
	v_cndmask_b32_e32 v7, 0x7c, v7, vcc_lo
; %bb.2524:
	s_or_b32 exec_lo, exec_lo, s2
	v_lshrrev_b32_e32 v5, 24, v5
	s_mov_b32 s2, 0
	s_delay_alu instid0(VALU_DEP_1)
	v_and_or_b32 v12, 0x80, v5, v7
	s_branch .LBB242_2530
.LBB242_2525:
	s_mov_b32 s2, -1
                                        ; implicit-def: $vgpr12
	s_branch .LBB242_2546
.LBB242_2526:
	s_or_saveexec_b32 s11, s11
	v_mov_b32_e32 v5, 0x7f800001
	s_xor_b32 exec_lo, exec_lo, s11
	s_cbranch_execz .LBB242_2493
.LBB242_2527:
	v_cmp_ne_u16_e32 vcc_lo, 0, v7
	v_mov_b32_e32 v5, 0
	s_and_not1_b32 s10, s10, exec_lo
	s_and_b32 s12, vcc_lo, exec_lo
	s_delay_alu instid0(SALU_CYCLE_1)
	s_or_b32 s10, s10, s12
	s_or_b32 exec_lo, exec_lo, s11
	s_and_saveexec_b32 s11, s10
	s_cbranch_execnz .LBB242_2494
	s_branch .LBB242_2495
.LBB242_2528:
	s_mov_b32 s2, -1
                                        ; implicit-def: $vgpr12
	s_branch .LBB242_2543
.LBB242_2529:
	s_mov_b32 s2, -1
                                        ; implicit-def: $vgpr12
.LBB242_2530:
	s_delay_alu instid0(SALU_CYCLE_1)
	s_and_b32 vcc_lo, exec_lo, s2
	s_cbranch_vccz .LBB242_2542
; %bb.2531:
	global_load_u8 v5, v[10:11], off
	s_mov_b32 s2, exec_lo
	s_wait_loadcnt 0x0
	v_lshlrev_b32_e32 v5, 24, v5
	s_delay_alu instid0(VALU_DEP_1) | instskip(NEXT) | instid1(VALU_DEP_1)
	v_and_b32_e32 v7, 0x7f000000, v5
	v_clz_i32_u32_e32 v9, v7
	v_cmp_ne_u32_e32 vcc_lo, 0, v7
	s_wait_xcnt 0x1
	v_add_nc_u32_e32 v13, 0x1000000, v7
	s_delay_alu instid0(VALU_DEP_3) | instskip(NEXT) | instid1(VALU_DEP_1)
	v_min_u32_e32 v9, 32, v9
	v_sub_nc_u32_e64 v9, v9, 4 clamp
	s_delay_alu instid0(VALU_DEP_1) | instskip(NEXT) | instid1(VALU_DEP_1)
	v_lshlrev_b32_e32 v12, v9, v7
                                        ; implicit-def: $vgpr7
	v_dual_lshlrev_b32 v9, 23, v9 :: v_dual_lshrrev_b32 v12, 4, v12
	s_delay_alu instid0(VALU_DEP_1) | instskip(SKIP_1) | instid1(VALU_DEP_2)
	v_sub_nc_u32_e32 v9, v12, v9
	v_ashrrev_i32_e32 v12, 8, v13
	v_add_nc_u32_e32 v9, 0x3c000000, v9
	s_delay_alu instid0(VALU_DEP_1) | instskip(NEXT) | instid1(VALU_DEP_1)
	v_and_or_b32 v9, 0x7f800000, v12, v9
	v_cndmask_b32_e32 v12, 0, v9, vcc_lo
	s_delay_alu instid0(VALU_DEP_1) | instskip(NEXT) | instid1(VALU_DEP_1)
	v_and_or_b32 v5, 0x80000000, v5, v12
	v_and_b32_e32 v9, 0x7fffffff, v5
	s_wait_xcnt 0x0
	s_delay_alu instid0(VALU_DEP_1)
	v_cmpx_gt_u32_e32 0x47800000, v9
	s_xor_b32 s2, exec_lo, s2
	s_cbranch_execz .LBB242_2537
; %bb.2532:
	s_mov_b32 s10, exec_lo
                                        ; implicit-def: $vgpr7
	v_cmpx_lt_u32_e32 0x387fffff, v9
	s_xor_b32 s10, exec_lo, s10
; %bb.2533:
	v_bfe_u32 v7, v12, 21, 1
	s_delay_alu instid0(VALU_DEP_1) | instskip(NEXT) | instid1(VALU_DEP_1)
	v_add3_u32 v7, v5, v7, 0x80fffff
	v_lshrrev_b32_e32 v7, 21, v7
; %bb.2534:
	s_and_not1_saveexec_b32 s10, s10
; %bb.2535:
	v_add_f32_e64 v7, 0x43000000, |v5|
; %bb.2536:
	s_or_b32 exec_lo, exec_lo, s10
                                        ; implicit-def: $vgpr9
.LBB242_2537:
	s_and_not1_saveexec_b32 s2, s2
; %bb.2538:
	v_mov_b32_e32 v7, 0x7f
	v_cmp_lt_u32_e32 vcc_lo, 0x7f800000, v9
	s_delay_alu instid0(VALU_DEP_2)
	v_cndmask_b32_e32 v7, 0x7c, v7, vcc_lo
; %bb.2539:
	s_or_b32 exec_lo, exec_lo, s2
	v_lshrrev_b32_e32 v5, 24, v5
	s_mov_b32 s2, 0
	s_delay_alu instid0(VALU_DEP_1)
	v_and_or_b32 v12, 0x80, v5, v7
	s_branch .LBB242_2543
.LBB242_2540:
	s_or_saveexec_b32 s10, s10
	v_mov_b32_e32 v5, 0x7f800001
	s_xor_b32 exec_lo, exec_lo, s10
	s_cbranch_execz .LBB242_2514
.LBB242_2541:
	v_cmp_ne_u16_e32 vcc_lo, 0, v7
	v_mov_b32_e32 v5, 0
	s_and_not1_b32 s2, s2, exec_lo
	s_and_b32 s11, vcc_lo, exec_lo
	s_delay_alu instid0(SALU_CYCLE_1)
	s_or_b32 s2, s2, s11
	s_or_b32 exec_lo, exec_lo, s10
	s_and_saveexec_b32 s10, s2
	s_cbranch_execnz .LBB242_2515
	s_branch .LBB242_2516
.LBB242_2542:
	s_mov_b32 s2, 0
.LBB242_2543:
	s_delay_alu instid0(SALU_CYCLE_1)
	s_and_not1_b32 vcc_lo, exec_lo, s2
	s_cbranch_vccnz .LBB242_2545
; %bb.2544:
	global_load_u8 v12, v[10:11], off
.LBB242_2545:
	s_mov_b32 s2, 0
	s_mov_b32 s10, -1
.LBB242_2546:
	s_and_not1_b32 vcc_lo, exec_lo, s2
	s_mov_b32 s2, 0
	s_cbranch_vccnz .LBB242_2562
; %bb.2547:
	s_cmp_gt_i32 s0, 14
	s_cbranch_scc0 .LBB242_2558
; %bb.2548:
	s_cmp_eq_u32 s0, 15
	s_cbranch_scc0 .LBB242_2559
; %bb.2549:
	global_load_u16 v5, v[10:11], off
	s_mov_b32 s1, exec_lo
                                        ; implicit-def: $vgpr7
	s_wait_loadcnt 0x0
	v_lshlrev_b32_e32 v9, 16, v5
	s_wait_xcnt 0x1
	s_delay_alu instid0(VALU_DEP_1) | instskip(SKIP_1) | instid1(VALU_DEP_1)
	v_and_b32_e32 v12, 0x7fffffff, v9
	s_wait_xcnt 0x0
	v_cmpx_gt_u32_e32 0x47800000, v12
	s_xor_b32 s1, exec_lo, s1
	s_cbranch_execz .LBB242_2555
; %bb.2550:
	s_mov_b32 s2, exec_lo
                                        ; implicit-def: $vgpr7
	v_cmpx_lt_u32_e32 0x387fffff, v12
	s_xor_b32 s2, exec_lo, s2
; %bb.2551:
	v_bfe_u32 v7, v5, 5, 1
	s_delay_alu instid0(VALU_DEP_1) | instskip(NEXT) | instid1(VALU_DEP_1)
	v_add3_u32 v7, v9, v7, 0x80fffff
                                        ; implicit-def: $vgpr9
	v_lshrrev_b32_e32 v7, 21, v7
; %bb.2552:
	s_and_not1_saveexec_b32 s2, s2
; %bb.2553:
	v_add_f32_e64 v7, 0x43000000, |v9|
; %bb.2554:
	s_or_b32 exec_lo, exec_lo, s2
                                        ; implicit-def: $vgpr12
.LBB242_2555:
	s_and_not1_saveexec_b32 s1, s1
; %bb.2556:
	v_mov_b32_e32 v7, 0x7f
	v_cmp_lt_u32_e32 vcc_lo, 0x7f800000, v12
	s_delay_alu instid0(VALU_DEP_2)
	v_cndmask_b32_e32 v7, 0x7c, v7, vcc_lo
; %bb.2557:
	s_or_b32 exec_lo, exec_lo, s1
	v_lshrrev_b32_e32 v5, 8, v5
	s_mov_b32 s1, 0
	s_mov_b32 s10, -1
	s_mov_b32 s2, 0
	s_delay_alu instid0(VALU_DEP_1)
	v_and_or_b32 v12, 0x80, v5, v7
	s_branch .LBB242_2560
.LBB242_2558:
	s_mov_b32 s2, -1
                                        ; implicit-def: $vgpr12
	s_branch .LBB242_2560
.LBB242_2559:
	s_mov_b32 s1, -1
                                        ; implicit-def: $vgpr12
	s_mov_b32 s2, 0
.LBB242_2560:
	s_delay_alu instid0(SALU_CYCLE_1)
	s_and_b32 vcc_lo, exec_lo, s2
	s_mov_b32 s2, 0
	s_cbranch_vccz .LBB242_2562
; %bb.2561:
	s_cmp_lg_u32 s0, 11
	s_mov_b32 s2, -1
	s_cselect_b32 s1, -1, 0
.LBB242_2562:
	s_delay_alu instid0(SALU_CYCLE_1)
	s_and_b32 vcc_lo, exec_lo, s1
	s_cbranch_vccnz .LBB242_2729
; %bb.2563:
	s_and_not1_b32 vcc_lo, exec_lo, s2
	s_cbranch_vccnz .LBB242_2573
.LBB242_2564:
	global_load_u8 v5, v[10:11], off
	s_mov_b32 s1, exec_lo
                                        ; implicit-def: $vgpr12
	s_wait_loadcnt 0x0
	v_cmp_ne_u16_e32 vcc_lo, 0, v5
	v_cndmask_b32_e64 v5, 0, 1.0, vcc_lo
	s_wait_xcnt 0x0
	s_delay_alu instid0(VALU_DEP_1)
	v_cmpx_gt_u32_e32 0x47800000, v5
	s_xor_b32 s1, exec_lo, s1
	s_cbranch_execz .LBB242_2570
; %bb.2565:
	s_mov_b32 s2, exec_lo
                                        ; implicit-def: $vgpr12
	v_cmpx_lt_u32_e32 0x387fffff, v5
	s_xor_b32 s2, exec_lo, s2
; %bb.2566:
	v_bfe_u32 v7, v5, 21, 1
	s_delay_alu instid0(VALU_DEP_1) | instskip(NEXT) | instid1(VALU_DEP_1)
	v_add3_u32 v5, v5, v7, 0x80fffff
	v_lshrrev_b32_e32 v12, 21, v5
                                        ; implicit-def: $vgpr5
; %bb.2567:
	s_and_not1_saveexec_b32 s2, s2
; %bb.2568:
	v_add_f32_e32 v12, 0x43000000, v5
; %bb.2569:
	s_or_b32 exec_lo, exec_lo, s2
                                        ; implicit-def: $vgpr5
.LBB242_2570:
	s_and_not1_saveexec_b32 s1, s1
; %bb.2571:
	v_mov_b32_e32 v7, 0x7f
	v_cmp_lt_u32_e32 vcc_lo, 0x7f800000, v5
	s_delay_alu instid0(VALU_DEP_2)
	v_cndmask_b32_e32 v12, 0x7c, v7, vcc_lo
; %bb.2572:
	s_or_b32 exec_lo, exec_lo, s1
	s_mov_b32 s10, -1
.LBB242_2573:
	s_branch .LBB242_2429
.LBB242_2574:
	s_cmp_lt_i32 s0, 5
	s_cbranch_scc1 .LBB242_2587
; %bb.2575:
	s_cmp_lt_i32 s0, 8
	s_cbranch_scc1 .LBB242_2588
; %bb.2576:
	;; [unrolled: 3-line block ×3, first 2 shown]
	s_cmp_gt_i32 s0, 9
	s_cbranch_scc0 .LBB242_2590
; %bb.2578:
	s_wait_loadcnt 0x0
	global_load_b64 v[12:13], v[10:11], off
	s_mov_b32 s1, exec_lo
                                        ; implicit-def: $vgpr7
	s_wait_loadcnt 0x0
	v_cvt_f32_f64_e32 v5, v[12:13]
	s_delay_alu instid0(VALU_DEP_1) | instskip(SKIP_1) | instid1(VALU_DEP_1)
	v_and_b32_e32 v9, 0x7fffffff, v5
	s_wait_xcnt 0x0
	v_cmpx_gt_u32_e32 0x47800000, v9
	s_xor_b32 s1, exec_lo, s1
	s_cbranch_execz .LBB242_2584
; %bb.2579:
	s_mov_b32 s2, exec_lo
                                        ; implicit-def: $vgpr7
	v_cmpx_lt_u32_e32 0x387fffff, v9
	s_xor_b32 s2, exec_lo, s2
; %bb.2580:
	v_bfe_u32 v7, v5, 21, 1
	s_delay_alu instid0(VALU_DEP_1) | instskip(NEXT) | instid1(VALU_DEP_1)
	v_add3_u32 v7, v5, v7, 0x80fffff
	v_lshrrev_b32_e32 v7, 21, v7
; %bb.2581:
	s_and_not1_saveexec_b32 s2, s2
; %bb.2582:
	v_add_f32_e64 v7, 0x43000000, |v5|
; %bb.2583:
	s_or_b32 exec_lo, exec_lo, s2
                                        ; implicit-def: $vgpr9
.LBB242_2584:
	s_and_not1_saveexec_b32 s1, s1
; %bb.2585:
	v_mov_b32_e32 v7, 0x7f
	v_cmp_lt_u32_e32 vcc_lo, 0x7f800000, v9
	s_delay_alu instid0(VALU_DEP_2)
	v_cndmask_b32_e32 v7, 0x7c, v7, vcc_lo
; %bb.2586:
	s_or_b32 exec_lo, exec_lo, s1
	v_lshrrev_b32_e32 v5, 24, v5
	s_mov_b32 s1, 0
	s_delay_alu instid0(VALU_DEP_1)
	v_and_or_b32 v12, 0x80, v5, v7
	s_branch .LBB242_2591
.LBB242_2587:
	s_mov_b32 s1, -1
                                        ; implicit-def: $vgpr12
	s_branch .LBB242_2649
.LBB242_2588:
	s_mov_b32 s1, -1
                                        ; implicit-def: $vgpr12
	s_branch .LBB242_2613
.LBB242_2589:
	s_mov_b32 s1, -1
                                        ; implicit-def: $vgpr12
	s_branch .LBB242_2602
.LBB242_2590:
	s_mov_b32 s1, -1
                                        ; implicit-def: $vgpr12
.LBB242_2591:
	s_delay_alu instid0(SALU_CYCLE_1)
	s_and_b32 vcc_lo, exec_lo, s1
	s_cbranch_vccz .LBB242_2601
; %bb.2592:
	global_load_b32 v5, v[10:11], off
	s_mov_b32 s1, exec_lo
                                        ; implicit-def: $vgpr7
	s_wait_loadcnt 0x0
	v_and_b32_e32 v9, 0x7fffffff, v5
	s_wait_xcnt 0x0
	s_delay_alu instid0(VALU_DEP_1)
	v_cmpx_gt_u32_e32 0x47800000, v9
	s_xor_b32 s1, exec_lo, s1
	s_cbranch_execz .LBB242_2598
; %bb.2593:
	s_mov_b32 s2, exec_lo
                                        ; implicit-def: $vgpr7
	v_cmpx_lt_u32_e32 0x387fffff, v9
	s_xor_b32 s2, exec_lo, s2
; %bb.2594:
	v_bfe_u32 v7, v5, 21, 1
	s_delay_alu instid0(VALU_DEP_1) | instskip(NEXT) | instid1(VALU_DEP_1)
	v_add3_u32 v7, v5, v7, 0x80fffff
	v_lshrrev_b32_e32 v7, 21, v7
; %bb.2595:
	s_and_not1_saveexec_b32 s2, s2
; %bb.2596:
	v_add_f32_e64 v7, 0x43000000, |v5|
; %bb.2597:
	s_or_b32 exec_lo, exec_lo, s2
                                        ; implicit-def: $vgpr9
.LBB242_2598:
	s_and_not1_saveexec_b32 s1, s1
; %bb.2599:
	v_mov_b32_e32 v7, 0x7f
	v_cmp_lt_u32_e32 vcc_lo, 0x7f800000, v9
	s_delay_alu instid0(VALU_DEP_2)
	v_cndmask_b32_e32 v7, 0x7c, v7, vcc_lo
; %bb.2600:
	s_or_b32 exec_lo, exec_lo, s1
	v_lshrrev_b32_e32 v5, 24, v5
	s_mov_b32 s1, 0
	s_delay_alu instid0(VALU_DEP_1)
	v_and_or_b32 v12, 0x80, v5, v7
	s_branch .LBB242_2602
.LBB242_2601:
	s_mov_b32 s1, 0
.LBB242_2602:
	s_delay_alu instid0(SALU_CYCLE_1)
	s_and_not1_b32 vcc_lo, exec_lo, s1
	s_cbranch_vccnz .LBB242_2612
; %bb.2603:
	global_load_b32 v5, v[10:11], off
	s_mov_b32 s1, exec_lo
                                        ; implicit-def: $vgpr7
	s_wait_loadcnt 0x0
	v_cvt_f32_f16_e32 v5, v5
	s_delay_alu instid0(VALU_DEP_1) | instskip(SKIP_1) | instid1(VALU_DEP_1)
	v_and_b32_e32 v9, 0x7fffffff, v5
	s_wait_xcnt 0x0
	v_cmpx_gt_u32_e32 0x47800000, v9
	s_xor_b32 s1, exec_lo, s1
	s_cbranch_execz .LBB242_2609
; %bb.2604:
	s_mov_b32 s2, exec_lo
                                        ; implicit-def: $vgpr7
	v_cmpx_lt_u32_e32 0x387fffff, v9
	s_xor_b32 s2, exec_lo, s2
; %bb.2605:
	v_bfe_u32 v7, v5, 21, 1
	s_delay_alu instid0(VALU_DEP_1) | instskip(NEXT) | instid1(VALU_DEP_1)
	v_add3_u32 v7, v5, v7, 0x80fffff
	v_lshrrev_b32_e32 v7, 21, v7
; %bb.2606:
	s_and_not1_saveexec_b32 s2, s2
; %bb.2607:
	v_add_f32_e64 v7, 0x43000000, |v5|
; %bb.2608:
	s_or_b32 exec_lo, exec_lo, s2
                                        ; implicit-def: $vgpr9
.LBB242_2609:
	s_and_not1_saveexec_b32 s1, s1
; %bb.2610:
	v_mov_b32_e32 v7, 0x7f
	v_cmp_lt_u32_e32 vcc_lo, 0x7f800000, v9
	s_delay_alu instid0(VALU_DEP_2)
	v_cndmask_b32_e32 v7, 0x7c, v7, vcc_lo
; %bb.2611:
	s_or_b32 exec_lo, exec_lo, s1
	v_lshrrev_b32_e32 v5, 24, v5
	s_delay_alu instid0(VALU_DEP_1)
	v_and_or_b32 v12, 0x80, v5, v7
.LBB242_2612:
	s_mov_b32 s1, 0
.LBB242_2613:
	s_delay_alu instid0(SALU_CYCLE_1)
	s_and_not1_b32 vcc_lo, exec_lo, s1
	s_cbranch_vccnz .LBB242_2648
; %bb.2614:
	s_cmp_lt_i32 s0, 6
	s_cbranch_scc1 .LBB242_2625
; %bb.2615:
	s_cmp_gt_i32 s0, 6
	s_cbranch_scc0 .LBB242_2626
; %bb.2616:
	s_wait_loadcnt 0x0
	global_load_b64 v[12:13], v[10:11], off
	s_mov_b32 s1, exec_lo
                                        ; implicit-def: $vgpr7
	s_wait_loadcnt 0x0
	v_cvt_f32_f64_e32 v5, v[12:13]
	s_delay_alu instid0(VALU_DEP_1) | instskip(SKIP_1) | instid1(VALU_DEP_1)
	v_and_b32_e32 v9, 0x7fffffff, v5
	s_wait_xcnt 0x0
	v_cmpx_gt_u32_e32 0x47800000, v9
	s_xor_b32 s1, exec_lo, s1
	s_cbranch_execz .LBB242_2622
; %bb.2617:
	s_mov_b32 s2, exec_lo
                                        ; implicit-def: $vgpr7
	v_cmpx_lt_u32_e32 0x387fffff, v9
	s_xor_b32 s2, exec_lo, s2
; %bb.2618:
	v_bfe_u32 v7, v5, 21, 1
	s_delay_alu instid0(VALU_DEP_1) | instskip(NEXT) | instid1(VALU_DEP_1)
	v_add3_u32 v7, v5, v7, 0x80fffff
	v_lshrrev_b32_e32 v7, 21, v7
; %bb.2619:
	s_and_not1_saveexec_b32 s2, s2
; %bb.2620:
	v_add_f32_e64 v7, 0x43000000, |v5|
; %bb.2621:
	s_or_b32 exec_lo, exec_lo, s2
                                        ; implicit-def: $vgpr9
.LBB242_2622:
	s_and_not1_saveexec_b32 s1, s1
; %bb.2623:
	v_mov_b32_e32 v7, 0x7f
	v_cmp_lt_u32_e32 vcc_lo, 0x7f800000, v9
	s_delay_alu instid0(VALU_DEP_2)
	v_cndmask_b32_e32 v7, 0x7c, v7, vcc_lo
; %bb.2624:
	s_or_b32 exec_lo, exec_lo, s1
	v_lshrrev_b32_e32 v5, 24, v5
	s_mov_b32 s1, 0
	s_delay_alu instid0(VALU_DEP_1)
	v_and_or_b32 v12, 0x80, v5, v7
	s_branch .LBB242_2627
.LBB242_2625:
	s_mov_b32 s1, -1
                                        ; implicit-def: $vgpr12
	s_branch .LBB242_2638
.LBB242_2626:
	s_mov_b32 s1, -1
                                        ; implicit-def: $vgpr12
.LBB242_2627:
	s_delay_alu instid0(SALU_CYCLE_1)
	s_and_b32 vcc_lo, exec_lo, s1
	s_cbranch_vccz .LBB242_2637
; %bb.2628:
	global_load_b32 v5, v[10:11], off
	s_mov_b32 s1, exec_lo
                                        ; implicit-def: $vgpr7
	s_wait_loadcnt 0x0
	v_and_b32_e32 v9, 0x7fffffff, v5
	s_wait_xcnt 0x0
	s_delay_alu instid0(VALU_DEP_1)
	v_cmpx_gt_u32_e32 0x47800000, v9
	s_xor_b32 s1, exec_lo, s1
	s_cbranch_execz .LBB242_2634
; %bb.2629:
	s_mov_b32 s2, exec_lo
                                        ; implicit-def: $vgpr7
	v_cmpx_lt_u32_e32 0x387fffff, v9
	s_xor_b32 s2, exec_lo, s2
; %bb.2630:
	v_bfe_u32 v7, v5, 21, 1
	s_delay_alu instid0(VALU_DEP_1) | instskip(NEXT) | instid1(VALU_DEP_1)
	v_add3_u32 v7, v5, v7, 0x80fffff
	v_lshrrev_b32_e32 v7, 21, v7
; %bb.2631:
	s_and_not1_saveexec_b32 s2, s2
; %bb.2632:
	v_add_f32_e64 v7, 0x43000000, |v5|
; %bb.2633:
	s_or_b32 exec_lo, exec_lo, s2
                                        ; implicit-def: $vgpr9
.LBB242_2634:
	s_and_not1_saveexec_b32 s1, s1
; %bb.2635:
	v_mov_b32_e32 v7, 0x7f
	v_cmp_lt_u32_e32 vcc_lo, 0x7f800000, v9
	s_delay_alu instid0(VALU_DEP_2)
	v_cndmask_b32_e32 v7, 0x7c, v7, vcc_lo
; %bb.2636:
	s_or_b32 exec_lo, exec_lo, s1
	v_lshrrev_b32_e32 v5, 24, v5
	s_mov_b32 s1, 0
	s_delay_alu instid0(VALU_DEP_1)
	v_and_or_b32 v12, 0x80, v5, v7
	s_branch .LBB242_2638
.LBB242_2637:
	s_mov_b32 s1, 0
.LBB242_2638:
	s_delay_alu instid0(SALU_CYCLE_1)
	s_and_not1_b32 vcc_lo, exec_lo, s1
	s_cbranch_vccnz .LBB242_2648
; %bb.2639:
	global_load_u16 v5, v[10:11], off
	s_mov_b32 s1, exec_lo
                                        ; implicit-def: $vgpr7
	s_wait_loadcnt 0x0
	v_cvt_f32_f16_e32 v5, v5
	s_delay_alu instid0(VALU_DEP_1) | instskip(SKIP_1) | instid1(VALU_DEP_1)
	v_and_b32_e32 v9, 0x7fffffff, v5
	s_wait_xcnt 0x0
	v_cmpx_gt_u32_e32 0x47800000, v9
	s_xor_b32 s1, exec_lo, s1
	s_cbranch_execz .LBB242_2645
; %bb.2640:
	s_mov_b32 s2, exec_lo
                                        ; implicit-def: $vgpr7
	v_cmpx_lt_u32_e32 0x387fffff, v9
	s_xor_b32 s2, exec_lo, s2
; %bb.2641:
	v_bfe_u32 v7, v5, 21, 1
	s_delay_alu instid0(VALU_DEP_1) | instskip(NEXT) | instid1(VALU_DEP_1)
	v_add3_u32 v7, v5, v7, 0x80fffff
	v_lshrrev_b32_e32 v7, 21, v7
; %bb.2642:
	s_and_not1_saveexec_b32 s2, s2
; %bb.2643:
	v_add_f32_e64 v7, 0x43000000, |v5|
; %bb.2644:
	s_or_b32 exec_lo, exec_lo, s2
                                        ; implicit-def: $vgpr9
.LBB242_2645:
	s_and_not1_saveexec_b32 s1, s1
; %bb.2646:
	v_mov_b32_e32 v7, 0x7f
	v_cmp_lt_u32_e32 vcc_lo, 0x7f800000, v9
	s_delay_alu instid0(VALU_DEP_2)
	v_cndmask_b32_e32 v7, 0x7c, v7, vcc_lo
; %bb.2647:
	s_or_b32 exec_lo, exec_lo, s1
	v_lshrrev_b32_e32 v5, 24, v5
	s_delay_alu instid0(VALU_DEP_1)
	v_and_or_b32 v12, 0x80, v5, v7
.LBB242_2648:
	s_mov_b32 s1, 0
.LBB242_2649:
	s_delay_alu instid0(SALU_CYCLE_1)
	s_and_not1_b32 vcc_lo, exec_lo, s1
	s_cbranch_vccnz .LBB242_2709
; %bb.2650:
	s_cmp_lt_i32 s0, 2
	s_cbranch_scc1 .LBB242_2662
; %bb.2651:
	s_cmp_lt_i32 s0, 3
	s_cbranch_scc1 .LBB242_2663
; %bb.2652:
	s_cmp_gt_i32 s0, 3
	s_cbranch_scc0 .LBB242_2664
; %bb.2653:
	s_wait_loadcnt 0x0
	global_load_b64 v[12:13], v[10:11], off
	s_mov_b32 s1, exec_lo
	s_wait_loadcnt 0x0
	v_xor_b32_e32 v5, v12, v13
	v_cls_i32_e32 v7, v13
	s_delay_alu instid0(VALU_DEP_2) | instskip(NEXT) | instid1(VALU_DEP_1)
	v_ashrrev_i32_e32 v5, 31, v5
	v_add_nc_u32_e32 v5, 32, v5
	s_delay_alu instid0(VALU_DEP_1) | instskip(NEXT) | instid1(VALU_DEP_1)
	v_add_min_u32_e64 v5, v7, -1, v5
	v_lshlrev_b64_e32 v[12:13], v5, v[12:13]
	v_sub_nc_u32_e32 v5, 32, v5
	s_delay_alu instid0(VALU_DEP_2) | instskip(NEXT) | instid1(VALU_DEP_1)
	v_min_u32_e32 v7, 1, v12
	v_or_b32_e32 v7, v13, v7
	s_delay_alu instid0(VALU_DEP_1) | instskip(NEXT) | instid1(VALU_DEP_1)
	v_cvt_f32_i32_e32 v7, v7
	v_ldexp_f32 v5, v7, v5
                                        ; implicit-def: $vgpr7
	s_delay_alu instid0(VALU_DEP_1) | instskip(SKIP_1) | instid1(VALU_DEP_1)
	v_and_b32_e32 v9, 0x7fffffff, v5
	s_wait_xcnt 0x0
	v_cmpx_gt_u32_e32 0x47800000, v9
	s_xor_b32 s1, exec_lo, s1
	s_cbranch_execz .LBB242_2659
; %bb.2654:
	s_mov_b32 s2, exec_lo
                                        ; implicit-def: $vgpr7
	v_cmpx_lt_u32_e32 0x387fffff, v9
	s_xor_b32 s2, exec_lo, s2
; %bb.2655:
	v_bfe_u32 v7, v5, 21, 1
	s_delay_alu instid0(VALU_DEP_1) | instskip(NEXT) | instid1(VALU_DEP_1)
	v_add3_u32 v7, v5, v7, 0x80fffff
	v_lshrrev_b32_e32 v7, 21, v7
; %bb.2656:
	s_and_not1_saveexec_b32 s2, s2
; %bb.2657:
	v_add_f32_e64 v7, 0x43000000, |v5|
; %bb.2658:
	s_or_b32 exec_lo, exec_lo, s2
                                        ; implicit-def: $vgpr9
.LBB242_2659:
	s_and_not1_saveexec_b32 s1, s1
; %bb.2660:
	v_mov_b32_e32 v7, 0x7f
	v_cmp_lt_u32_e32 vcc_lo, 0x7f800000, v9
	s_delay_alu instid0(VALU_DEP_2)
	v_cndmask_b32_e32 v7, 0x7c, v7, vcc_lo
; %bb.2661:
	s_or_b32 exec_lo, exec_lo, s1
	v_lshrrev_b32_e32 v5, 24, v5
	s_mov_b32 s1, 0
	s_delay_alu instid0(VALU_DEP_1)
	v_and_or_b32 v12, 0x80, v5, v7
	s_branch .LBB242_2665
.LBB242_2662:
	s_mov_b32 s1, -1
                                        ; implicit-def: $vgpr12
	s_branch .LBB242_2687
.LBB242_2663:
	s_mov_b32 s1, -1
                                        ; implicit-def: $vgpr12
	s_branch .LBB242_2676
.LBB242_2664:
	s_mov_b32 s1, -1
                                        ; implicit-def: $vgpr12
.LBB242_2665:
	s_delay_alu instid0(SALU_CYCLE_1)
	s_and_b32 vcc_lo, exec_lo, s1
	s_cbranch_vccz .LBB242_2675
; %bb.2666:
	global_load_b32 v5, v[10:11], off
	s_mov_b32 s1, exec_lo
                                        ; implicit-def: $vgpr7
	s_wait_loadcnt 0x0
	v_cvt_f32_i32_e32 v5, v5
	s_delay_alu instid0(VALU_DEP_1) | instskip(SKIP_1) | instid1(VALU_DEP_1)
	v_and_b32_e32 v9, 0x7fffffff, v5
	s_wait_xcnt 0x0
	v_cmpx_gt_u32_e32 0x47800000, v9
	s_xor_b32 s1, exec_lo, s1
	s_cbranch_execz .LBB242_2672
; %bb.2667:
	s_mov_b32 s2, exec_lo
                                        ; implicit-def: $vgpr7
	v_cmpx_lt_u32_e32 0x387fffff, v9
	s_xor_b32 s2, exec_lo, s2
; %bb.2668:
	v_bfe_u32 v7, v5, 21, 1
	s_delay_alu instid0(VALU_DEP_1) | instskip(NEXT) | instid1(VALU_DEP_1)
	v_add3_u32 v7, v5, v7, 0x80fffff
	v_lshrrev_b32_e32 v7, 21, v7
; %bb.2669:
	s_and_not1_saveexec_b32 s2, s2
; %bb.2670:
	v_add_f32_e64 v7, 0x43000000, |v5|
; %bb.2671:
	s_or_b32 exec_lo, exec_lo, s2
                                        ; implicit-def: $vgpr9
.LBB242_2672:
	s_and_not1_saveexec_b32 s1, s1
; %bb.2673:
	v_mov_b32_e32 v7, 0x7f
	v_cmp_lt_u32_e32 vcc_lo, 0x7f800000, v9
	s_delay_alu instid0(VALU_DEP_2)
	v_cndmask_b32_e32 v7, 0x7c, v7, vcc_lo
; %bb.2674:
	s_or_b32 exec_lo, exec_lo, s1
	v_lshrrev_b32_e32 v5, 24, v5
	s_mov_b32 s1, 0
	s_delay_alu instid0(VALU_DEP_1)
	v_and_or_b32 v12, 0x80, v5, v7
	s_branch .LBB242_2676
.LBB242_2675:
	s_mov_b32 s1, 0
.LBB242_2676:
	s_delay_alu instid0(SALU_CYCLE_1)
	s_and_not1_b32 vcc_lo, exec_lo, s1
	s_cbranch_vccnz .LBB242_2686
; %bb.2677:
	global_load_i16 v5, v[10:11], off
	s_mov_b32 s1, exec_lo
                                        ; implicit-def: $vgpr7
	s_wait_loadcnt 0x0
	v_cvt_f32_i32_e32 v5, v5
	s_delay_alu instid0(VALU_DEP_1) | instskip(SKIP_1) | instid1(VALU_DEP_1)
	v_and_b32_e32 v9, 0x7fffffff, v5
	s_wait_xcnt 0x0
	v_cmpx_gt_u32_e32 0x47800000, v9
	s_xor_b32 s1, exec_lo, s1
	s_cbranch_execz .LBB242_2683
; %bb.2678:
	s_mov_b32 s2, exec_lo
                                        ; implicit-def: $vgpr7
	v_cmpx_lt_u32_e32 0x387fffff, v9
	s_xor_b32 s2, exec_lo, s2
; %bb.2679:
	v_bfe_u32 v7, v5, 21, 1
	s_delay_alu instid0(VALU_DEP_1) | instskip(NEXT) | instid1(VALU_DEP_1)
	v_add3_u32 v7, v5, v7, 0x80fffff
	v_lshrrev_b32_e32 v7, 21, v7
; %bb.2680:
	s_and_not1_saveexec_b32 s2, s2
; %bb.2681:
	v_add_f32_e64 v7, 0x43000000, |v5|
; %bb.2682:
	s_or_b32 exec_lo, exec_lo, s2
                                        ; implicit-def: $vgpr9
.LBB242_2683:
	s_and_not1_saveexec_b32 s1, s1
; %bb.2684:
	v_mov_b32_e32 v7, 0x7f
	v_cmp_lt_u32_e32 vcc_lo, 0x7f800000, v9
	s_delay_alu instid0(VALU_DEP_2)
	v_cndmask_b32_e32 v7, 0x7c, v7, vcc_lo
; %bb.2685:
	s_or_b32 exec_lo, exec_lo, s1
	v_lshrrev_b32_e32 v5, 24, v5
	s_delay_alu instid0(VALU_DEP_1)
	v_and_or_b32 v12, 0x80, v5, v7
.LBB242_2686:
	s_mov_b32 s1, 0
.LBB242_2687:
	s_delay_alu instid0(SALU_CYCLE_1)
	s_and_not1_b32 vcc_lo, exec_lo, s1
	s_cbranch_vccnz .LBB242_2709
; %bb.2688:
	s_cmp_gt_i32 s0, 0
	s_cbranch_scc0 .LBB242_2698
; %bb.2689:
	global_load_i8 v5, v[10:11], off
	s_mov_b32 s1, exec_lo
                                        ; implicit-def: $vgpr7
	s_wait_loadcnt 0x0
	v_cvt_f32_i32_e32 v5, v5
	s_delay_alu instid0(VALU_DEP_1) | instskip(SKIP_1) | instid1(VALU_DEP_1)
	v_and_b32_e32 v9, 0x7fffffff, v5
	s_wait_xcnt 0x0
	v_cmpx_gt_u32_e32 0x47800000, v9
	s_xor_b32 s1, exec_lo, s1
	s_cbranch_execz .LBB242_2695
; %bb.2690:
	s_mov_b32 s2, exec_lo
                                        ; implicit-def: $vgpr7
	v_cmpx_lt_u32_e32 0x387fffff, v9
	s_xor_b32 s2, exec_lo, s2
; %bb.2691:
	v_bfe_u32 v7, v5, 21, 1
	s_delay_alu instid0(VALU_DEP_1) | instskip(NEXT) | instid1(VALU_DEP_1)
	v_add3_u32 v7, v5, v7, 0x80fffff
	v_lshrrev_b32_e32 v7, 21, v7
; %bb.2692:
	s_and_not1_saveexec_b32 s2, s2
; %bb.2693:
	v_add_f32_e64 v7, 0x43000000, |v5|
; %bb.2694:
	s_or_b32 exec_lo, exec_lo, s2
                                        ; implicit-def: $vgpr9
.LBB242_2695:
	s_and_not1_saveexec_b32 s1, s1
; %bb.2696:
	v_mov_b32_e32 v7, 0x7f
	v_cmp_lt_u32_e32 vcc_lo, 0x7f800000, v9
	s_delay_alu instid0(VALU_DEP_2)
	v_cndmask_b32_e32 v7, 0x7c, v7, vcc_lo
; %bb.2697:
	s_or_b32 exec_lo, exec_lo, s1
	v_lshrrev_b32_e32 v5, 24, v5
	s_mov_b32 s1, 0
	s_delay_alu instid0(VALU_DEP_1)
	v_and_or_b32 v12, 0x80, v5, v7
	s_branch .LBB242_2699
.LBB242_2698:
	s_mov_b32 s1, -1
                                        ; implicit-def: $vgpr12
.LBB242_2699:
	s_delay_alu instid0(SALU_CYCLE_1)
	s_and_b32 vcc_lo, exec_lo, s1
	s_cbranch_vccz .LBB242_2709
; %bb.2700:
	global_load_u8 v5, v[10:11], off
	s_mov_b32 s1, exec_lo
                                        ; implicit-def: $vgpr12
	s_wait_loadcnt 0x0
	v_cvt_f32_ubyte0_e32 v5, v5
	s_wait_xcnt 0x0
	s_delay_alu instid0(VALU_DEP_1)
	v_cmpx_gt_u32_e32 0x47800000, v5
	s_xor_b32 s1, exec_lo, s1
	s_cbranch_execz .LBB242_2706
; %bb.2701:
	s_mov_b32 s2, exec_lo
                                        ; implicit-def: $vgpr12
	v_cmpx_lt_u32_e32 0x387fffff, v5
	s_xor_b32 s2, exec_lo, s2
; %bb.2702:
	v_bfe_u32 v7, v5, 21, 1
	s_delay_alu instid0(VALU_DEP_1) | instskip(NEXT) | instid1(VALU_DEP_1)
	v_add3_u32 v5, v5, v7, 0x80fffff
	v_lshrrev_b32_e32 v12, 21, v5
                                        ; implicit-def: $vgpr5
; %bb.2703:
	s_and_not1_saveexec_b32 s2, s2
; %bb.2704:
	v_add_f32_e32 v12, 0x43000000, v5
; %bb.2705:
	s_or_b32 exec_lo, exec_lo, s2
                                        ; implicit-def: $vgpr5
.LBB242_2706:
	s_and_not1_saveexec_b32 s1, s1
; %bb.2707:
	v_mov_b32_e32 v7, 0x7f
	v_cmp_lt_u32_e32 vcc_lo, 0x7f800000, v5
	s_delay_alu instid0(VALU_DEP_2)
	v_cndmask_b32_e32 v12, 0x7c, v7, vcc_lo
; %bb.2708:
	s_or_b32 exec_lo, exec_lo, s1
.LBB242_2709:
.LBB242_2710:
	v_mov_b32_e32 v9, 0
	s_cmp_lt_i32 s0, 11
	s_delay_alu instid0(VALU_DEP_1)
	v_add_nc_u64_e32 v[8:9], s[6:7], v[8:9]
	s_cbranch_scc1 .LBB242_2725
; %bb.2711:
	s_cmp_gt_i32 s0, 25
	s_mov_b32 s2, 0
	s_cbranch_scc0 .LBB242_2726
; %bb.2712:
	s_cmp_gt_i32 s0, 28
	s_cbranch_scc0 .LBB242_2727
; %bb.2713:
	s_cmp_gt_i32 s0, 43
	;; [unrolled: 3-line block ×3, first 2 shown]
	s_cbranch_scc0 .LBB242_2730
; %bb.2715:
	s_cmp_eq_u32 s0, 46
	s_mov_b32 s7, 0
	s_cbranch_scc0 .LBB242_2731
; %bb.2716:
	global_load_b32 v5, v[8:9], off
	s_mov_b32 s1, exec_lo
                                        ; implicit-def: $vgpr7
	s_wait_loadcnt 0x0
	v_lshlrev_b32_e32 v5, 16, v5
	s_wait_xcnt 0x1
	s_delay_alu instid0(VALU_DEP_1) | instskip(SKIP_1) | instid1(VALU_DEP_1)
	v_and_b32_e32 v10, 0x7fffffff, v5
	s_wait_xcnt 0x0
	v_cmpx_gt_u32_e32 0x47800000, v10
	s_xor_b32 s1, exec_lo, s1
	s_cbranch_execz .LBB242_2722
; %bb.2717:
	s_mov_b32 s6, exec_lo
                                        ; implicit-def: $vgpr7
	v_cmpx_lt_u32_e32 0x387fffff, v10
	s_xor_b32 s6, exec_lo, s6
; %bb.2718:
	v_bfe_u32 v7, v5, 21, 1
	s_delay_alu instid0(VALU_DEP_1) | instskip(NEXT) | instid1(VALU_DEP_1)
	v_add3_u32 v7, v5, v7, 0x80fffff
	v_lshrrev_b32_e32 v7, 21, v7
; %bb.2719:
	s_and_not1_saveexec_b32 s6, s6
; %bb.2720:
	v_add_f32_e64 v7, 0x43000000, |v5|
; %bb.2721:
	s_or_b32 exec_lo, exec_lo, s6
                                        ; implicit-def: $vgpr10
.LBB242_2722:
	s_and_not1_saveexec_b32 s1, s1
; %bb.2723:
	v_mov_b32_e32 v7, 0x7f
	v_cmp_lt_u32_e32 vcc_lo, 0x7f800000, v10
	s_delay_alu instid0(VALU_DEP_2)
	v_cndmask_b32_e32 v7, 0x7c, v7, vcc_lo
; %bb.2724:
	s_or_b32 exec_lo, exec_lo, s1
	v_lshrrev_b32_e32 v5, 24, v5
	s_mov_b32 s1, 0
	s_mov_b32 s6, -1
	s_delay_alu instid0(VALU_DEP_1)
	v_and_or_b32 v10, 0x80, v5, v7
	s_branch .LBB242_2733
.LBB242_2725:
	s_mov_b32 s1, -1
	s_mov_b32 s6, 0
                                        ; implicit-def: $vgpr10
	s_branch .LBB242_2870
.LBB242_2726:
	s_mov_b32 s7, -1
	s_mov_b32 s6, 0
	s_mov_b32 s1, 0
                                        ; implicit-def: $vgpr10
	s_branch .LBB242_2802
.LBB242_2727:
	s_mov_b32 s7, -1
	s_mov_b32 s6, 0
	s_mov_b32 s1, 0
                                        ; implicit-def: $vgpr10
	s_branch .LBB242_2759
.LBB242_2728:
	s_mov_b32 s7, -1
	s_mov_b32 s6, 0
	s_mov_b32 s1, 0
                                        ; implicit-def: $vgpr10
	s_branch .LBB242_2746
.LBB242_2729:
	s_or_b32 s3, s3, exec_lo
	s_trap 2
	s_cbranch_execz .LBB242_2564
	s_branch .LBB242_2573
.LBB242_2730:
	s_mov_b32 s7, -1
	s_mov_b32 s6, 0
	s_mov_b32 s1, 0
	s_branch .LBB242_2732
.LBB242_2731:
	s_mov_b32 s1, -1
	s_mov_b32 s6, 0
.LBB242_2732:
                                        ; implicit-def: $vgpr10
.LBB242_2733:
	s_and_b32 vcc_lo, exec_lo, s7
	s_cbranch_vccz .LBB242_2745
; %bb.2734:
	s_cmp_eq_u32 s0, 44
	s_cbranch_scc0 .LBB242_2744
; %bb.2735:
	global_load_u8 v5, v[8:9], off
	s_mov_b32 s1, exec_lo
                                        ; implicit-def: $vgpr10
	s_wait_loadcnt 0x0
	v_lshlrev_b32_e32 v7, 23, v5
	v_cmp_ne_u32_e32 vcc_lo, 0xff, v5
	s_delay_alu instid0(VALU_DEP_2) | instskip(SKIP_1) | instid1(VALU_DEP_2)
	v_cndmask_b32_e32 v7, 0x7f800001, v7, vcc_lo
	v_cmp_ne_u32_e32 vcc_lo, 0, v5
	v_cndmask_b32_e32 v5, 0x400000, v7, vcc_lo
	s_wait_xcnt 0x0
	s_delay_alu instid0(VALU_DEP_1)
	v_cmpx_gt_u32_e32 0x47800000, v5
	s_xor_b32 s1, exec_lo, s1
	s_cbranch_execz .LBB242_2741
; %bb.2736:
	s_mov_b32 s6, exec_lo
                                        ; implicit-def: $vgpr10
	v_cmpx_lt_u32_e32 0x387fffff, v5
	s_xor_b32 s6, exec_lo, s6
; %bb.2737:
	v_bfe_u32 v7, v5, 21, 1
	s_delay_alu instid0(VALU_DEP_1) | instskip(NEXT) | instid1(VALU_DEP_1)
	v_add3_u32 v5, v5, v7, 0x80fffff
	v_lshrrev_b32_e32 v10, 21, v5
                                        ; implicit-def: $vgpr5
; %bb.2738:
	s_and_not1_saveexec_b32 s6, s6
; %bb.2739:
	v_add_f32_e32 v10, 0x43000000, v5
; %bb.2740:
	s_or_b32 exec_lo, exec_lo, s6
                                        ; implicit-def: $vgpr5
.LBB242_2741:
	s_and_not1_saveexec_b32 s1, s1
; %bb.2742:
	v_mov_b32_e32 v7, 0x7f
	v_cmp_lt_u32_e32 vcc_lo, 0x7f800000, v5
	s_delay_alu instid0(VALU_DEP_2)
	v_cndmask_b32_e32 v10, 0x7c, v7, vcc_lo
; %bb.2743:
	s_or_b32 exec_lo, exec_lo, s1
	s_mov_b32 s1, 0
	s_mov_b32 s6, -1
	s_branch .LBB242_2745
.LBB242_2744:
	s_mov_b32 s1, -1
                                        ; implicit-def: $vgpr10
.LBB242_2745:
	s_mov_b32 s7, 0
.LBB242_2746:
	s_delay_alu instid0(SALU_CYCLE_1)
	s_and_b32 vcc_lo, exec_lo, s7
	s_cbranch_vccz .LBB242_2758
; %bb.2747:
	s_cmp_eq_u32 s0, 29
	s_cbranch_scc0 .LBB242_2757
; %bb.2748:
	global_load_b64 v[10:11], v[8:9], off
	s_mov_b32 s1, exec_lo
	s_wait_loadcnt 0x0
	v_clz_i32_u32_e32 v5, v11
	s_delay_alu instid0(VALU_DEP_1) | instskip(NEXT) | instid1(VALU_DEP_1)
	v_min_u32_e32 v5, 32, v5
	v_lshlrev_b64_e32 v[10:11], v5, v[10:11]
	v_sub_nc_u32_e32 v5, 32, v5
	s_delay_alu instid0(VALU_DEP_2) | instskip(NEXT) | instid1(VALU_DEP_1)
	v_min_u32_e32 v7, 1, v10
                                        ; implicit-def: $vgpr10
	v_or_b32_e32 v7, v11, v7
	s_delay_alu instid0(VALU_DEP_1) | instskip(NEXT) | instid1(VALU_DEP_1)
	v_cvt_f32_u32_e32 v7, v7
	v_ldexp_f32 v5, v7, v5
	s_wait_xcnt 0x0
	s_delay_alu instid0(VALU_DEP_1)
	v_cmpx_gt_u32_e32 0x47800000, v5
	s_xor_b32 s1, exec_lo, s1
	s_cbranch_execz .LBB242_2754
; %bb.2749:
	s_mov_b32 s6, exec_lo
                                        ; implicit-def: $vgpr10
	v_cmpx_lt_u32_e32 0x387fffff, v5
	s_xor_b32 s6, exec_lo, s6
; %bb.2750:
	v_bfe_u32 v7, v5, 21, 1
	s_delay_alu instid0(VALU_DEP_1) | instskip(NEXT) | instid1(VALU_DEP_1)
	v_add3_u32 v5, v5, v7, 0x80fffff
	v_lshrrev_b32_e32 v10, 21, v5
                                        ; implicit-def: $vgpr5
; %bb.2751:
	s_and_not1_saveexec_b32 s6, s6
; %bb.2752:
	v_add_f32_e32 v10, 0x43000000, v5
; %bb.2753:
	s_or_b32 exec_lo, exec_lo, s6
                                        ; implicit-def: $vgpr5
.LBB242_2754:
	s_and_not1_saveexec_b32 s1, s1
; %bb.2755:
	v_mov_b32_e32 v7, 0x7f
	v_cmp_lt_u32_e32 vcc_lo, 0x7f800000, v5
	s_delay_alu instid0(VALU_DEP_2)
	v_cndmask_b32_e32 v10, 0x7c, v7, vcc_lo
; %bb.2756:
	s_or_b32 exec_lo, exec_lo, s1
	s_mov_b32 s1, 0
	s_mov_b32 s6, -1
	s_branch .LBB242_2758
.LBB242_2757:
	s_mov_b32 s1, -1
                                        ; implicit-def: $vgpr10
.LBB242_2758:
	s_mov_b32 s7, 0
.LBB242_2759:
	s_delay_alu instid0(SALU_CYCLE_1)
	s_and_b32 vcc_lo, exec_lo, s7
	s_cbranch_vccz .LBB242_2801
; %bb.2760:
	s_cmp_lt_i32 s0, 27
	s_cbranch_scc1 .LBB242_2771
; %bb.2761:
	s_cmp_gt_i32 s0, 27
	s_cbranch_scc0 .LBB242_2772
; %bb.2762:
	global_load_b32 v5, v[8:9], off
	s_mov_b32 s6, exec_lo
                                        ; implicit-def: $vgpr10
	s_wait_loadcnt 0x0
	v_cvt_f32_u32_e32 v5, v5
	s_wait_xcnt 0x0
	s_delay_alu instid0(VALU_DEP_1)
	v_cmpx_gt_u32_e32 0x47800000, v5
	s_xor_b32 s6, exec_lo, s6
	s_cbranch_execz .LBB242_2768
; %bb.2763:
	s_mov_b32 s7, exec_lo
                                        ; implicit-def: $vgpr10
	v_cmpx_lt_u32_e32 0x387fffff, v5
	s_xor_b32 s7, exec_lo, s7
; %bb.2764:
	v_bfe_u32 v7, v5, 21, 1
	s_delay_alu instid0(VALU_DEP_1) | instskip(NEXT) | instid1(VALU_DEP_1)
	v_add3_u32 v5, v5, v7, 0x80fffff
	v_lshrrev_b32_e32 v10, 21, v5
                                        ; implicit-def: $vgpr5
; %bb.2765:
	s_and_not1_saveexec_b32 s7, s7
; %bb.2766:
	v_add_f32_e32 v10, 0x43000000, v5
; %bb.2767:
	s_or_b32 exec_lo, exec_lo, s7
                                        ; implicit-def: $vgpr5
.LBB242_2768:
	s_and_not1_saveexec_b32 s6, s6
; %bb.2769:
	v_mov_b32_e32 v7, 0x7f
	v_cmp_lt_u32_e32 vcc_lo, 0x7f800000, v5
	s_delay_alu instid0(VALU_DEP_2)
	v_cndmask_b32_e32 v10, 0x7c, v7, vcc_lo
; %bb.2770:
	s_or_b32 exec_lo, exec_lo, s6
	s_mov_b32 s6, 0
	s_branch .LBB242_2773
.LBB242_2771:
	s_mov_b32 s6, -1
                                        ; implicit-def: $vgpr10
	s_branch .LBB242_2784
.LBB242_2772:
	s_mov_b32 s6, -1
                                        ; implicit-def: $vgpr10
.LBB242_2773:
	s_delay_alu instid0(SALU_CYCLE_1)
	s_and_b32 vcc_lo, exec_lo, s6
	s_cbranch_vccz .LBB242_2783
; %bb.2774:
	global_load_u16 v5, v[8:9], off
	s_mov_b32 s6, exec_lo
                                        ; implicit-def: $vgpr10
	s_wait_loadcnt 0x0
	v_cvt_f32_u32_e32 v5, v5
	s_wait_xcnt 0x0
	s_delay_alu instid0(VALU_DEP_1)
	v_cmpx_gt_u32_e32 0x47800000, v5
	s_xor_b32 s6, exec_lo, s6
	s_cbranch_execz .LBB242_2780
; %bb.2775:
	s_mov_b32 s7, exec_lo
                                        ; implicit-def: $vgpr10
	v_cmpx_lt_u32_e32 0x387fffff, v5
	s_xor_b32 s7, exec_lo, s7
; %bb.2776:
	v_bfe_u32 v7, v5, 21, 1
	s_delay_alu instid0(VALU_DEP_1) | instskip(NEXT) | instid1(VALU_DEP_1)
	v_add3_u32 v5, v5, v7, 0x80fffff
	v_lshrrev_b32_e32 v10, 21, v5
                                        ; implicit-def: $vgpr5
; %bb.2777:
	s_and_not1_saveexec_b32 s7, s7
; %bb.2778:
	v_add_f32_e32 v10, 0x43000000, v5
; %bb.2779:
	s_or_b32 exec_lo, exec_lo, s7
                                        ; implicit-def: $vgpr5
.LBB242_2780:
	s_and_not1_saveexec_b32 s6, s6
; %bb.2781:
	v_mov_b32_e32 v7, 0x7f
	v_cmp_lt_u32_e32 vcc_lo, 0x7f800000, v5
	s_delay_alu instid0(VALU_DEP_2)
	v_cndmask_b32_e32 v10, 0x7c, v7, vcc_lo
; %bb.2782:
	s_or_b32 exec_lo, exec_lo, s6
.LBB242_2783:
	s_mov_b32 s6, 0
.LBB242_2784:
	s_delay_alu instid0(SALU_CYCLE_1)
	s_and_not1_b32 vcc_lo, exec_lo, s6
	s_cbranch_vccnz .LBB242_2800
; %bb.2785:
	global_load_u8 v7, v[8:9], off
	s_mov_b32 s6, 0
	s_mov_b32 s7, exec_lo
	s_wait_loadcnt 0x0
	v_cmpx_lt_i16_e32 0x7f, v7
	s_xor_b32 s7, exec_lo, s7
	s_cbranch_execz .LBB242_2822
; %bb.2786:
	s_mov_b32 s6, -1
	s_mov_b32 s10, exec_lo
	v_cmpx_eq_u16_e32 0x80, v7
; %bb.2787:
	s_xor_b32 s6, exec_lo, -1
; %bb.2788:
	s_or_b32 exec_lo, exec_lo, s10
	s_delay_alu instid0(SALU_CYCLE_1)
	s_and_b32 s6, s6, exec_lo
	s_or_saveexec_b32 s7, s7
	v_mov_b32_e32 v5, 0x7f800001
	s_xor_b32 exec_lo, exec_lo, s7
	s_cbranch_execnz .LBB242_2823
.LBB242_2789:
	s_or_b32 exec_lo, exec_lo, s7
	s_and_saveexec_b32 s7, s6
	s_cbranch_execz .LBB242_2791
.LBB242_2790:
	v_and_b32_e32 v5, 0xffff, v7
	s_delay_alu instid0(VALU_DEP_1) | instskip(SKIP_1) | instid1(VALU_DEP_2)
	v_and_b32_e32 v10, 7, v5
	v_bfe_u32 v14, v5, 3, 4
	v_clz_i32_u32_e32 v11, v10
	s_delay_alu instid0(VALU_DEP_2) | instskip(NEXT) | instid1(VALU_DEP_2)
	v_cmp_eq_u32_e32 vcc_lo, 0, v14
	v_min_u32_e32 v11, 32, v11
	s_delay_alu instid0(VALU_DEP_1) | instskip(NEXT) | instid1(VALU_DEP_1)
	v_subrev_nc_u32_e32 v13, 28, v11
	v_dual_lshlrev_b32 v5, v13, v5 :: v_dual_sub_nc_u32 v11, 29, v11
	s_delay_alu instid0(VALU_DEP_1) | instskip(NEXT) | instid1(VALU_DEP_1)
	v_dual_lshlrev_b32 v7, 24, v7 :: v_dual_bitop2_b32 v5, 7, v5 bitop3:0x40
	v_cndmask_b32_e32 v5, v10, v5, vcc_lo
	s_delay_alu instid0(VALU_DEP_3) | instskip(NEXT) | instid1(VALU_DEP_3)
	v_cndmask_b32_e32 v11, v14, v11, vcc_lo
	v_and_b32_e32 v7, 0x80000000, v7
	s_delay_alu instid0(VALU_DEP_3) | instskip(NEXT) | instid1(VALU_DEP_3)
	v_lshlrev_b32_e32 v5, 20, v5
	v_lshl_add_u32 v10, v11, 23, 0x3b800000
	s_delay_alu instid0(VALU_DEP_1)
	v_or3_b32 v5, v7, v10, v5
.LBB242_2791:
	s_or_b32 exec_lo, exec_lo, s7
	s_delay_alu instid0(VALU_DEP_1) | instskip(SKIP_1) | instid1(VALU_DEP_1)
	v_and_b32_e32 v10, 0x7fffffff, v5
	s_mov_b32 s6, exec_lo
                                        ; implicit-def: $vgpr7
	v_cmpx_gt_u32_e32 0x47800000, v10
	s_xor_b32 s6, exec_lo, s6
	s_cbranch_execz .LBB242_2797
; %bb.2792:
	s_mov_b32 s7, exec_lo
                                        ; implicit-def: $vgpr7
	v_cmpx_lt_u32_e32 0x387fffff, v10
	s_xor_b32 s7, exec_lo, s7
; %bb.2793:
	v_bfe_u32 v7, v5, 21, 1
	s_delay_alu instid0(VALU_DEP_1) | instskip(NEXT) | instid1(VALU_DEP_1)
	v_add3_u32 v7, v5, v7, 0x80fffff
	v_lshrrev_b32_e32 v7, 21, v7
; %bb.2794:
	s_and_not1_saveexec_b32 s7, s7
; %bb.2795:
	v_add_f32_e64 v7, 0x43000000, |v5|
; %bb.2796:
	s_or_b32 exec_lo, exec_lo, s7
                                        ; implicit-def: $vgpr10
.LBB242_2797:
	s_and_not1_saveexec_b32 s6, s6
; %bb.2798:
	v_mov_b32_e32 v7, 0x7f
	v_cmp_lt_u32_e32 vcc_lo, 0x7f800000, v10
	s_delay_alu instid0(VALU_DEP_2)
	v_cndmask_b32_e32 v7, 0x7c, v7, vcc_lo
; %bb.2799:
	s_or_b32 exec_lo, exec_lo, s6
	v_lshrrev_b32_e32 v5, 24, v5
	s_delay_alu instid0(VALU_DEP_1)
	v_and_or_b32 v10, 0x80, v5, v7
.LBB242_2800:
	s_mov_b32 s6, -1
.LBB242_2801:
	s_mov_b32 s7, 0
.LBB242_2802:
	s_delay_alu instid0(SALU_CYCLE_1)
	s_and_b32 vcc_lo, exec_lo, s7
	s_cbranch_vccz .LBB242_2858
; %bb.2803:
	s_cmp_gt_i32 s0, 22
	s_cbranch_scc0 .LBB242_2821
; %bb.2804:
	s_cmp_lt_i32 s0, 24
	s_cbranch_scc1 .LBB242_2824
; %bb.2805:
	s_cmp_gt_i32 s0, 24
	s_cbranch_scc0 .LBB242_2825
; %bb.2806:
	global_load_u8 v7, v[8:9], off
	s_mov_b32 s6, exec_lo
	s_wait_loadcnt 0x0
	v_cmpx_lt_i16_e32 0x7f, v7
	s_xor_b32 s6, exec_lo, s6
	s_cbranch_execz .LBB242_2836
; %bb.2807:
	s_mov_b32 s2, -1
	s_mov_b32 s7, exec_lo
	v_cmpx_eq_u16_e32 0x80, v7
; %bb.2808:
	s_xor_b32 s2, exec_lo, -1
; %bb.2809:
	s_or_b32 exec_lo, exec_lo, s7
	s_delay_alu instid0(SALU_CYCLE_1)
	s_and_b32 s2, s2, exec_lo
	s_or_saveexec_b32 s6, s6
	v_mov_b32_e32 v5, 0x7f800001
	s_xor_b32 exec_lo, exec_lo, s6
	s_cbranch_execnz .LBB242_2837
.LBB242_2810:
	s_or_b32 exec_lo, exec_lo, s6
	s_and_saveexec_b32 s6, s2
	s_cbranch_execz .LBB242_2812
.LBB242_2811:
	v_and_b32_e32 v5, 0xffff, v7
	s_delay_alu instid0(VALU_DEP_1) | instskip(SKIP_1) | instid1(VALU_DEP_2)
	v_and_b32_e32 v10, 3, v5
	v_bfe_u32 v14, v5, 2, 5
	v_clz_i32_u32_e32 v11, v10
	s_delay_alu instid0(VALU_DEP_2) | instskip(NEXT) | instid1(VALU_DEP_2)
	v_cmp_eq_u32_e32 vcc_lo, 0, v14
	v_min_u32_e32 v11, 32, v11
	s_delay_alu instid0(VALU_DEP_1) | instskip(NEXT) | instid1(VALU_DEP_1)
	v_subrev_nc_u32_e32 v13, 29, v11
	v_dual_lshlrev_b32 v5, v13, v5 :: v_dual_sub_nc_u32 v11, 30, v11
	s_delay_alu instid0(VALU_DEP_1) | instskip(NEXT) | instid1(VALU_DEP_1)
	v_dual_lshlrev_b32 v7, 24, v7 :: v_dual_bitop2_b32 v5, 3, v5 bitop3:0x40
	v_cndmask_b32_e32 v5, v10, v5, vcc_lo
	s_delay_alu instid0(VALU_DEP_3) | instskip(NEXT) | instid1(VALU_DEP_3)
	v_cndmask_b32_e32 v11, v14, v11, vcc_lo
	v_and_b32_e32 v7, 0x80000000, v7
	s_delay_alu instid0(VALU_DEP_3) | instskip(NEXT) | instid1(VALU_DEP_3)
	v_lshlrev_b32_e32 v5, 21, v5
	v_lshl_add_u32 v10, v11, 23, 0x37800000
	s_delay_alu instid0(VALU_DEP_1)
	v_or3_b32 v5, v7, v10, v5
.LBB242_2812:
	s_or_b32 exec_lo, exec_lo, s6
	s_delay_alu instid0(VALU_DEP_1) | instskip(SKIP_1) | instid1(VALU_DEP_1)
	v_and_b32_e32 v10, 0x7fffffff, v5
	s_mov_b32 s2, exec_lo
                                        ; implicit-def: $vgpr7
	v_cmpx_gt_u32_e32 0x47800000, v10
	s_xor_b32 s2, exec_lo, s2
	s_cbranch_execz .LBB242_2818
; %bb.2813:
	s_mov_b32 s6, exec_lo
                                        ; implicit-def: $vgpr7
	v_cmpx_lt_u32_e32 0x387fffff, v10
	s_xor_b32 s6, exec_lo, s6
; %bb.2814:
	v_bfe_u32 v7, v5, 21, 1
	s_delay_alu instid0(VALU_DEP_1) | instskip(NEXT) | instid1(VALU_DEP_1)
	v_add3_u32 v7, v5, v7, 0x80fffff
	v_lshrrev_b32_e32 v7, 21, v7
; %bb.2815:
	s_and_not1_saveexec_b32 s6, s6
; %bb.2816:
	v_add_f32_e64 v7, 0x43000000, |v5|
; %bb.2817:
	s_or_b32 exec_lo, exec_lo, s6
                                        ; implicit-def: $vgpr10
.LBB242_2818:
	s_and_not1_saveexec_b32 s2, s2
; %bb.2819:
	v_mov_b32_e32 v7, 0x7f
	v_cmp_lt_u32_e32 vcc_lo, 0x7f800000, v10
	s_delay_alu instid0(VALU_DEP_2)
	v_cndmask_b32_e32 v7, 0x7c, v7, vcc_lo
; %bb.2820:
	s_or_b32 exec_lo, exec_lo, s2
	v_lshrrev_b32_e32 v5, 24, v5
	s_mov_b32 s2, 0
	s_delay_alu instid0(VALU_DEP_1)
	v_and_or_b32 v10, 0x80, v5, v7
	s_branch .LBB242_2826
.LBB242_2821:
	s_mov_b32 s2, -1
                                        ; implicit-def: $vgpr10
	s_branch .LBB242_2842
.LBB242_2822:
	s_or_saveexec_b32 s7, s7
	v_mov_b32_e32 v5, 0x7f800001
	s_xor_b32 exec_lo, exec_lo, s7
	s_cbranch_execz .LBB242_2789
.LBB242_2823:
	v_cmp_ne_u16_e32 vcc_lo, 0, v7
	v_mov_b32_e32 v5, 0
	s_and_not1_b32 s6, s6, exec_lo
	s_and_b32 s10, vcc_lo, exec_lo
	s_delay_alu instid0(SALU_CYCLE_1)
	s_or_b32 s6, s6, s10
	s_or_b32 exec_lo, exec_lo, s7
	s_and_saveexec_b32 s7, s6
	s_cbranch_execnz .LBB242_2790
	s_branch .LBB242_2791
.LBB242_2824:
	s_mov_b32 s2, -1
                                        ; implicit-def: $vgpr10
	s_branch .LBB242_2839
.LBB242_2825:
	s_mov_b32 s2, -1
                                        ; implicit-def: $vgpr10
.LBB242_2826:
	s_delay_alu instid0(SALU_CYCLE_1)
	s_and_b32 vcc_lo, exec_lo, s2
	s_cbranch_vccz .LBB242_2838
; %bb.2827:
	global_load_u8 v5, v[8:9], off
	s_mov_b32 s2, exec_lo
	s_wait_loadcnt 0x0
	v_lshlrev_b32_e32 v5, 24, v5
	s_delay_alu instid0(VALU_DEP_1) | instskip(SKIP_1) | instid1(VALU_DEP_1)
	v_and_b32_e32 v7, 0x7f000000, v5
	s_wait_xcnt 0x1
	v_clz_i32_u32_e32 v10, v7
	v_add_nc_u32_e32 v13, 0x1000000, v7
	v_cmp_ne_u32_e32 vcc_lo, 0, v7
	s_delay_alu instid0(VALU_DEP_3) | instskip(NEXT) | instid1(VALU_DEP_1)
	v_min_u32_e32 v10, 32, v10
	v_sub_nc_u32_e64 v10, v10, 4 clamp
	s_delay_alu instid0(VALU_DEP_1) | instskip(NEXT) | instid1(VALU_DEP_1)
	v_lshlrev_b32_e32 v11, v10, v7
                                        ; implicit-def: $vgpr7
	v_dual_lshlrev_b32 v10, 23, v10 :: v_dual_lshrrev_b32 v11, 4, v11
	s_delay_alu instid0(VALU_DEP_1) | instskip(NEXT) | instid1(VALU_DEP_1)
	v_dual_sub_nc_u32 v10, v11, v10 :: v_dual_ashrrev_i32 v11, 8, v13
	v_add_nc_u32_e32 v10, 0x3c000000, v10
	s_delay_alu instid0(VALU_DEP_1) | instskip(NEXT) | instid1(VALU_DEP_1)
	v_and_or_b32 v10, 0x7f800000, v11, v10
	v_cndmask_b32_e32 v11, 0, v10, vcc_lo
	s_delay_alu instid0(VALU_DEP_1) | instskip(NEXT) | instid1(VALU_DEP_1)
	v_and_or_b32 v5, 0x80000000, v5, v11
	v_and_b32_e32 v10, 0x7fffffff, v5
	s_wait_xcnt 0x0
	s_delay_alu instid0(VALU_DEP_1)
	v_cmpx_gt_u32_e32 0x47800000, v10
	s_xor_b32 s2, exec_lo, s2
	s_cbranch_execz .LBB242_2833
; %bb.2828:
	s_mov_b32 s6, exec_lo
                                        ; implicit-def: $vgpr7
	v_cmpx_lt_u32_e32 0x387fffff, v10
	s_xor_b32 s6, exec_lo, s6
; %bb.2829:
	v_bfe_u32 v7, v11, 21, 1
	s_delay_alu instid0(VALU_DEP_1) | instskip(NEXT) | instid1(VALU_DEP_1)
	v_add3_u32 v7, v5, v7, 0x80fffff
	v_lshrrev_b32_e32 v7, 21, v7
; %bb.2830:
	s_and_not1_saveexec_b32 s6, s6
; %bb.2831:
	v_add_f32_e64 v7, 0x43000000, |v5|
; %bb.2832:
	s_or_b32 exec_lo, exec_lo, s6
                                        ; implicit-def: $vgpr10
.LBB242_2833:
	s_and_not1_saveexec_b32 s2, s2
; %bb.2834:
	v_mov_b32_e32 v7, 0x7f
	v_cmp_lt_u32_e32 vcc_lo, 0x7f800000, v10
	s_delay_alu instid0(VALU_DEP_2)
	v_cndmask_b32_e32 v7, 0x7c, v7, vcc_lo
; %bb.2835:
	s_or_b32 exec_lo, exec_lo, s2
	v_lshrrev_b32_e32 v5, 24, v5
	s_mov_b32 s2, 0
	s_delay_alu instid0(VALU_DEP_1)
	v_and_or_b32 v10, 0x80, v5, v7
	s_branch .LBB242_2839
.LBB242_2836:
	s_or_saveexec_b32 s6, s6
	v_mov_b32_e32 v5, 0x7f800001
	s_xor_b32 exec_lo, exec_lo, s6
	s_cbranch_execz .LBB242_2810
.LBB242_2837:
	v_cmp_ne_u16_e32 vcc_lo, 0, v7
	v_mov_b32_e32 v5, 0
	s_and_not1_b32 s2, s2, exec_lo
	s_and_b32 s7, vcc_lo, exec_lo
	s_delay_alu instid0(SALU_CYCLE_1)
	s_or_b32 s2, s2, s7
	s_or_b32 exec_lo, exec_lo, s6
	s_and_saveexec_b32 s6, s2
	s_cbranch_execnz .LBB242_2811
	s_branch .LBB242_2812
.LBB242_2838:
	s_mov_b32 s2, 0
.LBB242_2839:
	s_delay_alu instid0(SALU_CYCLE_1)
	s_and_not1_b32 vcc_lo, exec_lo, s2
	s_cbranch_vccnz .LBB242_2841
; %bb.2840:
	global_load_u8 v10, v[8:9], off
.LBB242_2841:
	s_mov_b32 s2, 0
	s_mov_b32 s6, -1
.LBB242_2842:
	s_and_not1_b32 vcc_lo, exec_lo, s2
	s_mov_b32 s2, 0
	s_cbranch_vccnz .LBB242_2858
; %bb.2843:
	s_cmp_gt_i32 s0, 14
	s_cbranch_scc0 .LBB242_2854
; %bb.2844:
	s_cmp_eq_u32 s0, 15
	s_cbranch_scc0 .LBB242_2855
; %bb.2845:
	global_load_u16 v5, v[8:9], off
	s_mov_b32 s1, exec_lo
                                        ; implicit-def: $vgpr7
	s_wait_loadcnt 0x0
	s_wait_xcnt 0x1
	v_lshlrev_b32_e32 v10, 16, v5
	s_delay_alu instid0(VALU_DEP_1) | instskip(SKIP_1) | instid1(VALU_DEP_1)
	v_and_b32_e32 v11, 0x7fffffff, v10
	s_wait_xcnt 0x0
	v_cmpx_gt_u32_e32 0x47800000, v11
	s_xor_b32 s1, exec_lo, s1
	s_cbranch_execz .LBB242_2851
; %bb.2846:
	s_mov_b32 s2, exec_lo
                                        ; implicit-def: $vgpr7
	v_cmpx_lt_u32_e32 0x387fffff, v11
	s_xor_b32 s2, exec_lo, s2
; %bb.2847:
	v_bfe_u32 v7, v5, 5, 1
	s_delay_alu instid0(VALU_DEP_1) | instskip(NEXT) | instid1(VALU_DEP_1)
	v_add3_u32 v7, v10, v7, 0x80fffff
                                        ; implicit-def: $vgpr10
	v_lshrrev_b32_e32 v7, 21, v7
; %bb.2848:
	s_and_not1_saveexec_b32 s2, s2
; %bb.2849:
	v_add_f32_e64 v7, 0x43000000, |v10|
; %bb.2850:
	s_or_b32 exec_lo, exec_lo, s2
                                        ; implicit-def: $vgpr11
.LBB242_2851:
	s_and_not1_saveexec_b32 s1, s1
; %bb.2852:
	v_mov_b32_e32 v7, 0x7f
	v_cmp_lt_u32_e32 vcc_lo, 0x7f800000, v11
	s_delay_alu instid0(VALU_DEP_2)
	v_cndmask_b32_e32 v7, 0x7c, v7, vcc_lo
; %bb.2853:
	s_or_b32 exec_lo, exec_lo, s1
	v_lshrrev_b32_e32 v5, 8, v5
	s_mov_b32 s1, 0
	s_mov_b32 s6, -1
	s_mov_b32 s2, 0
	s_delay_alu instid0(VALU_DEP_1)
	v_and_or_b32 v10, 0x80, v5, v7
	s_branch .LBB242_2856
.LBB242_2854:
	s_mov_b32 s2, -1
                                        ; implicit-def: $vgpr10
	s_branch .LBB242_2856
.LBB242_2855:
	s_mov_b32 s1, -1
                                        ; implicit-def: $vgpr10
	s_mov_b32 s2, 0
.LBB242_2856:
	s_delay_alu instid0(SALU_CYCLE_1)
	s_and_b32 vcc_lo, exec_lo, s2
	s_mov_b32 s2, 0
	s_cbranch_vccz .LBB242_2858
; %bb.2857:
	s_cmp_lg_u32 s0, 11
	s_mov_b32 s2, -1
	s_cselect_b32 s1, -1, 0
.LBB242_2858:
	s_delay_alu instid0(SALU_CYCLE_1)
	s_and_b32 vcc_lo, exec_lo, s1
	s_cbranch_vccnz .LBB242_3486
; %bb.2859:
	s_and_not1_b32 vcc_lo, exec_lo, s2
	s_cbranch_vccnz .LBB242_2869
.LBB242_2860:
	global_load_u8 v5, v[8:9], off
	s_mov_b32 s1, exec_lo
                                        ; implicit-def: $vgpr10
	s_wait_loadcnt 0x0
	v_cmp_ne_u16_e32 vcc_lo, 0, v5
	v_cndmask_b32_e64 v5, 0, 1.0, vcc_lo
	s_wait_xcnt 0x0
	s_delay_alu instid0(VALU_DEP_1)
	v_cmpx_gt_u32_e32 0x47800000, v5
	s_xor_b32 s1, exec_lo, s1
	s_cbranch_execz .LBB242_2866
; %bb.2861:
	s_mov_b32 s2, exec_lo
                                        ; implicit-def: $vgpr10
	v_cmpx_lt_u32_e32 0x387fffff, v5
	s_xor_b32 s2, exec_lo, s2
; %bb.2862:
	v_bfe_u32 v7, v5, 21, 1
	s_delay_alu instid0(VALU_DEP_1) | instskip(NEXT) | instid1(VALU_DEP_1)
	v_add3_u32 v5, v5, v7, 0x80fffff
	v_lshrrev_b32_e32 v10, 21, v5
                                        ; implicit-def: $vgpr5
; %bb.2863:
	s_and_not1_saveexec_b32 s2, s2
; %bb.2864:
	v_add_f32_e32 v10, 0x43000000, v5
; %bb.2865:
	s_or_b32 exec_lo, exec_lo, s2
                                        ; implicit-def: $vgpr5
.LBB242_2866:
	s_and_not1_saveexec_b32 s1, s1
; %bb.2867:
	v_mov_b32_e32 v7, 0x7f
	v_cmp_lt_u32_e32 vcc_lo, 0x7f800000, v5
	s_delay_alu instid0(VALU_DEP_2)
	v_cndmask_b32_e32 v10, 0x7c, v7, vcc_lo
; %bb.2868:
	s_or_b32 exec_lo, exec_lo, s1
	s_mov_b32 s6, -1
.LBB242_2869:
	s_mov_b32 s1, 0
.LBB242_2870:
	s_delay_alu instid0(SALU_CYCLE_1)
	s_and_b32 vcc_lo, exec_lo, s1
	s_cbranch_vccz .LBB242_3007
; %bb.2871:
	s_cmp_lt_i32 s0, 5
	s_cbranch_scc1 .LBB242_2884
; %bb.2872:
	s_cmp_lt_i32 s0, 8
	s_cbranch_scc1 .LBB242_2885
	;; [unrolled: 3-line block ×3, first 2 shown]
; %bb.2874:
	s_cmp_gt_i32 s0, 9
	s_cbranch_scc0 .LBB242_2887
; %bb.2875:
	s_wait_loadcnt 0x0
	global_load_b64 v[10:11], v[8:9], off
	s_mov_b32 s1, exec_lo
                                        ; implicit-def: $vgpr7
	s_wait_loadcnt 0x0
	v_cvt_f32_f64_e32 v5, v[10:11]
	s_delay_alu instid0(VALU_DEP_1) | instskip(SKIP_1) | instid1(VALU_DEP_1)
	v_and_b32_e32 v10, 0x7fffffff, v5
	s_wait_xcnt 0x0
	v_cmpx_gt_u32_e32 0x47800000, v10
	s_xor_b32 s1, exec_lo, s1
	s_cbranch_execz .LBB242_2881
; %bb.2876:
	s_mov_b32 s2, exec_lo
                                        ; implicit-def: $vgpr7
	v_cmpx_lt_u32_e32 0x387fffff, v10
	s_xor_b32 s2, exec_lo, s2
; %bb.2877:
	v_bfe_u32 v7, v5, 21, 1
	s_delay_alu instid0(VALU_DEP_1) | instskip(NEXT) | instid1(VALU_DEP_1)
	v_add3_u32 v7, v5, v7, 0x80fffff
	v_lshrrev_b32_e32 v7, 21, v7
; %bb.2878:
	s_and_not1_saveexec_b32 s2, s2
; %bb.2879:
	v_add_f32_e64 v7, 0x43000000, |v5|
; %bb.2880:
	s_or_b32 exec_lo, exec_lo, s2
                                        ; implicit-def: $vgpr10
.LBB242_2881:
	s_and_not1_saveexec_b32 s1, s1
; %bb.2882:
	v_mov_b32_e32 v7, 0x7f
	v_cmp_lt_u32_e32 vcc_lo, 0x7f800000, v10
	s_delay_alu instid0(VALU_DEP_2)
	v_cndmask_b32_e32 v7, 0x7c, v7, vcc_lo
; %bb.2883:
	s_or_b32 exec_lo, exec_lo, s1
	v_lshrrev_b32_e32 v5, 24, v5
	s_mov_b32 s1, 0
	s_delay_alu instid0(VALU_DEP_1)
	v_and_or_b32 v10, 0x80, v5, v7
	s_branch .LBB242_2888
.LBB242_2884:
	s_mov_b32 s1, -1
                                        ; implicit-def: $vgpr10
	s_branch .LBB242_2946
.LBB242_2885:
	s_mov_b32 s1, -1
                                        ; implicit-def: $vgpr10
	s_branch .LBB242_2910
.LBB242_2886:
	s_mov_b32 s1, -1
                                        ; implicit-def: $vgpr10
	s_branch .LBB242_2899
.LBB242_2887:
	s_mov_b32 s1, -1
                                        ; implicit-def: $vgpr10
.LBB242_2888:
	s_delay_alu instid0(SALU_CYCLE_1)
	s_and_b32 vcc_lo, exec_lo, s1
	s_cbranch_vccz .LBB242_2898
; %bb.2889:
	global_load_b32 v5, v[8:9], off
	s_mov_b32 s1, exec_lo
                                        ; implicit-def: $vgpr7
	s_wait_loadcnt 0x0
	s_wait_xcnt 0x1
	v_and_b32_e32 v10, 0x7fffffff, v5
	s_wait_xcnt 0x0
	s_delay_alu instid0(VALU_DEP_1)
	v_cmpx_gt_u32_e32 0x47800000, v10
	s_xor_b32 s1, exec_lo, s1
	s_cbranch_execz .LBB242_2895
; %bb.2890:
	s_mov_b32 s2, exec_lo
                                        ; implicit-def: $vgpr7
	v_cmpx_lt_u32_e32 0x387fffff, v10
	s_xor_b32 s2, exec_lo, s2
; %bb.2891:
	v_bfe_u32 v7, v5, 21, 1
	s_delay_alu instid0(VALU_DEP_1) | instskip(NEXT) | instid1(VALU_DEP_1)
	v_add3_u32 v7, v5, v7, 0x80fffff
	v_lshrrev_b32_e32 v7, 21, v7
; %bb.2892:
	s_and_not1_saveexec_b32 s2, s2
; %bb.2893:
	v_add_f32_e64 v7, 0x43000000, |v5|
; %bb.2894:
	s_or_b32 exec_lo, exec_lo, s2
                                        ; implicit-def: $vgpr10
.LBB242_2895:
	s_and_not1_saveexec_b32 s1, s1
; %bb.2896:
	v_mov_b32_e32 v7, 0x7f
	v_cmp_lt_u32_e32 vcc_lo, 0x7f800000, v10
	s_delay_alu instid0(VALU_DEP_2)
	v_cndmask_b32_e32 v7, 0x7c, v7, vcc_lo
; %bb.2897:
	s_or_b32 exec_lo, exec_lo, s1
	v_lshrrev_b32_e32 v5, 24, v5
	s_mov_b32 s1, 0
	s_delay_alu instid0(VALU_DEP_1)
	v_and_or_b32 v10, 0x80, v5, v7
	s_branch .LBB242_2899
.LBB242_2898:
	s_mov_b32 s1, 0
.LBB242_2899:
	s_delay_alu instid0(SALU_CYCLE_1)
	s_and_not1_b32 vcc_lo, exec_lo, s1
	s_cbranch_vccnz .LBB242_2909
; %bb.2900:
	global_load_b32 v5, v[8:9], off
	s_mov_b32 s1, exec_lo
                                        ; implicit-def: $vgpr7
	s_wait_loadcnt 0x0
	v_cvt_f32_f16_e32 v5, v5
	s_wait_xcnt 0x1
	s_delay_alu instid0(VALU_DEP_1) | instskip(SKIP_1) | instid1(VALU_DEP_1)
	v_and_b32_e32 v10, 0x7fffffff, v5
	s_wait_xcnt 0x0
	v_cmpx_gt_u32_e32 0x47800000, v10
	s_xor_b32 s1, exec_lo, s1
	s_cbranch_execz .LBB242_2906
; %bb.2901:
	s_mov_b32 s2, exec_lo
                                        ; implicit-def: $vgpr7
	v_cmpx_lt_u32_e32 0x387fffff, v10
	s_xor_b32 s2, exec_lo, s2
; %bb.2902:
	v_bfe_u32 v7, v5, 21, 1
	s_delay_alu instid0(VALU_DEP_1) | instskip(NEXT) | instid1(VALU_DEP_1)
	v_add3_u32 v7, v5, v7, 0x80fffff
	v_lshrrev_b32_e32 v7, 21, v7
; %bb.2903:
	s_and_not1_saveexec_b32 s2, s2
; %bb.2904:
	v_add_f32_e64 v7, 0x43000000, |v5|
; %bb.2905:
	s_or_b32 exec_lo, exec_lo, s2
                                        ; implicit-def: $vgpr10
.LBB242_2906:
	s_and_not1_saveexec_b32 s1, s1
; %bb.2907:
	v_mov_b32_e32 v7, 0x7f
	v_cmp_lt_u32_e32 vcc_lo, 0x7f800000, v10
	s_delay_alu instid0(VALU_DEP_2)
	v_cndmask_b32_e32 v7, 0x7c, v7, vcc_lo
; %bb.2908:
	s_or_b32 exec_lo, exec_lo, s1
	v_lshrrev_b32_e32 v5, 24, v5
	s_delay_alu instid0(VALU_DEP_1)
	v_and_or_b32 v10, 0x80, v5, v7
.LBB242_2909:
	s_mov_b32 s1, 0
.LBB242_2910:
	s_delay_alu instid0(SALU_CYCLE_1)
	s_and_not1_b32 vcc_lo, exec_lo, s1
	s_cbranch_vccnz .LBB242_2945
; %bb.2911:
	s_cmp_lt_i32 s0, 6
	s_cbranch_scc1 .LBB242_2922
; %bb.2912:
	s_cmp_gt_i32 s0, 6
	s_cbranch_scc0 .LBB242_2923
; %bb.2913:
	s_wait_loadcnt 0x0
	global_load_b64 v[10:11], v[8:9], off
	s_mov_b32 s1, exec_lo
                                        ; implicit-def: $vgpr7
	s_wait_loadcnt 0x0
	v_cvt_f32_f64_e32 v5, v[10:11]
	s_delay_alu instid0(VALU_DEP_1) | instskip(SKIP_1) | instid1(VALU_DEP_1)
	v_and_b32_e32 v10, 0x7fffffff, v5
	s_wait_xcnt 0x0
	v_cmpx_gt_u32_e32 0x47800000, v10
	s_xor_b32 s1, exec_lo, s1
	s_cbranch_execz .LBB242_2919
; %bb.2914:
	s_mov_b32 s2, exec_lo
                                        ; implicit-def: $vgpr7
	v_cmpx_lt_u32_e32 0x387fffff, v10
	s_xor_b32 s2, exec_lo, s2
; %bb.2915:
	v_bfe_u32 v7, v5, 21, 1
	s_delay_alu instid0(VALU_DEP_1) | instskip(NEXT) | instid1(VALU_DEP_1)
	v_add3_u32 v7, v5, v7, 0x80fffff
	v_lshrrev_b32_e32 v7, 21, v7
; %bb.2916:
	s_and_not1_saveexec_b32 s2, s2
; %bb.2917:
	v_add_f32_e64 v7, 0x43000000, |v5|
; %bb.2918:
	s_or_b32 exec_lo, exec_lo, s2
                                        ; implicit-def: $vgpr10
.LBB242_2919:
	s_and_not1_saveexec_b32 s1, s1
; %bb.2920:
	v_mov_b32_e32 v7, 0x7f
	v_cmp_lt_u32_e32 vcc_lo, 0x7f800000, v10
	s_delay_alu instid0(VALU_DEP_2)
	v_cndmask_b32_e32 v7, 0x7c, v7, vcc_lo
; %bb.2921:
	s_or_b32 exec_lo, exec_lo, s1
	v_lshrrev_b32_e32 v5, 24, v5
	s_mov_b32 s1, 0
	s_delay_alu instid0(VALU_DEP_1)
	v_and_or_b32 v10, 0x80, v5, v7
	s_branch .LBB242_2924
.LBB242_2922:
	s_mov_b32 s1, -1
                                        ; implicit-def: $vgpr10
	s_branch .LBB242_2935
.LBB242_2923:
	s_mov_b32 s1, -1
                                        ; implicit-def: $vgpr10
.LBB242_2924:
	s_delay_alu instid0(SALU_CYCLE_1)
	s_and_b32 vcc_lo, exec_lo, s1
	s_cbranch_vccz .LBB242_2934
; %bb.2925:
	global_load_b32 v5, v[8:9], off
	s_mov_b32 s1, exec_lo
                                        ; implicit-def: $vgpr7
	s_wait_loadcnt 0x0
	s_wait_xcnt 0x1
	v_and_b32_e32 v10, 0x7fffffff, v5
	s_wait_xcnt 0x0
	s_delay_alu instid0(VALU_DEP_1)
	v_cmpx_gt_u32_e32 0x47800000, v10
	s_xor_b32 s1, exec_lo, s1
	s_cbranch_execz .LBB242_2931
; %bb.2926:
	s_mov_b32 s2, exec_lo
                                        ; implicit-def: $vgpr7
	v_cmpx_lt_u32_e32 0x387fffff, v10
	s_xor_b32 s2, exec_lo, s2
; %bb.2927:
	v_bfe_u32 v7, v5, 21, 1
	s_delay_alu instid0(VALU_DEP_1) | instskip(NEXT) | instid1(VALU_DEP_1)
	v_add3_u32 v7, v5, v7, 0x80fffff
	v_lshrrev_b32_e32 v7, 21, v7
; %bb.2928:
	s_and_not1_saveexec_b32 s2, s2
; %bb.2929:
	v_add_f32_e64 v7, 0x43000000, |v5|
; %bb.2930:
	s_or_b32 exec_lo, exec_lo, s2
                                        ; implicit-def: $vgpr10
.LBB242_2931:
	s_and_not1_saveexec_b32 s1, s1
; %bb.2932:
	v_mov_b32_e32 v7, 0x7f
	v_cmp_lt_u32_e32 vcc_lo, 0x7f800000, v10
	s_delay_alu instid0(VALU_DEP_2)
	v_cndmask_b32_e32 v7, 0x7c, v7, vcc_lo
; %bb.2933:
	s_or_b32 exec_lo, exec_lo, s1
	v_lshrrev_b32_e32 v5, 24, v5
	s_mov_b32 s1, 0
	s_delay_alu instid0(VALU_DEP_1)
	v_and_or_b32 v10, 0x80, v5, v7
	s_branch .LBB242_2935
.LBB242_2934:
	s_mov_b32 s1, 0
.LBB242_2935:
	s_delay_alu instid0(SALU_CYCLE_1)
	s_and_not1_b32 vcc_lo, exec_lo, s1
	s_cbranch_vccnz .LBB242_2945
; %bb.2936:
	global_load_u16 v5, v[8:9], off
	s_mov_b32 s1, exec_lo
                                        ; implicit-def: $vgpr7
	s_wait_loadcnt 0x0
	v_cvt_f32_f16_e32 v5, v5
	s_wait_xcnt 0x1
	s_delay_alu instid0(VALU_DEP_1) | instskip(SKIP_1) | instid1(VALU_DEP_1)
	v_and_b32_e32 v10, 0x7fffffff, v5
	s_wait_xcnt 0x0
	v_cmpx_gt_u32_e32 0x47800000, v10
	s_xor_b32 s1, exec_lo, s1
	s_cbranch_execz .LBB242_2942
; %bb.2937:
	s_mov_b32 s2, exec_lo
                                        ; implicit-def: $vgpr7
	v_cmpx_lt_u32_e32 0x387fffff, v10
	s_xor_b32 s2, exec_lo, s2
; %bb.2938:
	v_bfe_u32 v7, v5, 21, 1
	s_delay_alu instid0(VALU_DEP_1) | instskip(NEXT) | instid1(VALU_DEP_1)
	v_add3_u32 v7, v5, v7, 0x80fffff
	v_lshrrev_b32_e32 v7, 21, v7
; %bb.2939:
	s_and_not1_saveexec_b32 s2, s2
; %bb.2940:
	v_add_f32_e64 v7, 0x43000000, |v5|
; %bb.2941:
	s_or_b32 exec_lo, exec_lo, s2
                                        ; implicit-def: $vgpr10
.LBB242_2942:
	s_and_not1_saveexec_b32 s1, s1
; %bb.2943:
	v_mov_b32_e32 v7, 0x7f
	v_cmp_lt_u32_e32 vcc_lo, 0x7f800000, v10
	s_delay_alu instid0(VALU_DEP_2)
	v_cndmask_b32_e32 v7, 0x7c, v7, vcc_lo
; %bb.2944:
	s_or_b32 exec_lo, exec_lo, s1
	v_lshrrev_b32_e32 v5, 24, v5
	s_delay_alu instid0(VALU_DEP_1)
	v_and_or_b32 v10, 0x80, v5, v7
.LBB242_2945:
	s_mov_b32 s1, 0
.LBB242_2946:
	s_delay_alu instid0(SALU_CYCLE_1)
	s_and_not1_b32 vcc_lo, exec_lo, s1
	s_cbranch_vccnz .LBB242_3006
; %bb.2947:
	s_cmp_lt_i32 s0, 2
	s_cbranch_scc1 .LBB242_2959
; %bb.2948:
	s_cmp_lt_i32 s0, 3
	s_cbranch_scc1 .LBB242_2960
; %bb.2949:
	s_cmp_gt_i32 s0, 3
	s_cbranch_scc0 .LBB242_2961
; %bb.2950:
	s_wait_loadcnt 0x0
	global_load_b64 v[10:11], v[8:9], off
	s_mov_b32 s1, exec_lo
	s_wait_loadcnt 0x0
	v_xor_b32_e32 v5, v10, v11
	v_cls_i32_e32 v7, v11
	s_delay_alu instid0(VALU_DEP_2) | instskip(NEXT) | instid1(VALU_DEP_1)
	v_ashrrev_i32_e32 v5, 31, v5
	v_add_nc_u32_e32 v5, 32, v5
	s_delay_alu instid0(VALU_DEP_1) | instskip(NEXT) | instid1(VALU_DEP_1)
	v_add_min_u32_e64 v5, v7, -1, v5
	v_lshlrev_b64_e32 v[10:11], v5, v[10:11]
	v_sub_nc_u32_e32 v5, 32, v5
	s_delay_alu instid0(VALU_DEP_2) | instskip(NEXT) | instid1(VALU_DEP_1)
	v_min_u32_e32 v7, 1, v10
	v_or_b32_e32 v7, v11, v7
	s_delay_alu instid0(VALU_DEP_1) | instskip(NEXT) | instid1(VALU_DEP_1)
	v_cvt_f32_i32_e32 v7, v7
	v_ldexp_f32 v5, v7, v5
                                        ; implicit-def: $vgpr7
	s_delay_alu instid0(VALU_DEP_1) | instskip(SKIP_1) | instid1(VALU_DEP_1)
	v_and_b32_e32 v10, 0x7fffffff, v5
	s_wait_xcnt 0x0
	v_cmpx_gt_u32_e32 0x47800000, v10
	s_xor_b32 s1, exec_lo, s1
	s_cbranch_execz .LBB242_2956
; %bb.2951:
	s_mov_b32 s2, exec_lo
                                        ; implicit-def: $vgpr7
	v_cmpx_lt_u32_e32 0x387fffff, v10
	s_xor_b32 s2, exec_lo, s2
; %bb.2952:
	v_bfe_u32 v7, v5, 21, 1
	s_delay_alu instid0(VALU_DEP_1) | instskip(NEXT) | instid1(VALU_DEP_1)
	v_add3_u32 v7, v5, v7, 0x80fffff
	v_lshrrev_b32_e32 v7, 21, v7
; %bb.2953:
	s_and_not1_saveexec_b32 s2, s2
; %bb.2954:
	v_add_f32_e64 v7, 0x43000000, |v5|
; %bb.2955:
	s_or_b32 exec_lo, exec_lo, s2
                                        ; implicit-def: $vgpr10
.LBB242_2956:
	s_and_not1_saveexec_b32 s1, s1
; %bb.2957:
	v_mov_b32_e32 v7, 0x7f
	v_cmp_lt_u32_e32 vcc_lo, 0x7f800000, v10
	s_delay_alu instid0(VALU_DEP_2)
	v_cndmask_b32_e32 v7, 0x7c, v7, vcc_lo
; %bb.2958:
	s_or_b32 exec_lo, exec_lo, s1
	v_lshrrev_b32_e32 v5, 24, v5
	s_mov_b32 s1, 0
	s_delay_alu instid0(VALU_DEP_1)
	v_and_or_b32 v10, 0x80, v5, v7
	s_branch .LBB242_2962
.LBB242_2959:
	s_mov_b32 s1, -1
                                        ; implicit-def: $vgpr10
	s_branch .LBB242_2984
.LBB242_2960:
	s_mov_b32 s1, -1
                                        ; implicit-def: $vgpr10
	s_branch .LBB242_2973
.LBB242_2961:
	s_mov_b32 s1, -1
                                        ; implicit-def: $vgpr10
.LBB242_2962:
	s_delay_alu instid0(SALU_CYCLE_1)
	s_and_b32 vcc_lo, exec_lo, s1
	s_cbranch_vccz .LBB242_2972
; %bb.2963:
	global_load_b32 v5, v[8:9], off
	s_mov_b32 s1, exec_lo
                                        ; implicit-def: $vgpr7
	s_wait_loadcnt 0x0
	v_cvt_f32_i32_e32 v5, v5
	s_wait_xcnt 0x1
	s_delay_alu instid0(VALU_DEP_1) | instskip(SKIP_1) | instid1(VALU_DEP_1)
	v_and_b32_e32 v10, 0x7fffffff, v5
	s_wait_xcnt 0x0
	v_cmpx_gt_u32_e32 0x47800000, v10
	s_xor_b32 s1, exec_lo, s1
	s_cbranch_execz .LBB242_2969
; %bb.2964:
	s_mov_b32 s2, exec_lo
                                        ; implicit-def: $vgpr7
	v_cmpx_lt_u32_e32 0x387fffff, v10
	s_xor_b32 s2, exec_lo, s2
; %bb.2965:
	v_bfe_u32 v7, v5, 21, 1
	s_delay_alu instid0(VALU_DEP_1) | instskip(NEXT) | instid1(VALU_DEP_1)
	v_add3_u32 v7, v5, v7, 0x80fffff
	v_lshrrev_b32_e32 v7, 21, v7
; %bb.2966:
	s_and_not1_saveexec_b32 s2, s2
; %bb.2967:
	v_add_f32_e64 v7, 0x43000000, |v5|
; %bb.2968:
	s_or_b32 exec_lo, exec_lo, s2
                                        ; implicit-def: $vgpr10
.LBB242_2969:
	s_and_not1_saveexec_b32 s1, s1
; %bb.2970:
	v_mov_b32_e32 v7, 0x7f
	v_cmp_lt_u32_e32 vcc_lo, 0x7f800000, v10
	s_delay_alu instid0(VALU_DEP_2)
	v_cndmask_b32_e32 v7, 0x7c, v7, vcc_lo
; %bb.2971:
	s_or_b32 exec_lo, exec_lo, s1
	v_lshrrev_b32_e32 v5, 24, v5
	s_mov_b32 s1, 0
	s_delay_alu instid0(VALU_DEP_1)
	v_and_or_b32 v10, 0x80, v5, v7
	s_branch .LBB242_2973
.LBB242_2972:
	s_mov_b32 s1, 0
.LBB242_2973:
	s_delay_alu instid0(SALU_CYCLE_1)
	s_and_not1_b32 vcc_lo, exec_lo, s1
	s_cbranch_vccnz .LBB242_2983
; %bb.2974:
	global_load_i16 v5, v[8:9], off
	s_mov_b32 s1, exec_lo
                                        ; implicit-def: $vgpr7
	s_wait_loadcnt 0x0
	v_cvt_f32_i32_e32 v5, v5
	s_wait_xcnt 0x1
	s_delay_alu instid0(VALU_DEP_1) | instskip(SKIP_1) | instid1(VALU_DEP_1)
	v_and_b32_e32 v10, 0x7fffffff, v5
	s_wait_xcnt 0x0
	v_cmpx_gt_u32_e32 0x47800000, v10
	s_xor_b32 s1, exec_lo, s1
	s_cbranch_execz .LBB242_2980
; %bb.2975:
	s_mov_b32 s2, exec_lo
                                        ; implicit-def: $vgpr7
	v_cmpx_lt_u32_e32 0x387fffff, v10
	s_xor_b32 s2, exec_lo, s2
; %bb.2976:
	v_bfe_u32 v7, v5, 21, 1
	s_delay_alu instid0(VALU_DEP_1) | instskip(NEXT) | instid1(VALU_DEP_1)
	v_add3_u32 v7, v5, v7, 0x80fffff
	v_lshrrev_b32_e32 v7, 21, v7
; %bb.2977:
	s_and_not1_saveexec_b32 s2, s2
; %bb.2978:
	v_add_f32_e64 v7, 0x43000000, |v5|
; %bb.2979:
	s_or_b32 exec_lo, exec_lo, s2
                                        ; implicit-def: $vgpr10
.LBB242_2980:
	s_and_not1_saveexec_b32 s1, s1
; %bb.2981:
	v_mov_b32_e32 v7, 0x7f
	v_cmp_lt_u32_e32 vcc_lo, 0x7f800000, v10
	s_delay_alu instid0(VALU_DEP_2)
	v_cndmask_b32_e32 v7, 0x7c, v7, vcc_lo
; %bb.2982:
	s_or_b32 exec_lo, exec_lo, s1
	v_lshrrev_b32_e32 v5, 24, v5
	s_delay_alu instid0(VALU_DEP_1)
	v_and_or_b32 v10, 0x80, v5, v7
.LBB242_2983:
	s_mov_b32 s1, 0
.LBB242_2984:
	s_delay_alu instid0(SALU_CYCLE_1)
	s_and_not1_b32 vcc_lo, exec_lo, s1
	s_cbranch_vccnz .LBB242_3006
; %bb.2985:
	s_cmp_gt_i32 s0, 0
	s_cbranch_scc0 .LBB242_2995
; %bb.2986:
	global_load_i8 v5, v[8:9], off
	s_mov_b32 s0, exec_lo
                                        ; implicit-def: $vgpr7
	s_wait_loadcnt 0x0
	v_cvt_f32_i32_e32 v5, v5
	s_wait_xcnt 0x1
	s_delay_alu instid0(VALU_DEP_1) | instskip(SKIP_1) | instid1(VALU_DEP_1)
	v_and_b32_e32 v10, 0x7fffffff, v5
	s_wait_xcnt 0x0
	v_cmpx_gt_u32_e32 0x47800000, v10
	s_xor_b32 s0, exec_lo, s0
	s_cbranch_execz .LBB242_2992
; %bb.2987:
	s_mov_b32 s1, exec_lo
                                        ; implicit-def: $vgpr7
	v_cmpx_lt_u32_e32 0x387fffff, v10
	s_xor_b32 s1, exec_lo, s1
; %bb.2988:
	v_bfe_u32 v7, v5, 21, 1
	s_delay_alu instid0(VALU_DEP_1) | instskip(NEXT) | instid1(VALU_DEP_1)
	v_add3_u32 v7, v5, v7, 0x80fffff
	v_lshrrev_b32_e32 v7, 21, v7
; %bb.2989:
	s_and_not1_saveexec_b32 s1, s1
; %bb.2990:
	v_add_f32_e64 v7, 0x43000000, |v5|
; %bb.2991:
	s_or_b32 exec_lo, exec_lo, s1
                                        ; implicit-def: $vgpr10
.LBB242_2992:
	s_and_not1_saveexec_b32 s0, s0
; %bb.2993:
	v_mov_b32_e32 v7, 0x7f
	v_cmp_lt_u32_e32 vcc_lo, 0x7f800000, v10
	s_delay_alu instid0(VALU_DEP_2)
	v_cndmask_b32_e32 v7, 0x7c, v7, vcc_lo
; %bb.2994:
	s_or_b32 exec_lo, exec_lo, s0
	v_lshrrev_b32_e32 v5, 24, v5
	s_mov_b32 s0, 0
	s_delay_alu instid0(VALU_DEP_1)
	v_and_or_b32 v10, 0x80, v5, v7
	s_branch .LBB242_2996
.LBB242_2995:
	s_mov_b32 s0, -1
                                        ; implicit-def: $vgpr10
.LBB242_2996:
	s_delay_alu instid0(SALU_CYCLE_1)
	s_and_b32 vcc_lo, exec_lo, s0
	s_cbranch_vccz .LBB242_3006
; %bb.2997:
	global_load_u8 v5, v[8:9], off
	s_mov_b32 s0, exec_lo
                                        ; implicit-def: $vgpr10
	s_wait_loadcnt 0x0
	v_cvt_f32_ubyte0_e32 v5, v5
	s_wait_xcnt 0x0
	s_delay_alu instid0(VALU_DEP_1)
	v_cmpx_gt_u32_e32 0x47800000, v5
	s_xor_b32 s0, exec_lo, s0
	s_cbranch_execz .LBB242_3003
; %bb.2998:
	s_mov_b32 s1, exec_lo
                                        ; implicit-def: $vgpr10
	v_cmpx_lt_u32_e32 0x387fffff, v5
	s_xor_b32 s1, exec_lo, s1
; %bb.2999:
	v_bfe_u32 v7, v5, 21, 1
	s_delay_alu instid0(VALU_DEP_1) | instskip(NEXT) | instid1(VALU_DEP_1)
	v_add3_u32 v5, v5, v7, 0x80fffff
	v_lshrrev_b32_e32 v10, 21, v5
                                        ; implicit-def: $vgpr5
; %bb.3000:
	s_and_not1_saveexec_b32 s1, s1
; %bb.3001:
	v_add_f32_e32 v10, 0x43000000, v5
; %bb.3002:
	s_or_b32 exec_lo, exec_lo, s1
                                        ; implicit-def: $vgpr5
.LBB242_3003:
	s_and_not1_saveexec_b32 s0, s0
; %bb.3004:
	v_mov_b32_e32 v7, 0x7f
	v_cmp_lt_u32_e32 vcc_lo, 0x7f800000, v5
	s_delay_alu instid0(VALU_DEP_2)
	v_cndmask_b32_e32 v10, 0x7c, v7, vcc_lo
; %bb.3005:
	s_or_b32 exec_lo, exec_lo, s0
.LBB242_3006:
	s_mov_b32 s6, -1
.LBB242_3007:
	s_delay_alu instid0(SALU_CYCLE_1)
	s_and_not1_b32 vcc_lo, exec_lo, s6
	s_cbranch_vccnz .LBB242_3440
; %bb.3008:
	s_load_b96 s[0:2], s[20:21], 0x158
	s_movk_i32 s6, 0x7f00
	s_mov_b32 s11, 0
	s_wait_loadcnt 0x0
	s_wait_kmcnt 0x0
	v_perm_b32 v5, v1, s1, 0x5040100
	s_cmp_eq_u32 s0, 0
	s_cselect_b32 s0, -1, 0
	s_lshl_b32 s1, s1, 25
	s_delay_alu instid0(VALU_DEP_1) | instskip(NEXT) | instid1(VALU_DEP_1)
	v_pk_lshlrev_b16 v5, 8, v5 op_sel_hi:[0,1]
	v_and_b32_e32 v7, 0x7f007f00, v5
	v_lshlrev_b32_e32 v1, 25, v1
	v_bitop3_b32 v11, v5, s6, 0x7f007f00 bitop3:0x80
	s_lshr_b32 s6, s1, 4
	s_cmp_lt_u32 s1, 0x8000000
	s_delay_alu instid0(VALU_DEP_2) | instskip(NEXT) | instid1(VALU_DEP_2)
	v_dual_lshrrev_b32 v7, 16, v7 :: v_dual_lshrrev_b32 v8, 4, v1
	v_or_b32_e32 v14, 0.5, v11
	v_cmp_gt_u32_e32 vcc_lo, 0x8000000, v1
	s_delay_alu instid0(VALU_DEP_3) | instskip(NEXT) | instid1(VALU_DEP_4)
	v_dual_ashrrev_i32 v7, 16, v5 :: v_dual_bitop2_b32 v15, 0.5, v7 bitop3:0x54
	v_or_b32_e32 v9, 0x70000000, v8
	v_or_b32_e64 v8, 0x70000000, s6
	s_mov_b32 s6, 0x7800000
	s_delay_alu instid0(VALU_DEP_3) | instskip(SKIP_3) | instid1(VALU_DEP_3)
	v_pk_add_f32 v[14:15], v[14:15], -0.5 op_sel_hi:[1,0]
	v_bfe_i32 v5, v5, 0, 16
	v_and_b32_e32 v7, 0x80000000, v7
	v_pk_mul_f32 v[8:9], v[8:9], s[6:7] op_sel_hi:[1,0]
	v_and_b32_e32 v5, 0x80000000, v5
	s_delay_alu instid0(VALU_DEP_2)
	v_cndmask_b32_e32 v1, v9, v15, vcc_lo
	s_cselect_b32 vcc_lo, -1, 0
	s_and_b32 s6, s2, 0xff
	v_cndmask_b32_e32 v8, v8, v14, vcc_lo
	s_cmp_lt_i32 s6, 11
	v_or_b32_e32 v7, v7, v1
	s_mov_b32 s2, -1
	s_delay_alu instid0(VALU_DEP_2) | instskip(NEXT) | instid1(VALU_DEP_1)
	v_or_b32_e32 v1, v5, v8
	v_cmp_eq_f32_e32 vcc_lo, v1, v7
	v_cndmask_b32_e64 v5, 0, 1, vcc_lo
	v_cmp_neq_f32_e32 vcc_lo, v1, v7
	v_cndmask_b32_e64 v7, 0, 1, vcc_lo
	s_delay_alu instid0(VALU_DEP_1) | instskip(NEXT) | instid1(VALU_DEP_1)
	v_dual_cndmask_b32 v5, v7, v5, s0 :: v_dual_mov_b32 v7, 0
	v_and_b32_e32 v5, 1, v5
	s_delay_alu instid0(VALU_DEP_2) | instskip(NEXT) | instid1(VALU_DEP_2)
	v_add_nc_u64_e32 v[6:7], s[4:5], v[6:7]
	v_cmp_eq_u32_e64 s1, 1, v5
	s_cbranch_scc1 .LBB242_3087
; %bb.3009:
	s_and_b32 s7, 0xffff, s6
	s_mov_b32 s12, -1
	s_mov_b32 s10, 0
	s_cmp_gt_i32 s7, 25
	s_mov_b32 s2, 0
	s_cbranch_scc0 .LBB242_3042
; %bb.3010:
	s_cmp_gt_i32 s7, 28
	s_cbranch_scc0 .LBB242_3025
; %bb.3011:
	s_cmp_gt_i32 s7, 43
	;; [unrolled: 3-line block ×3, first 2 shown]
	s_cbranch_scc0 .LBB242_3015
; %bb.3013:
	s_mov_b32 s2, -1
	s_mov_b32 s12, 0
	s_cmp_eq_u32 s7, 46
	s_cbranch_scc0 .LBB242_3015
; %bb.3014:
	v_cndmask_b32_e64 v5, 0, 1.0, s1
	s_mov_b32 s2, 0
	s_mov_b32 s11, -1
	s_delay_alu instid0(VALU_DEP_1) | instskip(NEXT) | instid1(VALU_DEP_1)
	v_bfe_u32 v8, v5, 16, 1
	v_add3_u32 v5, v5, v8, 0x7fff
	s_delay_alu instid0(VALU_DEP_1)
	v_lshrrev_b32_e32 v5, 16, v5
	global_store_b32 v[6:7], v5, off
.LBB242_3015:
	s_and_b32 vcc_lo, exec_lo, s12
	s_cbranch_vccz .LBB242_3020
; %bb.3016:
	s_cmp_eq_u32 s7, 44
	s_mov_b32 s2, -1
	s_cbranch_scc0 .LBB242_3020
; %bb.3017:
	v_cndmask_b32_e64 v9, 0, 1.0, s1
	s_mov_b32 s11, exec_lo
	s_wait_xcnt 0x0
	s_delay_alu instid0(VALU_DEP_1) | instskip(NEXT) | instid1(VALU_DEP_1)
	v_dual_mov_b32 v8, 0xff :: v_dual_lshrrev_b32 v5, 23, v9
	v_cmpx_ne_u32_e32 0xff, v5
; %bb.3018:
	v_and_b32_e32 v8, 0x400000, v9
	v_and_or_b32 v9, 0x3fffff, v9, v5
	s_delay_alu instid0(VALU_DEP_2) | instskip(NEXT) | instid1(VALU_DEP_2)
	v_cmp_ne_u32_e32 vcc_lo, 0, v8
	v_cmp_ne_u32_e64 s2, 0, v9
	s_and_b32 s2, vcc_lo, s2
	s_delay_alu instid0(SALU_CYCLE_1) | instskip(NEXT) | instid1(VALU_DEP_1)
	v_cndmask_b32_e64 v8, 0, 1, s2
	v_add_nc_u32_e32 v8, v5, v8
; %bb.3019:
	s_or_b32 exec_lo, exec_lo, s11
	s_mov_b32 s2, 0
	s_mov_b32 s11, -1
	global_store_b8 v[6:7], v8, off
.LBB242_3020:
	s_mov_b32 s12, 0
.LBB242_3021:
	s_delay_alu instid0(SALU_CYCLE_1)
	s_and_b32 vcc_lo, exec_lo, s12
	s_cbranch_vccz .LBB242_3024
; %bb.3022:
	s_cmp_eq_u32 s7, 29
	s_mov_b32 s2, -1
	s_cbranch_scc0 .LBB242_3024
; %bb.3023:
	s_mov_b32 s2, 0
	s_wait_xcnt 0x0
	v_cndmask_b32_e64 v8, 0, 1, s1
	v_mov_b32_e32 v9, s2
	s_mov_b32 s11, -1
	global_store_b64 v[6:7], v[8:9], off
.LBB242_3024:
	s_mov_b32 s12, 0
.LBB242_3025:
	s_delay_alu instid0(SALU_CYCLE_1)
	s_and_b32 vcc_lo, exec_lo, s12
	s_cbranch_vccz .LBB242_3041
; %bb.3026:
	s_cmp_lt_i32 s7, 27
	s_mov_b32 s11, -1
	s_cbranch_scc1 .LBB242_3032
; %bb.3027:
	s_cmp_gt_i32 s7, 27
	s_cbranch_scc0 .LBB242_3029
; %bb.3028:
	s_wait_xcnt 0x0
	v_cndmask_b32_e64 v5, 0, 1, s1
	s_mov_b32 s11, 0
	global_store_b32 v[6:7], v5, off
.LBB242_3029:
	s_and_not1_b32 vcc_lo, exec_lo, s11
	s_cbranch_vccnz .LBB242_3031
; %bb.3030:
	s_wait_xcnt 0x0
	v_cndmask_b32_e64 v5, 0, 1, s1
	global_store_b16 v[6:7], v5, off
.LBB242_3031:
	s_mov_b32 s11, 0
.LBB242_3032:
	s_delay_alu instid0(SALU_CYCLE_1)
	s_and_not1_b32 vcc_lo, exec_lo, s11
	s_cbranch_vccnz .LBB242_3040
; %bb.3033:
	s_wait_xcnt 0x0
	v_cndmask_b32_e64 v8, 0, 1.0, s1
	v_mov_b32_e32 v9, 0x80
	s_mov_b32 s11, exec_lo
	s_delay_alu instid0(VALU_DEP_2)
	v_cmpx_gt_u32_e32 0x43800000, v8
	s_cbranch_execz .LBB242_3039
; %bb.3034:
	s_mov_b32 s12, 0
	s_mov_b32 s13, exec_lo
                                        ; implicit-def: $vgpr5
	v_cmpx_lt_u32_e32 0x3bffffff, v8
	s_xor_b32 s13, exec_lo, s13
	s_cbranch_execz .LBB242_3487
; %bb.3035:
	v_bfe_u32 v5, v8, 20, 1
	s_mov_b32 s12, exec_lo
	s_delay_alu instid0(VALU_DEP_1) | instskip(NEXT) | instid1(VALU_DEP_1)
	v_add3_u32 v5, v8, v5, 0x487ffff
                                        ; implicit-def: $vgpr8
	v_lshrrev_b32_e32 v5, 20, v5
	s_and_not1_saveexec_b32 s13, s13
	s_cbranch_execnz .LBB242_3488
.LBB242_3036:
	s_or_b32 exec_lo, exec_lo, s13
	v_mov_b32_e32 v9, 0
	s_and_saveexec_b32 s13, s12
.LBB242_3037:
	v_mov_b32_e32 v9, v5
.LBB242_3038:
	s_or_b32 exec_lo, exec_lo, s13
.LBB242_3039:
	s_delay_alu instid0(SALU_CYCLE_1)
	s_or_b32 exec_lo, exec_lo, s11
	global_store_b8 v[6:7], v9, off
.LBB242_3040:
	s_mov_b32 s11, -1
.LBB242_3041:
	s_mov_b32 s12, 0
.LBB242_3042:
	s_delay_alu instid0(SALU_CYCLE_1)
	s_and_b32 vcc_lo, exec_lo, s12
	s_cbranch_vccz .LBB242_3082
; %bb.3043:
	s_cmp_gt_i32 s7, 22
	s_mov_b32 s10, -1
	s_cbranch_scc0 .LBB242_3075
; %bb.3044:
	s_cmp_lt_i32 s7, 24
	s_cbranch_scc1 .LBB242_3064
; %bb.3045:
	s_cmp_gt_i32 s7, 24
	s_cbranch_scc0 .LBB242_3053
; %bb.3046:
	s_wait_xcnt 0x0
	v_cndmask_b32_e64 v8, 0, 1.0, s1
	v_mov_b32_e32 v9, 0x80
	s_mov_b32 s10, exec_lo
	s_delay_alu instid0(VALU_DEP_2)
	v_cmpx_gt_u32_e32 0x47800000, v8
	s_cbranch_execz .LBB242_3052
; %bb.3047:
	s_mov_b32 s11, 0
	s_mov_b32 s12, exec_lo
                                        ; implicit-def: $vgpr5
	v_cmpx_lt_u32_e32 0x37ffffff, v8
	s_xor_b32 s12, exec_lo, s12
	s_cbranch_execz .LBB242_3490
; %bb.3048:
	v_bfe_u32 v5, v8, 21, 1
	s_mov_b32 s11, exec_lo
	s_delay_alu instid0(VALU_DEP_1) | instskip(NEXT) | instid1(VALU_DEP_1)
	v_add3_u32 v5, v8, v5, 0x88fffff
                                        ; implicit-def: $vgpr8
	v_lshrrev_b32_e32 v5, 21, v5
	s_and_not1_saveexec_b32 s12, s12
	s_cbranch_execnz .LBB242_3491
.LBB242_3049:
	s_or_b32 exec_lo, exec_lo, s12
	v_mov_b32_e32 v9, 0
	s_and_saveexec_b32 s12, s11
.LBB242_3050:
	v_mov_b32_e32 v9, v5
.LBB242_3051:
	s_or_b32 exec_lo, exec_lo, s12
.LBB242_3052:
	s_delay_alu instid0(SALU_CYCLE_1)
	s_or_b32 exec_lo, exec_lo, s10
	s_mov_b32 s10, 0
	global_store_b8 v[6:7], v9, off
.LBB242_3053:
	s_and_b32 vcc_lo, exec_lo, s10
	s_cbranch_vccz .LBB242_3063
; %bb.3054:
	s_wait_xcnt 0x0
	v_cndmask_b32_e64 v8, 0, 1.0, s1
	s_mov_b32 s10, exec_lo
                                        ; implicit-def: $vgpr5
	s_delay_alu instid0(VALU_DEP_1)
	v_cmpx_gt_u32_e32 0x43f00000, v8
	s_xor_b32 s10, exec_lo, s10
	s_cbranch_execz .LBB242_3060
; %bb.3055:
	s_mov_b32 s11, exec_lo
                                        ; implicit-def: $vgpr5
	v_cmpx_lt_u32_e32 0x3c7fffff, v8
	s_xor_b32 s11, exec_lo, s11
; %bb.3056:
	v_bfe_u32 v5, v8, 20, 1
	s_delay_alu instid0(VALU_DEP_1) | instskip(NEXT) | instid1(VALU_DEP_1)
	v_add3_u32 v5, v8, v5, 0x407ffff
	v_and_b32_e32 v8, 0xff00000, v5
	v_lshrrev_b32_e32 v5, 20, v5
	s_delay_alu instid0(VALU_DEP_2) | instskip(NEXT) | instid1(VALU_DEP_2)
	v_cmp_ne_u32_e32 vcc_lo, 0x7f00000, v8
                                        ; implicit-def: $vgpr8
	v_cndmask_b32_e32 v5, 0x7e, v5, vcc_lo
; %bb.3057:
	s_and_not1_saveexec_b32 s11, s11
; %bb.3058:
	v_add_f32_e32 v5, 0x46800000, v8
; %bb.3059:
	s_or_b32 exec_lo, exec_lo, s11
                                        ; implicit-def: $vgpr8
.LBB242_3060:
	s_and_not1_saveexec_b32 s10, s10
; %bb.3061:
	v_mov_b32_e32 v5, 0x7f
	v_cmp_lt_u32_e32 vcc_lo, 0x7f800000, v8
	s_delay_alu instid0(VALU_DEP_2)
	v_cndmask_b32_e32 v5, 0x7e, v5, vcc_lo
; %bb.3062:
	s_or_b32 exec_lo, exec_lo, s10
	global_store_b8 v[6:7], v5, off
.LBB242_3063:
	s_mov_b32 s10, 0
.LBB242_3064:
	s_delay_alu instid0(SALU_CYCLE_1)
	s_and_not1_b32 vcc_lo, exec_lo, s10
	s_cbranch_vccnz .LBB242_3074
; %bb.3065:
	s_wait_xcnt 0x0
	v_cndmask_b32_e64 v8, 0, 1.0, s1
	s_mov_b32 s10, exec_lo
                                        ; implicit-def: $vgpr5
	s_delay_alu instid0(VALU_DEP_1)
	v_cmpx_gt_u32_e32 0x47800000, v8
	s_xor_b32 s10, exec_lo, s10
	s_cbranch_execz .LBB242_3071
; %bb.3066:
	s_mov_b32 s11, exec_lo
                                        ; implicit-def: $vgpr5
	v_cmpx_lt_u32_e32 0x387fffff, v8
	s_xor_b32 s11, exec_lo, s11
; %bb.3067:
	v_bfe_u32 v5, v8, 21, 1
	s_delay_alu instid0(VALU_DEP_1) | instskip(NEXT) | instid1(VALU_DEP_1)
	v_add3_u32 v5, v8, v5, 0x80fffff
                                        ; implicit-def: $vgpr8
	v_lshrrev_b32_e32 v5, 21, v5
; %bb.3068:
	s_and_not1_saveexec_b32 s11, s11
; %bb.3069:
	v_add_f32_e32 v5, 0x43000000, v8
; %bb.3070:
	s_or_b32 exec_lo, exec_lo, s11
                                        ; implicit-def: $vgpr8
.LBB242_3071:
	s_and_not1_saveexec_b32 s10, s10
; %bb.3072:
	v_mov_b32_e32 v5, 0x7f
	v_cmp_lt_u32_e32 vcc_lo, 0x7f800000, v8
	s_delay_alu instid0(VALU_DEP_2)
	v_cndmask_b32_e32 v5, 0x7c, v5, vcc_lo
; %bb.3073:
	s_or_b32 exec_lo, exec_lo, s10
	global_store_b8 v[6:7], v5, off
.LBB242_3074:
	s_mov_b32 s10, 0
	s_mov_b32 s11, -1
.LBB242_3075:
	s_and_not1_b32 vcc_lo, exec_lo, s10
	s_mov_b32 s10, 0
	s_cbranch_vccnz .LBB242_3082
; %bb.3076:
	s_cmp_gt_i32 s7, 14
	s_mov_b32 s10, -1
	s_cbranch_scc0 .LBB242_3080
; %bb.3077:
	s_cmp_eq_u32 s7, 15
	s_mov_b32 s2, -1
	s_cbranch_scc0 .LBB242_3079
; %bb.3078:
	s_wait_xcnt 0x0
	v_cndmask_b32_e64 v5, 0, 1.0, s1
	s_mov_b32 s2, 0
	s_mov_b32 s11, -1
	s_delay_alu instid0(VALU_DEP_1) | instskip(NEXT) | instid1(VALU_DEP_1)
	v_bfe_u32 v8, v5, 16, 1
	v_add3_u32 v5, v5, v8, 0x7fff
	global_store_d16_hi_b16 v[6:7], v5, off
.LBB242_3079:
	s_mov_b32 s10, 0
.LBB242_3080:
	s_delay_alu instid0(SALU_CYCLE_1)
	s_and_b32 vcc_lo, exec_lo, s10
	s_mov_b32 s10, 0
	s_cbranch_vccz .LBB242_3082
; %bb.3081:
	s_cmp_lg_u32 s7, 11
	s_mov_b32 s10, -1
	s_cselect_b32 s2, -1, 0
.LBB242_3082:
	s_delay_alu instid0(SALU_CYCLE_1)
	s_and_b32 vcc_lo, exec_lo, s2
	s_cbranch_vccnz .LBB242_3489
; %bb.3083:
	s_and_not1_b32 vcc_lo, exec_lo, s10
	s_cbranch_vccnz .LBB242_3085
.LBB242_3084:
	s_wait_xcnt 0x0
	v_cndmask_b32_e64 v5, 0, 1, s1
	s_mov_b32 s11, -1
	global_store_b8 v[6:7], v5, off
.LBB242_3085:
.LBB242_3086:
	s_and_not1_b32 vcc_lo, exec_lo, s11
	s_cbranch_vccnz .LBB242_3440
	s_branch .LBB242_3126
.LBB242_3087:
	s_and_b32 vcc_lo, exec_lo, s2
	s_cbranch_vccz .LBB242_3086
; %bb.3088:
	s_and_b32 s2, 0xffff, s6
	s_mov_b32 s7, -1
	s_cmp_lt_i32 s2, 5
	s_cbranch_scc1 .LBB242_3109
; %bb.3089:
	s_cmp_lt_i32 s2, 8
	s_cbranch_scc1 .LBB242_3099
; %bb.3090:
	;; [unrolled: 3-line block ×3, first 2 shown]
	s_cmp_gt_i32 s2, 9
	s_cbranch_scc0 .LBB242_3093
; %bb.3092:
	s_wait_xcnt 0x0
	v_cndmask_b32_e64 v5, 0, 1, s1
	v_mov_b32_e32 v16, 0
	s_mov_b32 s7, 0
	s_delay_alu instid0(VALU_DEP_2) | instskip(NEXT) | instid1(VALU_DEP_2)
	v_cvt_f64_u32_e32 v[14:15], v5
	v_mov_b32_e32 v17, v16
	global_store_b128 v[6:7], v[14:17], off
.LBB242_3093:
	s_and_not1_b32 vcc_lo, exec_lo, s7
	s_cbranch_vccnz .LBB242_3095
; %bb.3094:
	s_wait_xcnt 0x0
	v_cndmask_b32_e64 v8, 0, 1.0, s1
	v_mov_b32_e32 v9, 0
	global_store_b64 v[6:7], v[8:9], off
.LBB242_3095:
	s_mov_b32 s7, 0
.LBB242_3096:
	s_delay_alu instid0(SALU_CYCLE_1)
	s_and_not1_b32 vcc_lo, exec_lo, s7
	s_cbranch_vccnz .LBB242_3098
; %bb.3097:
	s_wait_xcnt 0x0
	v_cndmask_b32_e64 v5, 0, 1.0, s1
	s_delay_alu instid0(VALU_DEP_1) | instskip(NEXT) | instid1(VALU_DEP_1)
	v_cvt_f16_f32_e32 v5, v5
	v_and_b32_e32 v5, 0xffff, v5
	global_store_b32 v[6:7], v5, off
.LBB242_3098:
	s_mov_b32 s7, 0
.LBB242_3099:
	s_delay_alu instid0(SALU_CYCLE_1)
	s_and_not1_b32 vcc_lo, exec_lo, s7
	s_cbranch_vccnz .LBB242_3108
; %bb.3100:
	s_cmp_lt_i32 s2, 6
	s_mov_b32 s7, -1
	s_cbranch_scc1 .LBB242_3106
; %bb.3101:
	s_cmp_gt_i32 s2, 6
	s_cbranch_scc0 .LBB242_3103
; %bb.3102:
	s_wait_xcnt 0x0
	v_cndmask_b32_e64 v5, 0, 1, s1
	s_mov_b32 s7, 0
	s_delay_alu instid0(VALU_DEP_1)
	v_cvt_f64_u32_e32 v[8:9], v5
	global_store_b64 v[6:7], v[8:9], off
.LBB242_3103:
	s_and_not1_b32 vcc_lo, exec_lo, s7
	s_cbranch_vccnz .LBB242_3105
; %bb.3104:
	s_wait_xcnt 0x0
	v_cndmask_b32_e64 v5, 0, 1.0, s1
	global_store_b32 v[6:7], v5, off
.LBB242_3105:
	s_mov_b32 s7, 0
.LBB242_3106:
	s_delay_alu instid0(SALU_CYCLE_1)
	s_and_not1_b32 vcc_lo, exec_lo, s7
	s_cbranch_vccnz .LBB242_3108
; %bb.3107:
	s_wait_xcnt 0x0
	v_cndmask_b32_e64 v5, 0, 1.0, s1
	s_delay_alu instid0(VALU_DEP_1)
	v_cvt_f16_f32_e32 v5, v5
	global_store_b16 v[6:7], v5, off
.LBB242_3108:
	s_mov_b32 s7, 0
.LBB242_3109:
	s_delay_alu instid0(SALU_CYCLE_1)
	s_and_not1_b32 vcc_lo, exec_lo, s7
	s_cbranch_vccnz .LBB242_3125
; %bb.3110:
	s_cmp_lt_i32 s2, 2
	s_mov_b32 s7, -1
	s_cbranch_scc1 .LBB242_3120
; %bb.3111:
	s_cmp_lt_i32 s2, 3
	s_cbranch_scc1 .LBB242_3117
; %bb.3112:
	s_cmp_gt_i32 s2, 3
	s_cbranch_scc0 .LBB242_3114
; %bb.3113:
	s_mov_b32 s7, 0
	s_wait_xcnt 0x0
	v_cndmask_b32_e64 v8, 0, 1, s1
	v_mov_b32_e32 v9, s7
	global_store_b64 v[6:7], v[8:9], off
.LBB242_3114:
	s_and_not1_b32 vcc_lo, exec_lo, s7
	s_cbranch_vccnz .LBB242_3116
; %bb.3115:
	s_wait_xcnt 0x0
	v_cndmask_b32_e64 v5, 0, 1, s1
	global_store_b32 v[6:7], v5, off
.LBB242_3116:
	s_mov_b32 s7, 0
.LBB242_3117:
	s_delay_alu instid0(SALU_CYCLE_1)
	s_and_not1_b32 vcc_lo, exec_lo, s7
	s_cbranch_vccnz .LBB242_3119
; %bb.3118:
	s_wait_xcnt 0x0
	v_cndmask_b32_e64 v5, 0, 1, s1
	global_store_b16 v[6:7], v5, off
.LBB242_3119:
	s_mov_b32 s7, 0
.LBB242_3120:
	s_delay_alu instid0(SALU_CYCLE_1)
	s_and_not1_b32 vcc_lo, exec_lo, s7
	s_cbranch_vccnz .LBB242_3125
; %bb.3121:
	s_wait_xcnt 0x0
	v_cndmask_b32_e64 v5, 0, 1, s1
	s_cmp_gt_i32 s2, 0
	s_mov_b32 s1, -1
	s_cbranch_scc0 .LBB242_3123
; %bb.3122:
	s_mov_b32 s1, 0
	global_store_b8 v[6:7], v5, off
.LBB242_3123:
	s_and_not1_b32 vcc_lo, exec_lo, s1
	s_cbranch_vccnz .LBB242_3125
; %bb.3124:
	global_store_b8 v[6:7], v5, off
.LBB242_3125:
.LBB242_3126:
	s_wait_xcnt 0x0
	v_lshlrev_b32_e32 v5, 25, v3
	v_lshlrev_b16 v3, 8, v3
	s_and_b32 s7, 0xffff, s6
	s_delay_alu instid0(SALU_CYCLE_1) | instskip(NEXT) | instid1(VALU_DEP_1)
	s_cmp_lt_i32 s7, 11
	v_and_or_b32 v7, 0x7f00, v3, 0.5
	v_lshrrev_b32_e32 v6, 4, v5
	v_bfe_i32 v3, v3, 0, 16
	s_delay_alu instid0(VALU_DEP_3) | instskip(NEXT) | instid1(VALU_DEP_3)
	v_add_f32_e32 v7, -0.5, v7
	v_or_b32_e32 v6, 0x70000000, v6
	s_delay_alu instid0(VALU_DEP_1) | instskip(SKIP_1) | instid1(VALU_DEP_2)
	v_mul_f32_e32 v6, 0x7800000, v6
	v_cmp_gt_u32_e32 vcc_lo, 0x8000000, v5
	v_cndmask_b32_e32 v5, v6, v7, vcc_lo
	s_delay_alu instid0(VALU_DEP_1) | instskip(NEXT) | instid1(VALU_DEP_1)
	v_and_or_b32 v3, 0x80000000, v3, v5
	v_cmp_eq_f32_e32 vcc_lo, v1, v3
	v_cndmask_b32_e64 v5, 0, 1, vcc_lo
	v_cmp_neq_f32_e32 vcc_lo, v1, v3
	v_cndmask_b32_e64 v3, 0, 1, vcc_lo
	s_delay_alu instid0(VALU_DEP_1) | instskip(NEXT) | instid1(VALU_DEP_1)
	v_dual_cndmask_b32 v3, v3, v5, s0 :: v_dual_mov_b32 v5, 0
	v_and_b32_e32 v3, 1, v3
	s_delay_alu instid0(VALU_DEP_2) | instskip(NEXT) | instid1(VALU_DEP_2)
	v_add_nc_u64_e32 v[4:5], s[4:5], v[4:5]
	v_cmp_eq_u32_e64 s1, 1, v3
	s_cbranch_scc1 .LBB242_3204
; %bb.3127:
	s_mov_b32 s12, -1
	s_mov_b32 s10, 0
	s_cmp_gt_i32 s7, 25
	s_mov_b32 s11, 0
	s_mov_b32 s2, 0
	s_cbranch_scc0 .LBB242_3160
; %bb.3128:
	s_cmp_gt_i32 s7, 28
	s_cbranch_scc0 .LBB242_3143
; %bb.3129:
	s_cmp_gt_i32 s7, 43
	;; [unrolled: 3-line block ×3, first 2 shown]
	s_cbranch_scc0 .LBB242_3133
; %bb.3131:
	s_mov_b32 s2, -1
	s_mov_b32 s12, 0
	s_cmp_eq_u32 s7, 46
	s_cbranch_scc0 .LBB242_3133
; %bb.3132:
	v_cndmask_b32_e64 v3, 0, 1.0, s1
	s_mov_b32 s2, 0
	s_mov_b32 s11, -1
	s_delay_alu instid0(VALU_DEP_1) | instskip(NEXT) | instid1(VALU_DEP_1)
	v_bfe_u32 v6, v3, 16, 1
	v_add3_u32 v3, v3, v6, 0x7fff
	s_delay_alu instid0(VALU_DEP_1)
	v_lshrrev_b32_e32 v3, 16, v3
	global_store_b32 v[4:5], v3, off
.LBB242_3133:
	s_and_b32 vcc_lo, exec_lo, s12
	s_cbranch_vccz .LBB242_3138
; %bb.3134:
	s_cmp_eq_u32 s7, 44
	s_mov_b32 s2, -1
	s_cbranch_scc0 .LBB242_3138
; %bb.3135:
	v_cndmask_b32_e64 v7, 0, 1.0, s1
	s_mov_b32 s11, exec_lo
	s_wait_xcnt 0x0
	s_delay_alu instid0(VALU_DEP_1) | instskip(NEXT) | instid1(VALU_DEP_1)
	v_dual_mov_b32 v6, 0xff :: v_dual_lshrrev_b32 v3, 23, v7
	v_cmpx_ne_u32_e32 0xff, v3
; %bb.3136:
	v_and_b32_e32 v6, 0x400000, v7
	v_and_or_b32 v7, 0x3fffff, v7, v3
	s_delay_alu instid0(VALU_DEP_2) | instskip(NEXT) | instid1(VALU_DEP_2)
	v_cmp_ne_u32_e32 vcc_lo, 0, v6
	v_cmp_ne_u32_e64 s2, 0, v7
	s_and_b32 s2, vcc_lo, s2
	s_delay_alu instid0(SALU_CYCLE_1) | instskip(NEXT) | instid1(VALU_DEP_1)
	v_cndmask_b32_e64 v6, 0, 1, s2
	v_add_nc_u32_e32 v6, v3, v6
; %bb.3137:
	s_or_b32 exec_lo, exec_lo, s11
	s_mov_b32 s2, 0
	s_mov_b32 s11, -1
	global_store_b8 v[4:5], v6, off
.LBB242_3138:
	s_mov_b32 s12, 0
.LBB242_3139:
	s_delay_alu instid0(SALU_CYCLE_1)
	s_and_b32 vcc_lo, exec_lo, s12
	s_cbranch_vccz .LBB242_3142
; %bb.3140:
	s_cmp_eq_u32 s7, 29
	s_mov_b32 s2, -1
	s_cbranch_scc0 .LBB242_3142
; %bb.3141:
	s_mov_b32 s2, 0
	s_wait_xcnt 0x0
	v_cndmask_b32_e64 v6, 0, 1, s1
	v_mov_b32_e32 v7, s2
	s_mov_b32 s11, -1
	global_store_b64 v[4:5], v[6:7], off
.LBB242_3142:
	s_mov_b32 s12, 0
.LBB242_3143:
	s_delay_alu instid0(SALU_CYCLE_1)
	s_and_b32 vcc_lo, exec_lo, s12
	s_cbranch_vccz .LBB242_3159
; %bb.3144:
	s_cmp_lt_i32 s7, 27
	s_mov_b32 s11, -1
	s_cbranch_scc1 .LBB242_3150
; %bb.3145:
	s_cmp_gt_i32 s7, 27
	s_cbranch_scc0 .LBB242_3147
; %bb.3146:
	s_wait_xcnt 0x0
	v_cndmask_b32_e64 v3, 0, 1, s1
	s_mov_b32 s11, 0
	global_store_b32 v[4:5], v3, off
.LBB242_3147:
	s_and_not1_b32 vcc_lo, exec_lo, s11
	s_cbranch_vccnz .LBB242_3149
; %bb.3148:
	s_wait_xcnt 0x0
	v_cndmask_b32_e64 v3, 0, 1, s1
	global_store_b16 v[4:5], v3, off
.LBB242_3149:
	s_mov_b32 s11, 0
.LBB242_3150:
	s_delay_alu instid0(SALU_CYCLE_1)
	s_and_not1_b32 vcc_lo, exec_lo, s11
	s_cbranch_vccnz .LBB242_3158
; %bb.3151:
	s_wait_xcnt 0x0
	v_cndmask_b32_e64 v6, 0, 1.0, s1
	v_mov_b32_e32 v7, 0x80
	s_mov_b32 s11, exec_lo
	s_delay_alu instid0(VALU_DEP_2)
	v_cmpx_gt_u32_e32 0x43800000, v6
	s_cbranch_execz .LBB242_3157
; %bb.3152:
	s_mov_b32 s12, 0
	s_mov_b32 s13, exec_lo
                                        ; implicit-def: $vgpr3
	v_cmpx_lt_u32_e32 0x3bffffff, v6
	s_xor_b32 s13, exec_lo, s13
	s_cbranch_execz .LBB242_3492
; %bb.3153:
	v_bfe_u32 v3, v6, 20, 1
	s_mov_b32 s12, exec_lo
	s_delay_alu instid0(VALU_DEP_1) | instskip(NEXT) | instid1(VALU_DEP_1)
	v_add3_u32 v3, v6, v3, 0x487ffff
                                        ; implicit-def: $vgpr6
	v_lshrrev_b32_e32 v3, 20, v3
	s_and_not1_saveexec_b32 s13, s13
	s_cbranch_execnz .LBB242_3493
.LBB242_3154:
	s_or_b32 exec_lo, exec_lo, s13
	v_mov_b32_e32 v7, 0
	s_and_saveexec_b32 s13, s12
.LBB242_3155:
	v_mov_b32_e32 v7, v3
.LBB242_3156:
	s_or_b32 exec_lo, exec_lo, s13
.LBB242_3157:
	s_delay_alu instid0(SALU_CYCLE_1)
	s_or_b32 exec_lo, exec_lo, s11
	global_store_b8 v[4:5], v7, off
.LBB242_3158:
	s_mov_b32 s11, -1
.LBB242_3159:
	s_mov_b32 s12, 0
.LBB242_3160:
	s_delay_alu instid0(SALU_CYCLE_1)
	s_and_b32 vcc_lo, exec_lo, s12
	s_cbranch_vccz .LBB242_3200
; %bb.3161:
	s_cmp_gt_i32 s7, 22
	s_mov_b32 s10, -1
	s_cbranch_scc0 .LBB242_3193
; %bb.3162:
	s_cmp_lt_i32 s7, 24
	s_cbranch_scc1 .LBB242_3182
; %bb.3163:
	s_cmp_gt_i32 s7, 24
	s_cbranch_scc0 .LBB242_3171
; %bb.3164:
	s_wait_xcnt 0x0
	v_cndmask_b32_e64 v6, 0, 1.0, s1
	v_mov_b32_e32 v7, 0x80
	s_mov_b32 s10, exec_lo
	s_delay_alu instid0(VALU_DEP_2)
	v_cmpx_gt_u32_e32 0x47800000, v6
	s_cbranch_execz .LBB242_3170
; %bb.3165:
	s_mov_b32 s11, 0
	s_mov_b32 s12, exec_lo
                                        ; implicit-def: $vgpr3
	v_cmpx_lt_u32_e32 0x37ffffff, v6
	s_xor_b32 s12, exec_lo, s12
	s_cbranch_execz .LBB242_3495
; %bb.3166:
	v_bfe_u32 v3, v6, 21, 1
	s_mov_b32 s11, exec_lo
	s_delay_alu instid0(VALU_DEP_1) | instskip(NEXT) | instid1(VALU_DEP_1)
	v_add3_u32 v3, v6, v3, 0x88fffff
                                        ; implicit-def: $vgpr6
	v_lshrrev_b32_e32 v3, 21, v3
	s_and_not1_saveexec_b32 s12, s12
	s_cbranch_execnz .LBB242_3496
.LBB242_3167:
	s_or_b32 exec_lo, exec_lo, s12
	v_mov_b32_e32 v7, 0
	s_and_saveexec_b32 s12, s11
.LBB242_3168:
	v_mov_b32_e32 v7, v3
.LBB242_3169:
	s_or_b32 exec_lo, exec_lo, s12
.LBB242_3170:
	s_delay_alu instid0(SALU_CYCLE_1)
	s_or_b32 exec_lo, exec_lo, s10
	s_mov_b32 s10, 0
	global_store_b8 v[4:5], v7, off
.LBB242_3171:
	s_and_b32 vcc_lo, exec_lo, s10
	s_cbranch_vccz .LBB242_3181
; %bb.3172:
	s_wait_xcnt 0x0
	v_cndmask_b32_e64 v6, 0, 1.0, s1
	s_mov_b32 s10, exec_lo
                                        ; implicit-def: $vgpr3
	s_delay_alu instid0(VALU_DEP_1)
	v_cmpx_gt_u32_e32 0x43f00000, v6
	s_xor_b32 s10, exec_lo, s10
	s_cbranch_execz .LBB242_3178
; %bb.3173:
	s_mov_b32 s11, exec_lo
                                        ; implicit-def: $vgpr3
	v_cmpx_lt_u32_e32 0x3c7fffff, v6
	s_xor_b32 s11, exec_lo, s11
; %bb.3174:
	v_bfe_u32 v3, v6, 20, 1
	s_delay_alu instid0(VALU_DEP_1) | instskip(NEXT) | instid1(VALU_DEP_1)
	v_add3_u32 v3, v6, v3, 0x407ffff
	v_and_b32_e32 v6, 0xff00000, v3
	v_lshrrev_b32_e32 v3, 20, v3
	s_delay_alu instid0(VALU_DEP_2) | instskip(NEXT) | instid1(VALU_DEP_2)
	v_cmp_ne_u32_e32 vcc_lo, 0x7f00000, v6
                                        ; implicit-def: $vgpr6
	v_cndmask_b32_e32 v3, 0x7e, v3, vcc_lo
; %bb.3175:
	s_and_not1_saveexec_b32 s11, s11
; %bb.3176:
	v_add_f32_e32 v3, 0x46800000, v6
; %bb.3177:
	s_or_b32 exec_lo, exec_lo, s11
                                        ; implicit-def: $vgpr6
.LBB242_3178:
	s_and_not1_saveexec_b32 s10, s10
; %bb.3179:
	v_mov_b32_e32 v3, 0x7f
	v_cmp_lt_u32_e32 vcc_lo, 0x7f800000, v6
	s_delay_alu instid0(VALU_DEP_2)
	v_cndmask_b32_e32 v3, 0x7e, v3, vcc_lo
; %bb.3180:
	s_or_b32 exec_lo, exec_lo, s10
	global_store_b8 v[4:5], v3, off
.LBB242_3181:
	s_mov_b32 s10, 0
.LBB242_3182:
	s_delay_alu instid0(SALU_CYCLE_1)
	s_and_not1_b32 vcc_lo, exec_lo, s10
	s_cbranch_vccnz .LBB242_3192
; %bb.3183:
	s_wait_xcnt 0x0
	v_cndmask_b32_e64 v6, 0, 1.0, s1
	s_mov_b32 s10, exec_lo
                                        ; implicit-def: $vgpr3
	s_delay_alu instid0(VALU_DEP_1)
	v_cmpx_gt_u32_e32 0x47800000, v6
	s_xor_b32 s10, exec_lo, s10
	s_cbranch_execz .LBB242_3189
; %bb.3184:
	s_mov_b32 s11, exec_lo
                                        ; implicit-def: $vgpr3
	v_cmpx_lt_u32_e32 0x387fffff, v6
	s_xor_b32 s11, exec_lo, s11
; %bb.3185:
	v_bfe_u32 v3, v6, 21, 1
	s_delay_alu instid0(VALU_DEP_1) | instskip(NEXT) | instid1(VALU_DEP_1)
	v_add3_u32 v3, v6, v3, 0x80fffff
                                        ; implicit-def: $vgpr6
	v_lshrrev_b32_e32 v3, 21, v3
; %bb.3186:
	s_and_not1_saveexec_b32 s11, s11
; %bb.3187:
	v_add_f32_e32 v3, 0x43000000, v6
; %bb.3188:
	s_or_b32 exec_lo, exec_lo, s11
                                        ; implicit-def: $vgpr6
.LBB242_3189:
	s_and_not1_saveexec_b32 s10, s10
; %bb.3190:
	v_mov_b32_e32 v3, 0x7f
	v_cmp_lt_u32_e32 vcc_lo, 0x7f800000, v6
	s_delay_alu instid0(VALU_DEP_2)
	v_cndmask_b32_e32 v3, 0x7c, v3, vcc_lo
; %bb.3191:
	s_or_b32 exec_lo, exec_lo, s10
	global_store_b8 v[4:5], v3, off
.LBB242_3192:
	s_mov_b32 s10, 0
	s_mov_b32 s11, -1
.LBB242_3193:
	s_and_not1_b32 vcc_lo, exec_lo, s10
	s_mov_b32 s10, 0
	s_cbranch_vccnz .LBB242_3200
; %bb.3194:
	s_cmp_gt_i32 s7, 14
	s_mov_b32 s10, -1
	s_cbranch_scc0 .LBB242_3198
; %bb.3195:
	s_cmp_eq_u32 s7, 15
	s_mov_b32 s2, -1
	s_cbranch_scc0 .LBB242_3197
; %bb.3196:
	s_wait_xcnt 0x0
	v_cndmask_b32_e64 v3, 0, 1.0, s1
	s_mov_b32 s2, 0
	s_mov_b32 s11, -1
	s_delay_alu instid0(VALU_DEP_1) | instskip(NEXT) | instid1(VALU_DEP_1)
	v_bfe_u32 v6, v3, 16, 1
	v_add3_u32 v3, v3, v6, 0x7fff
	global_store_d16_hi_b16 v[4:5], v3, off
.LBB242_3197:
	s_mov_b32 s10, 0
.LBB242_3198:
	s_delay_alu instid0(SALU_CYCLE_1)
	s_and_b32 vcc_lo, exec_lo, s10
	s_mov_b32 s10, 0
	s_cbranch_vccz .LBB242_3200
; %bb.3199:
	s_cmp_lg_u32 s7, 11
	s_mov_b32 s10, -1
	s_cselect_b32 s2, -1, 0
.LBB242_3200:
	s_delay_alu instid0(SALU_CYCLE_1)
	s_and_b32 vcc_lo, exec_lo, s2
	s_cbranch_vccnz .LBB242_3494
; %bb.3201:
	s_and_not1_b32 vcc_lo, exec_lo, s10
	s_cbranch_vccnz .LBB242_3203
.LBB242_3202:
	s_wait_xcnt 0x0
	v_cndmask_b32_e64 v3, 0, 1, s1
	s_mov_b32 s11, -1
	global_store_b8 v[4:5], v3, off
.LBB242_3203:
	s_mov_b32 s2, 0
	s_branch .LBB242_3205
.LBB242_3204:
	s_mov_b32 s2, -1
	s_mov_b32 s11, 0
.LBB242_3205:
	s_and_b32 vcc_lo, exec_lo, s2
	s_cbranch_vccz .LBB242_3244
; %bb.3206:
	s_cmp_lt_i32 s7, 5
	s_mov_b32 s2, -1
	s_cbranch_scc1 .LBB242_3227
; %bb.3207:
	s_cmp_lt_i32 s7, 8
	s_cbranch_scc1 .LBB242_3217
; %bb.3208:
	s_cmp_lt_i32 s7, 9
	s_cbranch_scc1 .LBB242_3214
; %bb.3209:
	s_cmp_gt_i32 s7, 9
	s_cbranch_scc0 .LBB242_3211
; %bb.3210:
	s_wait_xcnt 0x0
	v_cndmask_b32_e64 v3, 0, 1, s1
	v_mov_b32_e32 v8, 0
	s_mov_b32 s2, 0
	s_delay_alu instid0(VALU_DEP_2) | instskip(NEXT) | instid1(VALU_DEP_2)
	v_cvt_f64_u32_e32 v[6:7], v3
	v_mov_b32_e32 v9, v8
	global_store_b128 v[4:5], v[6:9], off
.LBB242_3211:
	s_and_not1_b32 vcc_lo, exec_lo, s2
	s_cbranch_vccnz .LBB242_3213
; %bb.3212:
	s_wait_xcnt 0x0
	v_cndmask_b32_e64 v6, 0, 1.0, s1
	v_mov_b32_e32 v7, 0
	global_store_b64 v[4:5], v[6:7], off
.LBB242_3213:
	s_mov_b32 s2, 0
.LBB242_3214:
	s_delay_alu instid0(SALU_CYCLE_1)
	s_and_not1_b32 vcc_lo, exec_lo, s2
	s_cbranch_vccnz .LBB242_3216
; %bb.3215:
	s_wait_xcnt 0x0
	v_cndmask_b32_e64 v3, 0, 1.0, s1
	s_delay_alu instid0(VALU_DEP_1) | instskip(NEXT) | instid1(VALU_DEP_1)
	v_cvt_f16_f32_e32 v3, v3
	v_and_b32_e32 v3, 0xffff, v3
	global_store_b32 v[4:5], v3, off
.LBB242_3216:
	s_mov_b32 s2, 0
.LBB242_3217:
	s_delay_alu instid0(SALU_CYCLE_1)
	s_and_not1_b32 vcc_lo, exec_lo, s2
	s_cbranch_vccnz .LBB242_3226
; %bb.3218:
	s_cmp_lt_i32 s7, 6
	s_mov_b32 s2, -1
	s_cbranch_scc1 .LBB242_3224
; %bb.3219:
	s_cmp_gt_i32 s7, 6
	s_cbranch_scc0 .LBB242_3221
; %bb.3220:
	s_wait_xcnt 0x0
	v_cndmask_b32_e64 v3, 0, 1, s1
	s_mov_b32 s2, 0
	s_delay_alu instid0(VALU_DEP_1)
	v_cvt_f64_u32_e32 v[6:7], v3
	global_store_b64 v[4:5], v[6:7], off
.LBB242_3221:
	s_and_not1_b32 vcc_lo, exec_lo, s2
	s_cbranch_vccnz .LBB242_3223
; %bb.3222:
	s_wait_xcnt 0x0
	v_cndmask_b32_e64 v3, 0, 1.0, s1
	global_store_b32 v[4:5], v3, off
.LBB242_3223:
	s_mov_b32 s2, 0
.LBB242_3224:
	s_delay_alu instid0(SALU_CYCLE_1)
	s_and_not1_b32 vcc_lo, exec_lo, s2
	s_cbranch_vccnz .LBB242_3226
; %bb.3225:
	s_wait_xcnt 0x0
	v_cndmask_b32_e64 v3, 0, 1.0, s1
	s_delay_alu instid0(VALU_DEP_1)
	v_cvt_f16_f32_e32 v3, v3
	global_store_b16 v[4:5], v3, off
.LBB242_3226:
	s_mov_b32 s2, 0
.LBB242_3227:
	s_delay_alu instid0(SALU_CYCLE_1)
	s_and_not1_b32 vcc_lo, exec_lo, s2
	s_cbranch_vccnz .LBB242_3243
; %bb.3228:
	s_cmp_lt_i32 s7, 2
	s_mov_b32 s2, -1
	s_cbranch_scc1 .LBB242_3238
; %bb.3229:
	s_cmp_lt_i32 s7, 3
	s_cbranch_scc1 .LBB242_3235
; %bb.3230:
	s_cmp_gt_i32 s7, 3
	s_cbranch_scc0 .LBB242_3232
; %bb.3231:
	s_mov_b32 s2, 0
	s_wait_xcnt 0x0
	v_cndmask_b32_e64 v6, 0, 1, s1
	v_mov_b32_e32 v7, s2
	global_store_b64 v[4:5], v[6:7], off
.LBB242_3232:
	s_and_not1_b32 vcc_lo, exec_lo, s2
	s_cbranch_vccnz .LBB242_3234
; %bb.3233:
	s_wait_xcnt 0x0
	v_cndmask_b32_e64 v3, 0, 1, s1
	global_store_b32 v[4:5], v3, off
.LBB242_3234:
	s_mov_b32 s2, 0
.LBB242_3235:
	s_delay_alu instid0(SALU_CYCLE_1)
	s_and_not1_b32 vcc_lo, exec_lo, s2
	s_cbranch_vccnz .LBB242_3237
; %bb.3236:
	s_wait_xcnt 0x0
	v_cndmask_b32_e64 v3, 0, 1, s1
	global_store_b16 v[4:5], v3, off
.LBB242_3237:
	s_mov_b32 s2, 0
.LBB242_3238:
	s_delay_alu instid0(SALU_CYCLE_1)
	s_and_not1_b32 vcc_lo, exec_lo, s2
	s_cbranch_vccnz .LBB242_3243
; %bb.3239:
	s_wait_xcnt 0x0
	v_cndmask_b32_e64 v3, 0, 1, s1
	s_cmp_gt_i32 s7, 0
	s_mov_b32 s1, -1
	s_cbranch_scc0 .LBB242_3241
; %bb.3240:
	s_mov_b32 s1, 0
	global_store_b8 v[4:5], v3, off
.LBB242_3241:
	s_and_not1_b32 vcc_lo, exec_lo, s1
	s_cbranch_vccnz .LBB242_3243
; %bb.3242:
	global_store_b8 v[4:5], v3, off
.LBB242_3243:
	s_mov_b32 s11, -1
.LBB242_3244:
	s_delay_alu instid0(SALU_CYCLE_1)
	s_and_not1_b32 vcc_lo, exec_lo, s11
	s_cbranch_vccnz .LBB242_3440
; %bb.3245:
	s_wait_xcnt 0x0
	v_lshlrev_b16 v4, 8, v12
	s_cmp_lt_i32 s7, 11
	s_delay_alu instid0(VALU_DEP_1) | instskip(SKIP_2) | instid1(VALU_DEP_2)
	v_and_or_b32 v6, 0x7f00, v4, 0.5
	v_lshlrev_b32_e32 v3, 25, v12
	v_bfe_i32 v4, v4, 0, 16
	v_dual_add_f32 v6, -0.5, v6 :: v_dual_lshrrev_b32 v5, 4, v3
	v_cmp_gt_u32_e32 vcc_lo, 0x8000000, v3
	s_delay_alu instid0(VALU_DEP_2) | instskip(NEXT) | instid1(VALU_DEP_1)
	v_or_b32_e32 v5, 0x70000000, v5
	v_mul_f32_e32 v5, 0x7800000, v5
	s_delay_alu instid0(VALU_DEP_1) | instskip(NEXT) | instid1(VALU_DEP_1)
	v_cndmask_b32_e32 v3, v5, v6, vcc_lo
	v_and_or_b32 v3, 0x80000000, v4, v3
	s_delay_alu instid0(VALU_DEP_1) | instskip(SKIP_3) | instid1(VALU_DEP_1)
	v_cmp_eq_f32_e32 vcc_lo, v1, v3
	v_cndmask_b32_e64 v4, 0, 1, vcc_lo
	v_cmp_neq_f32_e32 vcc_lo, v1, v3
	v_cndmask_b32_e64 v3, 0, 1, vcc_lo
	v_dual_cndmask_b32 v4, v3, v4, s0 :: v_dual_mov_b32 v3, 0
	s_delay_alu instid0(VALU_DEP_1) | instskip(NEXT) | instid1(VALU_DEP_2)
	v_and_b32_e32 v4, 1, v4
	v_add_nc_u64_e32 v[2:3], s[4:5], v[2:3]
	s_delay_alu instid0(VALU_DEP_2)
	v_cmp_eq_u32_e64 s1, 1, v4
	s_cbranch_scc1 .LBB242_3323
; %bb.3246:
	s_mov_b32 s12, -1
	s_mov_b32 s10, 0
	s_cmp_gt_i32 s7, 25
	s_mov_b32 s11, 0
	s_mov_b32 s2, 0
	s_cbranch_scc0 .LBB242_3279
; %bb.3247:
	s_cmp_gt_i32 s7, 28
	s_cbranch_scc0 .LBB242_3262
; %bb.3248:
	s_cmp_gt_i32 s7, 43
	;; [unrolled: 3-line block ×3, first 2 shown]
	s_cbranch_scc0 .LBB242_3252
; %bb.3250:
	s_mov_b32 s2, -1
	s_mov_b32 s12, 0
	s_cmp_eq_u32 s7, 46
	s_cbranch_scc0 .LBB242_3252
; %bb.3251:
	v_cndmask_b32_e64 v4, 0, 1.0, s1
	s_mov_b32 s2, 0
	s_mov_b32 s11, -1
	s_delay_alu instid0(VALU_DEP_1) | instskip(NEXT) | instid1(VALU_DEP_1)
	v_bfe_u32 v5, v4, 16, 1
	v_add3_u32 v4, v4, v5, 0x7fff
	s_delay_alu instid0(VALU_DEP_1)
	v_lshrrev_b32_e32 v4, 16, v4
	global_store_b32 v[2:3], v4, off
.LBB242_3252:
	s_and_b32 vcc_lo, exec_lo, s12
	s_cbranch_vccz .LBB242_3257
; %bb.3253:
	s_cmp_eq_u32 s7, 44
	s_mov_b32 s2, -1
	s_cbranch_scc0 .LBB242_3257
; %bb.3254:
	v_cndmask_b32_e64 v6, 0, 1.0, s1
	s_mov_b32 s11, exec_lo
	s_wait_xcnt 0x0
	s_delay_alu instid0(VALU_DEP_1) | instskip(NEXT) | instid1(VALU_DEP_1)
	v_dual_mov_b32 v5, 0xff :: v_dual_lshrrev_b32 v4, 23, v6
	v_cmpx_ne_u32_e32 0xff, v4
; %bb.3255:
	v_and_b32_e32 v5, 0x400000, v6
	v_and_or_b32 v6, 0x3fffff, v6, v4
	s_delay_alu instid0(VALU_DEP_2) | instskip(NEXT) | instid1(VALU_DEP_2)
	v_cmp_ne_u32_e32 vcc_lo, 0, v5
	v_cmp_ne_u32_e64 s2, 0, v6
	s_and_b32 s2, vcc_lo, s2
	s_delay_alu instid0(SALU_CYCLE_1) | instskip(NEXT) | instid1(VALU_DEP_1)
	v_cndmask_b32_e64 v5, 0, 1, s2
	v_add_nc_u32_e32 v5, v4, v5
; %bb.3256:
	s_or_b32 exec_lo, exec_lo, s11
	s_mov_b32 s2, 0
	s_mov_b32 s11, -1
	global_store_b8 v[2:3], v5, off
.LBB242_3257:
	s_mov_b32 s12, 0
.LBB242_3258:
	s_delay_alu instid0(SALU_CYCLE_1)
	s_and_b32 vcc_lo, exec_lo, s12
	s_cbranch_vccz .LBB242_3261
; %bb.3259:
	s_cmp_eq_u32 s7, 29
	s_mov_b32 s2, -1
	s_cbranch_scc0 .LBB242_3261
; %bb.3260:
	s_mov_b32 s2, 0
	s_wait_xcnt 0x0
	v_cndmask_b32_e64 v4, 0, 1, s1
	v_mov_b32_e32 v5, s2
	s_mov_b32 s11, -1
	global_store_b64 v[2:3], v[4:5], off
.LBB242_3261:
	s_mov_b32 s12, 0
.LBB242_3262:
	s_delay_alu instid0(SALU_CYCLE_1)
	s_and_b32 vcc_lo, exec_lo, s12
	s_cbranch_vccz .LBB242_3278
; %bb.3263:
	s_cmp_lt_i32 s7, 27
	s_mov_b32 s11, -1
	s_cbranch_scc1 .LBB242_3269
; %bb.3264:
	s_cmp_gt_i32 s7, 27
	s_cbranch_scc0 .LBB242_3266
; %bb.3265:
	s_wait_xcnt 0x0
	v_cndmask_b32_e64 v4, 0, 1, s1
	s_mov_b32 s11, 0
	global_store_b32 v[2:3], v4, off
.LBB242_3266:
	s_and_not1_b32 vcc_lo, exec_lo, s11
	s_cbranch_vccnz .LBB242_3268
; %bb.3267:
	s_wait_xcnt 0x0
	v_cndmask_b32_e64 v4, 0, 1, s1
	global_store_b16 v[2:3], v4, off
.LBB242_3268:
	s_mov_b32 s11, 0
.LBB242_3269:
	s_delay_alu instid0(SALU_CYCLE_1)
	s_and_not1_b32 vcc_lo, exec_lo, s11
	s_cbranch_vccnz .LBB242_3277
; %bb.3270:
	s_wait_xcnt 0x0
	v_cndmask_b32_e64 v5, 0, 1.0, s1
	v_mov_b32_e32 v6, 0x80
	s_mov_b32 s11, exec_lo
	s_delay_alu instid0(VALU_DEP_2)
	v_cmpx_gt_u32_e32 0x43800000, v5
	s_cbranch_execz .LBB242_3276
; %bb.3271:
	s_mov_b32 s12, 0
	s_mov_b32 s13, exec_lo
                                        ; implicit-def: $vgpr4
	v_cmpx_lt_u32_e32 0x3bffffff, v5
	s_xor_b32 s13, exec_lo, s13
	s_cbranch_execz .LBB242_3497
; %bb.3272:
	v_bfe_u32 v4, v5, 20, 1
	s_mov_b32 s12, exec_lo
	s_delay_alu instid0(VALU_DEP_1) | instskip(NEXT) | instid1(VALU_DEP_1)
	v_add3_u32 v4, v5, v4, 0x487ffff
                                        ; implicit-def: $vgpr5
	v_lshrrev_b32_e32 v4, 20, v4
	s_and_not1_saveexec_b32 s13, s13
	s_cbranch_execnz .LBB242_3498
.LBB242_3273:
	s_or_b32 exec_lo, exec_lo, s13
	v_mov_b32_e32 v6, 0
	s_and_saveexec_b32 s13, s12
.LBB242_3274:
	v_mov_b32_e32 v6, v4
.LBB242_3275:
	s_or_b32 exec_lo, exec_lo, s13
.LBB242_3276:
	s_delay_alu instid0(SALU_CYCLE_1)
	s_or_b32 exec_lo, exec_lo, s11
	global_store_b8 v[2:3], v6, off
.LBB242_3277:
	s_mov_b32 s11, -1
.LBB242_3278:
	s_mov_b32 s12, 0
.LBB242_3279:
	s_delay_alu instid0(SALU_CYCLE_1)
	s_and_b32 vcc_lo, exec_lo, s12
	s_cbranch_vccz .LBB242_3319
; %bb.3280:
	s_cmp_gt_i32 s7, 22
	s_mov_b32 s10, -1
	s_cbranch_scc0 .LBB242_3312
; %bb.3281:
	s_cmp_lt_i32 s7, 24
	s_cbranch_scc1 .LBB242_3301
; %bb.3282:
	s_cmp_gt_i32 s7, 24
	s_cbranch_scc0 .LBB242_3290
; %bb.3283:
	s_wait_xcnt 0x0
	v_cndmask_b32_e64 v5, 0, 1.0, s1
	v_mov_b32_e32 v6, 0x80
	s_mov_b32 s10, exec_lo
	s_delay_alu instid0(VALU_DEP_2)
	v_cmpx_gt_u32_e32 0x47800000, v5
	s_cbranch_execz .LBB242_3289
; %bb.3284:
	s_mov_b32 s11, 0
	s_mov_b32 s12, exec_lo
                                        ; implicit-def: $vgpr4
	v_cmpx_lt_u32_e32 0x37ffffff, v5
	s_xor_b32 s12, exec_lo, s12
	s_cbranch_execz .LBB242_3500
; %bb.3285:
	v_bfe_u32 v4, v5, 21, 1
	s_mov_b32 s11, exec_lo
	s_delay_alu instid0(VALU_DEP_1) | instskip(NEXT) | instid1(VALU_DEP_1)
	v_add3_u32 v4, v5, v4, 0x88fffff
                                        ; implicit-def: $vgpr5
	v_lshrrev_b32_e32 v4, 21, v4
	s_and_not1_saveexec_b32 s12, s12
	s_cbranch_execnz .LBB242_3501
.LBB242_3286:
	s_or_b32 exec_lo, exec_lo, s12
	v_mov_b32_e32 v6, 0
	s_and_saveexec_b32 s12, s11
.LBB242_3287:
	v_mov_b32_e32 v6, v4
.LBB242_3288:
	s_or_b32 exec_lo, exec_lo, s12
.LBB242_3289:
	s_delay_alu instid0(SALU_CYCLE_1)
	s_or_b32 exec_lo, exec_lo, s10
	s_mov_b32 s10, 0
	global_store_b8 v[2:3], v6, off
.LBB242_3290:
	s_and_b32 vcc_lo, exec_lo, s10
	s_cbranch_vccz .LBB242_3300
; %bb.3291:
	s_wait_xcnt 0x0
	v_cndmask_b32_e64 v5, 0, 1.0, s1
	s_mov_b32 s10, exec_lo
                                        ; implicit-def: $vgpr4
	s_delay_alu instid0(VALU_DEP_1)
	v_cmpx_gt_u32_e32 0x43f00000, v5
	s_xor_b32 s10, exec_lo, s10
	s_cbranch_execz .LBB242_3297
; %bb.3292:
	s_mov_b32 s11, exec_lo
                                        ; implicit-def: $vgpr4
	v_cmpx_lt_u32_e32 0x3c7fffff, v5
	s_xor_b32 s11, exec_lo, s11
; %bb.3293:
	v_bfe_u32 v4, v5, 20, 1
	s_delay_alu instid0(VALU_DEP_1) | instskip(NEXT) | instid1(VALU_DEP_1)
	v_add3_u32 v4, v5, v4, 0x407ffff
	v_and_b32_e32 v5, 0xff00000, v4
	v_lshrrev_b32_e32 v4, 20, v4
	s_delay_alu instid0(VALU_DEP_2) | instskip(NEXT) | instid1(VALU_DEP_2)
	v_cmp_ne_u32_e32 vcc_lo, 0x7f00000, v5
                                        ; implicit-def: $vgpr5
	v_cndmask_b32_e32 v4, 0x7e, v4, vcc_lo
; %bb.3294:
	s_and_not1_saveexec_b32 s11, s11
; %bb.3295:
	v_add_f32_e32 v4, 0x46800000, v5
; %bb.3296:
	s_or_b32 exec_lo, exec_lo, s11
                                        ; implicit-def: $vgpr5
.LBB242_3297:
	s_and_not1_saveexec_b32 s10, s10
; %bb.3298:
	v_mov_b32_e32 v4, 0x7f
	v_cmp_lt_u32_e32 vcc_lo, 0x7f800000, v5
	s_delay_alu instid0(VALU_DEP_2)
	v_cndmask_b32_e32 v4, 0x7e, v4, vcc_lo
; %bb.3299:
	s_or_b32 exec_lo, exec_lo, s10
	global_store_b8 v[2:3], v4, off
.LBB242_3300:
	s_mov_b32 s10, 0
.LBB242_3301:
	s_delay_alu instid0(SALU_CYCLE_1)
	s_and_not1_b32 vcc_lo, exec_lo, s10
	s_cbranch_vccnz .LBB242_3311
; %bb.3302:
	s_wait_xcnt 0x0
	v_cndmask_b32_e64 v5, 0, 1.0, s1
	s_mov_b32 s10, exec_lo
                                        ; implicit-def: $vgpr4
	s_delay_alu instid0(VALU_DEP_1)
	v_cmpx_gt_u32_e32 0x47800000, v5
	s_xor_b32 s10, exec_lo, s10
	s_cbranch_execz .LBB242_3308
; %bb.3303:
	s_mov_b32 s11, exec_lo
                                        ; implicit-def: $vgpr4
	v_cmpx_lt_u32_e32 0x387fffff, v5
	s_xor_b32 s11, exec_lo, s11
; %bb.3304:
	v_bfe_u32 v4, v5, 21, 1
	s_delay_alu instid0(VALU_DEP_1) | instskip(NEXT) | instid1(VALU_DEP_1)
	v_add3_u32 v4, v5, v4, 0x80fffff
                                        ; implicit-def: $vgpr5
	v_lshrrev_b32_e32 v4, 21, v4
; %bb.3305:
	s_and_not1_saveexec_b32 s11, s11
; %bb.3306:
	v_add_f32_e32 v4, 0x43000000, v5
; %bb.3307:
	s_or_b32 exec_lo, exec_lo, s11
                                        ; implicit-def: $vgpr5
.LBB242_3308:
	s_and_not1_saveexec_b32 s10, s10
; %bb.3309:
	v_mov_b32_e32 v4, 0x7f
	v_cmp_lt_u32_e32 vcc_lo, 0x7f800000, v5
	s_delay_alu instid0(VALU_DEP_2)
	v_cndmask_b32_e32 v4, 0x7c, v4, vcc_lo
; %bb.3310:
	s_or_b32 exec_lo, exec_lo, s10
	global_store_b8 v[2:3], v4, off
.LBB242_3311:
	s_mov_b32 s10, 0
	s_mov_b32 s11, -1
.LBB242_3312:
	s_and_not1_b32 vcc_lo, exec_lo, s10
	s_mov_b32 s10, 0
	s_cbranch_vccnz .LBB242_3319
; %bb.3313:
	s_cmp_gt_i32 s7, 14
	s_mov_b32 s10, -1
	s_cbranch_scc0 .LBB242_3317
; %bb.3314:
	s_cmp_eq_u32 s7, 15
	s_mov_b32 s2, -1
	s_cbranch_scc0 .LBB242_3316
; %bb.3315:
	s_wait_xcnt 0x0
	v_cndmask_b32_e64 v4, 0, 1.0, s1
	s_mov_b32 s2, 0
	s_mov_b32 s11, -1
	s_delay_alu instid0(VALU_DEP_1) | instskip(NEXT) | instid1(VALU_DEP_1)
	v_bfe_u32 v5, v4, 16, 1
	v_add3_u32 v4, v4, v5, 0x7fff
	global_store_d16_hi_b16 v[2:3], v4, off
.LBB242_3316:
	s_mov_b32 s10, 0
.LBB242_3317:
	s_delay_alu instid0(SALU_CYCLE_1)
	s_and_b32 vcc_lo, exec_lo, s10
	s_mov_b32 s10, 0
	s_cbranch_vccz .LBB242_3319
; %bb.3318:
	s_cmp_lg_u32 s7, 11
	s_mov_b32 s10, -1
	s_cselect_b32 s2, -1, 0
.LBB242_3319:
	s_delay_alu instid0(SALU_CYCLE_1)
	s_and_b32 vcc_lo, exec_lo, s2
	s_cbranch_vccnz .LBB242_3499
; %bb.3320:
	s_and_not1_b32 vcc_lo, exec_lo, s10
	s_cbranch_vccnz .LBB242_3322
.LBB242_3321:
	s_wait_xcnt 0x0
	v_cndmask_b32_e64 v4, 0, 1, s1
	s_mov_b32 s11, -1
	global_store_b8 v[2:3], v4, off
.LBB242_3322:
	s_mov_b32 s2, 0
	s_branch .LBB242_3324
.LBB242_3323:
	s_mov_b32 s2, -1
	s_mov_b32 s11, 0
.LBB242_3324:
	s_and_b32 vcc_lo, exec_lo, s2
	s_cbranch_vccz .LBB242_3363
; %bb.3325:
	s_cmp_lt_i32 s7, 5
	s_mov_b32 s2, -1
	s_cbranch_scc1 .LBB242_3346
; %bb.3326:
	s_cmp_lt_i32 s7, 8
	s_cbranch_scc1 .LBB242_3336
; %bb.3327:
	s_cmp_lt_i32 s7, 9
	s_cbranch_scc1 .LBB242_3333
; %bb.3328:
	s_cmp_gt_i32 s7, 9
	s_cbranch_scc0 .LBB242_3330
; %bb.3329:
	s_wait_xcnt 0x0
	v_cndmask_b32_e64 v4, 0, 1, s1
	v_mov_b32_e32 v6, 0
	s_mov_b32 s2, 0
	s_delay_alu instid0(VALU_DEP_2) | instskip(NEXT) | instid1(VALU_DEP_2)
	v_cvt_f64_u32_e32 v[4:5], v4
	v_mov_b32_e32 v7, v6
	global_store_b128 v[2:3], v[4:7], off
.LBB242_3330:
	s_and_not1_b32 vcc_lo, exec_lo, s2
	s_cbranch_vccnz .LBB242_3332
; %bb.3331:
	s_wait_xcnt 0x0
	v_cndmask_b32_e64 v4, 0, 1.0, s1
	v_mov_b32_e32 v5, 0
	global_store_b64 v[2:3], v[4:5], off
.LBB242_3332:
	s_mov_b32 s2, 0
.LBB242_3333:
	s_delay_alu instid0(SALU_CYCLE_1)
	s_and_not1_b32 vcc_lo, exec_lo, s2
	s_cbranch_vccnz .LBB242_3335
; %bb.3334:
	s_wait_xcnt 0x0
	v_cndmask_b32_e64 v4, 0, 1.0, s1
	s_delay_alu instid0(VALU_DEP_1) | instskip(NEXT) | instid1(VALU_DEP_1)
	v_cvt_f16_f32_e32 v4, v4
	v_and_b32_e32 v4, 0xffff, v4
	global_store_b32 v[2:3], v4, off
.LBB242_3335:
	s_mov_b32 s2, 0
.LBB242_3336:
	s_delay_alu instid0(SALU_CYCLE_1)
	s_and_not1_b32 vcc_lo, exec_lo, s2
	s_cbranch_vccnz .LBB242_3345
; %bb.3337:
	s_cmp_lt_i32 s7, 6
	s_mov_b32 s2, -1
	s_cbranch_scc1 .LBB242_3343
; %bb.3338:
	s_cmp_gt_i32 s7, 6
	s_cbranch_scc0 .LBB242_3340
; %bb.3339:
	s_wait_xcnt 0x0
	v_cndmask_b32_e64 v4, 0, 1, s1
	s_mov_b32 s2, 0
	s_delay_alu instid0(VALU_DEP_1)
	v_cvt_f64_u32_e32 v[4:5], v4
	global_store_b64 v[2:3], v[4:5], off
.LBB242_3340:
	s_and_not1_b32 vcc_lo, exec_lo, s2
	s_cbranch_vccnz .LBB242_3342
; %bb.3341:
	s_wait_xcnt 0x0
	v_cndmask_b32_e64 v4, 0, 1.0, s1
	global_store_b32 v[2:3], v4, off
.LBB242_3342:
	s_mov_b32 s2, 0
.LBB242_3343:
	s_delay_alu instid0(SALU_CYCLE_1)
	s_and_not1_b32 vcc_lo, exec_lo, s2
	s_cbranch_vccnz .LBB242_3345
; %bb.3344:
	s_wait_xcnt 0x0
	v_cndmask_b32_e64 v4, 0, 1.0, s1
	s_delay_alu instid0(VALU_DEP_1)
	v_cvt_f16_f32_e32 v4, v4
	global_store_b16 v[2:3], v4, off
.LBB242_3345:
	s_mov_b32 s2, 0
.LBB242_3346:
	s_delay_alu instid0(SALU_CYCLE_1)
	s_and_not1_b32 vcc_lo, exec_lo, s2
	s_cbranch_vccnz .LBB242_3362
; %bb.3347:
	s_cmp_lt_i32 s7, 2
	s_mov_b32 s2, -1
	s_cbranch_scc1 .LBB242_3357
; %bb.3348:
	s_cmp_lt_i32 s7, 3
	s_cbranch_scc1 .LBB242_3354
; %bb.3349:
	s_cmp_gt_i32 s7, 3
	s_cbranch_scc0 .LBB242_3351
; %bb.3350:
	s_mov_b32 s2, 0
	s_wait_xcnt 0x0
	v_cndmask_b32_e64 v4, 0, 1, s1
	v_mov_b32_e32 v5, s2
	global_store_b64 v[2:3], v[4:5], off
.LBB242_3351:
	s_and_not1_b32 vcc_lo, exec_lo, s2
	s_cbranch_vccnz .LBB242_3353
; %bb.3352:
	s_wait_xcnt 0x0
	v_cndmask_b32_e64 v4, 0, 1, s1
	global_store_b32 v[2:3], v4, off
.LBB242_3353:
	s_mov_b32 s2, 0
.LBB242_3354:
	s_delay_alu instid0(SALU_CYCLE_1)
	s_and_not1_b32 vcc_lo, exec_lo, s2
	s_cbranch_vccnz .LBB242_3356
; %bb.3355:
	s_wait_xcnt 0x0
	v_cndmask_b32_e64 v4, 0, 1, s1
	global_store_b16 v[2:3], v4, off
.LBB242_3356:
	s_mov_b32 s2, 0
.LBB242_3357:
	s_delay_alu instid0(SALU_CYCLE_1)
	s_and_not1_b32 vcc_lo, exec_lo, s2
	s_cbranch_vccnz .LBB242_3362
; %bb.3358:
	s_cmp_gt_i32 s7, 0
	s_mov_b32 s2, -1
	s_cbranch_scc0 .LBB242_3360
; %bb.3359:
	s_wait_xcnt 0x0
	v_cndmask_b32_e64 v4, 0, 1, s1
	s_mov_b32 s2, 0
	global_store_b8 v[2:3], v4, off
.LBB242_3360:
	s_and_not1_b32 vcc_lo, exec_lo, s2
	s_cbranch_vccnz .LBB242_3362
; %bb.3361:
	s_wait_xcnt 0x0
	v_cndmask_b32_e64 v4, 0, 1, s1
	global_store_b8 v[2:3], v4, off
.LBB242_3362:
	s_mov_b32 s11, -1
.LBB242_3363:
	s_delay_alu instid0(SALU_CYCLE_1)
	s_and_not1_b32 vcc_lo, exec_lo, s11
	s_cbranch_vccnz .LBB242_3440
; %bb.3364:
	s_wait_xcnt 0x0
	v_lshlrev_b16 v3, 8, v10
	s_cmp_lt_i32 s7, 11
	s_delay_alu instid0(VALU_DEP_1) | instskip(SKIP_2) | instid1(VALU_DEP_2)
	v_and_or_b32 v5, 0x7f00, v3, 0.5
	v_lshlrev_b32_e32 v2, 25, v10
	v_bfe_i32 v3, v3, 0, 16
	v_dual_add_f32 v5, -0.5, v5 :: v_dual_lshrrev_b32 v4, 4, v2
	v_cmp_gt_u32_e32 vcc_lo, 0x8000000, v2
	s_delay_alu instid0(VALU_DEP_2) | instskip(NEXT) | instid1(VALU_DEP_1)
	v_or_b32_e32 v4, 0x70000000, v4
	v_mul_f32_e32 v4, 0x7800000, v4
	s_delay_alu instid0(VALU_DEP_1) | instskip(NEXT) | instid1(VALU_DEP_1)
	v_cndmask_b32_e32 v2, v4, v5, vcc_lo
	v_and_or_b32 v2, 0x80000000, v3, v2
	s_delay_alu instid0(VALU_DEP_1) | instskip(SKIP_3) | instid1(VALU_DEP_1)
	v_cmp_eq_f32_e32 vcc_lo, v1, v2
	v_cndmask_b32_e64 v3, 0, 1, vcc_lo
	v_cmp_neq_f32_e32 vcc_lo, v1, v2
	v_cndmask_b32_e64 v1, 0, 1, vcc_lo
	v_dual_cndmask_b32 v2, v1, v3, s0 :: v_dual_mov_b32 v1, 0
	s_delay_alu instid0(VALU_DEP_1) | instskip(NEXT) | instid1(VALU_DEP_2)
	v_and_b32_e32 v4, 1, v2
	v_add_nc_u64_e32 v[2:3], s[4:5], v[0:1]
	s_delay_alu instid0(VALU_DEP_2)
	v_cmp_eq_u32_e64 s1, 1, v4
	s_cbranch_scc1 .LBB242_3485
; %bb.3365:
	s_mov_b32 s4, -1
	s_mov_b32 s2, 0
	s_cmp_gt_i32 s7, 25
	s_mov_b32 s0, 0
	s_cbranch_scc0 .LBB242_3398
; %bb.3366:
	s_cmp_gt_i32 s7, 28
	s_cbranch_scc0 .LBB242_3382
; %bb.3367:
	s_cmp_gt_i32 s7, 43
	;; [unrolled: 3-line block ×3, first 2 shown]
	s_cbranch_scc0 .LBB242_3372
; %bb.3369:
	s_cmp_eq_u32 s7, 46
	s_mov_b32 s0, -1
	s_cbranch_scc0 .LBB242_3371
; %bb.3370:
	v_cndmask_b32_e64 v0, 0, 1.0, s1
	s_mov_b32 s0, 0
	s_delay_alu instid0(VALU_DEP_1) | instskip(NEXT) | instid1(VALU_DEP_1)
	v_bfe_u32 v1, v0, 16, 1
	v_add3_u32 v0, v0, v1, 0x7fff
	s_delay_alu instid0(VALU_DEP_1)
	v_lshrrev_b32_e32 v0, 16, v0
	global_store_b32 v[2:3], v0, off
.LBB242_3371:
	s_mov_b32 s4, 0
.LBB242_3372:
	s_delay_alu instid0(SALU_CYCLE_1)
	s_and_b32 vcc_lo, exec_lo, s4
	s_cbranch_vccz .LBB242_3377
; %bb.3373:
	s_cmp_eq_u32 s7, 44
	s_mov_b32 s0, -1
	s_cbranch_scc0 .LBB242_3377
; %bb.3374:
	v_cndmask_b32_e64 v4, 0, 1.0, s1
	s_mov_b32 s4, exec_lo
	s_wait_xcnt 0x0
	s_delay_alu instid0(VALU_DEP_1) | instskip(NEXT) | instid1(VALU_DEP_1)
	v_dual_mov_b32 v1, 0xff :: v_dual_lshrrev_b32 v0, 23, v4
	v_cmpx_ne_u32_e32 0xff, v0
; %bb.3375:
	v_and_b32_e32 v1, 0x400000, v4
	v_and_or_b32 v4, 0x3fffff, v4, v0
	s_delay_alu instid0(VALU_DEP_2) | instskip(NEXT) | instid1(VALU_DEP_2)
	v_cmp_ne_u32_e32 vcc_lo, 0, v1
	v_cmp_ne_u32_e64 s0, 0, v4
	s_and_b32 s0, vcc_lo, s0
	s_delay_alu instid0(SALU_CYCLE_1) | instskip(NEXT) | instid1(VALU_DEP_1)
	v_cndmask_b32_e64 v1, 0, 1, s0
	v_add_nc_u32_e32 v1, v0, v1
; %bb.3376:
	s_or_b32 exec_lo, exec_lo, s4
	s_mov_b32 s0, 0
	global_store_b8 v[2:3], v1, off
.LBB242_3377:
	s_mov_b32 s4, 0
.LBB242_3378:
	s_delay_alu instid0(SALU_CYCLE_1)
	s_and_b32 vcc_lo, exec_lo, s4
	s_cbranch_vccz .LBB242_3381
; %bb.3379:
	s_cmp_eq_u32 s7, 29
	s_mov_b32 s0, -1
	s_cbranch_scc0 .LBB242_3381
; %bb.3380:
	s_mov_b32 s0, 0
	s_wait_xcnt 0x0
	v_cndmask_b32_e64 v0, 0, 1, s1
	v_mov_b32_e32 v1, s0
	global_store_b64 v[2:3], v[0:1], off
.LBB242_3381:
	s_mov_b32 s4, 0
.LBB242_3382:
	s_delay_alu instid0(SALU_CYCLE_1)
	s_and_b32 vcc_lo, exec_lo, s4
	s_cbranch_vccz .LBB242_3397
; %bb.3383:
	s_cmp_lt_i32 s7, 27
	s_mov_b32 s4, -1
	s_cbranch_scc1 .LBB242_3389
; %bb.3384:
	s_cmp_gt_i32 s7, 27
	s_cbranch_scc0 .LBB242_3386
; %bb.3385:
	s_wait_xcnt 0x0
	v_cndmask_b32_e64 v0, 0, 1, s1
	s_mov_b32 s4, 0
	global_store_b32 v[2:3], v0, off
.LBB242_3386:
	s_and_not1_b32 vcc_lo, exec_lo, s4
	s_cbranch_vccnz .LBB242_3388
; %bb.3387:
	s_wait_xcnt 0x0
	v_cndmask_b32_e64 v0, 0, 1, s1
	global_store_b16 v[2:3], v0, off
.LBB242_3388:
	s_mov_b32 s4, 0
.LBB242_3389:
	s_delay_alu instid0(SALU_CYCLE_1)
	s_and_not1_b32 vcc_lo, exec_lo, s4
	s_cbranch_vccnz .LBB242_3397
; %bb.3390:
	s_wait_xcnt 0x0
	v_cndmask_b32_e64 v1, 0, 1.0, s1
	v_mov_b32_e32 v4, 0x80
	s_mov_b32 s4, exec_lo
	s_delay_alu instid0(VALU_DEP_2)
	v_cmpx_gt_u32_e32 0x43800000, v1
	s_cbranch_execz .LBB242_3396
; %bb.3391:
	s_mov_b32 s5, 0
	s_mov_b32 s10, exec_lo
                                        ; implicit-def: $vgpr0
	v_cmpx_lt_u32_e32 0x3bffffff, v1
	s_xor_b32 s10, exec_lo, s10
	s_cbranch_execz .LBB242_3502
; %bb.3392:
	v_bfe_u32 v0, v1, 20, 1
	s_mov_b32 s5, exec_lo
	s_delay_alu instid0(VALU_DEP_1) | instskip(NEXT) | instid1(VALU_DEP_1)
	v_add3_u32 v0, v1, v0, 0x487ffff
                                        ; implicit-def: $vgpr1
	v_lshrrev_b32_e32 v0, 20, v0
	s_and_not1_saveexec_b32 s10, s10
	s_cbranch_execnz .LBB242_3503
.LBB242_3393:
	s_or_b32 exec_lo, exec_lo, s10
	v_mov_b32_e32 v4, 0
	s_and_saveexec_b32 s10, s5
.LBB242_3394:
	v_mov_b32_e32 v4, v0
.LBB242_3395:
	s_or_b32 exec_lo, exec_lo, s10
.LBB242_3396:
	s_delay_alu instid0(SALU_CYCLE_1)
	s_or_b32 exec_lo, exec_lo, s4
	global_store_b8 v[2:3], v4, off
.LBB242_3397:
	s_mov_b32 s4, 0
.LBB242_3398:
	s_delay_alu instid0(SALU_CYCLE_1)
	s_and_b32 vcc_lo, exec_lo, s4
	s_cbranch_vccz .LBB242_3438
; %bb.3399:
	s_cmp_gt_i32 s7, 22
	s_mov_b32 s2, -1
	s_cbranch_scc0 .LBB242_3431
; %bb.3400:
	s_cmp_lt_i32 s7, 24
	s_cbranch_scc1 .LBB242_3420
; %bb.3401:
	s_cmp_gt_i32 s7, 24
	s_cbranch_scc0 .LBB242_3409
; %bb.3402:
	s_wait_xcnt 0x0
	v_cndmask_b32_e64 v1, 0, 1.0, s1
	v_mov_b32_e32 v4, 0x80
	s_mov_b32 s2, exec_lo
	s_delay_alu instid0(VALU_DEP_2)
	v_cmpx_gt_u32_e32 0x47800000, v1
	s_cbranch_execz .LBB242_3408
; %bb.3403:
	s_mov_b32 s4, 0
	s_mov_b32 s5, exec_lo
                                        ; implicit-def: $vgpr0
	v_cmpx_lt_u32_e32 0x37ffffff, v1
	s_xor_b32 s5, exec_lo, s5
	s_cbranch_execz .LBB242_3505
; %bb.3404:
	v_bfe_u32 v0, v1, 21, 1
	s_mov_b32 s4, exec_lo
	s_delay_alu instid0(VALU_DEP_1) | instskip(NEXT) | instid1(VALU_DEP_1)
	v_add3_u32 v0, v1, v0, 0x88fffff
                                        ; implicit-def: $vgpr1
	v_lshrrev_b32_e32 v0, 21, v0
	s_and_not1_saveexec_b32 s5, s5
	s_cbranch_execnz .LBB242_3506
.LBB242_3405:
	s_or_b32 exec_lo, exec_lo, s5
	v_mov_b32_e32 v4, 0
	s_and_saveexec_b32 s5, s4
.LBB242_3406:
	v_mov_b32_e32 v4, v0
.LBB242_3407:
	s_or_b32 exec_lo, exec_lo, s5
.LBB242_3408:
	s_delay_alu instid0(SALU_CYCLE_1)
	s_or_b32 exec_lo, exec_lo, s2
	s_mov_b32 s2, 0
	global_store_b8 v[2:3], v4, off
.LBB242_3409:
	s_and_b32 vcc_lo, exec_lo, s2
	s_cbranch_vccz .LBB242_3419
; %bb.3410:
	s_wait_xcnt 0x0
	v_cndmask_b32_e64 v1, 0, 1.0, s1
	s_mov_b32 s2, exec_lo
                                        ; implicit-def: $vgpr0
	s_delay_alu instid0(VALU_DEP_1)
	v_cmpx_gt_u32_e32 0x43f00000, v1
	s_xor_b32 s2, exec_lo, s2
	s_cbranch_execz .LBB242_3416
; %bb.3411:
	s_mov_b32 s4, exec_lo
                                        ; implicit-def: $vgpr0
	v_cmpx_lt_u32_e32 0x3c7fffff, v1
	s_xor_b32 s4, exec_lo, s4
; %bb.3412:
	v_bfe_u32 v0, v1, 20, 1
	s_delay_alu instid0(VALU_DEP_1) | instskip(NEXT) | instid1(VALU_DEP_1)
	v_add3_u32 v0, v1, v0, 0x407ffff
	v_and_b32_e32 v1, 0xff00000, v0
	v_lshrrev_b32_e32 v0, 20, v0
	s_delay_alu instid0(VALU_DEP_2) | instskip(NEXT) | instid1(VALU_DEP_2)
	v_cmp_ne_u32_e32 vcc_lo, 0x7f00000, v1
                                        ; implicit-def: $vgpr1
	v_cndmask_b32_e32 v0, 0x7e, v0, vcc_lo
; %bb.3413:
	s_and_not1_saveexec_b32 s4, s4
; %bb.3414:
	v_add_f32_e32 v0, 0x46800000, v1
; %bb.3415:
	s_or_b32 exec_lo, exec_lo, s4
                                        ; implicit-def: $vgpr1
.LBB242_3416:
	s_and_not1_saveexec_b32 s2, s2
; %bb.3417:
	v_mov_b32_e32 v0, 0x7f
	v_cmp_lt_u32_e32 vcc_lo, 0x7f800000, v1
	s_delay_alu instid0(VALU_DEP_2)
	v_cndmask_b32_e32 v0, 0x7e, v0, vcc_lo
; %bb.3418:
	s_or_b32 exec_lo, exec_lo, s2
	global_store_b8 v[2:3], v0, off
.LBB242_3419:
	s_mov_b32 s2, 0
.LBB242_3420:
	s_delay_alu instid0(SALU_CYCLE_1)
	s_and_not1_b32 vcc_lo, exec_lo, s2
	s_cbranch_vccnz .LBB242_3430
; %bb.3421:
	s_wait_xcnt 0x0
	v_cndmask_b32_e64 v1, 0, 1.0, s1
	s_mov_b32 s2, exec_lo
                                        ; implicit-def: $vgpr0
	s_delay_alu instid0(VALU_DEP_1)
	v_cmpx_gt_u32_e32 0x47800000, v1
	s_xor_b32 s2, exec_lo, s2
	s_cbranch_execz .LBB242_3427
; %bb.3422:
	s_mov_b32 s4, exec_lo
                                        ; implicit-def: $vgpr0
	v_cmpx_lt_u32_e32 0x387fffff, v1
	s_xor_b32 s4, exec_lo, s4
; %bb.3423:
	v_bfe_u32 v0, v1, 21, 1
	s_delay_alu instid0(VALU_DEP_1) | instskip(NEXT) | instid1(VALU_DEP_1)
	v_add3_u32 v0, v1, v0, 0x80fffff
                                        ; implicit-def: $vgpr1
	v_lshrrev_b32_e32 v0, 21, v0
; %bb.3424:
	s_and_not1_saveexec_b32 s4, s4
; %bb.3425:
	v_add_f32_e32 v0, 0x43000000, v1
; %bb.3426:
	s_or_b32 exec_lo, exec_lo, s4
                                        ; implicit-def: $vgpr1
.LBB242_3427:
	s_and_not1_saveexec_b32 s2, s2
; %bb.3428:
	v_mov_b32_e32 v0, 0x7f
	v_cmp_lt_u32_e32 vcc_lo, 0x7f800000, v1
	s_delay_alu instid0(VALU_DEP_2)
	v_cndmask_b32_e32 v0, 0x7c, v0, vcc_lo
; %bb.3429:
	s_or_b32 exec_lo, exec_lo, s2
	global_store_b8 v[2:3], v0, off
.LBB242_3430:
	s_mov_b32 s2, 0
.LBB242_3431:
	s_delay_alu instid0(SALU_CYCLE_1)
	s_and_not1_b32 vcc_lo, exec_lo, s2
	s_mov_b32 s2, 0
	s_cbranch_vccnz .LBB242_3438
; %bb.3432:
	s_cmp_gt_i32 s7, 14
	s_mov_b32 s2, -1
	s_cbranch_scc0 .LBB242_3436
; %bb.3433:
	s_cmp_eq_u32 s7, 15
	s_mov_b32 s0, -1
	s_cbranch_scc0 .LBB242_3435
; %bb.3434:
	s_wait_xcnt 0x0
	v_cndmask_b32_e64 v0, 0, 1.0, s1
	s_mov_b32 s0, 0
	s_delay_alu instid0(VALU_DEP_1) | instskip(NEXT) | instid1(VALU_DEP_1)
	v_bfe_u32 v1, v0, 16, 1
	v_add3_u32 v0, v0, v1, 0x7fff
	global_store_d16_hi_b16 v[2:3], v0, off
.LBB242_3435:
	s_mov_b32 s2, 0
.LBB242_3436:
	s_delay_alu instid0(SALU_CYCLE_1)
	s_and_b32 vcc_lo, exec_lo, s2
	s_mov_b32 s2, 0
	s_cbranch_vccz .LBB242_3438
; %bb.3437:
	s_cmp_lg_u32 s7, 11
	s_mov_b32 s2, -1
	s_cselect_b32 s0, -1, 0
.LBB242_3438:
	s_delay_alu instid0(SALU_CYCLE_1)
	s_and_b32 vcc_lo, exec_lo, s0
	s_cbranch_vccnz .LBB242_3504
.LBB242_3439:
	s_mov_b32 s0, 0
	s_branch .LBB242_3441
.LBB242_3440:
	s_mov_b32 s0, 0
	s_mov_b32 s2, 0
                                        ; implicit-def: $sgpr1
                                        ; implicit-def: $vgpr2_vgpr3
                                        ; implicit-def: $sgpr6
.LBB242_3441:
	s_and_not1_b32 s4, s8, exec_lo
	s_and_b32 s3, s3, exec_lo
	s_and_b32 s0, s0, exec_lo
	s_and_b32 s34, s2, exec_lo
	s_or_b32 s8, s4, s3
.LBB242_3442:
	s_wait_xcnt 0x0
	s_or_b32 exec_lo, exec_lo, s9
	s_and_saveexec_b32 s2, s8
	s_cbranch_execz .LBB242_3445
; %bb.3443:
	; divergent unreachable
	s_or_b32 exec_lo, exec_lo, s2
	s_and_saveexec_b32 s2, s34
	s_delay_alu instid0(SALU_CYCLE_1)
	s_xor_b32 s2, exec_lo, s2
	s_cbranch_execnz .LBB242_3446
.LBB242_3444:
	s_or_b32 exec_lo, exec_lo, s2
	s_and_saveexec_b32 s2, s0
	s_cbranch_execnz .LBB242_3447
	s_branch .LBB242_3484
.LBB242_3445:
	s_or_b32 exec_lo, exec_lo, s2
	s_and_saveexec_b32 s2, s34
	s_delay_alu instid0(SALU_CYCLE_1)
	s_xor_b32 s2, exec_lo, s2
	s_cbranch_execz .LBB242_3444
.LBB242_3446:
	v_cndmask_b32_e64 v0, 0, 1, s1
	s_wait_loadcnt 0x0
	global_store_b8 v[2:3], v0, off
	s_wait_xcnt 0x0
	s_or_b32 exec_lo, exec_lo, s2
	s_and_saveexec_b32 s2, s0
	s_cbranch_execz .LBB242_3484
.LBB242_3447:
	s_sext_i32_i16 s2, s6
	s_mov_b32 s0, -1
	s_cmp_lt_i32 s2, 5
	s_cbranch_scc1 .LBB242_3468
; %bb.3448:
	s_cmp_lt_i32 s2, 8
	s_cbranch_scc1 .LBB242_3458
; %bb.3449:
	;; [unrolled: 3-line block ×3, first 2 shown]
	s_cmp_gt_i32 s2, 9
	s_cbranch_scc0 .LBB242_3452
; %bb.3451:
	v_cndmask_b32_e64 v0, 0, 1, s1
	v_mov_b32_e32 v6, 0
	s_mov_b32 s0, 0
	s_delay_alu instid0(VALU_DEP_2) | instskip(NEXT) | instid1(VALU_DEP_2)
	v_cvt_f64_u32_e32 v[4:5], v0
	v_mov_b32_e32 v7, v6
	s_wait_loadcnt 0x0
	global_store_b128 v[2:3], v[4:7], off
.LBB242_3452:
	s_and_not1_b32 vcc_lo, exec_lo, s0
	s_cbranch_vccnz .LBB242_3454
; %bb.3453:
	v_cndmask_b32_e64 v0, 0, 1.0, s1
	s_wait_loadcnt 0x0
	v_mov_b32_e32 v1, 0
	global_store_b64 v[2:3], v[0:1], off
.LBB242_3454:
	s_mov_b32 s0, 0
.LBB242_3455:
	s_delay_alu instid0(SALU_CYCLE_1)
	s_and_not1_b32 vcc_lo, exec_lo, s0
	s_cbranch_vccnz .LBB242_3457
; %bb.3456:
	s_wait_xcnt 0x0
	v_cndmask_b32_e64 v0, 0, 1.0, s1
	s_delay_alu instid0(VALU_DEP_1) | instskip(NEXT) | instid1(VALU_DEP_1)
	v_cvt_f16_f32_e32 v0, v0
	v_and_b32_e32 v0, 0xffff, v0
	s_wait_loadcnt 0x0
	global_store_b32 v[2:3], v0, off
.LBB242_3457:
	s_mov_b32 s0, 0
.LBB242_3458:
	s_delay_alu instid0(SALU_CYCLE_1)
	s_and_not1_b32 vcc_lo, exec_lo, s0
	s_cbranch_vccnz .LBB242_3467
; %bb.3459:
	s_sext_i32_i16 s2, s6
	s_mov_b32 s0, -1
	s_cmp_lt_i32 s2, 6
	s_cbranch_scc1 .LBB242_3465
; %bb.3460:
	s_cmp_gt_i32 s2, 6
	s_cbranch_scc0 .LBB242_3462
; %bb.3461:
	s_wait_xcnt 0x0
	v_cndmask_b32_e64 v0, 0, 1, s1
	s_mov_b32 s0, 0
	s_wait_loadcnt 0x0
	s_delay_alu instid0(VALU_DEP_1)
	v_cvt_f64_u32_e32 v[0:1], v0
	global_store_b64 v[2:3], v[0:1], off
.LBB242_3462:
	s_and_not1_b32 vcc_lo, exec_lo, s0
	s_cbranch_vccnz .LBB242_3464
; %bb.3463:
	s_wait_xcnt 0x0
	v_cndmask_b32_e64 v0, 0, 1.0, s1
	s_wait_loadcnt 0x0
	global_store_b32 v[2:3], v0, off
.LBB242_3464:
	s_mov_b32 s0, 0
.LBB242_3465:
	s_delay_alu instid0(SALU_CYCLE_1)
	s_and_not1_b32 vcc_lo, exec_lo, s0
	s_cbranch_vccnz .LBB242_3467
; %bb.3466:
	s_wait_xcnt 0x0
	v_cndmask_b32_e64 v0, 0, 1.0, s1
	s_delay_alu instid0(VALU_DEP_1)
	v_cvt_f16_f32_e32 v0, v0
	s_wait_loadcnt 0x0
	global_store_b16 v[2:3], v0, off
.LBB242_3467:
	s_mov_b32 s0, 0
.LBB242_3468:
	s_delay_alu instid0(SALU_CYCLE_1)
	s_and_not1_b32 vcc_lo, exec_lo, s0
	s_cbranch_vccnz .LBB242_3484
; %bb.3469:
	s_sext_i32_i16 s2, s6
	s_mov_b32 s0, -1
	s_cmp_lt_i32 s2, 2
	s_cbranch_scc1 .LBB242_3479
; %bb.3470:
	s_cmp_lt_i32 s2, 3
	s_cbranch_scc1 .LBB242_3476
; %bb.3471:
	s_cmp_gt_i32 s2, 3
	s_cbranch_scc0 .LBB242_3473
; %bb.3472:
	s_mov_b32 s0, 0
	s_wait_xcnt 0x0
	v_cndmask_b32_e64 v0, 0, 1, s1
	s_wait_loadcnt 0x0
	v_mov_b32_e32 v1, s0
	global_store_b64 v[2:3], v[0:1], off
.LBB242_3473:
	s_and_not1_b32 vcc_lo, exec_lo, s0
	s_cbranch_vccnz .LBB242_3475
; %bb.3474:
	s_wait_xcnt 0x0
	v_cndmask_b32_e64 v0, 0, 1, s1
	s_wait_loadcnt 0x0
	global_store_b32 v[2:3], v0, off
.LBB242_3475:
	s_mov_b32 s0, 0
.LBB242_3476:
	s_delay_alu instid0(SALU_CYCLE_1)
	s_and_not1_b32 vcc_lo, exec_lo, s0
	s_cbranch_vccnz .LBB242_3478
; %bb.3477:
	s_wait_xcnt 0x0
	v_cndmask_b32_e64 v0, 0, 1, s1
	s_wait_loadcnt 0x0
	global_store_b16 v[2:3], v0, off
.LBB242_3478:
	s_mov_b32 s0, 0
.LBB242_3479:
	s_delay_alu instid0(SALU_CYCLE_1)
	s_and_not1_b32 vcc_lo, exec_lo, s0
	s_cbranch_vccnz .LBB242_3484
; %bb.3480:
	s_sext_i32_i16 s0, s6
	s_delay_alu instid0(SALU_CYCLE_1)
	s_cmp_gt_i32 s0, 0
	s_mov_b32 s0, -1
	s_cbranch_scc0 .LBB242_3482
; %bb.3481:
	s_wait_xcnt 0x0
	v_cndmask_b32_e64 v0, 0, 1, s1
	s_mov_b32 s0, 0
	s_wait_loadcnt 0x0
	global_store_b8 v[2:3], v0, off
.LBB242_3482:
	s_and_not1_b32 vcc_lo, exec_lo, s0
	s_cbranch_vccnz .LBB242_3484
; %bb.3483:
	s_wait_xcnt 0x0
	v_cndmask_b32_e64 v0, 0, 1, s1
	s_wait_loadcnt 0x0
	global_store_b8 v[2:3], v0, off
	s_endpgm
.LBB242_3484:
	s_endpgm
.LBB242_3485:
	s_mov_b32 s2, 0
	s_mov_b32 s0, -1
	s_branch .LBB242_3441
.LBB242_3486:
	s_or_b32 s3, s3, exec_lo
	s_trap 2
	s_cbranch_execz .LBB242_2860
	s_branch .LBB242_2869
.LBB242_3487:
	s_and_not1_saveexec_b32 s13, s13
	s_cbranch_execz .LBB242_3036
.LBB242_3488:
	v_add_f32_e32 v5, 0x46000000, v8
	s_and_not1_b32 s12, s12, exec_lo
	s_delay_alu instid0(VALU_DEP_1) | instskip(NEXT) | instid1(VALU_DEP_1)
	v_and_b32_e32 v5, 0xff, v5
	v_cmp_ne_u32_e32 vcc_lo, 0, v5
	s_and_b32 s14, vcc_lo, exec_lo
	s_delay_alu instid0(SALU_CYCLE_1)
	s_or_b32 s12, s12, s14
	s_or_b32 exec_lo, exec_lo, s13
	v_mov_b32_e32 v9, 0
	s_and_saveexec_b32 s13, s12
	s_cbranch_execnz .LBB242_3037
	s_branch .LBB242_3038
.LBB242_3489:
	s_or_b32 s3, s3, exec_lo
	s_trap 2
	s_cbranch_execz .LBB242_3084
	s_branch .LBB242_3085
.LBB242_3490:
	s_and_not1_saveexec_b32 s12, s12
	s_cbranch_execz .LBB242_3049
.LBB242_3491:
	v_add_f32_e32 v5, 0x42800000, v8
	s_and_not1_b32 s11, s11, exec_lo
	s_delay_alu instid0(VALU_DEP_1) | instskip(NEXT) | instid1(VALU_DEP_1)
	v_and_b32_e32 v5, 0xff, v5
	v_cmp_ne_u32_e32 vcc_lo, 0, v5
	s_and_b32 s13, vcc_lo, exec_lo
	s_delay_alu instid0(SALU_CYCLE_1)
	s_or_b32 s11, s11, s13
	s_or_b32 exec_lo, exec_lo, s12
	v_mov_b32_e32 v9, 0
	s_and_saveexec_b32 s12, s11
	s_cbranch_execnz .LBB242_3050
	s_branch .LBB242_3051
.LBB242_3492:
	s_and_not1_saveexec_b32 s13, s13
	s_cbranch_execz .LBB242_3154
.LBB242_3493:
	v_add_f32_e32 v3, 0x46000000, v6
	s_and_not1_b32 s12, s12, exec_lo
	s_delay_alu instid0(VALU_DEP_1) | instskip(NEXT) | instid1(VALU_DEP_1)
	v_and_b32_e32 v3, 0xff, v3
	v_cmp_ne_u32_e32 vcc_lo, 0, v3
	s_and_b32 s14, vcc_lo, exec_lo
	s_delay_alu instid0(SALU_CYCLE_1)
	s_or_b32 s12, s12, s14
	s_or_b32 exec_lo, exec_lo, s13
	v_mov_b32_e32 v7, 0
	s_and_saveexec_b32 s13, s12
	s_cbranch_execnz .LBB242_3155
	s_branch .LBB242_3156
.LBB242_3494:
	s_or_b32 s3, s3, exec_lo
	s_trap 2
	s_cbranch_execz .LBB242_3202
	s_branch .LBB242_3203
.LBB242_3495:
	s_and_not1_saveexec_b32 s12, s12
	s_cbranch_execz .LBB242_3167
.LBB242_3496:
	v_add_f32_e32 v3, 0x42800000, v6
	s_and_not1_b32 s11, s11, exec_lo
	s_delay_alu instid0(VALU_DEP_1) | instskip(NEXT) | instid1(VALU_DEP_1)
	v_and_b32_e32 v3, 0xff, v3
	v_cmp_ne_u32_e32 vcc_lo, 0, v3
	s_and_b32 s13, vcc_lo, exec_lo
	s_delay_alu instid0(SALU_CYCLE_1)
	s_or_b32 s11, s11, s13
	s_or_b32 exec_lo, exec_lo, s12
	v_mov_b32_e32 v7, 0
	s_and_saveexec_b32 s12, s11
	s_cbranch_execnz .LBB242_3168
	s_branch .LBB242_3169
.LBB242_3497:
	s_and_not1_saveexec_b32 s13, s13
	s_cbranch_execz .LBB242_3273
.LBB242_3498:
	v_add_f32_e32 v4, 0x46000000, v5
	s_and_not1_b32 s12, s12, exec_lo
	s_delay_alu instid0(VALU_DEP_1) | instskip(NEXT) | instid1(VALU_DEP_1)
	v_and_b32_e32 v4, 0xff, v4
	v_cmp_ne_u32_e32 vcc_lo, 0, v4
	s_and_b32 s14, vcc_lo, exec_lo
	s_delay_alu instid0(SALU_CYCLE_1)
	s_or_b32 s12, s12, s14
	s_or_b32 exec_lo, exec_lo, s13
	v_mov_b32_e32 v6, 0
	s_and_saveexec_b32 s13, s12
	s_cbranch_execnz .LBB242_3274
	s_branch .LBB242_3275
.LBB242_3499:
	s_or_b32 s3, s3, exec_lo
	s_trap 2
	s_cbranch_execz .LBB242_3321
	s_branch .LBB242_3322
.LBB242_3500:
	s_and_not1_saveexec_b32 s12, s12
	s_cbranch_execz .LBB242_3286
.LBB242_3501:
	v_add_f32_e32 v4, 0x42800000, v5
	s_and_not1_b32 s11, s11, exec_lo
	s_delay_alu instid0(VALU_DEP_1) | instskip(NEXT) | instid1(VALU_DEP_1)
	v_and_b32_e32 v4, 0xff, v4
	v_cmp_ne_u32_e32 vcc_lo, 0, v4
	s_and_b32 s13, vcc_lo, exec_lo
	s_delay_alu instid0(SALU_CYCLE_1)
	s_or_b32 s11, s11, s13
	s_or_b32 exec_lo, exec_lo, s12
	v_mov_b32_e32 v6, 0
	s_and_saveexec_b32 s12, s11
	s_cbranch_execnz .LBB242_3287
	s_branch .LBB242_3288
.LBB242_3502:
	s_and_not1_saveexec_b32 s10, s10
	s_cbranch_execz .LBB242_3393
.LBB242_3503:
	v_add_f32_e32 v0, 0x46000000, v1
	s_and_not1_b32 s5, s5, exec_lo
	s_delay_alu instid0(VALU_DEP_1) | instskip(NEXT) | instid1(VALU_DEP_1)
	v_and_b32_e32 v0, 0xff, v0
	v_cmp_ne_u32_e32 vcc_lo, 0, v0
	s_and_b32 s11, vcc_lo, exec_lo
	s_delay_alu instid0(SALU_CYCLE_1)
	s_or_b32 s5, s5, s11
	s_or_b32 exec_lo, exec_lo, s10
	v_mov_b32_e32 v4, 0
	s_and_saveexec_b32 s10, s5
	s_cbranch_execnz .LBB242_3394
	s_branch .LBB242_3395
.LBB242_3504:
	s_mov_b32 s2, 0
	s_or_b32 s3, s3, exec_lo
	s_trap 2
	s_branch .LBB242_3439
.LBB242_3505:
	s_and_not1_saveexec_b32 s5, s5
	s_cbranch_execz .LBB242_3405
.LBB242_3506:
	v_add_f32_e32 v0, 0x42800000, v1
	s_and_not1_b32 s4, s4, exec_lo
	s_delay_alu instid0(VALU_DEP_1) | instskip(NEXT) | instid1(VALU_DEP_1)
	v_and_b32_e32 v0, 0xff, v0
	v_cmp_ne_u32_e32 vcc_lo, 0, v0
	s_and_b32 s10, vcc_lo, exec_lo
	s_delay_alu instid0(SALU_CYCLE_1)
	s_or_b32 s4, s4, s10
	s_or_b32 exec_lo, exec_lo, s5
	v_mov_b32_e32 v4, 0
	s_and_saveexec_b32 s5, s4
	s_cbranch_execnz .LBB242_3406
	s_branch .LBB242_3407
	.section	.rodata,"a",@progbits
	.p2align	6, 0x0
	.amdhsa_kernel _ZN2at6native32elementwise_kernel_manual_unrollILi128ELi4EZNS0_15gpu_kernel_implINS0_13AUnaryFunctorIN3c1011Float8_e5m2ES5_bNS0_12_GLOBAL__N_116CompareEqFunctorIS5_EEEEEEvRNS_18TensorIteratorBaseERKT_EUlibE0_EEviT1_
		.amdhsa_group_segment_fixed_size 0
		.amdhsa_private_segment_fixed_size 0
		.amdhsa_kernarg_size 368
		.amdhsa_user_sgpr_count 2
		.amdhsa_user_sgpr_dispatch_ptr 0
		.amdhsa_user_sgpr_queue_ptr 0
		.amdhsa_user_sgpr_kernarg_segment_ptr 1
		.amdhsa_user_sgpr_dispatch_id 0
		.amdhsa_user_sgpr_kernarg_preload_length 0
		.amdhsa_user_sgpr_kernarg_preload_offset 0
		.amdhsa_user_sgpr_private_segment_size 0
		.amdhsa_wavefront_size32 1
		.amdhsa_uses_dynamic_stack 0
		.amdhsa_enable_private_segment 0
		.amdhsa_system_sgpr_workgroup_id_x 1
		.amdhsa_system_sgpr_workgroup_id_y 0
		.amdhsa_system_sgpr_workgroup_id_z 0
		.amdhsa_system_sgpr_workgroup_info 0
		.amdhsa_system_vgpr_workitem_id 0
		.amdhsa_next_free_vgpr 18
		.amdhsa_next_free_sgpr 72
		.amdhsa_named_barrier_count 0
		.amdhsa_reserve_vcc 1
		.amdhsa_float_round_mode_32 0
		.amdhsa_float_round_mode_16_64 0
		.amdhsa_float_denorm_mode_32 3
		.amdhsa_float_denorm_mode_16_64 3
		.amdhsa_fp16_overflow 0
		.amdhsa_memory_ordered 1
		.amdhsa_forward_progress 1
		.amdhsa_inst_pref_size 255
		.amdhsa_round_robin_scheduling 0
		.amdhsa_exception_fp_ieee_invalid_op 0
		.amdhsa_exception_fp_denorm_src 0
		.amdhsa_exception_fp_ieee_div_zero 0
		.amdhsa_exception_fp_ieee_overflow 0
		.amdhsa_exception_fp_ieee_underflow 0
		.amdhsa_exception_fp_ieee_inexact 0
		.amdhsa_exception_int_div_zero 0
	.end_amdhsa_kernel
	.section	.text._ZN2at6native32elementwise_kernel_manual_unrollILi128ELi4EZNS0_15gpu_kernel_implINS0_13AUnaryFunctorIN3c1011Float8_e5m2ES5_bNS0_12_GLOBAL__N_116CompareEqFunctorIS5_EEEEEEvRNS_18TensorIteratorBaseERKT_EUlibE0_EEviT1_,"axG",@progbits,_ZN2at6native32elementwise_kernel_manual_unrollILi128ELi4EZNS0_15gpu_kernel_implINS0_13AUnaryFunctorIN3c1011Float8_e5m2ES5_bNS0_12_GLOBAL__N_116CompareEqFunctorIS5_EEEEEEvRNS_18TensorIteratorBaseERKT_EUlibE0_EEviT1_,comdat
.Lfunc_end242:
	.size	_ZN2at6native32elementwise_kernel_manual_unrollILi128ELi4EZNS0_15gpu_kernel_implINS0_13AUnaryFunctorIN3c1011Float8_e5m2ES5_bNS0_12_GLOBAL__N_116CompareEqFunctorIS5_EEEEEEvRNS_18TensorIteratorBaseERKT_EUlibE0_EEviT1_, .Lfunc_end242-_ZN2at6native32elementwise_kernel_manual_unrollILi128ELi4EZNS0_15gpu_kernel_implINS0_13AUnaryFunctorIN3c1011Float8_e5m2ES5_bNS0_12_GLOBAL__N_116CompareEqFunctorIS5_EEEEEEvRNS_18TensorIteratorBaseERKT_EUlibE0_EEviT1_
                                        ; -- End function
	.set _ZN2at6native32elementwise_kernel_manual_unrollILi128ELi4EZNS0_15gpu_kernel_implINS0_13AUnaryFunctorIN3c1011Float8_e5m2ES5_bNS0_12_GLOBAL__N_116CompareEqFunctorIS5_EEEEEEvRNS_18TensorIteratorBaseERKT_EUlibE0_EEviT1_.num_vgpr, 18
	.set _ZN2at6native32elementwise_kernel_manual_unrollILi128ELi4EZNS0_15gpu_kernel_implINS0_13AUnaryFunctorIN3c1011Float8_e5m2ES5_bNS0_12_GLOBAL__N_116CompareEqFunctorIS5_EEEEEEvRNS_18TensorIteratorBaseERKT_EUlibE0_EEviT1_.num_agpr, 0
	.set _ZN2at6native32elementwise_kernel_manual_unrollILi128ELi4EZNS0_15gpu_kernel_implINS0_13AUnaryFunctorIN3c1011Float8_e5m2ES5_bNS0_12_GLOBAL__N_116CompareEqFunctorIS5_EEEEEEvRNS_18TensorIteratorBaseERKT_EUlibE0_EEviT1_.numbered_sgpr, 72
	.set _ZN2at6native32elementwise_kernel_manual_unrollILi128ELi4EZNS0_15gpu_kernel_implINS0_13AUnaryFunctorIN3c1011Float8_e5m2ES5_bNS0_12_GLOBAL__N_116CompareEqFunctorIS5_EEEEEEvRNS_18TensorIteratorBaseERKT_EUlibE0_EEviT1_.num_named_barrier, 0
	.set _ZN2at6native32elementwise_kernel_manual_unrollILi128ELi4EZNS0_15gpu_kernel_implINS0_13AUnaryFunctorIN3c1011Float8_e5m2ES5_bNS0_12_GLOBAL__N_116CompareEqFunctorIS5_EEEEEEvRNS_18TensorIteratorBaseERKT_EUlibE0_EEviT1_.private_seg_size, 0
	.set _ZN2at6native32elementwise_kernel_manual_unrollILi128ELi4EZNS0_15gpu_kernel_implINS0_13AUnaryFunctorIN3c1011Float8_e5m2ES5_bNS0_12_GLOBAL__N_116CompareEqFunctorIS5_EEEEEEvRNS_18TensorIteratorBaseERKT_EUlibE0_EEviT1_.uses_vcc, 1
	.set _ZN2at6native32elementwise_kernel_manual_unrollILi128ELi4EZNS0_15gpu_kernel_implINS0_13AUnaryFunctorIN3c1011Float8_e5m2ES5_bNS0_12_GLOBAL__N_116CompareEqFunctorIS5_EEEEEEvRNS_18TensorIteratorBaseERKT_EUlibE0_EEviT1_.uses_flat_scratch, 0
	.set _ZN2at6native32elementwise_kernel_manual_unrollILi128ELi4EZNS0_15gpu_kernel_implINS0_13AUnaryFunctorIN3c1011Float8_e5m2ES5_bNS0_12_GLOBAL__N_116CompareEqFunctorIS5_EEEEEEvRNS_18TensorIteratorBaseERKT_EUlibE0_EEviT1_.has_dyn_sized_stack, 0
	.set _ZN2at6native32elementwise_kernel_manual_unrollILi128ELi4EZNS0_15gpu_kernel_implINS0_13AUnaryFunctorIN3c1011Float8_e5m2ES5_bNS0_12_GLOBAL__N_116CompareEqFunctorIS5_EEEEEEvRNS_18TensorIteratorBaseERKT_EUlibE0_EEviT1_.has_recursion, 0
	.set _ZN2at6native32elementwise_kernel_manual_unrollILi128ELi4EZNS0_15gpu_kernel_implINS0_13AUnaryFunctorIN3c1011Float8_e5m2ES5_bNS0_12_GLOBAL__N_116CompareEqFunctorIS5_EEEEEEvRNS_18TensorIteratorBaseERKT_EUlibE0_EEviT1_.has_indirect_call, 0
	.section	.AMDGPU.csdata,"",@progbits
; Kernel info:
; codeLenInByte = 67000
; TotalNumSgprs: 74
; NumVgprs: 18
; ScratchSize: 0
; MemoryBound: 0
; FloatMode: 240
; IeeeMode: 1
; LDSByteSize: 0 bytes/workgroup (compile time only)
; SGPRBlocks: 0
; VGPRBlocks: 1
; NumSGPRsForWavesPerEU: 74
; NumVGPRsForWavesPerEU: 18
; NamedBarCnt: 0
; Occupancy: 16
; WaveLimiterHint : 1
; COMPUTE_PGM_RSRC2:SCRATCH_EN: 0
; COMPUTE_PGM_RSRC2:USER_SGPR: 2
; COMPUTE_PGM_RSRC2:TRAP_HANDLER: 0
; COMPUTE_PGM_RSRC2:TGID_X_EN: 1
; COMPUTE_PGM_RSRC2:TGID_Y_EN: 0
; COMPUTE_PGM_RSRC2:TGID_Z_EN: 0
; COMPUTE_PGM_RSRC2:TIDIG_COMP_CNT: 0
	.text
	.p2align	2                               ; -- Begin function _ZN2at6native25elementwise_kernel_helperILb0ENS0_13BinaryFunctorIN3c1015Float8_e5m2fnuzES4_bNS0_12_GLOBAL__N_116CompareEqFunctorIS4_EEEENS0_6memory8policies11unroll_baseILi256ESt5arrayIPcLm3EE23TrivialOffsetCalculatorILi2EjESF_ILi1EjENS9_15LoadWithoutCastENS9_16StoreWithoutCastELi16ELi1EEEEEvT0_T1_
	.type	_ZN2at6native25elementwise_kernel_helperILb0ENS0_13BinaryFunctorIN3c1015Float8_e5m2fnuzES4_bNS0_12_GLOBAL__N_116CompareEqFunctorIS4_EEEENS0_6memory8policies11unroll_baseILi256ESt5arrayIPcLm3EE23TrivialOffsetCalculatorILi2EjESF_ILi1EjENS9_15LoadWithoutCastENS9_16StoreWithoutCastELi16ELi1EEEEEvT0_T1_,@function
_ZN2at6native25elementwise_kernel_helperILb0ENS0_13BinaryFunctorIN3c1015Float8_e5m2fnuzES4_bNS0_12_GLOBAL__N_116CompareEqFunctorIS4_EEEENS0_6memory8policies11unroll_baseILi256ESt5arrayIPcLm3EE23TrivialOffsetCalculatorILi2EjESF_ILi1EjENS9_15LoadWithoutCastENS9_16StoreWithoutCastELi16ELi1EEEEEvT0_T1_: ; @_ZN2at6native25elementwise_kernel_helperILb0ENS0_13BinaryFunctorIN3c1015Float8_e5m2fnuzES4_bNS0_12_GLOBAL__N_116CompareEqFunctorIS4_EEEENS0_6memory8policies11unroll_baseILi256ESt5arrayIPcLm3EE23TrivialOffsetCalculatorILi2EjESF_ILi1EjENS9_15LoadWithoutCastENS9_16StoreWithoutCastELi16ELi1EEEEEvT0_T1_
; %bb.0:
	s_wait_loadcnt_dscnt 0x0
	s_wait_kmcnt 0x0
	s_bfe_u32 s0, ttmp6, 0x4000c
	s_and_b32 s1, ttmp6, 15
	s_add_co_i32 s0, s0, 1
	s_getreg_b32 s2, hwreg(HW_REG_IB_STS2, 6, 4)
	s_mul_i32 s0, ttmp9, s0
	v_dual_mov_b32 v17, v6 :: v_dual_mov_b32 v16, v5
	s_add_co_i32 s1, s1, s0
	s_cmp_eq_u32 s2, 0
	v_and_b32_e32 v6, 0x3ff, v31
	s_cselect_b32 s0, ttmp9, s1
	v_dual_mov_b32 v19, v4 :: v_dual_mov_b32 v18, v3
	s_lshl_b32 s2, s0, 12
	v_dual_mov_b32 v9, v2 :: v_dual_mov_b32 v8, v1
	v_cmp_lt_i32_e32 vcc_lo, v6, v7
	v_dual_mov_b32 v2, 0 :: v_dual_bitop2_b32 v10, s2, v6 bitop3:0x54
	v_dual_mov_b32 v5, 0 :: v_dual_add_nc_u32 v24, 0x100, v6
	v_dual_mov_b32 v12, 0 :: v_dual_mov_b32 v14, 0
	v_dual_mov_b32 v13, 0 :: v_dual_mov_b32 v26, 0
	;; [unrolled: 1-line block ×15, first 2 shown]
	v_mov_b32_e32 v65, 0
	s_and_saveexec_b32 s1, vcc_lo
	s_cbranch_execz .LBB243_32
; %bb.1:
	v_mov_b32_e32 v11, 0
	s_delay_alu instid0(VALU_DEP_1) | instskip(SKIP_2) | instid1(VALU_DEP_3)
	v_dual_mov_b32 v64, v11 :: v_dual_add_nc_u32 v1, 0x100, v6
	v_add_nc_u64_e32 v[4:5], v[18:19], v[10:11]
	v_add_nc_u64_e32 v[12:13], v[16:17], v[10:11]
	v_cmp_lt_u32_e64 s0, v1, v7
	v_dual_mov_b32 v15, v11 :: v_dual_mov_b32 v55, v11
	v_dual_mov_b32 v53, v11 :: v_dual_mov_b32 v54, v11
	flat_load_u8 v66, v[4:5]
	flat_load_u8 v65, v[12:13]
	v_dual_mov_b32 v51, v11 :: v_dual_mov_b32 v52, v11
	v_dual_mov_b32 v49, v11 :: v_dual_mov_b32 v50, v11
	;; [unrolled: 1-line block ×10, first 2 shown]
	s_wait_xcnt 0x0
	v_dual_mov_b32 v13, v11 :: v_dual_mov_b32 v14, v11
	v_dual_mov_b32 v5, v11 :: v_dual_mov_b32 v12, v11
	s_and_saveexec_b32 s3, s0
	s_cbranch_execz .LBB243_31
; %bb.2:
	v_dual_mov_b32 v15, 0 :: v_dual_add_nc_u32 v14, s2, v6
	s_delay_alu instid0(VALU_DEP_1) | instskip(NEXT) | instid1(VALU_DEP_2)
	v_dual_mov_b32 v54, v15 :: v_dual_add_nc_u32 v1, 0x200, v6
	v_add_nc_u64_e32 v[20:21], v[18:19], v[14:15]
	v_add_nc_u64_e32 v[22:23], v[16:17], v[14:15]
	s_delay_alu instid0(VALU_DEP_3)
	v_cmp_lt_u32_e64 s0, v1, v7
	v_dual_mov_b32 v55, v15 :: v_dual_mov_b32 v53, v15
	flat_load_u8 v64, v[20:21] offset:256
	flat_load_u8 v11, v[22:23] offset:256
	v_dual_mov_b32 v51, v15 :: v_dual_mov_b32 v52, v15
	v_dual_mov_b32 v49, v15 :: v_dual_mov_b32 v50, v15
	;; [unrolled: 1-line block ×12, first 2 shown]
	s_wait_xcnt 0x0
	s_and_saveexec_b32 s4, s0
	s_cbranch_execz .LBB243_30
; %bb.3:
	flat_load_u8 v55, v[20:21] offset:512
	flat_load_u8 v15, v[22:23] offset:512
	v_dual_mov_b32 v54, 0 :: v_dual_add_nc_u32 v1, 0x300, v6
	v_dual_mov_b32 v53, 0 :: v_dual_mov_b32 v51, 0
	v_dual_mov_b32 v52, 0 :: v_dual_mov_b32 v49, 0
	s_delay_alu instid0(VALU_DEP_3)
	v_cmp_lt_u32_e64 s0, v1, v7
	v_dual_mov_b32 v50, 0 :: v_dual_mov_b32 v39, 0
	v_dual_mov_b32 v48, 0 :: v_dual_mov_b32 v37, 0
	;; [unrolled: 1-line block ×10, first 2 shown]
	v_mov_b32_e32 v12, 0
	s_wait_xcnt 0x0
	s_and_saveexec_b32 s5, s0
	s_cbranch_execz .LBB243_29
; %bb.4:
	flat_load_u8 v54, v[20:21] offset:768
	flat_load_u8 v53, v[22:23] offset:768
	v_or_b32_e32 v1, 0x400, v6
	v_dual_mov_b32 v51, 0 :: v_dual_mov_b32 v52, 0
	v_dual_mov_b32 v49, 0 :: v_dual_mov_b32 v50, 0
	s_delay_alu instid0(VALU_DEP_3)
	v_cmp_lt_u32_e64 s0, v1, v7
	v_dual_mov_b32 v39, 0 :: v_dual_mov_b32 v48, 0
	v_dual_mov_b32 v37, 0 :: v_dual_mov_b32 v38, 0
	;; [unrolled: 1-line block ×10, first 2 shown]
	s_wait_xcnt 0x0
	s_and_saveexec_b32 s6, s0
	s_cbranch_execz .LBB243_28
; %bb.5:
	flat_load_u8 v52, v[20:21] offset:1024
	flat_load_u8 v51, v[22:23] offset:1024
	v_dual_mov_b32 v50, 0 :: v_dual_add_nc_u32 v1, 0x500, v6
	v_dual_mov_b32 v49, 0 :: v_dual_mov_b32 v39, 0
	v_dual_mov_b32 v48, 0 :: v_dual_mov_b32 v37, 0
	s_delay_alu instid0(VALU_DEP_3)
	v_cmp_lt_u32_e64 s0, v1, v7
	v_dual_mov_b32 v38, 0 :: v_dual_mov_b32 v35, 0
	v_dual_mov_b32 v36, 0 :: v_dual_mov_b32 v33, 0
	;; [unrolled: 1-line block ×8, first 2 shown]
	v_mov_b32_e32 v12, 0
	s_wait_xcnt 0x0
	s_and_saveexec_b32 s7, s0
	s_cbranch_execz .LBB243_27
; %bb.6:
	flat_load_u8 v50, v[20:21] offset:1280
	flat_load_u8 v49, v[22:23] offset:1280
	v_dual_mov_b32 v48, 0 :: v_dual_add_nc_u32 v1, 0x600, v6
	v_dual_mov_b32 v39, 0 :: v_dual_mov_b32 v37, 0
	v_dual_mov_b32 v38, 0 :: v_dual_mov_b32 v35, 0
	s_delay_alu instid0(VALU_DEP_3)
	v_cmp_lt_u32_e64 s0, v1, v7
	v_dual_mov_b32 v36, 0 :: v_dual_mov_b32 v33, 0
	v_dual_mov_b32 v34, 0 :: v_dual_mov_b32 v31, 0
	;; [unrolled: 1-line block ×7, first 2 shown]
	v_mov_b32_e32 v12, 0
	s_wait_xcnt 0x0
	s_and_saveexec_b32 s8, s0
	s_cbranch_execz .LBB243_26
; %bb.7:
	flat_load_u8 v48, v[20:21] offset:1536
	flat_load_u8 v39, v[22:23] offset:1536
	v_dual_mov_b32 v38, 0 :: v_dual_add_nc_u32 v1, 0x700, v6
	v_dual_mov_b32 v37, 0 :: v_dual_mov_b32 v35, 0
	v_dual_mov_b32 v36, 0 :: v_dual_mov_b32 v33, 0
	;; [unrolled: 1-line block ×8, first 2 shown]
	v_mov_b32_e32 v12, 0
	s_mov_b32 s9, exec_lo
	s_wait_xcnt 0x0
	v_cmpx_lt_u32_e64 v1, v7
	s_cbranch_execz .LBB243_25
; %bb.8:
	flat_load_u8 v38, v[20:21] offset:1792
	flat_load_u8 v37, v[22:23] offset:1792
	v_or_b32_e32 v1, 0x800, v6
	v_dual_mov_b32 v35, 0 :: v_dual_mov_b32 v36, 0
	v_dual_mov_b32 v33, 0 :: v_dual_mov_b32 v34, 0
	;; [unrolled: 1-line block ×8, first 2 shown]
	s_mov_b32 s10, exec_lo
	s_wait_xcnt 0x0
	v_cmpx_lt_u32_e64 v1, v7
	s_cbranch_execz .LBB243_24
; %bb.9:
	flat_load_u8 v36, v[20:21] offset:2048
	flat_load_u8 v35, v[22:23] offset:2048
	v_dual_mov_b32 v34, 0 :: v_dual_add_nc_u32 v1, 0x900, v6
	v_dual_mov_b32 v33, 0 :: v_dual_mov_b32 v31, 0
	v_dual_mov_b32 v32, 0 :: v_dual_mov_b32 v29, 0
	;; [unrolled: 1-line block ×6, first 2 shown]
	v_mov_b32_e32 v12, 0
	s_mov_b32 s11, exec_lo
	s_wait_xcnt 0x0
	v_cmpx_lt_u32_e64 v1, v7
	s_cbranch_execz .LBB243_23
; %bb.10:
	flat_load_u8 v34, v[20:21] offset:2304
	flat_load_u8 v33, v[22:23] offset:2304
	v_dual_mov_b32 v32, 0 :: v_dual_add_nc_u32 v1, 0xa00, v6
	v_dual_mov_b32 v31, 0 :: v_dual_mov_b32 v29, 0
	v_dual_mov_b32 v30, 0 :: v_dual_mov_b32 v27, 0
	;; [unrolled: 1-line block ×5, first 2 shown]
	v_mov_b32_e32 v12, 0
	s_mov_b32 s12, exec_lo
	s_wait_xcnt 0x0
	v_cmpx_lt_u32_e64 v1, v7
	s_cbranch_execz .LBB243_22
; %bb.11:
	flat_load_u8 v32, v[20:21] offset:2560
	flat_load_u8 v31, v[22:23] offset:2560
	v_dual_mov_b32 v30, 0 :: v_dual_add_nc_u32 v1, 0xb00, v6
	v_dual_mov_b32 v29, 0 :: v_dual_mov_b32 v27, 0
	v_dual_mov_b32 v28, 0 :: v_dual_mov_b32 v25, 0
	;; [unrolled: 1-line block ×4, first 2 shown]
	v_mov_b32_e32 v12, 0
	s_mov_b32 s13, exec_lo
	s_wait_xcnt 0x0
	v_cmpx_lt_u32_e64 v1, v7
	s_cbranch_execz .LBB243_21
; %bb.12:
	flat_load_u8 v30, v[20:21] offset:2816
	flat_load_u8 v29, v[22:23] offset:2816
	v_or_b32_e32 v1, 0xc00, v6
	v_dual_mov_b32 v27, 0 :: v_dual_mov_b32 v28, 0
	v_dual_mov_b32 v25, 0 :: v_dual_mov_b32 v26, 0
	;; [unrolled: 1-line block ×4, first 2 shown]
	s_mov_b32 s14, exec_lo
	s_wait_xcnt 0x0
	v_cmpx_lt_u32_e64 v1, v7
	s_cbranch_execz .LBB243_20
; %bb.13:
	flat_load_u8 v28, v[20:21] offset:3072
	flat_load_u8 v27, v[22:23] offset:3072
	v_dual_mov_b32 v26, 0 :: v_dual_add_nc_u32 v1, 0xd00, v6
	v_dual_mov_b32 v25, 0 :: v_dual_mov_b32 v13, 0
	v_dual_mov_b32 v14, 0 :: v_dual_mov_b32 v5, 0
	v_mov_b32_e32 v12, 0
	s_mov_b32 s15, exec_lo
	s_wait_xcnt 0x0
	v_cmpx_lt_u32_e64 v1, v7
	s_cbranch_execz .LBB243_19
; %bb.14:
	v_dual_mov_b32 v13, 0 :: v_dual_add_nc_u32 v12, s2, v1
	v_add_nc_u32_e32 v1, 0xe00, v6
	s_mov_b32 s16, exec_lo
	s_delay_alu instid0(VALU_DEP_2)
	v_add_nc_u64_e32 v[4:5], v[18:19], v[12:13]
	v_add_nc_u64_e32 v[20:21], v[16:17], v[12:13]
	v_mov_b32_e32 v14, v13
	flat_load_u8 v26, v[4:5]
	flat_load_u8 v25, v[20:21]
	s_wait_xcnt 0x1
	v_dual_mov_b32 v5, v13 :: v_dual_mov_b32 v12, v13
	s_wait_xcnt 0x0
	v_cmpx_lt_u32_e64 v1, v7
	s_cbranch_execz .LBB243_18
; %bb.15:
	v_dual_mov_b32 v5, 0 :: v_dual_add_nc_u32 v4, s2, v1
	v_add_nc_u32_e32 v1, 0xf00, v6
	s_mov_b32 s17, exec_lo
	s_delay_alu instid0(VALU_DEP_2)
	v_add_nc_u64_e32 v[20:21], v[18:19], v[4:5]
	v_add_nc_u64_e32 v[22:23], v[16:17], v[4:5]
	v_mov_b32_e32 v12, v5
	flat_load_u8 v14, v[20:21]
	flat_load_u8 v13, v[22:23]
	s_wait_xcnt 0x0
	v_cmpx_lt_u32_e64 v1, v7
	s_cbranch_execz .LBB243_17
; %bb.16:
	v_dual_mov_b32 v5, 0 :: v_dual_add_nc_u32 v4, s2, v1
	s_delay_alu instid0(VALU_DEP_1)
	v_add_nc_u64_e32 v[18:19], v[18:19], v[4:5]
	v_add_nc_u64_e32 v[16:17], v[16:17], v[4:5]
	flat_load_u8 v12, v[18:19]
	flat_load_u8 v5, v[16:17]
.LBB243_17:
	s_wait_xcnt 0x0
	s_or_b32 exec_lo, exec_lo, s17
.LBB243_18:
	s_delay_alu instid0(SALU_CYCLE_1)
	s_or_b32 exec_lo, exec_lo, s16
.LBB243_19:
	s_delay_alu instid0(SALU_CYCLE_1)
	s_or_b32 exec_lo, exec_lo, s15
.LBB243_20:
	s_delay_alu instid0(SALU_CYCLE_1)
	s_or_b32 exec_lo, exec_lo, s14
.LBB243_21:
	s_delay_alu instid0(SALU_CYCLE_1)
	s_or_b32 exec_lo, exec_lo, s13
.LBB243_22:
	s_delay_alu instid0(SALU_CYCLE_1)
	s_or_b32 exec_lo, exec_lo, s12
.LBB243_23:
	s_delay_alu instid0(SALU_CYCLE_1)
	s_or_b32 exec_lo, exec_lo, s11
.LBB243_24:
	s_delay_alu instid0(SALU_CYCLE_1)
	s_or_b32 exec_lo, exec_lo, s10
.LBB243_25:
	s_delay_alu instid0(SALU_CYCLE_1)
	s_or_b32 exec_lo, exec_lo, s9
.LBB243_26:
	s_delay_alu instid0(SALU_CYCLE_1)
	s_or_b32 exec_lo, exec_lo, s8
.LBB243_27:
	s_delay_alu instid0(SALU_CYCLE_1)
	s_or_b32 exec_lo, exec_lo, s7
.LBB243_28:
	s_delay_alu instid0(SALU_CYCLE_1)
	s_or_b32 exec_lo, exec_lo, s6
.LBB243_29:
	s_delay_alu instid0(SALU_CYCLE_1)
	s_or_b32 exec_lo, exec_lo, s5
.LBB243_30:
	s_delay_alu instid0(SALU_CYCLE_1)
	s_or_b32 exec_lo, exec_lo, s4
.LBB243_31:
	s_delay_alu instid0(SALU_CYCLE_1)
	s_or_b32 exec_lo, exec_lo, s3
.LBB243_32:
	s_delay_alu instid0(SALU_CYCLE_1)
	s_or_b32 exec_lo, exec_lo, s1
	v_cmp_ne_u32_e64 s0, 0, v0
	v_dual_mov_b32 v1, v2 :: v_dual_mov_b32 v4, v2
	v_mov_b32_e32 v3, v2
	s_and_saveexec_b32 s3, vcc_lo
	s_cbranch_execz .LBB243_54
; %bb.33:
                                        ; implicit-def: $sgpr4
	s_and_saveexec_b32 s1, s0
	s_delay_alu instid0(SALU_CYCLE_1)
	s_xor_b32 s5, exec_lo, s1
	s_cbranch_execz .LBB243_43
; %bb.34:
	s_wait_loadcnt_dscnt 0x101
	v_and_b32_e32 v1, 0xff, v66
	s_mov_b32 s4, 0
	s_mov_b32 s6, exec_lo
	s_delay_alu instid0(VALU_DEP_1)
	v_cmpx_lt_i16_e32 0x7f, v1
	s_xor_b32 s6, exec_lo, s6
	s_cbranch_execnz .LBB243_417
; %bb.35:
	s_or_saveexec_b32 s6, s6
	v_mov_b32_e32 v0, 0x7f800001
	s_xor_b32 exec_lo, exec_lo, s6
	s_cbranch_execnz .LBB243_420
.LBB243_36:
	s_or_b32 exec_lo, exec_lo, s6
	s_and_saveexec_b32 s6, s4
	s_cbranch_execz .LBB243_38
.LBB243_37:
	v_and_b32_e32 v0, 3, v66
	v_lshrrev_b16 v2, 2, v66
	v_lshlrev_b32_e32 v4, 24, v66
	s_delay_alu instid0(VALU_DEP_3) | instskip(NEXT) | instid1(VALU_DEP_1)
	v_clz_i32_u32_e32 v1, v0
	v_min_u32_e32 v1, 32, v1
	s_delay_alu instid0(VALU_DEP_4) | instskip(NEXT) | instid1(VALU_DEP_2)
	v_and_b32_e32 v2, 31, v2
	v_subrev_nc_u32_e32 v3, 29, v1
	v_sub_nc_u32_e32 v1, 30, v1
	s_delay_alu instid0(VALU_DEP_3) | instskip(NEXT) | instid1(VALU_DEP_3)
	v_cmp_eq_u32_e64 s1, 0, v2
	v_lshlrev_b32_e32 v3, v3, v66
	s_delay_alu instid0(VALU_DEP_1) | instskip(SKIP_1) | instid1(VALU_DEP_2)
	v_dual_cndmask_b32 v1, v2, v1, s1 :: v_dual_bitop2_b32 v3, 3, v3 bitop3:0x40
	v_and_b32_e32 v2, 0x80000000, v4
	v_cndmask_b32_e64 v0, v0, v3, s1
	s_delay_alu instid0(VALU_DEP_3) | instskip(NEXT) | instid1(VALU_DEP_2)
	v_lshl_add_u32 v1, v1, 23, 0x37800000
	v_lshlrev_b32_e32 v0, 21, v0
	s_delay_alu instid0(VALU_DEP_1)
	v_or3_b32 v0, v2, v1, v0
.LBB243_38:
	s_or_b32 exec_lo, exec_lo, s6
	s_wait_loadcnt_dscnt 0x0
	v_and_b32_e32 v2, 0xff, v65
	s_mov_b32 s4, 0
	s_mov_b32 s6, exec_lo
	s_delay_alu instid0(VALU_DEP_1)
	v_cmpx_lt_i16_e32 0x7f, v2
	s_xor_b32 s6, exec_lo, s6
	s_cbranch_execnz .LBB243_421
; %bb.39:
	s_or_saveexec_b32 s6, s6
	v_mov_b32_e32 v1, 0x7f800001
	s_xor_b32 exec_lo, exec_lo, s6
	s_cbranch_execnz .LBB243_424
.LBB243_40:
	s_or_b32 exec_lo, exec_lo, s6
	s_and_saveexec_b32 s6, s4
	s_cbranch_execz .LBB243_42
.LBB243_41:
	v_and_b32_e32 v1, 3, v65
	v_lshrrev_b16 v3, 2, v65
	v_lshlrev_b32_e32 v16, 24, v65
	s_delay_alu instid0(VALU_DEP_3) | instskip(NEXT) | instid1(VALU_DEP_1)
	v_clz_i32_u32_e32 v2, v1
	v_min_u32_e32 v2, 32, v2
	s_delay_alu instid0(VALU_DEP_4) | instskip(NEXT) | instid1(VALU_DEP_2)
	v_and_b32_e32 v3, 31, v3
	v_subrev_nc_u32_e32 v4, 29, v2
	v_sub_nc_u32_e32 v2, 30, v2
	s_delay_alu instid0(VALU_DEP_3) | instskip(NEXT) | instid1(VALU_DEP_3)
	v_cmp_eq_u32_e64 s1, 0, v3
	v_lshlrev_b32_e32 v4, v4, v65
	s_delay_alu instid0(VALU_DEP_1) | instskip(SKIP_1) | instid1(VALU_DEP_2)
	v_dual_cndmask_b32 v2, v3, v2, s1 :: v_dual_bitop2_b32 v4, 3, v4 bitop3:0x40
	v_and_b32_e32 v3, 0x80000000, v16
	v_cndmask_b32_e64 v1, v1, v4, s1
	s_delay_alu instid0(VALU_DEP_3) | instskip(NEXT) | instid1(VALU_DEP_2)
	v_lshl_add_u32 v2, v2, 23, 0x37800000
	v_lshlrev_b32_e32 v1, 21, v1
	s_delay_alu instid0(VALU_DEP_1)
	v_or3_b32 v1, v3, v2, v1
.LBB243_42:
	s_or_b32 exec_lo, exec_lo, s6
	s_delay_alu instid0(VALU_DEP_1)
	v_cmp_neq_f32_e64 s4, v0, v1
                                        ; implicit-def: $vgpr65
                                        ; implicit-def: $vgpr66
.LBB243_43:
	s_and_not1_saveexec_b32 s5, s5
	s_cbranch_execz .LBB243_53
; %bb.44:
	s_wait_loadcnt_dscnt 0x101
	v_and_b32_e32 v1, 0xff, v66
	s_mov_b32 s6, 0
	s_mov_b32 s7, exec_lo
	s_delay_alu instid0(VALU_DEP_1)
	v_cmpx_lt_i16_e32 0x7f, v1
	s_xor_b32 s7, exec_lo, s7
	s_cbranch_execnz .LBB243_425
; %bb.45:
	s_or_saveexec_b32 s7, s7
	v_mov_b32_e32 v0, 0x7f800001
	s_xor_b32 exec_lo, exec_lo, s7
	s_cbranch_execnz .LBB243_428
.LBB243_46:
	s_or_b32 exec_lo, exec_lo, s7
	s_and_saveexec_b32 s7, s6
	s_cbranch_execz .LBB243_48
.LBB243_47:
	v_and_b32_e32 v0, 3, v66
	v_lshrrev_b16 v2, 2, v66
	v_lshlrev_b32_e32 v4, 24, v66
	s_delay_alu instid0(VALU_DEP_3) | instskip(NEXT) | instid1(VALU_DEP_1)
	v_clz_i32_u32_e32 v1, v0
	v_min_u32_e32 v1, 32, v1
	s_delay_alu instid0(VALU_DEP_4) | instskip(NEXT) | instid1(VALU_DEP_2)
	v_and_b32_e32 v2, 31, v2
	v_subrev_nc_u32_e32 v3, 29, v1
	v_sub_nc_u32_e32 v1, 30, v1
	s_delay_alu instid0(VALU_DEP_3) | instskip(NEXT) | instid1(VALU_DEP_3)
	v_cmp_eq_u32_e64 s1, 0, v2
	v_lshlrev_b32_e32 v3, v3, v66
	s_delay_alu instid0(VALU_DEP_1) | instskip(SKIP_1) | instid1(VALU_DEP_2)
	v_dual_cndmask_b32 v1, v2, v1, s1 :: v_dual_bitop2_b32 v3, 3, v3 bitop3:0x40
	v_and_b32_e32 v2, 0x80000000, v4
	v_cndmask_b32_e64 v0, v0, v3, s1
	s_delay_alu instid0(VALU_DEP_3) | instskip(NEXT) | instid1(VALU_DEP_2)
	v_lshl_add_u32 v1, v1, 23, 0x37800000
	v_lshlrev_b32_e32 v0, 21, v0
	s_delay_alu instid0(VALU_DEP_1)
	v_or3_b32 v0, v2, v1, v0
.LBB243_48:
	s_or_b32 exec_lo, exec_lo, s7
	s_wait_loadcnt_dscnt 0x0
	v_and_b32_e32 v2, 0xff, v65
	s_mov_b32 s6, 0
	s_mov_b32 s7, exec_lo
	s_delay_alu instid0(VALU_DEP_1)
	v_cmpx_lt_i16_e32 0x7f, v2
	s_xor_b32 s7, exec_lo, s7
	s_cbranch_execnz .LBB243_429
; %bb.49:
	s_or_saveexec_b32 s7, s7
	v_mov_b32_e32 v1, 0x7f800001
	s_xor_b32 exec_lo, exec_lo, s7
	s_cbranch_execnz .LBB243_432
.LBB243_50:
	s_or_b32 exec_lo, exec_lo, s7
	s_and_saveexec_b32 s7, s6
	s_cbranch_execz .LBB243_52
.LBB243_51:
	v_and_b32_e32 v1, 3, v65
	v_lshrrev_b16 v3, 2, v65
	v_lshlrev_b32_e32 v16, 24, v65
	s_delay_alu instid0(VALU_DEP_3) | instskip(NEXT) | instid1(VALU_DEP_1)
	v_clz_i32_u32_e32 v2, v1
	v_min_u32_e32 v2, 32, v2
	s_delay_alu instid0(VALU_DEP_4) | instskip(NEXT) | instid1(VALU_DEP_2)
	v_and_b32_e32 v3, 31, v3
	v_subrev_nc_u32_e32 v4, 29, v2
	v_sub_nc_u32_e32 v2, 30, v2
	s_delay_alu instid0(VALU_DEP_3) | instskip(NEXT) | instid1(VALU_DEP_3)
	v_cmp_eq_u32_e64 s1, 0, v3
	v_lshlrev_b32_e32 v4, v4, v65
	s_delay_alu instid0(VALU_DEP_1) | instskip(SKIP_1) | instid1(VALU_DEP_2)
	v_dual_cndmask_b32 v2, v3, v2, s1 :: v_dual_bitop2_b32 v4, 3, v4 bitop3:0x40
	v_and_b32_e32 v3, 0x80000000, v16
	v_cndmask_b32_e64 v1, v1, v4, s1
	s_delay_alu instid0(VALU_DEP_3) | instskip(NEXT) | instid1(VALU_DEP_2)
	v_lshl_add_u32 v2, v2, 23, 0x37800000
	v_lshlrev_b32_e32 v1, 21, v1
	s_delay_alu instid0(VALU_DEP_1)
	v_or3_b32 v1, v3, v2, v1
.LBB243_52:
	s_or_b32 exec_lo, exec_lo, s7
	s_delay_alu instid0(VALU_DEP_1) | instskip(SKIP_2) | instid1(SALU_CYCLE_1)
	v_cmp_eq_f32_e64 s1, v0, v1
	s_and_not1_b32 s4, s4, exec_lo
	s_and_b32 s1, s1, exec_lo
	s_or_b32 s4, s4, s1
.LBB243_53:
	s_or_b32 exec_lo, exec_lo, s5
	s_delay_alu instid0(VALU_DEP_1) | instskip(SKIP_1) | instid1(VALU_DEP_2)
	v_cndmask_b32_e64 v0, 0, 1, s4
	v_mov_b32_e32 v1, 0
	v_and_b32_e32 v2, 0xffff, v0
	s_delay_alu instid0(VALU_DEP_2)
	v_dual_mov_b32 v4, v1 :: v_dual_mov_b32 v3, v1
.LBB243_54:
	s_or_b32 exec_lo, exec_lo, s3
	s_delay_alu instid0(SALU_CYCLE_1)
	s_mov_b32 s3, exec_lo
	v_cmpx_lt_i32_e64 v24, v7
	s_cbranch_execz .LBB243_76
; %bb.55:
                                        ; implicit-def: $sgpr4
	s_and_saveexec_b32 s1, s0
	s_delay_alu instid0(SALU_CYCLE_1)
	s_xor_b32 s5, exec_lo, s1
	s_cbranch_execz .LBB243_65
; %bb.56:
	s_wait_loadcnt_dscnt 0x101
	v_and_b32_e32 v16, 0xff, v64
	s_mov_b32 s4, 0
	s_mov_b32 s6, exec_lo
	s_delay_alu instid0(VALU_DEP_1)
	v_cmpx_lt_i16_e32 0x7f, v16
	s_xor_b32 s6, exec_lo, s6
	s_cbranch_execnz .LBB243_433
; %bb.57:
	s_or_saveexec_b32 s6, s6
	v_mov_b32_e32 v0, 0x7f800001
	s_xor_b32 exec_lo, exec_lo, s6
	s_cbranch_execnz .LBB243_436
.LBB243_58:
	s_or_b32 exec_lo, exec_lo, s6
	s_and_saveexec_b32 s6, s4
	s_cbranch_execz .LBB243_60
.LBB243_59:
	v_and_b32_e32 v0, 3, v64
	v_lshrrev_b16 v17, 2, v64
	v_lshlrev_b32_e32 v19, 24, v64
	s_delay_alu instid0(VALU_DEP_3) | instskip(NEXT) | instid1(VALU_DEP_1)
	v_clz_i32_u32_e32 v16, v0
	v_min_u32_e32 v16, 32, v16
	s_delay_alu instid0(VALU_DEP_4) | instskip(NEXT) | instid1(VALU_DEP_2)
	v_and_b32_e32 v17, 31, v17
	v_subrev_nc_u32_e32 v18, 29, v16
	v_sub_nc_u32_e32 v16, 30, v16
	s_delay_alu instid0(VALU_DEP_3) | instskip(NEXT) | instid1(VALU_DEP_3)
	v_cmp_eq_u32_e64 s1, 0, v17
	v_lshlrev_b32_e32 v18, v18, v64
	s_delay_alu instid0(VALU_DEP_1) | instskip(SKIP_1) | instid1(VALU_DEP_2)
	v_dual_cndmask_b32 v16, v17, v16, s1 :: v_dual_bitop2_b32 v18, 3, v18 bitop3:0x40
	v_and_b32_e32 v17, 0x80000000, v19
	v_cndmask_b32_e64 v0, v0, v18, s1
	s_delay_alu instid0(VALU_DEP_3) | instskip(NEXT) | instid1(VALU_DEP_2)
	v_lshl_add_u32 v16, v16, 23, 0x37800000
	v_lshlrev_b32_e32 v0, 21, v0
	s_delay_alu instid0(VALU_DEP_1)
	v_or3_b32 v0, v17, v16, v0
.LBB243_60:
	s_or_b32 exec_lo, exec_lo, s6
	s_wait_loadcnt_dscnt 0x0
	v_and_b32_e32 v17, 0xff, v11
	s_mov_b32 s4, 0
	s_mov_b32 s6, exec_lo
	s_delay_alu instid0(VALU_DEP_1)
	v_cmpx_lt_i16_e32 0x7f, v17
	s_xor_b32 s6, exec_lo, s6
	s_cbranch_execnz .LBB243_437
; %bb.61:
	s_or_saveexec_b32 s6, s6
	v_mov_b32_e32 v16, 0x7f800001
	s_xor_b32 exec_lo, exec_lo, s6
	s_cbranch_execnz .LBB243_440
.LBB243_62:
	s_or_b32 exec_lo, exec_lo, s6
	s_and_saveexec_b32 s6, s4
	s_cbranch_execz .LBB243_64
.LBB243_63:
	v_and_b32_e32 v16, 3, v11
	v_lshrrev_b16 v18, 2, v11
	s_delay_alu instid0(VALU_DEP_2) | instskip(NEXT) | instid1(VALU_DEP_1)
	v_clz_i32_u32_e32 v17, v16
	v_min_u32_e32 v17, 32, v17
	s_delay_alu instid0(VALU_DEP_3) | instskip(NEXT) | instid1(VALU_DEP_2)
	v_and_b32_e32 v18, 31, v18
	v_subrev_nc_u32_e32 v19, 29, v17
	v_sub_nc_u32_e32 v17, 30, v17
	s_delay_alu instid0(VALU_DEP_3) | instskip(NEXT) | instid1(VALU_DEP_1)
	v_cmp_eq_u32_e64 s1, 0, v18
	v_dual_lshlrev_b32 v19, v19, v11 :: v_dual_cndmask_b32 v17, v18, v17, s1
	s_delay_alu instid0(VALU_DEP_1) | instskip(NEXT) | instid1(VALU_DEP_2)
	v_and_b32_e32 v19, 3, v19
	v_lshl_add_u32 v17, v17, 23, 0x37800000
	s_delay_alu instid0(VALU_DEP_2) | instskip(NEXT) | instid1(VALU_DEP_1)
	v_cndmask_b32_e64 v16, v16, v19, s1
	v_dual_lshlrev_b32 v11, 24, v11 :: v_dual_lshlrev_b32 v16, 21, v16
	s_delay_alu instid0(VALU_DEP_1) | instskip(NEXT) | instid1(VALU_DEP_1)
	v_and_b32_e32 v11, 0x80000000, v11
	v_or3_b32 v16, v11, v17, v16
.LBB243_64:
	s_or_b32 exec_lo, exec_lo, s6
	s_delay_alu instid0(VALU_DEP_1)
	v_cmp_neq_f32_e64 s4, v0, v16
                                        ; implicit-def: $vgpr64
.LBB243_65:
	s_and_not1_saveexec_b32 s5, s5
	s_cbranch_execz .LBB243_75
; %bb.66:
	s_wait_loadcnt_dscnt 0x101
	v_and_b32_e32 v16, 0xff, v64
	s_mov_b32 s6, 0
	s_mov_b32 s7, exec_lo
	s_delay_alu instid0(VALU_DEP_1)
	v_cmpx_lt_i16_e32 0x7f, v16
	s_xor_b32 s7, exec_lo, s7
	s_cbranch_execnz .LBB243_441
; %bb.67:
	s_or_saveexec_b32 s7, s7
	v_mov_b32_e32 v0, 0x7f800001
	s_xor_b32 exec_lo, exec_lo, s7
	s_cbranch_execnz .LBB243_444
.LBB243_68:
	s_or_b32 exec_lo, exec_lo, s7
	s_and_saveexec_b32 s7, s6
	s_cbranch_execz .LBB243_70
.LBB243_69:
	v_and_b32_e32 v0, 3, v64
	v_lshrrev_b16 v17, 2, v64
	v_lshlrev_b32_e32 v19, 24, v64
	s_delay_alu instid0(VALU_DEP_3) | instskip(NEXT) | instid1(VALU_DEP_1)
	v_clz_i32_u32_e32 v16, v0
	v_min_u32_e32 v16, 32, v16
	s_delay_alu instid0(VALU_DEP_4) | instskip(NEXT) | instid1(VALU_DEP_2)
	v_and_b32_e32 v17, 31, v17
	v_subrev_nc_u32_e32 v18, 29, v16
	v_sub_nc_u32_e32 v16, 30, v16
	s_delay_alu instid0(VALU_DEP_3) | instskip(NEXT) | instid1(VALU_DEP_3)
	v_cmp_eq_u32_e64 s1, 0, v17
	v_lshlrev_b32_e32 v18, v18, v64
	s_delay_alu instid0(VALU_DEP_1) | instskip(SKIP_1) | instid1(VALU_DEP_2)
	v_dual_cndmask_b32 v16, v17, v16, s1 :: v_dual_bitop2_b32 v18, 3, v18 bitop3:0x40
	v_and_b32_e32 v17, 0x80000000, v19
	v_cndmask_b32_e64 v0, v0, v18, s1
	s_delay_alu instid0(VALU_DEP_3) | instskip(NEXT) | instid1(VALU_DEP_2)
	v_lshl_add_u32 v16, v16, 23, 0x37800000
	v_lshlrev_b32_e32 v0, 21, v0
	s_delay_alu instid0(VALU_DEP_1)
	v_or3_b32 v0, v17, v16, v0
.LBB243_70:
	s_or_b32 exec_lo, exec_lo, s7
	s_wait_loadcnt_dscnt 0x0
	v_and_b32_e32 v17, 0xff, v11
	s_mov_b32 s6, 0
	s_mov_b32 s7, exec_lo
	s_delay_alu instid0(VALU_DEP_1)
	v_cmpx_lt_i16_e32 0x7f, v17
	s_xor_b32 s7, exec_lo, s7
	s_cbranch_execnz .LBB243_445
; %bb.71:
	s_or_saveexec_b32 s7, s7
	v_mov_b32_e32 v16, 0x7f800001
	s_xor_b32 exec_lo, exec_lo, s7
	s_cbranch_execnz .LBB243_448
.LBB243_72:
	s_or_b32 exec_lo, exec_lo, s7
	s_and_saveexec_b32 s7, s6
	s_cbranch_execz .LBB243_74
.LBB243_73:
	v_and_b32_e32 v16, 3, v11
	v_lshrrev_b16 v18, 2, v11
	s_delay_alu instid0(VALU_DEP_2) | instskip(NEXT) | instid1(VALU_DEP_1)
	v_clz_i32_u32_e32 v17, v16
	v_min_u32_e32 v17, 32, v17
	s_delay_alu instid0(VALU_DEP_3) | instskip(NEXT) | instid1(VALU_DEP_2)
	v_and_b32_e32 v18, 31, v18
	v_subrev_nc_u32_e32 v19, 29, v17
	v_sub_nc_u32_e32 v17, 30, v17
	s_delay_alu instid0(VALU_DEP_3) | instskip(NEXT) | instid1(VALU_DEP_1)
	v_cmp_eq_u32_e64 s1, 0, v18
	v_dual_lshlrev_b32 v19, v19, v11 :: v_dual_cndmask_b32 v17, v18, v17, s1
	s_delay_alu instid0(VALU_DEP_1) | instskip(NEXT) | instid1(VALU_DEP_2)
	v_and_b32_e32 v19, 3, v19
	v_lshl_add_u32 v17, v17, 23, 0x37800000
	s_delay_alu instid0(VALU_DEP_2) | instskip(NEXT) | instid1(VALU_DEP_1)
	v_cndmask_b32_e64 v16, v16, v19, s1
	v_dual_lshlrev_b32 v11, 24, v11 :: v_dual_lshlrev_b32 v16, 21, v16
	s_delay_alu instid0(VALU_DEP_1) | instskip(NEXT) | instid1(VALU_DEP_1)
	v_and_b32_e32 v11, 0x80000000, v11
	v_or3_b32 v16, v11, v17, v16
.LBB243_74:
	s_or_b32 exec_lo, exec_lo, s7
	s_delay_alu instid0(VALU_DEP_1) | instskip(SKIP_2) | instid1(SALU_CYCLE_1)
	v_cmp_eq_f32_e64 s1, v0, v16
	s_and_not1_b32 s4, s4, exec_lo
	s_and_b32 s1, s1, exec_lo
	s_or_b32 s4, s4, s1
.LBB243_75:
	s_or_b32 exec_lo, exec_lo, s5
	s_delay_alu instid0(VALU_DEP_1) | instskip(NEXT) | instid1(VALU_DEP_1)
	v_cndmask_b32_e64 v0, 0, 1, s4
	v_lshlrev_b16 v0, 8, v0
	s_delay_alu instid0(VALU_DEP_1) | instskip(NEXT) | instid1(VALU_DEP_1)
	v_bitop3_b16 v0, v2, v0, 0xff bitop3:0xec
	v_and_b32_e32 v0, 0xffff, v0
	s_delay_alu instid0(VALU_DEP_1)
	v_and_or_b32 v2, 0xffff0000, v2, v0
.LBB243_76:
	s_or_b32 exec_lo, exec_lo, s3
	v_add_nc_u32_e32 v0, 0x200, v6
	s_mov_b32 s3, exec_lo
	s_delay_alu instid0(VALU_DEP_1)
	v_cmpx_lt_i32_e64 v0, v7
	s_cbranch_execz .LBB243_98
; %bb.77:
                                        ; implicit-def: $sgpr4
	s_and_saveexec_b32 s1, s0
	s_delay_alu instid0(SALU_CYCLE_1)
	s_xor_b32 s5, exec_lo, s1
	s_cbranch_execz .LBB243_87
; %bb.78:
	s_wait_loadcnt_dscnt 0x0
	v_and_b32_e32 v11, 0xff, v55
	s_mov_b32 s4, 0
	s_mov_b32 s6, exec_lo
	s_delay_alu instid0(VALU_DEP_1)
	v_cmpx_lt_i16_e32 0x7f, v11
	s_xor_b32 s6, exec_lo, s6
	s_cbranch_execnz .LBB243_449
; %bb.79:
	s_or_saveexec_b32 s6, s6
	v_mov_b32_e32 v0, 0x7f800001
	s_xor_b32 exec_lo, exec_lo, s6
	s_cbranch_execnz .LBB243_452
.LBB243_80:
	s_or_b32 exec_lo, exec_lo, s6
	s_and_saveexec_b32 s6, s4
	s_cbranch_execz .LBB243_82
.LBB243_81:
	v_and_b32_e32 v0, 3, v55
	v_lshrrev_b16 v16, 2, v55
	v_lshlrev_b32_e32 v18, 24, v55
	s_delay_alu instid0(VALU_DEP_3) | instskip(NEXT) | instid1(VALU_DEP_1)
	v_clz_i32_u32_e32 v11, v0
	v_min_u32_e32 v11, 32, v11
	s_delay_alu instid0(VALU_DEP_4) | instskip(NEXT) | instid1(VALU_DEP_2)
	v_and_b32_e32 v16, 31, v16
	v_subrev_nc_u32_e32 v17, 29, v11
	v_sub_nc_u32_e32 v11, 30, v11
	s_delay_alu instid0(VALU_DEP_3) | instskip(NEXT) | instid1(VALU_DEP_3)
	v_cmp_eq_u32_e64 s1, 0, v16
	v_lshlrev_b32_e32 v17, v17, v55
	s_delay_alu instid0(VALU_DEP_1) | instskip(NEXT) | instid1(VALU_DEP_1)
	v_and_b32_e32 v17, 3, v17
	v_cndmask_b32_e64 v0, v0, v17, s1
	v_cndmask_b32_e64 v11, v16, v11, s1
	v_and_b32_e32 v16, 0x80000000, v18
	s_delay_alu instid0(VALU_DEP_3) | instskip(NEXT) | instid1(VALU_DEP_3)
	v_lshlrev_b32_e32 v0, 21, v0
	v_lshl_add_u32 v11, v11, 23, 0x37800000
	s_delay_alu instid0(VALU_DEP_1)
	v_or3_b32 v0, v16, v11, v0
.LBB243_82:
	s_or_b32 exec_lo, exec_lo, s6
	v_and_b32_e32 v16, 0xff, v15
	s_mov_b32 s4, 0
	s_mov_b32 s6, exec_lo
	s_delay_alu instid0(VALU_DEP_1)
	v_cmpx_lt_i16_e32 0x7f, v16
	s_xor_b32 s6, exec_lo, s6
	s_cbranch_execnz .LBB243_453
; %bb.83:
	s_or_saveexec_b32 s6, s6
	v_mov_b32_e32 v11, 0x7f800001
	s_xor_b32 exec_lo, exec_lo, s6
	s_cbranch_execnz .LBB243_456
.LBB243_84:
	s_or_b32 exec_lo, exec_lo, s6
	s_and_saveexec_b32 s6, s4
	s_cbranch_execz .LBB243_86
.LBB243_85:
	v_and_b32_e32 v11, 3, v15
	v_lshrrev_b16 v17, 2, v15
	s_delay_alu instid0(VALU_DEP_2) | instskip(NEXT) | instid1(VALU_DEP_1)
	v_clz_i32_u32_e32 v16, v11
	v_min_u32_e32 v16, 32, v16
	s_delay_alu instid0(VALU_DEP_3) | instskip(NEXT) | instid1(VALU_DEP_2)
	v_and_b32_e32 v17, 31, v17
	v_subrev_nc_u32_e32 v18, 29, v16
	v_sub_nc_u32_e32 v16, 30, v16
	s_delay_alu instid0(VALU_DEP_3) | instskip(NEXT) | instid1(VALU_DEP_3)
	v_cmp_eq_u32_e64 s1, 0, v17
	v_dual_lshlrev_b32 v18, v18, v15 :: v_dual_lshlrev_b32 v15, 24, v15
	s_delay_alu instid0(VALU_DEP_1) | instskip(NEXT) | instid1(VALU_DEP_2)
	v_dual_cndmask_b32 v16, v17, v16, s1 :: v_dual_bitop2_b32 v18, 3, v18 bitop3:0x40
	v_and_b32_e32 v15, 0x80000000, v15
	s_delay_alu instid0(VALU_DEP_2) | instskip(NEXT) | instid1(VALU_DEP_3)
	v_cndmask_b32_e64 v11, v11, v18, s1
	v_lshl_add_u32 v16, v16, 23, 0x37800000
	s_delay_alu instid0(VALU_DEP_2) | instskip(NEXT) | instid1(VALU_DEP_1)
	v_lshlrev_b32_e32 v11, 21, v11
	v_or3_b32 v11, v15, v16, v11
.LBB243_86:
	s_or_b32 exec_lo, exec_lo, s6
	s_delay_alu instid0(VALU_DEP_1)
	v_cmp_neq_f32_e64 s4, v0, v11
                                        ; implicit-def: $vgpr15
                                        ; implicit-def: $vgpr55
.LBB243_87:
	s_and_not1_saveexec_b32 s5, s5
	s_cbranch_execz .LBB243_97
; %bb.88:
	s_wait_loadcnt_dscnt 0x0
	v_and_b32_e32 v11, 0xff, v55
	s_mov_b32 s6, 0
	s_mov_b32 s7, exec_lo
	s_delay_alu instid0(VALU_DEP_1)
	v_cmpx_lt_i16_e32 0x7f, v11
	s_xor_b32 s7, exec_lo, s7
	s_cbranch_execnz .LBB243_457
; %bb.89:
	s_or_saveexec_b32 s7, s7
	v_mov_b32_e32 v0, 0x7f800001
	s_xor_b32 exec_lo, exec_lo, s7
	s_cbranch_execnz .LBB243_460
.LBB243_90:
	s_or_b32 exec_lo, exec_lo, s7
	s_and_saveexec_b32 s7, s6
	s_cbranch_execz .LBB243_92
.LBB243_91:
	v_and_b32_e32 v0, 3, v55
	v_lshrrev_b16 v16, 2, v55
	v_lshlrev_b32_e32 v18, 24, v55
	s_delay_alu instid0(VALU_DEP_3) | instskip(NEXT) | instid1(VALU_DEP_1)
	v_clz_i32_u32_e32 v11, v0
	v_min_u32_e32 v11, 32, v11
	s_delay_alu instid0(VALU_DEP_4) | instskip(NEXT) | instid1(VALU_DEP_2)
	v_and_b32_e32 v16, 31, v16
	v_subrev_nc_u32_e32 v17, 29, v11
	v_sub_nc_u32_e32 v11, 30, v11
	s_delay_alu instid0(VALU_DEP_3) | instskip(NEXT) | instid1(VALU_DEP_3)
	v_cmp_eq_u32_e64 s1, 0, v16
	v_lshlrev_b32_e32 v17, v17, v55
	s_delay_alu instid0(VALU_DEP_1) | instskip(NEXT) | instid1(VALU_DEP_1)
	v_and_b32_e32 v17, 3, v17
	v_cndmask_b32_e64 v0, v0, v17, s1
	v_cndmask_b32_e64 v11, v16, v11, s1
	v_and_b32_e32 v16, 0x80000000, v18
	s_delay_alu instid0(VALU_DEP_3) | instskip(NEXT) | instid1(VALU_DEP_3)
	v_lshlrev_b32_e32 v0, 21, v0
	v_lshl_add_u32 v11, v11, 23, 0x37800000
	s_delay_alu instid0(VALU_DEP_1)
	v_or3_b32 v0, v16, v11, v0
.LBB243_92:
	s_or_b32 exec_lo, exec_lo, s7
	v_and_b32_e32 v16, 0xff, v15
	s_mov_b32 s6, 0
	s_mov_b32 s7, exec_lo
	s_delay_alu instid0(VALU_DEP_1)
	v_cmpx_lt_i16_e32 0x7f, v16
	s_xor_b32 s7, exec_lo, s7
	s_cbranch_execnz .LBB243_461
; %bb.93:
	s_or_saveexec_b32 s7, s7
	v_mov_b32_e32 v11, 0x7f800001
	s_xor_b32 exec_lo, exec_lo, s7
	s_cbranch_execnz .LBB243_464
.LBB243_94:
	s_or_b32 exec_lo, exec_lo, s7
	s_and_saveexec_b32 s7, s6
	s_cbranch_execz .LBB243_96
.LBB243_95:
	v_and_b32_e32 v11, 3, v15
	v_lshrrev_b16 v17, 2, v15
	s_delay_alu instid0(VALU_DEP_2) | instskip(NEXT) | instid1(VALU_DEP_1)
	v_clz_i32_u32_e32 v16, v11
	v_min_u32_e32 v16, 32, v16
	s_delay_alu instid0(VALU_DEP_3) | instskip(NEXT) | instid1(VALU_DEP_2)
	v_and_b32_e32 v17, 31, v17
	v_subrev_nc_u32_e32 v18, 29, v16
	v_sub_nc_u32_e32 v16, 30, v16
	s_delay_alu instid0(VALU_DEP_3) | instskip(NEXT) | instid1(VALU_DEP_3)
	v_cmp_eq_u32_e64 s1, 0, v17
	v_dual_lshlrev_b32 v18, v18, v15 :: v_dual_lshlrev_b32 v15, 24, v15
	s_delay_alu instid0(VALU_DEP_1) | instskip(NEXT) | instid1(VALU_DEP_2)
	v_dual_cndmask_b32 v16, v17, v16, s1 :: v_dual_bitop2_b32 v18, 3, v18 bitop3:0x40
	v_and_b32_e32 v15, 0x80000000, v15
	s_delay_alu instid0(VALU_DEP_2) | instskip(NEXT) | instid1(VALU_DEP_3)
	v_cndmask_b32_e64 v11, v11, v18, s1
	v_lshl_add_u32 v16, v16, 23, 0x37800000
	s_delay_alu instid0(VALU_DEP_2) | instskip(NEXT) | instid1(VALU_DEP_1)
	v_lshlrev_b32_e32 v11, 21, v11
	v_or3_b32 v11, v15, v16, v11
.LBB243_96:
	s_or_b32 exec_lo, exec_lo, s7
	s_delay_alu instid0(VALU_DEP_1) | instskip(SKIP_2) | instid1(SALU_CYCLE_1)
	v_cmp_eq_f32_e64 s1, v0, v11
	s_and_not1_b32 s4, s4, exec_lo
	s_and_b32 s1, s1, exec_lo
	s_or_b32 s4, s4, s1
.LBB243_97:
	s_or_b32 exec_lo, exec_lo, s5
	v_lshrrev_b32_e32 v0, 16, v2
	s_wait_loadcnt_dscnt 0x0
	v_cndmask_b32_e64 v11, 0, 1, s4
	s_delay_alu instid0(VALU_DEP_1) | instskip(NEXT) | instid1(VALU_DEP_1)
	v_bitop3_b16 v0, v11, v0, 0xff00 bitop3:0xf8
	v_lshlrev_b32_e32 v0, 16, v0
	s_delay_alu instid0(VALU_DEP_1)
	v_and_or_b32 v2, 0xffff, v2, v0
.LBB243_98:
	s_or_b32 exec_lo, exec_lo, s3
	v_add_nc_u32_e32 v0, 0x300, v6
	s_mov_b32 s3, exec_lo
	s_delay_alu instid0(VALU_DEP_1)
	v_cmpx_lt_i32_e64 v0, v7
	s_cbranch_execz .LBB243_120
; %bb.99:
                                        ; implicit-def: $sgpr4
	s_and_saveexec_b32 s1, s0
	s_delay_alu instid0(SALU_CYCLE_1)
	s_xor_b32 s5, exec_lo, s1
	s_cbranch_execz .LBB243_109
; %bb.100:
	s_wait_loadcnt_dscnt 0x0
	v_and_b32_e32 v11, 0xff, v54
	s_mov_b32 s4, 0
	s_mov_b32 s6, exec_lo
	s_delay_alu instid0(VALU_DEP_1)
	v_cmpx_lt_i16_e32 0x7f, v11
	s_xor_b32 s6, exec_lo, s6
	s_cbranch_execnz .LBB243_465
; %bb.101:
	s_or_saveexec_b32 s6, s6
	v_mov_b32_e32 v0, 0x7f800001
	s_xor_b32 exec_lo, exec_lo, s6
	s_cbranch_execnz .LBB243_468
.LBB243_102:
	s_or_b32 exec_lo, exec_lo, s6
	s_and_saveexec_b32 s6, s4
	s_cbranch_execz .LBB243_104
.LBB243_103:
	v_and_b32_e32 v0, 3, v54
	v_lshrrev_b16 v15, 2, v54
	v_lshlrev_b32_e32 v17, 24, v54
	s_delay_alu instid0(VALU_DEP_3) | instskip(NEXT) | instid1(VALU_DEP_3)
	v_clz_i32_u32_e32 v11, v0
	v_and_b32_e32 v15, 31, v15
	s_delay_alu instid0(VALU_DEP_2) | instskip(NEXT) | instid1(VALU_DEP_2)
	v_min_u32_e32 v11, 32, v11
	v_cmp_eq_u32_e64 s1, 0, v15
	s_delay_alu instid0(VALU_DEP_2) | instskip(NEXT) | instid1(VALU_DEP_1)
	v_subrev_nc_u32_e32 v16, 29, v11
	v_dual_lshlrev_b32 v16, v16, v54 :: v_dual_sub_nc_u32 v11, 30, v11
	s_delay_alu instid0(VALU_DEP_1) | instskip(SKIP_1) | instid1(VALU_DEP_2)
	v_dual_cndmask_b32 v11, v15, v11, s1 :: v_dual_bitop2_b32 v16, 3, v16 bitop3:0x40
	v_and_b32_e32 v15, 0x80000000, v17
	v_cndmask_b32_e64 v0, v0, v16, s1
	s_delay_alu instid0(VALU_DEP_3) | instskip(NEXT) | instid1(VALU_DEP_2)
	v_lshl_add_u32 v11, v11, 23, 0x37800000
	v_lshlrev_b32_e32 v0, 21, v0
	s_delay_alu instid0(VALU_DEP_1)
	v_or3_b32 v0, v15, v11, v0
.LBB243_104:
	s_or_b32 exec_lo, exec_lo, s6
	v_and_b32_e32 v15, 0xff, v53
	s_mov_b32 s4, 0
	s_mov_b32 s6, exec_lo
	s_delay_alu instid0(VALU_DEP_1)
	v_cmpx_lt_i16_e32 0x7f, v15
	s_xor_b32 s6, exec_lo, s6
	s_cbranch_execnz .LBB243_469
; %bb.105:
	s_or_saveexec_b32 s6, s6
	v_mov_b32_e32 v11, 0x7f800001
	s_xor_b32 exec_lo, exec_lo, s6
	s_cbranch_execnz .LBB243_472
.LBB243_106:
	s_or_b32 exec_lo, exec_lo, s6
	s_and_saveexec_b32 s6, s4
	s_cbranch_execz .LBB243_108
.LBB243_107:
	v_and_b32_e32 v11, 3, v53
	v_lshrrev_b16 v16, 2, v53
	s_delay_alu instid0(VALU_DEP_2) | instskip(NEXT) | instid1(VALU_DEP_1)
	v_clz_i32_u32_e32 v15, v11
	v_min_u32_e32 v15, 32, v15
	s_delay_alu instid0(VALU_DEP_3) | instskip(NEXT) | instid1(VALU_DEP_2)
	v_and_b32_e32 v16, 31, v16
	v_subrev_nc_u32_e32 v17, 29, v15
	v_sub_nc_u32_e32 v15, 30, v15
	s_delay_alu instid0(VALU_DEP_3) | instskip(NEXT) | instid1(VALU_DEP_1)
	v_cmp_eq_u32_e64 s1, 0, v16
	v_dual_lshlrev_b32 v17, v17, v53 :: v_dual_cndmask_b32 v15, v16, v15, s1
	s_delay_alu instid0(VALU_DEP_1) | instskip(NEXT) | instid1(VALU_DEP_2)
	v_and_b32_e32 v17, 3, v17
	v_lshl_add_u32 v15, v15, 23, 0x37800000
	s_delay_alu instid0(VALU_DEP_2) | instskip(NEXT) | instid1(VALU_DEP_1)
	v_cndmask_b32_e64 v11, v11, v17, s1
	v_dual_lshlrev_b32 v18, 24, v53 :: v_dual_lshlrev_b32 v11, 21, v11
	s_delay_alu instid0(VALU_DEP_1) | instskip(NEXT) | instid1(VALU_DEP_1)
	v_and_b32_e32 v16, 0x80000000, v18
	v_or3_b32 v11, v16, v15, v11
.LBB243_108:
	s_or_b32 exec_lo, exec_lo, s6
	s_delay_alu instid0(VALU_DEP_1)
	v_cmp_neq_f32_e64 s4, v0, v11
                                        ; implicit-def: $vgpr53
                                        ; implicit-def: $vgpr54
.LBB243_109:
	s_and_not1_saveexec_b32 s5, s5
	s_cbranch_execz .LBB243_119
; %bb.110:
	s_wait_loadcnt_dscnt 0x0
	v_and_b32_e32 v11, 0xff, v54
	s_mov_b32 s6, 0
	s_mov_b32 s7, exec_lo
	s_delay_alu instid0(VALU_DEP_1)
	v_cmpx_lt_i16_e32 0x7f, v11
	s_xor_b32 s7, exec_lo, s7
	s_cbranch_execnz .LBB243_473
; %bb.111:
	s_or_saveexec_b32 s7, s7
	v_mov_b32_e32 v0, 0x7f800001
	s_xor_b32 exec_lo, exec_lo, s7
	s_cbranch_execnz .LBB243_476
.LBB243_112:
	s_or_b32 exec_lo, exec_lo, s7
	s_and_saveexec_b32 s7, s6
	s_cbranch_execz .LBB243_114
.LBB243_113:
	v_and_b32_e32 v0, 3, v54
	v_lshrrev_b16 v15, 2, v54
	v_lshlrev_b32_e32 v17, 24, v54
	s_delay_alu instid0(VALU_DEP_3) | instskip(NEXT) | instid1(VALU_DEP_3)
	v_clz_i32_u32_e32 v11, v0
	v_and_b32_e32 v15, 31, v15
	s_delay_alu instid0(VALU_DEP_2) | instskip(NEXT) | instid1(VALU_DEP_2)
	v_min_u32_e32 v11, 32, v11
	v_cmp_eq_u32_e64 s1, 0, v15
	s_delay_alu instid0(VALU_DEP_2) | instskip(NEXT) | instid1(VALU_DEP_1)
	v_subrev_nc_u32_e32 v16, 29, v11
	v_dual_lshlrev_b32 v16, v16, v54 :: v_dual_sub_nc_u32 v11, 30, v11
	s_delay_alu instid0(VALU_DEP_1) | instskip(SKIP_1) | instid1(VALU_DEP_2)
	v_dual_cndmask_b32 v11, v15, v11, s1 :: v_dual_bitop2_b32 v16, 3, v16 bitop3:0x40
	v_and_b32_e32 v15, 0x80000000, v17
	v_cndmask_b32_e64 v0, v0, v16, s1
	s_delay_alu instid0(VALU_DEP_3) | instskip(NEXT) | instid1(VALU_DEP_2)
	v_lshl_add_u32 v11, v11, 23, 0x37800000
	v_lshlrev_b32_e32 v0, 21, v0
	s_delay_alu instid0(VALU_DEP_1)
	v_or3_b32 v0, v15, v11, v0
.LBB243_114:
	s_or_b32 exec_lo, exec_lo, s7
	v_and_b32_e32 v15, 0xff, v53
	s_mov_b32 s6, 0
	s_mov_b32 s7, exec_lo
	s_delay_alu instid0(VALU_DEP_1)
	v_cmpx_lt_i16_e32 0x7f, v15
	s_xor_b32 s7, exec_lo, s7
	s_cbranch_execnz .LBB243_477
; %bb.115:
	s_or_saveexec_b32 s7, s7
	v_mov_b32_e32 v11, 0x7f800001
	s_xor_b32 exec_lo, exec_lo, s7
	s_cbranch_execnz .LBB243_480
.LBB243_116:
	s_or_b32 exec_lo, exec_lo, s7
	s_and_saveexec_b32 s7, s6
	s_cbranch_execz .LBB243_118
.LBB243_117:
	v_and_b32_e32 v11, 3, v53
	v_lshrrev_b16 v16, 2, v53
	s_delay_alu instid0(VALU_DEP_2) | instskip(NEXT) | instid1(VALU_DEP_1)
	v_clz_i32_u32_e32 v15, v11
	v_min_u32_e32 v15, 32, v15
	s_delay_alu instid0(VALU_DEP_3) | instskip(NEXT) | instid1(VALU_DEP_2)
	v_and_b32_e32 v16, 31, v16
	v_subrev_nc_u32_e32 v17, 29, v15
	v_sub_nc_u32_e32 v15, 30, v15
	s_delay_alu instid0(VALU_DEP_3) | instskip(NEXT) | instid1(VALU_DEP_1)
	v_cmp_eq_u32_e64 s1, 0, v16
	v_dual_lshlrev_b32 v17, v17, v53 :: v_dual_cndmask_b32 v15, v16, v15, s1
	s_delay_alu instid0(VALU_DEP_1) | instskip(NEXT) | instid1(VALU_DEP_2)
	v_and_b32_e32 v17, 3, v17
	v_lshl_add_u32 v15, v15, 23, 0x37800000
	s_delay_alu instid0(VALU_DEP_2) | instskip(NEXT) | instid1(VALU_DEP_1)
	v_cndmask_b32_e64 v11, v11, v17, s1
	v_dual_lshlrev_b32 v18, 24, v53 :: v_dual_lshlrev_b32 v11, 21, v11
	s_delay_alu instid0(VALU_DEP_1) | instskip(NEXT) | instid1(VALU_DEP_1)
	v_and_b32_e32 v16, 0x80000000, v18
	v_or3_b32 v11, v16, v15, v11
.LBB243_118:
	s_or_b32 exec_lo, exec_lo, s7
	s_delay_alu instid0(VALU_DEP_1) | instskip(SKIP_2) | instid1(SALU_CYCLE_1)
	v_cmp_eq_f32_e64 s1, v0, v11
	s_and_not1_b32 s4, s4, exec_lo
	s_and_b32 s1, s1, exec_lo
	s_or_b32 s4, s4, s1
.LBB243_119:
	s_or_b32 exec_lo, exec_lo, s5
	s_delay_alu instid0(VALU_DEP_1) | instskip(SKIP_2) | instid1(VALU_DEP_2)
	v_cndmask_b32_e64 v0, 0, 1, s4
	s_wait_loadcnt_dscnt 0x0
	v_lshrrev_b32_e32 v11, 16, v2
	v_lshlrev_b16 v0, 8, v0
	s_delay_alu instid0(VALU_DEP_1) | instskip(NEXT) | instid1(VALU_DEP_1)
	v_bitop3_b16 v0, v11, v0, 0xff bitop3:0xec
	v_lshlrev_b32_e32 v0, 16, v0
	s_delay_alu instid0(VALU_DEP_1)
	v_and_or_b32 v2, 0xffff, v2, v0
.LBB243_120:
	s_or_b32 exec_lo, exec_lo, s3
	v_or_b32_e32 v0, 0x400, v6
	s_mov_b32 s3, exec_lo
	s_delay_alu instid0(VALU_DEP_1)
	v_cmpx_lt_i32_e64 v0, v7
	s_cbranch_execz .LBB243_142
; %bb.121:
                                        ; implicit-def: $sgpr4
	s_and_saveexec_b32 s1, s0
	s_delay_alu instid0(SALU_CYCLE_1)
	s_xor_b32 s5, exec_lo, s1
	s_cbranch_execz .LBB243_131
; %bb.122:
	s_wait_loadcnt_dscnt 0x0
	v_and_b32_e32 v11, 0xff, v52
	s_mov_b32 s4, 0
	s_mov_b32 s6, exec_lo
	s_delay_alu instid0(VALU_DEP_1)
	v_cmpx_lt_i16_e32 0x7f, v11
	s_xor_b32 s6, exec_lo, s6
	s_cbranch_execnz .LBB243_481
; %bb.123:
	s_or_saveexec_b32 s6, s6
	v_mov_b32_e32 v0, 0x7f800001
	s_xor_b32 exec_lo, exec_lo, s6
	s_cbranch_execnz .LBB243_484
.LBB243_124:
	s_or_b32 exec_lo, exec_lo, s6
	s_and_saveexec_b32 s6, s4
	s_cbranch_execz .LBB243_126
.LBB243_125:
	v_and_b32_e32 v0, 3, v52
	v_lshrrev_b16 v15, 2, v52
	v_lshlrev_b32_e32 v17, 24, v52
	s_delay_alu instid0(VALU_DEP_3) | instskip(NEXT) | instid1(VALU_DEP_3)
	v_clz_i32_u32_e32 v11, v0
	v_and_b32_e32 v15, 31, v15
	s_delay_alu instid0(VALU_DEP_2) | instskip(NEXT) | instid1(VALU_DEP_2)
	v_min_u32_e32 v11, 32, v11
	v_cmp_eq_u32_e64 s1, 0, v15
	s_delay_alu instid0(VALU_DEP_2) | instskip(NEXT) | instid1(VALU_DEP_1)
	v_subrev_nc_u32_e32 v16, 29, v11
	v_dual_lshlrev_b32 v16, v16, v52 :: v_dual_sub_nc_u32 v11, 30, v11
	s_delay_alu instid0(VALU_DEP_1) | instskip(SKIP_1) | instid1(VALU_DEP_2)
	v_dual_cndmask_b32 v11, v15, v11, s1 :: v_dual_bitop2_b32 v16, 3, v16 bitop3:0x40
	v_and_b32_e32 v15, 0x80000000, v17
	v_cndmask_b32_e64 v0, v0, v16, s1
	s_delay_alu instid0(VALU_DEP_3) | instskip(NEXT) | instid1(VALU_DEP_2)
	v_lshl_add_u32 v11, v11, 23, 0x37800000
	v_lshlrev_b32_e32 v0, 21, v0
	s_delay_alu instid0(VALU_DEP_1)
	v_or3_b32 v0, v15, v11, v0
.LBB243_126:
	s_or_b32 exec_lo, exec_lo, s6
	v_and_b32_e32 v15, 0xff, v51
	s_mov_b32 s4, 0
	s_mov_b32 s6, exec_lo
	s_delay_alu instid0(VALU_DEP_1)
	v_cmpx_lt_i16_e32 0x7f, v15
	s_xor_b32 s6, exec_lo, s6
	s_cbranch_execnz .LBB243_485
; %bb.127:
	s_or_saveexec_b32 s6, s6
	v_mov_b32_e32 v11, 0x7f800001
	s_xor_b32 exec_lo, exec_lo, s6
	s_cbranch_execnz .LBB243_488
.LBB243_128:
	s_or_b32 exec_lo, exec_lo, s6
	s_and_saveexec_b32 s6, s4
	s_cbranch_execz .LBB243_130
.LBB243_129:
	v_and_b32_e32 v11, 3, v51
	v_lshrrev_b16 v16, 2, v51
	v_lshlrev_b32_e32 v18, 24, v51
	s_delay_alu instid0(VALU_DEP_3) | instskip(NEXT) | instid1(VALU_DEP_1)
	v_clz_i32_u32_e32 v15, v11
	v_min_u32_e32 v15, 32, v15
	s_delay_alu instid0(VALU_DEP_4) | instskip(NEXT) | instid1(VALU_DEP_2)
	v_and_b32_e32 v16, 31, v16
	v_subrev_nc_u32_e32 v17, 29, v15
	v_sub_nc_u32_e32 v15, 30, v15
	s_delay_alu instid0(VALU_DEP_3) | instskip(NEXT) | instid1(VALU_DEP_3)
	v_cmp_eq_u32_e64 s1, 0, v16
	v_lshlrev_b32_e32 v17, v17, v51
	s_delay_alu instid0(VALU_DEP_1) | instskip(SKIP_1) | instid1(VALU_DEP_2)
	v_dual_cndmask_b32 v15, v16, v15, s1 :: v_dual_bitop2_b32 v17, 3, v17 bitop3:0x40
	v_and_b32_e32 v16, 0x80000000, v18
	v_cndmask_b32_e64 v11, v11, v17, s1
	s_delay_alu instid0(VALU_DEP_3) | instskip(NEXT) | instid1(VALU_DEP_2)
	v_lshl_add_u32 v15, v15, 23, 0x37800000
	v_lshlrev_b32_e32 v11, 21, v11
	s_delay_alu instid0(VALU_DEP_1)
	v_or3_b32 v11, v16, v15, v11
.LBB243_130:
	s_or_b32 exec_lo, exec_lo, s6
	s_delay_alu instid0(VALU_DEP_1)
	v_cmp_neq_f32_e64 s4, v0, v11
                                        ; implicit-def: $vgpr51
                                        ; implicit-def: $vgpr52
.LBB243_131:
	s_and_not1_saveexec_b32 s5, s5
	s_cbranch_execz .LBB243_141
; %bb.132:
	s_wait_loadcnt_dscnt 0x0
	v_and_b32_e32 v11, 0xff, v52
	s_mov_b32 s6, 0
	s_mov_b32 s7, exec_lo
	s_delay_alu instid0(VALU_DEP_1)
	v_cmpx_lt_i16_e32 0x7f, v11
	s_xor_b32 s7, exec_lo, s7
	s_cbranch_execnz .LBB243_489
; %bb.133:
	s_or_saveexec_b32 s7, s7
	v_mov_b32_e32 v0, 0x7f800001
	s_xor_b32 exec_lo, exec_lo, s7
	s_cbranch_execnz .LBB243_492
.LBB243_134:
	s_or_b32 exec_lo, exec_lo, s7
	s_and_saveexec_b32 s7, s6
	s_cbranch_execz .LBB243_136
.LBB243_135:
	v_and_b32_e32 v0, 3, v52
	v_lshrrev_b16 v15, 2, v52
	v_lshlrev_b32_e32 v17, 24, v52
	s_delay_alu instid0(VALU_DEP_3) | instskip(NEXT) | instid1(VALU_DEP_3)
	v_clz_i32_u32_e32 v11, v0
	v_and_b32_e32 v15, 31, v15
	s_delay_alu instid0(VALU_DEP_2) | instskip(NEXT) | instid1(VALU_DEP_2)
	v_min_u32_e32 v11, 32, v11
	v_cmp_eq_u32_e64 s1, 0, v15
	s_delay_alu instid0(VALU_DEP_2) | instskip(NEXT) | instid1(VALU_DEP_1)
	v_subrev_nc_u32_e32 v16, 29, v11
	v_dual_lshlrev_b32 v16, v16, v52 :: v_dual_sub_nc_u32 v11, 30, v11
	s_delay_alu instid0(VALU_DEP_1) | instskip(SKIP_1) | instid1(VALU_DEP_2)
	v_dual_cndmask_b32 v11, v15, v11, s1 :: v_dual_bitop2_b32 v16, 3, v16 bitop3:0x40
	v_and_b32_e32 v15, 0x80000000, v17
	v_cndmask_b32_e64 v0, v0, v16, s1
	s_delay_alu instid0(VALU_DEP_3) | instskip(NEXT) | instid1(VALU_DEP_2)
	v_lshl_add_u32 v11, v11, 23, 0x37800000
	v_lshlrev_b32_e32 v0, 21, v0
	s_delay_alu instid0(VALU_DEP_1)
	v_or3_b32 v0, v15, v11, v0
.LBB243_136:
	s_or_b32 exec_lo, exec_lo, s7
	v_and_b32_e32 v15, 0xff, v51
	s_mov_b32 s6, 0
	s_mov_b32 s7, exec_lo
	s_delay_alu instid0(VALU_DEP_1)
	v_cmpx_lt_i16_e32 0x7f, v15
	s_xor_b32 s7, exec_lo, s7
	s_cbranch_execnz .LBB243_493
; %bb.137:
	s_or_saveexec_b32 s7, s7
	v_mov_b32_e32 v11, 0x7f800001
	s_xor_b32 exec_lo, exec_lo, s7
	s_cbranch_execnz .LBB243_496
.LBB243_138:
	s_or_b32 exec_lo, exec_lo, s7
	s_and_saveexec_b32 s7, s6
	s_cbranch_execz .LBB243_140
.LBB243_139:
	v_and_b32_e32 v11, 3, v51
	v_lshrrev_b16 v16, 2, v51
	v_lshlrev_b32_e32 v18, 24, v51
	s_delay_alu instid0(VALU_DEP_3) | instskip(NEXT) | instid1(VALU_DEP_1)
	v_clz_i32_u32_e32 v15, v11
	v_min_u32_e32 v15, 32, v15
	s_delay_alu instid0(VALU_DEP_4) | instskip(NEXT) | instid1(VALU_DEP_2)
	v_and_b32_e32 v16, 31, v16
	v_subrev_nc_u32_e32 v17, 29, v15
	v_sub_nc_u32_e32 v15, 30, v15
	s_delay_alu instid0(VALU_DEP_3) | instskip(NEXT) | instid1(VALU_DEP_3)
	v_cmp_eq_u32_e64 s1, 0, v16
	v_lshlrev_b32_e32 v17, v17, v51
	s_delay_alu instid0(VALU_DEP_1) | instskip(SKIP_1) | instid1(VALU_DEP_2)
	v_dual_cndmask_b32 v15, v16, v15, s1 :: v_dual_bitop2_b32 v17, 3, v17 bitop3:0x40
	v_and_b32_e32 v16, 0x80000000, v18
	v_cndmask_b32_e64 v11, v11, v17, s1
	s_delay_alu instid0(VALU_DEP_3) | instskip(NEXT) | instid1(VALU_DEP_2)
	v_lshl_add_u32 v15, v15, 23, 0x37800000
	v_lshlrev_b32_e32 v11, 21, v11
	s_delay_alu instid0(VALU_DEP_1)
	v_or3_b32 v11, v16, v15, v11
.LBB243_140:
	s_or_b32 exec_lo, exec_lo, s7
	s_delay_alu instid0(VALU_DEP_1) | instskip(SKIP_2) | instid1(SALU_CYCLE_1)
	v_cmp_eq_f32_e64 s1, v0, v11
	s_and_not1_b32 s4, s4, exec_lo
	s_and_b32 s1, s1, exec_lo
	s_or_b32 s4, s4, s1
.LBB243_141:
	s_or_b32 exec_lo, exec_lo, s5
	s_delay_alu instid0(VALU_DEP_1) | instskip(NEXT) | instid1(VALU_DEP_1)
	v_cndmask_b32_e64 v0, 0, 1, s4
	v_bitop3_b16 v0, v0, v1, 0xff00 bitop3:0xf8
	s_delay_alu instid0(VALU_DEP_1) | instskip(NEXT) | instid1(VALU_DEP_1)
	v_and_b32_e32 v0, 0xffff, v0
	v_and_or_b32 v1, 0xffff0000, v1, v0
.LBB243_142:
	s_or_b32 exec_lo, exec_lo, s3
	v_add_nc_u32_e32 v0, 0x500, v6
	s_mov_b32 s3, exec_lo
	s_delay_alu instid0(VALU_DEP_1)
	v_cmpx_lt_i32_e64 v0, v7
	s_cbranch_execz .LBB243_164
; %bb.143:
                                        ; implicit-def: $sgpr4
	s_and_saveexec_b32 s1, s0
	s_delay_alu instid0(SALU_CYCLE_1)
	s_xor_b32 s5, exec_lo, s1
	s_cbranch_execz .LBB243_153
; %bb.144:
	s_wait_loadcnt_dscnt 0x0
	v_and_b32_e32 v11, 0xff, v50
	s_mov_b32 s4, 0
	s_mov_b32 s6, exec_lo
	s_delay_alu instid0(VALU_DEP_1)
	v_cmpx_lt_i16_e32 0x7f, v11
	s_xor_b32 s6, exec_lo, s6
	s_cbranch_execnz .LBB243_497
; %bb.145:
	s_or_saveexec_b32 s6, s6
	v_mov_b32_e32 v0, 0x7f800001
	s_xor_b32 exec_lo, exec_lo, s6
	s_cbranch_execnz .LBB243_500
.LBB243_146:
	s_or_b32 exec_lo, exec_lo, s6
	s_and_saveexec_b32 s6, s4
	s_cbranch_execz .LBB243_148
.LBB243_147:
	v_and_b32_e32 v0, 3, v50
	v_lshrrev_b16 v15, 2, v50
	v_lshlrev_b32_e32 v17, 24, v50
	s_delay_alu instid0(VALU_DEP_3) | instskip(NEXT) | instid1(VALU_DEP_3)
	v_clz_i32_u32_e32 v11, v0
	v_and_b32_e32 v15, 31, v15
	s_delay_alu instid0(VALU_DEP_2) | instskip(NEXT) | instid1(VALU_DEP_2)
	v_min_u32_e32 v11, 32, v11
	v_cmp_eq_u32_e64 s1, 0, v15
	s_delay_alu instid0(VALU_DEP_2) | instskip(NEXT) | instid1(VALU_DEP_1)
	v_subrev_nc_u32_e32 v16, 29, v11
	v_dual_lshlrev_b32 v16, v16, v50 :: v_dual_sub_nc_u32 v11, 30, v11
	s_delay_alu instid0(VALU_DEP_1) | instskip(SKIP_1) | instid1(VALU_DEP_2)
	v_dual_cndmask_b32 v11, v15, v11, s1 :: v_dual_bitop2_b32 v16, 3, v16 bitop3:0x40
	v_and_b32_e32 v15, 0x80000000, v17
	v_cndmask_b32_e64 v0, v0, v16, s1
	s_delay_alu instid0(VALU_DEP_3) | instskip(NEXT) | instid1(VALU_DEP_2)
	v_lshl_add_u32 v11, v11, 23, 0x37800000
	v_lshlrev_b32_e32 v0, 21, v0
	s_delay_alu instid0(VALU_DEP_1)
	v_or3_b32 v0, v15, v11, v0
.LBB243_148:
	s_or_b32 exec_lo, exec_lo, s6
	v_and_b32_e32 v15, 0xff, v49
	s_mov_b32 s4, 0
	s_mov_b32 s6, exec_lo
	s_delay_alu instid0(VALU_DEP_1)
	v_cmpx_lt_i16_e32 0x7f, v15
	s_xor_b32 s6, exec_lo, s6
	s_cbranch_execnz .LBB243_501
; %bb.149:
	s_or_saveexec_b32 s6, s6
	v_mov_b32_e32 v11, 0x7f800001
	s_xor_b32 exec_lo, exec_lo, s6
	s_cbranch_execnz .LBB243_504
.LBB243_150:
	s_or_b32 exec_lo, exec_lo, s6
	s_and_saveexec_b32 s6, s4
	s_cbranch_execz .LBB243_152
.LBB243_151:
	v_and_b32_e32 v11, 3, v49
	v_lshrrev_b16 v16, 2, v49
	s_delay_alu instid0(VALU_DEP_2) | instskip(NEXT) | instid1(VALU_DEP_1)
	v_clz_i32_u32_e32 v15, v11
	v_min_u32_e32 v15, 32, v15
	s_delay_alu instid0(VALU_DEP_3) | instskip(NEXT) | instid1(VALU_DEP_2)
	v_and_b32_e32 v16, 31, v16
	v_subrev_nc_u32_e32 v17, 29, v15
	v_sub_nc_u32_e32 v15, 30, v15
	s_delay_alu instid0(VALU_DEP_3) | instskip(NEXT) | instid1(VALU_DEP_1)
	v_cmp_eq_u32_e64 s1, 0, v16
	v_dual_lshlrev_b32 v17, v17, v49 :: v_dual_cndmask_b32 v15, v16, v15, s1
	s_delay_alu instid0(VALU_DEP_1) | instskip(NEXT) | instid1(VALU_DEP_2)
	v_and_b32_e32 v17, 3, v17
	v_lshl_add_u32 v15, v15, 23, 0x37800000
	s_delay_alu instid0(VALU_DEP_2) | instskip(NEXT) | instid1(VALU_DEP_1)
	v_cndmask_b32_e64 v11, v11, v17, s1
	v_dual_lshlrev_b32 v18, 24, v49 :: v_dual_lshlrev_b32 v11, 21, v11
	s_delay_alu instid0(VALU_DEP_1) | instskip(NEXT) | instid1(VALU_DEP_1)
	v_and_b32_e32 v16, 0x80000000, v18
	v_or3_b32 v11, v16, v15, v11
.LBB243_152:
	s_or_b32 exec_lo, exec_lo, s6
	s_delay_alu instid0(VALU_DEP_1)
	v_cmp_neq_f32_e64 s4, v0, v11
                                        ; implicit-def: $vgpr49
                                        ; implicit-def: $vgpr50
.LBB243_153:
	s_and_not1_saveexec_b32 s5, s5
	s_cbranch_execz .LBB243_163
; %bb.154:
	s_wait_loadcnt_dscnt 0x0
	v_and_b32_e32 v11, 0xff, v50
	s_mov_b32 s6, 0
	s_mov_b32 s7, exec_lo
	s_delay_alu instid0(VALU_DEP_1)
	v_cmpx_lt_i16_e32 0x7f, v11
	s_xor_b32 s7, exec_lo, s7
	s_cbranch_execnz .LBB243_505
; %bb.155:
	s_or_saveexec_b32 s7, s7
	v_mov_b32_e32 v0, 0x7f800001
	s_xor_b32 exec_lo, exec_lo, s7
	s_cbranch_execnz .LBB243_508
.LBB243_156:
	s_or_b32 exec_lo, exec_lo, s7
	s_and_saveexec_b32 s7, s6
	s_cbranch_execz .LBB243_158
.LBB243_157:
	v_and_b32_e32 v0, 3, v50
	v_lshrrev_b16 v15, 2, v50
	v_lshlrev_b32_e32 v17, 24, v50
	s_delay_alu instid0(VALU_DEP_3) | instskip(NEXT) | instid1(VALU_DEP_3)
	v_clz_i32_u32_e32 v11, v0
	v_and_b32_e32 v15, 31, v15
	s_delay_alu instid0(VALU_DEP_2) | instskip(NEXT) | instid1(VALU_DEP_2)
	v_min_u32_e32 v11, 32, v11
	v_cmp_eq_u32_e64 s1, 0, v15
	s_delay_alu instid0(VALU_DEP_2) | instskip(NEXT) | instid1(VALU_DEP_1)
	v_subrev_nc_u32_e32 v16, 29, v11
	v_dual_lshlrev_b32 v16, v16, v50 :: v_dual_sub_nc_u32 v11, 30, v11
	s_delay_alu instid0(VALU_DEP_1) | instskip(SKIP_1) | instid1(VALU_DEP_2)
	v_dual_cndmask_b32 v11, v15, v11, s1 :: v_dual_bitop2_b32 v16, 3, v16 bitop3:0x40
	v_and_b32_e32 v15, 0x80000000, v17
	v_cndmask_b32_e64 v0, v0, v16, s1
	s_delay_alu instid0(VALU_DEP_3) | instskip(NEXT) | instid1(VALU_DEP_2)
	v_lshl_add_u32 v11, v11, 23, 0x37800000
	v_lshlrev_b32_e32 v0, 21, v0
	s_delay_alu instid0(VALU_DEP_1)
	v_or3_b32 v0, v15, v11, v0
.LBB243_158:
	s_or_b32 exec_lo, exec_lo, s7
	v_and_b32_e32 v15, 0xff, v49
	s_mov_b32 s6, 0
	s_mov_b32 s7, exec_lo
	s_delay_alu instid0(VALU_DEP_1)
	v_cmpx_lt_i16_e32 0x7f, v15
	s_xor_b32 s7, exec_lo, s7
	s_cbranch_execnz .LBB243_509
; %bb.159:
	s_or_saveexec_b32 s7, s7
	v_mov_b32_e32 v11, 0x7f800001
	s_xor_b32 exec_lo, exec_lo, s7
	s_cbranch_execnz .LBB243_512
.LBB243_160:
	s_or_b32 exec_lo, exec_lo, s7
	s_and_saveexec_b32 s7, s6
	s_cbranch_execz .LBB243_162
.LBB243_161:
	v_and_b32_e32 v11, 3, v49
	v_lshrrev_b16 v16, 2, v49
	s_delay_alu instid0(VALU_DEP_2) | instskip(NEXT) | instid1(VALU_DEP_1)
	v_clz_i32_u32_e32 v15, v11
	v_min_u32_e32 v15, 32, v15
	s_delay_alu instid0(VALU_DEP_3) | instskip(NEXT) | instid1(VALU_DEP_2)
	v_and_b32_e32 v16, 31, v16
	v_subrev_nc_u32_e32 v17, 29, v15
	v_sub_nc_u32_e32 v15, 30, v15
	s_delay_alu instid0(VALU_DEP_3) | instskip(NEXT) | instid1(VALU_DEP_1)
	v_cmp_eq_u32_e64 s1, 0, v16
	v_dual_lshlrev_b32 v17, v17, v49 :: v_dual_cndmask_b32 v15, v16, v15, s1
	s_delay_alu instid0(VALU_DEP_1) | instskip(NEXT) | instid1(VALU_DEP_2)
	v_and_b32_e32 v17, 3, v17
	v_lshl_add_u32 v15, v15, 23, 0x37800000
	s_delay_alu instid0(VALU_DEP_2) | instskip(NEXT) | instid1(VALU_DEP_1)
	v_cndmask_b32_e64 v11, v11, v17, s1
	v_dual_lshlrev_b32 v18, 24, v49 :: v_dual_lshlrev_b32 v11, 21, v11
	s_delay_alu instid0(VALU_DEP_1) | instskip(NEXT) | instid1(VALU_DEP_1)
	v_and_b32_e32 v16, 0x80000000, v18
	v_or3_b32 v11, v16, v15, v11
.LBB243_162:
	s_or_b32 exec_lo, exec_lo, s7
	s_delay_alu instid0(VALU_DEP_1) | instskip(SKIP_2) | instid1(SALU_CYCLE_1)
	v_cmp_eq_f32_e64 s1, v0, v11
	s_and_not1_b32 s4, s4, exec_lo
	s_and_b32 s1, s1, exec_lo
	s_or_b32 s4, s4, s1
.LBB243_163:
	s_or_b32 exec_lo, exec_lo, s5
	s_delay_alu instid0(VALU_DEP_1) | instskip(NEXT) | instid1(VALU_DEP_1)
	v_cndmask_b32_e64 v0, 0, 1, s4
	v_lshlrev_b16 v0, 8, v0
	s_delay_alu instid0(VALU_DEP_1) | instskip(NEXT) | instid1(VALU_DEP_1)
	v_bitop3_b16 v0, v1, v0, 0xff bitop3:0xec
	v_and_b32_e32 v0, 0xffff, v0
	s_delay_alu instid0(VALU_DEP_1)
	v_and_or_b32 v1, 0xffff0000, v1, v0
.LBB243_164:
	s_or_b32 exec_lo, exec_lo, s3
	v_add_nc_u32_e32 v0, 0x600, v6
	s_mov_b32 s3, exec_lo
	s_delay_alu instid0(VALU_DEP_1)
	v_cmpx_lt_i32_e64 v0, v7
	s_cbranch_execz .LBB243_186
; %bb.165:
                                        ; implicit-def: $sgpr4
	s_and_saveexec_b32 s1, s0
	s_delay_alu instid0(SALU_CYCLE_1)
	s_xor_b32 s5, exec_lo, s1
	s_cbranch_execz .LBB243_175
; %bb.166:
	s_wait_loadcnt_dscnt 0x0
	v_and_b32_e32 v11, 0xff, v48
	s_mov_b32 s4, 0
	s_mov_b32 s6, exec_lo
	s_delay_alu instid0(VALU_DEP_1)
	v_cmpx_lt_i16_e32 0x7f, v11
	s_xor_b32 s6, exec_lo, s6
	s_cbranch_execnz .LBB243_513
; %bb.167:
	s_or_saveexec_b32 s6, s6
	v_mov_b32_e32 v0, 0x7f800001
	s_xor_b32 exec_lo, exec_lo, s6
	s_cbranch_execnz .LBB243_516
.LBB243_168:
	s_or_b32 exec_lo, exec_lo, s6
	s_and_saveexec_b32 s6, s4
	s_cbranch_execz .LBB243_170
.LBB243_169:
	v_and_b32_e32 v0, 3, v48
	v_lshrrev_b16 v15, 2, v48
	v_lshlrev_b32_e32 v17, 24, v48
	s_delay_alu instid0(VALU_DEP_3) | instskip(NEXT) | instid1(VALU_DEP_3)
	v_clz_i32_u32_e32 v11, v0
	v_and_b32_e32 v15, 31, v15
	s_delay_alu instid0(VALU_DEP_2) | instskip(NEXT) | instid1(VALU_DEP_2)
	v_min_u32_e32 v11, 32, v11
	v_cmp_eq_u32_e64 s1, 0, v15
	s_delay_alu instid0(VALU_DEP_2) | instskip(NEXT) | instid1(VALU_DEP_1)
	v_subrev_nc_u32_e32 v16, 29, v11
	v_dual_lshlrev_b32 v16, v16, v48 :: v_dual_sub_nc_u32 v11, 30, v11
	s_delay_alu instid0(VALU_DEP_1) | instskip(SKIP_1) | instid1(VALU_DEP_2)
	v_dual_cndmask_b32 v11, v15, v11, s1 :: v_dual_bitop2_b32 v16, 3, v16 bitop3:0x40
	v_and_b32_e32 v15, 0x80000000, v17
	v_cndmask_b32_e64 v0, v0, v16, s1
	s_delay_alu instid0(VALU_DEP_3) | instskip(NEXT) | instid1(VALU_DEP_2)
	v_lshl_add_u32 v11, v11, 23, 0x37800000
	v_lshlrev_b32_e32 v0, 21, v0
	s_delay_alu instid0(VALU_DEP_1)
	v_or3_b32 v0, v15, v11, v0
.LBB243_170:
	s_or_b32 exec_lo, exec_lo, s6
	v_and_b32_e32 v15, 0xff, v39
	s_mov_b32 s4, 0
	s_mov_b32 s6, exec_lo
	s_delay_alu instid0(VALU_DEP_1)
	v_cmpx_lt_i16_e32 0x7f, v15
	s_xor_b32 s6, exec_lo, s6
	s_cbranch_execnz .LBB243_517
; %bb.171:
	s_or_saveexec_b32 s6, s6
	v_mov_b32_e32 v11, 0x7f800001
	s_xor_b32 exec_lo, exec_lo, s6
	s_cbranch_execnz .LBB243_520
.LBB243_172:
	s_or_b32 exec_lo, exec_lo, s6
	s_and_saveexec_b32 s6, s4
	s_cbranch_execz .LBB243_174
.LBB243_173:
	v_and_b32_e32 v11, 3, v39
	v_lshrrev_b16 v16, 2, v39
	v_lshlrev_b32_e32 v18, 24, v39
	s_delay_alu instid0(VALU_DEP_3) | instskip(NEXT) | instid1(VALU_DEP_1)
	v_clz_i32_u32_e32 v15, v11
	v_min_u32_e32 v15, 32, v15
	s_delay_alu instid0(VALU_DEP_4) | instskip(NEXT) | instid1(VALU_DEP_2)
	v_and_b32_e32 v16, 31, v16
	v_subrev_nc_u32_e32 v17, 29, v15
	v_sub_nc_u32_e32 v15, 30, v15
	s_delay_alu instid0(VALU_DEP_3) | instskip(NEXT) | instid1(VALU_DEP_3)
	v_cmp_eq_u32_e64 s1, 0, v16
	v_lshlrev_b32_e32 v17, v17, v39
	s_delay_alu instid0(VALU_DEP_1) | instskip(SKIP_1) | instid1(VALU_DEP_2)
	v_dual_cndmask_b32 v15, v16, v15, s1 :: v_dual_bitop2_b32 v17, 3, v17 bitop3:0x40
	v_and_b32_e32 v16, 0x80000000, v18
	v_cndmask_b32_e64 v11, v11, v17, s1
	s_delay_alu instid0(VALU_DEP_3) | instskip(NEXT) | instid1(VALU_DEP_2)
	v_lshl_add_u32 v15, v15, 23, 0x37800000
	v_lshlrev_b32_e32 v11, 21, v11
	s_delay_alu instid0(VALU_DEP_1)
	v_or3_b32 v11, v16, v15, v11
.LBB243_174:
	s_or_b32 exec_lo, exec_lo, s6
	s_delay_alu instid0(VALU_DEP_1)
	v_cmp_neq_f32_e64 s4, v0, v11
                                        ; implicit-def: $vgpr39
                                        ; implicit-def: $vgpr48
.LBB243_175:
	s_and_not1_saveexec_b32 s5, s5
	s_cbranch_execz .LBB243_185
; %bb.176:
	s_wait_loadcnt_dscnt 0x0
	v_and_b32_e32 v11, 0xff, v48
	s_mov_b32 s6, 0
	s_mov_b32 s7, exec_lo
	s_delay_alu instid0(VALU_DEP_1)
	v_cmpx_lt_i16_e32 0x7f, v11
	s_xor_b32 s7, exec_lo, s7
	s_cbranch_execnz .LBB243_521
; %bb.177:
	s_or_saveexec_b32 s7, s7
	v_mov_b32_e32 v0, 0x7f800001
	s_xor_b32 exec_lo, exec_lo, s7
	s_cbranch_execnz .LBB243_524
.LBB243_178:
	s_or_b32 exec_lo, exec_lo, s7
	s_and_saveexec_b32 s7, s6
	s_cbranch_execz .LBB243_180
.LBB243_179:
	v_and_b32_e32 v0, 3, v48
	v_lshrrev_b16 v15, 2, v48
	v_lshlrev_b32_e32 v17, 24, v48
	s_delay_alu instid0(VALU_DEP_3) | instskip(NEXT) | instid1(VALU_DEP_3)
	v_clz_i32_u32_e32 v11, v0
	v_and_b32_e32 v15, 31, v15
	s_delay_alu instid0(VALU_DEP_2) | instskip(NEXT) | instid1(VALU_DEP_2)
	v_min_u32_e32 v11, 32, v11
	v_cmp_eq_u32_e64 s1, 0, v15
	s_delay_alu instid0(VALU_DEP_2) | instskip(NEXT) | instid1(VALU_DEP_1)
	v_subrev_nc_u32_e32 v16, 29, v11
	v_dual_lshlrev_b32 v16, v16, v48 :: v_dual_sub_nc_u32 v11, 30, v11
	s_delay_alu instid0(VALU_DEP_1) | instskip(SKIP_1) | instid1(VALU_DEP_2)
	v_dual_cndmask_b32 v11, v15, v11, s1 :: v_dual_bitop2_b32 v16, 3, v16 bitop3:0x40
	v_and_b32_e32 v15, 0x80000000, v17
	v_cndmask_b32_e64 v0, v0, v16, s1
	s_delay_alu instid0(VALU_DEP_3) | instskip(NEXT) | instid1(VALU_DEP_2)
	v_lshl_add_u32 v11, v11, 23, 0x37800000
	v_lshlrev_b32_e32 v0, 21, v0
	s_delay_alu instid0(VALU_DEP_1)
	v_or3_b32 v0, v15, v11, v0
.LBB243_180:
	s_or_b32 exec_lo, exec_lo, s7
	v_and_b32_e32 v15, 0xff, v39
	s_mov_b32 s6, 0
	s_mov_b32 s7, exec_lo
	s_delay_alu instid0(VALU_DEP_1)
	v_cmpx_lt_i16_e32 0x7f, v15
	s_xor_b32 s7, exec_lo, s7
	s_cbranch_execnz .LBB243_525
; %bb.181:
	s_or_saveexec_b32 s7, s7
	v_mov_b32_e32 v11, 0x7f800001
	s_xor_b32 exec_lo, exec_lo, s7
	s_cbranch_execnz .LBB243_528
.LBB243_182:
	s_or_b32 exec_lo, exec_lo, s7
	s_and_saveexec_b32 s7, s6
	s_cbranch_execz .LBB243_184
.LBB243_183:
	v_and_b32_e32 v11, 3, v39
	v_lshrrev_b16 v16, 2, v39
	v_lshlrev_b32_e32 v18, 24, v39
	s_delay_alu instid0(VALU_DEP_3) | instskip(NEXT) | instid1(VALU_DEP_1)
	v_clz_i32_u32_e32 v15, v11
	v_min_u32_e32 v15, 32, v15
	s_delay_alu instid0(VALU_DEP_4) | instskip(NEXT) | instid1(VALU_DEP_2)
	v_and_b32_e32 v16, 31, v16
	v_subrev_nc_u32_e32 v17, 29, v15
	v_sub_nc_u32_e32 v15, 30, v15
	s_delay_alu instid0(VALU_DEP_3) | instskip(NEXT) | instid1(VALU_DEP_3)
	v_cmp_eq_u32_e64 s1, 0, v16
	v_lshlrev_b32_e32 v17, v17, v39
	s_delay_alu instid0(VALU_DEP_1) | instskip(SKIP_1) | instid1(VALU_DEP_2)
	v_dual_cndmask_b32 v15, v16, v15, s1 :: v_dual_bitop2_b32 v17, 3, v17 bitop3:0x40
	v_and_b32_e32 v16, 0x80000000, v18
	v_cndmask_b32_e64 v11, v11, v17, s1
	s_delay_alu instid0(VALU_DEP_3) | instskip(NEXT) | instid1(VALU_DEP_2)
	v_lshl_add_u32 v15, v15, 23, 0x37800000
	v_lshlrev_b32_e32 v11, 21, v11
	s_delay_alu instid0(VALU_DEP_1)
	v_or3_b32 v11, v16, v15, v11
.LBB243_184:
	s_or_b32 exec_lo, exec_lo, s7
	s_delay_alu instid0(VALU_DEP_1) | instskip(SKIP_2) | instid1(SALU_CYCLE_1)
	v_cmp_eq_f32_e64 s1, v0, v11
	s_and_not1_b32 s4, s4, exec_lo
	s_and_b32 s1, s1, exec_lo
	s_or_b32 s4, s4, s1
.LBB243_185:
	s_or_b32 exec_lo, exec_lo, s5
	v_lshrrev_b32_e32 v0, 16, v1
	s_wait_loadcnt_dscnt 0x0
	v_cndmask_b32_e64 v11, 0, 1, s4
	s_delay_alu instid0(VALU_DEP_1) | instskip(NEXT) | instid1(VALU_DEP_1)
	v_bitop3_b16 v0, v11, v0, 0xff00 bitop3:0xf8
	v_lshlrev_b32_e32 v0, 16, v0
	s_delay_alu instid0(VALU_DEP_1)
	v_and_or_b32 v1, 0xffff, v1, v0
.LBB243_186:
	s_or_b32 exec_lo, exec_lo, s3
	v_add_nc_u32_e32 v0, 0x700, v6
	s_mov_b32 s3, exec_lo
	s_delay_alu instid0(VALU_DEP_1)
	v_cmpx_lt_i32_e64 v0, v7
	s_cbranch_execz .LBB243_208
; %bb.187:
                                        ; implicit-def: $sgpr4
	s_and_saveexec_b32 s1, s0
	s_delay_alu instid0(SALU_CYCLE_1)
	s_xor_b32 s5, exec_lo, s1
	s_cbranch_execz .LBB243_197
; %bb.188:
	s_wait_loadcnt_dscnt 0x0
	v_and_b32_e32 v11, 0xff, v38
	s_mov_b32 s4, 0
	s_mov_b32 s6, exec_lo
	s_delay_alu instid0(VALU_DEP_1)
	v_cmpx_lt_i16_e32 0x7f, v11
	s_xor_b32 s6, exec_lo, s6
	s_cbranch_execnz .LBB243_529
; %bb.189:
	s_or_saveexec_b32 s6, s6
	v_mov_b32_e32 v0, 0x7f800001
	s_xor_b32 exec_lo, exec_lo, s6
	s_cbranch_execnz .LBB243_532
.LBB243_190:
	s_or_b32 exec_lo, exec_lo, s6
	s_and_saveexec_b32 s6, s4
	s_cbranch_execz .LBB243_192
.LBB243_191:
	v_and_b32_e32 v0, 3, v38
	v_lshrrev_b16 v15, 2, v38
	v_lshlrev_b32_e32 v17, 24, v38
	s_delay_alu instid0(VALU_DEP_3) | instskip(NEXT) | instid1(VALU_DEP_3)
	v_clz_i32_u32_e32 v11, v0
	v_and_b32_e32 v15, 31, v15
	s_delay_alu instid0(VALU_DEP_2) | instskip(NEXT) | instid1(VALU_DEP_2)
	v_min_u32_e32 v11, 32, v11
	v_cmp_eq_u32_e64 s1, 0, v15
	s_delay_alu instid0(VALU_DEP_2) | instskip(NEXT) | instid1(VALU_DEP_1)
	v_subrev_nc_u32_e32 v16, 29, v11
	v_dual_lshlrev_b32 v16, v16, v38 :: v_dual_sub_nc_u32 v11, 30, v11
	s_delay_alu instid0(VALU_DEP_1) | instskip(SKIP_1) | instid1(VALU_DEP_2)
	v_dual_cndmask_b32 v11, v15, v11, s1 :: v_dual_bitop2_b32 v16, 3, v16 bitop3:0x40
	v_and_b32_e32 v15, 0x80000000, v17
	v_cndmask_b32_e64 v0, v0, v16, s1
	s_delay_alu instid0(VALU_DEP_3) | instskip(NEXT) | instid1(VALU_DEP_2)
	v_lshl_add_u32 v11, v11, 23, 0x37800000
	v_lshlrev_b32_e32 v0, 21, v0
	s_delay_alu instid0(VALU_DEP_1)
	v_or3_b32 v0, v15, v11, v0
.LBB243_192:
	s_or_b32 exec_lo, exec_lo, s6
	v_and_b32_e32 v15, 0xff, v37
	s_mov_b32 s4, 0
	s_mov_b32 s6, exec_lo
	s_delay_alu instid0(VALU_DEP_1)
	v_cmpx_lt_i16_e32 0x7f, v15
	s_xor_b32 s6, exec_lo, s6
	s_cbranch_execnz .LBB243_533
; %bb.193:
	s_or_saveexec_b32 s6, s6
	v_mov_b32_e32 v11, 0x7f800001
	s_xor_b32 exec_lo, exec_lo, s6
	s_cbranch_execnz .LBB243_536
.LBB243_194:
	s_or_b32 exec_lo, exec_lo, s6
	s_and_saveexec_b32 s6, s4
	s_cbranch_execz .LBB243_196
.LBB243_195:
	v_and_b32_e32 v11, 3, v37
	v_lshrrev_b16 v16, 2, v37
	s_delay_alu instid0(VALU_DEP_2) | instskip(NEXT) | instid1(VALU_DEP_1)
	v_clz_i32_u32_e32 v15, v11
	v_min_u32_e32 v15, 32, v15
	s_delay_alu instid0(VALU_DEP_3) | instskip(NEXT) | instid1(VALU_DEP_2)
	v_and_b32_e32 v16, 31, v16
	v_subrev_nc_u32_e32 v17, 29, v15
	v_sub_nc_u32_e32 v15, 30, v15
	s_delay_alu instid0(VALU_DEP_3) | instskip(NEXT) | instid1(VALU_DEP_1)
	v_cmp_eq_u32_e64 s1, 0, v16
	v_dual_lshlrev_b32 v17, v17, v37 :: v_dual_cndmask_b32 v15, v16, v15, s1
	s_delay_alu instid0(VALU_DEP_1) | instskip(NEXT) | instid1(VALU_DEP_2)
	v_and_b32_e32 v17, 3, v17
	v_lshl_add_u32 v15, v15, 23, 0x37800000
	s_delay_alu instid0(VALU_DEP_2) | instskip(NEXT) | instid1(VALU_DEP_1)
	v_cndmask_b32_e64 v11, v11, v17, s1
	v_dual_lshlrev_b32 v18, 24, v37 :: v_dual_lshlrev_b32 v11, 21, v11
	s_delay_alu instid0(VALU_DEP_1) | instskip(NEXT) | instid1(VALU_DEP_1)
	v_and_b32_e32 v16, 0x80000000, v18
	v_or3_b32 v11, v16, v15, v11
.LBB243_196:
	s_or_b32 exec_lo, exec_lo, s6
	s_delay_alu instid0(VALU_DEP_1)
	v_cmp_neq_f32_e64 s4, v0, v11
                                        ; implicit-def: $vgpr37
                                        ; implicit-def: $vgpr38
.LBB243_197:
	s_and_not1_saveexec_b32 s5, s5
	s_cbranch_execz .LBB243_207
; %bb.198:
	s_wait_loadcnt_dscnt 0x0
	v_and_b32_e32 v11, 0xff, v38
	s_mov_b32 s6, 0
	s_mov_b32 s7, exec_lo
	s_delay_alu instid0(VALU_DEP_1)
	v_cmpx_lt_i16_e32 0x7f, v11
	s_xor_b32 s7, exec_lo, s7
	s_cbranch_execnz .LBB243_537
; %bb.199:
	s_or_saveexec_b32 s7, s7
	v_mov_b32_e32 v0, 0x7f800001
	s_xor_b32 exec_lo, exec_lo, s7
	s_cbranch_execnz .LBB243_540
.LBB243_200:
	s_or_b32 exec_lo, exec_lo, s7
	s_and_saveexec_b32 s7, s6
	s_cbranch_execz .LBB243_202
.LBB243_201:
	v_and_b32_e32 v0, 3, v38
	v_lshrrev_b16 v15, 2, v38
	v_lshlrev_b32_e32 v17, 24, v38
	s_delay_alu instid0(VALU_DEP_3) | instskip(NEXT) | instid1(VALU_DEP_3)
	v_clz_i32_u32_e32 v11, v0
	v_and_b32_e32 v15, 31, v15
	s_delay_alu instid0(VALU_DEP_2) | instskip(NEXT) | instid1(VALU_DEP_2)
	v_min_u32_e32 v11, 32, v11
	v_cmp_eq_u32_e64 s1, 0, v15
	s_delay_alu instid0(VALU_DEP_2) | instskip(NEXT) | instid1(VALU_DEP_1)
	v_subrev_nc_u32_e32 v16, 29, v11
	v_dual_lshlrev_b32 v16, v16, v38 :: v_dual_sub_nc_u32 v11, 30, v11
	s_delay_alu instid0(VALU_DEP_1) | instskip(SKIP_1) | instid1(VALU_DEP_2)
	v_dual_cndmask_b32 v11, v15, v11, s1 :: v_dual_bitop2_b32 v16, 3, v16 bitop3:0x40
	v_and_b32_e32 v15, 0x80000000, v17
	v_cndmask_b32_e64 v0, v0, v16, s1
	s_delay_alu instid0(VALU_DEP_3) | instskip(NEXT) | instid1(VALU_DEP_2)
	v_lshl_add_u32 v11, v11, 23, 0x37800000
	v_lshlrev_b32_e32 v0, 21, v0
	s_delay_alu instid0(VALU_DEP_1)
	v_or3_b32 v0, v15, v11, v0
.LBB243_202:
	s_or_b32 exec_lo, exec_lo, s7
	v_and_b32_e32 v15, 0xff, v37
	s_mov_b32 s6, 0
	s_mov_b32 s7, exec_lo
	s_delay_alu instid0(VALU_DEP_1)
	v_cmpx_lt_i16_e32 0x7f, v15
	s_xor_b32 s7, exec_lo, s7
	s_cbranch_execnz .LBB243_541
; %bb.203:
	s_or_saveexec_b32 s7, s7
	v_mov_b32_e32 v11, 0x7f800001
	s_xor_b32 exec_lo, exec_lo, s7
	s_cbranch_execnz .LBB243_544
.LBB243_204:
	s_or_b32 exec_lo, exec_lo, s7
	s_and_saveexec_b32 s7, s6
	s_cbranch_execz .LBB243_206
.LBB243_205:
	v_and_b32_e32 v11, 3, v37
	v_lshrrev_b16 v16, 2, v37
	s_delay_alu instid0(VALU_DEP_2) | instskip(NEXT) | instid1(VALU_DEP_1)
	v_clz_i32_u32_e32 v15, v11
	v_min_u32_e32 v15, 32, v15
	s_delay_alu instid0(VALU_DEP_3) | instskip(NEXT) | instid1(VALU_DEP_2)
	v_and_b32_e32 v16, 31, v16
	v_subrev_nc_u32_e32 v17, 29, v15
	v_sub_nc_u32_e32 v15, 30, v15
	s_delay_alu instid0(VALU_DEP_3) | instskip(NEXT) | instid1(VALU_DEP_1)
	v_cmp_eq_u32_e64 s1, 0, v16
	v_dual_lshlrev_b32 v17, v17, v37 :: v_dual_cndmask_b32 v15, v16, v15, s1
	s_delay_alu instid0(VALU_DEP_1) | instskip(NEXT) | instid1(VALU_DEP_2)
	v_and_b32_e32 v17, 3, v17
	v_lshl_add_u32 v15, v15, 23, 0x37800000
	s_delay_alu instid0(VALU_DEP_2) | instskip(NEXT) | instid1(VALU_DEP_1)
	v_cndmask_b32_e64 v11, v11, v17, s1
	v_dual_lshlrev_b32 v18, 24, v37 :: v_dual_lshlrev_b32 v11, 21, v11
	s_delay_alu instid0(VALU_DEP_1) | instskip(NEXT) | instid1(VALU_DEP_1)
	v_and_b32_e32 v16, 0x80000000, v18
	v_or3_b32 v11, v16, v15, v11
.LBB243_206:
	s_or_b32 exec_lo, exec_lo, s7
	s_delay_alu instid0(VALU_DEP_1) | instskip(SKIP_2) | instid1(SALU_CYCLE_1)
	v_cmp_eq_f32_e64 s1, v0, v11
	s_and_not1_b32 s4, s4, exec_lo
	s_and_b32 s1, s1, exec_lo
	s_or_b32 s4, s4, s1
.LBB243_207:
	s_or_b32 exec_lo, exec_lo, s5
	s_delay_alu instid0(VALU_DEP_1) | instskip(SKIP_2) | instid1(VALU_DEP_2)
	v_cndmask_b32_e64 v0, 0, 1, s4
	s_wait_loadcnt_dscnt 0x0
	v_lshrrev_b32_e32 v11, 16, v1
	v_lshlrev_b16 v0, 8, v0
	s_delay_alu instid0(VALU_DEP_1) | instskip(NEXT) | instid1(VALU_DEP_1)
	v_bitop3_b16 v0, v11, v0, 0xff bitop3:0xec
	v_lshlrev_b32_e32 v0, 16, v0
	s_delay_alu instid0(VALU_DEP_1)
	v_and_or_b32 v1, 0xffff, v1, v0
.LBB243_208:
	s_or_b32 exec_lo, exec_lo, s3
	v_or_b32_e32 v0, 0x800, v6
	s_mov_b32 s3, exec_lo
	s_delay_alu instid0(VALU_DEP_1)
	v_cmpx_lt_i32_e64 v0, v7
	s_cbranch_execz .LBB243_230
; %bb.209:
                                        ; implicit-def: $sgpr4
	s_and_saveexec_b32 s1, s0
	s_delay_alu instid0(SALU_CYCLE_1)
	s_xor_b32 s5, exec_lo, s1
	s_cbranch_execz .LBB243_219
; %bb.210:
	s_wait_loadcnt_dscnt 0x0
	v_and_b32_e32 v11, 0xff, v36
	s_mov_b32 s4, 0
	s_mov_b32 s6, exec_lo
	s_delay_alu instid0(VALU_DEP_1)
	v_cmpx_lt_i16_e32 0x7f, v11
	s_xor_b32 s6, exec_lo, s6
	s_cbranch_execnz .LBB243_545
; %bb.211:
	s_or_saveexec_b32 s6, s6
	v_mov_b32_e32 v0, 0x7f800001
	s_xor_b32 exec_lo, exec_lo, s6
	s_cbranch_execnz .LBB243_548
.LBB243_212:
	s_or_b32 exec_lo, exec_lo, s6
	s_and_saveexec_b32 s6, s4
	s_cbranch_execz .LBB243_214
.LBB243_213:
	v_and_b32_e32 v0, 3, v36
	v_lshrrev_b16 v15, 2, v36
	v_lshlrev_b32_e32 v17, 24, v36
	s_delay_alu instid0(VALU_DEP_3) | instskip(NEXT) | instid1(VALU_DEP_3)
	v_clz_i32_u32_e32 v11, v0
	v_and_b32_e32 v15, 31, v15
	s_delay_alu instid0(VALU_DEP_2) | instskip(NEXT) | instid1(VALU_DEP_2)
	v_min_u32_e32 v11, 32, v11
	v_cmp_eq_u32_e64 s1, 0, v15
	s_delay_alu instid0(VALU_DEP_2) | instskip(NEXT) | instid1(VALU_DEP_1)
	v_subrev_nc_u32_e32 v16, 29, v11
	v_dual_lshlrev_b32 v16, v16, v36 :: v_dual_sub_nc_u32 v11, 30, v11
	s_delay_alu instid0(VALU_DEP_1) | instskip(SKIP_1) | instid1(VALU_DEP_2)
	v_dual_cndmask_b32 v11, v15, v11, s1 :: v_dual_bitop2_b32 v16, 3, v16 bitop3:0x40
	v_and_b32_e32 v15, 0x80000000, v17
	v_cndmask_b32_e64 v0, v0, v16, s1
	s_delay_alu instid0(VALU_DEP_3) | instskip(NEXT) | instid1(VALU_DEP_2)
	v_lshl_add_u32 v11, v11, 23, 0x37800000
	v_lshlrev_b32_e32 v0, 21, v0
	s_delay_alu instid0(VALU_DEP_1)
	v_or3_b32 v0, v15, v11, v0
.LBB243_214:
	s_or_b32 exec_lo, exec_lo, s6
	v_and_b32_e32 v15, 0xff, v35
	s_mov_b32 s4, 0
	s_mov_b32 s6, exec_lo
	s_delay_alu instid0(VALU_DEP_1)
	v_cmpx_lt_i16_e32 0x7f, v15
	s_xor_b32 s6, exec_lo, s6
	s_cbranch_execnz .LBB243_549
; %bb.215:
	s_or_saveexec_b32 s6, s6
	v_mov_b32_e32 v11, 0x7f800001
	s_xor_b32 exec_lo, exec_lo, s6
	s_cbranch_execnz .LBB243_552
.LBB243_216:
	s_or_b32 exec_lo, exec_lo, s6
	s_and_saveexec_b32 s6, s4
	s_cbranch_execz .LBB243_218
.LBB243_217:
	v_and_b32_e32 v11, 3, v35
	v_lshrrev_b16 v16, 2, v35
	v_lshlrev_b32_e32 v18, 24, v35
	s_delay_alu instid0(VALU_DEP_3) | instskip(NEXT) | instid1(VALU_DEP_1)
	v_clz_i32_u32_e32 v15, v11
	v_min_u32_e32 v15, 32, v15
	s_delay_alu instid0(VALU_DEP_4) | instskip(NEXT) | instid1(VALU_DEP_2)
	v_and_b32_e32 v16, 31, v16
	v_subrev_nc_u32_e32 v17, 29, v15
	v_sub_nc_u32_e32 v15, 30, v15
	s_delay_alu instid0(VALU_DEP_3) | instskip(NEXT) | instid1(VALU_DEP_3)
	v_cmp_eq_u32_e64 s1, 0, v16
	v_lshlrev_b32_e32 v17, v17, v35
	s_delay_alu instid0(VALU_DEP_1) | instskip(SKIP_1) | instid1(VALU_DEP_2)
	v_dual_cndmask_b32 v15, v16, v15, s1 :: v_dual_bitop2_b32 v17, 3, v17 bitop3:0x40
	v_and_b32_e32 v16, 0x80000000, v18
	v_cndmask_b32_e64 v11, v11, v17, s1
	s_delay_alu instid0(VALU_DEP_3) | instskip(NEXT) | instid1(VALU_DEP_2)
	v_lshl_add_u32 v15, v15, 23, 0x37800000
	v_lshlrev_b32_e32 v11, 21, v11
	s_delay_alu instid0(VALU_DEP_1)
	v_or3_b32 v11, v16, v15, v11
.LBB243_218:
	s_or_b32 exec_lo, exec_lo, s6
	s_delay_alu instid0(VALU_DEP_1)
	v_cmp_neq_f32_e64 s4, v0, v11
                                        ; implicit-def: $vgpr35
                                        ; implicit-def: $vgpr36
.LBB243_219:
	s_and_not1_saveexec_b32 s5, s5
	s_cbranch_execz .LBB243_229
; %bb.220:
	s_wait_loadcnt_dscnt 0x0
	v_and_b32_e32 v11, 0xff, v36
	s_mov_b32 s6, 0
	s_mov_b32 s7, exec_lo
	s_delay_alu instid0(VALU_DEP_1)
	v_cmpx_lt_i16_e32 0x7f, v11
	s_xor_b32 s7, exec_lo, s7
	s_cbranch_execnz .LBB243_553
; %bb.221:
	s_or_saveexec_b32 s7, s7
	v_mov_b32_e32 v0, 0x7f800001
	s_xor_b32 exec_lo, exec_lo, s7
	s_cbranch_execnz .LBB243_556
.LBB243_222:
	s_or_b32 exec_lo, exec_lo, s7
	s_and_saveexec_b32 s7, s6
	s_cbranch_execz .LBB243_224
.LBB243_223:
	v_and_b32_e32 v0, 3, v36
	v_lshrrev_b16 v15, 2, v36
	v_lshlrev_b32_e32 v17, 24, v36
	s_delay_alu instid0(VALU_DEP_3) | instskip(NEXT) | instid1(VALU_DEP_3)
	v_clz_i32_u32_e32 v11, v0
	v_and_b32_e32 v15, 31, v15
	s_delay_alu instid0(VALU_DEP_2) | instskip(NEXT) | instid1(VALU_DEP_2)
	v_min_u32_e32 v11, 32, v11
	v_cmp_eq_u32_e64 s1, 0, v15
	s_delay_alu instid0(VALU_DEP_2) | instskip(NEXT) | instid1(VALU_DEP_1)
	v_subrev_nc_u32_e32 v16, 29, v11
	v_dual_lshlrev_b32 v16, v16, v36 :: v_dual_sub_nc_u32 v11, 30, v11
	s_delay_alu instid0(VALU_DEP_1) | instskip(SKIP_1) | instid1(VALU_DEP_2)
	v_dual_cndmask_b32 v11, v15, v11, s1 :: v_dual_bitop2_b32 v16, 3, v16 bitop3:0x40
	v_and_b32_e32 v15, 0x80000000, v17
	v_cndmask_b32_e64 v0, v0, v16, s1
	s_delay_alu instid0(VALU_DEP_3) | instskip(NEXT) | instid1(VALU_DEP_2)
	v_lshl_add_u32 v11, v11, 23, 0x37800000
	v_lshlrev_b32_e32 v0, 21, v0
	s_delay_alu instid0(VALU_DEP_1)
	v_or3_b32 v0, v15, v11, v0
.LBB243_224:
	s_or_b32 exec_lo, exec_lo, s7
	v_and_b32_e32 v15, 0xff, v35
	s_mov_b32 s6, 0
	s_mov_b32 s7, exec_lo
	s_delay_alu instid0(VALU_DEP_1)
	v_cmpx_lt_i16_e32 0x7f, v15
	s_xor_b32 s7, exec_lo, s7
	s_cbranch_execnz .LBB243_557
; %bb.225:
	s_or_saveexec_b32 s7, s7
	v_mov_b32_e32 v11, 0x7f800001
	s_xor_b32 exec_lo, exec_lo, s7
	s_cbranch_execnz .LBB243_560
.LBB243_226:
	s_or_b32 exec_lo, exec_lo, s7
	s_and_saveexec_b32 s7, s6
	s_cbranch_execz .LBB243_228
.LBB243_227:
	v_and_b32_e32 v11, 3, v35
	v_lshrrev_b16 v16, 2, v35
	v_lshlrev_b32_e32 v18, 24, v35
	s_delay_alu instid0(VALU_DEP_3) | instskip(NEXT) | instid1(VALU_DEP_1)
	v_clz_i32_u32_e32 v15, v11
	v_min_u32_e32 v15, 32, v15
	s_delay_alu instid0(VALU_DEP_4) | instskip(NEXT) | instid1(VALU_DEP_2)
	v_and_b32_e32 v16, 31, v16
	v_subrev_nc_u32_e32 v17, 29, v15
	v_sub_nc_u32_e32 v15, 30, v15
	s_delay_alu instid0(VALU_DEP_3) | instskip(NEXT) | instid1(VALU_DEP_3)
	v_cmp_eq_u32_e64 s1, 0, v16
	v_lshlrev_b32_e32 v17, v17, v35
	s_delay_alu instid0(VALU_DEP_1) | instskip(SKIP_1) | instid1(VALU_DEP_2)
	v_dual_cndmask_b32 v15, v16, v15, s1 :: v_dual_bitop2_b32 v17, 3, v17 bitop3:0x40
	v_and_b32_e32 v16, 0x80000000, v18
	v_cndmask_b32_e64 v11, v11, v17, s1
	s_delay_alu instid0(VALU_DEP_3) | instskip(NEXT) | instid1(VALU_DEP_2)
	v_lshl_add_u32 v15, v15, 23, 0x37800000
	v_lshlrev_b32_e32 v11, 21, v11
	s_delay_alu instid0(VALU_DEP_1)
	v_or3_b32 v11, v16, v15, v11
.LBB243_228:
	s_or_b32 exec_lo, exec_lo, s7
	s_delay_alu instid0(VALU_DEP_1) | instskip(SKIP_2) | instid1(SALU_CYCLE_1)
	v_cmp_eq_f32_e64 s1, v0, v11
	s_and_not1_b32 s4, s4, exec_lo
	s_and_b32 s1, s1, exec_lo
	s_or_b32 s4, s4, s1
.LBB243_229:
	s_or_b32 exec_lo, exec_lo, s5
	s_delay_alu instid0(VALU_DEP_1) | instskip(NEXT) | instid1(VALU_DEP_1)
	v_cndmask_b32_e64 v0, 0, 1, s4
	v_bitop3_b16 v0, v0, v4, 0xff00 bitop3:0xf8
	s_delay_alu instid0(VALU_DEP_1) | instskip(NEXT) | instid1(VALU_DEP_1)
	v_and_b32_e32 v0, 0xffff, v0
	v_and_or_b32 v4, 0xffff0000, v4, v0
.LBB243_230:
	s_or_b32 exec_lo, exec_lo, s3
	v_add_nc_u32_e32 v0, 0x900, v6
	s_mov_b32 s3, exec_lo
	s_delay_alu instid0(VALU_DEP_1)
	v_cmpx_lt_i32_e64 v0, v7
	s_cbranch_execz .LBB243_252
; %bb.231:
                                        ; implicit-def: $sgpr4
	s_and_saveexec_b32 s1, s0
	s_delay_alu instid0(SALU_CYCLE_1)
	s_xor_b32 s5, exec_lo, s1
	s_cbranch_execz .LBB243_241
; %bb.232:
	s_wait_loadcnt_dscnt 0x0
	v_and_b32_e32 v11, 0xff, v34
	s_mov_b32 s4, 0
	s_mov_b32 s6, exec_lo
	s_delay_alu instid0(VALU_DEP_1)
	v_cmpx_lt_i16_e32 0x7f, v11
	s_xor_b32 s6, exec_lo, s6
	s_cbranch_execnz .LBB243_561
; %bb.233:
	s_or_saveexec_b32 s6, s6
	v_mov_b32_e32 v0, 0x7f800001
	s_xor_b32 exec_lo, exec_lo, s6
	s_cbranch_execnz .LBB243_564
.LBB243_234:
	s_or_b32 exec_lo, exec_lo, s6
	s_and_saveexec_b32 s6, s4
	s_cbranch_execz .LBB243_236
.LBB243_235:
	v_and_b32_e32 v0, 3, v34
	v_lshrrev_b16 v15, 2, v34
	v_lshlrev_b32_e32 v17, 24, v34
	s_delay_alu instid0(VALU_DEP_3) | instskip(NEXT) | instid1(VALU_DEP_3)
	v_clz_i32_u32_e32 v11, v0
	v_and_b32_e32 v15, 31, v15
	s_delay_alu instid0(VALU_DEP_2) | instskip(NEXT) | instid1(VALU_DEP_2)
	v_min_u32_e32 v11, 32, v11
	v_cmp_eq_u32_e64 s1, 0, v15
	s_delay_alu instid0(VALU_DEP_2) | instskip(NEXT) | instid1(VALU_DEP_1)
	v_subrev_nc_u32_e32 v16, 29, v11
	v_dual_lshlrev_b32 v16, v16, v34 :: v_dual_sub_nc_u32 v11, 30, v11
	s_delay_alu instid0(VALU_DEP_1) | instskip(SKIP_1) | instid1(VALU_DEP_2)
	v_dual_cndmask_b32 v11, v15, v11, s1 :: v_dual_bitop2_b32 v16, 3, v16 bitop3:0x40
	v_and_b32_e32 v15, 0x80000000, v17
	v_cndmask_b32_e64 v0, v0, v16, s1
	s_delay_alu instid0(VALU_DEP_3) | instskip(NEXT) | instid1(VALU_DEP_2)
	v_lshl_add_u32 v11, v11, 23, 0x37800000
	v_lshlrev_b32_e32 v0, 21, v0
	s_delay_alu instid0(VALU_DEP_1)
	v_or3_b32 v0, v15, v11, v0
.LBB243_236:
	s_or_b32 exec_lo, exec_lo, s6
	v_and_b32_e32 v15, 0xff, v33
	s_mov_b32 s4, 0
	s_mov_b32 s6, exec_lo
	s_delay_alu instid0(VALU_DEP_1)
	v_cmpx_lt_i16_e32 0x7f, v15
	s_xor_b32 s6, exec_lo, s6
	s_cbranch_execnz .LBB243_565
; %bb.237:
	s_or_saveexec_b32 s6, s6
	v_mov_b32_e32 v11, 0x7f800001
	s_xor_b32 exec_lo, exec_lo, s6
	s_cbranch_execnz .LBB243_568
.LBB243_238:
	s_or_b32 exec_lo, exec_lo, s6
	s_and_saveexec_b32 s6, s4
	s_cbranch_execz .LBB243_240
.LBB243_239:
	v_and_b32_e32 v11, 3, v33
	v_lshrrev_b16 v16, 2, v33
	s_delay_alu instid0(VALU_DEP_2) | instskip(NEXT) | instid1(VALU_DEP_1)
	v_clz_i32_u32_e32 v15, v11
	v_min_u32_e32 v15, 32, v15
	s_delay_alu instid0(VALU_DEP_3) | instskip(NEXT) | instid1(VALU_DEP_2)
	v_and_b32_e32 v16, 31, v16
	v_subrev_nc_u32_e32 v17, 29, v15
	v_sub_nc_u32_e32 v15, 30, v15
	s_delay_alu instid0(VALU_DEP_3) | instskip(NEXT) | instid1(VALU_DEP_1)
	v_cmp_eq_u32_e64 s1, 0, v16
	v_dual_lshlrev_b32 v17, v17, v33 :: v_dual_cndmask_b32 v15, v16, v15, s1
	s_delay_alu instid0(VALU_DEP_1) | instskip(NEXT) | instid1(VALU_DEP_2)
	v_and_b32_e32 v17, 3, v17
	v_lshl_add_u32 v15, v15, 23, 0x37800000
	s_delay_alu instid0(VALU_DEP_2) | instskip(NEXT) | instid1(VALU_DEP_1)
	v_cndmask_b32_e64 v11, v11, v17, s1
	v_dual_lshlrev_b32 v18, 24, v33 :: v_dual_lshlrev_b32 v11, 21, v11
	s_delay_alu instid0(VALU_DEP_1) | instskip(NEXT) | instid1(VALU_DEP_1)
	v_and_b32_e32 v16, 0x80000000, v18
	v_or3_b32 v11, v16, v15, v11
.LBB243_240:
	s_or_b32 exec_lo, exec_lo, s6
	s_delay_alu instid0(VALU_DEP_1)
	v_cmp_neq_f32_e64 s4, v0, v11
                                        ; implicit-def: $vgpr33
                                        ; implicit-def: $vgpr34
.LBB243_241:
	s_and_not1_saveexec_b32 s5, s5
	s_cbranch_execz .LBB243_251
; %bb.242:
	s_wait_loadcnt_dscnt 0x0
	v_and_b32_e32 v11, 0xff, v34
	s_mov_b32 s6, 0
	s_mov_b32 s7, exec_lo
	s_delay_alu instid0(VALU_DEP_1)
	v_cmpx_lt_i16_e32 0x7f, v11
	s_xor_b32 s7, exec_lo, s7
	s_cbranch_execnz .LBB243_569
; %bb.243:
	s_or_saveexec_b32 s7, s7
	v_mov_b32_e32 v0, 0x7f800001
	s_xor_b32 exec_lo, exec_lo, s7
	s_cbranch_execnz .LBB243_572
.LBB243_244:
	s_or_b32 exec_lo, exec_lo, s7
	s_and_saveexec_b32 s7, s6
	s_cbranch_execz .LBB243_246
.LBB243_245:
	v_and_b32_e32 v0, 3, v34
	v_lshrrev_b16 v15, 2, v34
	v_lshlrev_b32_e32 v17, 24, v34
	s_delay_alu instid0(VALU_DEP_3) | instskip(NEXT) | instid1(VALU_DEP_3)
	v_clz_i32_u32_e32 v11, v0
	v_and_b32_e32 v15, 31, v15
	s_delay_alu instid0(VALU_DEP_2) | instskip(NEXT) | instid1(VALU_DEP_2)
	v_min_u32_e32 v11, 32, v11
	v_cmp_eq_u32_e64 s1, 0, v15
	s_delay_alu instid0(VALU_DEP_2) | instskip(NEXT) | instid1(VALU_DEP_1)
	v_subrev_nc_u32_e32 v16, 29, v11
	v_dual_lshlrev_b32 v16, v16, v34 :: v_dual_sub_nc_u32 v11, 30, v11
	s_delay_alu instid0(VALU_DEP_1) | instskip(SKIP_1) | instid1(VALU_DEP_2)
	v_dual_cndmask_b32 v11, v15, v11, s1 :: v_dual_bitop2_b32 v16, 3, v16 bitop3:0x40
	v_and_b32_e32 v15, 0x80000000, v17
	v_cndmask_b32_e64 v0, v0, v16, s1
	s_delay_alu instid0(VALU_DEP_3) | instskip(NEXT) | instid1(VALU_DEP_2)
	v_lshl_add_u32 v11, v11, 23, 0x37800000
	v_lshlrev_b32_e32 v0, 21, v0
	s_delay_alu instid0(VALU_DEP_1)
	v_or3_b32 v0, v15, v11, v0
.LBB243_246:
	s_or_b32 exec_lo, exec_lo, s7
	v_and_b32_e32 v15, 0xff, v33
	s_mov_b32 s6, 0
	s_mov_b32 s7, exec_lo
	s_delay_alu instid0(VALU_DEP_1)
	v_cmpx_lt_i16_e32 0x7f, v15
	s_xor_b32 s7, exec_lo, s7
	s_cbranch_execnz .LBB243_573
; %bb.247:
	s_or_saveexec_b32 s7, s7
	v_mov_b32_e32 v11, 0x7f800001
	s_xor_b32 exec_lo, exec_lo, s7
	s_cbranch_execnz .LBB243_576
.LBB243_248:
	s_or_b32 exec_lo, exec_lo, s7
	s_and_saveexec_b32 s7, s6
	s_cbranch_execz .LBB243_250
.LBB243_249:
	v_and_b32_e32 v11, 3, v33
	v_lshrrev_b16 v16, 2, v33
	s_delay_alu instid0(VALU_DEP_2) | instskip(NEXT) | instid1(VALU_DEP_1)
	v_clz_i32_u32_e32 v15, v11
	v_min_u32_e32 v15, 32, v15
	s_delay_alu instid0(VALU_DEP_3) | instskip(NEXT) | instid1(VALU_DEP_2)
	v_and_b32_e32 v16, 31, v16
	v_subrev_nc_u32_e32 v17, 29, v15
	v_sub_nc_u32_e32 v15, 30, v15
	s_delay_alu instid0(VALU_DEP_3) | instskip(NEXT) | instid1(VALU_DEP_1)
	v_cmp_eq_u32_e64 s1, 0, v16
	v_dual_lshlrev_b32 v17, v17, v33 :: v_dual_cndmask_b32 v15, v16, v15, s1
	s_delay_alu instid0(VALU_DEP_1) | instskip(NEXT) | instid1(VALU_DEP_2)
	v_and_b32_e32 v17, 3, v17
	v_lshl_add_u32 v15, v15, 23, 0x37800000
	s_delay_alu instid0(VALU_DEP_2) | instskip(NEXT) | instid1(VALU_DEP_1)
	v_cndmask_b32_e64 v11, v11, v17, s1
	v_dual_lshlrev_b32 v18, 24, v33 :: v_dual_lshlrev_b32 v11, 21, v11
	s_delay_alu instid0(VALU_DEP_1) | instskip(NEXT) | instid1(VALU_DEP_1)
	v_and_b32_e32 v16, 0x80000000, v18
	v_or3_b32 v11, v16, v15, v11
.LBB243_250:
	s_or_b32 exec_lo, exec_lo, s7
	s_delay_alu instid0(VALU_DEP_1) | instskip(SKIP_2) | instid1(SALU_CYCLE_1)
	v_cmp_eq_f32_e64 s1, v0, v11
	s_and_not1_b32 s4, s4, exec_lo
	s_and_b32 s1, s1, exec_lo
	s_or_b32 s4, s4, s1
.LBB243_251:
	s_or_b32 exec_lo, exec_lo, s5
	s_delay_alu instid0(VALU_DEP_1) | instskip(NEXT) | instid1(VALU_DEP_1)
	v_cndmask_b32_e64 v0, 0, 1, s4
	v_lshlrev_b16 v0, 8, v0
	s_delay_alu instid0(VALU_DEP_1) | instskip(NEXT) | instid1(VALU_DEP_1)
	v_bitop3_b16 v0, v4, v0, 0xff bitop3:0xec
	v_and_b32_e32 v0, 0xffff, v0
	s_delay_alu instid0(VALU_DEP_1)
	v_and_or_b32 v4, 0xffff0000, v4, v0
.LBB243_252:
	s_or_b32 exec_lo, exec_lo, s3
	v_add_nc_u32_e32 v0, 0xa00, v6
	s_mov_b32 s3, exec_lo
	s_delay_alu instid0(VALU_DEP_1)
	v_cmpx_lt_i32_e64 v0, v7
	s_cbranch_execz .LBB243_274
; %bb.253:
                                        ; implicit-def: $sgpr4
	s_and_saveexec_b32 s1, s0
	s_delay_alu instid0(SALU_CYCLE_1)
	s_xor_b32 s5, exec_lo, s1
	s_cbranch_execz .LBB243_263
; %bb.254:
	s_wait_loadcnt_dscnt 0x0
	v_and_b32_e32 v11, 0xff, v32
	s_mov_b32 s4, 0
	s_mov_b32 s6, exec_lo
	s_delay_alu instid0(VALU_DEP_1)
	v_cmpx_lt_i16_e32 0x7f, v11
	s_xor_b32 s6, exec_lo, s6
	s_cbranch_execnz .LBB243_577
; %bb.255:
	s_or_saveexec_b32 s6, s6
	v_mov_b32_e32 v0, 0x7f800001
	s_xor_b32 exec_lo, exec_lo, s6
	s_cbranch_execnz .LBB243_580
.LBB243_256:
	s_or_b32 exec_lo, exec_lo, s6
	s_and_saveexec_b32 s6, s4
	s_cbranch_execz .LBB243_258
.LBB243_257:
	v_and_b32_e32 v0, 3, v32
	v_lshrrev_b16 v15, 2, v32
	v_lshlrev_b32_e32 v17, 24, v32
	s_delay_alu instid0(VALU_DEP_3) | instskip(NEXT) | instid1(VALU_DEP_3)
	v_clz_i32_u32_e32 v11, v0
	v_and_b32_e32 v15, 31, v15
	s_delay_alu instid0(VALU_DEP_2) | instskip(NEXT) | instid1(VALU_DEP_2)
	v_min_u32_e32 v11, 32, v11
	v_cmp_eq_u32_e64 s1, 0, v15
	s_delay_alu instid0(VALU_DEP_2) | instskip(NEXT) | instid1(VALU_DEP_1)
	v_subrev_nc_u32_e32 v16, 29, v11
	v_dual_lshlrev_b32 v16, v16, v32 :: v_dual_sub_nc_u32 v11, 30, v11
	s_delay_alu instid0(VALU_DEP_1) | instskip(SKIP_1) | instid1(VALU_DEP_2)
	v_dual_cndmask_b32 v11, v15, v11, s1 :: v_dual_bitop2_b32 v16, 3, v16 bitop3:0x40
	v_and_b32_e32 v15, 0x80000000, v17
	v_cndmask_b32_e64 v0, v0, v16, s1
	s_delay_alu instid0(VALU_DEP_3) | instskip(NEXT) | instid1(VALU_DEP_2)
	v_lshl_add_u32 v11, v11, 23, 0x37800000
	v_lshlrev_b32_e32 v0, 21, v0
	s_delay_alu instid0(VALU_DEP_1)
	v_or3_b32 v0, v15, v11, v0
.LBB243_258:
	s_or_b32 exec_lo, exec_lo, s6
	v_and_b32_e32 v15, 0xff, v31
	s_mov_b32 s4, 0
	s_mov_b32 s6, exec_lo
	s_delay_alu instid0(VALU_DEP_1)
	v_cmpx_lt_i16_e32 0x7f, v15
	s_xor_b32 s6, exec_lo, s6
	s_cbranch_execnz .LBB243_581
; %bb.259:
	s_or_saveexec_b32 s6, s6
	v_mov_b32_e32 v11, 0x7f800001
	s_xor_b32 exec_lo, exec_lo, s6
	s_cbranch_execnz .LBB243_584
.LBB243_260:
	s_or_b32 exec_lo, exec_lo, s6
	s_and_saveexec_b32 s6, s4
	s_cbranch_execz .LBB243_262
.LBB243_261:
	v_and_b32_e32 v11, 3, v31
	v_lshrrev_b16 v16, 2, v31
	v_lshlrev_b32_e32 v18, 24, v31
	s_delay_alu instid0(VALU_DEP_3) | instskip(NEXT) | instid1(VALU_DEP_1)
	v_clz_i32_u32_e32 v15, v11
	v_min_u32_e32 v15, 32, v15
	s_delay_alu instid0(VALU_DEP_4) | instskip(NEXT) | instid1(VALU_DEP_2)
	v_and_b32_e32 v16, 31, v16
	v_subrev_nc_u32_e32 v17, 29, v15
	v_sub_nc_u32_e32 v15, 30, v15
	s_delay_alu instid0(VALU_DEP_3) | instskip(NEXT) | instid1(VALU_DEP_3)
	v_cmp_eq_u32_e64 s1, 0, v16
	v_lshlrev_b32_e32 v17, v17, v31
	s_delay_alu instid0(VALU_DEP_1) | instskip(SKIP_1) | instid1(VALU_DEP_2)
	v_dual_cndmask_b32 v15, v16, v15, s1 :: v_dual_bitop2_b32 v17, 3, v17 bitop3:0x40
	v_and_b32_e32 v16, 0x80000000, v18
	v_cndmask_b32_e64 v11, v11, v17, s1
	s_delay_alu instid0(VALU_DEP_3) | instskip(NEXT) | instid1(VALU_DEP_2)
	v_lshl_add_u32 v15, v15, 23, 0x37800000
	v_lshlrev_b32_e32 v11, 21, v11
	s_delay_alu instid0(VALU_DEP_1)
	v_or3_b32 v11, v16, v15, v11
.LBB243_262:
	s_or_b32 exec_lo, exec_lo, s6
	s_delay_alu instid0(VALU_DEP_1)
	v_cmp_neq_f32_e64 s4, v0, v11
                                        ; implicit-def: $vgpr31
                                        ; implicit-def: $vgpr32
.LBB243_263:
	s_and_not1_saveexec_b32 s5, s5
	s_cbranch_execz .LBB243_273
; %bb.264:
	s_wait_loadcnt_dscnt 0x0
	v_and_b32_e32 v11, 0xff, v32
	s_mov_b32 s6, 0
	s_mov_b32 s7, exec_lo
	s_delay_alu instid0(VALU_DEP_1)
	v_cmpx_lt_i16_e32 0x7f, v11
	s_xor_b32 s7, exec_lo, s7
	s_cbranch_execnz .LBB243_585
; %bb.265:
	s_or_saveexec_b32 s7, s7
	v_mov_b32_e32 v0, 0x7f800001
	s_xor_b32 exec_lo, exec_lo, s7
	s_cbranch_execnz .LBB243_588
.LBB243_266:
	s_or_b32 exec_lo, exec_lo, s7
	s_and_saveexec_b32 s7, s6
	s_cbranch_execz .LBB243_268
.LBB243_267:
	v_and_b32_e32 v0, 3, v32
	v_lshrrev_b16 v15, 2, v32
	v_lshlrev_b32_e32 v17, 24, v32
	s_delay_alu instid0(VALU_DEP_3) | instskip(NEXT) | instid1(VALU_DEP_3)
	v_clz_i32_u32_e32 v11, v0
	v_and_b32_e32 v15, 31, v15
	s_delay_alu instid0(VALU_DEP_2) | instskip(NEXT) | instid1(VALU_DEP_2)
	v_min_u32_e32 v11, 32, v11
	v_cmp_eq_u32_e64 s1, 0, v15
	s_delay_alu instid0(VALU_DEP_2) | instskip(NEXT) | instid1(VALU_DEP_1)
	v_subrev_nc_u32_e32 v16, 29, v11
	v_dual_lshlrev_b32 v16, v16, v32 :: v_dual_sub_nc_u32 v11, 30, v11
	s_delay_alu instid0(VALU_DEP_1) | instskip(SKIP_1) | instid1(VALU_DEP_2)
	v_dual_cndmask_b32 v11, v15, v11, s1 :: v_dual_bitop2_b32 v16, 3, v16 bitop3:0x40
	v_and_b32_e32 v15, 0x80000000, v17
	v_cndmask_b32_e64 v0, v0, v16, s1
	s_delay_alu instid0(VALU_DEP_3) | instskip(NEXT) | instid1(VALU_DEP_2)
	v_lshl_add_u32 v11, v11, 23, 0x37800000
	v_lshlrev_b32_e32 v0, 21, v0
	s_delay_alu instid0(VALU_DEP_1)
	v_or3_b32 v0, v15, v11, v0
.LBB243_268:
	s_or_b32 exec_lo, exec_lo, s7
	v_and_b32_e32 v15, 0xff, v31
	s_mov_b32 s6, 0
	s_mov_b32 s7, exec_lo
	s_delay_alu instid0(VALU_DEP_1)
	v_cmpx_lt_i16_e32 0x7f, v15
	s_xor_b32 s7, exec_lo, s7
	s_cbranch_execnz .LBB243_589
; %bb.269:
	s_or_saveexec_b32 s7, s7
	v_mov_b32_e32 v11, 0x7f800001
	s_xor_b32 exec_lo, exec_lo, s7
	s_cbranch_execnz .LBB243_592
.LBB243_270:
	s_or_b32 exec_lo, exec_lo, s7
	s_and_saveexec_b32 s7, s6
	s_cbranch_execz .LBB243_272
.LBB243_271:
	v_and_b32_e32 v11, 3, v31
	v_lshrrev_b16 v16, 2, v31
	v_lshlrev_b32_e32 v18, 24, v31
	s_delay_alu instid0(VALU_DEP_3) | instskip(NEXT) | instid1(VALU_DEP_1)
	v_clz_i32_u32_e32 v15, v11
	v_min_u32_e32 v15, 32, v15
	s_delay_alu instid0(VALU_DEP_4) | instskip(NEXT) | instid1(VALU_DEP_2)
	v_and_b32_e32 v16, 31, v16
	v_subrev_nc_u32_e32 v17, 29, v15
	v_sub_nc_u32_e32 v15, 30, v15
	s_delay_alu instid0(VALU_DEP_3) | instskip(NEXT) | instid1(VALU_DEP_3)
	v_cmp_eq_u32_e64 s1, 0, v16
	v_lshlrev_b32_e32 v17, v17, v31
	s_delay_alu instid0(VALU_DEP_1) | instskip(SKIP_1) | instid1(VALU_DEP_2)
	v_dual_cndmask_b32 v15, v16, v15, s1 :: v_dual_bitop2_b32 v17, 3, v17 bitop3:0x40
	v_and_b32_e32 v16, 0x80000000, v18
	v_cndmask_b32_e64 v11, v11, v17, s1
	s_delay_alu instid0(VALU_DEP_3) | instskip(NEXT) | instid1(VALU_DEP_2)
	v_lshl_add_u32 v15, v15, 23, 0x37800000
	v_lshlrev_b32_e32 v11, 21, v11
	s_delay_alu instid0(VALU_DEP_1)
	v_or3_b32 v11, v16, v15, v11
.LBB243_272:
	s_or_b32 exec_lo, exec_lo, s7
	s_delay_alu instid0(VALU_DEP_1) | instskip(SKIP_2) | instid1(SALU_CYCLE_1)
	v_cmp_eq_f32_e64 s1, v0, v11
	s_and_not1_b32 s4, s4, exec_lo
	s_and_b32 s1, s1, exec_lo
	s_or_b32 s4, s4, s1
.LBB243_273:
	s_or_b32 exec_lo, exec_lo, s5
	v_lshrrev_b32_e32 v0, 16, v4
	s_wait_loadcnt_dscnt 0x0
	v_cndmask_b32_e64 v11, 0, 1, s4
	s_delay_alu instid0(VALU_DEP_1) | instskip(NEXT) | instid1(VALU_DEP_1)
	v_bitop3_b16 v0, v11, v0, 0xff00 bitop3:0xf8
	v_lshlrev_b32_e32 v0, 16, v0
	s_delay_alu instid0(VALU_DEP_1)
	v_and_or_b32 v4, 0xffff, v4, v0
.LBB243_274:
	s_or_b32 exec_lo, exec_lo, s3
	v_add_nc_u32_e32 v0, 0xb00, v6
	s_mov_b32 s3, exec_lo
	s_delay_alu instid0(VALU_DEP_1)
	v_cmpx_lt_i32_e64 v0, v7
	s_cbranch_execz .LBB243_296
; %bb.275:
                                        ; implicit-def: $sgpr4
	s_and_saveexec_b32 s1, s0
	s_delay_alu instid0(SALU_CYCLE_1)
	s_xor_b32 s5, exec_lo, s1
	s_cbranch_execz .LBB243_285
; %bb.276:
	s_wait_loadcnt_dscnt 0x0
	v_and_b32_e32 v11, 0xff, v30
	s_mov_b32 s4, 0
	s_mov_b32 s6, exec_lo
	s_delay_alu instid0(VALU_DEP_1)
	v_cmpx_lt_i16_e32 0x7f, v11
	s_xor_b32 s6, exec_lo, s6
	s_cbranch_execnz .LBB243_593
; %bb.277:
	s_or_saveexec_b32 s6, s6
	v_mov_b32_e32 v0, 0x7f800001
	s_xor_b32 exec_lo, exec_lo, s6
	s_cbranch_execnz .LBB243_596
.LBB243_278:
	s_or_b32 exec_lo, exec_lo, s6
	s_and_saveexec_b32 s6, s4
	s_cbranch_execz .LBB243_280
.LBB243_279:
	v_and_b32_e32 v0, 3, v30
	v_lshrrev_b16 v15, 2, v30
	v_lshlrev_b32_e32 v17, 24, v30
	s_delay_alu instid0(VALU_DEP_3) | instskip(NEXT) | instid1(VALU_DEP_3)
	v_clz_i32_u32_e32 v11, v0
	v_and_b32_e32 v15, 31, v15
	s_delay_alu instid0(VALU_DEP_2) | instskip(NEXT) | instid1(VALU_DEP_2)
	v_min_u32_e32 v11, 32, v11
	v_cmp_eq_u32_e64 s1, 0, v15
	s_delay_alu instid0(VALU_DEP_2) | instskip(NEXT) | instid1(VALU_DEP_1)
	v_subrev_nc_u32_e32 v16, 29, v11
	v_dual_lshlrev_b32 v16, v16, v30 :: v_dual_sub_nc_u32 v11, 30, v11
	s_delay_alu instid0(VALU_DEP_1) | instskip(SKIP_1) | instid1(VALU_DEP_2)
	v_dual_cndmask_b32 v11, v15, v11, s1 :: v_dual_bitop2_b32 v16, 3, v16 bitop3:0x40
	v_and_b32_e32 v15, 0x80000000, v17
	v_cndmask_b32_e64 v0, v0, v16, s1
	s_delay_alu instid0(VALU_DEP_3) | instskip(NEXT) | instid1(VALU_DEP_2)
	v_lshl_add_u32 v11, v11, 23, 0x37800000
	v_lshlrev_b32_e32 v0, 21, v0
	s_delay_alu instid0(VALU_DEP_1)
	v_or3_b32 v0, v15, v11, v0
.LBB243_280:
	s_or_b32 exec_lo, exec_lo, s6
	v_and_b32_e32 v15, 0xff, v29
	s_mov_b32 s4, 0
	s_mov_b32 s6, exec_lo
	s_delay_alu instid0(VALU_DEP_1)
	v_cmpx_lt_i16_e32 0x7f, v15
	s_xor_b32 s6, exec_lo, s6
	s_cbranch_execnz .LBB243_597
; %bb.281:
	s_or_saveexec_b32 s6, s6
	v_mov_b32_e32 v11, 0x7f800001
	s_xor_b32 exec_lo, exec_lo, s6
	s_cbranch_execnz .LBB243_600
.LBB243_282:
	s_or_b32 exec_lo, exec_lo, s6
	s_and_saveexec_b32 s6, s4
	s_cbranch_execz .LBB243_284
.LBB243_283:
	v_and_b32_e32 v11, 3, v29
	v_lshrrev_b16 v16, 2, v29
	s_delay_alu instid0(VALU_DEP_2) | instskip(NEXT) | instid1(VALU_DEP_1)
	v_clz_i32_u32_e32 v15, v11
	v_min_u32_e32 v15, 32, v15
	s_delay_alu instid0(VALU_DEP_3) | instskip(NEXT) | instid1(VALU_DEP_2)
	v_and_b32_e32 v16, 31, v16
	v_subrev_nc_u32_e32 v17, 29, v15
	v_sub_nc_u32_e32 v15, 30, v15
	s_delay_alu instid0(VALU_DEP_3) | instskip(NEXT) | instid1(VALU_DEP_1)
	v_cmp_eq_u32_e64 s1, 0, v16
	v_dual_lshlrev_b32 v17, v17, v29 :: v_dual_cndmask_b32 v15, v16, v15, s1
	s_delay_alu instid0(VALU_DEP_1) | instskip(NEXT) | instid1(VALU_DEP_2)
	v_and_b32_e32 v17, 3, v17
	v_lshl_add_u32 v15, v15, 23, 0x37800000
	s_delay_alu instid0(VALU_DEP_2) | instskip(NEXT) | instid1(VALU_DEP_1)
	v_cndmask_b32_e64 v11, v11, v17, s1
	v_dual_lshlrev_b32 v18, 24, v29 :: v_dual_lshlrev_b32 v11, 21, v11
	s_delay_alu instid0(VALU_DEP_1) | instskip(NEXT) | instid1(VALU_DEP_1)
	v_and_b32_e32 v16, 0x80000000, v18
	v_or3_b32 v11, v16, v15, v11
.LBB243_284:
	s_or_b32 exec_lo, exec_lo, s6
	s_delay_alu instid0(VALU_DEP_1)
	v_cmp_neq_f32_e64 s4, v0, v11
                                        ; implicit-def: $vgpr29
                                        ; implicit-def: $vgpr30
.LBB243_285:
	s_and_not1_saveexec_b32 s5, s5
	s_cbranch_execz .LBB243_295
; %bb.286:
	s_wait_loadcnt_dscnt 0x0
	v_and_b32_e32 v11, 0xff, v30
	s_mov_b32 s6, 0
	s_mov_b32 s7, exec_lo
	s_delay_alu instid0(VALU_DEP_1)
	v_cmpx_lt_i16_e32 0x7f, v11
	s_xor_b32 s7, exec_lo, s7
	s_cbranch_execnz .LBB243_601
; %bb.287:
	s_or_saveexec_b32 s7, s7
	v_mov_b32_e32 v0, 0x7f800001
	s_xor_b32 exec_lo, exec_lo, s7
	s_cbranch_execnz .LBB243_604
.LBB243_288:
	s_or_b32 exec_lo, exec_lo, s7
	s_and_saveexec_b32 s7, s6
	s_cbranch_execz .LBB243_290
.LBB243_289:
	v_and_b32_e32 v0, 3, v30
	v_lshrrev_b16 v15, 2, v30
	v_lshlrev_b32_e32 v17, 24, v30
	s_delay_alu instid0(VALU_DEP_3) | instskip(NEXT) | instid1(VALU_DEP_3)
	v_clz_i32_u32_e32 v11, v0
	v_and_b32_e32 v15, 31, v15
	s_delay_alu instid0(VALU_DEP_2) | instskip(NEXT) | instid1(VALU_DEP_2)
	v_min_u32_e32 v11, 32, v11
	v_cmp_eq_u32_e64 s1, 0, v15
	s_delay_alu instid0(VALU_DEP_2) | instskip(NEXT) | instid1(VALU_DEP_1)
	v_subrev_nc_u32_e32 v16, 29, v11
	v_dual_lshlrev_b32 v16, v16, v30 :: v_dual_sub_nc_u32 v11, 30, v11
	s_delay_alu instid0(VALU_DEP_1) | instskip(SKIP_1) | instid1(VALU_DEP_2)
	v_dual_cndmask_b32 v11, v15, v11, s1 :: v_dual_bitop2_b32 v16, 3, v16 bitop3:0x40
	v_and_b32_e32 v15, 0x80000000, v17
	v_cndmask_b32_e64 v0, v0, v16, s1
	s_delay_alu instid0(VALU_DEP_3) | instskip(NEXT) | instid1(VALU_DEP_2)
	v_lshl_add_u32 v11, v11, 23, 0x37800000
	v_lshlrev_b32_e32 v0, 21, v0
	s_delay_alu instid0(VALU_DEP_1)
	v_or3_b32 v0, v15, v11, v0
.LBB243_290:
	s_or_b32 exec_lo, exec_lo, s7
	v_and_b32_e32 v15, 0xff, v29
	s_mov_b32 s6, 0
	s_mov_b32 s7, exec_lo
	s_delay_alu instid0(VALU_DEP_1)
	v_cmpx_lt_i16_e32 0x7f, v15
	s_xor_b32 s7, exec_lo, s7
	s_cbranch_execnz .LBB243_605
; %bb.291:
	s_or_saveexec_b32 s7, s7
	v_mov_b32_e32 v11, 0x7f800001
	s_xor_b32 exec_lo, exec_lo, s7
	s_cbranch_execnz .LBB243_608
.LBB243_292:
	s_or_b32 exec_lo, exec_lo, s7
	s_and_saveexec_b32 s7, s6
	s_cbranch_execz .LBB243_294
.LBB243_293:
	v_and_b32_e32 v11, 3, v29
	v_lshrrev_b16 v16, 2, v29
	s_delay_alu instid0(VALU_DEP_2) | instskip(NEXT) | instid1(VALU_DEP_1)
	v_clz_i32_u32_e32 v15, v11
	v_min_u32_e32 v15, 32, v15
	s_delay_alu instid0(VALU_DEP_3) | instskip(NEXT) | instid1(VALU_DEP_2)
	v_and_b32_e32 v16, 31, v16
	v_subrev_nc_u32_e32 v17, 29, v15
	v_sub_nc_u32_e32 v15, 30, v15
	s_delay_alu instid0(VALU_DEP_3) | instskip(NEXT) | instid1(VALU_DEP_1)
	v_cmp_eq_u32_e64 s1, 0, v16
	v_dual_lshlrev_b32 v17, v17, v29 :: v_dual_cndmask_b32 v15, v16, v15, s1
	s_delay_alu instid0(VALU_DEP_1) | instskip(NEXT) | instid1(VALU_DEP_2)
	v_and_b32_e32 v17, 3, v17
	v_lshl_add_u32 v15, v15, 23, 0x37800000
	s_delay_alu instid0(VALU_DEP_2) | instskip(NEXT) | instid1(VALU_DEP_1)
	v_cndmask_b32_e64 v11, v11, v17, s1
	v_dual_lshlrev_b32 v18, 24, v29 :: v_dual_lshlrev_b32 v11, 21, v11
	s_delay_alu instid0(VALU_DEP_1) | instskip(NEXT) | instid1(VALU_DEP_1)
	v_and_b32_e32 v16, 0x80000000, v18
	v_or3_b32 v11, v16, v15, v11
.LBB243_294:
	s_or_b32 exec_lo, exec_lo, s7
	s_delay_alu instid0(VALU_DEP_1) | instskip(SKIP_2) | instid1(SALU_CYCLE_1)
	v_cmp_eq_f32_e64 s1, v0, v11
	s_and_not1_b32 s4, s4, exec_lo
	s_and_b32 s1, s1, exec_lo
	s_or_b32 s4, s4, s1
.LBB243_295:
	s_or_b32 exec_lo, exec_lo, s5
	s_delay_alu instid0(VALU_DEP_1) | instskip(SKIP_2) | instid1(VALU_DEP_2)
	v_cndmask_b32_e64 v0, 0, 1, s4
	s_wait_loadcnt_dscnt 0x0
	v_lshrrev_b32_e32 v11, 16, v4
	v_lshlrev_b16 v0, 8, v0
	s_delay_alu instid0(VALU_DEP_1) | instskip(NEXT) | instid1(VALU_DEP_1)
	v_bitop3_b16 v0, v11, v0, 0xff bitop3:0xec
	v_lshlrev_b32_e32 v0, 16, v0
	s_delay_alu instid0(VALU_DEP_1)
	v_and_or_b32 v4, 0xffff, v4, v0
.LBB243_296:
	s_or_b32 exec_lo, exec_lo, s3
	v_or_b32_e32 v0, 0xc00, v6
	s_mov_b32 s3, exec_lo
	s_delay_alu instid0(VALU_DEP_1)
	v_cmpx_lt_i32_e64 v0, v7
	s_cbranch_execz .LBB243_318
; %bb.297:
                                        ; implicit-def: $sgpr4
	s_and_saveexec_b32 s1, s0
	s_delay_alu instid0(SALU_CYCLE_1)
	s_xor_b32 s5, exec_lo, s1
	s_cbranch_execz .LBB243_307
; %bb.298:
	s_wait_loadcnt_dscnt 0x0
	v_and_b32_e32 v11, 0xff, v28
	s_mov_b32 s4, 0
	s_mov_b32 s6, exec_lo
	s_delay_alu instid0(VALU_DEP_1)
	v_cmpx_lt_i16_e32 0x7f, v11
	s_xor_b32 s6, exec_lo, s6
	s_cbranch_execnz .LBB243_609
; %bb.299:
	s_or_saveexec_b32 s6, s6
	v_mov_b32_e32 v0, 0x7f800001
	s_xor_b32 exec_lo, exec_lo, s6
	s_cbranch_execnz .LBB243_612
.LBB243_300:
	s_or_b32 exec_lo, exec_lo, s6
	s_and_saveexec_b32 s6, s4
	s_cbranch_execz .LBB243_302
.LBB243_301:
	v_and_b32_e32 v0, 3, v28
	v_lshrrev_b16 v15, 2, v28
	v_lshlrev_b32_e32 v17, 24, v28
	s_delay_alu instid0(VALU_DEP_3) | instskip(NEXT) | instid1(VALU_DEP_3)
	v_clz_i32_u32_e32 v11, v0
	v_and_b32_e32 v15, 31, v15
	s_delay_alu instid0(VALU_DEP_2) | instskip(NEXT) | instid1(VALU_DEP_2)
	v_min_u32_e32 v11, 32, v11
	v_cmp_eq_u32_e64 s1, 0, v15
	s_delay_alu instid0(VALU_DEP_2) | instskip(NEXT) | instid1(VALU_DEP_1)
	v_subrev_nc_u32_e32 v16, 29, v11
	v_dual_lshlrev_b32 v16, v16, v28 :: v_dual_sub_nc_u32 v11, 30, v11
	s_delay_alu instid0(VALU_DEP_1) | instskip(SKIP_1) | instid1(VALU_DEP_2)
	v_dual_cndmask_b32 v11, v15, v11, s1 :: v_dual_bitop2_b32 v16, 3, v16 bitop3:0x40
	v_and_b32_e32 v15, 0x80000000, v17
	v_cndmask_b32_e64 v0, v0, v16, s1
	s_delay_alu instid0(VALU_DEP_3) | instskip(NEXT) | instid1(VALU_DEP_2)
	v_lshl_add_u32 v11, v11, 23, 0x37800000
	v_lshlrev_b32_e32 v0, 21, v0
	s_delay_alu instid0(VALU_DEP_1)
	v_or3_b32 v0, v15, v11, v0
.LBB243_302:
	s_or_b32 exec_lo, exec_lo, s6
	v_and_b32_e32 v15, 0xff, v27
	s_mov_b32 s4, 0
	s_mov_b32 s6, exec_lo
	s_delay_alu instid0(VALU_DEP_1)
	v_cmpx_lt_i16_e32 0x7f, v15
	s_xor_b32 s6, exec_lo, s6
	s_cbranch_execnz .LBB243_613
; %bb.303:
	s_or_saveexec_b32 s6, s6
	v_mov_b32_e32 v11, 0x7f800001
	s_xor_b32 exec_lo, exec_lo, s6
	s_cbranch_execnz .LBB243_616
.LBB243_304:
	s_or_b32 exec_lo, exec_lo, s6
	s_and_saveexec_b32 s6, s4
	s_cbranch_execz .LBB243_306
.LBB243_305:
	v_and_b32_e32 v11, 3, v27
	v_lshrrev_b16 v16, 2, v27
	v_lshlrev_b32_e32 v18, 24, v27
	s_delay_alu instid0(VALU_DEP_3) | instskip(NEXT) | instid1(VALU_DEP_1)
	v_clz_i32_u32_e32 v15, v11
	v_min_u32_e32 v15, 32, v15
	s_delay_alu instid0(VALU_DEP_4) | instskip(NEXT) | instid1(VALU_DEP_2)
	v_and_b32_e32 v16, 31, v16
	v_subrev_nc_u32_e32 v17, 29, v15
	v_sub_nc_u32_e32 v15, 30, v15
	s_delay_alu instid0(VALU_DEP_3) | instskip(NEXT) | instid1(VALU_DEP_3)
	v_cmp_eq_u32_e64 s1, 0, v16
	v_lshlrev_b32_e32 v17, v17, v27
	s_delay_alu instid0(VALU_DEP_1) | instskip(SKIP_1) | instid1(VALU_DEP_2)
	v_dual_cndmask_b32 v15, v16, v15, s1 :: v_dual_bitop2_b32 v17, 3, v17 bitop3:0x40
	v_and_b32_e32 v16, 0x80000000, v18
	v_cndmask_b32_e64 v11, v11, v17, s1
	s_delay_alu instid0(VALU_DEP_3) | instskip(NEXT) | instid1(VALU_DEP_2)
	v_lshl_add_u32 v15, v15, 23, 0x37800000
	v_lshlrev_b32_e32 v11, 21, v11
	s_delay_alu instid0(VALU_DEP_1)
	v_or3_b32 v11, v16, v15, v11
.LBB243_306:
	s_or_b32 exec_lo, exec_lo, s6
	s_delay_alu instid0(VALU_DEP_1)
	v_cmp_neq_f32_e64 s4, v0, v11
                                        ; implicit-def: $vgpr27
                                        ; implicit-def: $vgpr28
.LBB243_307:
	s_and_not1_saveexec_b32 s5, s5
	s_cbranch_execz .LBB243_317
; %bb.308:
	s_wait_loadcnt_dscnt 0x0
	v_and_b32_e32 v11, 0xff, v28
	s_mov_b32 s6, 0
	s_mov_b32 s7, exec_lo
	s_delay_alu instid0(VALU_DEP_1)
	v_cmpx_lt_i16_e32 0x7f, v11
	s_xor_b32 s7, exec_lo, s7
	s_cbranch_execnz .LBB243_617
; %bb.309:
	s_or_saveexec_b32 s7, s7
	v_mov_b32_e32 v0, 0x7f800001
	s_xor_b32 exec_lo, exec_lo, s7
	s_cbranch_execnz .LBB243_620
.LBB243_310:
	s_or_b32 exec_lo, exec_lo, s7
	s_and_saveexec_b32 s7, s6
	s_cbranch_execz .LBB243_312
.LBB243_311:
	v_and_b32_e32 v0, 3, v28
	v_lshrrev_b16 v15, 2, v28
	v_lshlrev_b32_e32 v17, 24, v28
	s_delay_alu instid0(VALU_DEP_3) | instskip(NEXT) | instid1(VALU_DEP_3)
	v_clz_i32_u32_e32 v11, v0
	v_and_b32_e32 v15, 31, v15
	s_delay_alu instid0(VALU_DEP_2) | instskip(NEXT) | instid1(VALU_DEP_2)
	v_min_u32_e32 v11, 32, v11
	v_cmp_eq_u32_e64 s1, 0, v15
	s_delay_alu instid0(VALU_DEP_2) | instskip(NEXT) | instid1(VALU_DEP_1)
	v_subrev_nc_u32_e32 v16, 29, v11
	v_dual_lshlrev_b32 v16, v16, v28 :: v_dual_sub_nc_u32 v11, 30, v11
	s_delay_alu instid0(VALU_DEP_1) | instskip(SKIP_1) | instid1(VALU_DEP_2)
	v_dual_cndmask_b32 v11, v15, v11, s1 :: v_dual_bitop2_b32 v16, 3, v16 bitop3:0x40
	v_and_b32_e32 v15, 0x80000000, v17
	v_cndmask_b32_e64 v0, v0, v16, s1
	s_delay_alu instid0(VALU_DEP_3) | instskip(NEXT) | instid1(VALU_DEP_2)
	v_lshl_add_u32 v11, v11, 23, 0x37800000
	v_lshlrev_b32_e32 v0, 21, v0
	s_delay_alu instid0(VALU_DEP_1)
	v_or3_b32 v0, v15, v11, v0
.LBB243_312:
	s_or_b32 exec_lo, exec_lo, s7
	v_and_b32_e32 v15, 0xff, v27
	s_mov_b32 s6, 0
	s_mov_b32 s7, exec_lo
	s_delay_alu instid0(VALU_DEP_1)
	v_cmpx_lt_i16_e32 0x7f, v15
	s_xor_b32 s7, exec_lo, s7
	s_cbranch_execnz .LBB243_621
; %bb.313:
	s_or_saveexec_b32 s7, s7
	v_mov_b32_e32 v11, 0x7f800001
	s_xor_b32 exec_lo, exec_lo, s7
	s_cbranch_execnz .LBB243_624
.LBB243_314:
	s_or_b32 exec_lo, exec_lo, s7
	s_and_saveexec_b32 s7, s6
	s_cbranch_execz .LBB243_316
.LBB243_315:
	v_and_b32_e32 v11, 3, v27
	v_lshrrev_b16 v16, 2, v27
	v_lshlrev_b32_e32 v18, 24, v27
	s_delay_alu instid0(VALU_DEP_3) | instskip(NEXT) | instid1(VALU_DEP_1)
	v_clz_i32_u32_e32 v15, v11
	v_min_u32_e32 v15, 32, v15
	s_delay_alu instid0(VALU_DEP_4) | instskip(NEXT) | instid1(VALU_DEP_2)
	v_and_b32_e32 v16, 31, v16
	v_subrev_nc_u32_e32 v17, 29, v15
	v_sub_nc_u32_e32 v15, 30, v15
	s_delay_alu instid0(VALU_DEP_3) | instskip(NEXT) | instid1(VALU_DEP_3)
	v_cmp_eq_u32_e64 s1, 0, v16
	v_lshlrev_b32_e32 v17, v17, v27
	s_delay_alu instid0(VALU_DEP_1) | instskip(SKIP_1) | instid1(VALU_DEP_2)
	v_dual_cndmask_b32 v15, v16, v15, s1 :: v_dual_bitop2_b32 v17, 3, v17 bitop3:0x40
	v_and_b32_e32 v16, 0x80000000, v18
	v_cndmask_b32_e64 v11, v11, v17, s1
	s_delay_alu instid0(VALU_DEP_3) | instskip(NEXT) | instid1(VALU_DEP_2)
	v_lshl_add_u32 v15, v15, 23, 0x37800000
	v_lshlrev_b32_e32 v11, 21, v11
	s_delay_alu instid0(VALU_DEP_1)
	v_or3_b32 v11, v16, v15, v11
.LBB243_316:
	s_or_b32 exec_lo, exec_lo, s7
	s_delay_alu instid0(VALU_DEP_1) | instskip(SKIP_2) | instid1(SALU_CYCLE_1)
	v_cmp_eq_f32_e64 s1, v0, v11
	s_and_not1_b32 s4, s4, exec_lo
	s_and_b32 s1, s1, exec_lo
	s_or_b32 s4, s4, s1
.LBB243_317:
	s_or_b32 exec_lo, exec_lo, s5
	s_delay_alu instid0(VALU_DEP_1) | instskip(NEXT) | instid1(VALU_DEP_1)
	v_cndmask_b32_e64 v0, 0, 1, s4
	v_bitop3_b16 v0, v0, v3, 0xff00 bitop3:0xf8
	s_delay_alu instid0(VALU_DEP_1) | instskip(NEXT) | instid1(VALU_DEP_1)
	v_and_b32_e32 v0, 0xffff, v0
	v_and_or_b32 v3, 0xffff0000, v3, v0
.LBB243_318:
	s_or_b32 exec_lo, exec_lo, s3
	v_add_nc_u32_e32 v0, 0xd00, v6
	s_mov_b32 s3, exec_lo
	s_delay_alu instid0(VALU_DEP_1)
	v_cmpx_lt_i32_e64 v0, v7
	s_cbranch_execz .LBB243_340
; %bb.319:
                                        ; implicit-def: $sgpr4
	s_and_saveexec_b32 s1, s0
	s_delay_alu instid0(SALU_CYCLE_1)
	s_xor_b32 s5, exec_lo, s1
	s_cbranch_execz .LBB243_329
; %bb.320:
	s_wait_loadcnt_dscnt 0x0
	v_and_b32_e32 v11, 0xff, v26
	s_mov_b32 s4, 0
	s_mov_b32 s6, exec_lo
	s_delay_alu instid0(VALU_DEP_1)
	v_cmpx_lt_i16_e32 0x7f, v11
	s_xor_b32 s6, exec_lo, s6
	s_cbranch_execnz .LBB243_625
; %bb.321:
	s_or_saveexec_b32 s6, s6
	v_mov_b32_e32 v0, 0x7f800001
	s_xor_b32 exec_lo, exec_lo, s6
	s_cbranch_execnz .LBB243_628
.LBB243_322:
	s_or_b32 exec_lo, exec_lo, s6
	s_and_saveexec_b32 s6, s4
	s_cbranch_execz .LBB243_324
.LBB243_323:
	v_and_b32_e32 v0, 3, v26
	v_lshrrev_b16 v15, 2, v26
	v_lshlrev_b32_e32 v17, 24, v26
	s_delay_alu instid0(VALU_DEP_3) | instskip(NEXT) | instid1(VALU_DEP_3)
	v_clz_i32_u32_e32 v11, v0
	v_and_b32_e32 v15, 31, v15
	s_delay_alu instid0(VALU_DEP_2) | instskip(NEXT) | instid1(VALU_DEP_2)
	v_min_u32_e32 v11, 32, v11
	v_cmp_eq_u32_e64 s1, 0, v15
	s_delay_alu instid0(VALU_DEP_2) | instskip(NEXT) | instid1(VALU_DEP_1)
	v_subrev_nc_u32_e32 v16, 29, v11
	v_dual_lshlrev_b32 v16, v16, v26 :: v_dual_sub_nc_u32 v11, 30, v11
	s_delay_alu instid0(VALU_DEP_1) | instskip(SKIP_1) | instid1(VALU_DEP_2)
	v_dual_cndmask_b32 v11, v15, v11, s1 :: v_dual_bitop2_b32 v16, 3, v16 bitop3:0x40
	v_and_b32_e32 v15, 0x80000000, v17
	v_cndmask_b32_e64 v0, v0, v16, s1
	s_delay_alu instid0(VALU_DEP_3) | instskip(NEXT) | instid1(VALU_DEP_2)
	v_lshl_add_u32 v11, v11, 23, 0x37800000
	v_lshlrev_b32_e32 v0, 21, v0
	s_delay_alu instid0(VALU_DEP_1)
	v_or3_b32 v0, v15, v11, v0
.LBB243_324:
	s_or_b32 exec_lo, exec_lo, s6
	v_and_b32_e32 v15, 0xff, v25
	s_mov_b32 s4, 0
	s_mov_b32 s6, exec_lo
	s_delay_alu instid0(VALU_DEP_1)
	v_cmpx_lt_i16_e32 0x7f, v15
	s_xor_b32 s6, exec_lo, s6
	s_cbranch_execnz .LBB243_629
; %bb.325:
	s_or_saveexec_b32 s6, s6
	v_mov_b32_e32 v11, 0x7f800001
	s_xor_b32 exec_lo, exec_lo, s6
	s_cbranch_execnz .LBB243_632
.LBB243_326:
	s_or_b32 exec_lo, exec_lo, s6
	s_and_saveexec_b32 s6, s4
	s_cbranch_execz .LBB243_328
.LBB243_327:
	v_and_b32_e32 v11, 3, v25
	v_lshrrev_b16 v16, 2, v25
	s_delay_alu instid0(VALU_DEP_2) | instskip(NEXT) | instid1(VALU_DEP_1)
	v_clz_i32_u32_e32 v15, v11
	v_min_u32_e32 v15, 32, v15
	s_delay_alu instid0(VALU_DEP_3) | instskip(NEXT) | instid1(VALU_DEP_2)
	v_and_b32_e32 v16, 31, v16
	v_subrev_nc_u32_e32 v17, 29, v15
	v_sub_nc_u32_e32 v15, 30, v15
	s_delay_alu instid0(VALU_DEP_3) | instskip(NEXT) | instid1(VALU_DEP_1)
	v_cmp_eq_u32_e64 s1, 0, v16
	v_dual_lshlrev_b32 v17, v17, v25 :: v_dual_cndmask_b32 v15, v16, v15, s1
	s_delay_alu instid0(VALU_DEP_1) | instskip(NEXT) | instid1(VALU_DEP_2)
	v_and_b32_e32 v17, 3, v17
	v_lshl_add_u32 v15, v15, 23, 0x37800000
	s_delay_alu instid0(VALU_DEP_2) | instskip(NEXT) | instid1(VALU_DEP_1)
	v_cndmask_b32_e64 v11, v11, v17, s1
	v_dual_lshlrev_b32 v18, 24, v25 :: v_dual_lshlrev_b32 v11, 21, v11
	s_delay_alu instid0(VALU_DEP_1) | instskip(NEXT) | instid1(VALU_DEP_1)
	v_and_b32_e32 v16, 0x80000000, v18
	v_or3_b32 v11, v16, v15, v11
.LBB243_328:
	s_or_b32 exec_lo, exec_lo, s6
	s_delay_alu instid0(VALU_DEP_1)
	v_cmp_neq_f32_e64 s4, v0, v11
                                        ; implicit-def: $vgpr25
                                        ; implicit-def: $vgpr26
.LBB243_329:
	s_and_not1_saveexec_b32 s5, s5
	s_cbranch_execz .LBB243_339
; %bb.330:
	s_wait_loadcnt_dscnt 0x0
	v_and_b32_e32 v11, 0xff, v26
	s_mov_b32 s6, 0
	s_mov_b32 s7, exec_lo
	s_delay_alu instid0(VALU_DEP_1)
	v_cmpx_lt_i16_e32 0x7f, v11
	s_xor_b32 s7, exec_lo, s7
	s_cbranch_execnz .LBB243_633
; %bb.331:
	s_or_saveexec_b32 s7, s7
	v_mov_b32_e32 v0, 0x7f800001
	s_xor_b32 exec_lo, exec_lo, s7
	s_cbranch_execnz .LBB243_636
.LBB243_332:
	s_or_b32 exec_lo, exec_lo, s7
	s_and_saveexec_b32 s7, s6
	s_cbranch_execz .LBB243_334
.LBB243_333:
	v_and_b32_e32 v0, 3, v26
	v_lshrrev_b16 v15, 2, v26
	v_lshlrev_b32_e32 v17, 24, v26
	s_delay_alu instid0(VALU_DEP_3) | instskip(NEXT) | instid1(VALU_DEP_3)
	v_clz_i32_u32_e32 v11, v0
	v_and_b32_e32 v15, 31, v15
	s_delay_alu instid0(VALU_DEP_2) | instskip(NEXT) | instid1(VALU_DEP_2)
	v_min_u32_e32 v11, 32, v11
	v_cmp_eq_u32_e64 s1, 0, v15
	s_delay_alu instid0(VALU_DEP_2) | instskip(NEXT) | instid1(VALU_DEP_1)
	v_subrev_nc_u32_e32 v16, 29, v11
	v_dual_lshlrev_b32 v16, v16, v26 :: v_dual_sub_nc_u32 v11, 30, v11
	s_delay_alu instid0(VALU_DEP_1) | instskip(SKIP_1) | instid1(VALU_DEP_2)
	v_dual_cndmask_b32 v11, v15, v11, s1 :: v_dual_bitop2_b32 v16, 3, v16 bitop3:0x40
	v_and_b32_e32 v15, 0x80000000, v17
	v_cndmask_b32_e64 v0, v0, v16, s1
	s_delay_alu instid0(VALU_DEP_3) | instskip(NEXT) | instid1(VALU_DEP_2)
	v_lshl_add_u32 v11, v11, 23, 0x37800000
	v_lshlrev_b32_e32 v0, 21, v0
	s_delay_alu instid0(VALU_DEP_1)
	v_or3_b32 v0, v15, v11, v0
.LBB243_334:
	s_or_b32 exec_lo, exec_lo, s7
	v_and_b32_e32 v15, 0xff, v25
	s_mov_b32 s6, 0
	s_mov_b32 s7, exec_lo
	s_delay_alu instid0(VALU_DEP_1)
	v_cmpx_lt_i16_e32 0x7f, v15
	s_xor_b32 s7, exec_lo, s7
	s_cbranch_execnz .LBB243_637
; %bb.335:
	s_or_saveexec_b32 s7, s7
	v_mov_b32_e32 v11, 0x7f800001
	s_xor_b32 exec_lo, exec_lo, s7
	s_cbranch_execnz .LBB243_640
.LBB243_336:
	s_or_b32 exec_lo, exec_lo, s7
	s_and_saveexec_b32 s7, s6
	s_cbranch_execz .LBB243_338
.LBB243_337:
	v_and_b32_e32 v11, 3, v25
	v_lshrrev_b16 v16, 2, v25
	s_delay_alu instid0(VALU_DEP_2) | instskip(NEXT) | instid1(VALU_DEP_1)
	v_clz_i32_u32_e32 v15, v11
	v_min_u32_e32 v15, 32, v15
	s_delay_alu instid0(VALU_DEP_3) | instskip(NEXT) | instid1(VALU_DEP_2)
	v_and_b32_e32 v16, 31, v16
	v_subrev_nc_u32_e32 v17, 29, v15
	v_sub_nc_u32_e32 v15, 30, v15
	s_delay_alu instid0(VALU_DEP_3) | instskip(NEXT) | instid1(VALU_DEP_1)
	v_cmp_eq_u32_e64 s1, 0, v16
	v_dual_lshlrev_b32 v17, v17, v25 :: v_dual_cndmask_b32 v15, v16, v15, s1
	s_delay_alu instid0(VALU_DEP_1) | instskip(NEXT) | instid1(VALU_DEP_2)
	v_and_b32_e32 v17, 3, v17
	v_lshl_add_u32 v15, v15, 23, 0x37800000
	s_delay_alu instid0(VALU_DEP_2) | instskip(NEXT) | instid1(VALU_DEP_1)
	v_cndmask_b32_e64 v11, v11, v17, s1
	v_dual_lshlrev_b32 v18, 24, v25 :: v_dual_lshlrev_b32 v11, 21, v11
	s_delay_alu instid0(VALU_DEP_1) | instskip(NEXT) | instid1(VALU_DEP_1)
	v_and_b32_e32 v16, 0x80000000, v18
	v_or3_b32 v11, v16, v15, v11
.LBB243_338:
	s_or_b32 exec_lo, exec_lo, s7
	s_delay_alu instid0(VALU_DEP_1) | instskip(SKIP_2) | instid1(SALU_CYCLE_1)
	v_cmp_eq_f32_e64 s1, v0, v11
	s_and_not1_b32 s4, s4, exec_lo
	s_and_b32 s1, s1, exec_lo
	s_or_b32 s4, s4, s1
.LBB243_339:
	s_or_b32 exec_lo, exec_lo, s5
	s_delay_alu instid0(VALU_DEP_1) | instskip(NEXT) | instid1(VALU_DEP_1)
	v_cndmask_b32_e64 v0, 0, 1, s4
	v_lshlrev_b16 v0, 8, v0
	s_delay_alu instid0(VALU_DEP_1) | instskip(NEXT) | instid1(VALU_DEP_1)
	v_bitop3_b16 v0, v3, v0, 0xff bitop3:0xec
	v_and_b32_e32 v0, 0xffff, v0
	s_delay_alu instid0(VALU_DEP_1)
	v_and_or_b32 v3, 0xffff0000, v3, v0
.LBB243_340:
	s_or_b32 exec_lo, exec_lo, s3
	v_add_nc_u32_e32 v0, 0xe00, v6
	s_mov_b32 s3, exec_lo
	s_delay_alu instid0(VALU_DEP_1)
	v_cmpx_lt_i32_e64 v0, v7
	s_cbranch_execz .LBB243_362
; %bb.341:
                                        ; implicit-def: $sgpr4
	s_and_saveexec_b32 s1, s0
	s_delay_alu instid0(SALU_CYCLE_1)
	s_xor_b32 s5, exec_lo, s1
	s_cbranch_execz .LBB243_351
; %bb.342:
	s_wait_loadcnt_dscnt 0x0
	v_and_b32_e32 v11, 0xff, v14
	s_mov_b32 s4, 0
	s_mov_b32 s6, exec_lo
	s_delay_alu instid0(VALU_DEP_1)
	v_cmpx_lt_i16_e32 0x7f, v11
	s_xor_b32 s6, exec_lo, s6
	s_cbranch_execnz .LBB243_641
; %bb.343:
	s_or_saveexec_b32 s6, s6
	v_mov_b32_e32 v0, 0x7f800001
	s_xor_b32 exec_lo, exec_lo, s6
	s_cbranch_execnz .LBB243_644
.LBB243_344:
	s_or_b32 exec_lo, exec_lo, s6
	s_and_saveexec_b32 s6, s4
	s_cbranch_execz .LBB243_346
.LBB243_345:
	v_and_b32_e32 v0, 3, v14
	v_lshrrev_b16 v15, 2, v14
	s_delay_alu instid0(VALU_DEP_2) | instskip(NEXT) | instid1(VALU_DEP_2)
	v_clz_i32_u32_e32 v11, v0
	v_and_b32_e32 v15, 31, v15
	s_delay_alu instid0(VALU_DEP_2) | instskip(NEXT) | instid1(VALU_DEP_1)
	v_min_u32_e32 v11, 32, v11
	v_subrev_nc_u32_e32 v16, 29, v11
	s_delay_alu instid0(VALU_DEP_1) | instskip(SKIP_2) | instid1(VALU_DEP_3)
	v_dual_lshlrev_b32 v16, v16, v14 :: v_dual_sub_nc_u32 v11, 30, v11
	v_lshlrev_b32_e32 v14, 24, v14
	v_cmp_eq_u32_e64 s1, 0, v15
	v_and_b32_e32 v16, 3, v16
	s_delay_alu instid0(VALU_DEP_3) | instskip(NEXT) | instid1(VALU_DEP_2)
	v_and_b32_e32 v14, 0x80000000, v14
	v_dual_cndmask_b32 v11, v15, v11, s1 :: v_dual_cndmask_b32 v0, v0, v16, s1
	s_delay_alu instid0(VALU_DEP_1) | instskip(NEXT) | instid1(VALU_DEP_2)
	v_lshl_add_u32 v11, v11, 23, 0x37800000
	v_lshlrev_b32_e32 v0, 21, v0
	s_delay_alu instid0(VALU_DEP_1)
	v_or3_b32 v0, v14, v11, v0
.LBB243_346:
	s_or_b32 exec_lo, exec_lo, s6
	v_and_b32_e32 v14, 0xff, v13
	s_mov_b32 s4, 0
	s_mov_b32 s6, exec_lo
	s_delay_alu instid0(VALU_DEP_1)
	v_cmpx_lt_i16_e32 0x7f, v14
	s_xor_b32 s6, exec_lo, s6
	s_cbranch_execnz .LBB243_645
; %bb.347:
	s_or_saveexec_b32 s6, s6
	v_mov_b32_e32 v11, 0x7f800001
	s_xor_b32 exec_lo, exec_lo, s6
	s_cbranch_execnz .LBB243_648
.LBB243_348:
	s_or_b32 exec_lo, exec_lo, s6
	s_and_saveexec_b32 s6, s4
	s_cbranch_execz .LBB243_350
.LBB243_349:
	v_and_b32_e32 v11, 3, v13
	v_lshrrev_b16 v15, 2, v13
	s_delay_alu instid0(VALU_DEP_2) | instskip(NEXT) | instid1(VALU_DEP_1)
	v_clz_i32_u32_e32 v14, v11
	v_min_u32_e32 v14, 32, v14
	s_delay_alu instid0(VALU_DEP_3) | instskip(NEXT) | instid1(VALU_DEP_2)
	v_and_b32_e32 v15, 31, v15
	v_subrev_nc_u32_e32 v16, 29, v14
	v_sub_nc_u32_e32 v14, 30, v14
	s_delay_alu instid0(VALU_DEP_3) | instskip(NEXT) | instid1(VALU_DEP_3)
	v_cmp_eq_u32_e64 s1, 0, v15
	v_dual_lshlrev_b32 v16, v16, v13 :: v_dual_lshlrev_b32 v13, 24, v13
	s_delay_alu instid0(VALU_DEP_1) | instskip(NEXT) | instid1(VALU_DEP_2)
	v_and_b32_e32 v16, 3, v16
	v_and_b32_e32 v13, 0x80000000, v13
	s_delay_alu instid0(VALU_DEP_2) | instskip(NEXT) | instid1(VALU_DEP_1)
	v_cndmask_b32_e64 v11, v11, v16, s1
	v_dual_cndmask_b32 v14, v15, v14, s1 :: v_dual_lshlrev_b32 v11, 21, v11
	s_delay_alu instid0(VALU_DEP_1) | instskip(NEXT) | instid1(VALU_DEP_1)
	v_lshl_add_u32 v14, v14, 23, 0x37800000
	v_or3_b32 v11, v13, v14, v11
.LBB243_350:
	s_or_b32 exec_lo, exec_lo, s6
	s_delay_alu instid0(VALU_DEP_1)
	v_cmp_neq_f32_e64 s4, v0, v11
                                        ; implicit-def: $vgpr13
                                        ; implicit-def: $vgpr14
.LBB243_351:
	s_and_not1_saveexec_b32 s5, s5
	s_cbranch_execz .LBB243_361
; %bb.352:
	s_wait_loadcnt_dscnt 0x0
	v_and_b32_e32 v11, 0xff, v14
	s_mov_b32 s6, 0
	s_mov_b32 s7, exec_lo
	s_delay_alu instid0(VALU_DEP_1)
	v_cmpx_lt_i16_e32 0x7f, v11
	s_xor_b32 s7, exec_lo, s7
	s_cbranch_execnz .LBB243_649
; %bb.353:
	s_or_saveexec_b32 s7, s7
	v_mov_b32_e32 v0, 0x7f800001
	s_xor_b32 exec_lo, exec_lo, s7
	s_cbranch_execnz .LBB243_652
.LBB243_354:
	s_or_b32 exec_lo, exec_lo, s7
	s_and_saveexec_b32 s7, s6
	s_cbranch_execz .LBB243_356
.LBB243_355:
	v_and_b32_e32 v0, 3, v14
	v_lshrrev_b16 v15, 2, v14
	s_delay_alu instid0(VALU_DEP_2) | instskip(NEXT) | instid1(VALU_DEP_2)
	v_clz_i32_u32_e32 v11, v0
	v_and_b32_e32 v15, 31, v15
	s_delay_alu instid0(VALU_DEP_2) | instskip(NEXT) | instid1(VALU_DEP_1)
	v_min_u32_e32 v11, 32, v11
	v_subrev_nc_u32_e32 v16, 29, v11
	s_delay_alu instid0(VALU_DEP_1) | instskip(SKIP_2) | instid1(VALU_DEP_3)
	v_dual_lshlrev_b32 v16, v16, v14 :: v_dual_sub_nc_u32 v11, 30, v11
	v_lshlrev_b32_e32 v14, 24, v14
	v_cmp_eq_u32_e64 s1, 0, v15
	v_and_b32_e32 v16, 3, v16
	s_delay_alu instid0(VALU_DEP_3) | instskip(NEXT) | instid1(VALU_DEP_2)
	v_and_b32_e32 v14, 0x80000000, v14
	v_dual_cndmask_b32 v11, v15, v11, s1 :: v_dual_cndmask_b32 v0, v0, v16, s1
	s_delay_alu instid0(VALU_DEP_1) | instskip(NEXT) | instid1(VALU_DEP_2)
	v_lshl_add_u32 v11, v11, 23, 0x37800000
	v_lshlrev_b32_e32 v0, 21, v0
	s_delay_alu instid0(VALU_DEP_1)
	v_or3_b32 v0, v14, v11, v0
.LBB243_356:
	s_or_b32 exec_lo, exec_lo, s7
	v_and_b32_e32 v14, 0xff, v13
	s_mov_b32 s6, 0
	s_mov_b32 s7, exec_lo
	s_delay_alu instid0(VALU_DEP_1)
	v_cmpx_lt_i16_e32 0x7f, v14
	s_xor_b32 s7, exec_lo, s7
	s_cbranch_execnz .LBB243_653
; %bb.357:
	s_or_saveexec_b32 s7, s7
	v_mov_b32_e32 v11, 0x7f800001
	s_xor_b32 exec_lo, exec_lo, s7
	s_cbranch_execnz .LBB243_656
.LBB243_358:
	s_or_b32 exec_lo, exec_lo, s7
	s_and_saveexec_b32 s7, s6
	s_cbranch_execz .LBB243_360
.LBB243_359:
	v_and_b32_e32 v11, 3, v13
	v_lshrrev_b16 v15, 2, v13
	s_delay_alu instid0(VALU_DEP_2) | instskip(NEXT) | instid1(VALU_DEP_1)
	v_clz_i32_u32_e32 v14, v11
	v_min_u32_e32 v14, 32, v14
	s_delay_alu instid0(VALU_DEP_3) | instskip(NEXT) | instid1(VALU_DEP_2)
	v_and_b32_e32 v15, 31, v15
	v_subrev_nc_u32_e32 v16, 29, v14
	v_sub_nc_u32_e32 v14, 30, v14
	s_delay_alu instid0(VALU_DEP_3) | instskip(NEXT) | instid1(VALU_DEP_3)
	v_cmp_eq_u32_e64 s1, 0, v15
	v_dual_lshlrev_b32 v16, v16, v13 :: v_dual_lshlrev_b32 v13, 24, v13
	s_delay_alu instid0(VALU_DEP_1) | instskip(NEXT) | instid1(VALU_DEP_2)
	v_and_b32_e32 v16, 3, v16
	v_and_b32_e32 v13, 0x80000000, v13
	s_delay_alu instid0(VALU_DEP_2) | instskip(NEXT) | instid1(VALU_DEP_1)
	v_cndmask_b32_e64 v11, v11, v16, s1
	v_dual_cndmask_b32 v14, v15, v14, s1 :: v_dual_lshlrev_b32 v11, 21, v11
	s_delay_alu instid0(VALU_DEP_1) | instskip(NEXT) | instid1(VALU_DEP_1)
	v_lshl_add_u32 v14, v14, 23, 0x37800000
	v_or3_b32 v11, v13, v14, v11
.LBB243_360:
	s_or_b32 exec_lo, exec_lo, s7
	s_delay_alu instid0(VALU_DEP_1) | instskip(SKIP_2) | instid1(SALU_CYCLE_1)
	v_cmp_eq_f32_e64 s1, v0, v11
	s_and_not1_b32 s4, s4, exec_lo
	s_and_b32 s1, s1, exec_lo
	s_or_b32 s4, s4, s1
.LBB243_361:
	s_or_b32 exec_lo, exec_lo, s5
	v_lshrrev_b32_e32 v0, 16, v3
	s_wait_loadcnt_dscnt 0x0
	v_cndmask_b32_e64 v11, 0, 1, s4
	s_delay_alu instid0(VALU_DEP_1) | instskip(NEXT) | instid1(VALU_DEP_1)
	v_bitop3_b16 v0, v11, v0, 0xff00 bitop3:0xf8
	v_lshlrev_b32_e32 v0, 16, v0
	s_delay_alu instid0(VALU_DEP_1)
	v_and_or_b32 v3, 0xffff, v3, v0
.LBB243_362:
	s_or_b32 exec_lo, exec_lo, s3
	v_add_nc_u32_e32 v0, 0xf00, v6
	s_mov_b32 s3, exec_lo
	s_delay_alu instid0(VALU_DEP_1)
	v_cmpx_lt_i32_e64 v0, v7
	s_cbranch_execnz .LBB243_380
; %bb.363:
	s_or_b32 exec_lo, exec_lo, s3
	s_and_saveexec_b32 s0, vcc_lo
	s_delay_alu instid0(SALU_CYCLE_1)
	s_xor_b32 s0, exec_lo, s0
	s_cbranch_execnz .LBB243_401
.LBB243_364:
	s_or_b32 exec_lo, exec_lo, s0
	s_delay_alu instid0(SALU_CYCLE_1)
	s_mov_b32 s0, exec_lo
	v_cmpx_lt_i32_e64 v6, v7
	s_cbranch_execnz .LBB243_402
.LBB243_365:
	s_or_b32 exec_lo, exec_lo, s0
	s_delay_alu instid0(SALU_CYCLE_1)
	s_mov_b32 s0, exec_lo
	v_cmpx_lt_i32_e64 v6, v7
	s_cbranch_execnz .LBB243_403
.LBB243_366:
	s_or_b32 exec_lo, exec_lo, s0
	s_delay_alu instid0(SALU_CYCLE_1)
	s_mov_b32 s0, exec_lo
	v_cmpx_lt_i32_e64 v6, v7
	s_cbranch_execnz .LBB243_404
.LBB243_367:
	s_or_b32 exec_lo, exec_lo, s0
	s_delay_alu instid0(SALU_CYCLE_1)
	s_mov_b32 s0, exec_lo
	v_cmpx_lt_i32_e64 v6, v7
	s_cbranch_execnz .LBB243_405
.LBB243_368:
	s_or_b32 exec_lo, exec_lo, s0
	s_delay_alu instid0(SALU_CYCLE_1)
	s_mov_b32 s0, exec_lo
	v_cmpx_lt_i32_e64 v6, v7
	s_cbranch_execnz .LBB243_406
.LBB243_369:
	s_or_b32 exec_lo, exec_lo, s0
	s_delay_alu instid0(SALU_CYCLE_1)
	s_mov_b32 s0, exec_lo
	v_cmpx_lt_i32_e64 v6, v7
	s_cbranch_execnz .LBB243_407
.LBB243_370:
	s_or_b32 exec_lo, exec_lo, s0
	s_delay_alu instid0(SALU_CYCLE_1)
	s_mov_b32 s0, exec_lo
	v_cmpx_lt_i32_e64 v6, v7
	s_cbranch_execnz .LBB243_408
.LBB243_371:
	s_or_b32 exec_lo, exec_lo, s0
	s_delay_alu instid0(SALU_CYCLE_1)
	s_mov_b32 s0, exec_lo
	v_cmpx_lt_i32_e64 v6, v7
	s_cbranch_execnz .LBB243_409
.LBB243_372:
	s_or_b32 exec_lo, exec_lo, s0
	s_delay_alu instid0(SALU_CYCLE_1)
	s_mov_b32 s0, exec_lo
	v_cmpx_lt_i32_e64 v6, v7
	s_cbranch_execnz .LBB243_410
.LBB243_373:
	s_or_b32 exec_lo, exec_lo, s0
	s_delay_alu instid0(SALU_CYCLE_1)
	s_mov_b32 s0, exec_lo
	v_cmpx_lt_i32_e64 v6, v7
	s_cbranch_execnz .LBB243_411
.LBB243_374:
	s_or_b32 exec_lo, exec_lo, s0
	s_delay_alu instid0(SALU_CYCLE_1)
	s_mov_b32 s0, exec_lo
	v_cmpx_lt_i32_e64 v6, v7
	s_cbranch_execnz .LBB243_412
.LBB243_375:
	s_or_b32 exec_lo, exec_lo, s0
	s_delay_alu instid0(SALU_CYCLE_1)
	s_mov_b32 s0, exec_lo
	v_cmpx_lt_i32_e64 v6, v7
	s_cbranch_execnz .LBB243_413
.LBB243_376:
	s_or_b32 exec_lo, exec_lo, s0
	s_delay_alu instid0(SALU_CYCLE_1)
	s_mov_b32 s0, exec_lo
	v_cmpx_lt_i32_e64 v6, v7
	s_cbranch_execnz .LBB243_414
.LBB243_377:
	s_or_b32 exec_lo, exec_lo, s0
	s_delay_alu instid0(SALU_CYCLE_1)
	s_mov_b32 s0, exec_lo
	v_cmpx_lt_i32_e64 v6, v7
	s_cbranch_execnz .LBB243_415
.LBB243_378:
	s_or_b32 exec_lo, exec_lo, s0
	s_delay_alu instid0(SALU_CYCLE_1)
	s_mov_b32 s0, exec_lo
	v_cmpx_lt_i32_e64 v6, v7
	s_cbranch_execnz .LBB243_416
.LBB243_379:
	s_or_b32 exec_lo, exec_lo, s0
	s_wait_loadcnt_dscnt 0x0
	s_set_pc_i64 s[30:31]
.LBB243_380:
                                        ; implicit-def: $sgpr1
	s_and_saveexec_b32 s4, s0
	s_delay_alu instid0(SALU_CYCLE_1)
	s_xor_b32 s4, exec_lo, s4
	s_cbranch_execz .LBB243_390
; %bb.381:
	s_wait_loadcnt_dscnt 0x0
	v_and_b32_e32 v11, 0xff, v12
	s_mov_b32 s1, 0
	s_mov_b32 s5, exec_lo
	s_delay_alu instid0(VALU_DEP_1)
	v_cmpx_lt_i16_e32 0x7f, v11
	s_xor_b32 s5, exec_lo, s5
	s_cbranch_execnz .LBB243_657
; %bb.382:
	s_or_saveexec_b32 s5, s5
	v_mov_b32_e32 v0, 0x7f800001
	s_xor_b32 exec_lo, exec_lo, s5
	s_cbranch_execnz .LBB243_660
.LBB243_383:
	s_or_b32 exec_lo, exec_lo, s5
	s_and_saveexec_b32 s5, s1
	s_cbranch_execz .LBB243_385
.LBB243_384:
	v_and_b32_e32 v0, 3, v12
	v_lshrrev_b16 v13, 2, v12
	s_delay_alu instid0(VALU_DEP_2) | instskip(NEXT) | instid1(VALU_DEP_1)
	v_clz_i32_u32_e32 v11, v0
	v_min_u32_e32 v11, 32, v11
	s_delay_alu instid0(VALU_DEP_3) | instskip(NEXT) | instid1(VALU_DEP_2)
	v_and_b32_e32 v13, 31, v13
	v_subrev_nc_u32_e32 v14, 29, v11
	v_sub_nc_u32_e32 v11, 30, v11
	s_delay_alu instid0(VALU_DEP_3) | instskip(NEXT) | instid1(VALU_DEP_3)
	v_cmp_eq_u32_e64 s0, 0, v13
	v_dual_lshlrev_b32 v14, v14, v12 :: v_dual_lshlrev_b32 v12, 24, v12
	s_delay_alu instid0(VALU_DEP_1) | instskip(NEXT) | instid1(VALU_DEP_2)
	v_dual_cndmask_b32 v11, v13, v11, s0 :: v_dual_bitop2_b32 v14, 3, v14 bitop3:0x40
	v_and_b32_e32 v12, 0x80000000, v12
	s_delay_alu instid0(VALU_DEP_2) | instskip(NEXT) | instid1(VALU_DEP_3)
	v_cndmask_b32_e64 v0, v0, v14, s0
	v_lshl_add_u32 v11, v11, 23, 0x37800000
	s_delay_alu instid0(VALU_DEP_2) | instskip(NEXT) | instid1(VALU_DEP_1)
	v_lshlrev_b32_e32 v0, 21, v0
	v_or3_b32 v0, v12, v11, v0
.LBB243_385:
	s_or_b32 exec_lo, exec_lo, s5
	v_and_b32_e32 v12, 0xff, v5
	s_mov_b32 s1, 0
	s_mov_b32 s5, exec_lo
	s_delay_alu instid0(VALU_DEP_1)
	v_cmpx_lt_i16_e32 0x7f, v12
	s_xor_b32 s5, exec_lo, s5
	s_cbranch_execnz .LBB243_661
; %bb.386:
	s_or_saveexec_b32 s5, s5
	v_mov_b32_e32 v11, 0x7f800001
	s_xor_b32 exec_lo, exec_lo, s5
	s_cbranch_execnz .LBB243_664
.LBB243_387:
	s_or_b32 exec_lo, exec_lo, s5
	s_and_saveexec_b32 s5, s1
	s_cbranch_execz .LBB243_389
.LBB243_388:
	v_and_b32_e32 v11, 3, v5
	v_lshrrev_b16 v13, 2, v5
	s_delay_alu instid0(VALU_DEP_2) | instskip(NEXT) | instid1(VALU_DEP_1)
	v_clz_i32_u32_e32 v12, v11
	v_min_u32_e32 v12, 32, v12
	s_delay_alu instid0(VALU_DEP_3) | instskip(NEXT) | instid1(VALU_DEP_2)
	v_and_b32_e32 v13, 31, v13
	v_subrev_nc_u32_e32 v14, 29, v12
	v_sub_nc_u32_e32 v12, 30, v12
	s_delay_alu instid0(VALU_DEP_3) | instskip(NEXT) | instid1(VALU_DEP_3)
	v_cmp_eq_u32_e64 s0, 0, v13
	v_dual_lshlrev_b32 v14, v14, v5 :: v_dual_lshlrev_b32 v5, 24, v5
	s_delay_alu instid0(VALU_DEP_1) | instskip(NEXT) | instid1(VALU_DEP_2)
	v_dual_cndmask_b32 v12, v13, v12, s0 :: v_dual_bitop2_b32 v14, 3, v14 bitop3:0x40
	v_and_b32_e32 v5, 0x80000000, v5
	s_delay_alu instid0(VALU_DEP_2) | instskip(NEXT) | instid1(VALU_DEP_3)
	v_cndmask_b32_e64 v11, v11, v14, s0
	v_lshl_add_u32 v12, v12, 23, 0x37800000
	s_delay_alu instid0(VALU_DEP_2) | instskip(NEXT) | instid1(VALU_DEP_1)
	v_lshlrev_b32_e32 v11, 21, v11
	v_or3_b32 v11, v5, v12, v11
.LBB243_389:
	s_or_b32 exec_lo, exec_lo, s5
	s_delay_alu instid0(VALU_DEP_1)
	v_cmp_neq_f32_e64 s1, v0, v11
                                        ; implicit-def: $vgpr5
                                        ; implicit-def: $vgpr12
.LBB243_390:
	s_and_not1_saveexec_b32 s4, s4
	s_cbranch_execz .LBB243_400
; %bb.391:
	s_wait_loadcnt_dscnt 0x0
	v_and_b32_e32 v11, 0xff, v12
	s_mov_b32 s5, 0
	s_mov_b32 s6, exec_lo
	s_delay_alu instid0(VALU_DEP_1)
	v_cmpx_lt_i16_e32 0x7f, v11
	s_xor_b32 s6, exec_lo, s6
	s_cbranch_execnz .LBB243_665
; %bb.392:
	s_or_saveexec_b32 s6, s6
	v_mov_b32_e32 v0, 0x7f800001
	s_xor_b32 exec_lo, exec_lo, s6
	s_cbranch_execnz .LBB243_668
.LBB243_393:
	s_or_b32 exec_lo, exec_lo, s6
	s_and_saveexec_b32 s6, s5
	s_cbranch_execz .LBB243_395
.LBB243_394:
	v_and_b32_e32 v0, 3, v12
	v_lshrrev_b16 v13, 2, v12
	s_delay_alu instid0(VALU_DEP_2) | instskip(NEXT) | instid1(VALU_DEP_1)
	v_clz_i32_u32_e32 v11, v0
	v_min_u32_e32 v11, 32, v11
	s_delay_alu instid0(VALU_DEP_3) | instskip(NEXT) | instid1(VALU_DEP_2)
	v_and_b32_e32 v13, 31, v13
	v_subrev_nc_u32_e32 v14, 29, v11
	v_sub_nc_u32_e32 v11, 30, v11
	s_delay_alu instid0(VALU_DEP_3) | instskip(NEXT) | instid1(VALU_DEP_3)
	v_cmp_eq_u32_e64 s0, 0, v13
	v_dual_lshlrev_b32 v14, v14, v12 :: v_dual_lshlrev_b32 v12, 24, v12
	s_delay_alu instid0(VALU_DEP_1) | instskip(NEXT) | instid1(VALU_DEP_2)
	v_dual_cndmask_b32 v11, v13, v11, s0 :: v_dual_bitop2_b32 v14, 3, v14 bitop3:0x40
	v_and_b32_e32 v12, 0x80000000, v12
	s_delay_alu instid0(VALU_DEP_2) | instskip(NEXT) | instid1(VALU_DEP_3)
	v_cndmask_b32_e64 v0, v0, v14, s0
	v_lshl_add_u32 v11, v11, 23, 0x37800000
	s_delay_alu instid0(VALU_DEP_2) | instskip(NEXT) | instid1(VALU_DEP_1)
	v_lshlrev_b32_e32 v0, 21, v0
	v_or3_b32 v0, v12, v11, v0
.LBB243_395:
	s_or_b32 exec_lo, exec_lo, s6
	v_and_b32_e32 v12, 0xff, v5
	s_mov_b32 s5, 0
	s_mov_b32 s6, exec_lo
	s_delay_alu instid0(VALU_DEP_1)
	v_cmpx_lt_i16_e32 0x7f, v12
	s_xor_b32 s6, exec_lo, s6
	s_cbranch_execnz .LBB243_669
; %bb.396:
	s_or_saveexec_b32 s6, s6
	v_mov_b32_e32 v11, 0x7f800001
	s_xor_b32 exec_lo, exec_lo, s6
	s_cbranch_execnz .LBB243_672
.LBB243_397:
	s_or_b32 exec_lo, exec_lo, s6
	s_and_saveexec_b32 s6, s5
	s_cbranch_execz .LBB243_399
.LBB243_398:
	v_and_b32_e32 v11, 3, v5
	v_lshrrev_b16 v13, 2, v5
	s_delay_alu instid0(VALU_DEP_2) | instskip(NEXT) | instid1(VALU_DEP_1)
	v_clz_i32_u32_e32 v12, v11
	v_min_u32_e32 v12, 32, v12
	s_delay_alu instid0(VALU_DEP_3) | instskip(NEXT) | instid1(VALU_DEP_2)
	v_and_b32_e32 v13, 31, v13
	v_subrev_nc_u32_e32 v14, 29, v12
	v_sub_nc_u32_e32 v12, 30, v12
	s_delay_alu instid0(VALU_DEP_3) | instskip(NEXT) | instid1(VALU_DEP_3)
	v_cmp_eq_u32_e64 s0, 0, v13
	v_dual_lshlrev_b32 v14, v14, v5 :: v_dual_lshlrev_b32 v5, 24, v5
	s_delay_alu instid0(VALU_DEP_1) | instskip(NEXT) | instid1(VALU_DEP_2)
	v_dual_cndmask_b32 v12, v13, v12, s0 :: v_dual_bitop2_b32 v14, 3, v14 bitop3:0x40
	v_and_b32_e32 v5, 0x80000000, v5
	s_delay_alu instid0(VALU_DEP_2) | instskip(NEXT) | instid1(VALU_DEP_3)
	v_cndmask_b32_e64 v11, v11, v14, s0
	v_lshl_add_u32 v12, v12, 23, 0x37800000
	s_delay_alu instid0(VALU_DEP_2) | instskip(NEXT) | instid1(VALU_DEP_1)
	v_lshlrev_b32_e32 v11, 21, v11
	v_or3_b32 v11, v5, v12, v11
.LBB243_399:
	s_or_b32 exec_lo, exec_lo, s6
	s_delay_alu instid0(VALU_DEP_1) | instskip(SKIP_2) | instid1(SALU_CYCLE_1)
	v_cmp_eq_f32_e64 s0, v0, v11
	s_and_not1_b32 s1, s1, exec_lo
	s_and_b32 s0, s0, exec_lo
	s_or_b32 s1, s1, s0
.LBB243_400:
	s_or_b32 exec_lo, exec_lo, s4
	s_delay_alu instid0(VALU_DEP_1) | instskip(SKIP_2) | instid1(VALU_DEP_2)
	v_cndmask_b32_e64 v0, 0, 1, s1
	s_wait_loadcnt_dscnt 0x0
	v_lshrrev_b32_e32 v5, 16, v3
	v_lshlrev_b16 v0, 8, v0
	s_delay_alu instid0(VALU_DEP_1) | instskip(NEXT) | instid1(VALU_DEP_1)
	v_bitop3_b16 v0, v5, v0, 0xff bitop3:0xec
	v_lshlrev_b32_e32 v0, 16, v0
	s_delay_alu instid0(VALU_DEP_1) | instskip(SKIP_2) | instid1(SALU_CYCLE_1)
	v_and_or_b32 v3, 0xffff, v3, v0
	s_or_b32 exec_lo, exec_lo, s3
	s_and_saveexec_b32 s0, vcc_lo
	s_xor_b32 s0, exec_lo, s0
	s_cbranch_execz .LBB243_364
.LBB243_401:
	s_wait_loadcnt_dscnt 0x0
	v_dual_mov_b32 v11, 0 :: v_dual_mov_b32 v6, v24
	s_delay_alu instid0(VALU_DEP_1) | instskip(SKIP_3) | instid1(SALU_CYCLE_1)
	v_add_nc_u64_e32 v[10:11], v[8:9], v[10:11]
	flat_store_b8 v[10:11], v2
	s_wait_xcnt 0x0
	s_or_b32 exec_lo, exec_lo, s0
	s_mov_b32 s0, exec_lo
	v_cmpx_lt_i32_e64 v6, v7
	s_cbranch_execz .LBB243_365
.LBB243_402:
	s_wait_loadcnt_dscnt 0x0
	v_dual_mov_b32 v11, 0 :: v_dual_add_nc_u32 v10, s2, v6
	v_lshrrev_b32_e32 v0, 8, v2
	v_add_nc_u32_e32 v6, 0x100, v6
	s_delay_alu instid0(VALU_DEP_3) | instskip(SKIP_3) | instid1(SALU_CYCLE_1)
	v_add_nc_u64_e32 v[10:11], v[8:9], v[10:11]
	flat_store_b8 v[10:11], v0
	s_wait_xcnt 0x0
	s_or_b32 exec_lo, exec_lo, s0
	s_mov_b32 s0, exec_lo
	v_cmpx_lt_i32_e64 v6, v7
	s_cbranch_execz .LBB243_366
.LBB243_403:
	s_wait_loadcnt_dscnt 0x0
	v_dual_mov_b32 v11, 0 :: v_dual_add_nc_u32 v10, s2, v6
	v_add_nc_u32_e32 v6, 0x100, v6
	s_delay_alu instid0(VALU_DEP_2) | instskip(SKIP_3) | instid1(SALU_CYCLE_1)
	v_add_nc_u64_e32 v[10:11], v[8:9], v[10:11]
	flat_store_d16_hi_b8 v[10:11], v2
	s_wait_xcnt 0x0
	s_or_b32 exec_lo, exec_lo, s0
	s_mov_b32 s0, exec_lo
	v_cmpx_lt_i32_e64 v6, v7
	s_cbranch_execz .LBB243_367
.LBB243_404:
	s_wait_loadcnt_dscnt 0x0
	v_dual_mov_b32 v11, 0 :: v_dual_add_nc_u32 v10, s2, v6
	v_lshrrev_b32_e32 v0, 24, v2
	v_add_nc_u32_e32 v6, 0x100, v6
	s_delay_alu instid0(VALU_DEP_3) | instskip(SKIP_3) | instid1(SALU_CYCLE_1)
	v_add_nc_u64_e32 v[10:11], v[8:9], v[10:11]
	flat_store_b8 v[10:11], v0
	s_wait_xcnt 0x0
	s_or_b32 exec_lo, exec_lo, s0
	s_mov_b32 s0, exec_lo
	v_cmpx_lt_i32_e64 v6, v7
	s_cbranch_execz .LBB243_368
.LBB243_405:
	s_wait_loadcnt_dscnt 0x0
	v_dual_mov_b32 v11, 0 :: v_dual_add_nc_u32 v10, s2, v6
	v_add_nc_u32_e32 v6, 0x100, v6
	s_delay_alu instid0(VALU_DEP_2) | instskip(SKIP_3) | instid1(SALU_CYCLE_1)
	v_add_nc_u64_e32 v[10:11], v[8:9], v[10:11]
	flat_store_b8 v[10:11], v1
	s_wait_xcnt 0x0
	s_or_b32 exec_lo, exec_lo, s0
	s_mov_b32 s0, exec_lo
	v_cmpx_lt_i32_e64 v6, v7
	s_cbranch_execz .LBB243_369
.LBB243_406:
	s_wait_loadcnt_dscnt 0x0
	v_dual_mov_b32 v11, 0 :: v_dual_add_nc_u32 v10, s2, v6
	v_lshrrev_b32_e32 v0, 8, v1
	v_add_nc_u32_e32 v6, 0x100, v6
	s_delay_alu instid0(VALU_DEP_3) | instskip(SKIP_3) | instid1(SALU_CYCLE_1)
	v_add_nc_u64_e32 v[10:11], v[8:9], v[10:11]
	flat_store_b8 v[10:11], v0
	s_wait_xcnt 0x0
	s_or_b32 exec_lo, exec_lo, s0
	s_mov_b32 s0, exec_lo
	v_cmpx_lt_i32_e64 v6, v7
	s_cbranch_execz .LBB243_370
.LBB243_407:
	s_wait_loadcnt_dscnt 0x0
	v_dual_mov_b32 v11, 0 :: v_dual_add_nc_u32 v10, s2, v6
	v_add_nc_u32_e32 v6, 0x100, v6
	s_delay_alu instid0(VALU_DEP_2) | instskip(SKIP_3) | instid1(SALU_CYCLE_1)
	v_add_nc_u64_e32 v[10:11], v[8:9], v[10:11]
	flat_store_d16_hi_b8 v[10:11], v1
	s_wait_xcnt 0x0
	s_or_b32 exec_lo, exec_lo, s0
	s_mov_b32 s0, exec_lo
	v_cmpx_lt_i32_e64 v6, v7
	s_cbranch_execz .LBB243_371
.LBB243_408:
	s_wait_loadcnt_dscnt 0x0
	v_dual_mov_b32 v11, 0 :: v_dual_add_nc_u32 v10, s2, v6
	v_lshrrev_b32_e32 v0, 24, v1
	v_add_nc_u32_e32 v6, 0x100, v6
	s_delay_alu instid0(VALU_DEP_3) | instskip(SKIP_3) | instid1(SALU_CYCLE_1)
	v_add_nc_u64_e32 v[10:11], v[8:9], v[10:11]
	flat_store_b8 v[10:11], v0
	s_wait_xcnt 0x0
	s_or_b32 exec_lo, exec_lo, s0
	s_mov_b32 s0, exec_lo
	v_cmpx_lt_i32_e64 v6, v7
	s_cbranch_execz .LBB243_372
.LBB243_409:
	v_dual_mov_b32 v1, 0 :: v_dual_add_nc_u32 v0, s2, v6
	v_add_nc_u32_e32 v6, 0x100, v6
	s_delay_alu instid0(VALU_DEP_2) | instskip(SKIP_3) | instid1(SALU_CYCLE_1)
	v_add_nc_u64_e32 v[0:1], v[8:9], v[0:1]
	flat_store_b8 v[0:1], v4
	s_wait_xcnt 0x0
	s_or_b32 exec_lo, exec_lo, s0
	s_mov_b32 s0, exec_lo
	v_cmpx_lt_i32_e64 v6, v7
	s_cbranch_execz .LBB243_373
.LBB243_410:
	v_dual_mov_b32 v1, 0 :: v_dual_add_nc_u32 v0, s2, v6
	v_lshrrev_b32_e32 v2, 8, v4
	v_add_nc_u32_e32 v6, 0x100, v6
	s_delay_alu instid0(VALU_DEP_3) | instskip(SKIP_3) | instid1(SALU_CYCLE_1)
	v_add_nc_u64_e32 v[0:1], v[8:9], v[0:1]
	flat_store_b8 v[0:1], v2
	s_wait_xcnt 0x0
	s_or_b32 exec_lo, exec_lo, s0
	s_mov_b32 s0, exec_lo
	v_cmpx_lt_i32_e64 v6, v7
	s_cbranch_execz .LBB243_374
.LBB243_411:
	v_dual_mov_b32 v1, 0 :: v_dual_add_nc_u32 v0, s2, v6
	v_add_nc_u32_e32 v6, 0x100, v6
	s_delay_alu instid0(VALU_DEP_2) | instskip(SKIP_3) | instid1(SALU_CYCLE_1)
	v_add_nc_u64_e32 v[0:1], v[8:9], v[0:1]
	flat_store_d16_hi_b8 v[0:1], v4
	s_wait_xcnt 0x0
	s_or_b32 exec_lo, exec_lo, s0
	s_mov_b32 s0, exec_lo
	v_cmpx_lt_i32_e64 v6, v7
	s_cbranch_execz .LBB243_375
.LBB243_412:
	v_dual_mov_b32 v1, 0 :: v_dual_add_nc_u32 v0, s2, v6
	v_lshrrev_b32_e32 v2, 24, v4
	v_add_nc_u32_e32 v6, 0x100, v6
	s_delay_alu instid0(VALU_DEP_3) | instskip(SKIP_3) | instid1(SALU_CYCLE_1)
	v_add_nc_u64_e32 v[0:1], v[8:9], v[0:1]
	flat_store_b8 v[0:1], v2
	s_wait_xcnt 0x0
	s_or_b32 exec_lo, exec_lo, s0
	s_mov_b32 s0, exec_lo
	v_cmpx_lt_i32_e64 v6, v7
	s_cbranch_execz .LBB243_376
.LBB243_413:
	v_dual_mov_b32 v1, 0 :: v_dual_add_nc_u32 v0, s2, v6
	v_add_nc_u32_e32 v6, 0x100, v6
	s_delay_alu instid0(VALU_DEP_2) | instskip(SKIP_3) | instid1(SALU_CYCLE_1)
	v_add_nc_u64_e32 v[0:1], v[8:9], v[0:1]
	flat_store_b8 v[0:1], v3
	s_wait_xcnt 0x0
	s_or_b32 exec_lo, exec_lo, s0
	s_mov_b32 s0, exec_lo
	v_cmpx_lt_i32_e64 v6, v7
	s_cbranch_execz .LBB243_377
.LBB243_414:
	v_dual_mov_b32 v1, 0 :: v_dual_add_nc_u32 v0, s2, v6
	v_lshrrev_b32_e32 v2, 8, v3
	v_add_nc_u32_e32 v6, 0x100, v6
	s_delay_alu instid0(VALU_DEP_3) | instskip(SKIP_3) | instid1(SALU_CYCLE_1)
	v_add_nc_u64_e32 v[0:1], v[8:9], v[0:1]
	flat_store_b8 v[0:1], v2
	s_wait_xcnt 0x0
	s_or_b32 exec_lo, exec_lo, s0
	s_mov_b32 s0, exec_lo
	v_cmpx_lt_i32_e64 v6, v7
	s_cbranch_execz .LBB243_378
.LBB243_415:
	v_dual_mov_b32 v1, 0 :: v_dual_add_nc_u32 v0, s2, v6
	v_add_nc_u32_e32 v6, 0x100, v6
	s_delay_alu instid0(VALU_DEP_2) | instskip(SKIP_3) | instid1(SALU_CYCLE_1)
	v_add_nc_u64_e32 v[0:1], v[8:9], v[0:1]
	flat_store_d16_hi_b8 v[0:1], v3
	s_wait_xcnt 0x0
	s_or_b32 exec_lo, exec_lo, s0
	s_mov_b32 s0, exec_lo
	v_cmpx_lt_i32_e64 v6, v7
	s_cbranch_execz .LBB243_379
.LBB243_416:
	v_dual_mov_b32 v1, 0 :: v_dual_add_nc_u32 v0, s2, v6
	v_lshrrev_b32_e32 v2, 24, v3
	s_delay_alu instid0(VALU_DEP_2)
	v_add_nc_u64_e32 v[0:1], v[8:9], v[0:1]
	flat_store_b8 v[0:1], v2
	s_wait_xcnt 0x0
	s_or_b32 exec_lo, exec_lo, s0
	s_wait_loadcnt_dscnt 0x0
	s_set_pc_i64 s[30:31]
.LBB243_417:
	s_mov_b32 s4, -1
	s_mov_b32 s7, exec_lo
	v_cmpx_eq_u16_e32 0x80, v1
; %bb.418:
	s_xor_b32 s4, exec_lo, -1
; %bb.419:
	s_or_b32 exec_lo, exec_lo, s7
	s_delay_alu instid0(SALU_CYCLE_1)
	s_and_b32 s4, s4, exec_lo
                                        ; implicit-def: $vgpr1
	s_or_saveexec_b32 s6, s6
	v_mov_b32_e32 v0, 0x7f800001
	s_xor_b32 exec_lo, exec_lo, s6
	s_cbranch_execz .LBB243_36
.LBB243_420:
	v_cmp_ne_u16_e64 s1, 0, v1
	v_mov_b32_e32 v0, 0
	s_and_not1_b32 s4, s4, exec_lo
	s_and_b32 s1, s1, exec_lo
	s_delay_alu instid0(SALU_CYCLE_1)
	s_or_b32 s4, s4, s1
	s_or_b32 exec_lo, exec_lo, s6
	s_and_saveexec_b32 s6, s4
	s_cbranch_execnz .LBB243_37
	s_branch .LBB243_38
.LBB243_421:
	s_mov_b32 s4, -1
	s_mov_b32 s7, exec_lo
	v_cmpx_eq_u16_e32 0x80, v2
; %bb.422:
	s_xor_b32 s4, exec_lo, -1
; %bb.423:
	s_or_b32 exec_lo, exec_lo, s7
	s_delay_alu instid0(SALU_CYCLE_1)
	s_and_b32 s4, s4, exec_lo
                                        ; implicit-def: $vgpr2
	s_or_saveexec_b32 s6, s6
	v_mov_b32_e32 v1, 0x7f800001
	s_xor_b32 exec_lo, exec_lo, s6
	s_cbranch_execz .LBB243_40
.LBB243_424:
	v_cmp_ne_u16_e64 s1, 0, v2
	v_mov_b32_e32 v1, 0
	s_and_not1_b32 s4, s4, exec_lo
	s_and_b32 s1, s1, exec_lo
	s_delay_alu instid0(SALU_CYCLE_1)
	s_or_b32 s4, s4, s1
	s_or_b32 exec_lo, exec_lo, s6
	s_and_saveexec_b32 s6, s4
	s_cbranch_execnz .LBB243_41
	s_branch .LBB243_42
.LBB243_425:
	s_mov_b32 s6, -1
	s_mov_b32 s8, exec_lo
	v_cmpx_eq_u16_e32 0x80, v1
; %bb.426:
	s_xor_b32 s6, exec_lo, -1
; %bb.427:
	s_or_b32 exec_lo, exec_lo, s8
	s_delay_alu instid0(SALU_CYCLE_1)
	s_and_b32 s6, s6, exec_lo
                                        ; implicit-def: $vgpr1
	s_or_saveexec_b32 s7, s7
	v_mov_b32_e32 v0, 0x7f800001
	s_xor_b32 exec_lo, exec_lo, s7
	s_cbranch_execz .LBB243_46
.LBB243_428:
	v_cmp_ne_u16_e64 s1, 0, v1
	v_mov_b32_e32 v0, 0
	s_and_not1_b32 s6, s6, exec_lo
	s_and_b32 s1, s1, exec_lo
	s_delay_alu instid0(SALU_CYCLE_1)
	s_or_b32 s6, s6, s1
	s_or_b32 exec_lo, exec_lo, s7
	s_and_saveexec_b32 s7, s6
	s_cbranch_execnz .LBB243_47
	s_branch .LBB243_48
.LBB243_429:
	s_mov_b32 s6, -1
	s_mov_b32 s8, exec_lo
	v_cmpx_eq_u16_e32 0x80, v2
; %bb.430:
	s_xor_b32 s6, exec_lo, -1
; %bb.431:
	s_or_b32 exec_lo, exec_lo, s8
	s_delay_alu instid0(SALU_CYCLE_1)
	s_and_b32 s6, s6, exec_lo
                                        ; implicit-def: $vgpr2
	s_or_saveexec_b32 s7, s7
	v_mov_b32_e32 v1, 0x7f800001
	s_xor_b32 exec_lo, exec_lo, s7
	s_cbranch_execz .LBB243_50
.LBB243_432:
	v_cmp_ne_u16_e64 s1, 0, v2
	v_mov_b32_e32 v1, 0
	s_and_not1_b32 s6, s6, exec_lo
	s_and_b32 s1, s1, exec_lo
	s_delay_alu instid0(SALU_CYCLE_1)
	s_or_b32 s6, s6, s1
	s_or_b32 exec_lo, exec_lo, s7
	s_and_saveexec_b32 s7, s6
	s_cbranch_execnz .LBB243_51
	s_branch .LBB243_52
.LBB243_433:
	s_mov_b32 s4, -1
	s_mov_b32 s7, exec_lo
	v_cmpx_eq_u16_e32 0x80, v16
; %bb.434:
	s_xor_b32 s4, exec_lo, -1
; %bb.435:
	s_or_b32 exec_lo, exec_lo, s7
	s_delay_alu instid0(SALU_CYCLE_1)
	s_and_b32 s4, s4, exec_lo
                                        ; implicit-def: $vgpr16
	s_or_saveexec_b32 s6, s6
	v_mov_b32_e32 v0, 0x7f800001
	s_xor_b32 exec_lo, exec_lo, s6
	s_cbranch_execz .LBB243_58
.LBB243_436:
	v_cmp_ne_u16_e64 s1, 0, v16
	v_mov_b32_e32 v0, 0
	s_and_not1_b32 s4, s4, exec_lo
	s_and_b32 s1, s1, exec_lo
	s_delay_alu instid0(SALU_CYCLE_1)
	s_or_b32 s4, s4, s1
	s_or_b32 exec_lo, exec_lo, s6
	s_and_saveexec_b32 s6, s4
	s_cbranch_execnz .LBB243_59
	s_branch .LBB243_60
.LBB243_437:
	s_mov_b32 s4, -1
	s_mov_b32 s7, exec_lo
	v_cmpx_eq_u16_e32 0x80, v17
; %bb.438:
	s_xor_b32 s4, exec_lo, -1
; %bb.439:
	s_or_b32 exec_lo, exec_lo, s7
	s_delay_alu instid0(SALU_CYCLE_1)
	s_and_b32 s4, s4, exec_lo
                                        ; implicit-def: $vgpr17
	s_or_saveexec_b32 s6, s6
	v_mov_b32_e32 v16, 0x7f800001
	s_xor_b32 exec_lo, exec_lo, s6
	s_cbranch_execz .LBB243_62
.LBB243_440:
	v_cmp_ne_u16_e64 s1, 0, v17
	v_mov_b32_e32 v16, 0
	s_and_not1_b32 s4, s4, exec_lo
	s_and_b32 s1, s1, exec_lo
	s_delay_alu instid0(SALU_CYCLE_1)
	s_or_b32 s4, s4, s1
	s_or_b32 exec_lo, exec_lo, s6
	s_and_saveexec_b32 s6, s4
	s_cbranch_execnz .LBB243_63
	s_branch .LBB243_64
.LBB243_441:
	s_mov_b32 s6, -1
	s_mov_b32 s8, exec_lo
	v_cmpx_eq_u16_e32 0x80, v16
; %bb.442:
	s_xor_b32 s6, exec_lo, -1
; %bb.443:
	s_or_b32 exec_lo, exec_lo, s8
	s_delay_alu instid0(SALU_CYCLE_1)
	s_and_b32 s6, s6, exec_lo
                                        ; implicit-def: $vgpr16
	s_or_saveexec_b32 s7, s7
	v_mov_b32_e32 v0, 0x7f800001
	s_xor_b32 exec_lo, exec_lo, s7
	s_cbranch_execz .LBB243_68
.LBB243_444:
	v_cmp_ne_u16_e64 s1, 0, v16
	v_mov_b32_e32 v0, 0
	s_and_not1_b32 s6, s6, exec_lo
	s_and_b32 s1, s1, exec_lo
	s_delay_alu instid0(SALU_CYCLE_1)
	s_or_b32 s6, s6, s1
	s_or_b32 exec_lo, exec_lo, s7
	s_and_saveexec_b32 s7, s6
	s_cbranch_execnz .LBB243_69
	s_branch .LBB243_70
.LBB243_445:
	s_mov_b32 s6, -1
	s_mov_b32 s8, exec_lo
	v_cmpx_eq_u16_e32 0x80, v17
; %bb.446:
	s_xor_b32 s6, exec_lo, -1
; %bb.447:
	s_or_b32 exec_lo, exec_lo, s8
	s_delay_alu instid0(SALU_CYCLE_1)
	s_and_b32 s6, s6, exec_lo
                                        ; implicit-def: $vgpr17
	s_or_saveexec_b32 s7, s7
	v_mov_b32_e32 v16, 0x7f800001
	s_xor_b32 exec_lo, exec_lo, s7
	s_cbranch_execz .LBB243_72
.LBB243_448:
	v_cmp_ne_u16_e64 s1, 0, v17
	v_mov_b32_e32 v16, 0
	s_and_not1_b32 s6, s6, exec_lo
	s_and_b32 s1, s1, exec_lo
	s_delay_alu instid0(SALU_CYCLE_1)
	s_or_b32 s6, s6, s1
	s_or_b32 exec_lo, exec_lo, s7
	s_and_saveexec_b32 s7, s6
	s_cbranch_execnz .LBB243_73
	s_branch .LBB243_74
.LBB243_449:
	s_mov_b32 s4, -1
	s_mov_b32 s7, exec_lo
	v_cmpx_eq_u16_e32 0x80, v11
; %bb.450:
	s_xor_b32 s4, exec_lo, -1
; %bb.451:
	s_or_b32 exec_lo, exec_lo, s7
	s_delay_alu instid0(SALU_CYCLE_1)
	s_and_b32 s4, s4, exec_lo
                                        ; implicit-def: $vgpr11
	s_or_saveexec_b32 s6, s6
	v_mov_b32_e32 v0, 0x7f800001
	s_xor_b32 exec_lo, exec_lo, s6
	s_cbranch_execz .LBB243_80
.LBB243_452:
	v_cmp_ne_u16_e64 s1, 0, v11
	v_mov_b32_e32 v0, 0
	s_and_not1_b32 s4, s4, exec_lo
	s_and_b32 s1, s1, exec_lo
	s_delay_alu instid0(SALU_CYCLE_1)
	s_or_b32 s4, s4, s1
	s_or_b32 exec_lo, exec_lo, s6
	s_and_saveexec_b32 s6, s4
	s_cbranch_execnz .LBB243_81
	s_branch .LBB243_82
.LBB243_453:
	s_mov_b32 s4, -1
	s_mov_b32 s7, exec_lo
	v_cmpx_eq_u16_e32 0x80, v16
; %bb.454:
	s_xor_b32 s4, exec_lo, -1
; %bb.455:
	s_or_b32 exec_lo, exec_lo, s7
	s_delay_alu instid0(SALU_CYCLE_1)
	s_and_b32 s4, s4, exec_lo
                                        ; implicit-def: $vgpr16
	s_or_saveexec_b32 s6, s6
	v_mov_b32_e32 v11, 0x7f800001
	s_xor_b32 exec_lo, exec_lo, s6
	s_cbranch_execz .LBB243_84
.LBB243_456:
	v_cmp_ne_u16_e64 s1, 0, v16
	v_mov_b32_e32 v11, 0
	s_and_not1_b32 s4, s4, exec_lo
	s_and_b32 s1, s1, exec_lo
	s_delay_alu instid0(SALU_CYCLE_1)
	s_or_b32 s4, s4, s1
	s_or_b32 exec_lo, exec_lo, s6
	s_and_saveexec_b32 s6, s4
	s_cbranch_execnz .LBB243_85
	s_branch .LBB243_86
.LBB243_457:
	s_mov_b32 s6, -1
	s_mov_b32 s8, exec_lo
	v_cmpx_eq_u16_e32 0x80, v11
; %bb.458:
	s_xor_b32 s6, exec_lo, -1
; %bb.459:
	s_or_b32 exec_lo, exec_lo, s8
	s_delay_alu instid0(SALU_CYCLE_1)
	s_and_b32 s6, s6, exec_lo
                                        ; implicit-def: $vgpr11
	s_or_saveexec_b32 s7, s7
	v_mov_b32_e32 v0, 0x7f800001
	s_xor_b32 exec_lo, exec_lo, s7
	s_cbranch_execz .LBB243_90
.LBB243_460:
	v_cmp_ne_u16_e64 s1, 0, v11
	v_mov_b32_e32 v0, 0
	s_and_not1_b32 s6, s6, exec_lo
	s_and_b32 s1, s1, exec_lo
	s_delay_alu instid0(SALU_CYCLE_1)
	s_or_b32 s6, s6, s1
	s_or_b32 exec_lo, exec_lo, s7
	s_and_saveexec_b32 s7, s6
	s_cbranch_execnz .LBB243_91
	s_branch .LBB243_92
.LBB243_461:
	s_mov_b32 s6, -1
	s_mov_b32 s8, exec_lo
	v_cmpx_eq_u16_e32 0x80, v16
; %bb.462:
	s_xor_b32 s6, exec_lo, -1
; %bb.463:
	s_or_b32 exec_lo, exec_lo, s8
	s_delay_alu instid0(SALU_CYCLE_1)
	s_and_b32 s6, s6, exec_lo
                                        ; implicit-def: $vgpr16
	s_or_saveexec_b32 s7, s7
	v_mov_b32_e32 v11, 0x7f800001
	s_xor_b32 exec_lo, exec_lo, s7
	s_cbranch_execz .LBB243_94
.LBB243_464:
	v_cmp_ne_u16_e64 s1, 0, v16
	v_mov_b32_e32 v11, 0
	s_and_not1_b32 s6, s6, exec_lo
	s_and_b32 s1, s1, exec_lo
	s_delay_alu instid0(SALU_CYCLE_1)
	s_or_b32 s6, s6, s1
	s_or_b32 exec_lo, exec_lo, s7
	s_and_saveexec_b32 s7, s6
	s_cbranch_execnz .LBB243_95
	s_branch .LBB243_96
.LBB243_465:
	s_mov_b32 s4, -1
	s_mov_b32 s7, exec_lo
	v_cmpx_eq_u16_e32 0x80, v11
; %bb.466:
	s_xor_b32 s4, exec_lo, -1
; %bb.467:
	s_or_b32 exec_lo, exec_lo, s7
	s_delay_alu instid0(SALU_CYCLE_1)
	s_and_b32 s4, s4, exec_lo
                                        ; implicit-def: $vgpr11
	s_or_saveexec_b32 s6, s6
	v_mov_b32_e32 v0, 0x7f800001
	s_xor_b32 exec_lo, exec_lo, s6
	s_cbranch_execz .LBB243_102
.LBB243_468:
	v_cmp_ne_u16_e64 s1, 0, v11
	v_mov_b32_e32 v0, 0
	s_and_not1_b32 s4, s4, exec_lo
	s_and_b32 s1, s1, exec_lo
	s_delay_alu instid0(SALU_CYCLE_1)
	s_or_b32 s4, s4, s1
	s_or_b32 exec_lo, exec_lo, s6
	s_and_saveexec_b32 s6, s4
	s_cbranch_execnz .LBB243_103
	s_branch .LBB243_104
.LBB243_469:
	s_mov_b32 s4, -1
	s_mov_b32 s7, exec_lo
	v_cmpx_eq_u16_e32 0x80, v15
; %bb.470:
	s_xor_b32 s4, exec_lo, -1
; %bb.471:
	s_or_b32 exec_lo, exec_lo, s7
	s_delay_alu instid0(SALU_CYCLE_1)
	s_and_b32 s4, s4, exec_lo
                                        ; implicit-def: $vgpr15
	s_or_saveexec_b32 s6, s6
	v_mov_b32_e32 v11, 0x7f800001
	s_xor_b32 exec_lo, exec_lo, s6
	s_cbranch_execz .LBB243_106
.LBB243_472:
	v_cmp_ne_u16_e64 s1, 0, v15
	v_mov_b32_e32 v11, 0
	s_and_not1_b32 s4, s4, exec_lo
	s_and_b32 s1, s1, exec_lo
	s_delay_alu instid0(SALU_CYCLE_1)
	s_or_b32 s4, s4, s1
	s_or_b32 exec_lo, exec_lo, s6
	s_and_saveexec_b32 s6, s4
	s_cbranch_execnz .LBB243_107
	s_branch .LBB243_108
.LBB243_473:
	s_mov_b32 s6, -1
	s_mov_b32 s8, exec_lo
	v_cmpx_eq_u16_e32 0x80, v11
; %bb.474:
	s_xor_b32 s6, exec_lo, -1
; %bb.475:
	s_or_b32 exec_lo, exec_lo, s8
	s_delay_alu instid0(SALU_CYCLE_1)
	s_and_b32 s6, s6, exec_lo
                                        ; implicit-def: $vgpr11
	s_or_saveexec_b32 s7, s7
	v_mov_b32_e32 v0, 0x7f800001
	s_xor_b32 exec_lo, exec_lo, s7
	s_cbranch_execz .LBB243_112
.LBB243_476:
	v_cmp_ne_u16_e64 s1, 0, v11
	v_mov_b32_e32 v0, 0
	s_and_not1_b32 s6, s6, exec_lo
	s_and_b32 s1, s1, exec_lo
	s_delay_alu instid0(SALU_CYCLE_1)
	s_or_b32 s6, s6, s1
	s_or_b32 exec_lo, exec_lo, s7
	s_and_saveexec_b32 s7, s6
	s_cbranch_execnz .LBB243_113
	s_branch .LBB243_114
.LBB243_477:
	s_mov_b32 s6, -1
	s_mov_b32 s8, exec_lo
	v_cmpx_eq_u16_e32 0x80, v15
; %bb.478:
	s_xor_b32 s6, exec_lo, -1
; %bb.479:
	s_or_b32 exec_lo, exec_lo, s8
	s_delay_alu instid0(SALU_CYCLE_1)
	s_and_b32 s6, s6, exec_lo
                                        ; implicit-def: $vgpr15
	s_or_saveexec_b32 s7, s7
	v_mov_b32_e32 v11, 0x7f800001
	s_xor_b32 exec_lo, exec_lo, s7
	s_cbranch_execz .LBB243_116
.LBB243_480:
	v_cmp_ne_u16_e64 s1, 0, v15
	v_mov_b32_e32 v11, 0
	s_and_not1_b32 s6, s6, exec_lo
	s_and_b32 s1, s1, exec_lo
	s_delay_alu instid0(SALU_CYCLE_1)
	s_or_b32 s6, s6, s1
	s_or_b32 exec_lo, exec_lo, s7
	s_and_saveexec_b32 s7, s6
	s_cbranch_execnz .LBB243_117
	s_branch .LBB243_118
.LBB243_481:
	s_mov_b32 s4, -1
	s_mov_b32 s7, exec_lo
	v_cmpx_eq_u16_e32 0x80, v11
; %bb.482:
	s_xor_b32 s4, exec_lo, -1
; %bb.483:
	s_or_b32 exec_lo, exec_lo, s7
	s_delay_alu instid0(SALU_CYCLE_1)
	s_and_b32 s4, s4, exec_lo
                                        ; implicit-def: $vgpr11
	s_or_saveexec_b32 s6, s6
	v_mov_b32_e32 v0, 0x7f800001
	s_xor_b32 exec_lo, exec_lo, s6
	s_cbranch_execz .LBB243_124
.LBB243_484:
	v_cmp_ne_u16_e64 s1, 0, v11
	v_mov_b32_e32 v0, 0
	s_and_not1_b32 s4, s4, exec_lo
	s_and_b32 s1, s1, exec_lo
	s_delay_alu instid0(SALU_CYCLE_1)
	s_or_b32 s4, s4, s1
	s_or_b32 exec_lo, exec_lo, s6
	s_and_saveexec_b32 s6, s4
	s_cbranch_execnz .LBB243_125
	s_branch .LBB243_126
.LBB243_485:
	s_mov_b32 s4, -1
	s_mov_b32 s7, exec_lo
	v_cmpx_eq_u16_e32 0x80, v15
; %bb.486:
	s_xor_b32 s4, exec_lo, -1
; %bb.487:
	s_or_b32 exec_lo, exec_lo, s7
	s_delay_alu instid0(SALU_CYCLE_1)
	s_and_b32 s4, s4, exec_lo
                                        ; implicit-def: $vgpr15
	s_or_saveexec_b32 s6, s6
	v_mov_b32_e32 v11, 0x7f800001
	s_xor_b32 exec_lo, exec_lo, s6
	s_cbranch_execz .LBB243_128
.LBB243_488:
	v_cmp_ne_u16_e64 s1, 0, v15
	v_mov_b32_e32 v11, 0
	s_and_not1_b32 s4, s4, exec_lo
	s_and_b32 s1, s1, exec_lo
	s_delay_alu instid0(SALU_CYCLE_1)
	s_or_b32 s4, s4, s1
	s_or_b32 exec_lo, exec_lo, s6
	s_and_saveexec_b32 s6, s4
	s_cbranch_execnz .LBB243_129
	s_branch .LBB243_130
.LBB243_489:
	s_mov_b32 s6, -1
	s_mov_b32 s8, exec_lo
	v_cmpx_eq_u16_e32 0x80, v11
; %bb.490:
	s_xor_b32 s6, exec_lo, -1
; %bb.491:
	s_or_b32 exec_lo, exec_lo, s8
	s_delay_alu instid0(SALU_CYCLE_1)
	s_and_b32 s6, s6, exec_lo
                                        ; implicit-def: $vgpr11
	s_or_saveexec_b32 s7, s7
	v_mov_b32_e32 v0, 0x7f800001
	s_xor_b32 exec_lo, exec_lo, s7
	s_cbranch_execz .LBB243_134
.LBB243_492:
	v_cmp_ne_u16_e64 s1, 0, v11
	v_mov_b32_e32 v0, 0
	s_and_not1_b32 s6, s6, exec_lo
	s_and_b32 s1, s1, exec_lo
	s_delay_alu instid0(SALU_CYCLE_1)
	s_or_b32 s6, s6, s1
	s_or_b32 exec_lo, exec_lo, s7
	s_and_saveexec_b32 s7, s6
	s_cbranch_execnz .LBB243_135
	s_branch .LBB243_136
.LBB243_493:
	s_mov_b32 s6, -1
	s_mov_b32 s8, exec_lo
	v_cmpx_eq_u16_e32 0x80, v15
; %bb.494:
	s_xor_b32 s6, exec_lo, -1
; %bb.495:
	s_or_b32 exec_lo, exec_lo, s8
	s_delay_alu instid0(SALU_CYCLE_1)
	s_and_b32 s6, s6, exec_lo
                                        ; implicit-def: $vgpr15
	s_or_saveexec_b32 s7, s7
	v_mov_b32_e32 v11, 0x7f800001
	s_xor_b32 exec_lo, exec_lo, s7
	s_cbranch_execz .LBB243_138
.LBB243_496:
	v_cmp_ne_u16_e64 s1, 0, v15
	v_mov_b32_e32 v11, 0
	s_and_not1_b32 s6, s6, exec_lo
	s_and_b32 s1, s1, exec_lo
	s_delay_alu instid0(SALU_CYCLE_1)
	s_or_b32 s6, s6, s1
	s_or_b32 exec_lo, exec_lo, s7
	s_and_saveexec_b32 s7, s6
	s_cbranch_execnz .LBB243_139
	s_branch .LBB243_140
.LBB243_497:
	s_mov_b32 s4, -1
	s_mov_b32 s7, exec_lo
	v_cmpx_eq_u16_e32 0x80, v11
; %bb.498:
	s_xor_b32 s4, exec_lo, -1
; %bb.499:
	s_or_b32 exec_lo, exec_lo, s7
	s_delay_alu instid0(SALU_CYCLE_1)
	s_and_b32 s4, s4, exec_lo
                                        ; implicit-def: $vgpr11
	s_or_saveexec_b32 s6, s6
	v_mov_b32_e32 v0, 0x7f800001
	s_xor_b32 exec_lo, exec_lo, s6
	s_cbranch_execz .LBB243_146
.LBB243_500:
	v_cmp_ne_u16_e64 s1, 0, v11
	v_mov_b32_e32 v0, 0
	s_and_not1_b32 s4, s4, exec_lo
	s_and_b32 s1, s1, exec_lo
	s_delay_alu instid0(SALU_CYCLE_1)
	s_or_b32 s4, s4, s1
	s_or_b32 exec_lo, exec_lo, s6
	s_and_saveexec_b32 s6, s4
	s_cbranch_execnz .LBB243_147
	s_branch .LBB243_148
.LBB243_501:
	s_mov_b32 s4, -1
	s_mov_b32 s7, exec_lo
	v_cmpx_eq_u16_e32 0x80, v15
; %bb.502:
	s_xor_b32 s4, exec_lo, -1
; %bb.503:
	s_or_b32 exec_lo, exec_lo, s7
	s_delay_alu instid0(SALU_CYCLE_1)
	s_and_b32 s4, s4, exec_lo
                                        ; implicit-def: $vgpr15
	s_or_saveexec_b32 s6, s6
	v_mov_b32_e32 v11, 0x7f800001
	s_xor_b32 exec_lo, exec_lo, s6
	s_cbranch_execz .LBB243_150
.LBB243_504:
	v_cmp_ne_u16_e64 s1, 0, v15
	v_mov_b32_e32 v11, 0
	s_and_not1_b32 s4, s4, exec_lo
	s_and_b32 s1, s1, exec_lo
	s_delay_alu instid0(SALU_CYCLE_1)
	s_or_b32 s4, s4, s1
	s_or_b32 exec_lo, exec_lo, s6
	s_and_saveexec_b32 s6, s4
	s_cbranch_execnz .LBB243_151
	s_branch .LBB243_152
.LBB243_505:
	s_mov_b32 s6, -1
	s_mov_b32 s8, exec_lo
	v_cmpx_eq_u16_e32 0x80, v11
; %bb.506:
	s_xor_b32 s6, exec_lo, -1
; %bb.507:
	s_or_b32 exec_lo, exec_lo, s8
	s_delay_alu instid0(SALU_CYCLE_1)
	s_and_b32 s6, s6, exec_lo
                                        ; implicit-def: $vgpr11
	s_or_saveexec_b32 s7, s7
	v_mov_b32_e32 v0, 0x7f800001
	s_xor_b32 exec_lo, exec_lo, s7
	s_cbranch_execz .LBB243_156
.LBB243_508:
	v_cmp_ne_u16_e64 s1, 0, v11
	v_mov_b32_e32 v0, 0
	s_and_not1_b32 s6, s6, exec_lo
	s_and_b32 s1, s1, exec_lo
	s_delay_alu instid0(SALU_CYCLE_1)
	s_or_b32 s6, s6, s1
	s_or_b32 exec_lo, exec_lo, s7
	s_and_saveexec_b32 s7, s6
	s_cbranch_execnz .LBB243_157
	s_branch .LBB243_158
.LBB243_509:
	s_mov_b32 s6, -1
	s_mov_b32 s8, exec_lo
	v_cmpx_eq_u16_e32 0x80, v15
; %bb.510:
	s_xor_b32 s6, exec_lo, -1
; %bb.511:
	s_or_b32 exec_lo, exec_lo, s8
	s_delay_alu instid0(SALU_CYCLE_1)
	s_and_b32 s6, s6, exec_lo
                                        ; implicit-def: $vgpr15
	s_or_saveexec_b32 s7, s7
	v_mov_b32_e32 v11, 0x7f800001
	s_xor_b32 exec_lo, exec_lo, s7
	s_cbranch_execz .LBB243_160
.LBB243_512:
	v_cmp_ne_u16_e64 s1, 0, v15
	v_mov_b32_e32 v11, 0
	s_and_not1_b32 s6, s6, exec_lo
	s_and_b32 s1, s1, exec_lo
	s_delay_alu instid0(SALU_CYCLE_1)
	s_or_b32 s6, s6, s1
	s_or_b32 exec_lo, exec_lo, s7
	s_and_saveexec_b32 s7, s6
	s_cbranch_execnz .LBB243_161
	s_branch .LBB243_162
.LBB243_513:
	s_mov_b32 s4, -1
	s_mov_b32 s7, exec_lo
	v_cmpx_eq_u16_e32 0x80, v11
; %bb.514:
	s_xor_b32 s4, exec_lo, -1
; %bb.515:
	s_or_b32 exec_lo, exec_lo, s7
	s_delay_alu instid0(SALU_CYCLE_1)
	s_and_b32 s4, s4, exec_lo
                                        ; implicit-def: $vgpr11
	s_or_saveexec_b32 s6, s6
	v_mov_b32_e32 v0, 0x7f800001
	s_xor_b32 exec_lo, exec_lo, s6
	s_cbranch_execz .LBB243_168
.LBB243_516:
	v_cmp_ne_u16_e64 s1, 0, v11
	v_mov_b32_e32 v0, 0
	s_and_not1_b32 s4, s4, exec_lo
	s_and_b32 s1, s1, exec_lo
	s_delay_alu instid0(SALU_CYCLE_1)
	s_or_b32 s4, s4, s1
	s_or_b32 exec_lo, exec_lo, s6
	s_and_saveexec_b32 s6, s4
	s_cbranch_execnz .LBB243_169
	s_branch .LBB243_170
.LBB243_517:
	s_mov_b32 s4, -1
	s_mov_b32 s7, exec_lo
	v_cmpx_eq_u16_e32 0x80, v15
; %bb.518:
	s_xor_b32 s4, exec_lo, -1
; %bb.519:
	s_or_b32 exec_lo, exec_lo, s7
	s_delay_alu instid0(SALU_CYCLE_1)
	s_and_b32 s4, s4, exec_lo
                                        ; implicit-def: $vgpr15
	s_or_saveexec_b32 s6, s6
	v_mov_b32_e32 v11, 0x7f800001
	s_xor_b32 exec_lo, exec_lo, s6
	s_cbranch_execz .LBB243_172
.LBB243_520:
	v_cmp_ne_u16_e64 s1, 0, v15
	v_mov_b32_e32 v11, 0
	s_and_not1_b32 s4, s4, exec_lo
	s_and_b32 s1, s1, exec_lo
	s_delay_alu instid0(SALU_CYCLE_1)
	s_or_b32 s4, s4, s1
	s_or_b32 exec_lo, exec_lo, s6
	s_and_saveexec_b32 s6, s4
	s_cbranch_execnz .LBB243_173
	s_branch .LBB243_174
.LBB243_521:
	s_mov_b32 s6, -1
	s_mov_b32 s8, exec_lo
	v_cmpx_eq_u16_e32 0x80, v11
; %bb.522:
	s_xor_b32 s6, exec_lo, -1
; %bb.523:
	s_or_b32 exec_lo, exec_lo, s8
	s_delay_alu instid0(SALU_CYCLE_1)
	s_and_b32 s6, s6, exec_lo
                                        ; implicit-def: $vgpr11
	s_or_saveexec_b32 s7, s7
	v_mov_b32_e32 v0, 0x7f800001
	s_xor_b32 exec_lo, exec_lo, s7
	s_cbranch_execz .LBB243_178
.LBB243_524:
	v_cmp_ne_u16_e64 s1, 0, v11
	v_mov_b32_e32 v0, 0
	s_and_not1_b32 s6, s6, exec_lo
	s_and_b32 s1, s1, exec_lo
	s_delay_alu instid0(SALU_CYCLE_1)
	s_or_b32 s6, s6, s1
	s_or_b32 exec_lo, exec_lo, s7
	s_and_saveexec_b32 s7, s6
	s_cbranch_execnz .LBB243_179
	s_branch .LBB243_180
.LBB243_525:
	s_mov_b32 s6, -1
	s_mov_b32 s8, exec_lo
	v_cmpx_eq_u16_e32 0x80, v15
; %bb.526:
	s_xor_b32 s6, exec_lo, -1
; %bb.527:
	s_or_b32 exec_lo, exec_lo, s8
	s_delay_alu instid0(SALU_CYCLE_1)
	s_and_b32 s6, s6, exec_lo
                                        ; implicit-def: $vgpr15
	s_or_saveexec_b32 s7, s7
	v_mov_b32_e32 v11, 0x7f800001
	s_xor_b32 exec_lo, exec_lo, s7
	s_cbranch_execz .LBB243_182
.LBB243_528:
	v_cmp_ne_u16_e64 s1, 0, v15
	v_mov_b32_e32 v11, 0
	s_and_not1_b32 s6, s6, exec_lo
	s_and_b32 s1, s1, exec_lo
	s_delay_alu instid0(SALU_CYCLE_1)
	s_or_b32 s6, s6, s1
	s_or_b32 exec_lo, exec_lo, s7
	s_and_saveexec_b32 s7, s6
	s_cbranch_execnz .LBB243_183
	s_branch .LBB243_184
.LBB243_529:
	s_mov_b32 s4, -1
	s_mov_b32 s7, exec_lo
	v_cmpx_eq_u16_e32 0x80, v11
; %bb.530:
	s_xor_b32 s4, exec_lo, -1
; %bb.531:
	s_or_b32 exec_lo, exec_lo, s7
	s_delay_alu instid0(SALU_CYCLE_1)
	s_and_b32 s4, s4, exec_lo
                                        ; implicit-def: $vgpr11
	s_or_saveexec_b32 s6, s6
	v_mov_b32_e32 v0, 0x7f800001
	s_xor_b32 exec_lo, exec_lo, s6
	s_cbranch_execz .LBB243_190
.LBB243_532:
	v_cmp_ne_u16_e64 s1, 0, v11
	v_mov_b32_e32 v0, 0
	s_and_not1_b32 s4, s4, exec_lo
	s_and_b32 s1, s1, exec_lo
	s_delay_alu instid0(SALU_CYCLE_1)
	s_or_b32 s4, s4, s1
	s_or_b32 exec_lo, exec_lo, s6
	s_and_saveexec_b32 s6, s4
	s_cbranch_execnz .LBB243_191
	s_branch .LBB243_192
.LBB243_533:
	s_mov_b32 s4, -1
	s_mov_b32 s7, exec_lo
	v_cmpx_eq_u16_e32 0x80, v15
; %bb.534:
	s_xor_b32 s4, exec_lo, -1
; %bb.535:
	s_or_b32 exec_lo, exec_lo, s7
	s_delay_alu instid0(SALU_CYCLE_1)
	s_and_b32 s4, s4, exec_lo
                                        ; implicit-def: $vgpr15
	s_or_saveexec_b32 s6, s6
	v_mov_b32_e32 v11, 0x7f800001
	s_xor_b32 exec_lo, exec_lo, s6
	s_cbranch_execz .LBB243_194
.LBB243_536:
	v_cmp_ne_u16_e64 s1, 0, v15
	v_mov_b32_e32 v11, 0
	s_and_not1_b32 s4, s4, exec_lo
	s_and_b32 s1, s1, exec_lo
	s_delay_alu instid0(SALU_CYCLE_1)
	s_or_b32 s4, s4, s1
	s_or_b32 exec_lo, exec_lo, s6
	s_and_saveexec_b32 s6, s4
	s_cbranch_execnz .LBB243_195
	s_branch .LBB243_196
.LBB243_537:
	s_mov_b32 s6, -1
	s_mov_b32 s8, exec_lo
	v_cmpx_eq_u16_e32 0x80, v11
; %bb.538:
	s_xor_b32 s6, exec_lo, -1
; %bb.539:
	s_or_b32 exec_lo, exec_lo, s8
	s_delay_alu instid0(SALU_CYCLE_1)
	s_and_b32 s6, s6, exec_lo
                                        ; implicit-def: $vgpr11
	s_or_saveexec_b32 s7, s7
	v_mov_b32_e32 v0, 0x7f800001
	s_xor_b32 exec_lo, exec_lo, s7
	s_cbranch_execz .LBB243_200
.LBB243_540:
	v_cmp_ne_u16_e64 s1, 0, v11
	v_mov_b32_e32 v0, 0
	s_and_not1_b32 s6, s6, exec_lo
	s_and_b32 s1, s1, exec_lo
	s_delay_alu instid0(SALU_CYCLE_1)
	s_or_b32 s6, s6, s1
	s_or_b32 exec_lo, exec_lo, s7
	s_and_saveexec_b32 s7, s6
	s_cbranch_execnz .LBB243_201
	s_branch .LBB243_202
.LBB243_541:
	s_mov_b32 s6, -1
	s_mov_b32 s8, exec_lo
	v_cmpx_eq_u16_e32 0x80, v15
; %bb.542:
	s_xor_b32 s6, exec_lo, -1
; %bb.543:
	s_or_b32 exec_lo, exec_lo, s8
	s_delay_alu instid0(SALU_CYCLE_1)
	s_and_b32 s6, s6, exec_lo
                                        ; implicit-def: $vgpr15
	s_or_saveexec_b32 s7, s7
	v_mov_b32_e32 v11, 0x7f800001
	s_xor_b32 exec_lo, exec_lo, s7
	s_cbranch_execz .LBB243_204
.LBB243_544:
	v_cmp_ne_u16_e64 s1, 0, v15
	v_mov_b32_e32 v11, 0
	s_and_not1_b32 s6, s6, exec_lo
	s_and_b32 s1, s1, exec_lo
	s_delay_alu instid0(SALU_CYCLE_1)
	s_or_b32 s6, s6, s1
	s_or_b32 exec_lo, exec_lo, s7
	s_and_saveexec_b32 s7, s6
	s_cbranch_execnz .LBB243_205
	s_branch .LBB243_206
.LBB243_545:
	s_mov_b32 s4, -1
	s_mov_b32 s7, exec_lo
	v_cmpx_eq_u16_e32 0x80, v11
; %bb.546:
	s_xor_b32 s4, exec_lo, -1
; %bb.547:
	s_or_b32 exec_lo, exec_lo, s7
	s_delay_alu instid0(SALU_CYCLE_1)
	s_and_b32 s4, s4, exec_lo
                                        ; implicit-def: $vgpr11
	s_or_saveexec_b32 s6, s6
	v_mov_b32_e32 v0, 0x7f800001
	s_xor_b32 exec_lo, exec_lo, s6
	s_cbranch_execz .LBB243_212
.LBB243_548:
	v_cmp_ne_u16_e64 s1, 0, v11
	v_mov_b32_e32 v0, 0
	s_and_not1_b32 s4, s4, exec_lo
	s_and_b32 s1, s1, exec_lo
	s_delay_alu instid0(SALU_CYCLE_1)
	s_or_b32 s4, s4, s1
	s_or_b32 exec_lo, exec_lo, s6
	s_and_saveexec_b32 s6, s4
	s_cbranch_execnz .LBB243_213
	s_branch .LBB243_214
.LBB243_549:
	s_mov_b32 s4, -1
	s_mov_b32 s7, exec_lo
	v_cmpx_eq_u16_e32 0x80, v15
; %bb.550:
	s_xor_b32 s4, exec_lo, -1
; %bb.551:
	s_or_b32 exec_lo, exec_lo, s7
	s_delay_alu instid0(SALU_CYCLE_1)
	s_and_b32 s4, s4, exec_lo
                                        ; implicit-def: $vgpr15
	s_or_saveexec_b32 s6, s6
	v_mov_b32_e32 v11, 0x7f800001
	s_xor_b32 exec_lo, exec_lo, s6
	s_cbranch_execz .LBB243_216
.LBB243_552:
	v_cmp_ne_u16_e64 s1, 0, v15
	v_mov_b32_e32 v11, 0
	s_and_not1_b32 s4, s4, exec_lo
	s_and_b32 s1, s1, exec_lo
	s_delay_alu instid0(SALU_CYCLE_1)
	s_or_b32 s4, s4, s1
	s_or_b32 exec_lo, exec_lo, s6
	s_and_saveexec_b32 s6, s4
	s_cbranch_execnz .LBB243_217
	s_branch .LBB243_218
.LBB243_553:
	s_mov_b32 s6, -1
	s_mov_b32 s8, exec_lo
	v_cmpx_eq_u16_e32 0x80, v11
; %bb.554:
	s_xor_b32 s6, exec_lo, -1
; %bb.555:
	s_or_b32 exec_lo, exec_lo, s8
	s_delay_alu instid0(SALU_CYCLE_1)
	s_and_b32 s6, s6, exec_lo
                                        ; implicit-def: $vgpr11
	s_or_saveexec_b32 s7, s7
	v_mov_b32_e32 v0, 0x7f800001
	s_xor_b32 exec_lo, exec_lo, s7
	s_cbranch_execz .LBB243_222
.LBB243_556:
	v_cmp_ne_u16_e64 s1, 0, v11
	v_mov_b32_e32 v0, 0
	s_and_not1_b32 s6, s6, exec_lo
	s_and_b32 s1, s1, exec_lo
	s_delay_alu instid0(SALU_CYCLE_1)
	s_or_b32 s6, s6, s1
	s_or_b32 exec_lo, exec_lo, s7
	s_and_saveexec_b32 s7, s6
	s_cbranch_execnz .LBB243_223
	s_branch .LBB243_224
.LBB243_557:
	s_mov_b32 s6, -1
	s_mov_b32 s8, exec_lo
	v_cmpx_eq_u16_e32 0x80, v15
; %bb.558:
	s_xor_b32 s6, exec_lo, -1
; %bb.559:
	s_or_b32 exec_lo, exec_lo, s8
	s_delay_alu instid0(SALU_CYCLE_1)
	s_and_b32 s6, s6, exec_lo
                                        ; implicit-def: $vgpr15
	s_or_saveexec_b32 s7, s7
	v_mov_b32_e32 v11, 0x7f800001
	s_xor_b32 exec_lo, exec_lo, s7
	s_cbranch_execz .LBB243_226
.LBB243_560:
	v_cmp_ne_u16_e64 s1, 0, v15
	v_mov_b32_e32 v11, 0
	s_and_not1_b32 s6, s6, exec_lo
	s_and_b32 s1, s1, exec_lo
	s_delay_alu instid0(SALU_CYCLE_1)
	s_or_b32 s6, s6, s1
	s_or_b32 exec_lo, exec_lo, s7
	s_and_saveexec_b32 s7, s6
	s_cbranch_execnz .LBB243_227
	s_branch .LBB243_228
.LBB243_561:
	s_mov_b32 s4, -1
	s_mov_b32 s7, exec_lo
	v_cmpx_eq_u16_e32 0x80, v11
; %bb.562:
	s_xor_b32 s4, exec_lo, -1
; %bb.563:
	s_or_b32 exec_lo, exec_lo, s7
	s_delay_alu instid0(SALU_CYCLE_1)
	s_and_b32 s4, s4, exec_lo
                                        ; implicit-def: $vgpr11
	s_or_saveexec_b32 s6, s6
	v_mov_b32_e32 v0, 0x7f800001
	s_xor_b32 exec_lo, exec_lo, s6
	s_cbranch_execz .LBB243_234
.LBB243_564:
	v_cmp_ne_u16_e64 s1, 0, v11
	v_mov_b32_e32 v0, 0
	s_and_not1_b32 s4, s4, exec_lo
	s_and_b32 s1, s1, exec_lo
	s_delay_alu instid0(SALU_CYCLE_1)
	s_or_b32 s4, s4, s1
	s_or_b32 exec_lo, exec_lo, s6
	s_and_saveexec_b32 s6, s4
	s_cbranch_execnz .LBB243_235
	s_branch .LBB243_236
.LBB243_565:
	s_mov_b32 s4, -1
	s_mov_b32 s7, exec_lo
	v_cmpx_eq_u16_e32 0x80, v15
; %bb.566:
	s_xor_b32 s4, exec_lo, -1
; %bb.567:
	s_or_b32 exec_lo, exec_lo, s7
	s_delay_alu instid0(SALU_CYCLE_1)
	s_and_b32 s4, s4, exec_lo
                                        ; implicit-def: $vgpr15
	s_or_saveexec_b32 s6, s6
	v_mov_b32_e32 v11, 0x7f800001
	s_xor_b32 exec_lo, exec_lo, s6
	s_cbranch_execz .LBB243_238
.LBB243_568:
	v_cmp_ne_u16_e64 s1, 0, v15
	v_mov_b32_e32 v11, 0
	s_and_not1_b32 s4, s4, exec_lo
	s_and_b32 s1, s1, exec_lo
	s_delay_alu instid0(SALU_CYCLE_1)
	s_or_b32 s4, s4, s1
	s_or_b32 exec_lo, exec_lo, s6
	s_and_saveexec_b32 s6, s4
	s_cbranch_execnz .LBB243_239
	s_branch .LBB243_240
.LBB243_569:
	s_mov_b32 s6, -1
	s_mov_b32 s8, exec_lo
	v_cmpx_eq_u16_e32 0x80, v11
; %bb.570:
	s_xor_b32 s6, exec_lo, -1
; %bb.571:
	s_or_b32 exec_lo, exec_lo, s8
	s_delay_alu instid0(SALU_CYCLE_1)
	s_and_b32 s6, s6, exec_lo
                                        ; implicit-def: $vgpr11
	s_or_saveexec_b32 s7, s7
	v_mov_b32_e32 v0, 0x7f800001
	s_xor_b32 exec_lo, exec_lo, s7
	s_cbranch_execz .LBB243_244
.LBB243_572:
	v_cmp_ne_u16_e64 s1, 0, v11
	v_mov_b32_e32 v0, 0
	s_and_not1_b32 s6, s6, exec_lo
	s_and_b32 s1, s1, exec_lo
	s_delay_alu instid0(SALU_CYCLE_1)
	s_or_b32 s6, s6, s1
	s_or_b32 exec_lo, exec_lo, s7
	s_and_saveexec_b32 s7, s6
	s_cbranch_execnz .LBB243_245
	s_branch .LBB243_246
.LBB243_573:
	s_mov_b32 s6, -1
	s_mov_b32 s8, exec_lo
	v_cmpx_eq_u16_e32 0x80, v15
; %bb.574:
	s_xor_b32 s6, exec_lo, -1
; %bb.575:
	s_or_b32 exec_lo, exec_lo, s8
	s_delay_alu instid0(SALU_CYCLE_1)
	s_and_b32 s6, s6, exec_lo
                                        ; implicit-def: $vgpr15
	s_or_saveexec_b32 s7, s7
	v_mov_b32_e32 v11, 0x7f800001
	s_xor_b32 exec_lo, exec_lo, s7
	s_cbranch_execz .LBB243_248
.LBB243_576:
	v_cmp_ne_u16_e64 s1, 0, v15
	v_mov_b32_e32 v11, 0
	s_and_not1_b32 s6, s6, exec_lo
	s_and_b32 s1, s1, exec_lo
	s_delay_alu instid0(SALU_CYCLE_1)
	s_or_b32 s6, s6, s1
	s_or_b32 exec_lo, exec_lo, s7
	s_and_saveexec_b32 s7, s6
	s_cbranch_execnz .LBB243_249
	s_branch .LBB243_250
.LBB243_577:
	s_mov_b32 s4, -1
	s_mov_b32 s7, exec_lo
	v_cmpx_eq_u16_e32 0x80, v11
; %bb.578:
	s_xor_b32 s4, exec_lo, -1
; %bb.579:
	s_or_b32 exec_lo, exec_lo, s7
	s_delay_alu instid0(SALU_CYCLE_1)
	s_and_b32 s4, s4, exec_lo
                                        ; implicit-def: $vgpr11
	s_or_saveexec_b32 s6, s6
	v_mov_b32_e32 v0, 0x7f800001
	s_xor_b32 exec_lo, exec_lo, s6
	s_cbranch_execz .LBB243_256
.LBB243_580:
	v_cmp_ne_u16_e64 s1, 0, v11
	v_mov_b32_e32 v0, 0
	s_and_not1_b32 s4, s4, exec_lo
	s_and_b32 s1, s1, exec_lo
	s_delay_alu instid0(SALU_CYCLE_1)
	s_or_b32 s4, s4, s1
	s_or_b32 exec_lo, exec_lo, s6
	s_and_saveexec_b32 s6, s4
	s_cbranch_execnz .LBB243_257
	s_branch .LBB243_258
.LBB243_581:
	s_mov_b32 s4, -1
	s_mov_b32 s7, exec_lo
	v_cmpx_eq_u16_e32 0x80, v15
; %bb.582:
	s_xor_b32 s4, exec_lo, -1
; %bb.583:
	s_or_b32 exec_lo, exec_lo, s7
	s_delay_alu instid0(SALU_CYCLE_1)
	s_and_b32 s4, s4, exec_lo
                                        ; implicit-def: $vgpr15
	s_or_saveexec_b32 s6, s6
	v_mov_b32_e32 v11, 0x7f800001
	s_xor_b32 exec_lo, exec_lo, s6
	s_cbranch_execz .LBB243_260
.LBB243_584:
	v_cmp_ne_u16_e64 s1, 0, v15
	v_mov_b32_e32 v11, 0
	s_and_not1_b32 s4, s4, exec_lo
	s_and_b32 s1, s1, exec_lo
	s_delay_alu instid0(SALU_CYCLE_1)
	s_or_b32 s4, s4, s1
	s_or_b32 exec_lo, exec_lo, s6
	s_and_saveexec_b32 s6, s4
	s_cbranch_execnz .LBB243_261
	s_branch .LBB243_262
.LBB243_585:
	s_mov_b32 s6, -1
	s_mov_b32 s8, exec_lo
	v_cmpx_eq_u16_e32 0x80, v11
; %bb.586:
	s_xor_b32 s6, exec_lo, -1
; %bb.587:
	s_or_b32 exec_lo, exec_lo, s8
	s_delay_alu instid0(SALU_CYCLE_1)
	s_and_b32 s6, s6, exec_lo
                                        ; implicit-def: $vgpr11
	s_or_saveexec_b32 s7, s7
	v_mov_b32_e32 v0, 0x7f800001
	s_xor_b32 exec_lo, exec_lo, s7
	s_cbranch_execz .LBB243_266
.LBB243_588:
	v_cmp_ne_u16_e64 s1, 0, v11
	v_mov_b32_e32 v0, 0
	s_and_not1_b32 s6, s6, exec_lo
	s_and_b32 s1, s1, exec_lo
	s_delay_alu instid0(SALU_CYCLE_1)
	s_or_b32 s6, s6, s1
	s_or_b32 exec_lo, exec_lo, s7
	s_and_saveexec_b32 s7, s6
	s_cbranch_execnz .LBB243_267
	s_branch .LBB243_268
.LBB243_589:
	s_mov_b32 s6, -1
	s_mov_b32 s8, exec_lo
	v_cmpx_eq_u16_e32 0x80, v15
; %bb.590:
	s_xor_b32 s6, exec_lo, -1
; %bb.591:
	s_or_b32 exec_lo, exec_lo, s8
	s_delay_alu instid0(SALU_CYCLE_1)
	s_and_b32 s6, s6, exec_lo
                                        ; implicit-def: $vgpr15
	s_or_saveexec_b32 s7, s7
	v_mov_b32_e32 v11, 0x7f800001
	s_xor_b32 exec_lo, exec_lo, s7
	s_cbranch_execz .LBB243_270
.LBB243_592:
	v_cmp_ne_u16_e64 s1, 0, v15
	v_mov_b32_e32 v11, 0
	s_and_not1_b32 s6, s6, exec_lo
	s_and_b32 s1, s1, exec_lo
	s_delay_alu instid0(SALU_CYCLE_1)
	s_or_b32 s6, s6, s1
	s_or_b32 exec_lo, exec_lo, s7
	s_and_saveexec_b32 s7, s6
	s_cbranch_execnz .LBB243_271
	s_branch .LBB243_272
.LBB243_593:
	s_mov_b32 s4, -1
	s_mov_b32 s7, exec_lo
	v_cmpx_eq_u16_e32 0x80, v11
; %bb.594:
	s_xor_b32 s4, exec_lo, -1
; %bb.595:
	s_or_b32 exec_lo, exec_lo, s7
	s_delay_alu instid0(SALU_CYCLE_1)
	s_and_b32 s4, s4, exec_lo
                                        ; implicit-def: $vgpr11
	s_or_saveexec_b32 s6, s6
	v_mov_b32_e32 v0, 0x7f800001
	s_xor_b32 exec_lo, exec_lo, s6
	s_cbranch_execz .LBB243_278
.LBB243_596:
	v_cmp_ne_u16_e64 s1, 0, v11
	v_mov_b32_e32 v0, 0
	s_and_not1_b32 s4, s4, exec_lo
	s_and_b32 s1, s1, exec_lo
	s_delay_alu instid0(SALU_CYCLE_1)
	s_or_b32 s4, s4, s1
	s_or_b32 exec_lo, exec_lo, s6
	s_and_saveexec_b32 s6, s4
	s_cbranch_execnz .LBB243_279
	s_branch .LBB243_280
.LBB243_597:
	s_mov_b32 s4, -1
	s_mov_b32 s7, exec_lo
	v_cmpx_eq_u16_e32 0x80, v15
; %bb.598:
	s_xor_b32 s4, exec_lo, -1
; %bb.599:
	s_or_b32 exec_lo, exec_lo, s7
	s_delay_alu instid0(SALU_CYCLE_1)
	s_and_b32 s4, s4, exec_lo
                                        ; implicit-def: $vgpr15
	s_or_saveexec_b32 s6, s6
	v_mov_b32_e32 v11, 0x7f800001
	s_xor_b32 exec_lo, exec_lo, s6
	s_cbranch_execz .LBB243_282
.LBB243_600:
	v_cmp_ne_u16_e64 s1, 0, v15
	v_mov_b32_e32 v11, 0
	s_and_not1_b32 s4, s4, exec_lo
	s_and_b32 s1, s1, exec_lo
	s_delay_alu instid0(SALU_CYCLE_1)
	s_or_b32 s4, s4, s1
	s_or_b32 exec_lo, exec_lo, s6
	s_and_saveexec_b32 s6, s4
	s_cbranch_execnz .LBB243_283
	s_branch .LBB243_284
.LBB243_601:
	s_mov_b32 s6, -1
	s_mov_b32 s8, exec_lo
	v_cmpx_eq_u16_e32 0x80, v11
; %bb.602:
	s_xor_b32 s6, exec_lo, -1
; %bb.603:
	s_or_b32 exec_lo, exec_lo, s8
	s_delay_alu instid0(SALU_CYCLE_1)
	s_and_b32 s6, s6, exec_lo
                                        ; implicit-def: $vgpr11
	s_or_saveexec_b32 s7, s7
	v_mov_b32_e32 v0, 0x7f800001
	s_xor_b32 exec_lo, exec_lo, s7
	s_cbranch_execz .LBB243_288
.LBB243_604:
	v_cmp_ne_u16_e64 s1, 0, v11
	v_mov_b32_e32 v0, 0
	s_and_not1_b32 s6, s6, exec_lo
	s_and_b32 s1, s1, exec_lo
	s_delay_alu instid0(SALU_CYCLE_1)
	s_or_b32 s6, s6, s1
	s_or_b32 exec_lo, exec_lo, s7
	s_and_saveexec_b32 s7, s6
	s_cbranch_execnz .LBB243_289
	s_branch .LBB243_290
.LBB243_605:
	s_mov_b32 s6, -1
	s_mov_b32 s8, exec_lo
	v_cmpx_eq_u16_e32 0x80, v15
; %bb.606:
	s_xor_b32 s6, exec_lo, -1
; %bb.607:
	s_or_b32 exec_lo, exec_lo, s8
	s_delay_alu instid0(SALU_CYCLE_1)
	s_and_b32 s6, s6, exec_lo
                                        ; implicit-def: $vgpr15
	s_or_saveexec_b32 s7, s7
	v_mov_b32_e32 v11, 0x7f800001
	s_xor_b32 exec_lo, exec_lo, s7
	s_cbranch_execz .LBB243_292
.LBB243_608:
	v_cmp_ne_u16_e64 s1, 0, v15
	v_mov_b32_e32 v11, 0
	s_and_not1_b32 s6, s6, exec_lo
	s_and_b32 s1, s1, exec_lo
	s_delay_alu instid0(SALU_CYCLE_1)
	s_or_b32 s6, s6, s1
	s_or_b32 exec_lo, exec_lo, s7
	s_and_saveexec_b32 s7, s6
	s_cbranch_execnz .LBB243_293
	s_branch .LBB243_294
.LBB243_609:
	s_mov_b32 s4, -1
	s_mov_b32 s7, exec_lo
	v_cmpx_eq_u16_e32 0x80, v11
; %bb.610:
	s_xor_b32 s4, exec_lo, -1
; %bb.611:
	s_or_b32 exec_lo, exec_lo, s7
	s_delay_alu instid0(SALU_CYCLE_1)
	s_and_b32 s4, s4, exec_lo
                                        ; implicit-def: $vgpr11
	s_or_saveexec_b32 s6, s6
	v_mov_b32_e32 v0, 0x7f800001
	s_xor_b32 exec_lo, exec_lo, s6
	s_cbranch_execz .LBB243_300
.LBB243_612:
	v_cmp_ne_u16_e64 s1, 0, v11
	v_mov_b32_e32 v0, 0
	s_and_not1_b32 s4, s4, exec_lo
	s_and_b32 s1, s1, exec_lo
	s_delay_alu instid0(SALU_CYCLE_1)
	s_or_b32 s4, s4, s1
	s_or_b32 exec_lo, exec_lo, s6
	s_and_saveexec_b32 s6, s4
	s_cbranch_execnz .LBB243_301
	s_branch .LBB243_302
.LBB243_613:
	s_mov_b32 s4, -1
	s_mov_b32 s7, exec_lo
	v_cmpx_eq_u16_e32 0x80, v15
; %bb.614:
	s_xor_b32 s4, exec_lo, -1
; %bb.615:
	s_or_b32 exec_lo, exec_lo, s7
	s_delay_alu instid0(SALU_CYCLE_1)
	s_and_b32 s4, s4, exec_lo
                                        ; implicit-def: $vgpr15
	s_or_saveexec_b32 s6, s6
	v_mov_b32_e32 v11, 0x7f800001
	s_xor_b32 exec_lo, exec_lo, s6
	s_cbranch_execz .LBB243_304
.LBB243_616:
	v_cmp_ne_u16_e64 s1, 0, v15
	v_mov_b32_e32 v11, 0
	s_and_not1_b32 s4, s4, exec_lo
	s_and_b32 s1, s1, exec_lo
	s_delay_alu instid0(SALU_CYCLE_1)
	s_or_b32 s4, s4, s1
	s_or_b32 exec_lo, exec_lo, s6
	s_and_saveexec_b32 s6, s4
	s_cbranch_execnz .LBB243_305
	s_branch .LBB243_306
.LBB243_617:
	s_mov_b32 s6, -1
	s_mov_b32 s8, exec_lo
	v_cmpx_eq_u16_e32 0x80, v11
; %bb.618:
	s_xor_b32 s6, exec_lo, -1
; %bb.619:
	s_or_b32 exec_lo, exec_lo, s8
	s_delay_alu instid0(SALU_CYCLE_1)
	s_and_b32 s6, s6, exec_lo
                                        ; implicit-def: $vgpr11
	s_or_saveexec_b32 s7, s7
	v_mov_b32_e32 v0, 0x7f800001
	s_xor_b32 exec_lo, exec_lo, s7
	s_cbranch_execz .LBB243_310
.LBB243_620:
	v_cmp_ne_u16_e64 s1, 0, v11
	v_mov_b32_e32 v0, 0
	s_and_not1_b32 s6, s6, exec_lo
	s_and_b32 s1, s1, exec_lo
	s_delay_alu instid0(SALU_CYCLE_1)
	s_or_b32 s6, s6, s1
	s_or_b32 exec_lo, exec_lo, s7
	s_and_saveexec_b32 s7, s6
	s_cbranch_execnz .LBB243_311
	s_branch .LBB243_312
.LBB243_621:
	s_mov_b32 s6, -1
	s_mov_b32 s8, exec_lo
	v_cmpx_eq_u16_e32 0x80, v15
; %bb.622:
	s_xor_b32 s6, exec_lo, -1
; %bb.623:
	s_or_b32 exec_lo, exec_lo, s8
	s_delay_alu instid0(SALU_CYCLE_1)
	s_and_b32 s6, s6, exec_lo
                                        ; implicit-def: $vgpr15
	s_or_saveexec_b32 s7, s7
	v_mov_b32_e32 v11, 0x7f800001
	s_xor_b32 exec_lo, exec_lo, s7
	s_cbranch_execz .LBB243_314
.LBB243_624:
	v_cmp_ne_u16_e64 s1, 0, v15
	v_mov_b32_e32 v11, 0
	s_and_not1_b32 s6, s6, exec_lo
	s_and_b32 s1, s1, exec_lo
	s_delay_alu instid0(SALU_CYCLE_1)
	s_or_b32 s6, s6, s1
	s_or_b32 exec_lo, exec_lo, s7
	s_and_saveexec_b32 s7, s6
	s_cbranch_execnz .LBB243_315
	s_branch .LBB243_316
.LBB243_625:
	s_mov_b32 s4, -1
	s_mov_b32 s7, exec_lo
	v_cmpx_eq_u16_e32 0x80, v11
; %bb.626:
	s_xor_b32 s4, exec_lo, -1
; %bb.627:
	s_or_b32 exec_lo, exec_lo, s7
	s_delay_alu instid0(SALU_CYCLE_1)
	s_and_b32 s4, s4, exec_lo
                                        ; implicit-def: $vgpr11
	s_or_saveexec_b32 s6, s6
	v_mov_b32_e32 v0, 0x7f800001
	s_xor_b32 exec_lo, exec_lo, s6
	s_cbranch_execz .LBB243_322
.LBB243_628:
	v_cmp_ne_u16_e64 s1, 0, v11
	v_mov_b32_e32 v0, 0
	s_and_not1_b32 s4, s4, exec_lo
	s_and_b32 s1, s1, exec_lo
	s_delay_alu instid0(SALU_CYCLE_1)
	s_or_b32 s4, s4, s1
	s_or_b32 exec_lo, exec_lo, s6
	s_and_saveexec_b32 s6, s4
	s_cbranch_execnz .LBB243_323
	s_branch .LBB243_324
.LBB243_629:
	s_mov_b32 s4, -1
	s_mov_b32 s7, exec_lo
	v_cmpx_eq_u16_e32 0x80, v15
; %bb.630:
	s_xor_b32 s4, exec_lo, -1
; %bb.631:
	s_or_b32 exec_lo, exec_lo, s7
	s_delay_alu instid0(SALU_CYCLE_1)
	s_and_b32 s4, s4, exec_lo
                                        ; implicit-def: $vgpr15
	s_or_saveexec_b32 s6, s6
	v_mov_b32_e32 v11, 0x7f800001
	s_xor_b32 exec_lo, exec_lo, s6
	s_cbranch_execz .LBB243_326
.LBB243_632:
	v_cmp_ne_u16_e64 s1, 0, v15
	v_mov_b32_e32 v11, 0
	s_and_not1_b32 s4, s4, exec_lo
	s_and_b32 s1, s1, exec_lo
	s_delay_alu instid0(SALU_CYCLE_1)
	s_or_b32 s4, s4, s1
	s_or_b32 exec_lo, exec_lo, s6
	s_and_saveexec_b32 s6, s4
	s_cbranch_execnz .LBB243_327
	s_branch .LBB243_328
.LBB243_633:
	s_mov_b32 s6, -1
	s_mov_b32 s8, exec_lo
	v_cmpx_eq_u16_e32 0x80, v11
; %bb.634:
	s_xor_b32 s6, exec_lo, -1
; %bb.635:
	s_or_b32 exec_lo, exec_lo, s8
	s_delay_alu instid0(SALU_CYCLE_1)
	s_and_b32 s6, s6, exec_lo
                                        ; implicit-def: $vgpr11
	s_or_saveexec_b32 s7, s7
	v_mov_b32_e32 v0, 0x7f800001
	s_xor_b32 exec_lo, exec_lo, s7
	s_cbranch_execz .LBB243_332
.LBB243_636:
	v_cmp_ne_u16_e64 s1, 0, v11
	v_mov_b32_e32 v0, 0
	s_and_not1_b32 s6, s6, exec_lo
	s_and_b32 s1, s1, exec_lo
	s_delay_alu instid0(SALU_CYCLE_1)
	s_or_b32 s6, s6, s1
	s_or_b32 exec_lo, exec_lo, s7
	s_and_saveexec_b32 s7, s6
	s_cbranch_execnz .LBB243_333
	s_branch .LBB243_334
.LBB243_637:
	s_mov_b32 s6, -1
	s_mov_b32 s8, exec_lo
	v_cmpx_eq_u16_e32 0x80, v15
; %bb.638:
	s_xor_b32 s6, exec_lo, -1
; %bb.639:
	s_or_b32 exec_lo, exec_lo, s8
	s_delay_alu instid0(SALU_CYCLE_1)
	s_and_b32 s6, s6, exec_lo
                                        ; implicit-def: $vgpr15
	s_or_saveexec_b32 s7, s7
	v_mov_b32_e32 v11, 0x7f800001
	s_xor_b32 exec_lo, exec_lo, s7
	s_cbranch_execz .LBB243_336
.LBB243_640:
	v_cmp_ne_u16_e64 s1, 0, v15
	v_mov_b32_e32 v11, 0
	s_and_not1_b32 s6, s6, exec_lo
	s_and_b32 s1, s1, exec_lo
	s_delay_alu instid0(SALU_CYCLE_1)
	s_or_b32 s6, s6, s1
	s_or_b32 exec_lo, exec_lo, s7
	s_and_saveexec_b32 s7, s6
	s_cbranch_execnz .LBB243_337
	s_branch .LBB243_338
.LBB243_641:
	s_mov_b32 s4, -1
	s_mov_b32 s7, exec_lo
	v_cmpx_eq_u16_e32 0x80, v11
; %bb.642:
	s_xor_b32 s4, exec_lo, -1
; %bb.643:
	s_or_b32 exec_lo, exec_lo, s7
	s_delay_alu instid0(SALU_CYCLE_1)
	s_and_b32 s4, s4, exec_lo
                                        ; implicit-def: $vgpr11
	s_or_saveexec_b32 s6, s6
	v_mov_b32_e32 v0, 0x7f800001
	s_xor_b32 exec_lo, exec_lo, s6
	s_cbranch_execz .LBB243_344
.LBB243_644:
	v_cmp_ne_u16_e64 s1, 0, v11
	v_mov_b32_e32 v0, 0
	s_and_not1_b32 s4, s4, exec_lo
	s_and_b32 s1, s1, exec_lo
	s_delay_alu instid0(SALU_CYCLE_1)
	s_or_b32 s4, s4, s1
	s_or_b32 exec_lo, exec_lo, s6
	s_and_saveexec_b32 s6, s4
	s_cbranch_execnz .LBB243_345
	s_branch .LBB243_346
.LBB243_645:
	s_mov_b32 s4, -1
	s_mov_b32 s7, exec_lo
	v_cmpx_eq_u16_e32 0x80, v14
; %bb.646:
	s_xor_b32 s4, exec_lo, -1
; %bb.647:
	s_or_b32 exec_lo, exec_lo, s7
	s_delay_alu instid0(SALU_CYCLE_1)
	s_and_b32 s4, s4, exec_lo
                                        ; implicit-def: $vgpr14
	s_or_saveexec_b32 s6, s6
	v_mov_b32_e32 v11, 0x7f800001
	s_xor_b32 exec_lo, exec_lo, s6
	s_cbranch_execz .LBB243_348
.LBB243_648:
	v_cmp_ne_u16_e64 s1, 0, v14
	v_mov_b32_e32 v11, 0
	s_and_not1_b32 s4, s4, exec_lo
	s_and_b32 s1, s1, exec_lo
	s_delay_alu instid0(SALU_CYCLE_1)
	s_or_b32 s4, s4, s1
	s_or_b32 exec_lo, exec_lo, s6
	s_and_saveexec_b32 s6, s4
	s_cbranch_execnz .LBB243_349
	s_branch .LBB243_350
.LBB243_649:
	s_mov_b32 s6, -1
	s_mov_b32 s8, exec_lo
	v_cmpx_eq_u16_e32 0x80, v11
; %bb.650:
	s_xor_b32 s6, exec_lo, -1
; %bb.651:
	s_or_b32 exec_lo, exec_lo, s8
	s_delay_alu instid0(SALU_CYCLE_1)
	s_and_b32 s6, s6, exec_lo
                                        ; implicit-def: $vgpr11
	s_or_saveexec_b32 s7, s7
	v_mov_b32_e32 v0, 0x7f800001
	s_xor_b32 exec_lo, exec_lo, s7
	s_cbranch_execz .LBB243_354
.LBB243_652:
	v_cmp_ne_u16_e64 s1, 0, v11
	v_mov_b32_e32 v0, 0
	s_and_not1_b32 s6, s6, exec_lo
	s_and_b32 s1, s1, exec_lo
	s_delay_alu instid0(SALU_CYCLE_1)
	s_or_b32 s6, s6, s1
	s_or_b32 exec_lo, exec_lo, s7
	s_and_saveexec_b32 s7, s6
	s_cbranch_execnz .LBB243_355
	s_branch .LBB243_356
.LBB243_653:
	s_mov_b32 s6, -1
	s_mov_b32 s8, exec_lo
	v_cmpx_eq_u16_e32 0x80, v14
; %bb.654:
	s_xor_b32 s6, exec_lo, -1
; %bb.655:
	s_or_b32 exec_lo, exec_lo, s8
	s_delay_alu instid0(SALU_CYCLE_1)
	s_and_b32 s6, s6, exec_lo
                                        ; implicit-def: $vgpr14
	s_or_saveexec_b32 s7, s7
	v_mov_b32_e32 v11, 0x7f800001
	s_xor_b32 exec_lo, exec_lo, s7
	s_cbranch_execz .LBB243_358
.LBB243_656:
	v_cmp_ne_u16_e64 s1, 0, v14
	v_mov_b32_e32 v11, 0
	s_and_not1_b32 s6, s6, exec_lo
	s_and_b32 s1, s1, exec_lo
	s_delay_alu instid0(SALU_CYCLE_1)
	s_or_b32 s6, s6, s1
	s_or_b32 exec_lo, exec_lo, s7
	s_and_saveexec_b32 s7, s6
	s_cbranch_execnz .LBB243_359
	s_branch .LBB243_360
.LBB243_657:
	s_mov_b32 s1, -1
	s_mov_b32 s6, exec_lo
	v_cmpx_eq_u16_e32 0x80, v11
; %bb.658:
	s_xor_b32 s1, exec_lo, -1
; %bb.659:
	s_or_b32 exec_lo, exec_lo, s6
	s_delay_alu instid0(SALU_CYCLE_1)
	s_and_b32 s1, s1, exec_lo
                                        ; implicit-def: $vgpr11
	s_or_saveexec_b32 s5, s5
	v_mov_b32_e32 v0, 0x7f800001
	s_xor_b32 exec_lo, exec_lo, s5
	s_cbranch_execz .LBB243_383
.LBB243_660:
	v_cmp_ne_u16_e64 s0, 0, v11
	v_mov_b32_e32 v0, 0
	s_and_not1_b32 s1, s1, exec_lo
	s_and_b32 s0, s0, exec_lo
	s_delay_alu instid0(SALU_CYCLE_1)
	s_or_b32 s1, s1, s0
	s_or_b32 exec_lo, exec_lo, s5
	s_and_saveexec_b32 s5, s1
	s_cbranch_execnz .LBB243_384
	s_branch .LBB243_385
.LBB243_661:
	s_mov_b32 s1, -1
	s_mov_b32 s6, exec_lo
	v_cmpx_eq_u16_e32 0x80, v12
; %bb.662:
	s_xor_b32 s1, exec_lo, -1
; %bb.663:
	s_or_b32 exec_lo, exec_lo, s6
	s_delay_alu instid0(SALU_CYCLE_1)
	s_and_b32 s1, s1, exec_lo
                                        ; implicit-def: $vgpr12
	s_or_saveexec_b32 s5, s5
	v_mov_b32_e32 v11, 0x7f800001
	s_xor_b32 exec_lo, exec_lo, s5
	s_cbranch_execz .LBB243_387
.LBB243_664:
	v_cmp_ne_u16_e64 s0, 0, v12
	v_mov_b32_e32 v11, 0
	s_and_not1_b32 s1, s1, exec_lo
	s_and_b32 s0, s0, exec_lo
	s_delay_alu instid0(SALU_CYCLE_1)
	s_or_b32 s1, s1, s0
	s_or_b32 exec_lo, exec_lo, s5
	s_and_saveexec_b32 s5, s1
	s_cbranch_execnz .LBB243_388
	s_branch .LBB243_389
.LBB243_665:
	s_mov_b32 s5, -1
	s_mov_b32 s7, exec_lo
	v_cmpx_eq_u16_e32 0x80, v11
; %bb.666:
	s_xor_b32 s5, exec_lo, -1
; %bb.667:
	s_or_b32 exec_lo, exec_lo, s7
	s_delay_alu instid0(SALU_CYCLE_1)
	s_and_b32 s5, s5, exec_lo
                                        ; implicit-def: $vgpr11
	s_or_saveexec_b32 s6, s6
	v_mov_b32_e32 v0, 0x7f800001
	s_xor_b32 exec_lo, exec_lo, s6
	s_cbranch_execz .LBB243_393
.LBB243_668:
	v_cmp_ne_u16_e64 s0, 0, v11
	v_mov_b32_e32 v0, 0
	s_and_not1_b32 s5, s5, exec_lo
	s_and_b32 s0, s0, exec_lo
	s_delay_alu instid0(SALU_CYCLE_1)
	s_or_b32 s5, s5, s0
	s_or_b32 exec_lo, exec_lo, s6
	s_and_saveexec_b32 s6, s5
	s_cbranch_execnz .LBB243_394
	s_branch .LBB243_395
.LBB243_669:
	s_mov_b32 s5, -1
	s_mov_b32 s7, exec_lo
	v_cmpx_eq_u16_e32 0x80, v12
; %bb.670:
	s_xor_b32 s5, exec_lo, -1
; %bb.671:
	s_or_b32 exec_lo, exec_lo, s7
	s_delay_alu instid0(SALU_CYCLE_1)
	s_and_b32 s5, s5, exec_lo
                                        ; implicit-def: $vgpr12
	s_or_saveexec_b32 s6, s6
	v_mov_b32_e32 v11, 0x7f800001
	s_xor_b32 exec_lo, exec_lo, s6
	s_cbranch_execz .LBB243_397
.LBB243_672:
	v_cmp_ne_u16_e64 s0, 0, v12
	v_mov_b32_e32 v11, 0
	s_and_not1_b32 s5, s5, exec_lo
	s_and_b32 s0, s0, exec_lo
	s_delay_alu instid0(SALU_CYCLE_1)
	s_or_b32 s5, s5, s0
	s_or_b32 exec_lo, exec_lo, s6
	s_and_saveexec_b32 s6, s5
	s_cbranch_execnz .LBB243_398
	s_branch .LBB243_399
.Lfunc_end243:
	.size	_ZN2at6native25elementwise_kernel_helperILb0ENS0_13BinaryFunctorIN3c1015Float8_e5m2fnuzES4_bNS0_12_GLOBAL__N_116CompareEqFunctorIS4_EEEENS0_6memory8policies11unroll_baseILi256ESt5arrayIPcLm3EE23TrivialOffsetCalculatorILi2EjESF_ILi1EjENS9_15LoadWithoutCastENS9_16StoreWithoutCastELi16ELi1EEEEEvT0_T1_, .Lfunc_end243-_ZN2at6native25elementwise_kernel_helperILb0ENS0_13BinaryFunctorIN3c1015Float8_e5m2fnuzES4_bNS0_12_GLOBAL__N_116CompareEqFunctorIS4_EEEENS0_6memory8policies11unroll_baseILi256ESt5arrayIPcLm3EE23TrivialOffsetCalculatorILi2EjESF_ILi1EjENS9_15LoadWithoutCastENS9_16StoreWithoutCastELi16ELi1EEEEEvT0_T1_
                                        ; -- End function
	.set .L_ZN2at6native25elementwise_kernel_helperILb0ENS0_13BinaryFunctorIN3c1015Float8_e5m2fnuzES4_bNS0_12_GLOBAL__N_116CompareEqFunctorIS4_EEEENS0_6memory8policies11unroll_baseILi256ESt5arrayIPcLm3EE23TrivialOffsetCalculatorILi2EjESF_ILi1EjENS9_15LoadWithoutCastENS9_16StoreWithoutCastELi16ELi1EEEEEvT0_T1_.num_vgpr, 67
	.set .L_ZN2at6native25elementwise_kernel_helperILb0ENS0_13BinaryFunctorIN3c1015Float8_e5m2fnuzES4_bNS0_12_GLOBAL__N_116CompareEqFunctorIS4_EEEENS0_6memory8policies11unroll_baseILi256ESt5arrayIPcLm3EE23TrivialOffsetCalculatorILi2EjESF_ILi1EjENS9_15LoadWithoutCastENS9_16StoreWithoutCastELi16ELi1EEEEEvT0_T1_.num_agpr, 0
	.set .L_ZN2at6native25elementwise_kernel_helperILb0ENS0_13BinaryFunctorIN3c1015Float8_e5m2fnuzES4_bNS0_12_GLOBAL__N_116CompareEqFunctorIS4_EEEENS0_6memory8policies11unroll_baseILi256ESt5arrayIPcLm3EE23TrivialOffsetCalculatorILi2EjESF_ILi1EjENS9_15LoadWithoutCastENS9_16StoreWithoutCastELi16ELi1EEEEEvT0_T1_.numbered_sgpr, 32
	.set .L_ZN2at6native25elementwise_kernel_helperILb0ENS0_13BinaryFunctorIN3c1015Float8_e5m2fnuzES4_bNS0_12_GLOBAL__N_116CompareEqFunctorIS4_EEEENS0_6memory8policies11unroll_baseILi256ESt5arrayIPcLm3EE23TrivialOffsetCalculatorILi2EjESF_ILi1EjENS9_15LoadWithoutCastENS9_16StoreWithoutCastELi16ELi1EEEEEvT0_T1_.num_named_barrier, 0
	.set .L_ZN2at6native25elementwise_kernel_helperILb0ENS0_13BinaryFunctorIN3c1015Float8_e5m2fnuzES4_bNS0_12_GLOBAL__N_116CompareEqFunctorIS4_EEEENS0_6memory8policies11unroll_baseILi256ESt5arrayIPcLm3EE23TrivialOffsetCalculatorILi2EjESF_ILi1EjENS9_15LoadWithoutCastENS9_16StoreWithoutCastELi16ELi1EEEEEvT0_T1_.private_seg_size, 0
	.set .L_ZN2at6native25elementwise_kernel_helperILb0ENS0_13BinaryFunctorIN3c1015Float8_e5m2fnuzES4_bNS0_12_GLOBAL__N_116CompareEqFunctorIS4_EEEENS0_6memory8policies11unroll_baseILi256ESt5arrayIPcLm3EE23TrivialOffsetCalculatorILi2EjESF_ILi1EjENS9_15LoadWithoutCastENS9_16StoreWithoutCastELi16ELi1EEEEEvT0_T1_.uses_vcc, 1
	.set .L_ZN2at6native25elementwise_kernel_helperILb0ENS0_13BinaryFunctorIN3c1015Float8_e5m2fnuzES4_bNS0_12_GLOBAL__N_116CompareEqFunctorIS4_EEEENS0_6memory8policies11unroll_baseILi256ESt5arrayIPcLm3EE23TrivialOffsetCalculatorILi2EjESF_ILi1EjENS9_15LoadWithoutCastENS9_16StoreWithoutCastELi16ELi1EEEEEvT0_T1_.uses_flat_scratch, 0
	.set .L_ZN2at6native25elementwise_kernel_helperILb0ENS0_13BinaryFunctorIN3c1015Float8_e5m2fnuzES4_bNS0_12_GLOBAL__N_116CompareEqFunctorIS4_EEEENS0_6memory8policies11unroll_baseILi256ESt5arrayIPcLm3EE23TrivialOffsetCalculatorILi2EjESF_ILi1EjENS9_15LoadWithoutCastENS9_16StoreWithoutCastELi16ELi1EEEEEvT0_T1_.has_dyn_sized_stack, 0
	.set .L_ZN2at6native25elementwise_kernel_helperILb0ENS0_13BinaryFunctorIN3c1015Float8_e5m2fnuzES4_bNS0_12_GLOBAL__N_116CompareEqFunctorIS4_EEEENS0_6memory8policies11unroll_baseILi256ESt5arrayIPcLm3EE23TrivialOffsetCalculatorILi2EjESF_ILi1EjENS9_15LoadWithoutCastENS9_16StoreWithoutCastELi16ELi1EEEEEvT0_T1_.has_recursion, 0
	.set .L_ZN2at6native25elementwise_kernel_helperILb0ENS0_13BinaryFunctorIN3c1015Float8_e5m2fnuzES4_bNS0_12_GLOBAL__N_116CompareEqFunctorIS4_EEEENS0_6memory8policies11unroll_baseILi256ESt5arrayIPcLm3EE23TrivialOffsetCalculatorILi2EjESF_ILi1EjENS9_15LoadWithoutCastENS9_16StoreWithoutCastELi16ELi1EEEEEvT0_T1_.has_indirect_call, 0
	.section	.AMDGPU.csdata,"",@progbits
; Function info:
; codeLenInByte = 25108
; TotalNumSgprs: 34
; NumVgprs: 67
; ScratchSize: 0
; MemoryBound: 0
	.section	.text._ZN2at6native29vectorized_elementwise_kernelILi16ENS0_13BinaryFunctorIN3c1015Float8_e5m2fnuzES4_bNS0_12_GLOBAL__N_116CompareEqFunctorIS4_EEEESt5arrayIPcLm3EEEEviT0_T1_,"axG",@progbits,_ZN2at6native29vectorized_elementwise_kernelILi16ENS0_13BinaryFunctorIN3c1015Float8_e5m2fnuzES4_bNS0_12_GLOBAL__N_116CompareEqFunctorIS4_EEEESt5arrayIPcLm3EEEEviT0_T1_,comdat
	.globl	_ZN2at6native29vectorized_elementwise_kernelILi16ENS0_13BinaryFunctorIN3c1015Float8_e5m2fnuzES4_bNS0_12_GLOBAL__N_116CompareEqFunctorIS4_EEEESt5arrayIPcLm3EEEEviT0_T1_ ; -- Begin function _ZN2at6native29vectorized_elementwise_kernelILi16ENS0_13BinaryFunctorIN3c1015Float8_e5m2fnuzES4_bNS0_12_GLOBAL__N_116CompareEqFunctorIS4_EEEESt5arrayIPcLm3EEEEviT0_T1_
	.p2align	8
	.type	_ZN2at6native29vectorized_elementwise_kernelILi16ENS0_13BinaryFunctorIN3c1015Float8_e5m2fnuzES4_bNS0_12_GLOBAL__N_116CompareEqFunctorIS4_EEEESt5arrayIPcLm3EEEEviT0_T1_,@function
_ZN2at6native29vectorized_elementwise_kernelILi16ENS0_13BinaryFunctorIN3c1015Float8_e5m2fnuzES4_bNS0_12_GLOBAL__N_116CompareEqFunctorIS4_EEEESt5arrayIPcLm3EEEEviT0_T1_: ; @_ZN2at6native29vectorized_elementwise_kernelILi16ENS0_13BinaryFunctorIN3c1015Float8_e5m2fnuzES4_bNS0_12_GLOBAL__N_116CompareEqFunctorIS4_EEEESt5arrayIPcLm3EEEEviT0_T1_
; %bb.0:
	s_clause 0x2
	s_load_b64 s[8:9], s[0:1], 0x0
	s_load_b128 s[4:7], s[0:1], 0x8
	s_load_b64 s[2:3], s[0:1], 0x18
	s_wait_xcnt 0x0
	s_bfe_u32 s0, ttmp6, 0x4000c
	s_and_b32 s1, ttmp6, 15
	s_add_co_i32 s0, s0, 1
	s_getreg_b32 s10, hwreg(HW_REG_IB_STS2, 6, 4)
	s_mul_i32 s0, ttmp9, s0
	s_mov_b32 s32, 0
	s_add_co_i32 s1, s1, s0
	s_cmp_eq_u32 s10, 0
	s_cselect_b32 s0, ttmp9, s1
	s_delay_alu instid0(SALU_CYCLE_1) | instskip(SKIP_3) | instid1(SALU_CYCLE_1)
	s_lshl_b32 s10, s0, 12
	s_mov_b32 s0, -1
	s_wait_kmcnt 0x0
	s_sub_co_i32 s1, s8, s10
	s_cmp_gt_i32 s1, 0xfff
	s_cbranch_scc1 .LBB244_3
; %bb.1:
	s_and_b32 vcc_lo, exec_lo, s0
	s_cbranch_vccnz .LBB244_324
.LBB244_2:
	s_sendmsg sendmsg(MSG_DEALLOC_VGPRS)
	s_endpgm
.LBB244_3:
	s_ashr_i32 s11, s10, 31
	s_cmp_lg_u32 s9, 0
	s_add_nc_u64 s[12:13], s[6:7], s[10:11]
	s_cselect_b32 s0, -1, 0
	global_load_b128 v[6:9], v0, s[12:13] scale_offset
	s_wait_xcnt 0x0
	s_add_nc_u64 s[12:13], s[2:3], s[10:11]
	s_and_b32 vcc_lo, exec_lo, s0
	global_load_b128 v[2:5], v0, s[12:13] scale_offset
	s_wait_loadcnt 0x1
	v_and_b32_e32 v1, 0xff, v6
	s_cbranch_vccz .LBB244_13
; %bb.4:
	s_mov_b32 s8, 0
	s_wait_xcnt 0x0
	s_mov_b32 s12, exec_lo
	v_cmpx_lt_i16_e32 0x7f, v1
	s_xor_b32 s12, exec_lo, s12
	s_cbranch_execnz .LBB244_325
; %bb.5:
	s_or_saveexec_b32 s12, s12
	v_mov_b32_e32 v10, 0x7f800001
	s_xor_b32 exec_lo, exec_lo, s12
	s_cbranch_execnz .LBB244_328
.LBB244_6:
	s_or_b32 exec_lo, exec_lo, s12
	s_and_saveexec_b32 s12, s8
	s_cbranch_execz .LBB244_8
.LBB244_7:
	v_and_b32_e32 v10, 3, v6
	v_lshrrev_b16 v12, 2, v6
	v_lshlrev_b32_e32 v14, 24, v6
	s_delay_alu instid0(VALU_DEP_3) | instskip(NEXT) | instid1(VALU_DEP_1)
	v_clz_i32_u32_e32 v11, v10
	v_min_u32_e32 v11, 32, v11
	s_delay_alu instid0(VALU_DEP_4) | instskip(NEXT) | instid1(VALU_DEP_2)
	v_and_b32_e32 v12, 31, v12
	v_subrev_nc_u32_e32 v13, 29, v11
	v_sub_nc_u32_e32 v11, 30, v11
	s_delay_alu instid0(VALU_DEP_3) | instskip(NEXT) | instid1(VALU_DEP_3)
	v_cmp_eq_u32_e32 vcc_lo, 0, v12
	v_lshlrev_b32_e32 v13, v13, v6
	s_delay_alu instid0(VALU_DEP_1) | instskip(SKIP_1) | instid1(VALU_DEP_2)
	v_dual_cndmask_b32 v11, v12, v11, vcc_lo :: v_dual_bitop2_b32 v13, 3, v13 bitop3:0x40
	v_and_b32_e32 v12, 0x80000000, v14
	v_cndmask_b32_e32 v10, v10, v13, vcc_lo
	s_delay_alu instid0(VALU_DEP_3) | instskip(NEXT) | instid1(VALU_DEP_2)
	v_lshl_add_u32 v11, v11, 23, 0x37800000
	v_lshlrev_b32_e32 v10, 21, v10
	s_delay_alu instid0(VALU_DEP_1)
	v_or3_b32 v10, v12, v11, v10
.LBB244_8:
	s_or_b32 exec_lo, exec_lo, s12
	s_wait_loadcnt 0x0
	v_and_b32_e32 v12, 0xff, v2
	s_mov_b32 s8, 0
	s_mov_b32 s12, exec_lo
	s_delay_alu instid0(VALU_DEP_1)
	v_cmpx_lt_i16_e32 0x7f, v12
	s_xor_b32 s12, exec_lo, s12
	s_cbranch_execnz .LBB244_329
; %bb.9:
	s_or_saveexec_b32 s12, s12
	v_mov_b32_e32 v11, 0x7f800001
	s_xor_b32 exec_lo, exec_lo, s12
	s_cbranch_execnz .LBB244_332
.LBB244_10:
	s_or_b32 exec_lo, exec_lo, s12
	s_and_saveexec_b32 s12, s8
	s_cbranch_execz .LBB244_12
.LBB244_11:
	v_and_b32_e32 v11, 3, v2
	v_lshrrev_b16 v13, 2, v2
	s_delay_alu instid0(VALU_DEP_2) | instskip(NEXT) | instid1(VALU_DEP_1)
	v_clz_i32_u32_e32 v12, v11
	v_min_u32_e32 v12, 32, v12
	s_delay_alu instid0(VALU_DEP_3) | instskip(NEXT) | instid1(VALU_DEP_2)
	v_and_b32_e32 v13, 31, v13
	v_subrev_nc_u32_e32 v14, 29, v12
	v_sub_nc_u32_e32 v12, 30, v12
	s_delay_alu instid0(VALU_DEP_3) | instskip(NEXT) | instid1(VALU_DEP_2)
	v_cmp_eq_u32_e32 vcc_lo, 0, v13
	v_dual_lshlrev_b32 v14, v14, v2 :: v_dual_cndmask_b32 v12, v13, v12, vcc_lo
	s_delay_alu instid0(VALU_DEP_1) | instskip(NEXT) | instid1(VALU_DEP_2)
	v_and_b32_e32 v14, 3, v14
	v_lshl_add_u32 v12, v12, 23, 0x37800000
	s_delay_alu instid0(VALU_DEP_2) | instskip(NEXT) | instid1(VALU_DEP_1)
	v_cndmask_b32_e32 v11, v11, v14, vcc_lo
	v_dual_lshlrev_b32 v15, 24, v2 :: v_dual_lshlrev_b32 v11, 21, v11
	s_delay_alu instid0(VALU_DEP_1) | instskip(NEXT) | instid1(VALU_DEP_1)
	v_and_b32_e32 v13, 0x80000000, v15
	v_or3_b32 v11, v13, v12, v11
.LBB244_12:
	s_or_b32 exec_lo, exec_lo, s12
	s_delay_alu instid0(VALU_DEP_1)
	v_cmp_neq_f32_e64 s8, v10, v11
	s_branch .LBB244_23
.LBB244_13:
	s_wait_xcnt 0x0
                                        ; implicit-def: $sgpr8
	s_cbranch_execz .LBB244_23
; %bb.14:
	s_mov_b32 s8, 0
	s_mov_b32 s12, exec_lo
	v_cmpx_lt_i16_e32 0x7f, v1
	s_xor_b32 s12, exec_lo, s12
	s_cbranch_execnz .LBB244_453
; %bb.15:
	s_or_saveexec_b32 s12, s12
	v_mov_b32_e32 v10, 0x7f800001
	s_xor_b32 exec_lo, exec_lo, s12
	s_cbranch_execnz .LBB244_456
.LBB244_16:
	s_or_b32 exec_lo, exec_lo, s12
	s_and_saveexec_b32 s12, s8
	s_cbranch_execz .LBB244_18
.LBB244_17:
	v_and_b32_e32 v1, 3, v6
	v_lshrrev_b16 v11, 2, v6
	v_lshlrev_b32_e32 v13, 24, v6
	s_delay_alu instid0(VALU_DEP_3) | instskip(NEXT) | instid1(VALU_DEP_1)
	v_clz_i32_u32_e32 v10, v1
	v_min_u32_e32 v10, 32, v10
	s_delay_alu instid0(VALU_DEP_4) | instskip(NEXT) | instid1(VALU_DEP_2)
	v_and_b32_e32 v11, 31, v11
	v_subrev_nc_u32_e32 v12, 29, v10
	v_sub_nc_u32_e32 v10, 30, v10
	s_delay_alu instid0(VALU_DEP_3) | instskip(NEXT) | instid1(VALU_DEP_3)
	v_cmp_eq_u32_e32 vcc_lo, 0, v11
	v_lshlrev_b32_e32 v12, v12, v6
	s_delay_alu instid0(VALU_DEP_1) | instskip(SKIP_1) | instid1(VALU_DEP_2)
	v_dual_cndmask_b32 v10, v11, v10, vcc_lo :: v_dual_bitop2_b32 v12, 3, v12 bitop3:0x40
	v_and_b32_e32 v11, 0x80000000, v13
	v_cndmask_b32_e32 v1, v1, v12, vcc_lo
	s_delay_alu instid0(VALU_DEP_3) | instskip(NEXT) | instid1(VALU_DEP_2)
	v_lshl_add_u32 v10, v10, 23, 0x37800000
	v_lshlrev_b32_e32 v1, 21, v1
	s_delay_alu instid0(VALU_DEP_1)
	v_or3_b32 v10, v11, v10, v1
.LBB244_18:
	s_or_b32 exec_lo, exec_lo, s12
	s_wait_loadcnt 0x0
	v_and_b32_e32 v11, 0xff, v2
	s_mov_b32 s8, 0
	s_mov_b32 s12, exec_lo
	s_delay_alu instid0(VALU_DEP_1)
	v_cmpx_lt_i16_e32 0x7f, v11
	s_xor_b32 s12, exec_lo, s12
	s_cbranch_execnz .LBB244_457
; %bb.19:
	s_or_saveexec_b32 s12, s12
	v_mov_b32_e32 v1, 0x7f800001
	s_xor_b32 exec_lo, exec_lo, s12
	s_cbranch_execnz .LBB244_460
.LBB244_20:
	s_or_b32 exec_lo, exec_lo, s12
	s_and_saveexec_b32 s12, s8
	s_cbranch_execz .LBB244_22
.LBB244_21:
	v_and_b32_e32 v1, 3, v2
	v_lshrrev_b16 v12, 2, v2
	v_lshlrev_b32_e32 v14, 24, v2
	s_delay_alu instid0(VALU_DEP_3) | instskip(NEXT) | instid1(VALU_DEP_1)
	v_clz_i32_u32_e32 v11, v1
	v_min_u32_e32 v11, 32, v11
	s_delay_alu instid0(VALU_DEP_4) | instskip(NEXT) | instid1(VALU_DEP_2)
	v_and_b32_e32 v12, 31, v12
	v_subrev_nc_u32_e32 v13, 29, v11
	v_sub_nc_u32_e32 v11, 30, v11
	s_delay_alu instid0(VALU_DEP_3) | instskip(NEXT) | instid1(VALU_DEP_3)
	v_cmp_eq_u32_e32 vcc_lo, 0, v12
	v_lshlrev_b32_e32 v13, v13, v2
	s_delay_alu instid0(VALU_DEP_1) | instskip(SKIP_1) | instid1(VALU_DEP_2)
	v_dual_cndmask_b32 v11, v12, v11, vcc_lo :: v_dual_bitop2_b32 v13, 3, v13 bitop3:0x40
	v_and_b32_e32 v12, 0x80000000, v14
	v_cndmask_b32_e32 v1, v1, v13, vcc_lo
	s_delay_alu instid0(VALU_DEP_3) | instskip(NEXT) | instid1(VALU_DEP_2)
	v_lshl_add_u32 v11, v11, 23, 0x37800000
	v_lshlrev_b32_e32 v1, 21, v1
	s_delay_alu instid0(VALU_DEP_1)
	v_or3_b32 v1, v12, v11, v1
.LBB244_22:
	s_or_b32 exec_lo, exec_lo, s12
	s_delay_alu instid0(VALU_DEP_1)
	v_cmp_eq_f32_e64 s8, v10, v1
.LBB244_23:
	v_dual_lshrrev_b32 v29, 16, v6 :: v_dual_lshrrev_b32 v31, 8, v6
	v_dual_lshrrev_b32 v10, 24, v9 :: v_dual_lshrrev_b32 v11, 16, v9
	;; [unrolled: 1-line block ×6, first 2 shown]
	s_wait_loadcnt 0x0
	v_dual_lshrrev_b32 v1, 24, v5 :: v_dual_lshrrev_b32 v6, 16, v5
	v_dual_lshrrev_b32 v12, 8, v5 :: v_dual_lshrrev_b32 v14, 24, v4
	;; [unrolled: 1-line block ×6, first 2 shown]
	v_cndmask_b32_e64 v2, 0, 1, s0
	v_and_b32_e32 v32, 0xff, v31
	s_and_not1_b32 vcc_lo, exec_lo, s0
	s_cbranch_vccnz .LBB244_173
; %bb.24:
	s_mov_b32 s0, 0
	s_mov_b32 s12, exec_lo
	v_cmpx_lt_i16_e32 0x7f, v32
	s_xor_b32 s12, exec_lo, s12
	s_cbranch_execnz .LBB244_333
; %bb.25:
	s_or_saveexec_b32 s12, s12
	v_mov_b32_e32 v33, 0x7f800001
	s_xor_b32 exec_lo, exec_lo, s12
	s_cbranch_execnz .LBB244_336
.LBB244_26:
	s_or_b32 exec_lo, exec_lo, s12
	s_and_saveexec_b32 s12, s0
	s_cbranch_execz .LBB244_28
.LBB244_27:
	v_and_b32_e32 v33, 3, v31
	v_lshrrev_b16 v35, 2, v31
	v_lshlrev_b32_e32 v37, 24, v31
	s_delay_alu instid0(VALU_DEP_3) | instskip(NEXT) | instid1(VALU_DEP_1)
	v_clz_i32_u32_e32 v34, v33
	v_min_u32_e32 v34, 32, v34
	s_delay_alu instid0(VALU_DEP_4) | instskip(NEXT) | instid1(VALU_DEP_2)
	v_and_b32_e32 v35, 31, v35
	v_subrev_nc_u32_e32 v36, 29, v34
	v_sub_nc_u32_e32 v34, 30, v34
	s_delay_alu instid0(VALU_DEP_3) | instskip(NEXT) | instid1(VALU_DEP_3)
	v_cmp_eq_u32_e32 vcc_lo, 0, v35
	v_lshlrev_b32_e32 v36, v36, v31
	s_delay_alu instid0(VALU_DEP_1) | instskip(SKIP_1) | instid1(VALU_DEP_2)
	v_dual_cndmask_b32 v34, v35, v34, vcc_lo :: v_dual_bitop2_b32 v36, 3, v36 bitop3:0x40
	v_and_b32_e32 v35, 0x80000000, v37
	v_cndmask_b32_e32 v33, v33, v36, vcc_lo
	s_delay_alu instid0(VALU_DEP_3) | instskip(NEXT) | instid1(VALU_DEP_2)
	v_lshl_add_u32 v34, v34, 23, 0x37800000
	v_lshlrev_b32_e32 v33, 21, v33
	s_delay_alu instid0(VALU_DEP_1)
	v_or3_b32 v33, v35, v34, v33
.LBB244_28:
	s_or_b32 exec_lo, exec_lo, s12
	v_and_b32_e32 v35, 0xff, v30
	s_mov_b32 s0, 0
	s_mov_b32 s12, exec_lo
	s_delay_alu instid0(VALU_DEP_1)
	v_cmpx_lt_i16_e32 0x7f, v35
	s_xor_b32 s12, exec_lo, s12
	s_cbranch_execnz .LBB244_337
; %bb.29:
	s_or_saveexec_b32 s12, s12
	v_mov_b32_e32 v34, 0x7f800001
	s_xor_b32 exec_lo, exec_lo, s12
	s_cbranch_execnz .LBB244_340
.LBB244_30:
	s_or_b32 exec_lo, exec_lo, s12
	s_and_saveexec_b32 s12, s0
	s_cbranch_execz .LBB244_32
.LBB244_31:
	v_and_b32_e32 v34, 3, v30
	v_lshrrev_b16 v36, 2, v30
	v_lshlrev_b32_e32 v38, 24, v30
	s_delay_alu instid0(VALU_DEP_3) | instskip(NEXT) | instid1(VALU_DEP_1)
	v_clz_i32_u32_e32 v35, v34
	v_min_u32_e32 v35, 32, v35
	s_delay_alu instid0(VALU_DEP_4) | instskip(NEXT) | instid1(VALU_DEP_2)
	v_and_b32_e32 v36, 31, v36
	v_subrev_nc_u32_e32 v37, 29, v35
	v_sub_nc_u32_e32 v35, 30, v35
	s_delay_alu instid0(VALU_DEP_3) | instskip(NEXT) | instid1(VALU_DEP_3)
	v_cmp_eq_u32_e32 vcc_lo, 0, v36
	v_lshlrev_b32_e32 v37, v37, v30
	s_delay_alu instid0(VALU_DEP_1) | instskip(SKIP_1) | instid1(VALU_DEP_2)
	v_dual_cndmask_b32 v35, v36, v35, vcc_lo :: v_dual_bitop2_b32 v37, 3, v37 bitop3:0x40
	v_and_b32_e32 v36, 0x80000000, v38
	v_cndmask_b32_e32 v34, v34, v37, vcc_lo
	s_delay_alu instid0(VALU_DEP_3) | instskip(NEXT) | instid1(VALU_DEP_2)
	v_lshl_add_u32 v35, v35, 23, 0x37800000
	v_lshlrev_b32_e32 v34, 21, v34
	s_delay_alu instid0(VALU_DEP_1)
	v_or3_b32 v34, v36, v35, v34
.LBB244_32:
	s_or_b32 exec_lo, exec_lo, s12
	s_delay_alu instid0(VALU_DEP_1)
	v_cmp_neq_f32_e64 s12, v33, v34
.LBB244_33:
	v_cmp_ne_u32_e32 vcc_lo, 1, v2
	v_and_b32_e32 v30, 0xff, v29
	s_cbranch_vccnz .LBB244_183
.LBB244_34:
	s_mov_b32 s0, 0
	s_mov_b32 s13, exec_lo
	s_delay_alu instid0(VALU_DEP_1)
	v_cmpx_lt_i16_e32 0x7f, v30
	s_xor_b32 s13, exec_lo, s13
	s_cbranch_execnz .LBB244_341
; %bb.35:
	s_or_saveexec_b32 s13, s13
	v_mov_b32_e32 v31, 0x7f800001
	s_xor_b32 exec_lo, exec_lo, s13
	s_cbranch_execnz .LBB244_344
.LBB244_36:
	s_or_b32 exec_lo, exec_lo, s13
	s_and_saveexec_b32 s13, s0
	s_cbranch_execz .LBB244_38
.LBB244_37:
	v_and_b32_e32 v31, 3, v29
	v_lshrrev_b16 v33, 2, v29
	v_lshlrev_b32_e32 v35, 24, v29
	s_delay_alu instid0(VALU_DEP_3) | instskip(NEXT) | instid1(VALU_DEP_1)
	v_clz_i32_u32_e32 v32, v31
	v_min_u32_e32 v32, 32, v32
	s_delay_alu instid0(VALU_DEP_4) | instskip(NEXT) | instid1(VALU_DEP_2)
	v_and_b32_e32 v33, 31, v33
	v_subrev_nc_u32_e32 v34, 29, v32
	v_sub_nc_u32_e32 v32, 30, v32
	s_delay_alu instid0(VALU_DEP_3) | instskip(NEXT) | instid1(VALU_DEP_3)
	v_cmp_eq_u32_e32 vcc_lo, 0, v33
	v_lshlrev_b32_e32 v34, v34, v29
	s_delay_alu instid0(VALU_DEP_1) | instskip(SKIP_1) | instid1(VALU_DEP_2)
	v_dual_cndmask_b32 v32, v33, v32, vcc_lo :: v_dual_bitop2_b32 v34, 3, v34 bitop3:0x40
	v_and_b32_e32 v33, 0x80000000, v35
	v_cndmask_b32_e32 v31, v31, v34, vcc_lo
	s_delay_alu instid0(VALU_DEP_3) | instskip(NEXT) | instid1(VALU_DEP_2)
	v_lshl_add_u32 v32, v32, 23, 0x37800000
	v_lshlrev_b32_e32 v31, 21, v31
	s_delay_alu instid0(VALU_DEP_1)
	v_or3_b32 v31, v33, v32, v31
.LBB244_38:
	s_or_b32 exec_lo, exec_lo, s13
	v_and_b32_e32 v33, 0xff, v28
	s_mov_b32 s0, 0
	s_mov_b32 s13, exec_lo
	s_delay_alu instid0(VALU_DEP_1)
	v_cmpx_lt_i16_e32 0x7f, v33
	s_xor_b32 s13, exec_lo, s13
	s_cbranch_execnz .LBB244_345
; %bb.39:
	s_or_saveexec_b32 s13, s13
	v_mov_b32_e32 v32, 0x7f800001
	s_xor_b32 exec_lo, exec_lo, s13
	s_cbranch_execnz .LBB244_348
.LBB244_40:
	s_or_b32 exec_lo, exec_lo, s13
	s_and_saveexec_b32 s13, s0
	s_cbranch_execz .LBB244_42
.LBB244_41:
	v_and_b32_e32 v32, 3, v28
	v_lshrrev_b16 v34, 2, v28
	v_lshlrev_b32_e32 v36, 24, v28
	s_delay_alu instid0(VALU_DEP_3) | instskip(NEXT) | instid1(VALU_DEP_1)
	v_clz_i32_u32_e32 v33, v32
	v_min_u32_e32 v33, 32, v33
	s_delay_alu instid0(VALU_DEP_4) | instskip(NEXT) | instid1(VALU_DEP_2)
	v_and_b32_e32 v34, 31, v34
	v_subrev_nc_u32_e32 v35, 29, v33
	v_sub_nc_u32_e32 v33, 30, v33
	s_delay_alu instid0(VALU_DEP_3) | instskip(NEXT) | instid1(VALU_DEP_3)
	v_cmp_eq_u32_e32 vcc_lo, 0, v34
	v_lshlrev_b32_e32 v35, v35, v28
	s_delay_alu instid0(VALU_DEP_1) | instskip(SKIP_1) | instid1(VALU_DEP_2)
	v_dual_cndmask_b32 v33, v34, v33, vcc_lo :: v_dual_bitop2_b32 v35, 3, v35 bitop3:0x40
	v_and_b32_e32 v34, 0x80000000, v36
	v_cndmask_b32_e32 v32, v32, v35, vcc_lo
	s_delay_alu instid0(VALU_DEP_3) | instskip(NEXT) | instid1(VALU_DEP_2)
	v_lshl_add_u32 v33, v33, 23, 0x37800000
	v_lshlrev_b32_e32 v32, 21, v32
	s_delay_alu instid0(VALU_DEP_1)
	v_or3_b32 v32, v34, v33, v32
.LBB244_42:
	s_or_b32 exec_lo, exec_lo, s13
	s_delay_alu instid0(VALU_DEP_1)
	v_cmp_neq_f32_e64 s13, v31, v32
.LBB244_43:
	v_cmp_ne_u32_e32 vcc_lo, 1, v2
	v_cmp_lt_i16_e64 s0, 0x7f, v27
	s_cbranch_vccnz .LBB244_193
.LBB244_44:
	s_mov_b32 s14, 0
	s_and_saveexec_b32 s15, s0
	s_delay_alu instid0(SALU_CYCLE_1)
	s_xor_b32 s0, exec_lo, s15
	s_cbranch_execnz .LBB244_349
; %bb.45:
	s_or_saveexec_b32 s0, s0
	v_mov_b32_e32 v28, 0x7f800001
	s_xor_b32 exec_lo, exec_lo, s0
	s_cbranch_execnz .LBB244_352
.LBB244_46:
	s_or_b32 exec_lo, exec_lo, s0
	s_and_saveexec_b32 s0, s14
	s_cbranch_execz .LBB244_48
.LBB244_47:
	v_and_b32_e32 v28, 0xffff, v27
	s_delay_alu instid0(VALU_DEP_1) | instskip(SKIP_1) | instid1(VALU_DEP_2)
	v_and_b32_e32 v29, 3, v28
	v_bfe_u32 v32, v28, 2, 5
	v_clz_i32_u32_e32 v30, v29
	s_delay_alu instid0(VALU_DEP_2) | instskip(NEXT) | instid1(VALU_DEP_2)
	v_cmp_eq_u32_e32 vcc_lo, 0, v32
	v_min_u32_e32 v30, 32, v30
	s_delay_alu instid0(VALU_DEP_1) | instskip(NEXT) | instid1(VALU_DEP_1)
	v_subrev_nc_u32_e32 v31, 29, v30
	v_dual_lshlrev_b32 v28, v31, v28 :: v_dual_sub_nc_u32 v30, 30, v30
	s_delay_alu instid0(VALU_DEP_1) | instskip(NEXT) | instid1(VALU_DEP_1)
	v_dual_lshlrev_b32 v31, 24, v27 :: v_dual_bitop2_b32 v28, 3, v28 bitop3:0x40
	v_dual_cndmask_b32 v30, v32, v30, vcc_lo :: v_dual_cndmask_b32 v28, v29, v28, vcc_lo
	s_delay_alu instid0(VALU_DEP_2) | instskip(NEXT) | instid1(VALU_DEP_2)
	v_and_b32_e32 v29, 0x80000000, v31
	v_lshl_add_u32 v30, v30, 23, 0x37800000
	s_delay_alu instid0(VALU_DEP_3) | instskip(NEXT) | instid1(VALU_DEP_1)
	v_lshlrev_b32_e32 v28, 21, v28
	v_or3_b32 v28, v29, v30, v28
.LBB244_48:
	s_or_b32 exec_lo, exec_lo, s0
	s_mov_b32 s0, 0
	s_mov_b32 s14, exec_lo
	v_cmpx_lt_i16_e32 0x7f, v26
	s_xor_b32 s14, exec_lo, s14
	s_cbranch_execnz .LBB244_353
; %bb.49:
	s_or_saveexec_b32 s14, s14
	v_mov_b32_e32 v29, 0x7f800001
	s_xor_b32 exec_lo, exec_lo, s14
	s_cbranch_execnz .LBB244_356
.LBB244_50:
	s_or_b32 exec_lo, exec_lo, s14
	s_and_saveexec_b32 s14, s0
	s_cbranch_execz .LBB244_52
.LBB244_51:
	v_and_b32_e32 v29, 0xffff, v26
	s_delay_alu instid0(VALU_DEP_1) | instskip(SKIP_1) | instid1(VALU_DEP_2)
	v_and_b32_e32 v30, 3, v29
	v_bfe_u32 v33, v29, 2, 5
	v_clz_i32_u32_e32 v31, v30
	s_delay_alu instid0(VALU_DEP_2) | instskip(NEXT) | instid1(VALU_DEP_2)
	v_cmp_eq_u32_e32 vcc_lo, 0, v33
	v_min_u32_e32 v31, 32, v31
	s_delay_alu instid0(VALU_DEP_1) | instskip(NEXT) | instid1(VALU_DEP_1)
	v_subrev_nc_u32_e32 v32, 29, v31
	v_dual_lshlrev_b32 v29, v32, v29 :: v_dual_sub_nc_u32 v31, 30, v31
	s_delay_alu instid0(VALU_DEP_1) | instskip(NEXT) | instid1(VALU_DEP_1)
	v_dual_lshlrev_b32 v32, 24, v26 :: v_dual_bitop2_b32 v29, 3, v29 bitop3:0x40
	v_dual_cndmask_b32 v31, v33, v31, vcc_lo :: v_dual_cndmask_b32 v29, v30, v29, vcc_lo
	s_delay_alu instid0(VALU_DEP_2) | instskip(NEXT) | instid1(VALU_DEP_2)
	v_and_b32_e32 v30, 0x80000000, v32
	v_lshl_add_u32 v31, v31, 23, 0x37800000
	s_delay_alu instid0(VALU_DEP_3) | instskip(NEXT) | instid1(VALU_DEP_1)
	v_lshlrev_b32_e32 v29, 21, v29
	v_or3_b32 v29, v30, v31, v29
.LBB244_52:
	s_or_b32 exec_lo, exec_lo, s14
	s_delay_alu instid0(VALU_DEP_1)
	v_cmp_neq_f32_e64 s14, v28, v29
.LBB244_53:
	v_cmp_ne_u32_e32 vcc_lo, 1, v2
	v_and_b32_e32 v26, 0xff, v7
	s_cbranch_vccnz .LBB244_203
.LBB244_54:
	s_mov_b32 s0, 0
	s_mov_b32 s15, exec_lo
	s_delay_alu instid0(VALU_DEP_1)
	v_cmpx_lt_i16_e32 0x7f, v26
	s_xor_b32 s15, exec_lo, s15
	s_cbranch_execnz .LBB244_357
; %bb.55:
	s_or_saveexec_b32 s15, s15
	v_mov_b32_e32 v27, 0x7f800001
	s_xor_b32 exec_lo, exec_lo, s15
	s_cbranch_execnz .LBB244_360
.LBB244_56:
	s_or_b32 exec_lo, exec_lo, s15
	s_and_saveexec_b32 s15, s0
	s_cbranch_execz .LBB244_58
.LBB244_57:
	v_and_b32_e32 v27, 3, v7
	v_lshrrev_b16 v29, 2, v7
	v_lshlrev_b32_e32 v31, 24, v7
	s_delay_alu instid0(VALU_DEP_3) | instskip(NEXT) | instid1(VALU_DEP_1)
	v_clz_i32_u32_e32 v28, v27
	v_min_u32_e32 v28, 32, v28
	s_delay_alu instid0(VALU_DEP_4) | instskip(NEXT) | instid1(VALU_DEP_2)
	v_and_b32_e32 v29, 31, v29
	v_subrev_nc_u32_e32 v30, 29, v28
	v_sub_nc_u32_e32 v28, 30, v28
	s_delay_alu instid0(VALU_DEP_3) | instskip(NEXT) | instid1(VALU_DEP_3)
	v_cmp_eq_u32_e32 vcc_lo, 0, v29
	v_lshlrev_b32_e32 v30, v30, v7
	s_delay_alu instid0(VALU_DEP_1) | instskip(SKIP_1) | instid1(VALU_DEP_2)
	v_dual_cndmask_b32 v28, v29, v28, vcc_lo :: v_dual_bitop2_b32 v30, 3, v30 bitop3:0x40
	v_and_b32_e32 v29, 0x80000000, v31
	v_cndmask_b32_e32 v27, v27, v30, vcc_lo
	s_delay_alu instid0(VALU_DEP_3) | instskip(NEXT) | instid1(VALU_DEP_2)
	v_lshl_add_u32 v28, v28, 23, 0x37800000
	v_lshlrev_b32_e32 v27, 21, v27
	s_delay_alu instid0(VALU_DEP_1)
	v_or3_b32 v27, v29, v28, v27
.LBB244_58:
	s_or_b32 exec_lo, exec_lo, s15
	v_and_b32_e32 v29, 0xff, v3
	s_mov_b32 s0, 0
	s_mov_b32 s15, exec_lo
	s_delay_alu instid0(VALU_DEP_1)
	v_cmpx_lt_i16_e32 0x7f, v29
	s_xor_b32 s15, exec_lo, s15
	s_cbranch_execnz .LBB244_361
; %bb.59:
	s_or_saveexec_b32 s15, s15
	v_mov_b32_e32 v28, 0x7f800001
	s_xor_b32 exec_lo, exec_lo, s15
	s_cbranch_execnz .LBB244_364
.LBB244_60:
	s_or_b32 exec_lo, exec_lo, s15
	s_and_saveexec_b32 s15, s0
	s_cbranch_execz .LBB244_62
.LBB244_61:
	v_and_b32_e32 v28, 3, v3
	v_lshrrev_b16 v30, 2, v3
	s_delay_alu instid0(VALU_DEP_2) | instskip(NEXT) | instid1(VALU_DEP_1)
	v_clz_i32_u32_e32 v29, v28
	v_min_u32_e32 v29, 32, v29
	s_delay_alu instid0(VALU_DEP_3) | instskip(NEXT) | instid1(VALU_DEP_2)
	v_and_b32_e32 v30, 31, v30
	v_subrev_nc_u32_e32 v31, 29, v29
	v_sub_nc_u32_e32 v29, 30, v29
	s_delay_alu instid0(VALU_DEP_3) | instskip(NEXT) | instid1(VALU_DEP_2)
	v_cmp_eq_u32_e32 vcc_lo, 0, v30
	v_dual_lshlrev_b32 v31, v31, v3 :: v_dual_cndmask_b32 v29, v30, v29, vcc_lo
	s_delay_alu instid0(VALU_DEP_1) | instskip(NEXT) | instid1(VALU_DEP_2)
	v_and_b32_e32 v31, 3, v31
	v_lshl_add_u32 v29, v29, 23, 0x37800000
	s_delay_alu instid0(VALU_DEP_2) | instskip(NEXT) | instid1(VALU_DEP_1)
	v_cndmask_b32_e32 v28, v28, v31, vcc_lo
	v_dual_lshlrev_b32 v32, 24, v3 :: v_dual_lshlrev_b32 v28, 21, v28
	s_delay_alu instid0(VALU_DEP_1) | instskip(NEXT) | instid1(VALU_DEP_1)
	v_and_b32_e32 v30, 0x80000000, v32
	v_or3_b32 v28, v30, v29, v28
.LBB244_62:
	s_or_b32 exec_lo, exec_lo, s15
	s_delay_alu instid0(VALU_DEP_1)
	v_cmp_neq_f32_e64 s15, v27, v28
.LBB244_63:
	v_cmp_ne_u32_e32 vcc_lo, 1, v2
	v_and_b32_e32 v3, 0xff, v25
	s_cbranch_vccnz .LBB244_213
.LBB244_64:
	s_mov_b32 s0, 0
	s_mov_b32 s16, exec_lo
	s_delay_alu instid0(VALU_DEP_1)
	v_cmpx_lt_i16_e32 0x7f, v3
	s_xor_b32 s16, exec_lo, s16
	s_cbranch_execnz .LBB244_365
; %bb.65:
	s_or_saveexec_b32 s16, s16
	v_mov_b32_e32 v7, 0x7f800001
	s_xor_b32 exec_lo, exec_lo, s16
	s_cbranch_execnz .LBB244_368
.LBB244_66:
	s_or_b32 exec_lo, exec_lo, s16
	s_and_saveexec_b32 s16, s0
	s_cbranch_execz .LBB244_68
.LBB244_67:
	v_and_b32_e32 v7, 3, v25
	v_lshrrev_b16 v27, 2, v25
	v_lshlrev_b32_e32 v29, 24, v25
	s_delay_alu instid0(VALU_DEP_3) | instskip(NEXT) | instid1(VALU_DEP_1)
	v_clz_i32_u32_e32 v26, v7
	v_min_u32_e32 v26, 32, v26
	s_delay_alu instid0(VALU_DEP_4) | instskip(NEXT) | instid1(VALU_DEP_2)
	v_and_b32_e32 v27, 31, v27
	v_subrev_nc_u32_e32 v28, 29, v26
	v_sub_nc_u32_e32 v26, 30, v26
	s_delay_alu instid0(VALU_DEP_3) | instskip(NEXT) | instid1(VALU_DEP_3)
	v_cmp_eq_u32_e32 vcc_lo, 0, v27
	v_lshlrev_b32_e32 v28, v28, v25
	s_delay_alu instid0(VALU_DEP_1) | instskip(NEXT) | instid1(VALU_DEP_1)
	v_and_b32_e32 v28, 3, v28
	v_cndmask_b32_e32 v7, v7, v28, vcc_lo
	v_cndmask_b32_e32 v26, v27, v26, vcc_lo
	v_and_b32_e32 v27, 0x80000000, v29
	s_delay_alu instid0(VALU_DEP_3) | instskip(NEXT) | instid1(VALU_DEP_3)
	v_lshlrev_b32_e32 v7, 21, v7
	v_lshl_add_u32 v26, v26, 23, 0x37800000
	s_delay_alu instid0(VALU_DEP_1)
	v_or3_b32 v7, v27, v26, v7
.LBB244_68:
	s_or_b32 exec_lo, exec_lo, s16
	v_and_b32_e32 v27, 0xff, v24
	s_mov_b32 s0, 0
	s_mov_b32 s16, exec_lo
	s_delay_alu instid0(VALU_DEP_1)
	v_cmpx_lt_i16_e32 0x7f, v27
	s_xor_b32 s16, exec_lo, s16
	s_cbranch_execnz .LBB244_369
; %bb.69:
	s_or_saveexec_b32 s16, s16
	v_mov_b32_e32 v26, 0x7f800001
	s_xor_b32 exec_lo, exec_lo, s16
	s_cbranch_execnz .LBB244_372
.LBB244_70:
	s_or_b32 exec_lo, exec_lo, s16
	s_and_saveexec_b32 s16, s0
	s_cbranch_execz .LBB244_72
.LBB244_71:
	v_and_b32_e32 v26, 3, v24
	v_lshrrev_b16 v28, 2, v24
	v_lshlrev_b32_e32 v30, 24, v24
	s_delay_alu instid0(VALU_DEP_3) | instskip(NEXT) | instid1(VALU_DEP_1)
	v_clz_i32_u32_e32 v27, v26
	v_min_u32_e32 v27, 32, v27
	s_delay_alu instid0(VALU_DEP_4) | instskip(NEXT) | instid1(VALU_DEP_2)
	v_and_b32_e32 v28, 31, v28
	v_subrev_nc_u32_e32 v29, 29, v27
	v_sub_nc_u32_e32 v27, 30, v27
	s_delay_alu instid0(VALU_DEP_3) | instskip(NEXT) | instid1(VALU_DEP_3)
	v_cmp_eq_u32_e32 vcc_lo, 0, v28
	v_lshlrev_b32_e32 v29, v29, v24
	s_delay_alu instid0(VALU_DEP_1) | instskip(SKIP_1) | instid1(VALU_DEP_2)
	v_dual_cndmask_b32 v27, v28, v27, vcc_lo :: v_dual_bitop2_b32 v29, 3, v29 bitop3:0x40
	v_and_b32_e32 v28, 0x80000000, v30
	v_cndmask_b32_e32 v26, v26, v29, vcc_lo
	s_delay_alu instid0(VALU_DEP_3) | instskip(NEXT) | instid1(VALU_DEP_2)
	v_lshl_add_u32 v27, v27, 23, 0x37800000
	v_lshlrev_b32_e32 v26, 21, v26
	s_delay_alu instid0(VALU_DEP_1)
	v_or3_b32 v26, v28, v27, v26
.LBB244_72:
	s_or_b32 exec_lo, exec_lo, s16
	s_delay_alu instid0(VALU_DEP_1)
	v_cmp_neq_f32_e64 s16, v7, v26
.LBB244_73:
	v_cmp_ne_u32_e32 vcc_lo, 1, v2
	v_and_b32_e32 v3, 0xff, v23
	s_cbranch_vccnz .LBB244_223
.LBB244_74:
	s_mov_b32 s0, 0
	s_mov_b32 s17, exec_lo
	s_delay_alu instid0(VALU_DEP_1)
	v_cmpx_lt_i16_e32 0x7f, v3
	s_xor_b32 s17, exec_lo, s17
	s_cbranch_execnz .LBB244_373
; %bb.75:
	s_or_saveexec_b32 s17, s17
	v_mov_b32_e32 v7, 0x7f800001
	s_xor_b32 exec_lo, exec_lo, s17
	s_cbranch_execnz .LBB244_376
.LBB244_76:
	s_or_b32 exec_lo, exec_lo, s17
	s_and_saveexec_b32 s17, s0
	s_cbranch_execz .LBB244_78
.LBB244_77:
	v_and_b32_e32 v7, 3, v23
	v_lshrrev_b16 v25, 2, v23
	v_lshlrev_b32_e32 v27, 24, v23
	s_delay_alu instid0(VALU_DEP_3) | instskip(NEXT) | instid1(VALU_DEP_1)
	v_clz_i32_u32_e32 v24, v7
	v_min_u32_e32 v24, 32, v24
	s_delay_alu instid0(VALU_DEP_4) | instskip(NEXT) | instid1(VALU_DEP_2)
	v_and_b32_e32 v25, 31, v25
	v_subrev_nc_u32_e32 v26, 29, v24
	v_sub_nc_u32_e32 v24, 30, v24
	s_delay_alu instid0(VALU_DEP_3) | instskip(NEXT) | instid1(VALU_DEP_3)
	v_cmp_eq_u32_e32 vcc_lo, 0, v25
	v_lshlrev_b32_e32 v26, v26, v23
	s_delay_alu instid0(VALU_DEP_1) | instskip(SKIP_1) | instid1(VALU_DEP_2)
	v_dual_cndmask_b32 v24, v25, v24, vcc_lo :: v_dual_bitop2_b32 v26, 3, v26 bitop3:0x40
	v_and_b32_e32 v25, 0x80000000, v27
	v_cndmask_b32_e32 v7, v7, v26, vcc_lo
	s_delay_alu instid0(VALU_DEP_3) | instskip(NEXT) | instid1(VALU_DEP_2)
	v_lshl_add_u32 v24, v24, 23, 0x37800000
	v_lshlrev_b32_e32 v7, 21, v7
	s_delay_alu instid0(VALU_DEP_1)
	v_or3_b32 v7, v25, v24, v7
.LBB244_78:
	s_or_b32 exec_lo, exec_lo, s17
	v_and_b32_e32 v25, 0xff, v22
	s_mov_b32 s0, 0
	s_mov_b32 s17, exec_lo
	s_delay_alu instid0(VALU_DEP_1)
	v_cmpx_lt_i16_e32 0x7f, v25
	s_xor_b32 s17, exec_lo, s17
	s_cbranch_execnz .LBB244_377
; %bb.79:
	s_or_saveexec_b32 s17, s17
	v_mov_b32_e32 v24, 0x7f800001
	s_xor_b32 exec_lo, exec_lo, s17
	s_cbranch_execnz .LBB244_380
.LBB244_80:
	s_or_b32 exec_lo, exec_lo, s17
	s_and_saveexec_b32 s17, s0
	s_cbranch_execz .LBB244_82
.LBB244_81:
	v_and_b32_e32 v24, 3, v22
	v_lshrrev_b16 v26, 2, v22
	v_lshlrev_b32_e32 v28, 24, v22
	s_delay_alu instid0(VALU_DEP_3) | instskip(NEXT) | instid1(VALU_DEP_1)
	v_clz_i32_u32_e32 v25, v24
	v_min_u32_e32 v25, 32, v25
	s_delay_alu instid0(VALU_DEP_4) | instskip(NEXT) | instid1(VALU_DEP_2)
	v_and_b32_e32 v26, 31, v26
	v_subrev_nc_u32_e32 v27, 29, v25
	v_sub_nc_u32_e32 v25, 30, v25
	s_delay_alu instid0(VALU_DEP_3) | instskip(NEXT) | instid1(VALU_DEP_3)
	v_cmp_eq_u32_e32 vcc_lo, 0, v26
	v_lshlrev_b32_e32 v27, v27, v22
	s_delay_alu instid0(VALU_DEP_1) | instskip(SKIP_1) | instid1(VALU_DEP_2)
	v_dual_cndmask_b32 v25, v26, v25, vcc_lo :: v_dual_bitop2_b32 v27, 3, v27 bitop3:0x40
	v_and_b32_e32 v26, 0x80000000, v28
	v_cndmask_b32_e32 v24, v24, v27, vcc_lo
	s_delay_alu instid0(VALU_DEP_3) | instskip(NEXT) | instid1(VALU_DEP_2)
	v_lshl_add_u32 v25, v25, 23, 0x37800000
	v_lshlrev_b32_e32 v24, 21, v24
	s_delay_alu instid0(VALU_DEP_1)
	v_or3_b32 v24, v26, v25, v24
.LBB244_82:
	s_or_b32 exec_lo, exec_lo, s17
	s_delay_alu instid0(VALU_DEP_1)
	v_cmp_neq_f32_e64 s17, v7, v24
.LBB244_83:
	v_cmp_ne_u32_e32 vcc_lo, 1, v2
	v_cmp_lt_i16_e64 s0, 0x7f, v21
	s_cbranch_vccnz .LBB244_233
.LBB244_84:
	s_mov_b32 s18, 0
	s_and_saveexec_b32 s19, s0
	s_delay_alu instid0(SALU_CYCLE_1)
	s_xor_b32 s0, exec_lo, s19
	s_cbranch_execnz .LBB244_381
; %bb.85:
	s_or_saveexec_b32 s0, s0
	v_mov_b32_e32 v3, 0x7f800001
	s_xor_b32 exec_lo, exec_lo, s0
	s_cbranch_execnz .LBB244_384
.LBB244_86:
	s_or_b32 exec_lo, exec_lo, s0
	s_and_saveexec_b32 s0, s18
	s_cbranch_execz .LBB244_88
.LBB244_87:
	v_and_b32_e32 v3, 0xffff, v21
	s_delay_alu instid0(VALU_DEP_1) | instskip(SKIP_1) | instid1(VALU_DEP_2)
	v_and_b32_e32 v7, 3, v3
	v_bfe_u32 v24, v3, 2, 5
	v_clz_i32_u32_e32 v22, v7
	s_delay_alu instid0(VALU_DEP_2) | instskip(NEXT) | instid1(VALU_DEP_2)
	v_cmp_eq_u32_e32 vcc_lo, 0, v24
	v_min_u32_e32 v22, 32, v22
	s_delay_alu instid0(VALU_DEP_1) | instskip(NEXT) | instid1(VALU_DEP_1)
	v_subrev_nc_u32_e32 v23, 29, v22
	v_dual_lshlrev_b32 v3, v23, v3 :: v_dual_sub_nc_u32 v22, 30, v22
	s_delay_alu instid0(VALU_DEP_1) | instskip(NEXT) | instid1(VALU_DEP_1)
	v_dual_lshlrev_b32 v23, 24, v21 :: v_dual_bitop2_b32 v3, 3, v3 bitop3:0x40
	v_dual_cndmask_b32 v22, v24, v22 :: v_dual_cndmask_b32 v3, v7, v3
	s_delay_alu instid0(VALU_DEP_2) | instskip(NEXT) | instid1(VALU_DEP_2)
	v_and_b32_e32 v7, 0x80000000, v23
	v_lshl_add_u32 v22, v22, 23, 0x37800000
	s_delay_alu instid0(VALU_DEP_3) | instskip(NEXT) | instid1(VALU_DEP_1)
	v_lshlrev_b32_e32 v3, 21, v3
	v_or3_b32 v3, v7, v22, v3
.LBB244_88:
	s_or_b32 exec_lo, exec_lo, s0
	s_mov_b32 s0, 0
	s_mov_b32 s18, exec_lo
	v_cmpx_lt_i16_e32 0x7f, v20
	s_xor_b32 s18, exec_lo, s18
	s_cbranch_execnz .LBB244_385
; %bb.89:
	s_or_saveexec_b32 s18, s18
	v_mov_b32_e32 v7, 0x7f800001
	s_xor_b32 exec_lo, exec_lo, s18
	s_cbranch_execnz .LBB244_388
.LBB244_90:
	s_or_b32 exec_lo, exec_lo, s18
	s_and_saveexec_b32 s18, s0
	s_cbranch_execz .LBB244_92
.LBB244_91:
	v_and_b32_e32 v7, 0xffff, v20
	s_delay_alu instid0(VALU_DEP_1) | instskip(SKIP_1) | instid1(VALU_DEP_2)
	v_and_b32_e32 v22, 3, v7
	v_bfe_u32 v25, v7, 2, 5
	v_clz_i32_u32_e32 v23, v22
	s_delay_alu instid0(VALU_DEP_2) | instskip(NEXT) | instid1(VALU_DEP_2)
	v_cmp_eq_u32_e32 vcc_lo, 0, v25
	v_min_u32_e32 v23, 32, v23
	s_delay_alu instid0(VALU_DEP_1) | instskip(SKIP_1) | instid1(VALU_DEP_2)
	v_subrev_nc_u32_e32 v24, 29, v23
	v_sub_nc_u32_e32 v23, 30, v23
	v_dual_lshlrev_b32 v7, v24, v7 :: v_dual_lshlrev_b32 v24, 24, v20
	s_delay_alu instid0(VALU_DEP_2) | instskip(NEXT) | instid1(VALU_DEP_2)
	v_cndmask_b32_e32 v23, v25, v23, vcc_lo
	v_and_b32_e32 v7, 3, v7
	s_delay_alu instid0(VALU_DEP_2) | instskip(NEXT) | instid1(VALU_DEP_2)
	v_lshl_add_u32 v23, v23, 23, 0x37800000
	v_cndmask_b32_e32 v7, v22, v7, vcc_lo
	v_and_b32_e32 v22, 0x80000000, v24
	s_delay_alu instid0(VALU_DEP_2) | instskip(NEXT) | instid1(VALU_DEP_1)
	v_lshlrev_b32_e32 v7, 21, v7
	v_or3_b32 v7, v22, v23, v7
.LBB244_92:
	s_or_b32 exec_lo, exec_lo, s18
	s_delay_alu instid0(VALU_DEP_1)
	v_cmp_neq_f32_e64 s18, v3, v7
.LBB244_93:
	v_cmp_ne_u32_e32 vcc_lo, 1, v2
	v_and_b32_e32 v3, 0xff, v8
	s_cbranch_vccnz .LBB244_243
.LBB244_94:
	s_mov_b32 s0, 0
	s_mov_b32 s19, exec_lo
	s_delay_alu instid0(VALU_DEP_1)
	v_cmpx_lt_i16_e32 0x7f, v3
	s_xor_b32 s19, exec_lo, s19
	s_cbranch_execnz .LBB244_389
; %bb.95:
	s_or_saveexec_b32 s19, s19
	v_mov_b32_e32 v7, 0x7f800001
	s_xor_b32 exec_lo, exec_lo, s19
	s_cbranch_execnz .LBB244_392
.LBB244_96:
	s_or_b32 exec_lo, exec_lo, s19
	s_and_saveexec_b32 s19, s0
	s_cbranch_execz .LBB244_98
.LBB244_97:
	v_and_b32_e32 v7, 3, v8
	v_lshrrev_b16 v21, 2, v8
	v_lshlrev_b32_e32 v23, 24, v8
	s_delay_alu instid0(VALU_DEP_3) | instskip(NEXT) | instid1(VALU_DEP_1)
	v_clz_i32_u32_e32 v20, v7
	v_min_u32_e32 v20, 32, v20
	s_delay_alu instid0(VALU_DEP_4) | instskip(NEXT) | instid1(VALU_DEP_2)
	v_and_b32_e32 v21, 31, v21
	v_subrev_nc_u32_e32 v22, 29, v20
	v_sub_nc_u32_e32 v20, 30, v20
	s_delay_alu instid0(VALU_DEP_3) | instskip(NEXT) | instid1(VALU_DEP_3)
	v_cmp_eq_u32_e32 vcc_lo, 0, v21
	v_lshlrev_b32_e32 v22, v22, v8
	s_delay_alu instid0(VALU_DEP_1) | instskip(SKIP_1) | instid1(VALU_DEP_2)
	v_dual_cndmask_b32 v20, v21, v20, vcc_lo :: v_dual_bitop2_b32 v22, 3, v22 bitop3:0x40
	v_and_b32_e32 v21, 0x80000000, v23
	v_cndmask_b32_e32 v7, v7, v22, vcc_lo
	s_delay_alu instid0(VALU_DEP_3) | instskip(NEXT) | instid1(VALU_DEP_2)
	v_lshl_add_u32 v20, v20, 23, 0x37800000
	v_lshlrev_b32_e32 v7, 21, v7
	s_delay_alu instid0(VALU_DEP_1)
	v_or3_b32 v7, v21, v20, v7
.LBB244_98:
	s_or_b32 exec_lo, exec_lo, s19
	v_and_b32_e32 v21, 0xff, v4
	s_mov_b32 s0, 0
	s_mov_b32 s19, exec_lo
	s_delay_alu instid0(VALU_DEP_1)
	v_cmpx_lt_i16_e32 0x7f, v21
	s_xor_b32 s19, exec_lo, s19
	s_cbranch_execnz .LBB244_393
; %bb.99:
	s_or_saveexec_b32 s19, s19
	v_mov_b32_e32 v20, 0x7f800001
	s_xor_b32 exec_lo, exec_lo, s19
	s_cbranch_execnz .LBB244_396
.LBB244_100:
	s_or_b32 exec_lo, exec_lo, s19
	s_and_saveexec_b32 s19, s0
	s_cbranch_execz .LBB244_102
.LBB244_101:
	v_and_b32_e32 v20, 3, v4
	v_lshrrev_b16 v22, 2, v4
	v_lshlrev_b32_e32 v24, 24, v4
	s_delay_alu instid0(VALU_DEP_3) | instskip(NEXT) | instid1(VALU_DEP_1)
	v_clz_i32_u32_e32 v21, v20
	v_min_u32_e32 v21, 32, v21
	s_delay_alu instid0(VALU_DEP_4) | instskip(NEXT) | instid1(VALU_DEP_2)
	v_and_b32_e32 v22, 31, v22
	v_subrev_nc_u32_e32 v23, 29, v21
	v_sub_nc_u32_e32 v21, 30, v21
	s_delay_alu instid0(VALU_DEP_3) | instskip(NEXT) | instid1(VALU_DEP_3)
	v_cmp_eq_u32_e32 vcc_lo, 0, v22
	v_lshlrev_b32_e32 v23, v23, v4
	s_delay_alu instid0(VALU_DEP_1) | instskip(SKIP_1) | instid1(VALU_DEP_2)
	v_dual_cndmask_b32 v21, v22, v21, vcc_lo :: v_dual_bitop2_b32 v23, 3, v23 bitop3:0x40
	v_and_b32_e32 v22, 0x80000000, v24
	v_cndmask_b32_e32 v20, v20, v23, vcc_lo
	s_delay_alu instid0(VALU_DEP_3) | instskip(NEXT) | instid1(VALU_DEP_2)
	v_lshl_add_u32 v21, v21, 23, 0x37800000
	v_lshlrev_b32_e32 v20, 21, v20
	s_delay_alu instid0(VALU_DEP_1)
	v_or3_b32 v20, v22, v21, v20
.LBB244_102:
	s_or_b32 exec_lo, exec_lo, s19
	s_delay_alu instid0(VALU_DEP_1)
	v_cmp_neq_f32_e64 s19, v7, v20
.LBB244_103:
	v_cmp_ne_u32_e32 vcc_lo, 1, v2
	v_and_b32_e32 v3, 0xff, v19
	s_cbranch_vccnz .LBB244_253
.LBB244_104:
	s_mov_b32 s0, 0
	s_mov_b32 s20, exec_lo
	s_delay_alu instid0(VALU_DEP_1)
	v_cmpx_lt_i16_e32 0x7f, v3
	s_xor_b32 s20, exec_lo, s20
	s_cbranch_execnz .LBB244_397
; %bb.105:
	s_or_saveexec_b32 s20, s20
	v_mov_b32_e32 v4, 0x7f800001
	s_xor_b32 exec_lo, exec_lo, s20
	s_cbranch_execnz .LBB244_400
.LBB244_106:
	s_or_b32 exec_lo, exec_lo, s20
	s_and_saveexec_b32 s20, s0
	s_cbranch_execz .LBB244_108
.LBB244_107:
	v_and_b32_e32 v4, 3, v19
	v_lshrrev_b16 v8, 2, v19
	v_lshlrev_b32_e32 v21, 24, v19
	s_delay_alu instid0(VALU_DEP_3) | instskip(NEXT) | instid1(VALU_DEP_1)
	v_clz_i32_u32_e32 v7, v4
	v_min_u32_e32 v7, 32, v7
	s_delay_alu instid0(VALU_DEP_4) | instskip(NEXT) | instid1(VALU_DEP_2)
	v_and_b32_e32 v8, 31, v8
	v_subrev_nc_u32_e32 v20, 29, v7
	v_sub_nc_u32_e32 v7, 30, v7
	s_delay_alu instid0(VALU_DEP_3) | instskip(NEXT) | instid1(VALU_DEP_3)
	v_cmp_eq_u32_e32 vcc_lo, 0, v8
	v_lshlrev_b32_e32 v20, v20, v19
	s_delay_alu instid0(VALU_DEP_1) | instskip(NEXT) | instid1(VALU_DEP_1)
	v_and_b32_e32 v20, 3, v20
	v_cndmask_b32_e32 v4, v4, v20, vcc_lo
	v_cndmask_b32_e32 v7, v8, v7, vcc_lo
	v_and_b32_e32 v8, 0x80000000, v21
	s_delay_alu instid0(VALU_DEP_3) | instskip(NEXT) | instid1(VALU_DEP_3)
	v_lshlrev_b32_e32 v4, 21, v4
	v_lshl_add_u32 v7, v7, 23, 0x37800000
	s_delay_alu instid0(VALU_DEP_1)
	v_or3_b32 v4, v8, v7, v4
.LBB244_108:
	s_or_b32 exec_lo, exec_lo, s20
	v_and_b32_e32 v8, 0xff, v18
	s_mov_b32 s0, 0
	s_mov_b32 s20, exec_lo
	s_delay_alu instid0(VALU_DEP_1)
	v_cmpx_lt_i16_e32 0x7f, v8
	s_xor_b32 s20, exec_lo, s20
	s_cbranch_execnz .LBB244_401
; %bb.109:
	s_or_saveexec_b32 s20, s20
	v_mov_b32_e32 v7, 0x7f800001
	s_xor_b32 exec_lo, exec_lo, s20
	s_cbranch_execnz .LBB244_404
.LBB244_110:
	s_or_b32 exec_lo, exec_lo, s20
	s_and_saveexec_b32 s20, s0
	s_cbranch_execz .LBB244_112
.LBB244_111:
	v_and_b32_e32 v7, 3, v18
	v_lshrrev_b16 v20, 2, v18
	v_lshlrev_b32_e32 v22, 24, v18
	s_delay_alu instid0(VALU_DEP_3) | instskip(NEXT) | instid1(VALU_DEP_3)
	v_clz_i32_u32_e32 v8, v7
	v_and_b32_e32 v20, 31, v20
	s_delay_alu instid0(VALU_DEP_2) | instskip(NEXT) | instid1(VALU_DEP_2)
	v_min_u32_e32 v8, 32, v8
	v_cmp_eq_u32_e32 vcc_lo, 0, v20
	s_delay_alu instid0(VALU_DEP_2) | instskip(NEXT) | instid1(VALU_DEP_1)
	v_subrev_nc_u32_e32 v21, 29, v8
	v_dual_lshlrev_b32 v21, v21, v18 :: v_dual_sub_nc_u32 v8, 30, v8
	s_delay_alu instid0(VALU_DEP_1) | instskip(SKIP_1) | instid1(VALU_DEP_2)
	v_dual_cndmask_b32 v8, v20, v8, vcc_lo :: v_dual_bitop2_b32 v21, 3, v21 bitop3:0x40
	v_and_b32_e32 v20, 0x80000000, v22
	v_cndmask_b32_e32 v7, v7, v21, vcc_lo
	s_delay_alu instid0(VALU_DEP_3) | instskip(NEXT) | instid1(VALU_DEP_2)
	v_lshl_add_u32 v8, v8, 23, 0x37800000
	v_lshlrev_b32_e32 v7, 21, v7
	s_delay_alu instid0(VALU_DEP_1)
	v_or3_b32 v7, v20, v8, v7
.LBB244_112:
	s_or_b32 exec_lo, exec_lo, s20
	s_delay_alu instid0(VALU_DEP_1)
	v_cmp_neq_f32_e64 s20, v4, v7
.LBB244_113:
	v_cmp_ne_u32_e32 vcc_lo, 1, v2
	v_and_b32_e32 v3, 0xff, v17
	s_cbranch_vccnz .LBB244_263
.LBB244_114:
	s_mov_b32 s0, 0
	s_mov_b32 s21, exec_lo
	s_delay_alu instid0(VALU_DEP_1)
	v_cmpx_lt_i16_e32 0x7f, v3
	s_xor_b32 s21, exec_lo, s21
	s_cbranch_execnz .LBB244_405
; %bb.115:
	s_or_saveexec_b32 s21, s21
	v_mov_b32_e32 v4, 0x7f800001
	s_xor_b32 exec_lo, exec_lo, s21
	s_cbranch_execnz .LBB244_408
.LBB244_116:
	s_or_b32 exec_lo, exec_lo, s21
	s_and_saveexec_b32 s21, s0
	s_cbranch_execz .LBB244_118
.LBB244_117:
	v_and_b32_e32 v4, 3, v17
	v_lshrrev_b16 v8, 2, v17
	v_lshlrev_b32_e32 v19, 24, v17
	s_delay_alu instid0(VALU_DEP_3) | instskip(NEXT) | instid1(VALU_DEP_1)
	v_clz_i32_u32_e32 v7, v4
	v_min_u32_e32 v7, 32, v7
	s_delay_alu instid0(VALU_DEP_4) | instskip(NEXT) | instid1(VALU_DEP_2)
	v_and_b32_e32 v8, 31, v8
	v_subrev_nc_u32_e32 v18, 29, v7
	v_sub_nc_u32_e32 v7, 30, v7
	s_delay_alu instid0(VALU_DEP_3) | instskip(NEXT) | instid1(VALU_DEP_3)
	v_cmp_eq_u32_e32 vcc_lo, 0, v8
	v_lshlrev_b32_e32 v18, v18, v17
	s_delay_alu instid0(VALU_DEP_1) | instskip(NEXT) | instid1(VALU_DEP_1)
	v_and_b32_e32 v18, 3, v18
	v_cndmask_b32_e32 v4, v4, v18, vcc_lo
	v_cndmask_b32_e32 v7, v8, v7, vcc_lo
	v_and_b32_e32 v8, 0x80000000, v19
	s_delay_alu instid0(VALU_DEP_3) | instskip(NEXT) | instid1(VALU_DEP_3)
	v_lshlrev_b32_e32 v4, 21, v4
	v_lshl_add_u32 v7, v7, 23, 0x37800000
	s_delay_alu instid0(VALU_DEP_1)
	v_or3_b32 v4, v8, v7, v4
.LBB244_118:
	s_or_b32 exec_lo, exec_lo, s21
	v_and_b32_e32 v8, 0xff, v16
	s_mov_b32 s0, 0
	s_mov_b32 s21, exec_lo
	s_delay_alu instid0(VALU_DEP_1)
	v_cmpx_lt_i16_e32 0x7f, v8
	s_xor_b32 s21, exec_lo, s21
	s_cbranch_execnz .LBB244_409
; %bb.119:
	s_or_saveexec_b32 s21, s21
	v_mov_b32_e32 v7, 0x7f800001
	s_xor_b32 exec_lo, exec_lo, s21
	s_cbranch_execnz .LBB244_412
.LBB244_120:
	s_or_b32 exec_lo, exec_lo, s21
	s_and_saveexec_b32 s21, s0
	s_cbranch_execz .LBB244_122
.LBB244_121:
	v_and_b32_e32 v7, 3, v16
	v_lshrrev_b16 v18, 2, v16
	v_lshlrev_b32_e32 v20, 24, v16
	s_delay_alu instid0(VALU_DEP_3) | instskip(NEXT) | instid1(VALU_DEP_1)
	v_clz_i32_u32_e32 v8, v7
	v_min_u32_e32 v8, 32, v8
	s_delay_alu instid0(VALU_DEP_4) | instskip(NEXT) | instid1(VALU_DEP_2)
	v_and_b32_e32 v18, 31, v18
	v_subrev_nc_u32_e32 v19, 29, v8
	v_sub_nc_u32_e32 v8, 30, v8
	s_delay_alu instid0(VALU_DEP_3) | instskip(NEXT) | instid1(VALU_DEP_3)
	v_cmp_eq_u32_e32 vcc_lo, 0, v18
	v_lshlrev_b32_e32 v19, v19, v16
	s_delay_alu instid0(VALU_DEP_1) | instskip(SKIP_1) | instid1(VALU_DEP_2)
	v_dual_cndmask_b32 v8, v18, v8, vcc_lo :: v_dual_bitop2_b32 v19, 3, v19 bitop3:0x40
	v_and_b32_e32 v18, 0x80000000, v20
	v_cndmask_b32_e32 v7, v7, v19, vcc_lo
	s_delay_alu instid0(VALU_DEP_3) | instskip(NEXT) | instid1(VALU_DEP_2)
	v_lshl_add_u32 v8, v8, 23, 0x37800000
	v_lshlrev_b32_e32 v7, 21, v7
	s_delay_alu instid0(VALU_DEP_1)
	v_or3_b32 v7, v18, v8, v7
.LBB244_122:
	s_or_b32 exec_lo, exec_lo, s21
	s_delay_alu instid0(VALU_DEP_1)
	v_cmp_neq_f32_e64 s21, v4, v7
.LBB244_123:
	v_cmp_ne_u32_e32 vcc_lo, 1, v2
	v_cmp_lt_i16_e64 s0, 0x7f, v15
	s_cbranch_vccnz .LBB244_273
.LBB244_124:
	s_mov_b32 s22, 0
	s_and_saveexec_b32 s23, s0
	s_delay_alu instid0(SALU_CYCLE_1)
	s_xor_b32 s0, exec_lo, s23
	s_cbranch_execnz .LBB244_413
; %bb.125:
	s_or_saveexec_b32 s0, s0
	v_mov_b32_e32 v3, 0x7f800001
	s_xor_b32 exec_lo, exec_lo, s0
	s_cbranch_execnz .LBB244_416
.LBB244_126:
	s_or_b32 exec_lo, exec_lo, s0
	s_and_saveexec_b32 s0, s22
	s_cbranch_execz .LBB244_128
.LBB244_127:
	v_and_b32_e32 v3, 0xffff, v15
	s_delay_alu instid0(VALU_DEP_1) | instskip(SKIP_1) | instid1(VALU_DEP_2)
	v_and_b32_e32 v4, 3, v3
	v_bfe_u32 v16, v3, 2, 5
	v_clz_i32_u32_e32 v7, v4
	s_delay_alu instid0(VALU_DEP_2) | instskip(NEXT) | instid1(VALU_DEP_2)
	v_cmp_eq_u32_e32 vcc_lo, 0, v16
	v_min_u32_e32 v7, 32, v7
	s_delay_alu instid0(VALU_DEP_1) | instskip(SKIP_1) | instid1(VALU_DEP_2)
	v_subrev_nc_u32_e32 v8, 29, v7
	v_sub_nc_u32_e32 v7, 30, v7
	v_lshlrev_b32_e32 v3, v8, v3
	v_lshlrev_b32_e32 v8, 24, v15
	s_delay_alu instid0(VALU_DEP_3) | instskip(NEXT) | instid1(VALU_DEP_3)
	v_cndmask_b32_e32 v7, v16, v7, vcc_lo
	v_and_b32_e32 v3, 3, v3
	s_delay_alu instid0(VALU_DEP_2) | instskip(NEXT) | instid1(VALU_DEP_2)
	v_lshl_add_u32 v7, v7, 23, 0x37800000
	v_cndmask_b32_e32 v3, v4, v3, vcc_lo
	v_and_b32_e32 v4, 0x80000000, v8
	s_delay_alu instid0(VALU_DEP_2) | instskip(NEXT) | instid1(VALU_DEP_1)
	v_lshlrev_b32_e32 v3, 21, v3
	v_or3_b32 v3, v4, v7, v3
.LBB244_128:
	s_or_b32 exec_lo, exec_lo, s0
	s_mov_b32 s0, 0
	s_mov_b32 s22, exec_lo
	v_cmpx_lt_i16_e32 0x7f, v14
	s_xor_b32 s22, exec_lo, s22
	s_cbranch_execnz .LBB244_417
; %bb.129:
	s_or_saveexec_b32 s22, s22
	v_mov_b32_e32 v4, 0x7f800001
	s_xor_b32 exec_lo, exec_lo, s22
	s_cbranch_execnz .LBB244_420
.LBB244_130:
	s_or_b32 exec_lo, exec_lo, s22
	s_and_saveexec_b32 s22, s0
	s_cbranch_execz .LBB244_132
.LBB244_131:
	v_and_b32_e32 v4, 0xffff, v14
	s_delay_alu instid0(VALU_DEP_1) | instskip(SKIP_1) | instid1(VALU_DEP_2)
	v_and_b32_e32 v7, 3, v4
	v_bfe_u32 v17, v4, 2, 5
	v_clz_i32_u32_e32 v8, v7
	s_delay_alu instid0(VALU_DEP_2) | instskip(NEXT) | instid1(VALU_DEP_2)
	v_cmp_eq_u32_e32 vcc_lo, 0, v17
	v_min_u32_e32 v8, 32, v8
	s_delay_alu instid0(VALU_DEP_1) | instskip(SKIP_1) | instid1(VALU_DEP_2)
	v_subrev_nc_u32_e32 v16, 29, v8
	v_sub_nc_u32_e32 v8, 30, v8
	v_dual_lshlrev_b32 v4, v16, v4 :: v_dual_lshlrev_b32 v16, 24, v14
	s_delay_alu instid0(VALU_DEP_2) | instskip(NEXT) | instid1(VALU_DEP_2)
	v_cndmask_b32_e32 v8, v17, v8, vcc_lo
	v_and_b32_e32 v4, 3, v4
	s_delay_alu instid0(VALU_DEP_2) | instskip(NEXT) | instid1(VALU_DEP_2)
	v_lshl_add_u32 v8, v8, 23, 0x37800000
	v_cndmask_b32_e32 v4, v7, v4, vcc_lo
	v_and_b32_e32 v7, 0x80000000, v16
	s_delay_alu instid0(VALU_DEP_2) | instskip(NEXT) | instid1(VALU_DEP_1)
	v_lshlrev_b32_e32 v4, 21, v4
	v_or3_b32 v4, v7, v8, v4
.LBB244_132:
	s_or_b32 exec_lo, exec_lo, s22
	s_delay_alu instid0(VALU_DEP_1)
	v_cmp_neq_f32_e64 s22, v3, v4
.LBB244_133:
	v_cmp_ne_u32_e32 vcc_lo, 1, v2
	v_and_b32_e32 v3, 0xff, v9
	s_cbranch_vccnz .LBB244_283
.LBB244_134:
	s_mov_b32 s0, 0
	s_mov_b32 s23, exec_lo
	s_delay_alu instid0(VALU_DEP_1)
	v_cmpx_lt_i16_e32 0x7f, v3
	s_xor_b32 s23, exec_lo, s23
	s_cbranch_execnz .LBB244_421
; %bb.135:
	s_or_saveexec_b32 s23, s23
	v_mov_b32_e32 v4, 0x7f800001
	s_xor_b32 exec_lo, exec_lo, s23
	s_cbranch_execnz .LBB244_424
.LBB244_136:
	s_or_b32 exec_lo, exec_lo, s23
	s_and_saveexec_b32 s23, s0
	s_cbranch_execz .LBB244_138
.LBB244_137:
	v_and_b32_e32 v4, 3, v9
	v_lshrrev_b16 v8, 2, v9
	v_lshlrev_b32_e32 v15, 24, v9
	s_delay_alu instid0(VALU_DEP_3) | instskip(NEXT) | instid1(VALU_DEP_1)
	v_clz_i32_u32_e32 v7, v4
	v_min_u32_e32 v7, 32, v7
	s_delay_alu instid0(VALU_DEP_4) | instskip(NEXT) | instid1(VALU_DEP_2)
	v_and_b32_e32 v8, 31, v8
	v_subrev_nc_u32_e32 v14, 29, v7
	v_sub_nc_u32_e32 v7, 30, v7
	s_delay_alu instid0(VALU_DEP_3) | instskip(NEXT) | instid1(VALU_DEP_3)
	v_cmp_eq_u32_e32 vcc_lo, 0, v8
	v_lshlrev_b32_e32 v14, v14, v9
	s_delay_alu instid0(VALU_DEP_1) | instskip(NEXT) | instid1(VALU_DEP_1)
	v_and_b32_e32 v14, 3, v14
	v_cndmask_b32_e32 v4, v4, v14, vcc_lo
	v_cndmask_b32_e32 v7, v8, v7, vcc_lo
	v_and_b32_e32 v8, 0x80000000, v15
	s_delay_alu instid0(VALU_DEP_3) | instskip(NEXT) | instid1(VALU_DEP_3)
	v_lshlrev_b32_e32 v4, 21, v4
	v_lshl_add_u32 v7, v7, 23, 0x37800000
	s_delay_alu instid0(VALU_DEP_1)
	v_or3_b32 v4, v8, v7, v4
.LBB244_138:
	s_or_b32 exec_lo, exec_lo, s23
	v_and_b32_e32 v8, 0xff, v5
	s_mov_b32 s0, 0
	s_mov_b32 s23, exec_lo
	s_delay_alu instid0(VALU_DEP_1)
	v_cmpx_lt_i16_e32 0x7f, v8
	s_xor_b32 s23, exec_lo, s23
	s_cbranch_execnz .LBB244_425
; %bb.139:
	s_or_saveexec_b32 s23, s23
	v_mov_b32_e32 v7, 0x7f800001
	s_xor_b32 exec_lo, exec_lo, s23
	s_cbranch_execnz .LBB244_428
.LBB244_140:
	s_or_b32 exec_lo, exec_lo, s23
	s_and_saveexec_b32 s23, s0
	s_cbranch_execz .LBB244_142
.LBB244_141:
	v_and_b32_e32 v7, 3, v5
	v_lshrrev_b16 v14, 2, v5
	v_lshlrev_b32_e32 v16, 24, v5
	s_delay_alu instid0(VALU_DEP_3) | instskip(NEXT) | instid1(VALU_DEP_1)
	v_clz_i32_u32_e32 v8, v7
	v_min_u32_e32 v8, 32, v8
	s_delay_alu instid0(VALU_DEP_4) | instskip(NEXT) | instid1(VALU_DEP_2)
	v_and_b32_e32 v14, 31, v14
	v_subrev_nc_u32_e32 v15, 29, v8
	v_sub_nc_u32_e32 v8, 30, v8
	s_delay_alu instid0(VALU_DEP_3) | instskip(NEXT) | instid1(VALU_DEP_3)
	v_cmp_eq_u32_e32 vcc_lo, 0, v14
	v_lshlrev_b32_e32 v15, v15, v5
	s_delay_alu instid0(VALU_DEP_1) | instskip(SKIP_1) | instid1(VALU_DEP_2)
	v_dual_cndmask_b32 v8, v14, v8, vcc_lo :: v_dual_bitop2_b32 v15, 3, v15 bitop3:0x40
	v_and_b32_e32 v14, 0x80000000, v16
	v_cndmask_b32_e32 v7, v7, v15, vcc_lo
	s_delay_alu instid0(VALU_DEP_3) | instskip(NEXT) | instid1(VALU_DEP_2)
	v_lshl_add_u32 v8, v8, 23, 0x37800000
	v_lshlrev_b32_e32 v7, 21, v7
	s_delay_alu instid0(VALU_DEP_1)
	v_or3_b32 v7, v14, v8, v7
.LBB244_142:
	s_or_b32 exec_lo, exec_lo, s23
	s_delay_alu instid0(VALU_DEP_1)
	v_cmp_neq_f32_e64 s23, v4, v7
.LBB244_143:
	v_cmp_ne_u32_e32 vcc_lo, 1, v2
	v_and_b32_e32 v3, 0xff, v13
	s_cbranch_vccnz .LBB244_293
.LBB244_144:
	s_mov_b32 s0, 0
	s_mov_b32 s24, exec_lo
	s_delay_alu instid0(VALU_DEP_1)
	v_cmpx_lt_i16_e32 0x7f, v3
	s_xor_b32 s24, exec_lo, s24
	s_cbranch_execnz .LBB244_429
; %bb.145:
	s_or_saveexec_b32 s24, s24
	v_mov_b32_e32 v4, 0x7f800001
	s_xor_b32 exec_lo, exec_lo, s24
	s_cbranch_execnz .LBB244_432
.LBB244_146:
	s_or_b32 exec_lo, exec_lo, s24
	s_and_saveexec_b32 s24, s0
	s_cbranch_execz .LBB244_148
.LBB244_147:
	v_and_b32_e32 v4, 3, v13
	v_lshrrev_b16 v7, 2, v13
	v_lshlrev_b32_e32 v9, 24, v13
	s_delay_alu instid0(VALU_DEP_3) | instskip(NEXT) | instid1(VALU_DEP_1)
	v_clz_i32_u32_e32 v5, v4
	v_min_u32_e32 v5, 32, v5
	s_delay_alu instid0(VALU_DEP_4) | instskip(NEXT) | instid1(VALU_DEP_2)
	v_and_b32_e32 v7, 31, v7
	v_subrev_nc_u32_e32 v8, 29, v5
	v_sub_nc_u32_e32 v5, 30, v5
	s_delay_alu instid0(VALU_DEP_3) | instskip(NEXT) | instid1(VALU_DEP_3)
	v_cmp_eq_u32_e32 vcc_lo, 0, v7
	v_lshlrev_b32_e32 v8, v8, v13
	s_delay_alu instid0(VALU_DEP_1) | instskip(SKIP_1) | instid1(VALU_DEP_2)
	v_dual_cndmask_b32 v5, v7, v5, vcc_lo :: v_dual_bitop2_b32 v8, 3, v8 bitop3:0x40
	v_and_b32_e32 v7, 0x80000000, v9
	v_cndmask_b32_e32 v4, v4, v8, vcc_lo
	s_delay_alu instid0(VALU_DEP_3) | instskip(NEXT) | instid1(VALU_DEP_2)
	v_lshl_add_u32 v5, v5, 23, 0x37800000
	v_lshlrev_b32_e32 v4, 21, v4
	s_delay_alu instid0(VALU_DEP_1)
	v_or3_b32 v4, v7, v5, v4
.LBB244_148:
	s_or_b32 exec_lo, exec_lo, s24
	v_and_b32_e32 v7, 0xff, v12
	s_mov_b32 s0, 0
	s_mov_b32 s24, exec_lo
	s_delay_alu instid0(VALU_DEP_1)
	v_cmpx_lt_i16_e32 0x7f, v7
	s_xor_b32 s24, exec_lo, s24
	s_cbranch_execnz .LBB244_433
; %bb.149:
	s_or_saveexec_b32 s24, s24
	v_mov_b32_e32 v5, 0x7f800001
	s_xor_b32 exec_lo, exec_lo, s24
	s_cbranch_execnz .LBB244_436
.LBB244_150:
	s_or_b32 exec_lo, exec_lo, s24
	s_and_saveexec_b32 s24, s0
	s_cbranch_execz .LBB244_152
.LBB244_151:
	v_and_b32_e32 v5, 3, v12
	v_lshrrev_b16 v8, 2, v12
	v_lshlrev_b32_e32 v14, 24, v12
	s_delay_alu instid0(VALU_DEP_3) | instskip(NEXT) | instid1(VALU_DEP_1)
	v_clz_i32_u32_e32 v7, v5
	v_min_u32_e32 v7, 32, v7
	s_delay_alu instid0(VALU_DEP_4) | instskip(NEXT) | instid1(VALU_DEP_2)
	v_and_b32_e32 v8, 31, v8
	v_subrev_nc_u32_e32 v9, 29, v7
	v_sub_nc_u32_e32 v7, 30, v7
	s_delay_alu instid0(VALU_DEP_3) | instskip(NEXT) | instid1(VALU_DEP_3)
	v_cmp_eq_u32_e32 vcc_lo, 0, v8
	v_lshlrev_b32_e32 v9, v9, v12
	s_delay_alu instid0(VALU_DEP_1) | instskip(SKIP_1) | instid1(VALU_DEP_2)
	v_dual_cndmask_b32 v7, v8, v7, vcc_lo :: v_dual_bitop2_b32 v9, 3, v9 bitop3:0x40
	v_and_b32_e32 v8, 0x80000000, v14
	v_cndmask_b32_e32 v5, v5, v9, vcc_lo
	s_delay_alu instid0(VALU_DEP_3) | instskip(NEXT) | instid1(VALU_DEP_2)
	v_lshl_add_u32 v7, v7, 23, 0x37800000
	v_lshlrev_b32_e32 v5, 21, v5
	s_delay_alu instid0(VALU_DEP_1)
	v_or3_b32 v5, v8, v7, v5
.LBB244_152:
	s_or_b32 exec_lo, exec_lo, s24
	s_delay_alu instid0(VALU_DEP_1)
	v_cmp_neq_f32_e64 s24, v4, v5
.LBB244_153:
	v_cmp_ne_u32_e32 vcc_lo, 1, v2
	v_and_b32_e32 v3, 0xff, v11
	s_cbranch_vccnz .LBB244_303
.LBB244_154:
	s_mov_b32 s0, 0
	s_mov_b32 s25, exec_lo
	s_delay_alu instid0(VALU_DEP_1)
	v_cmpx_lt_i16_e32 0x7f, v3
	s_xor_b32 s25, exec_lo, s25
	s_cbranch_execnz .LBB244_437
; %bb.155:
	s_or_saveexec_b32 s25, s25
	v_mov_b32_e32 v4, 0x7f800001
	s_xor_b32 exec_lo, exec_lo, s25
	s_cbranch_execnz .LBB244_440
.LBB244_156:
	s_or_b32 exec_lo, exec_lo, s25
	s_and_saveexec_b32 s25, s0
	s_cbranch_execz .LBB244_158
.LBB244_157:
	v_and_b32_e32 v4, 3, v11
	v_lshrrev_b16 v7, 2, v11
	v_lshlrev_b32_e32 v9, 24, v11
	s_delay_alu instid0(VALU_DEP_3) | instskip(NEXT) | instid1(VALU_DEP_1)
	v_clz_i32_u32_e32 v5, v4
	v_min_u32_e32 v5, 32, v5
	s_delay_alu instid0(VALU_DEP_4) | instskip(NEXT) | instid1(VALU_DEP_2)
	v_and_b32_e32 v7, 31, v7
	v_subrev_nc_u32_e32 v8, 29, v5
	v_sub_nc_u32_e32 v5, 30, v5
	s_delay_alu instid0(VALU_DEP_3) | instskip(NEXT) | instid1(VALU_DEP_3)
	v_cmp_eq_u32_e32 vcc_lo, 0, v7
	v_lshlrev_b32_e32 v8, v8, v11
	s_delay_alu instid0(VALU_DEP_1) | instskip(SKIP_1) | instid1(VALU_DEP_2)
	v_dual_cndmask_b32 v5, v7, v5, vcc_lo :: v_dual_bitop2_b32 v8, 3, v8 bitop3:0x40
	v_and_b32_e32 v7, 0x80000000, v9
	v_cndmask_b32_e32 v4, v4, v8, vcc_lo
	s_delay_alu instid0(VALU_DEP_3) | instskip(NEXT) | instid1(VALU_DEP_2)
	v_lshl_add_u32 v5, v5, 23, 0x37800000
	v_lshlrev_b32_e32 v4, 21, v4
	s_delay_alu instid0(VALU_DEP_1)
	v_or3_b32 v4, v7, v5, v4
.LBB244_158:
	s_or_b32 exec_lo, exec_lo, s25
	v_and_b32_e32 v7, 0xff, v6
	s_mov_b32 s0, 0
	s_mov_b32 s25, exec_lo
	s_delay_alu instid0(VALU_DEP_1)
	v_cmpx_lt_i16_e32 0x7f, v7
	s_xor_b32 s25, exec_lo, s25
	s_cbranch_execnz .LBB244_441
; %bb.159:
	s_or_saveexec_b32 s25, s25
	v_mov_b32_e32 v5, 0x7f800001
	s_xor_b32 exec_lo, exec_lo, s25
	s_cbranch_execnz .LBB244_444
.LBB244_160:
	s_or_b32 exec_lo, exec_lo, s25
	s_and_saveexec_b32 s25, s0
	s_cbranch_execz .LBB244_162
.LBB244_161:
	v_and_b32_e32 v5, 3, v6
	v_lshrrev_b16 v8, 2, v6
	v_lshlrev_b32_e32 v12, 24, v6
	s_delay_alu instid0(VALU_DEP_3) | instskip(NEXT) | instid1(VALU_DEP_1)
	v_clz_i32_u32_e32 v7, v5
	v_min_u32_e32 v7, 32, v7
	s_delay_alu instid0(VALU_DEP_4) | instskip(NEXT) | instid1(VALU_DEP_2)
	v_and_b32_e32 v8, 31, v8
	v_subrev_nc_u32_e32 v9, 29, v7
	v_sub_nc_u32_e32 v7, 30, v7
	s_delay_alu instid0(VALU_DEP_3) | instskip(NEXT) | instid1(VALU_DEP_3)
	v_cmp_eq_u32_e32 vcc_lo, 0, v8
	v_lshlrev_b32_e32 v9, v9, v6
	s_delay_alu instid0(VALU_DEP_1) | instskip(SKIP_1) | instid1(VALU_DEP_2)
	v_dual_cndmask_b32 v7, v8, v7, vcc_lo :: v_dual_bitop2_b32 v9, 3, v9 bitop3:0x40
	v_and_b32_e32 v8, 0x80000000, v12
	v_cndmask_b32_e32 v5, v5, v9, vcc_lo
	s_delay_alu instid0(VALU_DEP_3) | instskip(NEXT) | instid1(VALU_DEP_2)
	v_lshl_add_u32 v7, v7, 23, 0x37800000
	v_lshlrev_b32_e32 v5, 21, v5
	s_delay_alu instid0(VALU_DEP_1)
	v_or3_b32 v5, v8, v7, v5
.LBB244_162:
	s_or_b32 exec_lo, exec_lo, s25
	s_delay_alu instid0(VALU_DEP_1)
	v_cmp_neq_f32_e64 s25, v4, v5
.LBB244_163:
	v_cmp_ne_u32_e32 vcc_lo, 1, v2
	v_cmp_lt_i16_e64 s0, 0x7f, v10
	s_cbranch_vccnz .LBB244_313
.LBB244_164:
	s_mov_b32 s26, 0
	s_and_saveexec_b32 s27, s0
	s_delay_alu instid0(SALU_CYCLE_1)
	s_xor_b32 s0, exec_lo, s27
	s_cbranch_execnz .LBB244_445
; %bb.165:
	s_or_saveexec_b32 s0, s0
	v_mov_b32_e32 v2, 0x7f800001
	s_xor_b32 exec_lo, exec_lo, s0
	s_cbranch_execnz .LBB244_448
.LBB244_166:
	s_or_b32 exec_lo, exec_lo, s0
	s_and_saveexec_b32 s0, s26
	s_cbranch_execz .LBB244_168
.LBB244_167:
	v_and_b32_e32 v2, 0xffff, v10
	s_delay_alu instid0(VALU_DEP_1) | instskip(SKIP_1) | instid1(VALU_DEP_2)
	v_and_b32_e32 v3, 3, v2
	v_bfe_u32 v6, v2, 2, 5
	v_clz_i32_u32_e32 v4, v3
	s_delay_alu instid0(VALU_DEP_2) | instskip(NEXT) | instid1(VALU_DEP_2)
	v_cmp_eq_u32_e32 vcc_lo, 0, v6
	v_min_u32_e32 v4, 32, v4
	s_delay_alu instid0(VALU_DEP_1) | instskip(NEXT) | instid1(VALU_DEP_1)
	v_subrev_nc_u32_e32 v5, 29, v4
	v_dual_lshlrev_b32 v2, v5, v2 :: v_dual_sub_nc_u32 v4, 30, v4
	s_delay_alu instid0(VALU_DEP_1) | instskip(NEXT) | instid1(VALU_DEP_2)
	v_and_b32_e32 v2, 3, v2
	v_dual_cndmask_b32 v4, v6, v4 :: v_dual_lshlrev_b32 v5, 24, v10
	s_delay_alu instid0(VALU_DEP_2) | instskip(NEXT) | instid1(VALU_DEP_2)
	v_cndmask_b32_e32 v2, v3, v2, vcc_lo
	v_and_b32_e32 v3, 0x80000000, v5
	s_delay_alu instid0(VALU_DEP_3) | instskip(NEXT) | instid1(VALU_DEP_3)
	v_lshl_add_u32 v4, v4, 23, 0x37800000
	v_lshlrev_b32_e32 v2, 21, v2
	s_delay_alu instid0(VALU_DEP_1)
	v_or3_b32 v2, v3, v4, v2
.LBB244_168:
	s_or_b32 exec_lo, exec_lo, s0
	s_mov_b32 s0, 0
	s_mov_b32 s26, exec_lo
	v_cmpx_lt_i16_e32 0x7f, v1
	s_xor_b32 s26, exec_lo, s26
	s_cbranch_execnz .LBB244_449
; %bb.169:
	s_or_saveexec_b32 s26, s26
	v_mov_b32_e32 v3, 0x7f800001
	s_xor_b32 exec_lo, exec_lo, s26
	s_cbranch_execnz .LBB244_452
.LBB244_170:
	s_or_b32 exec_lo, exec_lo, s26
	s_and_saveexec_b32 s26, s0
	s_cbranch_execz .LBB244_172
.LBB244_171:
	v_and_b32_e32 v3, 0xffff, v1
	s_delay_alu instid0(VALU_DEP_1) | instskip(SKIP_1) | instid1(VALU_DEP_2)
	v_and_b32_e32 v4, 3, v3
	v_bfe_u32 v7, v3, 2, 5
	v_clz_i32_u32_e32 v5, v4
	s_delay_alu instid0(VALU_DEP_2) | instskip(NEXT) | instid1(VALU_DEP_2)
	v_cmp_eq_u32_e32 vcc_lo, 0, v7
	v_min_u32_e32 v5, 32, v5
	s_delay_alu instid0(VALU_DEP_1) | instskip(NEXT) | instid1(VALU_DEP_1)
	v_subrev_nc_u32_e32 v6, 29, v5
	v_dual_lshlrev_b32 v3, v6, v3 :: v_dual_sub_nc_u32 v5, 30, v5
	s_delay_alu instid0(VALU_DEP_1) | instskip(NEXT) | instid1(VALU_DEP_1)
	v_dual_lshlrev_b32 v6, 24, v1 :: v_dual_bitop2_b32 v3, 3, v3 bitop3:0x40
	v_dual_cndmask_b32 v3, v4, v3, vcc_lo :: v_dual_cndmask_b32 v5, v7, v5, vcc_lo
	s_delay_alu instid0(VALU_DEP_2) | instskip(NEXT) | instid1(VALU_DEP_2)
	v_and_b32_e32 v4, 0x80000000, v6
	v_lshlrev_b32_e32 v3, 21, v3
	s_delay_alu instid0(VALU_DEP_3) | instskip(NEXT) | instid1(VALU_DEP_1)
	v_lshl_add_u32 v5, v5, 23, 0x37800000
	v_or3_b32 v3, v4, v5, v3
.LBB244_172:
	s_or_b32 exec_lo, exec_lo, s26
	s_delay_alu instid0(VALU_DEP_1)
	v_cmp_neq_f32_e64 s0, v2, v3
	s_branch .LBB244_323
.LBB244_173:
                                        ; implicit-def: $sgpr12
	s_cbranch_execz .LBB244_33
; %bb.174:
	s_mov_b32 s0, 0
	s_mov_b32 s12, exec_lo
	v_cmpx_lt_i16_e32 0x7f, v32
	s_xor_b32 s12, exec_lo, s12
	s_cbranch_execnz .LBB244_461
; %bb.175:
	s_or_saveexec_b32 s12, s12
	v_mov_b32_e32 v33, 0x7f800001
	s_xor_b32 exec_lo, exec_lo, s12
	s_cbranch_execnz .LBB244_464
.LBB244_176:
	s_or_b32 exec_lo, exec_lo, s12
	s_and_saveexec_b32 s12, s0
	s_cbranch_execz .LBB244_178
.LBB244_177:
	v_and_b32_e32 v32, 3, v31
	v_lshrrev_b16 v34, 2, v31
	s_delay_alu instid0(VALU_DEP_2) | instskip(NEXT) | instid1(VALU_DEP_1)
	v_clz_i32_u32_e32 v33, v32
	v_min_u32_e32 v33, 32, v33
	s_delay_alu instid0(VALU_DEP_3) | instskip(NEXT) | instid1(VALU_DEP_2)
	v_and_b32_e32 v34, 31, v34
	v_subrev_nc_u32_e32 v35, 29, v33
	v_sub_nc_u32_e32 v33, 30, v33
	s_delay_alu instid0(VALU_DEP_3) | instskip(NEXT) | instid1(VALU_DEP_2)
	v_cmp_eq_u32_e32 vcc_lo, 0, v34
	v_dual_lshlrev_b32 v35, v35, v31 :: v_dual_cndmask_b32 v33, v34, v33, vcc_lo
	s_delay_alu instid0(VALU_DEP_1) | instskip(NEXT) | instid1(VALU_DEP_2)
	v_and_b32_e32 v35, 3, v35
	v_lshl_add_u32 v33, v33, 23, 0x37800000
	s_delay_alu instid0(VALU_DEP_2) | instskip(NEXT) | instid1(VALU_DEP_1)
	v_cndmask_b32_e32 v32, v32, v35, vcc_lo
	v_dual_lshlrev_b32 v31, 24, v31 :: v_dual_lshlrev_b32 v32, 21, v32
	s_delay_alu instid0(VALU_DEP_1) | instskip(NEXT) | instid1(VALU_DEP_1)
	v_and_b32_e32 v31, 0x80000000, v31
	v_or3_b32 v33, v31, v33, v32
.LBB244_178:
	s_or_b32 exec_lo, exec_lo, s12
	v_and_b32_e32 v32, 0xff, v30
	s_mov_b32 s0, 0
	s_mov_b32 s12, exec_lo
	s_delay_alu instid0(VALU_DEP_1)
	v_cmpx_lt_i16_e32 0x7f, v32
	s_xor_b32 s12, exec_lo, s12
	s_cbranch_execnz .LBB244_465
; %bb.179:
	s_or_saveexec_b32 s12, s12
	v_mov_b32_e32 v31, 0x7f800001
	s_xor_b32 exec_lo, exec_lo, s12
	s_cbranch_execnz .LBB244_468
.LBB244_180:
	s_or_b32 exec_lo, exec_lo, s12
	s_and_saveexec_b32 s12, s0
	s_cbranch_execz .LBB244_182
.LBB244_181:
	v_and_b32_e32 v31, 3, v30
	v_lshrrev_b16 v34, 2, v30
	s_delay_alu instid0(VALU_DEP_2) | instskip(NEXT) | instid1(VALU_DEP_1)
	v_clz_i32_u32_e32 v32, v31
	v_min_u32_e32 v32, 32, v32
	s_delay_alu instid0(VALU_DEP_3) | instskip(NEXT) | instid1(VALU_DEP_2)
	v_and_b32_e32 v34, 31, v34
	v_subrev_nc_u32_e32 v35, 29, v32
	v_sub_nc_u32_e32 v32, 30, v32
	s_delay_alu instid0(VALU_DEP_3) | instskip(NEXT) | instid1(VALU_DEP_3)
	v_cmp_eq_u32_e32 vcc_lo, 0, v34
	v_dual_lshlrev_b32 v35, v35, v30 :: v_dual_lshlrev_b32 v30, 24, v30
	s_delay_alu instid0(VALU_DEP_1) | instskip(NEXT) | instid1(VALU_DEP_2)
	v_dual_cndmask_b32 v32, v34, v32, vcc_lo :: v_dual_bitop2_b32 v35, 3, v35 bitop3:0x40
	v_and_b32_e32 v30, 0x80000000, v30
	s_delay_alu instid0(VALU_DEP_2) | instskip(NEXT) | instid1(VALU_DEP_3)
	v_cndmask_b32_e32 v31, v31, v35, vcc_lo
	v_lshl_add_u32 v32, v32, 23, 0x37800000
	s_delay_alu instid0(VALU_DEP_2) | instskip(NEXT) | instid1(VALU_DEP_1)
	v_lshlrev_b32_e32 v31, 21, v31
	v_or3_b32 v31, v30, v32, v31
.LBB244_182:
	s_or_b32 exec_lo, exec_lo, s12
	s_delay_alu instid0(VALU_DEP_1)
	v_cmp_eq_f32_e64 s12, v33, v31
	v_cmp_ne_u32_e32 vcc_lo, 1, v2
	v_and_b32_e32 v30, 0xff, v29
	s_cbranch_vccz .LBB244_34
.LBB244_183:
                                        ; implicit-def: $sgpr13
	s_cbranch_execz .LBB244_43
; %bb.184:
	s_mov_b32 s0, 0
	s_mov_b32 s13, exec_lo
	v_cmpx_lt_i16_e32 0x7f, v30
	s_xor_b32 s13, exec_lo, s13
	s_cbranch_execnz .LBB244_469
; %bb.185:
	s_or_saveexec_b32 s13, s13
	v_mov_b32_e32 v31, 0x7f800001
	s_xor_b32 exec_lo, exec_lo, s13
	s_cbranch_execnz .LBB244_472
.LBB244_186:
	s_or_b32 exec_lo, exec_lo, s13
	s_and_saveexec_b32 s13, s0
	s_cbranch_execz .LBB244_188
.LBB244_187:
	v_and_b32_e32 v30, 3, v29
	v_lshrrev_b16 v32, 2, v29
	s_delay_alu instid0(VALU_DEP_2) | instskip(NEXT) | instid1(VALU_DEP_1)
	v_clz_i32_u32_e32 v31, v30
	v_min_u32_e32 v31, 32, v31
	s_delay_alu instid0(VALU_DEP_3) | instskip(NEXT) | instid1(VALU_DEP_2)
	v_and_b32_e32 v32, 31, v32
	v_subrev_nc_u32_e32 v33, 29, v31
	v_sub_nc_u32_e32 v31, 30, v31
	s_delay_alu instid0(VALU_DEP_3) | instskip(NEXT) | instid1(VALU_DEP_2)
	v_cmp_eq_u32_e32 vcc_lo, 0, v32
	v_dual_lshlrev_b32 v33, v33, v29 :: v_dual_cndmask_b32 v31, v32, v31, vcc_lo
	s_delay_alu instid0(VALU_DEP_1) | instskip(NEXT) | instid1(VALU_DEP_2)
	v_and_b32_e32 v33, 3, v33
	v_lshl_add_u32 v31, v31, 23, 0x37800000
	s_delay_alu instid0(VALU_DEP_2) | instskip(NEXT) | instid1(VALU_DEP_1)
	v_cndmask_b32_e32 v30, v30, v33, vcc_lo
	v_dual_lshlrev_b32 v29, 24, v29 :: v_dual_lshlrev_b32 v30, 21, v30
	s_delay_alu instid0(VALU_DEP_1) | instskip(NEXT) | instid1(VALU_DEP_1)
	v_and_b32_e32 v29, 0x80000000, v29
	v_or3_b32 v31, v29, v31, v30
.LBB244_188:
	s_or_b32 exec_lo, exec_lo, s13
	v_and_b32_e32 v30, 0xff, v28
	s_mov_b32 s0, 0
	s_mov_b32 s13, exec_lo
	s_delay_alu instid0(VALU_DEP_1)
	v_cmpx_lt_i16_e32 0x7f, v30
	s_xor_b32 s13, exec_lo, s13
	s_cbranch_execnz .LBB244_473
; %bb.189:
	s_or_saveexec_b32 s13, s13
	v_mov_b32_e32 v29, 0x7f800001
	s_xor_b32 exec_lo, exec_lo, s13
	s_cbranch_execnz .LBB244_476
.LBB244_190:
	s_or_b32 exec_lo, exec_lo, s13
	s_and_saveexec_b32 s13, s0
	s_cbranch_execz .LBB244_192
.LBB244_191:
	v_and_b32_e32 v29, 3, v28
	v_lshrrev_b16 v32, 2, v28
	s_delay_alu instid0(VALU_DEP_2) | instskip(NEXT) | instid1(VALU_DEP_1)
	v_clz_i32_u32_e32 v30, v29
	v_min_u32_e32 v30, 32, v30
	s_delay_alu instid0(VALU_DEP_3) | instskip(NEXT) | instid1(VALU_DEP_2)
	v_and_b32_e32 v32, 31, v32
	v_subrev_nc_u32_e32 v33, 29, v30
	v_sub_nc_u32_e32 v30, 30, v30
	s_delay_alu instid0(VALU_DEP_3) | instskip(NEXT) | instid1(VALU_DEP_3)
	v_cmp_eq_u32_e32 vcc_lo, 0, v32
	v_dual_lshlrev_b32 v33, v33, v28 :: v_dual_lshlrev_b32 v28, 24, v28
	s_delay_alu instid0(VALU_DEP_1) | instskip(NEXT) | instid1(VALU_DEP_2)
	v_dual_cndmask_b32 v30, v32, v30, vcc_lo :: v_dual_bitop2_b32 v33, 3, v33 bitop3:0x40
	v_and_b32_e32 v28, 0x80000000, v28
	s_delay_alu instid0(VALU_DEP_2) | instskip(NEXT) | instid1(VALU_DEP_3)
	v_cndmask_b32_e32 v29, v29, v33, vcc_lo
	v_lshl_add_u32 v30, v30, 23, 0x37800000
	s_delay_alu instid0(VALU_DEP_2) | instskip(NEXT) | instid1(VALU_DEP_1)
	v_lshlrev_b32_e32 v29, 21, v29
	v_or3_b32 v29, v28, v30, v29
.LBB244_192:
	s_or_b32 exec_lo, exec_lo, s13
	s_delay_alu instid0(VALU_DEP_1)
	v_cmp_eq_f32_e64 s13, v31, v29
	v_cmp_ne_u32_e32 vcc_lo, 1, v2
	v_cmp_lt_i16_e64 s0, 0x7f, v27
	s_cbranch_vccz .LBB244_44
.LBB244_193:
                                        ; implicit-def: $sgpr14
	s_cbranch_execz .LBB244_53
; %bb.194:
	s_mov_b32 s0, 0
	s_mov_b32 s14, exec_lo
	v_cmpx_lt_i16_e32 0x7f, v27
	s_xor_b32 s14, exec_lo, s14
	s_cbranch_execnz .LBB244_477
; %bb.195:
	s_or_saveexec_b32 s14, s14
	v_mov_b32_e32 v28, 0x7f800001
	s_xor_b32 exec_lo, exec_lo, s14
	s_cbranch_execnz .LBB244_480
.LBB244_196:
	s_or_b32 exec_lo, exec_lo, s14
	s_and_saveexec_b32 s14, s0
	s_cbranch_execz .LBB244_198
.LBB244_197:
	v_and_b32_e32 v28, 0xffff, v27
	s_delay_alu instid0(VALU_DEP_1) | instskip(SKIP_1) | instid1(VALU_DEP_2)
	v_and_b32_e32 v29, 3, v28
	v_bfe_u32 v32, v28, 2, 5
	v_clz_i32_u32_e32 v30, v29
	s_delay_alu instid0(VALU_DEP_2) | instskip(NEXT) | instid1(VALU_DEP_2)
	v_cmp_eq_u32_e32 vcc_lo, 0, v32
	v_min_u32_e32 v30, 32, v30
	s_delay_alu instid0(VALU_DEP_1) | instskip(NEXT) | instid1(VALU_DEP_1)
	v_subrev_nc_u32_e32 v31, 29, v30
	v_dual_lshlrev_b32 v28, v31, v28 :: v_dual_sub_nc_u32 v30, 30, v30
	s_delay_alu instid0(VALU_DEP_1) | instskip(NEXT) | instid1(VALU_DEP_1)
	v_dual_lshlrev_b32 v27, 24, v27 :: v_dual_bitop2_b32 v28, 3, v28 bitop3:0x40
	v_dual_cndmask_b32 v30, v32, v30, vcc_lo :: v_dual_cndmask_b32 v28, v29, v28, vcc_lo
	s_delay_alu instid0(VALU_DEP_2) | instskip(NEXT) | instid1(VALU_DEP_2)
	v_and_b32_e32 v27, 0x80000000, v27
	v_lshl_add_u32 v29, v30, 23, 0x37800000
	s_delay_alu instid0(VALU_DEP_3) | instskip(NEXT) | instid1(VALU_DEP_1)
	v_lshlrev_b32_e32 v28, 21, v28
	v_or3_b32 v28, v27, v29, v28
.LBB244_198:
	s_or_b32 exec_lo, exec_lo, s14
	s_mov_b32 s0, 0
	s_mov_b32 s14, exec_lo
	v_cmpx_lt_i16_e32 0x7f, v26
	s_xor_b32 s14, exec_lo, s14
	s_cbranch_execnz .LBB244_481
; %bb.199:
	s_or_saveexec_b32 s14, s14
	v_mov_b32_e32 v27, 0x7f800001
	s_xor_b32 exec_lo, exec_lo, s14
	s_cbranch_execnz .LBB244_484
.LBB244_200:
	s_or_b32 exec_lo, exec_lo, s14
	s_and_saveexec_b32 s14, s0
	s_cbranch_execz .LBB244_202
.LBB244_201:
	v_and_b32_e32 v27, 0xffff, v26
	s_delay_alu instid0(VALU_DEP_1) | instskip(SKIP_1) | instid1(VALU_DEP_2)
	v_and_b32_e32 v29, 3, v27
	v_bfe_u32 v32, v27, 2, 5
	v_clz_i32_u32_e32 v30, v29
	s_delay_alu instid0(VALU_DEP_2) | instskip(NEXT) | instid1(VALU_DEP_2)
	v_cmp_eq_u32_e32 vcc_lo, 0, v32
	v_min_u32_e32 v30, 32, v30
	s_delay_alu instid0(VALU_DEP_1) | instskip(NEXT) | instid1(VALU_DEP_1)
	v_subrev_nc_u32_e32 v31, 29, v30
	v_dual_lshlrev_b32 v27, v31, v27 :: v_dual_sub_nc_u32 v30, 30, v30
	s_delay_alu instid0(VALU_DEP_1) | instskip(NEXT) | instid1(VALU_DEP_1)
	v_dual_lshlrev_b32 v26, 24, v26 :: v_dual_bitop2_b32 v27, 3, v27 bitop3:0x40
	v_dual_cndmask_b32 v27, v29, v27 :: v_dual_cndmask_b32 v30, v32, v30
	s_delay_alu instid0(VALU_DEP_2) | instskip(NEXT) | instid1(VALU_DEP_2)
	v_and_b32_e32 v26, 0x80000000, v26
	v_lshlrev_b32_e32 v27, 21, v27
	s_delay_alu instid0(VALU_DEP_3) | instskip(NEXT) | instid1(VALU_DEP_1)
	v_lshl_add_u32 v29, v30, 23, 0x37800000
	v_or3_b32 v27, v26, v29, v27
.LBB244_202:
	s_or_b32 exec_lo, exec_lo, s14
	s_delay_alu instid0(VALU_DEP_1)
	v_cmp_eq_f32_e64 s14, v28, v27
	v_cmp_ne_u32_e32 vcc_lo, 1, v2
	v_and_b32_e32 v26, 0xff, v7
	s_cbranch_vccz .LBB244_54
.LBB244_203:
                                        ; implicit-def: $sgpr15
	s_cbranch_execz .LBB244_63
; %bb.204:
	s_mov_b32 s0, 0
	s_mov_b32 s15, exec_lo
	v_cmpx_lt_i16_e32 0x7f, v26
	s_xor_b32 s15, exec_lo, s15
	s_cbranch_execnz .LBB244_485
; %bb.205:
	s_or_saveexec_b32 s15, s15
	v_mov_b32_e32 v27, 0x7f800001
	s_xor_b32 exec_lo, exec_lo, s15
	s_cbranch_execnz .LBB244_488
.LBB244_206:
	s_or_b32 exec_lo, exec_lo, s15
	s_and_saveexec_b32 s15, s0
	s_cbranch_execz .LBB244_208
.LBB244_207:
	v_and_b32_e32 v26, 3, v7
	v_lshrrev_b16 v28, 2, v7
	s_delay_alu instid0(VALU_DEP_2) | instskip(NEXT) | instid1(VALU_DEP_1)
	v_clz_i32_u32_e32 v27, v26
	v_min_u32_e32 v27, 32, v27
	s_delay_alu instid0(VALU_DEP_3) | instskip(NEXT) | instid1(VALU_DEP_2)
	v_and_b32_e32 v28, 31, v28
	v_subrev_nc_u32_e32 v29, 29, v27
	v_sub_nc_u32_e32 v27, 30, v27
	s_delay_alu instid0(VALU_DEP_3) | instskip(NEXT) | instid1(VALU_DEP_3)
	v_cmp_eq_u32_e32 vcc_lo, 0, v28
	v_dual_lshlrev_b32 v29, v29, v7 :: v_dual_lshlrev_b32 v7, 24, v7
	s_delay_alu instid0(VALU_DEP_1) | instskip(NEXT) | instid1(VALU_DEP_2)
	v_dual_cndmask_b32 v27, v28, v27, vcc_lo :: v_dual_bitop2_b32 v29, 3, v29 bitop3:0x40
	v_and_b32_e32 v7, 0x80000000, v7
	s_delay_alu instid0(VALU_DEP_2) | instskip(NEXT) | instid1(VALU_DEP_3)
	v_cndmask_b32_e32 v26, v26, v29, vcc_lo
	v_lshl_add_u32 v27, v27, 23, 0x37800000
	s_delay_alu instid0(VALU_DEP_2) | instskip(NEXT) | instid1(VALU_DEP_1)
	v_lshlrev_b32_e32 v26, 21, v26
	v_or3_b32 v27, v7, v27, v26
.LBB244_208:
	s_or_b32 exec_lo, exec_lo, s15
	v_and_b32_e32 v26, 0xff, v3
	s_mov_b32 s0, 0
	s_mov_b32 s15, exec_lo
	s_delay_alu instid0(VALU_DEP_1)
	v_cmpx_lt_i16_e32 0x7f, v26
	s_xor_b32 s15, exec_lo, s15
	s_cbranch_execnz .LBB244_489
; %bb.209:
	s_or_saveexec_b32 s15, s15
	v_mov_b32_e32 v7, 0x7f800001
	s_xor_b32 exec_lo, exec_lo, s15
	s_cbranch_execnz .LBB244_492
.LBB244_210:
	s_or_b32 exec_lo, exec_lo, s15
	s_and_saveexec_b32 s15, s0
	s_cbranch_execz .LBB244_212
.LBB244_211:
	v_and_b32_e32 v7, 3, v3
	v_lshrrev_b16 v28, 2, v3
	s_delay_alu instid0(VALU_DEP_2) | instskip(NEXT) | instid1(VALU_DEP_1)
	v_clz_i32_u32_e32 v26, v7
	v_min_u32_e32 v26, 32, v26
	s_delay_alu instid0(VALU_DEP_3) | instskip(NEXT) | instid1(VALU_DEP_2)
	v_and_b32_e32 v28, 31, v28
	v_subrev_nc_u32_e32 v29, 29, v26
	v_sub_nc_u32_e32 v26, 30, v26
	s_delay_alu instid0(VALU_DEP_3) | instskip(NEXT) | instid1(VALU_DEP_3)
	v_cmp_eq_u32_e32 vcc_lo, 0, v28
	v_dual_lshlrev_b32 v29, v29, v3 :: v_dual_lshlrev_b32 v3, 24, v3
	s_delay_alu instid0(VALU_DEP_1) | instskip(NEXT) | instid1(VALU_DEP_2)
	v_dual_cndmask_b32 v26, v28, v26, vcc_lo :: v_dual_bitop2_b32 v29, 3, v29 bitop3:0x40
	v_and_b32_e32 v3, 0x80000000, v3
	s_delay_alu instid0(VALU_DEP_2) | instskip(NEXT) | instid1(VALU_DEP_3)
	v_cndmask_b32_e32 v7, v7, v29, vcc_lo
	v_lshl_add_u32 v26, v26, 23, 0x37800000
	s_delay_alu instid0(VALU_DEP_2) | instskip(NEXT) | instid1(VALU_DEP_1)
	v_lshlrev_b32_e32 v7, 21, v7
	v_or3_b32 v7, v3, v26, v7
.LBB244_212:
	s_or_b32 exec_lo, exec_lo, s15
	s_delay_alu instid0(VALU_DEP_1)
	v_cmp_eq_f32_e64 s15, v27, v7
	v_cmp_ne_u32_e32 vcc_lo, 1, v2
	v_and_b32_e32 v3, 0xff, v25
	s_cbranch_vccz .LBB244_64
.LBB244_213:
                                        ; implicit-def: $sgpr16
	s_cbranch_execz .LBB244_73
; %bb.214:
	s_mov_b32 s0, 0
	s_mov_b32 s16, exec_lo
	v_cmpx_lt_i16_e32 0x7f, v3
	s_xor_b32 s16, exec_lo, s16
	s_cbranch_execnz .LBB244_493
; %bb.215:
	s_or_saveexec_b32 s16, s16
	v_mov_b32_e32 v7, 0x7f800001
	s_xor_b32 exec_lo, exec_lo, s16
	s_cbranch_execnz .LBB244_496
.LBB244_216:
	s_or_b32 exec_lo, exec_lo, s16
	s_and_saveexec_b32 s16, s0
	s_cbranch_execz .LBB244_218
.LBB244_217:
	v_and_b32_e32 v3, 3, v25
	v_lshrrev_b16 v26, 2, v25
	s_delay_alu instid0(VALU_DEP_2) | instskip(NEXT) | instid1(VALU_DEP_1)
	v_clz_i32_u32_e32 v7, v3
	v_min_u32_e32 v7, 32, v7
	s_delay_alu instid0(VALU_DEP_3) | instskip(NEXT) | instid1(VALU_DEP_2)
	v_and_b32_e32 v26, 31, v26
	v_subrev_nc_u32_e32 v27, 29, v7
	v_sub_nc_u32_e32 v7, 30, v7
	s_delay_alu instid0(VALU_DEP_3) | instskip(NEXT) | instid1(VALU_DEP_3)
	v_cmp_eq_u32_e32 vcc_lo, 0, v26
	v_dual_lshlrev_b32 v27, v27, v25 :: v_dual_lshlrev_b32 v25, 24, v25
	s_delay_alu instid0(VALU_DEP_3) | instskip(NEXT) | instid1(VALU_DEP_2)
	v_cndmask_b32_e32 v7, v26, v7, vcc_lo
	v_and_b32_e32 v27, 3, v27
	s_delay_alu instid0(VALU_DEP_3) | instskip(NEXT) | instid1(VALU_DEP_3)
	v_and_b32_e32 v25, 0x80000000, v25
	v_lshl_add_u32 v7, v7, 23, 0x37800000
	s_delay_alu instid0(VALU_DEP_3) | instskip(NEXT) | instid1(VALU_DEP_1)
	v_cndmask_b32_e32 v3, v3, v27, vcc_lo
	v_lshlrev_b32_e32 v3, 21, v3
	s_delay_alu instid0(VALU_DEP_1)
	v_or3_b32 v7, v25, v7, v3
.LBB244_218:
	s_or_b32 exec_lo, exec_lo, s16
	v_and_b32_e32 v25, 0xff, v24
	s_mov_b32 s0, 0
	s_mov_b32 s16, exec_lo
	s_delay_alu instid0(VALU_DEP_1)
	v_cmpx_lt_i16_e32 0x7f, v25
	s_xor_b32 s16, exec_lo, s16
	s_cbranch_execnz .LBB244_497
; %bb.219:
	s_or_saveexec_b32 s16, s16
	v_mov_b32_e32 v3, 0x7f800001
	s_xor_b32 exec_lo, exec_lo, s16
	s_cbranch_execnz .LBB244_500
.LBB244_220:
	s_or_b32 exec_lo, exec_lo, s16
	s_and_saveexec_b32 s16, s0
	s_cbranch_execz .LBB244_222
.LBB244_221:
	v_and_b32_e32 v3, 3, v24
	v_lshrrev_b16 v26, 2, v24
	s_delay_alu instid0(VALU_DEP_2) | instskip(NEXT) | instid1(VALU_DEP_1)
	v_clz_i32_u32_e32 v25, v3
	v_min_u32_e32 v25, 32, v25
	s_delay_alu instid0(VALU_DEP_3) | instskip(NEXT) | instid1(VALU_DEP_2)
	v_and_b32_e32 v26, 31, v26
	v_subrev_nc_u32_e32 v27, 29, v25
	v_sub_nc_u32_e32 v25, 30, v25
	s_delay_alu instid0(VALU_DEP_3) | instskip(NEXT) | instid1(VALU_DEP_3)
	v_cmp_eq_u32_e32 vcc_lo, 0, v26
	v_dual_lshlrev_b32 v27, v27, v24 :: v_dual_lshlrev_b32 v24, 24, v24
	s_delay_alu instid0(VALU_DEP_1) | instskip(NEXT) | instid1(VALU_DEP_2)
	v_dual_cndmask_b32 v25, v26, v25, vcc_lo :: v_dual_bitop2_b32 v27, 3, v27 bitop3:0x40
	v_and_b32_e32 v24, 0x80000000, v24
	s_delay_alu instid0(VALU_DEP_2) | instskip(NEXT) | instid1(VALU_DEP_3)
	v_cndmask_b32_e32 v3, v3, v27, vcc_lo
	v_lshl_add_u32 v25, v25, 23, 0x37800000
	s_delay_alu instid0(VALU_DEP_2) | instskip(NEXT) | instid1(VALU_DEP_1)
	v_lshlrev_b32_e32 v3, 21, v3
	v_or3_b32 v3, v24, v25, v3
.LBB244_222:
	s_or_b32 exec_lo, exec_lo, s16
	s_delay_alu instid0(VALU_DEP_1)
	v_cmp_eq_f32_e64 s16, v7, v3
	v_cmp_ne_u32_e32 vcc_lo, 1, v2
	v_and_b32_e32 v3, 0xff, v23
	s_cbranch_vccz .LBB244_74
.LBB244_223:
                                        ; implicit-def: $sgpr17
	s_cbranch_execz .LBB244_83
; %bb.224:
	s_mov_b32 s0, 0
	s_mov_b32 s17, exec_lo
	v_cmpx_lt_i16_e32 0x7f, v3
	s_xor_b32 s17, exec_lo, s17
	s_cbranch_execnz .LBB244_501
; %bb.225:
	s_or_saveexec_b32 s17, s17
	v_mov_b32_e32 v7, 0x7f800001
	s_xor_b32 exec_lo, exec_lo, s17
	s_cbranch_execnz .LBB244_504
.LBB244_226:
	s_or_b32 exec_lo, exec_lo, s17
	s_and_saveexec_b32 s17, s0
	s_cbranch_execz .LBB244_228
.LBB244_227:
	v_and_b32_e32 v3, 3, v23
	v_lshrrev_b16 v24, 2, v23
	s_delay_alu instid0(VALU_DEP_2) | instskip(NEXT) | instid1(VALU_DEP_1)
	v_clz_i32_u32_e32 v7, v3
	v_min_u32_e32 v7, 32, v7
	s_delay_alu instid0(VALU_DEP_3) | instskip(NEXT) | instid1(VALU_DEP_2)
	v_and_b32_e32 v24, 31, v24
	v_subrev_nc_u32_e32 v25, 29, v7
	v_sub_nc_u32_e32 v7, 30, v7
	s_delay_alu instid0(VALU_DEP_3) | instskip(NEXT) | instid1(VALU_DEP_3)
	v_cmp_eq_u32_e32 vcc_lo, 0, v24
	v_dual_lshlrev_b32 v25, v25, v23 :: v_dual_lshlrev_b32 v23, 24, v23
	s_delay_alu instid0(VALU_DEP_1) | instskip(NEXT) | instid1(VALU_DEP_2)
	v_dual_cndmask_b32 v7, v24, v7, vcc_lo :: v_dual_bitop2_b32 v25, 3, v25 bitop3:0x40
	v_and_b32_e32 v23, 0x80000000, v23
	s_delay_alu instid0(VALU_DEP_2) | instskip(NEXT) | instid1(VALU_DEP_3)
	v_cndmask_b32_e32 v3, v3, v25, vcc_lo
	v_lshl_add_u32 v7, v7, 23, 0x37800000
	s_delay_alu instid0(VALU_DEP_2) | instskip(NEXT) | instid1(VALU_DEP_1)
	v_lshlrev_b32_e32 v3, 21, v3
	v_or3_b32 v7, v23, v7, v3
.LBB244_228:
	s_or_b32 exec_lo, exec_lo, s17
	v_and_b32_e32 v23, 0xff, v22
	s_mov_b32 s0, 0
	s_mov_b32 s17, exec_lo
	s_delay_alu instid0(VALU_DEP_1)
	v_cmpx_lt_i16_e32 0x7f, v23
	s_xor_b32 s17, exec_lo, s17
	s_cbranch_execnz .LBB244_505
; %bb.229:
	s_or_saveexec_b32 s17, s17
	v_mov_b32_e32 v3, 0x7f800001
	s_xor_b32 exec_lo, exec_lo, s17
	s_cbranch_execnz .LBB244_508
.LBB244_230:
	s_or_b32 exec_lo, exec_lo, s17
	s_and_saveexec_b32 s17, s0
	s_cbranch_execz .LBB244_232
.LBB244_231:
	v_and_b32_e32 v3, 3, v22
	v_lshrrev_b16 v24, 2, v22
	s_delay_alu instid0(VALU_DEP_2) | instskip(NEXT) | instid1(VALU_DEP_1)
	v_clz_i32_u32_e32 v23, v3
	v_min_u32_e32 v23, 32, v23
	s_delay_alu instid0(VALU_DEP_3) | instskip(NEXT) | instid1(VALU_DEP_2)
	v_and_b32_e32 v24, 31, v24
	v_subrev_nc_u32_e32 v25, 29, v23
	v_sub_nc_u32_e32 v23, 30, v23
	s_delay_alu instid0(VALU_DEP_3) | instskip(NEXT) | instid1(VALU_DEP_3)
	v_cmp_eq_u32_e32 vcc_lo, 0, v24
	v_dual_lshlrev_b32 v25, v25, v22 :: v_dual_lshlrev_b32 v22, 24, v22
	s_delay_alu instid0(VALU_DEP_1) | instskip(NEXT) | instid1(VALU_DEP_2)
	v_dual_cndmask_b32 v23, v24, v23, vcc_lo :: v_dual_bitop2_b32 v25, 3, v25 bitop3:0x40
	v_and_b32_e32 v22, 0x80000000, v22
	s_delay_alu instid0(VALU_DEP_2) | instskip(NEXT) | instid1(VALU_DEP_3)
	v_cndmask_b32_e32 v3, v3, v25, vcc_lo
	v_lshl_add_u32 v23, v23, 23, 0x37800000
	s_delay_alu instid0(VALU_DEP_2) | instskip(NEXT) | instid1(VALU_DEP_1)
	v_lshlrev_b32_e32 v3, 21, v3
	v_or3_b32 v3, v22, v23, v3
.LBB244_232:
	s_or_b32 exec_lo, exec_lo, s17
	s_delay_alu instid0(VALU_DEP_1)
	v_cmp_eq_f32_e64 s17, v7, v3
	v_cmp_ne_u32_e32 vcc_lo, 1, v2
	v_cmp_lt_i16_e64 s0, 0x7f, v21
	s_cbranch_vccz .LBB244_84
.LBB244_233:
                                        ; implicit-def: $sgpr18
	s_cbranch_execz .LBB244_93
; %bb.234:
	s_mov_b32 s0, 0
	s_mov_b32 s18, exec_lo
	v_cmpx_lt_i16_e32 0x7f, v21
	s_xor_b32 s18, exec_lo, s18
	s_cbranch_execnz .LBB244_509
; %bb.235:
	s_or_saveexec_b32 s18, s18
	v_mov_b32_e32 v3, 0x7f800001
	s_xor_b32 exec_lo, exec_lo, s18
	s_cbranch_execnz .LBB244_512
.LBB244_236:
	s_or_b32 exec_lo, exec_lo, s18
	s_and_saveexec_b32 s18, s0
	s_cbranch_execz .LBB244_238
.LBB244_237:
	v_and_b32_e32 v3, 0xffff, v21
	s_delay_alu instid0(VALU_DEP_1) | instskip(SKIP_1) | instid1(VALU_DEP_2)
	v_and_b32_e32 v7, 3, v3
	v_bfe_u32 v24, v3, 2, 5
	v_clz_i32_u32_e32 v22, v7
	s_delay_alu instid0(VALU_DEP_2) | instskip(NEXT) | instid1(VALU_DEP_2)
	v_cmp_eq_u32_e32 vcc_lo, 0, v24
	v_min_u32_e32 v22, 32, v22
	s_delay_alu instid0(VALU_DEP_1) | instskip(NEXT) | instid1(VALU_DEP_1)
	v_subrev_nc_u32_e32 v23, 29, v22
	v_dual_lshlrev_b32 v3, v23, v3 :: v_dual_sub_nc_u32 v22, 30, v22
	s_delay_alu instid0(VALU_DEP_1) | instskip(NEXT) | instid1(VALU_DEP_1)
	v_dual_lshlrev_b32 v21, 24, v21 :: v_dual_bitop2_b32 v3, 3, v3 bitop3:0x40
	v_dual_cndmask_b32 v22, v24, v22 :: v_dual_cndmask_b32 v3, v7, v3
	s_delay_alu instid0(VALU_DEP_2) | instskip(NEXT) | instid1(VALU_DEP_2)
	v_and_b32_e32 v7, 0x80000000, v21
	v_lshl_add_u32 v21, v22, 23, 0x37800000
	s_delay_alu instid0(VALU_DEP_3) | instskip(NEXT) | instid1(VALU_DEP_1)
	v_lshlrev_b32_e32 v3, 21, v3
	v_or3_b32 v3, v7, v21, v3
.LBB244_238:
	s_or_b32 exec_lo, exec_lo, s18
	s_mov_b32 s0, 0
	s_mov_b32 s18, exec_lo
	v_cmpx_lt_i16_e32 0x7f, v20
	s_xor_b32 s18, exec_lo, s18
	s_cbranch_execnz .LBB244_513
; %bb.239:
	s_or_saveexec_b32 s18, s18
	v_mov_b32_e32 v7, 0x7f800001
	s_xor_b32 exec_lo, exec_lo, s18
	s_cbranch_execnz .LBB244_516
.LBB244_240:
	s_or_b32 exec_lo, exec_lo, s18
	s_and_saveexec_b32 s18, s0
	s_cbranch_execz .LBB244_242
.LBB244_241:
	v_and_b32_e32 v7, 0xffff, v20
	s_delay_alu instid0(VALU_DEP_1) | instskip(SKIP_1) | instid1(VALU_DEP_2)
	v_and_b32_e32 v21, 3, v7
	v_bfe_u32 v24, v7, 2, 5
	v_clz_i32_u32_e32 v22, v21
	s_delay_alu instid0(VALU_DEP_2) | instskip(NEXT) | instid1(VALU_DEP_2)
	v_cmp_eq_u32_e32 vcc_lo, 0, v24
	v_min_u32_e32 v22, 32, v22
	s_delay_alu instid0(VALU_DEP_1) | instskip(NEXT) | instid1(VALU_DEP_1)
	v_subrev_nc_u32_e32 v23, 29, v22
	v_dual_lshlrev_b32 v7, v23, v7 :: v_dual_sub_nc_u32 v22, 30, v22
	s_delay_alu instid0(VALU_DEP_1) | instskip(NEXT) | instid1(VALU_DEP_1)
	v_dual_lshlrev_b32 v20, 24, v20 :: v_dual_bitop2_b32 v7, 3, v7 bitop3:0x40
	v_dual_cndmask_b32 v22, v24, v22 :: v_dual_cndmask_b32 v7, v21, v7
	s_delay_alu instid0(VALU_DEP_2) | instskip(NEXT) | instid1(VALU_DEP_2)
	v_and_b32_e32 v20, 0x80000000, v20
	v_lshl_add_u32 v21, v22, 23, 0x37800000
	s_delay_alu instid0(VALU_DEP_3) | instskip(NEXT) | instid1(VALU_DEP_1)
	v_lshlrev_b32_e32 v7, 21, v7
	v_or3_b32 v7, v20, v21, v7
.LBB244_242:
	s_or_b32 exec_lo, exec_lo, s18
	s_delay_alu instid0(VALU_DEP_1)
	v_cmp_eq_f32_e64 s18, v3, v7
	v_cmp_ne_u32_e32 vcc_lo, 1, v2
	v_and_b32_e32 v3, 0xff, v8
	s_cbranch_vccz .LBB244_94
.LBB244_243:
                                        ; implicit-def: $sgpr19
	s_cbranch_execz .LBB244_103
; %bb.244:
	s_mov_b32 s0, 0
	s_mov_b32 s19, exec_lo
	v_cmpx_lt_i16_e32 0x7f, v3
	s_xor_b32 s19, exec_lo, s19
	s_cbranch_execnz .LBB244_517
; %bb.245:
	s_or_saveexec_b32 s19, s19
	v_mov_b32_e32 v7, 0x7f800001
	s_xor_b32 exec_lo, exec_lo, s19
	s_cbranch_execnz .LBB244_520
.LBB244_246:
	s_or_b32 exec_lo, exec_lo, s19
	s_and_saveexec_b32 s19, s0
	s_cbranch_execz .LBB244_248
.LBB244_247:
	v_and_b32_e32 v3, 3, v8
	v_lshrrev_b16 v20, 2, v8
	s_delay_alu instid0(VALU_DEP_2) | instskip(NEXT) | instid1(VALU_DEP_1)
	v_clz_i32_u32_e32 v7, v3
	v_min_u32_e32 v7, 32, v7
	s_delay_alu instid0(VALU_DEP_3) | instskip(NEXT) | instid1(VALU_DEP_2)
	v_and_b32_e32 v20, 31, v20
	v_subrev_nc_u32_e32 v21, 29, v7
	v_sub_nc_u32_e32 v7, 30, v7
	s_delay_alu instid0(VALU_DEP_3) | instskip(NEXT) | instid1(VALU_DEP_3)
	v_cmp_eq_u32_e32 vcc_lo, 0, v20
	v_dual_lshlrev_b32 v21, v21, v8 :: v_dual_lshlrev_b32 v8, 24, v8
	s_delay_alu instid0(VALU_DEP_1) | instskip(NEXT) | instid1(VALU_DEP_2)
	v_dual_cndmask_b32 v7, v20, v7, vcc_lo :: v_dual_bitop2_b32 v21, 3, v21 bitop3:0x40
	v_and_b32_e32 v8, 0x80000000, v8
	s_delay_alu instid0(VALU_DEP_2) | instskip(NEXT) | instid1(VALU_DEP_3)
	v_cndmask_b32_e32 v3, v3, v21, vcc_lo
	v_lshl_add_u32 v7, v7, 23, 0x37800000
	s_delay_alu instid0(VALU_DEP_2) | instskip(NEXT) | instid1(VALU_DEP_1)
	v_lshlrev_b32_e32 v3, 21, v3
	v_or3_b32 v7, v8, v7, v3
.LBB244_248:
	s_or_b32 exec_lo, exec_lo, s19
	v_and_b32_e32 v8, 0xff, v4
	s_mov_b32 s0, 0
	s_mov_b32 s19, exec_lo
	s_delay_alu instid0(VALU_DEP_1)
	v_cmpx_lt_i16_e32 0x7f, v8
	s_xor_b32 s19, exec_lo, s19
	s_cbranch_execnz .LBB244_521
; %bb.249:
	s_or_saveexec_b32 s19, s19
	v_mov_b32_e32 v3, 0x7f800001
	s_xor_b32 exec_lo, exec_lo, s19
	s_cbranch_execnz .LBB244_524
.LBB244_250:
	s_or_b32 exec_lo, exec_lo, s19
	s_and_saveexec_b32 s19, s0
	s_cbranch_execz .LBB244_252
.LBB244_251:
	v_and_b32_e32 v3, 3, v4
	v_lshrrev_b16 v20, 2, v4
	s_delay_alu instid0(VALU_DEP_2) | instskip(NEXT) | instid1(VALU_DEP_1)
	v_clz_i32_u32_e32 v8, v3
	v_min_u32_e32 v8, 32, v8
	s_delay_alu instid0(VALU_DEP_1) | instskip(NEXT) | instid1(VALU_DEP_1)
	v_subrev_nc_u32_e32 v21, 29, v8
	v_lshlrev_b32_e32 v21, v21, v4
	s_delay_alu instid0(VALU_DEP_1) | instskip(SKIP_1) | instid1(VALU_DEP_1)
	v_dual_sub_nc_u32 v8, 30, v8 :: v_dual_bitop2_b32 v21, 3, v21 bitop3:0x40
	v_and_b32_e32 v20, 31, v20
	v_cmp_eq_u32_e32 vcc_lo, 0, v20
	s_delay_alu instid0(VALU_DEP_3) | instskip(NEXT) | instid1(VALU_DEP_1)
	v_dual_cndmask_b32 v3, v3, v21 :: v_dual_lshlrev_b32 v4, 24, v4
	v_dual_cndmask_b32 v8, v20, v8 :: v_dual_lshlrev_b32 v3, 21, v3
	s_delay_alu instid0(VALU_DEP_2) | instskip(NEXT) | instid1(VALU_DEP_2)
	v_and_b32_e32 v4, 0x80000000, v4
	v_lshl_add_u32 v8, v8, 23, 0x37800000
	s_delay_alu instid0(VALU_DEP_1)
	v_or3_b32 v3, v4, v8, v3
.LBB244_252:
	s_or_b32 exec_lo, exec_lo, s19
	s_delay_alu instid0(VALU_DEP_1)
	v_cmp_eq_f32_e64 s19, v7, v3
	v_cmp_ne_u32_e32 vcc_lo, 1, v2
	v_and_b32_e32 v3, 0xff, v19
	s_cbranch_vccz .LBB244_104
.LBB244_253:
                                        ; implicit-def: $sgpr20
	s_cbranch_execz .LBB244_113
; %bb.254:
	s_mov_b32 s0, 0
	s_mov_b32 s20, exec_lo
	v_cmpx_lt_i16_e32 0x7f, v3
	s_xor_b32 s20, exec_lo, s20
	s_cbranch_execnz .LBB244_525
; %bb.255:
	s_or_saveexec_b32 s20, s20
	v_mov_b32_e32 v4, 0x7f800001
	s_xor_b32 exec_lo, exec_lo, s20
	s_cbranch_execnz .LBB244_528
.LBB244_256:
	s_or_b32 exec_lo, exec_lo, s20
	s_and_saveexec_b32 s20, s0
	s_cbranch_execz .LBB244_258
.LBB244_257:
	v_and_b32_e32 v3, 3, v19
	v_lshrrev_b16 v7, 2, v19
	s_delay_alu instid0(VALU_DEP_2) | instskip(NEXT) | instid1(VALU_DEP_1)
	v_clz_i32_u32_e32 v4, v3
	v_min_u32_e32 v4, 32, v4
	s_delay_alu instid0(VALU_DEP_3) | instskip(NEXT) | instid1(VALU_DEP_2)
	v_and_b32_e32 v7, 31, v7
	v_subrev_nc_u32_e32 v8, 29, v4
	v_sub_nc_u32_e32 v4, 30, v4
	s_delay_alu instid0(VALU_DEP_3) | instskip(NEXT) | instid1(VALU_DEP_3)
	v_cmp_eq_u32_e32 vcc_lo, 0, v7
	v_dual_lshlrev_b32 v8, v8, v19 :: v_dual_lshlrev_b32 v19, 24, v19
	s_delay_alu instid0(VALU_DEP_1) | instskip(NEXT) | instid1(VALU_DEP_1)
	v_and_b32_e32 v8, 3, v8
	v_cndmask_b32_e32 v3, v3, v8, vcc_lo
	v_cndmask_b32_e32 v4, v7, v4, vcc_lo
	s_delay_alu instid0(VALU_DEP_4) | instskip(NEXT) | instid1(VALU_DEP_3)
	v_and_b32_e32 v7, 0x80000000, v19
	v_lshlrev_b32_e32 v3, 21, v3
	s_delay_alu instid0(VALU_DEP_3) | instskip(NEXT) | instid1(VALU_DEP_1)
	v_lshl_add_u32 v4, v4, 23, 0x37800000
	v_or3_b32 v4, v7, v4, v3
.LBB244_258:
	s_or_b32 exec_lo, exec_lo, s20
	v_and_b32_e32 v7, 0xff, v18
	s_mov_b32 s0, 0
	s_mov_b32 s20, exec_lo
	s_delay_alu instid0(VALU_DEP_1)
	v_cmpx_lt_i16_e32 0x7f, v7
	s_xor_b32 s20, exec_lo, s20
	s_cbranch_execnz .LBB244_529
; %bb.259:
	s_or_saveexec_b32 s20, s20
	v_mov_b32_e32 v3, 0x7f800001
	s_xor_b32 exec_lo, exec_lo, s20
	s_cbranch_execnz .LBB244_532
.LBB244_260:
	s_or_b32 exec_lo, exec_lo, s20
	s_and_saveexec_b32 s20, s0
	s_cbranch_execz .LBB244_262
.LBB244_261:
	v_and_b32_e32 v3, 3, v18
	v_lshrrev_b16 v8, 2, v18
	s_delay_alu instid0(VALU_DEP_2) | instskip(NEXT) | instid1(VALU_DEP_1)
	v_clz_i32_u32_e32 v7, v3
	v_min_u32_e32 v7, 32, v7
	s_delay_alu instid0(VALU_DEP_3) | instskip(NEXT) | instid1(VALU_DEP_2)
	v_and_b32_e32 v8, 31, v8
	v_subrev_nc_u32_e32 v19, 29, v7
	v_sub_nc_u32_e32 v7, 30, v7
	s_delay_alu instid0(VALU_DEP_3) | instskip(NEXT) | instid1(VALU_DEP_3)
	v_cmp_eq_u32_e32 vcc_lo, 0, v8
	v_dual_lshlrev_b32 v19, v19, v18 :: v_dual_lshlrev_b32 v18, 24, v18
	s_delay_alu instid0(VALU_DEP_3) | instskip(NEXT) | instid1(VALU_DEP_2)
	v_cndmask_b32_e32 v7, v8, v7, vcc_lo
	v_and_b32_e32 v19, 3, v19
	s_delay_alu instid0(VALU_DEP_3) | instskip(NEXT) | instid1(VALU_DEP_3)
	v_and_b32_e32 v8, 0x80000000, v18
	v_lshl_add_u32 v7, v7, 23, 0x37800000
	s_delay_alu instid0(VALU_DEP_3) | instskip(NEXT) | instid1(VALU_DEP_1)
	v_cndmask_b32_e32 v3, v3, v19, vcc_lo
	v_lshlrev_b32_e32 v3, 21, v3
	s_delay_alu instid0(VALU_DEP_1)
	v_or3_b32 v3, v8, v7, v3
.LBB244_262:
	s_or_b32 exec_lo, exec_lo, s20
	s_delay_alu instid0(VALU_DEP_1)
	v_cmp_eq_f32_e64 s20, v4, v3
	v_cmp_ne_u32_e32 vcc_lo, 1, v2
	v_and_b32_e32 v3, 0xff, v17
	s_cbranch_vccz .LBB244_114
.LBB244_263:
                                        ; implicit-def: $sgpr21
	s_cbranch_execz .LBB244_123
; %bb.264:
	s_mov_b32 s0, 0
	s_mov_b32 s21, exec_lo
	v_cmpx_lt_i16_e32 0x7f, v3
	s_xor_b32 s21, exec_lo, s21
	s_cbranch_execnz .LBB244_533
; %bb.265:
	s_or_saveexec_b32 s21, s21
	v_mov_b32_e32 v4, 0x7f800001
	s_xor_b32 exec_lo, exec_lo, s21
	s_cbranch_execnz .LBB244_536
.LBB244_266:
	s_or_b32 exec_lo, exec_lo, s21
	s_and_saveexec_b32 s21, s0
	s_cbranch_execz .LBB244_268
.LBB244_267:
	v_and_b32_e32 v3, 3, v17
	v_lshrrev_b16 v7, 2, v17
	s_delay_alu instid0(VALU_DEP_2) | instskip(NEXT) | instid1(VALU_DEP_1)
	v_clz_i32_u32_e32 v4, v3
	v_min_u32_e32 v4, 32, v4
	s_delay_alu instid0(VALU_DEP_3) | instskip(NEXT) | instid1(VALU_DEP_2)
	v_and_b32_e32 v7, 31, v7
	v_subrev_nc_u32_e32 v8, 29, v4
	v_sub_nc_u32_e32 v4, 30, v4
	s_delay_alu instid0(VALU_DEP_3) | instskip(NEXT) | instid1(VALU_DEP_3)
	v_cmp_eq_u32_e32 vcc_lo, 0, v7
	v_dual_lshlrev_b32 v8, v8, v17 :: v_dual_lshlrev_b32 v17, 24, v17
	s_delay_alu instid0(VALU_DEP_1) | instskip(NEXT) | instid1(VALU_DEP_1)
	v_and_b32_e32 v8, 3, v8
	v_cndmask_b32_e32 v3, v3, v8, vcc_lo
	v_cndmask_b32_e32 v4, v7, v4, vcc_lo
	s_delay_alu instid0(VALU_DEP_4) | instskip(NEXT) | instid1(VALU_DEP_3)
	v_and_b32_e32 v7, 0x80000000, v17
	v_lshlrev_b32_e32 v3, 21, v3
	s_delay_alu instid0(VALU_DEP_3) | instskip(NEXT) | instid1(VALU_DEP_1)
	v_lshl_add_u32 v4, v4, 23, 0x37800000
	v_or3_b32 v4, v7, v4, v3
.LBB244_268:
	s_or_b32 exec_lo, exec_lo, s21
	v_and_b32_e32 v7, 0xff, v16
	s_mov_b32 s0, 0
	s_mov_b32 s21, exec_lo
	s_delay_alu instid0(VALU_DEP_1)
	v_cmpx_lt_i16_e32 0x7f, v7
	s_xor_b32 s21, exec_lo, s21
	s_cbranch_execnz .LBB244_537
; %bb.269:
	s_or_saveexec_b32 s21, s21
	v_mov_b32_e32 v3, 0x7f800001
	s_xor_b32 exec_lo, exec_lo, s21
	s_cbranch_execnz .LBB244_540
.LBB244_270:
	s_or_b32 exec_lo, exec_lo, s21
	s_and_saveexec_b32 s21, s0
	s_cbranch_execz .LBB244_272
.LBB244_271:
	v_and_b32_e32 v3, 3, v16
	v_lshrrev_b16 v8, 2, v16
	s_delay_alu instid0(VALU_DEP_2) | instskip(NEXT) | instid1(VALU_DEP_1)
	v_clz_i32_u32_e32 v7, v3
	v_min_u32_e32 v7, 32, v7
	s_delay_alu instid0(VALU_DEP_3) | instskip(NEXT) | instid1(VALU_DEP_2)
	v_and_b32_e32 v8, 31, v8
	v_subrev_nc_u32_e32 v17, 29, v7
	v_sub_nc_u32_e32 v7, 30, v7
	s_delay_alu instid0(VALU_DEP_3) | instskip(NEXT) | instid1(VALU_DEP_3)
	v_cmp_eq_u32_e32 vcc_lo, 0, v8
	v_dual_lshlrev_b32 v17, v17, v16 :: v_dual_lshlrev_b32 v16, 24, v16
	s_delay_alu instid0(VALU_DEP_1) | instskip(NEXT) | instid1(VALU_DEP_2)
	v_dual_cndmask_b32 v7, v8, v7, vcc_lo :: v_dual_bitop2_b32 v17, 3, v17 bitop3:0x40
	v_and_b32_e32 v8, 0x80000000, v16
	s_delay_alu instid0(VALU_DEP_2) | instskip(NEXT) | instid1(VALU_DEP_3)
	v_cndmask_b32_e32 v3, v3, v17, vcc_lo
	v_lshl_add_u32 v7, v7, 23, 0x37800000
	s_delay_alu instid0(VALU_DEP_2) | instskip(NEXT) | instid1(VALU_DEP_1)
	v_lshlrev_b32_e32 v3, 21, v3
	v_or3_b32 v3, v8, v7, v3
.LBB244_272:
	s_or_b32 exec_lo, exec_lo, s21
	s_delay_alu instid0(VALU_DEP_1)
	v_cmp_eq_f32_e64 s21, v4, v3
	v_cmp_ne_u32_e32 vcc_lo, 1, v2
	v_cmp_lt_i16_e64 s0, 0x7f, v15
	s_cbranch_vccz .LBB244_124
.LBB244_273:
                                        ; implicit-def: $sgpr22
	s_cbranch_execz .LBB244_133
; %bb.274:
	s_mov_b32 s0, 0
	s_mov_b32 s22, exec_lo
	v_cmpx_lt_i16_e32 0x7f, v15
	s_xor_b32 s22, exec_lo, s22
	s_cbranch_execnz .LBB244_541
; %bb.275:
	s_or_saveexec_b32 s22, s22
	v_mov_b32_e32 v3, 0x7f800001
	s_xor_b32 exec_lo, exec_lo, s22
	s_cbranch_execnz .LBB244_544
.LBB244_276:
	s_or_b32 exec_lo, exec_lo, s22
	s_and_saveexec_b32 s22, s0
	s_cbranch_execz .LBB244_278
.LBB244_277:
	v_and_b32_e32 v3, 0xffff, v15
	s_delay_alu instid0(VALU_DEP_1) | instskip(SKIP_1) | instid1(VALU_DEP_2)
	v_and_b32_e32 v4, 3, v3
	v_bfe_u32 v16, v3, 2, 5
	v_clz_i32_u32_e32 v7, v4
	s_delay_alu instid0(VALU_DEP_2) | instskip(NEXT) | instid1(VALU_DEP_2)
	v_cmp_eq_u32_e32 vcc_lo, 0, v16
	v_min_u32_e32 v7, 32, v7
	s_delay_alu instid0(VALU_DEP_1) | instskip(SKIP_1) | instid1(VALU_DEP_2)
	v_subrev_nc_u32_e32 v8, 29, v7
	v_sub_nc_u32_e32 v7, 30, v7
	v_lshlrev_b32_e32 v3, v8, v3
	v_lshlrev_b32_e32 v8, 24, v15
	s_delay_alu instid0(VALU_DEP_3) | instskip(NEXT) | instid1(VALU_DEP_3)
	v_cndmask_b32_e32 v7, v16, v7, vcc_lo
	v_and_b32_e32 v3, 3, v3
	s_delay_alu instid0(VALU_DEP_2) | instskip(NEXT) | instid1(VALU_DEP_2)
	v_lshl_add_u32 v7, v7, 23, 0x37800000
	v_cndmask_b32_e32 v3, v4, v3, vcc_lo
	v_and_b32_e32 v4, 0x80000000, v8
	s_delay_alu instid0(VALU_DEP_2) | instskip(NEXT) | instid1(VALU_DEP_1)
	v_lshlrev_b32_e32 v3, 21, v3
	v_or3_b32 v3, v4, v7, v3
.LBB244_278:
	s_or_b32 exec_lo, exec_lo, s22
	s_mov_b32 s0, 0
	s_mov_b32 s22, exec_lo
	v_cmpx_lt_i16_e32 0x7f, v14
	s_xor_b32 s22, exec_lo, s22
	s_cbranch_execnz .LBB244_545
; %bb.279:
	s_or_saveexec_b32 s22, s22
	v_mov_b32_e32 v4, 0x7f800001
	s_xor_b32 exec_lo, exec_lo, s22
	s_cbranch_execnz .LBB244_548
.LBB244_280:
	s_or_b32 exec_lo, exec_lo, s22
	s_and_saveexec_b32 s22, s0
	s_cbranch_execz .LBB244_282
.LBB244_281:
	v_and_b32_e32 v4, 0xffff, v14
	s_delay_alu instid0(VALU_DEP_1) | instskip(SKIP_1) | instid1(VALU_DEP_2)
	v_dual_lshlrev_b32 v14, 24, v14 :: v_dual_bitop2_b32 v7, 3, v4 bitop3:0x40
	v_bfe_u32 v16, v4, 2, 5
	v_clz_i32_u32_e32 v8, v7
	s_delay_alu instid0(VALU_DEP_2) | instskip(NEXT) | instid1(VALU_DEP_2)
	v_cmp_eq_u32_e32 vcc_lo, 0, v16
	v_min_u32_e32 v8, 32, v8
	s_delay_alu instid0(VALU_DEP_1) | instskip(SKIP_1) | instid1(VALU_DEP_2)
	v_subrev_nc_u32_e32 v15, 29, v8
	v_sub_nc_u32_e32 v8, 30, v8
	v_lshlrev_b32_e32 v4, v15, v4
	s_delay_alu instid0(VALU_DEP_2) | instskip(NEXT) | instid1(VALU_DEP_2)
	v_cndmask_b32_e32 v8, v16, v8, vcc_lo
	v_and_b32_e32 v4, 3, v4
	s_delay_alu instid0(VALU_DEP_2) | instskip(NEXT) | instid1(VALU_DEP_2)
	v_lshl_add_u32 v8, v8, 23, 0x37800000
	v_cndmask_b32_e32 v4, v7, v4, vcc_lo
	v_and_b32_e32 v7, 0x80000000, v14
	s_delay_alu instid0(VALU_DEP_2) | instskip(NEXT) | instid1(VALU_DEP_1)
	v_lshlrev_b32_e32 v4, 21, v4
	v_or3_b32 v4, v7, v8, v4
.LBB244_282:
	s_or_b32 exec_lo, exec_lo, s22
	s_delay_alu instid0(VALU_DEP_1)
	v_cmp_eq_f32_e64 s22, v3, v4
	v_cmp_ne_u32_e32 vcc_lo, 1, v2
	v_and_b32_e32 v3, 0xff, v9
	s_cbranch_vccz .LBB244_134
.LBB244_283:
                                        ; implicit-def: $sgpr23
	s_cbranch_execz .LBB244_143
; %bb.284:
	s_mov_b32 s0, 0
	s_mov_b32 s23, exec_lo
	v_cmpx_lt_i16_e32 0x7f, v3
	s_xor_b32 s23, exec_lo, s23
	s_cbranch_execnz .LBB244_549
; %bb.285:
	s_or_saveexec_b32 s23, s23
	v_mov_b32_e32 v4, 0x7f800001
	s_xor_b32 exec_lo, exec_lo, s23
	s_cbranch_execnz .LBB244_552
.LBB244_286:
	s_or_b32 exec_lo, exec_lo, s23
	s_and_saveexec_b32 s23, s0
	s_cbranch_execz .LBB244_288
.LBB244_287:
	v_and_b32_e32 v3, 3, v9
	v_lshrrev_b16 v7, 2, v9
	s_delay_alu instid0(VALU_DEP_2) | instskip(NEXT) | instid1(VALU_DEP_1)
	v_clz_i32_u32_e32 v4, v3
	v_min_u32_e32 v4, 32, v4
	s_delay_alu instid0(VALU_DEP_3) | instskip(NEXT) | instid1(VALU_DEP_2)
	v_and_b32_e32 v7, 31, v7
	v_subrev_nc_u32_e32 v8, 29, v4
	v_sub_nc_u32_e32 v4, 30, v4
	s_delay_alu instid0(VALU_DEP_3) | instskip(NEXT) | instid1(VALU_DEP_3)
	v_cmp_eq_u32_e32 vcc_lo, 0, v7
	v_dual_lshlrev_b32 v8, v8, v9 :: v_dual_lshlrev_b32 v9, 24, v9
	s_delay_alu instid0(VALU_DEP_1) | instskip(NEXT) | instid1(VALU_DEP_1)
	v_and_b32_e32 v8, 3, v8
	v_cndmask_b32_e32 v3, v3, v8, vcc_lo
	v_cndmask_b32_e32 v4, v7, v4, vcc_lo
	s_delay_alu instid0(VALU_DEP_4) | instskip(NEXT) | instid1(VALU_DEP_3)
	v_and_b32_e32 v7, 0x80000000, v9
	v_lshlrev_b32_e32 v3, 21, v3
	s_delay_alu instid0(VALU_DEP_3) | instskip(NEXT) | instid1(VALU_DEP_1)
	v_lshl_add_u32 v4, v4, 23, 0x37800000
	v_or3_b32 v4, v7, v4, v3
.LBB244_288:
	s_or_b32 exec_lo, exec_lo, s23
	v_and_b32_e32 v7, 0xff, v5
	s_mov_b32 s0, 0
	s_mov_b32 s23, exec_lo
	s_delay_alu instid0(VALU_DEP_1)
	v_cmpx_lt_i16_e32 0x7f, v7
	s_xor_b32 s23, exec_lo, s23
	s_cbranch_execnz .LBB244_553
; %bb.289:
	s_or_saveexec_b32 s23, s23
	v_mov_b32_e32 v3, 0x7f800001
	s_xor_b32 exec_lo, exec_lo, s23
	s_cbranch_execnz .LBB244_556
.LBB244_290:
	s_or_b32 exec_lo, exec_lo, s23
	s_and_saveexec_b32 s23, s0
	s_cbranch_execz .LBB244_292
.LBB244_291:
	v_and_b32_e32 v3, 3, v5
	v_lshrrev_b16 v8, 2, v5
	s_delay_alu instid0(VALU_DEP_2) | instskip(NEXT) | instid1(VALU_DEP_1)
	v_clz_i32_u32_e32 v7, v3
	v_min_u32_e32 v7, 32, v7
	s_delay_alu instid0(VALU_DEP_3) | instskip(NEXT) | instid1(VALU_DEP_2)
	v_and_b32_e32 v8, 31, v8
	v_subrev_nc_u32_e32 v9, 29, v7
	v_sub_nc_u32_e32 v7, 30, v7
	s_delay_alu instid0(VALU_DEP_3) | instskip(NEXT) | instid1(VALU_DEP_2)
	v_cmp_eq_u32_e32 vcc_lo, 0, v8
	v_dual_lshlrev_b32 v9, v9, v5 :: v_dual_cndmask_b32 v7, v8, v7, vcc_lo
	s_delay_alu instid0(VALU_DEP_1) | instskip(NEXT) | instid1(VALU_DEP_2)
	v_and_b32_e32 v9, 3, v9
	v_lshl_add_u32 v7, v7, 23, 0x37800000
	s_delay_alu instid0(VALU_DEP_2) | instskip(NEXT) | instid1(VALU_DEP_1)
	v_cndmask_b32_e32 v3, v3, v9, vcc_lo
	v_dual_lshlrev_b32 v5, 24, v5 :: v_dual_lshlrev_b32 v3, 21, v3
	s_delay_alu instid0(VALU_DEP_1) | instskip(NEXT) | instid1(VALU_DEP_1)
	v_and_b32_e32 v5, 0x80000000, v5
	v_or3_b32 v3, v5, v7, v3
.LBB244_292:
	s_or_b32 exec_lo, exec_lo, s23
	s_delay_alu instid0(VALU_DEP_1)
	v_cmp_eq_f32_e64 s23, v4, v3
	v_cmp_ne_u32_e32 vcc_lo, 1, v2
	v_and_b32_e32 v3, 0xff, v13
	s_cbranch_vccz .LBB244_144
.LBB244_293:
                                        ; implicit-def: $sgpr24
	s_cbranch_execz .LBB244_153
; %bb.294:
	s_mov_b32 s0, 0
	s_mov_b32 s24, exec_lo
	v_cmpx_lt_i16_e32 0x7f, v3
	s_xor_b32 s24, exec_lo, s24
	s_cbranch_execnz .LBB244_557
; %bb.295:
	s_or_saveexec_b32 s24, s24
	v_mov_b32_e32 v4, 0x7f800001
	s_xor_b32 exec_lo, exec_lo, s24
	s_cbranch_execnz .LBB244_560
.LBB244_296:
	s_or_b32 exec_lo, exec_lo, s24
	s_and_saveexec_b32 s24, s0
	s_cbranch_execz .LBB244_298
.LBB244_297:
	v_and_b32_e32 v3, 3, v13
	v_lshrrev_b16 v5, 2, v13
	v_lshlrev_b32_e32 v8, 24, v13
	s_delay_alu instid0(VALU_DEP_3) | instskip(NEXT) | instid1(VALU_DEP_1)
	v_clz_i32_u32_e32 v4, v3
	v_min_u32_e32 v4, 32, v4
	s_delay_alu instid0(VALU_DEP_4) | instskip(NEXT) | instid1(VALU_DEP_2)
	v_and_b32_e32 v5, 31, v5
	v_subrev_nc_u32_e32 v7, 29, v4
	v_sub_nc_u32_e32 v4, 30, v4
	s_delay_alu instid0(VALU_DEP_3) | instskip(NEXT) | instid1(VALU_DEP_3)
	v_cmp_eq_u32_e32 vcc_lo, 0, v5
	v_lshlrev_b32_e32 v7, v7, v13
	s_delay_alu instid0(VALU_DEP_1) | instskip(SKIP_1) | instid1(VALU_DEP_2)
	v_dual_cndmask_b32 v4, v5, v4, vcc_lo :: v_dual_bitop2_b32 v7, 3, v7 bitop3:0x40
	v_and_b32_e32 v5, 0x80000000, v8
	v_cndmask_b32_e32 v3, v3, v7, vcc_lo
	s_delay_alu instid0(VALU_DEP_3) | instskip(NEXT) | instid1(VALU_DEP_2)
	v_lshl_add_u32 v4, v4, 23, 0x37800000
	v_lshlrev_b32_e32 v3, 21, v3
	s_delay_alu instid0(VALU_DEP_1)
	v_or3_b32 v4, v5, v4, v3
.LBB244_298:
	s_or_b32 exec_lo, exec_lo, s24
	v_and_b32_e32 v5, 0xff, v12
	s_mov_b32 s0, 0
	s_mov_b32 s24, exec_lo
	s_delay_alu instid0(VALU_DEP_1)
	v_cmpx_lt_i16_e32 0x7f, v5
	s_xor_b32 s24, exec_lo, s24
	s_cbranch_execnz .LBB244_561
; %bb.299:
	s_or_saveexec_b32 s24, s24
	v_mov_b32_e32 v3, 0x7f800001
	s_xor_b32 exec_lo, exec_lo, s24
	s_cbranch_execnz .LBB244_564
.LBB244_300:
	s_or_b32 exec_lo, exec_lo, s24
	s_and_saveexec_b32 s24, s0
	s_cbranch_execz .LBB244_302
.LBB244_301:
	v_and_b32_e32 v3, 3, v12
	v_lshrrev_b16 v7, 2, v12
	s_delay_alu instid0(VALU_DEP_2) | instskip(NEXT) | instid1(VALU_DEP_1)
	v_clz_i32_u32_e32 v5, v3
	v_min_u32_e32 v5, 32, v5
	s_delay_alu instid0(VALU_DEP_3) | instskip(NEXT) | instid1(VALU_DEP_2)
	v_and_b32_e32 v7, 31, v7
	v_subrev_nc_u32_e32 v8, 29, v5
	v_sub_nc_u32_e32 v5, 30, v5
	s_delay_alu instid0(VALU_DEP_3) | instskip(NEXT) | instid1(VALU_DEP_2)
	v_cmp_eq_u32_e32 vcc_lo, 0, v7
	v_dual_cndmask_b32 v5, v7, v5 :: v_dual_lshlrev_b32 v8, v8, v12
	s_delay_alu instid0(VALU_DEP_1) | instskip(NEXT) | instid1(VALU_DEP_2)
	v_and_b32_e32 v8, 3, v8
	v_lshl_add_u32 v5, v5, 23, 0x37800000
	s_delay_alu instid0(VALU_DEP_2) | instskip(NEXT) | instid1(VALU_DEP_1)
	v_cndmask_b32_e32 v3, v3, v8, vcc_lo
	v_dual_lshlrev_b32 v9, 24, v12 :: v_dual_lshlrev_b32 v3, 21, v3
	s_delay_alu instid0(VALU_DEP_1) | instskip(NEXT) | instid1(VALU_DEP_1)
	v_and_b32_e32 v7, 0x80000000, v9
	v_or3_b32 v3, v7, v5, v3
.LBB244_302:
	s_or_b32 exec_lo, exec_lo, s24
	s_delay_alu instid0(VALU_DEP_1)
	v_cmp_eq_f32_e64 s24, v4, v3
	v_cmp_ne_u32_e32 vcc_lo, 1, v2
	v_and_b32_e32 v3, 0xff, v11
	s_cbranch_vccz .LBB244_154
.LBB244_303:
                                        ; implicit-def: $sgpr25
	s_cbranch_execz .LBB244_163
; %bb.304:
	s_mov_b32 s0, 0
	s_mov_b32 s25, exec_lo
	v_cmpx_lt_i16_e32 0x7f, v3
	s_xor_b32 s25, exec_lo, s25
	s_cbranch_execnz .LBB244_565
; %bb.305:
	s_or_saveexec_b32 s25, s25
	v_mov_b32_e32 v4, 0x7f800001
	s_xor_b32 exec_lo, exec_lo, s25
	s_cbranch_execnz .LBB244_568
.LBB244_306:
	s_or_b32 exec_lo, exec_lo, s25
	s_and_saveexec_b32 s25, s0
	s_cbranch_execz .LBB244_308
.LBB244_307:
	v_and_b32_e32 v3, 3, v11
	v_lshrrev_b16 v5, 2, v11
	v_lshlrev_b32_e32 v8, 24, v11
	s_delay_alu instid0(VALU_DEP_3) | instskip(NEXT) | instid1(VALU_DEP_1)
	v_clz_i32_u32_e32 v4, v3
	v_min_u32_e32 v4, 32, v4
	s_delay_alu instid0(VALU_DEP_4) | instskip(NEXT) | instid1(VALU_DEP_2)
	v_and_b32_e32 v5, 31, v5
	v_subrev_nc_u32_e32 v7, 29, v4
	v_sub_nc_u32_e32 v4, 30, v4
	s_delay_alu instid0(VALU_DEP_3) | instskip(NEXT) | instid1(VALU_DEP_2)
	v_cmp_eq_u32_e32 vcc_lo, 0, v5
	v_dual_cndmask_b32 v4, v5, v4 :: v_dual_lshlrev_b32 v7, v7, v11
	v_and_b32_e32 v5, 0x80000000, v8
	s_delay_alu instid0(VALU_DEP_2) | instskip(NEXT) | instid1(VALU_DEP_3)
	v_and_b32_e32 v7, 3, v7
	v_lshl_add_u32 v4, v4, 23, 0x37800000
	s_delay_alu instid0(VALU_DEP_2) | instskip(NEXT) | instid1(VALU_DEP_1)
	v_cndmask_b32_e32 v3, v3, v7, vcc_lo
	v_lshlrev_b32_e32 v3, 21, v3
	s_delay_alu instid0(VALU_DEP_1)
	v_or3_b32 v4, v5, v4, v3
.LBB244_308:
	s_or_b32 exec_lo, exec_lo, s25
	v_and_b32_e32 v5, 0xff, v6
	s_mov_b32 s0, 0
	s_mov_b32 s25, exec_lo
	s_delay_alu instid0(VALU_DEP_1)
	v_cmpx_lt_i16_e32 0x7f, v5
	s_xor_b32 s25, exec_lo, s25
	s_cbranch_execnz .LBB244_569
; %bb.309:
	s_or_saveexec_b32 s25, s25
	v_mov_b32_e32 v3, 0x7f800001
	s_xor_b32 exec_lo, exec_lo, s25
	s_cbranch_execnz .LBB244_572
.LBB244_310:
	s_or_b32 exec_lo, exec_lo, s25
	s_and_saveexec_b32 s25, s0
	s_cbranch_execz .LBB244_312
.LBB244_311:
	v_and_b32_e32 v3, 3, v6
	v_lshrrev_b16 v7, 2, v6
	s_delay_alu instid0(VALU_DEP_2) | instskip(NEXT) | instid1(VALU_DEP_1)
	v_clz_i32_u32_e32 v5, v3
	v_min_u32_e32 v5, 32, v5
	s_delay_alu instid0(VALU_DEP_3) | instskip(NEXT) | instid1(VALU_DEP_2)
	v_and_b32_e32 v7, 31, v7
	v_subrev_nc_u32_e32 v8, 29, v5
	v_sub_nc_u32_e32 v5, 30, v5
	s_delay_alu instid0(VALU_DEP_3) | instskip(NEXT) | instid1(VALU_DEP_3)
	v_cmp_eq_u32_e32 vcc_lo, 0, v7
	v_dual_lshlrev_b32 v8, v8, v6 :: v_dual_lshlrev_b32 v6, 24, v6
	s_delay_alu instid0(VALU_DEP_1) | instskip(NEXT) | instid1(VALU_DEP_2)
	v_and_b32_e32 v8, 3, v8
	v_and_b32_e32 v6, 0x80000000, v6
	s_delay_alu instid0(VALU_DEP_2) | instskip(NEXT) | instid1(VALU_DEP_1)
	v_cndmask_b32_e32 v3, v3, v8, vcc_lo
	v_dual_cndmask_b32 v5, v7, v5, vcc_lo :: v_dual_lshlrev_b32 v3, 21, v3
	s_delay_alu instid0(VALU_DEP_1) | instskip(NEXT) | instid1(VALU_DEP_1)
	v_lshl_add_u32 v5, v5, 23, 0x37800000
	v_or3_b32 v3, v6, v5, v3
.LBB244_312:
	s_or_b32 exec_lo, exec_lo, s25
	s_delay_alu instid0(VALU_DEP_1)
	v_cmp_eq_f32_e64 s25, v4, v3
	v_cmp_ne_u32_e32 vcc_lo, 1, v2
	v_cmp_lt_i16_e64 s0, 0x7f, v10
	s_cbranch_vccz .LBB244_164
.LBB244_313:
                                        ; implicit-def: $sgpr0
	s_cbranch_execz .LBB244_323
; %bb.314:
	s_mov_b32 s0, 0
	s_mov_b32 s26, exec_lo
	v_cmpx_lt_i16_e32 0x7f, v10
	s_xor_b32 s26, exec_lo, s26
	s_cbranch_execnz .LBB244_573
; %bb.315:
	s_or_saveexec_b32 s26, s26
	v_mov_b32_e32 v2, 0x7f800001
	s_xor_b32 exec_lo, exec_lo, s26
	s_cbranch_execnz .LBB244_576
.LBB244_316:
	s_or_b32 exec_lo, exec_lo, s26
	s_and_saveexec_b32 s26, s0
	s_cbranch_execz .LBB244_318
.LBB244_317:
	v_and_b32_e32 v2, 0xffff, v10
	s_delay_alu instid0(VALU_DEP_1) | instskip(SKIP_1) | instid1(VALU_DEP_2)
	v_and_b32_e32 v3, 3, v2
	v_bfe_u32 v6, v2, 2, 5
	v_clz_i32_u32_e32 v4, v3
	s_delay_alu instid0(VALU_DEP_2) | instskip(NEXT) | instid1(VALU_DEP_2)
	v_cmp_eq_u32_e32 vcc_lo, 0, v6
	v_min_u32_e32 v4, 32, v4
	s_delay_alu instid0(VALU_DEP_1) | instskip(NEXT) | instid1(VALU_DEP_1)
	v_subrev_nc_u32_e32 v5, 29, v4
	v_dual_lshlrev_b32 v2, v5, v2 :: v_dual_sub_nc_u32 v4, 30, v4
	s_delay_alu instid0(VALU_DEP_1) | instskip(NEXT) | instid1(VALU_DEP_2)
	v_and_b32_e32 v2, 3, v2
	v_dual_cndmask_b32 v4, v6, v4 :: v_dual_lshlrev_b32 v5, 24, v10
	s_delay_alu instid0(VALU_DEP_2) | instskip(NEXT) | instid1(VALU_DEP_2)
	v_cndmask_b32_e32 v2, v3, v2, vcc_lo
	v_and_b32_e32 v3, 0x80000000, v5
	s_delay_alu instid0(VALU_DEP_3) | instskip(NEXT) | instid1(VALU_DEP_3)
	v_lshl_add_u32 v4, v4, 23, 0x37800000
	v_lshlrev_b32_e32 v2, 21, v2
	s_delay_alu instid0(VALU_DEP_1)
	v_or3_b32 v2, v3, v4, v2
.LBB244_318:
	s_or_b32 exec_lo, exec_lo, s26
	s_mov_b32 s0, 0
	s_mov_b32 s26, exec_lo
	v_cmpx_lt_i16_e32 0x7f, v1
	s_xor_b32 s26, exec_lo, s26
	s_cbranch_execnz .LBB244_577
; %bb.319:
	s_or_saveexec_b32 s26, s26
	v_mov_b32_e32 v3, 0x7f800001
	s_xor_b32 exec_lo, exec_lo, s26
	s_cbranch_execnz .LBB244_580
.LBB244_320:
	s_or_b32 exec_lo, exec_lo, s26
	s_and_saveexec_b32 s26, s0
	s_cbranch_execz .LBB244_322
.LBB244_321:
	v_and_b32_e32 v3, 0xffff, v1
	s_delay_alu instid0(VALU_DEP_1) | instskip(SKIP_1) | instid1(VALU_DEP_2)
	v_and_b32_e32 v4, 3, v3
	v_bfe_u32 v7, v3, 2, 5
	v_clz_i32_u32_e32 v5, v4
	s_delay_alu instid0(VALU_DEP_2) | instskip(NEXT) | instid1(VALU_DEP_2)
	v_cmp_eq_u32_e32 vcc_lo, 0, v7
	v_min_u32_e32 v5, 32, v5
	s_delay_alu instid0(VALU_DEP_1) | instskip(NEXT) | instid1(VALU_DEP_1)
	v_subrev_nc_u32_e32 v6, 29, v5
	v_dual_lshlrev_b32 v3, v6, v3 :: v_dual_sub_nc_u32 v5, 30, v5
	s_delay_alu instid0(VALU_DEP_1) | instskip(NEXT) | instid1(VALU_DEP_1)
	v_dual_lshlrev_b32 v1, 24, v1 :: v_dual_bitop2_b32 v3, 3, v3 bitop3:0x40
	v_dual_cndmask_b32 v3, v4, v3, vcc_lo :: v_dual_cndmask_b32 v5, v7, v5, vcc_lo
	s_delay_alu instid0(VALU_DEP_2) | instskip(NEXT) | instid1(VALU_DEP_2)
	v_and_b32_e32 v1, 0x80000000, v1
	v_lshlrev_b32_e32 v3, 21, v3
	s_delay_alu instid0(VALU_DEP_3) | instskip(NEXT) | instid1(VALU_DEP_1)
	v_lshl_add_u32 v4, v5, 23, 0x37800000
	v_or3_b32 v3, v1, v4, v3
.LBB244_322:
	s_or_b32 exec_lo, exec_lo, s26
	s_delay_alu instid0(VALU_DEP_1)
	v_cmp_eq_f32_e64 s0, v2, v3
.LBB244_323:
	v_cndmask_b32_e64 v1, 0, 1, s16
	v_cndmask_b32_e64 v2, 0, 1, s18
	;; [unrolled: 1-line block ×5, first 2 shown]
	v_lshlrev_b16 v1, 8, v1
	v_lshlrev_b16 v2, 8, v2
	v_cndmask_b32_e64 v6, 0, 1, s8
	v_lshlrev_b16 v4, 8, v4
	v_cndmask_b32_e64 v7, 0, 1, s0
	v_cndmask_b32_e64 v8, 0, 1, s20
	v_or_b32_e32 v2, v5, v2
	v_or_b32_e32 v1, v3, v1
	;; [unrolled: 1-line block ×3, first 2 shown]
	v_cndmask_b32_e64 v4, 0, 1, s14
	v_cndmask_b32_e64 v5, 0, 1, s24
	;; [unrolled: 1-line block ×4, first 2 shown]
	v_and_b32_e32 v6, 0xffff, v3
	v_lshlrev_b16 v3, 8, v4
	v_cndmask_b32_e64 v4, 0, 1, s13
	v_lshlrev_b16 v5, 8, v5
	v_lshlrev_b16 v7, 8, v7
	v_cndmask_b32_e64 v11, 0, 1, s25
	v_lshlrev_b16 v8, 8, v8
	v_cndmask_b32_e64 v12, 0, 1, s19
	;; [unrolled: 2-line block ×3, first 2 shown]
	v_or_b32_e32 v3, v4, v3
	v_or_b32_e32 v4, v9, v5
	v_or_b32_e32 v5, v11, v7
	v_or_b32_e32 v7, v12, v8
	v_or_b32_e32 v8, v13, v10
	s_add_nc_u64 s[10:11], s[4:5], s[10:11]
	v_and_b32_e32 v4, 0xffff, v4
	v_lshlrev_b32_e32 v5, 16, v5
	v_and_b32_e32 v7, 0xffff, v7
	v_dual_lshlrev_b32 v8, 16, v8 :: v_dual_lshlrev_b32 v9, 16, v3
	v_lshlrev_b32_e32 v2, 16, v2
	v_and_b32_e32 v1, 0xffff, v1
	v_or_b32_e32 v5, v4, v5
	s_delay_alu instid0(VALU_DEP_4) | instskip(NEXT) | instid1(VALU_DEP_3)
	v_or_b32_e32 v4, v7, v8
	v_or_b32_e32 v3, v1, v2
	;; [unrolled: 1-line block ×3, first 2 shown]
	global_store_b128 v0, v[2:5], s[10:11] scale_offset
	s_branch .LBB244_2
.LBB244_324:
	s_wait_xcnt 0x0
	v_dual_mov_b32 v31, v0 :: v_dual_mov_b32 v0, s9
	v_dual_mov_b32 v1, s4 :: v_dual_mov_b32 v2, s5
	;; [unrolled: 1-line block ×4, first 2 shown]
	v_mov_b32_e32 v7, s1
	s_get_pc_i64 s[10:11]
	s_add_nc_u64 s[10:11], s[10:11], _ZN2at6native25elementwise_kernel_helperILb0ENS0_13BinaryFunctorIN3c1015Float8_e5m2fnuzES4_bNS0_12_GLOBAL__N_116CompareEqFunctorIS4_EEEENS0_6memory8policies11unroll_baseILi256ESt5arrayIPcLm3EE23TrivialOffsetCalculatorILi2EjESF_ILi1EjENS9_15LoadWithoutCastENS9_16StoreWithoutCastELi16ELi1EEEEEvT0_T1_@rel64+4
	s_delay_alu instid0(SALU_CYCLE_1)
	s_swap_pc_i64 s[30:31], s[10:11]
	s_endpgm
.LBB244_325:
	s_mov_b32 s8, -1
	s_mov_b32 s13, exec_lo
	v_cmpx_eq_u16_e32 0x80, v1
; %bb.326:
	s_xor_b32 s8, exec_lo, -1
; %bb.327:
	s_or_b32 exec_lo, exec_lo, s13
	s_delay_alu instid0(SALU_CYCLE_1)
	s_and_b32 s8, s8, exec_lo
	s_or_saveexec_b32 s12, s12
	v_mov_b32_e32 v10, 0x7f800001
	s_xor_b32 exec_lo, exec_lo, s12
	s_cbranch_execz .LBB244_6
.LBB244_328:
	v_cmp_ne_u16_e32 vcc_lo, 0, v1
	v_mov_b32_e32 v10, 0
	s_and_not1_b32 s8, s8, exec_lo
	s_and_b32 s13, vcc_lo, exec_lo
	s_delay_alu instid0(SALU_CYCLE_1)
	s_or_b32 s8, s8, s13
	s_or_b32 exec_lo, exec_lo, s12
	s_and_saveexec_b32 s12, s8
	s_cbranch_execnz .LBB244_7
	s_branch .LBB244_8
.LBB244_329:
	s_mov_b32 s8, -1
	s_mov_b32 s13, exec_lo
	v_cmpx_eq_u16_e32 0x80, v12
; %bb.330:
	s_xor_b32 s8, exec_lo, -1
; %bb.331:
	s_or_b32 exec_lo, exec_lo, s13
	s_delay_alu instid0(SALU_CYCLE_1)
	s_and_b32 s8, s8, exec_lo
                                        ; implicit-def: $vgpr12
	s_or_saveexec_b32 s12, s12
	v_mov_b32_e32 v11, 0x7f800001
	s_xor_b32 exec_lo, exec_lo, s12
	s_cbranch_execz .LBB244_10
.LBB244_332:
	v_cmp_ne_u16_e32 vcc_lo, 0, v12
	v_mov_b32_e32 v11, 0
	s_and_not1_b32 s8, s8, exec_lo
	s_and_b32 s13, vcc_lo, exec_lo
	s_delay_alu instid0(SALU_CYCLE_1)
	s_or_b32 s8, s8, s13
	s_or_b32 exec_lo, exec_lo, s12
	s_and_saveexec_b32 s12, s8
	s_cbranch_execnz .LBB244_11
	s_branch .LBB244_12
.LBB244_333:
	s_mov_b32 s0, -1
	s_mov_b32 s13, exec_lo
	v_cmpx_eq_u16_e32 0x80, v32
; %bb.334:
	s_xor_b32 s0, exec_lo, -1
; %bb.335:
	s_or_b32 exec_lo, exec_lo, s13
	s_delay_alu instid0(SALU_CYCLE_1)
	s_and_b32 s0, s0, exec_lo
	s_or_saveexec_b32 s12, s12
	v_mov_b32_e32 v33, 0x7f800001
	s_xor_b32 exec_lo, exec_lo, s12
	s_cbranch_execz .LBB244_26
.LBB244_336:
	v_cmp_ne_u16_e32 vcc_lo, 0, v32
	v_mov_b32_e32 v33, 0
	s_and_not1_b32 s0, s0, exec_lo
	s_and_b32 s13, vcc_lo, exec_lo
	s_delay_alu instid0(SALU_CYCLE_1)
	s_or_b32 s0, s0, s13
	s_or_b32 exec_lo, exec_lo, s12
	s_and_saveexec_b32 s12, s0
	s_cbranch_execnz .LBB244_27
	s_branch .LBB244_28
.LBB244_337:
	s_mov_b32 s0, -1
	s_mov_b32 s13, exec_lo
	v_cmpx_eq_u16_e32 0x80, v35
; %bb.338:
	s_xor_b32 s0, exec_lo, -1
; %bb.339:
	s_or_b32 exec_lo, exec_lo, s13
	s_delay_alu instid0(SALU_CYCLE_1)
	s_and_b32 s0, s0, exec_lo
                                        ; implicit-def: $vgpr35
	s_or_saveexec_b32 s12, s12
	v_mov_b32_e32 v34, 0x7f800001
	s_xor_b32 exec_lo, exec_lo, s12
	s_cbranch_execz .LBB244_30
.LBB244_340:
	v_cmp_ne_u16_e32 vcc_lo, 0, v35
	v_mov_b32_e32 v34, 0
	s_and_not1_b32 s0, s0, exec_lo
	s_and_b32 s13, vcc_lo, exec_lo
	s_delay_alu instid0(SALU_CYCLE_1)
	s_or_b32 s0, s0, s13
	s_or_b32 exec_lo, exec_lo, s12
	s_and_saveexec_b32 s12, s0
	s_cbranch_execnz .LBB244_31
	s_branch .LBB244_32
.LBB244_341:
	s_mov_b32 s0, -1
	s_mov_b32 s14, exec_lo
	v_cmpx_eq_u16_e32 0x80, v30
; %bb.342:
	s_xor_b32 s0, exec_lo, -1
; %bb.343:
	s_or_b32 exec_lo, exec_lo, s14
	s_delay_alu instid0(SALU_CYCLE_1)
	s_and_b32 s0, s0, exec_lo
	s_or_saveexec_b32 s13, s13
	v_mov_b32_e32 v31, 0x7f800001
	s_xor_b32 exec_lo, exec_lo, s13
	s_cbranch_execz .LBB244_36
.LBB244_344:
	v_cmp_ne_u16_e32 vcc_lo, 0, v30
	v_mov_b32_e32 v31, 0
	s_and_not1_b32 s0, s0, exec_lo
	s_and_b32 s14, vcc_lo, exec_lo
	s_delay_alu instid0(SALU_CYCLE_1)
	s_or_b32 s0, s0, s14
	s_or_b32 exec_lo, exec_lo, s13
	s_and_saveexec_b32 s13, s0
	s_cbranch_execnz .LBB244_37
	s_branch .LBB244_38
.LBB244_345:
	s_mov_b32 s0, -1
	s_mov_b32 s14, exec_lo
	v_cmpx_eq_u16_e32 0x80, v33
; %bb.346:
	s_xor_b32 s0, exec_lo, -1
; %bb.347:
	s_or_b32 exec_lo, exec_lo, s14
	s_delay_alu instid0(SALU_CYCLE_1)
	s_and_b32 s0, s0, exec_lo
                                        ; implicit-def: $vgpr33
	s_or_saveexec_b32 s13, s13
	v_mov_b32_e32 v32, 0x7f800001
	s_xor_b32 exec_lo, exec_lo, s13
	s_cbranch_execz .LBB244_40
.LBB244_348:
	v_cmp_ne_u16_e32 vcc_lo, 0, v33
	v_mov_b32_e32 v32, 0
	s_and_not1_b32 s0, s0, exec_lo
	s_and_b32 s14, vcc_lo, exec_lo
	s_delay_alu instid0(SALU_CYCLE_1)
	s_or_b32 s0, s0, s14
	s_or_b32 exec_lo, exec_lo, s13
	s_and_saveexec_b32 s13, s0
	s_cbranch_execnz .LBB244_41
	s_branch .LBB244_42
.LBB244_349:
	s_mov_b32 s14, -1
	s_mov_b32 s15, exec_lo
	v_cmpx_eq_u16_e32 0x80, v27
; %bb.350:
	s_xor_b32 s14, exec_lo, -1
; %bb.351:
	s_or_b32 exec_lo, exec_lo, s15
	s_delay_alu instid0(SALU_CYCLE_1)
	s_and_b32 s14, s14, exec_lo
	s_or_saveexec_b32 s0, s0
	v_mov_b32_e32 v28, 0x7f800001
	s_xor_b32 exec_lo, exec_lo, s0
	s_cbranch_execz .LBB244_46
.LBB244_352:
	v_cmp_ne_u16_e32 vcc_lo, 0, v27
	v_mov_b32_e32 v28, 0
	s_and_not1_b32 s14, s14, exec_lo
	s_and_b32 s15, vcc_lo, exec_lo
	s_delay_alu instid0(SALU_CYCLE_1)
	s_or_b32 s14, s14, s15
	s_or_b32 exec_lo, exec_lo, s0
	s_and_saveexec_b32 s0, s14
	s_cbranch_execnz .LBB244_47
	s_branch .LBB244_48
.LBB244_353:
	s_mov_b32 s0, -1
	s_mov_b32 s15, exec_lo
	v_cmpx_eq_u16_e32 0x80, v26
; %bb.354:
	s_xor_b32 s0, exec_lo, -1
; %bb.355:
	s_or_b32 exec_lo, exec_lo, s15
	s_delay_alu instid0(SALU_CYCLE_1)
	s_and_b32 s0, s0, exec_lo
	s_or_saveexec_b32 s14, s14
	v_mov_b32_e32 v29, 0x7f800001
	s_xor_b32 exec_lo, exec_lo, s14
	s_cbranch_execz .LBB244_50
.LBB244_356:
	v_cmp_ne_u16_e32 vcc_lo, 0, v26
	v_mov_b32_e32 v29, 0
	s_and_not1_b32 s0, s0, exec_lo
	s_and_b32 s15, vcc_lo, exec_lo
	s_delay_alu instid0(SALU_CYCLE_1)
	s_or_b32 s0, s0, s15
	s_or_b32 exec_lo, exec_lo, s14
	s_and_saveexec_b32 s14, s0
	s_cbranch_execnz .LBB244_51
	s_branch .LBB244_52
.LBB244_357:
	s_mov_b32 s0, -1
	s_mov_b32 s16, exec_lo
	v_cmpx_eq_u16_e32 0x80, v26
; %bb.358:
	s_xor_b32 s0, exec_lo, -1
; %bb.359:
	s_or_b32 exec_lo, exec_lo, s16
	s_delay_alu instid0(SALU_CYCLE_1)
	s_and_b32 s0, s0, exec_lo
	s_or_saveexec_b32 s15, s15
	v_mov_b32_e32 v27, 0x7f800001
	s_xor_b32 exec_lo, exec_lo, s15
	s_cbranch_execz .LBB244_56
.LBB244_360:
	v_cmp_ne_u16_e32 vcc_lo, 0, v26
	v_mov_b32_e32 v27, 0
	s_and_not1_b32 s0, s0, exec_lo
	s_and_b32 s16, vcc_lo, exec_lo
	s_delay_alu instid0(SALU_CYCLE_1)
	s_or_b32 s0, s0, s16
	s_or_b32 exec_lo, exec_lo, s15
	s_and_saveexec_b32 s15, s0
	s_cbranch_execnz .LBB244_57
	s_branch .LBB244_58
.LBB244_361:
	s_mov_b32 s0, -1
	s_mov_b32 s16, exec_lo
	v_cmpx_eq_u16_e32 0x80, v29
; %bb.362:
	s_xor_b32 s0, exec_lo, -1
; %bb.363:
	s_or_b32 exec_lo, exec_lo, s16
	s_delay_alu instid0(SALU_CYCLE_1)
	s_and_b32 s0, s0, exec_lo
                                        ; implicit-def: $vgpr29
	s_or_saveexec_b32 s15, s15
	v_mov_b32_e32 v28, 0x7f800001
	s_xor_b32 exec_lo, exec_lo, s15
	s_cbranch_execz .LBB244_60
.LBB244_364:
	v_cmp_ne_u16_e32 vcc_lo, 0, v29
	v_mov_b32_e32 v28, 0
	s_and_not1_b32 s0, s0, exec_lo
	s_and_b32 s16, vcc_lo, exec_lo
	s_delay_alu instid0(SALU_CYCLE_1)
	s_or_b32 s0, s0, s16
	s_or_b32 exec_lo, exec_lo, s15
	s_and_saveexec_b32 s15, s0
	s_cbranch_execnz .LBB244_61
	s_branch .LBB244_62
.LBB244_365:
	s_mov_b32 s0, -1
	s_mov_b32 s17, exec_lo
	v_cmpx_eq_u16_e32 0x80, v3
; %bb.366:
	s_xor_b32 s0, exec_lo, -1
; %bb.367:
	s_or_b32 exec_lo, exec_lo, s17
	s_delay_alu instid0(SALU_CYCLE_1)
	s_and_b32 s0, s0, exec_lo
	s_or_saveexec_b32 s16, s16
	v_mov_b32_e32 v7, 0x7f800001
	s_xor_b32 exec_lo, exec_lo, s16
	s_cbranch_execz .LBB244_66
.LBB244_368:
	v_cmp_ne_u16_e32 vcc_lo, 0, v3
	v_mov_b32_e32 v7, 0
	s_and_not1_b32 s0, s0, exec_lo
	s_and_b32 s17, vcc_lo, exec_lo
	s_delay_alu instid0(SALU_CYCLE_1)
	s_or_b32 s0, s0, s17
	s_or_b32 exec_lo, exec_lo, s16
	s_and_saveexec_b32 s16, s0
	s_cbranch_execnz .LBB244_67
	s_branch .LBB244_68
.LBB244_369:
	s_mov_b32 s0, -1
	s_mov_b32 s17, exec_lo
	v_cmpx_eq_u16_e32 0x80, v27
; %bb.370:
	s_xor_b32 s0, exec_lo, -1
; %bb.371:
	s_or_b32 exec_lo, exec_lo, s17
	s_delay_alu instid0(SALU_CYCLE_1)
	s_and_b32 s0, s0, exec_lo
                                        ; implicit-def: $vgpr27
	s_or_saveexec_b32 s16, s16
	v_mov_b32_e32 v26, 0x7f800001
	s_xor_b32 exec_lo, exec_lo, s16
	s_cbranch_execz .LBB244_70
.LBB244_372:
	v_cmp_ne_u16_e32 vcc_lo, 0, v27
	v_mov_b32_e32 v26, 0
	s_and_not1_b32 s0, s0, exec_lo
	s_and_b32 s17, vcc_lo, exec_lo
	s_delay_alu instid0(SALU_CYCLE_1)
	s_or_b32 s0, s0, s17
	s_or_b32 exec_lo, exec_lo, s16
	s_and_saveexec_b32 s16, s0
	s_cbranch_execnz .LBB244_71
	s_branch .LBB244_72
.LBB244_373:
	s_mov_b32 s0, -1
	s_mov_b32 s18, exec_lo
	v_cmpx_eq_u16_e32 0x80, v3
; %bb.374:
	s_xor_b32 s0, exec_lo, -1
; %bb.375:
	s_or_b32 exec_lo, exec_lo, s18
	s_delay_alu instid0(SALU_CYCLE_1)
	s_and_b32 s0, s0, exec_lo
	s_or_saveexec_b32 s17, s17
	v_mov_b32_e32 v7, 0x7f800001
	s_xor_b32 exec_lo, exec_lo, s17
	s_cbranch_execz .LBB244_76
.LBB244_376:
	v_cmp_ne_u16_e32 vcc_lo, 0, v3
	v_mov_b32_e32 v7, 0
	s_and_not1_b32 s0, s0, exec_lo
	s_and_b32 s18, vcc_lo, exec_lo
	s_delay_alu instid0(SALU_CYCLE_1)
	s_or_b32 s0, s0, s18
	s_or_b32 exec_lo, exec_lo, s17
	s_and_saveexec_b32 s17, s0
	s_cbranch_execnz .LBB244_77
	s_branch .LBB244_78
.LBB244_377:
	s_mov_b32 s0, -1
	s_mov_b32 s18, exec_lo
	v_cmpx_eq_u16_e32 0x80, v25
; %bb.378:
	s_xor_b32 s0, exec_lo, -1
; %bb.379:
	s_or_b32 exec_lo, exec_lo, s18
	s_delay_alu instid0(SALU_CYCLE_1)
	s_and_b32 s0, s0, exec_lo
                                        ; implicit-def: $vgpr25
	s_or_saveexec_b32 s17, s17
	v_mov_b32_e32 v24, 0x7f800001
	s_xor_b32 exec_lo, exec_lo, s17
	s_cbranch_execz .LBB244_80
.LBB244_380:
	v_cmp_ne_u16_e32 vcc_lo, 0, v25
	v_mov_b32_e32 v24, 0
	s_and_not1_b32 s0, s0, exec_lo
	s_and_b32 s18, vcc_lo, exec_lo
	s_delay_alu instid0(SALU_CYCLE_1)
	s_or_b32 s0, s0, s18
	s_or_b32 exec_lo, exec_lo, s17
	s_and_saveexec_b32 s17, s0
	s_cbranch_execnz .LBB244_81
	s_branch .LBB244_82
.LBB244_381:
	s_mov_b32 s18, -1
	s_mov_b32 s19, exec_lo
	v_cmpx_eq_u16_e32 0x80, v21
; %bb.382:
	s_xor_b32 s18, exec_lo, -1
; %bb.383:
	s_or_b32 exec_lo, exec_lo, s19
	s_delay_alu instid0(SALU_CYCLE_1)
	s_and_b32 s18, s18, exec_lo
	s_or_saveexec_b32 s0, s0
	v_mov_b32_e32 v3, 0x7f800001
	s_xor_b32 exec_lo, exec_lo, s0
	s_cbranch_execz .LBB244_86
.LBB244_384:
	v_cmp_ne_u16_e32 vcc_lo, 0, v21
	v_mov_b32_e32 v3, 0
	s_and_not1_b32 s18, s18, exec_lo
	s_and_b32 s19, vcc_lo, exec_lo
	s_delay_alu instid0(SALU_CYCLE_1)
	s_or_b32 s18, s18, s19
	s_or_b32 exec_lo, exec_lo, s0
	s_and_saveexec_b32 s0, s18
	s_cbranch_execnz .LBB244_87
	s_branch .LBB244_88
.LBB244_385:
	s_mov_b32 s0, -1
	s_mov_b32 s19, exec_lo
	v_cmpx_eq_u16_e32 0x80, v20
; %bb.386:
	s_xor_b32 s0, exec_lo, -1
; %bb.387:
	s_or_b32 exec_lo, exec_lo, s19
	s_delay_alu instid0(SALU_CYCLE_1)
	s_and_b32 s0, s0, exec_lo
	s_or_saveexec_b32 s18, s18
	v_mov_b32_e32 v7, 0x7f800001
	s_xor_b32 exec_lo, exec_lo, s18
	s_cbranch_execz .LBB244_90
.LBB244_388:
	v_cmp_ne_u16_e32 vcc_lo, 0, v20
	v_mov_b32_e32 v7, 0
	s_and_not1_b32 s0, s0, exec_lo
	s_and_b32 s19, vcc_lo, exec_lo
	s_delay_alu instid0(SALU_CYCLE_1)
	s_or_b32 s0, s0, s19
	s_or_b32 exec_lo, exec_lo, s18
	s_and_saveexec_b32 s18, s0
	s_cbranch_execnz .LBB244_91
	s_branch .LBB244_92
.LBB244_389:
	s_mov_b32 s0, -1
	s_mov_b32 s20, exec_lo
	v_cmpx_eq_u16_e32 0x80, v3
; %bb.390:
	s_xor_b32 s0, exec_lo, -1
; %bb.391:
	s_or_b32 exec_lo, exec_lo, s20
	s_delay_alu instid0(SALU_CYCLE_1)
	s_and_b32 s0, s0, exec_lo
	s_or_saveexec_b32 s19, s19
	v_mov_b32_e32 v7, 0x7f800001
	s_xor_b32 exec_lo, exec_lo, s19
	s_cbranch_execz .LBB244_96
.LBB244_392:
	v_cmp_ne_u16_e32 vcc_lo, 0, v3
	v_mov_b32_e32 v7, 0
	s_and_not1_b32 s0, s0, exec_lo
	s_and_b32 s20, vcc_lo, exec_lo
	s_delay_alu instid0(SALU_CYCLE_1)
	s_or_b32 s0, s0, s20
	s_or_b32 exec_lo, exec_lo, s19
	s_and_saveexec_b32 s19, s0
	s_cbranch_execnz .LBB244_97
	s_branch .LBB244_98
.LBB244_393:
	s_mov_b32 s0, -1
	s_mov_b32 s20, exec_lo
	v_cmpx_eq_u16_e32 0x80, v21
; %bb.394:
	s_xor_b32 s0, exec_lo, -1
; %bb.395:
	s_or_b32 exec_lo, exec_lo, s20
	s_delay_alu instid0(SALU_CYCLE_1)
	s_and_b32 s0, s0, exec_lo
                                        ; implicit-def: $vgpr21
	s_or_saveexec_b32 s19, s19
	v_mov_b32_e32 v20, 0x7f800001
	s_xor_b32 exec_lo, exec_lo, s19
	s_cbranch_execz .LBB244_100
.LBB244_396:
	v_cmp_ne_u16_e32 vcc_lo, 0, v21
	v_mov_b32_e32 v20, 0
	s_and_not1_b32 s0, s0, exec_lo
	s_and_b32 s20, vcc_lo, exec_lo
	s_delay_alu instid0(SALU_CYCLE_1)
	s_or_b32 s0, s0, s20
	s_or_b32 exec_lo, exec_lo, s19
	s_and_saveexec_b32 s19, s0
	s_cbranch_execnz .LBB244_101
	s_branch .LBB244_102
.LBB244_397:
	s_mov_b32 s0, -1
	s_mov_b32 s21, exec_lo
	v_cmpx_eq_u16_e32 0x80, v3
; %bb.398:
	s_xor_b32 s0, exec_lo, -1
; %bb.399:
	s_or_b32 exec_lo, exec_lo, s21
	s_delay_alu instid0(SALU_CYCLE_1)
	s_and_b32 s0, s0, exec_lo
	s_or_saveexec_b32 s20, s20
	v_mov_b32_e32 v4, 0x7f800001
	s_xor_b32 exec_lo, exec_lo, s20
	s_cbranch_execz .LBB244_106
.LBB244_400:
	v_cmp_ne_u16_e32 vcc_lo, 0, v3
	v_mov_b32_e32 v4, 0
	s_and_not1_b32 s0, s0, exec_lo
	s_and_b32 s21, vcc_lo, exec_lo
	s_delay_alu instid0(SALU_CYCLE_1)
	s_or_b32 s0, s0, s21
	s_or_b32 exec_lo, exec_lo, s20
	s_and_saveexec_b32 s20, s0
	s_cbranch_execnz .LBB244_107
	s_branch .LBB244_108
.LBB244_401:
	s_mov_b32 s0, -1
	s_mov_b32 s21, exec_lo
	v_cmpx_eq_u16_e32 0x80, v8
; %bb.402:
	s_xor_b32 s0, exec_lo, -1
; %bb.403:
	s_or_b32 exec_lo, exec_lo, s21
	s_delay_alu instid0(SALU_CYCLE_1)
	s_and_b32 s0, s0, exec_lo
                                        ; implicit-def: $vgpr8
	s_or_saveexec_b32 s20, s20
	v_mov_b32_e32 v7, 0x7f800001
	s_xor_b32 exec_lo, exec_lo, s20
	s_cbranch_execz .LBB244_110
.LBB244_404:
	v_cmp_ne_u16_e32 vcc_lo, 0, v8
	v_mov_b32_e32 v7, 0
	s_and_not1_b32 s0, s0, exec_lo
	s_and_b32 s21, vcc_lo, exec_lo
	s_delay_alu instid0(SALU_CYCLE_1)
	s_or_b32 s0, s0, s21
	s_or_b32 exec_lo, exec_lo, s20
	s_and_saveexec_b32 s20, s0
	s_cbranch_execnz .LBB244_111
	s_branch .LBB244_112
.LBB244_405:
	s_mov_b32 s0, -1
	s_mov_b32 s22, exec_lo
	v_cmpx_eq_u16_e32 0x80, v3
; %bb.406:
	s_xor_b32 s0, exec_lo, -1
; %bb.407:
	s_or_b32 exec_lo, exec_lo, s22
	s_delay_alu instid0(SALU_CYCLE_1)
	s_and_b32 s0, s0, exec_lo
	s_or_saveexec_b32 s21, s21
	v_mov_b32_e32 v4, 0x7f800001
	s_xor_b32 exec_lo, exec_lo, s21
	s_cbranch_execz .LBB244_116
.LBB244_408:
	v_cmp_ne_u16_e32 vcc_lo, 0, v3
	v_mov_b32_e32 v4, 0
	s_and_not1_b32 s0, s0, exec_lo
	s_and_b32 s22, vcc_lo, exec_lo
	s_delay_alu instid0(SALU_CYCLE_1)
	s_or_b32 s0, s0, s22
	s_or_b32 exec_lo, exec_lo, s21
	s_and_saveexec_b32 s21, s0
	s_cbranch_execnz .LBB244_117
	s_branch .LBB244_118
.LBB244_409:
	s_mov_b32 s0, -1
	s_mov_b32 s22, exec_lo
	v_cmpx_eq_u16_e32 0x80, v8
; %bb.410:
	s_xor_b32 s0, exec_lo, -1
; %bb.411:
	s_or_b32 exec_lo, exec_lo, s22
	s_delay_alu instid0(SALU_CYCLE_1)
	s_and_b32 s0, s0, exec_lo
                                        ; implicit-def: $vgpr8
	s_or_saveexec_b32 s21, s21
	v_mov_b32_e32 v7, 0x7f800001
	s_xor_b32 exec_lo, exec_lo, s21
	s_cbranch_execz .LBB244_120
.LBB244_412:
	v_cmp_ne_u16_e32 vcc_lo, 0, v8
	v_mov_b32_e32 v7, 0
	s_and_not1_b32 s0, s0, exec_lo
	s_and_b32 s22, vcc_lo, exec_lo
	s_delay_alu instid0(SALU_CYCLE_1)
	s_or_b32 s0, s0, s22
	s_or_b32 exec_lo, exec_lo, s21
	s_and_saveexec_b32 s21, s0
	s_cbranch_execnz .LBB244_121
	s_branch .LBB244_122
.LBB244_413:
	s_mov_b32 s22, -1
	s_mov_b32 s23, exec_lo
	v_cmpx_eq_u16_e32 0x80, v15
; %bb.414:
	s_xor_b32 s22, exec_lo, -1
; %bb.415:
	s_or_b32 exec_lo, exec_lo, s23
	s_delay_alu instid0(SALU_CYCLE_1)
	s_and_b32 s22, s22, exec_lo
	s_or_saveexec_b32 s0, s0
	v_mov_b32_e32 v3, 0x7f800001
	s_xor_b32 exec_lo, exec_lo, s0
	s_cbranch_execz .LBB244_126
.LBB244_416:
	v_cmp_ne_u16_e32 vcc_lo, 0, v15
	v_mov_b32_e32 v3, 0
	s_and_not1_b32 s22, s22, exec_lo
	s_and_b32 s23, vcc_lo, exec_lo
	s_delay_alu instid0(SALU_CYCLE_1)
	s_or_b32 s22, s22, s23
	s_or_b32 exec_lo, exec_lo, s0
	s_and_saveexec_b32 s0, s22
	s_cbranch_execnz .LBB244_127
	s_branch .LBB244_128
.LBB244_417:
	s_mov_b32 s0, -1
	s_mov_b32 s23, exec_lo
	v_cmpx_eq_u16_e32 0x80, v14
; %bb.418:
	s_xor_b32 s0, exec_lo, -1
; %bb.419:
	s_or_b32 exec_lo, exec_lo, s23
	s_delay_alu instid0(SALU_CYCLE_1)
	s_and_b32 s0, s0, exec_lo
	s_or_saveexec_b32 s22, s22
	v_mov_b32_e32 v4, 0x7f800001
	s_xor_b32 exec_lo, exec_lo, s22
	s_cbranch_execz .LBB244_130
.LBB244_420:
	v_cmp_ne_u16_e32 vcc_lo, 0, v14
	v_mov_b32_e32 v4, 0
	s_and_not1_b32 s0, s0, exec_lo
	s_and_b32 s23, vcc_lo, exec_lo
	s_delay_alu instid0(SALU_CYCLE_1)
	s_or_b32 s0, s0, s23
	s_or_b32 exec_lo, exec_lo, s22
	s_and_saveexec_b32 s22, s0
	s_cbranch_execnz .LBB244_131
	s_branch .LBB244_132
.LBB244_421:
	s_mov_b32 s0, -1
	s_mov_b32 s24, exec_lo
	v_cmpx_eq_u16_e32 0x80, v3
; %bb.422:
	s_xor_b32 s0, exec_lo, -1
; %bb.423:
	s_or_b32 exec_lo, exec_lo, s24
	s_delay_alu instid0(SALU_CYCLE_1)
	s_and_b32 s0, s0, exec_lo
	s_or_saveexec_b32 s23, s23
	v_mov_b32_e32 v4, 0x7f800001
	s_xor_b32 exec_lo, exec_lo, s23
	s_cbranch_execz .LBB244_136
.LBB244_424:
	v_cmp_ne_u16_e32 vcc_lo, 0, v3
	v_mov_b32_e32 v4, 0
	s_and_not1_b32 s0, s0, exec_lo
	s_and_b32 s24, vcc_lo, exec_lo
	s_delay_alu instid0(SALU_CYCLE_1)
	s_or_b32 s0, s0, s24
	s_or_b32 exec_lo, exec_lo, s23
	s_and_saveexec_b32 s23, s0
	s_cbranch_execnz .LBB244_137
	s_branch .LBB244_138
.LBB244_425:
	s_mov_b32 s0, -1
	s_mov_b32 s24, exec_lo
	v_cmpx_eq_u16_e32 0x80, v8
; %bb.426:
	s_xor_b32 s0, exec_lo, -1
; %bb.427:
	s_or_b32 exec_lo, exec_lo, s24
	s_delay_alu instid0(SALU_CYCLE_1)
	s_and_b32 s0, s0, exec_lo
                                        ; implicit-def: $vgpr8
	s_or_saveexec_b32 s23, s23
	v_mov_b32_e32 v7, 0x7f800001
	s_xor_b32 exec_lo, exec_lo, s23
	s_cbranch_execz .LBB244_140
.LBB244_428:
	v_cmp_ne_u16_e32 vcc_lo, 0, v8
	v_mov_b32_e32 v7, 0
	s_and_not1_b32 s0, s0, exec_lo
	s_and_b32 s24, vcc_lo, exec_lo
	s_delay_alu instid0(SALU_CYCLE_1)
	s_or_b32 s0, s0, s24
	s_or_b32 exec_lo, exec_lo, s23
	s_and_saveexec_b32 s23, s0
	s_cbranch_execnz .LBB244_141
	s_branch .LBB244_142
.LBB244_429:
	s_mov_b32 s0, -1
	s_mov_b32 s25, exec_lo
	v_cmpx_eq_u16_e32 0x80, v3
; %bb.430:
	s_xor_b32 s0, exec_lo, -1
; %bb.431:
	s_or_b32 exec_lo, exec_lo, s25
	s_delay_alu instid0(SALU_CYCLE_1)
	s_and_b32 s0, s0, exec_lo
	s_or_saveexec_b32 s24, s24
	v_mov_b32_e32 v4, 0x7f800001
	s_xor_b32 exec_lo, exec_lo, s24
	s_cbranch_execz .LBB244_146
.LBB244_432:
	v_cmp_ne_u16_e32 vcc_lo, 0, v3
	v_mov_b32_e32 v4, 0
	s_and_not1_b32 s0, s0, exec_lo
	s_and_b32 s25, vcc_lo, exec_lo
	s_delay_alu instid0(SALU_CYCLE_1)
	s_or_b32 s0, s0, s25
	s_or_b32 exec_lo, exec_lo, s24
	s_and_saveexec_b32 s24, s0
	s_cbranch_execnz .LBB244_147
	s_branch .LBB244_148
.LBB244_433:
	s_mov_b32 s0, -1
	s_mov_b32 s25, exec_lo
	v_cmpx_eq_u16_e32 0x80, v7
; %bb.434:
	s_xor_b32 s0, exec_lo, -1
; %bb.435:
	s_or_b32 exec_lo, exec_lo, s25
	s_delay_alu instid0(SALU_CYCLE_1)
	s_and_b32 s0, s0, exec_lo
                                        ; implicit-def: $vgpr7
	s_or_saveexec_b32 s24, s24
	v_mov_b32_e32 v5, 0x7f800001
	s_xor_b32 exec_lo, exec_lo, s24
	s_cbranch_execz .LBB244_150
.LBB244_436:
	v_cmp_ne_u16_e32 vcc_lo, 0, v7
	v_mov_b32_e32 v5, 0
	s_and_not1_b32 s0, s0, exec_lo
	s_and_b32 s25, vcc_lo, exec_lo
	s_delay_alu instid0(SALU_CYCLE_1)
	s_or_b32 s0, s0, s25
	s_or_b32 exec_lo, exec_lo, s24
	s_and_saveexec_b32 s24, s0
	s_cbranch_execnz .LBB244_151
	s_branch .LBB244_152
.LBB244_437:
	s_mov_b32 s0, -1
	s_mov_b32 s26, exec_lo
	v_cmpx_eq_u16_e32 0x80, v3
; %bb.438:
	s_xor_b32 s0, exec_lo, -1
; %bb.439:
	s_or_b32 exec_lo, exec_lo, s26
	s_delay_alu instid0(SALU_CYCLE_1)
	s_and_b32 s0, s0, exec_lo
	s_or_saveexec_b32 s25, s25
	v_mov_b32_e32 v4, 0x7f800001
	s_xor_b32 exec_lo, exec_lo, s25
	s_cbranch_execz .LBB244_156
.LBB244_440:
	v_cmp_ne_u16_e32 vcc_lo, 0, v3
	v_mov_b32_e32 v4, 0
	s_and_not1_b32 s0, s0, exec_lo
	s_and_b32 s26, vcc_lo, exec_lo
	s_delay_alu instid0(SALU_CYCLE_1)
	s_or_b32 s0, s0, s26
	s_or_b32 exec_lo, exec_lo, s25
	s_and_saveexec_b32 s25, s0
	s_cbranch_execnz .LBB244_157
	s_branch .LBB244_158
.LBB244_441:
	s_mov_b32 s0, -1
	s_mov_b32 s26, exec_lo
	v_cmpx_eq_u16_e32 0x80, v7
; %bb.442:
	s_xor_b32 s0, exec_lo, -1
; %bb.443:
	s_or_b32 exec_lo, exec_lo, s26
	s_delay_alu instid0(SALU_CYCLE_1)
	s_and_b32 s0, s0, exec_lo
                                        ; implicit-def: $vgpr7
	s_or_saveexec_b32 s25, s25
	v_mov_b32_e32 v5, 0x7f800001
	s_xor_b32 exec_lo, exec_lo, s25
	s_cbranch_execz .LBB244_160
.LBB244_444:
	v_cmp_ne_u16_e32 vcc_lo, 0, v7
	v_mov_b32_e32 v5, 0
	s_and_not1_b32 s0, s0, exec_lo
	s_and_b32 s26, vcc_lo, exec_lo
	s_delay_alu instid0(SALU_CYCLE_1)
	s_or_b32 s0, s0, s26
	s_or_b32 exec_lo, exec_lo, s25
	s_and_saveexec_b32 s25, s0
	s_cbranch_execnz .LBB244_161
	s_branch .LBB244_162
.LBB244_445:
	s_mov_b32 s26, -1
	s_mov_b32 s27, exec_lo
	v_cmpx_eq_u16_e32 0x80, v10
; %bb.446:
	s_xor_b32 s26, exec_lo, -1
; %bb.447:
	s_or_b32 exec_lo, exec_lo, s27
	s_delay_alu instid0(SALU_CYCLE_1)
	s_and_b32 s26, s26, exec_lo
	s_or_saveexec_b32 s0, s0
	v_mov_b32_e32 v2, 0x7f800001
	s_xor_b32 exec_lo, exec_lo, s0
	s_cbranch_execz .LBB244_166
.LBB244_448:
	v_cmp_ne_u16_e32 vcc_lo, 0, v10
	v_mov_b32_e32 v2, 0
	s_and_not1_b32 s26, s26, exec_lo
	s_and_b32 s27, vcc_lo, exec_lo
	s_delay_alu instid0(SALU_CYCLE_1)
	s_or_b32 s26, s26, s27
	s_or_b32 exec_lo, exec_lo, s0
	s_and_saveexec_b32 s0, s26
	s_cbranch_execnz .LBB244_167
	s_branch .LBB244_168
.LBB244_449:
	s_mov_b32 s0, -1
	s_mov_b32 s27, exec_lo
	v_cmpx_eq_u16_e32 0x80, v1
; %bb.450:
	s_xor_b32 s0, exec_lo, -1
; %bb.451:
	s_or_b32 exec_lo, exec_lo, s27
	s_delay_alu instid0(SALU_CYCLE_1)
	s_and_b32 s0, s0, exec_lo
	s_or_saveexec_b32 s26, s26
	v_mov_b32_e32 v3, 0x7f800001
	s_xor_b32 exec_lo, exec_lo, s26
	s_cbranch_execz .LBB244_170
.LBB244_452:
	v_cmp_ne_u16_e32 vcc_lo, 0, v1
	v_mov_b32_e32 v3, 0
	s_and_not1_b32 s0, s0, exec_lo
	s_and_b32 s27, vcc_lo, exec_lo
	s_delay_alu instid0(SALU_CYCLE_1)
	s_or_b32 s0, s0, s27
	s_or_b32 exec_lo, exec_lo, s26
	s_and_saveexec_b32 s26, s0
	s_cbranch_execnz .LBB244_171
	s_branch .LBB244_172
.LBB244_453:
	s_mov_b32 s8, -1
	s_mov_b32 s13, exec_lo
	v_cmpx_eq_u16_e32 0x80, v1
; %bb.454:
	s_xor_b32 s8, exec_lo, -1
; %bb.455:
	s_or_b32 exec_lo, exec_lo, s13
	s_delay_alu instid0(SALU_CYCLE_1)
	s_and_b32 s8, s8, exec_lo
                                        ; implicit-def: $vgpr1
	s_or_saveexec_b32 s12, s12
	v_mov_b32_e32 v10, 0x7f800001
	s_xor_b32 exec_lo, exec_lo, s12
	s_cbranch_execz .LBB244_16
.LBB244_456:
	v_cmp_ne_u16_e32 vcc_lo, 0, v1
	v_mov_b32_e32 v10, 0
	s_and_not1_b32 s8, s8, exec_lo
	s_and_b32 s13, vcc_lo, exec_lo
	s_delay_alu instid0(SALU_CYCLE_1)
	s_or_b32 s8, s8, s13
	s_or_b32 exec_lo, exec_lo, s12
	s_and_saveexec_b32 s12, s8
	s_cbranch_execnz .LBB244_17
	s_branch .LBB244_18
.LBB244_457:
	s_mov_b32 s8, -1
	s_mov_b32 s13, exec_lo
	v_cmpx_eq_u16_e32 0x80, v11
; %bb.458:
	s_xor_b32 s8, exec_lo, -1
; %bb.459:
	s_or_b32 exec_lo, exec_lo, s13
	s_delay_alu instid0(SALU_CYCLE_1)
	s_and_b32 s8, s8, exec_lo
                                        ; implicit-def: $vgpr11
	s_or_saveexec_b32 s12, s12
	v_mov_b32_e32 v1, 0x7f800001
	s_xor_b32 exec_lo, exec_lo, s12
	s_cbranch_execz .LBB244_20
.LBB244_460:
	v_cmp_ne_u16_e32 vcc_lo, 0, v11
	v_mov_b32_e32 v1, 0
	s_and_not1_b32 s8, s8, exec_lo
	s_and_b32 s13, vcc_lo, exec_lo
	s_delay_alu instid0(SALU_CYCLE_1)
	s_or_b32 s8, s8, s13
	s_or_b32 exec_lo, exec_lo, s12
	s_and_saveexec_b32 s12, s8
	s_cbranch_execnz .LBB244_21
	s_branch .LBB244_22
.LBB244_461:
	s_mov_b32 s0, -1
	s_mov_b32 s13, exec_lo
	v_cmpx_eq_u16_e32 0x80, v32
; %bb.462:
	s_xor_b32 s0, exec_lo, -1
; %bb.463:
	s_or_b32 exec_lo, exec_lo, s13
	s_delay_alu instid0(SALU_CYCLE_1)
	s_and_b32 s0, s0, exec_lo
                                        ; implicit-def: $vgpr32
	s_or_saveexec_b32 s12, s12
	v_mov_b32_e32 v33, 0x7f800001
	s_xor_b32 exec_lo, exec_lo, s12
	s_cbranch_execz .LBB244_176
.LBB244_464:
	v_cmp_ne_u16_e32 vcc_lo, 0, v32
	v_mov_b32_e32 v33, 0
	s_and_not1_b32 s0, s0, exec_lo
	s_and_b32 s13, vcc_lo, exec_lo
	s_delay_alu instid0(SALU_CYCLE_1)
	s_or_b32 s0, s0, s13
	s_or_b32 exec_lo, exec_lo, s12
	s_and_saveexec_b32 s12, s0
	s_cbranch_execnz .LBB244_177
	s_branch .LBB244_178
.LBB244_465:
	s_mov_b32 s0, -1
	s_mov_b32 s13, exec_lo
	v_cmpx_eq_u16_e32 0x80, v32
; %bb.466:
	s_xor_b32 s0, exec_lo, -1
; %bb.467:
	s_or_b32 exec_lo, exec_lo, s13
	s_delay_alu instid0(SALU_CYCLE_1)
	s_and_b32 s0, s0, exec_lo
                                        ; implicit-def: $vgpr32
	s_or_saveexec_b32 s12, s12
	v_mov_b32_e32 v31, 0x7f800001
	s_xor_b32 exec_lo, exec_lo, s12
	s_cbranch_execz .LBB244_180
.LBB244_468:
	v_cmp_ne_u16_e32 vcc_lo, 0, v32
	v_mov_b32_e32 v31, 0
	s_and_not1_b32 s0, s0, exec_lo
	s_and_b32 s13, vcc_lo, exec_lo
	s_delay_alu instid0(SALU_CYCLE_1)
	s_or_b32 s0, s0, s13
	s_or_b32 exec_lo, exec_lo, s12
	s_and_saveexec_b32 s12, s0
	s_cbranch_execnz .LBB244_181
	s_branch .LBB244_182
.LBB244_469:
	s_mov_b32 s0, -1
	s_mov_b32 s14, exec_lo
	v_cmpx_eq_u16_e32 0x80, v30
; %bb.470:
	s_xor_b32 s0, exec_lo, -1
; %bb.471:
	s_or_b32 exec_lo, exec_lo, s14
	s_delay_alu instid0(SALU_CYCLE_1)
	s_and_b32 s0, s0, exec_lo
                                        ; implicit-def: $vgpr30
	s_or_saveexec_b32 s13, s13
	v_mov_b32_e32 v31, 0x7f800001
	s_xor_b32 exec_lo, exec_lo, s13
	s_cbranch_execz .LBB244_186
.LBB244_472:
	v_cmp_ne_u16_e32 vcc_lo, 0, v30
	v_mov_b32_e32 v31, 0
	s_and_not1_b32 s0, s0, exec_lo
	s_and_b32 s14, vcc_lo, exec_lo
	s_delay_alu instid0(SALU_CYCLE_1)
	s_or_b32 s0, s0, s14
	s_or_b32 exec_lo, exec_lo, s13
	s_and_saveexec_b32 s13, s0
	s_cbranch_execnz .LBB244_187
	s_branch .LBB244_188
.LBB244_473:
	s_mov_b32 s0, -1
	s_mov_b32 s14, exec_lo
	v_cmpx_eq_u16_e32 0x80, v30
; %bb.474:
	s_xor_b32 s0, exec_lo, -1
; %bb.475:
	s_or_b32 exec_lo, exec_lo, s14
	s_delay_alu instid0(SALU_CYCLE_1)
	s_and_b32 s0, s0, exec_lo
                                        ; implicit-def: $vgpr30
	s_or_saveexec_b32 s13, s13
	v_mov_b32_e32 v29, 0x7f800001
	s_xor_b32 exec_lo, exec_lo, s13
	s_cbranch_execz .LBB244_190
.LBB244_476:
	v_cmp_ne_u16_e32 vcc_lo, 0, v30
	v_mov_b32_e32 v29, 0
	s_and_not1_b32 s0, s0, exec_lo
	s_and_b32 s14, vcc_lo, exec_lo
	s_delay_alu instid0(SALU_CYCLE_1)
	s_or_b32 s0, s0, s14
	s_or_b32 exec_lo, exec_lo, s13
	s_and_saveexec_b32 s13, s0
	s_cbranch_execnz .LBB244_191
	s_branch .LBB244_192
.LBB244_477:
	s_mov_b32 s0, -1
	s_mov_b32 s15, exec_lo
	v_cmpx_eq_u16_e32 0x80, v27
; %bb.478:
	s_xor_b32 s0, exec_lo, -1
; %bb.479:
	s_or_b32 exec_lo, exec_lo, s15
	s_delay_alu instid0(SALU_CYCLE_1)
	s_and_b32 s0, s0, exec_lo
	s_or_saveexec_b32 s14, s14
	v_mov_b32_e32 v28, 0x7f800001
	s_xor_b32 exec_lo, exec_lo, s14
	s_cbranch_execz .LBB244_196
.LBB244_480:
	v_cmp_ne_u16_e32 vcc_lo, 0, v27
	v_mov_b32_e32 v28, 0
	s_and_not1_b32 s0, s0, exec_lo
	s_and_b32 s15, vcc_lo, exec_lo
	s_delay_alu instid0(SALU_CYCLE_1)
	s_or_b32 s0, s0, s15
	s_or_b32 exec_lo, exec_lo, s14
	s_and_saveexec_b32 s14, s0
	s_cbranch_execnz .LBB244_197
	s_branch .LBB244_198
.LBB244_481:
	s_mov_b32 s0, -1
	s_mov_b32 s15, exec_lo
	v_cmpx_eq_u16_e32 0x80, v26
; %bb.482:
	s_xor_b32 s0, exec_lo, -1
; %bb.483:
	s_or_b32 exec_lo, exec_lo, s15
	s_delay_alu instid0(SALU_CYCLE_1)
	s_and_b32 s0, s0, exec_lo
	s_or_saveexec_b32 s14, s14
	v_mov_b32_e32 v27, 0x7f800001
	s_xor_b32 exec_lo, exec_lo, s14
	s_cbranch_execz .LBB244_200
.LBB244_484:
	v_cmp_ne_u16_e32 vcc_lo, 0, v26
	v_mov_b32_e32 v27, 0
	s_and_not1_b32 s0, s0, exec_lo
	s_and_b32 s15, vcc_lo, exec_lo
	s_delay_alu instid0(SALU_CYCLE_1)
	s_or_b32 s0, s0, s15
	s_or_b32 exec_lo, exec_lo, s14
	s_and_saveexec_b32 s14, s0
	s_cbranch_execnz .LBB244_201
	s_branch .LBB244_202
.LBB244_485:
	s_mov_b32 s0, -1
	s_mov_b32 s16, exec_lo
	v_cmpx_eq_u16_e32 0x80, v26
; %bb.486:
	s_xor_b32 s0, exec_lo, -1
; %bb.487:
	s_or_b32 exec_lo, exec_lo, s16
	s_delay_alu instid0(SALU_CYCLE_1)
	s_and_b32 s0, s0, exec_lo
                                        ; implicit-def: $vgpr26
	s_or_saveexec_b32 s15, s15
	v_mov_b32_e32 v27, 0x7f800001
	s_xor_b32 exec_lo, exec_lo, s15
	s_cbranch_execz .LBB244_206
.LBB244_488:
	v_cmp_ne_u16_e32 vcc_lo, 0, v26
	v_mov_b32_e32 v27, 0
	s_and_not1_b32 s0, s0, exec_lo
	s_and_b32 s16, vcc_lo, exec_lo
	s_delay_alu instid0(SALU_CYCLE_1)
	s_or_b32 s0, s0, s16
	s_or_b32 exec_lo, exec_lo, s15
	s_and_saveexec_b32 s15, s0
	s_cbranch_execnz .LBB244_207
	s_branch .LBB244_208
.LBB244_489:
	s_mov_b32 s0, -1
	s_mov_b32 s16, exec_lo
	v_cmpx_eq_u16_e32 0x80, v26
; %bb.490:
	s_xor_b32 s0, exec_lo, -1
; %bb.491:
	s_or_b32 exec_lo, exec_lo, s16
	s_delay_alu instid0(SALU_CYCLE_1)
	s_and_b32 s0, s0, exec_lo
                                        ; implicit-def: $vgpr26
	s_or_saveexec_b32 s15, s15
	v_mov_b32_e32 v7, 0x7f800001
	s_xor_b32 exec_lo, exec_lo, s15
	s_cbranch_execz .LBB244_210
.LBB244_492:
	v_cmp_ne_u16_e32 vcc_lo, 0, v26
	v_mov_b32_e32 v7, 0
	s_and_not1_b32 s0, s0, exec_lo
	s_and_b32 s16, vcc_lo, exec_lo
	s_delay_alu instid0(SALU_CYCLE_1)
	s_or_b32 s0, s0, s16
	s_or_b32 exec_lo, exec_lo, s15
	s_and_saveexec_b32 s15, s0
	s_cbranch_execnz .LBB244_211
	s_branch .LBB244_212
.LBB244_493:
	s_mov_b32 s0, -1
	s_mov_b32 s17, exec_lo
	v_cmpx_eq_u16_e32 0x80, v3
; %bb.494:
	s_xor_b32 s0, exec_lo, -1
; %bb.495:
	s_or_b32 exec_lo, exec_lo, s17
	s_delay_alu instid0(SALU_CYCLE_1)
	s_and_b32 s0, s0, exec_lo
                                        ; implicit-def: $vgpr3
	s_or_saveexec_b32 s16, s16
	v_mov_b32_e32 v7, 0x7f800001
	s_xor_b32 exec_lo, exec_lo, s16
	s_cbranch_execz .LBB244_216
.LBB244_496:
	v_cmp_ne_u16_e32 vcc_lo, 0, v3
	v_mov_b32_e32 v7, 0
	s_and_not1_b32 s0, s0, exec_lo
	s_and_b32 s17, vcc_lo, exec_lo
	s_delay_alu instid0(SALU_CYCLE_1)
	s_or_b32 s0, s0, s17
	s_or_b32 exec_lo, exec_lo, s16
	s_and_saveexec_b32 s16, s0
	s_cbranch_execnz .LBB244_217
	s_branch .LBB244_218
.LBB244_497:
	s_mov_b32 s0, -1
	s_mov_b32 s17, exec_lo
	v_cmpx_eq_u16_e32 0x80, v25
; %bb.498:
	s_xor_b32 s0, exec_lo, -1
; %bb.499:
	s_or_b32 exec_lo, exec_lo, s17
	s_delay_alu instid0(SALU_CYCLE_1)
	s_and_b32 s0, s0, exec_lo
                                        ; implicit-def: $vgpr25
	s_or_saveexec_b32 s16, s16
	v_mov_b32_e32 v3, 0x7f800001
	s_xor_b32 exec_lo, exec_lo, s16
	s_cbranch_execz .LBB244_220
.LBB244_500:
	v_cmp_ne_u16_e32 vcc_lo, 0, v25
	v_mov_b32_e32 v3, 0
	s_and_not1_b32 s0, s0, exec_lo
	s_and_b32 s17, vcc_lo, exec_lo
	s_delay_alu instid0(SALU_CYCLE_1)
	s_or_b32 s0, s0, s17
	s_or_b32 exec_lo, exec_lo, s16
	s_and_saveexec_b32 s16, s0
	s_cbranch_execnz .LBB244_221
	s_branch .LBB244_222
.LBB244_501:
	s_mov_b32 s0, -1
	s_mov_b32 s18, exec_lo
	v_cmpx_eq_u16_e32 0x80, v3
; %bb.502:
	s_xor_b32 s0, exec_lo, -1
; %bb.503:
	s_or_b32 exec_lo, exec_lo, s18
	s_delay_alu instid0(SALU_CYCLE_1)
	s_and_b32 s0, s0, exec_lo
                                        ; implicit-def: $vgpr3
	s_or_saveexec_b32 s17, s17
	v_mov_b32_e32 v7, 0x7f800001
	s_xor_b32 exec_lo, exec_lo, s17
	s_cbranch_execz .LBB244_226
.LBB244_504:
	v_cmp_ne_u16_e32 vcc_lo, 0, v3
	v_mov_b32_e32 v7, 0
	s_and_not1_b32 s0, s0, exec_lo
	s_and_b32 s18, vcc_lo, exec_lo
	s_delay_alu instid0(SALU_CYCLE_1)
	s_or_b32 s0, s0, s18
	s_or_b32 exec_lo, exec_lo, s17
	s_and_saveexec_b32 s17, s0
	s_cbranch_execnz .LBB244_227
	s_branch .LBB244_228
.LBB244_505:
	s_mov_b32 s0, -1
	s_mov_b32 s18, exec_lo
	v_cmpx_eq_u16_e32 0x80, v23
; %bb.506:
	s_xor_b32 s0, exec_lo, -1
; %bb.507:
	s_or_b32 exec_lo, exec_lo, s18
	s_delay_alu instid0(SALU_CYCLE_1)
	s_and_b32 s0, s0, exec_lo
                                        ; implicit-def: $vgpr23
	s_or_saveexec_b32 s17, s17
	v_mov_b32_e32 v3, 0x7f800001
	s_xor_b32 exec_lo, exec_lo, s17
	s_cbranch_execz .LBB244_230
.LBB244_508:
	v_cmp_ne_u16_e32 vcc_lo, 0, v23
	v_mov_b32_e32 v3, 0
	s_and_not1_b32 s0, s0, exec_lo
	s_and_b32 s18, vcc_lo, exec_lo
	s_delay_alu instid0(SALU_CYCLE_1)
	s_or_b32 s0, s0, s18
	s_or_b32 exec_lo, exec_lo, s17
	s_and_saveexec_b32 s17, s0
	s_cbranch_execnz .LBB244_231
	s_branch .LBB244_232
.LBB244_509:
	s_mov_b32 s0, -1
	s_mov_b32 s19, exec_lo
	v_cmpx_eq_u16_e32 0x80, v21
; %bb.510:
	s_xor_b32 s0, exec_lo, -1
; %bb.511:
	s_or_b32 exec_lo, exec_lo, s19
	s_delay_alu instid0(SALU_CYCLE_1)
	s_and_b32 s0, s0, exec_lo
	s_or_saveexec_b32 s18, s18
	v_mov_b32_e32 v3, 0x7f800001
	s_xor_b32 exec_lo, exec_lo, s18
	s_cbranch_execz .LBB244_236
.LBB244_512:
	v_cmp_ne_u16_e32 vcc_lo, 0, v21
	v_mov_b32_e32 v3, 0
	s_and_not1_b32 s0, s0, exec_lo
	s_and_b32 s19, vcc_lo, exec_lo
	s_delay_alu instid0(SALU_CYCLE_1)
	s_or_b32 s0, s0, s19
	s_or_b32 exec_lo, exec_lo, s18
	s_and_saveexec_b32 s18, s0
	s_cbranch_execnz .LBB244_237
	s_branch .LBB244_238
.LBB244_513:
	s_mov_b32 s0, -1
	s_mov_b32 s19, exec_lo
	v_cmpx_eq_u16_e32 0x80, v20
; %bb.514:
	s_xor_b32 s0, exec_lo, -1
; %bb.515:
	s_or_b32 exec_lo, exec_lo, s19
	s_delay_alu instid0(SALU_CYCLE_1)
	s_and_b32 s0, s0, exec_lo
	s_or_saveexec_b32 s18, s18
	v_mov_b32_e32 v7, 0x7f800001
	s_xor_b32 exec_lo, exec_lo, s18
	s_cbranch_execz .LBB244_240
.LBB244_516:
	v_cmp_ne_u16_e32 vcc_lo, 0, v20
	v_mov_b32_e32 v7, 0
	s_and_not1_b32 s0, s0, exec_lo
	s_and_b32 s19, vcc_lo, exec_lo
	s_delay_alu instid0(SALU_CYCLE_1)
	s_or_b32 s0, s0, s19
	s_or_b32 exec_lo, exec_lo, s18
	s_and_saveexec_b32 s18, s0
	s_cbranch_execnz .LBB244_241
	s_branch .LBB244_242
.LBB244_517:
	s_mov_b32 s0, -1
	s_mov_b32 s20, exec_lo
	v_cmpx_eq_u16_e32 0x80, v3
; %bb.518:
	s_xor_b32 s0, exec_lo, -1
; %bb.519:
	s_or_b32 exec_lo, exec_lo, s20
	s_delay_alu instid0(SALU_CYCLE_1)
	s_and_b32 s0, s0, exec_lo
                                        ; implicit-def: $vgpr3
	s_or_saveexec_b32 s19, s19
	v_mov_b32_e32 v7, 0x7f800001
	s_xor_b32 exec_lo, exec_lo, s19
	s_cbranch_execz .LBB244_246
.LBB244_520:
	v_cmp_ne_u16_e32 vcc_lo, 0, v3
	v_mov_b32_e32 v7, 0
	s_and_not1_b32 s0, s0, exec_lo
	s_and_b32 s20, vcc_lo, exec_lo
	s_delay_alu instid0(SALU_CYCLE_1)
	s_or_b32 s0, s0, s20
	s_or_b32 exec_lo, exec_lo, s19
	s_and_saveexec_b32 s19, s0
	s_cbranch_execnz .LBB244_247
	s_branch .LBB244_248
.LBB244_521:
	s_mov_b32 s0, -1
	s_mov_b32 s20, exec_lo
	v_cmpx_eq_u16_e32 0x80, v8
; %bb.522:
	s_xor_b32 s0, exec_lo, -1
; %bb.523:
	s_or_b32 exec_lo, exec_lo, s20
	s_delay_alu instid0(SALU_CYCLE_1)
	s_and_b32 s0, s0, exec_lo
                                        ; implicit-def: $vgpr8
	s_or_saveexec_b32 s19, s19
	v_mov_b32_e32 v3, 0x7f800001
	s_xor_b32 exec_lo, exec_lo, s19
	s_cbranch_execz .LBB244_250
.LBB244_524:
	v_cmp_ne_u16_e32 vcc_lo, 0, v8
	v_mov_b32_e32 v3, 0
	s_and_not1_b32 s0, s0, exec_lo
	s_and_b32 s20, vcc_lo, exec_lo
	s_delay_alu instid0(SALU_CYCLE_1)
	s_or_b32 s0, s0, s20
	s_or_b32 exec_lo, exec_lo, s19
	s_and_saveexec_b32 s19, s0
	s_cbranch_execnz .LBB244_251
	s_branch .LBB244_252
.LBB244_525:
	s_mov_b32 s0, -1
	s_mov_b32 s21, exec_lo
	v_cmpx_eq_u16_e32 0x80, v3
; %bb.526:
	s_xor_b32 s0, exec_lo, -1
; %bb.527:
	s_or_b32 exec_lo, exec_lo, s21
	s_delay_alu instid0(SALU_CYCLE_1)
	s_and_b32 s0, s0, exec_lo
                                        ; implicit-def: $vgpr3
	s_or_saveexec_b32 s20, s20
	v_mov_b32_e32 v4, 0x7f800001
	s_xor_b32 exec_lo, exec_lo, s20
	s_cbranch_execz .LBB244_256
.LBB244_528:
	v_cmp_ne_u16_e32 vcc_lo, 0, v3
	v_mov_b32_e32 v4, 0
	s_and_not1_b32 s0, s0, exec_lo
	s_and_b32 s21, vcc_lo, exec_lo
	s_delay_alu instid0(SALU_CYCLE_1)
	s_or_b32 s0, s0, s21
	s_or_b32 exec_lo, exec_lo, s20
	s_and_saveexec_b32 s20, s0
	s_cbranch_execnz .LBB244_257
	s_branch .LBB244_258
.LBB244_529:
	s_mov_b32 s0, -1
	s_mov_b32 s21, exec_lo
	v_cmpx_eq_u16_e32 0x80, v7
; %bb.530:
	s_xor_b32 s0, exec_lo, -1
; %bb.531:
	s_or_b32 exec_lo, exec_lo, s21
	s_delay_alu instid0(SALU_CYCLE_1)
	s_and_b32 s0, s0, exec_lo
                                        ; implicit-def: $vgpr7
	s_or_saveexec_b32 s20, s20
	v_mov_b32_e32 v3, 0x7f800001
	s_xor_b32 exec_lo, exec_lo, s20
	s_cbranch_execz .LBB244_260
.LBB244_532:
	v_cmp_ne_u16_e32 vcc_lo, 0, v7
	v_mov_b32_e32 v3, 0
	s_and_not1_b32 s0, s0, exec_lo
	s_and_b32 s21, vcc_lo, exec_lo
	s_delay_alu instid0(SALU_CYCLE_1)
	s_or_b32 s0, s0, s21
	s_or_b32 exec_lo, exec_lo, s20
	s_and_saveexec_b32 s20, s0
	s_cbranch_execnz .LBB244_261
	s_branch .LBB244_262
.LBB244_533:
	s_mov_b32 s0, -1
	s_mov_b32 s22, exec_lo
	v_cmpx_eq_u16_e32 0x80, v3
; %bb.534:
	s_xor_b32 s0, exec_lo, -1
; %bb.535:
	s_or_b32 exec_lo, exec_lo, s22
	s_delay_alu instid0(SALU_CYCLE_1)
	s_and_b32 s0, s0, exec_lo
                                        ; implicit-def: $vgpr3
	s_or_saveexec_b32 s21, s21
	v_mov_b32_e32 v4, 0x7f800001
	s_xor_b32 exec_lo, exec_lo, s21
	s_cbranch_execz .LBB244_266
.LBB244_536:
	v_cmp_ne_u16_e32 vcc_lo, 0, v3
	v_mov_b32_e32 v4, 0
	s_and_not1_b32 s0, s0, exec_lo
	s_and_b32 s22, vcc_lo, exec_lo
	s_delay_alu instid0(SALU_CYCLE_1)
	s_or_b32 s0, s0, s22
	s_or_b32 exec_lo, exec_lo, s21
	s_and_saveexec_b32 s21, s0
	s_cbranch_execnz .LBB244_267
	s_branch .LBB244_268
.LBB244_537:
	s_mov_b32 s0, -1
	s_mov_b32 s22, exec_lo
	v_cmpx_eq_u16_e32 0x80, v7
; %bb.538:
	s_xor_b32 s0, exec_lo, -1
; %bb.539:
	s_or_b32 exec_lo, exec_lo, s22
	s_delay_alu instid0(SALU_CYCLE_1)
	s_and_b32 s0, s0, exec_lo
                                        ; implicit-def: $vgpr7
	s_or_saveexec_b32 s21, s21
	v_mov_b32_e32 v3, 0x7f800001
	s_xor_b32 exec_lo, exec_lo, s21
	s_cbranch_execz .LBB244_270
.LBB244_540:
	v_cmp_ne_u16_e32 vcc_lo, 0, v7
	v_mov_b32_e32 v3, 0
	s_and_not1_b32 s0, s0, exec_lo
	s_and_b32 s22, vcc_lo, exec_lo
	s_delay_alu instid0(SALU_CYCLE_1)
	s_or_b32 s0, s0, s22
	s_or_b32 exec_lo, exec_lo, s21
	s_and_saveexec_b32 s21, s0
	s_cbranch_execnz .LBB244_271
	s_branch .LBB244_272
.LBB244_541:
	s_mov_b32 s0, -1
	s_mov_b32 s23, exec_lo
	v_cmpx_eq_u16_e32 0x80, v15
; %bb.542:
	s_xor_b32 s0, exec_lo, -1
; %bb.543:
	s_or_b32 exec_lo, exec_lo, s23
	s_delay_alu instid0(SALU_CYCLE_1)
	s_and_b32 s0, s0, exec_lo
	s_or_saveexec_b32 s22, s22
	v_mov_b32_e32 v3, 0x7f800001
	s_xor_b32 exec_lo, exec_lo, s22
	s_cbranch_execz .LBB244_276
.LBB244_544:
	v_cmp_ne_u16_e32 vcc_lo, 0, v15
	v_mov_b32_e32 v3, 0
	s_and_not1_b32 s0, s0, exec_lo
	s_and_b32 s23, vcc_lo, exec_lo
	s_delay_alu instid0(SALU_CYCLE_1)
	s_or_b32 s0, s0, s23
	s_or_b32 exec_lo, exec_lo, s22
	s_and_saveexec_b32 s22, s0
	s_cbranch_execnz .LBB244_277
	s_branch .LBB244_278
.LBB244_545:
	s_mov_b32 s0, -1
	s_mov_b32 s23, exec_lo
	v_cmpx_eq_u16_e32 0x80, v14
; %bb.546:
	s_xor_b32 s0, exec_lo, -1
; %bb.547:
	s_or_b32 exec_lo, exec_lo, s23
	s_delay_alu instid0(SALU_CYCLE_1)
	s_and_b32 s0, s0, exec_lo
	s_or_saveexec_b32 s22, s22
	v_mov_b32_e32 v4, 0x7f800001
	s_xor_b32 exec_lo, exec_lo, s22
	s_cbranch_execz .LBB244_280
.LBB244_548:
	v_cmp_ne_u16_e32 vcc_lo, 0, v14
	v_mov_b32_e32 v4, 0
	s_and_not1_b32 s0, s0, exec_lo
	s_and_b32 s23, vcc_lo, exec_lo
	s_delay_alu instid0(SALU_CYCLE_1)
	s_or_b32 s0, s0, s23
	s_or_b32 exec_lo, exec_lo, s22
	s_and_saveexec_b32 s22, s0
	s_cbranch_execnz .LBB244_281
	s_branch .LBB244_282
.LBB244_549:
	s_mov_b32 s0, -1
	s_mov_b32 s24, exec_lo
	v_cmpx_eq_u16_e32 0x80, v3
; %bb.550:
	s_xor_b32 s0, exec_lo, -1
; %bb.551:
	s_or_b32 exec_lo, exec_lo, s24
	s_delay_alu instid0(SALU_CYCLE_1)
	s_and_b32 s0, s0, exec_lo
                                        ; implicit-def: $vgpr3
	s_or_saveexec_b32 s23, s23
	v_mov_b32_e32 v4, 0x7f800001
	s_xor_b32 exec_lo, exec_lo, s23
	s_cbranch_execz .LBB244_286
.LBB244_552:
	v_cmp_ne_u16_e32 vcc_lo, 0, v3
	v_mov_b32_e32 v4, 0
	s_and_not1_b32 s0, s0, exec_lo
	s_and_b32 s24, vcc_lo, exec_lo
	s_delay_alu instid0(SALU_CYCLE_1)
	s_or_b32 s0, s0, s24
	s_or_b32 exec_lo, exec_lo, s23
	s_and_saveexec_b32 s23, s0
	s_cbranch_execnz .LBB244_287
	s_branch .LBB244_288
.LBB244_553:
	s_mov_b32 s0, -1
	s_mov_b32 s24, exec_lo
	v_cmpx_eq_u16_e32 0x80, v7
; %bb.554:
	s_xor_b32 s0, exec_lo, -1
; %bb.555:
	s_or_b32 exec_lo, exec_lo, s24
	s_delay_alu instid0(SALU_CYCLE_1)
	s_and_b32 s0, s0, exec_lo
                                        ; implicit-def: $vgpr7
	s_or_saveexec_b32 s23, s23
	v_mov_b32_e32 v3, 0x7f800001
	s_xor_b32 exec_lo, exec_lo, s23
	s_cbranch_execz .LBB244_290
.LBB244_556:
	v_cmp_ne_u16_e32 vcc_lo, 0, v7
	v_mov_b32_e32 v3, 0
	s_and_not1_b32 s0, s0, exec_lo
	s_and_b32 s24, vcc_lo, exec_lo
	s_delay_alu instid0(SALU_CYCLE_1)
	s_or_b32 s0, s0, s24
	s_or_b32 exec_lo, exec_lo, s23
	s_and_saveexec_b32 s23, s0
	s_cbranch_execnz .LBB244_291
	s_branch .LBB244_292
.LBB244_557:
	s_mov_b32 s0, -1
	s_mov_b32 s25, exec_lo
	v_cmpx_eq_u16_e32 0x80, v3
; %bb.558:
	s_xor_b32 s0, exec_lo, -1
; %bb.559:
	s_or_b32 exec_lo, exec_lo, s25
	s_delay_alu instid0(SALU_CYCLE_1)
	s_and_b32 s0, s0, exec_lo
                                        ; implicit-def: $vgpr3
	s_or_saveexec_b32 s24, s24
	v_mov_b32_e32 v4, 0x7f800001
	s_xor_b32 exec_lo, exec_lo, s24
	s_cbranch_execz .LBB244_296
.LBB244_560:
	v_cmp_ne_u16_e32 vcc_lo, 0, v3
	v_mov_b32_e32 v4, 0
	s_and_not1_b32 s0, s0, exec_lo
	s_and_b32 s25, vcc_lo, exec_lo
	s_delay_alu instid0(SALU_CYCLE_1)
	s_or_b32 s0, s0, s25
	s_or_b32 exec_lo, exec_lo, s24
	s_and_saveexec_b32 s24, s0
	s_cbranch_execnz .LBB244_297
	s_branch .LBB244_298
.LBB244_561:
	s_mov_b32 s0, -1
	s_mov_b32 s25, exec_lo
	v_cmpx_eq_u16_e32 0x80, v5
; %bb.562:
	s_xor_b32 s0, exec_lo, -1
; %bb.563:
	s_or_b32 exec_lo, exec_lo, s25
	s_delay_alu instid0(SALU_CYCLE_1)
	s_and_b32 s0, s0, exec_lo
                                        ; implicit-def: $vgpr5
	s_or_saveexec_b32 s24, s24
	v_mov_b32_e32 v3, 0x7f800001
	s_xor_b32 exec_lo, exec_lo, s24
	s_cbranch_execz .LBB244_300
.LBB244_564:
	v_cmp_ne_u16_e32 vcc_lo, 0, v5
	v_mov_b32_e32 v3, 0
	s_and_not1_b32 s0, s0, exec_lo
	s_and_b32 s25, vcc_lo, exec_lo
	s_delay_alu instid0(SALU_CYCLE_1)
	s_or_b32 s0, s0, s25
	s_or_b32 exec_lo, exec_lo, s24
	s_and_saveexec_b32 s24, s0
	s_cbranch_execnz .LBB244_301
	s_branch .LBB244_302
.LBB244_565:
	s_mov_b32 s0, -1
	s_mov_b32 s26, exec_lo
	v_cmpx_eq_u16_e32 0x80, v3
; %bb.566:
	s_xor_b32 s0, exec_lo, -1
; %bb.567:
	s_or_b32 exec_lo, exec_lo, s26
	s_delay_alu instid0(SALU_CYCLE_1)
	s_and_b32 s0, s0, exec_lo
                                        ; implicit-def: $vgpr3
	s_or_saveexec_b32 s25, s25
	v_mov_b32_e32 v4, 0x7f800001
	s_xor_b32 exec_lo, exec_lo, s25
	s_cbranch_execz .LBB244_306
.LBB244_568:
	v_cmp_ne_u16_e32 vcc_lo, 0, v3
	v_mov_b32_e32 v4, 0
	s_and_not1_b32 s0, s0, exec_lo
	s_and_b32 s26, vcc_lo, exec_lo
	s_delay_alu instid0(SALU_CYCLE_1)
	s_or_b32 s0, s0, s26
	s_or_b32 exec_lo, exec_lo, s25
	s_and_saveexec_b32 s25, s0
	s_cbranch_execnz .LBB244_307
	s_branch .LBB244_308
.LBB244_569:
	s_mov_b32 s0, -1
	s_mov_b32 s26, exec_lo
	v_cmpx_eq_u16_e32 0x80, v5
; %bb.570:
	s_xor_b32 s0, exec_lo, -1
; %bb.571:
	s_or_b32 exec_lo, exec_lo, s26
	s_delay_alu instid0(SALU_CYCLE_1)
	s_and_b32 s0, s0, exec_lo
                                        ; implicit-def: $vgpr5
	s_or_saveexec_b32 s25, s25
	v_mov_b32_e32 v3, 0x7f800001
	s_xor_b32 exec_lo, exec_lo, s25
	s_cbranch_execz .LBB244_310
.LBB244_572:
	v_cmp_ne_u16_e32 vcc_lo, 0, v5
	v_mov_b32_e32 v3, 0
	s_and_not1_b32 s0, s0, exec_lo
	s_and_b32 s26, vcc_lo, exec_lo
	s_delay_alu instid0(SALU_CYCLE_1)
	s_or_b32 s0, s0, s26
	s_or_b32 exec_lo, exec_lo, s25
	s_and_saveexec_b32 s25, s0
	s_cbranch_execnz .LBB244_311
	s_branch .LBB244_312
.LBB244_573:
	s_mov_b32 s0, -1
	s_mov_b32 s27, exec_lo
	v_cmpx_eq_u16_e32 0x80, v10
; %bb.574:
	s_xor_b32 s0, exec_lo, -1
; %bb.575:
	s_or_b32 exec_lo, exec_lo, s27
	s_delay_alu instid0(SALU_CYCLE_1)
	s_and_b32 s0, s0, exec_lo
	s_or_saveexec_b32 s26, s26
	v_mov_b32_e32 v2, 0x7f800001
	s_xor_b32 exec_lo, exec_lo, s26
	s_cbranch_execz .LBB244_316
.LBB244_576:
	v_cmp_ne_u16_e32 vcc_lo, 0, v10
	v_mov_b32_e32 v2, 0
	s_and_not1_b32 s0, s0, exec_lo
	s_and_b32 s27, vcc_lo, exec_lo
	s_delay_alu instid0(SALU_CYCLE_1)
	s_or_b32 s0, s0, s27
	s_or_b32 exec_lo, exec_lo, s26
	s_and_saveexec_b32 s26, s0
	s_cbranch_execnz .LBB244_317
	s_branch .LBB244_318
.LBB244_577:
	s_mov_b32 s0, -1
	s_mov_b32 s27, exec_lo
	v_cmpx_eq_u16_e32 0x80, v1
; %bb.578:
	s_xor_b32 s0, exec_lo, -1
; %bb.579:
	s_or_b32 exec_lo, exec_lo, s27
	s_delay_alu instid0(SALU_CYCLE_1)
	s_and_b32 s0, s0, exec_lo
	s_or_saveexec_b32 s26, s26
	v_mov_b32_e32 v3, 0x7f800001
	s_xor_b32 exec_lo, exec_lo, s26
	s_cbranch_execz .LBB244_320
.LBB244_580:
	v_cmp_ne_u16_e32 vcc_lo, 0, v1
	v_mov_b32_e32 v3, 0
	s_and_not1_b32 s0, s0, exec_lo
	s_and_b32 s27, vcc_lo, exec_lo
	s_delay_alu instid0(SALU_CYCLE_1)
	s_or_b32 s0, s0, s27
	s_or_b32 exec_lo, exec_lo, s26
	s_and_saveexec_b32 s26, s0
	s_cbranch_execnz .LBB244_321
	s_branch .LBB244_322
	.section	.rodata,"a",@progbits
	.p2align	6, 0x0
	.amdhsa_kernel _ZN2at6native29vectorized_elementwise_kernelILi16ENS0_13BinaryFunctorIN3c1015Float8_e5m2fnuzES4_bNS0_12_GLOBAL__N_116CompareEqFunctorIS4_EEEESt5arrayIPcLm3EEEEviT0_T1_
		.amdhsa_group_segment_fixed_size 0
		.amdhsa_private_segment_fixed_size 0
		.amdhsa_kernarg_size 32
		.amdhsa_user_sgpr_count 2
		.amdhsa_user_sgpr_dispatch_ptr 0
		.amdhsa_user_sgpr_queue_ptr 0
		.amdhsa_user_sgpr_kernarg_segment_ptr 1
		.amdhsa_user_sgpr_dispatch_id 0
		.amdhsa_user_sgpr_kernarg_preload_length 0
		.amdhsa_user_sgpr_kernarg_preload_offset 0
		.amdhsa_user_sgpr_private_segment_size 0
		.amdhsa_wavefront_size32 1
		.amdhsa_uses_dynamic_stack 0
		.amdhsa_enable_private_segment 0
		.amdhsa_system_sgpr_workgroup_id_x 1
		.amdhsa_system_sgpr_workgroup_id_y 0
		.amdhsa_system_sgpr_workgroup_id_z 0
		.amdhsa_system_sgpr_workgroup_info 0
		.amdhsa_system_vgpr_workitem_id 0
		.amdhsa_next_free_vgpr 67
		.amdhsa_next_free_sgpr 33
		.amdhsa_named_barrier_count 0
		.amdhsa_reserve_vcc 1
		.amdhsa_float_round_mode_32 0
		.amdhsa_float_round_mode_16_64 0
		.amdhsa_float_denorm_mode_32 3
		.amdhsa_float_denorm_mode_16_64 3
		.amdhsa_fp16_overflow 0
		.amdhsa_memory_ordered 1
		.amdhsa_forward_progress 1
		.amdhsa_inst_pref_size 152
		.amdhsa_round_robin_scheduling 0
		.amdhsa_exception_fp_ieee_invalid_op 0
		.amdhsa_exception_fp_denorm_src 0
		.amdhsa_exception_fp_ieee_div_zero 0
		.amdhsa_exception_fp_ieee_overflow 0
		.amdhsa_exception_fp_ieee_underflow 0
		.amdhsa_exception_fp_ieee_inexact 0
		.amdhsa_exception_int_div_zero 0
	.end_amdhsa_kernel
	.section	.text._ZN2at6native29vectorized_elementwise_kernelILi16ENS0_13BinaryFunctorIN3c1015Float8_e5m2fnuzES4_bNS0_12_GLOBAL__N_116CompareEqFunctorIS4_EEEESt5arrayIPcLm3EEEEviT0_T1_,"axG",@progbits,_ZN2at6native29vectorized_elementwise_kernelILi16ENS0_13BinaryFunctorIN3c1015Float8_e5m2fnuzES4_bNS0_12_GLOBAL__N_116CompareEqFunctorIS4_EEEESt5arrayIPcLm3EEEEviT0_T1_,comdat
.Lfunc_end244:
	.size	_ZN2at6native29vectorized_elementwise_kernelILi16ENS0_13BinaryFunctorIN3c1015Float8_e5m2fnuzES4_bNS0_12_GLOBAL__N_116CompareEqFunctorIS4_EEEESt5arrayIPcLm3EEEEviT0_T1_, .Lfunc_end244-_ZN2at6native29vectorized_elementwise_kernelILi16ENS0_13BinaryFunctorIN3c1015Float8_e5m2fnuzES4_bNS0_12_GLOBAL__N_116CompareEqFunctorIS4_EEEESt5arrayIPcLm3EEEEviT0_T1_
                                        ; -- End function
	.set _ZN2at6native29vectorized_elementwise_kernelILi16ENS0_13BinaryFunctorIN3c1015Float8_e5m2fnuzES4_bNS0_12_GLOBAL__N_116CompareEqFunctorIS4_EEEESt5arrayIPcLm3EEEEviT0_T1_.num_vgpr, max(39, .L_ZN2at6native25elementwise_kernel_helperILb0ENS0_13BinaryFunctorIN3c1015Float8_e5m2fnuzES4_bNS0_12_GLOBAL__N_116CompareEqFunctorIS4_EEEENS0_6memory8policies11unroll_baseILi256ESt5arrayIPcLm3EE23TrivialOffsetCalculatorILi2EjESF_ILi1EjENS9_15LoadWithoutCastENS9_16StoreWithoutCastELi16ELi1EEEEEvT0_T1_.num_vgpr)
	.set _ZN2at6native29vectorized_elementwise_kernelILi16ENS0_13BinaryFunctorIN3c1015Float8_e5m2fnuzES4_bNS0_12_GLOBAL__N_116CompareEqFunctorIS4_EEEESt5arrayIPcLm3EEEEviT0_T1_.num_agpr, max(0, .L_ZN2at6native25elementwise_kernel_helperILb0ENS0_13BinaryFunctorIN3c1015Float8_e5m2fnuzES4_bNS0_12_GLOBAL__N_116CompareEqFunctorIS4_EEEENS0_6memory8policies11unroll_baseILi256ESt5arrayIPcLm3EE23TrivialOffsetCalculatorILi2EjESF_ILi1EjENS9_15LoadWithoutCastENS9_16StoreWithoutCastELi16ELi1EEEEEvT0_T1_.num_agpr)
	.set _ZN2at6native29vectorized_elementwise_kernelILi16ENS0_13BinaryFunctorIN3c1015Float8_e5m2fnuzES4_bNS0_12_GLOBAL__N_116CompareEqFunctorIS4_EEEESt5arrayIPcLm3EEEEviT0_T1_.numbered_sgpr, max(33, .L_ZN2at6native25elementwise_kernel_helperILb0ENS0_13BinaryFunctorIN3c1015Float8_e5m2fnuzES4_bNS0_12_GLOBAL__N_116CompareEqFunctorIS4_EEEENS0_6memory8policies11unroll_baseILi256ESt5arrayIPcLm3EE23TrivialOffsetCalculatorILi2EjESF_ILi1EjENS9_15LoadWithoutCastENS9_16StoreWithoutCastELi16ELi1EEEEEvT0_T1_.numbered_sgpr)
	.set _ZN2at6native29vectorized_elementwise_kernelILi16ENS0_13BinaryFunctorIN3c1015Float8_e5m2fnuzES4_bNS0_12_GLOBAL__N_116CompareEqFunctorIS4_EEEESt5arrayIPcLm3EEEEviT0_T1_.num_named_barrier, max(0, .L_ZN2at6native25elementwise_kernel_helperILb0ENS0_13BinaryFunctorIN3c1015Float8_e5m2fnuzES4_bNS0_12_GLOBAL__N_116CompareEqFunctorIS4_EEEENS0_6memory8policies11unroll_baseILi256ESt5arrayIPcLm3EE23TrivialOffsetCalculatorILi2EjESF_ILi1EjENS9_15LoadWithoutCastENS9_16StoreWithoutCastELi16ELi1EEEEEvT0_T1_.num_named_barrier)
	.set _ZN2at6native29vectorized_elementwise_kernelILi16ENS0_13BinaryFunctorIN3c1015Float8_e5m2fnuzES4_bNS0_12_GLOBAL__N_116CompareEqFunctorIS4_EEEESt5arrayIPcLm3EEEEviT0_T1_.private_seg_size, 0+max(.L_ZN2at6native25elementwise_kernel_helperILb0ENS0_13BinaryFunctorIN3c1015Float8_e5m2fnuzES4_bNS0_12_GLOBAL__N_116CompareEqFunctorIS4_EEEENS0_6memory8policies11unroll_baseILi256ESt5arrayIPcLm3EE23TrivialOffsetCalculatorILi2EjESF_ILi1EjENS9_15LoadWithoutCastENS9_16StoreWithoutCastELi16ELi1EEEEEvT0_T1_.private_seg_size)
	.set _ZN2at6native29vectorized_elementwise_kernelILi16ENS0_13BinaryFunctorIN3c1015Float8_e5m2fnuzES4_bNS0_12_GLOBAL__N_116CompareEqFunctorIS4_EEEESt5arrayIPcLm3EEEEviT0_T1_.uses_vcc, or(1, .L_ZN2at6native25elementwise_kernel_helperILb0ENS0_13BinaryFunctorIN3c1015Float8_e5m2fnuzES4_bNS0_12_GLOBAL__N_116CompareEqFunctorIS4_EEEENS0_6memory8policies11unroll_baseILi256ESt5arrayIPcLm3EE23TrivialOffsetCalculatorILi2EjESF_ILi1EjENS9_15LoadWithoutCastENS9_16StoreWithoutCastELi16ELi1EEEEEvT0_T1_.uses_vcc)
	.set _ZN2at6native29vectorized_elementwise_kernelILi16ENS0_13BinaryFunctorIN3c1015Float8_e5m2fnuzES4_bNS0_12_GLOBAL__N_116CompareEqFunctorIS4_EEEESt5arrayIPcLm3EEEEviT0_T1_.uses_flat_scratch, or(0, .L_ZN2at6native25elementwise_kernel_helperILb0ENS0_13BinaryFunctorIN3c1015Float8_e5m2fnuzES4_bNS0_12_GLOBAL__N_116CompareEqFunctorIS4_EEEENS0_6memory8policies11unroll_baseILi256ESt5arrayIPcLm3EE23TrivialOffsetCalculatorILi2EjESF_ILi1EjENS9_15LoadWithoutCastENS9_16StoreWithoutCastELi16ELi1EEEEEvT0_T1_.uses_flat_scratch)
	.set _ZN2at6native29vectorized_elementwise_kernelILi16ENS0_13BinaryFunctorIN3c1015Float8_e5m2fnuzES4_bNS0_12_GLOBAL__N_116CompareEqFunctorIS4_EEEESt5arrayIPcLm3EEEEviT0_T1_.has_dyn_sized_stack, or(0, .L_ZN2at6native25elementwise_kernel_helperILb0ENS0_13BinaryFunctorIN3c1015Float8_e5m2fnuzES4_bNS0_12_GLOBAL__N_116CompareEqFunctorIS4_EEEENS0_6memory8policies11unroll_baseILi256ESt5arrayIPcLm3EE23TrivialOffsetCalculatorILi2EjESF_ILi1EjENS9_15LoadWithoutCastENS9_16StoreWithoutCastELi16ELi1EEEEEvT0_T1_.has_dyn_sized_stack)
	.set _ZN2at6native29vectorized_elementwise_kernelILi16ENS0_13BinaryFunctorIN3c1015Float8_e5m2fnuzES4_bNS0_12_GLOBAL__N_116CompareEqFunctorIS4_EEEESt5arrayIPcLm3EEEEviT0_T1_.has_recursion, or(0, .L_ZN2at6native25elementwise_kernel_helperILb0ENS0_13BinaryFunctorIN3c1015Float8_e5m2fnuzES4_bNS0_12_GLOBAL__N_116CompareEqFunctorIS4_EEEENS0_6memory8policies11unroll_baseILi256ESt5arrayIPcLm3EE23TrivialOffsetCalculatorILi2EjESF_ILi1EjENS9_15LoadWithoutCastENS9_16StoreWithoutCastELi16ELi1EEEEEvT0_T1_.has_recursion)
	.set _ZN2at6native29vectorized_elementwise_kernelILi16ENS0_13BinaryFunctorIN3c1015Float8_e5m2fnuzES4_bNS0_12_GLOBAL__N_116CompareEqFunctorIS4_EEEESt5arrayIPcLm3EEEEviT0_T1_.has_indirect_call, or(0, .L_ZN2at6native25elementwise_kernel_helperILb0ENS0_13BinaryFunctorIN3c1015Float8_e5m2fnuzES4_bNS0_12_GLOBAL__N_116CompareEqFunctorIS4_EEEENS0_6memory8policies11unroll_baseILi256ESt5arrayIPcLm3EE23TrivialOffsetCalculatorILi2EjESF_ILi1EjENS9_15LoadWithoutCastENS9_16StoreWithoutCastELi16ELi1EEEEEvT0_T1_.has_indirect_call)
	.section	.AMDGPU.csdata,"",@progbits
; Kernel info:
; codeLenInByte = 19332
; TotalNumSgprs: 35
; NumVgprs: 67
; ScratchSize: 0
; MemoryBound: 1
; FloatMode: 240
; IeeeMode: 1
; LDSByteSize: 0 bytes/workgroup (compile time only)
; SGPRBlocks: 0
; VGPRBlocks: 4
; NumSGPRsForWavesPerEU: 35
; NumVGPRsForWavesPerEU: 67
; NamedBarCnt: 0
; Occupancy: 12
; WaveLimiterHint : 0
; COMPUTE_PGM_RSRC2:SCRATCH_EN: 0
; COMPUTE_PGM_RSRC2:USER_SGPR: 2
; COMPUTE_PGM_RSRC2:TRAP_HANDLER: 0
; COMPUTE_PGM_RSRC2:TGID_X_EN: 1
; COMPUTE_PGM_RSRC2:TGID_Y_EN: 0
; COMPUTE_PGM_RSRC2:TGID_Z_EN: 0
; COMPUTE_PGM_RSRC2:TIDIG_COMP_CNT: 0
	.section	.text._ZN2at6native29vectorized_elementwise_kernelILi8ENS0_13BinaryFunctorIN3c1015Float8_e5m2fnuzES4_bNS0_12_GLOBAL__N_116CompareEqFunctorIS4_EEEESt5arrayIPcLm3EEEEviT0_T1_,"axG",@progbits,_ZN2at6native29vectorized_elementwise_kernelILi8ENS0_13BinaryFunctorIN3c1015Float8_e5m2fnuzES4_bNS0_12_GLOBAL__N_116CompareEqFunctorIS4_EEEESt5arrayIPcLm3EEEEviT0_T1_,comdat
	.globl	_ZN2at6native29vectorized_elementwise_kernelILi8ENS0_13BinaryFunctorIN3c1015Float8_e5m2fnuzES4_bNS0_12_GLOBAL__N_116CompareEqFunctorIS4_EEEESt5arrayIPcLm3EEEEviT0_T1_ ; -- Begin function _ZN2at6native29vectorized_elementwise_kernelILi8ENS0_13BinaryFunctorIN3c1015Float8_e5m2fnuzES4_bNS0_12_GLOBAL__N_116CompareEqFunctorIS4_EEEESt5arrayIPcLm3EEEEviT0_T1_
	.p2align	8
	.type	_ZN2at6native29vectorized_elementwise_kernelILi8ENS0_13BinaryFunctorIN3c1015Float8_e5m2fnuzES4_bNS0_12_GLOBAL__N_116CompareEqFunctorIS4_EEEESt5arrayIPcLm3EEEEviT0_T1_,@function
_ZN2at6native29vectorized_elementwise_kernelILi8ENS0_13BinaryFunctorIN3c1015Float8_e5m2fnuzES4_bNS0_12_GLOBAL__N_116CompareEqFunctorIS4_EEEESt5arrayIPcLm3EEEEviT0_T1_: ; @_ZN2at6native29vectorized_elementwise_kernelILi8ENS0_13BinaryFunctorIN3c1015Float8_e5m2fnuzES4_bNS0_12_GLOBAL__N_116CompareEqFunctorIS4_EEEESt5arrayIPcLm3EEEEviT0_T1_
; %bb.0:
	s_clause 0x2
	s_load_b64 s[8:9], s[0:1], 0x0
	s_load_b128 s[4:7], s[0:1], 0x8
	s_load_b64 s[2:3], s[0:1], 0x18
	s_wait_xcnt 0x0
	s_bfe_u32 s0, ttmp6, 0x4000c
	s_and_b32 s1, ttmp6, 15
	s_add_co_i32 s0, s0, 1
	s_getreg_b32 s10, hwreg(HW_REG_IB_STS2, 6, 4)
	s_mul_i32 s0, ttmp9, s0
	s_mov_b32 s32, 0
	s_add_co_i32 s1, s1, s0
	s_cmp_eq_u32 s10, 0
	s_cselect_b32 s0, ttmp9, s1
	s_delay_alu instid0(SALU_CYCLE_1) | instskip(SKIP_3) | instid1(SALU_CYCLE_1)
	s_lshl_b32 s10, s0, 12
	s_mov_b32 s0, -1
	s_wait_kmcnt 0x0
	s_sub_co_i32 s1, s8, s10
	s_cmp_gt_i32 s1, 0xfff
	s_cbranch_scc1 .LBB245_3
; %bb.1:
	s_and_b32 vcc_lo, exec_lo, s0
	s_cbranch_vccnz .LBB245_324
.LBB245_2:
	s_sendmsg sendmsg(MSG_DEALLOC_VGPRS)
	s_endpgm
.LBB245_3:
	s_ashr_i32 s11, s10, 31
	s_cmp_lg_u32 s9, 0
	s_add_nc_u64 s[12:13], s[6:7], s[10:11]
	s_add_nc_u64 s[14:15], s[2:3], s[10:11]
	s_clause 0x3
	global_load_b64 v[8:9], v0, s[12:13] scale_offset
	global_load_b64 v[4:5], v0, s[12:13] offset:2048 scale_offset
	global_load_b64 v[6:7], v0, s[14:15] scale_offset
	global_load_b64 v[2:3], v0, s[14:15] offset:2048 scale_offset
	s_cselect_b32 s0, -1, 0
	s_delay_alu instid0(SALU_CYCLE_1)
	s_and_b32 vcc_lo, exec_lo, s0
	s_wait_loadcnt 0x3
	v_and_b32_e32 v1, 0xff, v8
	s_cbranch_vccz .LBB245_13
; %bb.4:
	s_mov_b32 s8, 0
	s_wait_xcnt 0x2
	s_mov_b32 s12, exec_lo
	s_wait_xcnt 0x0
	v_cmpx_lt_i16_e32 0x7f, v1
	s_xor_b32 s12, exec_lo, s12
	s_cbranch_execnz .LBB245_325
; %bb.5:
	s_or_saveexec_b32 s12, s12
	v_mov_b32_e32 v10, 0x7f800001
	s_xor_b32 exec_lo, exec_lo, s12
	s_cbranch_execnz .LBB245_328
.LBB245_6:
	s_or_b32 exec_lo, exec_lo, s12
	s_and_saveexec_b32 s12, s8
	s_cbranch_execz .LBB245_8
.LBB245_7:
	v_and_b32_e32 v10, 3, v8
	v_bfe_u32 v13, v8, 2, 5
	s_delay_alu instid0(VALU_DEP_2) | instskip(NEXT) | instid1(VALU_DEP_2)
	v_clz_i32_u32_e32 v11, v10
	v_cmp_eq_u32_e32 vcc_lo, 0, v13
	s_delay_alu instid0(VALU_DEP_2) | instskip(NEXT) | instid1(VALU_DEP_1)
	v_min_u32_e32 v11, 32, v11
	v_subrev_nc_u32_e32 v12, 29, v11
	s_delay_alu instid0(VALU_DEP_1) | instskip(NEXT) | instid1(VALU_DEP_1)
	v_dual_lshlrev_b32 v12, v12, v8 :: v_dual_sub_nc_u32 v11, 30, v11
	v_and_b32_e32 v12, 3, v12
	s_delay_alu instid0(VALU_DEP_2) | instskip(NEXT) | instid1(VALU_DEP_2)
	v_dual_cndmask_b32 v11, v13, v11 :: v_dual_lshlrev_b32 v14, 24, v8
	v_cndmask_b32_e32 v10, v10, v12, vcc_lo
	s_delay_alu instid0(VALU_DEP_2) | instskip(NEXT) | instid1(VALU_DEP_3)
	v_and_b32_e32 v12, 0x80000000, v14
	v_lshl_add_u32 v11, v11, 23, 0x37800000
	s_delay_alu instid0(VALU_DEP_3) | instskip(NEXT) | instid1(VALU_DEP_1)
	v_lshlrev_b32_e32 v10, 21, v10
	v_or3_b32 v10, v12, v11, v10
.LBB245_8:
	s_or_b32 exec_lo, exec_lo, s12
	s_wait_loadcnt 0x1
	v_and_b32_e32 v12, 0xff, v6
	s_mov_b32 s8, 0
	s_mov_b32 s12, exec_lo
	s_delay_alu instid0(VALU_DEP_1)
	v_cmpx_lt_i16_e32 0x7f, v12
	s_xor_b32 s12, exec_lo, s12
	s_cbranch_execnz .LBB245_329
; %bb.9:
	s_or_saveexec_b32 s12, s12
	v_mov_b32_e32 v11, 0x7f800001
	s_xor_b32 exec_lo, exec_lo, s12
	s_cbranch_execnz .LBB245_332
.LBB245_10:
	s_or_b32 exec_lo, exec_lo, s12
	s_and_saveexec_b32 s12, s8
	s_cbranch_execz .LBB245_12
.LBB245_11:
	v_and_b32_e32 v11, 3, v6
	v_bfe_u32 v14, v6, 2, 5
	s_delay_alu instid0(VALU_DEP_2) | instskip(NEXT) | instid1(VALU_DEP_2)
	v_clz_i32_u32_e32 v12, v11
	v_cmp_eq_u32_e32 vcc_lo, 0, v14
	s_delay_alu instid0(VALU_DEP_2) | instskip(NEXT) | instid1(VALU_DEP_1)
	v_min_u32_e32 v12, 32, v12
	v_subrev_nc_u32_e32 v13, 29, v12
	s_delay_alu instid0(VALU_DEP_1) | instskip(NEXT) | instid1(VALU_DEP_1)
	v_dual_lshlrev_b32 v13, v13, v6 :: v_dual_sub_nc_u32 v12, 30, v12
	v_dual_lshlrev_b32 v15, 24, v6 :: v_dual_bitop2_b32 v13, 3, v13 bitop3:0x40
	s_delay_alu instid0(VALU_DEP_1) | instskip(NEXT) | instid1(VALU_DEP_2)
	v_dual_cndmask_b32 v12, v14, v12 :: v_dual_cndmask_b32 v11, v11, v13
	v_and_b32_e32 v13, 0x80000000, v15
	s_delay_alu instid0(VALU_DEP_2) | instskip(NEXT) | instid1(VALU_DEP_3)
	v_lshl_add_u32 v12, v12, 23, 0x37800000
	v_lshlrev_b32_e32 v11, 21, v11
	s_delay_alu instid0(VALU_DEP_1)
	v_or3_b32 v11, v13, v12, v11
.LBB245_12:
	s_or_b32 exec_lo, exec_lo, s12
	s_delay_alu instid0(VALU_DEP_1)
	v_cmp_neq_f32_e64 s8, v10, v11
	s_branch .LBB245_23
.LBB245_13:
	s_wait_xcnt 0x2
                                        ; implicit-def: $sgpr8
	s_cbranch_execz .LBB245_23
; %bb.14:
	s_mov_b32 s8, 0
	s_mov_b32 s12, exec_lo
	s_wait_xcnt 0x0
	v_cmpx_lt_i16_e32 0x7f, v1
	s_xor_b32 s12, exec_lo, s12
	s_cbranch_execnz .LBB245_453
; %bb.15:
	s_or_saveexec_b32 s12, s12
	v_mov_b32_e32 v10, 0x7f800001
	s_xor_b32 exec_lo, exec_lo, s12
	s_cbranch_execnz .LBB245_456
.LBB245_16:
	s_or_b32 exec_lo, exec_lo, s12
	s_and_saveexec_b32 s12, s8
	s_cbranch_execz .LBB245_18
.LBB245_17:
	v_and_b32_e32 v1, 3, v8
	v_bfe_u32 v12, v8, 2, 5
	s_delay_alu instid0(VALU_DEP_2) | instskip(NEXT) | instid1(VALU_DEP_2)
	v_clz_i32_u32_e32 v10, v1
	v_cmp_eq_u32_e32 vcc_lo, 0, v12
	s_delay_alu instid0(VALU_DEP_2) | instskip(NEXT) | instid1(VALU_DEP_1)
	v_min_u32_e32 v10, 32, v10
	v_subrev_nc_u32_e32 v11, 29, v10
	s_delay_alu instid0(VALU_DEP_1) | instskip(NEXT) | instid1(VALU_DEP_1)
	v_dual_lshlrev_b32 v11, v11, v8 :: v_dual_sub_nc_u32 v10, 30, v10
	v_dual_lshlrev_b32 v13, 24, v8 :: v_dual_bitop2_b32 v11, 3, v11 bitop3:0x40
	s_delay_alu instid0(VALU_DEP_1) | instskip(NEXT) | instid1(VALU_DEP_2)
	v_dual_cndmask_b32 v10, v12, v10 :: v_dual_cndmask_b32 v1, v1, v11
	v_and_b32_e32 v11, 0x80000000, v13
	s_delay_alu instid0(VALU_DEP_2) | instskip(NEXT) | instid1(VALU_DEP_3)
	v_lshl_add_u32 v10, v10, 23, 0x37800000
	v_lshlrev_b32_e32 v1, 21, v1
	s_delay_alu instid0(VALU_DEP_1)
	v_or3_b32 v10, v11, v10, v1
.LBB245_18:
	s_or_b32 exec_lo, exec_lo, s12
	s_wait_loadcnt 0x1
	v_and_b32_e32 v11, 0xff, v6
	s_mov_b32 s8, 0
	s_mov_b32 s12, exec_lo
	s_delay_alu instid0(VALU_DEP_1)
	v_cmpx_lt_i16_e32 0x7f, v11
	s_xor_b32 s12, exec_lo, s12
	s_cbranch_execnz .LBB245_457
; %bb.19:
	s_or_saveexec_b32 s12, s12
	v_mov_b32_e32 v1, 0x7f800001
	s_xor_b32 exec_lo, exec_lo, s12
	s_cbranch_execnz .LBB245_460
.LBB245_20:
	s_or_b32 exec_lo, exec_lo, s12
	s_and_saveexec_b32 s12, s8
	s_cbranch_execz .LBB245_22
.LBB245_21:
	v_and_b32_e32 v1, 3, v6
	v_bfe_u32 v13, v6, 2, 5
	s_delay_alu instid0(VALU_DEP_2) | instskip(NEXT) | instid1(VALU_DEP_2)
	v_clz_i32_u32_e32 v11, v1
	v_cmp_eq_u32_e32 vcc_lo, 0, v13
	s_delay_alu instid0(VALU_DEP_2) | instskip(NEXT) | instid1(VALU_DEP_1)
	v_min_u32_e32 v11, 32, v11
	v_subrev_nc_u32_e32 v12, 29, v11
	s_delay_alu instid0(VALU_DEP_1) | instskip(NEXT) | instid1(VALU_DEP_1)
	v_dual_lshlrev_b32 v12, v12, v6 :: v_dual_sub_nc_u32 v11, 30, v11
	v_dual_lshlrev_b32 v14, 24, v6 :: v_dual_bitop2_b32 v12, 3, v12 bitop3:0x40
	s_delay_alu instid0(VALU_DEP_2) | instskip(NEXT) | instid1(VALU_DEP_2)
	v_cndmask_b32_e32 v11, v13, v11, vcc_lo
	v_cndmask_b32_e32 v1, v1, v12, vcc_lo
	s_delay_alu instid0(VALU_DEP_3) | instskip(NEXT) | instid1(VALU_DEP_3)
	v_and_b32_e32 v12, 0x80000000, v14
	v_lshl_add_u32 v11, v11, 23, 0x37800000
	s_delay_alu instid0(VALU_DEP_3) | instskip(NEXT) | instid1(VALU_DEP_1)
	v_lshlrev_b32_e32 v1, 21, v1
	v_or3_b32 v1, v12, v11, v1
.LBB245_22:
	s_or_b32 exec_lo, exec_lo, s12
	s_delay_alu instid0(VALU_DEP_1)
	v_cmp_eq_f32_e64 s8, v10, v1
.LBB245_23:
	s_wait_loadcnt 0x1
	v_dual_lshrrev_b32 v11, 8, v8 :: v_dual_lshrrev_b32 v10, 8, v6
	v_cndmask_b32_e64 v1, 0, 1, s0
	s_and_not1_b32 vcc_lo, exec_lo, s0
	s_delay_alu instid0(VALU_DEP_2)
	v_and_b32_e32 v12, 0xff, v11
	s_cbranch_vccnz .LBB245_33
; %bb.24:
	s_mov_b32 s0, 0
	s_mov_b32 s12, exec_lo
	s_wait_xcnt 0x0
	v_cmpx_lt_i16_e32 0x7f, v12
	s_xor_b32 s12, exec_lo, s12
	s_cbranch_execnz .LBB245_333
; %bb.25:
	s_or_saveexec_b32 s12, s12
	v_mov_b32_e32 v13, 0x7f800001
	s_xor_b32 exec_lo, exec_lo, s12
	s_cbranch_execnz .LBB245_336
.LBB245_26:
	s_or_b32 exec_lo, exec_lo, s12
	s_and_saveexec_b32 s12, s0
	s_cbranch_execz .LBB245_28
.LBB245_27:
	v_bfe_u32 v13, v8, 8, 2
	v_bfe_u32 v16, v8, 10, 5
	s_delay_alu instid0(VALU_DEP_2) | instskip(NEXT) | instid1(VALU_DEP_2)
	v_clz_i32_u32_e32 v14, v13
	v_cmp_eq_u32_e32 vcc_lo, 0, v16
	s_delay_alu instid0(VALU_DEP_2) | instskip(NEXT) | instid1(VALU_DEP_1)
	v_min_u32_e32 v14, 32, v14
	v_subrev_nc_u32_e32 v15, 29, v14
	s_delay_alu instid0(VALU_DEP_1) | instskip(NEXT) | instid1(VALU_DEP_1)
	v_dual_sub_nc_u32 v14, 30, v14 :: v_dual_lshlrev_b32 v15, v15, v11
	v_dual_cndmask_b32 v14, v16, v14, vcc_lo :: v_dual_bitop2_b32 v15, 3, v15 bitop3:0x40
	s_delay_alu instid0(VALU_DEP_1) | instskip(NEXT) | instid1(VALU_DEP_2)
	v_lshl_add_u32 v14, v14, 23, 0x37800000
	v_cndmask_b32_e32 v13, v13, v15, vcc_lo
	s_delay_alu instid0(VALU_DEP_1) | instskip(NEXT) | instid1(VALU_DEP_1)
	v_dual_lshlrev_b32 v17, 24, v11 :: v_dual_lshlrev_b32 v13, 21, v13
	v_and_b32_e32 v15, 0x80000000, v17
	s_delay_alu instid0(VALU_DEP_1)
	v_or3_b32 v13, v15, v14, v13
.LBB245_28:
	s_or_b32 exec_lo, exec_lo, s12
	v_and_b32_e32 v15, 0xff, v10
	s_mov_b32 s0, 0
	s_mov_b32 s12, exec_lo
	s_delay_alu instid0(VALU_DEP_1)
	v_cmpx_lt_i16_e32 0x7f, v15
	s_xor_b32 s12, exec_lo, s12
	s_cbranch_execnz .LBB245_337
; %bb.29:
	s_or_saveexec_b32 s12, s12
	v_mov_b32_e32 v14, 0x7f800001
	s_xor_b32 exec_lo, exec_lo, s12
	s_cbranch_execnz .LBB245_340
.LBB245_30:
	s_or_b32 exec_lo, exec_lo, s12
	s_and_saveexec_b32 s12, s0
	s_cbranch_execz .LBB245_32
.LBB245_31:
	v_bfe_u32 v14, v6, 8, 2
	v_bfe_u32 v17, v6, 10, 5
	v_lshlrev_b32_e32 v18, 24, v10
	s_delay_alu instid0(VALU_DEP_3) | instskip(NEXT) | instid1(VALU_DEP_3)
	v_clz_i32_u32_e32 v15, v14
	v_cmp_eq_u32_e32 vcc_lo, 0, v17
	s_delay_alu instid0(VALU_DEP_2) | instskip(NEXT) | instid1(VALU_DEP_1)
	v_min_u32_e32 v15, 32, v15
	v_subrev_nc_u32_e32 v16, 29, v15
	s_delay_alu instid0(VALU_DEP_1) | instskip(NEXT) | instid1(VALU_DEP_1)
	v_dual_sub_nc_u32 v15, 30, v15 :: v_dual_lshlrev_b32 v16, v16, v10
	v_dual_cndmask_b32 v15, v17, v15, vcc_lo :: v_dual_bitop2_b32 v16, 3, v16 bitop3:0x40
	s_delay_alu instid0(VALU_DEP_1) | instskip(SKIP_1) | instid1(VALU_DEP_3)
	v_cndmask_b32_e32 v14, v14, v16, vcc_lo
	v_and_b32_e32 v16, 0x80000000, v18
	v_lshl_add_u32 v15, v15, 23, 0x37800000
	s_delay_alu instid0(VALU_DEP_3) | instskip(NEXT) | instid1(VALU_DEP_1)
	v_lshlrev_b32_e32 v14, 21, v14
	v_or3_b32 v14, v16, v15, v14
.LBB245_32:
	s_or_b32 exec_lo, exec_lo, s12
	s_delay_alu instid0(VALU_DEP_1)
	v_cmp_neq_f32_e64 s12, v13, v14
	s_branch .LBB245_43
.LBB245_33:
                                        ; implicit-def: $sgpr12
	s_cbranch_execz .LBB245_43
; %bb.34:
	s_mov_b32 s0, 0
	s_mov_b32 s12, exec_lo
	s_wait_xcnt 0x0
	v_cmpx_lt_i16_e32 0x7f, v12
	s_xor_b32 s12, exec_lo, s12
	s_cbranch_execnz .LBB245_461
; %bb.35:
	s_or_saveexec_b32 s12, s12
	v_mov_b32_e32 v13, 0x7f800001
	s_xor_b32 exec_lo, exec_lo, s12
	s_cbranch_execnz .LBB245_464
.LBB245_36:
	s_or_b32 exec_lo, exec_lo, s12
	s_and_saveexec_b32 s12, s0
	s_cbranch_execz .LBB245_38
.LBB245_37:
	v_bfe_u32 v12, v8, 8, 2
	v_bfe_u32 v15, v8, 10, 5
	s_delay_alu instid0(VALU_DEP_2) | instskip(NEXT) | instid1(VALU_DEP_2)
	v_clz_i32_u32_e32 v13, v12
	v_cmp_eq_u32_e32 vcc_lo, 0, v15
	s_delay_alu instid0(VALU_DEP_2) | instskip(NEXT) | instid1(VALU_DEP_1)
	v_min_u32_e32 v13, 32, v13
	v_subrev_nc_u32_e32 v14, 29, v13
	s_delay_alu instid0(VALU_DEP_1) | instskip(NEXT) | instid1(VALU_DEP_1)
	v_dual_sub_nc_u32 v13, 30, v13 :: v_dual_lshlrev_b32 v14, v14, v11
	v_dual_lshlrev_b32 v11, 24, v11 :: v_dual_bitop2_b32 v14, 3, v14 bitop3:0x40
	s_delay_alu instid0(VALU_DEP_2) | instskip(NEXT) | instid1(VALU_DEP_2)
	v_cndmask_b32_e32 v13, v15, v13, vcc_lo
	v_and_b32_e32 v11, 0x80000000, v11
	s_delay_alu instid0(VALU_DEP_3) | instskip(NEXT) | instid1(VALU_DEP_3)
	v_cndmask_b32_e32 v12, v12, v14, vcc_lo
	v_lshl_add_u32 v13, v13, 23, 0x37800000
	s_delay_alu instid0(VALU_DEP_2) | instskip(NEXT) | instid1(VALU_DEP_1)
	v_lshlrev_b32_e32 v12, 21, v12
	v_or3_b32 v13, v11, v13, v12
.LBB245_38:
	s_or_b32 exec_lo, exec_lo, s12
	v_and_b32_e32 v12, 0xff, v10
	s_mov_b32 s0, 0
	s_mov_b32 s12, exec_lo
	s_delay_alu instid0(VALU_DEP_1)
	v_cmpx_lt_i16_e32 0x7f, v12
	s_xor_b32 s12, exec_lo, s12
	s_cbranch_execnz .LBB245_465
; %bb.39:
	s_or_saveexec_b32 s12, s12
	v_mov_b32_e32 v11, 0x7f800001
	s_xor_b32 exec_lo, exec_lo, s12
	s_cbranch_execnz .LBB245_468
.LBB245_40:
	s_or_b32 exec_lo, exec_lo, s12
	s_and_saveexec_b32 s12, s0
	s_cbranch_execz .LBB245_42
.LBB245_41:
	v_bfe_u32 v11, v6, 8, 2
	v_bfe_u32 v15, v6, 10, 5
	s_delay_alu instid0(VALU_DEP_2) | instskip(NEXT) | instid1(VALU_DEP_2)
	v_clz_i32_u32_e32 v12, v11
	v_cmp_eq_u32_e32 vcc_lo, 0, v15
	s_delay_alu instid0(VALU_DEP_2) | instskip(NEXT) | instid1(VALU_DEP_1)
	v_min_u32_e32 v12, 32, v12
	v_subrev_nc_u32_e32 v14, 29, v12
	s_delay_alu instid0(VALU_DEP_1) | instskip(NEXT) | instid1(VALU_DEP_1)
	v_dual_sub_nc_u32 v12, 30, v12 :: v_dual_lshlrev_b32 v14, v14, v10
	v_dual_cndmask_b32 v12, v15, v12, vcc_lo :: v_dual_bitop2_b32 v14, 3, v14 bitop3:0x40
	s_delay_alu instid0(VALU_DEP_1) | instskip(NEXT) | instid1(VALU_DEP_2)
	v_lshl_add_u32 v12, v12, 23, 0x37800000
	v_cndmask_b32_e32 v11, v11, v14, vcc_lo
	s_delay_alu instid0(VALU_DEP_1) | instskip(NEXT) | instid1(VALU_DEP_1)
	v_dual_lshlrev_b32 v10, 24, v10 :: v_dual_lshlrev_b32 v11, 21, v11
	v_and_b32_e32 v10, 0x80000000, v10
	s_delay_alu instid0(VALU_DEP_1)
	v_or3_b32 v11, v10, v12, v11
.LBB245_42:
	s_or_b32 exec_lo, exec_lo, s12
	s_delay_alu instid0(VALU_DEP_1)
	v_cmp_eq_f32_e64 s12, v13, v11
.LBB245_43:
	v_dual_lshrrev_b32 v11, 16, v8 :: v_dual_lshrrev_b32 v10, 16, v6
	v_cmp_ne_u32_e32 vcc_lo, 1, v1
	s_delay_alu instid0(VALU_DEP_2)
	v_and_b32_e32 v12, 0xff, v11
	s_cbranch_vccnz .LBB245_53
; %bb.44:
	s_mov_b32 s0, 0
	s_mov_b32 s13, exec_lo
	s_wait_xcnt 0x0
	v_cmpx_lt_i16_e32 0x7f, v12
	s_xor_b32 s13, exec_lo, s13
	s_cbranch_execnz .LBB245_341
; %bb.45:
	s_or_saveexec_b32 s13, s13
	v_mov_b32_e32 v13, 0x7f800001
	s_xor_b32 exec_lo, exec_lo, s13
	s_cbranch_execnz .LBB245_344
.LBB245_46:
	s_or_b32 exec_lo, exec_lo, s13
	s_and_saveexec_b32 s13, s0
	s_cbranch_execz .LBB245_48
.LBB245_47:
	v_bfe_u32 v13, v8, 16, 2
	v_bfe_u32 v16, v8, 18, 5
	s_delay_alu instid0(VALU_DEP_2) | instskip(NEXT) | instid1(VALU_DEP_2)
	v_clz_i32_u32_e32 v14, v13
	v_cmp_eq_u32_e32 vcc_lo, 0, v16
	s_delay_alu instid0(VALU_DEP_2) | instskip(NEXT) | instid1(VALU_DEP_1)
	v_min_u32_e32 v14, 32, v14
	v_subrev_nc_u32_e32 v15, 29, v14
	s_delay_alu instid0(VALU_DEP_1) | instskip(NEXT) | instid1(VALU_DEP_1)
	v_dual_sub_nc_u32 v14, 30, v14 :: v_dual_lshlrev_b32 v15, v15, v11
	v_dual_cndmask_b32 v14, v16, v14, vcc_lo :: v_dual_bitop2_b32 v15, 3, v15 bitop3:0x40
	s_delay_alu instid0(VALU_DEP_1) | instskip(NEXT) | instid1(VALU_DEP_2)
	v_lshl_add_u32 v14, v14, 23, 0x37800000
	v_cndmask_b32_e32 v13, v13, v15, vcc_lo
	s_delay_alu instid0(VALU_DEP_1) | instskip(NEXT) | instid1(VALU_DEP_1)
	v_dual_lshlrev_b32 v17, 24, v11 :: v_dual_lshlrev_b32 v13, 21, v13
	v_and_b32_e32 v15, 0x80000000, v17
	s_delay_alu instid0(VALU_DEP_1)
	v_or3_b32 v13, v15, v14, v13
.LBB245_48:
	s_or_b32 exec_lo, exec_lo, s13
	v_and_b32_e32 v15, 0xff, v10
	s_mov_b32 s0, 0
	s_mov_b32 s13, exec_lo
	s_delay_alu instid0(VALU_DEP_1)
	v_cmpx_lt_i16_e32 0x7f, v15
	s_xor_b32 s13, exec_lo, s13
	s_cbranch_execnz .LBB245_345
; %bb.49:
	s_or_saveexec_b32 s13, s13
	v_mov_b32_e32 v14, 0x7f800001
	s_xor_b32 exec_lo, exec_lo, s13
	s_cbranch_execnz .LBB245_348
.LBB245_50:
	s_or_b32 exec_lo, exec_lo, s13
	s_and_saveexec_b32 s13, s0
	s_cbranch_execz .LBB245_52
.LBB245_51:
	v_bfe_u32 v14, v6, 16, 2
	v_bfe_u32 v17, v6, 18, 5
	v_lshlrev_b32_e32 v18, 24, v10
	s_delay_alu instid0(VALU_DEP_3) | instskip(NEXT) | instid1(VALU_DEP_3)
	v_clz_i32_u32_e32 v15, v14
	v_cmp_eq_u32_e32 vcc_lo, 0, v17
	s_delay_alu instid0(VALU_DEP_2) | instskip(NEXT) | instid1(VALU_DEP_1)
	v_min_u32_e32 v15, 32, v15
	v_subrev_nc_u32_e32 v16, 29, v15
	s_delay_alu instid0(VALU_DEP_1) | instskip(NEXT) | instid1(VALU_DEP_1)
	v_dual_sub_nc_u32 v15, 30, v15 :: v_dual_lshlrev_b32 v16, v16, v10
	v_dual_cndmask_b32 v15, v17, v15, vcc_lo :: v_dual_bitop2_b32 v16, 3, v16 bitop3:0x40
	s_delay_alu instid0(VALU_DEP_1) | instskip(SKIP_1) | instid1(VALU_DEP_3)
	v_cndmask_b32_e32 v14, v14, v16, vcc_lo
	v_and_b32_e32 v16, 0x80000000, v18
	v_lshl_add_u32 v15, v15, 23, 0x37800000
	s_delay_alu instid0(VALU_DEP_3) | instskip(NEXT) | instid1(VALU_DEP_1)
	v_lshlrev_b32_e32 v14, 21, v14
	v_or3_b32 v14, v16, v15, v14
.LBB245_52:
	s_or_b32 exec_lo, exec_lo, s13
	s_delay_alu instid0(VALU_DEP_1)
	v_cmp_neq_f32_e64 s13, v13, v14
	s_branch .LBB245_63
.LBB245_53:
                                        ; implicit-def: $sgpr13
	s_cbranch_execz .LBB245_63
; %bb.54:
	s_mov_b32 s0, 0
	s_mov_b32 s13, exec_lo
	s_wait_xcnt 0x0
	v_cmpx_lt_i16_e32 0x7f, v12
	s_xor_b32 s13, exec_lo, s13
	s_cbranch_execnz .LBB245_469
; %bb.55:
	s_or_saveexec_b32 s13, s13
	v_mov_b32_e32 v13, 0x7f800001
	s_xor_b32 exec_lo, exec_lo, s13
	s_cbranch_execnz .LBB245_472
.LBB245_56:
	s_or_b32 exec_lo, exec_lo, s13
	s_and_saveexec_b32 s13, s0
	s_cbranch_execz .LBB245_58
.LBB245_57:
	v_bfe_u32 v12, v8, 16, 2
	v_bfe_u32 v15, v8, 18, 5
	s_delay_alu instid0(VALU_DEP_2) | instskip(NEXT) | instid1(VALU_DEP_2)
	v_clz_i32_u32_e32 v13, v12
	v_cmp_eq_u32_e32 vcc_lo, 0, v15
	s_delay_alu instid0(VALU_DEP_2) | instskip(NEXT) | instid1(VALU_DEP_1)
	v_min_u32_e32 v13, 32, v13
	v_subrev_nc_u32_e32 v14, 29, v13
	s_delay_alu instid0(VALU_DEP_1) | instskip(NEXT) | instid1(VALU_DEP_1)
	v_dual_sub_nc_u32 v13, 30, v13 :: v_dual_lshlrev_b32 v14, v14, v11
	v_dual_lshlrev_b32 v11, 24, v11 :: v_dual_bitop2_b32 v14, 3, v14 bitop3:0x40
	s_delay_alu instid0(VALU_DEP_2) | instskip(NEXT) | instid1(VALU_DEP_2)
	v_cndmask_b32_e32 v13, v15, v13, vcc_lo
	v_and_b32_e32 v11, 0x80000000, v11
	s_delay_alu instid0(VALU_DEP_3) | instskip(NEXT) | instid1(VALU_DEP_3)
	v_cndmask_b32_e32 v12, v12, v14, vcc_lo
	v_lshl_add_u32 v13, v13, 23, 0x37800000
	s_delay_alu instid0(VALU_DEP_2) | instskip(NEXT) | instid1(VALU_DEP_1)
	v_lshlrev_b32_e32 v12, 21, v12
	v_or3_b32 v13, v11, v13, v12
.LBB245_58:
	s_or_b32 exec_lo, exec_lo, s13
	v_and_b32_e32 v12, 0xff, v10
	s_mov_b32 s0, 0
	s_mov_b32 s13, exec_lo
	s_delay_alu instid0(VALU_DEP_1)
	v_cmpx_lt_i16_e32 0x7f, v12
	s_xor_b32 s13, exec_lo, s13
	s_cbranch_execnz .LBB245_473
; %bb.59:
	s_or_saveexec_b32 s13, s13
	v_mov_b32_e32 v11, 0x7f800001
	s_xor_b32 exec_lo, exec_lo, s13
	s_cbranch_execnz .LBB245_476
.LBB245_60:
	s_or_b32 exec_lo, exec_lo, s13
	s_and_saveexec_b32 s13, s0
	s_cbranch_execz .LBB245_62
.LBB245_61:
	v_bfe_u32 v11, v6, 16, 2
	v_bfe_u32 v15, v6, 18, 5
	s_delay_alu instid0(VALU_DEP_2) | instskip(NEXT) | instid1(VALU_DEP_2)
	v_clz_i32_u32_e32 v12, v11
	v_cmp_eq_u32_e32 vcc_lo, 0, v15
	s_delay_alu instid0(VALU_DEP_2) | instskip(NEXT) | instid1(VALU_DEP_1)
	v_min_u32_e32 v12, 32, v12
	v_subrev_nc_u32_e32 v14, 29, v12
	s_delay_alu instid0(VALU_DEP_1) | instskip(NEXT) | instid1(VALU_DEP_1)
	v_dual_sub_nc_u32 v12, 30, v12 :: v_dual_lshlrev_b32 v14, v14, v10
	v_dual_cndmask_b32 v12, v15, v12, vcc_lo :: v_dual_bitop2_b32 v14, 3, v14 bitop3:0x40
	s_delay_alu instid0(VALU_DEP_1) | instskip(NEXT) | instid1(VALU_DEP_2)
	v_lshl_add_u32 v12, v12, 23, 0x37800000
	v_cndmask_b32_e32 v11, v11, v14, vcc_lo
	s_delay_alu instid0(VALU_DEP_1) | instskip(NEXT) | instid1(VALU_DEP_1)
	v_dual_lshlrev_b32 v10, 24, v10 :: v_dual_lshlrev_b32 v11, 21, v11
	v_and_b32_e32 v10, 0x80000000, v10
	s_delay_alu instid0(VALU_DEP_1)
	v_or3_b32 v11, v10, v12, v11
.LBB245_62:
	s_or_b32 exec_lo, exec_lo, s13
	s_delay_alu instid0(VALU_DEP_1)
	v_cmp_eq_f32_e64 s13, v13, v11
.LBB245_63:
	v_dual_lshrrev_b32 v11, 24, v8 :: v_dual_lshrrev_b32 v10, 24, v6
	v_cmp_ne_u32_e32 vcc_lo, 1, v1
	s_delay_alu instid0(VALU_DEP_2)
	v_cmp_lt_i16_e64 s0, 0x7f, v11
	s_cbranch_vccnz .LBB245_83
; %bb.64:
	s_wait_xcnt 0x0
	s_mov_b32 s14, 0
	s_and_saveexec_b32 s15, s0
	s_delay_alu instid0(SALU_CYCLE_1)
	s_xor_b32 s0, exec_lo, s15
	s_cbranch_execnz .LBB245_349
; %bb.65:
	s_or_saveexec_b32 s0, s0
	v_mov_b32_e32 v12, 0x7f800001
	s_xor_b32 exec_lo, exec_lo, s0
	s_cbranch_execnz .LBB245_352
.LBB245_66:
	s_or_b32 exec_lo, exec_lo, s0
	s_and_saveexec_b32 s0, s14
	s_cbranch_execz .LBB245_68
.LBB245_67:
	v_bfe_u32 v12, v8, 24, 2
	v_bfe_u32 v15, v8, 26, 5
	s_delay_alu instid0(VALU_DEP_2) | instskip(NEXT) | instid1(VALU_DEP_2)
	v_clz_i32_u32_e32 v13, v12
	v_cmp_eq_u32_e32 vcc_lo, 0, v15
	s_delay_alu instid0(VALU_DEP_2) | instskip(NEXT) | instid1(VALU_DEP_1)
	v_min_u32_e32 v13, 32, v13
	v_subrev_nc_u32_e32 v14, 29, v13
	s_delay_alu instid0(VALU_DEP_1) | instskip(NEXT) | instid1(VALU_DEP_1)
	v_dual_sub_nc_u32 v13, 30, v13 :: v_dual_lshlrev_b32 v14, v14, v11
	v_dual_cndmask_b32 v13, v15, v13, vcc_lo :: v_dual_bitop2_b32 v14, 3, v14 bitop3:0x40
	s_delay_alu instid0(VALU_DEP_1) | instskip(NEXT) | instid1(VALU_DEP_2)
	v_lshl_add_u32 v13, v13, 23, 0x37800000
	v_cndmask_b32_e32 v12, v12, v14, vcc_lo
	v_and_b32_e32 v14, 0x80000000, v8
	s_delay_alu instid0(VALU_DEP_2) | instskip(NEXT) | instid1(VALU_DEP_1)
	v_lshlrev_b32_e32 v12, 21, v12
	v_or3_b32 v12, v14, v13, v12
.LBB245_68:
	s_or_b32 exec_lo, exec_lo, s0
	s_mov_b32 s0, 0
	s_mov_b32 s14, exec_lo
	v_cmpx_lt_i16_e32 0x7f, v10
	s_xor_b32 s14, exec_lo, s14
	s_cbranch_execnz .LBB245_353
; %bb.69:
	s_or_saveexec_b32 s14, s14
	v_mov_b32_e32 v13, 0x7f800001
	s_xor_b32 exec_lo, exec_lo, s14
	s_cbranch_execnz .LBB245_356
.LBB245_70:
	s_or_b32 exec_lo, exec_lo, s14
	s_and_saveexec_b32 s14, s0
	s_cbranch_execz .LBB245_72
.LBB245_71:
	v_bfe_u32 v13, v6, 24, 2
	v_bfe_u32 v16, v6, 26, 5
	s_delay_alu instid0(VALU_DEP_2) | instskip(NEXT) | instid1(VALU_DEP_2)
	v_clz_i32_u32_e32 v14, v13
	v_cmp_eq_u32_e32 vcc_lo, 0, v16
	s_delay_alu instid0(VALU_DEP_2) | instskip(NEXT) | instid1(VALU_DEP_1)
	v_min_u32_e32 v14, 32, v14
	v_subrev_nc_u32_e32 v15, 29, v14
	s_delay_alu instid0(VALU_DEP_1) | instskip(NEXT) | instid1(VALU_DEP_1)
	v_lshlrev_b32_e32 v15, v15, v10
	v_dual_sub_nc_u32 v14, 30, v14 :: v_dual_bitop2_b32 v15, 3, v15 bitop3:0x40
	s_delay_alu instid0(VALU_DEP_1) | instskip(SKIP_1) | instid1(VALU_DEP_2)
	v_dual_cndmask_b32 v14, v16, v14 :: v_dual_cndmask_b32 v13, v13, v15
	v_and_b32_e32 v15, 0x80000000, v6
	v_lshl_add_u32 v14, v14, 23, 0x37800000
	s_delay_alu instid0(VALU_DEP_3) | instskip(NEXT) | instid1(VALU_DEP_1)
	v_lshlrev_b32_e32 v13, 21, v13
	v_or3_b32 v13, v15, v14, v13
.LBB245_72:
	s_or_b32 exec_lo, exec_lo, s14
	s_delay_alu instid0(VALU_DEP_1)
	v_cmp_neq_f32_e64 s14, v12, v13
.LBB245_73:
	v_cmp_ne_u32_e32 vcc_lo, 1, v1
	v_and_b32_e32 v6, 0xff, v9
	s_cbranch_vccnz .LBB245_93
.LBB245_74:
	s_mov_b32 s0, 0
	s_wait_xcnt 0x0
	s_mov_b32 s15, exec_lo
	v_cmpx_lt_i16_e32 0x7f, v6
	s_xor_b32 s15, exec_lo, s15
	s_cbranch_execnz .LBB245_357
; %bb.75:
	s_or_saveexec_b32 s15, s15
	v_mov_b32_e32 v8, 0x7f800001
	s_xor_b32 exec_lo, exec_lo, s15
	s_cbranch_execnz .LBB245_360
.LBB245_76:
	s_or_b32 exec_lo, exec_lo, s15
	s_and_saveexec_b32 s15, s0
	s_cbranch_execz .LBB245_78
.LBB245_77:
	v_and_b32_e32 v8, 3, v9
	v_bfe_u32 v12, v9, 2, 5
	s_delay_alu instid0(VALU_DEP_2) | instskip(NEXT) | instid1(VALU_DEP_2)
	v_clz_i32_u32_e32 v10, v8
	v_cmp_eq_u32_e32 vcc_lo, 0, v12
	s_delay_alu instid0(VALU_DEP_2) | instskip(NEXT) | instid1(VALU_DEP_1)
	v_min_u32_e32 v10, 32, v10
	v_subrev_nc_u32_e32 v11, 29, v10
	s_delay_alu instid0(VALU_DEP_1) | instskip(NEXT) | instid1(VALU_DEP_1)
	v_dual_lshlrev_b32 v11, v11, v9 :: v_dual_sub_nc_u32 v10, 30, v10
	v_dual_lshlrev_b32 v13, 24, v9 :: v_dual_bitop2_b32 v11, 3, v11 bitop3:0x40
	s_delay_alu instid0(VALU_DEP_2) | instskip(NEXT) | instid1(VALU_DEP_2)
	v_cndmask_b32_e32 v10, v12, v10, vcc_lo
	v_cndmask_b32_e32 v8, v8, v11, vcc_lo
	s_delay_alu instid0(VALU_DEP_3) | instskip(NEXT) | instid1(VALU_DEP_3)
	v_and_b32_e32 v11, 0x80000000, v13
	v_lshl_add_u32 v10, v10, 23, 0x37800000
	s_delay_alu instid0(VALU_DEP_3) | instskip(NEXT) | instid1(VALU_DEP_1)
	v_lshlrev_b32_e32 v8, 21, v8
	v_or3_b32 v8, v11, v10, v8
.LBB245_78:
	s_or_b32 exec_lo, exec_lo, s15
	v_and_b32_e32 v11, 0xff, v7
	s_mov_b32 s0, 0
	s_mov_b32 s15, exec_lo
	s_delay_alu instid0(VALU_DEP_1)
	v_cmpx_lt_i16_e32 0x7f, v11
	s_xor_b32 s15, exec_lo, s15
	s_cbranch_execnz .LBB245_361
; %bb.79:
	s_or_saveexec_b32 s15, s15
	v_mov_b32_e32 v10, 0x7f800001
	s_xor_b32 exec_lo, exec_lo, s15
	s_cbranch_execnz .LBB245_364
.LBB245_80:
	s_or_b32 exec_lo, exec_lo, s15
	s_and_saveexec_b32 s15, s0
	s_cbranch_execz .LBB245_82
.LBB245_81:
	v_and_b32_e32 v10, 3, v7
	v_bfe_u32 v13, v7, 2, 5
	s_delay_alu instid0(VALU_DEP_2) | instskip(NEXT) | instid1(VALU_DEP_2)
	v_clz_i32_u32_e32 v11, v10
	v_cmp_eq_u32_e32 vcc_lo, 0, v13
	s_delay_alu instid0(VALU_DEP_2) | instskip(NEXT) | instid1(VALU_DEP_1)
	v_min_u32_e32 v11, 32, v11
	v_subrev_nc_u32_e32 v12, 29, v11
	s_delay_alu instid0(VALU_DEP_1) | instskip(NEXT) | instid1(VALU_DEP_1)
	v_lshlrev_b32_e32 v12, v12, v7
	v_dual_sub_nc_u32 v11, 30, v11 :: v_dual_bitop2_b32 v12, 3, v12 bitop3:0x40
	s_delay_alu instid0(VALU_DEP_1) | instskip(NEXT) | instid1(VALU_DEP_2)
	v_dual_lshlrev_b32 v14, 24, v7 :: v_dual_cndmask_b32 v10, v10, v12, vcc_lo
	v_cndmask_b32_e32 v11, v13, v11, vcc_lo
	s_delay_alu instid0(VALU_DEP_2) | instskip(NEXT) | instid1(VALU_DEP_3)
	v_and_b32_e32 v12, 0x80000000, v14
	v_lshlrev_b32_e32 v10, 21, v10
	s_delay_alu instid0(VALU_DEP_3) | instskip(NEXT) | instid1(VALU_DEP_1)
	v_lshl_add_u32 v11, v11, 23, 0x37800000
	v_or3_b32 v10, v12, v11, v10
.LBB245_82:
	s_or_b32 exec_lo, exec_lo, s15
	s_delay_alu instid0(VALU_DEP_1)
	v_cmp_neq_f32_e64 s15, v8, v10
	s_branch .LBB245_103
.LBB245_83:
                                        ; implicit-def: $sgpr14
	s_cbranch_execz .LBB245_73
; %bb.84:
	s_mov_b32 s0, 0
	s_wait_xcnt 0x0
	s_mov_b32 s14, exec_lo
	v_cmpx_lt_i16_e32 0x7f, v11
	s_xor_b32 s14, exec_lo, s14
	s_cbranch_execnz .LBB245_477
; %bb.85:
	s_or_saveexec_b32 s14, s14
	v_mov_b32_e32 v12, 0x7f800001
	s_xor_b32 exec_lo, exec_lo, s14
	s_cbranch_execnz .LBB245_480
.LBB245_86:
	s_or_b32 exec_lo, exec_lo, s14
	s_and_saveexec_b32 s14, s0
	s_cbranch_execz .LBB245_88
.LBB245_87:
	v_bfe_u32 v12, v8, 24, 2
	s_delay_alu instid0(VALU_DEP_1) | instskip(NEXT) | instid1(VALU_DEP_1)
	v_clz_i32_u32_e32 v13, v12
	v_min_u32_e32 v13, 32, v13
	s_delay_alu instid0(VALU_DEP_1) | instskip(NEXT) | instid1(VALU_DEP_1)
	v_subrev_nc_u32_e32 v14, 29, v13
	v_dual_sub_nc_u32 v13, 30, v13 :: v_dual_lshlrev_b32 v11, v14, v11
	v_bfe_u32 v14, v8, 26, 5
	v_and_b32_e32 v8, 0x80000000, v8
	s_delay_alu instid0(VALU_DEP_2) | instskip(NEXT) | instid1(VALU_DEP_4)
	v_cmp_eq_u32_e32 vcc_lo, 0, v14
	v_dual_cndmask_b32 v13, v14, v13, vcc_lo :: v_dual_bitop2_b32 v11, 3, v11 bitop3:0x40
	s_delay_alu instid0(VALU_DEP_1) | instskip(NEXT) | instid1(VALU_DEP_2)
	v_cndmask_b32_e32 v11, v12, v11, vcc_lo
	v_lshl_add_u32 v12, v13, 23, 0x37800000
	s_delay_alu instid0(VALU_DEP_2) | instskip(NEXT) | instid1(VALU_DEP_1)
	v_lshlrev_b32_e32 v11, 21, v11
	v_or3_b32 v12, v8, v12, v11
.LBB245_88:
	s_or_b32 exec_lo, exec_lo, s14
	s_mov_b32 s0, 0
	s_mov_b32 s14, exec_lo
	v_cmpx_lt_i16_e32 0x7f, v10
	s_xor_b32 s14, exec_lo, s14
	s_cbranch_execnz .LBB245_481
; %bb.89:
	s_or_saveexec_b32 s14, s14
	v_mov_b32_e32 v8, 0x7f800001
	s_xor_b32 exec_lo, exec_lo, s14
	s_cbranch_execnz .LBB245_484
.LBB245_90:
	s_or_b32 exec_lo, exec_lo, s14
	s_and_saveexec_b32 s14, s0
	s_cbranch_execz .LBB245_92
.LBB245_91:
	v_bfe_u32 v8, v6, 24, 2
	s_delay_alu instid0(VALU_DEP_1) | instskip(NEXT) | instid1(VALU_DEP_1)
	v_clz_i32_u32_e32 v11, v8
	v_min_u32_e32 v11, 32, v11
	s_delay_alu instid0(VALU_DEP_1) | instskip(NEXT) | instid1(VALU_DEP_1)
	v_subrev_nc_u32_e32 v13, 29, v11
	v_dual_sub_nc_u32 v11, 30, v11 :: v_dual_lshlrev_b32 v10, v13, v10
	v_bfe_u32 v13, v6, 26, 5
	v_and_b32_e32 v6, 0x80000000, v6
	s_delay_alu instid0(VALU_DEP_2) | instskip(NEXT) | instid1(VALU_DEP_4)
	v_cmp_eq_u32_e32 vcc_lo, 0, v13
	v_dual_cndmask_b32 v11, v13, v11, vcc_lo :: v_dual_bitop2_b32 v10, 3, v10 bitop3:0x40
	s_delay_alu instid0(VALU_DEP_1) | instskip(NEXT) | instid1(VALU_DEP_2)
	v_cndmask_b32_e32 v8, v8, v10, vcc_lo
	v_lshl_add_u32 v10, v11, 23, 0x37800000
	s_delay_alu instid0(VALU_DEP_2) | instskip(NEXT) | instid1(VALU_DEP_1)
	v_lshlrev_b32_e32 v8, 21, v8
	v_or3_b32 v8, v6, v10, v8
.LBB245_92:
	s_or_b32 exec_lo, exec_lo, s14
	s_delay_alu instid0(VALU_DEP_1)
	v_cmp_eq_f32_e64 s14, v12, v8
	v_cmp_ne_u32_e32 vcc_lo, 1, v1
	v_and_b32_e32 v6, 0xff, v9
	s_cbranch_vccz .LBB245_74
.LBB245_93:
                                        ; implicit-def: $sgpr15
	s_cbranch_execz .LBB245_103
; %bb.94:
	s_mov_b32 s0, 0
	s_wait_xcnt 0x0
	s_mov_b32 s15, exec_lo
	v_cmpx_lt_i16_e32 0x7f, v6
	s_xor_b32 s15, exec_lo, s15
	s_cbranch_execnz .LBB245_485
; %bb.95:
	s_or_saveexec_b32 s15, s15
	v_mov_b32_e32 v8, 0x7f800001
	s_xor_b32 exec_lo, exec_lo, s15
	s_cbranch_execnz .LBB245_488
.LBB245_96:
	s_or_b32 exec_lo, exec_lo, s15
	s_and_saveexec_b32 s15, s0
	s_cbranch_execz .LBB245_98
.LBB245_97:
	v_and_b32_e32 v6, 3, v9
	v_bfe_u32 v11, v9, 2, 5
	s_delay_alu instid0(VALU_DEP_2) | instskip(NEXT) | instid1(VALU_DEP_2)
	v_clz_i32_u32_e32 v8, v6
	v_cmp_eq_u32_e32 vcc_lo, 0, v11
	s_delay_alu instid0(VALU_DEP_2) | instskip(NEXT) | instid1(VALU_DEP_1)
	v_min_u32_e32 v8, 32, v8
	v_subrev_nc_u32_e32 v10, 29, v8
	s_delay_alu instid0(VALU_DEP_1) | instskip(NEXT) | instid1(VALU_DEP_1)
	v_dual_lshlrev_b32 v10, v10, v9 :: v_dual_sub_nc_u32 v8, 30, v8
	v_dual_lshlrev_b32 v12, 24, v9 :: v_dual_bitop2_b32 v10, 3, v10 bitop3:0x40
	s_delay_alu instid0(VALU_DEP_1) | instskip(NEXT) | instid1(VALU_DEP_2)
	v_dual_cndmask_b32 v8, v11, v8, vcc_lo :: v_dual_cndmask_b32 v6, v6, v10, vcc_lo
	v_and_b32_e32 v10, 0x80000000, v12
	s_delay_alu instid0(VALU_DEP_2) | instskip(NEXT) | instid1(VALU_DEP_3)
	v_lshl_add_u32 v8, v8, 23, 0x37800000
	v_lshlrev_b32_e32 v6, 21, v6
	s_delay_alu instid0(VALU_DEP_1)
	v_or3_b32 v8, v10, v8, v6
.LBB245_98:
	s_or_b32 exec_lo, exec_lo, s15
	v_and_b32_e32 v10, 0xff, v7
	s_mov_b32 s0, 0
	s_mov_b32 s15, exec_lo
	s_delay_alu instid0(VALU_DEP_1)
	v_cmpx_lt_i16_e32 0x7f, v10
	s_xor_b32 s15, exec_lo, s15
	s_cbranch_execnz .LBB245_489
; %bb.99:
	s_or_saveexec_b32 s15, s15
	v_mov_b32_e32 v6, 0x7f800001
	s_xor_b32 exec_lo, exec_lo, s15
	s_cbranch_execnz .LBB245_492
.LBB245_100:
	s_or_b32 exec_lo, exec_lo, s15
	s_and_saveexec_b32 s15, s0
	s_cbranch_execz .LBB245_102
.LBB245_101:
	v_and_b32_e32 v6, 3, v7
	v_bfe_u32 v12, v7, 2, 5
	s_delay_alu instid0(VALU_DEP_2) | instskip(NEXT) | instid1(VALU_DEP_2)
	v_clz_i32_u32_e32 v10, v6
	v_cmp_eq_u32_e32 vcc_lo, 0, v12
	s_delay_alu instid0(VALU_DEP_2) | instskip(NEXT) | instid1(VALU_DEP_1)
	v_min_u32_e32 v10, 32, v10
	v_subrev_nc_u32_e32 v11, 29, v10
	s_delay_alu instid0(VALU_DEP_1) | instskip(NEXT) | instid1(VALU_DEP_1)
	v_dual_lshlrev_b32 v11, v11, v7 :: v_dual_sub_nc_u32 v10, 30, v10
	v_and_b32_e32 v11, 3, v11
	s_delay_alu instid0(VALU_DEP_2) | instskip(NEXT) | instid1(VALU_DEP_2)
	v_dual_cndmask_b32 v10, v12, v10 :: v_dual_lshlrev_b32 v13, 24, v7
	v_cndmask_b32_e32 v6, v6, v11, vcc_lo
	s_delay_alu instid0(VALU_DEP_2) | instskip(NEXT) | instid1(VALU_DEP_3)
	v_and_b32_e32 v11, 0x80000000, v13
	v_lshl_add_u32 v10, v10, 23, 0x37800000
	s_delay_alu instid0(VALU_DEP_3) | instskip(NEXT) | instid1(VALU_DEP_1)
	v_lshlrev_b32_e32 v6, 21, v6
	v_or3_b32 v6, v11, v10, v6
.LBB245_102:
	s_or_b32 exec_lo, exec_lo, s15
	s_delay_alu instid0(VALU_DEP_1)
	v_cmp_eq_f32_e64 s15, v8, v6
.LBB245_103:
	v_dual_lshrrev_b32 v8, 8, v9 :: v_dual_lshrrev_b32 v6, 8, v7
	v_cmp_ne_u32_e32 vcc_lo, 1, v1
	s_delay_alu instid0(VALU_DEP_2)
	v_and_b32_e32 v10, 0xff, v8
	s_cbranch_vccnz .LBB245_113
; %bb.104:
	s_mov_b32 s0, 0
	s_mov_b32 s16, exec_lo
	s_wait_xcnt 0x0
	v_cmpx_lt_i16_e32 0x7f, v10
	s_xor_b32 s16, exec_lo, s16
	s_cbranch_execnz .LBB245_365
; %bb.105:
	s_or_saveexec_b32 s16, s16
	v_mov_b32_e32 v11, 0x7f800001
	s_xor_b32 exec_lo, exec_lo, s16
	s_cbranch_execnz .LBB245_368
.LBB245_106:
	s_or_b32 exec_lo, exec_lo, s16
	s_and_saveexec_b32 s16, s0
	s_cbranch_execz .LBB245_108
.LBB245_107:
	v_bfe_u32 v11, v9, 8, 2
	v_bfe_u32 v14, v9, 10, 5
	v_lshlrev_b32_e32 v15, 24, v8
	s_delay_alu instid0(VALU_DEP_3) | instskip(NEXT) | instid1(VALU_DEP_3)
	v_clz_i32_u32_e32 v12, v11
	v_cmp_eq_u32_e32 vcc_lo, 0, v14
	s_delay_alu instid0(VALU_DEP_2) | instskip(NEXT) | instid1(VALU_DEP_1)
	v_min_u32_e32 v12, 32, v12
	v_subrev_nc_u32_e32 v13, 29, v12
	s_delay_alu instid0(VALU_DEP_1) | instskip(NEXT) | instid1(VALU_DEP_1)
	v_lshlrev_b32_e32 v13, v13, v8
	v_dual_sub_nc_u32 v12, 30, v12 :: v_dual_bitop2_b32 v13, 3, v13 bitop3:0x40
	s_delay_alu instid0(VALU_DEP_1) | instskip(SKIP_1) | instid1(VALU_DEP_2)
	v_dual_cndmask_b32 v12, v14, v12 :: v_dual_cndmask_b32 v11, v11, v13
	v_and_b32_e32 v13, 0x80000000, v15
	v_lshl_add_u32 v12, v12, 23, 0x37800000
	s_delay_alu instid0(VALU_DEP_3) | instskip(NEXT) | instid1(VALU_DEP_1)
	v_lshlrev_b32_e32 v11, 21, v11
	v_or3_b32 v11, v13, v12, v11
.LBB245_108:
	s_or_b32 exec_lo, exec_lo, s16
	v_and_b32_e32 v13, 0xff, v6
	s_mov_b32 s0, 0
	s_mov_b32 s16, exec_lo
	s_delay_alu instid0(VALU_DEP_1)
	v_cmpx_lt_i16_e32 0x7f, v13
	s_xor_b32 s16, exec_lo, s16
	s_cbranch_execnz .LBB245_369
; %bb.109:
	s_or_saveexec_b32 s16, s16
	v_mov_b32_e32 v12, 0x7f800001
	s_xor_b32 exec_lo, exec_lo, s16
	s_cbranch_execnz .LBB245_372
.LBB245_110:
	s_or_b32 exec_lo, exec_lo, s16
	s_and_saveexec_b32 s16, s0
	s_cbranch_execz .LBB245_112
.LBB245_111:
	v_bfe_u32 v12, v7, 8, 2
	v_bfe_u32 v15, v7, 10, 5
	s_delay_alu instid0(VALU_DEP_2) | instskip(NEXT) | instid1(VALU_DEP_2)
	v_clz_i32_u32_e32 v13, v12
	v_cmp_eq_u32_e32 vcc_lo, 0, v15
	s_delay_alu instid0(VALU_DEP_2) | instskip(NEXT) | instid1(VALU_DEP_1)
	v_min_u32_e32 v13, 32, v13
	v_subrev_nc_u32_e32 v14, 29, v13
	s_delay_alu instid0(VALU_DEP_1) | instskip(NEXT) | instid1(VALU_DEP_1)
	v_dual_sub_nc_u32 v13, 30, v13 :: v_dual_lshlrev_b32 v14, v14, v6
	v_dual_cndmask_b32 v13, v15, v13, vcc_lo :: v_dual_bitop2_b32 v14, 3, v14 bitop3:0x40
	s_delay_alu instid0(VALU_DEP_1) | instskip(NEXT) | instid1(VALU_DEP_2)
	v_lshl_add_u32 v13, v13, 23, 0x37800000
	v_cndmask_b32_e32 v12, v12, v14, vcc_lo
	s_delay_alu instid0(VALU_DEP_1) | instskip(NEXT) | instid1(VALU_DEP_1)
	v_dual_lshlrev_b32 v16, 24, v6 :: v_dual_lshlrev_b32 v12, 21, v12
	v_and_b32_e32 v14, 0x80000000, v16
	s_delay_alu instid0(VALU_DEP_1)
	v_or3_b32 v12, v14, v13, v12
.LBB245_112:
	s_or_b32 exec_lo, exec_lo, s16
	s_delay_alu instid0(VALU_DEP_1)
	v_cmp_neq_f32_e64 s16, v11, v12
	s_branch .LBB245_123
.LBB245_113:
                                        ; implicit-def: $sgpr16
	s_cbranch_execz .LBB245_123
; %bb.114:
	s_mov_b32 s0, 0
	s_mov_b32 s16, exec_lo
	s_wait_xcnt 0x0
	v_cmpx_lt_i16_e32 0x7f, v10
	s_xor_b32 s16, exec_lo, s16
	s_cbranch_execnz .LBB245_493
; %bb.115:
	s_or_saveexec_b32 s16, s16
	v_mov_b32_e32 v11, 0x7f800001
	s_xor_b32 exec_lo, exec_lo, s16
	s_cbranch_execnz .LBB245_496
.LBB245_116:
	s_or_b32 exec_lo, exec_lo, s16
	s_and_saveexec_b32 s16, s0
	s_cbranch_execz .LBB245_118
.LBB245_117:
	v_bfe_u32 v10, v9, 8, 2
	v_bfe_u32 v13, v9, 10, 5
	s_delay_alu instid0(VALU_DEP_2) | instskip(NEXT) | instid1(VALU_DEP_2)
	v_clz_i32_u32_e32 v11, v10
	v_cmp_eq_u32_e32 vcc_lo, 0, v13
	s_delay_alu instid0(VALU_DEP_2) | instskip(NEXT) | instid1(VALU_DEP_1)
	v_min_u32_e32 v11, 32, v11
	v_subrev_nc_u32_e32 v12, 29, v11
	s_delay_alu instid0(VALU_DEP_1) | instskip(NEXT) | instid1(VALU_DEP_1)
	v_dual_sub_nc_u32 v11, 30, v11 :: v_dual_lshlrev_b32 v12, v12, v8
	v_dual_cndmask_b32 v11, v13, v11, vcc_lo :: v_dual_bitop2_b32 v12, 3, v12 bitop3:0x40
	s_delay_alu instid0(VALU_DEP_1) | instskip(NEXT) | instid1(VALU_DEP_2)
	v_lshl_add_u32 v11, v11, 23, 0x37800000
	v_cndmask_b32_e32 v10, v10, v12, vcc_lo
	s_delay_alu instid0(VALU_DEP_1) | instskip(NEXT) | instid1(VALU_DEP_1)
	v_dual_lshlrev_b32 v8, 24, v8 :: v_dual_lshlrev_b32 v10, 21, v10
	v_and_b32_e32 v8, 0x80000000, v8
	s_delay_alu instid0(VALU_DEP_1)
	v_or3_b32 v11, v8, v11, v10
.LBB245_118:
	s_or_b32 exec_lo, exec_lo, s16
	v_and_b32_e32 v10, 0xff, v6
	s_mov_b32 s0, 0
	s_mov_b32 s16, exec_lo
	s_delay_alu instid0(VALU_DEP_1)
	v_cmpx_lt_i16_e32 0x7f, v10
	s_xor_b32 s16, exec_lo, s16
	s_cbranch_execnz .LBB245_497
; %bb.119:
	s_or_saveexec_b32 s16, s16
	v_mov_b32_e32 v8, 0x7f800001
	s_xor_b32 exec_lo, exec_lo, s16
	s_cbranch_execnz .LBB245_500
.LBB245_120:
	s_or_b32 exec_lo, exec_lo, s16
	s_and_saveexec_b32 s16, s0
	s_cbranch_execz .LBB245_122
.LBB245_121:
	v_bfe_u32 v8, v7, 8, 2
	v_bfe_u32 v13, v7, 10, 5
	s_delay_alu instid0(VALU_DEP_2) | instskip(NEXT) | instid1(VALU_DEP_2)
	v_clz_i32_u32_e32 v10, v8
	v_cmp_eq_u32_e32 vcc_lo, 0, v13
	s_delay_alu instid0(VALU_DEP_2) | instskip(NEXT) | instid1(VALU_DEP_1)
	v_min_u32_e32 v10, 32, v10
	v_subrev_nc_u32_e32 v12, 29, v10
	s_delay_alu instid0(VALU_DEP_1) | instskip(NEXT) | instid1(VALU_DEP_1)
	v_dual_lshlrev_b32 v12, v12, v6 :: v_dual_lshlrev_b32 v6, 24, v6
	v_dual_sub_nc_u32 v10, 30, v10 :: v_dual_bitop2_b32 v12, 3, v12 bitop3:0x40
	s_delay_alu instid0(VALU_DEP_2) | instskip(NEXT) | instid1(VALU_DEP_2)
	v_and_b32_e32 v6, 0x80000000, v6
	v_dual_cndmask_b32 v10, v13, v10, vcc_lo :: v_dual_cndmask_b32 v8, v8, v12, vcc_lo
	s_delay_alu instid0(VALU_DEP_1) | instskip(NEXT) | instid1(VALU_DEP_2)
	v_lshl_add_u32 v10, v10, 23, 0x37800000
	v_lshlrev_b32_e32 v8, 21, v8
	s_delay_alu instid0(VALU_DEP_1)
	v_or3_b32 v8, v6, v10, v8
.LBB245_122:
	s_or_b32 exec_lo, exec_lo, s16
	s_delay_alu instid0(VALU_DEP_1)
	v_cmp_eq_f32_e64 s16, v11, v8
.LBB245_123:
	v_dual_lshrrev_b32 v8, 16, v9 :: v_dual_lshrrev_b32 v6, 16, v7
	v_cmp_ne_u32_e32 vcc_lo, 1, v1
	s_delay_alu instid0(VALU_DEP_2)
	v_and_b32_e32 v10, 0xff, v8
	s_cbranch_vccnz .LBB245_133
; %bb.124:
	s_mov_b32 s0, 0
	s_mov_b32 s17, exec_lo
	s_wait_xcnt 0x0
	v_cmpx_lt_i16_e32 0x7f, v10
	s_xor_b32 s17, exec_lo, s17
	s_cbranch_execnz .LBB245_373
; %bb.125:
	s_or_saveexec_b32 s17, s17
	v_mov_b32_e32 v11, 0x7f800001
	s_xor_b32 exec_lo, exec_lo, s17
	s_cbranch_execnz .LBB245_376
.LBB245_126:
	s_or_b32 exec_lo, exec_lo, s17
	s_and_saveexec_b32 s17, s0
	s_cbranch_execz .LBB245_128
.LBB245_127:
	v_bfe_u32 v11, v9, 16, 2
	v_bfe_u32 v14, v9, 18, 5
	v_lshlrev_b32_e32 v15, 24, v8
	s_delay_alu instid0(VALU_DEP_3) | instskip(NEXT) | instid1(VALU_DEP_3)
	v_clz_i32_u32_e32 v12, v11
	v_cmp_eq_u32_e32 vcc_lo, 0, v14
	s_delay_alu instid0(VALU_DEP_2) | instskip(NEXT) | instid1(VALU_DEP_1)
	v_min_u32_e32 v12, 32, v12
	v_subrev_nc_u32_e32 v13, 29, v12
	s_delay_alu instid0(VALU_DEP_1) | instskip(NEXT) | instid1(VALU_DEP_1)
	v_lshlrev_b32_e32 v13, v13, v8
	v_dual_sub_nc_u32 v12, 30, v12 :: v_dual_bitop2_b32 v13, 3, v13 bitop3:0x40
	s_delay_alu instid0(VALU_DEP_1) | instskip(SKIP_1) | instid1(VALU_DEP_2)
	v_dual_cndmask_b32 v12, v14, v12 :: v_dual_cndmask_b32 v11, v11, v13
	v_and_b32_e32 v13, 0x80000000, v15
	v_lshl_add_u32 v12, v12, 23, 0x37800000
	s_delay_alu instid0(VALU_DEP_3) | instskip(NEXT) | instid1(VALU_DEP_1)
	v_lshlrev_b32_e32 v11, 21, v11
	v_or3_b32 v11, v13, v12, v11
.LBB245_128:
	s_or_b32 exec_lo, exec_lo, s17
	v_and_b32_e32 v13, 0xff, v6
	s_mov_b32 s0, 0
	s_mov_b32 s17, exec_lo
	s_delay_alu instid0(VALU_DEP_1)
	v_cmpx_lt_i16_e32 0x7f, v13
	s_xor_b32 s17, exec_lo, s17
	s_cbranch_execnz .LBB245_377
; %bb.129:
	s_or_saveexec_b32 s17, s17
	v_mov_b32_e32 v12, 0x7f800001
	s_xor_b32 exec_lo, exec_lo, s17
	s_cbranch_execnz .LBB245_380
.LBB245_130:
	s_or_b32 exec_lo, exec_lo, s17
	s_and_saveexec_b32 s17, s0
	s_cbranch_execz .LBB245_132
.LBB245_131:
	v_bfe_u32 v12, v7, 16, 2
	v_bfe_u32 v15, v7, 18, 5
	s_delay_alu instid0(VALU_DEP_2) | instskip(NEXT) | instid1(VALU_DEP_2)
	v_clz_i32_u32_e32 v13, v12
	v_cmp_eq_u32_e32 vcc_lo, 0, v15
	s_delay_alu instid0(VALU_DEP_2) | instskip(NEXT) | instid1(VALU_DEP_1)
	v_min_u32_e32 v13, 32, v13
	v_subrev_nc_u32_e32 v14, 29, v13
	s_delay_alu instid0(VALU_DEP_1) | instskip(NEXT) | instid1(VALU_DEP_1)
	v_dual_sub_nc_u32 v13, 30, v13 :: v_dual_lshlrev_b32 v14, v14, v6
	v_dual_cndmask_b32 v13, v15, v13, vcc_lo :: v_dual_bitop2_b32 v14, 3, v14 bitop3:0x40
	s_delay_alu instid0(VALU_DEP_1) | instskip(NEXT) | instid1(VALU_DEP_2)
	v_lshl_add_u32 v13, v13, 23, 0x37800000
	v_cndmask_b32_e32 v12, v12, v14, vcc_lo
	s_delay_alu instid0(VALU_DEP_1) | instskip(NEXT) | instid1(VALU_DEP_1)
	v_dual_lshlrev_b32 v16, 24, v6 :: v_dual_lshlrev_b32 v12, 21, v12
	v_and_b32_e32 v14, 0x80000000, v16
	s_delay_alu instid0(VALU_DEP_1)
	v_or3_b32 v12, v14, v13, v12
.LBB245_132:
	s_or_b32 exec_lo, exec_lo, s17
	s_delay_alu instid0(VALU_DEP_1)
	v_cmp_neq_f32_e64 s17, v11, v12
	s_branch .LBB245_143
.LBB245_133:
                                        ; implicit-def: $sgpr17
	s_cbranch_execz .LBB245_143
; %bb.134:
	s_mov_b32 s0, 0
	s_mov_b32 s17, exec_lo
	s_wait_xcnt 0x0
	v_cmpx_lt_i16_e32 0x7f, v10
	s_xor_b32 s17, exec_lo, s17
	s_cbranch_execnz .LBB245_501
; %bb.135:
	s_or_saveexec_b32 s17, s17
	v_mov_b32_e32 v11, 0x7f800001
	s_xor_b32 exec_lo, exec_lo, s17
	s_cbranch_execnz .LBB245_504
.LBB245_136:
	s_or_b32 exec_lo, exec_lo, s17
	s_and_saveexec_b32 s17, s0
	s_cbranch_execz .LBB245_138
.LBB245_137:
	v_bfe_u32 v10, v9, 16, 2
	v_bfe_u32 v13, v9, 18, 5
	s_delay_alu instid0(VALU_DEP_2) | instskip(NEXT) | instid1(VALU_DEP_2)
	v_clz_i32_u32_e32 v11, v10
	v_cmp_eq_u32_e32 vcc_lo, 0, v13
	s_delay_alu instid0(VALU_DEP_2) | instskip(NEXT) | instid1(VALU_DEP_1)
	v_min_u32_e32 v11, 32, v11
	v_subrev_nc_u32_e32 v12, 29, v11
	s_delay_alu instid0(VALU_DEP_1) | instskip(NEXT) | instid1(VALU_DEP_1)
	v_dual_sub_nc_u32 v11, 30, v11 :: v_dual_lshlrev_b32 v12, v12, v8
	v_dual_cndmask_b32 v11, v13, v11, vcc_lo :: v_dual_bitop2_b32 v12, 3, v12 bitop3:0x40
	s_delay_alu instid0(VALU_DEP_1) | instskip(NEXT) | instid1(VALU_DEP_2)
	v_lshl_add_u32 v11, v11, 23, 0x37800000
	v_cndmask_b32_e32 v10, v10, v12, vcc_lo
	s_delay_alu instid0(VALU_DEP_1) | instskip(NEXT) | instid1(VALU_DEP_1)
	v_dual_lshlrev_b32 v8, 24, v8 :: v_dual_lshlrev_b32 v10, 21, v10
	v_and_b32_e32 v8, 0x80000000, v8
	s_delay_alu instid0(VALU_DEP_1)
	v_or3_b32 v11, v8, v11, v10
.LBB245_138:
	s_or_b32 exec_lo, exec_lo, s17
	v_and_b32_e32 v10, 0xff, v6
	s_mov_b32 s0, 0
	s_mov_b32 s17, exec_lo
	s_delay_alu instid0(VALU_DEP_1)
	v_cmpx_lt_i16_e32 0x7f, v10
	s_xor_b32 s17, exec_lo, s17
	s_cbranch_execnz .LBB245_505
; %bb.139:
	s_or_saveexec_b32 s17, s17
	v_mov_b32_e32 v8, 0x7f800001
	s_xor_b32 exec_lo, exec_lo, s17
	s_cbranch_execnz .LBB245_508
.LBB245_140:
	s_or_b32 exec_lo, exec_lo, s17
	s_and_saveexec_b32 s17, s0
	s_cbranch_execz .LBB245_142
.LBB245_141:
	v_bfe_u32 v8, v7, 16, 2
	v_bfe_u32 v13, v7, 18, 5
	s_delay_alu instid0(VALU_DEP_2) | instskip(NEXT) | instid1(VALU_DEP_2)
	v_clz_i32_u32_e32 v10, v8
	v_cmp_eq_u32_e32 vcc_lo, 0, v13
	s_delay_alu instid0(VALU_DEP_2) | instskip(NEXT) | instid1(VALU_DEP_1)
	v_min_u32_e32 v10, 32, v10
	v_subrev_nc_u32_e32 v12, 29, v10
	s_delay_alu instid0(VALU_DEP_1) | instskip(NEXT) | instid1(VALU_DEP_1)
	v_dual_lshlrev_b32 v12, v12, v6 :: v_dual_lshlrev_b32 v6, 24, v6
	v_dual_sub_nc_u32 v10, 30, v10 :: v_dual_bitop2_b32 v12, 3, v12 bitop3:0x40
	s_delay_alu instid0(VALU_DEP_2) | instskip(NEXT) | instid1(VALU_DEP_2)
	v_and_b32_e32 v6, 0x80000000, v6
	v_dual_cndmask_b32 v10, v13, v10, vcc_lo :: v_dual_cndmask_b32 v8, v8, v12, vcc_lo
	s_delay_alu instid0(VALU_DEP_1) | instskip(NEXT) | instid1(VALU_DEP_2)
	v_lshl_add_u32 v10, v10, 23, 0x37800000
	v_lshlrev_b32_e32 v8, 21, v8
	s_delay_alu instid0(VALU_DEP_1)
	v_or3_b32 v8, v6, v10, v8
.LBB245_142:
	s_or_b32 exec_lo, exec_lo, s17
	s_delay_alu instid0(VALU_DEP_1)
	v_cmp_eq_f32_e64 s17, v11, v8
.LBB245_143:
	v_dual_lshrrev_b32 v8, 24, v9 :: v_dual_lshrrev_b32 v6, 24, v7
	v_cmp_ne_u32_e32 vcc_lo, 1, v1
	s_delay_alu instid0(VALU_DEP_2)
	v_cmp_lt_i16_e64 s0, 0x7f, v8
	s_cbranch_vccnz .LBB245_163
; %bb.144:
	s_mov_b32 s18, 0
	s_wait_xcnt 0x0
	s_and_saveexec_b32 s19, s0
	s_delay_alu instid0(SALU_CYCLE_1)
	s_xor_b32 s0, exec_lo, s19
	s_cbranch_execnz .LBB245_381
; %bb.145:
	s_or_saveexec_b32 s0, s0
	v_mov_b32_e32 v10, 0x7f800001
	s_xor_b32 exec_lo, exec_lo, s0
	s_cbranch_execnz .LBB245_384
.LBB245_146:
	s_or_b32 exec_lo, exec_lo, s0
	s_and_saveexec_b32 s0, s18
	s_cbranch_execz .LBB245_148
.LBB245_147:
	v_bfe_u32 v10, v9, 24, 2
	v_bfe_u32 v13, v9, 26, 5
	s_delay_alu instid0(VALU_DEP_2) | instskip(NEXT) | instid1(VALU_DEP_2)
	v_clz_i32_u32_e32 v11, v10
	v_cmp_eq_u32_e32 vcc_lo, 0, v13
	s_delay_alu instid0(VALU_DEP_2) | instskip(NEXT) | instid1(VALU_DEP_1)
	v_min_u32_e32 v11, 32, v11
	v_subrev_nc_u32_e32 v12, 29, v11
	s_delay_alu instid0(VALU_DEP_1) | instskip(NEXT) | instid1(VALU_DEP_1)
	v_dual_sub_nc_u32 v11, 30, v11 :: v_dual_lshlrev_b32 v12, v12, v8
	v_dual_cndmask_b32 v11, v13, v11, vcc_lo :: v_dual_bitop2_b32 v12, 3, v12 bitop3:0x40
	s_delay_alu instid0(VALU_DEP_1) | instskip(NEXT) | instid1(VALU_DEP_2)
	v_lshl_add_u32 v11, v11, 23, 0x37800000
	v_cndmask_b32_e32 v10, v10, v12, vcc_lo
	v_and_b32_e32 v12, 0x80000000, v9
	s_delay_alu instid0(VALU_DEP_2) | instskip(NEXT) | instid1(VALU_DEP_1)
	v_lshlrev_b32_e32 v10, 21, v10
	v_or3_b32 v10, v12, v11, v10
.LBB245_148:
	s_or_b32 exec_lo, exec_lo, s0
	s_mov_b32 s0, 0
	s_mov_b32 s18, exec_lo
	v_cmpx_lt_i16_e32 0x7f, v6
	s_xor_b32 s18, exec_lo, s18
	s_cbranch_execnz .LBB245_385
; %bb.149:
	s_or_saveexec_b32 s18, s18
	v_mov_b32_e32 v11, 0x7f800001
	s_xor_b32 exec_lo, exec_lo, s18
	s_cbranch_execnz .LBB245_388
.LBB245_150:
	s_or_b32 exec_lo, exec_lo, s18
	s_and_saveexec_b32 s18, s0
	s_cbranch_execz .LBB245_152
.LBB245_151:
	v_bfe_u32 v11, v7, 24, 2
	v_bfe_u32 v14, v7, 26, 5
	s_delay_alu instid0(VALU_DEP_2) | instskip(NEXT) | instid1(VALU_DEP_2)
	v_clz_i32_u32_e32 v12, v11
	v_cmp_eq_u32_e32 vcc_lo, 0, v14
	s_delay_alu instid0(VALU_DEP_2) | instskip(NEXT) | instid1(VALU_DEP_1)
	v_min_u32_e32 v12, 32, v12
	v_subrev_nc_u32_e32 v13, 29, v12
	s_delay_alu instid0(VALU_DEP_1) | instskip(NEXT) | instid1(VALU_DEP_1)
	v_dual_sub_nc_u32 v12, 30, v12 :: v_dual_lshlrev_b32 v13, v13, v6
	v_dual_cndmask_b32 v12, v14, v12, vcc_lo :: v_dual_bitop2_b32 v13, 3, v13 bitop3:0x40
	s_delay_alu instid0(VALU_DEP_1) | instskip(NEXT) | instid1(VALU_DEP_2)
	v_lshl_add_u32 v12, v12, 23, 0x37800000
	v_cndmask_b32_e32 v11, v11, v13, vcc_lo
	v_and_b32_e32 v13, 0x80000000, v7
	s_delay_alu instid0(VALU_DEP_2) | instskip(NEXT) | instid1(VALU_DEP_1)
	v_lshlrev_b32_e32 v11, 21, v11
	v_or3_b32 v11, v13, v12, v11
.LBB245_152:
	s_or_b32 exec_lo, exec_lo, s18
	s_delay_alu instid0(VALU_DEP_1)
	v_cmp_neq_f32_e64 s18, v10, v11
.LBB245_153:
	v_cmp_ne_u32_e32 vcc_lo, 1, v1
	v_and_b32_e32 v6, 0xff, v4
	s_cbranch_vccnz .LBB245_173
.LBB245_154:
	s_mov_b32 s0, 0
	s_mov_b32 s19, exec_lo
	s_wait_xcnt 0x0
	v_cmpx_lt_i16_e32 0x7f, v6
	s_xor_b32 s19, exec_lo, s19
	s_cbranch_execnz .LBB245_389
; %bb.155:
	s_or_saveexec_b32 s19, s19
	v_mov_b32_e32 v7, 0x7f800001
	s_xor_b32 exec_lo, exec_lo, s19
	s_cbranch_execnz .LBB245_392
.LBB245_156:
	s_or_b32 exec_lo, exec_lo, s19
	s_and_saveexec_b32 s19, s0
	s_cbranch_execz .LBB245_158
.LBB245_157:
	v_and_b32_e32 v7, 3, v4
	v_bfe_u32 v10, v4, 2, 5
	s_delay_alu instid0(VALU_DEP_2) | instskip(NEXT) | instid1(VALU_DEP_2)
	v_clz_i32_u32_e32 v8, v7
	v_cmp_eq_u32_e32 vcc_lo, 0, v10
	s_delay_alu instid0(VALU_DEP_2) | instskip(NEXT) | instid1(VALU_DEP_1)
	v_min_u32_e32 v8, 32, v8
	v_subrev_nc_u32_e32 v9, 29, v8
	s_delay_alu instid0(VALU_DEP_1) | instskip(NEXT) | instid1(VALU_DEP_1)
	v_lshlrev_b32_e32 v9, v9, v4
	v_dual_sub_nc_u32 v8, 30, v8 :: v_dual_bitop2_b32 v9, 3, v9 bitop3:0x40
	s_delay_alu instid0(VALU_DEP_1) | instskip(NEXT) | instid1(VALU_DEP_2)
	v_dual_lshlrev_b32 v11, 24, v4 :: v_dual_cndmask_b32 v7, v7, v9, vcc_lo
	v_cndmask_b32_e32 v8, v10, v8, vcc_lo
	s_delay_alu instid0(VALU_DEP_2) | instskip(NEXT) | instid1(VALU_DEP_3)
	v_and_b32_e32 v9, 0x80000000, v11
	v_lshlrev_b32_e32 v7, 21, v7
	s_delay_alu instid0(VALU_DEP_3) | instskip(NEXT) | instid1(VALU_DEP_1)
	v_lshl_add_u32 v8, v8, 23, 0x37800000
	v_or3_b32 v7, v9, v8, v7
.LBB245_158:
	s_or_b32 exec_lo, exec_lo, s19
	s_wait_loadcnt 0x0
	v_and_b32_e32 v9, 0xff, v2
	s_mov_b32 s0, 0
	s_mov_b32 s19, exec_lo
	s_delay_alu instid0(VALU_DEP_1)
	v_cmpx_lt_i16_e32 0x7f, v9
	s_xor_b32 s19, exec_lo, s19
	s_cbranch_execnz .LBB245_393
; %bb.159:
	s_or_saveexec_b32 s19, s19
	v_mov_b32_e32 v8, 0x7f800001
	s_xor_b32 exec_lo, exec_lo, s19
	s_cbranch_execnz .LBB245_396
.LBB245_160:
	s_or_b32 exec_lo, exec_lo, s19
	s_and_saveexec_b32 s19, s0
	s_cbranch_execz .LBB245_162
.LBB245_161:
	v_and_b32_e32 v8, 3, v2
	v_bfe_u32 v11, v2, 2, 5
	s_delay_alu instid0(VALU_DEP_2) | instskip(NEXT) | instid1(VALU_DEP_2)
	v_clz_i32_u32_e32 v9, v8
	v_cmp_eq_u32_e32 vcc_lo, 0, v11
	s_delay_alu instid0(VALU_DEP_2) | instskip(NEXT) | instid1(VALU_DEP_1)
	v_min_u32_e32 v9, 32, v9
	v_subrev_nc_u32_e32 v10, 29, v9
	s_delay_alu instid0(VALU_DEP_1) | instskip(NEXT) | instid1(VALU_DEP_1)
	v_dual_lshlrev_b32 v10, v10, v2 :: v_dual_sub_nc_u32 v9, 30, v9
	v_and_b32_e32 v10, 3, v10
	s_delay_alu instid0(VALU_DEP_2) | instskip(NEXT) | instid1(VALU_DEP_2)
	v_dual_cndmask_b32 v9, v11, v9 :: v_dual_lshlrev_b32 v12, 24, v2
	v_cndmask_b32_e32 v8, v8, v10, vcc_lo
	s_delay_alu instid0(VALU_DEP_2) | instskip(NEXT) | instid1(VALU_DEP_3)
	v_and_b32_e32 v10, 0x80000000, v12
	v_lshl_add_u32 v9, v9, 23, 0x37800000
	s_delay_alu instid0(VALU_DEP_3) | instskip(NEXT) | instid1(VALU_DEP_1)
	v_lshlrev_b32_e32 v8, 21, v8
	v_or3_b32 v8, v10, v9, v8
.LBB245_162:
	s_or_b32 exec_lo, exec_lo, s19
	s_delay_alu instid0(VALU_DEP_1)
	v_cmp_neq_f32_e64 s19, v7, v8
	s_branch .LBB245_183
.LBB245_163:
                                        ; implicit-def: $sgpr18
	s_cbranch_execz .LBB245_153
; %bb.164:
	s_mov_b32 s0, 0
	s_mov_b32 s18, exec_lo
	s_wait_xcnt 0x0
	v_cmpx_lt_i16_e32 0x7f, v8
	s_xor_b32 s18, exec_lo, s18
	s_cbranch_execnz .LBB245_509
; %bb.165:
	s_or_saveexec_b32 s18, s18
	v_mov_b32_e32 v10, 0x7f800001
	s_xor_b32 exec_lo, exec_lo, s18
	s_cbranch_execnz .LBB245_512
.LBB245_166:
	s_or_b32 exec_lo, exec_lo, s18
	s_and_saveexec_b32 s18, s0
	s_cbranch_execz .LBB245_168
.LBB245_167:
	v_bfe_u32 v10, v9, 24, 2
	s_delay_alu instid0(VALU_DEP_1) | instskip(NEXT) | instid1(VALU_DEP_1)
	v_clz_i32_u32_e32 v11, v10
	v_min_u32_e32 v11, 32, v11
	s_delay_alu instid0(VALU_DEP_1) | instskip(NEXT) | instid1(VALU_DEP_1)
	v_subrev_nc_u32_e32 v12, 29, v11
	v_dual_sub_nc_u32 v11, 30, v11 :: v_dual_lshlrev_b32 v8, v12, v8
	v_bfe_u32 v12, v9, 26, 5
	v_and_b32_e32 v9, 0x80000000, v9
	s_delay_alu instid0(VALU_DEP_2) | instskip(NEXT) | instid1(VALU_DEP_4)
	v_cmp_eq_u32_e32 vcc_lo, 0, v12
	v_dual_cndmask_b32 v11, v12, v11, vcc_lo :: v_dual_bitop2_b32 v8, 3, v8 bitop3:0x40
	s_delay_alu instid0(VALU_DEP_1) | instskip(NEXT) | instid1(VALU_DEP_2)
	v_cndmask_b32_e32 v8, v10, v8, vcc_lo
	v_lshl_add_u32 v10, v11, 23, 0x37800000
	s_delay_alu instid0(VALU_DEP_2) | instskip(NEXT) | instid1(VALU_DEP_1)
	v_lshlrev_b32_e32 v8, 21, v8
	v_or3_b32 v10, v9, v10, v8
.LBB245_168:
	s_or_b32 exec_lo, exec_lo, s18
	s_mov_b32 s0, 0
	s_mov_b32 s18, exec_lo
	v_cmpx_lt_i16_e32 0x7f, v6
	s_xor_b32 s18, exec_lo, s18
	s_cbranch_execnz .LBB245_513
; %bb.169:
	s_or_saveexec_b32 s18, s18
	v_mov_b32_e32 v8, 0x7f800001
	s_xor_b32 exec_lo, exec_lo, s18
	s_cbranch_execnz .LBB245_516
.LBB245_170:
	s_or_b32 exec_lo, exec_lo, s18
	s_and_saveexec_b32 s18, s0
	s_cbranch_execz .LBB245_172
.LBB245_171:
	v_bfe_u32 v8, v7, 24, 2
	s_delay_alu instid0(VALU_DEP_1) | instskip(NEXT) | instid1(VALU_DEP_1)
	v_clz_i32_u32_e32 v9, v8
	v_min_u32_e32 v9, 32, v9
	s_delay_alu instid0(VALU_DEP_1) | instskip(NEXT) | instid1(VALU_DEP_1)
	v_subrev_nc_u32_e32 v11, 29, v9
	v_dual_sub_nc_u32 v9, 30, v9 :: v_dual_lshlrev_b32 v6, v11, v6
	v_bfe_u32 v11, v7, 26, 5
	v_and_b32_e32 v7, 0x80000000, v7
	s_delay_alu instid0(VALU_DEP_2) | instskip(NEXT) | instid1(VALU_DEP_4)
	v_cmp_eq_u32_e32 vcc_lo, 0, v11
	v_dual_cndmask_b32 v9, v11, v9, vcc_lo :: v_dual_bitop2_b32 v6, 3, v6 bitop3:0x40
	s_delay_alu instid0(VALU_DEP_1) | instskip(NEXT) | instid1(VALU_DEP_2)
	v_cndmask_b32_e32 v6, v8, v6, vcc_lo
	v_lshl_add_u32 v8, v9, 23, 0x37800000
	s_delay_alu instid0(VALU_DEP_2) | instskip(NEXT) | instid1(VALU_DEP_1)
	v_lshlrev_b32_e32 v6, 21, v6
	v_or3_b32 v8, v7, v8, v6
.LBB245_172:
	s_or_b32 exec_lo, exec_lo, s18
	s_delay_alu instid0(VALU_DEP_1)
	v_cmp_eq_f32_e64 s18, v10, v8
	v_cmp_ne_u32_e32 vcc_lo, 1, v1
	v_and_b32_e32 v6, 0xff, v4
	s_cbranch_vccz .LBB245_154
.LBB245_173:
                                        ; implicit-def: $sgpr19
	s_cbranch_execz .LBB245_183
; %bb.174:
	s_mov_b32 s0, 0
	s_mov_b32 s19, exec_lo
	s_wait_xcnt 0x0
	v_cmpx_lt_i16_e32 0x7f, v6
	s_xor_b32 s19, exec_lo, s19
	s_cbranch_execnz .LBB245_517
; %bb.175:
	s_or_saveexec_b32 s19, s19
	v_mov_b32_e32 v7, 0x7f800001
	s_xor_b32 exec_lo, exec_lo, s19
	s_cbranch_execnz .LBB245_520
.LBB245_176:
	s_or_b32 exec_lo, exec_lo, s19
	s_and_saveexec_b32 s19, s0
	s_cbranch_execz .LBB245_178
.LBB245_177:
	v_and_b32_e32 v6, 3, v4
	v_bfe_u32 v9, v4, 2, 5
	s_delay_alu instid0(VALU_DEP_2) | instskip(NEXT) | instid1(VALU_DEP_2)
	v_clz_i32_u32_e32 v7, v6
	v_cmp_eq_u32_e32 vcc_lo, 0, v9
	s_delay_alu instid0(VALU_DEP_2) | instskip(NEXT) | instid1(VALU_DEP_1)
	v_min_u32_e32 v7, 32, v7
	v_subrev_nc_u32_e32 v8, 29, v7
	s_delay_alu instid0(VALU_DEP_1) | instskip(NEXT) | instid1(VALU_DEP_1)
	v_dual_lshlrev_b32 v8, v8, v4 :: v_dual_sub_nc_u32 v7, 30, v7
	v_and_b32_e32 v8, 3, v8
	s_delay_alu instid0(VALU_DEP_2) | instskip(NEXT) | instid1(VALU_DEP_2)
	v_dual_cndmask_b32 v7, v9, v7 :: v_dual_lshlrev_b32 v10, 24, v4
	v_cndmask_b32_e32 v6, v6, v8, vcc_lo
	s_delay_alu instid0(VALU_DEP_2) | instskip(NEXT) | instid1(VALU_DEP_3)
	v_and_b32_e32 v8, 0x80000000, v10
	v_lshl_add_u32 v7, v7, 23, 0x37800000
	s_delay_alu instid0(VALU_DEP_3) | instskip(NEXT) | instid1(VALU_DEP_1)
	v_lshlrev_b32_e32 v6, 21, v6
	v_or3_b32 v7, v8, v7, v6
.LBB245_178:
	s_or_b32 exec_lo, exec_lo, s19
	s_wait_loadcnt 0x0
	v_and_b32_e32 v8, 0xff, v2
	s_mov_b32 s0, 0
	s_mov_b32 s19, exec_lo
	s_delay_alu instid0(VALU_DEP_1)
	v_cmpx_lt_i16_e32 0x7f, v8
	s_xor_b32 s19, exec_lo, s19
	s_cbranch_execnz .LBB245_521
; %bb.179:
	s_or_saveexec_b32 s19, s19
	v_mov_b32_e32 v6, 0x7f800001
	s_xor_b32 exec_lo, exec_lo, s19
	s_cbranch_execnz .LBB245_524
.LBB245_180:
	s_or_b32 exec_lo, exec_lo, s19
	s_and_saveexec_b32 s19, s0
	s_cbranch_execz .LBB245_182
.LBB245_181:
	v_and_b32_e32 v6, 3, v2
	v_bfe_u32 v10, v2, 2, 5
	s_delay_alu instid0(VALU_DEP_2) | instskip(NEXT) | instid1(VALU_DEP_2)
	v_clz_i32_u32_e32 v8, v6
	v_cmp_eq_u32_e32 vcc_lo, 0, v10
	s_delay_alu instid0(VALU_DEP_2) | instskip(NEXT) | instid1(VALU_DEP_1)
	v_min_u32_e32 v8, 32, v8
	v_subrev_nc_u32_e32 v9, 29, v8
	s_delay_alu instid0(VALU_DEP_1) | instskip(NEXT) | instid1(VALU_DEP_1)
	v_dual_lshlrev_b32 v9, v9, v2 :: v_dual_sub_nc_u32 v8, 30, v8
	v_dual_lshlrev_b32 v11, 24, v2 :: v_dual_bitop2_b32 v9, 3, v9 bitop3:0x40
	s_delay_alu instid0(VALU_DEP_2) | instskip(NEXT) | instid1(VALU_DEP_2)
	v_cndmask_b32_e32 v8, v10, v8, vcc_lo
	v_cndmask_b32_e32 v6, v6, v9, vcc_lo
	s_delay_alu instid0(VALU_DEP_3) | instskip(NEXT) | instid1(VALU_DEP_3)
	v_and_b32_e32 v9, 0x80000000, v11
	v_lshl_add_u32 v8, v8, 23, 0x37800000
	s_delay_alu instid0(VALU_DEP_3) | instskip(NEXT) | instid1(VALU_DEP_1)
	v_lshlrev_b32_e32 v6, 21, v6
	v_or3_b32 v6, v9, v8, v6
.LBB245_182:
	s_or_b32 exec_lo, exec_lo, s19
	s_delay_alu instid0(VALU_DEP_1)
	v_cmp_eq_f32_e64 s19, v7, v6
.LBB245_183:
	s_wait_loadcnt 0x0
	v_dual_lshrrev_b32 v7, 8, v4 :: v_dual_lshrrev_b32 v6, 8, v2
	v_cmp_ne_u32_e32 vcc_lo, 1, v1
	s_delay_alu instid0(VALU_DEP_2)
	v_and_b32_e32 v8, 0xff, v7
	s_cbranch_vccnz .LBB245_193
; %bb.184:
	s_mov_b32 s0, 0
	s_mov_b32 s20, exec_lo
	s_delay_alu instid0(VALU_DEP_1)
	v_cmpx_lt_i16_e32 0x7f, v8
	s_xor_b32 s20, exec_lo, s20
	s_cbranch_execnz .LBB245_397
; %bb.185:
	s_or_saveexec_b32 s20, s20
	v_mov_b32_e32 v9, 0x7f800001
	s_xor_b32 exec_lo, exec_lo, s20
	s_cbranch_execnz .LBB245_400
.LBB245_186:
	s_or_b32 exec_lo, exec_lo, s20
	s_and_saveexec_b32 s20, s0
	s_cbranch_execz .LBB245_188
.LBB245_187:
	v_bfe_u32 v9, v4, 8, 2
	v_bfe_u32 v12, v4, 10, 5
	s_delay_alu instid0(VALU_DEP_2) | instskip(NEXT) | instid1(VALU_DEP_2)
	v_clz_i32_u32_e32 v10, v9
	v_cmp_eq_u32_e32 vcc_lo, 0, v12
	s_delay_alu instid0(VALU_DEP_2) | instskip(NEXT) | instid1(VALU_DEP_1)
	v_min_u32_e32 v10, 32, v10
	v_subrev_nc_u32_e32 v11, 29, v10
	s_delay_alu instid0(VALU_DEP_1) | instskip(NEXT) | instid1(VALU_DEP_1)
	v_dual_sub_nc_u32 v10, 30, v10 :: v_dual_lshlrev_b32 v11, v11, v7
	v_dual_cndmask_b32 v10, v12, v10, vcc_lo :: v_dual_bitop2_b32 v11, 3, v11 bitop3:0x40
	s_delay_alu instid0(VALU_DEP_1) | instskip(NEXT) | instid1(VALU_DEP_2)
	v_lshl_add_u32 v10, v10, 23, 0x37800000
	v_cndmask_b32_e32 v9, v9, v11, vcc_lo
	s_delay_alu instid0(VALU_DEP_1) | instskip(NEXT) | instid1(VALU_DEP_1)
	v_dual_lshlrev_b32 v13, 24, v7 :: v_dual_lshlrev_b32 v9, 21, v9
	v_and_b32_e32 v11, 0x80000000, v13
	s_delay_alu instid0(VALU_DEP_1)
	v_or3_b32 v9, v11, v10, v9
.LBB245_188:
	s_or_b32 exec_lo, exec_lo, s20
	v_and_b32_e32 v11, 0xff, v6
	s_mov_b32 s0, 0
	s_mov_b32 s20, exec_lo
	s_delay_alu instid0(VALU_DEP_1)
	v_cmpx_lt_i16_e32 0x7f, v11
	s_xor_b32 s20, exec_lo, s20
	s_cbranch_execnz .LBB245_401
; %bb.189:
	s_or_saveexec_b32 s20, s20
	v_mov_b32_e32 v10, 0x7f800001
	s_xor_b32 exec_lo, exec_lo, s20
	s_cbranch_execnz .LBB245_404
.LBB245_190:
	s_or_b32 exec_lo, exec_lo, s20
	s_and_saveexec_b32 s20, s0
	s_cbranch_execz .LBB245_192
.LBB245_191:
	v_bfe_u32 v10, v2, 8, 2
	v_bfe_u32 v13, v2, 10, 5
	v_lshlrev_b32_e32 v14, 24, v6
	s_delay_alu instid0(VALU_DEP_3) | instskip(NEXT) | instid1(VALU_DEP_3)
	v_clz_i32_u32_e32 v11, v10
	v_cmp_eq_u32_e32 vcc_lo, 0, v13
	s_delay_alu instid0(VALU_DEP_2) | instskip(NEXT) | instid1(VALU_DEP_1)
	v_min_u32_e32 v11, 32, v11
	v_subrev_nc_u32_e32 v12, 29, v11
	s_delay_alu instid0(VALU_DEP_1) | instskip(NEXT) | instid1(VALU_DEP_1)
	v_dual_sub_nc_u32 v11, 30, v11 :: v_dual_lshlrev_b32 v12, v12, v6
	v_dual_cndmask_b32 v11, v13, v11, vcc_lo :: v_dual_bitop2_b32 v12, 3, v12 bitop3:0x40
	s_delay_alu instid0(VALU_DEP_1) | instskip(SKIP_1) | instid1(VALU_DEP_3)
	v_cndmask_b32_e32 v10, v10, v12, vcc_lo
	v_and_b32_e32 v12, 0x80000000, v14
	v_lshl_add_u32 v11, v11, 23, 0x37800000
	s_delay_alu instid0(VALU_DEP_3) | instskip(NEXT) | instid1(VALU_DEP_1)
	v_lshlrev_b32_e32 v10, 21, v10
	v_or3_b32 v10, v12, v11, v10
.LBB245_192:
	s_or_b32 exec_lo, exec_lo, s20
	s_delay_alu instid0(VALU_DEP_1)
	v_cmp_neq_f32_e64 s20, v9, v10
	s_branch .LBB245_203
.LBB245_193:
                                        ; implicit-def: $sgpr20
	s_cbranch_execz .LBB245_203
; %bb.194:
	s_mov_b32 s0, 0
	s_mov_b32 s20, exec_lo
	v_cmpx_lt_i16_e32 0x7f, v8
	s_xor_b32 s20, exec_lo, s20
	s_cbranch_execnz .LBB245_525
; %bb.195:
	s_or_saveexec_b32 s20, s20
	v_mov_b32_e32 v9, 0x7f800001
	s_xor_b32 exec_lo, exec_lo, s20
	s_cbranch_execnz .LBB245_528
.LBB245_196:
	s_or_b32 exec_lo, exec_lo, s20
	s_and_saveexec_b32 s20, s0
	s_cbranch_execz .LBB245_198
.LBB245_197:
	v_bfe_u32 v8, v4, 8, 2
	v_bfe_u32 v11, v4, 10, 5
	s_delay_alu instid0(VALU_DEP_2) | instskip(NEXT) | instid1(VALU_DEP_2)
	v_clz_i32_u32_e32 v9, v8
	v_cmp_eq_u32_e32 vcc_lo, 0, v11
	s_delay_alu instid0(VALU_DEP_2) | instskip(NEXT) | instid1(VALU_DEP_1)
	v_min_u32_e32 v9, 32, v9
	v_subrev_nc_u32_e32 v10, 29, v9
	s_delay_alu instid0(VALU_DEP_1) | instskip(NEXT) | instid1(VALU_DEP_1)
	v_dual_sub_nc_u32 v9, 30, v9 :: v_dual_lshlrev_b32 v10, v10, v7
	v_dual_lshlrev_b32 v7, 24, v7 :: v_dual_bitop2_b32 v10, 3, v10 bitop3:0x40
	s_delay_alu instid0(VALU_DEP_2) | instskip(NEXT) | instid1(VALU_DEP_2)
	v_cndmask_b32_e32 v9, v11, v9, vcc_lo
	v_and_b32_e32 v7, 0x80000000, v7
	s_delay_alu instid0(VALU_DEP_3) | instskip(NEXT) | instid1(VALU_DEP_3)
	v_cndmask_b32_e32 v8, v8, v10, vcc_lo
	v_lshl_add_u32 v9, v9, 23, 0x37800000
	s_delay_alu instid0(VALU_DEP_2) | instskip(NEXT) | instid1(VALU_DEP_1)
	v_lshlrev_b32_e32 v8, 21, v8
	v_or3_b32 v9, v7, v9, v8
.LBB245_198:
	s_or_b32 exec_lo, exec_lo, s20
	v_and_b32_e32 v8, 0xff, v6
	s_mov_b32 s0, 0
	s_mov_b32 s20, exec_lo
	s_delay_alu instid0(VALU_DEP_1)
	v_cmpx_lt_i16_e32 0x7f, v8
	s_xor_b32 s20, exec_lo, s20
	s_cbranch_execnz .LBB245_529
; %bb.199:
	s_or_saveexec_b32 s20, s20
	v_mov_b32_e32 v7, 0x7f800001
	s_xor_b32 exec_lo, exec_lo, s20
	s_cbranch_execnz .LBB245_532
.LBB245_200:
	s_or_b32 exec_lo, exec_lo, s20
	s_and_saveexec_b32 s20, s0
	s_cbranch_execz .LBB245_202
.LBB245_201:
	v_bfe_u32 v7, v2, 8, 2
	v_bfe_u32 v11, v2, 10, 5
	s_delay_alu instid0(VALU_DEP_2) | instskip(NEXT) | instid1(VALU_DEP_2)
	v_clz_i32_u32_e32 v8, v7
	v_cmp_eq_u32_e32 vcc_lo, 0, v11
	s_delay_alu instid0(VALU_DEP_2) | instskip(NEXT) | instid1(VALU_DEP_1)
	v_min_u32_e32 v8, 32, v8
	v_subrev_nc_u32_e32 v10, 29, v8
	s_delay_alu instid0(VALU_DEP_1) | instskip(NEXT) | instid1(VALU_DEP_1)
	v_dual_sub_nc_u32 v8, 30, v8 :: v_dual_lshlrev_b32 v10, v10, v6
	v_dual_cndmask_b32 v8, v11, v8, vcc_lo :: v_dual_bitop2_b32 v10, 3, v10 bitop3:0x40
	s_delay_alu instid0(VALU_DEP_1) | instskip(NEXT) | instid1(VALU_DEP_2)
	v_lshl_add_u32 v8, v8, 23, 0x37800000
	v_cndmask_b32_e32 v7, v7, v10, vcc_lo
	s_delay_alu instid0(VALU_DEP_1) | instskip(NEXT) | instid1(VALU_DEP_1)
	v_dual_lshlrev_b32 v6, 24, v6 :: v_dual_lshlrev_b32 v7, 21, v7
	v_and_b32_e32 v6, 0x80000000, v6
	s_delay_alu instid0(VALU_DEP_1)
	v_or3_b32 v7, v6, v8, v7
.LBB245_202:
	s_or_b32 exec_lo, exec_lo, s20
	s_delay_alu instid0(VALU_DEP_1)
	v_cmp_eq_f32_e64 s20, v9, v7
.LBB245_203:
	v_dual_lshrrev_b32 v7, 16, v4 :: v_dual_lshrrev_b32 v6, 16, v2
	v_cmp_ne_u32_e32 vcc_lo, 1, v1
	s_delay_alu instid0(VALU_DEP_2)
	v_and_b32_e32 v8, 0xff, v7
	s_cbranch_vccnz .LBB245_213
; %bb.204:
	s_mov_b32 s0, 0
	s_mov_b32 s21, exec_lo
	s_delay_alu instid0(VALU_DEP_1)
	v_cmpx_lt_i16_e32 0x7f, v8
	s_xor_b32 s21, exec_lo, s21
	s_cbranch_execnz .LBB245_405
; %bb.205:
	s_or_saveexec_b32 s21, s21
	v_mov_b32_e32 v9, 0x7f800001
	s_xor_b32 exec_lo, exec_lo, s21
	s_cbranch_execnz .LBB245_408
.LBB245_206:
	s_or_b32 exec_lo, exec_lo, s21
	s_and_saveexec_b32 s21, s0
	s_cbranch_execz .LBB245_208
.LBB245_207:
	v_bfe_u32 v9, v4, 16, 2
	v_bfe_u32 v12, v4, 18, 5
	s_delay_alu instid0(VALU_DEP_2) | instskip(NEXT) | instid1(VALU_DEP_2)
	v_clz_i32_u32_e32 v10, v9
	v_cmp_eq_u32_e32 vcc_lo, 0, v12
	s_delay_alu instid0(VALU_DEP_2) | instskip(NEXT) | instid1(VALU_DEP_1)
	v_min_u32_e32 v10, 32, v10
	v_subrev_nc_u32_e32 v11, 29, v10
	s_delay_alu instid0(VALU_DEP_1) | instskip(NEXT) | instid1(VALU_DEP_1)
	v_dual_sub_nc_u32 v10, 30, v10 :: v_dual_lshlrev_b32 v11, v11, v7
	v_dual_cndmask_b32 v10, v12, v10, vcc_lo :: v_dual_bitop2_b32 v11, 3, v11 bitop3:0x40
	s_delay_alu instid0(VALU_DEP_1) | instskip(NEXT) | instid1(VALU_DEP_2)
	v_lshl_add_u32 v10, v10, 23, 0x37800000
	v_cndmask_b32_e32 v9, v9, v11, vcc_lo
	s_delay_alu instid0(VALU_DEP_1) | instskip(NEXT) | instid1(VALU_DEP_1)
	v_dual_lshlrev_b32 v13, 24, v7 :: v_dual_lshlrev_b32 v9, 21, v9
	v_and_b32_e32 v11, 0x80000000, v13
	s_delay_alu instid0(VALU_DEP_1)
	v_or3_b32 v9, v11, v10, v9
.LBB245_208:
	s_or_b32 exec_lo, exec_lo, s21
	v_and_b32_e32 v11, 0xff, v6
	s_mov_b32 s0, 0
	s_mov_b32 s21, exec_lo
	s_delay_alu instid0(VALU_DEP_1)
	v_cmpx_lt_i16_e32 0x7f, v11
	s_xor_b32 s21, exec_lo, s21
	s_cbranch_execnz .LBB245_409
; %bb.209:
	s_or_saveexec_b32 s21, s21
	v_mov_b32_e32 v10, 0x7f800001
	s_xor_b32 exec_lo, exec_lo, s21
	s_cbranch_execnz .LBB245_412
.LBB245_210:
	s_or_b32 exec_lo, exec_lo, s21
	s_and_saveexec_b32 s21, s0
	s_cbranch_execz .LBB245_212
.LBB245_211:
	v_bfe_u32 v10, v2, 16, 2
	v_bfe_u32 v13, v2, 18, 5
	v_lshlrev_b32_e32 v14, 24, v6
	s_delay_alu instid0(VALU_DEP_3) | instskip(NEXT) | instid1(VALU_DEP_3)
	v_clz_i32_u32_e32 v11, v10
	v_cmp_eq_u32_e32 vcc_lo, 0, v13
	s_delay_alu instid0(VALU_DEP_2) | instskip(NEXT) | instid1(VALU_DEP_1)
	v_min_u32_e32 v11, 32, v11
	v_subrev_nc_u32_e32 v12, 29, v11
	s_delay_alu instid0(VALU_DEP_1) | instskip(NEXT) | instid1(VALU_DEP_1)
	v_dual_sub_nc_u32 v11, 30, v11 :: v_dual_lshlrev_b32 v12, v12, v6
	v_dual_cndmask_b32 v11, v13, v11, vcc_lo :: v_dual_bitop2_b32 v12, 3, v12 bitop3:0x40
	s_delay_alu instid0(VALU_DEP_1) | instskip(SKIP_1) | instid1(VALU_DEP_3)
	v_cndmask_b32_e32 v10, v10, v12, vcc_lo
	v_and_b32_e32 v12, 0x80000000, v14
	v_lshl_add_u32 v11, v11, 23, 0x37800000
	s_delay_alu instid0(VALU_DEP_3) | instskip(NEXT) | instid1(VALU_DEP_1)
	v_lshlrev_b32_e32 v10, 21, v10
	v_or3_b32 v10, v12, v11, v10
.LBB245_212:
	s_or_b32 exec_lo, exec_lo, s21
	s_delay_alu instid0(VALU_DEP_1)
	v_cmp_neq_f32_e64 s21, v9, v10
	s_branch .LBB245_223
.LBB245_213:
                                        ; implicit-def: $sgpr21
	s_cbranch_execz .LBB245_223
; %bb.214:
	s_mov_b32 s0, 0
	s_mov_b32 s21, exec_lo
	v_cmpx_lt_i16_e32 0x7f, v8
	s_xor_b32 s21, exec_lo, s21
	s_cbranch_execnz .LBB245_533
; %bb.215:
	s_or_saveexec_b32 s21, s21
	v_mov_b32_e32 v9, 0x7f800001
	s_xor_b32 exec_lo, exec_lo, s21
	s_cbranch_execnz .LBB245_536
.LBB245_216:
	s_or_b32 exec_lo, exec_lo, s21
	s_and_saveexec_b32 s21, s0
	s_cbranch_execz .LBB245_218
.LBB245_217:
	v_bfe_u32 v8, v4, 16, 2
	v_bfe_u32 v11, v4, 18, 5
	s_delay_alu instid0(VALU_DEP_2) | instskip(NEXT) | instid1(VALU_DEP_2)
	v_clz_i32_u32_e32 v9, v8
	v_cmp_eq_u32_e32 vcc_lo, 0, v11
	s_delay_alu instid0(VALU_DEP_2) | instskip(NEXT) | instid1(VALU_DEP_1)
	v_min_u32_e32 v9, 32, v9
	v_subrev_nc_u32_e32 v10, 29, v9
	s_delay_alu instid0(VALU_DEP_1) | instskip(NEXT) | instid1(VALU_DEP_1)
	v_dual_sub_nc_u32 v9, 30, v9 :: v_dual_lshlrev_b32 v10, v10, v7
	v_dual_lshlrev_b32 v7, 24, v7 :: v_dual_bitop2_b32 v10, 3, v10 bitop3:0x40
	s_delay_alu instid0(VALU_DEP_2) | instskip(NEXT) | instid1(VALU_DEP_2)
	v_cndmask_b32_e32 v9, v11, v9, vcc_lo
	v_and_b32_e32 v7, 0x80000000, v7
	s_delay_alu instid0(VALU_DEP_3) | instskip(NEXT) | instid1(VALU_DEP_3)
	v_cndmask_b32_e32 v8, v8, v10, vcc_lo
	v_lshl_add_u32 v9, v9, 23, 0x37800000
	s_delay_alu instid0(VALU_DEP_2) | instskip(NEXT) | instid1(VALU_DEP_1)
	v_lshlrev_b32_e32 v8, 21, v8
	v_or3_b32 v9, v7, v9, v8
.LBB245_218:
	s_or_b32 exec_lo, exec_lo, s21
	v_and_b32_e32 v8, 0xff, v6
	s_mov_b32 s0, 0
	s_mov_b32 s21, exec_lo
	s_delay_alu instid0(VALU_DEP_1)
	v_cmpx_lt_i16_e32 0x7f, v8
	s_xor_b32 s21, exec_lo, s21
	s_cbranch_execnz .LBB245_537
; %bb.219:
	s_or_saveexec_b32 s21, s21
	v_mov_b32_e32 v7, 0x7f800001
	s_xor_b32 exec_lo, exec_lo, s21
	s_cbranch_execnz .LBB245_540
.LBB245_220:
	s_or_b32 exec_lo, exec_lo, s21
	s_and_saveexec_b32 s21, s0
	s_cbranch_execz .LBB245_222
.LBB245_221:
	v_bfe_u32 v7, v2, 16, 2
	v_bfe_u32 v11, v2, 18, 5
	s_delay_alu instid0(VALU_DEP_2) | instskip(NEXT) | instid1(VALU_DEP_2)
	v_clz_i32_u32_e32 v8, v7
	v_cmp_eq_u32_e32 vcc_lo, 0, v11
	s_delay_alu instid0(VALU_DEP_2) | instskip(NEXT) | instid1(VALU_DEP_1)
	v_min_u32_e32 v8, 32, v8
	v_subrev_nc_u32_e32 v10, 29, v8
	s_delay_alu instid0(VALU_DEP_1) | instskip(NEXT) | instid1(VALU_DEP_1)
	v_dual_sub_nc_u32 v8, 30, v8 :: v_dual_lshlrev_b32 v10, v10, v6
	v_dual_cndmask_b32 v8, v11, v8, vcc_lo :: v_dual_bitop2_b32 v10, 3, v10 bitop3:0x40
	s_delay_alu instid0(VALU_DEP_1) | instskip(NEXT) | instid1(VALU_DEP_2)
	v_lshl_add_u32 v8, v8, 23, 0x37800000
	v_cndmask_b32_e32 v7, v7, v10, vcc_lo
	s_delay_alu instid0(VALU_DEP_1) | instskip(NEXT) | instid1(VALU_DEP_1)
	v_dual_lshlrev_b32 v6, 24, v6 :: v_dual_lshlrev_b32 v7, 21, v7
	v_and_b32_e32 v6, 0x80000000, v6
	s_delay_alu instid0(VALU_DEP_1)
	v_or3_b32 v7, v6, v8, v7
.LBB245_222:
	s_or_b32 exec_lo, exec_lo, s21
	s_delay_alu instid0(VALU_DEP_1)
	v_cmp_eq_f32_e64 s21, v9, v7
.LBB245_223:
	v_dual_lshrrev_b32 v7, 24, v4 :: v_dual_lshrrev_b32 v6, 24, v2
	v_cmp_ne_u32_e32 vcc_lo, 1, v1
	s_delay_alu instid0(VALU_DEP_2)
	v_cmp_lt_i16_e64 s0, 0x7f, v7
	s_cbranch_vccnz .LBB245_243
; %bb.224:
	s_mov_b32 s22, 0
	s_and_saveexec_b32 s23, s0
	s_delay_alu instid0(SALU_CYCLE_1)
	s_xor_b32 s0, exec_lo, s23
	s_cbranch_execnz .LBB245_413
; %bb.225:
	s_or_saveexec_b32 s0, s0
	v_mov_b32_e32 v8, 0x7f800001
	s_xor_b32 exec_lo, exec_lo, s0
	s_cbranch_execnz .LBB245_416
.LBB245_226:
	s_or_b32 exec_lo, exec_lo, s0
	s_and_saveexec_b32 s0, s22
	s_cbranch_execz .LBB245_228
.LBB245_227:
	v_bfe_u32 v8, v4, 24, 2
	v_bfe_u32 v11, v4, 26, 5
	s_delay_alu instid0(VALU_DEP_2) | instskip(NEXT) | instid1(VALU_DEP_2)
	v_clz_i32_u32_e32 v9, v8
	v_cmp_eq_u32_e32 vcc_lo, 0, v11
	s_delay_alu instid0(VALU_DEP_2) | instskip(NEXT) | instid1(VALU_DEP_1)
	v_min_u32_e32 v9, 32, v9
	v_subrev_nc_u32_e32 v10, 29, v9
	s_delay_alu instid0(VALU_DEP_1) | instskip(NEXT) | instid1(VALU_DEP_1)
	v_dual_sub_nc_u32 v9, 30, v9 :: v_dual_lshlrev_b32 v10, v10, v7
	v_dual_cndmask_b32 v9, v11, v9, vcc_lo :: v_dual_bitop2_b32 v10, 3, v10 bitop3:0x40
	s_delay_alu instid0(VALU_DEP_1) | instskip(NEXT) | instid1(VALU_DEP_2)
	v_lshl_add_u32 v9, v9, 23, 0x37800000
	v_cndmask_b32_e32 v8, v8, v10, vcc_lo
	v_and_b32_e32 v10, 0x80000000, v4
	s_delay_alu instid0(VALU_DEP_2) | instskip(NEXT) | instid1(VALU_DEP_1)
	v_lshlrev_b32_e32 v8, 21, v8
	v_or3_b32 v8, v10, v9, v8
.LBB245_228:
	s_or_b32 exec_lo, exec_lo, s0
	s_mov_b32 s0, 0
	s_mov_b32 s22, exec_lo
	v_cmpx_lt_i16_e32 0x7f, v6
	s_xor_b32 s22, exec_lo, s22
	s_cbranch_execnz .LBB245_417
; %bb.229:
	s_or_saveexec_b32 s22, s22
	v_mov_b32_e32 v9, 0x7f800001
	s_xor_b32 exec_lo, exec_lo, s22
	s_cbranch_execnz .LBB245_420
.LBB245_230:
	s_or_b32 exec_lo, exec_lo, s22
	s_and_saveexec_b32 s22, s0
	s_cbranch_execz .LBB245_232
.LBB245_231:
	v_bfe_u32 v9, v2, 24, 2
	v_bfe_u32 v12, v2, 26, 5
	s_delay_alu instid0(VALU_DEP_2) | instskip(NEXT) | instid1(VALU_DEP_2)
	v_clz_i32_u32_e32 v10, v9
	v_cmp_eq_u32_e32 vcc_lo, 0, v12
	s_delay_alu instid0(VALU_DEP_2) | instskip(NEXT) | instid1(VALU_DEP_1)
	v_min_u32_e32 v10, 32, v10
	v_subrev_nc_u32_e32 v11, 29, v10
	s_delay_alu instid0(VALU_DEP_1) | instskip(NEXT) | instid1(VALU_DEP_1)
	v_lshlrev_b32_e32 v11, v11, v6
	v_dual_sub_nc_u32 v10, 30, v10 :: v_dual_bitop2_b32 v11, 3, v11 bitop3:0x40
	s_delay_alu instid0(VALU_DEP_1) | instskip(SKIP_1) | instid1(VALU_DEP_2)
	v_dual_cndmask_b32 v10, v12, v10 :: v_dual_cndmask_b32 v9, v9, v11
	v_and_b32_e32 v11, 0x80000000, v2
	v_lshl_add_u32 v10, v10, 23, 0x37800000
	s_delay_alu instid0(VALU_DEP_3) | instskip(NEXT) | instid1(VALU_DEP_1)
	v_lshlrev_b32_e32 v9, 21, v9
	v_or3_b32 v9, v11, v10, v9
.LBB245_232:
	s_or_b32 exec_lo, exec_lo, s22
	s_delay_alu instid0(VALU_DEP_1)
	v_cmp_neq_f32_e64 s22, v8, v9
.LBB245_233:
	v_cmp_ne_u32_e32 vcc_lo, 1, v1
	v_and_b32_e32 v2, 0xff, v5
	s_cbranch_vccnz .LBB245_253
.LBB245_234:
	s_mov_b32 s0, 0
	s_mov_b32 s23, exec_lo
	s_delay_alu instid0(VALU_DEP_1)
	v_cmpx_lt_i16_e32 0x7f, v2
	s_xor_b32 s23, exec_lo, s23
	s_cbranch_execnz .LBB245_421
; %bb.235:
	s_or_saveexec_b32 s23, s23
	v_mov_b32_e32 v4, 0x7f800001
	s_xor_b32 exec_lo, exec_lo, s23
	s_cbranch_execnz .LBB245_424
.LBB245_236:
	s_or_b32 exec_lo, exec_lo, s23
	s_and_saveexec_b32 s23, s0
	s_cbranch_execz .LBB245_238
.LBB245_237:
	v_and_b32_e32 v4, 3, v5
	v_bfe_u32 v8, v5, 2, 5
	s_delay_alu instid0(VALU_DEP_2) | instskip(NEXT) | instid1(VALU_DEP_2)
	v_clz_i32_u32_e32 v6, v4
	v_cmp_eq_u32_e32 vcc_lo, 0, v8
	s_delay_alu instid0(VALU_DEP_2) | instskip(NEXT) | instid1(VALU_DEP_1)
	v_min_u32_e32 v6, 32, v6
	v_subrev_nc_u32_e32 v7, 29, v6
	s_delay_alu instid0(VALU_DEP_1) | instskip(NEXT) | instid1(VALU_DEP_1)
	v_dual_lshlrev_b32 v7, v7, v5 :: v_dual_sub_nc_u32 v6, 30, v6
	v_dual_lshlrev_b32 v9, 24, v5 :: v_dual_bitop2_b32 v7, 3, v7 bitop3:0x40
	s_delay_alu instid0(VALU_DEP_2) | instskip(NEXT) | instid1(VALU_DEP_2)
	v_cndmask_b32_e32 v6, v8, v6, vcc_lo
	v_cndmask_b32_e32 v4, v4, v7, vcc_lo
	s_delay_alu instid0(VALU_DEP_3) | instskip(NEXT) | instid1(VALU_DEP_3)
	v_and_b32_e32 v7, 0x80000000, v9
	v_lshl_add_u32 v6, v6, 23, 0x37800000
	s_delay_alu instid0(VALU_DEP_3) | instskip(NEXT) | instid1(VALU_DEP_1)
	v_lshlrev_b32_e32 v4, 21, v4
	v_or3_b32 v4, v7, v6, v4
.LBB245_238:
	s_or_b32 exec_lo, exec_lo, s23
	v_and_b32_e32 v7, 0xff, v3
	s_mov_b32 s0, 0
	s_mov_b32 s23, exec_lo
	s_delay_alu instid0(VALU_DEP_1)
	v_cmpx_lt_i16_e32 0x7f, v7
	s_xor_b32 s23, exec_lo, s23
	s_cbranch_execnz .LBB245_425
; %bb.239:
	s_or_saveexec_b32 s23, s23
	v_mov_b32_e32 v6, 0x7f800001
	s_xor_b32 exec_lo, exec_lo, s23
	s_cbranch_execnz .LBB245_428
.LBB245_240:
	s_or_b32 exec_lo, exec_lo, s23
	s_and_saveexec_b32 s23, s0
	s_cbranch_execz .LBB245_242
.LBB245_241:
	v_and_b32_e32 v6, 3, v3
	v_bfe_u32 v9, v3, 2, 5
	s_delay_alu instid0(VALU_DEP_2) | instskip(NEXT) | instid1(VALU_DEP_2)
	v_clz_i32_u32_e32 v7, v6
	v_cmp_eq_u32_e32 vcc_lo, 0, v9
	s_delay_alu instid0(VALU_DEP_2) | instskip(NEXT) | instid1(VALU_DEP_1)
	v_min_u32_e32 v7, 32, v7
	v_subrev_nc_u32_e32 v8, 29, v7
	s_delay_alu instid0(VALU_DEP_1) | instskip(NEXT) | instid1(VALU_DEP_1)
	v_lshlrev_b32_e32 v8, v8, v3
	v_dual_sub_nc_u32 v7, 30, v7 :: v_dual_bitop2_b32 v8, 3, v8 bitop3:0x40
	s_delay_alu instid0(VALU_DEP_1) | instskip(NEXT) | instid1(VALU_DEP_2)
	v_dual_lshlrev_b32 v10, 24, v3 :: v_dual_cndmask_b32 v6, v6, v8, vcc_lo
	v_cndmask_b32_e32 v7, v9, v7, vcc_lo
	s_delay_alu instid0(VALU_DEP_2) | instskip(NEXT) | instid1(VALU_DEP_3)
	v_and_b32_e32 v8, 0x80000000, v10
	v_lshlrev_b32_e32 v6, 21, v6
	s_delay_alu instid0(VALU_DEP_3) | instskip(NEXT) | instid1(VALU_DEP_1)
	v_lshl_add_u32 v7, v7, 23, 0x37800000
	v_or3_b32 v6, v8, v7, v6
.LBB245_242:
	s_or_b32 exec_lo, exec_lo, s23
	s_delay_alu instid0(VALU_DEP_1)
	v_cmp_neq_f32_e64 s23, v4, v6
	s_branch .LBB245_263
.LBB245_243:
                                        ; implicit-def: $sgpr22
	s_cbranch_execz .LBB245_233
; %bb.244:
	s_mov_b32 s0, 0
	s_mov_b32 s22, exec_lo
	v_cmpx_lt_i16_e32 0x7f, v7
	s_xor_b32 s22, exec_lo, s22
	s_cbranch_execnz .LBB245_541
; %bb.245:
	s_or_saveexec_b32 s22, s22
	v_mov_b32_e32 v8, 0x7f800001
	s_xor_b32 exec_lo, exec_lo, s22
	s_cbranch_execnz .LBB245_544
.LBB245_246:
	s_or_b32 exec_lo, exec_lo, s22
	s_and_saveexec_b32 s22, s0
	s_cbranch_execz .LBB245_248
.LBB245_247:
	v_bfe_u32 v8, v4, 24, 2
	s_delay_alu instid0(VALU_DEP_1) | instskip(NEXT) | instid1(VALU_DEP_1)
	v_clz_i32_u32_e32 v9, v8
	v_min_u32_e32 v9, 32, v9
	s_delay_alu instid0(VALU_DEP_1) | instskip(NEXT) | instid1(VALU_DEP_1)
	v_subrev_nc_u32_e32 v10, 29, v9
	v_dual_sub_nc_u32 v9, 30, v9 :: v_dual_lshlrev_b32 v7, v10, v7
	v_bfe_u32 v10, v4, 26, 5
	v_and_b32_e32 v4, 0x80000000, v4
	s_delay_alu instid0(VALU_DEP_2) | instskip(NEXT) | instid1(VALU_DEP_4)
	v_cmp_eq_u32_e32 vcc_lo, 0, v10
	v_dual_cndmask_b32 v9, v10, v9, vcc_lo :: v_dual_bitop2_b32 v7, 3, v7 bitop3:0x40
	s_delay_alu instid0(VALU_DEP_1) | instskip(NEXT) | instid1(VALU_DEP_2)
	v_cndmask_b32_e32 v7, v8, v7, vcc_lo
	v_lshl_add_u32 v8, v9, 23, 0x37800000
	s_delay_alu instid0(VALU_DEP_2) | instskip(NEXT) | instid1(VALU_DEP_1)
	v_lshlrev_b32_e32 v7, 21, v7
	v_or3_b32 v8, v4, v8, v7
.LBB245_248:
	s_or_b32 exec_lo, exec_lo, s22
	s_mov_b32 s0, 0
	s_mov_b32 s22, exec_lo
	v_cmpx_lt_i16_e32 0x7f, v6
	s_xor_b32 s22, exec_lo, s22
	s_cbranch_execnz .LBB245_545
; %bb.249:
	s_or_saveexec_b32 s22, s22
	v_mov_b32_e32 v4, 0x7f800001
	s_xor_b32 exec_lo, exec_lo, s22
	s_cbranch_execnz .LBB245_548
.LBB245_250:
	s_or_b32 exec_lo, exec_lo, s22
	s_and_saveexec_b32 s22, s0
	s_cbranch_execz .LBB245_252
.LBB245_251:
	v_bfe_u32 v4, v2, 24, 2
	s_delay_alu instid0(VALU_DEP_1) | instskip(NEXT) | instid1(VALU_DEP_1)
	v_clz_i32_u32_e32 v7, v4
	v_min_u32_e32 v7, 32, v7
	s_delay_alu instid0(VALU_DEP_1) | instskip(NEXT) | instid1(VALU_DEP_1)
	v_subrev_nc_u32_e32 v9, 29, v7
	v_dual_sub_nc_u32 v7, 30, v7 :: v_dual_lshlrev_b32 v6, v9, v6
	v_bfe_u32 v9, v2, 26, 5
	v_and_b32_e32 v2, 0x80000000, v2
	s_delay_alu instid0(VALU_DEP_2) | instskip(NEXT) | instid1(VALU_DEP_4)
	v_cmp_eq_u32_e32 vcc_lo, 0, v9
	v_dual_cndmask_b32 v7, v9, v7, vcc_lo :: v_dual_bitop2_b32 v6, 3, v6 bitop3:0x40
	s_delay_alu instid0(VALU_DEP_1) | instskip(NEXT) | instid1(VALU_DEP_2)
	v_cndmask_b32_e32 v4, v4, v6, vcc_lo
	v_lshl_add_u32 v6, v7, 23, 0x37800000
	s_delay_alu instid0(VALU_DEP_2) | instskip(NEXT) | instid1(VALU_DEP_1)
	v_lshlrev_b32_e32 v4, 21, v4
	v_or3_b32 v4, v2, v6, v4
.LBB245_252:
	s_or_b32 exec_lo, exec_lo, s22
	s_delay_alu instid0(VALU_DEP_1)
	v_cmp_eq_f32_e64 s22, v8, v4
	v_cmp_ne_u32_e32 vcc_lo, 1, v1
	v_and_b32_e32 v2, 0xff, v5
	s_cbranch_vccz .LBB245_234
.LBB245_253:
                                        ; implicit-def: $sgpr23
	s_cbranch_execz .LBB245_263
; %bb.254:
	s_mov_b32 s0, 0
	s_mov_b32 s23, exec_lo
	v_cmpx_lt_i16_e32 0x7f, v2
	s_xor_b32 s23, exec_lo, s23
	s_cbranch_execnz .LBB245_549
; %bb.255:
	s_or_saveexec_b32 s23, s23
	v_mov_b32_e32 v4, 0x7f800001
	s_xor_b32 exec_lo, exec_lo, s23
	s_cbranch_execnz .LBB245_552
.LBB245_256:
	s_or_b32 exec_lo, exec_lo, s23
	s_and_saveexec_b32 s23, s0
	s_cbranch_execz .LBB245_258
.LBB245_257:
	v_and_b32_e32 v2, 3, v5
	v_bfe_u32 v7, v5, 2, 5
	s_delay_alu instid0(VALU_DEP_2) | instskip(NEXT) | instid1(VALU_DEP_2)
	v_clz_i32_u32_e32 v4, v2
	v_cmp_eq_u32_e32 vcc_lo, 0, v7
	s_delay_alu instid0(VALU_DEP_2) | instskip(NEXT) | instid1(VALU_DEP_1)
	v_min_u32_e32 v4, 32, v4
	v_subrev_nc_u32_e32 v6, 29, v4
	s_delay_alu instid0(VALU_DEP_1) | instskip(NEXT) | instid1(VALU_DEP_1)
	v_dual_lshlrev_b32 v6, v6, v5 :: v_dual_sub_nc_u32 v4, 30, v4
	v_dual_lshlrev_b32 v8, 24, v5 :: v_dual_bitop2_b32 v6, 3, v6 bitop3:0x40
	s_delay_alu instid0(VALU_DEP_1) | instskip(NEXT) | instid1(VALU_DEP_2)
	v_dual_cndmask_b32 v4, v7, v4, vcc_lo :: v_dual_cndmask_b32 v2, v2, v6, vcc_lo
	v_and_b32_e32 v6, 0x80000000, v8
	s_delay_alu instid0(VALU_DEP_2) | instskip(NEXT) | instid1(VALU_DEP_3)
	v_lshl_add_u32 v4, v4, 23, 0x37800000
	v_lshlrev_b32_e32 v2, 21, v2
	s_delay_alu instid0(VALU_DEP_1)
	v_or3_b32 v4, v6, v4, v2
.LBB245_258:
	s_or_b32 exec_lo, exec_lo, s23
	v_and_b32_e32 v6, 0xff, v3
	s_mov_b32 s0, 0
	s_mov_b32 s23, exec_lo
	s_delay_alu instid0(VALU_DEP_1)
	v_cmpx_lt_i16_e32 0x7f, v6
	s_xor_b32 s23, exec_lo, s23
	s_cbranch_execnz .LBB245_553
; %bb.259:
	s_or_saveexec_b32 s23, s23
	v_mov_b32_e32 v2, 0x7f800001
	s_xor_b32 exec_lo, exec_lo, s23
	s_cbranch_execnz .LBB245_556
.LBB245_260:
	s_or_b32 exec_lo, exec_lo, s23
	s_and_saveexec_b32 s23, s0
	s_cbranch_execz .LBB245_262
.LBB245_261:
	v_and_b32_e32 v2, 3, v3
	v_bfe_u32 v8, v3, 2, 5
	s_delay_alu instid0(VALU_DEP_2) | instskip(NEXT) | instid1(VALU_DEP_2)
	v_clz_i32_u32_e32 v6, v2
	v_cmp_eq_u32_e32 vcc_lo, 0, v8
	s_delay_alu instid0(VALU_DEP_2) | instskip(NEXT) | instid1(VALU_DEP_1)
	v_min_u32_e32 v6, 32, v6
	v_subrev_nc_u32_e32 v7, 29, v6
	s_delay_alu instid0(VALU_DEP_1) | instskip(NEXT) | instid1(VALU_DEP_1)
	v_dual_lshlrev_b32 v7, v7, v3 :: v_dual_sub_nc_u32 v6, 30, v6
	v_and_b32_e32 v7, 3, v7
	s_delay_alu instid0(VALU_DEP_2) | instskip(NEXT) | instid1(VALU_DEP_2)
	v_dual_cndmask_b32 v6, v8, v6 :: v_dual_lshlrev_b32 v9, 24, v3
	v_cndmask_b32_e32 v2, v2, v7, vcc_lo
	s_delay_alu instid0(VALU_DEP_2) | instskip(NEXT) | instid1(VALU_DEP_3)
	v_and_b32_e32 v7, 0x80000000, v9
	v_lshl_add_u32 v6, v6, 23, 0x37800000
	s_delay_alu instid0(VALU_DEP_3) | instskip(NEXT) | instid1(VALU_DEP_1)
	v_lshlrev_b32_e32 v2, 21, v2
	v_or3_b32 v2, v7, v6, v2
.LBB245_262:
	s_or_b32 exec_lo, exec_lo, s23
	s_delay_alu instid0(VALU_DEP_1)
	v_cmp_eq_f32_e64 s23, v4, v2
.LBB245_263:
	v_dual_lshrrev_b32 v4, 8, v5 :: v_dual_lshrrev_b32 v2, 8, v3
	v_cmp_ne_u32_e32 vcc_lo, 1, v1
	s_delay_alu instid0(VALU_DEP_2)
	v_and_b32_e32 v6, 0xff, v4
	s_cbranch_vccnz .LBB245_273
; %bb.264:
	s_mov_b32 s0, 0
	s_mov_b32 s24, exec_lo
	s_delay_alu instid0(VALU_DEP_1)
	v_cmpx_lt_i16_e32 0x7f, v6
	s_xor_b32 s24, exec_lo, s24
	s_cbranch_execnz .LBB245_429
; %bb.265:
	s_or_saveexec_b32 s24, s24
	v_mov_b32_e32 v7, 0x7f800001
	s_xor_b32 exec_lo, exec_lo, s24
	s_cbranch_execnz .LBB245_432
.LBB245_266:
	s_or_b32 exec_lo, exec_lo, s24
	s_and_saveexec_b32 s24, s0
	s_cbranch_execz .LBB245_268
.LBB245_267:
	v_bfe_u32 v7, v5, 8, 2
	v_bfe_u32 v10, v5, 10, 5
	v_lshlrev_b32_e32 v11, 24, v4
	s_delay_alu instid0(VALU_DEP_3) | instskip(NEXT) | instid1(VALU_DEP_3)
	v_clz_i32_u32_e32 v8, v7
	v_cmp_eq_u32_e32 vcc_lo, 0, v10
	s_delay_alu instid0(VALU_DEP_2) | instskip(NEXT) | instid1(VALU_DEP_1)
	v_min_u32_e32 v8, 32, v8
	v_subrev_nc_u32_e32 v9, 29, v8
	s_delay_alu instid0(VALU_DEP_1) | instskip(NEXT) | instid1(VALU_DEP_1)
	v_lshlrev_b32_e32 v9, v9, v4
	v_dual_sub_nc_u32 v8, 30, v8 :: v_dual_bitop2_b32 v9, 3, v9 bitop3:0x40
	s_delay_alu instid0(VALU_DEP_1) | instskip(SKIP_1) | instid1(VALU_DEP_2)
	v_dual_cndmask_b32 v8, v10, v8 :: v_dual_cndmask_b32 v7, v7, v9
	v_and_b32_e32 v9, 0x80000000, v11
	v_lshl_add_u32 v8, v8, 23, 0x37800000
	s_delay_alu instid0(VALU_DEP_3) | instskip(NEXT) | instid1(VALU_DEP_1)
	v_lshlrev_b32_e32 v7, 21, v7
	v_or3_b32 v7, v9, v8, v7
.LBB245_268:
	s_or_b32 exec_lo, exec_lo, s24
	v_and_b32_e32 v9, 0xff, v2
	s_mov_b32 s0, 0
	s_mov_b32 s24, exec_lo
	s_delay_alu instid0(VALU_DEP_1)
	v_cmpx_lt_i16_e32 0x7f, v9
	s_xor_b32 s24, exec_lo, s24
	s_cbranch_execnz .LBB245_433
; %bb.269:
	s_or_saveexec_b32 s24, s24
	v_mov_b32_e32 v8, 0x7f800001
	s_xor_b32 exec_lo, exec_lo, s24
	s_cbranch_execnz .LBB245_436
.LBB245_270:
	s_or_b32 exec_lo, exec_lo, s24
	s_and_saveexec_b32 s24, s0
	s_cbranch_execz .LBB245_272
.LBB245_271:
	v_bfe_u32 v8, v3, 8, 2
	v_bfe_u32 v11, v3, 10, 5
	s_delay_alu instid0(VALU_DEP_2) | instskip(NEXT) | instid1(VALU_DEP_2)
	v_clz_i32_u32_e32 v9, v8
	v_cmp_eq_u32_e32 vcc_lo, 0, v11
	s_delay_alu instid0(VALU_DEP_2) | instskip(NEXT) | instid1(VALU_DEP_1)
	v_min_u32_e32 v9, 32, v9
	v_subrev_nc_u32_e32 v10, 29, v9
	s_delay_alu instid0(VALU_DEP_1) | instskip(NEXT) | instid1(VALU_DEP_1)
	v_dual_sub_nc_u32 v9, 30, v9 :: v_dual_lshlrev_b32 v10, v10, v2
	v_dual_cndmask_b32 v9, v11, v9, vcc_lo :: v_dual_bitop2_b32 v10, 3, v10 bitop3:0x40
	s_delay_alu instid0(VALU_DEP_1) | instskip(NEXT) | instid1(VALU_DEP_2)
	v_lshl_add_u32 v9, v9, 23, 0x37800000
	v_cndmask_b32_e32 v8, v8, v10, vcc_lo
	s_delay_alu instid0(VALU_DEP_1) | instskip(NEXT) | instid1(VALU_DEP_1)
	v_dual_lshlrev_b32 v12, 24, v2 :: v_dual_lshlrev_b32 v8, 21, v8
	v_and_b32_e32 v10, 0x80000000, v12
	s_delay_alu instid0(VALU_DEP_1)
	v_or3_b32 v8, v10, v9, v8
.LBB245_272:
	s_or_b32 exec_lo, exec_lo, s24
	s_delay_alu instid0(VALU_DEP_1)
	v_cmp_neq_f32_e64 s24, v7, v8
	s_branch .LBB245_283
.LBB245_273:
                                        ; implicit-def: $sgpr24
	s_cbranch_execz .LBB245_283
; %bb.274:
	s_mov_b32 s0, 0
	s_mov_b32 s24, exec_lo
	v_cmpx_lt_i16_e32 0x7f, v6
	s_xor_b32 s24, exec_lo, s24
	s_cbranch_execnz .LBB245_557
; %bb.275:
	s_or_saveexec_b32 s24, s24
	v_mov_b32_e32 v7, 0x7f800001
	s_xor_b32 exec_lo, exec_lo, s24
	s_cbranch_execnz .LBB245_560
.LBB245_276:
	s_or_b32 exec_lo, exec_lo, s24
	s_and_saveexec_b32 s24, s0
	s_cbranch_execz .LBB245_278
.LBB245_277:
	v_bfe_u32 v6, v5, 8, 2
	v_bfe_u32 v9, v5, 10, 5
	s_delay_alu instid0(VALU_DEP_2) | instskip(NEXT) | instid1(VALU_DEP_2)
	v_clz_i32_u32_e32 v7, v6
	v_cmp_eq_u32_e32 vcc_lo, 0, v9
	s_delay_alu instid0(VALU_DEP_2) | instskip(NEXT) | instid1(VALU_DEP_1)
	v_min_u32_e32 v7, 32, v7
	v_subrev_nc_u32_e32 v8, 29, v7
	s_delay_alu instid0(VALU_DEP_1) | instskip(NEXT) | instid1(VALU_DEP_1)
	v_dual_sub_nc_u32 v7, 30, v7 :: v_dual_lshlrev_b32 v8, v8, v4
	v_dual_cndmask_b32 v7, v9, v7, vcc_lo :: v_dual_bitop2_b32 v8, 3, v8 bitop3:0x40
	s_delay_alu instid0(VALU_DEP_1) | instskip(NEXT) | instid1(VALU_DEP_2)
	v_lshl_add_u32 v7, v7, 23, 0x37800000
	v_cndmask_b32_e32 v6, v6, v8, vcc_lo
	s_delay_alu instid0(VALU_DEP_1) | instskip(NEXT) | instid1(VALU_DEP_1)
	v_dual_lshlrev_b32 v4, 24, v4 :: v_dual_lshlrev_b32 v6, 21, v6
	v_and_b32_e32 v4, 0x80000000, v4
	s_delay_alu instid0(VALU_DEP_1)
	v_or3_b32 v7, v4, v7, v6
.LBB245_278:
	s_or_b32 exec_lo, exec_lo, s24
	v_and_b32_e32 v6, 0xff, v2
	s_mov_b32 s0, 0
	s_mov_b32 s24, exec_lo
	s_delay_alu instid0(VALU_DEP_1)
	v_cmpx_lt_i16_e32 0x7f, v6
	s_xor_b32 s24, exec_lo, s24
	s_cbranch_execnz .LBB245_561
; %bb.279:
	s_or_saveexec_b32 s24, s24
	v_mov_b32_e32 v4, 0x7f800001
	s_xor_b32 exec_lo, exec_lo, s24
	s_cbranch_execnz .LBB245_564
.LBB245_280:
	s_or_b32 exec_lo, exec_lo, s24
	s_and_saveexec_b32 s24, s0
	s_cbranch_execz .LBB245_282
.LBB245_281:
	v_bfe_u32 v4, v3, 8, 2
	v_bfe_u32 v9, v3, 10, 5
	s_delay_alu instid0(VALU_DEP_2) | instskip(NEXT) | instid1(VALU_DEP_2)
	v_clz_i32_u32_e32 v6, v4
	v_cmp_eq_u32_e32 vcc_lo, 0, v9
	s_delay_alu instid0(VALU_DEP_2) | instskip(NEXT) | instid1(VALU_DEP_1)
	v_min_u32_e32 v6, 32, v6
	v_subrev_nc_u32_e32 v8, 29, v6
	s_delay_alu instid0(VALU_DEP_1) | instskip(NEXT) | instid1(VALU_DEP_1)
	v_dual_lshlrev_b32 v8, v8, v2 :: v_dual_lshlrev_b32 v2, 24, v2
	v_dual_sub_nc_u32 v6, 30, v6 :: v_dual_bitop2_b32 v8, 3, v8 bitop3:0x40
	s_delay_alu instid0(VALU_DEP_2) | instskip(NEXT) | instid1(VALU_DEP_2)
	v_and_b32_e32 v2, 0x80000000, v2
	v_dual_cndmask_b32 v6, v9, v6, vcc_lo :: v_dual_cndmask_b32 v4, v4, v8, vcc_lo
	s_delay_alu instid0(VALU_DEP_1) | instskip(NEXT) | instid1(VALU_DEP_2)
	v_lshl_add_u32 v6, v6, 23, 0x37800000
	v_lshlrev_b32_e32 v4, 21, v4
	s_delay_alu instid0(VALU_DEP_1)
	v_or3_b32 v4, v2, v6, v4
.LBB245_282:
	s_or_b32 exec_lo, exec_lo, s24
	s_delay_alu instid0(VALU_DEP_1)
	v_cmp_eq_f32_e64 s24, v7, v4
.LBB245_283:
	v_dual_lshrrev_b32 v4, 16, v5 :: v_dual_lshrrev_b32 v2, 16, v3
	v_cmp_ne_u32_e32 vcc_lo, 1, v1
	s_delay_alu instid0(VALU_DEP_2)
	v_and_b32_e32 v6, 0xff, v4
	s_cbranch_vccnz .LBB245_293
; %bb.284:
	s_mov_b32 s0, 0
	s_mov_b32 s25, exec_lo
	s_delay_alu instid0(VALU_DEP_1)
	v_cmpx_lt_i16_e32 0x7f, v6
	s_xor_b32 s25, exec_lo, s25
	s_cbranch_execnz .LBB245_437
; %bb.285:
	s_or_saveexec_b32 s25, s25
	v_mov_b32_e32 v7, 0x7f800001
	s_xor_b32 exec_lo, exec_lo, s25
	s_cbranch_execnz .LBB245_440
.LBB245_286:
	s_or_b32 exec_lo, exec_lo, s25
	s_and_saveexec_b32 s25, s0
	s_cbranch_execz .LBB245_288
.LBB245_287:
	v_bfe_u32 v7, v5, 16, 2
	v_bfe_u32 v10, v5, 18, 5
	v_lshlrev_b32_e32 v11, 24, v4
	s_delay_alu instid0(VALU_DEP_3) | instskip(NEXT) | instid1(VALU_DEP_3)
	v_clz_i32_u32_e32 v8, v7
	v_cmp_eq_u32_e32 vcc_lo, 0, v10
	s_delay_alu instid0(VALU_DEP_2) | instskip(NEXT) | instid1(VALU_DEP_1)
	v_min_u32_e32 v8, 32, v8
	v_subrev_nc_u32_e32 v9, 29, v8
	s_delay_alu instid0(VALU_DEP_1) | instskip(NEXT) | instid1(VALU_DEP_1)
	v_lshlrev_b32_e32 v9, v9, v4
	v_dual_sub_nc_u32 v8, 30, v8 :: v_dual_bitop2_b32 v9, 3, v9 bitop3:0x40
	s_delay_alu instid0(VALU_DEP_1) | instskip(SKIP_1) | instid1(VALU_DEP_2)
	v_dual_cndmask_b32 v8, v10, v8 :: v_dual_cndmask_b32 v7, v7, v9
	v_and_b32_e32 v9, 0x80000000, v11
	v_lshl_add_u32 v8, v8, 23, 0x37800000
	s_delay_alu instid0(VALU_DEP_3) | instskip(NEXT) | instid1(VALU_DEP_1)
	v_lshlrev_b32_e32 v7, 21, v7
	v_or3_b32 v7, v9, v8, v7
.LBB245_288:
	s_or_b32 exec_lo, exec_lo, s25
	v_and_b32_e32 v9, 0xff, v2
	s_mov_b32 s0, 0
	s_mov_b32 s25, exec_lo
	s_delay_alu instid0(VALU_DEP_1)
	v_cmpx_lt_i16_e32 0x7f, v9
	s_xor_b32 s25, exec_lo, s25
	s_cbranch_execnz .LBB245_441
; %bb.289:
	s_or_saveexec_b32 s25, s25
	v_mov_b32_e32 v8, 0x7f800001
	s_xor_b32 exec_lo, exec_lo, s25
	s_cbranch_execnz .LBB245_444
.LBB245_290:
	s_or_b32 exec_lo, exec_lo, s25
	s_and_saveexec_b32 s25, s0
	s_cbranch_execz .LBB245_292
.LBB245_291:
	v_bfe_u32 v8, v3, 16, 2
	v_bfe_u32 v11, v3, 18, 5
	s_delay_alu instid0(VALU_DEP_2) | instskip(NEXT) | instid1(VALU_DEP_2)
	v_clz_i32_u32_e32 v9, v8
	v_cmp_eq_u32_e32 vcc_lo, 0, v11
	s_delay_alu instid0(VALU_DEP_2) | instskip(NEXT) | instid1(VALU_DEP_1)
	v_min_u32_e32 v9, 32, v9
	v_subrev_nc_u32_e32 v10, 29, v9
	s_delay_alu instid0(VALU_DEP_1) | instskip(NEXT) | instid1(VALU_DEP_1)
	v_dual_sub_nc_u32 v9, 30, v9 :: v_dual_lshlrev_b32 v10, v10, v2
	v_dual_cndmask_b32 v9, v11, v9, vcc_lo :: v_dual_bitop2_b32 v10, 3, v10 bitop3:0x40
	s_delay_alu instid0(VALU_DEP_1) | instskip(NEXT) | instid1(VALU_DEP_2)
	v_lshl_add_u32 v9, v9, 23, 0x37800000
	v_cndmask_b32_e32 v8, v8, v10, vcc_lo
	s_delay_alu instid0(VALU_DEP_1) | instskip(NEXT) | instid1(VALU_DEP_1)
	v_dual_lshlrev_b32 v12, 24, v2 :: v_dual_lshlrev_b32 v8, 21, v8
	v_and_b32_e32 v10, 0x80000000, v12
	s_delay_alu instid0(VALU_DEP_1)
	v_or3_b32 v8, v10, v9, v8
.LBB245_292:
	s_or_b32 exec_lo, exec_lo, s25
	s_delay_alu instid0(VALU_DEP_1)
	v_cmp_neq_f32_e64 s25, v7, v8
	s_branch .LBB245_303
.LBB245_293:
                                        ; implicit-def: $sgpr25
	s_cbranch_execz .LBB245_303
; %bb.294:
	s_mov_b32 s0, 0
	s_mov_b32 s25, exec_lo
	v_cmpx_lt_i16_e32 0x7f, v6
	s_xor_b32 s25, exec_lo, s25
	s_cbranch_execnz .LBB245_565
; %bb.295:
	s_or_saveexec_b32 s25, s25
	v_mov_b32_e32 v7, 0x7f800001
	s_xor_b32 exec_lo, exec_lo, s25
	s_cbranch_execnz .LBB245_568
.LBB245_296:
	s_or_b32 exec_lo, exec_lo, s25
	s_and_saveexec_b32 s25, s0
	s_cbranch_execz .LBB245_298
.LBB245_297:
	v_bfe_u32 v6, v5, 16, 2
	v_bfe_u32 v9, v5, 18, 5
	s_delay_alu instid0(VALU_DEP_2) | instskip(NEXT) | instid1(VALU_DEP_2)
	v_clz_i32_u32_e32 v7, v6
	v_cmp_eq_u32_e32 vcc_lo, 0, v9
	s_delay_alu instid0(VALU_DEP_2) | instskip(NEXT) | instid1(VALU_DEP_1)
	v_min_u32_e32 v7, 32, v7
	v_subrev_nc_u32_e32 v8, 29, v7
	s_delay_alu instid0(VALU_DEP_1) | instskip(NEXT) | instid1(VALU_DEP_1)
	v_dual_sub_nc_u32 v7, 30, v7 :: v_dual_lshlrev_b32 v8, v8, v4
	v_dual_cndmask_b32 v7, v9, v7, vcc_lo :: v_dual_bitop2_b32 v8, 3, v8 bitop3:0x40
	s_delay_alu instid0(VALU_DEP_1) | instskip(NEXT) | instid1(VALU_DEP_2)
	v_lshl_add_u32 v7, v7, 23, 0x37800000
	v_cndmask_b32_e32 v6, v6, v8, vcc_lo
	s_delay_alu instid0(VALU_DEP_1) | instskip(NEXT) | instid1(VALU_DEP_1)
	v_dual_lshlrev_b32 v4, 24, v4 :: v_dual_lshlrev_b32 v6, 21, v6
	v_and_b32_e32 v4, 0x80000000, v4
	s_delay_alu instid0(VALU_DEP_1)
	v_or3_b32 v7, v4, v7, v6
.LBB245_298:
	s_or_b32 exec_lo, exec_lo, s25
	v_and_b32_e32 v6, 0xff, v2
	s_mov_b32 s0, 0
	s_mov_b32 s25, exec_lo
	s_delay_alu instid0(VALU_DEP_1)
	v_cmpx_lt_i16_e32 0x7f, v6
	s_xor_b32 s25, exec_lo, s25
	s_cbranch_execnz .LBB245_569
; %bb.299:
	s_or_saveexec_b32 s25, s25
	v_mov_b32_e32 v4, 0x7f800001
	s_xor_b32 exec_lo, exec_lo, s25
	s_cbranch_execnz .LBB245_572
.LBB245_300:
	s_or_b32 exec_lo, exec_lo, s25
	s_and_saveexec_b32 s25, s0
	s_cbranch_execz .LBB245_302
.LBB245_301:
	v_bfe_u32 v4, v3, 16, 2
	v_bfe_u32 v9, v3, 18, 5
	s_delay_alu instid0(VALU_DEP_2) | instskip(NEXT) | instid1(VALU_DEP_2)
	v_clz_i32_u32_e32 v6, v4
	v_cmp_eq_u32_e32 vcc_lo, 0, v9
	s_delay_alu instid0(VALU_DEP_2) | instskip(NEXT) | instid1(VALU_DEP_1)
	v_min_u32_e32 v6, 32, v6
	v_subrev_nc_u32_e32 v8, 29, v6
	s_delay_alu instid0(VALU_DEP_1) | instskip(NEXT) | instid1(VALU_DEP_1)
	v_dual_lshlrev_b32 v8, v8, v2 :: v_dual_lshlrev_b32 v2, 24, v2
	v_dual_sub_nc_u32 v6, 30, v6 :: v_dual_bitop2_b32 v8, 3, v8 bitop3:0x40
	s_delay_alu instid0(VALU_DEP_2) | instskip(NEXT) | instid1(VALU_DEP_2)
	v_and_b32_e32 v2, 0x80000000, v2
	v_dual_cndmask_b32 v6, v9, v6, vcc_lo :: v_dual_cndmask_b32 v4, v4, v8, vcc_lo
	s_delay_alu instid0(VALU_DEP_1) | instskip(NEXT) | instid1(VALU_DEP_2)
	v_lshl_add_u32 v6, v6, 23, 0x37800000
	v_lshlrev_b32_e32 v4, 21, v4
	s_delay_alu instid0(VALU_DEP_1)
	v_or3_b32 v4, v2, v6, v4
.LBB245_302:
	s_or_b32 exec_lo, exec_lo, s25
	s_delay_alu instid0(VALU_DEP_1)
	v_cmp_eq_f32_e64 s25, v7, v4
.LBB245_303:
	v_lshrrev_b32_e32 v2, 24, v5
	v_cmp_ne_u32_e32 vcc_lo, 1, v1
	v_lshrrev_b32_e32 v1, 24, v3
	s_delay_alu instid0(VALU_DEP_3)
	v_cmp_lt_i16_e64 s0, 0x7f, v2
	s_cbranch_vccnz .LBB245_313
; %bb.304:
	s_mov_b32 s26, 0
	s_and_saveexec_b32 s27, s0
	s_delay_alu instid0(SALU_CYCLE_1)
	s_xor_b32 s0, exec_lo, s27
	s_cbranch_execnz .LBB245_445
; %bb.305:
	s_or_saveexec_b32 s0, s0
	v_mov_b32_e32 v4, 0x7f800001
	s_xor_b32 exec_lo, exec_lo, s0
	s_cbranch_execnz .LBB245_448
.LBB245_306:
	s_or_b32 exec_lo, exec_lo, s0
	s_and_saveexec_b32 s0, s26
	s_cbranch_execz .LBB245_308
.LBB245_307:
	v_bfe_u32 v4, v5, 24, 2
	v_bfe_u32 v8, v5, 26, 5
	s_delay_alu instid0(VALU_DEP_2) | instskip(NEXT) | instid1(VALU_DEP_2)
	v_clz_i32_u32_e32 v6, v4
	v_cmp_eq_u32_e32 vcc_lo, 0, v8
	s_delay_alu instid0(VALU_DEP_2) | instskip(NEXT) | instid1(VALU_DEP_1)
	v_min_u32_e32 v6, 32, v6
	v_subrev_nc_u32_e32 v7, 29, v6
	s_delay_alu instid0(VALU_DEP_1) | instskip(NEXT) | instid1(VALU_DEP_1)
	v_lshlrev_b32_e32 v7, v7, v2
	v_dual_sub_nc_u32 v6, 30, v6 :: v_dual_bitop2_b32 v7, 3, v7 bitop3:0x40
	s_delay_alu instid0(VALU_DEP_1) | instskip(NEXT) | instid1(VALU_DEP_2)
	v_cndmask_b32_e32 v6, v8, v6, vcc_lo
	v_cndmask_b32_e32 v4, v4, v7, vcc_lo
	v_and_b32_e32 v7, 0x80000000, v5
	s_delay_alu instid0(VALU_DEP_3) | instskip(NEXT) | instid1(VALU_DEP_3)
	v_lshl_add_u32 v6, v6, 23, 0x37800000
	v_lshlrev_b32_e32 v4, 21, v4
	s_delay_alu instid0(VALU_DEP_1)
	v_or3_b32 v4, v7, v6, v4
.LBB245_308:
	s_or_b32 exec_lo, exec_lo, s0
	s_mov_b32 s0, 0
	s_mov_b32 s26, exec_lo
	v_cmpx_lt_i16_e32 0x7f, v1
	s_xor_b32 s26, exec_lo, s26
	s_cbranch_execnz .LBB245_449
; %bb.309:
	s_or_saveexec_b32 s26, s26
	v_mov_b32_e32 v6, 0x7f800001
	s_xor_b32 exec_lo, exec_lo, s26
	s_cbranch_execnz .LBB245_452
.LBB245_310:
	s_or_b32 exec_lo, exec_lo, s26
	s_and_saveexec_b32 s26, s0
	s_cbranch_execz .LBB245_312
.LBB245_311:
	v_bfe_u32 v6, v3, 24, 2
	v_bfe_u32 v9, v3, 26, 5
	s_delay_alu instid0(VALU_DEP_2) | instskip(NEXT) | instid1(VALU_DEP_2)
	v_clz_i32_u32_e32 v7, v6
	v_cmp_eq_u32_e32 vcc_lo, 0, v9
	s_delay_alu instid0(VALU_DEP_2) | instskip(NEXT) | instid1(VALU_DEP_1)
	v_min_u32_e32 v7, 32, v7
	v_subrev_nc_u32_e32 v8, 29, v7
	s_delay_alu instid0(VALU_DEP_1) | instskip(NEXT) | instid1(VALU_DEP_1)
	v_dual_sub_nc_u32 v7, 30, v7 :: v_dual_lshlrev_b32 v8, v8, v1
	v_dual_cndmask_b32 v7, v9, v7, vcc_lo :: v_dual_bitop2_b32 v8, 3, v8 bitop3:0x40
	s_delay_alu instid0(VALU_DEP_1) | instskip(NEXT) | instid1(VALU_DEP_2)
	v_lshl_add_u32 v7, v7, 23, 0x37800000
	v_cndmask_b32_e32 v6, v6, v8, vcc_lo
	v_and_b32_e32 v8, 0x80000000, v3
	s_delay_alu instid0(VALU_DEP_2) | instskip(NEXT) | instid1(VALU_DEP_1)
	v_lshlrev_b32_e32 v6, 21, v6
	v_or3_b32 v6, v8, v7, v6
.LBB245_312:
	s_or_b32 exec_lo, exec_lo, s26
	s_delay_alu instid0(VALU_DEP_1)
	v_cmp_neq_f32_e64 s0, v4, v6
	s_branch .LBB245_323
.LBB245_313:
                                        ; implicit-def: $sgpr0
	s_cbranch_execz .LBB245_323
; %bb.314:
	s_mov_b32 s0, 0
	s_mov_b32 s26, exec_lo
	v_cmpx_lt_i16_e32 0x7f, v2
	s_xor_b32 s26, exec_lo, s26
	s_cbranch_execnz .LBB245_573
; %bb.315:
	s_or_saveexec_b32 s26, s26
	v_mov_b32_e32 v4, 0x7f800001
	s_xor_b32 exec_lo, exec_lo, s26
	s_cbranch_execnz .LBB245_576
.LBB245_316:
	s_or_b32 exec_lo, exec_lo, s26
	s_and_saveexec_b32 s26, s0
	s_cbranch_execz .LBB245_318
.LBB245_317:
	v_bfe_u32 v4, v5, 24, 2
	s_delay_alu instid0(VALU_DEP_1) | instskip(NEXT) | instid1(VALU_DEP_1)
	v_clz_i32_u32_e32 v6, v4
	v_min_u32_e32 v6, 32, v6
	s_delay_alu instid0(VALU_DEP_1) | instskip(SKIP_1) | instid1(VALU_DEP_2)
	v_subrev_nc_u32_e32 v7, 29, v6
	v_sub_nc_u32_e32 v6, 30, v6
	v_lshlrev_b32_e32 v2, v7, v2
	v_bfe_u32 v7, v5, 26, 5
	s_delay_alu instid0(VALU_DEP_2) | instskip(NEXT) | instid1(VALU_DEP_2)
	v_and_b32_e32 v2, 3, v2
	v_cmp_eq_u32_e32 vcc_lo, 0, v7
	v_cndmask_b32_e32 v6, v7, v6, vcc_lo
	s_delay_alu instid0(VALU_DEP_3) | instskip(SKIP_1) | instid1(VALU_DEP_3)
	v_cndmask_b32_e32 v2, v4, v2, vcc_lo
	v_and_b32_e32 v4, 0x80000000, v5
	v_lshl_add_u32 v5, v6, 23, 0x37800000
	s_delay_alu instid0(VALU_DEP_3) | instskip(NEXT) | instid1(VALU_DEP_1)
	v_lshlrev_b32_e32 v2, 21, v2
	v_or3_b32 v4, v4, v5, v2
.LBB245_318:
	s_or_b32 exec_lo, exec_lo, s26
	s_mov_b32 s0, 0
	s_mov_b32 s26, exec_lo
	v_cmpx_lt_i16_e32 0x7f, v1
	s_xor_b32 s26, exec_lo, s26
	s_cbranch_execnz .LBB245_577
; %bb.319:
	s_or_saveexec_b32 s26, s26
	v_mov_b32_e32 v2, 0x7f800001
	s_xor_b32 exec_lo, exec_lo, s26
	s_cbranch_execnz .LBB245_580
.LBB245_320:
	s_or_b32 exec_lo, exec_lo, s26
	s_and_saveexec_b32 s26, s0
	s_cbranch_execz .LBB245_322
.LBB245_321:
	v_bfe_u32 v2, v3, 24, 2
	s_delay_alu instid0(VALU_DEP_1) | instskip(NEXT) | instid1(VALU_DEP_1)
	v_clz_i32_u32_e32 v5, v2
	v_min_u32_e32 v5, 32, v5
	s_delay_alu instid0(VALU_DEP_1) | instskip(SKIP_1) | instid1(VALU_DEP_2)
	v_subrev_nc_u32_e32 v6, 29, v5
	v_sub_nc_u32_e32 v5, 30, v5
	v_lshlrev_b32_e32 v1, v6, v1
	v_bfe_u32 v6, v3, 26, 5
	s_delay_alu instid0(VALU_DEP_2) | instskip(NEXT) | instid1(VALU_DEP_2)
	v_and_b32_e32 v1, 3, v1
	v_cmp_eq_u32_e32 vcc_lo, 0, v6
	v_cndmask_b32_e32 v5, v6, v5, vcc_lo
	s_delay_alu instid0(VALU_DEP_3) | instskip(SKIP_1) | instid1(VALU_DEP_3)
	v_cndmask_b32_e32 v1, v2, v1, vcc_lo
	v_and_b32_e32 v2, 0x80000000, v3
	v_lshl_add_u32 v3, v5, 23, 0x37800000
	s_delay_alu instid0(VALU_DEP_3) | instskip(NEXT) | instid1(VALU_DEP_1)
	v_lshlrev_b32_e32 v1, 21, v1
	v_or3_b32 v2, v2, v3, v1
.LBB245_322:
	s_or_b32 exec_lo, exec_lo, s26
	s_delay_alu instid0(VALU_DEP_1)
	v_cmp_eq_f32_e64 s0, v4, v2
.LBB245_323:
	v_cndmask_b32_e64 v1, 0, 1, s12
	v_cndmask_b32_e64 v2, 0, 1, s14
	;; [unrolled: 1-line block ×5, first 2 shown]
	v_lshlrev_b16 v1, 8, v1
	v_lshlrev_b16 v2, 8, v2
	v_cndmask_b32_e64 v6, 0, 1, s15
	v_lshlrev_b16 v4, 8, v4
	v_cndmask_b32_e64 v7, 0, 1, s22
	v_cndmask_b32_e64 v8, 0, 1, s24
	v_or_b32_e32 v2, v5, v2
	v_or_b32_e32 v1, v3, v1
	;; [unrolled: 1-line block ×3, first 2 shown]
	v_cndmask_b32_e64 v4, 0, 1, s18
	v_cndmask_b32_e64 v5, 0, 1, s20
	;; [unrolled: 1-line block ×4, first 2 shown]
	v_lshlrev_b16 v7, 8, v7
	v_lshlrev_b16 v4, 8, v4
	v_cndmask_b32_e64 v11, 0, 1, s21
	v_lshlrev_b16 v5, 8, v5
	v_cndmask_b32_e64 v9, 0, 1, s19
	;; [unrolled: 2-line block ×4, first 2 shown]
	v_or_b32_e32 v4, v6, v4
	v_or_b32_e32 v6, v11, v7
	;; [unrolled: 1-line block ×3, first 2 shown]
	s_add_nc_u64 s[10:11], s[4:5], s[10:11]
	v_or_b32_e32 v8, v13, v10
	v_dual_lshlrev_b32 v4, 16, v4 :: v_dual_bitop2_b32 v5, v9, v5 bitop3:0x54
	v_lshlrev_b32_e32 v2, 16, v2
	v_and_b32_e32 v1, 0xffff, v1
	v_lshlrev_b32_e32 v6, 16, v6
	v_and_b32_e32 v3, 0xffff, v3
	v_and_b32_e32 v7, 0xffff, v7
	v_lshlrev_b32_e32 v8, 16, v8
	v_and_b32_e32 v5, 0xffff, v5
	v_or_b32_e32 v2, v1, v2
	v_or_b32_e32 v3, v3, v4
	s_delay_alu instid0(VALU_DEP_3)
	v_or_b32_e32 v4, v5, v6
	v_or_b32_e32 v5, v7, v8
	s_clause 0x1
	global_store_b64 v0, v[2:3], s[10:11] scale_offset
	global_store_b64 v0, v[4:5], s[10:11] offset:2048 scale_offset
	s_branch .LBB245_2
.LBB245_324:
	s_wait_xcnt 0x0
	v_dual_mov_b32 v31, v0 :: v_dual_mov_b32 v0, s9
	v_dual_mov_b32 v1, s4 :: v_dual_mov_b32 v2, s5
	;; [unrolled: 1-line block ×4, first 2 shown]
	v_mov_b32_e32 v7, s1
	s_get_pc_i64 s[10:11]
	s_add_nc_u64 s[10:11], s[10:11], _ZN2at6native25elementwise_kernel_helperILb0ENS0_13BinaryFunctorIN3c1015Float8_e5m2fnuzES4_bNS0_12_GLOBAL__N_116CompareEqFunctorIS4_EEEENS0_6memory8policies11unroll_baseILi256ESt5arrayIPcLm3EE23TrivialOffsetCalculatorILi2EjESF_ILi1EjENS9_15LoadWithoutCastENS9_16StoreWithoutCastELi16ELi1EEEEEvT0_T1_@rel64+4
	s_delay_alu instid0(SALU_CYCLE_1)
	s_swap_pc_i64 s[30:31], s[10:11]
	s_endpgm
.LBB245_325:
	s_mov_b32 s8, -1
	s_mov_b32 s13, exec_lo
	v_cmpx_eq_u16_e32 0x80, v1
; %bb.326:
	s_xor_b32 s8, exec_lo, -1
; %bb.327:
	s_or_b32 exec_lo, exec_lo, s13
	s_delay_alu instid0(SALU_CYCLE_1)
	s_and_b32 s8, s8, exec_lo
	s_or_saveexec_b32 s12, s12
	v_mov_b32_e32 v10, 0x7f800001
	s_xor_b32 exec_lo, exec_lo, s12
	s_cbranch_execz .LBB245_6
.LBB245_328:
	v_cmp_ne_u16_e32 vcc_lo, 0, v1
	v_mov_b32_e32 v10, 0
	s_and_not1_b32 s8, s8, exec_lo
	s_and_b32 s13, vcc_lo, exec_lo
	s_delay_alu instid0(SALU_CYCLE_1)
	s_or_b32 s8, s8, s13
	s_or_b32 exec_lo, exec_lo, s12
	s_and_saveexec_b32 s12, s8
	s_cbranch_execnz .LBB245_7
	s_branch .LBB245_8
.LBB245_329:
	s_mov_b32 s8, -1
	s_mov_b32 s13, exec_lo
	v_cmpx_eq_u16_e32 0x80, v12
; %bb.330:
	s_xor_b32 s8, exec_lo, -1
; %bb.331:
	s_or_b32 exec_lo, exec_lo, s13
	s_delay_alu instid0(SALU_CYCLE_1)
	s_and_b32 s8, s8, exec_lo
                                        ; implicit-def: $vgpr12
	s_or_saveexec_b32 s12, s12
	v_mov_b32_e32 v11, 0x7f800001
	s_xor_b32 exec_lo, exec_lo, s12
	s_cbranch_execz .LBB245_10
.LBB245_332:
	v_cmp_ne_u16_e32 vcc_lo, 0, v12
	v_mov_b32_e32 v11, 0
	s_and_not1_b32 s8, s8, exec_lo
	s_and_b32 s13, vcc_lo, exec_lo
	s_delay_alu instid0(SALU_CYCLE_1)
	s_or_b32 s8, s8, s13
	s_or_b32 exec_lo, exec_lo, s12
	s_and_saveexec_b32 s12, s8
	s_cbranch_execnz .LBB245_11
	s_branch .LBB245_12
.LBB245_333:
	s_mov_b32 s0, -1
	s_mov_b32 s13, exec_lo
	v_cmpx_eq_u16_e32 0x80, v12
; %bb.334:
	s_xor_b32 s0, exec_lo, -1
; %bb.335:
	s_or_b32 exec_lo, exec_lo, s13
	s_delay_alu instid0(SALU_CYCLE_1)
	s_and_b32 s0, s0, exec_lo
	s_or_saveexec_b32 s12, s12
	v_mov_b32_e32 v13, 0x7f800001
	s_xor_b32 exec_lo, exec_lo, s12
	s_cbranch_execz .LBB245_26
.LBB245_336:
	v_cmp_ne_u16_e32 vcc_lo, 0, v12
	v_mov_b32_e32 v13, 0
	s_and_not1_b32 s0, s0, exec_lo
	s_and_b32 s13, vcc_lo, exec_lo
	s_delay_alu instid0(SALU_CYCLE_1)
	s_or_b32 s0, s0, s13
	s_or_b32 exec_lo, exec_lo, s12
	s_and_saveexec_b32 s12, s0
	s_cbranch_execnz .LBB245_27
	s_branch .LBB245_28
.LBB245_337:
	s_mov_b32 s0, -1
	s_mov_b32 s13, exec_lo
	v_cmpx_eq_u16_e32 0x80, v15
; %bb.338:
	s_xor_b32 s0, exec_lo, -1
; %bb.339:
	s_or_b32 exec_lo, exec_lo, s13
	s_delay_alu instid0(SALU_CYCLE_1)
	s_and_b32 s0, s0, exec_lo
                                        ; implicit-def: $vgpr15
	s_or_saveexec_b32 s12, s12
	v_mov_b32_e32 v14, 0x7f800001
	s_xor_b32 exec_lo, exec_lo, s12
	s_cbranch_execz .LBB245_30
.LBB245_340:
	v_cmp_ne_u16_e32 vcc_lo, 0, v15
	v_mov_b32_e32 v14, 0
	s_and_not1_b32 s0, s0, exec_lo
	s_and_b32 s13, vcc_lo, exec_lo
	s_delay_alu instid0(SALU_CYCLE_1)
	s_or_b32 s0, s0, s13
	s_or_b32 exec_lo, exec_lo, s12
	s_and_saveexec_b32 s12, s0
	s_cbranch_execnz .LBB245_31
	s_branch .LBB245_32
.LBB245_341:
	s_mov_b32 s0, -1
	s_mov_b32 s14, exec_lo
	v_cmpx_eq_u16_e32 0x80, v12
; %bb.342:
	s_xor_b32 s0, exec_lo, -1
; %bb.343:
	s_or_b32 exec_lo, exec_lo, s14
	s_delay_alu instid0(SALU_CYCLE_1)
	s_and_b32 s0, s0, exec_lo
	s_or_saveexec_b32 s13, s13
	v_mov_b32_e32 v13, 0x7f800001
	s_xor_b32 exec_lo, exec_lo, s13
	s_cbranch_execz .LBB245_46
.LBB245_344:
	v_cmp_ne_u16_e32 vcc_lo, 0, v12
	v_mov_b32_e32 v13, 0
	s_and_not1_b32 s0, s0, exec_lo
	s_and_b32 s14, vcc_lo, exec_lo
	s_delay_alu instid0(SALU_CYCLE_1)
	s_or_b32 s0, s0, s14
	s_or_b32 exec_lo, exec_lo, s13
	s_and_saveexec_b32 s13, s0
	s_cbranch_execnz .LBB245_47
	s_branch .LBB245_48
.LBB245_345:
	s_mov_b32 s0, -1
	s_mov_b32 s14, exec_lo
	v_cmpx_eq_u16_e32 0x80, v15
; %bb.346:
	s_xor_b32 s0, exec_lo, -1
; %bb.347:
	s_or_b32 exec_lo, exec_lo, s14
	s_delay_alu instid0(SALU_CYCLE_1)
	s_and_b32 s0, s0, exec_lo
                                        ; implicit-def: $vgpr15
	s_or_saveexec_b32 s13, s13
	v_mov_b32_e32 v14, 0x7f800001
	s_xor_b32 exec_lo, exec_lo, s13
	s_cbranch_execz .LBB245_50
.LBB245_348:
	v_cmp_ne_u16_e32 vcc_lo, 0, v15
	v_mov_b32_e32 v14, 0
	s_and_not1_b32 s0, s0, exec_lo
	s_and_b32 s14, vcc_lo, exec_lo
	s_delay_alu instid0(SALU_CYCLE_1)
	s_or_b32 s0, s0, s14
	s_or_b32 exec_lo, exec_lo, s13
	s_and_saveexec_b32 s13, s0
	s_cbranch_execnz .LBB245_51
	s_branch .LBB245_52
.LBB245_349:
	s_mov_b32 s14, -1
	s_mov_b32 s15, exec_lo
	v_cmpx_eq_u16_e32 0x80, v11
; %bb.350:
	s_xor_b32 s14, exec_lo, -1
; %bb.351:
	s_or_b32 exec_lo, exec_lo, s15
	s_delay_alu instid0(SALU_CYCLE_1)
	s_and_b32 s14, s14, exec_lo
	s_or_saveexec_b32 s0, s0
	v_mov_b32_e32 v12, 0x7f800001
	s_xor_b32 exec_lo, exec_lo, s0
	s_cbranch_execz .LBB245_66
.LBB245_352:
	v_cmp_ne_u16_e32 vcc_lo, 0, v11
	v_mov_b32_e32 v12, 0
	s_and_not1_b32 s14, s14, exec_lo
	s_and_b32 s15, vcc_lo, exec_lo
	s_delay_alu instid0(SALU_CYCLE_1)
	s_or_b32 s14, s14, s15
	s_or_b32 exec_lo, exec_lo, s0
	s_and_saveexec_b32 s0, s14
	s_cbranch_execnz .LBB245_67
	s_branch .LBB245_68
.LBB245_353:
	s_mov_b32 s0, -1
	s_mov_b32 s15, exec_lo
	v_cmpx_eq_u16_e32 0x80, v10
; %bb.354:
	s_xor_b32 s0, exec_lo, -1
; %bb.355:
	s_or_b32 exec_lo, exec_lo, s15
	s_delay_alu instid0(SALU_CYCLE_1)
	s_and_b32 s0, s0, exec_lo
	s_or_saveexec_b32 s14, s14
	v_mov_b32_e32 v13, 0x7f800001
	s_xor_b32 exec_lo, exec_lo, s14
	s_cbranch_execz .LBB245_70
.LBB245_356:
	v_cmp_ne_u16_e32 vcc_lo, 0, v10
	v_mov_b32_e32 v13, 0
	s_and_not1_b32 s0, s0, exec_lo
	s_and_b32 s15, vcc_lo, exec_lo
	s_delay_alu instid0(SALU_CYCLE_1)
	s_or_b32 s0, s0, s15
	s_or_b32 exec_lo, exec_lo, s14
	s_and_saveexec_b32 s14, s0
	s_cbranch_execnz .LBB245_71
	s_branch .LBB245_72
.LBB245_357:
	s_mov_b32 s0, -1
	s_mov_b32 s16, exec_lo
	v_cmpx_eq_u16_e32 0x80, v6
; %bb.358:
	s_xor_b32 s0, exec_lo, -1
; %bb.359:
	s_or_b32 exec_lo, exec_lo, s16
	s_delay_alu instid0(SALU_CYCLE_1)
	s_and_b32 s0, s0, exec_lo
	s_or_saveexec_b32 s15, s15
	v_mov_b32_e32 v8, 0x7f800001
	s_xor_b32 exec_lo, exec_lo, s15
	s_cbranch_execz .LBB245_76
.LBB245_360:
	v_cmp_ne_u16_e32 vcc_lo, 0, v6
	v_mov_b32_e32 v8, 0
	s_and_not1_b32 s0, s0, exec_lo
	s_and_b32 s16, vcc_lo, exec_lo
	s_delay_alu instid0(SALU_CYCLE_1)
	s_or_b32 s0, s0, s16
	s_or_b32 exec_lo, exec_lo, s15
	s_and_saveexec_b32 s15, s0
	s_cbranch_execnz .LBB245_77
	s_branch .LBB245_78
.LBB245_361:
	s_mov_b32 s0, -1
	s_mov_b32 s16, exec_lo
	v_cmpx_eq_u16_e32 0x80, v11
; %bb.362:
	s_xor_b32 s0, exec_lo, -1
; %bb.363:
	s_or_b32 exec_lo, exec_lo, s16
	s_delay_alu instid0(SALU_CYCLE_1)
	s_and_b32 s0, s0, exec_lo
                                        ; implicit-def: $vgpr11
	s_or_saveexec_b32 s15, s15
	v_mov_b32_e32 v10, 0x7f800001
	s_xor_b32 exec_lo, exec_lo, s15
	s_cbranch_execz .LBB245_80
.LBB245_364:
	v_cmp_ne_u16_e32 vcc_lo, 0, v11
	v_mov_b32_e32 v10, 0
	s_and_not1_b32 s0, s0, exec_lo
	s_and_b32 s16, vcc_lo, exec_lo
	s_delay_alu instid0(SALU_CYCLE_1)
	s_or_b32 s0, s0, s16
	s_or_b32 exec_lo, exec_lo, s15
	s_and_saveexec_b32 s15, s0
	s_cbranch_execnz .LBB245_81
	s_branch .LBB245_82
.LBB245_365:
	s_mov_b32 s0, -1
	s_mov_b32 s17, exec_lo
	v_cmpx_eq_u16_e32 0x80, v10
; %bb.366:
	s_xor_b32 s0, exec_lo, -1
; %bb.367:
	s_or_b32 exec_lo, exec_lo, s17
	s_delay_alu instid0(SALU_CYCLE_1)
	s_and_b32 s0, s0, exec_lo
	s_or_saveexec_b32 s16, s16
	v_mov_b32_e32 v11, 0x7f800001
	s_xor_b32 exec_lo, exec_lo, s16
	s_cbranch_execz .LBB245_106
.LBB245_368:
	v_cmp_ne_u16_e32 vcc_lo, 0, v10
	v_mov_b32_e32 v11, 0
	s_and_not1_b32 s0, s0, exec_lo
	s_and_b32 s17, vcc_lo, exec_lo
	s_delay_alu instid0(SALU_CYCLE_1)
	s_or_b32 s0, s0, s17
	s_or_b32 exec_lo, exec_lo, s16
	s_and_saveexec_b32 s16, s0
	s_cbranch_execnz .LBB245_107
	s_branch .LBB245_108
.LBB245_369:
	s_mov_b32 s0, -1
	s_mov_b32 s17, exec_lo
	v_cmpx_eq_u16_e32 0x80, v13
; %bb.370:
	s_xor_b32 s0, exec_lo, -1
; %bb.371:
	s_or_b32 exec_lo, exec_lo, s17
	s_delay_alu instid0(SALU_CYCLE_1)
	s_and_b32 s0, s0, exec_lo
                                        ; implicit-def: $vgpr13
	s_or_saveexec_b32 s16, s16
	v_mov_b32_e32 v12, 0x7f800001
	s_xor_b32 exec_lo, exec_lo, s16
	s_cbranch_execz .LBB245_110
.LBB245_372:
	v_cmp_ne_u16_e32 vcc_lo, 0, v13
	v_mov_b32_e32 v12, 0
	s_and_not1_b32 s0, s0, exec_lo
	s_and_b32 s17, vcc_lo, exec_lo
	s_delay_alu instid0(SALU_CYCLE_1)
	s_or_b32 s0, s0, s17
	s_or_b32 exec_lo, exec_lo, s16
	s_and_saveexec_b32 s16, s0
	s_cbranch_execnz .LBB245_111
	s_branch .LBB245_112
.LBB245_373:
	s_mov_b32 s0, -1
	s_mov_b32 s18, exec_lo
	v_cmpx_eq_u16_e32 0x80, v10
; %bb.374:
	s_xor_b32 s0, exec_lo, -1
; %bb.375:
	s_or_b32 exec_lo, exec_lo, s18
	s_delay_alu instid0(SALU_CYCLE_1)
	s_and_b32 s0, s0, exec_lo
	s_or_saveexec_b32 s17, s17
	v_mov_b32_e32 v11, 0x7f800001
	s_xor_b32 exec_lo, exec_lo, s17
	s_cbranch_execz .LBB245_126
.LBB245_376:
	v_cmp_ne_u16_e32 vcc_lo, 0, v10
	v_mov_b32_e32 v11, 0
	s_and_not1_b32 s0, s0, exec_lo
	s_and_b32 s18, vcc_lo, exec_lo
	s_delay_alu instid0(SALU_CYCLE_1)
	s_or_b32 s0, s0, s18
	s_or_b32 exec_lo, exec_lo, s17
	s_and_saveexec_b32 s17, s0
	s_cbranch_execnz .LBB245_127
	s_branch .LBB245_128
.LBB245_377:
	s_mov_b32 s0, -1
	s_mov_b32 s18, exec_lo
	v_cmpx_eq_u16_e32 0x80, v13
; %bb.378:
	s_xor_b32 s0, exec_lo, -1
; %bb.379:
	s_or_b32 exec_lo, exec_lo, s18
	s_delay_alu instid0(SALU_CYCLE_1)
	s_and_b32 s0, s0, exec_lo
                                        ; implicit-def: $vgpr13
	s_or_saveexec_b32 s17, s17
	v_mov_b32_e32 v12, 0x7f800001
	s_xor_b32 exec_lo, exec_lo, s17
	s_cbranch_execz .LBB245_130
.LBB245_380:
	v_cmp_ne_u16_e32 vcc_lo, 0, v13
	v_mov_b32_e32 v12, 0
	s_and_not1_b32 s0, s0, exec_lo
	s_and_b32 s18, vcc_lo, exec_lo
	s_delay_alu instid0(SALU_CYCLE_1)
	s_or_b32 s0, s0, s18
	s_or_b32 exec_lo, exec_lo, s17
	s_and_saveexec_b32 s17, s0
	s_cbranch_execnz .LBB245_131
	s_branch .LBB245_132
.LBB245_381:
	s_mov_b32 s18, -1
	s_mov_b32 s19, exec_lo
	v_cmpx_eq_u16_e32 0x80, v8
; %bb.382:
	s_xor_b32 s18, exec_lo, -1
; %bb.383:
	s_or_b32 exec_lo, exec_lo, s19
	s_delay_alu instid0(SALU_CYCLE_1)
	s_and_b32 s18, s18, exec_lo
	s_or_saveexec_b32 s0, s0
	v_mov_b32_e32 v10, 0x7f800001
	s_xor_b32 exec_lo, exec_lo, s0
	s_cbranch_execz .LBB245_146
.LBB245_384:
	v_cmp_ne_u16_e32 vcc_lo, 0, v8
	v_mov_b32_e32 v10, 0
	s_and_not1_b32 s18, s18, exec_lo
	s_and_b32 s19, vcc_lo, exec_lo
	s_delay_alu instid0(SALU_CYCLE_1)
	s_or_b32 s18, s18, s19
	s_or_b32 exec_lo, exec_lo, s0
	s_and_saveexec_b32 s0, s18
	s_cbranch_execnz .LBB245_147
	s_branch .LBB245_148
.LBB245_385:
	s_mov_b32 s0, -1
	s_mov_b32 s19, exec_lo
	v_cmpx_eq_u16_e32 0x80, v6
; %bb.386:
	s_xor_b32 s0, exec_lo, -1
; %bb.387:
	s_or_b32 exec_lo, exec_lo, s19
	s_delay_alu instid0(SALU_CYCLE_1)
	s_and_b32 s0, s0, exec_lo
	s_or_saveexec_b32 s18, s18
	v_mov_b32_e32 v11, 0x7f800001
	s_xor_b32 exec_lo, exec_lo, s18
	s_cbranch_execz .LBB245_150
.LBB245_388:
	v_cmp_ne_u16_e32 vcc_lo, 0, v6
	v_mov_b32_e32 v11, 0
	s_and_not1_b32 s0, s0, exec_lo
	s_and_b32 s19, vcc_lo, exec_lo
	s_delay_alu instid0(SALU_CYCLE_1)
	s_or_b32 s0, s0, s19
	s_or_b32 exec_lo, exec_lo, s18
	s_and_saveexec_b32 s18, s0
	s_cbranch_execnz .LBB245_151
	s_branch .LBB245_152
.LBB245_389:
	s_mov_b32 s0, -1
	s_mov_b32 s20, exec_lo
	v_cmpx_eq_u16_e32 0x80, v6
; %bb.390:
	s_xor_b32 s0, exec_lo, -1
; %bb.391:
	s_or_b32 exec_lo, exec_lo, s20
	s_delay_alu instid0(SALU_CYCLE_1)
	s_and_b32 s0, s0, exec_lo
	s_or_saveexec_b32 s19, s19
	v_mov_b32_e32 v7, 0x7f800001
	s_xor_b32 exec_lo, exec_lo, s19
	s_cbranch_execz .LBB245_156
.LBB245_392:
	v_cmp_ne_u16_e32 vcc_lo, 0, v6
	v_mov_b32_e32 v7, 0
	s_and_not1_b32 s0, s0, exec_lo
	s_and_b32 s20, vcc_lo, exec_lo
	s_delay_alu instid0(SALU_CYCLE_1)
	s_or_b32 s0, s0, s20
	s_or_b32 exec_lo, exec_lo, s19
	s_and_saveexec_b32 s19, s0
	s_cbranch_execnz .LBB245_157
	s_branch .LBB245_158
.LBB245_393:
	s_mov_b32 s0, -1
	s_mov_b32 s20, exec_lo
	v_cmpx_eq_u16_e32 0x80, v9
; %bb.394:
	s_xor_b32 s0, exec_lo, -1
; %bb.395:
	s_or_b32 exec_lo, exec_lo, s20
	s_delay_alu instid0(SALU_CYCLE_1)
	s_and_b32 s0, s0, exec_lo
                                        ; implicit-def: $vgpr9
	s_or_saveexec_b32 s19, s19
	v_mov_b32_e32 v8, 0x7f800001
	s_xor_b32 exec_lo, exec_lo, s19
	s_cbranch_execz .LBB245_160
.LBB245_396:
	v_cmp_ne_u16_e32 vcc_lo, 0, v9
	v_mov_b32_e32 v8, 0
	s_and_not1_b32 s0, s0, exec_lo
	s_and_b32 s20, vcc_lo, exec_lo
	s_delay_alu instid0(SALU_CYCLE_1)
	s_or_b32 s0, s0, s20
	s_or_b32 exec_lo, exec_lo, s19
	s_and_saveexec_b32 s19, s0
	s_cbranch_execnz .LBB245_161
	s_branch .LBB245_162
.LBB245_397:
	s_mov_b32 s0, -1
	s_mov_b32 s21, exec_lo
	v_cmpx_eq_u16_e32 0x80, v8
; %bb.398:
	s_xor_b32 s0, exec_lo, -1
; %bb.399:
	s_or_b32 exec_lo, exec_lo, s21
	s_delay_alu instid0(SALU_CYCLE_1)
	s_and_b32 s0, s0, exec_lo
	s_or_saveexec_b32 s20, s20
	v_mov_b32_e32 v9, 0x7f800001
	s_xor_b32 exec_lo, exec_lo, s20
	s_cbranch_execz .LBB245_186
.LBB245_400:
	v_cmp_ne_u16_e32 vcc_lo, 0, v8
	v_mov_b32_e32 v9, 0
	s_and_not1_b32 s0, s0, exec_lo
	s_and_b32 s21, vcc_lo, exec_lo
	s_delay_alu instid0(SALU_CYCLE_1)
	s_or_b32 s0, s0, s21
	s_or_b32 exec_lo, exec_lo, s20
	s_and_saveexec_b32 s20, s0
	s_cbranch_execnz .LBB245_187
	s_branch .LBB245_188
.LBB245_401:
	s_mov_b32 s0, -1
	s_mov_b32 s21, exec_lo
	v_cmpx_eq_u16_e32 0x80, v11
; %bb.402:
	s_xor_b32 s0, exec_lo, -1
; %bb.403:
	s_or_b32 exec_lo, exec_lo, s21
	s_delay_alu instid0(SALU_CYCLE_1)
	s_and_b32 s0, s0, exec_lo
                                        ; implicit-def: $vgpr11
	s_or_saveexec_b32 s20, s20
	v_mov_b32_e32 v10, 0x7f800001
	s_xor_b32 exec_lo, exec_lo, s20
	s_cbranch_execz .LBB245_190
.LBB245_404:
	v_cmp_ne_u16_e32 vcc_lo, 0, v11
	v_mov_b32_e32 v10, 0
	s_and_not1_b32 s0, s0, exec_lo
	s_and_b32 s21, vcc_lo, exec_lo
	s_delay_alu instid0(SALU_CYCLE_1)
	s_or_b32 s0, s0, s21
	s_or_b32 exec_lo, exec_lo, s20
	s_and_saveexec_b32 s20, s0
	s_cbranch_execnz .LBB245_191
	s_branch .LBB245_192
.LBB245_405:
	s_mov_b32 s0, -1
	s_mov_b32 s22, exec_lo
	v_cmpx_eq_u16_e32 0x80, v8
; %bb.406:
	s_xor_b32 s0, exec_lo, -1
; %bb.407:
	s_or_b32 exec_lo, exec_lo, s22
	s_delay_alu instid0(SALU_CYCLE_1)
	s_and_b32 s0, s0, exec_lo
	s_or_saveexec_b32 s21, s21
	v_mov_b32_e32 v9, 0x7f800001
	s_xor_b32 exec_lo, exec_lo, s21
	s_cbranch_execz .LBB245_206
.LBB245_408:
	v_cmp_ne_u16_e32 vcc_lo, 0, v8
	v_mov_b32_e32 v9, 0
	s_and_not1_b32 s0, s0, exec_lo
	s_and_b32 s22, vcc_lo, exec_lo
	s_delay_alu instid0(SALU_CYCLE_1)
	s_or_b32 s0, s0, s22
	s_or_b32 exec_lo, exec_lo, s21
	s_and_saveexec_b32 s21, s0
	s_cbranch_execnz .LBB245_207
	s_branch .LBB245_208
.LBB245_409:
	s_mov_b32 s0, -1
	s_mov_b32 s22, exec_lo
	v_cmpx_eq_u16_e32 0x80, v11
; %bb.410:
	s_xor_b32 s0, exec_lo, -1
; %bb.411:
	s_or_b32 exec_lo, exec_lo, s22
	s_delay_alu instid0(SALU_CYCLE_1)
	s_and_b32 s0, s0, exec_lo
                                        ; implicit-def: $vgpr11
	s_or_saveexec_b32 s21, s21
	v_mov_b32_e32 v10, 0x7f800001
	s_xor_b32 exec_lo, exec_lo, s21
	s_cbranch_execz .LBB245_210
.LBB245_412:
	v_cmp_ne_u16_e32 vcc_lo, 0, v11
	v_mov_b32_e32 v10, 0
	s_and_not1_b32 s0, s0, exec_lo
	s_and_b32 s22, vcc_lo, exec_lo
	s_delay_alu instid0(SALU_CYCLE_1)
	s_or_b32 s0, s0, s22
	s_or_b32 exec_lo, exec_lo, s21
	s_and_saveexec_b32 s21, s0
	s_cbranch_execnz .LBB245_211
	s_branch .LBB245_212
.LBB245_413:
	s_mov_b32 s22, -1
	s_mov_b32 s23, exec_lo
	v_cmpx_eq_u16_e32 0x80, v7
; %bb.414:
	s_xor_b32 s22, exec_lo, -1
; %bb.415:
	s_or_b32 exec_lo, exec_lo, s23
	s_delay_alu instid0(SALU_CYCLE_1)
	s_and_b32 s22, s22, exec_lo
	s_or_saveexec_b32 s0, s0
	v_mov_b32_e32 v8, 0x7f800001
	s_xor_b32 exec_lo, exec_lo, s0
	s_cbranch_execz .LBB245_226
.LBB245_416:
	v_cmp_ne_u16_e32 vcc_lo, 0, v7
	v_mov_b32_e32 v8, 0
	s_and_not1_b32 s22, s22, exec_lo
	s_and_b32 s23, vcc_lo, exec_lo
	s_delay_alu instid0(SALU_CYCLE_1)
	s_or_b32 s22, s22, s23
	s_or_b32 exec_lo, exec_lo, s0
	s_and_saveexec_b32 s0, s22
	s_cbranch_execnz .LBB245_227
	s_branch .LBB245_228
.LBB245_417:
	s_mov_b32 s0, -1
	s_mov_b32 s23, exec_lo
	v_cmpx_eq_u16_e32 0x80, v6
; %bb.418:
	s_xor_b32 s0, exec_lo, -1
; %bb.419:
	s_or_b32 exec_lo, exec_lo, s23
	s_delay_alu instid0(SALU_CYCLE_1)
	s_and_b32 s0, s0, exec_lo
	s_or_saveexec_b32 s22, s22
	v_mov_b32_e32 v9, 0x7f800001
	s_xor_b32 exec_lo, exec_lo, s22
	s_cbranch_execz .LBB245_230
.LBB245_420:
	v_cmp_ne_u16_e32 vcc_lo, 0, v6
	v_mov_b32_e32 v9, 0
	s_and_not1_b32 s0, s0, exec_lo
	s_and_b32 s23, vcc_lo, exec_lo
	s_delay_alu instid0(SALU_CYCLE_1)
	s_or_b32 s0, s0, s23
	s_or_b32 exec_lo, exec_lo, s22
	s_and_saveexec_b32 s22, s0
	s_cbranch_execnz .LBB245_231
	s_branch .LBB245_232
.LBB245_421:
	s_mov_b32 s0, -1
	s_mov_b32 s24, exec_lo
	v_cmpx_eq_u16_e32 0x80, v2
; %bb.422:
	s_xor_b32 s0, exec_lo, -1
; %bb.423:
	s_or_b32 exec_lo, exec_lo, s24
	s_delay_alu instid0(SALU_CYCLE_1)
	s_and_b32 s0, s0, exec_lo
	s_or_saveexec_b32 s23, s23
	v_mov_b32_e32 v4, 0x7f800001
	s_xor_b32 exec_lo, exec_lo, s23
	s_cbranch_execz .LBB245_236
.LBB245_424:
	v_cmp_ne_u16_e32 vcc_lo, 0, v2
	v_mov_b32_e32 v4, 0
	s_and_not1_b32 s0, s0, exec_lo
	s_and_b32 s24, vcc_lo, exec_lo
	s_delay_alu instid0(SALU_CYCLE_1)
	s_or_b32 s0, s0, s24
	s_or_b32 exec_lo, exec_lo, s23
	s_and_saveexec_b32 s23, s0
	s_cbranch_execnz .LBB245_237
	s_branch .LBB245_238
.LBB245_425:
	s_mov_b32 s0, -1
	s_mov_b32 s24, exec_lo
	v_cmpx_eq_u16_e32 0x80, v7
; %bb.426:
	s_xor_b32 s0, exec_lo, -1
; %bb.427:
	s_or_b32 exec_lo, exec_lo, s24
	s_delay_alu instid0(SALU_CYCLE_1)
	s_and_b32 s0, s0, exec_lo
                                        ; implicit-def: $vgpr7
	s_or_saveexec_b32 s23, s23
	v_mov_b32_e32 v6, 0x7f800001
	s_xor_b32 exec_lo, exec_lo, s23
	s_cbranch_execz .LBB245_240
.LBB245_428:
	v_cmp_ne_u16_e32 vcc_lo, 0, v7
	v_mov_b32_e32 v6, 0
	s_and_not1_b32 s0, s0, exec_lo
	s_and_b32 s24, vcc_lo, exec_lo
	s_delay_alu instid0(SALU_CYCLE_1)
	s_or_b32 s0, s0, s24
	s_or_b32 exec_lo, exec_lo, s23
	s_and_saveexec_b32 s23, s0
	s_cbranch_execnz .LBB245_241
	s_branch .LBB245_242
.LBB245_429:
	s_mov_b32 s0, -1
	s_mov_b32 s25, exec_lo
	v_cmpx_eq_u16_e32 0x80, v6
; %bb.430:
	s_xor_b32 s0, exec_lo, -1
; %bb.431:
	s_or_b32 exec_lo, exec_lo, s25
	s_delay_alu instid0(SALU_CYCLE_1)
	s_and_b32 s0, s0, exec_lo
	s_or_saveexec_b32 s24, s24
	v_mov_b32_e32 v7, 0x7f800001
	s_xor_b32 exec_lo, exec_lo, s24
	s_cbranch_execz .LBB245_266
.LBB245_432:
	v_cmp_ne_u16_e32 vcc_lo, 0, v6
	v_mov_b32_e32 v7, 0
	s_and_not1_b32 s0, s0, exec_lo
	s_and_b32 s25, vcc_lo, exec_lo
	s_delay_alu instid0(SALU_CYCLE_1)
	s_or_b32 s0, s0, s25
	s_or_b32 exec_lo, exec_lo, s24
	s_and_saveexec_b32 s24, s0
	s_cbranch_execnz .LBB245_267
	s_branch .LBB245_268
.LBB245_433:
	s_mov_b32 s0, -1
	s_mov_b32 s25, exec_lo
	v_cmpx_eq_u16_e32 0x80, v9
; %bb.434:
	s_xor_b32 s0, exec_lo, -1
; %bb.435:
	s_or_b32 exec_lo, exec_lo, s25
	s_delay_alu instid0(SALU_CYCLE_1)
	s_and_b32 s0, s0, exec_lo
                                        ; implicit-def: $vgpr9
	s_or_saveexec_b32 s24, s24
	v_mov_b32_e32 v8, 0x7f800001
	s_xor_b32 exec_lo, exec_lo, s24
	s_cbranch_execz .LBB245_270
.LBB245_436:
	v_cmp_ne_u16_e32 vcc_lo, 0, v9
	v_mov_b32_e32 v8, 0
	s_and_not1_b32 s0, s0, exec_lo
	s_and_b32 s25, vcc_lo, exec_lo
	s_delay_alu instid0(SALU_CYCLE_1)
	s_or_b32 s0, s0, s25
	s_or_b32 exec_lo, exec_lo, s24
	s_and_saveexec_b32 s24, s0
	s_cbranch_execnz .LBB245_271
	s_branch .LBB245_272
.LBB245_437:
	s_mov_b32 s0, -1
	s_mov_b32 s26, exec_lo
	v_cmpx_eq_u16_e32 0x80, v6
; %bb.438:
	s_xor_b32 s0, exec_lo, -1
; %bb.439:
	s_or_b32 exec_lo, exec_lo, s26
	s_delay_alu instid0(SALU_CYCLE_1)
	s_and_b32 s0, s0, exec_lo
	s_or_saveexec_b32 s25, s25
	v_mov_b32_e32 v7, 0x7f800001
	s_xor_b32 exec_lo, exec_lo, s25
	s_cbranch_execz .LBB245_286
.LBB245_440:
	v_cmp_ne_u16_e32 vcc_lo, 0, v6
	v_mov_b32_e32 v7, 0
	s_and_not1_b32 s0, s0, exec_lo
	s_and_b32 s26, vcc_lo, exec_lo
	s_delay_alu instid0(SALU_CYCLE_1)
	s_or_b32 s0, s0, s26
	s_or_b32 exec_lo, exec_lo, s25
	s_and_saveexec_b32 s25, s0
	s_cbranch_execnz .LBB245_287
	s_branch .LBB245_288
.LBB245_441:
	s_mov_b32 s0, -1
	s_mov_b32 s26, exec_lo
	v_cmpx_eq_u16_e32 0x80, v9
; %bb.442:
	s_xor_b32 s0, exec_lo, -1
; %bb.443:
	s_or_b32 exec_lo, exec_lo, s26
	s_delay_alu instid0(SALU_CYCLE_1)
	s_and_b32 s0, s0, exec_lo
                                        ; implicit-def: $vgpr9
	s_or_saveexec_b32 s25, s25
	v_mov_b32_e32 v8, 0x7f800001
	s_xor_b32 exec_lo, exec_lo, s25
	s_cbranch_execz .LBB245_290
.LBB245_444:
	v_cmp_ne_u16_e32 vcc_lo, 0, v9
	v_mov_b32_e32 v8, 0
	s_and_not1_b32 s0, s0, exec_lo
	s_and_b32 s26, vcc_lo, exec_lo
	s_delay_alu instid0(SALU_CYCLE_1)
	s_or_b32 s0, s0, s26
	s_or_b32 exec_lo, exec_lo, s25
	s_and_saveexec_b32 s25, s0
	s_cbranch_execnz .LBB245_291
	s_branch .LBB245_292
.LBB245_445:
	s_mov_b32 s26, -1
	s_mov_b32 s27, exec_lo
	v_cmpx_eq_u16_e32 0x80, v2
; %bb.446:
	s_xor_b32 s26, exec_lo, -1
; %bb.447:
	s_or_b32 exec_lo, exec_lo, s27
	s_delay_alu instid0(SALU_CYCLE_1)
	s_and_b32 s26, s26, exec_lo
	s_or_saveexec_b32 s0, s0
	v_mov_b32_e32 v4, 0x7f800001
	s_xor_b32 exec_lo, exec_lo, s0
	s_cbranch_execz .LBB245_306
.LBB245_448:
	v_cmp_ne_u16_e32 vcc_lo, 0, v2
	v_mov_b32_e32 v4, 0
	s_and_not1_b32 s26, s26, exec_lo
	s_and_b32 s27, vcc_lo, exec_lo
	s_delay_alu instid0(SALU_CYCLE_1)
	s_or_b32 s26, s26, s27
	s_or_b32 exec_lo, exec_lo, s0
	s_and_saveexec_b32 s0, s26
	s_cbranch_execnz .LBB245_307
	s_branch .LBB245_308
.LBB245_449:
	s_mov_b32 s0, -1
	s_mov_b32 s27, exec_lo
	v_cmpx_eq_u16_e32 0x80, v1
; %bb.450:
	s_xor_b32 s0, exec_lo, -1
; %bb.451:
	s_or_b32 exec_lo, exec_lo, s27
	s_delay_alu instid0(SALU_CYCLE_1)
	s_and_b32 s0, s0, exec_lo
	s_or_saveexec_b32 s26, s26
	v_mov_b32_e32 v6, 0x7f800001
	s_xor_b32 exec_lo, exec_lo, s26
	s_cbranch_execz .LBB245_310
.LBB245_452:
	v_cmp_ne_u16_e32 vcc_lo, 0, v1
	v_mov_b32_e32 v6, 0
	s_and_not1_b32 s0, s0, exec_lo
	s_and_b32 s27, vcc_lo, exec_lo
	s_delay_alu instid0(SALU_CYCLE_1)
	s_or_b32 s0, s0, s27
	s_or_b32 exec_lo, exec_lo, s26
	s_and_saveexec_b32 s26, s0
	s_cbranch_execnz .LBB245_311
	s_branch .LBB245_312
.LBB245_453:
	s_mov_b32 s8, -1
	s_mov_b32 s13, exec_lo
	v_cmpx_eq_u16_e32 0x80, v1
; %bb.454:
	s_xor_b32 s8, exec_lo, -1
; %bb.455:
	s_or_b32 exec_lo, exec_lo, s13
	s_delay_alu instid0(SALU_CYCLE_1)
	s_and_b32 s8, s8, exec_lo
                                        ; implicit-def: $vgpr1
	s_or_saveexec_b32 s12, s12
	v_mov_b32_e32 v10, 0x7f800001
	s_xor_b32 exec_lo, exec_lo, s12
	s_cbranch_execz .LBB245_16
.LBB245_456:
	v_cmp_ne_u16_e32 vcc_lo, 0, v1
	v_mov_b32_e32 v10, 0
	s_and_not1_b32 s8, s8, exec_lo
	s_and_b32 s13, vcc_lo, exec_lo
	s_delay_alu instid0(SALU_CYCLE_1)
	s_or_b32 s8, s8, s13
	s_or_b32 exec_lo, exec_lo, s12
	s_and_saveexec_b32 s12, s8
	s_cbranch_execnz .LBB245_17
	s_branch .LBB245_18
.LBB245_457:
	s_mov_b32 s8, -1
	s_mov_b32 s13, exec_lo
	v_cmpx_eq_u16_e32 0x80, v11
; %bb.458:
	s_xor_b32 s8, exec_lo, -1
; %bb.459:
	s_or_b32 exec_lo, exec_lo, s13
	s_delay_alu instid0(SALU_CYCLE_1)
	s_and_b32 s8, s8, exec_lo
                                        ; implicit-def: $vgpr11
	s_or_saveexec_b32 s12, s12
	v_mov_b32_e32 v1, 0x7f800001
	s_xor_b32 exec_lo, exec_lo, s12
	s_cbranch_execz .LBB245_20
.LBB245_460:
	v_cmp_ne_u16_e32 vcc_lo, 0, v11
	v_mov_b32_e32 v1, 0
	s_and_not1_b32 s8, s8, exec_lo
	s_and_b32 s13, vcc_lo, exec_lo
	s_delay_alu instid0(SALU_CYCLE_1)
	s_or_b32 s8, s8, s13
	s_or_b32 exec_lo, exec_lo, s12
	s_and_saveexec_b32 s12, s8
	s_cbranch_execnz .LBB245_21
	s_branch .LBB245_22
.LBB245_461:
	s_mov_b32 s0, -1
	s_mov_b32 s13, exec_lo
	v_cmpx_eq_u16_e32 0x80, v12
; %bb.462:
	s_xor_b32 s0, exec_lo, -1
; %bb.463:
	s_or_b32 exec_lo, exec_lo, s13
	s_delay_alu instid0(SALU_CYCLE_1)
	s_and_b32 s0, s0, exec_lo
                                        ; implicit-def: $vgpr12
	s_or_saveexec_b32 s12, s12
	v_mov_b32_e32 v13, 0x7f800001
	s_xor_b32 exec_lo, exec_lo, s12
	s_cbranch_execz .LBB245_36
.LBB245_464:
	v_cmp_ne_u16_e32 vcc_lo, 0, v12
	v_mov_b32_e32 v13, 0
	s_and_not1_b32 s0, s0, exec_lo
	s_and_b32 s13, vcc_lo, exec_lo
	s_delay_alu instid0(SALU_CYCLE_1)
	s_or_b32 s0, s0, s13
	s_or_b32 exec_lo, exec_lo, s12
	s_and_saveexec_b32 s12, s0
	s_cbranch_execnz .LBB245_37
	s_branch .LBB245_38
.LBB245_465:
	s_mov_b32 s0, -1
	s_mov_b32 s13, exec_lo
	v_cmpx_eq_u16_e32 0x80, v12
; %bb.466:
	s_xor_b32 s0, exec_lo, -1
; %bb.467:
	s_or_b32 exec_lo, exec_lo, s13
	s_delay_alu instid0(SALU_CYCLE_1)
	s_and_b32 s0, s0, exec_lo
                                        ; implicit-def: $vgpr12
	s_or_saveexec_b32 s12, s12
	v_mov_b32_e32 v11, 0x7f800001
	s_xor_b32 exec_lo, exec_lo, s12
	s_cbranch_execz .LBB245_40
.LBB245_468:
	v_cmp_ne_u16_e32 vcc_lo, 0, v12
	v_mov_b32_e32 v11, 0
	s_and_not1_b32 s0, s0, exec_lo
	s_and_b32 s13, vcc_lo, exec_lo
	s_delay_alu instid0(SALU_CYCLE_1)
	s_or_b32 s0, s0, s13
	s_or_b32 exec_lo, exec_lo, s12
	s_and_saveexec_b32 s12, s0
	s_cbranch_execnz .LBB245_41
	s_branch .LBB245_42
.LBB245_469:
	s_mov_b32 s0, -1
	s_mov_b32 s14, exec_lo
	v_cmpx_eq_u16_e32 0x80, v12
; %bb.470:
	s_xor_b32 s0, exec_lo, -1
; %bb.471:
	s_or_b32 exec_lo, exec_lo, s14
	s_delay_alu instid0(SALU_CYCLE_1)
	s_and_b32 s0, s0, exec_lo
                                        ; implicit-def: $vgpr12
	s_or_saveexec_b32 s13, s13
	v_mov_b32_e32 v13, 0x7f800001
	s_xor_b32 exec_lo, exec_lo, s13
	s_cbranch_execz .LBB245_56
.LBB245_472:
	v_cmp_ne_u16_e32 vcc_lo, 0, v12
	v_mov_b32_e32 v13, 0
	s_and_not1_b32 s0, s0, exec_lo
	s_and_b32 s14, vcc_lo, exec_lo
	s_delay_alu instid0(SALU_CYCLE_1)
	s_or_b32 s0, s0, s14
	s_or_b32 exec_lo, exec_lo, s13
	s_and_saveexec_b32 s13, s0
	s_cbranch_execnz .LBB245_57
	s_branch .LBB245_58
.LBB245_473:
	s_mov_b32 s0, -1
	s_mov_b32 s14, exec_lo
	v_cmpx_eq_u16_e32 0x80, v12
; %bb.474:
	s_xor_b32 s0, exec_lo, -1
; %bb.475:
	s_or_b32 exec_lo, exec_lo, s14
	s_delay_alu instid0(SALU_CYCLE_1)
	s_and_b32 s0, s0, exec_lo
                                        ; implicit-def: $vgpr12
	s_or_saveexec_b32 s13, s13
	v_mov_b32_e32 v11, 0x7f800001
	s_xor_b32 exec_lo, exec_lo, s13
	s_cbranch_execz .LBB245_60
.LBB245_476:
	v_cmp_ne_u16_e32 vcc_lo, 0, v12
	v_mov_b32_e32 v11, 0
	s_and_not1_b32 s0, s0, exec_lo
	s_and_b32 s14, vcc_lo, exec_lo
	s_delay_alu instid0(SALU_CYCLE_1)
	s_or_b32 s0, s0, s14
	s_or_b32 exec_lo, exec_lo, s13
	s_and_saveexec_b32 s13, s0
	s_cbranch_execnz .LBB245_61
	s_branch .LBB245_62
.LBB245_477:
	s_mov_b32 s0, -1
	s_mov_b32 s15, exec_lo
	v_cmpx_eq_u16_e32 0x80, v11
; %bb.478:
	s_xor_b32 s0, exec_lo, -1
; %bb.479:
	s_or_b32 exec_lo, exec_lo, s15
	s_delay_alu instid0(SALU_CYCLE_1)
	s_and_b32 s0, s0, exec_lo
	s_or_saveexec_b32 s14, s14
	v_mov_b32_e32 v12, 0x7f800001
	s_xor_b32 exec_lo, exec_lo, s14
	s_cbranch_execz .LBB245_86
.LBB245_480:
	v_cmp_ne_u16_e32 vcc_lo, 0, v11
	v_mov_b32_e32 v12, 0
	s_and_not1_b32 s0, s0, exec_lo
	s_and_b32 s15, vcc_lo, exec_lo
	s_delay_alu instid0(SALU_CYCLE_1)
	s_or_b32 s0, s0, s15
	s_or_b32 exec_lo, exec_lo, s14
	s_and_saveexec_b32 s14, s0
	s_cbranch_execnz .LBB245_87
	s_branch .LBB245_88
.LBB245_481:
	s_mov_b32 s0, -1
	s_mov_b32 s15, exec_lo
	v_cmpx_eq_u16_e32 0x80, v10
; %bb.482:
	s_xor_b32 s0, exec_lo, -1
; %bb.483:
	s_or_b32 exec_lo, exec_lo, s15
	s_delay_alu instid0(SALU_CYCLE_1)
	s_and_b32 s0, s0, exec_lo
	s_or_saveexec_b32 s14, s14
	v_mov_b32_e32 v8, 0x7f800001
	s_xor_b32 exec_lo, exec_lo, s14
	s_cbranch_execz .LBB245_90
.LBB245_484:
	v_cmp_ne_u16_e32 vcc_lo, 0, v10
	v_mov_b32_e32 v8, 0
	s_and_not1_b32 s0, s0, exec_lo
	s_and_b32 s15, vcc_lo, exec_lo
	s_delay_alu instid0(SALU_CYCLE_1)
	s_or_b32 s0, s0, s15
	s_or_b32 exec_lo, exec_lo, s14
	s_and_saveexec_b32 s14, s0
	s_cbranch_execnz .LBB245_91
	s_branch .LBB245_92
.LBB245_485:
	s_mov_b32 s0, -1
	s_mov_b32 s16, exec_lo
	v_cmpx_eq_u16_e32 0x80, v6
; %bb.486:
	s_xor_b32 s0, exec_lo, -1
; %bb.487:
	s_or_b32 exec_lo, exec_lo, s16
	s_delay_alu instid0(SALU_CYCLE_1)
	s_and_b32 s0, s0, exec_lo
                                        ; implicit-def: $vgpr6
	s_or_saveexec_b32 s15, s15
	v_mov_b32_e32 v8, 0x7f800001
	s_xor_b32 exec_lo, exec_lo, s15
	s_cbranch_execz .LBB245_96
.LBB245_488:
	v_cmp_ne_u16_e32 vcc_lo, 0, v6
	v_mov_b32_e32 v8, 0
	s_and_not1_b32 s0, s0, exec_lo
	s_and_b32 s16, vcc_lo, exec_lo
	s_delay_alu instid0(SALU_CYCLE_1)
	s_or_b32 s0, s0, s16
	s_or_b32 exec_lo, exec_lo, s15
	s_and_saveexec_b32 s15, s0
	s_cbranch_execnz .LBB245_97
	s_branch .LBB245_98
.LBB245_489:
	s_mov_b32 s0, -1
	s_mov_b32 s16, exec_lo
	v_cmpx_eq_u16_e32 0x80, v10
; %bb.490:
	s_xor_b32 s0, exec_lo, -1
; %bb.491:
	s_or_b32 exec_lo, exec_lo, s16
	s_delay_alu instid0(SALU_CYCLE_1)
	s_and_b32 s0, s0, exec_lo
                                        ; implicit-def: $vgpr10
	s_or_saveexec_b32 s15, s15
	v_mov_b32_e32 v6, 0x7f800001
	s_xor_b32 exec_lo, exec_lo, s15
	s_cbranch_execz .LBB245_100
.LBB245_492:
	v_cmp_ne_u16_e32 vcc_lo, 0, v10
	v_mov_b32_e32 v6, 0
	s_and_not1_b32 s0, s0, exec_lo
	s_and_b32 s16, vcc_lo, exec_lo
	s_delay_alu instid0(SALU_CYCLE_1)
	s_or_b32 s0, s0, s16
	s_or_b32 exec_lo, exec_lo, s15
	s_and_saveexec_b32 s15, s0
	s_cbranch_execnz .LBB245_101
	s_branch .LBB245_102
.LBB245_493:
	s_mov_b32 s0, -1
	s_mov_b32 s17, exec_lo
	v_cmpx_eq_u16_e32 0x80, v10
; %bb.494:
	s_xor_b32 s0, exec_lo, -1
; %bb.495:
	s_or_b32 exec_lo, exec_lo, s17
	s_delay_alu instid0(SALU_CYCLE_1)
	s_and_b32 s0, s0, exec_lo
                                        ; implicit-def: $vgpr10
	s_or_saveexec_b32 s16, s16
	v_mov_b32_e32 v11, 0x7f800001
	s_xor_b32 exec_lo, exec_lo, s16
	s_cbranch_execz .LBB245_116
.LBB245_496:
	v_cmp_ne_u16_e32 vcc_lo, 0, v10
	v_mov_b32_e32 v11, 0
	s_and_not1_b32 s0, s0, exec_lo
	s_and_b32 s17, vcc_lo, exec_lo
	s_delay_alu instid0(SALU_CYCLE_1)
	s_or_b32 s0, s0, s17
	s_or_b32 exec_lo, exec_lo, s16
	s_and_saveexec_b32 s16, s0
	s_cbranch_execnz .LBB245_117
	s_branch .LBB245_118
.LBB245_497:
	s_mov_b32 s0, -1
	s_mov_b32 s17, exec_lo
	v_cmpx_eq_u16_e32 0x80, v10
; %bb.498:
	s_xor_b32 s0, exec_lo, -1
; %bb.499:
	s_or_b32 exec_lo, exec_lo, s17
	s_delay_alu instid0(SALU_CYCLE_1)
	s_and_b32 s0, s0, exec_lo
                                        ; implicit-def: $vgpr10
	s_or_saveexec_b32 s16, s16
	v_mov_b32_e32 v8, 0x7f800001
	s_xor_b32 exec_lo, exec_lo, s16
	s_cbranch_execz .LBB245_120
.LBB245_500:
	v_cmp_ne_u16_e32 vcc_lo, 0, v10
	v_mov_b32_e32 v8, 0
	s_and_not1_b32 s0, s0, exec_lo
	s_and_b32 s17, vcc_lo, exec_lo
	s_delay_alu instid0(SALU_CYCLE_1)
	s_or_b32 s0, s0, s17
	s_or_b32 exec_lo, exec_lo, s16
	s_and_saveexec_b32 s16, s0
	s_cbranch_execnz .LBB245_121
	s_branch .LBB245_122
.LBB245_501:
	s_mov_b32 s0, -1
	s_mov_b32 s18, exec_lo
	v_cmpx_eq_u16_e32 0x80, v10
; %bb.502:
	s_xor_b32 s0, exec_lo, -1
; %bb.503:
	s_or_b32 exec_lo, exec_lo, s18
	s_delay_alu instid0(SALU_CYCLE_1)
	s_and_b32 s0, s0, exec_lo
                                        ; implicit-def: $vgpr10
	s_or_saveexec_b32 s17, s17
	v_mov_b32_e32 v11, 0x7f800001
	s_xor_b32 exec_lo, exec_lo, s17
	s_cbranch_execz .LBB245_136
.LBB245_504:
	v_cmp_ne_u16_e32 vcc_lo, 0, v10
	v_mov_b32_e32 v11, 0
	s_and_not1_b32 s0, s0, exec_lo
	s_and_b32 s18, vcc_lo, exec_lo
	s_delay_alu instid0(SALU_CYCLE_1)
	s_or_b32 s0, s0, s18
	s_or_b32 exec_lo, exec_lo, s17
	s_and_saveexec_b32 s17, s0
	s_cbranch_execnz .LBB245_137
	s_branch .LBB245_138
.LBB245_505:
	s_mov_b32 s0, -1
	s_mov_b32 s18, exec_lo
	v_cmpx_eq_u16_e32 0x80, v10
; %bb.506:
	s_xor_b32 s0, exec_lo, -1
; %bb.507:
	s_or_b32 exec_lo, exec_lo, s18
	s_delay_alu instid0(SALU_CYCLE_1)
	s_and_b32 s0, s0, exec_lo
                                        ; implicit-def: $vgpr10
	s_or_saveexec_b32 s17, s17
	v_mov_b32_e32 v8, 0x7f800001
	s_xor_b32 exec_lo, exec_lo, s17
	s_cbranch_execz .LBB245_140
.LBB245_508:
	v_cmp_ne_u16_e32 vcc_lo, 0, v10
	v_mov_b32_e32 v8, 0
	s_and_not1_b32 s0, s0, exec_lo
	s_and_b32 s18, vcc_lo, exec_lo
	s_delay_alu instid0(SALU_CYCLE_1)
	s_or_b32 s0, s0, s18
	s_or_b32 exec_lo, exec_lo, s17
	s_and_saveexec_b32 s17, s0
	s_cbranch_execnz .LBB245_141
	s_branch .LBB245_142
.LBB245_509:
	s_mov_b32 s0, -1
	s_mov_b32 s19, exec_lo
	v_cmpx_eq_u16_e32 0x80, v8
; %bb.510:
	s_xor_b32 s0, exec_lo, -1
; %bb.511:
	s_or_b32 exec_lo, exec_lo, s19
	s_delay_alu instid0(SALU_CYCLE_1)
	s_and_b32 s0, s0, exec_lo
	s_or_saveexec_b32 s18, s18
	v_mov_b32_e32 v10, 0x7f800001
	s_xor_b32 exec_lo, exec_lo, s18
	s_cbranch_execz .LBB245_166
.LBB245_512:
	v_cmp_ne_u16_e32 vcc_lo, 0, v8
	v_mov_b32_e32 v10, 0
	s_and_not1_b32 s0, s0, exec_lo
	s_and_b32 s19, vcc_lo, exec_lo
	s_delay_alu instid0(SALU_CYCLE_1)
	s_or_b32 s0, s0, s19
	s_or_b32 exec_lo, exec_lo, s18
	s_and_saveexec_b32 s18, s0
	s_cbranch_execnz .LBB245_167
	s_branch .LBB245_168
.LBB245_513:
	s_mov_b32 s0, -1
	s_mov_b32 s19, exec_lo
	v_cmpx_eq_u16_e32 0x80, v6
; %bb.514:
	s_xor_b32 s0, exec_lo, -1
; %bb.515:
	s_or_b32 exec_lo, exec_lo, s19
	s_delay_alu instid0(SALU_CYCLE_1)
	s_and_b32 s0, s0, exec_lo
	s_or_saveexec_b32 s18, s18
	v_mov_b32_e32 v8, 0x7f800001
	s_xor_b32 exec_lo, exec_lo, s18
	s_cbranch_execz .LBB245_170
.LBB245_516:
	v_cmp_ne_u16_e32 vcc_lo, 0, v6
	v_mov_b32_e32 v8, 0
	s_and_not1_b32 s0, s0, exec_lo
	s_and_b32 s19, vcc_lo, exec_lo
	s_delay_alu instid0(SALU_CYCLE_1)
	s_or_b32 s0, s0, s19
	s_or_b32 exec_lo, exec_lo, s18
	s_and_saveexec_b32 s18, s0
	s_cbranch_execnz .LBB245_171
	s_branch .LBB245_172
.LBB245_517:
	s_mov_b32 s0, -1
	s_mov_b32 s20, exec_lo
	v_cmpx_eq_u16_e32 0x80, v6
; %bb.518:
	s_xor_b32 s0, exec_lo, -1
; %bb.519:
	s_or_b32 exec_lo, exec_lo, s20
	s_delay_alu instid0(SALU_CYCLE_1)
	s_and_b32 s0, s0, exec_lo
                                        ; implicit-def: $vgpr6
	s_or_saveexec_b32 s19, s19
	v_mov_b32_e32 v7, 0x7f800001
	s_xor_b32 exec_lo, exec_lo, s19
	s_cbranch_execz .LBB245_176
.LBB245_520:
	v_cmp_ne_u16_e32 vcc_lo, 0, v6
	v_mov_b32_e32 v7, 0
	s_and_not1_b32 s0, s0, exec_lo
	s_and_b32 s20, vcc_lo, exec_lo
	s_delay_alu instid0(SALU_CYCLE_1)
	s_or_b32 s0, s0, s20
	s_or_b32 exec_lo, exec_lo, s19
	s_and_saveexec_b32 s19, s0
	s_cbranch_execnz .LBB245_177
	s_branch .LBB245_178
.LBB245_521:
	s_mov_b32 s0, -1
	s_mov_b32 s20, exec_lo
	v_cmpx_eq_u16_e32 0x80, v8
; %bb.522:
	s_xor_b32 s0, exec_lo, -1
; %bb.523:
	s_or_b32 exec_lo, exec_lo, s20
	s_delay_alu instid0(SALU_CYCLE_1)
	s_and_b32 s0, s0, exec_lo
                                        ; implicit-def: $vgpr8
	s_or_saveexec_b32 s19, s19
	v_mov_b32_e32 v6, 0x7f800001
	s_xor_b32 exec_lo, exec_lo, s19
	s_cbranch_execz .LBB245_180
.LBB245_524:
	v_cmp_ne_u16_e32 vcc_lo, 0, v8
	v_mov_b32_e32 v6, 0
	s_and_not1_b32 s0, s0, exec_lo
	s_and_b32 s20, vcc_lo, exec_lo
	s_delay_alu instid0(SALU_CYCLE_1)
	s_or_b32 s0, s0, s20
	s_or_b32 exec_lo, exec_lo, s19
	s_and_saveexec_b32 s19, s0
	s_cbranch_execnz .LBB245_181
	s_branch .LBB245_182
.LBB245_525:
	s_mov_b32 s0, -1
	s_mov_b32 s21, exec_lo
	v_cmpx_eq_u16_e32 0x80, v8
; %bb.526:
	s_xor_b32 s0, exec_lo, -1
; %bb.527:
	s_or_b32 exec_lo, exec_lo, s21
	s_delay_alu instid0(SALU_CYCLE_1)
	s_and_b32 s0, s0, exec_lo
                                        ; implicit-def: $vgpr8
	s_or_saveexec_b32 s20, s20
	v_mov_b32_e32 v9, 0x7f800001
	s_xor_b32 exec_lo, exec_lo, s20
	s_cbranch_execz .LBB245_196
.LBB245_528:
	v_cmp_ne_u16_e32 vcc_lo, 0, v8
	v_mov_b32_e32 v9, 0
	s_and_not1_b32 s0, s0, exec_lo
	s_and_b32 s21, vcc_lo, exec_lo
	s_delay_alu instid0(SALU_CYCLE_1)
	s_or_b32 s0, s0, s21
	s_or_b32 exec_lo, exec_lo, s20
	s_and_saveexec_b32 s20, s0
	s_cbranch_execnz .LBB245_197
	s_branch .LBB245_198
.LBB245_529:
	s_mov_b32 s0, -1
	s_mov_b32 s21, exec_lo
	v_cmpx_eq_u16_e32 0x80, v8
; %bb.530:
	s_xor_b32 s0, exec_lo, -1
; %bb.531:
	s_or_b32 exec_lo, exec_lo, s21
	s_delay_alu instid0(SALU_CYCLE_1)
	s_and_b32 s0, s0, exec_lo
                                        ; implicit-def: $vgpr8
	s_or_saveexec_b32 s20, s20
	v_mov_b32_e32 v7, 0x7f800001
	s_xor_b32 exec_lo, exec_lo, s20
	s_cbranch_execz .LBB245_200
.LBB245_532:
	v_cmp_ne_u16_e32 vcc_lo, 0, v8
	v_mov_b32_e32 v7, 0
	s_and_not1_b32 s0, s0, exec_lo
	s_and_b32 s21, vcc_lo, exec_lo
	s_delay_alu instid0(SALU_CYCLE_1)
	s_or_b32 s0, s0, s21
	s_or_b32 exec_lo, exec_lo, s20
	s_and_saveexec_b32 s20, s0
	s_cbranch_execnz .LBB245_201
	s_branch .LBB245_202
.LBB245_533:
	s_mov_b32 s0, -1
	s_mov_b32 s22, exec_lo
	v_cmpx_eq_u16_e32 0x80, v8
; %bb.534:
	s_xor_b32 s0, exec_lo, -1
; %bb.535:
	s_or_b32 exec_lo, exec_lo, s22
	s_delay_alu instid0(SALU_CYCLE_1)
	s_and_b32 s0, s0, exec_lo
                                        ; implicit-def: $vgpr8
	s_or_saveexec_b32 s21, s21
	v_mov_b32_e32 v9, 0x7f800001
	s_xor_b32 exec_lo, exec_lo, s21
	s_cbranch_execz .LBB245_216
.LBB245_536:
	v_cmp_ne_u16_e32 vcc_lo, 0, v8
	v_mov_b32_e32 v9, 0
	s_and_not1_b32 s0, s0, exec_lo
	s_and_b32 s22, vcc_lo, exec_lo
	s_delay_alu instid0(SALU_CYCLE_1)
	s_or_b32 s0, s0, s22
	s_or_b32 exec_lo, exec_lo, s21
	s_and_saveexec_b32 s21, s0
	s_cbranch_execnz .LBB245_217
	s_branch .LBB245_218
.LBB245_537:
	s_mov_b32 s0, -1
	s_mov_b32 s22, exec_lo
	v_cmpx_eq_u16_e32 0x80, v8
; %bb.538:
	s_xor_b32 s0, exec_lo, -1
; %bb.539:
	s_or_b32 exec_lo, exec_lo, s22
	s_delay_alu instid0(SALU_CYCLE_1)
	s_and_b32 s0, s0, exec_lo
                                        ; implicit-def: $vgpr8
	s_or_saveexec_b32 s21, s21
	v_mov_b32_e32 v7, 0x7f800001
	s_xor_b32 exec_lo, exec_lo, s21
	s_cbranch_execz .LBB245_220
.LBB245_540:
	v_cmp_ne_u16_e32 vcc_lo, 0, v8
	v_mov_b32_e32 v7, 0
	s_and_not1_b32 s0, s0, exec_lo
	s_and_b32 s22, vcc_lo, exec_lo
	s_delay_alu instid0(SALU_CYCLE_1)
	s_or_b32 s0, s0, s22
	s_or_b32 exec_lo, exec_lo, s21
	s_and_saveexec_b32 s21, s0
	s_cbranch_execnz .LBB245_221
	s_branch .LBB245_222
.LBB245_541:
	s_mov_b32 s0, -1
	s_mov_b32 s23, exec_lo
	v_cmpx_eq_u16_e32 0x80, v7
; %bb.542:
	s_xor_b32 s0, exec_lo, -1
; %bb.543:
	s_or_b32 exec_lo, exec_lo, s23
	s_delay_alu instid0(SALU_CYCLE_1)
	s_and_b32 s0, s0, exec_lo
	s_or_saveexec_b32 s22, s22
	v_mov_b32_e32 v8, 0x7f800001
	s_xor_b32 exec_lo, exec_lo, s22
	s_cbranch_execz .LBB245_246
.LBB245_544:
	v_cmp_ne_u16_e32 vcc_lo, 0, v7
	v_mov_b32_e32 v8, 0
	s_and_not1_b32 s0, s0, exec_lo
	s_and_b32 s23, vcc_lo, exec_lo
	s_delay_alu instid0(SALU_CYCLE_1)
	s_or_b32 s0, s0, s23
	s_or_b32 exec_lo, exec_lo, s22
	s_and_saveexec_b32 s22, s0
	s_cbranch_execnz .LBB245_247
	s_branch .LBB245_248
.LBB245_545:
	s_mov_b32 s0, -1
	s_mov_b32 s23, exec_lo
	v_cmpx_eq_u16_e32 0x80, v6
; %bb.546:
	s_xor_b32 s0, exec_lo, -1
; %bb.547:
	s_or_b32 exec_lo, exec_lo, s23
	s_delay_alu instid0(SALU_CYCLE_1)
	s_and_b32 s0, s0, exec_lo
	s_or_saveexec_b32 s22, s22
	v_mov_b32_e32 v4, 0x7f800001
	s_xor_b32 exec_lo, exec_lo, s22
	s_cbranch_execz .LBB245_250
.LBB245_548:
	v_cmp_ne_u16_e32 vcc_lo, 0, v6
	v_mov_b32_e32 v4, 0
	s_and_not1_b32 s0, s0, exec_lo
	s_and_b32 s23, vcc_lo, exec_lo
	s_delay_alu instid0(SALU_CYCLE_1)
	s_or_b32 s0, s0, s23
	s_or_b32 exec_lo, exec_lo, s22
	s_and_saveexec_b32 s22, s0
	s_cbranch_execnz .LBB245_251
	s_branch .LBB245_252
.LBB245_549:
	s_mov_b32 s0, -1
	s_mov_b32 s24, exec_lo
	v_cmpx_eq_u16_e32 0x80, v2
; %bb.550:
	s_xor_b32 s0, exec_lo, -1
; %bb.551:
	s_or_b32 exec_lo, exec_lo, s24
	s_delay_alu instid0(SALU_CYCLE_1)
	s_and_b32 s0, s0, exec_lo
                                        ; implicit-def: $vgpr2
	s_or_saveexec_b32 s23, s23
	v_mov_b32_e32 v4, 0x7f800001
	s_xor_b32 exec_lo, exec_lo, s23
	s_cbranch_execz .LBB245_256
.LBB245_552:
	v_cmp_ne_u16_e32 vcc_lo, 0, v2
	v_mov_b32_e32 v4, 0
	s_and_not1_b32 s0, s0, exec_lo
	s_and_b32 s24, vcc_lo, exec_lo
	s_delay_alu instid0(SALU_CYCLE_1)
	s_or_b32 s0, s0, s24
	s_or_b32 exec_lo, exec_lo, s23
	s_and_saveexec_b32 s23, s0
	s_cbranch_execnz .LBB245_257
	s_branch .LBB245_258
.LBB245_553:
	s_mov_b32 s0, -1
	s_mov_b32 s24, exec_lo
	v_cmpx_eq_u16_e32 0x80, v6
; %bb.554:
	s_xor_b32 s0, exec_lo, -1
; %bb.555:
	s_or_b32 exec_lo, exec_lo, s24
	s_delay_alu instid0(SALU_CYCLE_1)
	s_and_b32 s0, s0, exec_lo
                                        ; implicit-def: $vgpr6
	s_or_saveexec_b32 s23, s23
	v_mov_b32_e32 v2, 0x7f800001
	s_xor_b32 exec_lo, exec_lo, s23
	s_cbranch_execz .LBB245_260
.LBB245_556:
	v_cmp_ne_u16_e32 vcc_lo, 0, v6
	v_mov_b32_e32 v2, 0
	s_and_not1_b32 s0, s0, exec_lo
	s_and_b32 s24, vcc_lo, exec_lo
	s_delay_alu instid0(SALU_CYCLE_1)
	s_or_b32 s0, s0, s24
	s_or_b32 exec_lo, exec_lo, s23
	s_and_saveexec_b32 s23, s0
	s_cbranch_execnz .LBB245_261
	s_branch .LBB245_262
.LBB245_557:
	s_mov_b32 s0, -1
	s_mov_b32 s25, exec_lo
	v_cmpx_eq_u16_e32 0x80, v6
; %bb.558:
	s_xor_b32 s0, exec_lo, -1
; %bb.559:
	s_or_b32 exec_lo, exec_lo, s25
	s_delay_alu instid0(SALU_CYCLE_1)
	s_and_b32 s0, s0, exec_lo
                                        ; implicit-def: $vgpr6
	s_or_saveexec_b32 s24, s24
	v_mov_b32_e32 v7, 0x7f800001
	s_xor_b32 exec_lo, exec_lo, s24
	s_cbranch_execz .LBB245_276
.LBB245_560:
	v_cmp_ne_u16_e32 vcc_lo, 0, v6
	v_mov_b32_e32 v7, 0
	s_and_not1_b32 s0, s0, exec_lo
	s_and_b32 s25, vcc_lo, exec_lo
	s_delay_alu instid0(SALU_CYCLE_1)
	s_or_b32 s0, s0, s25
	s_or_b32 exec_lo, exec_lo, s24
	s_and_saveexec_b32 s24, s0
	s_cbranch_execnz .LBB245_277
	s_branch .LBB245_278
.LBB245_561:
	s_mov_b32 s0, -1
	s_mov_b32 s25, exec_lo
	v_cmpx_eq_u16_e32 0x80, v6
; %bb.562:
	s_xor_b32 s0, exec_lo, -1
; %bb.563:
	s_or_b32 exec_lo, exec_lo, s25
	s_delay_alu instid0(SALU_CYCLE_1)
	s_and_b32 s0, s0, exec_lo
                                        ; implicit-def: $vgpr6
	s_or_saveexec_b32 s24, s24
	v_mov_b32_e32 v4, 0x7f800001
	s_xor_b32 exec_lo, exec_lo, s24
	s_cbranch_execz .LBB245_280
.LBB245_564:
	v_cmp_ne_u16_e32 vcc_lo, 0, v6
	v_mov_b32_e32 v4, 0
	s_and_not1_b32 s0, s0, exec_lo
	s_and_b32 s25, vcc_lo, exec_lo
	s_delay_alu instid0(SALU_CYCLE_1)
	s_or_b32 s0, s0, s25
	s_or_b32 exec_lo, exec_lo, s24
	s_and_saveexec_b32 s24, s0
	s_cbranch_execnz .LBB245_281
	s_branch .LBB245_282
.LBB245_565:
	s_mov_b32 s0, -1
	s_mov_b32 s26, exec_lo
	v_cmpx_eq_u16_e32 0x80, v6
; %bb.566:
	s_xor_b32 s0, exec_lo, -1
; %bb.567:
	s_or_b32 exec_lo, exec_lo, s26
	s_delay_alu instid0(SALU_CYCLE_1)
	s_and_b32 s0, s0, exec_lo
                                        ; implicit-def: $vgpr6
	s_or_saveexec_b32 s25, s25
	v_mov_b32_e32 v7, 0x7f800001
	s_xor_b32 exec_lo, exec_lo, s25
	s_cbranch_execz .LBB245_296
.LBB245_568:
	v_cmp_ne_u16_e32 vcc_lo, 0, v6
	v_mov_b32_e32 v7, 0
	s_and_not1_b32 s0, s0, exec_lo
	s_and_b32 s26, vcc_lo, exec_lo
	s_delay_alu instid0(SALU_CYCLE_1)
	s_or_b32 s0, s0, s26
	s_or_b32 exec_lo, exec_lo, s25
	s_and_saveexec_b32 s25, s0
	s_cbranch_execnz .LBB245_297
	s_branch .LBB245_298
.LBB245_569:
	s_mov_b32 s0, -1
	s_mov_b32 s26, exec_lo
	v_cmpx_eq_u16_e32 0x80, v6
; %bb.570:
	s_xor_b32 s0, exec_lo, -1
; %bb.571:
	s_or_b32 exec_lo, exec_lo, s26
	s_delay_alu instid0(SALU_CYCLE_1)
	s_and_b32 s0, s0, exec_lo
                                        ; implicit-def: $vgpr6
	s_or_saveexec_b32 s25, s25
	v_mov_b32_e32 v4, 0x7f800001
	s_xor_b32 exec_lo, exec_lo, s25
	s_cbranch_execz .LBB245_300
.LBB245_572:
	v_cmp_ne_u16_e32 vcc_lo, 0, v6
	v_mov_b32_e32 v4, 0
	s_and_not1_b32 s0, s0, exec_lo
	s_and_b32 s26, vcc_lo, exec_lo
	s_delay_alu instid0(SALU_CYCLE_1)
	s_or_b32 s0, s0, s26
	s_or_b32 exec_lo, exec_lo, s25
	s_and_saveexec_b32 s25, s0
	s_cbranch_execnz .LBB245_301
	s_branch .LBB245_302
.LBB245_573:
	s_mov_b32 s0, -1
	s_mov_b32 s27, exec_lo
	v_cmpx_eq_u16_e32 0x80, v2
; %bb.574:
	s_xor_b32 s0, exec_lo, -1
; %bb.575:
	s_or_b32 exec_lo, exec_lo, s27
	s_delay_alu instid0(SALU_CYCLE_1)
	s_and_b32 s0, s0, exec_lo
	s_or_saveexec_b32 s26, s26
	v_mov_b32_e32 v4, 0x7f800001
	s_xor_b32 exec_lo, exec_lo, s26
	s_cbranch_execz .LBB245_316
.LBB245_576:
	v_cmp_ne_u16_e32 vcc_lo, 0, v2
	v_mov_b32_e32 v4, 0
	s_and_not1_b32 s0, s0, exec_lo
	s_and_b32 s27, vcc_lo, exec_lo
	s_delay_alu instid0(SALU_CYCLE_1)
	s_or_b32 s0, s0, s27
	s_or_b32 exec_lo, exec_lo, s26
	s_and_saveexec_b32 s26, s0
	s_cbranch_execnz .LBB245_317
	s_branch .LBB245_318
.LBB245_577:
	s_mov_b32 s0, -1
	s_mov_b32 s27, exec_lo
	v_cmpx_eq_u16_e32 0x80, v1
; %bb.578:
	s_xor_b32 s0, exec_lo, -1
; %bb.579:
	s_or_b32 exec_lo, exec_lo, s27
	s_delay_alu instid0(SALU_CYCLE_1)
	s_and_b32 s0, s0, exec_lo
	s_or_saveexec_b32 s26, s26
	v_mov_b32_e32 v2, 0x7f800001
	s_xor_b32 exec_lo, exec_lo, s26
	s_cbranch_execz .LBB245_320
.LBB245_580:
	v_cmp_ne_u16_e32 vcc_lo, 0, v1
	v_mov_b32_e32 v2, 0
	s_and_not1_b32 s0, s0, exec_lo
	s_and_b32 s27, vcc_lo, exec_lo
	s_delay_alu instid0(SALU_CYCLE_1)
	s_or_b32 s0, s0, s27
	s_or_b32 exec_lo, exec_lo, s26
	s_and_saveexec_b32 s26, s0
	s_cbranch_execnz .LBB245_321
	s_branch .LBB245_322
	.section	.rodata,"a",@progbits
	.p2align	6, 0x0
	.amdhsa_kernel _ZN2at6native29vectorized_elementwise_kernelILi8ENS0_13BinaryFunctorIN3c1015Float8_e5m2fnuzES4_bNS0_12_GLOBAL__N_116CompareEqFunctorIS4_EEEESt5arrayIPcLm3EEEEviT0_T1_
		.amdhsa_group_segment_fixed_size 0
		.amdhsa_private_segment_fixed_size 0
		.amdhsa_kernarg_size 32
		.amdhsa_user_sgpr_count 2
		.amdhsa_user_sgpr_dispatch_ptr 0
		.amdhsa_user_sgpr_queue_ptr 0
		.amdhsa_user_sgpr_kernarg_segment_ptr 1
		.amdhsa_user_sgpr_dispatch_id 0
		.amdhsa_user_sgpr_kernarg_preload_length 0
		.amdhsa_user_sgpr_kernarg_preload_offset 0
		.amdhsa_user_sgpr_private_segment_size 0
		.amdhsa_wavefront_size32 1
		.amdhsa_uses_dynamic_stack 0
		.amdhsa_enable_private_segment 0
		.amdhsa_system_sgpr_workgroup_id_x 1
		.amdhsa_system_sgpr_workgroup_id_y 0
		.amdhsa_system_sgpr_workgroup_id_z 0
		.amdhsa_system_sgpr_workgroup_info 0
		.amdhsa_system_vgpr_workitem_id 0
		.amdhsa_next_free_vgpr 67
		.amdhsa_next_free_sgpr 33
		.amdhsa_named_barrier_count 0
		.amdhsa_reserve_vcc 1
		.amdhsa_float_round_mode_32 0
		.amdhsa_float_round_mode_16_64 0
		.amdhsa_float_denorm_mode_32 3
		.amdhsa_float_denorm_mode_16_64 3
		.amdhsa_fp16_overflow 0
		.amdhsa_memory_ordered 1
		.amdhsa_forward_progress 1
		.amdhsa_inst_pref_size 151
		.amdhsa_round_robin_scheduling 0
		.amdhsa_exception_fp_ieee_invalid_op 0
		.amdhsa_exception_fp_denorm_src 0
		.amdhsa_exception_fp_ieee_div_zero 0
		.amdhsa_exception_fp_ieee_overflow 0
		.amdhsa_exception_fp_ieee_underflow 0
		.amdhsa_exception_fp_ieee_inexact 0
		.amdhsa_exception_int_div_zero 0
	.end_amdhsa_kernel
	.section	.text._ZN2at6native29vectorized_elementwise_kernelILi8ENS0_13BinaryFunctorIN3c1015Float8_e5m2fnuzES4_bNS0_12_GLOBAL__N_116CompareEqFunctorIS4_EEEESt5arrayIPcLm3EEEEviT0_T1_,"axG",@progbits,_ZN2at6native29vectorized_elementwise_kernelILi8ENS0_13BinaryFunctorIN3c1015Float8_e5m2fnuzES4_bNS0_12_GLOBAL__N_116CompareEqFunctorIS4_EEEESt5arrayIPcLm3EEEEviT0_T1_,comdat
.Lfunc_end245:
	.size	_ZN2at6native29vectorized_elementwise_kernelILi8ENS0_13BinaryFunctorIN3c1015Float8_e5m2fnuzES4_bNS0_12_GLOBAL__N_116CompareEqFunctorIS4_EEEESt5arrayIPcLm3EEEEviT0_T1_, .Lfunc_end245-_ZN2at6native29vectorized_elementwise_kernelILi8ENS0_13BinaryFunctorIN3c1015Float8_e5m2fnuzES4_bNS0_12_GLOBAL__N_116CompareEqFunctorIS4_EEEESt5arrayIPcLm3EEEEviT0_T1_
                                        ; -- End function
	.set _ZN2at6native29vectorized_elementwise_kernelILi8ENS0_13BinaryFunctorIN3c1015Float8_e5m2fnuzES4_bNS0_12_GLOBAL__N_116CompareEqFunctorIS4_EEEESt5arrayIPcLm3EEEEviT0_T1_.num_vgpr, max(32, .L_ZN2at6native25elementwise_kernel_helperILb0ENS0_13BinaryFunctorIN3c1015Float8_e5m2fnuzES4_bNS0_12_GLOBAL__N_116CompareEqFunctorIS4_EEEENS0_6memory8policies11unroll_baseILi256ESt5arrayIPcLm3EE23TrivialOffsetCalculatorILi2EjESF_ILi1EjENS9_15LoadWithoutCastENS9_16StoreWithoutCastELi16ELi1EEEEEvT0_T1_.num_vgpr)
	.set _ZN2at6native29vectorized_elementwise_kernelILi8ENS0_13BinaryFunctorIN3c1015Float8_e5m2fnuzES4_bNS0_12_GLOBAL__N_116CompareEqFunctorIS4_EEEESt5arrayIPcLm3EEEEviT0_T1_.num_agpr, max(0, .L_ZN2at6native25elementwise_kernel_helperILb0ENS0_13BinaryFunctorIN3c1015Float8_e5m2fnuzES4_bNS0_12_GLOBAL__N_116CompareEqFunctorIS4_EEEENS0_6memory8policies11unroll_baseILi256ESt5arrayIPcLm3EE23TrivialOffsetCalculatorILi2EjESF_ILi1EjENS9_15LoadWithoutCastENS9_16StoreWithoutCastELi16ELi1EEEEEvT0_T1_.num_agpr)
	.set _ZN2at6native29vectorized_elementwise_kernelILi8ENS0_13BinaryFunctorIN3c1015Float8_e5m2fnuzES4_bNS0_12_GLOBAL__N_116CompareEqFunctorIS4_EEEESt5arrayIPcLm3EEEEviT0_T1_.numbered_sgpr, max(33, .L_ZN2at6native25elementwise_kernel_helperILb0ENS0_13BinaryFunctorIN3c1015Float8_e5m2fnuzES4_bNS0_12_GLOBAL__N_116CompareEqFunctorIS4_EEEENS0_6memory8policies11unroll_baseILi256ESt5arrayIPcLm3EE23TrivialOffsetCalculatorILi2EjESF_ILi1EjENS9_15LoadWithoutCastENS9_16StoreWithoutCastELi16ELi1EEEEEvT0_T1_.numbered_sgpr)
	.set _ZN2at6native29vectorized_elementwise_kernelILi8ENS0_13BinaryFunctorIN3c1015Float8_e5m2fnuzES4_bNS0_12_GLOBAL__N_116CompareEqFunctorIS4_EEEESt5arrayIPcLm3EEEEviT0_T1_.num_named_barrier, max(0, .L_ZN2at6native25elementwise_kernel_helperILb0ENS0_13BinaryFunctorIN3c1015Float8_e5m2fnuzES4_bNS0_12_GLOBAL__N_116CompareEqFunctorIS4_EEEENS0_6memory8policies11unroll_baseILi256ESt5arrayIPcLm3EE23TrivialOffsetCalculatorILi2EjESF_ILi1EjENS9_15LoadWithoutCastENS9_16StoreWithoutCastELi16ELi1EEEEEvT0_T1_.num_named_barrier)
	.set _ZN2at6native29vectorized_elementwise_kernelILi8ENS0_13BinaryFunctorIN3c1015Float8_e5m2fnuzES4_bNS0_12_GLOBAL__N_116CompareEqFunctorIS4_EEEESt5arrayIPcLm3EEEEviT0_T1_.private_seg_size, 0+max(.L_ZN2at6native25elementwise_kernel_helperILb0ENS0_13BinaryFunctorIN3c1015Float8_e5m2fnuzES4_bNS0_12_GLOBAL__N_116CompareEqFunctorIS4_EEEENS0_6memory8policies11unroll_baseILi256ESt5arrayIPcLm3EE23TrivialOffsetCalculatorILi2EjESF_ILi1EjENS9_15LoadWithoutCastENS9_16StoreWithoutCastELi16ELi1EEEEEvT0_T1_.private_seg_size)
	.set _ZN2at6native29vectorized_elementwise_kernelILi8ENS0_13BinaryFunctorIN3c1015Float8_e5m2fnuzES4_bNS0_12_GLOBAL__N_116CompareEqFunctorIS4_EEEESt5arrayIPcLm3EEEEviT0_T1_.uses_vcc, or(1, .L_ZN2at6native25elementwise_kernel_helperILb0ENS0_13BinaryFunctorIN3c1015Float8_e5m2fnuzES4_bNS0_12_GLOBAL__N_116CompareEqFunctorIS4_EEEENS0_6memory8policies11unroll_baseILi256ESt5arrayIPcLm3EE23TrivialOffsetCalculatorILi2EjESF_ILi1EjENS9_15LoadWithoutCastENS9_16StoreWithoutCastELi16ELi1EEEEEvT0_T1_.uses_vcc)
	.set _ZN2at6native29vectorized_elementwise_kernelILi8ENS0_13BinaryFunctorIN3c1015Float8_e5m2fnuzES4_bNS0_12_GLOBAL__N_116CompareEqFunctorIS4_EEEESt5arrayIPcLm3EEEEviT0_T1_.uses_flat_scratch, or(0, .L_ZN2at6native25elementwise_kernel_helperILb0ENS0_13BinaryFunctorIN3c1015Float8_e5m2fnuzES4_bNS0_12_GLOBAL__N_116CompareEqFunctorIS4_EEEENS0_6memory8policies11unroll_baseILi256ESt5arrayIPcLm3EE23TrivialOffsetCalculatorILi2EjESF_ILi1EjENS9_15LoadWithoutCastENS9_16StoreWithoutCastELi16ELi1EEEEEvT0_T1_.uses_flat_scratch)
	.set _ZN2at6native29vectorized_elementwise_kernelILi8ENS0_13BinaryFunctorIN3c1015Float8_e5m2fnuzES4_bNS0_12_GLOBAL__N_116CompareEqFunctorIS4_EEEESt5arrayIPcLm3EEEEviT0_T1_.has_dyn_sized_stack, or(0, .L_ZN2at6native25elementwise_kernel_helperILb0ENS0_13BinaryFunctorIN3c1015Float8_e5m2fnuzES4_bNS0_12_GLOBAL__N_116CompareEqFunctorIS4_EEEENS0_6memory8policies11unroll_baseILi256ESt5arrayIPcLm3EE23TrivialOffsetCalculatorILi2EjESF_ILi1EjENS9_15LoadWithoutCastENS9_16StoreWithoutCastELi16ELi1EEEEEvT0_T1_.has_dyn_sized_stack)
	.set _ZN2at6native29vectorized_elementwise_kernelILi8ENS0_13BinaryFunctorIN3c1015Float8_e5m2fnuzES4_bNS0_12_GLOBAL__N_116CompareEqFunctorIS4_EEEESt5arrayIPcLm3EEEEviT0_T1_.has_recursion, or(0, .L_ZN2at6native25elementwise_kernel_helperILb0ENS0_13BinaryFunctorIN3c1015Float8_e5m2fnuzES4_bNS0_12_GLOBAL__N_116CompareEqFunctorIS4_EEEENS0_6memory8policies11unroll_baseILi256ESt5arrayIPcLm3EE23TrivialOffsetCalculatorILi2EjESF_ILi1EjENS9_15LoadWithoutCastENS9_16StoreWithoutCastELi16ELi1EEEEEvT0_T1_.has_recursion)
	.set _ZN2at6native29vectorized_elementwise_kernelILi8ENS0_13BinaryFunctorIN3c1015Float8_e5m2fnuzES4_bNS0_12_GLOBAL__N_116CompareEqFunctorIS4_EEEESt5arrayIPcLm3EEEEviT0_T1_.has_indirect_call, or(0, .L_ZN2at6native25elementwise_kernel_helperILb0ENS0_13BinaryFunctorIN3c1015Float8_e5m2fnuzES4_bNS0_12_GLOBAL__N_116CompareEqFunctorIS4_EEEENS0_6memory8policies11unroll_baseILi256ESt5arrayIPcLm3EE23TrivialOffsetCalculatorILi2EjESF_ILi1EjENS9_15LoadWithoutCastENS9_16StoreWithoutCastELi16ELi1EEEEEvT0_T1_.has_indirect_call)
	.section	.AMDGPU.csdata,"",@progbits
; Kernel info:
; codeLenInByte = 19224
; TotalNumSgprs: 35
; NumVgprs: 67
; ScratchSize: 0
; MemoryBound: 0
; FloatMode: 240
; IeeeMode: 1
; LDSByteSize: 0 bytes/workgroup (compile time only)
; SGPRBlocks: 0
; VGPRBlocks: 4
; NumSGPRsForWavesPerEU: 35
; NumVGPRsForWavesPerEU: 67
; NamedBarCnt: 0
; Occupancy: 12
; WaveLimiterHint : 1
; COMPUTE_PGM_RSRC2:SCRATCH_EN: 0
; COMPUTE_PGM_RSRC2:USER_SGPR: 2
; COMPUTE_PGM_RSRC2:TRAP_HANDLER: 0
; COMPUTE_PGM_RSRC2:TGID_X_EN: 1
; COMPUTE_PGM_RSRC2:TGID_Y_EN: 0
; COMPUTE_PGM_RSRC2:TGID_Z_EN: 0
; COMPUTE_PGM_RSRC2:TIDIG_COMP_CNT: 0
	.section	.text._ZN2at6native29vectorized_elementwise_kernelILi4ENS0_13BinaryFunctorIN3c1015Float8_e5m2fnuzES4_bNS0_12_GLOBAL__N_116CompareEqFunctorIS4_EEEESt5arrayIPcLm3EEEEviT0_T1_,"axG",@progbits,_ZN2at6native29vectorized_elementwise_kernelILi4ENS0_13BinaryFunctorIN3c1015Float8_e5m2fnuzES4_bNS0_12_GLOBAL__N_116CompareEqFunctorIS4_EEEESt5arrayIPcLm3EEEEviT0_T1_,comdat
	.globl	_ZN2at6native29vectorized_elementwise_kernelILi4ENS0_13BinaryFunctorIN3c1015Float8_e5m2fnuzES4_bNS0_12_GLOBAL__N_116CompareEqFunctorIS4_EEEESt5arrayIPcLm3EEEEviT0_T1_ ; -- Begin function _ZN2at6native29vectorized_elementwise_kernelILi4ENS0_13BinaryFunctorIN3c1015Float8_e5m2fnuzES4_bNS0_12_GLOBAL__N_116CompareEqFunctorIS4_EEEESt5arrayIPcLm3EEEEviT0_T1_
	.p2align	8
	.type	_ZN2at6native29vectorized_elementwise_kernelILi4ENS0_13BinaryFunctorIN3c1015Float8_e5m2fnuzES4_bNS0_12_GLOBAL__N_116CompareEqFunctorIS4_EEEESt5arrayIPcLm3EEEEviT0_T1_,@function
_ZN2at6native29vectorized_elementwise_kernelILi4ENS0_13BinaryFunctorIN3c1015Float8_e5m2fnuzES4_bNS0_12_GLOBAL__N_116CompareEqFunctorIS4_EEEESt5arrayIPcLm3EEEEviT0_T1_: ; @_ZN2at6native29vectorized_elementwise_kernelILi4ENS0_13BinaryFunctorIN3c1015Float8_e5m2fnuzES4_bNS0_12_GLOBAL__N_116CompareEqFunctorIS4_EEEESt5arrayIPcLm3EEEEviT0_T1_
; %bb.0:
	s_clause 0x2
	s_load_b64 s[8:9], s[0:1], 0x0
	s_load_b128 s[4:7], s[0:1], 0x8
	s_load_b64 s[2:3], s[0:1], 0x18
	s_wait_xcnt 0x0
	s_bfe_u32 s0, ttmp6, 0x4000c
	s_and_b32 s1, ttmp6, 15
	s_add_co_i32 s0, s0, 1
	s_getreg_b32 s10, hwreg(HW_REG_IB_STS2, 6, 4)
	s_mul_i32 s0, ttmp9, s0
	s_mov_b32 s32, 0
	s_add_co_i32 s1, s1, s0
	s_cmp_eq_u32 s10, 0
	s_cselect_b32 s0, ttmp9, s1
	s_delay_alu instid0(SALU_CYCLE_1) | instskip(SKIP_3) | instid1(SALU_CYCLE_1)
	s_lshl_b32 s10, s0, 12
	s_mov_b32 s0, -1
	s_wait_kmcnt 0x0
	s_sub_co_i32 s1, s8, s10
	s_cmp_gt_i32 s1, 0xfff
	s_cbranch_scc1 .LBB246_3
; %bb.1:
	s_and_b32 vcc_lo, exec_lo, s0
	s_cbranch_vccnz .LBB246_324
.LBB246_2:
	s_sendmsg sendmsg(MSG_DEALLOC_VGPRS)
	s_endpgm
.LBB246_3:
	s_ashr_i32 s11, s10, 31
	s_cmp_lg_u32 s9, 0
	s_add_nc_u64 s[12:13], s[6:7], s[10:11]
	s_add_nc_u64 s[14:15], s[2:3], s[10:11]
	s_clause 0x7
	global_load_b32 v9, v0, s[12:13] scale_offset
	global_load_b32 v7, v0, s[12:13] offset:1024 scale_offset
	global_load_b32 v5, v0, s[12:13] offset:2048 scale_offset
	;; [unrolled: 1-line block ×3, first 2 shown]
	global_load_b32 v8, v0, s[14:15] scale_offset
	global_load_b32 v6, v0, s[14:15] offset:1024 scale_offset
	global_load_b32 v4, v0, s[14:15] offset:2048 scale_offset
	;; [unrolled: 1-line block ×3, first 2 shown]
	s_cselect_b32 s0, -1, 0
	s_delay_alu instid0(SALU_CYCLE_1)
	s_and_b32 vcc_lo, exec_lo, s0
	s_wait_loadcnt 0x7
	v_and_b32_e32 v3, 0xff, v9
	s_cbranch_vccz .LBB246_13
; %bb.4:
	s_mov_b32 s8, 0
	s_wait_xcnt 0x4
	s_mov_b32 s12, exec_lo
	s_wait_xcnt 0x0
	v_cmpx_lt_i16_e32 0x7f, v3
	s_xor_b32 s12, exec_lo, s12
	s_cbranch_execnz .LBB246_325
; %bb.5:
	s_or_saveexec_b32 s12, s12
	v_mov_b32_e32 v10, 0x7f800001
	s_xor_b32 exec_lo, exec_lo, s12
	s_cbranch_execnz .LBB246_328
.LBB246_6:
	s_or_b32 exec_lo, exec_lo, s12
	s_and_saveexec_b32 s12, s8
	s_cbranch_execz .LBB246_8
.LBB246_7:
	v_and_b32_e32 v10, 3, v9
	v_bfe_u32 v13, v9, 2, 5
	s_delay_alu instid0(VALU_DEP_2) | instskip(NEXT) | instid1(VALU_DEP_2)
	v_clz_i32_u32_e32 v11, v10
	v_cmp_eq_u32_e32 vcc_lo, 0, v13
	s_delay_alu instid0(VALU_DEP_2) | instskip(NEXT) | instid1(VALU_DEP_1)
	v_min_u32_e32 v11, 32, v11
	v_subrev_nc_u32_e32 v12, 29, v11
	s_delay_alu instid0(VALU_DEP_1) | instskip(NEXT) | instid1(VALU_DEP_1)
	v_dual_lshlrev_b32 v12, v12, v9 :: v_dual_sub_nc_u32 v11, 30, v11
	v_dual_lshlrev_b32 v14, 24, v9 :: v_dual_bitop2_b32 v12, 3, v12 bitop3:0x40
	s_delay_alu instid0(VALU_DEP_1) | instskip(NEXT) | instid1(VALU_DEP_2)
	v_dual_cndmask_b32 v11, v13, v11 :: v_dual_cndmask_b32 v10, v10, v12
	v_and_b32_e32 v12, 0x80000000, v14
	s_delay_alu instid0(VALU_DEP_2) | instskip(NEXT) | instid1(VALU_DEP_3)
	v_lshl_add_u32 v11, v11, 23, 0x37800000
	v_lshlrev_b32_e32 v10, 21, v10
	s_delay_alu instid0(VALU_DEP_1)
	v_or3_b32 v10, v12, v11, v10
.LBB246_8:
	s_or_b32 exec_lo, exec_lo, s12
	s_wait_loadcnt 0x3
	v_and_b32_e32 v12, 0xff, v8
	s_mov_b32 s8, 0
	s_mov_b32 s12, exec_lo
	s_delay_alu instid0(VALU_DEP_1)
	v_cmpx_lt_i16_e32 0x7f, v12
	s_xor_b32 s12, exec_lo, s12
	s_cbranch_execnz .LBB246_329
; %bb.9:
	s_or_saveexec_b32 s12, s12
	v_mov_b32_e32 v11, 0x7f800001
	s_xor_b32 exec_lo, exec_lo, s12
	s_cbranch_execnz .LBB246_332
.LBB246_10:
	s_or_b32 exec_lo, exec_lo, s12
	s_and_saveexec_b32 s12, s8
	s_cbranch_execz .LBB246_12
.LBB246_11:
	v_and_b32_e32 v11, 3, v8
	v_bfe_u32 v14, v8, 2, 5
	s_delay_alu instid0(VALU_DEP_2) | instskip(NEXT) | instid1(VALU_DEP_2)
	v_clz_i32_u32_e32 v12, v11
	v_cmp_eq_u32_e32 vcc_lo, 0, v14
	s_delay_alu instid0(VALU_DEP_2) | instskip(NEXT) | instid1(VALU_DEP_1)
	v_min_u32_e32 v12, 32, v12
	v_subrev_nc_u32_e32 v13, 29, v12
	s_delay_alu instid0(VALU_DEP_1) | instskip(NEXT) | instid1(VALU_DEP_1)
	v_lshlrev_b32_e32 v13, v13, v8
	v_dual_sub_nc_u32 v12, 30, v12 :: v_dual_bitop2_b32 v13, 3, v13 bitop3:0x40
	s_delay_alu instid0(VALU_DEP_1) | instskip(NEXT) | instid1(VALU_DEP_2)
	v_dual_lshlrev_b32 v15, 24, v8 :: v_dual_cndmask_b32 v11, v11, v13, vcc_lo
	v_cndmask_b32_e32 v12, v14, v12, vcc_lo
	s_delay_alu instid0(VALU_DEP_2) | instskip(NEXT) | instid1(VALU_DEP_3)
	v_and_b32_e32 v13, 0x80000000, v15
	v_lshlrev_b32_e32 v11, 21, v11
	s_delay_alu instid0(VALU_DEP_3) | instskip(NEXT) | instid1(VALU_DEP_1)
	v_lshl_add_u32 v12, v12, 23, 0x37800000
	v_or3_b32 v11, v13, v12, v11
.LBB246_12:
	s_or_b32 exec_lo, exec_lo, s12
	s_delay_alu instid0(VALU_DEP_1)
	v_cmp_neq_f32_e64 s8, v10, v11
	s_branch .LBB246_23
.LBB246_13:
	s_wait_xcnt 0x4
                                        ; implicit-def: $sgpr8
	s_cbranch_execz .LBB246_23
; %bb.14:
	s_mov_b32 s8, 0
	s_mov_b32 s12, exec_lo
	s_wait_xcnt 0x0
	v_cmpx_lt_i16_e32 0x7f, v3
	s_xor_b32 s12, exec_lo, s12
	s_cbranch_execnz .LBB246_453
; %bb.15:
	s_or_saveexec_b32 s12, s12
	v_mov_b32_e32 v10, 0x7f800001
	s_xor_b32 exec_lo, exec_lo, s12
	s_cbranch_execnz .LBB246_456
.LBB246_16:
	s_or_b32 exec_lo, exec_lo, s12
	s_and_saveexec_b32 s12, s8
	s_cbranch_execz .LBB246_18
.LBB246_17:
	v_and_b32_e32 v3, 3, v9
	v_bfe_u32 v12, v9, 2, 5
	s_delay_alu instid0(VALU_DEP_2) | instskip(NEXT) | instid1(VALU_DEP_2)
	v_clz_i32_u32_e32 v10, v3
	v_cmp_eq_u32_e32 vcc_lo, 0, v12
	s_delay_alu instid0(VALU_DEP_2) | instskip(NEXT) | instid1(VALU_DEP_1)
	v_min_u32_e32 v10, 32, v10
	v_subrev_nc_u32_e32 v11, 29, v10
	s_delay_alu instid0(VALU_DEP_1) | instskip(NEXT) | instid1(VALU_DEP_1)
	v_dual_lshlrev_b32 v11, v11, v9 :: v_dual_sub_nc_u32 v10, 30, v10
	v_dual_lshlrev_b32 v13, 24, v9 :: v_dual_bitop2_b32 v11, 3, v11 bitop3:0x40
	s_delay_alu instid0(VALU_DEP_1) | instskip(NEXT) | instid1(VALU_DEP_2)
	v_dual_cndmask_b32 v10, v12, v10 :: v_dual_cndmask_b32 v3, v3, v11
	v_and_b32_e32 v11, 0x80000000, v13
	s_delay_alu instid0(VALU_DEP_2) | instskip(NEXT) | instid1(VALU_DEP_3)
	v_lshl_add_u32 v10, v10, 23, 0x37800000
	v_lshlrev_b32_e32 v3, 21, v3
	s_delay_alu instid0(VALU_DEP_1)
	v_or3_b32 v10, v11, v10, v3
.LBB246_18:
	s_or_b32 exec_lo, exec_lo, s12
	s_wait_loadcnt 0x3
	v_and_b32_e32 v11, 0xff, v8
	s_mov_b32 s8, 0
	s_mov_b32 s12, exec_lo
	s_delay_alu instid0(VALU_DEP_1)
	v_cmpx_lt_i16_e32 0x7f, v11
	s_xor_b32 s12, exec_lo, s12
	s_cbranch_execnz .LBB246_457
; %bb.19:
	s_or_saveexec_b32 s12, s12
	v_mov_b32_e32 v3, 0x7f800001
	s_xor_b32 exec_lo, exec_lo, s12
	s_cbranch_execnz .LBB246_460
.LBB246_20:
	s_or_b32 exec_lo, exec_lo, s12
	s_and_saveexec_b32 s12, s8
	s_cbranch_execz .LBB246_22
.LBB246_21:
	v_and_b32_e32 v3, 3, v8
	v_bfe_u32 v13, v8, 2, 5
	s_delay_alu instid0(VALU_DEP_2) | instskip(NEXT) | instid1(VALU_DEP_2)
	v_clz_i32_u32_e32 v11, v3
	v_cmp_eq_u32_e32 vcc_lo, 0, v13
	s_delay_alu instid0(VALU_DEP_2) | instskip(NEXT) | instid1(VALU_DEP_1)
	v_min_u32_e32 v11, 32, v11
	v_subrev_nc_u32_e32 v12, 29, v11
	s_delay_alu instid0(VALU_DEP_1) | instskip(NEXT) | instid1(VALU_DEP_1)
	v_dual_lshlrev_b32 v12, v12, v8 :: v_dual_sub_nc_u32 v11, 30, v11
	v_and_b32_e32 v12, 3, v12
	s_delay_alu instid0(VALU_DEP_2) | instskip(NEXT) | instid1(VALU_DEP_2)
	v_dual_cndmask_b32 v11, v13, v11 :: v_dual_lshlrev_b32 v14, 24, v8
	v_cndmask_b32_e32 v3, v3, v12, vcc_lo
	s_delay_alu instid0(VALU_DEP_2) | instskip(NEXT) | instid1(VALU_DEP_3)
	v_and_b32_e32 v12, 0x80000000, v14
	v_lshl_add_u32 v11, v11, 23, 0x37800000
	s_delay_alu instid0(VALU_DEP_3) | instskip(NEXT) | instid1(VALU_DEP_1)
	v_lshlrev_b32_e32 v3, 21, v3
	v_or3_b32 v3, v12, v11, v3
.LBB246_22:
	s_or_b32 exec_lo, exec_lo, s12
	s_delay_alu instid0(VALU_DEP_1)
	v_cmp_eq_f32_e64 s8, v10, v3
.LBB246_23:
	s_wait_loadcnt 0x3
	v_dual_lshrrev_b32 v11, 8, v9 :: v_dual_lshrrev_b32 v10, 8, v8
	v_cndmask_b32_e64 v3, 0, 1, s0
	s_and_not1_b32 vcc_lo, exec_lo, s0
	s_delay_alu instid0(VALU_DEP_2)
	v_and_b32_e32 v12, 0xff, v11
	s_cbranch_vccnz .LBB246_33
; %bb.24:
	s_mov_b32 s0, 0
	s_mov_b32 s12, exec_lo
	s_wait_xcnt 0x0
	v_cmpx_lt_i16_e32 0x7f, v12
	s_xor_b32 s12, exec_lo, s12
	s_cbranch_execnz .LBB246_333
; %bb.25:
	s_or_saveexec_b32 s12, s12
	v_mov_b32_e32 v13, 0x7f800001
	s_xor_b32 exec_lo, exec_lo, s12
	s_cbranch_execnz .LBB246_336
.LBB246_26:
	s_or_b32 exec_lo, exec_lo, s12
	s_and_saveexec_b32 s12, s0
	s_cbranch_execz .LBB246_28
.LBB246_27:
	v_bfe_u32 v13, v9, 8, 2
	v_bfe_u32 v16, v9, 10, 5
	s_delay_alu instid0(VALU_DEP_2) | instskip(NEXT) | instid1(VALU_DEP_2)
	v_clz_i32_u32_e32 v14, v13
	v_cmp_eq_u32_e32 vcc_lo, 0, v16
	s_delay_alu instid0(VALU_DEP_2) | instskip(NEXT) | instid1(VALU_DEP_1)
	v_min_u32_e32 v14, 32, v14
	v_subrev_nc_u32_e32 v15, 29, v14
	s_delay_alu instid0(VALU_DEP_1) | instskip(NEXT) | instid1(VALU_DEP_1)
	v_dual_sub_nc_u32 v14, 30, v14 :: v_dual_lshlrev_b32 v15, v15, v11
	v_dual_cndmask_b32 v14, v16, v14, vcc_lo :: v_dual_bitop2_b32 v15, 3, v15 bitop3:0x40
	s_delay_alu instid0(VALU_DEP_1) | instskip(NEXT) | instid1(VALU_DEP_2)
	v_lshl_add_u32 v14, v14, 23, 0x37800000
	v_cndmask_b32_e32 v13, v13, v15, vcc_lo
	s_delay_alu instid0(VALU_DEP_1) | instskip(NEXT) | instid1(VALU_DEP_1)
	v_dual_lshlrev_b32 v17, 24, v11 :: v_dual_lshlrev_b32 v13, 21, v13
	v_and_b32_e32 v15, 0x80000000, v17
	s_delay_alu instid0(VALU_DEP_1)
	v_or3_b32 v13, v15, v14, v13
.LBB246_28:
	s_or_b32 exec_lo, exec_lo, s12
	v_and_b32_e32 v15, 0xff, v10
	s_mov_b32 s0, 0
	s_mov_b32 s12, exec_lo
	s_delay_alu instid0(VALU_DEP_1)
	v_cmpx_lt_i16_e32 0x7f, v15
	s_xor_b32 s12, exec_lo, s12
	s_cbranch_execnz .LBB246_337
; %bb.29:
	s_or_saveexec_b32 s12, s12
	v_mov_b32_e32 v14, 0x7f800001
	s_xor_b32 exec_lo, exec_lo, s12
	s_cbranch_execnz .LBB246_340
.LBB246_30:
	s_or_b32 exec_lo, exec_lo, s12
	s_and_saveexec_b32 s12, s0
	s_cbranch_execz .LBB246_32
.LBB246_31:
	v_bfe_u32 v14, v8, 8, 2
	v_bfe_u32 v17, v8, 10, 5
	v_lshlrev_b32_e32 v18, 24, v10
	s_delay_alu instid0(VALU_DEP_3) | instskip(NEXT) | instid1(VALU_DEP_3)
	v_clz_i32_u32_e32 v15, v14
	v_cmp_eq_u32_e32 vcc_lo, 0, v17
	s_delay_alu instid0(VALU_DEP_2) | instskip(NEXT) | instid1(VALU_DEP_1)
	v_min_u32_e32 v15, 32, v15
	v_subrev_nc_u32_e32 v16, 29, v15
	s_delay_alu instid0(VALU_DEP_1) | instskip(NEXT) | instid1(VALU_DEP_1)
	v_dual_sub_nc_u32 v15, 30, v15 :: v_dual_lshlrev_b32 v16, v16, v10
	v_dual_cndmask_b32 v15, v17, v15, vcc_lo :: v_dual_bitop2_b32 v16, 3, v16 bitop3:0x40
	s_delay_alu instid0(VALU_DEP_1) | instskip(SKIP_1) | instid1(VALU_DEP_3)
	v_cndmask_b32_e32 v14, v14, v16, vcc_lo
	v_and_b32_e32 v16, 0x80000000, v18
	v_lshl_add_u32 v15, v15, 23, 0x37800000
	s_delay_alu instid0(VALU_DEP_3) | instskip(NEXT) | instid1(VALU_DEP_1)
	v_lshlrev_b32_e32 v14, 21, v14
	v_or3_b32 v14, v16, v15, v14
.LBB246_32:
	s_or_b32 exec_lo, exec_lo, s12
	s_delay_alu instid0(VALU_DEP_1)
	v_cmp_neq_f32_e64 s12, v13, v14
	s_branch .LBB246_43
.LBB246_33:
                                        ; implicit-def: $sgpr12
	s_cbranch_execz .LBB246_43
; %bb.34:
	s_mov_b32 s0, 0
	s_mov_b32 s12, exec_lo
	s_wait_xcnt 0x0
	v_cmpx_lt_i16_e32 0x7f, v12
	s_xor_b32 s12, exec_lo, s12
	s_cbranch_execnz .LBB246_461
; %bb.35:
	s_or_saveexec_b32 s12, s12
	v_mov_b32_e32 v13, 0x7f800001
	s_xor_b32 exec_lo, exec_lo, s12
	s_cbranch_execnz .LBB246_464
.LBB246_36:
	s_or_b32 exec_lo, exec_lo, s12
	s_and_saveexec_b32 s12, s0
	s_cbranch_execz .LBB246_38
.LBB246_37:
	v_bfe_u32 v12, v9, 8, 2
	v_bfe_u32 v15, v9, 10, 5
	s_delay_alu instid0(VALU_DEP_2) | instskip(NEXT) | instid1(VALU_DEP_2)
	v_clz_i32_u32_e32 v13, v12
	v_cmp_eq_u32_e32 vcc_lo, 0, v15
	s_delay_alu instid0(VALU_DEP_2) | instskip(NEXT) | instid1(VALU_DEP_1)
	v_min_u32_e32 v13, 32, v13
	v_subrev_nc_u32_e32 v14, 29, v13
	s_delay_alu instid0(VALU_DEP_1) | instskip(NEXT) | instid1(VALU_DEP_1)
	v_dual_sub_nc_u32 v13, 30, v13 :: v_dual_lshlrev_b32 v14, v14, v11
	v_dual_lshlrev_b32 v11, 24, v11 :: v_dual_bitop2_b32 v14, 3, v14 bitop3:0x40
	s_delay_alu instid0(VALU_DEP_2) | instskip(NEXT) | instid1(VALU_DEP_2)
	v_cndmask_b32_e32 v13, v15, v13, vcc_lo
	v_and_b32_e32 v11, 0x80000000, v11
	s_delay_alu instid0(VALU_DEP_3) | instskip(NEXT) | instid1(VALU_DEP_3)
	v_cndmask_b32_e32 v12, v12, v14, vcc_lo
	v_lshl_add_u32 v13, v13, 23, 0x37800000
	s_delay_alu instid0(VALU_DEP_2) | instskip(NEXT) | instid1(VALU_DEP_1)
	v_lshlrev_b32_e32 v12, 21, v12
	v_or3_b32 v13, v11, v13, v12
.LBB246_38:
	s_or_b32 exec_lo, exec_lo, s12
	v_and_b32_e32 v12, 0xff, v10
	s_mov_b32 s0, 0
	s_mov_b32 s12, exec_lo
	s_delay_alu instid0(VALU_DEP_1)
	v_cmpx_lt_i16_e32 0x7f, v12
	s_xor_b32 s12, exec_lo, s12
	s_cbranch_execnz .LBB246_465
; %bb.39:
	s_or_saveexec_b32 s12, s12
	v_mov_b32_e32 v11, 0x7f800001
	s_xor_b32 exec_lo, exec_lo, s12
	s_cbranch_execnz .LBB246_468
.LBB246_40:
	s_or_b32 exec_lo, exec_lo, s12
	s_and_saveexec_b32 s12, s0
	s_cbranch_execz .LBB246_42
.LBB246_41:
	v_bfe_u32 v11, v8, 8, 2
	v_bfe_u32 v15, v8, 10, 5
	s_delay_alu instid0(VALU_DEP_2) | instskip(NEXT) | instid1(VALU_DEP_2)
	v_clz_i32_u32_e32 v12, v11
	v_cmp_eq_u32_e32 vcc_lo, 0, v15
	s_delay_alu instid0(VALU_DEP_2) | instskip(NEXT) | instid1(VALU_DEP_1)
	v_min_u32_e32 v12, 32, v12
	v_subrev_nc_u32_e32 v14, 29, v12
	s_delay_alu instid0(VALU_DEP_1) | instskip(NEXT) | instid1(VALU_DEP_1)
	v_dual_sub_nc_u32 v12, 30, v12 :: v_dual_lshlrev_b32 v14, v14, v10
	v_dual_cndmask_b32 v12, v15, v12, vcc_lo :: v_dual_bitop2_b32 v14, 3, v14 bitop3:0x40
	s_delay_alu instid0(VALU_DEP_1) | instskip(NEXT) | instid1(VALU_DEP_2)
	v_lshl_add_u32 v12, v12, 23, 0x37800000
	v_cndmask_b32_e32 v11, v11, v14, vcc_lo
	s_delay_alu instid0(VALU_DEP_1) | instskip(NEXT) | instid1(VALU_DEP_1)
	v_dual_lshlrev_b32 v10, 24, v10 :: v_dual_lshlrev_b32 v11, 21, v11
	v_and_b32_e32 v10, 0x80000000, v10
	s_delay_alu instid0(VALU_DEP_1)
	v_or3_b32 v11, v10, v12, v11
.LBB246_42:
	s_or_b32 exec_lo, exec_lo, s12
	s_delay_alu instid0(VALU_DEP_1)
	v_cmp_eq_f32_e64 s12, v13, v11
.LBB246_43:
	v_dual_lshrrev_b32 v11, 16, v9 :: v_dual_lshrrev_b32 v10, 16, v8
	v_cmp_ne_u32_e32 vcc_lo, 1, v3
	s_delay_alu instid0(VALU_DEP_2)
	v_and_b32_e32 v12, 0xff, v11
	s_cbranch_vccnz .LBB246_53
; %bb.44:
	s_mov_b32 s0, 0
	s_mov_b32 s13, exec_lo
	s_wait_xcnt 0x0
	v_cmpx_lt_i16_e32 0x7f, v12
	s_xor_b32 s13, exec_lo, s13
	s_cbranch_execnz .LBB246_341
; %bb.45:
	s_or_saveexec_b32 s13, s13
	v_mov_b32_e32 v13, 0x7f800001
	s_xor_b32 exec_lo, exec_lo, s13
	s_cbranch_execnz .LBB246_344
.LBB246_46:
	s_or_b32 exec_lo, exec_lo, s13
	s_and_saveexec_b32 s13, s0
	s_cbranch_execz .LBB246_48
.LBB246_47:
	v_bfe_u32 v13, v9, 16, 2
	v_bfe_u32 v16, v9, 18, 5
	s_delay_alu instid0(VALU_DEP_2) | instskip(NEXT) | instid1(VALU_DEP_2)
	v_clz_i32_u32_e32 v14, v13
	v_cmp_eq_u32_e32 vcc_lo, 0, v16
	s_delay_alu instid0(VALU_DEP_2) | instskip(NEXT) | instid1(VALU_DEP_1)
	v_min_u32_e32 v14, 32, v14
	v_subrev_nc_u32_e32 v15, 29, v14
	s_delay_alu instid0(VALU_DEP_1) | instskip(NEXT) | instid1(VALU_DEP_1)
	v_dual_sub_nc_u32 v14, 30, v14 :: v_dual_lshlrev_b32 v15, v15, v11
	v_dual_cndmask_b32 v14, v16, v14, vcc_lo :: v_dual_bitop2_b32 v15, 3, v15 bitop3:0x40
	s_delay_alu instid0(VALU_DEP_1) | instskip(NEXT) | instid1(VALU_DEP_2)
	v_lshl_add_u32 v14, v14, 23, 0x37800000
	v_cndmask_b32_e32 v13, v13, v15, vcc_lo
	s_delay_alu instid0(VALU_DEP_1) | instskip(NEXT) | instid1(VALU_DEP_1)
	v_dual_lshlrev_b32 v17, 24, v11 :: v_dual_lshlrev_b32 v13, 21, v13
	v_and_b32_e32 v15, 0x80000000, v17
	s_delay_alu instid0(VALU_DEP_1)
	v_or3_b32 v13, v15, v14, v13
.LBB246_48:
	s_or_b32 exec_lo, exec_lo, s13
	v_and_b32_e32 v15, 0xff, v10
	s_mov_b32 s0, 0
	s_mov_b32 s13, exec_lo
	s_delay_alu instid0(VALU_DEP_1)
	v_cmpx_lt_i16_e32 0x7f, v15
	s_xor_b32 s13, exec_lo, s13
	s_cbranch_execnz .LBB246_345
; %bb.49:
	s_or_saveexec_b32 s13, s13
	v_mov_b32_e32 v14, 0x7f800001
	s_xor_b32 exec_lo, exec_lo, s13
	s_cbranch_execnz .LBB246_348
.LBB246_50:
	s_or_b32 exec_lo, exec_lo, s13
	s_and_saveexec_b32 s13, s0
	s_cbranch_execz .LBB246_52
.LBB246_51:
	v_bfe_u32 v14, v8, 16, 2
	v_bfe_u32 v17, v8, 18, 5
	v_lshlrev_b32_e32 v18, 24, v10
	s_delay_alu instid0(VALU_DEP_3) | instskip(NEXT) | instid1(VALU_DEP_3)
	v_clz_i32_u32_e32 v15, v14
	v_cmp_eq_u32_e32 vcc_lo, 0, v17
	s_delay_alu instid0(VALU_DEP_2) | instskip(NEXT) | instid1(VALU_DEP_1)
	v_min_u32_e32 v15, 32, v15
	v_subrev_nc_u32_e32 v16, 29, v15
	s_delay_alu instid0(VALU_DEP_1) | instskip(NEXT) | instid1(VALU_DEP_1)
	v_dual_sub_nc_u32 v15, 30, v15 :: v_dual_lshlrev_b32 v16, v16, v10
	v_dual_cndmask_b32 v15, v17, v15, vcc_lo :: v_dual_bitop2_b32 v16, 3, v16 bitop3:0x40
	s_delay_alu instid0(VALU_DEP_1) | instskip(SKIP_1) | instid1(VALU_DEP_3)
	v_cndmask_b32_e32 v14, v14, v16, vcc_lo
	v_and_b32_e32 v16, 0x80000000, v18
	v_lshl_add_u32 v15, v15, 23, 0x37800000
	s_delay_alu instid0(VALU_DEP_3) | instskip(NEXT) | instid1(VALU_DEP_1)
	v_lshlrev_b32_e32 v14, 21, v14
	v_or3_b32 v14, v16, v15, v14
.LBB246_52:
	s_or_b32 exec_lo, exec_lo, s13
	s_delay_alu instid0(VALU_DEP_1)
	v_cmp_neq_f32_e64 s13, v13, v14
	s_branch .LBB246_63
.LBB246_53:
                                        ; implicit-def: $sgpr13
	s_cbranch_execz .LBB246_63
; %bb.54:
	s_mov_b32 s0, 0
	s_mov_b32 s13, exec_lo
	s_wait_xcnt 0x0
	v_cmpx_lt_i16_e32 0x7f, v12
	s_xor_b32 s13, exec_lo, s13
	s_cbranch_execnz .LBB246_469
; %bb.55:
	s_or_saveexec_b32 s13, s13
	v_mov_b32_e32 v13, 0x7f800001
	s_xor_b32 exec_lo, exec_lo, s13
	s_cbranch_execnz .LBB246_472
.LBB246_56:
	s_or_b32 exec_lo, exec_lo, s13
	s_and_saveexec_b32 s13, s0
	s_cbranch_execz .LBB246_58
.LBB246_57:
	v_bfe_u32 v12, v9, 16, 2
	v_bfe_u32 v15, v9, 18, 5
	s_delay_alu instid0(VALU_DEP_2) | instskip(NEXT) | instid1(VALU_DEP_2)
	v_clz_i32_u32_e32 v13, v12
	v_cmp_eq_u32_e32 vcc_lo, 0, v15
	s_delay_alu instid0(VALU_DEP_2) | instskip(NEXT) | instid1(VALU_DEP_1)
	v_min_u32_e32 v13, 32, v13
	v_subrev_nc_u32_e32 v14, 29, v13
	s_delay_alu instid0(VALU_DEP_1) | instskip(NEXT) | instid1(VALU_DEP_1)
	v_dual_sub_nc_u32 v13, 30, v13 :: v_dual_lshlrev_b32 v14, v14, v11
	v_dual_lshlrev_b32 v11, 24, v11 :: v_dual_bitop2_b32 v14, 3, v14 bitop3:0x40
	s_delay_alu instid0(VALU_DEP_2) | instskip(NEXT) | instid1(VALU_DEP_2)
	v_cndmask_b32_e32 v13, v15, v13, vcc_lo
	v_and_b32_e32 v11, 0x80000000, v11
	s_delay_alu instid0(VALU_DEP_3) | instskip(NEXT) | instid1(VALU_DEP_3)
	v_cndmask_b32_e32 v12, v12, v14, vcc_lo
	v_lshl_add_u32 v13, v13, 23, 0x37800000
	s_delay_alu instid0(VALU_DEP_2) | instskip(NEXT) | instid1(VALU_DEP_1)
	v_lshlrev_b32_e32 v12, 21, v12
	v_or3_b32 v13, v11, v13, v12
.LBB246_58:
	s_or_b32 exec_lo, exec_lo, s13
	v_and_b32_e32 v12, 0xff, v10
	s_mov_b32 s0, 0
	s_mov_b32 s13, exec_lo
	s_delay_alu instid0(VALU_DEP_1)
	v_cmpx_lt_i16_e32 0x7f, v12
	s_xor_b32 s13, exec_lo, s13
	s_cbranch_execnz .LBB246_473
; %bb.59:
	s_or_saveexec_b32 s13, s13
	v_mov_b32_e32 v11, 0x7f800001
	s_xor_b32 exec_lo, exec_lo, s13
	s_cbranch_execnz .LBB246_476
.LBB246_60:
	s_or_b32 exec_lo, exec_lo, s13
	s_and_saveexec_b32 s13, s0
	s_cbranch_execz .LBB246_62
.LBB246_61:
	v_bfe_u32 v11, v8, 16, 2
	v_bfe_u32 v15, v8, 18, 5
	s_delay_alu instid0(VALU_DEP_2) | instskip(NEXT) | instid1(VALU_DEP_2)
	v_clz_i32_u32_e32 v12, v11
	v_cmp_eq_u32_e32 vcc_lo, 0, v15
	s_delay_alu instid0(VALU_DEP_2) | instskip(NEXT) | instid1(VALU_DEP_1)
	v_min_u32_e32 v12, 32, v12
	v_subrev_nc_u32_e32 v14, 29, v12
	s_delay_alu instid0(VALU_DEP_1) | instskip(NEXT) | instid1(VALU_DEP_1)
	v_dual_sub_nc_u32 v12, 30, v12 :: v_dual_lshlrev_b32 v14, v14, v10
	v_dual_cndmask_b32 v12, v15, v12, vcc_lo :: v_dual_bitop2_b32 v14, 3, v14 bitop3:0x40
	s_delay_alu instid0(VALU_DEP_1) | instskip(NEXT) | instid1(VALU_DEP_2)
	v_lshl_add_u32 v12, v12, 23, 0x37800000
	v_cndmask_b32_e32 v11, v11, v14, vcc_lo
	s_delay_alu instid0(VALU_DEP_1) | instskip(NEXT) | instid1(VALU_DEP_1)
	v_dual_lshlrev_b32 v10, 24, v10 :: v_dual_lshlrev_b32 v11, 21, v11
	v_and_b32_e32 v10, 0x80000000, v10
	s_delay_alu instid0(VALU_DEP_1)
	v_or3_b32 v11, v10, v12, v11
.LBB246_62:
	s_or_b32 exec_lo, exec_lo, s13
	s_delay_alu instid0(VALU_DEP_1)
	v_cmp_eq_f32_e64 s13, v13, v11
.LBB246_63:
	v_dual_lshrrev_b32 v11, 24, v9 :: v_dual_lshrrev_b32 v10, 24, v8
	v_cmp_ne_u32_e32 vcc_lo, 1, v3
	s_delay_alu instid0(VALU_DEP_2)
	v_cmp_lt_i16_e64 s0, 0x7f, v11
	s_cbranch_vccnz .LBB246_83
; %bb.64:
	s_wait_xcnt 0x0
	s_mov_b32 s14, 0
	s_and_saveexec_b32 s15, s0
	s_delay_alu instid0(SALU_CYCLE_1)
	s_xor_b32 s0, exec_lo, s15
	s_cbranch_execnz .LBB246_349
; %bb.65:
	s_or_saveexec_b32 s0, s0
	v_mov_b32_e32 v12, 0x7f800001
	s_xor_b32 exec_lo, exec_lo, s0
	s_cbranch_execnz .LBB246_352
.LBB246_66:
	s_or_b32 exec_lo, exec_lo, s0
	s_and_saveexec_b32 s0, s14
	s_cbranch_execz .LBB246_68
.LBB246_67:
	v_bfe_u32 v12, v9, 24, 2
	v_bfe_u32 v15, v9, 26, 5
	s_delay_alu instid0(VALU_DEP_2) | instskip(NEXT) | instid1(VALU_DEP_2)
	v_clz_i32_u32_e32 v13, v12
	v_cmp_eq_u32_e32 vcc_lo, 0, v15
	s_delay_alu instid0(VALU_DEP_2) | instskip(NEXT) | instid1(VALU_DEP_1)
	v_min_u32_e32 v13, 32, v13
	v_subrev_nc_u32_e32 v14, 29, v13
	s_delay_alu instid0(VALU_DEP_1) | instskip(NEXT) | instid1(VALU_DEP_1)
	v_dual_sub_nc_u32 v13, 30, v13 :: v_dual_lshlrev_b32 v14, v14, v11
	v_dual_cndmask_b32 v13, v15, v13, vcc_lo :: v_dual_bitop2_b32 v14, 3, v14 bitop3:0x40
	s_delay_alu instid0(VALU_DEP_1) | instskip(NEXT) | instid1(VALU_DEP_2)
	v_lshl_add_u32 v13, v13, 23, 0x37800000
	v_cndmask_b32_e32 v12, v12, v14, vcc_lo
	v_and_b32_e32 v14, 0x80000000, v9
	s_delay_alu instid0(VALU_DEP_2) | instskip(NEXT) | instid1(VALU_DEP_1)
	v_lshlrev_b32_e32 v12, 21, v12
	v_or3_b32 v12, v14, v13, v12
.LBB246_68:
	s_or_b32 exec_lo, exec_lo, s0
	s_mov_b32 s0, 0
	s_mov_b32 s14, exec_lo
	v_cmpx_lt_i16_e32 0x7f, v10
	s_xor_b32 s14, exec_lo, s14
	s_cbranch_execnz .LBB246_353
; %bb.69:
	s_or_saveexec_b32 s14, s14
	v_mov_b32_e32 v13, 0x7f800001
	s_xor_b32 exec_lo, exec_lo, s14
	s_cbranch_execnz .LBB246_356
.LBB246_70:
	s_or_b32 exec_lo, exec_lo, s14
	s_and_saveexec_b32 s14, s0
	s_cbranch_execz .LBB246_72
.LBB246_71:
	v_bfe_u32 v13, v8, 24, 2
	v_bfe_u32 v16, v8, 26, 5
	s_delay_alu instid0(VALU_DEP_2) | instskip(NEXT) | instid1(VALU_DEP_2)
	v_clz_i32_u32_e32 v14, v13
	v_cmp_eq_u32_e32 vcc_lo, 0, v16
	s_delay_alu instid0(VALU_DEP_2) | instskip(NEXT) | instid1(VALU_DEP_1)
	v_min_u32_e32 v14, 32, v14
	v_subrev_nc_u32_e32 v15, 29, v14
	s_delay_alu instid0(VALU_DEP_1) | instskip(NEXT) | instid1(VALU_DEP_1)
	v_lshlrev_b32_e32 v15, v15, v10
	v_dual_sub_nc_u32 v14, 30, v14 :: v_dual_bitop2_b32 v15, 3, v15 bitop3:0x40
	s_delay_alu instid0(VALU_DEP_1) | instskip(SKIP_1) | instid1(VALU_DEP_2)
	v_dual_cndmask_b32 v14, v16, v14 :: v_dual_cndmask_b32 v13, v13, v15
	v_and_b32_e32 v15, 0x80000000, v8
	v_lshl_add_u32 v14, v14, 23, 0x37800000
	s_delay_alu instid0(VALU_DEP_3) | instskip(NEXT) | instid1(VALU_DEP_1)
	v_lshlrev_b32_e32 v13, 21, v13
	v_or3_b32 v13, v15, v14, v13
.LBB246_72:
	s_or_b32 exec_lo, exec_lo, s14
	s_delay_alu instid0(VALU_DEP_1)
	v_cmp_neq_f32_e64 s14, v12, v13
.LBB246_73:
	v_cmp_ne_u32_e32 vcc_lo, 1, v3
	v_and_b32_e32 v8, 0xff, v7
	s_cbranch_vccnz .LBB246_93
.LBB246_74:
	s_mov_b32 s0, 0
	s_wait_xcnt 0x0
	s_mov_b32 s15, exec_lo
	v_cmpx_lt_i16_e32 0x7f, v8
	s_xor_b32 s15, exec_lo, s15
	s_cbranch_execnz .LBB246_357
; %bb.75:
	s_or_saveexec_b32 s15, s15
	v_mov_b32_e32 v9, 0x7f800001
	s_xor_b32 exec_lo, exec_lo, s15
	s_cbranch_execnz .LBB246_360
.LBB246_76:
	s_or_b32 exec_lo, exec_lo, s15
	s_and_saveexec_b32 s15, s0
	s_cbranch_execz .LBB246_78
.LBB246_77:
	v_and_b32_e32 v9, 3, v7
	v_bfe_u32 v12, v7, 2, 5
	s_delay_alu instid0(VALU_DEP_2) | instskip(NEXT) | instid1(VALU_DEP_2)
	v_clz_i32_u32_e32 v10, v9
	v_cmp_eq_u32_e32 vcc_lo, 0, v12
	s_delay_alu instid0(VALU_DEP_2) | instskip(NEXT) | instid1(VALU_DEP_1)
	v_min_u32_e32 v10, 32, v10
	v_subrev_nc_u32_e32 v11, 29, v10
	s_delay_alu instid0(VALU_DEP_1) | instskip(NEXT) | instid1(VALU_DEP_1)
	v_dual_lshlrev_b32 v11, v11, v7 :: v_dual_sub_nc_u32 v10, 30, v10
	v_and_b32_e32 v11, 3, v11
	s_delay_alu instid0(VALU_DEP_2) | instskip(NEXT) | instid1(VALU_DEP_2)
	v_dual_cndmask_b32 v10, v12, v10 :: v_dual_lshlrev_b32 v13, 24, v7
	v_cndmask_b32_e32 v9, v9, v11, vcc_lo
	s_delay_alu instid0(VALU_DEP_2) | instskip(NEXT) | instid1(VALU_DEP_3)
	v_and_b32_e32 v11, 0x80000000, v13
	v_lshl_add_u32 v10, v10, 23, 0x37800000
	s_delay_alu instid0(VALU_DEP_3) | instskip(NEXT) | instid1(VALU_DEP_1)
	v_lshlrev_b32_e32 v9, 21, v9
	v_or3_b32 v9, v11, v10, v9
.LBB246_78:
	s_or_b32 exec_lo, exec_lo, s15
	s_wait_loadcnt 0x2
	v_and_b32_e32 v11, 0xff, v6
	s_mov_b32 s0, 0
	s_mov_b32 s15, exec_lo
	s_delay_alu instid0(VALU_DEP_1)
	v_cmpx_lt_i16_e32 0x7f, v11
	s_xor_b32 s15, exec_lo, s15
	s_cbranch_execnz .LBB246_361
; %bb.79:
	s_or_saveexec_b32 s15, s15
	v_mov_b32_e32 v10, 0x7f800001
	s_xor_b32 exec_lo, exec_lo, s15
	s_cbranch_execnz .LBB246_364
.LBB246_80:
	s_or_b32 exec_lo, exec_lo, s15
	s_and_saveexec_b32 s15, s0
	s_cbranch_execz .LBB246_82
.LBB246_81:
	v_and_b32_e32 v10, 3, v6
	v_bfe_u32 v13, v6, 2, 5
	s_delay_alu instid0(VALU_DEP_2) | instskip(NEXT) | instid1(VALU_DEP_2)
	v_clz_i32_u32_e32 v11, v10
	v_cmp_eq_u32_e32 vcc_lo, 0, v13
	s_delay_alu instid0(VALU_DEP_2) | instskip(NEXT) | instid1(VALU_DEP_1)
	v_min_u32_e32 v11, 32, v11
	v_subrev_nc_u32_e32 v12, 29, v11
	s_delay_alu instid0(VALU_DEP_1) | instskip(NEXT) | instid1(VALU_DEP_1)
	v_dual_lshlrev_b32 v12, v12, v6 :: v_dual_sub_nc_u32 v11, 30, v11
	v_dual_lshlrev_b32 v14, 24, v6 :: v_dual_bitop2_b32 v12, 3, v12 bitop3:0x40
	s_delay_alu instid0(VALU_DEP_1) | instskip(NEXT) | instid1(VALU_DEP_2)
	v_dual_cndmask_b32 v11, v13, v11 :: v_dual_cndmask_b32 v10, v10, v12
	v_and_b32_e32 v12, 0x80000000, v14
	s_delay_alu instid0(VALU_DEP_2) | instskip(NEXT) | instid1(VALU_DEP_3)
	v_lshl_add_u32 v11, v11, 23, 0x37800000
	v_lshlrev_b32_e32 v10, 21, v10
	s_delay_alu instid0(VALU_DEP_1)
	v_or3_b32 v10, v12, v11, v10
.LBB246_82:
	s_or_b32 exec_lo, exec_lo, s15
	s_delay_alu instid0(VALU_DEP_1)
	v_cmp_neq_f32_e64 s15, v9, v10
	s_branch .LBB246_103
.LBB246_83:
                                        ; implicit-def: $sgpr14
	s_cbranch_execz .LBB246_73
; %bb.84:
	s_mov_b32 s0, 0
	s_wait_xcnt 0x0
	s_mov_b32 s14, exec_lo
	v_cmpx_lt_i16_e32 0x7f, v11
	s_xor_b32 s14, exec_lo, s14
	s_cbranch_execnz .LBB246_477
; %bb.85:
	s_or_saveexec_b32 s14, s14
	v_mov_b32_e32 v12, 0x7f800001
	s_xor_b32 exec_lo, exec_lo, s14
	s_cbranch_execnz .LBB246_480
.LBB246_86:
	s_or_b32 exec_lo, exec_lo, s14
	s_and_saveexec_b32 s14, s0
	s_cbranch_execz .LBB246_88
.LBB246_87:
	v_bfe_u32 v12, v9, 24, 2
	s_delay_alu instid0(VALU_DEP_1) | instskip(NEXT) | instid1(VALU_DEP_1)
	v_clz_i32_u32_e32 v13, v12
	v_min_u32_e32 v13, 32, v13
	s_delay_alu instid0(VALU_DEP_1) | instskip(NEXT) | instid1(VALU_DEP_1)
	v_subrev_nc_u32_e32 v14, 29, v13
	v_dual_sub_nc_u32 v13, 30, v13 :: v_dual_lshlrev_b32 v11, v14, v11
	v_bfe_u32 v14, v9, 26, 5
	v_and_b32_e32 v9, 0x80000000, v9
	s_delay_alu instid0(VALU_DEP_2) | instskip(NEXT) | instid1(VALU_DEP_4)
	v_cmp_eq_u32_e32 vcc_lo, 0, v14
	v_dual_cndmask_b32 v13, v14, v13, vcc_lo :: v_dual_bitop2_b32 v11, 3, v11 bitop3:0x40
	s_delay_alu instid0(VALU_DEP_1) | instskip(NEXT) | instid1(VALU_DEP_2)
	v_cndmask_b32_e32 v11, v12, v11, vcc_lo
	v_lshl_add_u32 v12, v13, 23, 0x37800000
	s_delay_alu instid0(VALU_DEP_2) | instskip(NEXT) | instid1(VALU_DEP_1)
	v_lshlrev_b32_e32 v11, 21, v11
	v_or3_b32 v12, v9, v12, v11
.LBB246_88:
	s_or_b32 exec_lo, exec_lo, s14
	s_mov_b32 s0, 0
	s_mov_b32 s14, exec_lo
	v_cmpx_lt_i16_e32 0x7f, v10
	s_xor_b32 s14, exec_lo, s14
	s_cbranch_execnz .LBB246_481
; %bb.89:
	s_or_saveexec_b32 s14, s14
	v_mov_b32_e32 v9, 0x7f800001
	s_xor_b32 exec_lo, exec_lo, s14
	s_cbranch_execnz .LBB246_484
.LBB246_90:
	s_or_b32 exec_lo, exec_lo, s14
	s_and_saveexec_b32 s14, s0
	s_cbranch_execz .LBB246_92
.LBB246_91:
	v_bfe_u32 v9, v8, 24, 2
	s_delay_alu instid0(VALU_DEP_1) | instskip(NEXT) | instid1(VALU_DEP_1)
	v_clz_i32_u32_e32 v11, v9
	v_min_u32_e32 v11, 32, v11
	s_delay_alu instid0(VALU_DEP_1) | instskip(NEXT) | instid1(VALU_DEP_1)
	v_subrev_nc_u32_e32 v13, 29, v11
	v_dual_sub_nc_u32 v11, 30, v11 :: v_dual_lshlrev_b32 v10, v13, v10
	v_bfe_u32 v13, v8, 26, 5
	v_and_b32_e32 v8, 0x80000000, v8
	s_delay_alu instid0(VALU_DEP_2) | instskip(NEXT) | instid1(VALU_DEP_4)
	v_cmp_eq_u32_e32 vcc_lo, 0, v13
	v_dual_cndmask_b32 v11, v13, v11, vcc_lo :: v_dual_bitop2_b32 v10, 3, v10 bitop3:0x40
	s_delay_alu instid0(VALU_DEP_1) | instskip(NEXT) | instid1(VALU_DEP_2)
	v_cndmask_b32_e32 v9, v9, v10, vcc_lo
	v_lshl_add_u32 v10, v11, 23, 0x37800000
	s_delay_alu instid0(VALU_DEP_2) | instskip(NEXT) | instid1(VALU_DEP_1)
	v_lshlrev_b32_e32 v9, 21, v9
	v_or3_b32 v9, v8, v10, v9
.LBB246_92:
	s_or_b32 exec_lo, exec_lo, s14
	s_delay_alu instid0(VALU_DEP_1)
	v_cmp_eq_f32_e64 s14, v12, v9
	v_cmp_ne_u32_e32 vcc_lo, 1, v3
	v_and_b32_e32 v8, 0xff, v7
	s_cbranch_vccz .LBB246_74
.LBB246_93:
                                        ; implicit-def: $sgpr15
	s_cbranch_execz .LBB246_103
; %bb.94:
	s_mov_b32 s0, 0
	s_wait_xcnt 0x0
	s_mov_b32 s15, exec_lo
	v_cmpx_lt_i16_e32 0x7f, v8
	s_xor_b32 s15, exec_lo, s15
	s_cbranch_execnz .LBB246_485
; %bb.95:
	s_or_saveexec_b32 s15, s15
	v_mov_b32_e32 v9, 0x7f800001
	s_xor_b32 exec_lo, exec_lo, s15
	s_cbranch_execnz .LBB246_488
.LBB246_96:
	s_or_b32 exec_lo, exec_lo, s15
	s_and_saveexec_b32 s15, s0
	s_cbranch_execz .LBB246_98
.LBB246_97:
	v_and_b32_e32 v8, 3, v7
	v_bfe_u32 v11, v7, 2, 5
	s_delay_alu instid0(VALU_DEP_2) | instskip(NEXT) | instid1(VALU_DEP_2)
	v_clz_i32_u32_e32 v9, v8
	v_cmp_eq_u32_e32 vcc_lo, 0, v11
	s_delay_alu instid0(VALU_DEP_2) | instskip(NEXT) | instid1(VALU_DEP_1)
	v_min_u32_e32 v9, 32, v9
	v_subrev_nc_u32_e32 v10, 29, v9
	s_delay_alu instid0(VALU_DEP_1) | instskip(NEXT) | instid1(VALU_DEP_1)
	v_dual_lshlrev_b32 v10, v10, v7 :: v_dual_sub_nc_u32 v9, 30, v9
	v_dual_lshlrev_b32 v12, 24, v7 :: v_dual_bitop2_b32 v10, 3, v10 bitop3:0x40
	s_delay_alu instid0(VALU_DEP_1) | instskip(NEXT) | instid1(VALU_DEP_2)
	v_dual_cndmask_b32 v9, v11, v9 :: v_dual_cndmask_b32 v8, v8, v10
	v_and_b32_e32 v10, 0x80000000, v12
	s_delay_alu instid0(VALU_DEP_2) | instskip(NEXT) | instid1(VALU_DEP_3)
	v_lshl_add_u32 v9, v9, 23, 0x37800000
	v_lshlrev_b32_e32 v8, 21, v8
	s_delay_alu instid0(VALU_DEP_1)
	v_or3_b32 v9, v10, v9, v8
.LBB246_98:
	s_or_b32 exec_lo, exec_lo, s15
	s_wait_loadcnt 0x2
	v_and_b32_e32 v10, 0xff, v6
	s_mov_b32 s0, 0
	s_mov_b32 s15, exec_lo
	s_delay_alu instid0(VALU_DEP_1)
	v_cmpx_lt_i16_e32 0x7f, v10
	s_xor_b32 s15, exec_lo, s15
	s_cbranch_execnz .LBB246_489
; %bb.99:
	s_or_saveexec_b32 s15, s15
	v_mov_b32_e32 v8, 0x7f800001
	s_xor_b32 exec_lo, exec_lo, s15
	s_cbranch_execnz .LBB246_492
.LBB246_100:
	s_or_b32 exec_lo, exec_lo, s15
	s_and_saveexec_b32 s15, s0
	s_cbranch_execz .LBB246_102
.LBB246_101:
	v_and_b32_e32 v8, 3, v6
	v_bfe_u32 v12, v6, 2, 5
	s_delay_alu instid0(VALU_DEP_2) | instskip(NEXT) | instid1(VALU_DEP_2)
	v_clz_i32_u32_e32 v10, v8
	v_cmp_eq_u32_e32 vcc_lo, 0, v12
	s_delay_alu instid0(VALU_DEP_2) | instskip(NEXT) | instid1(VALU_DEP_1)
	v_min_u32_e32 v10, 32, v10
	v_subrev_nc_u32_e32 v11, 29, v10
	s_delay_alu instid0(VALU_DEP_1) | instskip(NEXT) | instid1(VALU_DEP_1)
	v_lshlrev_b32_e32 v11, v11, v6
	v_dual_sub_nc_u32 v10, 30, v10 :: v_dual_bitop2_b32 v11, 3, v11 bitop3:0x40
	s_delay_alu instid0(VALU_DEP_1) | instskip(NEXT) | instid1(VALU_DEP_2)
	v_dual_cndmask_b32 v8, v8, v11 :: v_dual_lshlrev_b32 v13, 24, v6
	v_cndmask_b32_e32 v10, v12, v10, vcc_lo
	s_delay_alu instid0(VALU_DEP_2) | instskip(NEXT) | instid1(VALU_DEP_3)
	v_and_b32_e32 v11, 0x80000000, v13
	v_lshlrev_b32_e32 v8, 21, v8
	s_delay_alu instid0(VALU_DEP_3) | instskip(NEXT) | instid1(VALU_DEP_1)
	v_lshl_add_u32 v10, v10, 23, 0x37800000
	v_or3_b32 v8, v11, v10, v8
.LBB246_102:
	s_or_b32 exec_lo, exec_lo, s15
	s_delay_alu instid0(VALU_DEP_1)
	v_cmp_eq_f32_e64 s15, v9, v8
.LBB246_103:
	s_wait_loadcnt 0x2
	v_dual_lshrrev_b32 v9, 8, v7 :: v_dual_lshrrev_b32 v8, 8, v6
	v_cmp_ne_u32_e32 vcc_lo, 1, v3
	s_delay_alu instid0(VALU_DEP_2)
	v_and_b32_e32 v10, 0xff, v9
	s_cbranch_vccnz .LBB246_113
; %bb.104:
	s_mov_b32 s0, 0
	s_mov_b32 s16, exec_lo
	s_wait_xcnt 0x0
	v_cmpx_lt_i16_e32 0x7f, v10
	s_xor_b32 s16, exec_lo, s16
	s_cbranch_execnz .LBB246_365
; %bb.105:
	s_or_saveexec_b32 s16, s16
	v_mov_b32_e32 v11, 0x7f800001
	s_xor_b32 exec_lo, exec_lo, s16
	s_cbranch_execnz .LBB246_368
.LBB246_106:
	s_or_b32 exec_lo, exec_lo, s16
	s_and_saveexec_b32 s16, s0
	s_cbranch_execz .LBB246_108
.LBB246_107:
	v_bfe_u32 v11, v7, 8, 2
	v_bfe_u32 v14, v7, 10, 5
	s_delay_alu instid0(VALU_DEP_2) | instskip(NEXT) | instid1(VALU_DEP_2)
	v_clz_i32_u32_e32 v12, v11
	v_cmp_eq_u32_e32 vcc_lo, 0, v14
	s_delay_alu instid0(VALU_DEP_2) | instskip(NEXT) | instid1(VALU_DEP_1)
	v_min_u32_e32 v12, 32, v12
	v_subrev_nc_u32_e32 v13, 29, v12
	s_delay_alu instid0(VALU_DEP_1) | instskip(NEXT) | instid1(VALU_DEP_1)
	v_dual_sub_nc_u32 v12, 30, v12 :: v_dual_lshlrev_b32 v13, v13, v9
	v_dual_cndmask_b32 v12, v14, v12, vcc_lo :: v_dual_bitop2_b32 v13, 3, v13 bitop3:0x40
	s_delay_alu instid0(VALU_DEP_1) | instskip(NEXT) | instid1(VALU_DEP_2)
	v_lshl_add_u32 v12, v12, 23, 0x37800000
	v_cndmask_b32_e32 v11, v11, v13, vcc_lo
	s_delay_alu instid0(VALU_DEP_1) | instskip(NEXT) | instid1(VALU_DEP_1)
	v_dual_lshlrev_b32 v15, 24, v9 :: v_dual_lshlrev_b32 v11, 21, v11
	v_and_b32_e32 v13, 0x80000000, v15
	s_delay_alu instid0(VALU_DEP_1)
	v_or3_b32 v11, v13, v12, v11
.LBB246_108:
	s_or_b32 exec_lo, exec_lo, s16
	v_and_b32_e32 v13, 0xff, v8
	s_mov_b32 s0, 0
	s_mov_b32 s16, exec_lo
	s_delay_alu instid0(VALU_DEP_1)
	v_cmpx_lt_i16_e32 0x7f, v13
	s_xor_b32 s16, exec_lo, s16
	s_cbranch_execnz .LBB246_369
; %bb.109:
	s_or_saveexec_b32 s16, s16
	v_mov_b32_e32 v12, 0x7f800001
	s_xor_b32 exec_lo, exec_lo, s16
	s_cbranch_execnz .LBB246_372
.LBB246_110:
	s_or_b32 exec_lo, exec_lo, s16
	s_and_saveexec_b32 s16, s0
	s_cbranch_execz .LBB246_112
.LBB246_111:
	v_bfe_u32 v12, v6, 8, 2
	v_bfe_u32 v15, v6, 10, 5
	v_lshlrev_b32_e32 v16, 24, v8
	s_delay_alu instid0(VALU_DEP_3) | instskip(NEXT) | instid1(VALU_DEP_3)
	v_clz_i32_u32_e32 v13, v12
	v_cmp_eq_u32_e32 vcc_lo, 0, v15
	s_delay_alu instid0(VALU_DEP_2) | instskip(NEXT) | instid1(VALU_DEP_1)
	v_min_u32_e32 v13, 32, v13
	v_subrev_nc_u32_e32 v14, 29, v13
	s_delay_alu instid0(VALU_DEP_1) | instskip(NEXT) | instid1(VALU_DEP_1)
	v_dual_sub_nc_u32 v13, 30, v13 :: v_dual_lshlrev_b32 v14, v14, v8
	v_dual_cndmask_b32 v13, v15, v13, vcc_lo :: v_dual_bitop2_b32 v14, 3, v14 bitop3:0x40
	s_delay_alu instid0(VALU_DEP_1) | instskip(SKIP_1) | instid1(VALU_DEP_3)
	v_cndmask_b32_e32 v12, v12, v14, vcc_lo
	v_and_b32_e32 v14, 0x80000000, v16
	v_lshl_add_u32 v13, v13, 23, 0x37800000
	s_delay_alu instid0(VALU_DEP_3) | instskip(NEXT) | instid1(VALU_DEP_1)
	v_lshlrev_b32_e32 v12, 21, v12
	v_or3_b32 v12, v14, v13, v12
.LBB246_112:
	s_or_b32 exec_lo, exec_lo, s16
	s_delay_alu instid0(VALU_DEP_1)
	v_cmp_neq_f32_e64 s16, v11, v12
	s_branch .LBB246_123
.LBB246_113:
                                        ; implicit-def: $sgpr16
	s_cbranch_execz .LBB246_123
; %bb.114:
	s_mov_b32 s0, 0
	s_mov_b32 s16, exec_lo
	s_wait_xcnt 0x0
	v_cmpx_lt_i16_e32 0x7f, v10
	s_xor_b32 s16, exec_lo, s16
	s_cbranch_execnz .LBB246_493
; %bb.115:
	s_or_saveexec_b32 s16, s16
	v_mov_b32_e32 v11, 0x7f800001
	s_xor_b32 exec_lo, exec_lo, s16
	s_cbranch_execnz .LBB246_496
.LBB246_116:
	s_or_b32 exec_lo, exec_lo, s16
	s_and_saveexec_b32 s16, s0
	s_cbranch_execz .LBB246_118
.LBB246_117:
	v_bfe_u32 v10, v7, 8, 2
	v_bfe_u32 v13, v7, 10, 5
	s_delay_alu instid0(VALU_DEP_2) | instskip(NEXT) | instid1(VALU_DEP_2)
	v_clz_i32_u32_e32 v11, v10
	v_cmp_eq_u32_e32 vcc_lo, 0, v13
	s_delay_alu instid0(VALU_DEP_2) | instskip(NEXT) | instid1(VALU_DEP_1)
	v_min_u32_e32 v11, 32, v11
	v_subrev_nc_u32_e32 v12, 29, v11
	s_delay_alu instid0(VALU_DEP_1) | instskip(NEXT) | instid1(VALU_DEP_1)
	v_dual_sub_nc_u32 v11, 30, v11 :: v_dual_lshlrev_b32 v12, v12, v9
	v_dual_lshlrev_b32 v9, 24, v9 :: v_dual_bitop2_b32 v12, 3, v12 bitop3:0x40
	s_delay_alu instid0(VALU_DEP_2) | instskip(NEXT) | instid1(VALU_DEP_2)
	v_cndmask_b32_e32 v11, v13, v11, vcc_lo
	v_and_b32_e32 v9, 0x80000000, v9
	s_delay_alu instid0(VALU_DEP_3) | instskip(NEXT) | instid1(VALU_DEP_3)
	v_cndmask_b32_e32 v10, v10, v12, vcc_lo
	v_lshl_add_u32 v11, v11, 23, 0x37800000
	s_delay_alu instid0(VALU_DEP_2) | instskip(NEXT) | instid1(VALU_DEP_1)
	v_lshlrev_b32_e32 v10, 21, v10
	v_or3_b32 v11, v9, v11, v10
.LBB246_118:
	s_or_b32 exec_lo, exec_lo, s16
	v_and_b32_e32 v10, 0xff, v8
	s_mov_b32 s0, 0
	s_mov_b32 s16, exec_lo
	s_delay_alu instid0(VALU_DEP_1)
	v_cmpx_lt_i16_e32 0x7f, v10
	s_xor_b32 s16, exec_lo, s16
	s_cbranch_execnz .LBB246_497
; %bb.119:
	s_or_saveexec_b32 s16, s16
	v_mov_b32_e32 v9, 0x7f800001
	s_xor_b32 exec_lo, exec_lo, s16
	s_cbranch_execnz .LBB246_500
.LBB246_120:
	s_or_b32 exec_lo, exec_lo, s16
	s_and_saveexec_b32 s16, s0
	s_cbranch_execz .LBB246_122
.LBB246_121:
	v_bfe_u32 v9, v6, 8, 2
	v_bfe_u32 v13, v6, 10, 5
	s_delay_alu instid0(VALU_DEP_2) | instskip(NEXT) | instid1(VALU_DEP_2)
	v_clz_i32_u32_e32 v10, v9
	v_cmp_eq_u32_e32 vcc_lo, 0, v13
	s_delay_alu instid0(VALU_DEP_2) | instskip(NEXT) | instid1(VALU_DEP_1)
	v_min_u32_e32 v10, 32, v10
	v_subrev_nc_u32_e32 v12, 29, v10
	s_delay_alu instid0(VALU_DEP_1) | instskip(NEXT) | instid1(VALU_DEP_1)
	v_dual_sub_nc_u32 v10, 30, v10 :: v_dual_lshlrev_b32 v12, v12, v8
	v_dual_cndmask_b32 v10, v13, v10, vcc_lo :: v_dual_bitop2_b32 v12, 3, v12 bitop3:0x40
	s_delay_alu instid0(VALU_DEP_1) | instskip(NEXT) | instid1(VALU_DEP_2)
	v_lshl_add_u32 v10, v10, 23, 0x37800000
	v_cndmask_b32_e32 v9, v9, v12, vcc_lo
	s_delay_alu instid0(VALU_DEP_1) | instskip(NEXT) | instid1(VALU_DEP_1)
	v_dual_lshlrev_b32 v8, 24, v8 :: v_dual_lshlrev_b32 v9, 21, v9
	v_and_b32_e32 v8, 0x80000000, v8
	s_delay_alu instid0(VALU_DEP_1)
	v_or3_b32 v9, v8, v10, v9
.LBB246_122:
	s_or_b32 exec_lo, exec_lo, s16
	s_delay_alu instid0(VALU_DEP_1)
	v_cmp_eq_f32_e64 s16, v11, v9
.LBB246_123:
	v_dual_lshrrev_b32 v9, 16, v7 :: v_dual_lshrrev_b32 v8, 16, v6
	v_cmp_ne_u32_e32 vcc_lo, 1, v3
	s_delay_alu instid0(VALU_DEP_2)
	v_and_b32_e32 v10, 0xff, v9
	s_cbranch_vccnz .LBB246_133
; %bb.124:
	s_mov_b32 s0, 0
	s_mov_b32 s17, exec_lo
	s_wait_xcnt 0x0
	v_cmpx_lt_i16_e32 0x7f, v10
	s_xor_b32 s17, exec_lo, s17
	s_cbranch_execnz .LBB246_373
; %bb.125:
	s_or_saveexec_b32 s17, s17
	v_mov_b32_e32 v11, 0x7f800001
	s_xor_b32 exec_lo, exec_lo, s17
	s_cbranch_execnz .LBB246_376
.LBB246_126:
	s_or_b32 exec_lo, exec_lo, s17
	s_and_saveexec_b32 s17, s0
	s_cbranch_execz .LBB246_128
.LBB246_127:
	v_bfe_u32 v11, v7, 16, 2
	v_bfe_u32 v14, v7, 18, 5
	s_delay_alu instid0(VALU_DEP_2) | instskip(NEXT) | instid1(VALU_DEP_2)
	v_clz_i32_u32_e32 v12, v11
	v_cmp_eq_u32_e32 vcc_lo, 0, v14
	s_delay_alu instid0(VALU_DEP_2) | instskip(NEXT) | instid1(VALU_DEP_1)
	v_min_u32_e32 v12, 32, v12
	v_subrev_nc_u32_e32 v13, 29, v12
	s_delay_alu instid0(VALU_DEP_1) | instskip(NEXT) | instid1(VALU_DEP_1)
	v_dual_sub_nc_u32 v12, 30, v12 :: v_dual_lshlrev_b32 v13, v13, v9
	v_dual_cndmask_b32 v12, v14, v12, vcc_lo :: v_dual_bitop2_b32 v13, 3, v13 bitop3:0x40
	s_delay_alu instid0(VALU_DEP_1) | instskip(NEXT) | instid1(VALU_DEP_2)
	v_lshl_add_u32 v12, v12, 23, 0x37800000
	v_cndmask_b32_e32 v11, v11, v13, vcc_lo
	s_delay_alu instid0(VALU_DEP_1) | instskip(NEXT) | instid1(VALU_DEP_1)
	v_dual_lshlrev_b32 v15, 24, v9 :: v_dual_lshlrev_b32 v11, 21, v11
	v_and_b32_e32 v13, 0x80000000, v15
	s_delay_alu instid0(VALU_DEP_1)
	v_or3_b32 v11, v13, v12, v11
.LBB246_128:
	s_or_b32 exec_lo, exec_lo, s17
	v_and_b32_e32 v13, 0xff, v8
	s_mov_b32 s0, 0
	s_mov_b32 s17, exec_lo
	s_delay_alu instid0(VALU_DEP_1)
	v_cmpx_lt_i16_e32 0x7f, v13
	s_xor_b32 s17, exec_lo, s17
	s_cbranch_execnz .LBB246_377
; %bb.129:
	s_or_saveexec_b32 s17, s17
	v_mov_b32_e32 v12, 0x7f800001
	s_xor_b32 exec_lo, exec_lo, s17
	s_cbranch_execnz .LBB246_380
.LBB246_130:
	s_or_b32 exec_lo, exec_lo, s17
	s_and_saveexec_b32 s17, s0
	s_cbranch_execz .LBB246_132
.LBB246_131:
	v_bfe_u32 v12, v6, 16, 2
	v_bfe_u32 v15, v6, 18, 5
	v_lshlrev_b32_e32 v16, 24, v8
	s_delay_alu instid0(VALU_DEP_3) | instskip(NEXT) | instid1(VALU_DEP_3)
	v_clz_i32_u32_e32 v13, v12
	v_cmp_eq_u32_e32 vcc_lo, 0, v15
	s_delay_alu instid0(VALU_DEP_2) | instskip(NEXT) | instid1(VALU_DEP_1)
	v_min_u32_e32 v13, 32, v13
	v_subrev_nc_u32_e32 v14, 29, v13
	s_delay_alu instid0(VALU_DEP_1) | instskip(NEXT) | instid1(VALU_DEP_1)
	v_dual_sub_nc_u32 v13, 30, v13 :: v_dual_lshlrev_b32 v14, v14, v8
	v_dual_cndmask_b32 v13, v15, v13, vcc_lo :: v_dual_bitop2_b32 v14, 3, v14 bitop3:0x40
	s_delay_alu instid0(VALU_DEP_1) | instskip(SKIP_1) | instid1(VALU_DEP_3)
	v_cndmask_b32_e32 v12, v12, v14, vcc_lo
	v_and_b32_e32 v14, 0x80000000, v16
	v_lshl_add_u32 v13, v13, 23, 0x37800000
	s_delay_alu instid0(VALU_DEP_3) | instskip(NEXT) | instid1(VALU_DEP_1)
	v_lshlrev_b32_e32 v12, 21, v12
	v_or3_b32 v12, v14, v13, v12
.LBB246_132:
	s_or_b32 exec_lo, exec_lo, s17
	s_delay_alu instid0(VALU_DEP_1)
	v_cmp_neq_f32_e64 s17, v11, v12
	s_branch .LBB246_143
.LBB246_133:
                                        ; implicit-def: $sgpr17
	s_cbranch_execz .LBB246_143
; %bb.134:
	s_mov_b32 s0, 0
	s_mov_b32 s17, exec_lo
	s_wait_xcnt 0x0
	v_cmpx_lt_i16_e32 0x7f, v10
	s_xor_b32 s17, exec_lo, s17
	s_cbranch_execnz .LBB246_501
; %bb.135:
	s_or_saveexec_b32 s17, s17
	v_mov_b32_e32 v11, 0x7f800001
	s_xor_b32 exec_lo, exec_lo, s17
	s_cbranch_execnz .LBB246_504
.LBB246_136:
	s_or_b32 exec_lo, exec_lo, s17
	s_and_saveexec_b32 s17, s0
	s_cbranch_execz .LBB246_138
.LBB246_137:
	v_bfe_u32 v10, v7, 16, 2
	v_bfe_u32 v13, v7, 18, 5
	s_delay_alu instid0(VALU_DEP_2) | instskip(NEXT) | instid1(VALU_DEP_2)
	v_clz_i32_u32_e32 v11, v10
	v_cmp_eq_u32_e32 vcc_lo, 0, v13
	s_delay_alu instid0(VALU_DEP_2) | instskip(NEXT) | instid1(VALU_DEP_1)
	v_min_u32_e32 v11, 32, v11
	v_subrev_nc_u32_e32 v12, 29, v11
	s_delay_alu instid0(VALU_DEP_1) | instskip(NEXT) | instid1(VALU_DEP_1)
	v_dual_sub_nc_u32 v11, 30, v11 :: v_dual_lshlrev_b32 v12, v12, v9
	v_dual_lshlrev_b32 v9, 24, v9 :: v_dual_bitop2_b32 v12, 3, v12 bitop3:0x40
	s_delay_alu instid0(VALU_DEP_2) | instskip(NEXT) | instid1(VALU_DEP_2)
	v_cndmask_b32_e32 v11, v13, v11, vcc_lo
	v_and_b32_e32 v9, 0x80000000, v9
	s_delay_alu instid0(VALU_DEP_3) | instskip(NEXT) | instid1(VALU_DEP_3)
	v_cndmask_b32_e32 v10, v10, v12, vcc_lo
	v_lshl_add_u32 v11, v11, 23, 0x37800000
	s_delay_alu instid0(VALU_DEP_2) | instskip(NEXT) | instid1(VALU_DEP_1)
	v_lshlrev_b32_e32 v10, 21, v10
	v_or3_b32 v11, v9, v11, v10
.LBB246_138:
	s_or_b32 exec_lo, exec_lo, s17
	v_and_b32_e32 v10, 0xff, v8
	s_mov_b32 s0, 0
	s_mov_b32 s17, exec_lo
	s_delay_alu instid0(VALU_DEP_1)
	v_cmpx_lt_i16_e32 0x7f, v10
	s_xor_b32 s17, exec_lo, s17
	s_cbranch_execnz .LBB246_505
; %bb.139:
	s_or_saveexec_b32 s17, s17
	v_mov_b32_e32 v9, 0x7f800001
	s_xor_b32 exec_lo, exec_lo, s17
	s_cbranch_execnz .LBB246_508
.LBB246_140:
	s_or_b32 exec_lo, exec_lo, s17
	s_and_saveexec_b32 s17, s0
	s_cbranch_execz .LBB246_142
.LBB246_141:
	v_bfe_u32 v9, v6, 16, 2
	v_bfe_u32 v13, v6, 18, 5
	s_delay_alu instid0(VALU_DEP_2) | instskip(NEXT) | instid1(VALU_DEP_2)
	v_clz_i32_u32_e32 v10, v9
	v_cmp_eq_u32_e32 vcc_lo, 0, v13
	s_delay_alu instid0(VALU_DEP_2) | instskip(NEXT) | instid1(VALU_DEP_1)
	v_min_u32_e32 v10, 32, v10
	v_subrev_nc_u32_e32 v12, 29, v10
	s_delay_alu instid0(VALU_DEP_1) | instskip(NEXT) | instid1(VALU_DEP_1)
	v_dual_sub_nc_u32 v10, 30, v10 :: v_dual_lshlrev_b32 v12, v12, v8
	v_dual_cndmask_b32 v10, v13, v10, vcc_lo :: v_dual_bitop2_b32 v12, 3, v12 bitop3:0x40
	s_delay_alu instid0(VALU_DEP_1) | instskip(NEXT) | instid1(VALU_DEP_2)
	v_lshl_add_u32 v10, v10, 23, 0x37800000
	v_cndmask_b32_e32 v9, v9, v12, vcc_lo
	s_delay_alu instid0(VALU_DEP_1) | instskip(NEXT) | instid1(VALU_DEP_1)
	v_dual_lshlrev_b32 v8, 24, v8 :: v_dual_lshlrev_b32 v9, 21, v9
	v_and_b32_e32 v8, 0x80000000, v8
	s_delay_alu instid0(VALU_DEP_1)
	v_or3_b32 v9, v8, v10, v9
.LBB246_142:
	s_or_b32 exec_lo, exec_lo, s17
	s_delay_alu instid0(VALU_DEP_1)
	v_cmp_eq_f32_e64 s17, v11, v9
.LBB246_143:
	v_dual_lshrrev_b32 v9, 24, v7 :: v_dual_lshrrev_b32 v8, 24, v6
	v_cmp_ne_u32_e32 vcc_lo, 1, v3
	s_delay_alu instid0(VALU_DEP_2)
	v_cmp_lt_i16_e64 s0, 0x7f, v9
	s_cbranch_vccnz .LBB246_163
; %bb.144:
	s_mov_b32 s18, 0
	s_wait_xcnt 0x0
	s_and_saveexec_b32 s19, s0
	s_delay_alu instid0(SALU_CYCLE_1)
	s_xor_b32 s0, exec_lo, s19
	s_cbranch_execnz .LBB246_381
; %bb.145:
	s_or_saveexec_b32 s0, s0
	v_mov_b32_e32 v10, 0x7f800001
	s_xor_b32 exec_lo, exec_lo, s0
	s_cbranch_execnz .LBB246_384
.LBB246_146:
	s_or_b32 exec_lo, exec_lo, s0
	s_and_saveexec_b32 s0, s18
	s_cbranch_execz .LBB246_148
.LBB246_147:
	v_bfe_u32 v10, v7, 24, 2
	v_bfe_u32 v13, v7, 26, 5
	s_delay_alu instid0(VALU_DEP_2) | instskip(NEXT) | instid1(VALU_DEP_2)
	v_clz_i32_u32_e32 v11, v10
	v_cmp_eq_u32_e32 vcc_lo, 0, v13
	s_delay_alu instid0(VALU_DEP_2) | instskip(NEXT) | instid1(VALU_DEP_1)
	v_min_u32_e32 v11, 32, v11
	v_subrev_nc_u32_e32 v12, 29, v11
	s_delay_alu instid0(VALU_DEP_1) | instskip(NEXT) | instid1(VALU_DEP_1)
	v_dual_sub_nc_u32 v11, 30, v11 :: v_dual_lshlrev_b32 v12, v12, v9
	v_dual_cndmask_b32 v11, v13, v11, vcc_lo :: v_dual_bitop2_b32 v12, 3, v12 bitop3:0x40
	s_delay_alu instid0(VALU_DEP_1) | instskip(NEXT) | instid1(VALU_DEP_2)
	v_lshl_add_u32 v11, v11, 23, 0x37800000
	v_cndmask_b32_e32 v10, v10, v12, vcc_lo
	v_and_b32_e32 v12, 0x80000000, v7
	s_delay_alu instid0(VALU_DEP_2) | instskip(NEXT) | instid1(VALU_DEP_1)
	v_lshlrev_b32_e32 v10, 21, v10
	v_or3_b32 v10, v12, v11, v10
.LBB246_148:
	s_or_b32 exec_lo, exec_lo, s0
	s_mov_b32 s0, 0
	s_mov_b32 s18, exec_lo
	v_cmpx_lt_i16_e32 0x7f, v8
	s_xor_b32 s18, exec_lo, s18
	s_cbranch_execnz .LBB246_385
; %bb.149:
	s_or_saveexec_b32 s18, s18
	v_mov_b32_e32 v11, 0x7f800001
	s_xor_b32 exec_lo, exec_lo, s18
	s_cbranch_execnz .LBB246_388
.LBB246_150:
	s_or_b32 exec_lo, exec_lo, s18
	s_and_saveexec_b32 s18, s0
	s_cbranch_execz .LBB246_152
.LBB246_151:
	v_bfe_u32 v11, v6, 24, 2
	v_bfe_u32 v14, v6, 26, 5
	s_delay_alu instid0(VALU_DEP_2) | instskip(NEXT) | instid1(VALU_DEP_2)
	v_clz_i32_u32_e32 v12, v11
	v_cmp_eq_u32_e32 vcc_lo, 0, v14
	s_delay_alu instid0(VALU_DEP_2) | instskip(NEXT) | instid1(VALU_DEP_1)
	v_min_u32_e32 v12, 32, v12
	v_subrev_nc_u32_e32 v13, 29, v12
	s_delay_alu instid0(VALU_DEP_1) | instskip(NEXT) | instid1(VALU_DEP_1)
	v_lshlrev_b32_e32 v13, v13, v8
	v_dual_sub_nc_u32 v12, 30, v12 :: v_dual_bitop2_b32 v13, 3, v13 bitop3:0x40
	s_delay_alu instid0(VALU_DEP_1) | instskip(SKIP_1) | instid1(VALU_DEP_2)
	v_dual_cndmask_b32 v12, v14, v12 :: v_dual_cndmask_b32 v11, v11, v13
	v_and_b32_e32 v13, 0x80000000, v6
	v_lshl_add_u32 v12, v12, 23, 0x37800000
	s_delay_alu instid0(VALU_DEP_3) | instskip(NEXT) | instid1(VALU_DEP_1)
	v_lshlrev_b32_e32 v11, 21, v11
	v_or3_b32 v11, v13, v12, v11
.LBB246_152:
	s_or_b32 exec_lo, exec_lo, s18
	s_delay_alu instid0(VALU_DEP_1)
	v_cmp_neq_f32_e64 s18, v10, v11
.LBB246_153:
	v_cmp_ne_u32_e32 vcc_lo, 1, v3
	v_and_b32_e32 v6, 0xff, v5
	s_cbranch_vccnz .LBB246_173
.LBB246_154:
	s_mov_b32 s0, 0
	s_mov_b32 s19, exec_lo
	s_wait_xcnt 0x0
	v_cmpx_lt_i16_e32 0x7f, v6
	s_xor_b32 s19, exec_lo, s19
	s_cbranch_execnz .LBB246_389
; %bb.155:
	s_or_saveexec_b32 s19, s19
	v_mov_b32_e32 v7, 0x7f800001
	s_xor_b32 exec_lo, exec_lo, s19
	s_cbranch_execnz .LBB246_392
.LBB246_156:
	s_or_b32 exec_lo, exec_lo, s19
	s_and_saveexec_b32 s19, s0
	s_cbranch_execz .LBB246_158
.LBB246_157:
	v_and_b32_e32 v7, 3, v5
	v_bfe_u32 v10, v5, 2, 5
	s_delay_alu instid0(VALU_DEP_2) | instskip(NEXT) | instid1(VALU_DEP_2)
	v_clz_i32_u32_e32 v8, v7
	v_cmp_eq_u32_e32 vcc_lo, 0, v10
	s_delay_alu instid0(VALU_DEP_2) | instskip(NEXT) | instid1(VALU_DEP_1)
	v_min_u32_e32 v8, 32, v8
	v_subrev_nc_u32_e32 v9, 29, v8
	s_delay_alu instid0(VALU_DEP_1) | instskip(NEXT) | instid1(VALU_DEP_1)
	v_dual_lshlrev_b32 v9, v9, v5 :: v_dual_sub_nc_u32 v8, 30, v8
	v_and_b32_e32 v9, 3, v9
	s_delay_alu instid0(VALU_DEP_2) | instskip(NEXT) | instid1(VALU_DEP_2)
	v_dual_cndmask_b32 v8, v10, v8 :: v_dual_lshlrev_b32 v11, 24, v5
	v_cndmask_b32_e32 v7, v7, v9, vcc_lo
	s_delay_alu instid0(VALU_DEP_2) | instskip(NEXT) | instid1(VALU_DEP_3)
	v_and_b32_e32 v9, 0x80000000, v11
	v_lshl_add_u32 v8, v8, 23, 0x37800000
	s_delay_alu instid0(VALU_DEP_3) | instskip(NEXT) | instid1(VALU_DEP_1)
	v_lshlrev_b32_e32 v7, 21, v7
	v_or3_b32 v7, v9, v8, v7
.LBB246_158:
	s_or_b32 exec_lo, exec_lo, s19
	s_wait_loadcnt 0x1
	v_and_b32_e32 v9, 0xff, v4
	s_mov_b32 s0, 0
	s_mov_b32 s19, exec_lo
	s_delay_alu instid0(VALU_DEP_1)
	v_cmpx_lt_i16_e32 0x7f, v9
	s_xor_b32 s19, exec_lo, s19
	s_cbranch_execnz .LBB246_393
; %bb.159:
	s_or_saveexec_b32 s19, s19
	v_mov_b32_e32 v8, 0x7f800001
	s_xor_b32 exec_lo, exec_lo, s19
	s_cbranch_execnz .LBB246_396
.LBB246_160:
	s_or_b32 exec_lo, exec_lo, s19
	s_and_saveexec_b32 s19, s0
	s_cbranch_execz .LBB246_162
.LBB246_161:
	v_and_b32_e32 v8, 3, v4
	v_bfe_u32 v11, v4, 2, 5
	s_delay_alu instid0(VALU_DEP_2) | instskip(NEXT) | instid1(VALU_DEP_2)
	v_clz_i32_u32_e32 v9, v8
	v_cmp_eq_u32_e32 vcc_lo, 0, v11
	s_delay_alu instid0(VALU_DEP_2) | instskip(NEXT) | instid1(VALU_DEP_1)
	v_min_u32_e32 v9, 32, v9
	v_subrev_nc_u32_e32 v10, 29, v9
	s_delay_alu instid0(VALU_DEP_1) | instskip(NEXT) | instid1(VALU_DEP_1)
	v_dual_lshlrev_b32 v10, v10, v4 :: v_dual_sub_nc_u32 v9, 30, v9
	v_dual_lshlrev_b32 v12, 24, v4 :: v_dual_bitop2_b32 v10, 3, v10 bitop3:0x40
	s_delay_alu instid0(VALU_DEP_1) | instskip(NEXT) | instid1(VALU_DEP_2)
	v_dual_cndmask_b32 v9, v11, v9 :: v_dual_cndmask_b32 v8, v8, v10
	v_and_b32_e32 v10, 0x80000000, v12
	s_delay_alu instid0(VALU_DEP_2) | instskip(NEXT) | instid1(VALU_DEP_3)
	v_lshl_add_u32 v9, v9, 23, 0x37800000
	v_lshlrev_b32_e32 v8, 21, v8
	s_delay_alu instid0(VALU_DEP_1)
	v_or3_b32 v8, v10, v9, v8
.LBB246_162:
	s_or_b32 exec_lo, exec_lo, s19
	s_delay_alu instid0(VALU_DEP_1)
	v_cmp_neq_f32_e64 s19, v7, v8
	s_branch .LBB246_183
.LBB246_163:
                                        ; implicit-def: $sgpr18
	s_cbranch_execz .LBB246_153
; %bb.164:
	s_mov_b32 s0, 0
	s_mov_b32 s18, exec_lo
	s_wait_xcnt 0x0
	v_cmpx_lt_i16_e32 0x7f, v9
	s_xor_b32 s18, exec_lo, s18
	s_cbranch_execnz .LBB246_509
; %bb.165:
	s_or_saveexec_b32 s18, s18
	v_mov_b32_e32 v10, 0x7f800001
	s_xor_b32 exec_lo, exec_lo, s18
	s_cbranch_execnz .LBB246_512
.LBB246_166:
	s_or_b32 exec_lo, exec_lo, s18
	s_and_saveexec_b32 s18, s0
	s_cbranch_execz .LBB246_168
.LBB246_167:
	v_bfe_u32 v10, v7, 24, 2
	s_delay_alu instid0(VALU_DEP_1) | instskip(NEXT) | instid1(VALU_DEP_1)
	v_clz_i32_u32_e32 v11, v10
	v_min_u32_e32 v11, 32, v11
	s_delay_alu instid0(VALU_DEP_1) | instskip(NEXT) | instid1(VALU_DEP_1)
	v_subrev_nc_u32_e32 v12, 29, v11
	v_dual_sub_nc_u32 v11, 30, v11 :: v_dual_lshlrev_b32 v9, v12, v9
	v_bfe_u32 v12, v7, 26, 5
	v_and_b32_e32 v7, 0x80000000, v7
	s_delay_alu instid0(VALU_DEP_2) | instskip(NEXT) | instid1(VALU_DEP_4)
	v_cmp_eq_u32_e32 vcc_lo, 0, v12
	v_dual_cndmask_b32 v11, v12, v11, vcc_lo :: v_dual_bitop2_b32 v9, 3, v9 bitop3:0x40
	s_delay_alu instid0(VALU_DEP_1) | instskip(NEXT) | instid1(VALU_DEP_2)
	v_cndmask_b32_e32 v9, v10, v9, vcc_lo
	v_lshl_add_u32 v10, v11, 23, 0x37800000
	s_delay_alu instid0(VALU_DEP_2) | instskip(NEXT) | instid1(VALU_DEP_1)
	v_lshlrev_b32_e32 v9, 21, v9
	v_or3_b32 v10, v7, v10, v9
.LBB246_168:
	s_or_b32 exec_lo, exec_lo, s18
	s_mov_b32 s0, 0
	s_mov_b32 s18, exec_lo
	v_cmpx_lt_i16_e32 0x7f, v8
	s_xor_b32 s18, exec_lo, s18
	s_cbranch_execnz .LBB246_513
; %bb.169:
	s_or_saveexec_b32 s18, s18
	v_mov_b32_e32 v7, 0x7f800001
	s_xor_b32 exec_lo, exec_lo, s18
	s_cbranch_execnz .LBB246_516
.LBB246_170:
	s_or_b32 exec_lo, exec_lo, s18
	s_and_saveexec_b32 s18, s0
	s_cbranch_execz .LBB246_172
.LBB246_171:
	v_bfe_u32 v7, v6, 24, 2
	s_delay_alu instid0(VALU_DEP_1) | instskip(NEXT) | instid1(VALU_DEP_1)
	v_clz_i32_u32_e32 v9, v7
	v_min_u32_e32 v9, 32, v9
	s_delay_alu instid0(VALU_DEP_1) | instskip(NEXT) | instid1(VALU_DEP_1)
	v_subrev_nc_u32_e32 v11, 29, v9
	v_dual_sub_nc_u32 v9, 30, v9 :: v_dual_lshlrev_b32 v8, v11, v8
	v_bfe_u32 v11, v6, 26, 5
	v_and_b32_e32 v6, 0x80000000, v6
	s_delay_alu instid0(VALU_DEP_2) | instskip(NEXT) | instid1(VALU_DEP_4)
	v_cmp_eq_u32_e32 vcc_lo, 0, v11
	v_dual_cndmask_b32 v9, v11, v9, vcc_lo :: v_dual_bitop2_b32 v8, 3, v8 bitop3:0x40
	s_delay_alu instid0(VALU_DEP_1) | instskip(NEXT) | instid1(VALU_DEP_2)
	v_cndmask_b32_e32 v7, v7, v8, vcc_lo
	v_lshl_add_u32 v8, v9, 23, 0x37800000
	s_delay_alu instid0(VALU_DEP_2) | instskip(NEXT) | instid1(VALU_DEP_1)
	v_lshlrev_b32_e32 v7, 21, v7
	v_or3_b32 v7, v6, v8, v7
.LBB246_172:
	s_or_b32 exec_lo, exec_lo, s18
	s_delay_alu instid0(VALU_DEP_1)
	v_cmp_eq_f32_e64 s18, v10, v7
	v_cmp_ne_u32_e32 vcc_lo, 1, v3
	v_and_b32_e32 v6, 0xff, v5
	s_cbranch_vccz .LBB246_154
.LBB246_173:
                                        ; implicit-def: $sgpr19
	s_cbranch_execz .LBB246_183
; %bb.174:
	s_mov_b32 s0, 0
	s_mov_b32 s19, exec_lo
	s_wait_xcnt 0x0
	v_cmpx_lt_i16_e32 0x7f, v6
	s_xor_b32 s19, exec_lo, s19
	s_cbranch_execnz .LBB246_517
; %bb.175:
	s_or_saveexec_b32 s19, s19
	v_mov_b32_e32 v7, 0x7f800001
	s_xor_b32 exec_lo, exec_lo, s19
	s_cbranch_execnz .LBB246_520
.LBB246_176:
	s_or_b32 exec_lo, exec_lo, s19
	s_and_saveexec_b32 s19, s0
	s_cbranch_execz .LBB246_178
.LBB246_177:
	v_and_b32_e32 v6, 3, v5
	v_bfe_u32 v9, v5, 2, 5
	s_delay_alu instid0(VALU_DEP_2) | instskip(NEXT) | instid1(VALU_DEP_2)
	v_clz_i32_u32_e32 v7, v6
	v_cmp_eq_u32_e32 vcc_lo, 0, v9
	s_delay_alu instid0(VALU_DEP_2) | instskip(NEXT) | instid1(VALU_DEP_1)
	v_min_u32_e32 v7, 32, v7
	v_subrev_nc_u32_e32 v8, 29, v7
	s_delay_alu instid0(VALU_DEP_1) | instskip(NEXT) | instid1(VALU_DEP_1)
	v_dual_lshlrev_b32 v8, v8, v5 :: v_dual_sub_nc_u32 v7, 30, v7
	v_dual_lshlrev_b32 v10, 24, v5 :: v_dual_bitop2_b32 v8, 3, v8 bitop3:0x40
	s_delay_alu instid0(VALU_DEP_1) | instskip(NEXT) | instid1(VALU_DEP_2)
	v_dual_cndmask_b32 v7, v9, v7 :: v_dual_cndmask_b32 v6, v6, v8
	v_and_b32_e32 v8, 0x80000000, v10
	s_delay_alu instid0(VALU_DEP_2) | instskip(NEXT) | instid1(VALU_DEP_3)
	v_lshl_add_u32 v7, v7, 23, 0x37800000
	v_lshlrev_b32_e32 v6, 21, v6
	s_delay_alu instid0(VALU_DEP_1)
	v_or3_b32 v7, v8, v7, v6
.LBB246_178:
	s_or_b32 exec_lo, exec_lo, s19
	s_wait_loadcnt 0x1
	v_and_b32_e32 v8, 0xff, v4
	s_mov_b32 s0, 0
	s_mov_b32 s19, exec_lo
	s_delay_alu instid0(VALU_DEP_1)
	v_cmpx_lt_i16_e32 0x7f, v8
	s_xor_b32 s19, exec_lo, s19
	s_cbranch_execnz .LBB246_521
; %bb.179:
	s_or_saveexec_b32 s19, s19
	v_mov_b32_e32 v6, 0x7f800001
	s_xor_b32 exec_lo, exec_lo, s19
	s_cbranch_execnz .LBB246_524
.LBB246_180:
	s_or_b32 exec_lo, exec_lo, s19
	s_and_saveexec_b32 s19, s0
	s_cbranch_execz .LBB246_182
.LBB246_181:
	v_and_b32_e32 v6, 3, v4
	v_bfe_u32 v10, v4, 2, 5
	s_delay_alu instid0(VALU_DEP_2) | instskip(NEXT) | instid1(VALU_DEP_2)
	v_clz_i32_u32_e32 v8, v6
	v_cmp_eq_u32_e32 vcc_lo, 0, v10
	s_delay_alu instid0(VALU_DEP_2) | instskip(NEXT) | instid1(VALU_DEP_1)
	v_min_u32_e32 v8, 32, v8
	v_subrev_nc_u32_e32 v9, 29, v8
	s_delay_alu instid0(VALU_DEP_1) | instskip(NEXT) | instid1(VALU_DEP_1)
	v_lshlrev_b32_e32 v9, v9, v4
	v_dual_sub_nc_u32 v8, 30, v8 :: v_dual_bitop2_b32 v9, 3, v9 bitop3:0x40
	s_delay_alu instid0(VALU_DEP_1) | instskip(NEXT) | instid1(VALU_DEP_2)
	v_dual_cndmask_b32 v6, v6, v9 :: v_dual_lshlrev_b32 v11, 24, v4
	v_cndmask_b32_e32 v8, v10, v8, vcc_lo
	s_delay_alu instid0(VALU_DEP_2) | instskip(NEXT) | instid1(VALU_DEP_3)
	v_and_b32_e32 v9, 0x80000000, v11
	v_lshlrev_b32_e32 v6, 21, v6
	s_delay_alu instid0(VALU_DEP_3) | instskip(NEXT) | instid1(VALU_DEP_1)
	v_lshl_add_u32 v8, v8, 23, 0x37800000
	v_or3_b32 v6, v9, v8, v6
.LBB246_182:
	s_or_b32 exec_lo, exec_lo, s19
	s_delay_alu instid0(VALU_DEP_1)
	v_cmp_eq_f32_e64 s19, v7, v6
.LBB246_183:
	s_wait_loadcnt 0x1
	v_dual_lshrrev_b32 v7, 8, v5 :: v_dual_lshrrev_b32 v6, 8, v4
	v_cmp_ne_u32_e32 vcc_lo, 1, v3
	s_delay_alu instid0(VALU_DEP_2)
	v_and_b32_e32 v8, 0xff, v7
	s_cbranch_vccnz .LBB246_193
; %bb.184:
	s_mov_b32 s0, 0
	s_mov_b32 s20, exec_lo
	s_wait_xcnt 0x0
	v_cmpx_lt_i16_e32 0x7f, v8
	s_xor_b32 s20, exec_lo, s20
	s_cbranch_execnz .LBB246_397
; %bb.185:
	s_or_saveexec_b32 s20, s20
	v_mov_b32_e32 v9, 0x7f800001
	s_xor_b32 exec_lo, exec_lo, s20
	s_cbranch_execnz .LBB246_400
.LBB246_186:
	s_or_b32 exec_lo, exec_lo, s20
	s_and_saveexec_b32 s20, s0
	s_cbranch_execz .LBB246_188
.LBB246_187:
	v_bfe_u32 v9, v5, 8, 2
	v_bfe_u32 v12, v5, 10, 5
	s_delay_alu instid0(VALU_DEP_2) | instskip(NEXT) | instid1(VALU_DEP_2)
	v_clz_i32_u32_e32 v10, v9
	v_cmp_eq_u32_e32 vcc_lo, 0, v12
	s_delay_alu instid0(VALU_DEP_2) | instskip(NEXT) | instid1(VALU_DEP_1)
	v_min_u32_e32 v10, 32, v10
	v_subrev_nc_u32_e32 v11, 29, v10
	s_delay_alu instid0(VALU_DEP_1) | instskip(NEXT) | instid1(VALU_DEP_1)
	v_dual_sub_nc_u32 v10, 30, v10 :: v_dual_lshlrev_b32 v11, v11, v7
	v_dual_cndmask_b32 v10, v12, v10, vcc_lo :: v_dual_bitop2_b32 v11, 3, v11 bitop3:0x40
	s_delay_alu instid0(VALU_DEP_1) | instskip(NEXT) | instid1(VALU_DEP_2)
	v_lshl_add_u32 v10, v10, 23, 0x37800000
	v_cndmask_b32_e32 v9, v9, v11, vcc_lo
	s_delay_alu instid0(VALU_DEP_1) | instskip(NEXT) | instid1(VALU_DEP_1)
	v_dual_lshlrev_b32 v13, 24, v7 :: v_dual_lshlrev_b32 v9, 21, v9
	v_and_b32_e32 v11, 0x80000000, v13
	s_delay_alu instid0(VALU_DEP_1)
	v_or3_b32 v9, v11, v10, v9
.LBB246_188:
	s_or_b32 exec_lo, exec_lo, s20
	v_and_b32_e32 v11, 0xff, v6
	s_mov_b32 s0, 0
	s_mov_b32 s20, exec_lo
	s_delay_alu instid0(VALU_DEP_1)
	v_cmpx_lt_i16_e32 0x7f, v11
	s_xor_b32 s20, exec_lo, s20
	s_cbranch_execnz .LBB246_401
; %bb.189:
	s_or_saveexec_b32 s20, s20
	v_mov_b32_e32 v10, 0x7f800001
	s_xor_b32 exec_lo, exec_lo, s20
	s_cbranch_execnz .LBB246_404
.LBB246_190:
	s_or_b32 exec_lo, exec_lo, s20
	s_and_saveexec_b32 s20, s0
	s_cbranch_execz .LBB246_192
.LBB246_191:
	v_bfe_u32 v10, v4, 8, 2
	v_bfe_u32 v13, v4, 10, 5
	v_lshlrev_b32_e32 v14, 24, v6
	s_delay_alu instid0(VALU_DEP_3) | instskip(NEXT) | instid1(VALU_DEP_3)
	v_clz_i32_u32_e32 v11, v10
	v_cmp_eq_u32_e32 vcc_lo, 0, v13
	s_delay_alu instid0(VALU_DEP_2) | instskip(NEXT) | instid1(VALU_DEP_1)
	v_min_u32_e32 v11, 32, v11
	v_subrev_nc_u32_e32 v12, 29, v11
	s_delay_alu instid0(VALU_DEP_1) | instskip(NEXT) | instid1(VALU_DEP_1)
	v_dual_sub_nc_u32 v11, 30, v11 :: v_dual_lshlrev_b32 v12, v12, v6
	v_dual_cndmask_b32 v11, v13, v11, vcc_lo :: v_dual_bitop2_b32 v12, 3, v12 bitop3:0x40
	s_delay_alu instid0(VALU_DEP_1) | instskip(SKIP_1) | instid1(VALU_DEP_3)
	v_cndmask_b32_e32 v10, v10, v12, vcc_lo
	v_and_b32_e32 v12, 0x80000000, v14
	v_lshl_add_u32 v11, v11, 23, 0x37800000
	s_delay_alu instid0(VALU_DEP_3) | instskip(NEXT) | instid1(VALU_DEP_1)
	v_lshlrev_b32_e32 v10, 21, v10
	v_or3_b32 v10, v12, v11, v10
.LBB246_192:
	s_or_b32 exec_lo, exec_lo, s20
	s_delay_alu instid0(VALU_DEP_1)
	v_cmp_neq_f32_e64 s20, v9, v10
	s_branch .LBB246_203
.LBB246_193:
                                        ; implicit-def: $sgpr20
	s_cbranch_execz .LBB246_203
; %bb.194:
	s_mov_b32 s0, 0
	s_mov_b32 s20, exec_lo
	s_wait_xcnt 0x0
	v_cmpx_lt_i16_e32 0x7f, v8
	s_xor_b32 s20, exec_lo, s20
	s_cbranch_execnz .LBB246_525
; %bb.195:
	s_or_saveexec_b32 s20, s20
	v_mov_b32_e32 v9, 0x7f800001
	s_xor_b32 exec_lo, exec_lo, s20
	s_cbranch_execnz .LBB246_528
.LBB246_196:
	s_or_b32 exec_lo, exec_lo, s20
	s_and_saveexec_b32 s20, s0
	s_cbranch_execz .LBB246_198
.LBB246_197:
	v_bfe_u32 v8, v5, 8, 2
	v_bfe_u32 v11, v5, 10, 5
	s_delay_alu instid0(VALU_DEP_2) | instskip(NEXT) | instid1(VALU_DEP_2)
	v_clz_i32_u32_e32 v9, v8
	v_cmp_eq_u32_e32 vcc_lo, 0, v11
	s_delay_alu instid0(VALU_DEP_2) | instskip(NEXT) | instid1(VALU_DEP_1)
	v_min_u32_e32 v9, 32, v9
	v_subrev_nc_u32_e32 v10, 29, v9
	s_delay_alu instid0(VALU_DEP_1) | instskip(NEXT) | instid1(VALU_DEP_1)
	v_dual_sub_nc_u32 v9, 30, v9 :: v_dual_lshlrev_b32 v10, v10, v7
	v_dual_lshlrev_b32 v7, 24, v7 :: v_dual_bitop2_b32 v10, 3, v10 bitop3:0x40
	s_delay_alu instid0(VALU_DEP_2) | instskip(NEXT) | instid1(VALU_DEP_2)
	v_cndmask_b32_e32 v9, v11, v9, vcc_lo
	v_and_b32_e32 v7, 0x80000000, v7
	s_delay_alu instid0(VALU_DEP_3) | instskip(NEXT) | instid1(VALU_DEP_3)
	v_cndmask_b32_e32 v8, v8, v10, vcc_lo
	v_lshl_add_u32 v9, v9, 23, 0x37800000
	s_delay_alu instid0(VALU_DEP_2) | instskip(NEXT) | instid1(VALU_DEP_1)
	v_lshlrev_b32_e32 v8, 21, v8
	v_or3_b32 v9, v7, v9, v8
.LBB246_198:
	s_or_b32 exec_lo, exec_lo, s20
	v_and_b32_e32 v8, 0xff, v6
	s_mov_b32 s0, 0
	s_mov_b32 s20, exec_lo
	s_delay_alu instid0(VALU_DEP_1)
	v_cmpx_lt_i16_e32 0x7f, v8
	s_xor_b32 s20, exec_lo, s20
	s_cbranch_execnz .LBB246_529
; %bb.199:
	s_or_saveexec_b32 s20, s20
	v_mov_b32_e32 v7, 0x7f800001
	s_xor_b32 exec_lo, exec_lo, s20
	s_cbranch_execnz .LBB246_532
.LBB246_200:
	s_or_b32 exec_lo, exec_lo, s20
	s_and_saveexec_b32 s20, s0
	s_cbranch_execz .LBB246_202
.LBB246_201:
	v_bfe_u32 v7, v4, 8, 2
	v_bfe_u32 v11, v4, 10, 5
	s_delay_alu instid0(VALU_DEP_2) | instskip(NEXT) | instid1(VALU_DEP_2)
	v_clz_i32_u32_e32 v8, v7
	v_cmp_eq_u32_e32 vcc_lo, 0, v11
	s_delay_alu instid0(VALU_DEP_2) | instskip(NEXT) | instid1(VALU_DEP_1)
	v_min_u32_e32 v8, 32, v8
	v_subrev_nc_u32_e32 v10, 29, v8
	s_delay_alu instid0(VALU_DEP_1) | instskip(NEXT) | instid1(VALU_DEP_1)
	v_dual_sub_nc_u32 v8, 30, v8 :: v_dual_lshlrev_b32 v10, v10, v6
	v_dual_cndmask_b32 v8, v11, v8, vcc_lo :: v_dual_bitop2_b32 v10, 3, v10 bitop3:0x40
	s_delay_alu instid0(VALU_DEP_1) | instskip(NEXT) | instid1(VALU_DEP_2)
	v_lshl_add_u32 v8, v8, 23, 0x37800000
	v_cndmask_b32_e32 v7, v7, v10, vcc_lo
	s_delay_alu instid0(VALU_DEP_1) | instskip(NEXT) | instid1(VALU_DEP_1)
	v_dual_lshlrev_b32 v6, 24, v6 :: v_dual_lshlrev_b32 v7, 21, v7
	v_and_b32_e32 v6, 0x80000000, v6
	s_delay_alu instid0(VALU_DEP_1)
	v_or3_b32 v7, v6, v8, v7
.LBB246_202:
	s_or_b32 exec_lo, exec_lo, s20
	s_delay_alu instid0(VALU_DEP_1)
	v_cmp_eq_f32_e64 s20, v9, v7
.LBB246_203:
	v_dual_lshrrev_b32 v7, 16, v5 :: v_dual_lshrrev_b32 v6, 16, v4
	v_cmp_ne_u32_e32 vcc_lo, 1, v3
	s_delay_alu instid0(VALU_DEP_2)
	v_and_b32_e32 v8, 0xff, v7
	s_cbranch_vccnz .LBB246_213
; %bb.204:
	s_mov_b32 s0, 0
	s_mov_b32 s21, exec_lo
	s_wait_xcnt 0x0
	v_cmpx_lt_i16_e32 0x7f, v8
	s_xor_b32 s21, exec_lo, s21
	s_cbranch_execnz .LBB246_405
; %bb.205:
	s_or_saveexec_b32 s21, s21
	v_mov_b32_e32 v9, 0x7f800001
	s_xor_b32 exec_lo, exec_lo, s21
	s_cbranch_execnz .LBB246_408
.LBB246_206:
	s_or_b32 exec_lo, exec_lo, s21
	s_and_saveexec_b32 s21, s0
	s_cbranch_execz .LBB246_208
.LBB246_207:
	v_bfe_u32 v9, v5, 16, 2
	v_bfe_u32 v12, v5, 18, 5
	s_delay_alu instid0(VALU_DEP_2) | instskip(NEXT) | instid1(VALU_DEP_2)
	v_clz_i32_u32_e32 v10, v9
	v_cmp_eq_u32_e32 vcc_lo, 0, v12
	s_delay_alu instid0(VALU_DEP_2) | instskip(NEXT) | instid1(VALU_DEP_1)
	v_min_u32_e32 v10, 32, v10
	v_subrev_nc_u32_e32 v11, 29, v10
	s_delay_alu instid0(VALU_DEP_1) | instskip(NEXT) | instid1(VALU_DEP_1)
	v_dual_sub_nc_u32 v10, 30, v10 :: v_dual_lshlrev_b32 v11, v11, v7
	v_dual_cndmask_b32 v10, v12, v10, vcc_lo :: v_dual_bitop2_b32 v11, 3, v11 bitop3:0x40
	s_delay_alu instid0(VALU_DEP_1) | instskip(NEXT) | instid1(VALU_DEP_2)
	v_lshl_add_u32 v10, v10, 23, 0x37800000
	v_cndmask_b32_e32 v9, v9, v11, vcc_lo
	s_delay_alu instid0(VALU_DEP_1) | instskip(NEXT) | instid1(VALU_DEP_1)
	v_dual_lshlrev_b32 v13, 24, v7 :: v_dual_lshlrev_b32 v9, 21, v9
	v_and_b32_e32 v11, 0x80000000, v13
	s_delay_alu instid0(VALU_DEP_1)
	v_or3_b32 v9, v11, v10, v9
.LBB246_208:
	s_or_b32 exec_lo, exec_lo, s21
	v_and_b32_e32 v11, 0xff, v6
	s_mov_b32 s0, 0
	s_mov_b32 s21, exec_lo
	s_delay_alu instid0(VALU_DEP_1)
	v_cmpx_lt_i16_e32 0x7f, v11
	s_xor_b32 s21, exec_lo, s21
	s_cbranch_execnz .LBB246_409
; %bb.209:
	s_or_saveexec_b32 s21, s21
	v_mov_b32_e32 v10, 0x7f800001
	s_xor_b32 exec_lo, exec_lo, s21
	s_cbranch_execnz .LBB246_412
.LBB246_210:
	s_or_b32 exec_lo, exec_lo, s21
	s_and_saveexec_b32 s21, s0
	s_cbranch_execz .LBB246_212
.LBB246_211:
	v_bfe_u32 v10, v4, 16, 2
	v_bfe_u32 v13, v4, 18, 5
	v_lshlrev_b32_e32 v14, 24, v6
	s_delay_alu instid0(VALU_DEP_3) | instskip(NEXT) | instid1(VALU_DEP_3)
	v_clz_i32_u32_e32 v11, v10
	v_cmp_eq_u32_e32 vcc_lo, 0, v13
	s_delay_alu instid0(VALU_DEP_2) | instskip(NEXT) | instid1(VALU_DEP_1)
	v_min_u32_e32 v11, 32, v11
	v_subrev_nc_u32_e32 v12, 29, v11
	s_delay_alu instid0(VALU_DEP_1) | instskip(NEXT) | instid1(VALU_DEP_1)
	v_dual_sub_nc_u32 v11, 30, v11 :: v_dual_lshlrev_b32 v12, v12, v6
	v_dual_cndmask_b32 v11, v13, v11, vcc_lo :: v_dual_bitop2_b32 v12, 3, v12 bitop3:0x40
	s_delay_alu instid0(VALU_DEP_1) | instskip(SKIP_1) | instid1(VALU_DEP_3)
	v_cndmask_b32_e32 v10, v10, v12, vcc_lo
	v_and_b32_e32 v12, 0x80000000, v14
	v_lshl_add_u32 v11, v11, 23, 0x37800000
	s_delay_alu instid0(VALU_DEP_3) | instskip(NEXT) | instid1(VALU_DEP_1)
	v_lshlrev_b32_e32 v10, 21, v10
	v_or3_b32 v10, v12, v11, v10
.LBB246_212:
	s_or_b32 exec_lo, exec_lo, s21
	s_delay_alu instid0(VALU_DEP_1)
	v_cmp_neq_f32_e64 s21, v9, v10
	s_branch .LBB246_223
.LBB246_213:
                                        ; implicit-def: $sgpr21
	s_cbranch_execz .LBB246_223
; %bb.214:
	s_mov_b32 s0, 0
	s_mov_b32 s21, exec_lo
	s_wait_xcnt 0x0
	v_cmpx_lt_i16_e32 0x7f, v8
	s_xor_b32 s21, exec_lo, s21
	s_cbranch_execnz .LBB246_533
; %bb.215:
	s_or_saveexec_b32 s21, s21
	v_mov_b32_e32 v9, 0x7f800001
	s_xor_b32 exec_lo, exec_lo, s21
	s_cbranch_execnz .LBB246_536
.LBB246_216:
	s_or_b32 exec_lo, exec_lo, s21
	s_and_saveexec_b32 s21, s0
	s_cbranch_execz .LBB246_218
.LBB246_217:
	v_bfe_u32 v8, v5, 16, 2
	v_bfe_u32 v11, v5, 18, 5
	s_delay_alu instid0(VALU_DEP_2) | instskip(NEXT) | instid1(VALU_DEP_2)
	v_clz_i32_u32_e32 v9, v8
	v_cmp_eq_u32_e32 vcc_lo, 0, v11
	s_delay_alu instid0(VALU_DEP_2) | instskip(NEXT) | instid1(VALU_DEP_1)
	v_min_u32_e32 v9, 32, v9
	v_subrev_nc_u32_e32 v10, 29, v9
	s_delay_alu instid0(VALU_DEP_1) | instskip(NEXT) | instid1(VALU_DEP_1)
	v_dual_sub_nc_u32 v9, 30, v9 :: v_dual_lshlrev_b32 v10, v10, v7
	v_dual_lshlrev_b32 v7, 24, v7 :: v_dual_bitop2_b32 v10, 3, v10 bitop3:0x40
	s_delay_alu instid0(VALU_DEP_2) | instskip(NEXT) | instid1(VALU_DEP_2)
	v_cndmask_b32_e32 v9, v11, v9, vcc_lo
	v_and_b32_e32 v7, 0x80000000, v7
	s_delay_alu instid0(VALU_DEP_3) | instskip(NEXT) | instid1(VALU_DEP_3)
	v_cndmask_b32_e32 v8, v8, v10, vcc_lo
	v_lshl_add_u32 v9, v9, 23, 0x37800000
	s_delay_alu instid0(VALU_DEP_2) | instskip(NEXT) | instid1(VALU_DEP_1)
	v_lshlrev_b32_e32 v8, 21, v8
	v_or3_b32 v9, v7, v9, v8
.LBB246_218:
	s_or_b32 exec_lo, exec_lo, s21
	v_and_b32_e32 v8, 0xff, v6
	s_mov_b32 s0, 0
	s_mov_b32 s21, exec_lo
	s_delay_alu instid0(VALU_DEP_1)
	v_cmpx_lt_i16_e32 0x7f, v8
	s_xor_b32 s21, exec_lo, s21
	s_cbranch_execnz .LBB246_537
; %bb.219:
	s_or_saveexec_b32 s21, s21
	v_mov_b32_e32 v7, 0x7f800001
	s_xor_b32 exec_lo, exec_lo, s21
	s_cbranch_execnz .LBB246_540
.LBB246_220:
	s_or_b32 exec_lo, exec_lo, s21
	s_and_saveexec_b32 s21, s0
	s_cbranch_execz .LBB246_222
.LBB246_221:
	v_bfe_u32 v7, v4, 16, 2
	v_bfe_u32 v11, v4, 18, 5
	s_delay_alu instid0(VALU_DEP_2) | instskip(NEXT) | instid1(VALU_DEP_2)
	v_clz_i32_u32_e32 v8, v7
	v_cmp_eq_u32_e32 vcc_lo, 0, v11
	s_delay_alu instid0(VALU_DEP_2) | instskip(NEXT) | instid1(VALU_DEP_1)
	v_min_u32_e32 v8, 32, v8
	v_subrev_nc_u32_e32 v10, 29, v8
	s_delay_alu instid0(VALU_DEP_1) | instskip(NEXT) | instid1(VALU_DEP_1)
	v_dual_sub_nc_u32 v8, 30, v8 :: v_dual_lshlrev_b32 v10, v10, v6
	v_dual_cndmask_b32 v8, v11, v8, vcc_lo :: v_dual_bitop2_b32 v10, 3, v10 bitop3:0x40
	s_delay_alu instid0(VALU_DEP_1) | instskip(NEXT) | instid1(VALU_DEP_2)
	v_lshl_add_u32 v8, v8, 23, 0x37800000
	v_cndmask_b32_e32 v7, v7, v10, vcc_lo
	s_delay_alu instid0(VALU_DEP_1) | instskip(NEXT) | instid1(VALU_DEP_1)
	v_dual_lshlrev_b32 v6, 24, v6 :: v_dual_lshlrev_b32 v7, 21, v7
	v_and_b32_e32 v6, 0x80000000, v6
	s_delay_alu instid0(VALU_DEP_1)
	v_or3_b32 v7, v6, v8, v7
.LBB246_222:
	s_or_b32 exec_lo, exec_lo, s21
	s_delay_alu instid0(VALU_DEP_1)
	v_cmp_eq_f32_e64 s21, v9, v7
.LBB246_223:
	v_dual_lshrrev_b32 v7, 24, v5 :: v_dual_lshrrev_b32 v6, 24, v4
	v_cmp_ne_u32_e32 vcc_lo, 1, v3
	s_delay_alu instid0(VALU_DEP_2)
	v_cmp_lt_i16_e64 s0, 0x7f, v7
	s_cbranch_vccnz .LBB246_243
; %bb.224:
	s_mov_b32 s22, 0
	s_wait_xcnt 0x0
	s_and_saveexec_b32 s23, s0
	s_delay_alu instid0(SALU_CYCLE_1)
	s_xor_b32 s0, exec_lo, s23
	s_cbranch_execnz .LBB246_413
; %bb.225:
	s_or_saveexec_b32 s0, s0
	v_mov_b32_e32 v8, 0x7f800001
	s_xor_b32 exec_lo, exec_lo, s0
	s_cbranch_execnz .LBB246_416
.LBB246_226:
	s_or_b32 exec_lo, exec_lo, s0
	s_and_saveexec_b32 s0, s22
	s_cbranch_execz .LBB246_228
.LBB246_227:
	v_bfe_u32 v8, v5, 24, 2
	v_bfe_u32 v11, v5, 26, 5
	s_delay_alu instid0(VALU_DEP_2) | instskip(NEXT) | instid1(VALU_DEP_2)
	v_clz_i32_u32_e32 v9, v8
	v_cmp_eq_u32_e32 vcc_lo, 0, v11
	s_delay_alu instid0(VALU_DEP_2) | instskip(NEXT) | instid1(VALU_DEP_1)
	v_min_u32_e32 v9, 32, v9
	v_subrev_nc_u32_e32 v10, 29, v9
	s_delay_alu instid0(VALU_DEP_1) | instskip(NEXT) | instid1(VALU_DEP_1)
	v_dual_sub_nc_u32 v9, 30, v9 :: v_dual_lshlrev_b32 v10, v10, v7
	v_dual_cndmask_b32 v9, v11, v9, vcc_lo :: v_dual_bitop2_b32 v10, 3, v10 bitop3:0x40
	s_delay_alu instid0(VALU_DEP_1) | instskip(NEXT) | instid1(VALU_DEP_2)
	v_lshl_add_u32 v9, v9, 23, 0x37800000
	v_cndmask_b32_e32 v8, v8, v10, vcc_lo
	v_and_b32_e32 v10, 0x80000000, v5
	s_delay_alu instid0(VALU_DEP_2) | instskip(NEXT) | instid1(VALU_DEP_1)
	v_lshlrev_b32_e32 v8, 21, v8
	v_or3_b32 v8, v10, v9, v8
.LBB246_228:
	s_or_b32 exec_lo, exec_lo, s0
	s_mov_b32 s0, 0
	s_mov_b32 s22, exec_lo
	v_cmpx_lt_i16_e32 0x7f, v6
	s_xor_b32 s22, exec_lo, s22
	s_cbranch_execnz .LBB246_417
; %bb.229:
	s_or_saveexec_b32 s22, s22
	v_mov_b32_e32 v9, 0x7f800001
	s_xor_b32 exec_lo, exec_lo, s22
	s_cbranch_execnz .LBB246_420
.LBB246_230:
	s_or_b32 exec_lo, exec_lo, s22
	s_and_saveexec_b32 s22, s0
	s_cbranch_execz .LBB246_232
.LBB246_231:
	v_bfe_u32 v9, v4, 24, 2
	v_bfe_u32 v12, v4, 26, 5
	s_delay_alu instid0(VALU_DEP_2) | instskip(NEXT) | instid1(VALU_DEP_2)
	v_clz_i32_u32_e32 v10, v9
	v_cmp_eq_u32_e32 vcc_lo, 0, v12
	s_delay_alu instid0(VALU_DEP_2) | instskip(NEXT) | instid1(VALU_DEP_1)
	v_min_u32_e32 v10, 32, v10
	v_subrev_nc_u32_e32 v11, 29, v10
	s_delay_alu instid0(VALU_DEP_1) | instskip(NEXT) | instid1(VALU_DEP_1)
	v_lshlrev_b32_e32 v11, v11, v6
	v_dual_sub_nc_u32 v10, 30, v10 :: v_dual_bitop2_b32 v11, 3, v11 bitop3:0x40
	s_delay_alu instid0(VALU_DEP_1) | instskip(SKIP_1) | instid1(VALU_DEP_2)
	v_dual_cndmask_b32 v10, v12, v10 :: v_dual_cndmask_b32 v9, v9, v11
	v_and_b32_e32 v11, 0x80000000, v4
	v_lshl_add_u32 v10, v10, 23, 0x37800000
	s_delay_alu instid0(VALU_DEP_3) | instskip(NEXT) | instid1(VALU_DEP_1)
	v_lshlrev_b32_e32 v9, 21, v9
	v_or3_b32 v9, v11, v10, v9
.LBB246_232:
	s_or_b32 exec_lo, exec_lo, s22
	s_delay_alu instid0(VALU_DEP_1)
	v_cmp_neq_f32_e64 s22, v8, v9
.LBB246_233:
	v_cmp_ne_u32_e32 vcc_lo, 1, v3
	v_and_b32_e32 v4, 0xff, v2
	s_cbranch_vccnz .LBB246_253
.LBB246_234:
	s_mov_b32 s0, 0
	s_mov_b32 s23, exec_lo
	s_wait_xcnt 0x0
	v_cmpx_lt_i16_e32 0x7f, v4
	s_xor_b32 s23, exec_lo, s23
	s_cbranch_execnz .LBB246_421
; %bb.235:
	s_or_saveexec_b32 s23, s23
	v_mov_b32_e32 v5, 0x7f800001
	s_xor_b32 exec_lo, exec_lo, s23
	s_cbranch_execnz .LBB246_424
.LBB246_236:
	s_or_b32 exec_lo, exec_lo, s23
	s_and_saveexec_b32 s23, s0
	s_cbranch_execz .LBB246_238
.LBB246_237:
	v_and_b32_e32 v5, 3, v2
	v_bfe_u32 v8, v2, 2, 5
	s_delay_alu instid0(VALU_DEP_2) | instskip(NEXT) | instid1(VALU_DEP_2)
	v_clz_i32_u32_e32 v6, v5
	v_cmp_eq_u32_e32 vcc_lo, 0, v8
	s_delay_alu instid0(VALU_DEP_2) | instskip(NEXT) | instid1(VALU_DEP_1)
	v_min_u32_e32 v6, 32, v6
	v_subrev_nc_u32_e32 v7, 29, v6
	s_delay_alu instid0(VALU_DEP_1) | instskip(NEXT) | instid1(VALU_DEP_1)
	v_lshlrev_b32_e32 v7, v7, v2
	v_dual_sub_nc_u32 v6, 30, v6 :: v_dual_bitop2_b32 v7, 3, v7 bitop3:0x40
	s_delay_alu instid0(VALU_DEP_1) | instskip(NEXT) | instid1(VALU_DEP_2)
	v_dual_lshlrev_b32 v9, 24, v2 :: v_dual_cndmask_b32 v5, v5, v7, vcc_lo
	v_cndmask_b32_e32 v6, v8, v6, vcc_lo
	s_delay_alu instid0(VALU_DEP_2) | instskip(NEXT) | instid1(VALU_DEP_3)
	v_and_b32_e32 v7, 0x80000000, v9
	v_lshlrev_b32_e32 v5, 21, v5
	s_delay_alu instid0(VALU_DEP_3) | instskip(NEXT) | instid1(VALU_DEP_1)
	v_lshl_add_u32 v6, v6, 23, 0x37800000
	v_or3_b32 v5, v7, v6, v5
.LBB246_238:
	s_or_b32 exec_lo, exec_lo, s23
	s_wait_loadcnt 0x0
	v_and_b32_e32 v7, 0xff, v1
	s_mov_b32 s0, 0
	s_mov_b32 s23, exec_lo
	s_delay_alu instid0(VALU_DEP_1)
	v_cmpx_lt_i16_e32 0x7f, v7
	s_xor_b32 s23, exec_lo, s23
	s_cbranch_execnz .LBB246_425
; %bb.239:
	s_or_saveexec_b32 s23, s23
	v_mov_b32_e32 v6, 0x7f800001
	s_xor_b32 exec_lo, exec_lo, s23
	s_cbranch_execnz .LBB246_428
.LBB246_240:
	s_or_b32 exec_lo, exec_lo, s23
	s_and_saveexec_b32 s23, s0
	s_cbranch_execz .LBB246_242
.LBB246_241:
	v_and_b32_e32 v6, 3, v1
	v_bfe_u32 v9, v1, 2, 5
	s_delay_alu instid0(VALU_DEP_2) | instskip(NEXT) | instid1(VALU_DEP_2)
	v_clz_i32_u32_e32 v7, v6
	v_cmp_eq_u32_e32 vcc_lo, 0, v9
	s_delay_alu instid0(VALU_DEP_2) | instskip(NEXT) | instid1(VALU_DEP_1)
	v_min_u32_e32 v7, 32, v7
	v_subrev_nc_u32_e32 v8, 29, v7
	s_delay_alu instid0(VALU_DEP_1) | instskip(NEXT) | instid1(VALU_DEP_1)
	v_dual_lshlrev_b32 v8, v8, v1 :: v_dual_sub_nc_u32 v7, 30, v7
	v_dual_lshlrev_b32 v10, 24, v1 :: v_dual_bitop2_b32 v8, 3, v8 bitop3:0x40
	s_delay_alu instid0(VALU_DEP_1) | instskip(NEXT) | instid1(VALU_DEP_2)
	v_dual_cndmask_b32 v7, v9, v7 :: v_dual_cndmask_b32 v6, v6, v8
	v_and_b32_e32 v8, 0x80000000, v10
	s_delay_alu instid0(VALU_DEP_2) | instskip(NEXT) | instid1(VALU_DEP_3)
	v_lshl_add_u32 v7, v7, 23, 0x37800000
	v_lshlrev_b32_e32 v6, 21, v6
	s_delay_alu instid0(VALU_DEP_1)
	v_or3_b32 v6, v8, v7, v6
.LBB246_242:
	s_or_b32 exec_lo, exec_lo, s23
	s_delay_alu instid0(VALU_DEP_1)
	v_cmp_neq_f32_e64 s23, v5, v6
	s_branch .LBB246_263
.LBB246_243:
                                        ; implicit-def: $sgpr22
	s_cbranch_execz .LBB246_233
; %bb.244:
	s_mov_b32 s0, 0
	s_mov_b32 s22, exec_lo
	s_wait_xcnt 0x0
	v_cmpx_lt_i16_e32 0x7f, v7
	s_xor_b32 s22, exec_lo, s22
	s_cbranch_execnz .LBB246_541
; %bb.245:
	s_or_saveexec_b32 s22, s22
	v_mov_b32_e32 v8, 0x7f800001
	s_xor_b32 exec_lo, exec_lo, s22
	s_cbranch_execnz .LBB246_544
.LBB246_246:
	s_or_b32 exec_lo, exec_lo, s22
	s_and_saveexec_b32 s22, s0
	s_cbranch_execz .LBB246_248
.LBB246_247:
	v_bfe_u32 v8, v5, 24, 2
	s_delay_alu instid0(VALU_DEP_1) | instskip(NEXT) | instid1(VALU_DEP_1)
	v_clz_i32_u32_e32 v9, v8
	v_min_u32_e32 v9, 32, v9
	s_delay_alu instid0(VALU_DEP_1) | instskip(NEXT) | instid1(VALU_DEP_1)
	v_subrev_nc_u32_e32 v10, 29, v9
	v_dual_sub_nc_u32 v9, 30, v9 :: v_dual_lshlrev_b32 v7, v10, v7
	v_bfe_u32 v10, v5, 26, 5
	v_and_b32_e32 v5, 0x80000000, v5
	s_delay_alu instid0(VALU_DEP_2) | instskip(NEXT) | instid1(VALU_DEP_4)
	v_cmp_eq_u32_e32 vcc_lo, 0, v10
	v_dual_cndmask_b32 v9, v10, v9, vcc_lo :: v_dual_bitop2_b32 v7, 3, v7 bitop3:0x40
	s_delay_alu instid0(VALU_DEP_1) | instskip(NEXT) | instid1(VALU_DEP_2)
	v_cndmask_b32_e32 v7, v8, v7, vcc_lo
	v_lshl_add_u32 v8, v9, 23, 0x37800000
	s_delay_alu instid0(VALU_DEP_2) | instskip(NEXT) | instid1(VALU_DEP_1)
	v_lshlrev_b32_e32 v7, 21, v7
	v_or3_b32 v8, v5, v8, v7
.LBB246_248:
	s_or_b32 exec_lo, exec_lo, s22
	s_mov_b32 s0, 0
	s_mov_b32 s22, exec_lo
	v_cmpx_lt_i16_e32 0x7f, v6
	s_xor_b32 s22, exec_lo, s22
	s_cbranch_execnz .LBB246_545
; %bb.249:
	s_or_saveexec_b32 s22, s22
	v_mov_b32_e32 v5, 0x7f800001
	s_xor_b32 exec_lo, exec_lo, s22
	s_cbranch_execnz .LBB246_548
.LBB246_250:
	s_or_b32 exec_lo, exec_lo, s22
	s_and_saveexec_b32 s22, s0
	s_cbranch_execz .LBB246_252
.LBB246_251:
	v_bfe_u32 v5, v4, 24, 2
	s_delay_alu instid0(VALU_DEP_1) | instskip(NEXT) | instid1(VALU_DEP_1)
	v_clz_i32_u32_e32 v7, v5
	v_min_u32_e32 v7, 32, v7
	s_delay_alu instid0(VALU_DEP_1) | instskip(NEXT) | instid1(VALU_DEP_1)
	v_subrev_nc_u32_e32 v9, 29, v7
	v_dual_sub_nc_u32 v7, 30, v7 :: v_dual_lshlrev_b32 v6, v9, v6
	v_bfe_u32 v9, v4, 26, 5
	v_and_b32_e32 v4, 0x80000000, v4
	s_delay_alu instid0(VALU_DEP_2) | instskip(NEXT) | instid1(VALU_DEP_4)
	v_cmp_eq_u32_e32 vcc_lo, 0, v9
	v_dual_cndmask_b32 v7, v9, v7, vcc_lo :: v_dual_bitop2_b32 v6, 3, v6 bitop3:0x40
	s_delay_alu instid0(VALU_DEP_1) | instskip(NEXT) | instid1(VALU_DEP_2)
	v_cndmask_b32_e32 v5, v5, v6, vcc_lo
	v_lshl_add_u32 v6, v7, 23, 0x37800000
	s_delay_alu instid0(VALU_DEP_2) | instskip(NEXT) | instid1(VALU_DEP_1)
	v_lshlrev_b32_e32 v5, 21, v5
	v_or3_b32 v5, v4, v6, v5
.LBB246_252:
	s_or_b32 exec_lo, exec_lo, s22
	s_delay_alu instid0(VALU_DEP_1)
	v_cmp_eq_f32_e64 s22, v8, v5
	v_cmp_ne_u32_e32 vcc_lo, 1, v3
	v_and_b32_e32 v4, 0xff, v2
	s_cbranch_vccz .LBB246_234
.LBB246_253:
                                        ; implicit-def: $sgpr23
	s_cbranch_execz .LBB246_263
; %bb.254:
	s_mov_b32 s0, 0
	s_mov_b32 s23, exec_lo
	s_wait_xcnt 0x0
	v_cmpx_lt_i16_e32 0x7f, v4
	s_xor_b32 s23, exec_lo, s23
	s_cbranch_execnz .LBB246_549
; %bb.255:
	s_or_saveexec_b32 s23, s23
	v_mov_b32_e32 v5, 0x7f800001
	s_xor_b32 exec_lo, exec_lo, s23
	s_cbranch_execnz .LBB246_552
.LBB246_256:
	s_or_b32 exec_lo, exec_lo, s23
	s_and_saveexec_b32 s23, s0
	s_cbranch_execz .LBB246_258
.LBB246_257:
	v_and_b32_e32 v4, 3, v2
	v_bfe_u32 v7, v2, 2, 5
	s_delay_alu instid0(VALU_DEP_2) | instskip(NEXT) | instid1(VALU_DEP_2)
	v_clz_i32_u32_e32 v5, v4
	v_cmp_eq_u32_e32 vcc_lo, 0, v7
	s_delay_alu instid0(VALU_DEP_2) | instskip(NEXT) | instid1(VALU_DEP_1)
	v_min_u32_e32 v5, 32, v5
	v_subrev_nc_u32_e32 v6, 29, v5
	s_delay_alu instid0(VALU_DEP_1) | instskip(NEXT) | instid1(VALU_DEP_1)
	v_dual_lshlrev_b32 v6, v6, v2 :: v_dual_sub_nc_u32 v5, 30, v5
	v_and_b32_e32 v6, 3, v6
	s_delay_alu instid0(VALU_DEP_2) | instskip(NEXT) | instid1(VALU_DEP_2)
	v_dual_cndmask_b32 v5, v7, v5 :: v_dual_lshlrev_b32 v8, 24, v2
	v_cndmask_b32_e32 v4, v4, v6, vcc_lo
	s_delay_alu instid0(VALU_DEP_2) | instskip(NEXT) | instid1(VALU_DEP_3)
	v_and_b32_e32 v6, 0x80000000, v8
	v_lshl_add_u32 v5, v5, 23, 0x37800000
	s_delay_alu instid0(VALU_DEP_3) | instskip(NEXT) | instid1(VALU_DEP_1)
	v_lshlrev_b32_e32 v4, 21, v4
	v_or3_b32 v5, v6, v5, v4
.LBB246_258:
	s_or_b32 exec_lo, exec_lo, s23
	s_wait_loadcnt 0x0
	v_and_b32_e32 v6, 0xff, v1
	s_mov_b32 s0, 0
	s_mov_b32 s23, exec_lo
	s_delay_alu instid0(VALU_DEP_1)
	v_cmpx_lt_i16_e32 0x7f, v6
	s_xor_b32 s23, exec_lo, s23
	s_cbranch_execnz .LBB246_553
; %bb.259:
	s_or_saveexec_b32 s23, s23
	v_mov_b32_e32 v4, 0x7f800001
	s_xor_b32 exec_lo, exec_lo, s23
	s_cbranch_execnz .LBB246_556
.LBB246_260:
	s_or_b32 exec_lo, exec_lo, s23
	s_and_saveexec_b32 s23, s0
	s_cbranch_execz .LBB246_262
.LBB246_261:
	v_and_b32_e32 v4, 3, v1
	v_bfe_u32 v8, v1, 2, 5
	s_delay_alu instid0(VALU_DEP_2) | instskip(NEXT) | instid1(VALU_DEP_2)
	v_clz_i32_u32_e32 v6, v4
	v_cmp_eq_u32_e32 vcc_lo, 0, v8
	s_delay_alu instid0(VALU_DEP_2) | instskip(NEXT) | instid1(VALU_DEP_1)
	v_min_u32_e32 v6, 32, v6
	v_subrev_nc_u32_e32 v7, 29, v6
	s_delay_alu instid0(VALU_DEP_1) | instskip(NEXT) | instid1(VALU_DEP_1)
	v_dual_lshlrev_b32 v7, v7, v1 :: v_dual_sub_nc_u32 v6, 30, v6
	v_dual_lshlrev_b32 v9, 24, v1 :: v_dual_bitop2_b32 v7, 3, v7 bitop3:0x40
	s_delay_alu instid0(VALU_DEP_2) | instskip(NEXT) | instid1(VALU_DEP_2)
	v_cndmask_b32_e32 v6, v8, v6, vcc_lo
	v_cndmask_b32_e32 v4, v4, v7, vcc_lo
	s_delay_alu instid0(VALU_DEP_3) | instskip(NEXT) | instid1(VALU_DEP_3)
	v_and_b32_e32 v7, 0x80000000, v9
	v_lshl_add_u32 v6, v6, 23, 0x37800000
	s_delay_alu instid0(VALU_DEP_3) | instskip(NEXT) | instid1(VALU_DEP_1)
	v_lshlrev_b32_e32 v4, 21, v4
	v_or3_b32 v4, v7, v6, v4
.LBB246_262:
	s_or_b32 exec_lo, exec_lo, s23
	s_delay_alu instid0(VALU_DEP_1)
	v_cmp_eq_f32_e64 s23, v5, v4
.LBB246_263:
	s_wait_loadcnt 0x0
	v_dual_lshrrev_b32 v5, 8, v2 :: v_dual_lshrrev_b32 v4, 8, v1
	v_cmp_ne_u32_e32 vcc_lo, 1, v3
	s_delay_alu instid0(VALU_DEP_2)
	v_and_b32_e32 v6, 0xff, v5
	s_cbranch_vccnz .LBB246_273
; %bb.264:
	s_mov_b32 s0, 0
	s_mov_b32 s24, exec_lo
	s_delay_alu instid0(VALU_DEP_1)
	v_cmpx_lt_i16_e32 0x7f, v6
	s_xor_b32 s24, exec_lo, s24
	s_cbranch_execnz .LBB246_429
; %bb.265:
	s_or_saveexec_b32 s24, s24
	v_mov_b32_e32 v7, 0x7f800001
	s_xor_b32 exec_lo, exec_lo, s24
	s_cbranch_execnz .LBB246_432
.LBB246_266:
	s_or_b32 exec_lo, exec_lo, s24
	s_and_saveexec_b32 s24, s0
	s_cbranch_execz .LBB246_268
.LBB246_267:
	v_bfe_u32 v7, v2, 8, 2
	v_bfe_u32 v10, v2, 10, 5
	s_delay_alu instid0(VALU_DEP_2) | instskip(NEXT) | instid1(VALU_DEP_2)
	v_clz_i32_u32_e32 v8, v7
	v_cmp_eq_u32_e32 vcc_lo, 0, v10
	s_delay_alu instid0(VALU_DEP_2) | instskip(NEXT) | instid1(VALU_DEP_1)
	v_min_u32_e32 v8, 32, v8
	v_subrev_nc_u32_e32 v9, 29, v8
	s_delay_alu instid0(VALU_DEP_1) | instskip(NEXT) | instid1(VALU_DEP_1)
	v_dual_sub_nc_u32 v8, 30, v8 :: v_dual_lshlrev_b32 v9, v9, v5
	v_dual_cndmask_b32 v8, v10, v8, vcc_lo :: v_dual_bitop2_b32 v9, 3, v9 bitop3:0x40
	s_delay_alu instid0(VALU_DEP_1) | instskip(NEXT) | instid1(VALU_DEP_2)
	v_lshl_add_u32 v8, v8, 23, 0x37800000
	v_cndmask_b32_e32 v7, v7, v9, vcc_lo
	s_delay_alu instid0(VALU_DEP_1) | instskip(NEXT) | instid1(VALU_DEP_1)
	v_dual_lshlrev_b32 v11, 24, v5 :: v_dual_lshlrev_b32 v7, 21, v7
	v_and_b32_e32 v9, 0x80000000, v11
	s_delay_alu instid0(VALU_DEP_1)
	v_or3_b32 v7, v9, v8, v7
.LBB246_268:
	s_or_b32 exec_lo, exec_lo, s24
	v_and_b32_e32 v9, 0xff, v4
	s_mov_b32 s0, 0
	s_mov_b32 s24, exec_lo
	s_delay_alu instid0(VALU_DEP_1)
	v_cmpx_lt_i16_e32 0x7f, v9
	s_xor_b32 s24, exec_lo, s24
	s_cbranch_execnz .LBB246_433
; %bb.269:
	s_or_saveexec_b32 s24, s24
	v_mov_b32_e32 v8, 0x7f800001
	s_xor_b32 exec_lo, exec_lo, s24
	s_cbranch_execnz .LBB246_436
.LBB246_270:
	s_or_b32 exec_lo, exec_lo, s24
	s_and_saveexec_b32 s24, s0
	s_cbranch_execz .LBB246_272
.LBB246_271:
	v_bfe_u32 v8, v1, 8, 2
	v_bfe_u32 v11, v1, 10, 5
	v_lshlrev_b32_e32 v12, 24, v4
	s_delay_alu instid0(VALU_DEP_3) | instskip(NEXT) | instid1(VALU_DEP_3)
	v_clz_i32_u32_e32 v9, v8
	v_cmp_eq_u32_e32 vcc_lo, 0, v11
	s_delay_alu instid0(VALU_DEP_2) | instskip(NEXT) | instid1(VALU_DEP_1)
	v_min_u32_e32 v9, 32, v9
	v_subrev_nc_u32_e32 v10, 29, v9
	s_delay_alu instid0(VALU_DEP_1) | instskip(NEXT) | instid1(VALU_DEP_1)
	v_dual_sub_nc_u32 v9, 30, v9 :: v_dual_lshlrev_b32 v10, v10, v4
	v_dual_cndmask_b32 v9, v11, v9, vcc_lo :: v_dual_bitop2_b32 v10, 3, v10 bitop3:0x40
	s_delay_alu instid0(VALU_DEP_1) | instskip(SKIP_1) | instid1(VALU_DEP_3)
	v_cndmask_b32_e32 v8, v8, v10, vcc_lo
	v_and_b32_e32 v10, 0x80000000, v12
	v_lshl_add_u32 v9, v9, 23, 0x37800000
	s_delay_alu instid0(VALU_DEP_3) | instskip(NEXT) | instid1(VALU_DEP_1)
	v_lshlrev_b32_e32 v8, 21, v8
	v_or3_b32 v8, v10, v9, v8
.LBB246_272:
	s_or_b32 exec_lo, exec_lo, s24
	s_delay_alu instid0(VALU_DEP_1)
	v_cmp_neq_f32_e64 s24, v7, v8
	s_branch .LBB246_283
.LBB246_273:
                                        ; implicit-def: $sgpr24
	s_cbranch_execz .LBB246_283
; %bb.274:
	s_mov_b32 s0, 0
	s_mov_b32 s24, exec_lo
	v_cmpx_lt_i16_e32 0x7f, v6
	s_xor_b32 s24, exec_lo, s24
	s_cbranch_execnz .LBB246_557
; %bb.275:
	s_or_saveexec_b32 s24, s24
	v_mov_b32_e32 v7, 0x7f800001
	s_xor_b32 exec_lo, exec_lo, s24
	s_cbranch_execnz .LBB246_560
.LBB246_276:
	s_or_b32 exec_lo, exec_lo, s24
	s_and_saveexec_b32 s24, s0
	s_cbranch_execz .LBB246_278
.LBB246_277:
	v_bfe_u32 v6, v2, 8, 2
	v_bfe_u32 v9, v2, 10, 5
	s_delay_alu instid0(VALU_DEP_2) | instskip(NEXT) | instid1(VALU_DEP_2)
	v_clz_i32_u32_e32 v7, v6
	v_cmp_eq_u32_e32 vcc_lo, 0, v9
	s_delay_alu instid0(VALU_DEP_2) | instskip(NEXT) | instid1(VALU_DEP_1)
	v_min_u32_e32 v7, 32, v7
	v_subrev_nc_u32_e32 v8, 29, v7
	s_delay_alu instid0(VALU_DEP_1) | instskip(NEXT) | instid1(VALU_DEP_1)
	v_dual_sub_nc_u32 v7, 30, v7 :: v_dual_lshlrev_b32 v8, v8, v5
	v_dual_lshlrev_b32 v5, 24, v5 :: v_dual_bitop2_b32 v8, 3, v8 bitop3:0x40
	s_delay_alu instid0(VALU_DEP_2) | instskip(NEXT) | instid1(VALU_DEP_2)
	v_cndmask_b32_e32 v7, v9, v7, vcc_lo
	v_and_b32_e32 v5, 0x80000000, v5
	s_delay_alu instid0(VALU_DEP_3) | instskip(NEXT) | instid1(VALU_DEP_3)
	v_cndmask_b32_e32 v6, v6, v8, vcc_lo
	v_lshl_add_u32 v7, v7, 23, 0x37800000
	s_delay_alu instid0(VALU_DEP_2) | instskip(NEXT) | instid1(VALU_DEP_1)
	v_lshlrev_b32_e32 v6, 21, v6
	v_or3_b32 v7, v5, v7, v6
.LBB246_278:
	s_or_b32 exec_lo, exec_lo, s24
	v_and_b32_e32 v6, 0xff, v4
	s_mov_b32 s0, 0
	s_mov_b32 s24, exec_lo
	s_delay_alu instid0(VALU_DEP_1)
	v_cmpx_lt_i16_e32 0x7f, v6
	s_xor_b32 s24, exec_lo, s24
	s_cbranch_execnz .LBB246_561
; %bb.279:
	s_or_saveexec_b32 s24, s24
	v_mov_b32_e32 v5, 0x7f800001
	s_xor_b32 exec_lo, exec_lo, s24
	s_cbranch_execnz .LBB246_564
.LBB246_280:
	s_or_b32 exec_lo, exec_lo, s24
	s_and_saveexec_b32 s24, s0
	s_cbranch_execz .LBB246_282
.LBB246_281:
	v_bfe_u32 v5, v1, 8, 2
	v_bfe_u32 v9, v1, 10, 5
	s_delay_alu instid0(VALU_DEP_2) | instskip(NEXT) | instid1(VALU_DEP_2)
	v_clz_i32_u32_e32 v6, v5
	v_cmp_eq_u32_e32 vcc_lo, 0, v9
	s_delay_alu instid0(VALU_DEP_2) | instskip(NEXT) | instid1(VALU_DEP_1)
	v_min_u32_e32 v6, 32, v6
	v_subrev_nc_u32_e32 v8, 29, v6
	s_delay_alu instid0(VALU_DEP_1) | instskip(NEXT) | instid1(VALU_DEP_1)
	v_dual_sub_nc_u32 v6, 30, v6 :: v_dual_lshlrev_b32 v8, v8, v4
	v_dual_cndmask_b32 v6, v9, v6, vcc_lo :: v_dual_bitop2_b32 v8, 3, v8 bitop3:0x40
	s_delay_alu instid0(VALU_DEP_1) | instskip(NEXT) | instid1(VALU_DEP_2)
	v_lshl_add_u32 v6, v6, 23, 0x37800000
	v_cndmask_b32_e32 v5, v5, v8, vcc_lo
	s_delay_alu instid0(VALU_DEP_1) | instskip(NEXT) | instid1(VALU_DEP_1)
	v_dual_lshlrev_b32 v4, 24, v4 :: v_dual_lshlrev_b32 v5, 21, v5
	v_and_b32_e32 v4, 0x80000000, v4
	s_delay_alu instid0(VALU_DEP_1)
	v_or3_b32 v5, v4, v6, v5
.LBB246_282:
	s_or_b32 exec_lo, exec_lo, s24
	s_delay_alu instid0(VALU_DEP_1)
	v_cmp_eq_f32_e64 s24, v7, v5
.LBB246_283:
	v_dual_lshrrev_b32 v5, 16, v2 :: v_dual_lshrrev_b32 v4, 16, v1
	v_cmp_ne_u32_e32 vcc_lo, 1, v3
	s_delay_alu instid0(VALU_DEP_2)
	v_and_b32_e32 v6, 0xff, v5
	s_cbranch_vccnz .LBB246_293
; %bb.284:
	s_mov_b32 s0, 0
	s_mov_b32 s25, exec_lo
	s_delay_alu instid0(VALU_DEP_1)
	v_cmpx_lt_i16_e32 0x7f, v6
	s_xor_b32 s25, exec_lo, s25
	s_cbranch_execnz .LBB246_437
; %bb.285:
	s_or_saveexec_b32 s25, s25
	v_mov_b32_e32 v7, 0x7f800001
	s_xor_b32 exec_lo, exec_lo, s25
	s_cbranch_execnz .LBB246_440
.LBB246_286:
	s_or_b32 exec_lo, exec_lo, s25
	s_and_saveexec_b32 s25, s0
	s_cbranch_execz .LBB246_288
.LBB246_287:
	v_bfe_u32 v7, v2, 16, 2
	v_bfe_u32 v10, v2, 18, 5
	s_delay_alu instid0(VALU_DEP_2) | instskip(NEXT) | instid1(VALU_DEP_2)
	v_clz_i32_u32_e32 v8, v7
	v_cmp_eq_u32_e32 vcc_lo, 0, v10
	s_delay_alu instid0(VALU_DEP_2) | instskip(NEXT) | instid1(VALU_DEP_1)
	v_min_u32_e32 v8, 32, v8
	v_subrev_nc_u32_e32 v9, 29, v8
	s_delay_alu instid0(VALU_DEP_1) | instskip(NEXT) | instid1(VALU_DEP_1)
	v_dual_sub_nc_u32 v8, 30, v8 :: v_dual_lshlrev_b32 v9, v9, v5
	v_dual_cndmask_b32 v8, v10, v8, vcc_lo :: v_dual_bitop2_b32 v9, 3, v9 bitop3:0x40
	s_delay_alu instid0(VALU_DEP_1) | instskip(NEXT) | instid1(VALU_DEP_2)
	v_lshl_add_u32 v8, v8, 23, 0x37800000
	v_cndmask_b32_e32 v7, v7, v9, vcc_lo
	s_delay_alu instid0(VALU_DEP_1) | instskip(NEXT) | instid1(VALU_DEP_1)
	v_dual_lshlrev_b32 v11, 24, v5 :: v_dual_lshlrev_b32 v7, 21, v7
	v_and_b32_e32 v9, 0x80000000, v11
	s_delay_alu instid0(VALU_DEP_1)
	v_or3_b32 v7, v9, v8, v7
.LBB246_288:
	s_or_b32 exec_lo, exec_lo, s25
	v_and_b32_e32 v9, 0xff, v4
	s_mov_b32 s0, 0
	s_mov_b32 s25, exec_lo
	s_delay_alu instid0(VALU_DEP_1)
	v_cmpx_lt_i16_e32 0x7f, v9
	s_xor_b32 s25, exec_lo, s25
	s_cbranch_execnz .LBB246_441
; %bb.289:
	s_or_saveexec_b32 s25, s25
	v_mov_b32_e32 v8, 0x7f800001
	s_xor_b32 exec_lo, exec_lo, s25
	s_cbranch_execnz .LBB246_444
.LBB246_290:
	s_or_b32 exec_lo, exec_lo, s25
	s_and_saveexec_b32 s25, s0
	s_cbranch_execz .LBB246_292
.LBB246_291:
	v_bfe_u32 v8, v1, 16, 2
	v_bfe_u32 v11, v1, 18, 5
	v_lshlrev_b32_e32 v12, 24, v4
	s_delay_alu instid0(VALU_DEP_3) | instskip(NEXT) | instid1(VALU_DEP_3)
	v_clz_i32_u32_e32 v9, v8
	v_cmp_eq_u32_e32 vcc_lo, 0, v11
	s_delay_alu instid0(VALU_DEP_2) | instskip(NEXT) | instid1(VALU_DEP_1)
	v_min_u32_e32 v9, 32, v9
	v_subrev_nc_u32_e32 v10, 29, v9
	s_delay_alu instid0(VALU_DEP_1) | instskip(NEXT) | instid1(VALU_DEP_1)
	v_dual_sub_nc_u32 v9, 30, v9 :: v_dual_lshlrev_b32 v10, v10, v4
	v_dual_cndmask_b32 v9, v11, v9, vcc_lo :: v_dual_bitop2_b32 v10, 3, v10 bitop3:0x40
	s_delay_alu instid0(VALU_DEP_1) | instskip(SKIP_1) | instid1(VALU_DEP_3)
	v_cndmask_b32_e32 v8, v8, v10, vcc_lo
	v_and_b32_e32 v10, 0x80000000, v12
	v_lshl_add_u32 v9, v9, 23, 0x37800000
	s_delay_alu instid0(VALU_DEP_3) | instskip(NEXT) | instid1(VALU_DEP_1)
	v_lshlrev_b32_e32 v8, 21, v8
	v_or3_b32 v8, v10, v9, v8
.LBB246_292:
	s_or_b32 exec_lo, exec_lo, s25
	s_delay_alu instid0(VALU_DEP_1)
	v_cmp_neq_f32_e64 s25, v7, v8
	s_branch .LBB246_303
.LBB246_293:
                                        ; implicit-def: $sgpr25
	s_cbranch_execz .LBB246_303
; %bb.294:
	s_mov_b32 s0, 0
	s_mov_b32 s25, exec_lo
	v_cmpx_lt_i16_e32 0x7f, v6
	s_xor_b32 s25, exec_lo, s25
	s_cbranch_execnz .LBB246_565
; %bb.295:
	s_or_saveexec_b32 s25, s25
	v_mov_b32_e32 v7, 0x7f800001
	s_xor_b32 exec_lo, exec_lo, s25
	s_cbranch_execnz .LBB246_568
.LBB246_296:
	s_or_b32 exec_lo, exec_lo, s25
	s_and_saveexec_b32 s25, s0
	s_cbranch_execz .LBB246_298
.LBB246_297:
	v_bfe_u32 v6, v2, 16, 2
	v_bfe_u32 v9, v2, 18, 5
	s_delay_alu instid0(VALU_DEP_2) | instskip(NEXT) | instid1(VALU_DEP_2)
	v_clz_i32_u32_e32 v7, v6
	v_cmp_eq_u32_e32 vcc_lo, 0, v9
	s_delay_alu instid0(VALU_DEP_2) | instskip(NEXT) | instid1(VALU_DEP_1)
	v_min_u32_e32 v7, 32, v7
	v_subrev_nc_u32_e32 v8, 29, v7
	s_delay_alu instid0(VALU_DEP_1) | instskip(NEXT) | instid1(VALU_DEP_1)
	v_dual_sub_nc_u32 v7, 30, v7 :: v_dual_lshlrev_b32 v8, v8, v5
	v_dual_lshlrev_b32 v5, 24, v5 :: v_dual_bitop2_b32 v8, 3, v8 bitop3:0x40
	s_delay_alu instid0(VALU_DEP_2) | instskip(NEXT) | instid1(VALU_DEP_2)
	v_cndmask_b32_e32 v7, v9, v7, vcc_lo
	v_and_b32_e32 v5, 0x80000000, v5
	s_delay_alu instid0(VALU_DEP_3) | instskip(NEXT) | instid1(VALU_DEP_3)
	v_cndmask_b32_e32 v6, v6, v8, vcc_lo
	v_lshl_add_u32 v7, v7, 23, 0x37800000
	s_delay_alu instid0(VALU_DEP_2) | instskip(NEXT) | instid1(VALU_DEP_1)
	v_lshlrev_b32_e32 v6, 21, v6
	v_or3_b32 v7, v5, v7, v6
.LBB246_298:
	s_or_b32 exec_lo, exec_lo, s25
	v_and_b32_e32 v6, 0xff, v4
	s_mov_b32 s0, 0
	s_mov_b32 s25, exec_lo
	s_delay_alu instid0(VALU_DEP_1)
	v_cmpx_lt_i16_e32 0x7f, v6
	s_xor_b32 s25, exec_lo, s25
	s_cbranch_execnz .LBB246_569
; %bb.299:
	s_or_saveexec_b32 s25, s25
	v_mov_b32_e32 v5, 0x7f800001
	s_xor_b32 exec_lo, exec_lo, s25
	s_cbranch_execnz .LBB246_572
.LBB246_300:
	s_or_b32 exec_lo, exec_lo, s25
	s_and_saveexec_b32 s25, s0
	s_cbranch_execz .LBB246_302
.LBB246_301:
	v_bfe_u32 v5, v1, 16, 2
	v_bfe_u32 v9, v1, 18, 5
	s_delay_alu instid0(VALU_DEP_2) | instskip(NEXT) | instid1(VALU_DEP_2)
	v_clz_i32_u32_e32 v6, v5
	v_cmp_eq_u32_e32 vcc_lo, 0, v9
	s_delay_alu instid0(VALU_DEP_2) | instskip(NEXT) | instid1(VALU_DEP_1)
	v_min_u32_e32 v6, 32, v6
	v_subrev_nc_u32_e32 v8, 29, v6
	s_delay_alu instid0(VALU_DEP_1) | instskip(NEXT) | instid1(VALU_DEP_1)
	v_dual_sub_nc_u32 v6, 30, v6 :: v_dual_lshlrev_b32 v8, v8, v4
	v_dual_cndmask_b32 v6, v9, v6, vcc_lo :: v_dual_bitop2_b32 v8, 3, v8 bitop3:0x40
	s_delay_alu instid0(VALU_DEP_1) | instskip(NEXT) | instid1(VALU_DEP_2)
	v_lshl_add_u32 v6, v6, 23, 0x37800000
	v_cndmask_b32_e32 v5, v5, v8, vcc_lo
	s_delay_alu instid0(VALU_DEP_1) | instskip(NEXT) | instid1(VALU_DEP_1)
	v_dual_lshlrev_b32 v4, 24, v4 :: v_dual_lshlrev_b32 v5, 21, v5
	v_and_b32_e32 v4, 0x80000000, v4
	s_delay_alu instid0(VALU_DEP_1)
	v_or3_b32 v5, v4, v6, v5
.LBB246_302:
	s_or_b32 exec_lo, exec_lo, s25
	s_delay_alu instid0(VALU_DEP_1)
	v_cmp_eq_f32_e64 s25, v7, v5
.LBB246_303:
	v_lshrrev_b32_e32 v4, 24, v2
	v_cmp_ne_u32_e32 vcc_lo, 1, v3
	v_lshrrev_b32_e32 v3, 24, v1
	s_delay_alu instid0(VALU_DEP_3)
	v_cmp_lt_i16_e64 s0, 0x7f, v4
	s_cbranch_vccnz .LBB246_313
; %bb.304:
	s_mov_b32 s26, 0
	s_and_saveexec_b32 s27, s0
	s_delay_alu instid0(SALU_CYCLE_1)
	s_xor_b32 s0, exec_lo, s27
	s_cbranch_execnz .LBB246_445
; %bb.305:
	s_or_saveexec_b32 s0, s0
	v_mov_b32_e32 v5, 0x7f800001
	s_xor_b32 exec_lo, exec_lo, s0
	s_cbranch_execnz .LBB246_448
.LBB246_306:
	s_or_b32 exec_lo, exec_lo, s0
	s_and_saveexec_b32 s0, s26
	s_cbranch_execz .LBB246_308
.LBB246_307:
	v_bfe_u32 v5, v2, 24, 2
	v_bfe_u32 v8, v2, 26, 5
	s_delay_alu instid0(VALU_DEP_2) | instskip(NEXT) | instid1(VALU_DEP_2)
	v_clz_i32_u32_e32 v6, v5
	v_cmp_eq_u32_e32 vcc_lo, 0, v8
	s_delay_alu instid0(VALU_DEP_2) | instskip(NEXT) | instid1(VALU_DEP_1)
	v_min_u32_e32 v6, 32, v6
	v_subrev_nc_u32_e32 v7, 29, v6
	s_delay_alu instid0(VALU_DEP_1) | instskip(NEXT) | instid1(VALU_DEP_1)
	v_dual_sub_nc_u32 v6, 30, v6 :: v_dual_lshlrev_b32 v7, v7, v4
	v_dual_cndmask_b32 v6, v8, v6, vcc_lo :: v_dual_bitop2_b32 v7, 3, v7 bitop3:0x40
	s_delay_alu instid0(VALU_DEP_1) | instskip(NEXT) | instid1(VALU_DEP_2)
	v_lshl_add_u32 v6, v6, 23, 0x37800000
	v_cndmask_b32_e32 v5, v5, v7, vcc_lo
	v_and_b32_e32 v7, 0x80000000, v2
	s_delay_alu instid0(VALU_DEP_2) | instskip(NEXT) | instid1(VALU_DEP_1)
	v_lshlrev_b32_e32 v5, 21, v5
	v_or3_b32 v5, v7, v6, v5
.LBB246_308:
	s_or_b32 exec_lo, exec_lo, s0
	s_mov_b32 s0, 0
	s_mov_b32 s26, exec_lo
	v_cmpx_lt_i16_e32 0x7f, v3
	s_xor_b32 s26, exec_lo, s26
	s_cbranch_execnz .LBB246_449
; %bb.309:
	s_or_saveexec_b32 s26, s26
	v_mov_b32_e32 v6, 0x7f800001
	s_xor_b32 exec_lo, exec_lo, s26
	s_cbranch_execnz .LBB246_452
.LBB246_310:
	s_or_b32 exec_lo, exec_lo, s26
	s_and_saveexec_b32 s26, s0
	s_cbranch_execz .LBB246_312
.LBB246_311:
	v_bfe_u32 v6, v1, 24, 2
	v_bfe_u32 v9, v1, 26, 5
	s_delay_alu instid0(VALU_DEP_2) | instskip(NEXT) | instid1(VALU_DEP_2)
	v_clz_i32_u32_e32 v7, v6
	v_cmp_eq_u32_e32 vcc_lo, 0, v9
	s_delay_alu instid0(VALU_DEP_2) | instskip(NEXT) | instid1(VALU_DEP_1)
	v_min_u32_e32 v7, 32, v7
	v_subrev_nc_u32_e32 v8, 29, v7
	s_delay_alu instid0(VALU_DEP_1) | instskip(NEXT) | instid1(VALU_DEP_1)
	v_lshlrev_b32_e32 v8, v8, v3
	v_dual_sub_nc_u32 v7, 30, v7 :: v_dual_bitop2_b32 v8, 3, v8 bitop3:0x40
	s_delay_alu instid0(VALU_DEP_1) | instskip(SKIP_1) | instid1(VALU_DEP_2)
	v_dual_cndmask_b32 v7, v9, v7 :: v_dual_cndmask_b32 v6, v6, v8
	v_and_b32_e32 v8, 0x80000000, v1
	v_lshl_add_u32 v7, v7, 23, 0x37800000
	s_delay_alu instid0(VALU_DEP_3) | instskip(NEXT) | instid1(VALU_DEP_1)
	v_lshlrev_b32_e32 v6, 21, v6
	v_or3_b32 v6, v8, v7, v6
.LBB246_312:
	s_or_b32 exec_lo, exec_lo, s26
	s_delay_alu instid0(VALU_DEP_1)
	v_cmp_neq_f32_e64 s0, v5, v6
	s_branch .LBB246_323
.LBB246_313:
                                        ; implicit-def: $sgpr0
	s_cbranch_execz .LBB246_323
; %bb.314:
	s_mov_b32 s0, 0
	s_mov_b32 s26, exec_lo
	v_cmpx_lt_i16_e32 0x7f, v4
	s_xor_b32 s26, exec_lo, s26
	s_cbranch_execnz .LBB246_573
; %bb.315:
	s_or_saveexec_b32 s26, s26
	v_mov_b32_e32 v5, 0x7f800001
	s_xor_b32 exec_lo, exec_lo, s26
	s_cbranch_execnz .LBB246_576
.LBB246_316:
	s_or_b32 exec_lo, exec_lo, s26
	s_and_saveexec_b32 s26, s0
	s_cbranch_execz .LBB246_318
.LBB246_317:
	v_bfe_u32 v5, v2, 24, 2
	s_delay_alu instid0(VALU_DEP_1) | instskip(NEXT) | instid1(VALU_DEP_1)
	v_clz_i32_u32_e32 v6, v5
	v_min_u32_e32 v6, 32, v6
	s_delay_alu instid0(VALU_DEP_1) | instskip(NEXT) | instid1(VALU_DEP_1)
	v_subrev_nc_u32_e32 v7, 29, v6
	v_dual_sub_nc_u32 v6, 30, v6 :: v_dual_lshlrev_b32 v4, v7, v4
	v_bfe_u32 v7, v2, 26, 5
	v_and_b32_e32 v2, 0x80000000, v2
	s_delay_alu instid0(VALU_DEP_2) | instskip(NEXT) | instid1(VALU_DEP_4)
	v_cmp_eq_u32_e32 vcc_lo, 0, v7
	v_dual_cndmask_b32 v6, v7, v6, vcc_lo :: v_dual_bitop2_b32 v4, 3, v4 bitop3:0x40
	s_delay_alu instid0(VALU_DEP_1) | instskip(NEXT) | instid1(VALU_DEP_2)
	v_cndmask_b32_e32 v4, v5, v4, vcc_lo
	v_lshl_add_u32 v5, v6, 23, 0x37800000
	s_delay_alu instid0(VALU_DEP_2) | instskip(NEXT) | instid1(VALU_DEP_1)
	v_lshlrev_b32_e32 v4, 21, v4
	v_or3_b32 v5, v2, v5, v4
.LBB246_318:
	s_or_b32 exec_lo, exec_lo, s26
	s_mov_b32 s0, 0
	s_mov_b32 s26, exec_lo
	v_cmpx_lt_i16_e32 0x7f, v3
	s_xor_b32 s26, exec_lo, s26
	s_cbranch_execnz .LBB246_577
; %bb.319:
	s_or_saveexec_b32 s26, s26
	v_mov_b32_e32 v2, 0x7f800001
	s_xor_b32 exec_lo, exec_lo, s26
	s_cbranch_execnz .LBB246_580
.LBB246_320:
	s_or_b32 exec_lo, exec_lo, s26
	s_and_saveexec_b32 s26, s0
	s_cbranch_execz .LBB246_322
.LBB246_321:
	v_bfe_u32 v2, v1, 24, 2
	s_delay_alu instid0(VALU_DEP_1) | instskip(NEXT) | instid1(VALU_DEP_1)
	v_clz_i32_u32_e32 v4, v2
	v_min_u32_e32 v4, 32, v4
	s_delay_alu instid0(VALU_DEP_1) | instskip(NEXT) | instid1(VALU_DEP_1)
	v_subrev_nc_u32_e32 v6, 29, v4
	v_dual_sub_nc_u32 v4, 30, v4 :: v_dual_lshlrev_b32 v3, v6, v3
	v_bfe_u32 v6, v1, 26, 5
	v_and_b32_e32 v1, 0x80000000, v1
	s_delay_alu instid0(VALU_DEP_2) | instskip(NEXT) | instid1(VALU_DEP_4)
	v_cmp_eq_u32_e32 vcc_lo, 0, v6
	v_dual_cndmask_b32 v4, v6, v4, vcc_lo :: v_dual_bitop2_b32 v3, 3, v3 bitop3:0x40
	s_delay_alu instid0(VALU_DEP_1) | instskip(NEXT) | instid1(VALU_DEP_2)
	v_cndmask_b32_e32 v2, v2, v3, vcc_lo
	v_lshl_add_u32 v3, v4, 23, 0x37800000
	s_delay_alu instid0(VALU_DEP_2) | instskip(NEXT) | instid1(VALU_DEP_1)
	v_lshlrev_b32_e32 v2, 21, v2
	v_or3_b32 v2, v1, v3, v2
.LBB246_322:
	s_or_b32 exec_lo, exec_lo, s26
	s_delay_alu instid0(VALU_DEP_1)
	v_cmp_eq_f32_e64 s0, v5, v2
.LBB246_323:
	v_cndmask_b32_e64 v1, 0, 1, s12
	v_cndmask_b32_e64 v2, 0, 1, s14
	;; [unrolled: 1-line block ×5, first 2 shown]
	v_lshlrev_b16 v1, 8, v1
	v_lshlrev_b16 v2, 8, v2
	v_cndmask_b32_e64 v6, 0, 1, s15
	v_lshlrev_b16 v4, 8, v4
	v_cndmask_b32_e64 v7, 0, 1, s22
	v_cndmask_b32_e64 v8, 0, 1, s24
	v_or_b32_e32 v2, v5, v2
	v_or_b32_e32 v1, v3, v1
	v_or_b32_e32 v3, v6, v4
	v_cndmask_b32_e64 v4, 0, 1, s18
	v_cndmask_b32_e64 v5, 0, 1, s20
	;; [unrolled: 1-line block ×4, first 2 shown]
	v_lshlrev_b16 v7, 8, v7
	v_lshlrev_b16 v4, 8, v4
	v_cndmask_b32_e64 v11, 0, 1, s21
	v_lshlrev_b16 v5, 8, v5
	v_cndmask_b32_e64 v9, 0, 1, s19
	;; [unrolled: 2-line block ×4, first 2 shown]
	v_or_b32_e32 v4, v6, v4
	v_or_b32_e32 v6, v11, v7
	v_or_b32_e32 v7, v12, v8
	s_add_nc_u64 s[10:11], s[4:5], s[10:11]
	v_or_b32_e32 v8, v13, v10
	v_dual_lshlrev_b32 v4, 16, v4 :: v_dual_bitop2_b32 v5, v9, v5 bitop3:0x54
	v_lshlrev_b32_e32 v2, 16, v2
	v_and_b32_e32 v1, 0xffff, v1
	v_lshlrev_b32_e32 v6, 16, v6
	v_and_b32_e32 v3, 0xffff, v3
	;; [unrolled: 2-line block ×3, first 2 shown]
	v_and_b32_e32 v7, 0xffff, v7
	v_or_b32_e32 v1, v1, v2
	v_or_b32_e32 v2, v3, v4
	s_delay_alu instid0(VALU_DEP_4) | instskip(NEXT) | instid1(VALU_DEP_4)
	v_or_b32_e32 v3, v5, v6
	v_or_b32_e32 v4, v7, v8
	s_clause 0x3
	global_store_b32 v0, v1, s[10:11] scale_offset
	global_store_b32 v0, v2, s[10:11] offset:1024 scale_offset
	global_store_b32 v0, v3, s[10:11] offset:2048 scale_offset
	global_store_b32 v0, v4, s[10:11] offset:3072 scale_offset
	s_branch .LBB246_2
.LBB246_324:
	s_wait_xcnt 0x0
	v_dual_mov_b32 v31, v0 :: v_dual_mov_b32 v0, s9
	v_dual_mov_b32 v1, s4 :: v_dual_mov_b32 v2, s5
	v_dual_mov_b32 v3, s6 :: v_dual_mov_b32 v4, s7
	v_dual_mov_b32 v5, s2 :: v_dual_mov_b32 v6, s3
	v_mov_b32_e32 v7, s1
	s_get_pc_i64 s[10:11]
	s_add_nc_u64 s[10:11], s[10:11], _ZN2at6native25elementwise_kernel_helperILb0ENS0_13BinaryFunctorIN3c1015Float8_e5m2fnuzES4_bNS0_12_GLOBAL__N_116CompareEqFunctorIS4_EEEENS0_6memory8policies11unroll_baseILi256ESt5arrayIPcLm3EE23TrivialOffsetCalculatorILi2EjESF_ILi1EjENS9_15LoadWithoutCastENS9_16StoreWithoutCastELi16ELi1EEEEEvT0_T1_@rel64+4
	s_delay_alu instid0(SALU_CYCLE_1)
	s_swap_pc_i64 s[30:31], s[10:11]
	s_endpgm
.LBB246_325:
	s_mov_b32 s8, -1
	s_mov_b32 s13, exec_lo
	v_cmpx_eq_u16_e32 0x80, v3
; %bb.326:
	s_xor_b32 s8, exec_lo, -1
; %bb.327:
	s_or_b32 exec_lo, exec_lo, s13
	s_delay_alu instid0(SALU_CYCLE_1)
	s_and_b32 s8, s8, exec_lo
	s_or_saveexec_b32 s12, s12
	v_mov_b32_e32 v10, 0x7f800001
	s_xor_b32 exec_lo, exec_lo, s12
	s_cbranch_execz .LBB246_6
.LBB246_328:
	v_cmp_ne_u16_e32 vcc_lo, 0, v3
	v_mov_b32_e32 v10, 0
	s_and_not1_b32 s8, s8, exec_lo
	s_and_b32 s13, vcc_lo, exec_lo
	s_delay_alu instid0(SALU_CYCLE_1)
	s_or_b32 s8, s8, s13
	s_or_b32 exec_lo, exec_lo, s12
	s_and_saveexec_b32 s12, s8
	s_cbranch_execnz .LBB246_7
	s_branch .LBB246_8
.LBB246_329:
	s_mov_b32 s8, -1
	s_mov_b32 s13, exec_lo
	v_cmpx_eq_u16_e32 0x80, v12
; %bb.330:
	s_xor_b32 s8, exec_lo, -1
; %bb.331:
	s_or_b32 exec_lo, exec_lo, s13
	s_delay_alu instid0(SALU_CYCLE_1)
	s_and_b32 s8, s8, exec_lo
                                        ; implicit-def: $vgpr12
	s_or_saveexec_b32 s12, s12
	v_mov_b32_e32 v11, 0x7f800001
	s_xor_b32 exec_lo, exec_lo, s12
	s_cbranch_execz .LBB246_10
.LBB246_332:
	v_cmp_ne_u16_e32 vcc_lo, 0, v12
	v_mov_b32_e32 v11, 0
	s_and_not1_b32 s8, s8, exec_lo
	s_and_b32 s13, vcc_lo, exec_lo
	s_delay_alu instid0(SALU_CYCLE_1)
	s_or_b32 s8, s8, s13
	s_or_b32 exec_lo, exec_lo, s12
	s_and_saveexec_b32 s12, s8
	s_cbranch_execnz .LBB246_11
	s_branch .LBB246_12
.LBB246_333:
	s_mov_b32 s0, -1
	s_mov_b32 s13, exec_lo
	v_cmpx_eq_u16_e32 0x80, v12
; %bb.334:
	s_xor_b32 s0, exec_lo, -1
; %bb.335:
	s_or_b32 exec_lo, exec_lo, s13
	s_delay_alu instid0(SALU_CYCLE_1)
	s_and_b32 s0, s0, exec_lo
	s_or_saveexec_b32 s12, s12
	v_mov_b32_e32 v13, 0x7f800001
	s_xor_b32 exec_lo, exec_lo, s12
	s_cbranch_execz .LBB246_26
.LBB246_336:
	v_cmp_ne_u16_e32 vcc_lo, 0, v12
	v_mov_b32_e32 v13, 0
	s_and_not1_b32 s0, s0, exec_lo
	s_and_b32 s13, vcc_lo, exec_lo
	s_delay_alu instid0(SALU_CYCLE_1)
	s_or_b32 s0, s0, s13
	s_or_b32 exec_lo, exec_lo, s12
	s_and_saveexec_b32 s12, s0
	s_cbranch_execnz .LBB246_27
	s_branch .LBB246_28
.LBB246_337:
	s_mov_b32 s0, -1
	s_mov_b32 s13, exec_lo
	v_cmpx_eq_u16_e32 0x80, v15
; %bb.338:
	s_xor_b32 s0, exec_lo, -1
; %bb.339:
	s_or_b32 exec_lo, exec_lo, s13
	s_delay_alu instid0(SALU_CYCLE_1)
	s_and_b32 s0, s0, exec_lo
                                        ; implicit-def: $vgpr15
	s_or_saveexec_b32 s12, s12
	v_mov_b32_e32 v14, 0x7f800001
	s_xor_b32 exec_lo, exec_lo, s12
	s_cbranch_execz .LBB246_30
.LBB246_340:
	v_cmp_ne_u16_e32 vcc_lo, 0, v15
	v_mov_b32_e32 v14, 0
	s_and_not1_b32 s0, s0, exec_lo
	s_and_b32 s13, vcc_lo, exec_lo
	s_delay_alu instid0(SALU_CYCLE_1)
	s_or_b32 s0, s0, s13
	s_or_b32 exec_lo, exec_lo, s12
	s_and_saveexec_b32 s12, s0
	s_cbranch_execnz .LBB246_31
	s_branch .LBB246_32
.LBB246_341:
	s_mov_b32 s0, -1
	s_mov_b32 s14, exec_lo
	v_cmpx_eq_u16_e32 0x80, v12
; %bb.342:
	s_xor_b32 s0, exec_lo, -1
; %bb.343:
	s_or_b32 exec_lo, exec_lo, s14
	s_delay_alu instid0(SALU_CYCLE_1)
	s_and_b32 s0, s0, exec_lo
	s_or_saveexec_b32 s13, s13
	v_mov_b32_e32 v13, 0x7f800001
	s_xor_b32 exec_lo, exec_lo, s13
	s_cbranch_execz .LBB246_46
.LBB246_344:
	v_cmp_ne_u16_e32 vcc_lo, 0, v12
	v_mov_b32_e32 v13, 0
	s_and_not1_b32 s0, s0, exec_lo
	s_and_b32 s14, vcc_lo, exec_lo
	s_delay_alu instid0(SALU_CYCLE_1)
	s_or_b32 s0, s0, s14
	s_or_b32 exec_lo, exec_lo, s13
	s_and_saveexec_b32 s13, s0
	s_cbranch_execnz .LBB246_47
	s_branch .LBB246_48
.LBB246_345:
	s_mov_b32 s0, -1
	s_mov_b32 s14, exec_lo
	v_cmpx_eq_u16_e32 0x80, v15
; %bb.346:
	s_xor_b32 s0, exec_lo, -1
; %bb.347:
	s_or_b32 exec_lo, exec_lo, s14
	s_delay_alu instid0(SALU_CYCLE_1)
	s_and_b32 s0, s0, exec_lo
                                        ; implicit-def: $vgpr15
	s_or_saveexec_b32 s13, s13
	v_mov_b32_e32 v14, 0x7f800001
	s_xor_b32 exec_lo, exec_lo, s13
	s_cbranch_execz .LBB246_50
.LBB246_348:
	v_cmp_ne_u16_e32 vcc_lo, 0, v15
	v_mov_b32_e32 v14, 0
	s_and_not1_b32 s0, s0, exec_lo
	s_and_b32 s14, vcc_lo, exec_lo
	s_delay_alu instid0(SALU_CYCLE_1)
	s_or_b32 s0, s0, s14
	s_or_b32 exec_lo, exec_lo, s13
	s_and_saveexec_b32 s13, s0
	s_cbranch_execnz .LBB246_51
	s_branch .LBB246_52
.LBB246_349:
	s_mov_b32 s14, -1
	s_mov_b32 s15, exec_lo
	v_cmpx_eq_u16_e32 0x80, v11
; %bb.350:
	s_xor_b32 s14, exec_lo, -1
; %bb.351:
	s_or_b32 exec_lo, exec_lo, s15
	s_delay_alu instid0(SALU_CYCLE_1)
	s_and_b32 s14, s14, exec_lo
	s_or_saveexec_b32 s0, s0
	v_mov_b32_e32 v12, 0x7f800001
	s_xor_b32 exec_lo, exec_lo, s0
	s_cbranch_execz .LBB246_66
.LBB246_352:
	v_cmp_ne_u16_e32 vcc_lo, 0, v11
	v_mov_b32_e32 v12, 0
	s_and_not1_b32 s14, s14, exec_lo
	s_and_b32 s15, vcc_lo, exec_lo
	s_delay_alu instid0(SALU_CYCLE_1)
	s_or_b32 s14, s14, s15
	s_or_b32 exec_lo, exec_lo, s0
	s_and_saveexec_b32 s0, s14
	s_cbranch_execnz .LBB246_67
	s_branch .LBB246_68
.LBB246_353:
	s_mov_b32 s0, -1
	s_mov_b32 s15, exec_lo
	v_cmpx_eq_u16_e32 0x80, v10
; %bb.354:
	s_xor_b32 s0, exec_lo, -1
; %bb.355:
	s_or_b32 exec_lo, exec_lo, s15
	s_delay_alu instid0(SALU_CYCLE_1)
	s_and_b32 s0, s0, exec_lo
	s_or_saveexec_b32 s14, s14
	v_mov_b32_e32 v13, 0x7f800001
	s_xor_b32 exec_lo, exec_lo, s14
	s_cbranch_execz .LBB246_70
.LBB246_356:
	v_cmp_ne_u16_e32 vcc_lo, 0, v10
	v_mov_b32_e32 v13, 0
	s_and_not1_b32 s0, s0, exec_lo
	s_and_b32 s15, vcc_lo, exec_lo
	s_delay_alu instid0(SALU_CYCLE_1)
	s_or_b32 s0, s0, s15
	s_or_b32 exec_lo, exec_lo, s14
	s_and_saveexec_b32 s14, s0
	s_cbranch_execnz .LBB246_71
	s_branch .LBB246_72
.LBB246_357:
	s_mov_b32 s0, -1
	s_mov_b32 s16, exec_lo
	v_cmpx_eq_u16_e32 0x80, v8
; %bb.358:
	s_xor_b32 s0, exec_lo, -1
; %bb.359:
	s_or_b32 exec_lo, exec_lo, s16
	s_delay_alu instid0(SALU_CYCLE_1)
	s_and_b32 s0, s0, exec_lo
	s_or_saveexec_b32 s15, s15
	v_mov_b32_e32 v9, 0x7f800001
	s_xor_b32 exec_lo, exec_lo, s15
	s_cbranch_execz .LBB246_76
.LBB246_360:
	v_cmp_ne_u16_e32 vcc_lo, 0, v8
	v_mov_b32_e32 v9, 0
	s_and_not1_b32 s0, s0, exec_lo
	s_and_b32 s16, vcc_lo, exec_lo
	s_delay_alu instid0(SALU_CYCLE_1)
	s_or_b32 s0, s0, s16
	s_or_b32 exec_lo, exec_lo, s15
	s_and_saveexec_b32 s15, s0
	s_cbranch_execnz .LBB246_77
	s_branch .LBB246_78
.LBB246_361:
	s_mov_b32 s0, -1
	s_mov_b32 s16, exec_lo
	v_cmpx_eq_u16_e32 0x80, v11
; %bb.362:
	s_xor_b32 s0, exec_lo, -1
; %bb.363:
	s_or_b32 exec_lo, exec_lo, s16
	s_delay_alu instid0(SALU_CYCLE_1)
	s_and_b32 s0, s0, exec_lo
                                        ; implicit-def: $vgpr11
	s_or_saveexec_b32 s15, s15
	v_mov_b32_e32 v10, 0x7f800001
	s_xor_b32 exec_lo, exec_lo, s15
	s_cbranch_execz .LBB246_80
.LBB246_364:
	v_cmp_ne_u16_e32 vcc_lo, 0, v11
	v_mov_b32_e32 v10, 0
	s_and_not1_b32 s0, s0, exec_lo
	s_and_b32 s16, vcc_lo, exec_lo
	s_delay_alu instid0(SALU_CYCLE_1)
	s_or_b32 s0, s0, s16
	s_or_b32 exec_lo, exec_lo, s15
	s_and_saveexec_b32 s15, s0
	s_cbranch_execnz .LBB246_81
	s_branch .LBB246_82
.LBB246_365:
	s_mov_b32 s0, -1
	s_mov_b32 s17, exec_lo
	v_cmpx_eq_u16_e32 0x80, v10
; %bb.366:
	s_xor_b32 s0, exec_lo, -1
; %bb.367:
	s_or_b32 exec_lo, exec_lo, s17
	s_delay_alu instid0(SALU_CYCLE_1)
	s_and_b32 s0, s0, exec_lo
	s_or_saveexec_b32 s16, s16
	v_mov_b32_e32 v11, 0x7f800001
	s_xor_b32 exec_lo, exec_lo, s16
	s_cbranch_execz .LBB246_106
.LBB246_368:
	v_cmp_ne_u16_e32 vcc_lo, 0, v10
	v_mov_b32_e32 v11, 0
	s_and_not1_b32 s0, s0, exec_lo
	s_and_b32 s17, vcc_lo, exec_lo
	s_delay_alu instid0(SALU_CYCLE_1)
	s_or_b32 s0, s0, s17
	s_or_b32 exec_lo, exec_lo, s16
	s_and_saveexec_b32 s16, s0
	s_cbranch_execnz .LBB246_107
	s_branch .LBB246_108
.LBB246_369:
	s_mov_b32 s0, -1
	s_mov_b32 s17, exec_lo
	v_cmpx_eq_u16_e32 0x80, v13
; %bb.370:
	s_xor_b32 s0, exec_lo, -1
; %bb.371:
	s_or_b32 exec_lo, exec_lo, s17
	s_delay_alu instid0(SALU_CYCLE_1)
	s_and_b32 s0, s0, exec_lo
                                        ; implicit-def: $vgpr13
	s_or_saveexec_b32 s16, s16
	v_mov_b32_e32 v12, 0x7f800001
	s_xor_b32 exec_lo, exec_lo, s16
	s_cbranch_execz .LBB246_110
.LBB246_372:
	v_cmp_ne_u16_e32 vcc_lo, 0, v13
	v_mov_b32_e32 v12, 0
	s_and_not1_b32 s0, s0, exec_lo
	s_and_b32 s17, vcc_lo, exec_lo
	s_delay_alu instid0(SALU_CYCLE_1)
	s_or_b32 s0, s0, s17
	s_or_b32 exec_lo, exec_lo, s16
	s_and_saveexec_b32 s16, s0
	s_cbranch_execnz .LBB246_111
	s_branch .LBB246_112
.LBB246_373:
	s_mov_b32 s0, -1
	s_mov_b32 s18, exec_lo
	v_cmpx_eq_u16_e32 0x80, v10
; %bb.374:
	s_xor_b32 s0, exec_lo, -1
; %bb.375:
	s_or_b32 exec_lo, exec_lo, s18
	s_delay_alu instid0(SALU_CYCLE_1)
	s_and_b32 s0, s0, exec_lo
	s_or_saveexec_b32 s17, s17
	v_mov_b32_e32 v11, 0x7f800001
	s_xor_b32 exec_lo, exec_lo, s17
	s_cbranch_execz .LBB246_126
.LBB246_376:
	v_cmp_ne_u16_e32 vcc_lo, 0, v10
	v_mov_b32_e32 v11, 0
	s_and_not1_b32 s0, s0, exec_lo
	s_and_b32 s18, vcc_lo, exec_lo
	s_delay_alu instid0(SALU_CYCLE_1)
	s_or_b32 s0, s0, s18
	s_or_b32 exec_lo, exec_lo, s17
	s_and_saveexec_b32 s17, s0
	s_cbranch_execnz .LBB246_127
	s_branch .LBB246_128
.LBB246_377:
	s_mov_b32 s0, -1
	s_mov_b32 s18, exec_lo
	v_cmpx_eq_u16_e32 0x80, v13
; %bb.378:
	s_xor_b32 s0, exec_lo, -1
; %bb.379:
	s_or_b32 exec_lo, exec_lo, s18
	s_delay_alu instid0(SALU_CYCLE_1)
	s_and_b32 s0, s0, exec_lo
                                        ; implicit-def: $vgpr13
	s_or_saveexec_b32 s17, s17
	v_mov_b32_e32 v12, 0x7f800001
	s_xor_b32 exec_lo, exec_lo, s17
	s_cbranch_execz .LBB246_130
.LBB246_380:
	v_cmp_ne_u16_e32 vcc_lo, 0, v13
	v_mov_b32_e32 v12, 0
	s_and_not1_b32 s0, s0, exec_lo
	s_and_b32 s18, vcc_lo, exec_lo
	s_delay_alu instid0(SALU_CYCLE_1)
	s_or_b32 s0, s0, s18
	s_or_b32 exec_lo, exec_lo, s17
	s_and_saveexec_b32 s17, s0
	s_cbranch_execnz .LBB246_131
	s_branch .LBB246_132
.LBB246_381:
	s_mov_b32 s18, -1
	s_mov_b32 s19, exec_lo
	v_cmpx_eq_u16_e32 0x80, v9
; %bb.382:
	s_xor_b32 s18, exec_lo, -1
; %bb.383:
	s_or_b32 exec_lo, exec_lo, s19
	s_delay_alu instid0(SALU_CYCLE_1)
	s_and_b32 s18, s18, exec_lo
	s_or_saveexec_b32 s0, s0
	v_mov_b32_e32 v10, 0x7f800001
	s_xor_b32 exec_lo, exec_lo, s0
	s_cbranch_execz .LBB246_146
.LBB246_384:
	v_cmp_ne_u16_e32 vcc_lo, 0, v9
	v_mov_b32_e32 v10, 0
	s_and_not1_b32 s18, s18, exec_lo
	s_and_b32 s19, vcc_lo, exec_lo
	s_delay_alu instid0(SALU_CYCLE_1)
	s_or_b32 s18, s18, s19
	s_or_b32 exec_lo, exec_lo, s0
	s_and_saveexec_b32 s0, s18
	s_cbranch_execnz .LBB246_147
	s_branch .LBB246_148
.LBB246_385:
	s_mov_b32 s0, -1
	s_mov_b32 s19, exec_lo
	v_cmpx_eq_u16_e32 0x80, v8
; %bb.386:
	s_xor_b32 s0, exec_lo, -1
; %bb.387:
	s_or_b32 exec_lo, exec_lo, s19
	s_delay_alu instid0(SALU_CYCLE_1)
	s_and_b32 s0, s0, exec_lo
	s_or_saveexec_b32 s18, s18
	v_mov_b32_e32 v11, 0x7f800001
	s_xor_b32 exec_lo, exec_lo, s18
	s_cbranch_execz .LBB246_150
.LBB246_388:
	v_cmp_ne_u16_e32 vcc_lo, 0, v8
	v_mov_b32_e32 v11, 0
	s_and_not1_b32 s0, s0, exec_lo
	s_and_b32 s19, vcc_lo, exec_lo
	s_delay_alu instid0(SALU_CYCLE_1)
	s_or_b32 s0, s0, s19
	s_or_b32 exec_lo, exec_lo, s18
	s_and_saveexec_b32 s18, s0
	s_cbranch_execnz .LBB246_151
	s_branch .LBB246_152
.LBB246_389:
	s_mov_b32 s0, -1
	s_mov_b32 s20, exec_lo
	v_cmpx_eq_u16_e32 0x80, v6
; %bb.390:
	s_xor_b32 s0, exec_lo, -1
; %bb.391:
	s_or_b32 exec_lo, exec_lo, s20
	s_delay_alu instid0(SALU_CYCLE_1)
	s_and_b32 s0, s0, exec_lo
	s_or_saveexec_b32 s19, s19
	v_mov_b32_e32 v7, 0x7f800001
	s_xor_b32 exec_lo, exec_lo, s19
	s_cbranch_execz .LBB246_156
.LBB246_392:
	v_cmp_ne_u16_e32 vcc_lo, 0, v6
	v_mov_b32_e32 v7, 0
	s_and_not1_b32 s0, s0, exec_lo
	s_and_b32 s20, vcc_lo, exec_lo
	s_delay_alu instid0(SALU_CYCLE_1)
	s_or_b32 s0, s0, s20
	s_or_b32 exec_lo, exec_lo, s19
	s_and_saveexec_b32 s19, s0
	s_cbranch_execnz .LBB246_157
	s_branch .LBB246_158
.LBB246_393:
	s_mov_b32 s0, -1
	s_mov_b32 s20, exec_lo
	v_cmpx_eq_u16_e32 0x80, v9
; %bb.394:
	s_xor_b32 s0, exec_lo, -1
; %bb.395:
	s_or_b32 exec_lo, exec_lo, s20
	s_delay_alu instid0(SALU_CYCLE_1)
	s_and_b32 s0, s0, exec_lo
                                        ; implicit-def: $vgpr9
	s_or_saveexec_b32 s19, s19
	v_mov_b32_e32 v8, 0x7f800001
	s_xor_b32 exec_lo, exec_lo, s19
	s_cbranch_execz .LBB246_160
.LBB246_396:
	v_cmp_ne_u16_e32 vcc_lo, 0, v9
	v_mov_b32_e32 v8, 0
	s_and_not1_b32 s0, s0, exec_lo
	s_and_b32 s20, vcc_lo, exec_lo
	s_delay_alu instid0(SALU_CYCLE_1)
	s_or_b32 s0, s0, s20
	s_or_b32 exec_lo, exec_lo, s19
	s_and_saveexec_b32 s19, s0
	s_cbranch_execnz .LBB246_161
	s_branch .LBB246_162
.LBB246_397:
	s_mov_b32 s0, -1
	s_mov_b32 s21, exec_lo
	v_cmpx_eq_u16_e32 0x80, v8
; %bb.398:
	s_xor_b32 s0, exec_lo, -1
; %bb.399:
	s_or_b32 exec_lo, exec_lo, s21
	s_delay_alu instid0(SALU_CYCLE_1)
	s_and_b32 s0, s0, exec_lo
	s_or_saveexec_b32 s20, s20
	v_mov_b32_e32 v9, 0x7f800001
	s_xor_b32 exec_lo, exec_lo, s20
	s_cbranch_execz .LBB246_186
.LBB246_400:
	v_cmp_ne_u16_e32 vcc_lo, 0, v8
	v_mov_b32_e32 v9, 0
	s_and_not1_b32 s0, s0, exec_lo
	s_and_b32 s21, vcc_lo, exec_lo
	s_delay_alu instid0(SALU_CYCLE_1)
	s_or_b32 s0, s0, s21
	s_or_b32 exec_lo, exec_lo, s20
	s_and_saveexec_b32 s20, s0
	s_cbranch_execnz .LBB246_187
	s_branch .LBB246_188
.LBB246_401:
	s_mov_b32 s0, -1
	s_mov_b32 s21, exec_lo
	v_cmpx_eq_u16_e32 0x80, v11
; %bb.402:
	s_xor_b32 s0, exec_lo, -1
; %bb.403:
	s_or_b32 exec_lo, exec_lo, s21
	s_delay_alu instid0(SALU_CYCLE_1)
	s_and_b32 s0, s0, exec_lo
                                        ; implicit-def: $vgpr11
	s_or_saveexec_b32 s20, s20
	v_mov_b32_e32 v10, 0x7f800001
	s_xor_b32 exec_lo, exec_lo, s20
	s_cbranch_execz .LBB246_190
.LBB246_404:
	v_cmp_ne_u16_e32 vcc_lo, 0, v11
	v_mov_b32_e32 v10, 0
	s_and_not1_b32 s0, s0, exec_lo
	s_and_b32 s21, vcc_lo, exec_lo
	s_delay_alu instid0(SALU_CYCLE_1)
	s_or_b32 s0, s0, s21
	s_or_b32 exec_lo, exec_lo, s20
	s_and_saveexec_b32 s20, s0
	s_cbranch_execnz .LBB246_191
	s_branch .LBB246_192
.LBB246_405:
	s_mov_b32 s0, -1
	s_mov_b32 s22, exec_lo
	v_cmpx_eq_u16_e32 0x80, v8
; %bb.406:
	s_xor_b32 s0, exec_lo, -1
; %bb.407:
	s_or_b32 exec_lo, exec_lo, s22
	s_delay_alu instid0(SALU_CYCLE_1)
	s_and_b32 s0, s0, exec_lo
	s_or_saveexec_b32 s21, s21
	v_mov_b32_e32 v9, 0x7f800001
	s_xor_b32 exec_lo, exec_lo, s21
	s_cbranch_execz .LBB246_206
.LBB246_408:
	v_cmp_ne_u16_e32 vcc_lo, 0, v8
	v_mov_b32_e32 v9, 0
	s_and_not1_b32 s0, s0, exec_lo
	s_and_b32 s22, vcc_lo, exec_lo
	s_delay_alu instid0(SALU_CYCLE_1)
	s_or_b32 s0, s0, s22
	s_or_b32 exec_lo, exec_lo, s21
	s_and_saveexec_b32 s21, s0
	s_cbranch_execnz .LBB246_207
	s_branch .LBB246_208
.LBB246_409:
	s_mov_b32 s0, -1
	s_mov_b32 s22, exec_lo
	v_cmpx_eq_u16_e32 0x80, v11
; %bb.410:
	s_xor_b32 s0, exec_lo, -1
; %bb.411:
	s_or_b32 exec_lo, exec_lo, s22
	s_delay_alu instid0(SALU_CYCLE_1)
	s_and_b32 s0, s0, exec_lo
                                        ; implicit-def: $vgpr11
	s_or_saveexec_b32 s21, s21
	v_mov_b32_e32 v10, 0x7f800001
	s_xor_b32 exec_lo, exec_lo, s21
	s_cbranch_execz .LBB246_210
.LBB246_412:
	v_cmp_ne_u16_e32 vcc_lo, 0, v11
	v_mov_b32_e32 v10, 0
	s_and_not1_b32 s0, s0, exec_lo
	s_and_b32 s22, vcc_lo, exec_lo
	s_delay_alu instid0(SALU_CYCLE_1)
	s_or_b32 s0, s0, s22
	s_or_b32 exec_lo, exec_lo, s21
	s_and_saveexec_b32 s21, s0
	s_cbranch_execnz .LBB246_211
	s_branch .LBB246_212
.LBB246_413:
	s_mov_b32 s22, -1
	s_mov_b32 s23, exec_lo
	v_cmpx_eq_u16_e32 0x80, v7
; %bb.414:
	s_xor_b32 s22, exec_lo, -1
; %bb.415:
	s_or_b32 exec_lo, exec_lo, s23
	s_delay_alu instid0(SALU_CYCLE_1)
	s_and_b32 s22, s22, exec_lo
	s_or_saveexec_b32 s0, s0
	v_mov_b32_e32 v8, 0x7f800001
	s_xor_b32 exec_lo, exec_lo, s0
	s_cbranch_execz .LBB246_226
.LBB246_416:
	v_cmp_ne_u16_e32 vcc_lo, 0, v7
	v_mov_b32_e32 v8, 0
	s_and_not1_b32 s22, s22, exec_lo
	s_and_b32 s23, vcc_lo, exec_lo
	s_delay_alu instid0(SALU_CYCLE_1)
	s_or_b32 s22, s22, s23
	s_or_b32 exec_lo, exec_lo, s0
	s_and_saveexec_b32 s0, s22
	s_cbranch_execnz .LBB246_227
	s_branch .LBB246_228
.LBB246_417:
	s_mov_b32 s0, -1
	s_mov_b32 s23, exec_lo
	v_cmpx_eq_u16_e32 0x80, v6
; %bb.418:
	s_xor_b32 s0, exec_lo, -1
; %bb.419:
	s_or_b32 exec_lo, exec_lo, s23
	s_delay_alu instid0(SALU_CYCLE_1)
	s_and_b32 s0, s0, exec_lo
	s_or_saveexec_b32 s22, s22
	v_mov_b32_e32 v9, 0x7f800001
	s_xor_b32 exec_lo, exec_lo, s22
	s_cbranch_execz .LBB246_230
.LBB246_420:
	v_cmp_ne_u16_e32 vcc_lo, 0, v6
	v_mov_b32_e32 v9, 0
	s_and_not1_b32 s0, s0, exec_lo
	s_and_b32 s23, vcc_lo, exec_lo
	s_delay_alu instid0(SALU_CYCLE_1)
	s_or_b32 s0, s0, s23
	s_or_b32 exec_lo, exec_lo, s22
	s_and_saveexec_b32 s22, s0
	s_cbranch_execnz .LBB246_231
	s_branch .LBB246_232
.LBB246_421:
	s_mov_b32 s0, -1
	s_mov_b32 s24, exec_lo
	v_cmpx_eq_u16_e32 0x80, v4
; %bb.422:
	s_xor_b32 s0, exec_lo, -1
; %bb.423:
	s_or_b32 exec_lo, exec_lo, s24
	s_delay_alu instid0(SALU_CYCLE_1)
	s_and_b32 s0, s0, exec_lo
	s_or_saveexec_b32 s23, s23
	v_mov_b32_e32 v5, 0x7f800001
	s_xor_b32 exec_lo, exec_lo, s23
	s_cbranch_execz .LBB246_236
.LBB246_424:
	v_cmp_ne_u16_e32 vcc_lo, 0, v4
	v_mov_b32_e32 v5, 0
	s_and_not1_b32 s0, s0, exec_lo
	s_and_b32 s24, vcc_lo, exec_lo
	s_delay_alu instid0(SALU_CYCLE_1)
	s_or_b32 s0, s0, s24
	s_or_b32 exec_lo, exec_lo, s23
	s_and_saveexec_b32 s23, s0
	s_cbranch_execnz .LBB246_237
	s_branch .LBB246_238
.LBB246_425:
	s_mov_b32 s0, -1
	s_mov_b32 s24, exec_lo
	v_cmpx_eq_u16_e32 0x80, v7
; %bb.426:
	s_xor_b32 s0, exec_lo, -1
; %bb.427:
	s_or_b32 exec_lo, exec_lo, s24
	s_delay_alu instid0(SALU_CYCLE_1)
	s_and_b32 s0, s0, exec_lo
                                        ; implicit-def: $vgpr7
	s_or_saveexec_b32 s23, s23
	v_mov_b32_e32 v6, 0x7f800001
	s_xor_b32 exec_lo, exec_lo, s23
	s_cbranch_execz .LBB246_240
.LBB246_428:
	v_cmp_ne_u16_e32 vcc_lo, 0, v7
	v_mov_b32_e32 v6, 0
	s_and_not1_b32 s0, s0, exec_lo
	s_and_b32 s24, vcc_lo, exec_lo
	s_delay_alu instid0(SALU_CYCLE_1)
	s_or_b32 s0, s0, s24
	s_or_b32 exec_lo, exec_lo, s23
	s_and_saveexec_b32 s23, s0
	s_cbranch_execnz .LBB246_241
	s_branch .LBB246_242
.LBB246_429:
	s_mov_b32 s0, -1
	s_mov_b32 s25, exec_lo
	v_cmpx_eq_u16_e32 0x80, v6
; %bb.430:
	s_xor_b32 s0, exec_lo, -1
; %bb.431:
	s_or_b32 exec_lo, exec_lo, s25
	s_delay_alu instid0(SALU_CYCLE_1)
	s_and_b32 s0, s0, exec_lo
	s_or_saveexec_b32 s24, s24
	v_mov_b32_e32 v7, 0x7f800001
	s_xor_b32 exec_lo, exec_lo, s24
	s_cbranch_execz .LBB246_266
.LBB246_432:
	v_cmp_ne_u16_e32 vcc_lo, 0, v6
	v_mov_b32_e32 v7, 0
	s_and_not1_b32 s0, s0, exec_lo
	s_and_b32 s25, vcc_lo, exec_lo
	s_delay_alu instid0(SALU_CYCLE_1)
	s_or_b32 s0, s0, s25
	s_or_b32 exec_lo, exec_lo, s24
	s_and_saveexec_b32 s24, s0
	s_cbranch_execnz .LBB246_267
	s_branch .LBB246_268
.LBB246_433:
	s_mov_b32 s0, -1
	s_mov_b32 s25, exec_lo
	v_cmpx_eq_u16_e32 0x80, v9
; %bb.434:
	s_xor_b32 s0, exec_lo, -1
; %bb.435:
	s_or_b32 exec_lo, exec_lo, s25
	s_delay_alu instid0(SALU_CYCLE_1)
	s_and_b32 s0, s0, exec_lo
                                        ; implicit-def: $vgpr9
	s_or_saveexec_b32 s24, s24
	v_mov_b32_e32 v8, 0x7f800001
	s_xor_b32 exec_lo, exec_lo, s24
	s_cbranch_execz .LBB246_270
.LBB246_436:
	v_cmp_ne_u16_e32 vcc_lo, 0, v9
	v_mov_b32_e32 v8, 0
	s_and_not1_b32 s0, s0, exec_lo
	s_and_b32 s25, vcc_lo, exec_lo
	s_delay_alu instid0(SALU_CYCLE_1)
	s_or_b32 s0, s0, s25
	s_or_b32 exec_lo, exec_lo, s24
	s_and_saveexec_b32 s24, s0
	s_cbranch_execnz .LBB246_271
	s_branch .LBB246_272
.LBB246_437:
	s_mov_b32 s0, -1
	s_mov_b32 s26, exec_lo
	v_cmpx_eq_u16_e32 0x80, v6
; %bb.438:
	s_xor_b32 s0, exec_lo, -1
; %bb.439:
	s_or_b32 exec_lo, exec_lo, s26
	s_delay_alu instid0(SALU_CYCLE_1)
	s_and_b32 s0, s0, exec_lo
	s_or_saveexec_b32 s25, s25
	v_mov_b32_e32 v7, 0x7f800001
	s_xor_b32 exec_lo, exec_lo, s25
	s_cbranch_execz .LBB246_286
.LBB246_440:
	v_cmp_ne_u16_e32 vcc_lo, 0, v6
	v_mov_b32_e32 v7, 0
	s_and_not1_b32 s0, s0, exec_lo
	s_and_b32 s26, vcc_lo, exec_lo
	s_delay_alu instid0(SALU_CYCLE_1)
	s_or_b32 s0, s0, s26
	s_or_b32 exec_lo, exec_lo, s25
	s_and_saveexec_b32 s25, s0
	s_cbranch_execnz .LBB246_287
	s_branch .LBB246_288
.LBB246_441:
	s_mov_b32 s0, -1
	s_mov_b32 s26, exec_lo
	v_cmpx_eq_u16_e32 0x80, v9
; %bb.442:
	s_xor_b32 s0, exec_lo, -1
; %bb.443:
	s_or_b32 exec_lo, exec_lo, s26
	s_delay_alu instid0(SALU_CYCLE_1)
	s_and_b32 s0, s0, exec_lo
                                        ; implicit-def: $vgpr9
	s_or_saveexec_b32 s25, s25
	v_mov_b32_e32 v8, 0x7f800001
	s_xor_b32 exec_lo, exec_lo, s25
	s_cbranch_execz .LBB246_290
.LBB246_444:
	v_cmp_ne_u16_e32 vcc_lo, 0, v9
	v_mov_b32_e32 v8, 0
	s_and_not1_b32 s0, s0, exec_lo
	s_and_b32 s26, vcc_lo, exec_lo
	s_delay_alu instid0(SALU_CYCLE_1)
	s_or_b32 s0, s0, s26
	s_or_b32 exec_lo, exec_lo, s25
	s_and_saveexec_b32 s25, s0
	s_cbranch_execnz .LBB246_291
	s_branch .LBB246_292
.LBB246_445:
	s_mov_b32 s26, -1
	s_mov_b32 s27, exec_lo
	v_cmpx_eq_u16_e32 0x80, v4
; %bb.446:
	s_xor_b32 s26, exec_lo, -1
; %bb.447:
	s_or_b32 exec_lo, exec_lo, s27
	s_delay_alu instid0(SALU_CYCLE_1)
	s_and_b32 s26, s26, exec_lo
	s_or_saveexec_b32 s0, s0
	v_mov_b32_e32 v5, 0x7f800001
	s_xor_b32 exec_lo, exec_lo, s0
	s_cbranch_execz .LBB246_306
.LBB246_448:
	v_cmp_ne_u16_e32 vcc_lo, 0, v4
	v_mov_b32_e32 v5, 0
	s_and_not1_b32 s26, s26, exec_lo
	s_and_b32 s27, vcc_lo, exec_lo
	s_delay_alu instid0(SALU_CYCLE_1)
	s_or_b32 s26, s26, s27
	s_or_b32 exec_lo, exec_lo, s0
	s_and_saveexec_b32 s0, s26
	s_cbranch_execnz .LBB246_307
	s_branch .LBB246_308
.LBB246_449:
	s_mov_b32 s0, -1
	s_mov_b32 s27, exec_lo
	v_cmpx_eq_u16_e32 0x80, v3
; %bb.450:
	s_xor_b32 s0, exec_lo, -1
; %bb.451:
	s_or_b32 exec_lo, exec_lo, s27
	s_delay_alu instid0(SALU_CYCLE_1)
	s_and_b32 s0, s0, exec_lo
	s_or_saveexec_b32 s26, s26
	v_mov_b32_e32 v6, 0x7f800001
	s_xor_b32 exec_lo, exec_lo, s26
	s_cbranch_execz .LBB246_310
.LBB246_452:
	v_cmp_ne_u16_e32 vcc_lo, 0, v3
	v_mov_b32_e32 v6, 0
	s_and_not1_b32 s0, s0, exec_lo
	s_and_b32 s27, vcc_lo, exec_lo
	s_delay_alu instid0(SALU_CYCLE_1)
	s_or_b32 s0, s0, s27
	s_or_b32 exec_lo, exec_lo, s26
	s_and_saveexec_b32 s26, s0
	s_cbranch_execnz .LBB246_311
	s_branch .LBB246_312
.LBB246_453:
	s_mov_b32 s8, -1
	s_mov_b32 s13, exec_lo
	v_cmpx_eq_u16_e32 0x80, v3
; %bb.454:
	s_xor_b32 s8, exec_lo, -1
; %bb.455:
	s_or_b32 exec_lo, exec_lo, s13
	s_delay_alu instid0(SALU_CYCLE_1)
	s_and_b32 s8, s8, exec_lo
                                        ; implicit-def: $vgpr3
	s_or_saveexec_b32 s12, s12
	v_mov_b32_e32 v10, 0x7f800001
	s_xor_b32 exec_lo, exec_lo, s12
	s_cbranch_execz .LBB246_16
.LBB246_456:
	v_cmp_ne_u16_e32 vcc_lo, 0, v3
	v_mov_b32_e32 v10, 0
	s_and_not1_b32 s8, s8, exec_lo
	s_and_b32 s13, vcc_lo, exec_lo
	s_delay_alu instid0(SALU_CYCLE_1)
	s_or_b32 s8, s8, s13
	s_or_b32 exec_lo, exec_lo, s12
	s_and_saveexec_b32 s12, s8
	s_cbranch_execnz .LBB246_17
	s_branch .LBB246_18
.LBB246_457:
	s_mov_b32 s8, -1
	s_mov_b32 s13, exec_lo
	v_cmpx_eq_u16_e32 0x80, v11
; %bb.458:
	s_xor_b32 s8, exec_lo, -1
; %bb.459:
	s_or_b32 exec_lo, exec_lo, s13
	s_delay_alu instid0(SALU_CYCLE_1)
	s_and_b32 s8, s8, exec_lo
                                        ; implicit-def: $vgpr11
	s_or_saveexec_b32 s12, s12
	v_mov_b32_e32 v3, 0x7f800001
	s_xor_b32 exec_lo, exec_lo, s12
	s_cbranch_execz .LBB246_20
.LBB246_460:
	v_cmp_ne_u16_e32 vcc_lo, 0, v11
	v_mov_b32_e32 v3, 0
	s_and_not1_b32 s8, s8, exec_lo
	s_and_b32 s13, vcc_lo, exec_lo
	s_delay_alu instid0(SALU_CYCLE_1)
	s_or_b32 s8, s8, s13
	s_or_b32 exec_lo, exec_lo, s12
	s_and_saveexec_b32 s12, s8
	s_cbranch_execnz .LBB246_21
	s_branch .LBB246_22
.LBB246_461:
	s_mov_b32 s0, -1
	s_mov_b32 s13, exec_lo
	v_cmpx_eq_u16_e32 0x80, v12
; %bb.462:
	s_xor_b32 s0, exec_lo, -1
; %bb.463:
	s_or_b32 exec_lo, exec_lo, s13
	s_delay_alu instid0(SALU_CYCLE_1)
	s_and_b32 s0, s0, exec_lo
                                        ; implicit-def: $vgpr12
	s_or_saveexec_b32 s12, s12
	v_mov_b32_e32 v13, 0x7f800001
	s_xor_b32 exec_lo, exec_lo, s12
	s_cbranch_execz .LBB246_36
.LBB246_464:
	v_cmp_ne_u16_e32 vcc_lo, 0, v12
	v_mov_b32_e32 v13, 0
	s_and_not1_b32 s0, s0, exec_lo
	s_and_b32 s13, vcc_lo, exec_lo
	s_delay_alu instid0(SALU_CYCLE_1)
	s_or_b32 s0, s0, s13
	s_or_b32 exec_lo, exec_lo, s12
	s_and_saveexec_b32 s12, s0
	s_cbranch_execnz .LBB246_37
	s_branch .LBB246_38
.LBB246_465:
	s_mov_b32 s0, -1
	s_mov_b32 s13, exec_lo
	v_cmpx_eq_u16_e32 0x80, v12
; %bb.466:
	s_xor_b32 s0, exec_lo, -1
; %bb.467:
	s_or_b32 exec_lo, exec_lo, s13
	s_delay_alu instid0(SALU_CYCLE_1)
	s_and_b32 s0, s0, exec_lo
                                        ; implicit-def: $vgpr12
	s_or_saveexec_b32 s12, s12
	v_mov_b32_e32 v11, 0x7f800001
	s_xor_b32 exec_lo, exec_lo, s12
	s_cbranch_execz .LBB246_40
.LBB246_468:
	v_cmp_ne_u16_e32 vcc_lo, 0, v12
	v_mov_b32_e32 v11, 0
	s_and_not1_b32 s0, s0, exec_lo
	s_and_b32 s13, vcc_lo, exec_lo
	s_delay_alu instid0(SALU_CYCLE_1)
	s_or_b32 s0, s0, s13
	s_or_b32 exec_lo, exec_lo, s12
	s_and_saveexec_b32 s12, s0
	s_cbranch_execnz .LBB246_41
	s_branch .LBB246_42
.LBB246_469:
	s_mov_b32 s0, -1
	s_mov_b32 s14, exec_lo
	v_cmpx_eq_u16_e32 0x80, v12
; %bb.470:
	s_xor_b32 s0, exec_lo, -1
; %bb.471:
	s_or_b32 exec_lo, exec_lo, s14
	s_delay_alu instid0(SALU_CYCLE_1)
	s_and_b32 s0, s0, exec_lo
                                        ; implicit-def: $vgpr12
	s_or_saveexec_b32 s13, s13
	v_mov_b32_e32 v13, 0x7f800001
	s_xor_b32 exec_lo, exec_lo, s13
	s_cbranch_execz .LBB246_56
.LBB246_472:
	v_cmp_ne_u16_e32 vcc_lo, 0, v12
	v_mov_b32_e32 v13, 0
	s_and_not1_b32 s0, s0, exec_lo
	s_and_b32 s14, vcc_lo, exec_lo
	s_delay_alu instid0(SALU_CYCLE_1)
	s_or_b32 s0, s0, s14
	s_or_b32 exec_lo, exec_lo, s13
	s_and_saveexec_b32 s13, s0
	s_cbranch_execnz .LBB246_57
	s_branch .LBB246_58
.LBB246_473:
	s_mov_b32 s0, -1
	s_mov_b32 s14, exec_lo
	v_cmpx_eq_u16_e32 0x80, v12
; %bb.474:
	s_xor_b32 s0, exec_lo, -1
; %bb.475:
	s_or_b32 exec_lo, exec_lo, s14
	s_delay_alu instid0(SALU_CYCLE_1)
	s_and_b32 s0, s0, exec_lo
                                        ; implicit-def: $vgpr12
	s_or_saveexec_b32 s13, s13
	v_mov_b32_e32 v11, 0x7f800001
	s_xor_b32 exec_lo, exec_lo, s13
	s_cbranch_execz .LBB246_60
.LBB246_476:
	v_cmp_ne_u16_e32 vcc_lo, 0, v12
	v_mov_b32_e32 v11, 0
	s_and_not1_b32 s0, s0, exec_lo
	s_and_b32 s14, vcc_lo, exec_lo
	s_delay_alu instid0(SALU_CYCLE_1)
	s_or_b32 s0, s0, s14
	s_or_b32 exec_lo, exec_lo, s13
	s_and_saveexec_b32 s13, s0
	s_cbranch_execnz .LBB246_61
	s_branch .LBB246_62
.LBB246_477:
	s_mov_b32 s0, -1
	s_mov_b32 s15, exec_lo
	v_cmpx_eq_u16_e32 0x80, v11
; %bb.478:
	s_xor_b32 s0, exec_lo, -1
; %bb.479:
	s_or_b32 exec_lo, exec_lo, s15
	s_delay_alu instid0(SALU_CYCLE_1)
	s_and_b32 s0, s0, exec_lo
	s_or_saveexec_b32 s14, s14
	v_mov_b32_e32 v12, 0x7f800001
	s_xor_b32 exec_lo, exec_lo, s14
	s_cbranch_execz .LBB246_86
.LBB246_480:
	v_cmp_ne_u16_e32 vcc_lo, 0, v11
	v_mov_b32_e32 v12, 0
	s_and_not1_b32 s0, s0, exec_lo
	s_and_b32 s15, vcc_lo, exec_lo
	s_delay_alu instid0(SALU_CYCLE_1)
	s_or_b32 s0, s0, s15
	s_or_b32 exec_lo, exec_lo, s14
	s_and_saveexec_b32 s14, s0
	s_cbranch_execnz .LBB246_87
	s_branch .LBB246_88
.LBB246_481:
	s_mov_b32 s0, -1
	s_mov_b32 s15, exec_lo
	v_cmpx_eq_u16_e32 0x80, v10
; %bb.482:
	s_xor_b32 s0, exec_lo, -1
; %bb.483:
	s_or_b32 exec_lo, exec_lo, s15
	s_delay_alu instid0(SALU_CYCLE_1)
	s_and_b32 s0, s0, exec_lo
	s_or_saveexec_b32 s14, s14
	v_mov_b32_e32 v9, 0x7f800001
	s_xor_b32 exec_lo, exec_lo, s14
	s_cbranch_execz .LBB246_90
.LBB246_484:
	v_cmp_ne_u16_e32 vcc_lo, 0, v10
	v_mov_b32_e32 v9, 0
	s_and_not1_b32 s0, s0, exec_lo
	s_and_b32 s15, vcc_lo, exec_lo
	s_delay_alu instid0(SALU_CYCLE_1)
	s_or_b32 s0, s0, s15
	s_or_b32 exec_lo, exec_lo, s14
	s_and_saveexec_b32 s14, s0
	s_cbranch_execnz .LBB246_91
	s_branch .LBB246_92
.LBB246_485:
	s_mov_b32 s0, -1
	s_mov_b32 s16, exec_lo
	v_cmpx_eq_u16_e32 0x80, v8
; %bb.486:
	s_xor_b32 s0, exec_lo, -1
; %bb.487:
	s_or_b32 exec_lo, exec_lo, s16
	s_delay_alu instid0(SALU_CYCLE_1)
	s_and_b32 s0, s0, exec_lo
                                        ; implicit-def: $vgpr8
	s_or_saveexec_b32 s15, s15
	v_mov_b32_e32 v9, 0x7f800001
	s_xor_b32 exec_lo, exec_lo, s15
	s_cbranch_execz .LBB246_96
.LBB246_488:
	v_cmp_ne_u16_e32 vcc_lo, 0, v8
	v_mov_b32_e32 v9, 0
	s_and_not1_b32 s0, s0, exec_lo
	s_and_b32 s16, vcc_lo, exec_lo
	s_delay_alu instid0(SALU_CYCLE_1)
	s_or_b32 s0, s0, s16
	s_or_b32 exec_lo, exec_lo, s15
	s_and_saveexec_b32 s15, s0
	s_cbranch_execnz .LBB246_97
	s_branch .LBB246_98
.LBB246_489:
	s_mov_b32 s0, -1
	s_mov_b32 s16, exec_lo
	v_cmpx_eq_u16_e32 0x80, v10
; %bb.490:
	s_xor_b32 s0, exec_lo, -1
; %bb.491:
	s_or_b32 exec_lo, exec_lo, s16
	s_delay_alu instid0(SALU_CYCLE_1)
	s_and_b32 s0, s0, exec_lo
                                        ; implicit-def: $vgpr10
	s_or_saveexec_b32 s15, s15
	v_mov_b32_e32 v8, 0x7f800001
	s_xor_b32 exec_lo, exec_lo, s15
	s_cbranch_execz .LBB246_100
.LBB246_492:
	v_cmp_ne_u16_e32 vcc_lo, 0, v10
	v_mov_b32_e32 v8, 0
	s_and_not1_b32 s0, s0, exec_lo
	s_and_b32 s16, vcc_lo, exec_lo
	s_delay_alu instid0(SALU_CYCLE_1)
	s_or_b32 s0, s0, s16
	s_or_b32 exec_lo, exec_lo, s15
	s_and_saveexec_b32 s15, s0
	s_cbranch_execnz .LBB246_101
	s_branch .LBB246_102
.LBB246_493:
	s_mov_b32 s0, -1
	s_mov_b32 s17, exec_lo
	v_cmpx_eq_u16_e32 0x80, v10
; %bb.494:
	s_xor_b32 s0, exec_lo, -1
; %bb.495:
	s_or_b32 exec_lo, exec_lo, s17
	s_delay_alu instid0(SALU_CYCLE_1)
	s_and_b32 s0, s0, exec_lo
                                        ; implicit-def: $vgpr10
	s_or_saveexec_b32 s16, s16
	v_mov_b32_e32 v11, 0x7f800001
	s_xor_b32 exec_lo, exec_lo, s16
	s_cbranch_execz .LBB246_116
.LBB246_496:
	v_cmp_ne_u16_e32 vcc_lo, 0, v10
	v_mov_b32_e32 v11, 0
	s_and_not1_b32 s0, s0, exec_lo
	s_and_b32 s17, vcc_lo, exec_lo
	s_delay_alu instid0(SALU_CYCLE_1)
	s_or_b32 s0, s0, s17
	s_or_b32 exec_lo, exec_lo, s16
	s_and_saveexec_b32 s16, s0
	s_cbranch_execnz .LBB246_117
	s_branch .LBB246_118
.LBB246_497:
	s_mov_b32 s0, -1
	s_mov_b32 s17, exec_lo
	v_cmpx_eq_u16_e32 0x80, v10
; %bb.498:
	s_xor_b32 s0, exec_lo, -1
; %bb.499:
	s_or_b32 exec_lo, exec_lo, s17
	s_delay_alu instid0(SALU_CYCLE_1)
	s_and_b32 s0, s0, exec_lo
                                        ; implicit-def: $vgpr10
	s_or_saveexec_b32 s16, s16
	v_mov_b32_e32 v9, 0x7f800001
	s_xor_b32 exec_lo, exec_lo, s16
	s_cbranch_execz .LBB246_120
.LBB246_500:
	v_cmp_ne_u16_e32 vcc_lo, 0, v10
	v_mov_b32_e32 v9, 0
	s_and_not1_b32 s0, s0, exec_lo
	s_and_b32 s17, vcc_lo, exec_lo
	s_delay_alu instid0(SALU_CYCLE_1)
	s_or_b32 s0, s0, s17
	s_or_b32 exec_lo, exec_lo, s16
	s_and_saveexec_b32 s16, s0
	s_cbranch_execnz .LBB246_121
	s_branch .LBB246_122
.LBB246_501:
	s_mov_b32 s0, -1
	s_mov_b32 s18, exec_lo
	v_cmpx_eq_u16_e32 0x80, v10
; %bb.502:
	s_xor_b32 s0, exec_lo, -1
; %bb.503:
	s_or_b32 exec_lo, exec_lo, s18
	s_delay_alu instid0(SALU_CYCLE_1)
	s_and_b32 s0, s0, exec_lo
                                        ; implicit-def: $vgpr10
	s_or_saveexec_b32 s17, s17
	v_mov_b32_e32 v11, 0x7f800001
	s_xor_b32 exec_lo, exec_lo, s17
	s_cbranch_execz .LBB246_136
.LBB246_504:
	v_cmp_ne_u16_e32 vcc_lo, 0, v10
	v_mov_b32_e32 v11, 0
	s_and_not1_b32 s0, s0, exec_lo
	s_and_b32 s18, vcc_lo, exec_lo
	s_delay_alu instid0(SALU_CYCLE_1)
	s_or_b32 s0, s0, s18
	s_or_b32 exec_lo, exec_lo, s17
	s_and_saveexec_b32 s17, s0
	s_cbranch_execnz .LBB246_137
	s_branch .LBB246_138
.LBB246_505:
	s_mov_b32 s0, -1
	s_mov_b32 s18, exec_lo
	v_cmpx_eq_u16_e32 0x80, v10
; %bb.506:
	s_xor_b32 s0, exec_lo, -1
; %bb.507:
	s_or_b32 exec_lo, exec_lo, s18
	s_delay_alu instid0(SALU_CYCLE_1)
	s_and_b32 s0, s0, exec_lo
                                        ; implicit-def: $vgpr10
	s_or_saveexec_b32 s17, s17
	v_mov_b32_e32 v9, 0x7f800001
	s_xor_b32 exec_lo, exec_lo, s17
	s_cbranch_execz .LBB246_140
.LBB246_508:
	v_cmp_ne_u16_e32 vcc_lo, 0, v10
	v_mov_b32_e32 v9, 0
	s_and_not1_b32 s0, s0, exec_lo
	s_and_b32 s18, vcc_lo, exec_lo
	s_delay_alu instid0(SALU_CYCLE_1)
	s_or_b32 s0, s0, s18
	s_or_b32 exec_lo, exec_lo, s17
	s_and_saveexec_b32 s17, s0
	s_cbranch_execnz .LBB246_141
	s_branch .LBB246_142
.LBB246_509:
	s_mov_b32 s0, -1
	s_mov_b32 s19, exec_lo
	v_cmpx_eq_u16_e32 0x80, v9
; %bb.510:
	s_xor_b32 s0, exec_lo, -1
; %bb.511:
	s_or_b32 exec_lo, exec_lo, s19
	s_delay_alu instid0(SALU_CYCLE_1)
	s_and_b32 s0, s0, exec_lo
	s_or_saveexec_b32 s18, s18
	v_mov_b32_e32 v10, 0x7f800001
	s_xor_b32 exec_lo, exec_lo, s18
	s_cbranch_execz .LBB246_166
.LBB246_512:
	v_cmp_ne_u16_e32 vcc_lo, 0, v9
	v_mov_b32_e32 v10, 0
	s_and_not1_b32 s0, s0, exec_lo
	s_and_b32 s19, vcc_lo, exec_lo
	s_delay_alu instid0(SALU_CYCLE_1)
	s_or_b32 s0, s0, s19
	s_or_b32 exec_lo, exec_lo, s18
	s_and_saveexec_b32 s18, s0
	s_cbranch_execnz .LBB246_167
	s_branch .LBB246_168
.LBB246_513:
	s_mov_b32 s0, -1
	s_mov_b32 s19, exec_lo
	v_cmpx_eq_u16_e32 0x80, v8
; %bb.514:
	s_xor_b32 s0, exec_lo, -1
; %bb.515:
	s_or_b32 exec_lo, exec_lo, s19
	s_delay_alu instid0(SALU_CYCLE_1)
	s_and_b32 s0, s0, exec_lo
	s_or_saveexec_b32 s18, s18
	v_mov_b32_e32 v7, 0x7f800001
	s_xor_b32 exec_lo, exec_lo, s18
	s_cbranch_execz .LBB246_170
.LBB246_516:
	v_cmp_ne_u16_e32 vcc_lo, 0, v8
	v_mov_b32_e32 v7, 0
	s_and_not1_b32 s0, s0, exec_lo
	s_and_b32 s19, vcc_lo, exec_lo
	s_delay_alu instid0(SALU_CYCLE_1)
	s_or_b32 s0, s0, s19
	s_or_b32 exec_lo, exec_lo, s18
	s_and_saveexec_b32 s18, s0
	s_cbranch_execnz .LBB246_171
	s_branch .LBB246_172
.LBB246_517:
	s_mov_b32 s0, -1
	s_mov_b32 s20, exec_lo
	v_cmpx_eq_u16_e32 0x80, v6
; %bb.518:
	s_xor_b32 s0, exec_lo, -1
; %bb.519:
	s_or_b32 exec_lo, exec_lo, s20
	s_delay_alu instid0(SALU_CYCLE_1)
	s_and_b32 s0, s0, exec_lo
                                        ; implicit-def: $vgpr6
	s_or_saveexec_b32 s19, s19
	v_mov_b32_e32 v7, 0x7f800001
	s_xor_b32 exec_lo, exec_lo, s19
	s_cbranch_execz .LBB246_176
.LBB246_520:
	v_cmp_ne_u16_e32 vcc_lo, 0, v6
	v_mov_b32_e32 v7, 0
	s_and_not1_b32 s0, s0, exec_lo
	s_and_b32 s20, vcc_lo, exec_lo
	s_delay_alu instid0(SALU_CYCLE_1)
	s_or_b32 s0, s0, s20
	s_or_b32 exec_lo, exec_lo, s19
	s_and_saveexec_b32 s19, s0
	s_cbranch_execnz .LBB246_177
	s_branch .LBB246_178
.LBB246_521:
	s_mov_b32 s0, -1
	s_mov_b32 s20, exec_lo
	v_cmpx_eq_u16_e32 0x80, v8
; %bb.522:
	s_xor_b32 s0, exec_lo, -1
; %bb.523:
	s_or_b32 exec_lo, exec_lo, s20
	s_delay_alu instid0(SALU_CYCLE_1)
	s_and_b32 s0, s0, exec_lo
                                        ; implicit-def: $vgpr8
	s_or_saveexec_b32 s19, s19
	v_mov_b32_e32 v6, 0x7f800001
	s_xor_b32 exec_lo, exec_lo, s19
	s_cbranch_execz .LBB246_180
.LBB246_524:
	v_cmp_ne_u16_e32 vcc_lo, 0, v8
	v_mov_b32_e32 v6, 0
	s_and_not1_b32 s0, s0, exec_lo
	s_and_b32 s20, vcc_lo, exec_lo
	s_delay_alu instid0(SALU_CYCLE_1)
	s_or_b32 s0, s0, s20
	s_or_b32 exec_lo, exec_lo, s19
	s_and_saveexec_b32 s19, s0
	s_cbranch_execnz .LBB246_181
	s_branch .LBB246_182
.LBB246_525:
	s_mov_b32 s0, -1
	s_mov_b32 s21, exec_lo
	v_cmpx_eq_u16_e32 0x80, v8
; %bb.526:
	s_xor_b32 s0, exec_lo, -1
; %bb.527:
	s_or_b32 exec_lo, exec_lo, s21
	s_delay_alu instid0(SALU_CYCLE_1)
	s_and_b32 s0, s0, exec_lo
                                        ; implicit-def: $vgpr8
	s_or_saveexec_b32 s20, s20
	v_mov_b32_e32 v9, 0x7f800001
	s_xor_b32 exec_lo, exec_lo, s20
	s_cbranch_execz .LBB246_196
.LBB246_528:
	v_cmp_ne_u16_e32 vcc_lo, 0, v8
	v_mov_b32_e32 v9, 0
	s_and_not1_b32 s0, s0, exec_lo
	s_and_b32 s21, vcc_lo, exec_lo
	s_delay_alu instid0(SALU_CYCLE_1)
	s_or_b32 s0, s0, s21
	s_or_b32 exec_lo, exec_lo, s20
	s_and_saveexec_b32 s20, s0
	s_cbranch_execnz .LBB246_197
	s_branch .LBB246_198
.LBB246_529:
	s_mov_b32 s0, -1
	s_mov_b32 s21, exec_lo
	v_cmpx_eq_u16_e32 0x80, v8
; %bb.530:
	s_xor_b32 s0, exec_lo, -1
; %bb.531:
	s_or_b32 exec_lo, exec_lo, s21
	s_delay_alu instid0(SALU_CYCLE_1)
	s_and_b32 s0, s0, exec_lo
                                        ; implicit-def: $vgpr8
	s_or_saveexec_b32 s20, s20
	v_mov_b32_e32 v7, 0x7f800001
	s_xor_b32 exec_lo, exec_lo, s20
	s_cbranch_execz .LBB246_200
.LBB246_532:
	v_cmp_ne_u16_e32 vcc_lo, 0, v8
	v_mov_b32_e32 v7, 0
	s_and_not1_b32 s0, s0, exec_lo
	s_and_b32 s21, vcc_lo, exec_lo
	s_delay_alu instid0(SALU_CYCLE_1)
	s_or_b32 s0, s0, s21
	s_or_b32 exec_lo, exec_lo, s20
	s_and_saveexec_b32 s20, s0
	s_cbranch_execnz .LBB246_201
	s_branch .LBB246_202
.LBB246_533:
	s_mov_b32 s0, -1
	s_mov_b32 s22, exec_lo
	v_cmpx_eq_u16_e32 0x80, v8
; %bb.534:
	s_xor_b32 s0, exec_lo, -1
; %bb.535:
	s_or_b32 exec_lo, exec_lo, s22
	s_delay_alu instid0(SALU_CYCLE_1)
	s_and_b32 s0, s0, exec_lo
                                        ; implicit-def: $vgpr8
	s_or_saveexec_b32 s21, s21
	v_mov_b32_e32 v9, 0x7f800001
	s_xor_b32 exec_lo, exec_lo, s21
	s_cbranch_execz .LBB246_216
.LBB246_536:
	v_cmp_ne_u16_e32 vcc_lo, 0, v8
	v_mov_b32_e32 v9, 0
	s_and_not1_b32 s0, s0, exec_lo
	s_and_b32 s22, vcc_lo, exec_lo
	s_delay_alu instid0(SALU_CYCLE_1)
	s_or_b32 s0, s0, s22
	s_or_b32 exec_lo, exec_lo, s21
	s_and_saveexec_b32 s21, s0
	s_cbranch_execnz .LBB246_217
	s_branch .LBB246_218
.LBB246_537:
	s_mov_b32 s0, -1
	s_mov_b32 s22, exec_lo
	v_cmpx_eq_u16_e32 0x80, v8
; %bb.538:
	s_xor_b32 s0, exec_lo, -1
; %bb.539:
	s_or_b32 exec_lo, exec_lo, s22
	s_delay_alu instid0(SALU_CYCLE_1)
	s_and_b32 s0, s0, exec_lo
                                        ; implicit-def: $vgpr8
	s_or_saveexec_b32 s21, s21
	v_mov_b32_e32 v7, 0x7f800001
	s_xor_b32 exec_lo, exec_lo, s21
	s_cbranch_execz .LBB246_220
.LBB246_540:
	v_cmp_ne_u16_e32 vcc_lo, 0, v8
	v_mov_b32_e32 v7, 0
	s_and_not1_b32 s0, s0, exec_lo
	s_and_b32 s22, vcc_lo, exec_lo
	s_delay_alu instid0(SALU_CYCLE_1)
	s_or_b32 s0, s0, s22
	s_or_b32 exec_lo, exec_lo, s21
	s_and_saveexec_b32 s21, s0
	s_cbranch_execnz .LBB246_221
	s_branch .LBB246_222
.LBB246_541:
	s_mov_b32 s0, -1
	s_mov_b32 s23, exec_lo
	v_cmpx_eq_u16_e32 0x80, v7
; %bb.542:
	s_xor_b32 s0, exec_lo, -1
; %bb.543:
	s_or_b32 exec_lo, exec_lo, s23
	s_delay_alu instid0(SALU_CYCLE_1)
	s_and_b32 s0, s0, exec_lo
	s_or_saveexec_b32 s22, s22
	v_mov_b32_e32 v8, 0x7f800001
	s_xor_b32 exec_lo, exec_lo, s22
	s_cbranch_execz .LBB246_246
.LBB246_544:
	v_cmp_ne_u16_e32 vcc_lo, 0, v7
	v_mov_b32_e32 v8, 0
	s_and_not1_b32 s0, s0, exec_lo
	s_and_b32 s23, vcc_lo, exec_lo
	s_delay_alu instid0(SALU_CYCLE_1)
	s_or_b32 s0, s0, s23
	s_or_b32 exec_lo, exec_lo, s22
	s_and_saveexec_b32 s22, s0
	s_cbranch_execnz .LBB246_247
	s_branch .LBB246_248
.LBB246_545:
	s_mov_b32 s0, -1
	s_mov_b32 s23, exec_lo
	v_cmpx_eq_u16_e32 0x80, v6
; %bb.546:
	s_xor_b32 s0, exec_lo, -1
; %bb.547:
	s_or_b32 exec_lo, exec_lo, s23
	s_delay_alu instid0(SALU_CYCLE_1)
	s_and_b32 s0, s0, exec_lo
	s_or_saveexec_b32 s22, s22
	v_mov_b32_e32 v5, 0x7f800001
	s_xor_b32 exec_lo, exec_lo, s22
	s_cbranch_execz .LBB246_250
.LBB246_548:
	v_cmp_ne_u16_e32 vcc_lo, 0, v6
	v_mov_b32_e32 v5, 0
	s_and_not1_b32 s0, s0, exec_lo
	s_and_b32 s23, vcc_lo, exec_lo
	s_delay_alu instid0(SALU_CYCLE_1)
	s_or_b32 s0, s0, s23
	s_or_b32 exec_lo, exec_lo, s22
	s_and_saveexec_b32 s22, s0
	s_cbranch_execnz .LBB246_251
	s_branch .LBB246_252
.LBB246_549:
	s_mov_b32 s0, -1
	s_mov_b32 s24, exec_lo
	v_cmpx_eq_u16_e32 0x80, v4
; %bb.550:
	s_xor_b32 s0, exec_lo, -1
; %bb.551:
	s_or_b32 exec_lo, exec_lo, s24
	s_delay_alu instid0(SALU_CYCLE_1)
	s_and_b32 s0, s0, exec_lo
                                        ; implicit-def: $vgpr4
	s_or_saveexec_b32 s23, s23
	v_mov_b32_e32 v5, 0x7f800001
	s_xor_b32 exec_lo, exec_lo, s23
	s_cbranch_execz .LBB246_256
.LBB246_552:
	v_cmp_ne_u16_e32 vcc_lo, 0, v4
	v_mov_b32_e32 v5, 0
	s_and_not1_b32 s0, s0, exec_lo
	s_and_b32 s24, vcc_lo, exec_lo
	s_delay_alu instid0(SALU_CYCLE_1)
	s_or_b32 s0, s0, s24
	s_or_b32 exec_lo, exec_lo, s23
	s_and_saveexec_b32 s23, s0
	s_cbranch_execnz .LBB246_257
	s_branch .LBB246_258
.LBB246_553:
	s_mov_b32 s0, -1
	s_mov_b32 s24, exec_lo
	v_cmpx_eq_u16_e32 0x80, v6
; %bb.554:
	s_xor_b32 s0, exec_lo, -1
; %bb.555:
	s_or_b32 exec_lo, exec_lo, s24
	s_delay_alu instid0(SALU_CYCLE_1)
	s_and_b32 s0, s0, exec_lo
                                        ; implicit-def: $vgpr6
	s_or_saveexec_b32 s23, s23
	v_mov_b32_e32 v4, 0x7f800001
	s_xor_b32 exec_lo, exec_lo, s23
	s_cbranch_execz .LBB246_260
.LBB246_556:
	v_cmp_ne_u16_e32 vcc_lo, 0, v6
	v_mov_b32_e32 v4, 0
	s_and_not1_b32 s0, s0, exec_lo
	s_and_b32 s24, vcc_lo, exec_lo
	s_delay_alu instid0(SALU_CYCLE_1)
	s_or_b32 s0, s0, s24
	s_or_b32 exec_lo, exec_lo, s23
	s_and_saveexec_b32 s23, s0
	s_cbranch_execnz .LBB246_261
	s_branch .LBB246_262
.LBB246_557:
	s_mov_b32 s0, -1
	s_mov_b32 s25, exec_lo
	v_cmpx_eq_u16_e32 0x80, v6
; %bb.558:
	s_xor_b32 s0, exec_lo, -1
; %bb.559:
	s_or_b32 exec_lo, exec_lo, s25
	s_delay_alu instid0(SALU_CYCLE_1)
	s_and_b32 s0, s0, exec_lo
                                        ; implicit-def: $vgpr6
	s_or_saveexec_b32 s24, s24
	v_mov_b32_e32 v7, 0x7f800001
	s_xor_b32 exec_lo, exec_lo, s24
	s_cbranch_execz .LBB246_276
.LBB246_560:
	v_cmp_ne_u16_e32 vcc_lo, 0, v6
	v_mov_b32_e32 v7, 0
	s_and_not1_b32 s0, s0, exec_lo
	s_and_b32 s25, vcc_lo, exec_lo
	s_delay_alu instid0(SALU_CYCLE_1)
	s_or_b32 s0, s0, s25
	s_or_b32 exec_lo, exec_lo, s24
	s_and_saveexec_b32 s24, s0
	s_cbranch_execnz .LBB246_277
	s_branch .LBB246_278
.LBB246_561:
	s_mov_b32 s0, -1
	s_mov_b32 s25, exec_lo
	v_cmpx_eq_u16_e32 0x80, v6
; %bb.562:
	s_xor_b32 s0, exec_lo, -1
; %bb.563:
	s_or_b32 exec_lo, exec_lo, s25
	s_delay_alu instid0(SALU_CYCLE_1)
	s_and_b32 s0, s0, exec_lo
                                        ; implicit-def: $vgpr6
	s_or_saveexec_b32 s24, s24
	v_mov_b32_e32 v5, 0x7f800001
	s_xor_b32 exec_lo, exec_lo, s24
	s_cbranch_execz .LBB246_280
.LBB246_564:
	v_cmp_ne_u16_e32 vcc_lo, 0, v6
	v_mov_b32_e32 v5, 0
	s_and_not1_b32 s0, s0, exec_lo
	s_and_b32 s25, vcc_lo, exec_lo
	s_delay_alu instid0(SALU_CYCLE_1)
	s_or_b32 s0, s0, s25
	s_or_b32 exec_lo, exec_lo, s24
	s_and_saveexec_b32 s24, s0
	s_cbranch_execnz .LBB246_281
	s_branch .LBB246_282
.LBB246_565:
	s_mov_b32 s0, -1
	s_mov_b32 s26, exec_lo
	v_cmpx_eq_u16_e32 0x80, v6
; %bb.566:
	s_xor_b32 s0, exec_lo, -1
; %bb.567:
	s_or_b32 exec_lo, exec_lo, s26
	s_delay_alu instid0(SALU_CYCLE_1)
	s_and_b32 s0, s0, exec_lo
                                        ; implicit-def: $vgpr6
	s_or_saveexec_b32 s25, s25
	v_mov_b32_e32 v7, 0x7f800001
	s_xor_b32 exec_lo, exec_lo, s25
	s_cbranch_execz .LBB246_296
.LBB246_568:
	v_cmp_ne_u16_e32 vcc_lo, 0, v6
	v_mov_b32_e32 v7, 0
	s_and_not1_b32 s0, s0, exec_lo
	s_and_b32 s26, vcc_lo, exec_lo
	s_delay_alu instid0(SALU_CYCLE_1)
	s_or_b32 s0, s0, s26
	s_or_b32 exec_lo, exec_lo, s25
	s_and_saveexec_b32 s25, s0
	s_cbranch_execnz .LBB246_297
	s_branch .LBB246_298
.LBB246_569:
	s_mov_b32 s0, -1
	s_mov_b32 s26, exec_lo
	v_cmpx_eq_u16_e32 0x80, v6
; %bb.570:
	s_xor_b32 s0, exec_lo, -1
; %bb.571:
	s_or_b32 exec_lo, exec_lo, s26
	s_delay_alu instid0(SALU_CYCLE_1)
	s_and_b32 s0, s0, exec_lo
                                        ; implicit-def: $vgpr6
	s_or_saveexec_b32 s25, s25
	v_mov_b32_e32 v5, 0x7f800001
	s_xor_b32 exec_lo, exec_lo, s25
	s_cbranch_execz .LBB246_300
.LBB246_572:
	v_cmp_ne_u16_e32 vcc_lo, 0, v6
	v_mov_b32_e32 v5, 0
	s_and_not1_b32 s0, s0, exec_lo
	s_and_b32 s26, vcc_lo, exec_lo
	s_delay_alu instid0(SALU_CYCLE_1)
	s_or_b32 s0, s0, s26
	s_or_b32 exec_lo, exec_lo, s25
	s_and_saveexec_b32 s25, s0
	s_cbranch_execnz .LBB246_301
	s_branch .LBB246_302
.LBB246_573:
	s_mov_b32 s0, -1
	s_mov_b32 s27, exec_lo
	v_cmpx_eq_u16_e32 0x80, v4
; %bb.574:
	s_xor_b32 s0, exec_lo, -1
; %bb.575:
	s_or_b32 exec_lo, exec_lo, s27
	s_delay_alu instid0(SALU_CYCLE_1)
	s_and_b32 s0, s0, exec_lo
	s_or_saveexec_b32 s26, s26
	v_mov_b32_e32 v5, 0x7f800001
	s_xor_b32 exec_lo, exec_lo, s26
	s_cbranch_execz .LBB246_316
.LBB246_576:
	v_cmp_ne_u16_e32 vcc_lo, 0, v4
	v_mov_b32_e32 v5, 0
	s_and_not1_b32 s0, s0, exec_lo
	s_and_b32 s27, vcc_lo, exec_lo
	s_delay_alu instid0(SALU_CYCLE_1)
	s_or_b32 s0, s0, s27
	s_or_b32 exec_lo, exec_lo, s26
	s_and_saveexec_b32 s26, s0
	s_cbranch_execnz .LBB246_317
	s_branch .LBB246_318
.LBB246_577:
	s_mov_b32 s0, -1
	s_mov_b32 s27, exec_lo
	v_cmpx_eq_u16_e32 0x80, v3
; %bb.578:
	s_xor_b32 s0, exec_lo, -1
; %bb.579:
	s_or_b32 exec_lo, exec_lo, s27
	s_delay_alu instid0(SALU_CYCLE_1)
	s_and_b32 s0, s0, exec_lo
	s_or_saveexec_b32 s26, s26
	v_mov_b32_e32 v2, 0x7f800001
	s_xor_b32 exec_lo, exec_lo, s26
	s_cbranch_execz .LBB246_320
.LBB246_580:
	v_cmp_ne_u16_e32 vcc_lo, 0, v3
	v_mov_b32_e32 v2, 0
	s_and_not1_b32 s0, s0, exec_lo
	s_and_b32 s27, vcc_lo, exec_lo
	s_delay_alu instid0(SALU_CYCLE_1)
	s_or_b32 s0, s0, s27
	s_or_b32 exec_lo, exec_lo, s26
	s_and_saveexec_b32 s26, s0
	s_cbranch_execnz .LBB246_321
	s_branch .LBB246_322
	.section	.rodata,"a",@progbits
	.p2align	6, 0x0
	.amdhsa_kernel _ZN2at6native29vectorized_elementwise_kernelILi4ENS0_13BinaryFunctorIN3c1015Float8_e5m2fnuzES4_bNS0_12_GLOBAL__N_116CompareEqFunctorIS4_EEEESt5arrayIPcLm3EEEEviT0_T1_
		.amdhsa_group_segment_fixed_size 0
		.amdhsa_private_segment_fixed_size 0
		.amdhsa_kernarg_size 32
		.amdhsa_user_sgpr_count 2
		.amdhsa_user_sgpr_dispatch_ptr 0
		.amdhsa_user_sgpr_queue_ptr 0
		.amdhsa_user_sgpr_kernarg_segment_ptr 1
		.amdhsa_user_sgpr_dispatch_id 0
		.amdhsa_user_sgpr_kernarg_preload_length 0
		.amdhsa_user_sgpr_kernarg_preload_offset 0
		.amdhsa_user_sgpr_private_segment_size 0
		.amdhsa_wavefront_size32 1
		.amdhsa_uses_dynamic_stack 0
		.amdhsa_enable_private_segment 0
		.amdhsa_system_sgpr_workgroup_id_x 1
		.amdhsa_system_sgpr_workgroup_id_y 0
		.amdhsa_system_sgpr_workgroup_id_z 0
		.amdhsa_system_sgpr_workgroup_info 0
		.amdhsa_system_vgpr_workitem_id 0
		.amdhsa_next_free_vgpr 67
		.amdhsa_next_free_sgpr 33
		.amdhsa_named_barrier_count 0
		.amdhsa_reserve_vcc 1
		.amdhsa_float_round_mode_32 0
		.amdhsa_float_round_mode_16_64 0
		.amdhsa_float_denorm_mode_32 3
		.amdhsa_float_denorm_mode_16_64 3
		.amdhsa_fp16_overflow 0
		.amdhsa_memory_ordered 1
		.amdhsa_forward_progress 1
		.amdhsa_inst_pref_size 152
		.amdhsa_round_robin_scheduling 0
		.amdhsa_exception_fp_ieee_invalid_op 0
		.amdhsa_exception_fp_denorm_src 0
		.amdhsa_exception_fp_ieee_div_zero 0
		.amdhsa_exception_fp_ieee_overflow 0
		.amdhsa_exception_fp_ieee_underflow 0
		.amdhsa_exception_fp_ieee_inexact 0
		.amdhsa_exception_int_div_zero 0
	.end_amdhsa_kernel
	.section	.text._ZN2at6native29vectorized_elementwise_kernelILi4ENS0_13BinaryFunctorIN3c1015Float8_e5m2fnuzES4_bNS0_12_GLOBAL__N_116CompareEqFunctorIS4_EEEESt5arrayIPcLm3EEEEviT0_T1_,"axG",@progbits,_ZN2at6native29vectorized_elementwise_kernelILi4ENS0_13BinaryFunctorIN3c1015Float8_e5m2fnuzES4_bNS0_12_GLOBAL__N_116CompareEqFunctorIS4_EEEESt5arrayIPcLm3EEEEviT0_T1_,comdat
.Lfunc_end246:
	.size	_ZN2at6native29vectorized_elementwise_kernelILi4ENS0_13BinaryFunctorIN3c1015Float8_e5m2fnuzES4_bNS0_12_GLOBAL__N_116CompareEqFunctorIS4_EEEESt5arrayIPcLm3EEEEviT0_T1_, .Lfunc_end246-_ZN2at6native29vectorized_elementwise_kernelILi4ENS0_13BinaryFunctorIN3c1015Float8_e5m2fnuzES4_bNS0_12_GLOBAL__N_116CompareEqFunctorIS4_EEEESt5arrayIPcLm3EEEEviT0_T1_
                                        ; -- End function
	.set _ZN2at6native29vectorized_elementwise_kernelILi4ENS0_13BinaryFunctorIN3c1015Float8_e5m2fnuzES4_bNS0_12_GLOBAL__N_116CompareEqFunctorIS4_EEEESt5arrayIPcLm3EEEEviT0_T1_.num_vgpr, max(32, .L_ZN2at6native25elementwise_kernel_helperILb0ENS0_13BinaryFunctorIN3c1015Float8_e5m2fnuzES4_bNS0_12_GLOBAL__N_116CompareEqFunctorIS4_EEEENS0_6memory8policies11unroll_baseILi256ESt5arrayIPcLm3EE23TrivialOffsetCalculatorILi2EjESF_ILi1EjENS9_15LoadWithoutCastENS9_16StoreWithoutCastELi16ELi1EEEEEvT0_T1_.num_vgpr)
	.set _ZN2at6native29vectorized_elementwise_kernelILi4ENS0_13BinaryFunctorIN3c1015Float8_e5m2fnuzES4_bNS0_12_GLOBAL__N_116CompareEqFunctorIS4_EEEESt5arrayIPcLm3EEEEviT0_T1_.num_agpr, max(0, .L_ZN2at6native25elementwise_kernel_helperILb0ENS0_13BinaryFunctorIN3c1015Float8_e5m2fnuzES4_bNS0_12_GLOBAL__N_116CompareEqFunctorIS4_EEEENS0_6memory8policies11unroll_baseILi256ESt5arrayIPcLm3EE23TrivialOffsetCalculatorILi2EjESF_ILi1EjENS9_15LoadWithoutCastENS9_16StoreWithoutCastELi16ELi1EEEEEvT0_T1_.num_agpr)
	.set _ZN2at6native29vectorized_elementwise_kernelILi4ENS0_13BinaryFunctorIN3c1015Float8_e5m2fnuzES4_bNS0_12_GLOBAL__N_116CompareEqFunctorIS4_EEEESt5arrayIPcLm3EEEEviT0_T1_.numbered_sgpr, max(33, .L_ZN2at6native25elementwise_kernel_helperILb0ENS0_13BinaryFunctorIN3c1015Float8_e5m2fnuzES4_bNS0_12_GLOBAL__N_116CompareEqFunctorIS4_EEEENS0_6memory8policies11unroll_baseILi256ESt5arrayIPcLm3EE23TrivialOffsetCalculatorILi2EjESF_ILi1EjENS9_15LoadWithoutCastENS9_16StoreWithoutCastELi16ELi1EEEEEvT0_T1_.numbered_sgpr)
	.set _ZN2at6native29vectorized_elementwise_kernelILi4ENS0_13BinaryFunctorIN3c1015Float8_e5m2fnuzES4_bNS0_12_GLOBAL__N_116CompareEqFunctorIS4_EEEESt5arrayIPcLm3EEEEviT0_T1_.num_named_barrier, max(0, .L_ZN2at6native25elementwise_kernel_helperILb0ENS0_13BinaryFunctorIN3c1015Float8_e5m2fnuzES4_bNS0_12_GLOBAL__N_116CompareEqFunctorIS4_EEEENS0_6memory8policies11unroll_baseILi256ESt5arrayIPcLm3EE23TrivialOffsetCalculatorILi2EjESF_ILi1EjENS9_15LoadWithoutCastENS9_16StoreWithoutCastELi16ELi1EEEEEvT0_T1_.num_named_barrier)
	.set _ZN2at6native29vectorized_elementwise_kernelILi4ENS0_13BinaryFunctorIN3c1015Float8_e5m2fnuzES4_bNS0_12_GLOBAL__N_116CompareEqFunctorIS4_EEEESt5arrayIPcLm3EEEEviT0_T1_.private_seg_size, 0+max(.L_ZN2at6native25elementwise_kernel_helperILb0ENS0_13BinaryFunctorIN3c1015Float8_e5m2fnuzES4_bNS0_12_GLOBAL__N_116CompareEqFunctorIS4_EEEENS0_6memory8policies11unroll_baseILi256ESt5arrayIPcLm3EE23TrivialOffsetCalculatorILi2EjESF_ILi1EjENS9_15LoadWithoutCastENS9_16StoreWithoutCastELi16ELi1EEEEEvT0_T1_.private_seg_size)
	.set _ZN2at6native29vectorized_elementwise_kernelILi4ENS0_13BinaryFunctorIN3c1015Float8_e5m2fnuzES4_bNS0_12_GLOBAL__N_116CompareEqFunctorIS4_EEEESt5arrayIPcLm3EEEEviT0_T1_.uses_vcc, or(1, .L_ZN2at6native25elementwise_kernel_helperILb0ENS0_13BinaryFunctorIN3c1015Float8_e5m2fnuzES4_bNS0_12_GLOBAL__N_116CompareEqFunctorIS4_EEEENS0_6memory8policies11unroll_baseILi256ESt5arrayIPcLm3EE23TrivialOffsetCalculatorILi2EjESF_ILi1EjENS9_15LoadWithoutCastENS9_16StoreWithoutCastELi16ELi1EEEEEvT0_T1_.uses_vcc)
	.set _ZN2at6native29vectorized_elementwise_kernelILi4ENS0_13BinaryFunctorIN3c1015Float8_e5m2fnuzES4_bNS0_12_GLOBAL__N_116CompareEqFunctorIS4_EEEESt5arrayIPcLm3EEEEviT0_T1_.uses_flat_scratch, or(0, .L_ZN2at6native25elementwise_kernel_helperILb0ENS0_13BinaryFunctorIN3c1015Float8_e5m2fnuzES4_bNS0_12_GLOBAL__N_116CompareEqFunctorIS4_EEEENS0_6memory8policies11unroll_baseILi256ESt5arrayIPcLm3EE23TrivialOffsetCalculatorILi2EjESF_ILi1EjENS9_15LoadWithoutCastENS9_16StoreWithoutCastELi16ELi1EEEEEvT0_T1_.uses_flat_scratch)
	.set _ZN2at6native29vectorized_elementwise_kernelILi4ENS0_13BinaryFunctorIN3c1015Float8_e5m2fnuzES4_bNS0_12_GLOBAL__N_116CompareEqFunctorIS4_EEEESt5arrayIPcLm3EEEEviT0_T1_.has_dyn_sized_stack, or(0, .L_ZN2at6native25elementwise_kernel_helperILb0ENS0_13BinaryFunctorIN3c1015Float8_e5m2fnuzES4_bNS0_12_GLOBAL__N_116CompareEqFunctorIS4_EEEENS0_6memory8policies11unroll_baseILi256ESt5arrayIPcLm3EE23TrivialOffsetCalculatorILi2EjESF_ILi1EjENS9_15LoadWithoutCastENS9_16StoreWithoutCastELi16ELi1EEEEEvT0_T1_.has_dyn_sized_stack)
	.set _ZN2at6native29vectorized_elementwise_kernelILi4ENS0_13BinaryFunctorIN3c1015Float8_e5m2fnuzES4_bNS0_12_GLOBAL__N_116CompareEqFunctorIS4_EEEESt5arrayIPcLm3EEEEviT0_T1_.has_recursion, or(0, .L_ZN2at6native25elementwise_kernel_helperILb0ENS0_13BinaryFunctorIN3c1015Float8_e5m2fnuzES4_bNS0_12_GLOBAL__N_116CompareEqFunctorIS4_EEEENS0_6memory8policies11unroll_baseILi256ESt5arrayIPcLm3EE23TrivialOffsetCalculatorILi2EjESF_ILi1EjENS9_15LoadWithoutCastENS9_16StoreWithoutCastELi16ELi1EEEEEvT0_T1_.has_recursion)
	.set _ZN2at6native29vectorized_elementwise_kernelILi4ENS0_13BinaryFunctorIN3c1015Float8_e5m2fnuzES4_bNS0_12_GLOBAL__N_116CompareEqFunctorIS4_EEEESt5arrayIPcLm3EEEEviT0_T1_.has_indirect_call, or(0, .L_ZN2at6native25elementwise_kernel_helperILb0ENS0_13BinaryFunctorIN3c1015Float8_e5m2fnuzES4_bNS0_12_GLOBAL__N_116CompareEqFunctorIS4_EEEENS0_6memory8policies11unroll_baseILi256ESt5arrayIPcLm3EE23TrivialOffsetCalculatorILi2EjESF_ILi1EjENS9_15LoadWithoutCastENS9_16StoreWithoutCastELi16ELi1EEEEEvT0_T1_.has_indirect_call)
	.section	.AMDGPU.csdata,"",@progbits
; Kernel info:
; codeLenInByte = 19336
; TotalNumSgprs: 35
; NumVgprs: 67
; ScratchSize: 0
; MemoryBound: 0
; FloatMode: 240
; IeeeMode: 1
; LDSByteSize: 0 bytes/workgroup (compile time only)
; SGPRBlocks: 0
; VGPRBlocks: 4
; NumSGPRsForWavesPerEU: 35
; NumVGPRsForWavesPerEU: 67
; NamedBarCnt: 0
; Occupancy: 12
; WaveLimiterHint : 1
; COMPUTE_PGM_RSRC2:SCRATCH_EN: 0
; COMPUTE_PGM_RSRC2:USER_SGPR: 2
; COMPUTE_PGM_RSRC2:TRAP_HANDLER: 0
; COMPUTE_PGM_RSRC2:TGID_X_EN: 1
; COMPUTE_PGM_RSRC2:TGID_Y_EN: 0
; COMPUTE_PGM_RSRC2:TGID_Z_EN: 0
; COMPUTE_PGM_RSRC2:TIDIG_COMP_CNT: 0
	.section	.text._ZN2at6native29vectorized_elementwise_kernelILi2ENS0_13BinaryFunctorIN3c1015Float8_e5m2fnuzES4_bNS0_12_GLOBAL__N_116CompareEqFunctorIS4_EEEESt5arrayIPcLm3EEEEviT0_T1_,"axG",@progbits,_ZN2at6native29vectorized_elementwise_kernelILi2ENS0_13BinaryFunctorIN3c1015Float8_e5m2fnuzES4_bNS0_12_GLOBAL__N_116CompareEqFunctorIS4_EEEESt5arrayIPcLm3EEEEviT0_T1_,comdat
	.globl	_ZN2at6native29vectorized_elementwise_kernelILi2ENS0_13BinaryFunctorIN3c1015Float8_e5m2fnuzES4_bNS0_12_GLOBAL__N_116CompareEqFunctorIS4_EEEESt5arrayIPcLm3EEEEviT0_T1_ ; -- Begin function _ZN2at6native29vectorized_elementwise_kernelILi2ENS0_13BinaryFunctorIN3c1015Float8_e5m2fnuzES4_bNS0_12_GLOBAL__N_116CompareEqFunctorIS4_EEEESt5arrayIPcLm3EEEEviT0_T1_
	.p2align	8
	.type	_ZN2at6native29vectorized_elementwise_kernelILi2ENS0_13BinaryFunctorIN3c1015Float8_e5m2fnuzES4_bNS0_12_GLOBAL__N_116CompareEqFunctorIS4_EEEESt5arrayIPcLm3EEEEviT0_T1_,@function
_ZN2at6native29vectorized_elementwise_kernelILi2ENS0_13BinaryFunctorIN3c1015Float8_e5m2fnuzES4_bNS0_12_GLOBAL__N_116CompareEqFunctorIS4_EEEESt5arrayIPcLm3EEEEviT0_T1_: ; @_ZN2at6native29vectorized_elementwise_kernelILi2ENS0_13BinaryFunctorIN3c1015Float8_e5m2fnuzES4_bNS0_12_GLOBAL__N_116CompareEqFunctorIS4_EEEESt5arrayIPcLm3EEEEviT0_T1_
; %bb.0:
	s_clause 0x2
	s_load_b64 s[8:9], s[0:1], 0x0
	s_load_b128 s[4:7], s[0:1], 0x8
	s_load_b64 s[2:3], s[0:1], 0x18
	s_wait_xcnt 0x0
	s_bfe_u32 s0, ttmp6, 0x4000c
	s_and_b32 s1, ttmp6, 15
	s_add_co_i32 s0, s0, 1
	s_getreg_b32 s10, hwreg(HW_REG_IB_STS2, 6, 4)
	s_mul_i32 s0, ttmp9, s0
	s_mov_b32 s32, 0
	s_add_co_i32 s1, s1, s0
	s_cmp_eq_u32 s10, 0
	s_cselect_b32 s0, ttmp9, s1
	s_mov_b32 s1, -1
	s_lshl_b32 s0, s0, 12
	s_wait_kmcnt 0x0
	s_sub_co_i32 s8, s8, s0
	s_delay_alu instid0(SALU_CYCLE_1)
	s_cmp_gt_i32 s8, 0xfff
	s_cbranch_scc1 .LBB247_3
; %bb.1:
	s_and_b32 vcc_lo, exec_lo, s1
	s_cbranch_vccnz .LBB247_324
.LBB247_2:
	s_sendmsg sendmsg(MSG_DEALLOC_VGPRS)
	s_endpgm
.LBB247_3:
	s_ashr_i32 s1, s0, 31
	s_cmp_lg_u32 s9, 0
	s_add_nc_u64 s[10:11], s[6:7], s[0:1]
	s_add_nc_u64 s[12:13], s[2:3], s[0:1]
	s_clause 0xf
	global_load_u16 v17, v0, s[10:11] scale_offset
	global_load_u16 v15, v0, s[10:11] offset:512 scale_offset
	global_load_u16 v13, v0, s[10:11] offset:1024 scale_offset
	;; [unrolled: 1-line block ×7, first 2 shown]
	global_load_u16 v16, v0, s[12:13] scale_offset
	global_load_u16 v14, v0, s[12:13] offset:512 scale_offset
	global_load_u16 v12, v0, s[12:13] offset:1024 scale_offset
	;; [unrolled: 1-line block ×6, first 2 shown]
	; meta instruction
	global_load_u16 v1, v0, s[12:13] offset:3584 scale_offset
	s_wait_xcnt 0x8
	s_cselect_b32 s11, -1, 0
	s_delay_alu instid0(SALU_CYCLE_1)
	s_and_b32 vcc_lo, exec_lo, s11
	s_wait_loadcnt 0xf
	v_and_b32_e32 v3, 0xff, v17
	s_cbranch_vccz .LBB247_13
; %bb.4:
	s_mov_b32 s10, 0
	s_wait_xcnt 0x0
	s_mov_b32 s12, exec_lo
	v_cmpx_lt_i16_e32 0x7f, v3
	s_xor_b32 s12, exec_lo, s12
	s_cbranch_execnz .LBB247_325
; %bb.5:
	s_or_saveexec_b32 s12, s12
	v_mov_b32_e32 v18, 0x7f800001
	s_xor_b32 exec_lo, exec_lo, s12
	s_cbranch_execnz .LBB247_328
.LBB247_6:
	s_or_b32 exec_lo, exec_lo, s12
	s_and_saveexec_b32 s12, s10
	s_cbranch_execz .LBB247_8
.LBB247_7:
	v_and_b32_e32 v18, 0xffff, v3
	s_delay_alu instid0(VALU_DEP_1) | instskip(SKIP_1) | instid1(VALU_DEP_2)
	v_and_b32_e32 v19, 3, v18
	v_bfe_u32 v22, v18, 2, 5
	v_clz_i32_u32_e32 v20, v19
	s_delay_alu instid0(VALU_DEP_2) | instskip(NEXT) | instid1(VALU_DEP_2)
	v_cmp_eq_u32_e32 vcc_lo, 0, v22
	v_min_u32_e32 v20, 32, v20
	s_delay_alu instid0(VALU_DEP_1) | instskip(NEXT) | instid1(VALU_DEP_1)
	v_subrev_nc_u32_e32 v21, 29, v20
	v_dual_lshlrev_b32 v18, v21, v18 :: v_dual_sub_nc_u32 v20, 30, v20
	s_delay_alu instid0(VALU_DEP_1) | instskip(NEXT) | instid1(VALU_DEP_1)
	v_dual_lshlrev_b32 v21, 24, v17 :: v_dual_bitop2_b32 v18, 3, v18 bitop3:0x40
	v_dual_cndmask_b32 v20, v22, v20, vcc_lo :: v_dual_cndmask_b32 v18, v19, v18, vcc_lo
	s_delay_alu instid0(VALU_DEP_2) | instskip(NEXT) | instid1(VALU_DEP_2)
	v_and_b32_e32 v19, 0x80000000, v21
	v_lshl_add_u32 v20, v20, 23, 0x37800000
	s_delay_alu instid0(VALU_DEP_3) | instskip(NEXT) | instid1(VALU_DEP_1)
	v_lshlrev_b32_e32 v18, 21, v18
	v_or3_b32 v18, v19, v20, v18
.LBB247_8:
	s_or_b32 exec_lo, exec_lo, s12
	s_wait_loadcnt 0x7
	v_and_b32_e32 v19, 0xff, v16
	s_mov_b32 s10, 0
	s_mov_b32 s12, exec_lo
	s_delay_alu instid0(VALU_DEP_1)
	v_cmpx_lt_i16_e32 0x7f, v19
	s_xor_b32 s12, exec_lo, s12
	s_cbranch_execnz .LBB247_329
; %bb.9:
	s_or_saveexec_b32 s12, s12
	v_mov_b32_e32 v20, 0x7f800001
	s_xor_b32 exec_lo, exec_lo, s12
	s_cbranch_execnz .LBB247_332
.LBB247_10:
	s_or_b32 exec_lo, exec_lo, s12
	s_and_saveexec_b32 s12, s10
	s_cbranch_execz .LBB247_12
.LBB247_11:
	v_and_b32_e32 v19, 0xffff, v19
	s_delay_alu instid0(VALU_DEP_1) | instskip(SKIP_1) | instid1(VALU_DEP_2)
	v_and_b32_e32 v20, 3, v19
	v_bfe_u32 v23, v19, 2, 5
	v_clz_i32_u32_e32 v21, v20
	s_delay_alu instid0(VALU_DEP_2) | instskip(NEXT) | instid1(VALU_DEP_2)
	v_cmp_eq_u32_e32 vcc_lo, 0, v23
	v_min_u32_e32 v21, 32, v21
	s_delay_alu instid0(VALU_DEP_1) | instskip(NEXT) | instid1(VALU_DEP_1)
	v_subrev_nc_u32_e32 v22, 29, v21
	v_dual_lshlrev_b32 v19, v22, v19 :: v_dual_sub_nc_u32 v21, 30, v21
	s_delay_alu instid0(VALU_DEP_1) | instskip(NEXT) | instid1(VALU_DEP_1)
	v_dual_lshlrev_b32 v22, 24, v16 :: v_dual_bitop2_b32 v19, 3, v19 bitop3:0x40
	v_dual_cndmask_b32 v21, v23, v21, vcc_lo :: v_dual_cndmask_b32 v19, v20, v19, vcc_lo
	s_delay_alu instid0(VALU_DEP_2) | instskip(NEXT) | instid1(VALU_DEP_2)
	v_and_b32_e32 v20, 0x80000000, v22
	v_lshl_add_u32 v21, v21, 23, 0x37800000
	s_delay_alu instid0(VALU_DEP_3) | instskip(NEXT) | instid1(VALU_DEP_1)
	v_lshlrev_b32_e32 v19, 21, v19
	v_or3_b32 v20, v20, v21, v19
.LBB247_12:
	s_or_b32 exec_lo, exec_lo, s12
	s_delay_alu instid0(VALU_DEP_1)
	v_cmp_neq_f32_e64 s10, v18, v20
	s_branch .LBB247_23
.LBB247_13:
	s_wait_xcnt 0x0
                                        ; implicit-def: $sgpr10
	s_cbranch_execz .LBB247_23
; %bb.14:
	s_mov_b32 s10, 0
	s_mov_b32 s12, exec_lo
	v_cmpx_lt_i16_e32 0x7f, v3
	s_xor_b32 s12, exec_lo, s12
	s_cbranch_execnz .LBB247_453
; %bb.15:
	s_or_saveexec_b32 s12, s12
	v_mov_b32_e32 v18, 0x7f800001
	s_xor_b32 exec_lo, exec_lo, s12
	s_cbranch_execnz .LBB247_456
.LBB247_16:
	s_or_b32 exec_lo, exec_lo, s12
	s_and_saveexec_b32 s12, s10
	s_cbranch_execz .LBB247_18
.LBB247_17:
	v_and_b32_e32 v3, 0xffff, v3
	s_delay_alu instid0(VALU_DEP_1) | instskip(SKIP_1) | instid1(VALU_DEP_2)
	v_and_b32_e32 v18, 3, v3
	v_bfe_u32 v21, v3, 2, 5
	v_clz_i32_u32_e32 v19, v18
	s_delay_alu instid0(VALU_DEP_2) | instskip(NEXT) | instid1(VALU_DEP_2)
	v_cmp_eq_u32_e32 vcc_lo, 0, v21
	v_min_u32_e32 v19, 32, v19
	s_delay_alu instid0(VALU_DEP_1) | instskip(SKIP_1) | instid1(VALU_DEP_2)
	v_subrev_nc_u32_e32 v20, 29, v19
	v_sub_nc_u32_e32 v19, 30, v19
	v_dual_lshlrev_b32 v3, v20, v3 :: v_dual_lshlrev_b32 v20, 24, v17
	s_delay_alu instid0(VALU_DEP_2) | instskip(NEXT) | instid1(VALU_DEP_2)
	v_cndmask_b32_e32 v19, v21, v19, vcc_lo
	v_and_b32_e32 v3, 3, v3
	s_delay_alu instid0(VALU_DEP_2) | instskip(NEXT) | instid1(VALU_DEP_2)
	v_lshl_add_u32 v19, v19, 23, 0x37800000
	v_cndmask_b32_e32 v3, v18, v3, vcc_lo
	v_and_b32_e32 v18, 0x80000000, v20
	s_delay_alu instid0(VALU_DEP_2) | instskip(NEXT) | instid1(VALU_DEP_1)
	v_lshlrev_b32_e32 v3, 21, v3
	v_or3_b32 v18, v18, v19, v3
.LBB247_18:
	s_or_b32 exec_lo, exec_lo, s12
	s_wait_loadcnt 0x7
	v_and_b32_e32 v3, 0xff, v16
	s_mov_b32 s10, 0
	s_mov_b32 s12, exec_lo
	s_delay_alu instid0(VALU_DEP_1)
	v_cmpx_lt_i16_e32 0x7f, v3
	s_xor_b32 s12, exec_lo, s12
	s_cbranch_execnz .LBB247_457
; %bb.19:
	s_or_saveexec_b32 s12, s12
	v_mov_b32_e32 v19, 0x7f800001
	s_xor_b32 exec_lo, exec_lo, s12
	s_cbranch_execnz .LBB247_460
.LBB247_20:
	s_or_b32 exec_lo, exec_lo, s12
	s_and_saveexec_b32 s12, s10
	s_cbranch_execz .LBB247_22
.LBB247_21:
	v_and_b32_e32 v3, 0xffff, v3
	s_delay_alu instid0(VALU_DEP_1) | instskip(SKIP_1) | instid1(VALU_DEP_2)
	v_and_b32_e32 v19, 3, v3
	v_bfe_u32 v22, v3, 2, 5
	v_clz_i32_u32_e32 v20, v19
	s_delay_alu instid0(VALU_DEP_2) | instskip(NEXT) | instid1(VALU_DEP_2)
	v_cmp_eq_u32_e32 vcc_lo, 0, v22
	v_min_u32_e32 v20, 32, v20
	s_delay_alu instid0(VALU_DEP_1) | instskip(NEXT) | instid1(VALU_DEP_1)
	v_subrev_nc_u32_e32 v21, 29, v20
	v_dual_lshlrev_b32 v3, v21, v3 :: v_dual_sub_nc_u32 v20, 30, v20
	s_delay_alu instid0(VALU_DEP_1) | instskip(NEXT) | instid1(VALU_DEP_1)
	v_dual_lshlrev_b32 v21, 24, v16 :: v_dual_bitop2_b32 v3, 3, v3 bitop3:0x40
	v_dual_cndmask_b32 v3, v19, v3 :: v_dual_cndmask_b32 v20, v22, v20
	s_delay_alu instid0(VALU_DEP_2) | instskip(NEXT) | instid1(VALU_DEP_2)
	v_and_b32_e32 v19, 0x80000000, v21
	v_lshlrev_b32_e32 v3, 21, v3
	s_delay_alu instid0(VALU_DEP_3) | instskip(NEXT) | instid1(VALU_DEP_1)
	v_lshl_add_u32 v20, v20, 23, 0x37800000
	v_or3_b32 v19, v19, v20, v3
.LBB247_22:
	s_or_b32 exec_lo, exec_lo, s12
	s_delay_alu instid0(VALU_DEP_1)
	v_cmp_eq_f32_e64 s10, v18, v19
.LBB247_23:
	v_cndmask_b32_e64 v3, 0, 1, s11
	v_lshrrev_b16 v19, 8, v17
	s_wait_loadcnt 0x7
	v_lshrrev_b16 v18, 8, v16
	s_and_not1_b32 vcc_lo, exec_lo, s11
	s_cbranch_vccnz .LBB247_43
; %bb.24:
	s_mov_b32 s11, 0
	s_mov_b32 s12, exec_lo
	v_cmpx_lt_i16_e32 0x7f, v19
	s_xor_b32 s12, exec_lo, s12
	s_cbranch_execnz .LBB247_333
; %bb.25:
	s_or_saveexec_b32 s12, s12
	v_mov_b32_e32 v20, 0x7f800001
	s_xor_b32 exec_lo, exec_lo, s12
	s_cbranch_execnz .LBB247_336
.LBB247_26:
	s_or_b32 exec_lo, exec_lo, s12
	s_and_saveexec_b32 s12, s11
	s_cbranch_execz .LBB247_28
.LBB247_27:
	v_and_b32_e32 v20, 0xffff, v19
	s_delay_alu instid0(VALU_DEP_1) | instskip(SKIP_1) | instid1(VALU_DEP_2)
	v_and_b32_e32 v21, 3, v20
	v_bfe_u32 v24, v20, 2, 5
	v_clz_i32_u32_e32 v22, v21
	s_delay_alu instid0(VALU_DEP_2) | instskip(NEXT) | instid1(VALU_DEP_2)
	v_cmp_eq_u32_e32 vcc_lo, 0, v24
	v_min_u32_e32 v22, 32, v22
	s_delay_alu instid0(VALU_DEP_1) | instskip(NEXT) | instid1(VALU_DEP_1)
	v_subrev_nc_u32_e32 v23, 29, v22
	v_dual_lshlrev_b32 v20, v23, v20 :: v_dual_sub_nc_u32 v22, 30, v22
	s_delay_alu instid0(VALU_DEP_1) | instskip(NEXT) | instid1(VALU_DEP_1)
	v_dual_lshlrev_b32 v23, 16, v17 :: v_dual_bitop2_b32 v20, 3, v20 bitop3:0x40
	v_dual_cndmask_b32 v22, v24, v22, vcc_lo :: v_dual_cndmask_b32 v20, v21, v20, vcc_lo
	s_delay_alu instid0(VALU_DEP_2) | instskip(NEXT) | instid1(VALU_DEP_2)
	v_and_b32_e32 v21, 0x80000000, v23
	v_lshl_add_u32 v22, v22, 23, 0x37800000
	s_delay_alu instid0(VALU_DEP_3) | instskip(NEXT) | instid1(VALU_DEP_1)
	v_lshlrev_b32_e32 v20, 21, v20
	v_or3_b32 v20, v21, v22, v20
.LBB247_28:
	s_or_b32 exec_lo, exec_lo, s12
	s_mov_b32 s11, 0
	s_mov_b32 s12, exec_lo
	v_cmpx_lt_i16_e32 0x7f, v18
	s_xor_b32 s12, exec_lo, s12
	s_cbranch_execnz .LBB247_337
; %bb.29:
	s_or_saveexec_b32 s12, s12
	v_mov_b32_e32 v21, 0x7f800001
	s_xor_b32 exec_lo, exec_lo, s12
	s_cbranch_execnz .LBB247_340
.LBB247_30:
	s_or_b32 exec_lo, exec_lo, s12
	s_and_saveexec_b32 s12, s11
	s_cbranch_execz .LBB247_32
.LBB247_31:
	v_and_b32_e32 v21, 0xffff, v18
	s_delay_alu instid0(VALU_DEP_1) | instskip(SKIP_1) | instid1(VALU_DEP_2)
	v_and_b32_e32 v22, 3, v21
	v_bfe_u32 v25, v21, 2, 5
	v_clz_i32_u32_e32 v23, v22
	s_delay_alu instid0(VALU_DEP_2) | instskip(NEXT) | instid1(VALU_DEP_2)
	v_cmp_eq_u32_e32 vcc_lo, 0, v25
	v_min_u32_e32 v23, 32, v23
	s_delay_alu instid0(VALU_DEP_1) | instskip(NEXT) | instid1(VALU_DEP_1)
	v_subrev_nc_u32_e32 v24, 29, v23
	v_dual_lshlrev_b32 v21, v24, v21 :: v_dual_sub_nc_u32 v23, 30, v23
	s_delay_alu instid0(VALU_DEP_1) | instskip(NEXT) | instid1(VALU_DEP_1)
	v_dual_lshlrev_b32 v24, 16, v16 :: v_dual_bitop2_b32 v21, 3, v21 bitop3:0x40
	v_dual_cndmask_b32 v23, v25, v23, vcc_lo :: v_dual_cndmask_b32 v21, v22, v21, vcc_lo
	s_delay_alu instid0(VALU_DEP_2) | instskip(NEXT) | instid1(VALU_DEP_2)
	v_and_b32_e32 v22, 0x80000000, v24
	v_lshl_add_u32 v23, v23, 23, 0x37800000
	s_delay_alu instid0(VALU_DEP_3) | instskip(NEXT) | instid1(VALU_DEP_1)
	v_lshlrev_b32_e32 v21, 21, v21
	v_or3_b32 v21, v22, v23, v21
.LBB247_32:
	s_or_b32 exec_lo, exec_lo, s12
	s_delay_alu instid0(VALU_DEP_1)
	v_cmp_neq_f32_e64 s11, v20, v21
.LBB247_33:
	v_cmp_ne_u32_e32 vcc_lo, 1, v3
	v_and_b32_e32 v16, 0xff, v15
	s_cbranch_vccnz .LBB247_53
.LBB247_34:
	s_mov_b32 s12, 0
	s_mov_b32 s13, exec_lo
	s_delay_alu instid0(VALU_DEP_1)
	v_cmpx_lt_i16_e32 0x7f, v16
	s_xor_b32 s13, exec_lo, s13
	s_cbranch_execnz .LBB247_341
; %bb.35:
	s_or_saveexec_b32 s13, s13
	v_mov_b32_e32 v17, 0x7f800001
	s_xor_b32 exec_lo, exec_lo, s13
	s_cbranch_execnz .LBB247_344
.LBB247_36:
	s_or_b32 exec_lo, exec_lo, s13
	s_and_saveexec_b32 s13, s12
	s_cbranch_execz .LBB247_38
.LBB247_37:
	v_and_b32_e32 v17, 0xffff, v16
	s_delay_alu instid0(VALU_DEP_1) | instskip(SKIP_1) | instid1(VALU_DEP_2)
	v_and_b32_e32 v18, 3, v17
	v_bfe_u32 v21, v17, 2, 5
	v_clz_i32_u32_e32 v19, v18
	s_delay_alu instid0(VALU_DEP_2) | instskip(NEXT) | instid1(VALU_DEP_2)
	v_cmp_eq_u32_e32 vcc_lo, 0, v21
	v_min_u32_e32 v19, 32, v19
	s_delay_alu instid0(VALU_DEP_1) | instskip(NEXT) | instid1(VALU_DEP_1)
	v_subrev_nc_u32_e32 v20, 29, v19
	v_dual_lshlrev_b32 v17, v20, v17 :: v_dual_sub_nc_u32 v19, 30, v19
	s_delay_alu instid0(VALU_DEP_1) | instskip(NEXT) | instid1(VALU_DEP_1)
	v_dual_lshlrev_b32 v20, 24, v15 :: v_dual_bitop2_b32 v17, 3, v17 bitop3:0x40
	v_dual_cndmask_b32 v17, v18, v17, vcc_lo :: v_dual_cndmask_b32 v19, v21, v19, vcc_lo
	s_delay_alu instid0(VALU_DEP_2) | instskip(NEXT) | instid1(VALU_DEP_2)
	v_and_b32_e32 v18, 0x80000000, v20
	v_lshlrev_b32_e32 v17, 21, v17
	s_delay_alu instid0(VALU_DEP_3) | instskip(NEXT) | instid1(VALU_DEP_1)
	v_lshl_add_u32 v19, v19, 23, 0x37800000
	v_or3_b32 v17, v18, v19, v17
.LBB247_38:
	s_or_b32 exec_lo, exec_lo, s13
	s_wait_loadcnt 0x6
	v_and_b32_e32 v18, 0xff, v14
	s_mov_b32 s12, 0
	s_mov_b32 s13, exec_lo
	s_delay_alu instid0(VALU_DEP_1)
	v_cmpx_lt_i16_e32 0x7f, v18
	s_xor_b32 s13, exec_lo, s13
	s_cbranch_execnz .LBB247_345
; %bb.39:
	s_or_saveexec_b32 s13, s13
	v_mov_b32_e32 v19, 0x7f800001
	s_xor_b32 exec_lo, exec_lo, s13
	s_cbranch_execnz .LBB247_348
.LBB247_40:
	s_or_b32 exec_lo, exec_lo, s13
	s_and_saveexec_b32 s13, s12
	s_cbranch_execz .LBB247_42
.LBB247_41:
	v_and_b32_e32 v18, 0xffff, v18
	s_delay_alu instid0(VALU_DEP_1) | instskip(SKIP_1) | instid1(VALU_DEP_2)
	v_and_b32_e32 v19, 3, v18
	v_bfe_u32 v22, v18, 2, 5
	v_clz_i32_u32_e32 v20, v19
	s_delay_alu instid0(VALU_DEP_2) | instskip(NEXT) | instid1(VALU_DEP_2)
	v_cmp_eq_u32_e32 vcc_lo, 0, v22
	v_min_u32_e32 v20, 32, v20
	s_delay_alu instid0(VALU_DEP_1) | instskip(NEXT) | instid1(VALU_DEP_1)
	v_subrev_nc_u32_e32 v21, 29, v20
	v_dual_lshlrev_b32 v18, v21, v18 :: v_dual_sub_nc_u32 v20, 30, v20
	s_delay_alu instid0(VALU_DEP_1) | instskip(NEXT) | instid1(VALU_DEP_2)
	v_and_b32_e32 v18, 3, v18
	v_dual_cndmask_b32 v20, v22, v20 :: v_dual_lshlrev_b32 v21, 24, v14
	s_delay_alu instid0(VALU_DEP_2) | instskip(NEXT) | instid1(VALU_DEP_2)
	v_cndmask_b32_e32 v18, v19, v18, vcc_lo
	v_and_b32_e32 v19, 0x80000000, v21
	s_delay_alu instid0(VALU_DEP_3) | instskip(NEXT) | instid1(VALU_DEP_3)
	v_lshl_add_u32 v20, v20, 23, 0x37800000
	v_lshlrev_b32_e32 v18, 21, v18
	s_delay_alu instid0(VALU_DEP_1)
	v_or3_b32 v19, v19, v20, v18
.LBB247_42:
	s_or_b32 exec_lo, exec_lo, s13
	s_delay_alu instid0(VALU_DEP_1)
	v_cmp_neq_f32_e64 s12, v17, v19
	s_branch .LBB247_63
.LBB247_43:
                                        ; implicit-def: $sgpr11
	s_cbranch_execz .LBB247_33
; %bb.44:
	s_mov_b32 s11, 0
	s_mov_b32 s12, exec_lo
	v_cmpx_lt_i16_e32 0x7f, v19
	s_xor_b32 s12, exec_lo, s12
	s_cbranch_execnz .LBB247_461
; %bb.45:
	s_or_saveexec_b32 s12, s12
	v_mov_b32_e32 v20, 0x7f800001
	s_xor_b32 exec_lo, exec_lo, s12
	s_cbranch_execnz .LBB247_464
.LBB247_46:
	s_or_b32 exec_lo, exec_lo, s12
	s_and_saveexec_b32 s12, s11
	s_cbranch_execz .LBB247_48
.LBB247_47:
	v_and_b32_e32 v19, 0xffff, v19
	s_delay_alu instid0(VALU_DEP_1) | instskip(SKIP_1) | instid1(VALU_DEP_2)
	v_and_b32_e32 v20, 3, v19
	v_bfe_u32 v23, v19, 2, 5
	v_clz_i32_u32_e32 v21, v20
	s_delay_alu instid0(VALU_DEP_2) | instskip(NEXT) | instid1(VALU_DEP_2)
	v_cmp_eq_u32_e32 vcc_lo, 0, v23
	v_min_u32_e32 v21, 32, v21
	s_delay_alu instid0(VALU_DEP_1) | instskip(NEXT) | instid1(VALU_DEP_1)
	v_subrev_nc_u32_e32 v22, 29, v21
	v_dual_lshlrev_b32 v19, v22, v19 :: v_dual_sub_nc_u32 v21, 30, v21
	s_delay_alu instid0(VALU_DEP_1) | instskip(NEXT) | instid1(VALU_DEP_1)
	v_dual_lshlrev_b32 v17, 16, v17 :: v_dual_bitop2_b32 v19, 3, v19 bitop3:0x40
	v_dual_cndmask_b32 v19, v20, v19, vcc_lo :: v_dual_cndmask_b32 v21, v23, v21, vcc_lo
	s_delay_alu instid0(VALU_DEP_2) | instskip(NEXT) | instid1(VALU_DEP_2)
	v_and_b32_e32 v17, 0x80000000, v17
	v_lshlrev_b32_e32 v19, 21, v19
	s_delay_alu instid0(VALU_DEP_3) | instskip(NEXT) | instid1(VALU_DEP_1)
	v_lshl_add_u32 v20, v21, 23, 0x37800000
	v_or3_b32 v20, v17, v20, v19
.LBB247_48:
	s_or_b32 exec_lo, exec_lo, s12
	s_mov_b32 s11, 0
	s_mov_b32 s12, exec_lo
	v_cmpx_lt_i16_e32 0x7f, v18
	s_xor_b32 s12, exec_lo, s12
	s_cbranch_execnz .LBB247_465
; %bb.49:
	s_or_saveexec_b32 s12, s12
	v_mov_b32_e32 v17, 0x7f800001
	s_xor_b32 exec_lo, exec_lo, s12
	s_cbranch_execnz .LBB247_468
.LBB247_50:
	s_or_b32 exec_lo, exec_lo, s12
	s_and_saveexec_b32 s12, s11
	s_cbranch_execz .LBB247_52
.LBB247_51:
	v_and_b32_e32 v17, 0xffff, v18
	s_delay_alu instid0(VALU_DEP_1) | instskip(SKIP_1) | instid1(VALU_DEP_2)
	v_and_b32_e32 v18, 3, v17
	v_bfe_u32 v22, v17, 2, 5
	v_clz_i32_u32_e32 v19, v18
	s_delay_alu instid0(VALU_DEP_2) | instskip(NEXT) | instid1(VALU_DEP_2)
	v_cmp_eq_u32_e32 vcc_lo, 0, v22
	v_min_u32_e32 v19, 32, v19
	s_delay_alu instid0(VALU_DEP_1) | instskip(NEXT) | instid1(VALU_DEP_1)
	v_subrev_nc_u32_e32 v21, 29, v19
	v_dual_lshlrev_b32 v17, v21, v17 :: v_dual_sub_nc_u32 v19, 30, v19
	s_delay_alu instid0(VALU_DEP_1) | instskip(NEXT) | instid1(VALU_DEP_2)
	v_dual_lshlrev_b32 v16, 16, v16 :: v_dual_bitop2_b32 v17, 3, v17 bitop3:0x40
	v_cndmask_b32_e32 v19, v22, v19, vcc_lo
	s_delay_alu instid0(VALU_DEP_2) | instskip(NEXT) | instid1(VALU_DEP_3)
	v_cndmask_b32_e32 v17, v18, v17, vcc_lo
	v_and_b32_e32 v16, 0x80000000, v16
	s_delay_alu instid0(VALU_DEP_3) | instskip(NEXT) | instid1(VALU_DEP_3)
	v_lshl_add_u32 v18, v19, 23, 0x37800000
	v_lshlrev_b32_e32 v17, 21, v17
	s_delay_alu instid0(VALU_DEP_1)
	v_or3_b32 v17, v16, v18, v17
.LBB247_52:
	s_or_b32 exec_lo, exec_lo, s12
	s_delay_alu instid0(VALU_DEP_1)
	v_cmp_eq_f32_e64 s11, v20, v17
	v_cmp_ne_u32_e32 vcc_lo, 1, v3
	v_and_b32_e32 v16, 0xff, v15
	s_cbranch_vccz .LBB247_34
.LBB247_53:
                                        ; implicit-def: $sgpr12
	s_cbranch_execz .LBB247_63
; %bb.54:
	s_mov_b32 s12, 0
	s_mov_b32 s13, exec_lo
	v_cmpx_lt_i16_e32 0x7f, v16
	s_xor_b32 s13, exec_lo, s13
	s_cbranch_execnz .LBB247_469
; %bb.55:
	s_or_saveexec_b32 s13, s13
	v_mov_b32_e32 v17, 0x7f800001
	s_xor_b32 exec_lo, exec_lo, s13
	s_cbranch_execnz .LBB247_472
.LBB247_56:
	s_or_b32 exec_lo, exec_lo, s13
	s_and_saveexec_b32 s13, s12
	s_cbranch_execz .LBB247_58
.LBB247_57:
	v_and_b32_e32 v16, 0xffff, v16
	s_delay_alu instid0(VALU_DEP_1) | instskip(SKIP_1) | instid1(VALU_DEP_2)
	v_and_b32_e32 v17, 3, v16
	v_bfe_u32 v20, v16, 2, 5
	v_clz_i32_u32_e32 v18, v17
	s_delay_alu instid0(VALU_DEP_2) | instskip(NEXT) | instid1(VALU_DEP_2)
	v_cmp_eq_u32_e32 vcc_lo, 0, v20
	v_min_u32_e32 v18, 32, v18
	s_delay_alu instid0(VALU_DEP_1) | instskip(NEXT) | instid1(VALU_DEP_1)
	v_subrev_nc_u32_e32 v19, 29, v18
	v_dual_lshlrev_b32 v16, v19, v16 :: v_dual_sub_nc_u32 v18, 30, v18
	s_delay_alu instid0(VALU_DEP_1) | instskip(NEXT) | instid1(VALU_DEP_1)
	v_dual_lshlrev_b32 v19, 24, v15 :: v_dual_bitop2_b32 v16, 3, v16 bitop3:0x40
	v_dual_cndmask_b32 v18, v20, v18, vcc_lo :: v_dual_cndmask_b32 v16, v17, v16, vcc_lo
	s_delay_alu instid0(VALU_DEP_2) | instskip(NEXT) | instid1(VALU_DEP_2)
	v_and_b32_e32 v17, 0x80000000, v19
	v_lshl_add_u32 v18, v18, 23, 0x37800000
	s_delay_alu instid0(VALU_DEP_3) | instskip(NEXT) | instid1(VALU_DEP_1)
	v_lshlrev_b32_e32 v16, 21, v16
	v_or3_b32 v17, v17, v18, v16
.LBB247_58:
	s_or_b32 exec_lo, exec_lo, s13
	s_wait_loadcnt 0x6
	v_and_b32_e32 v16, 0xff, v14
	s_mov_b32 s12, 0
	s_mov_b32 s13, exec_lo
	s_delay_alu instid0(VALU_DEP_1)
	v_cmpx_lt_i16_e32 0x7f, v16
	s_xor_b32 s13, exec_lo, s13
	s_cbranch_execnz .LBB247_473
; %bb.59:
	s_or_saveexec_b32 s13, s13
	v_mov_b32_e32 v18, 0x7f800001
	s_xor_b32 exec_lo, exec_lo, s13
	s_cbranch_execnz .LBB247_476
.LBB247_60:
	s_or_b32 exec_lo, exec_lo, s13
	s_and_saveexec_b32 s13, s12
	s_cbranch_execz .LBB247_62
.LBB247_61:
	v_and_b32_e32 v16, 0xffff, v16
	s_delay_alu instid0(VALU_DEP_1) | instskip(SKIP_1) | instid1(VALU_DEP_2)
	v_and_b32_e32 v18, 3, v16
	v_bfe_u32 v21, v16, 2, 5
	v_clz_i32_u32_e32 v19, v18
	s_delay_alu instid0(VALU_DEP_2) | instskip(NEXT) | instid1(VALU_DEP_2)
	v_cmp_eq_u32_e32 vcc_lo, 0, v21
	v_min_u32_e32 v19, 32, v19
	s_delay_alu instid0(VALU_DEP_1) | instskip(NEXT) | instid1(VALU_DEP_1)
	v_subrev_nc_u32_e32 v20, 29, v19
	v_dual_lshlrev_b32 v16, v20, v16 :: v_dual_sub_nc_u32 v19, 30, v19
	s_delay_alu instid0(VALU_DEP_1) | instskip(NEXT) | instid1(VALU_DEP_1)
	v_dual_lshlrev_b32 v20, 24, v14 :: v_dual_bitop2_b32 v16, 3, v16 bitop3:0x40
	v_dual_cndmask_b32 v19, v21, v19 :: v_dual_cndmask_b32 v16, v18, v16
	s_delay_alu instid0(VALU_DEP_2) | instskip(NEXT) | instid1(VALU_DEP_2)
	v_and_b32_e32 v18, 0x80000000, v20
	v_lshl_add_u32 v19, v19, 23, 0x37800000
	s_delay_alu instid0(VALU_DEP_3) | instskip(NEXT) | instid1(VALU_DEP_1)
	v_lshlrev_b32_e32 v16, 21, v16
	v_or3_b32 v18, v18, v19, v16
.LBB247_62:
	s_or_b32 exec_lo, exec_lo, s13
	s_delay_alu instid0(VALU_DEP_1)
	v_cmp_eq_f32_e64 s12, v17, v18
.LBB247_63:
	v_cmp_ne_u32_e32 vcc_lo, 1, v3
	v_lshrrev_b16 v17, 8, v15
	s_wait_loadcnt 0x6
	v_lshrrev_b16 v16, 8, v14
	s_cbranch_vccnz .LBB247_83
; %bb.64:
	s_mov_b32 s13, 0
	s_mov_b32 s14, exec_lo
	v_cmpx_lt_i16_e32 0x7f, v17
	s_xor_b32 s14, exec_lo, s14
	s_cbranch_execnz .LBB247_349
; %bb.65:
	s_or_saveexec_b32 s14, s14
	v_mov_b32_e32 v18, 0x7f800001
	s_xor_b32 exec_lo, exec_lo, s14
	s_cbranch_execnz .LBB247_352
.LBB247_66:
	s_or_b32 exec_lo, exec_lo, s14
	s_and_saveexec_b32 s14, s13
	s_cbranch_execz .LBB247_68
.LBB247_67:
	v_and_b32_e32 v18, 0xffff, v17
	s_delay_alu instid0(VALU_DEP_1) | instskip(SKIP_1) | instid1(VALU_DEP_2)
	v_and_b32_e32 v19, 3, v18
	v_bfe_u32 v22, v18, 2, 5
	v_clz_i32_u32_e32 v20, v19
	s_delay_alu instid0(VALU_DEP_2) | instskip(NEXT) | instid1(VALU_DEP_2)
	v_cmp_eq_u32_e32 vcc_lo, 0, v22
	v_min_u32_e32 v20, 32, v20
	s_delay_alu instid0(VALU_DEP_1) | instskip(NEXT) | instid1(VALU_DEP_1)
	v_subrev_nc_u32_e32 v21, 29, v20
	v_dual_lshlrev_b32 v18, v21, v18 :: v_dual_sub_nc_u32 v20, 30, v20
	s_delay_alu instid0(VALU_DEP_1) | instskip(NEXT) | instid1(VALU_DEP_1)
	v_dual_lshlrev_b32 v21, 16, v15 :: v_dual_bitop2_b32 v18, 3, v18 bitop3:0x40
	v_dual_cndmask_b32 v20, v22, v20, vcc_lo :: v_dual_cndmask_b32 v18, v19, v18, vcc_lo
	s_delay_alu instid0(VALU_DEP_2) | instskip(NEXT) | instid1(VALU_DEP_2)
	v_and_b32_e32 v19, 0x80000000, v21
	v_lshl_add_u32 v20, v20, 23, 0x37800000
	s_delay_alu instid0(VALU_DEP_3) | instskip(NEXT) | instid1(VALU_DEP_1)
	v_lshlrev_b32_e32 v18, 21, v18
	v_or3_b32 v18, v19, v20, v18
.LBB247_68:
	s_or_b32 exec_lo, exec_lo, s14
	s_mov_b32 s13, 0
	s_mov_b32 s14, exec_lo
	v_cmpx_lt_i16_e32 0x7f, v16
	s_xor_b32 s14, exec_lo, s14
	s_cbranch_execnz .LBB247_353
; %bb.69:
	s_or_saveexec_b32 s14, s14
	v_mov_b32_e32 v19, 0x7f800001
	s_xor_b32 exec_lo, exec_lo, s14
	s_cbranch_execnz .LBB247_356
.LBB247_70:
	s_or_b32 exec_lo, exec_lo, s14
	s_and_saveexec_b32 s14, s13
	s_cbranch_execz .LBB247_72
.LBB247_71:
	v_and_b32_e32 v19, 0xffff, v16
	s_delay_alu instid0(VALU_DEP_1) | instskip(SKIP_1) | instid1(VALU_DEP_2)
	v_and_b32_e32 v20, 3, v19
	v_bfe_u32 v23, v19, 2, 5
	v_clz_i32_u32_e32 v21, v20
	s_delay_alu instid0(VALU_DEP_2) | instskip(NEXT) | instid1(VALU_DEP_2)
	v_cmp_eq_u32_e32 vcc_lo, 0, v23
	v_min_u32_e32 v21, 32, v21
	s_delay_alu instid0(VALU_DEP_1) | instskip(NEXT) | instid1(VALU_DEP_1)
	v_subrev_nc_u32_e32 v22, 29, v21
	v_dual_lshlrev_b32 v19, v22, v19 :: v_dual_sub_nc_u32 v21, 30, v21
	s_delay_alu instid0(VALU_DEP_1) | instskip(NEXT) | instid1(VALU_DEP_1)
	v_dual_lshlrev_b32 v22, 16, v14 :: v_dual_bitop2_b32 v19, 3, v19 bitop3:0x40
	v_dual_cndmask_b32 v21, v23, v21, vcc_lo :: v_dual_cndmask_b32 v19, v20, v19, vcc_lo
	s_delay_alu instid0(VALU_DEP_2) | instskip(NEXT) | instid1(VALU_DEP_2)
	v_and_b32_e32 v20, 0x80000000, v22
	v_lshl_add_u32 v21, v21, 23, 0x37800000
	s_delay_alu instid0(VALU_DEP_3) | instskip(NEXT) | instid1(VALU_DEP_1)
	v_lshlrev_b32_e32 v19, 21, v19
	v_or3_b32 v19, v20, v21, v19
.LBB247_72:
	s_or_b32 exec_lo, exec_lo, s14
	s_delay_alu instid0(VALU_DEP_1)
	v_cmp_neq_f32_e64 s13, v18, v19
.LBB247_73:
	v_cmp_ne_u32_e32 vcc_lo, 1, v3
	v_and_b32_e32 v14, 0xff, v13
	s_cbranch_vccnz .LBB247_93
.LBB247_74:
	s_mov_b32 s14, 0
	s_mov_b32 s15, exec_lo
	s_delay_alu instid0(VALU_DEP_1)
	v_cmpx_lt_i16_e32 0x7f, v14
	s_xor_b32 s15, exec_lo, s15
	s_cbranch_execnz .LBB247_357
; %bb.75:
	s_or_saveexec_b32 s15, s15
	v_mov_b32_e32 v15, 0x7f800001
	s_xor_b32 exec_lo, exec_lo, s15
	s_cbranch_execnz .LBB247_360
.LBB247_76:
	s_or_b32 exec_lo, exec_lo, s15
	s_and_saveexec_b32 s15, s14
	s_cbranch_execz .LBB247_78
.LBB247_77:
	v_and_b32_e32 v15, 0xffff, v14
	s_delay_alu instid0(VALU_DEP_1) | instskip(SKIP_1) | instid1(VALU_DEP_2)
	v_and_b32_e32 v16, 3, v15
	v_bfe_u32 v19, v15, 2, 5
	v_clz_i32_u32_e32 v17, v16
	s_delay_alu instid0(VALU_DEP_2) | instskip(NEXT) | instid1(VALU_DEP_2)
	v_cmp_eq_u32_e32 vcc_lo, 0, v19
	v_min_u32_e32 v17, 32, v17
	s_delay_alu instid0(VALU_DEP_1) | instskip(NEXT) | instid1(VALU_DEP_1)
	v_subrev_nc_u32_e32 v18, 29, v17
	v_dual_lshlrev_b32 v15, v18, v15 :: v_dual_sub_nc_u32 v17, 30, v17
	s_delay_alu instid0(VALU_DEP_1) | instskip(NEXT) | instid1(VALU_DEP_1)
	v_dual_lshlrev_b32 v18, 24, v13 :: v_dual_bitop2_b32 v15, 3, v15 bitop3:0x40
	v_dual_cndmask_b32 v15, v16, v15, vcc_lo :: v_dual_cndmask_b32 v17, v19, v17, vcc_lo
	s_delay_alu instid0(VALU_DEP_2) | instskip(NEXT) | instid1(VALU_DEP_2)
	v_and_b32_e32 v16, 0x80000000, v18
	v_lshlrev_b32_e32 v15, 21, v15
	s_delay_alu instid0(VALU_DEP_3) | instskip(NEXT) | instid1(VALU_DEP_1)
	v_lshl_add_u32 v17, v17, 23, 0x37800000
	v_or3_b32 v15, v16, v17, v15
.LBB247_78:
	s_or_b32 exec_lo, exec_lo, s15
	s_wait_loadcnt 0x5
	v_and_b32_e32 v16, 0xff, v12
	s_mov_b32 s14, 0
	s_mov_b32 s15, exec_lo
	s_delay_alu instid0(VALU_DEP_1)
	v_cmpx_lt_i16_e32 0x7f, v16
	s_xor_b32 s15, exec_lo, s15
	s_cbranch_execnz .LBB247_361
; %bb.79:
	s_or_saveexec_b32 s15, s15
	v_mov_b32_e32 v17, 0x7f800001
	s_xor_b32 exec_lo, exec_lo, s15
	s_cbranch_execnz .LBB247_364
.LBB247_80:
	s_or_b32 exec_lo, exec_lo, s15
	s_and_saveexec_b32 s15, s14
	s_cbranch_execz .LBB247_82
.LBB247_81:
	v_and_b32_e32 v16, 0xffff, v16
	s_delay_alu instid0(VALU_DEP_1) | instskip(SKIP_1) | instid1(VALU_DEP_2)
	v_and_b32_e32 v17, 3, v16
	v_bfe_u32 v20, v16, 2, 5
	v_clz_i32_u32_e32 v18, v17
	s_delay_alu instid0(VALU_DEP_2) | instskip(NEXT) | instid1(VALU_DEP_2)
	v_cmp_eq_u32_e32 vcc_lo, 0, v20
	v_min_u32_e32 v18, 32, v18
	s_delay_alu instid0(VALU_DEP_1) | instskip(NEXT) | instid1(VALU_DEP_1)
	v_subrev_nc_u32_e32 v19, 29, v18
	v_dual_lshlrev_b32 v16, v19, v16 :: v_dual_sub_nc_u32 v18, 30, v18
	s_delay_alu instid0(VALU_DEP_1) | instskip(NEXT) | instid1(VALU_DEP_2)
	v_and_b32_e32 v16, 3, v16
	v_dual_cndmask_b32 v18, v20, v18 :: v_dual_lshlrev_b32 v19, 24, v12
	s_delay_alu instid0(VALU_DEP_2) | instskip(NEXT) | instid1(VALU_DEP_2)
	v_cndmask_b32_e32 v16, v17, v16, vcc_lo
	v_and_b32_e32 v17, 0x80000000, v19
	s_delay_alu instid0(VALU_DEP_3) | instskip(NEXT) | instid1(VALU_DEP_3)
	v_lshl_add_u32 v18, v18, 23, 0x37800000
	v_lshlrev_b32_e32 v16, 21, v16
	s_delay_alu instid0(VALU_DEP_1)
	v_or3_b32 v17, v17, v18, v16
.LBB247_82:
	s_or_b32 exec_lo, exec_lo, s15
	s_delay_alu instid0(VALU_DEP_1)
	v_cmp_neq_f32_e64 s14, v15, v17
	s_branch .LBB247_103
.LBB247_83:
                                        ; implicit-def: $sgpr13
	s_cbranch_execz .LBB247_73
; %bb.84:
	s_mov_b32 s13, 0
	s_mov_b32 s14, exec_lo
	v_cmpx_lt_i16_e32 0x7f, v17
	s_xor_b32 s14, exec_lo, s14
	s_cbranch_execnz .LBB247_477
; %bb.85:
	s_or_saveexec_b32 s14, s14
	v_mov_b32_e32 v18, 0x7f800001
	s_xor_b32 exec_lo, exec_lo, s14
	s_cbranch_execnz .LBB247_480
.LBB247_86:
	s_or_b32 exec_lo, exec_lo, s14
	s_and_saveexec_b32 s14, s13
	s_cbranch_execz .LBB247_88
.LBB247_87:
	v_and_b32_e32 v17, 0xffff, v17
	s_delay_alu instid0(VALU_DEP_1) | instskip(SKIP_1) | instid1(VALU_DEP_2)
	v_and_b32_e32 v18, 3, v17
	v_bfe_u32 v21, v17, 2, 5
	v_clz_i32_u32_e32 v19, v18
	s_delay_alu instid0(VALU_DEP_2) | instskip(NEXT) | instid1(VALU_DEP_2)
	v_cmp_eq_u32_e32 vcc_lo, 0, v21
	v_min_u32_e32 v19, 32, v19
	s_delay_alu instid0(VALU_DEP_1) | instskip(NEXT) | instid1(VALU_DEP_1)
	v_subrev_nc_u32_e32 v20, 29, v19
	v_dual_lshlrev_b32 v17, v20, v17 :: v_dual_sub_nc_u32 v19, 30, v19
	s_delay_alu instid0(VALU_DEP_1) | instskip(NEXT) | instid1(VALU_DEP_1)
	v_dual_lshlrev_b32 v15, 16, v15 :: v_dual_bitop2_b32 v17, 3, v17 bitop3:0x40
	v_dual_cndmask_b32 v17, v18, v17, vcc_lo :: v_dual_cndmask_b32 v19, v21, v19, vcc_lo
	s_delay_alu instid0(VALU_DEP_2) | instskip(NEXT) | instid1(VALU_DEP_2)
	v_and_b32_e32 v15, 0x80000000, v15
	v_lshlrev_b32_e32 v17, 21, v17
	s_delay_alu instid0(VALU_DEP_3) | instskip(NEXT) | instid1(VALU_DEP_1)
	v_lshl_add_u32 v18, v19, 23, 0x37800000
	v_or3_b32 v18, v15, v18, v17
.LBB247_88:
	s_or_b32 exec_lo, exec_lo, s14
	s_mov_b32 s13, 0
	s_mov_b32 s14, exec_lo
	v_cmpx_lt_i16_e32 0x7f, v16
	s_xor_b32 s14, exec_lo, s14
	s_cbranch_execnz .LBB247_481
; %bb.89:
	s_or_saveexec_b32 s14, s14
	v_mov_b32_e32 v15, 0x7f800001
	s_xor_b32 exec_lo, exec_lo, s14
	s_cbranch_execnz .LBB247_484
.LBB247_90:
	s_or_b32 exec_lo, exec_lo, s14
	s_and_saveexec_b32 s14, s13
	s_cbranch_execz .LBB247_92
.LBB247_91:
	v_and_b32_e32 v15, 0xffff, v16
	s_delay_alu instid0(VALU_DEP_1) | instskip(SKIP_1) | instid1(VALU_DEP_2)
	v_and_b32_e32 v16, 3, v15
	v_bfe_u32 v20, v15, 2, 5
	v_clz_i32_u32_e32 v17, v16
	s_delay_alu instid0(VALU_DEP_2) | instskip(NEXT) | instid1(VALU_DEP_2)
	v_cmp_eq_u32_e32 vcc_lo, 0, v20
	v_min_u32_e32 v17, 32, v17
	s_delay_alu instid0(VALU_DEP_1) | instskip(NEXT) | instid1(VALU_DEP_1)
	v_subrev_nc_u32_e32 v19, 29, v17
	v_dual_lshlrev_b32 v15, v19, v15 :: v_dual_sub_nc_u32 v17, 30, v17
	s_delay_alu instid0(VALU_DEP_1) | instskip(NEXT) | instid1(VALU_DEP_2)
	v_dual_lshlrev_b32 v14, 16, v14 :: v_dual_bitop2_b32 v15, 3, v15 bitop3:0x40
	v_cndmask_b32_e32 v17, v20, v17, vcc_lo
	s_delay_alu instid0(VALU_DEP_2) | instskip(NEXT) | instid1(VALU_DEP_3)
	v_cndmask_b32_e32 v15, v16, v15, vcc_lo
	v_and_b32_e32 v14, 0x80000000, v14
	s_delay_alu instid0(VALU_DEP_3) | instskip(NEXT) | instid1(VALU_DEP_3)
	v_lshl_add_u32 v16, v17, 23, 0x37800000
	v_lshlrev_b32_e32 v15, 21, v15
	s_delay_alu instid0(VALU_DEP_1)
	v_or3_b32 v15, v14, v16, v15
.LBB247_92:
	s_or_b32 exec_lo, exec_lo, s14
	s_delay_alu instid0(VALU_DEP_1)
	v_cmp_eq_f32_e64 s13, v18, v15
	v_cmp_ne_u32_e32 vcc_lo, 1, v3
	v_and_b32_e32 v14, 0xff, v13
	s_cbranch_vccz .LBB247_74
.LBB247_93:
                                        ; implicit-def: $sgpr14
	s_cbranch_execz .LBB247_103
; %bb.94:
	s_mov_b32 s14, 0
	s_mov_b32 s15, exec_lo
	v_cmpx_lt_i16_e32 0x7f, v14
	s_xor_b32 s15, exec_lo, s15
	s_cbranch_execnz .LBB247_485
; %bb.95:
	s_or_saveexec_b32 s15, s15
	v_mov_b32_e32 v15, 0x7f800001
	s_xor_b32 exec_lo, exec_lo, s15
	s_cbranch_execnz .LBB247_488
.LBB247_96:
	s_or_b32 exec_lo, exec_lo, s15
	s_and_saveexec_b32 s15, s14
	s_cbranch_execz .LBB247_98
.LBB247_97:
	v_and_b32_e32 v14, 0xffff, v14
	s_delay_alu instid0(VALU_DEP_1) | instskip(SKIP_1) | instid1(VALU_DEP_2)
	v_and_b32_e32 v15, 3, v14
	v_bfe_u32 v18, v14, 2, 5
	v_clz_i32_u32_e32 v16, v15
	s_delay_alu instid0(VALU_DEP_2) | instskip(NEXT) | instid1(VALU_DEP_2)
	v_cmp_eq_u32_e32 vcc_lo, 0, v18
	v_min_u32_e32 v16, 32, v16
	s_delay_alu instid0(VALU_DEP_1) | instskip(NEXT) | instid1(VALU_DEP_1)
	v_subrev_nc_u32_e32 v17, 29, v16
	v_dual_lshlrev_b32 v14, v17, v14 :: v_dual_sub_nc_u32 v16, 30, v16
	s_delay_alu instid0(VALU_DEP_1) | instskip(NEXT) | instid1(VALU_DEP_1)
	v_dual_lshlrev_b32 v17, 24, v13 :: v_dual_bitop2_b32 v14, 3, v14 bitop3:0x40
	v_dual_cndmask_b32 v16, v18, v16, vcc_lo :: v_dual_cndmask_b32 v14, v15, v14, vcc_lo
	s_delay_alu instid0(VALU_DEP_2) | instskip(NEXT) | instid1(VALU_DEP_2)
	v_and_b32_e32 v15, 0x80000000, v17
	v_lshl_add_u32 v16, v16, 23, 0x37800000
	s_delay_alu instid0(VALU_DEP_3) | instskip(NEXT) | instid1(VALU_DEP_1)
	v_lshlrev_b32_e32 v14, 21, v14
	v_or3_b32 v15, v15, v16, v14
.LBB247_98:
	s_or_b32 exec_lo, exec_lo, s15
	s_wait_loadcnt 0x5
	v_and_b32_e32 v14, 0xff, v12
	s_mov_b32 s14, 0
	s_mov_b32 s15, exec_lo
	s_delay_alu instid0(VALU_DEP_1)
	v_cmpx_lt_i16_e32 0x7f, v14
	s_xor_b32 s15, exec_lo, s15
	s_cbranch_execnz .LBB247_489
; %bb.99:
	s_or_saveexec_b32 s15, s15
	v_mov_b32_e32 v16, 0x7f800001
	s_xor_b32 exec_lo, exec_lo, s15
	s_cbranch_execnz .LBB247_492
.LBB247_100:
	s_or_b32 exec_lo, exec_lo, s15
	s_and_saveexec_b32 s15, s14
	s_cbranch_execz .LBB247_102
.LBB247_101:
	v_and_b32_e32 v14, 0xffff, v14
	s_delay_alu instid0(VALU_DEP_1) | instskip(SKIP_1) | instid1(VALU_DEP_2)
	v_and_b32_e32 v16, 3, v14
	v_bfe_u32 v19, v14, 2, 5
	v_clz_i32_u32_e32 v17, v16
	s_delay_alu instid0(VALU_DEP_2) | instskip(NEXT) | instid1(VALU_DEP_2)
	v_cmp_eq_u32_e32 vcc_lo, 0, v19
	v_min_u32_e32 v17, 32, v17
	s_delay_alu instid0(VALU_DEP_1) | instskip(NEXT) | instid1(VALU_DEP_1)
	v_subrev_nc_u32_e32 v18, 29, v17
	v_dual_lshlrev_b32 v14, v18, v14 :: v_dual_sub_nc_u32 v17, 30, v17
	s_delay_alu instid0(VALU_DEP_1) | instskip(NEXT) | instid1(VALU_DEP_1)
	v_dual_lshlrev_b32 v18, 24, v12 :: v_dual_bitop2_b32 v14, 3, v14 bitop3:0x40
	v_dual_cndmask_b32 v17, v19, v17 :: v_dual_cndmask_b32 v14, v16, v14
	s_delay_alu instid0(VALU_DEP_2) | instskip(NEXT) | instid1(VALU_DEP_2)
	v_and_b32_e32 v16, 0x80000000, v18
	v_lshl_add_u32 v17, v17, 23, 0x37800000
	s_delay_alu instid0(VALU_DEP_3) | instskip(NEXT) | instid1(VALU_DEP_1)
	v_lshlrev_b32_e32 v14, 21, v14
	v_or3_b32 v16, v16, v17, v14
.LBB247_102:
	s_or_b32 exec_lo, exec_lo, s15
	s_delay_alu instid0(VALU_DEP_1)
	v_cmp_eq_f32_e64 s14, v15, v16
.LBB247_103:
	v_cmp_ne_u32_e32 vcc_lo, 1, v3
	v_lshrrev_b16 v15, 8, v13
	s_wait_loadcnt 0x5
	v_lshrrev_b16 v14, 8, v12
	s_cbranch_vccnz .LBB247_123
; %bb.104:
	s_mov_b32 s15, 0
	s_mov_b32 s16, exec_lo
	v_cmpx_lt_i16_e32 0x7f, v15
	s_xor_b32 s16, exec_lo, s16
	s_cbranch_execnz .LBB247_365
; %bb.105:
	s_or_saveexec_b32 s16, s16
	v_mov_b32_e32 v16, 0x7f800001
	s_xor_b32 exec_lo, exec_lo, s16
	s_cbranch_execnz .LBB247_368
.LBB247_106:
	s_or_b32 exec_lo, exec_lo, s16
	s_and_saveexec_b32 s16, s15
	s_cbranch_execz .LBB247_108
.LBB247_107:
	v_and_b32_e32 v16, 0xffff, v15
	s_delay_alu instid0(VALU_DEP_1) | instskip(SKIP_1) | instid1(VALU_DEP_2)
	v_and_b32_e32 v17, 3, v16
	v_bfe_u32 v20, v16, 2, 5
	v_clz_i32_u32_e32 v18, v17
	s_delay_alu instid0(VALU_DEP_2) | instskip(NEXT) | instid1(VALU_DEP_2)
	v_cmp_eq_u32_e32 vcc_lo, 0, v20
	v_min_u32_e32 v18, 32, v18
	s_delay_alu instid0(VALU_DEP_1) | instskip(NEXT) | instid1(VALU_DEP_1)
	v_subrev_nc_u32_e32 v19, 29, v18
	v_dual_lshlrev_b32 v16, v19, v16 :: v_dual_sub_nc_u32 v18, 30, v18
	s_delay_alu instid0(VALU_DEP_1) | instskip(NEXT) | instid1(VALU_DEP_1)
	v_dual_lshlrev_b32 v19, 16, v13 :: v_dual_bitop2_b32 v16, 3, v16 bitop3:0x40
	v_dual_cndmask_b32 v18, v20, v18, vcc_lo :: v_dual_cndmask_b32 v16, v17, v16, vcc_lo
	s_delay_alu instid0(VALU_DEP_2) | instskip(NEXT) | instid1(VALU_DEP_2)
	v_and_b32_e32 v17, 0x80000000, v19
	v_lshl_add_u32 v18, v18, 23, 0x37800000
	s_delay_alu instid0(VALU_DEP_3) | instskip(NEXT) | instid1(VALU_DEP_1)
	v_lshlrev_b32_e32 v16, 21, v16
	v_or3_b32 v16, v17, v18, v16
.LBB247_108:
	s_or_b32 exec_lo, exec_lo, s16
	s_mov_b32 s15, 0
	s_mov_b32 s16, exec_lo
	v_cmpx_lt_i16_e32 0x7f, v14
	s_xor_b32 s16, exec_lo, s16
	s_cbranch_execnz .LBB247_369
; %bb.109:
	s_or_saveexec_b32 s16, s16
	v_mov_b32_e32 v17, 0x7f800001
	s_xor_b32 exec_lo, exec_lo, s16
	s_cbranch_execnz .LBB247_372
.LBB247_110:
	s_or_b32 exec_lo, exec_lo, s16
	s_and_saveexec_b32 s16, s15
	s_cbranch_execz .LBB247_112
.LBB247_111:
	v_and_b32_e32 v17, 0xffff, v14
	s_delay_alu instid0(VALU_DEP_1) | instskip(SKIP_1) | instid1(VALU_DEP_2)
	v_and_b32_e32 v18, 3, v17
	v_bfe_u32 v21, v17, 2, 5
	v_clz_i32_u32_e32 v19, v18
	s_delay_alu instid0(VALU_DEP_2) | instskip(NEXT) | instid1(VALU_DEP_2)
	v_cmp_eq_u32_e32 vcc_lo, 0, v21
	v_min_u32_e32 v19, 32, v19
	s_delay_alu instid0(VALU_DEP_1) | instskip(NEXT) | instid1(VALU_DEP_1)
	v_subrev_nc_u32_e32 v20, 29, v19
	v_dual_lshlrev_b32 v17, v20, v17 :: v_dual_sub_nc_u32 v19, 30, v19
	s_delay_alu instid0(VALU_DEP_1) | instskip(NEXT) | instid1(VALU_DEP_1)
	v_dual_lshlrev_b32 v20, 16, v12 :: v_dual_bitop2_b32 v17, 3, v17 bitop3:0x40
	v_dual_cndmask_b32 v19, v21, v19, vcc_lo :: v_dual_cndmask_b32 v17, v18, v17, vcc_lo
	s_delay_alu instid0(VALU_DEP_2) | instskip(NEXT) | instid1(VALU_DEP_2)
	v_and_b32_e32 v18, 0x80000000, v20
	v_lshl_add_u32 v19, v19, 23, 0x37800000
	s_delay_alu instid0(VALU_DEP_3) | instskip(NEXT) | instid1(VALU_DEP_1)
	v_lshlrev_b32_e32 v17, 21, v17
	v_or3_b32 v17, v18, v19, v17
.LBB247_112:
	s_or_b32 exec_lo, exec_lo, s16
	s_delay_alu instid0(VALU_DEP_1)
	v_cmp_neq_f32_e64 s15, v16, v17
.LBB247_113:
	v_cmp_ne_u32_e32 vcc_lo, 1, v3
	v_and_b32_e32 v12, 0xff, v11
	s_cbranch_vccnz .LBB247_133
.LBB247_114:
	s_mov_b32 s16, 0
	s_mov_b32 s17, exec_lo
	s_delay_alu instid0(VALU_DEP_1)
	v_cmpx_lt_i16_e32 0x7f, v12
	s_xor_b32 s17, exec_lo, s17
	s_cbranch_execnz .LBB247_373
; %bb.115:
	s_or_saveexec_b32 s17, s17
	v_mov_b32_e32 v13, 0x7f800001
	s_xor_b32 exec_lo, exec_lo, s17
	s_cbranch_execnz .LBB247_376
.LBB247_116:
	s_or_b32 exec_lo, exec_lo, s17
	s_and_saveexec_b32 s17, s16
	s_cbranch_execz .LBB247_118
.LBB247_117:
	v_and_b32_e32 v13, 0xffff, v12
	s_delay_alu instid0(VALU_DEP_1) | instskip(SKIP_1) | instid1(VALU_DEP_2)
	v_and_b32_e32 v14, 3, v13
	v_bfe_u32 v17, v13, 2, 5
	v_clz_i32_u32_e32 v15, v14
	s_delay_alu instid0(VALU_DEP_2) | instskip(NEXT) | instid1(VALU_DEP_2)
	v_cmp_eq_u32_e32 vcc_lo, 0, v17
	v_min_u32_e32 v15, 32, v15
	s_delay_alu instid0(VALU_DEP_1) | instskip(NEXT) | instid1(VALU_DEP_1)
	v_subrev_nc_u32_e32 v16, 29, v15
	v_dual_lshlrev_b32 v13, v16, v13 :: v_dual_sub_nc_u32 v15, 30, v15
	s_delay_alu instid0(VALU_DEP_1) | instskip(NEXT) | instid1(VALU_DEP_1)
	v_dual_lshlrev_b32 v16, 24, v11 :: v_dual_bitop2_b32 v13, 3, v13 bitop3:0x40
	v_dual_cndmask_b32 v13, v14, v13, vcc_lo :: v_dual_cndmask_b32 v15, v17, v15, vcc_lo
	s_delay_alu instid0(VALU_DEP_2) | instskip(NEXT) | instid1(VALU_DEP_2)
	v_and_b32_e32 v14, 0x80000000, v16
	v_lshlrev_b32_e32 v13, 21, v13
	s_delay_alu instid0(VALU_DEP_3) | instskip(NEXT) | instid1(VALU_DEP_1)
	v_lshl_add_u32 v15, v15, 23, 0x37800000
	v_or3_b32 v13, v14, v15, v13
.LBB247_118:
	s_or_b32 exec_lo, exec_lo, s17
	s_wait_loadcnt 0x4
	v_and_b32_e32 v14, 0xff, v10
	s_mov_b32 s16, 0
	s_mov_b32 s17, exec_lo
	s_delay_alu instid0(VALU_DEP_1)
	v_cmpx_lt_i16_e32 0x7f, v14
	s_xor_b32 s17, exec_lo, s17
	s_cbranch_execnz .LBB247_377
; %bb.119:
	s_or_saveexec_b32 s17, s17
	v_mov_b32_e32 v15, 0x7f800001
	s_xor_b32 exec_lo, exec_lo, s17
	s_cbranch_execnz .LBB247_380
.LBB247_120:
	s_or_b32 exec_lo, exec_lo, s17
	s_and_saveexec_b32 s17, s16
	s_cbranch_execz .LBB247_122
.LBB247_121:
	v_and_b32_e32 v14, 0xffff, v14
	s_delay_alu instid0(VALU_DEP_1) | instskip(SKIP_1) | instid1(VALU_DEP_2)
	v_and_b32_e32 v15, 3, v14
	v_bfe_u32 v18, v14, 2, 5
	v_clz_i32_u32_e32 v16, v15
	s_delay_alu instid0(VALU_DEP_2) | instskip(NEXT) | instid1(VALU_DEP_2)
	v_cmp_eq_u32_e32 vcc_lo, 0, v18
	v_min_u32_e32 v16, 32, v16
	s_delay_alu instid0(VALU_DEP_1) | instskip(NEXT) | instid1(VALU_DEP_1)
	v_subrev_nc_u32_e32 v17, 29, v16
	v_dual_lshlrev_b32 v14, v17, v14 :: v_dual_sub_nc_u32 v16, 30, v16
	s_delay_alu instid0(VALU_DEP_1) | instskip(NEXT) | instid1(VALU_DEP_2)
	v_and_b32_e32 v14, 3, v14
	v_dual_cndmask_b32 v16, v18, v16 :: v_dual_lshlrev_b32 v17, 24, v10
	s_delay_alu instid0(VALU_DEP_2) | instskip(NEXT) | instid1(VALU_DEP_2)
	v_cndmask_b32_e32 v14, v15, v14, vcc_lo
	v_and_b32_e32 v15, 0x80000000, v17
	s_delay_alu instid0(VALU_DEP_3) | instskip(NEXT) | instid1(VALU_DEP_3)
	v_lshl_add_u32 v16, v16, 23, 0x37800000
	v_lshlrev_b32_e32 v14, 21, v14
	s_delay_alu instid0(VALU_DEP_1)
	v_or3_b32 v15, v15, v16, v14
.LBB247_122:
	s_or_b32 exec_lo, exec_lo, s17
	s_delay_alu instid0(VALU_DEP_1)
	v_cmp_neq_f32_e64 s16, v13, v15
	s_branch .LBB247_143
.LBB247_123:
                                        ; implicit-def: $sgpr15
	s_cbranch_execz .LBB247_113
; %bb.124:
	s_mov_b32 s15, 0
	s_mov_b32 s16, exec_lo
	v_cmpx_lt_i16_e32 0x7f, v15
	s_xor_b32 s16, exec_lo, s16
	s_cbranch_execnz .LBB247_493
; %bb.125:
	s_or_saveexec_b32 s16, s16
	v_mov_b32_e32 v16, 0x7f800001
	s_xor_b32 exec_lo, exec_lo, s16
	s_cbranch_execnz .LBB247_496
.LBB247_126:
	s_or_b32 exec_lo, exec_lo, s16
	s_and_saveexec_b32 s16, s15
	s_cbranch_execz .LBB247_128
.LBB247_127:
	v_and_b32_e32 v15, 0xffff, v15
	s_delay_alu instid0(VALU_DEP_1) | instskip(SKIP_1) | instid1(VALU_DEP_2)
	v_and_b32_e32 v16, 3, v15
	v_bfe_u32 v19, v15, 2, 5
	v_clz_i32_u32_e32 v17, v16
	s_delay_alu instid0(VALU_DEP_2) | instskip(NEXT) | instid1(VALU_DEP_2)
	v_cmp_eq_u32_e32 vcc_lo, 0, v19
	v_min_u32_e32 v17, 32, v17
	s_delay_alu instid0(VALU_DEP_1) | instskip(NEXT) | instid1(VALU_DEP_1)
	v_subrev_nc_u32_e32 v18, 29, v17
	v_dual_lshlrev_b32 v15, v18, v15 :: v_dual_sub_nc_u32 v17, 30, v17
	s_delay_alu instid0(VALU_DEP_1) | instskip(NEXT) | instid1(VALU_DEP_1)
	v_dual_lshlrev_b32 v13, 16, v13 :: v_dual_bitop2_b32 v15, 3, v15 bitop3:0x40
	v_dual_cndmask_b32 v15, v16, v15, vcc_lo :: v_dual_cndmask_b32 v17, v19, v17, vcc_lo
	s_delay_alu instid0(VALU_DEP_2) | instskip(NEXT) | instid1(VALU_DEP_2)
	v_and_b32_e32 v13, 0x80000000, v13
	v_lshlrev_b32_e32 v15, 21, v15
	s_delay_alu instid0(VALU_DEP_3) | instskip(NEXT) | instid1(VALU_DEP_1)
	v_lshl_add_u32 v16, v17, 23, 0x37800000
	v_or3_b32 v16, v13, v16, v15
.LBB247_128:
	s_or_b32 exec_lo, exec_lo, s16
	s_mov_b32 s15, 0
	s_mov_b32 s16, exec_lo
	v_cmpx_lt_i16_e32 0x7f, v14
	s_xor_b32 s16, exec_lo, s16
	s_cbranch_execnz .LBB247_497
; %bb.129:
	s_or_saveexec_b32 s16, s16
	v_mov_b32_e32 v13, 0x7f800001
	s_xor_b32 exec_lo, exec_lo, s16
	s_cbranch_execnz .LBB247_500
.LBB247_130:
	s_or_b32 exec_lo, exec_lo, s16
	s_and_saveexec_b32 s16, s15
	s_cbranch_execz .LBB247_132
.LBB247_131:
	v_and_b32_e32 v13, 0xffff, v14
	s_delay_alu instid0(VALU_DEP_1) | instskip(SKIP_1) | instid1(VALU_DEP_2)
	v_and_b32_e32 v14, 3, v13
	v_bfe_u32 v18, v13, 2, 5
	v_clz_i32_u32_e32 v15, v14
	s_delay_alu instid0(VALU_DEP_2) | instskip(NEXT) | instid1(VALU_DEP_2)
	v_cmp_eq_u32_e32 vcc_lo, 0, v18
	v_min_u32_e32 v15, 32, v15
	s_delay_alu instid0(VALU_DEP_1) | instskip(NEXT) | instid1(VALU_DEP_1)
	v_subrev_nc_u32_e32 v17, 29, v15
	v_dual_lshlrev_b32 v13, v17, v13 :: v_dual_sub_nc_u32 v15, 30, v15
	s_delay_alu instid0(VALU_DEP_1) | instskip(NEXT) | instid1(VALU_DEP_2)
	v_dual_lshlrev_b32 v12, 16, v12 :: v_dual_bitop2_b32 v13, 3, v13 bitop3:0x40
	v_cndmask_b32_e32 v15, v18, v15, vcc_lo
	s_delay_alu instid0(VALU_DEP_2) | instskip(NEXT) | instid1(VALU_DEP_3)
	v_cndmask_b32_e32 v13, v14, v13, vcc_lo
	v_and_b32_e32 v12, 0x80000000, v12
	s_delay_alu instid0(VALU_DEP_3) | instskip(NEXT) | instid1(VALU_DEP_3)
	v_lshl_add_u32 v14, v15, 23, 0x37800000
	v_lshlrev_b32_e32 v13, 21, v13
	s_delay_alu instid0(VALU_DEP_1)
	v_or3_b32 v13, v12, v14, v13
.LBB247_132:
	s_or_b32 exec_lo, exec_lo, s16
	s_delay_alu instid0(VALU_DEP_1)
	v_cmp_eq_f32_e64 s15, v16, v13
	v_cmp_ne_u32_e32 vcc_lo, 1, v3
	v_and_b32_e32 v12, 0xff, v11
	s_cbranch_vccz .LBB247_114
.LBB247_133:
                                        ; implicit-def: $sgpr16
	s_cbranch_execz .LBB247_143
; %bb.134:
	s_mov_b32 s16, 0
	s_mov_b32 s17, exec_lo
	v_cmpx_lt_i16_e32 0x7f, v12
	s_xor_b32 s17, exec_lo, s17
	s_cbranch_execnz .LBB247_501
; %bb.135:
	s_or_saveexec_b32 s17, s17
	v_mov_b32_e32 v13, 0x7f800001
	s_xor_b32 exec_lo, exec_lo, s17
	s_cbranch_execnz .LBB247_504
.LBB247_136:
	s_or_b32 exec_lo, exec_lo, s17
	s_and_saveexec_b32 s17, s16
	s_cbranch_execz .LBB247_138
.LBB247_137:
	v_and_b32_e32 v12, 0xffff, v12
	s_delay_alu instid0(VALU_DEP_1) | instskip(SKIP_1) | instid1(VALU_DEP_2)
	v_and_b32_e32 v13, 3, v12
	v_bfe_u32 v16, v12, 2, 5
	v_clz_i32_u32_e32 v14, v13
	s_delay_alu instid0(VALU_DEP_2) | instskip(NEXT) | instid1(VALU_DEP_2)
	v_cmp_eq_u32_e32 vcc_lo, 0, v16
	v_min_u32_e32 v14, 32, v14
	s_delay_alu instid0(VALU_DEP_1) | instskip(NEXT) | instid1(VALU_DEP_1)
	v_subrev_nc_u32_e32 v15, 29, v14
	v_dual_lshlrev_b32 v12, v15, v12 :: v_dual_sub_nc_u32 v14, 30, v14
	s_delay_alu instid0(VALU_DEP_1) | instskip(NEXT) | instid1(VALU_DEP_1)
	v_dual_lshlrev_b32 v15, 24, v11 :: v_dual_bitop2_b32 v12, 3, v12 bitop3:0x40
	v_dual_cndmask_b32 v14, v16, v14, vcc_lo :: v_dual_cndmask_b32 v12, v13, v12, vcc_lo
	s_delay_alu instid0(VALU_DEP_2) | instskip(NEXT) | instid1(VALU_DEP_2)
	v_and_b32_e32 v13, 0x80000000, v15
	v_lshl_add_u32 v14, v14, 23, 0x37800000
	s_delay_alu instid0(VALU_DEP_3) | instskip(NEXT) | instid1(VALU_DEP_1)
	v_lshlrev_b32_e32 v12, 21, v12
	v_or3_b32 v13, v13, v14, v12
.LBB247_138:
	s_or_b32 exec_lo, exec_lo, s17
	s_wait_loadcnt 0x4
	v_and_b32_e32 v12, 0xff, v10
	s_mov_b32 s16, 0
	s_mov_b32 s17, exec_lo
	s_delay_alu instid0(VALU_DEP_1)
	v_cmpx_lt_i16_e32 0x7f, v12
	s_xor_b32 s17, exec_lo, s17
	s_cbranch_execnz .LBB247_505
; %bb.139:
	s_or_saveexec_b32 s17, s17
	v_mov_b32_e32 v14, 0x7f800001
	s_xor_b32 exec_lo, exec_lo, s17
	s_cbranch_execnz .LBB247_508
.LBB247_140:
	s_or_b32 exec_lo, exec_lo, s17
	s_and_saveexec_b32 s17, s16
	s_cbranch_execz .LBB247_142
.LBB247_141:
	v_and_b32_e32 v12, 0xffff, v12
	s_delay_alu instid0(VALU_DEP_1) | instskip(SKIP_1) | instid1(VALU_DEP_2)
	v_and_b32_e32 v14, 3, v12
	v_bfe_u32 v17, v12, 2, 5
	v_clz_i32_u32_e32 v15, v14
	s_delay_alu instid0(VALU_DEP_2) | instskip(NEXT) | instid1(VALU_DEP_2)
	v_cmp_eq_u32_e32 vcc_lo, 0, v17
	v_min_u32_e32 v15, 32, v15
	s_delay_alu instid0(VALU_DEP_1) | instskip(NEXT) | instid1(VALU_DEP_1)
	v_subrev_nc_u32_e32 v16, 29, v15
	v_dual_lshlrev_b32 v12, v16, v12 :: v_dual_sub_nc_u32 v15, 30, v15
	s_delay_alu instid0(VALU_DEP_1) | instskip(NEXT) | instid1(VALU_DEP_1)
	v_dual_lshlrev_b32 v16, 24, v10 :: v_dual_bitop2_b32 v12, 3, v12 bitop3:0x40
	v_dual_cndmask_b32 v15, v17, v15 :: v_dual_cndmask_b32 v12, v14, v12
	s_delay_alu instid0(VALU_DEP_2) | instskip(NEXT) | instid1(VALU_DEP_2)
	v_and_b32_e32 v14, 0x80000000, v16
	v_lshl_add_u32 v15, v15, 23, 0x37800000
	s_delay_alu instid0(VALU_DEP_3) | instskip(NEXT) | instid1(VALU_DEP_1)
	v_lshlrev_b32_e32 v12, 21, v12
	v_or3_b32 v14, v14, v15, v12
.LBB247_142:
	s_or_b32 exec_lo, exec_lo, s17
	s_delay_alu instid0(VALU_DEP_1)
	v_cmp_eq_f32_e64 s16, v13, v14
.LBB247_143:
	v_cmp_ne_u32_e32 vcc_lo, 1, v3
	v_lshrrev_b16 v13, 8, v11
	s_wait_loadcnt 0x4
	v_lshrrev_b16 v12, 8, v10
	s_cbranch_vccnz .LBB247_163
; %bb.144:
	s_mov_b32 s17, 0
	s_mov_b32 s18, exec_lo
	v_cmpx_lt_i16_e32 0x7f, v13
	s_xor_b32 s18, exec_lo, s18
	s_cbranch_execnz .LBB247_381
; %bb.145:
	s_or_saveexec_b32 s18, s18
	v_mov_b32_e32 v14, 0x7f800001
	s_xor_b32 exec_lo, exec_lo, s18
	s_cbranch_execnz .LBB247_384
.LBB247_146:
	s_or_b32 exec_lo, exec_lo, s18
	s_and_saveexec_b32 s18, s17
	s_cbranch_execz .LBB247_148
.LBB247_147:
	v_and_b32_e32 v14, 0xffff, v13
	s_delay_alu instid0(VALU_DEP_1) | instskip(SKIP_1) | instid1(VALU_DEP_2)
	v_and_b32_e32 v15, 3, v14
	v_bfe_u32 v18, v14, 2, 5
	v_clz_i32_u32_e32 v16, v15
	s_delay_alu instid0(VALU_DEP_2) | instskip(NEXT) | instid1(VALU_DEP_2)
	v_cmp_eq_u32_e32 vcc_lo, 0, v18
	v_min_u32_e32 v16, 32, v16
	s_delay_alu instid0(VALU_DEP_1) | instskip(NEXT) | instid1(VALU_DEP_1)
	v_subrev_nc_u32_e32 v17, 29, v16
	v_dual_lshlrev_b32 v14, v17, v14 :: v_dual_sub_nc_u32 v16, 30, v16
	s_delay_alu instid0(VALU_DEP_1) | instskip(NEXT) | instid1(VALU_DEP_1)
	v_dual_lshlrev_b32 v17, 16, v11 :: v_dual_bitop2_b32 v14, 3, v14 bitop3:0x40
	v_dual_cndmask_b32 v16, v18, v16, vcc_lo :: v_dual_cndmask_b32 v14, v15, v14, vcc_lo
	s_delay_alu instid0(VALU_DEP_2) | instskip(NEXT) | instid1(VALU_DEP_2)
	v_and_b32_e32 v15, 0x80000000, v17
	v_lshl_add_u32 v16, v16, 23, 0x37800000
	s_delay_alu instid0(VALU_DEP_3) | instskip(NEXT) | instid1(VALU_DEP_1)
	v_lshlrev_b32_e32 v14, 21, v14
	v_or3_b32 v14, v15, v16, v14
.LBB247_148:
	s_or_b32 exec_lo, exec_lo, s18
	s_mov_b32 s17, 0
	s_mov_b32 s18, exec_lo
	v_cmpx_lt_i16_e32 0x7f, v12
	s_xor_b32 s18, exec_lo, s18
	s_cbranch_execnz .LBB247_385
; %bb.149:
	s_or_saveexec_b32 s18, s18
	v_mov_b32_e32 v15, 0x7f800001
	s_xor_b32 exec_lo, exec_lo, s18
	s_cbranch_execnz .LBB247_388
.LBB247_150:
	s_or_b32 exec_lo, exec_lo, s18
	s_and_saveexec_b32 s18, s17
	s_cbranch_execz .LBB247_152
.LBB247_151:
	v_and_b32_e32 v15, 0xffff, v12
	s_delay_alu instid0(VALU_DEP_1) | instskip(SKIP_1) | instid1(VALU_DEP_2)
	v_and_b32_e32 v16, 3, v15
	v_bfe_u32 v19, v15, 2, 5
	v_clz_i32_u32_e32 v17, v16
	s_delay_alu instid0(VALU_DEP_2) | instskip(NEXT) | instid1(VALU_DEP_2)
	v_cmp_eq_u32_e32 vcc_lo, 0, v19
	v_min_u32_e32 v17, 32, v17
	s_delay_alu instid0(VALU_DEP_1) | instskip(NEXT) | instid1(VALU_DEP_1)
	v_subrev_nc_u32_e32 v18, 29, v17
	v_dual_lshlrev_b32 v15, v18, v15 :: v_dual_sub_nc_u32 v17, 30, v17
	s_delay_alu instid0(VALU_DEP_1) | instskip(NEXT) | instid1(VALU_DEP_1)
	v_dual_lshlrev_b32 v18, 16, v10 :: v_dual_bitop2_b32 v15, 3, v15 bitop3:0x40
	v_dual_cndmask_b32 v17, v19, v17, vcc_lo :: v_dual_cndmask_b32 v15, v16, v15, vcc_lo
	s_delay_alu instid0(VALU_DEP_2) | instskip(NEXT) | instid1(VALU_DEP_2)
	v_and_b32_e32 v16, 0x80000000, v18
	v_lshl_add_u32 v17, v17, 23, 0x37800000
	s_delay_alu instid0(VALU_DEP_3) | instskip(NEXT) | instid1(VALU_DEP_1)
	v_lshlrev_b32_e32 v15, 21, v15
	v_or3_b32 v15, v16, v17, v15
.LBB247_152:
	s_or_b32 exec_lo, exec_lo, s18
	s_delay_alu instid0(VALU_DEP_1)
	v_cmp_neq_f32_e64 s17, v14, v15
.LBB247_153:
	v_cmp_ne_u32_e32 vcc_lo, 1, v3
	v_and_b32_e32 v10, 0xff, v9
	s_cbranch_vccnz .LBB247_173
.LBB247_154:
	s_mov_b32 s18, 0
	s_mov_b32 s19, exec_lo
	s_delay_alu instid0(VALU_DEP_1)
	v_cmpx_lt_i16_e32 0x7f, v10
	s_xor_b32 s19, exec_lo, s19
	s_cbranch_execnz .LBB247_389
; %bb.155:
	s_or_saveexec_b32 s19, s19
	v_mov_b32_e32 v11, 0x7f800001
	s_xor_b32 exec_lo, exec_lo, s19
	s_cbranch_execnz .LBB247_392
.LBB247_156:
	s_or_b32 exec_lo, exec_lo, s19
	s_and_saveexec_b32 s19, s18
	s_cbranch_execz .LBB247_158
.LBB247_157:
	v_and_b32_e32 v11, 0xffff, v10
	s_delay_alu instid0(VALU_DEP_1) | instskip(SKIP_1) | instid1(VALU_DEP_2)
	v_and_b32_e32 v12, 3, v11
	v_bfe_u32 v15, v11, 2, 5
	v_clz_i32_u32_e32 v13, v12
	s_delay_alu instid0(VALU_DEP_2) | instskip(NEXT) | instid1(VALU_DEP_2)
	v_cmp_eq_u32_e32 vcc_lo, 0, v15
	v_min_u32_e32 v13, 32, v13
	s_delay_alu instid0(VALU_DEP_1) | instskip(NEXT) | instid1(VALU_DEP_1)
	v_subrev_nc_u32_e32 v14, 29, v13
	v_dual_lshlrev_b32 v11, v14, v11 :: v_dual_sub_nc_u32 v13, 30, v13
	s_delay_alu instid0(VALU_DEP_1) | instskip(NEXT) | instid1(VALU_DEP_1)
	v_dual_lshlrev_b32 v14, 24, v9 :: v_dual_bitop2_b32 v11, 3, v11 bitop3:0x40
	v_dual_cndmask_b32 v11, v12, v11, vcc_lo :: v_dual_cndmask_b32 v13, v15, v13, vcc_lo
	s_delay_alu instid0(VALU_DEP_2) | instskip(NEXT) | instid1(VALU_DEP_2)
	v_and_b32_e32 v12, 0x80000000, v14
	v_lshlrev_b32_e32 v11, 21, v11
	s_delay_alu instid0(VALU_DEP_3) | instskip(NEXT) | instid1(VALU_DEP_1)
	v_lshl_add_u32 v13, v13, 23, 0x37800000
	v_or3_b32 v11, v12, v13, v11
.LBB247_158:
	s_or_b32 exec_lo, exec_lo, s19
	s_wait_loadcnt 0x3
	v_and_b32_e32 v12, 0xff, v8
	s_mov_b32 s18, 0
	s_mov_b32 s19, exec_lo
	s_delay_alu instid0(VALU_DEP_1)
	v_cmpx_lt_i16_e32 0x7f, v12
	s_xor_b32 s19, exec_lo, s19
	s_cbranch_execnz .LBB247_393
; %bb.159:
	s_or_saveexec_b32 s19, s19
	v_mov_b32_e32 v13, 0x7f800001
	s_xor_b32 exec_lo, exec_lo, s19
	s_cbranch_execnz .LBB247_396
.LBB247_160:
	s_or_b32 exec_lo, exec_lo, s19
	s_and_saveexec_b32 s19, s18
	s_cbranch_execz .LBB247_162
.LBB247_161:
	v_and_b32_e32 v12, 0xffff, v12
	s_delay_alu instid0(VALU_DEP_1) | instskip(SKIP_1) | instid1(VALU_DEP_2)
	v_and_b32_e32 v13, 3, v12
	v_bfe_u32 v16, v12, 2, 5
	v_clz_i32_u32_e32 v14, v13
	s_delay_alu instid0(VALU_DEP_2) | instskip(NEXT) | instid1(VALU_DEP_2)
	v_cmp_eq_u32_e32 vcc_lo, 0, v16
	v_min_u32_e32 v14, 32, v14
	s_delay_alu instid0(VALU_DEP_1) | instskip(NEXT) | instid1(VALU_DEP_1)
	v_subrev_nc_u32_e32 v15, 29, v14
	v_dual_lshlrev_b32 v12, v15, v12 :: v_dual_sub_nc_u32 v14, 30, v14
	s_delay_alu instid0(VALU_DEP_1) | instskip(NEXT) | instid1(VALU_DEP_2)
	v_and_b32_e32 v12, 3, v12
	v_dual_cndmask_b32 v14, v16, v14 :: v_dual_lshlrev_b32 v15, 24, v8
	s_delay_alu instid0(VALU_DEP_2) | instskip(NEXT) | instid1(VALU_DEP_2)
	v_cndmask_b32_e32 v12, v13, v12, vcc_lo
	v_and_b32_e32 v13, 0x80000000, v15
	s_delay_alu instid0(VALU_DEP_3) | instskip(NEXT) | instid1(VALU_DEP_3)
	v_lshl_add_u32 v14, v14, 23, 0x37800000
	v_lshlrev_b32_e32 v12, 21, v12
	s_delay_alu instid0(VALU_DEP_1)
	v_or3_b32 v13, v13, v14, v12
.LBB247_162:
	s_or_b32 exec_lo, exec_lo, s19
	s_delay_alu instid0(VALU_DEP_1)
	v_cmp_neq_f32_e64 s18, v11, v13
	s_branch .LBB247_183
.LBB247_163:
                                        ; implicit-def: $sgpr17
	s_cbranch_execz .LBB247_153
; %bb.164:
	s_mov_b32 s17, 0
	s_mov_b32 s18, exec_lo
	v_cmpx_lt_i16_e32 0x7f, v13
	s_xor_b32 s18, exec_lo, s18
	s_cbranch_execnz .LBB247_509
; %bb.165:
	s_or_saveexec_b32 s18, s18
	v_mov_b32_e32 v14, 0x7f800001
	s_xor_b32 exec_lo, exec_lo, s18
	s_cbranch_execnz .LBB247_512
.LBB247_166:
	s_or_b32 exec_lo, exec_lo, s18
	s_and_saveexec_b32 s18, s17
	s_cbranch_execz .LBB247_168
.LBB247_167:
	v_and_b32_e32 v13, 0xffff, v13
	s_delay_alu instid0(VALU_DEP_1) | instskip(SKIP_1) | instid1(VALU_DEP_2)
	v_and_b32_e32 v14, 3, v13
	v_bfe_u32 v17, v13, 2, 5
	v_clz_i32_u32_e32 v15, v14
	s_delay_alu instid0(VALU_DEP_2) | instskip(NEXT) | instid1(VALU_DEP_2)
	v_cmp_eq_u32_e32 vcc_lo, 0, v17
	v_min_u32_e32 v15, 32, v15
	s_delay_alu instid0(VALU_DEP_1) | instskip(NEXT) | instid1(VALU_DEP_1)
	v_subrev_nc_u32_e32 v16, 29, v15
	v_dual_lshlrev_b32 v13, v16, v13 :: v_dual_sub_nc_u32 v15, 30, v15
	s_delay_alu instid0(VALU_DEP_1) | instskip(NEXT) | instid1(VALU_DEP_1)
	v_dual_lshlrev_b32 v11, 16, v11 :: v_dual_bitop2_b32 v13, 3, v13 bitop3:0x40
	v_dual_cndmask_b32 v13, v14, v13, vcc_lo :: v_dual_cndmask_b32 v15, v17, v15, vcc_lo
	s_delay_alu instid0(VALU_DEP_2) | instskip(NEXT) | instid1(VALU_DEP_2)
	v_and_b32_e32 v11, 0x80000000, v11
	v_lshlrev_b32_e32 v13, 21, v13
	s_delay_alu instid0(VALU_DEP_3) | instskip(NEXT) | instid1(VALU_DEP_1)
	v_lshl_add_u32 v14, v15, 23, 0x37800000
	v_or3_b32 v14, v11, v14, v13
.LBB247_168:
	s_or_b32 exec_lo, exec_lo, s18
	s_mov_b32 s17, 0
	s_mov_b32 s18, exec_lo
	v_cmpx_lt_i16_e32 0x7f, v12
	s_xor_b32 s18, exec_lo, s18
	s_cbranch_execnz .LBB247_513
; %bb.169:
	s_or_saveexec_b32 s18, s18
	v_mov_b32_e32 v11, 0x7f800001
	s_xor_b32 exec_lo, exec_lo, s18
	s_cbranch_execnz .LBB247_516
.LBB247_170:
	s_or_b32 exec_lo, exec_lo, s18
	s_and_saveexec_b32 s18, s17
	s_cbranch_execz .LBB247_172
.LBB247_171:
	v_and_b32_e32 v11, 0xffff, v12
	s_delay_alu instid0(VALU_DEP_1) | instskip(SKIP_1) | instid1(VALU_DEP_2)
	v_and_b32_e32 v12, 3, v11
	v_bfe_u32 v16, v11, 2, 5
	v_clz_i32_u32_e32 v13, v12
	s_delay_alu instid0(VALU_DEP_2) | instskip(NEXT) | instid1(VALU_DEP_2)
	v_cmp_eq_u32_e32 vcc_lo, 0, v16
	v_min_u32_e32 v13, 32, v13
	s_delay_alu instid0(VALU_DEP_1) | instskip(NEXT) | instid1(VALU_DEP_1)
	v_subrev_nc_u32_e32 v15, 29, v13
	v_dual_lshlrev_b32 v11, v15, v11 :: v_dual_sub_nc_u32 v13, 30, v13
	s_delay_alu instid0(VALU_DEP_1) | instskip(NEXT) | instid1(VALU_DEP_2)
	v_dual_lshlrev_b32 v10, 16, v10 :: v_dual_bitop2_b32 v11, 3, v11 bitop3:0x40
	v_cndmask_b32_e32 v13, v16, v13, vcc_lo
	s_delay_alu instid0(VALU_DEP_2) | instskip(NEXT) | instid1(VALU_DEP_3)
	v_cndmask_b32_e32 v11, v12, v11, vcc_lo
	v_and_b32_e32 v10, 0x80000000, v10
	s_delay_alu instid0(VALU_DEP_3) | instskip(NEXT) | instid1(VALU_DEP_3)
	v_lshl_add_u32 v12, v13, 23, 0x37800000
	v_lshlrev_b32_e32 v11, 21, v11
	s_delay_alu instid0(VALU_DEP_1)
	v_or3_b32 v11, v10, v12, v11
.LBB247_172:
	s_or_b32 exec_lo, exec_lo, s18
	s_delay_alu instid0(VALU_DEP_1)
	v_cmp_eq_f32_e64 s17, v14, v11
	v_cmp_ne_u32_e32 vcc_lo, 1, v3
	v_and_b32_e32 v10, 0xff, v9
	s_cbranch_vccz .LBB247_154
.LBB247_173:
                                        ; implicit-def: $sgpr18
	s_cbranch_execz .LBB247_183
; %bb.174:
	s_mov_b32 s18, 0
	s_mov_b32 s19, exec_lo
	v_cmpx_lt_i16_e32 0x7f, v10
	s_xor_b32 s19, exec_lo, s19
	s_cbranch_execnz .LBB247_517
; %bb.175:
	s_or_saveexec_b32 s19, s19
	v_mov_b32_e32 v11, 0x7f800001
	s_xor_b32 exec_lo, exec_lo, s19
	s_cbranch_execnz .LBB247_520
.LBB247_176:
	s_or_b32 exec_lo, exec_lo, s19
	s_and_saveexec_b32 s19, s18
	s_cbranch_execz .LBB247_178
.LBB247_177:
	v_and_b32_e32 v10, 0xffff, v10
	s_delay_alu instid0(VALU_DEP_1) | instskip(SKIP_1) | instid1(VALU_DEP_2)
	v_and_b32_e32 v11, 3, v10
	v_bfe_u32 v14, v10, 2, 5
	v_clz_i32_u32_e32 v12, v11
	s_delay_alu instid0(VALU_DEP_2) | instskip(NEXT) | instid1(VALU_DEP_2)
	v_cmp_eq_u32_e32 vcc_lo, 0, v14
	v_min_u32_e32 v12, 32, v12
	s_delay_alu instid0(VALU_DEP_1) | instskip(NEXT) | instid1(VALU_DEP_1)
	v_subrev_nc_u32_e32 v13, 29, v12
	v_dual_lshlrev_b32 v10, v13, v10 :: v_dual_sub_nc_u32 v12, 30, v12
	s_delay_alu instid0(VALU_DEP_1) | instskip(NEXT) | instid1(VALU_DEP_1)
	v_dual_lshlrev_b32 v13, 24, v9 :: v_dual_bitop2_b32 v10, 3, v10 bitop3:0x40
	v_dual_cndmask_b32 v12, v14, v12, vcc_lo :: v_dual_cndmask_b32 v10, v11, v10, vcc_lo
	s_delay_alu instid0(VALU_DEP_2) | instskip(NEXT) | instid1(VALU_DEP_2)
	v_and_b32_e32 v11, 0x80000000, v13
	v_lshl_add_u32 v12, v12, 23, 0x37800000
	s_delay_alu instid0(VALU_DEP_3) | instskip(NEXT) | instid1(VALU_DEP_1)
	v_lshlrev_b32_e32 v10, 21, v10
	v_or3_b32 v11, v11, v12, v10
.LBB247_178:
	s_or_b32 exec_lo, exec_lo, s19
	s_wait_loadcnt 0x3
	v_and_b32_e32 v10, 0xff, v8
	s_mov_b32 s18, 0
	s_mov_b32 s19, exec_lo
	s_delay_alu instid0(VALU_DEP_1)
	v_cmpx_lt_i16_e32 0x7f, v10
	s_xor_b32 s19, exec_lo, s19
	s_cbranch_execnz .LBB247_521
; %bb.179:
	s_or_saveexec_b32 s19, s19
	v_mov_b32_e32 v12, 0x7f800001
	s_xor_b32 exec_lo, exec_lo, s19
	s_cbranch_execnz .LBB247_524
.LBB247_180:
	s_or_b32 exec_lo, exec_lo, s19
	s_and_saveexec_b32 s19, s18
	s_cbranch_execz .LBB247_182
.LBB247_181:
	v_and_b32_e32 v10, 0xffff, v10
	s_delay_alu instid0(VALU_DEP_1) | instskip(SKIP_1) | instid1(VALU_DEP_2)
	v_and_b32_e32 v12, 3, v10
	v_bfe_u32 v15, v10, 2, 5
	v_clz_i32_u32_e32 v13, v12
	s_delay_alu instid0(VALU_DEP_2) | instskip(NEXT) | instid1(VALU_DEP_2)
	v_cmp_eq_u32_e32 vcc_lo, 0, v15
	v_min_u32_e32 v13, 32, v13
	s_delay_alu instid0(VALU_DEP_1) | instskip(NEXT) | instid1(VALU_DEP_1)
	v_subrev_nc_u32_e32 v14, 29, v13
	v_dual_lshlrev_b32 v10, v14, v10 :: v_dual_sub_nc_u32 v13, 30, v13
	s_delay_alu instid0(VALU_DEP_1) | instskip(NEXT) | instid1(VALU_DEP_1)
	v_dual_lshlrev_b32 v14, 24, v8 :: v_dual_bitop2_b32 v10, 3, v10 bitop3:0x40
	v_dual_cndmask_b32 v13, v15, v13 :: v_dual_cndmask_b32 v10, v12, v10
	s_delay_alu instid0(VALU_DEP_2) | instskip(NEXT) | instid1(VALU_DEP_2)
	v_and_b32_e32 v12, 0x80000000, v14
	v_lshl_add_u32 v13, v13, 23, 0x37800000
	s_delay_alu instid0(VALU_DEP_3) | instskip(NEXT) | instid1(VALU_DEP_1)
	v_lshlrev_b32_e32 v10, 21, v10
	v_or3_b32 v12, v12, v13, v10
.LBB247_182:
	s_or_b32 exec_lo, exec_lo, s19
	s_delay_alu instid0(VALU_DEP_1)
	v_cmp_eq_f32_e64 s18, v11, v12
.LBB247_183:
	v_cmp_ne_u32_e32 vcc_lo, 1, v3
	v_lshrrev_b16 v11, 8, v9
	s_wait_loadcnt 0x3
	v_lshrrev_b16 v10, 8, v8
	s_cbranch_vccnz .LBB247_203
; %bb.184:
	s_mov_b32 s19, 0
	s_mov_b32 s20, exec_lo
	v_cmpx_lt_i16_e32 0x7f, v11
	s_xor_b32 s20, exec_lo, s20
	s_cbranch_execnz .LBB247_397
; %bb.185:
	s_or_saveexec_b32 s20, s20
	v_mov_b32_e32 v12, 0x7f800001
	s_xor_b32 exec_lo, exec_lo, s20
	s_cbranch_execnz .LBB247_400
.LBB247_186:
	s_or_b32 exec_lo, exec_lo, s20
	s_and_saveexec_b32 s20, s19
	s_cbranch_execz .LBB247_188
.LBB247_187:
	v_and_b32_e32 v12, 0xffff, v11
	s_delay_alu instid0(VALU_DEP_1) | instskip(SKIP_1) | instid1(VALU_DEP_2)
	v_and_b32_e32 v13, 3, v12
	v_bfe_u32 v16, v12, 2, 5
	v_clz_i32_u32_e32 v14, v13
	s_delay_alu instid0(VALU_DEP_2) | instskip(NEXT) | instid1(VALU_DEP_2)
	v_cmp_eq_u32_e32 vcc_lo, 0, v16
	v_min_u32_e32 v14, 32, v14
	s_delay_alu instid0(VALU_DEP_1) | instskip(NEXT) | instid1(VALU_DEP_1)
	v_subrev_nc_u32_e32 v15, 29, v14
	v_dual_lshlrev_b32 v12, v15, v12 :: v_dual_sub_nc_u32 v14, 30, v14
	s_delay_alu instid0(VALU_DEP_1) | instskip(NEXT) | instid1(VALU_DEP_1)
	v_dual_lshlrev_b32 v15, 16, v9 :: v_dual_bitop2_b32 v12, 3, v12 bitop3:0x40
	v_dual_cndmask_b32 v14, v16, v14, vcc_lo :: v_dual_cndmask_b32 v12, v13, v12, vcc_lo
	s_delay_alu instid0(VALU_DEP_2) | instskip(NEXT) | instid1(VALU_DEP_2)
	v_and_b32_e32 v13, 0x80000000, v15
	v_lshl_add_u32 v14, v14, 23, 0x37800000
	s_delay_alu instid0(VALU_DEP_3) | instskip(NEXT) | instid1(VALU_DEP_1)
	v_lshlrev_b32_e32 v12, 21, v12
	v_or3_b32 v12, v13, v14, v12
.LBB247_188:
	s_or_b32 exec_lo, exec_lo, s20
	s_mov_b32 s19, 0
	s_mov_b32 s20, exec_lo
	v_cmpx_lt_i16_e32 0x7f, v10
	s_xor_b32 s20, exec_lo, s20
	s_cbranch_execnz .LBB247_401
; %bb.189:
	s_or_saveexec_b32 s20, s20
	v_mov_b32_e32 v13, 0x7f800001
	s_xor_b32 exec_lo, exec_lo, s20
	s_cbranch_execnz .LBB247_404
.LBB247_190:
	s_or_b32 exec_lo, exec_lo, s20
	s_and_saveexec_b32 s20, s19
	s_cbranch_execz .LBB247_192
.LBB247_191:
	v_and_b32_e32 v13, 0xffff, v10
	s_delay_alu instid0(VALU_DEP_1) | instskip(SKIP_1) | instid1(VALU_DEP_2)
	v_and_b32_e32 v14, 3, v13
	v_bfe_u32 v17, v13, 2, 5
	v_clz_i32_u32_e32 v15, v14
	s_delay_alu instid0(VALU_DEP_2) | instskip(NEXT) | instid1(VALU_DEP_2)
	v_cmp_eq_u32_e32 vcc_lo, 0, v17
	v_min_u32_e32 v15, 32, v15
	s_delay_alu instid0(VALU_DEP_1) | instskip(NEXT) | instid1(VALU_DEP_1)
	v_subrev_nc_u32_e32 v16, 29, v15
	v_dual_lshlrev_b32 v13, v16, v13 :: v_dual_sub_nc_u32 v15, 30, v15
	s_delay_alu instid0(VALU_DEP_1) | instskip(NEXT) | instid1(VALU_DEP_1)
	v_dual_lshlrev_b32 v16, 16, v8 :: v_dual_bitop2_b32 v13, 3, v13 bitop3:0x40
	v_dual_cndmask_b32 v15, v17, v15, vcc_lo :: v_dual_cndmask_b32 v13, v14, v13, vcc_lo
	s_delay_alu instid0(VALU_DEP_2) | instskip(NEXT) | instid1(VALU_DEP_2)
	v_and_b32_e32 v14, 0x80000000, v16
	v_lshl_add_u32 v15, v15, 23, 0x37800000
	s_delay_alu instid0(VALU_DEP_3) | instskip(NEXT) | instid1(VALU_DEP_1)
	v_lshlrev_b32_e32 v13, 21, v13
	v_or3_b32 v13, v14, v15, v13
.LBB247_192:
	s_or_b32 exec_lo, exec_lo, s20
	s_delay_alu instid0(VALU_DEP_1)
	v_cmp_neq_f32_e64 s19, v12, v13
.LBB247_193:
	v_cmp_ne_u32_e32 vcc_lo, 1, v3
	v_and_b32_e32 v8, 0xff, v7
	s_cbranch_vccnz .LBB247_213
.LBB247_194:
	s_mov_b32 s20, 0
	s_mov_b32 s21, exec_lo
	s_delay_alu instid0(VALU_DEP_1)
	v_cmpx_lt_i16_e32 0x7f, v8
	s_xor_b32 s21, exec_lo, s21
	s_cbranch_execnz .LBB247_405
; %bb.195:
	s_or_saveexec_b32 s21, s21
	v_mov_b32_e32 v9, 0x7f800001
	s_xor_b32 exec_lo, exec_lo, s21
	s_cbranch_execnz .LBB247_408
.LBB247_196:
	s_or_b32 exec_lo, exec_lo, s21
	s_and_saveexec_b32 s21, s20
	s_cbranch_execz .LBB247_198
.LBB247_197:
	v_and_b32_e32 v9, 0xffff, v8
	s_delay_alu instid0(VALU_DEP_1) | instskip(SKIP_1) | instid1(VALU_DEP_2)
	v_and_b32_e32 v10, 3, v9
	v_bfe_u32 v13, v9, 2, 5
	v_clz_i32_u32_e32 v11, v10
	s_delay_alu instid0(VALU_DEP_2) | instskip(NEXT) | instid1(VALU_DEP_2)
	v_cmp_eq_u32_e32 vcc_lo, 0, v13
	v_min_u32_e32 v11, 32, v11
	s_delay_alu instid0(VALU_DEP_1) | instskip(NEXT) | instid1(VALU_DEP_1)
	v_subrev_nc_u32_e32 v12, 29, v11
	v_dual_lshlrev_b32 v9, v12, v9 :: v_dual_sub_nc_u32 v11, 30, v11
	s_delay_alu instid0(VALU_DEP_1) | instskip(NEXT) | instid1(VALU_DEP_1)
	v_dual_lshlrev_b32 v12, 24, v7 :: v_dual_bitop2_b32 v9, 3, v9 bitop3:0x40
	v_dual_cndmask_b32 v9, v10, v9, vcc_lo :: v_dual_cndmask_b32 v11, v13, v11, vcc_lo
	s_delay_alu instid0(VALU_DEP_2) | instskip(NEXT) | instid1(VALU_DEP_2)
	v_and_b32_e32 v10, 0x80000000, v12
	v_lshlrev_b32_e32 v9, 21, v9
	s_delay_alu instid0(VALU_DEP_3) | instskip(NEXT) | instid1(VALU_DEP_1)
	v_lshl_add_u32 v11, v11, 23, 0x37800000
	v_or3_b32 v9, v10, v11, v9
.LBB247_198:
	s_or_b32 exec_lo, exec_lo, s21
	s_wait_loadcnt 0x2
	v_and_b32_e32 v10, 0xff, v6
	s_mov_b32 s20, 0
	s_mov_b32 s21, exec_lo
	s_delay_alu instid0(VALU_DEP_1)
	v_cmpx_lt_i16_e32 0x7f, v10
	s_xor_b32 s21, exec_lo, s21
	s_cbranch_execnz .LBB247_409
; %bb.199:
	s_or_saveexec_b32 s21, s21
	v_mov_b32_e32 v11, 0x7f800001
	s_xor_b32 exec_lo, exec_lo, s21
	s_cbranch_execnz .LBB247_412
.LBB247_200:
	s_or_b32 exec_lo, exec_lo, s21
	s_and_saveexec_b32 s21, s20
	s_cbranch_execz .LBB247_202
.LBB247_201:
	v_and_b32_e32 v10, 0xffff, v10
	s_delay_alu instid0(VALU_DEP_1) | instskip(SKIP_1) | instid1(VALU_DEP_2)
	v_and_b32_e32 v11, 3, v10
	v_bfe_u32 v14, v10, 2, 5
	v_clz_i32_u32_e32 v12, v11
	s_delay_alu instid0(VALU_DEP_2) | instskip(NEXT) | instid1(VALU_DEP_2)
	v_cmp_eq_u32_e32 vcc_lo, 0, v14
	v_min_u32_e32 v12, 32, v12
	s_delay_alu instid0(VALU_DEP_1) | instskip(NEXT) | instid1(VALU_DEP_1)
	v_subrev_nc_u32_e32 v13, 29, v12
	v_dual_lshlrev_b32 v10, v13, v10 :: v_dual_sub_nc_u32 v12, 30, v12
	s_delay_alu instid0(VALU_DEP_1) | instskip(NEXT) | instid1(VALU_DEP_2)
	v_and_b32_e32 v10, 3, v10
	v_dual_cndmask_b32 v12, v14, v12 :: v_dual_lshlrev_b32 v13, 24, v6
	s_delay_alu instid0(VALU_DEP_2) | instskip(NEXT) | instid1(VALU_DEP_2)
	v_cndmask_b32_e32 v10, v11, v10, vcc_lo
	v_and_b32_e32 v11, 0x80000000, v13
	s_delay_alu instid0(VALU_DEP_3) | instskip(NEXT) | instid1(VALU_DEP_3)
	v_lshl_add_u32 v12, v12, 23, 0x37800000
	v_lshlrev_b32_e32 v10, 21, v10
	s_delay_alu instid0(VALU_DEP_1)
	v_or3_b32 v11, v11, v12, v10
.LBB247_202:
	s_or_b32 exec_lo, exec_lo, s21
	s_delay_alu instid0(VALU_DEP_1)
	v_cmp_neq_f32_e64 s20, v9, v11
	s_branch .LBB247_223
.LBB247_203:
                                        ; implicit-def: $sgpr19
	s_cbranch_execz .LBB247_193
; %bb.204:
	s_mov_b32 s19, 0
	s_mov_b32 s20, exec_lo
	v_cmpx_lt_i16_e32 0x7f, v11
	s_xor_b32 s20, exec_lo, s20
	s_cbranch_execnz .LBB247_525
; %bb.205:
	s_or_saveexec_b32 s20, s20
	v_mov_b32_e32 v12, 0x7f800001
	s_xor_b32 exec_lo, exec_lo, s20
	s_cbranch_execnz .LBB247_528
.LBB247_206:
	s_or_b32 exec_lo, exec_lo, s20
	s_and_saveexec_b32 s20, s19
	s_cbranch_execz .LBB247_208
.LBB247_207:
	v_and_b32_e32 v11, 0xffff, v11
	s_delay_alu instid0(VALU_DEP_1) | instskip(SKIP_1) | instid1(VALU_DEP_2)
	v_and_b32_e32 v12, 3, v11
	v_bfe_u32 v15, v11, 2, 5
	v_clz_i32_u32_e32 v13, v12
	s_delay_alu instid0(VALU_DEP_2) | instskip(NEXT) | instid1(VALU_DEP_2)
	v_cmp_eq_u32_e32 vcc_lo, 0, v15
	v_min_u32_e32 v13, 32, v13
	s_delay_alu instid0(VALU_DEP_1) | instskip(NEXT) | instid1(VALU_DEP_1)
	v_subrev_nc_u32_e32 v14, 29, v13
	v_dual_lshlrev_b32 v11, v14, v11 :: v_dual_sub_nc_u32 v13, 30, v13
	s_delay_alu instid0(VALU_DEP_1) | instskip(NEXT) | instid1(VALU_DEP_1)
	v_dual_lshlrev_b32 v9, 16, v9 :: v_dual_bitop2_b32 v11, 3, v11 bitop3:0x40
	v_dual_cndmask_b32 v11, v12, v11, vcc_lo :: v_dual_cndmask_b32 v13, v15, v13, vcc_lo
	s_delay_alu instid0(VALU_DEP_2) | instskip(NEXT) | instid1(VALU_DEP_2)
	v_and_b32_e32 v9, 0x80000000, v9
	v_lshlrev_b32_e32 v11, 21, v11
	s_delay_alu instid0(VALU_DEP_3) | instskip(NEXT) | instid1(VALU_DEP_1)
	v_lshl_add_u32 v12, v13, 23, 0x37800000
	v_or3_b32 v12, v9, v12, v11
.LBB247_208:
	s_or_b32 exec_lo, exec_lo, s20
	s_mov_b32 s19, 0
	s_mov_b32 s20, exec_lo
	v_cmpx_lt_i16_e32 0x7f, v10
	s_xor_b32 s20, exec_lo, s20
	s_cbranch_execnz .LBB247_529
; %bb.209:
	s_or_saveexec_b32 s20, s20
	v_mov_b32_e32 v9, 0x7f800001
	s_xor_b32 exec_lo, exec_lo, s20
	s_cbranch_execnz .LBB247_532
.LBB247_210:
	s_or_b32 exec_lo, exec_lo, s20
	s_and_saveexec_b32 s20, s19
	s_cbranch_execz .LBB247_212
.LBB247_211:
	v_and_b32_e32 v9, 0xffff, v10
	s_delay_alu instid0(VALU_DEP_1) | instskip(SKIP_1) | instid1(VALU_DEP_2)
	v_and_b32_e32 v10, 3, v9
	v_bfe_u32 v14, v9, 2, 5
	v_clz_i32_u32_e32 v11, v10
	s_delay_alu instid0(VALU_DEP_2) | instskip(NEXT) | instid1(VALU_DEP_2)
	v_cmp_eq_u32_e32 vcc_lo, 0, v14
	v_min_u32_e32 v11, 32, v11
	s_delay_alu instid0(VALU_DEP_1) | instskip(NEXT) | instid1(VALU_DEP_1)
	v_subrev_nc_u32_e32 v13, 29, v11
	v_dual_lshlrev_b32 v9, v13, v9 :: v_dual_sub_nc_u32 v11, 30, v11
	s_delay_alu instid0(VALU_DEP_1) | instskip(NEXT) | instid1(VALU_DEP_2)
	v_dual_lshlrev_b32 v8, 16, v8 :: v_dual_bitop2_b32 v9, 3, v9 bitop3:0x40
	v_cndmask_b32_e32 v11, v14, v11, vcc_lo
	s_delay_alu instid0(VALU_DEP_2) | instskip(NEXT) | instid1(VALU_DEP_3)
	v_cndmask_b32_e32 v9, v10, v9, vcc_lo
	v_and_b32_e32 v8, 0x80000000, v8
	s_delay_alu instid0(VALU_DEP_3) | instskip(NEXT) | instid1(VALU_DEP_3)
	v_lshl_add_u32 v10, v11, 23, 0x37800000
	v_lshlrev_b32_e32 v9, 21, v9
	s_delay_alu instid0(VALU_DEP_1)
	v_or3_b32 v9, v8, v10, v9
.LBB247_212:
	s_or_b32 exec_lo, exec_lo, s20
	s_delay_alu instid0(VALU_DEP_1)
	v_cmp_eq_f32_e64 s19, v12, v9
	v_cmp_ne_u32_e32 vcc_lo, 1, v3
	v_and_b32_e32 v8, 0xff, v7
	s_cbranch_vccz .LBB247_194
.LBB247_213:
                                        ; implicit-def: $sgpr20
	s_cbranch_execz .LBB247_223
; %bb.214:
	s_mov_b32 s20, 0
	s_mov_b32 s21, exec_lo
	v_cmpx_lt_i16_e32 0x7f, v8
	s_xor_b32 s21, exec_lo, s21
	s_cbranch_execnz .LBB247_533
; %bb.215:
	s_or_saveexec_b32 s21, s21
	v_mov_b32_e32 v9, 0x7f800001
	s_xor_b32 exec_lo, exec_lo, s21
	s_cbranch_execnz .LBB247_536
.LBB247_216:
	s_or_b32 exec_lo, exec_lo, s21
	s_and_saveexec_b32 s21, s20
	s_cbranch_execz .LBB247_218
.LBB247_217:
	v_and_b32_e32 v8, 0xffff, v8
	s_delay_alu instid0(VALU_DEP_1) | instskip(SKIP_1) | instid1(VALU_DEP_2)
	v_and_b32_e32 v9, 3, v8
	v_bfe_u32 v12, v8, 2, 5
	v_clz_i32_u32_e32 v10, v9
	s_delay_alu instid0(VALU_DEP_2) | instskip(NEXT) | instid1(VALU_DEP_2)
	v_cmp_eq_u32_e32 vcc_lo, 0, v12
	v_min_u32_e32 v10, 32, v10
	s_delay_alu instid0(VALU_DEP_1) | instskip(NEXT) | instid1(VALU_DEP_1)
	v_subrev_nc_u32_e32 v11, 29, v10
	v_dual_lshlrev_b32 v8, v11, v8 :: v_dual_sub_nc_u32 v10, 30, v10
	s_delay_alu instid0(VALU_DEP_1) | instskip(NEXT) | instid1(VALU_DEP_1)
	v_dual_lshlrev_b32 v11, 24, v7 :: v_dual_bitop2_b32 v8, 3, v8 bitop3:0x40
	v_dual_cndmask_b32 v10, v12, v10, vcc_lo :: v_dual_cndmask_b32 v8, v9, v8, vcc_lo
	s_delay_alu instid0(VALU_DEP_2) | instskip(NEXT) | instid1(VALU_DEP_2)
	v_and_b32_e32 v9, 0x80000000, v11
	v_lshl_add_u32 v10, v10, 23, 0x37800000
	s_delay_alu instid0(VALU_DEP_3) | instskip(NEXT) | instid1(VALU_DEP_1)
	v_lshlrev_b32_e32 v8, 21, v8
	v_or3_b32 v9, v9, v10, v8
.LBB247_218:
	s_or_b32 exec_lo, exec_lo, s21
	s_wait_loadcnt 0x2
	v_and_b32_e32 v8, 0xff, v6
	s_mov_b32 s20, 0
	s_mov_b32 s21, exec_lo
	s_delay_alu instid0(VALU_DEP_1)
	v_cmpx_lt_i16_e32 0x7f, v8
	s_xor_b32 s21, exec_lo, s21
	s_cbranch_execnz .LBB247_537
; %bb.219:
	s_or_saveexec_b32 s21, s21
	v_mov_b32_e32 v10, 0x7f800001
	s_xor_b32 exec_lo, exec_lo, s21
	s_cbranch_execnz .LBB247_540
.LBB247_220:
	s_or_b32 exec_lo, exec_lo, s21
	s_and_saveexec_b32 s21, s20
	s_cbranch_execz .LBB247_222
.LBB247_221:
	v_and_b32_e32 v8, 0xffff, v8
	s_delay_alu instid0(VALU_DEP_1) | instskip(SKIP_1) | instid1(VALU_DEP_2)
	v_and_b32_e32 v10, 3, v8
	v_bfe_u32 v13, v8, 2, 5
	v_clz_i32_u32_e32 v11, v10
	s_delay_alu instid0(VALU_DEP_2) | instskip(NEXT) | instid1(VALU_DEP_2)
	v_cmp_eq_u32_e32 vcc_lo, 0, v13
	v_min_u32_e32 v11, 32, v11
	s_delay_alu instid0(VALU_DEP_1) | instskip(NEXT) | instid1(VALU_DEP_1)
	v_subrev_nc_u32_e32 v12, 29, v11
	v_dual_lshlrev_b32 v8, v12, v8 :: v_dual_sub_nc_u32 v11, 30, v11
	s_delay_alu instid0(VALU_DEP_1) | instskip(NEXT) | instid1(VALU_DEP_1)
	v_dual_lshlrev_b32 v12, 24, v6 :: v_dual_bitop2_b32 v8, 3, v8 bitop3:0x40
	v_dual_cndmask_b32 v11, v13, v11 :: v_dual_cndmask_b32 v8, v10, v8
	s_delay_alu instid0(VALU_DEP_2) | instskip(NEXT) | instid1(VALU_DEP_2)
	v_and_b32_e32 v10, 0x80000000, v12
	v_lshl_add_u32 v11, v11, 23, 0x37800000
	s_delay_alu instid0(VALU_DEP_3) | instskip(NEXT) | instid1(VALU_DEP_1)
	v_lshlrev_b32_e32 v8, 21, v8
	v_or3_b32 v10, v10, v11, v8
.LBB247_222:
	s_or_b32 exec_lo, exec_lo, s21
	s_delay_alu instid0(VALU_DEP_1)
	v_cmp_eq_f32_e64 s20, v9, v10
.LBB247_223:
	v_cmp_ne_u32_e32 vcc_lo, 1, v3
	v_lshrrev_b16 v9, 8, v7
	s_wait_loadcnt 0x2
	v_lshrrev_b16 v8, 8, v6
	s_cbranch_vccnz .LBB247_243
; %bb.224:
	s_mov_b32 s21, 0
	s_mov_b32 s22, exec_lo
	v_cmpx_lt_i16_e32 0x7f, v9
	s_xor_b32 s22, exec_lo, s22
	s_cbranch_execnz .LBB247_413
; %bb.225:
	s_or_saveexec_b32 s22, s22
	v_mov_b32_e32 v10, 0x7f800001
	s_xor_b32 exec_lo, exec_lo, s22
	s_cbranch_execnz .LBB247_416
.LBB247_226:
	s_or_b32 exec_lo, exec_lo, s22
	s_and_saveexec_b32 s22, s21
	s_cbranch_execz .LBB247_228
.LBB247_227:
	v_and_b32_e32 v10, 0xffff, v9
	s_delay_alu instid0(VALU_DEP_1) | instskip(SKIP_1) | instid1(VALU_DEP_2)
	v_and_b32_e32 v11, 3, v10
	v_bfe_u32 v14, v10, 2, 5
	v_clz_i32_u32_e32 v12, v11
	s_delay_alu instid0(VALU_DEP_2) | instskip(NEXT) | instid1(VALU_DEP_2)
	v_cmp_eq_u32_e32 vcc_lo, 0, v14
	v_min_u32_e32 v12, 32, v12
	s_delay_alu instid0(VALU_DEP_1) | instskip(NEXT) | instid1(VALU_DEP_1)
	v_subrev_nc_u32_e32 v13, 29, v12
	v_dual_lshlrev_b32 v10, v13, v10 :: v_dual_sub_nc_u32 v12, 30, v12
	s_delay_alu instid0(VALU_DEP_1) | instskip(NEXT) | instid1(VALU_DEP_1)
	v_dual_lshlrev_b32 v13, 16, v7 :: v_dual_bitop2_b32 v10, 3, v10 bitop3:0x40
	v_dual_cndmask_b32 v12, v14, v12, vcc_lo :: v_dual_cndmask_b32 v10, v11, v10, vcc_lo
	s_delay_alu instid0(VALU_DEP_2) | instskip(NEXT) | instid1(VALU_DEP_2)
	v_and_b32_e32 v11, 0x80000000, v13
	v_lshl_add_u32 v12, v12, 23, 0x37800000
	s_delay_alu instid0(VALU_DEP_3) | instskip(NEXT) | instid1(VALU_DEP_1)
	v_lshlrev_b32_e32 v10, 21, v10
	v_or3_b32 v10, v11, v12, v10
.LBB247_228:
	s_or_b32 exec_lo, exec_lo, s22
	s_mov_b32 s21, 0
	s_mov_b32 s22, exec_lo
	v_cmpx_lt_i16_e32 0x7f, v8
	s_xor_b32 s22, exec_lo, s22
	s_cbranch_execnz .LBB247_417
; %bb.229:
	s_or_saveexec_b32 s22, s22
	v_mov_b32_e32 v11, 0x7f800001
	s_xor_b32 exec_lo, exec_lo, s22
	s_cbranch_execnz .LBB247_420
.LBB247_230:
	s_or_b32 exec_lo, exec_lo, s22
	s_and_saveexec_b32 s22, s21
	s_cbranch_execz .LBB247_232
.LBB247_231:
	v_and_b32_e32 v11, 0xffff, v8
	s_delay_alu instid0(VALU_DEP_1) | instskip(SKIP_1) | instid1(VALU_DEP_2)
	v_and_b32_e32 v12, 3, v11
	v_bfe_u32 v15, v11, 2, 5
	v_clz_i32_u32_e32 v13, v12
	s_delay_alu instid0(VALU_DEP_2) | instskip(NEXT) | instid1(VALU_DEP_2)
	v_cmp_eq_u32_e32 vcc_lo, 0, v15
	v_min_u32_e32 v13, 32, v13
	s_delay_alu instid0(VALU_DEP_1) | instskip(NEXT) | instid1(VALU_DEP_1)
	v_subrev_nc_u32_e32 v14, 29, v13
	v_dual_lshlrev_b32 v11, v14, v11 :: v_dual_sub_nc_u32 v13, 30, v13
	s_delay_alu instid0(VALU_DEP_1) | instskip(NEXT) | instid1(VALU_DEP_1)
	v_dual_lshlrev_b32 v14, 16, v6 :: v_dual_bitop2_b32 v11, 3, v11 bitop3:0x40
	v_dual_cndmask_b32 v13, v15, v13, vcc_lo :: v_dual_cndmask_b32 v11, v12, v11, vcc_lo
	s_delay_alu instid0(VALU_DEP_2) | instskip(NEXT) | instid1(VALU_DEP_2)
	v_and_b32_e32 v12, 0x80000000, v14
	v_lshl_add_u32 v13, v13, 23, 0x37800000
	s_delay_alu instid0(VALU_DEP_3) | instskip(NEXT) | instid1(VALU_DEP_1)
	v_lshlrev_b32_e32 v11, 21, v11
	v_or3_b32 v11, v12, v13, v11
.LBB247_232:
	s_or_b32 exec_lo, exec_lo, s22
	s_delay_alu instid0(VALU_DEP_1)
	v_cmp_neq_f32_e64 s21, v10, v11
.LBB247_233:
	v_cmp_ne_u32_e32 vcc_lo, 1, v3
	v_and_b32_e32 v6, 0xff, v5
	s_cbranch_vccnz .LBB247_253
.LBB247_234:
	s_mov_b32 s22, 0
	s_mov_b32 s23, exec_lo
	s_delay_alu instid0(VALU_DEP_1)
	v_cmpx_lt_i16_e32 0x7f, v6
	s_xor_b32 s23, exec_lo, s23
	s_cbranch_execnz .LBB247_421
; %bb.235:
	s_or_saveexec_b32 s23, s23
	v_mov_b32_e32 v7, 0x7f800001
	s_xor_b32 exec_lo, exec_lo, s23
	s_cbranch_execnz .LBB247_424
.LBB247_236:
	s_or_b32 exec_lo, exec_lo, s23
	s_and_saveexec_b32 s23, s22
	s_cbranch_execz .LBB247_238
.LBB247_237:
	v_and_b32_e32 v7, 0xffff, v6
	s_delay_alu instid0(VALU_DEP_1) | instskip(SKIP_1) | instid1(VALU_DEP_2)
	v_and_b32_e32 v8, 3, v7
	v_bfe_u32 v11, v7, 2, 5
	v_clz_i32_u32_e32 v9, v8
	s_delay_alu instid0(VALU_DEP_2) | instskip(NEXT) | instid1(VALU_DEP_2)
	v_cmp_eq_u32_e32 vcc_lo, 0, v11
	v_min_u32_e32 v9, 32, v9
	s_delay_alu instid0(VALU_DEP_1) | instskip(NEXT) | instid1(VALU_DEP_1)
	v_subrev_nc_u32_e32 v10, 29, v9
	v_dual_lshlrev_b32 v7, v10, v7 :: v_dual_sub_nc_u32 v9, 30, v9
	s_delay_alu instid0(VALU_DEP_1) | instskip(NEXT) | instid1(VALU_DEP_1)
	v_dual_lshlrev_b32 v10, 24, v5 :: v_dual_bitop2_b32 v7, 3, v7 bitop3:0x40
	v_dual_cndmask_b32 v7, v8, v7, vcc_lo :: v_dual_cndmask_b32 v9, v11, v9, vcc_lo
	s_delay_alu instid0(VALU_DEP_2) | instskip(NEXT) | instid1(VALU_DEP_2)
	v_and_b32_e32 v8, 0x80000000, v10
	v_lshlrev_b32_e32 v7, 21, v7
	s_delay_alu instid0(VALU_DEP_3) | instskip(NEXT) | instid1(VALU_DEP_1)
	v_lshl_add_u32 v9, v9, 23, 0x37800000
	v_or3_b32 v7, v8, v9, v7
.LBB247_238:
	s_or_b32 exec_lo, exec_lo, s23
	s_wait_loadcnt 0x1
	v_and_b32_e32 v8, 0xff, v4
	s_mov_b32 s22, 0
	s_mov_b32 s23, exec_lo
	s_delay_alu instid0(VALU_DEP_1)
	v_cmpx_lt_i16_e32 0x7f, v8
	s_xor_b32 s23, exec_lo, s23
	s_cbranch_execnz .LBB247_425
; %bb.239:
	s_or_saveexec_b32 s23, s23
	v_mov_b32_e32 v9, 0x7f800001
	s_xor_b32 exec_lo, exec_lo, s23
	s_cbranch_execnz .LBB247_428
.LBB247_240:
	s_or_b32 exec_lo, exec_lo, s23
	s_and_saveexec_b32 s23, s22
	s_cbranch_execz .LBB247_242
.LBB247_241:
	v_and_b32_e32 v8, 0xffff, v8
	s_delay_alu instid0(VALU_DEP_1) | instskip(SKIP_1) | instid1(VALU_DEP_2)
	v_and_b32_e32 v9, 3, v8
	v_bfe_u32 v12, v8, 2, 5
	v_clz_i32_u32_e32 v10, v9
	s_delay_alu instid0(VALU_DEP_2) | instskip(NEXT) | instid1(VALU_DEP_2)
	v_cmp_eq_u32_e32 vcc_lo, 0, v12
	v_min_u32_e32 v10, 32, v10
	s_delay_alu instid0(VALU_DEP_1) | instskip(NEXT) | instid1(VALU_DEP_1)
	v_subrev_nc_u32_e32 v11, 29, v10
	v_dual_lshlrev_b32 v8, v11, v8 :: v_dual_sub_nc_u32 v10, 30, v10
	s_delay_alu instid0(VALU_DEP_1) | instskip(NEXT) | instid1(VALU_DEP_2)
	v_and_b32_e32 v8, 3, v8
	v_dual_cndmask_b32 v10, v12, v10 :: v_dual_lshlrev_b32 v11, 24, v4
	s_delay_alu instid0(VALU_DEP_2) | instskip(NEXT) | instid1(VALU_DEP_2)
	v_cndmask_b32_e32 v8, v9, v8, vcc_lo
	v_and_b32_e32 v9, 0x80000000, v11
	s_delay_alu instid0(VALU_DEP_3) | instskip(NEXT) | instid1(VALU_DEP_3)
	v_lshl_add_u32 v10, v10, 23, 0x37800000
	v_lshlrev_b32_e32 v8, 21, v8
	s_delay_alu instid0(VALU_DEP_1)
	v_or3_b32 v9, v9, v10, v8
.LBB247_242:
	s_or_b32 exec_lo, exec_lo, s23
	s_delay_alu instid0(VALU_DEP_1)
	v_cmp_neq_f32_e64 s22, v7, v9
	s_branch .LBB247_263
.LBB247_243:
                                        ; implicit-def: $sgpr21
	s_cbranch_execz .LBB247_233
; %bb.244:
	s_mov_b32 s21, 0
	s_mov_b32 s22, exec_lo
	v_cmpx_lt_i16_e32 0x7f, v9
	s_xor_b32 s22, exec_lo, s22
	s_cbranch_execnz .LBB247_541
; %bb.245:
	s_or_saveexec_b32 s22, s22
	v_mov_b32_e32 v10, 0x7f800001
	s_xor_b32 exec_lo, exec_lo, s22
	s_cbranch_execnz .LBB247_544
.LBB247_246:
	s_or_b32 exec_lo, exec_lo, s22
	s_and_saveexec_b32 s22, s21
	s_cbranch_execz .LBB247_248
.LBB247_247:
	v_and_b32_e32 v9, 0xffff, v9
	s_delay_alu instid0(VALU_DEP_1) | instskip(SKIP_1) | instid1(VALU_DEP_2)
	v_and_b32_e32 v10, 3, v9
	v_bfe_u32 v13, v9, 2, 5
	v_clz_i32_u32_e32 v11, v10
	s_delay_alu instid0(VALU_DEP_2) | instskip(NEXT) | instid1(VALU_DEP_2)
	v_cmp_eq_u32_e32 vcc_lo, 0, v13
	v_min_u32_e32 v11, 32, v11
	s_delay_alu instid0(VALU_DEP_1) | instskip(NEXT) | instid1(VALU_DEP_1)
	v_subrev_nc_u32_e32 v12, 29, v11
	v_dual_lshlrev_b32 v9, v12, v9 :: v_dual_sub_nc_u32 v11, 30, v11
	s_delay_alu instid0(VALU_DEP_1) | instskip(NEXT) | instid1(VALU_DEP_1)
	v_dual_lshlrev_b32 v7, 16, v7 :: v_dual_bitop2_b32 v9, 3, v9 bitop3:0x40
	v_dual_cndmask_b32 v9, v10, v9, vcc_lo :: v_dual_cndmask_b32 v11, v13, v11, vcc_lo
	s_delay_alu instid0(VALU_DEP_2) | instskip(NEXT) | instid1(VALU_DEP_2)
	v_and_b32_e32 v7, 0x80000000, v7
	v_lshlrev_b32_e32 v9, 21, v9
	s_delay_alu instid0(VALU_DEP_3) | instskip(NEXT) | instid1(VALU_DEP_1)
	v_lshl_add_u32 v10, v11, 23, 0x37800000
	v_or3_b32 v10, v7, v10, v9
.LBB247_248:
	s_or_b32 exec_lo, exec_lo, s22
	s_mov_b32 s21, 0
	s_mov_b32 s22, exec_lo
	v_cmpx_lt_i16_e32 0x7f, v8
	s_xor_b32 s22, exec_lo, s22
	s_cbranch_execnz .LBB247_545
; %bb.249:
	s_or_saveexec_b32 s22, s22
	v_mov_b32_e32 v7, 0x7f800001
	s_xor_b32 exec_lo, exec_lo, s22
	s_cbranch_execnz .LBB247_548
.LBB247_250:
	s_or_b32 exec_lo, exec_lo, s22
	s_and_saveexec_b32 s22, s21
	s_cbranch_execz .LBB247_252
.LBB247_251:
	v_and_b32_e32 v7, 0xffff, v8
	s_delay_alu instid0(VALU_DEP_1) | instskip(SKIP_1) | instid1(VALU_DEP_2)
	v_and_b32_e32 v8, 3, v7
	v_bfe_u32 v12, v7, 2, 5
	v_clz_i32_u32_e32 v9, v8
	s_delay_alu instid0(VALU_DEP_2) | instskip(NEXT) | instid1(VALU_DEP_2)
	v_cmp_eq_u32_e32 vcc_lo, 0, v12
	v_min_u32_e32 v9, 32, v9
	s_delay_alu instid0(VALU_DEP_1) | instskip(NEXT) | instid1(VALU_DEP_1)
	v_subrev_nc_u32_e32 v11, 29, v9
	v_dual_lshlrev_b32 v7, v11, v7 :: v_dual_sub_nc_u32 v9, 30, v9
	s_delay_alu instid0(VALU_DEP_1) | instskip(NEXT) | instid1(VALU_DEP_2)
	v_dual_lshlrev_b32 v6, 16, v6 :: v_dual_bitop2_b32 v7, 3, v7 bitop3:0x40
	v_cndmask_b32_e32 v9, v12, v9, vcc_lo
	s_delay_alu instid0(VALU_DEP_2) | instskip(NEXT) | instid1(VALU_DEP_3)
	v_cndmask_b32_e32 v7, v8, v7, vcc_lo
	v_and_b32_e32 v6, 0x80000000, v6
	s_delay_alu instid0(VALU_DEP_3) | instskip(NEXT) | instid1(VALU_DEP_3)
	v_lshl_add_u32 v8, v9, 23, 0x37800000
	v_lshlrev_b32_e32 v7, 21, v7
	s_delay_alu instid0(VALU_DEP_1)
	v_or3_b32 v7, v6, v8, v7
.LBB247_252:
	s_or_b32 exec_lo, exec_lo, s22
	s_delay_alu instid0(VALU_DEP_1)
	v_cmp_eq_f32_e64 s21, v10, v7
	v_cmp_ne_u32_e32 vcc_lo, 1, v3
	v_and_b32_e32 v6, 0xff, v5
	s_cbranch_vccz .LBB247_234
.LBB247_253:
                                        ; implicit-def: $sgpr22
	s_cbranch_execz .LBB247_263
; %bb.254:
	s_mov_b32 s22, 0
	s_mov_b32 s23, exec_lo
	v_cmpx_lt_i16_e32 0x7f, v6
	s_xor_b32 s23, exec_lo, s23
	s_cbranch_execnz .LBB247_549
; %bb.255:
	s_or_saveexec_b32 s23, s23
	v_mov_b32_e32 v7, 0x7f800001
	s_xor_b32 exec_lo, exec_lo, s23
	s_cbranch_execnz .LBB247_552
.LBB247_256:
	s_or_b32 exec_lo, exec_lo, s23
	s_and_saveexec_b32 s23, s22
	s_cbranch_execz .LBB247_258
.LBB247_257:
	v_and_b32_e32 v6, 0xffff, v6
	s_delay_alu instid0(VALU_DEP_1) | instskip(SKIP_1) | instid1(VALU_DEP_2)
	v_and_b32_e32 v7, 3, v6
	v_bfe_u32 v10, v6, 2, 5
	v_clz_i32_u32_e32 v8, v7
	s_delay_alu instid0(VALU_DEP_2) | instskip(NEXT) | instid1(VALU_DEP_2)
	v_cmp_eq_u32_e32 vcc_lo, 0, v10
	v_min_u32_e32 v8, 32, v8
	s_delay_alu instid0(VALU_DEP_1) | instskip(NEXT) | instid1(VALU_DEP_1)
	v_subrev_nc_u32_e32 v9, 29, v8
	v_dual_lshlrev_b32 v6, v9, v6 :: v_dual_sub_nc_u32 v8, 30, v8
	s_delay_alu instid0(VALU_DEP_1) | instskip(NEXT) | instid1(VALU_DEP_1)
	v_dual_lshlrev_b32 v9, 24, v5 :: v_dual_bitop2_b32 v6, 3, v6 bitop3:0x40
	v_dual_cndmask_b32 v8, v10, v8, vcc_lo :: v_dual_cndmask_b32 v6, v7, v6, vcc_lo
	s_delay_alu instid0(VALU_DEP_2) | instskip(NEXT) | instid1(VALU_DEP_2)
	v_and_b32_e32 v7, 0x80000000, v9
	v_lshl_add_u32 v8, v8, 23, 0x37800000
	s_delay_alu instid0(VALU_DEP_3) | instskip(NEXT) | instid1(VALU_DEP_1)
	v_lshlrev_b32_e32 v6, 21, v6
	v_or3_b32 v7, v7, v8, v6
.LBB247_258:
	s_or_b32 exec_lo, exec_lo, s23
	s_wait_loadcnt 0x1
	v_and_b32_e32 v6, 0xff, v4
	s_mov_b32 s22, 0
	s_mov_b32 s23, exec_lo
	s_delay_alu instid0(VALU_DEP_1)
	v_cmpx_lt_i16_e32 0x7f, v6
	s_xor_b32 s23, exec_lo, s23
	s_cbranch_execnz .LBB247_553
; %bb.259:
	s_or_saveexec_b32 s23, s23
	v_mov_b32_e32 v8, 0x7f800001
	s_xor_b32 exec_lo, exec_lo, s23
	s_cbranch_execnz .LBB247_556
.LBB247_260:
	s_or_b32 exec_lo, exec_lo, s23
	s_and_saveexec_b32 s23, s22
	s_cbranch_execz .LBB247_262
.LBB247_261:
	v_and_b32_e32 v6, 0xffff, v6
	s_delay_alu instid0(VALU_DEP_1) | instskip(SKIP_1) | instid1(VALU_DEP_2)
	v_and_b32_e32 v8, 3, v6
	v_bfe_u32 v11, v6, 2, 5
	v_clz_i32_u32_e32 v9, v8
	s_delay_alu instid0(VALU_DEP_2) | instskip(NEXT) | instid1(VALU_DEP_2)
	v_cmp_eq_u32_e32 vcc_lo, 0, v11
	v_min_u32_e32 v9, 32, v9
	s_delay_alu instid0(VALU_DEP_1) | instskip(NEXT) | instid1(VALU_DEP_1)
	v_subrev_nc_u32_e32 v10, 29, v9
	v_dual_lshlrev_b32 v6, v10, v6 :: v_dual_sub_nc_u32 v9, 30, v9
	s_delay_alu instid0(VALU_DEP_1) | instskip(NEXT) | instid1(VALU_DEP_1)
	v_dual_lshlrev_b32 v10, 24, v4 :: v_dual_bitop2_b32 v6, 3, v6 bitop3:0x40
	v_dual_cndmask_b32 v9, v11, v9 :: v_dual_cndmask_b32 v6, v8, v6
	s_delay_alu instid0(VALU_DEP_2) | instskip(NEXT) | instid1(VALU_DEP_2)
	v_and_b32_e32 v8, 0x80000000, v10
	v_lshl_add_u32 v9, v9, 23, 0x37800000
	s_delay_alu instid0(VALU_DEP_3) | instskip(NEXT) | instid1(VALU_DEP_1)
	v_lshlrev_b32_e32 v6, 21, v6
	v_or3_b32 v8, v8, v9, v6
.LBB247_262:
	s_or_b32 exec_lo, exec_lo, s23
	s_delay_alu instid0(VALU_DEP_1)
	v_cmp_eq_f32_e64 s22, v7, v8
.LBB247_263:
	v_cmp_ne_u32_e32 vcc_lo, 1, v3
	v_lshrrev_b16 v7, 8, v5
	s_wait_loadcnt 0x1
	v_lshrrev_b16 v6, 8, v4
	s_cbranch_vccnz .LBB247_283
; %bb.264:
	s_mov_b32 s23, 0
	s_mov_b32 s24, exec_lo
	v_cmpx_lt_i16_e32 0x7f, v7
	s_xor_b32 s24, exec_lo, s24
	s_cbranch_execnz .LBB247_429
; %bb.265:
	s_or_saveexec_b32 s24, s24
	v_mov_b32_e32 v8, 0x7f800001
	s_xor_b32 exec_lo, exec_lo, s24
	s_cbranch_execnz .LBB247_432
.LBB247_266:
	s_or_b32 exec_lo, exec_lo, s24
	s_and_saveexec_b32 s24, s23
	s_cbranch_execz .LBB247_268
.LBB247_267:
	v_and_b32_e32 v8, 0xffff, v7
	s_delay_alu instid0(VALU_DEP_1) | instskip(SKIP_1) | instid1(VALU_DEP_2)
	v_and_b32_e32 v9, 3, v8
	v_bfe_u32 v12, v8, 2, 5
	v_clz_i32_u32_e32 v10, v9
	s_delay_alu instid0(VALU_DEP_2) | instskip(NEXT) | instid1(VALU_DEP_2)
	v_cmp_eq_u32_e32 vcc_lo, 0, v12
	v_min_u32_e32 v10, 32, v10
	s_delay_alu instid0(VALU_DEP_1) | instskip(NEXT) | instid1(VALU_DEP_1)
	v_subrev_nc_u32_e32 v11, 29, v10
	v_dual_lshlrev_b32 v8, v11, v8 :: v_dual_sub_nc_u32 v10, 30, v10
	s_delay_alu instid0(VALU_DEP_1) | instskip(NEXT) | instid1(VALU_DEP_1)
	v_dual_lshlrev_b32 v11, 16, v5 :: v_dual_bitop2_b32 v8, 3, v8 bitop3:0x40
	v_dual_cndmask_b32 v10, v12, v10, vcc_lo :: v_dual_cndmask_b32 v8, v9, v8, vcc_lo
	s_delay_alu instid0(VALU_DEP_2) | instskip(NEXT) | instid1(VALU_DEP_2)
	v_and_b32_e32 v9, 0x80000000, v11
	v_lshl_add_u32 v10, v10, 23, 0x37800000
	s_delay_alu instid0(VALU_DEP_3) | instskip(NEXT) | instid1(VALU_DEP_1)
	v_lshlrev_b32_e32 v8, 21, v8
	v_or3_b32 v8, v9, v10, v8
.LBB247_268:
	s_or_b32 exec_lo, exec_lo, s24
	s_mov_b32 s23, 0
	s_mov_b32 s24, exec_lo
	v_cmpx_lt_i16_e32 0x7f, v6
	s_xor_b32 s24, exec_lo, s24
	s_cbranch_execnz .LBB247_433
; %bb.269:
	s_or_saveexec_b32 s24, s24
	v_mov_b32_e32 v9, 0x7f800001
	s_xor_b32 exec_lo, exec_lo, s24
	s_cbranch_execnz .LBB247_436
.LBB247_270:
	s_or_b32 exec_lo, exec_lo, s24
	s_and_saveexec_b32 s24, s23
	s_cbranch_execz .LBB247_272
.LBB247_271:
	v_and_b32_e32 v9, 0xffff, v6
	s_delay_alu instid0(VALU_DEP_1) | instskip(SKIP_1) | instid1(VALU_DEP_2)
	v_and_b32_e32 v10, 3, v9
	v_bfe_u32 v13, v9, 2, 5
	v_clz_i32_u32_e32 v11, v10
	s_delay_alu instid0(VALU_DEP_2) | instskip(NEXT) | instid1(VALU_DEP_2)
	v_cmp_eq_u32_e32 vcc_lo, 0, v13
	v_min_u32_e32 v11, 32, v11
	s_delay_alu instid0(VALU_DEP_1) | instskip(NEXT) | instid1(VALU_DEP_1)
	v_subrev_nc_u32_e32 v12, 29, v11
	v_dual_lshlrev_b32 v9, v12, v9 :: v_dual_sub_nc_u32 v11, 30, v11
	s_delay_alu instid0(VALU_DEP_1) | instskip(NEXT) | instid1(VALU_DEP_1)
	v_dual_lshlrev_b32 v12, 16, v4 :: v_dual_bitop2_b32 v9, 3, v9 bitop3:0x40
	v_dual_cndmask_b32 v11, v13, v11, vcc_lo :: v_dual_cndmask_b32 v9, v10, v9, vcc_lo
	s_delay_alu instid0(VALU_DEP_2) | instskip(NEXT) | instid1(VALU_DEP_2)
	v_and_b32_e32 v10, 0x80000000, v12
	v_lshl_add_u32 v11, v11, 23, 0x37800000
	s_delay_alu instid0(VALU_DEP_3) | instskip(NEXT) | instid1(VALU_DEP_1)
	v_lshlrev_b32_e32 v9, 21, v9
	v_or3_b32 v9, v10, v11, v9
.LBB247_272:
	s_or_b32 exec_lo, exec_lo, s24
	s_delay_alu instid0(VALU_DEP_1)
	v_cmp_neq_f32_e64 s23, v8, v9
.LBB247_273:
	v_cmp_ne_u32_e32 vcc_lo, 1, v3
	v_and_b32_e32 v4, 0xff, v2
	s_cbranch_vccnz .LBB247_293
.LBB247_274:
	s_mov_b32 s24, 0
	s_mov_b32 s25, exec_lo
	s_delay_alu instid0(VALU_DEP_1)
	v_cmpx_lt_i16_e32 0x7f, v4
	s_xor_b32 s25, exec_lo, s25
	s_cbranch_execnz .LBB247_437
; %bb.275:
	s_or_saveexec_b32 s25, s25
	v_mov_b32_e32 v5, 0x7f800001
	s_xor_b32 exec_lo, exec_lo, s25
	s_cbranch_execnz .LBB247_440
.LBB247_276:
	s_or_b32 exec_lo, exec_lo, s25
	s_and_saveexec_b32 s25, s24
	s_cbranch_execz .LBB247_278
.LBB247_277:
	v_and_b32_e32 v5, 0xffff, v4
	s_delay_alu instid0(VALU_DEP_1) | instskip(SKIP_1) | instid1(VALU_DEP_2)
	v_and_b32_e32 v6, 3, v5
	v_bfe_u32 v9, v5, 2, 5
	v_clz_i32_u32_e32 v7, v6
	s_delay_alu instid0(VALU_DEP_2) | instskip(NEXT) | instid1(VALU_DEP_2)
	v_cmp_eq_u32_e32 vcc_lo, 0, v9
	v_min_u32_e32 v7, 32, v7
	s_delay_alu instid0(VALU_DEP_1) | instskip(NEXT) | instid1(VALU_DEP_1)
	v_subrev_nc_u32_e32 v8, 29, v7
	v_dual_lshlrev_b32 v5, v8, v5 :: v_dual_sub_nc_u32 v7, 30, v7
	s_delay_alu instid0(VALU_DEP_1) | instskip(NEXT) | instid1(VALU_DEP_1)
	v_dual_lshlrev_b32 v8, 24, v2 :: v_dual_bitop2_b32 v5, 3, v5 bitop3:0x40
	v_dual_cndmask_b32 v7, v9, v7, vcc_lo :: v_dual_cndmask_b32 v5, v6, v5, vcc_lo
	s_delay_alu instid0(VALU_DEP_2) | instskip(NEXT) | instid1(VALU_DEP_2)
	v_and_b32_e32 v6, 0x80000000, v8
	v_lshl_add_u32 v7, v7, 23, 0x37800000
	s_delay_alu instid0(VALU_DEP_3) | instskip(NEXT) | instid1(VALU_DEP_1)
	v_lshlrev_b32_e32 v5, 21, v5
	v_or3_b32 v5, v6, v7, v5
.LBB247_278:
	s_or_b32 exec_lo, exec_lo, s25
	s_wait_loadcnt 0x0
	v_and_b32_e32 v6, 0xff, v1
	s_mov_b32 s24, 0
	s_mov_b32 s25, exec_lo
	s_delay_alu instid0(VALU_DEP_1)
	v_cmpx_lt_i16_e32 0x7f, v6
	s_xor_b32 s25, exec_lo, s25
	s_cbranch_execnz .LBB247_441
; %bb.279:
	s_or_saveexec_b32 s25, s25
	v_mov_b32_e32 v7, 0x7f800001
	s_xor_b32 exec_lo, exec_lo, s25
	s_cbranch_execnz .LBB247_444
.LBB247_280:
	s_or_b32 exec_lo, exec_lo, s25
	s_and_saveexec_b32 s25, s24
	s_cbranch_execz .LBB247_282
.LBB247_281:
	v_and_b32_e32 v6, 0xffff, v6
	s_delay_alu instid0(VALU_DEP_1) | instskip(SKIP_1) | instid1(VALU_DEP_2)
	v_and_b32_e32 v7, 3, v6
	v_bfe_u32 v10, v6, 2, 5
	v_clz_i32_u32_e32 v8, v7
	s_delay_alu instid0(VALU_DEP_2) | instskip(NEXT) | instid1(VALU_DEP_2)
	v_cmp_eq_u32_e32 vcc_lo, 0, v10
	v_min_u32_e32 v8, 32, v8
	s_delay_alu instid0(VALU_DEP_1) | instskip(NEXT) | instid1(VALU_DEP_1)
	v_subrev_nc_u32_e32 v9, 29, v8
	v_dual_lshlrev_b32 v6, v9, v6 :: v_dual_sub_nc_u32 v8, 30, v8
	s_delay_alu instid0(VALU_DEP_1) | instskip(NEXT) | instid1(VALU_DEP_1)
	v_dual_lshlrev_b32 v9, 24, v1 :: v_dual_bitop2_b32 v6, 3, v6 bitop3:0x40
	v_dual_cndmask_b32 v8, v10, v8, vcc_lo :: v_dual_cndmask_b32 v6, v7, v6, vcc_lo
	s_delay_alu instid0(VALU_DEP_2) | instskip(NEXT) | instid1(VALU_DEP_2)
	v_and_b32_e32 v7, 0x80000000, v9
	v_lshl_add_u32 v8, v8, 23, 0x37800000
	s_delay_alu instid0(VALU_DEP_3) | instskip(NEXT) | instid1(VALU_DEP_1)
	v_lshlrev_b32_e32 v6, 21, v6
	v_or3_b32 v7, v7, v8, v6
.LBB247_282:
	s_or_b32 exec_lo, exec_lo, s25
	s_delay_alu instid0(VALU_DEP_1)
	v_cmp_neq_f32_e64 s24, v5, v7
	s_branch .LBB247_303
.LBB247_283:
                                        ; implicit-def: $sgpr23
	s_cbranch_execz .LBB247_273
; %bb.284:
	s_mov_b32 s23, 0
	s_mov_b32 s24, exec_lo
	v_cmpx_lt_i16_e32 0x7f, v7
	s_xor_b32 s24, exec_lo, s24
	s_cbranch_execnz .LBB247_557
; %bb.285:
	s_or_saveexec_b32 s24, s24
	v_mov_b32_e32 v8, 0x7f800001
	s_xor_b32 exec_lo, exec_lo, s24
	s_cbranch_execnz .LBB247_560
.LBB247_286:
	s_or_b32 exec_lo, exec_lo, s24
	s_and_saveexec_b32 s24, s23
	s_cbranch_execz .LBB247_288
.LBB247_287:
	v_and_b32_e32 v7, 0xffff, v7
	s_delay_alu instid0(VALU_DEP_1) | instskip(SKIP_1) | instid1(VALU_DEP_2)
	v_and_b32_e32 v8, 3, v7
	v_bfe_u32 v11, v7, 2, 5
	v_clz_i32_u32_e32 v9, v8
	s_delay_alu instid0(VALU_DEP_2) | instskip(NEXT) | instid1(VALU_DEP_2)
	v_cmp_eq_u32_e32 vcc_lo, 0, v11
	v_min_u32_e32 v9, 32, v9
	s_delay_alu instid0(VALU_DEP_1) | instskip(NEXT) | instid1(VALU_DEP_1)
	v_subrev_nc_u32_e32 v10, 29, v9
	v_dual_lshlrev_b32 v7, v10, v7 :: v_dual_sub_nc_u32 v9, 30, v9
	s_delay_alu instid0(VALU_DEP_1) | instskip(NEXT) | instid1(VALU_DEP_1)
	v_dual_lshlrev_b32 v5, 16, v5 :: v_dual_bitop2_b32 v7, 3, v7 bitop3:0x40
	v_dual_cndmask_b32 v7, v8, v7, vcc_lo :: v_dual_cndmask_b32 v9, v11, v9, vcc_lo
	s_delay_alu instid0(VALU_DEP_2) | instskip(NEXT) | instid1(VALU_DEP_2)
	v_and_b32_e32 v5, 0x80000000, v5
	v_lshlrev_b32_e32 v7, 21, v7
	s_delay_alu instid0(VALU_DEP_3) | instskip(NEXT) | instid1(VALU_DEP_1)
	v_lshl_add_u32 v8, v9, 23, 0x37800000
	v_or3_b32 v8, v5, v8, v7
.LBB247_288:
	s_or_b32 exec_lo, exec_lo, s24
	s_mov_b32 s23, 0
	s_mov_b32 s24, exec_lo
	v_cmpx_lt_i16_e32 0x7f, v6
	s_xor_b32 s24, exec_lo, s24
	s_cbranch_execnz .LBB247_561
; %bb.289:
	s_or_saveexec_b32 s24, s24
	v_mov_b32_e32 v5, 0x7f800001
	s_xor_b32 exec_lo, exec_lo, s24
	s_cbranch_execnz .LBB247_564
.LBB247_290:
	s_or_b32 exec_lo, exec_lo, s24
	s_and_saveexec_b32 s24, s23
	s_cbranch_execz .LBB247_292
.LBB247_291:
	v_and_b32_e32 v5, 0xffff, v6
	s_delay_alu instid0(VALU_DEP_1) | instskip(SKIP_1) | instid1(VALU_DEP_2)
	v_and_b32_e32 v6, 3, v5
	v_bfe_u32 v10, v5, 2, 5
	v_clz_i32_u32_e32 v7, v6
	s_delay_alu instid0(VALU_DEP_2) | instskip(NEXT) | instid1(VALU_DEP_2)
	v_cmp_eq_u32_e32 vcc_lo, 0, v10
	v_min_u32_e32 v7, 32, v7
	s_delay_alu instid0(VALU_DEP_1) | instskip(NEXT) | instid1(VALU_DEP_1)
	v_subrev_nc_u32_e32 v9, 29, v7
	v_dual_lshlrev_b32 v5, v9, v5 :: v_dual_sub_nc_u32 v7, 30, v7
	s_delay_alu instid0(VALU_DEP_1) | instskip(NEXT) | instid1(VALU_DEP_2)
	v_dual_lshlrev_b32 v4, 16, v4 :: v_dual_bitop2_b32 v5, 3, v5 bitop3:0x40
	v_cndmask_b32_e32 v7, v10, v7, vcc_lo
	s_delay_alu instid0(VALU_DEP_2) | instskip(NEXT) | instid1(VALU_DEP_3)
	v_cndmask_b32_e32 v5, v6, v5, vcc_lo
	v_and_b32_e32 v4, 0x80000000, v4
	s_delay_alu instid0(VALU_DEP_3) | instskip(NEXT) | instid1(VALU_DEP_3)
	v_lshl_add_u32 v6, v7, 23, 0x37800000
	v_lshlrev_b32_e32 v5, 21, v5
	s_delay_alu instid0(VALU_DEP_1)
	v_or3_b32 v5, v4, v6, v5
.LBB247_292:
	s_or_b32 exec_lo, exec_lo, s24
	s_delay_alu instid0(VALU_DEP_1)
	v_cmp_eq_f32_e64 s23, v8, v5
	v_cmp_ne_u32_e32 vcc_lo, 1, v3
	v_and_b32_e32 v4, 0xff, v2
	s_cbranch_vccz .LBB247_274
.LBB247_293:
                                        ; implicit-def: $sgpr24
	s_cbranch_execz .LBB247_303
; %bb.294:
	s_mov_b32 s24, 0
	s_mov_b32 s25, exec_lo
	v_cmpx_lt_i16_e32 0x7f, v4
	s_xor_b32 s25, exec_lo, s25
	s_cbranch_execnz .LBB247_565
; %bb.295:
	s_or_saveexec_b32 s25, s25
	v_mov_b32_e32 v5, 0x7f800001
	s_xor_b32 exec_lo, exec_lo, s25
	s_cbranch_execnz .LBB247_568
.LBB247_296:
	s_or_b32 exec_lo, exec_lo, s25
	s_and_saveexec_b32 s25, s24
	s_cbranch_execz .LBB247_298
.LBB247_297:
	v_and_b32_e32 v4, 0xffff, v4
	s_delay_alu instid0(VALU_DEP_1) | instskip(SKIP_1) | instid1(VALU_DEP_2)
	v_and_b32_e32 v5, 3, v4
	v_bfe_u32 v8, v4, 2, 5
	v_clz_i32_u32_e32 v6, v5
	s_delay_alu instid0(VALU_DEP_2) | instskip(NEXT) | instid1(VALU_DEP_2)
	v_cmp_eq_u32_e32 vcc_lo, 0, v8
	v_min_u32_e32 v6, 32, v6
	s_delay_alu instid0(VALU_DEP_1) | instskip(NEXT) | instid1(VALU_DEP_1)
	v_subrev_nc_u32_e32 v7, 29, v6
	v_dual_lshlrev_b32 v4, v7, v4 :: v_dual_sub_nc_u32 v6, 30, v6
	s_delay_alu instid0(VALU_DEP_1) | instskip(NEXT) | instid1(VALU_DEP_1)
	v_dual_lshlrev_b32 v7, 24, v2 :: v_dual_bitop2_b32 v4, 3, v4 bitop3:0x40
	v_dual_cndmask_b32 v4, v5, v4, vcc_lo :: v_dual_cndmask_b32 v6, v8, v6, vcc_lo
	s_delay_alu instid0(VALU_DEP_2) | instskip(NEXT) | instid1(VALU_DEP_2)
	v_and_b32_e32 v5, 0x80000000, v7
	v_lshlrev_b32_e32 v4, 21, v4
	s_delay_alu instid0(VALU_DEP_3) | instskip(NEXT) | instid1(VALU_DEP_1)
	v_lshl_add_u32 v6, v6, 23, 0x37800000
	v_or3_b32 v5, v5, v6, v4
.LBB247_298:
	s_or_b32 exec_lo, exec_lo, s25
	s_wait_loadcnt 0x0
	v_and_b32_e32 v4, 0xff, v1
	s_mov_b32 s24, 0
	s_mov_b32 s25, exec_lo
	s_delay_alu instid0(VALU_DEP_1)
	v_cmpx_lt_i16_e32 0x7f, v4
	s_xor_b32 s25, exec_lo, s25
	s_cbranch_execnz .LBB247_569
; %bb.299:
	s_or_saveexec_b32 s25, s25
	v_mov_b32_e32 v6, 0x7f800001
	s_xor_b32 exec_lo, exec_lo, s25
	s_cbranch_execnz .LBB247_572
.LBB247_300:
	s_or_b32 exec_lo, exec_lo, s25
	s_and_saveexec_b32 s25, s24
	s_cbranch_execz .LBB247_302
.LBB247_301:
	v_and_b32_e32 v4, 0xffff, v4
	s_delay_alu instid0(VALU_DEP_1) | instskip(SKIP_1) | instid1(VALU_DEP_2)
	v_and_b32_e32 v6, 3, v4
	v_bfe_u32 v9, v4, 2, 5
	v_clz_i32_u32_e32 v7, v6
	s_delay_alu instid0(VALU_DEP_2) | instskip(NEXT) | instid1(VALU_DEP_2)
	v_cmp_eq_u32_e32 vcc_lo, 0, v9
	v_min_u32_e32 v7, 32, v7
	s_delay_alu instid0(VALU_DEP_1) | instskip(NEXT) | instid1(VALU_DEP_1)
	v_subrev_nc_u32_e32 v8, 29, v7
	v_dual_lshlrev_b32 v4, v8, v4 :: v_dual_sub_nc_u32 v7, 30, v7
	s_delay_alu instid0(VALU_DEP_1) | instskip(NEXT) | instid1(VALU_DEP_1)
	v_dual_lshlrev_b32 v8, 24, v1 :: v_dual_bitop2_b32 v4, 3, v4 bitop3:0x40
	v_dual_cndmask_b32 v7, v9, v7 :: v_dual_cndmask_b32 v4, v6, v4
	s_delay_alu instid0(VALU_DEP_2) | instskip(NEXT) | instid1(VALU_DEP_2)
	v_and_b32_e32 v6, 0x80000000, v8
	v_lshl_add_u32 v7, v7, 23, 0x37800000
	s_delay_alu instid0(VALU_DEP_3) | instskip(NEXT) | instid1(VALU_DEP_1)
	v_lshlrev_b32_e32 v4, 21, v4
	v_or3_b32 v6, v6, v7, v4
.LBB247_302:
	s_or_b32 exec_lo, exec_lo, s25
	s_delay_alu instid0(VALU_DEP_1)
	v_cmp_eq_f32_e64 s24, v5, v6
.LBB247_303:
	v_cmp_ne_u32_e32 vcc_lo, 1, v3
	v_lshrrev_b16 v4, 8, v2
	s_wait_loadcnt 0x0
	v_lshrrev_b16 v3, 8, v1
	s_cbranch_vccnz .LBB247_313
; %bb.304:
	s_mov_b32 s25, 0
	s_mov_b32 s26, exec_lo
	v_cmpx_lt_i16_e32 0x7f, v4
	s_xor_b32 s26, exec_lo, s26
	s_cbranch_execnz .LBB247_445
; %bb.305:
	s_or_saveexec_b32 s26, s26
	v_mov_b32_e32 v5, 0x7f800001
	s_xor_b32 exec_lo, exec_lo, s26
	s_cbranch_execnz .LBB247_448
.LBB247_306:
	s_or_b32 exec_lo, exec_lo, s26
	s_and_saveexec_b32 s26, s25
	s_cbranch_execz .LBB247_308
.LBB247_307:
	v_and_b32_e32 v5, 0xffff, v4
	s_delay_alu instid0(VALU_DEP_1) | instskip(SKIP_1) | instid1(VALU_DEP_2)
	v_and_b32_e32 v6, 3, v5
	v_bfe_u32 v9, v5, 2, 5
	v_clz_i32_u32_e32 v7, v6
	s_delay_alu instid0(VALU_DEP_2) | instskip(NEXT) | instid1(VALU_DEP_2)
	v_cmp_eq_u32_e32 vcc_lo, 0, v9
	v_min_u32_e32 v7, 32, v7
	s_delay_alu instid0(VALU_DEP_1) | instskip(NEXT) | instid1(VALU_DEP_1)
	v_subrev_nc_u32_e32 v8, 29, v7
	v_dual_lshlrev_b32 v5, v8, v5 :: v_dual_sub_nc_u32 v7, 30, v7
	s_delay_alu instid0(VALU_DEP_1) | instskip(NEXT) | instid1(VALU_DEP_1)
	v_dual_lshlrev_b32 v8, 16, v2 :: v_dual_bitop2_b32 v5, 3, v5 bitop3:0x40
	v_dual_cndmask_b32 v7, v9, v7, vcc_lo :: v_dual_cndmask_b32 v5, v6, v5, vcc_lo
	s_delay_alu instid0(VALU_DEP_2) | instskip(NEXT) | instid1(VALU_DEP_2)
	v_and_b32_e32 v6, 0x80000000, v8
	v_lshl_add_u32 v7, v7, 23, 0x37800000
	s_delay_alu instid0(VALU_DEP_3) | instskip(NEXT) | instid1(VALU_DEP_1)
	v_lshlrev_b32_e32 v5, 21, v5
	v_or3_b32 v5, v6, v7, v5
.LBB247_308:
	s_or_b32 exec_lo, exec_lo, s26
	s_mov_b32 s25, 0
	s_mov_b32 s26, exec_lo
	v_cmpx_lt_i16_e32 0x7f, v3
	s_xor_b32 s26, exec_lo, s26
	s_cbranch_execnz .LBB247_449
; %bb.309:
	s_or_saveexec_b32 s26, s26
	v_mov_b32_e32 v6, 0x7f800001
	s_xor_b32 exec_lo, exec_lo, s26
	s_cbranch_execnz .LBB247_452
.LBB247_310:
	s_or_b32 exec_lo, exec_lo, s26
	s_and_saveexec_b32 s26, s25
	s_cbranch_execz .LBB247_312
.LBB247_311:
	v_and_b32_e32 v6, 0xffff, v3
	s_delay_alu instid0(VALU_DEP_1) | instskip(SKIP_1) | instid1(VALU_DEP_2)
	v_and_b32_e32 v7, 3, v6
	v_bfe_u32 v10, v6, 2, 5
	v_clz_i32_u32_e32 v8, v7
	s_delay_alu instid0(VALU_DEP_2) | instskip(NEXT) | instid1(VALU_DEP_2)
	v_cmp_eq_u32_e32 vcc_lo, 0, v10
	v_min_u32_e32 v8, 32, v8
	s_delay_alu instid0(VALU_DEP_1) | instskip(NEXT) | instid1(VALU_DEP_1)
	v_subrev_nc_u32_e32 v9, 29, v8
	v_dual_lshlrev_b32 v6, v9, v6 :: v_dual_sub_nc_u32 v8, 30, v8
	s_delay_alu instid0(VALU_DEP_1) | instskip(NEXT) | instid1(VALU_DEP_1)
	v_dual_lshlrev_b32 v9, 16, v1 :: v_dual_bitop2_b32 v6, 3, v6 bitop3:0x40
	v_dual_cndmask_b32 v8, v10, v8, vcc_lo :: v_dual_cndmask_b32 v6, v7, v6, vcc_lo
	s_delay_alu instid0(VALU_DEP_2) | instskip(NEXT) | instid1(VALU_DEP_2)
	v_and_b32_e32 v7, 0x80000000, v9
	v_lshl_add_u32 v8, v8, 23, 0x37800000
	s_delay_alu instid0(VALU_DEP_3) | instskip(NEXT) | instid1(VALU_DEP_1)
	v_lshlrev_b32_e32 v6, 21, v6
	v_or3_b32 v6, v7, v8, v6
.LBB247_312:
	s_or_b32 exec_lo, exec_lo, s26
	s_delay_alu instid0(VALU_DEP_1)
	v_cmp_neq_f32_e64 s25, v5, v6
	s_branch .LBB247_323
.LBB247_313:
                                        ; implicit-def: $sgpr25
	s_cbranch_execz .LBB247_323
; %bb.314:
	s_mov_b32 s25, 0
	s_mov_b32 s26, exec_lo
	v_cmpx_lt_i16_e32 0x7f, v4
	s_xor_b32 s26, exec_lo, s26
	s_cbranch_execnz .LBB247_573
; %bb.315:
	s_or_saveexec_b32 s26, s26
	v_mov_b32_e32 v5, 0x7f800001
	s_xor_b32 exec_lo, exec_lo, s26
	s_cbranch_execnz .LBB247_576
.LBB247_316:
	s_or_b32 exec_lo, exec_lo, s26
	s_and_saveexec_b32 s26, s25
	s_cbranch_execz .LBB247_318
.LBB247_317:
	v_and_b32_e32 v4, 0xffff, v4
	s_delay_alu instid0(VALU_DEP_1) | instskip(SKIP_1) | instid1(VALU_DEP_2)
	v_and_b32_e32 v5, 3, v4
	v_bfe_u32 v8, v4, 2, 5
	v_clz_i32_u32_e32 v6, v5
	s_delay_alu instid0(VALU_DEP_2) | instskip(NEXT) | instid1(VALU_DEP_2)
	v_cmp_eq_u32_e32 vcc_lo, 0, v8
	v_min_u32_e32 v6, 32, v6
	s_delay_alu instid0(VALU_DEP_1) | instskip(NEXT) | instid1(VALU_DEP_1)
	v_subrev_nc_u32_e32 v7, 29, v6
	v_dual_lshlrev_b32 v4, v7, v4 :: v_dual_sub_nc_u32 v6, 30, v6
	s_delay_alu instid0(VALU_DEP_1) | instskip(NEXT) | instid1(VALU_DEP_1)
	v_dual_lshlrev_b32 v2, 16, v2 :: v_dual_bitop2_b32 v4, 3, v4 bitop3:0x40
	v_dual_cndmask_b32 v4, v5, v4, vcc_lo :: v_dual_cndmask_b32 v6, v8, v6, vcc_lo
	s_delay_alu instid0(VALU_DEP_2) | instskip(NEXT) | instid1(VALU_DEP_2)
	v_and_b32_e32 v2, 0x80000000, v2
	v_lshlrev_b32_e32 v4, 21, v4
	s_delay_alu instid0(VALU_DEP_3) | instskip(NEXT) | instid1(VALU_DEP_1)
	v_lshl_add_u32 v5, v6, 23, 0x37800000
	v_or3_b32 v5, v2, v5, v4
.LBB247_318:
	s_or_b32 exec_lo, exec_lo, s26
	s_mov_b32 s25, 0
	s_mov_b32 s26, exec_lo
	v_cmpx_lt_i16_e32 0x7f, v3
	s_xor_b32 s26, exec_lo, s26
	s_cbranch_execnz .LBB247_577
; %bb.319:
	s_or_saveexec_b32 s26, s26
	v_mov_b32_e32 v2, 0x7f800001
	s_xor_b32 exec_lo, exec_lo, s26
	s_cbranch_execnz .LBB247_580
.LBB247_320:
	s_or_b32 exec_lo, exec_lo, s26
	s_and_saveexec_b32 s26, s25
	s_cbranch_execz .LBB247_322
.LBB247_321:
	v_and_b32_e32 v2, 0xffff, v3
	s_delay_alu instid0(VALU_DEP_1) | instskip(SKIP_1) | instid1(VALU_DEP_2)
	v_and_b32_e32 v3, 3, v2
	v_bfe_u32 v7, v2, 2, 5
	v_clz_i32_u32_e32 v4, v3
	s_delay_alu instid0(VALU_DEP_2) | instskip(NEXT) | instid1(VALU_DEP_2)
	v_cmp_eq_u32_e32 vcc_lo, 0, v7
	v_min_u32_e32 v4, 32, v4
	s_delay_alu instid0(VALU_DEP_1) | instskip(NEXT) | instid1(VALU_DEP_1)
	v_subrev_nc_u32_e32 v6, 29, v4
	v_dual_lshlrev_b32 v2, v6, v2 :: v_dual_sub_nc_u32 v4, 30, v4
	s_delay_alu instid0(VALU_DEP_1) | instskip(NEXT) | instid1(VALU_DEP_2)
	v_dual_lshlrev_b32 v1, 16, v1 :: v_dual_bitop2_b32 v2, 3, v2 bitop3:0x40
	v_cndmask_b32_e32 v4, v7, v4, vcc_lo
	s_delay_alu instid0(VALU_DEP_2) | instskip(NEXT) | instid1(VALU_DEP_3)
	v_cndmask_b32_e32 v2, v3, v2, vcc_lo
	v_and_b32_e32 v1, 0x80000000, v1
	s_delay_alu instid0(VALU_DEP_3) | instskip(NEXT) | instid1(VALU_DEP_3)
	v_lshl_add_u32 v3, v4, 23, 0x37800000
	v_lshlrev_b32_e32 v2, 21, v2
	s_delay_alu instid0(VALU_DEP_1)
	v_or3_b32 v2, v1, v3, v2
.LBB247_322:
	s_or_b32 exec_lo, exec_lo, s26
	s_delay_alu instid0(VALU_DEP_1)
	v_cmp_eq_f32_e64 s25, v5, v2
.LBB247_323:
	v_cndmask_b32_e64 v2, 0, 1, s11
	v_cndmask_b32_e64 v1, 0, 1, s13
	;; [unrolled: 1-line block ×5, first 2 shown]
	v_lshlrev_b16 v2, 8, v2
	v_cndmask_b32_e64 v3, 0, 1, s12
	v_lshlrev_b16 v1, 8, v1
	v_cndmask_b32_e64 v6, 0, 1, s16
	v_lshlrev_b16 v4, 8, v4
	v_or_b32_e32 v2, v5, v2
	v_lshlrev_b16 v5, 8, v7
	v_cndmask_b32_e64 v7, 0, 1, s19
	v_or_b32_e32 v1, v3, v1
	v_cndmask_b32_e64 v3, 0, 1, s21
	v_cndmask_b32_e64 v8, 0, 1, s25
	;; [unrolled: 1-line block ×3, first 2 shown]
	v_or_b32_e32 v4, v6, v4
	v_cndmask_b32_e64 v6, 0, 1, s14
	v_lshlrev_b16 v7, 8, v7
	v_cndmask_b32_e64 v11, 0, 1, s18
	v_lshlrev_b16 v3, 8, v3
	;; [unrolled: 2-line block ×4, first 2 shown]
	v_cndmask_b32_e64 v13, 0, 1, s22
	v_or_b32_e32 v5, v6, v5
	s_add_nc_u64 s[10:11], s[4:5], s[0:1]
	v_or_b32_e32 v6, v11, v7
	v_or_b32_e32 v3, v9, v3
	;; [unrolled: 1-line block ×4, first 2 shown]
	s_clause 0x7
	global_store_b16 v0, v2, s[10:11] scale_offset
	global_store_b16 v0, v1, s[10:11] offset:512 scale_offset
	global_store_b16 v0, v5, s[10:11] offset:1024 scale_offset
	;; [unrolled: 1-line block ×7, first 2 shown]
	s_branch .LBB247_2
.LBB247_324:
	s_wait_xcnt 0x0
	v_dual_mov_b32 v31, v0 :: v_dual_mov_b32 v0, s9
	v_dual_mov_b32 v1, s4 :: v_dual_mov_b32 v2, s5
	;; [unrolled: 1-line block ×4, first 2 shown]
	v_mov_b32_e32 v7, s8
	s_get_pc_i64 s[0:1]
	s_add_nc_u64 s[0:1], s[0:1], _ZN2at6native25elementwise_kernel_helperILb0ENS0_13BinaryFunctorIN3c1015Float8_e5m2fnuzES4_bNS0_12_GLOBAL__N_116CompareEqFunctorIS4_EEEENS0_6memory8policies11unroll_baseILi256ESt5arrayIPcLm3EE23TrivialOffsetCalculatorILi2EjESF_ILi1EjENS9_15LoadWithoutCastENS9_16StoreWithoutCastELi16ELi1EEEEEvT0_T1_@rel64+4
	s_delay_alu instid0(SALU_CYCLE_1)
	s_swap_pc_i64 s[30:31], s[0:1]
	s_endpgm
.LBB247_325:
	s_mov_b32 s10, -1
	s_mov_b32 s13, exec_lo
	v_cmpx_eq_u16_e32 0x80, v3
; %bb.326:
	s_xor_b32 s10, exec_lo, -1
; %bb.327:
	s_or_b32 exec_lo, exec_lo, s13
	s_delay_alu instid0(SALU_CYCLE_1)
	s_and_b32 s10, s10, exec_lo
	s_or_saveexec_b32 s12, s12
	v_mov_b32_e32 v18, 0x7f800001
	s_xor_b32 exec_lo, exec_lo, s12
	s_cbranch_execz .LBB247_6
.LBB247_328:
	v_cmp_ne_u16_e32 vcc_lo, 0, v3
	v_mov_b32_e32 v18, 0
	s_and_not1_b32 s10, s10, exec_lo
	s_and_b32 s13, vcc_lo, exec_lo
	s_delay_alu instid0(SALU_CYCLE_1)
	s_or_b32 s10, s10, s13
	s_or_b32 exec_lo, exec_lo, s12
	s_and_saveexec_b32 s12, s10
	s_cbranch_execnz .LBB247_7
	s_branch .LBB247_8
.LBB247_329:
	s_mov_b32 s10, -1
	s_mov_b32 s13, exec_lo
	v_cmpx_eq_u16_e32 0x80, v19
; %bb.330:
	s_xor_b32 s10, exec_lo, -1
; %bb.331:
	s_or_b32 exec_lo, exec_lo, s13
	s_delay_alu instid0(SALU_CYCLE_1)
	s_and_b32 s10, s10, exec_lo
	s_or_saveexec_b32 s12, s12
	v_mov_b32_e32 v20, 0x7f800001
	s_xor_b32 exec_lo, exec_lo, s12
	s_cbranch_execz .LBB247_10
.LBB247_332:
	v_cmp_ne_u16_e32 vcc_lo, 0, v19
	v_mov_b32_e32 v20, 0
	s_and_not1_b32 s10, s10, exec_lo
	s_and_b32 s13, vcc_lo, exec_lo
	s_delay_alu instid0(SALU_CYCLE_1)
	s_or_b32 s10, s10, s13
	s_or_b32 exec_lo, exec_lo, s12
	s_and_saveexec_b32 s12, s10
	s_cbranch_execnz .LBB247_11
	s_branch .LBB247_12
.LBB247_333:
	s_mov_b32 s11, -1
	s_mov_b32 s13, exec_lo
	v_cmpx_eq_u16_e32 0x80, v19
; %bb.334:
	s_xor_b32 s11, exec_lo, -1
; %bb.335:
	s_or_b32 exec_lo, exec_lo, s13
	s_delay_alu instid0(SALU_CYCLE_1)
	s_and_b32 s11, s11, exec_lo
	s_or_saveexec_b32 s12, s12
	v_mov_b32_e32 v20, 0x7f800001
	s_xor_b32 exec_lo, exec_lo, s12
	s_cbranch_execz .LBB247_26
.LBB247_336:
	v_cmp_ne_u16_e32 vcc_lo, 0, v19
	v_mov_b32_e32 v20, 0
	s_and_not1_b32 s11, s11, exec_lo
	s_and_b32 s13, vcc_lo, exec_lo
	s_delay_alu instid0(SALU_CYCLE_1)
	s_or_b32 s11, s11, s13
	s_or_b32 exec_lo, exec_lo, s12
	s_and_saveexec_b32 s12, s11
	s_cbranch_execnz .LBB247_27
	s_branch .LBB247_28
.LBB247_337:
	s_mov_b32 s11, -1
	s_mov_b32 s13, exec_lo
	v_cmpx_eq_u16_e32 0x80, v18
; %bb.338:
	s_xor_b32 s11, exec_lo, -1
; %bb.339:
	s_or_b32 exec_lo, exec_lo, s13
	s_delay_alu instid0(SALU_CYCLE_1)
	s_and_b32 s11, s11, exec_lo
	s_or_saveexec_b32 s12, s12
	v_mov_b32_e32 v21, 0x7f800001
	s_xor_b32 exec_lo, exec_lo, s12
	s_cbranch_execz .LBB247_30
.LBB247_340:
	v_cmp_ne_u16_e32 vcc_lo, 0, v18
	v_mov_b32_e32 v21, 0
	s_and_not1_b32 s11, s11, exec_lo
	s_and_b32 s13, vcc_lo, exec_lo
	s_delay_alu instid0(SALU_CYCLE_1)
	s_or_b32 s11, s11, s13
	s_or_b32 exec_lo, exec_lo, s12
	s_and_saveexec_b32 s12, s11
	s_cbranch_execnz .LBB247_31
	s_branch .LBB247_32
.LBB247_341:
	s_mov_b32 s12, -1
	s_mov_b32 s14, exec_lo
	v_cmpx_eq_u16_e32 0x80, v16
; %bb.342:
	s_xor_b32 s12, exec_lo, -1
; %bb.343:
	s_or_b32 exec_lo, exec_lo, s14
	s_delay_alu instid0(SALU_CYCLE_1)
	s_and_b32 s12, s12, exec_lo
	s_or_saveexec_b32 s13, s13
	v_mov_b32_e32 v17, 0x7f800001
	s_xor_b32 exec_lo, exec_lo, s13
	s_cbranch_execz .LBB247_36
.LBB247_344:
	v_cmp_ne_u16_e32 vcc_lo, 0, v16
	v_mov_b32_e32 v17, 0
	s_and_not1_b32 s12, s12, exec_lo
	s_and_b32 s14, vcc_lo, exec_lo
	s_delay_alu instid0(SALU_CYCLE_1)
	s_or_b32 s12, s12, s14
	s_or_b32 exec_lo, exec_lo, s13
	s_and_saveexec_b32 s13, s12
	s_cbranch_execnz .LBB247_37
	s_branch .LBB247_38
.LBB247_345:
	s_mov_b32 s12, -1
	s_mov_b32 s14, exec_lo
	v_cmpx_eq_u16_e32 0x80, v18
; %bb.346:
	s_xor_b32 s12, exec_lo, -1
; %bb.347:
	s_or_b32 exec_lo, exec_lo, s14
	s_delay_alu instid0(SALU_CYCLE_1)
	s_and_b32 s12, s12, exec_lo
	s_or_saveexec_b32 s13, s13
	v_mov_b32_e32 v19, 0x7f800001
	s_xor_b32 exec_lo, exec_lo, s13
	s_cbranch_execz .LBB247_40
.LBB247_348:
	v_cmp_ne_u16_e32 vcc_lo, 0, v18
	v_mov_b32_e32 v19, 0
	s_and_not1_b32 s12, s12, exec_lo
	s_and_b32 s14, vcc_lo, exec_lo
	s_delay_alu instid0(SALU_CYCLE_1)
	s_or_b32 s12, s12, s14
	s_or_b32 exec_lo, exec_lo, s13
	s_and_saveexec_b32 s13, s12
	s_cbranch_execnz .LBB247_41
	s_branch .LBB247_42
.LBB247_349:
	s_mov_b32 s13, -1
	s_mov_b32 s15, exec_lo
	v_cmpx_eq_u16_e32 0x80, v17
; %bb.350:
	s_xor_b32 s13, exec_lo, -1
; %bb.351:
	s_or_b32 exec_lo, exec_lo, s15
	s_delay_alu instid0(SALU_CYCLE_1)
	s_and_b32 s13, s13, exec_lo
	s_or_saveexec_b32 s14, s14
	v_mov_b32_e32 v18, 0x7f800001
	s_xor_b32 exec_lo, exec_lo, s14
	s_cbranch_execz .LBB247_66
.LBB247_352:
	v_cmp_ne_u16_e32 vcc_lo, 0, v17
	v_mov_b32_e32 v18, 0
	s_and_not1_b32 s13, s13, exec_lo
	s_and_b32 s15, vcc_lo, exec_lo
	s_delay_alu instid0(SALU_CYCLE_1)
	s_or_b32 s13, s13, s15
	s_or_b32 exec_lo, exec_lo, s14
	s_and_saveexec_b32 s14, s13
	s_cbranch_execnz .LBB247_67
	s_branch .LBB247_68
.LBB247_353:
	s_mov_b32 s13, -1
	s_mov_b32 s15, exec_lo
	v_cmpx_eq_u16_e32 0x80, v16
; %bb.354:
	s_xor_b32 s13, exec_lo, -1
; %bb.355:
	s_or_b32 exec_lo, exec_lo, s15
	s_delay_alu instid0(SALU_CYCLE_1)
	s_and_b32 s13, s13, exec_lo
	s_or_saveexec_b32 s14, s14
	v_mov_b32_e32 v19, 0x7f800001
	s_xor_b32 exec_lo, exec_lo, s14
	s_cbranch_execz .LBB247_70
.LBB247_356:
	v_cmp_ne_u16_e32 vcc_lo, 0, v16
	v_mov_b32_e32 v19, 0
	s_and_not1_b32 s13, s13, exec_lo
	s_and_b32 s15, vcc_lo, exec_lo
	s_delay_alu instid0(SALU_CYCLE_1)
	s_or_b32 s13, s13, s15
	s_or_b32 exec_lo, exec_lo, s14
	s_and_saveexec_b32 s14, s13
	s_cbranch_execnz .LBB247_71
	s_branch .LBB247_72
.LBB247_357:
	s_mov_b32 s14, -1
	s_mov_b32 s16, exec_lo
	v_cmpx_eq_u16_e32 0x80, v14
; %bb.358:
	s_xor_b32 s14, exec_lo, -1
; %bb.359:
	s_or_b32 exec_lo, exec_lo, s16
	s_delay_alu instid0(SALU_CYCLE_1)
	s_and_b32 s14, s14, exec_lo
	s_or_saveexec_b32 s15, s15
	v_mov_b32_e32 v15, 0x7f800001
	s_xor_b32 exec_lo, exec_lo, s15
	s_cbranch_execz .LBB247_76
.LBB247_360:
	v_cmp_ne_u16_e32 vcc_lo, 0, v14
	v_mov_b32_e32 v15, 0
	s_and_not1_b32 s14, s14, exec_lo
	s_and_b32 s16, vcc_lo, exec_lo
	s_delay_alu instid0(SALU_CYCLE_1)
	s_or_b32 s14, s14, s16
	s_or_b32 exec_lo, exec_lo, s15
	s_and_saveexec_b32 s15, s14
	s_cbranch_execnz .LBB247_77
	s_branch .LBB247_78
.LBB247_361:
	s_mov_b32 s14, -1
	s_mov_b32 s16, exec_lo
	v_cmpx_eq_u16_e32 0x80, v16
; %bb.362:
	s_xor_b32 s14, exec_lo, -1
; %bb.363:
	s_or_b32 exec_lo, exec_lo, s16
	s_delay_alu instid0(SALU_CYCLE_1)
	s_and_b32 s14, s14, exec_lo
	s_or_saveexec_b32 s15, s15
	v_mov_b32_e32 v17, 0x7f800001
	s_xor_b32 exec_lo, exec_lo, s15
	s_cbranch_execz .LBB247_80
.LBB247_364:
	v_cmp_ne_u16_e32 vcc_lo, 0, v16
	v_mov_b32_e32 v17, 0
	s_and_not1_b32 s14, s14, exec_lo
	s_and_b32 s16, vcc_lo, exec_lo
	s_delay_alu instid0(SALU_CYCLE_1)
	s_or_b32 s14, s14, s16
	s_or_b32 exec_lo, exec_lo, s15
	s_and_saveexec_b32 s15, s14
	s_cbranch_execnz .LBB247_81
	s_branch .LBB247_82
.LBB247_365:
	s_mov_b32 s15, -1
	s_mov_b32 s17, exec_lo
	v_cmpx_eq_u16_e32 0x80, v15
; %bb.366:
	s_xor_b32 s15, exec_lo, -1
; %bb.367:
	s_or_b32 exec_lo, exec_lo, s17
	s_delay_alu instid0(SALU_CYCLE_1)
	s_and_b32 s15, s15, exec_lo
	s_or_saveexec_b32 s16, s16
	v_mov_b32_e32 v16, 0x7f800001
	s_xor_b32 exec_lo, exec_lo, s16
	s_cbranch_execz .LBB247_106
.LBB247_368:
	v_cmp_ne_u16_e32 vcc_lo, 0, v15
	v_mov_b32_e32 v16, 0
	s_and_not1_b32 s15, s15, exec_lo
	s_and_b32 s17, vcc_lo, exec_lo
	s_delay_alu instid0(SALU_CYCLE_1)
	s_or_b32 s15, s15, s17
	s_or_b32 exec_lo, exec_lo, s16
	s_and_saveexec_b32 s16, s15
	s_cbranch_execnz .LBB247_107
	s_branch .LBB247_108
.LBB247_369:
	s_mov_b32 s15, -1
	s_mov_b32 s17, exec_lo
	v_cmpx_eq_u16_e32 0x80, v14
; %bb.370:
	s_xor_b32 s15, exec_lo, -1
; %bb.371:
	s_or_b32 exec_lo, exec_lo, s17
	s_delay_alu instid0(SALU_CYCLE_1)
	s_and_b32 s15, s15, exec_lo
	s_or_saveexec_b32 s16, s16
	v_mov_b32_e32 v17, 0x7f800001
	s_xor_b32 exec_lo, exec_lo, s16
	s_cbranch_execz .LBB247_110
.LBB247_372:
	v_cmp_ne_u16_e32 vcc_lo, 0, v14
	v_mov_b32_e32 v17, 0
	s_and_not1_b32 s15, s15, exec_lo
	s_and_b32 s17, vcc_lo, exec_lo
	s_delay_alu instid0(SALU_CYCLE_1)
	s_or_b32 s15, s15, s17
	s_or_b32 exec_lo, exec_lo, s16
	s_and_saveexec_b32 s16, s15
	s_cbranch_execnz .LBB247_111
	s_branch .LBB247_112
.LBB247_373:
	s_mov_b32 s16, -1
	s_mov_b32 s18, exec_lo
	v_cmpx_eq_u16_e32 0x80, v12
; %bb.374:
	s_xor_b32 s16, exec_lo, -1
; %bb.375:
	s_or_b32 exec_lo, exec_lo, s18
	s_delay_alu instid0(SALU_CYCLE_1)
	s_and_b32 s16, s16, exec_lo
	s_or_saveexec_b32 s17, s17
	v_mov_b32_e32 v13, 0x7f800001
	s_xor_b32 exec_lo, exec_lo, s17
	s_cbranch_execz .LBB247_116
.LBB247_376:
	v_cmp_ne_u16_e32 vcc_lo, 0, v12
	v_mov_b32_e32 v13, 0
	s_and_not1_b32 s16, s16, exec_lo
	s_and_b32 s18, vcc_lo, exec_lo
	s_delay_alu instid0(SALU_CYCLE_1)
	s_or_b32 s16, s16, s18
	s_or_b32 exec_lo, exec_lo, s17
	s_and_saveexec_b32 s17, s16
	s_cbranch_execnz .LBB247_117
	s_branch .LBB247_118
.LBB247_377:
	s_mov_b32 s16, -1
	s_mov_b32 s18, exec_lo
	v_cmpx_eq_u16_e32 0x80, v14
; %bb.378:
	s_xor_b32 s16, exec_lo, -1
; %bb.379:
	s_or_b32 exec_lo, exec_lo, s18
	s_delay_alu instid0(SALU_CYCLE_1)
	s_and_b32 s16, s16, exec_lo
	s_or_saveexec_b32 s17, s17
	v_mov_b32_e32 v15, 0x7f800001
	s_xor_b32 exec_lo, exec_lo, s17
	s_cbranch_execz .LBB247_120
.LBB247_380:
	v_cmp_ne_u16_e32 vcc_lo, 0, v14
	v_mov_b32_e32 v15, 0
	s_and_not1_b32 s16, s16, exec_lo
	s_and_b32 s18, vcc_lo, exec_lo
	s_delay_alu instid0(SALU_CYCLE_1)
	s_or_b32 s16, s16, s18
	s_or_b32 exec_lo, exec_lo, s17
	s_and_saveexec_b32 s17, s16
	s_cbranch_execnz .LBB247_121
	s_branch .LBB247_122
.LBB247_381:
	s_mov_b32 s17, -1
	s_mov_b32 s19, exec_lo
	v_cmpx_eq_u16_e32 0x80, v13
; %bb.382:
	s_xor_b32 s17, exec_lo, -1
; %bb.383:
	s_or_b32 exec_lo, exec_lo, s19
	s_delay_alu instid0(SALU_CYCLE_1)
	s_and_b32 s17, s17, exec_lo
	s_or_saveexec_b32 s18, s18
	v_mov_b32_e32 v14, 0x7f800001
	s_xor_b32 exec_lo, exec_lo, s18
	s_cbranch_execz .LBB247_146
.LBB247_384:
	v_cmp_ne_u16_e32 vcc_lo, 0, v13
	v_mov_b32_e32 v14, 0
	s_and_not1_b32 s17, s17, exec_lo
	s_and_b32 s19, vcc_lo, exec_lo
	s_delay_alu instid0(SALU_CYCLE_1)
	s_or_b32 s17, s17, s19
	s_or_b32 exec_lo, exec_lo, s18
	s_and_saveexec_b32 s18, s17
	s_cbranch_execnz .LBB247_147
	s_branch .LBB247_148
.LBB247_385:
	s_mov_b32 s17, -1
	s_mov_b32 s19, exec_lo
	v_cmpx_eq_u16_e32 0x80, v12
; %bb.386:
	s_xor_b32 s17, exec_lo, -1
; %bb.387:
	s_or_b32 exec_lo, exec_lo, s19
	s_delay_alu instid0(SALU_CYCLE_1)
	s_and_b32 s17, s17, exec_lo
	s_or_saveexec_b32 s18, s18
	v_mov_b32_e32 v15, 0x7f800001
	s_xor_b32 exec_lo, exec_lo, s18
	s_cbranch_execz .LBB247_150
.LBB247_388:
	v_cmp_ne_u16_e32 vcc_lo, 0, v12
	v_mov_b32_e32 v15, 0
	s_and_not1_b32 s17, s17, exec_lo
	s_and_b32 s19, vcc_lo, exec_lo
	s_delay_alu instid0(SALU_CYCLE_1)
	s_or_b32 s17, s17, s19
	s_or_b32 exec_lo, exec_lo, s18
	s_and_saveexec_b32 s18, s17
	s_cbranch_execnz .LBB247_151
	s_branch .LBB247_152
.LBB247_389:
	s_mov_b32 s18, -1
	s_mov_b32 s20, exec_lo
	v_cmpx_eq_u16_e32 0x80, v10
; %bb.390:
	s_xor_b32 s18, exec_lo, -1
; %bb.391:
	s_or_b32 exec_lo, exec_lo, s20
	s_delay_alu instid0(SALU_CYCLE_1)
	s_and_b32 s18, s18, exec_lo
	s_or_saveexec_b32 s19, s19
	v_mov_b32_e32 v11, 0x7f800001
	s_xor_b32 exec_lo, exec_lo, s19
	s_cbranch_execz .LBB247_156
.LBB247_392:
	v_cmp_ne_u16_e32 vcc_lo, 0, v10
	v_mov_b32_e32 v11, 0
	s_and_not1_b32 s18, s18, exec_lo
	s_and_b32 s20, vcc_lo, exec_lo
	s_delay_alu instid0(SALU_CYCLE_1)
	s_or_b32 s18, s18, s20
	s_or_b32 exec_lo, exec_lo, s19
	s_and_saveexec_b32 s19, s18
	s_cbranch_execnz .LBB247_157
	s_branch .LBB247_158
.LBB247_393:
	s_mov_b32 s18, -1
	s_mov_b32 s20, exec_lo
	v_cmpx_eq_u16_e32 0x80, v12
; %bb.394:
	s_xor_b32 s18, exec_lo, -1
; %bb.395:
	s_or_b32 exec_lo, exec_lo, s20
	s_delay_alu instid0(SALU_CYCLE_1)
	s_and_b32 s18, s18, exec_lo
	s_or_saveexec_b32 s19, s19
	v_mov_b32_e32 v13, 0x7f800001
	s_xor_b32 exec_lo, exec_lo, s19
	s_cbranch_execz .LBB247_160
.LBB247_396:
	v_cmp_ne_u16_e32 vcc_lo, 0, v12
	v_mov_b32_e32 v13, 0
	s_and_not1_b32 s18, s18, exec_lo
	s_and_b32 s20, vcc_lo, exec_lo
	s_delay_alu instid0(SALU_CYCLE_1)
	s_or_b32 s18, s18, s20
	s_or_b32 exec_lo, exec_lo, s19
	s_and_saveexec_b32 s19, s18
	s_cbranch_execnz .LBB247_161
	s_branch .LBB247_162
.LBB247_397:
	s_mov_b32 s19, -1
	s_mov_b32 s21, exec_lo
	v_cmpx_eq_u16_e32 0x80, v11
; %bb.398:
	s_xor_b32 s19, exec_lo, -1
; %bb.399:
	s_or_b32 exec_lo, exec_lo, s21
	s_delay_alu instid0(SALU_CYCLE_1)
	s_and_b32 s19, s19, exec_lo
	s_or_saveexec_b32 s20, s20
	v_mov_b32_e32 v12, 0x7f800001
	s_xor_b32 exec_lo, exec_lo, s20
	s_cbranch_execz .LBB247_186
.LBB247_400:
	v_cmp_ne_u16_e32 vcc_lo, 0, v11
	v_mov_b32_e32 v12, 0
	s_and_not1_b32 s19, s19, exec_lo
	s_and_b32 s21, vcc_lo, exec_lo
	s_delay_alu instid0(SALU_CYCLE_1)
	s_or_b32 s19, s19, s21
	s_or_b32 exec_lo, exec_lo, s20
	s_and_saveexec_b32 s20, s19
	s_cbranch_execnz .LBB247_187
	s_branch .LBB247_188
.LBB247_401:
	s_mov_b32 s19, -1
	s_mov_b32 s21, exec_lo
	v_cmpx_eq_u16_e32 0x80, v10
; %bb.402:
	s_xor_b32 s19, exec_lo, -1
; %bb.403:
	s_or_b32 exec_lo, exec_lo, s21
	s_delay_alu instid0(SALU_CYCLE_1)
	s_and_b32 s19, s19, exec_lo
	s_or_saveexec_b32 s20, s20
	v_mov_b32_e32 v13, 0x7f800001
	s_xor_b32 exec_lo, exec_lo, s20
	s_cbranch_execz .LBB247_190
.LBB247_404:
	v_cmp_ne_u16_e32 vcc_lo, 0, v10
	v_mov_b32_e32 v13, 0
	s_and_not1_b32 s19, s19, exec_lo
	s_and_b32 s21, vcc_lo, exec_lo
	s_delay_alu instid0(SALU_CYCLE_1)
	s_or_b32 s19, s19, s21
	s_or_b32 exec_lo, exec_lo, s20
	s_and_saveexec_b32 s20, s19
	s_cbranch_execnz .LBB247_191
	s_branch .LBB247_192
.LBB247_405:
	s_mov_b32 s20, -1
	s_mov_b32 s22, exec_lo
	v_cmpx_eq_u16_e32 0x80, v8
; %bb.406:
	s_xor_b32 s20, exec_lo, -1
; %bb.407:
	s_or_b32 exec_lo, exec_lo, s22
	s_delay_alu instid0(SALU_CYCLE_1)
	s_and_b32 s20, s20, exec_lo
	s_or_saveexec_b32 s21, s21
	v_mov_b32_e32 v9, 0x7f800001
	s_xor_b32 exec_lo, exec_lo, s21
	s_cbranch_execz .LBB247_196
.LBB247_408:
	v_cmp_ne_u16_e32 vcc_lo, 0, v8
	v_mov_b32_e32 v9, 0
	s_and_not1_b32 s20, s20, exec_lo
	s_and_b32 s22, vcc_lo, exec_lo
	s_delay_alu instid0(SALU_CYCLE_1)
	s_or_b32 s20, s20, s22
	s_or_b32 exec_lo, exec_lo, s21
	s_and_saveexec_b32 s21, s20
	s_cbranch_execnz .LBB247_197
	s_branch .LBB247_198
.LBB247_409:
	s_mov_b32 s20, -1
	s_mov_b32 s22, exec_lo
	v_cmpx_eq_u16_e32 0x80, v10
; %bb.410:
	s_xor_b32 s20, exec_lo, -1
; %bb.411:
	s_or_b32 exec_lo, exec_lo, s22
	s_delay_alu instid0(SALU_CYCLE_1)
	s_and_b32 s20, s20, exec_lo
	s_or_saveexec_b32 s21, s21
	v_mov_b32_e32 v11, 0x7f800001
	s_xor_b32 exec_lo, exec_lo, s21
	s_cbranch_execz .LBB247_200
.LBB247_412:
	v_cmp_ne_u16_e32 vcc_lo, 0, v10
	v_mov_b32_e32 v11, 0
	s_and_not1_b32 s20, s20, exec_lo
	s_and_b32 s22, vcc_lo, exec_lo
	s_delay_alu instid0(SALU_CYCLE_1)
	s_or_b32 s20, s20, s22
	s_or_b32 exec_lo, exec_lo, s21
	s_and_saveexec_b32 s21, s20
	s_cbranch_execnz .LBB247_201
	s_branch .LBB247_202
.LBB247_413:
	s_mov_b32 s21, -1
	s_mov_b32 s23, exec_lo
	v_cmpx_eq_u16_e32 0x80, v9
; %bb.414:
	s_xor_b32 s21, exec_lo, -1
; %bb.415:
	s_or_b32 exec_lo, exec_lo, s23
	s_delay_alu instid0(SALU_CYCLE_1)
	s_and_b32 s21, s21, exec_lo
	s_or_saveexec_b32 s22, s22
	v_mov_b32_e32 v10, 0x7f800001
	s_xor_b32 exec_lo, exec_lo, s22
	s_cbranch_execz .LBB247_226
.LBB247_416:
	v_cmp_ne_u16_e32 vcc_lo, 0, v9
	v_mov_b32_e32 v10, 0
	s_and_not1_b32 s21, s21, exec_lo
	s_and_b32 s23, vcc_lo, exec_lo
	s_delay_alu instid0(SALU_CYCLE_1)
	s_or_b32 s21, s21, s23
	s_or_b32 exec_lo, exec_lo, s22
	s_and_saveexec_b32 s22, s21
	s_cbranch_execnz .LBB247_227
	s_branch .LBB247_228
.LBB247_417:
	s_mov_b32 s21, -1
	s_mov_b32 s23, exec_lo
	v_cmpx_eq_u16_e32 0x80, v8
; %bb.418:
	s_xor_b32 s21, exec_lo, -1
; %bb.419:
	s_or_b32 exec_lo, exec_lo, s23
	s_delay_alu instid0(SALU_CYCLE_1)
	s_and_b32 s21, s21, exec_lo
	s_or_saveexec_b32 s22, s22
	v_mov_b32_e32 v11, 0x7f800001
	s_xor_b32 exec_lo, exec_lo, s22
	s_cbranch_execz .LBB247_230
.LBB247_420:
	v_cmp_ne_u16_e32 vcc_lo, 0, v8
	v_mov_b32_e32 v11, 0
	s_and_not1_b32 s21, s21, exec_lo
	s_and_b32 s23, vcc_lo, exec_lo
	s_delay_alu instid0(SALU_CYCLE_1)
	s_or_b32 s21, s21, s23
	s_or_b32 exec_lo, exec_lo, s22
	s_and_saveexec_b32 s22, s21
	s_cbranch_execnz .LBB247_231
	s_branch .LBB247_232
.LBB247_421:
	s_mov_b32 s22, -1
	s_mov_b32 s24, exec_lo
	v_cmpx_eq_u16_e32 0x80, v6
; %bb.422:
	s_xor_b32 s22, exec_lo, -1
; %bb.423:
	s_or_b32 exec_lo, exec_lo, s24
	s_delay_alu instid0(SALU_CYCLE_1)
	s_and_b32 s22, s22, exec_lo
	s_or_saveexec_b32 s23, s23
	v_mov_b32_e32 v7, 0x7f800001
	s_xor_b32 exec_lo, exec_lo, s23
	s_cbranch_execz .LBB247_236
.LBB247_424:
	v_cmp_ne_u16_e32 vcc_lo, 0, v6
	v_mov_b32_e32 v7, 0
	s_and_not1_b32 s22, s22, exec_lo
	s_and_b32 s24, vcc_lo, exec_lo
	s_delay_alu instid0(SALU_CYCLE_1)
	s_or_b32 s22, s22, s24
	s_or_b32 exec_lo, exec_lo, s23
	s_and_saveexec_b32 s23, s22
	s_cbranch_execnz .LBB247_237
	s_branch .LBB247_238
.LBB247_425:
	s_mov_b32 s22, -1
	s_mov_b32 s24, exec_lo
	v_cmpx_eq_u16_e32 0x80, v8
; %bb.426:
	s_xor_b32 s22, exec_lo, -1
; %bb.427:
	s_or_b32 exec_lo, exec_lo, s24
	s_delay_alu instid0(SALU_CYCLE_1)
	s_and_b32 s22, s22, exec_lo
	s_or_saveexec_b32 s23, s23
	v_mov_b32_e32 v9, 0x7f800001
	s_xor_b32 exec_lo, exec_lo, s23
	s_cbranch_execz .LBB247_240
.LBB247_428:
	v_cmp_ne_u16_e32 vcc_lo, 0, v8
	v_mov_b32_e32 v9, 0
	s_and_not1_b32 s22, s22, exec_lo
	s_and_b32 s24, vcc_lo, exec_lo
	s_delay_alu instid0(SALU_CYCLE_1)
	s_or_b32 s22, s22, s24
	s_or_b32 exec_lo, exec_lo, s23
	s_and_saveexec_b32 s23, s22
	s_cbranch_execnz .LBB247_241
	s_branch .LBB247_242
.LBB247_429:
	s_mov_b32 s23, -1
	s_mov_b32 s25, exec_lo
	v_cmpx_eq_u16_e32 0x80, v7
; %bb.430:
	s_xor_b32 s23, exec_lo, -1
; %bb.431:
	s_or_b32 exec_lo, exec_lo, s25
	s_delay_alu instid0(SALU_CYCLE_1)
	s_and_b32 s23, s23, exec_lo
	s_or_saveexec_b32 s24, s24
	v_mov_b32_e32 v8, 0x7f800001
	s_xor_b32 exec_lo, exec_lo, s24
	s_cbranch_execz .LBB247_266
.LBB247_432:
	v_cmp_ne_u16_e32 vcc_lo, 0, v7
	v_mov_b32_e32 v8, 0
	s_and_not1_b32 s23, s23, exec_lo
	s_and_b32 s25, vcc_lo, exec_lo
	s_delay_alu instid0(SALU_CYCLE_1)
	s_or_b32 s23, s23, s25
	s_or_b32 exec_lo, exec_lo, s24
	s_and_saveexec_b32 s24, s23
	s_cbranch_execnz .LBB247_267
	s_branch .LBB247_268
.LBB247_433:
	s_mov_b32 s23, -1
	s_mov_b32 s25, exec_lo
	v_cmpx_eq_u16_e32 0x80, v6
; %bb.434:
	s_xor_b32 s23, exec_lo, -1
; %bb.435:
	s_or_b32 exec_lo, exec_lo, s25
	s_delay_alu instid0(SALU_CYCLE_1)
	s_and_b32 s23, s23, exec_lo
	s_or_saveexec_b32 s24, s24
	v_mov_b32_e32 v9, 0x7f800001
	s_xor_b32 exec_lo, exec_lo, s24
	s_cbranch_execz .LBB247_270
.LBB247_436:
	v_cmp_ne_u16_e32 vcc_lo, 0, v6
	v_mov_b32_e32 v9, 0
	s_and_not1_b32 s23, s23, exec_lo
	s_and_b32 s25, vcc_lo, exec_lo
	s_delay_alu instid0(SALU_CYCLE_1)
	s_or_b32 s23, s23, s25
	s_or_b32 exec_lo, exec_lo, s24
	s_and_saveexec_b32 s24, s23
	s_cbranch_execnz .LBB247_271
	s_branch .LBB247_272
.LBB247_437:
	s_mov_b32 s24, -1
	s_mov_b32 s26, exec_lo
	v_cmpx_eq_u16_e32 0x80, v4
; %bb.438:
	s_xor_b32 s24, exec_lo, -1
; %bb.439:
	s_or_b32 exec_lo, exec_lo, s26
	s_delay_alu instid0(SALU_CYCLE_1)
	s_and_b32 s24, s24, exec_lo
	s_or_saveexec_b32 s25, s25
	v_mov_b32_e32 v5, 0x7f800001
	s_xor_b32 exec_lo, exec_lo, s25
	s_cbranch_execz .LBB247_276
.LBB247_440:
	v_cmp_ne_u16_e32 vcc_lo, 0, v4
	v_mov_b32_e32 v5, 0
	s_and_not1_b32 s24, s24, exec_lo
	s_and_b32 s26, vcc_lo, exec_lo
	s_delay_alu instid0(SALU_CYCLE_1)
	s_or_b32 s24, s24, s26
	s_or_b32 exec_lo, exec_lo, s25
	s_and_saveexec_b32 s25, s24
	s_cbranch_execnz .LBB247_277
	s_branch .LBB247_278
.LBB247_441:
	s_mov_b32 s24, -1
	s_mov_b32 s26, exec_lo
	v_cmpx_eq_u16_e32 0x80, v6
; %bb.442:
	s_xor_b32 s24, exec_lo, -1
; %bb.443:
	s_or_b32 exec_lo, exec_lo, s26
	s_delay_alu instid0(SALU_CYCLE_1)
	s_and_b32 s24, s24, exec_lo
	s_or_saveexec_b32 s25, s25
	v_mov_b32_e32 v7, 0x7f800001
	s_xor_b32 exec_lo, exec_lo, s25
	s_cbranch_execz .LBB247_280
.LBB247_444:
	v_cmp_ne_u16_e32 vcc_lo, 0, v6
	v_mov_b32_e32 v7, 0
	s_and_not1_b32 s24, s24, exec_lo
	s_and_b32 s26, vcc_lo, exec_lo
	s_delay_alu instid0(SALU_CYCLE_1)
	s_or_b32 s24, s24, s26
	s_or_b32 exec_lo, exec_lo, s25
	s_and_saveexec_b32 s25, s24
	s_cbranch_execnz .LBB247_281
	s_branch .LBB247_282
.LBB247_445:
	s_mov_b32 s25, -1
	s_mov_b32 s27, exec_lo
	v_cmpx_eq_u16_e32 0x80, v4
; %bb.446:
	s_xor_b32 s25, exec_lo, -1
; %bb.447:
	s_or_b32 exec_lo, exec_lo, s27
	s_delay_alu instid0(SALU_CYCLE_1)
	s_and_b32 s25, s25, exec_lo
	s_or_saveexec_b32 s26, s26
	v_mov_b32_e32 v5, 0x7f800001
	s_xor_b32 exec_lo, exec_lo, s26
	s_cbranch_execz .LBB247_306
.LBB247_448:
	v_cmp_ne_u16_e32 vcc_lo, 0, v4
	v_mov_b32_e32 v5, 0
	s_and_not1_b32 s25, s25, exec_lo
	s_and_b32 s27, vcc_lo, exec_lo
	s_delay_alu instid0(SALU_CYCLE_1)
	s_or_b32 s25, s25, s27
	s_or_b32 exec_lo, exec_lo, s26
	s_and_saveexec_b32 s26, s25
	s_cbranch_execnz .LBB247_307
	s_branch .LBB247_308
.LBB247_449:
	s_mov_b32 s25, -1
	s_mov_b32 s27, exec_lo
	v_cmpx_eq_u16_e32 0x80, v3
; %bb.450:
	s_xor_b32 s25, exec_lo, -1
; %bb.451:
	s_or_b32 exec_lo, exec_lo, s27
	s_delay_alu instid0(SALU_CYCLE_1)
	s_and_b32 s25, s25, exec_lo
	s_or_saveexec_b32 s26, s26
	v_mov_b32_e32 v6, 0x7f800001
	s_xor_b32 exec_lo, exec_lo, s26
	s_cbranch_execz .LBB247_310
.LBB247_452:
	v_cmp_ne_u16_e32 vcc_lo, 0, v3
	v_mov_b32_e32 v6, 0
	s_and_not1_b32 s25, s25, exec_lo
	s_and_b32 s27, vcc_lo, exec_lo
	s_delay_alu instid0(SALU_CYCLE_1)
	s_or_b32 s25, s25, s27
	s_or_b32 exec_lo, exec_lo, s26
	s_and_saveexec_b32 s26, s25
	s_cbranch_execnz .LBB247_311
	s_branch .LBB247_312
.LBB247_453:
	s_mov_b32 s10, -1
	s_mov_b32 s13, exec_lo
	v_cmpx_eq_u16_e32 0x80, v3
; %bb.454:
	s_xor_b32 s10, exec_lo, -1
; %bb.455:
	s_or_b32 exec_lo, exec_lo, s13
	s_delay_alu instid0(SALU_CYCLE_1)
	s_and_b32 s10, s10, exec_lo
	s_or_saveexec_b32 s12, s12
	v_mov_b32_e32 v18, 0x7f800001
	s_xor_b32 exec_lo, exec_lo, s12
	s_cbranch_execz .LBB247_16
.LBB247_456:
	v_cmp_ne_u16_e32 vcc_lo, 0, v3
	v_mov_b32_e32 v18, 0
	s_and_not1_b32 s10, s10, exec_lo
	s_and_b32 s13, vcc_lo, exec_lo
	s_delay_alu instid0(SALU_CYCLE_1)
	s_or_b32 s10, s10, s13
	s_or_b32 exec_lo, exec_lo, s12
	s_and_saveexec_b32 s12, s10
	s_cbranch_execnz .LBB247_17
	s_branch .LBB247_18
.LBB247_457:
	s_mov_b32 s10, -1
	s_mov_b32 s13, exec_lo
	v_cmpx_eq_u16_e32 0x80, v3
; %bb.458:
	s_xor_b32 s10, exec_lo, -1
; %bb.459:
	s_or_b32 exec_lo, exec_lo, s13
	s_delay_alu instid0(SALU_CYCLE_1)
	s_and_b32 s10, s10, exec_lo
	s_or_saveexec_b32 s12, s12
	v_mov_b32_e32 v19, 0x7f800001
	s_xor_b32 exec_lo, exec_lo, s12
	s_cbranch_execz .LBB247_20
.LBB247_460:
	v_cmp_ne_u16_e32 vcc_lo, 0, v3
	v_mov_b32_e32 v19, 0
	s_and_not1_b32 s10, s10, exec_lo
	s_and_b32 s13, vcc_lo, exec_lo
	s_delay_alu instid0(SALU_CYCLE_1)
	s_or_b32 s10, s10, s13
	s_or_b32 exec_lo, exec_lo, s12
	s_and_saveexec_b32 s12, s10
	s_cbranch_execnz .LBB247_21
	s_branch .LBB247_22
.LBB247_461:
	s_mov_b32 s11, -1
	s_mov_b32 s13, exec_lo
	v_cmpx_eq_u16_e32 0x80, v19
; %bb.462:
	s_xor_b32 s11, exec_lo, -1
; %bb.463:
	s_or_b32 exec_lo, exec_lo, s13
	s_delay_alu instid0(SALU_CYCLE_1)
	s_and_b32 s11, s11, exec_lo
	s_or_saveexec_b32 s12, s12
	v_mov_b32_e32 v20, 0x7f800001
	s_xor_b32 exec_lo, exec_lo, s12
	s_cbranch_execz .LBB247_46
.LBB247_464:
	v_cmp_ne_u16_e32 vcc_lo, 0, v19
	v_mov_b32_e32 v20, 0
	s_and_not1_b32 s11, s11, exec_lo
	s_and_b32 s13, vcc_lo, exec_lo
	s_delay_alu instid0(SALU_CYCLE_1)
	s_or_b32 s11, s11, s13
	s_or_b32 exec_lo, exec_lo, s12
	s_and_saveexec_b32 s12, s11
	s_cbranch_execnz .LBB247_47
	s_branch .LBB247_48
.LBB247_465:
	s_mov_b32 s11, -1
	s_mov_b32 s13, exec_lo
	v_cmpx_eq_u16_e32 0x80, v18
; %bb.466:
	s_xor_b32 s11, exec_lo, -1
; %bb.467:
	s_or_b32 exec_lo, exec_lo, s13
	s_delay_alu instid0(SALU_CYCLE_1)
	s_and_b32 s11, s11, exec_lo
	s_or_saveexec_b32 s12, s12
	v_mov_b32_e32 v17, 0x7f800001
	s_xor_b32 exec_lo, exec_lo, s12
	s_cbranch_execz .LBB247_50
.LBB247_468:
	v_cmp_ne_u16_e32 vcc_lo, 0, v18
	v_mov_b32_e32 v17, 0
	s_and_not1_b32 s11, s11, exec_lo
	s_and_b32 s13, vcc_lo, exec_lo
	s_delay_alu instid0(SALU_CYCLE_1)
	s_or_b32 s11, s11, s13
	s_or_b32 exec_lo, exec_lo, s12
	s_and_saveexec_b32 s12, s11
	s_cbranch_execnz .LBB247_51
	s_branch .LBB247_52
.LBB247_469:
	s_mov_b32 s12, -1
	s_mov_b32 s14, exec_lo
	v_cmpx_eq_u16_e32 0x80, v16
; %bb.470:
	s_xor_b32 s12, exec_lo, -1
; %bb.471:
	s_or_b32 exec_lo, exec_lo, s14
	s_delay_alu instid0(SALU_CYCLE_1)
	s_and_b32 s12, s12, exec_lo
	s_or_saveexec_b32 s13, s13
	v_mov_b32_e32 v17, 0x7f800001
	s_xor_b32 exec_lo, exec_lo, s13
	s_cbranch_execz .LBB247_56
.LBB247_472:
	v_cmp_ne_u16_e32 vcc_lo, 0, v16
	v_mov_b32_e32 v17, 0
	s_and_not1_b32 s12, s12, exec_lo
	s_and_b32 s14, vcc_lo, exec_lo
	s_delay_alu instid0(SALU_CYCLE_1)
	s_or_b32 s12, s12, s14
	s_or_b32 exec_lo, exec_lo, s13
	s_and_saveexec_b32 s13, s12
	s_cbranch_execnz .LBB247_57
	s_branch .LBB247_58
.LBB247_473:
	s_mov_b32 s12, -1
	s_mov_b32 s14, exec_lo
	v_cmpx_eq_u16_e32 0x80, v16
; %bb.474:
	s_xor_b32 s12, exec_lo, -1
; %bb.475:
	s_or_b32 exec_lo, exec_lo, s14
	s_delay_alu instid0(SALU_CYCLE_1)
	s_and_b32 s12, s12, exec_lo
	s_or_saveexec_b32 s13, s13
	v_mov_b32_e32 v18, 0x7f800001
	s_xor_b32 exec_lo, exec_lo, s13
	s_cbranch_execz .LBB247_60
.LBB247_476:
	v_cmp_ne_u16_e32 vcc_lo, 0, v16
	v_mov_b32_e32 v18, 0
	s_and_not1_b32 s12, s12, exec_lo
	s_and_b32 s14, vcc_lo, exec_lo
	s_delay_alu instid0(SALU_CYCLE_1)
	s_or_b32 s12, s12, s14
	s_or_b32 exec_lo, exec_lo, s13
	s_and_saveexec_b32 s13, s12
	s_cbranch_execnz .LBB247_61
	s_branch .LBB247_62
.LBB247_477:
	s_mov_b32 s13, -1
	s_mov_b32 s15, exec_lo
	v_cmpx_eq_u16_e32 0x80, v17
; %bb.478:
	s_xor_b32 s13, exec_lo, -1
; %bb.479:
	s_or_b32 exec_lo, exec_lo, s15
	s_delay_alu instid0(SALU_CYCLE_1)
	s_and_b32 s13, s13, exec_lo
	s_or_saveexec_b32 s14, s14
	v_mov_b32_e32 v18, 0x7f800001
	s_xor_b32 exec_lo, exec_lo, s14
	s_cbranch_execz .LBB247_86
.LBB247_480:
	v_cmp_ne_u16_e32 vcc_lo, 0, v17
	v_mov_b32_e32 v18, 0
	s_and_not1_b32 s13, s13, exec_lo
	s_and_b32 s15, vcc_lo, exec_lo
	s_delay_alu instid0(SALU_CYCLE_1)
	s_or_b32 s13, s13, s15
	s_or_b32 exec_lo, exec_lo, s14
	s_and_saveexec_b32 s14, s13
	s_cbranch_execnz .LBB247_87
	s_branch .LBB247_88
.LBB247_481:
	s_mov_b32 s13, -1
	s_mov_b32 s15, exec_lo
	v_cmpx_eq_u16_e32 0x80, v16
; %bb.482:
	s_xor_b32 s13, exec_lo, -1
; %bb.483:
	s_or_b32 exec_lo, exec_lo, s15
	s_delay_alu instid0(SALU_CYCLE_1)
	s_and_b32 s13, s13, exec_lo
	s_or_saveexec_b32 s14, s14
	v_mov_b32_e32 v15, 0x7f800001
	s_xor_b32 exec_lo, exec_lo, s14
	s_cbranch_execz .LBB247_90
.LBB247_484:
	v_cmp_ne_u16_e32 vcc_lo, 0, v16
	v_mov_b32_e32 v15, 0
	s_and_not1_b32 s13, s13, exec_lo
	s_and_b32 s15, vcc_lo, exec_lo
	s_delay_alu instid0(SALU_CYCLE_1)
	s_or_b32 s13, s13, s15
	s_or_b32 exec_lo, exec_lo, s14
	s_and_saveexec_b32 s14, s13
	s_cbranch_execnz .LBB247_91
	s_branch .LBB247_92
.LBB247_485:
	s_mov_b32 s14, -1
	s_mov_b32 s16, exec_lo
	v_cmpx_eq_u16_e32 0x80, v14
; %bb.486:
	s_xor_b32 s14, exec_lo, -1
; %bb.487:
	s_or_b32 exec_lo, exec_lo, s16
	s_delay_alu instid0(SALU_CYCLE_1)
	s_and_b32 s14, s14, exec_lo
	s_or_saveexec_b32 s15, s15
	v_mov_b32_e32 v15, 0x7f800001
	s_xor_b32 exec_lo, exec_lo, s15
	s_cbranch_execz .LBB247_96
.LBB247_488:
	v_cmp_ne_u16_e32 vcc_lo, 0, v14
	v_mov_b32_e32 v15, 0
	s_and_not1_b32 s14, s14, exec_lo
	s_and_b32 s16, vcc_lo, exec_lo
	s_delay_alu instid0(SALU_CYCLE_1)
	s_or_b32 s14, s14, s16
	s_or_b32 exec_lo, exec_lo, s15
	s_and_saveexec_b32 s15, s14
	s_cbranch_execnz .LBB247_97
	s_branch .LBB247_98
.LBB247_489:
	s_mov_b32 s14, -1
	s_mov_b32 s16, exec_lo
	v_cmpx_eq_u16_e32 0x80, v14
; %bb.490:
	s_xor_b32 s14, exec_lo, -1
; %bb.491:
	s_or_b32 exec_lo, exec_lo, s16
	s_delay_alu instid0(SALU_CYCLE_1)
	s_and_b32 s14, s14, exec_lo
	s_or_saveexec_b32 s15, s15
	v_mov_b32_e32 v16, 0x7f800001
	s_xor_b32 exec_lo, exec_lo, s15
	s_cbranch_execz .LBB247_100
.LBB247_492:
	v_cmp_ne_u16_e32 vcc_lo, 0, v14
	v_mov_b32_e32 v16, 0
	s_and_not1_b32 s14, s14, exec_lo
	s_and_b32 s16, vcc_lo, exec_lo
	s_delay_alu instid0(SALU_CYCLE_1)
	s_or_b32 s14, s14, s16
	s_or_b32 exec_lo, exec_lo, s15
	s_and_saveexec_b32 s15, s14
	s_cbranch_execnz .LBB247_101
	s_branch .LBB247_102
.LBB247_493:
	s_mov_b32 s15, -1
	s_mov_b32 s17, exec_lo
	v_cmpx_eq_u16_e32 0x80, v15
; %bb.494:
	s_xor_b32 s15, exec_lo, -1
; %bb.495:
	s_or_b32 exec_lo, exec_lo, s17
	s_delay_alu instid0(SALU_CYCLE_1)
	s_and_b32 s15, s15, exec_lo
	s_or_saveexec_b32 s16, s16
	v_mov_b32_e32 v16, 0x7f800001
	s_xor_b32 exec_lo, exec_lo, s16
	s_cbranch_execz .LBB247_126
.LBB247_496:
	v_cmp_ne_u16_e32 vcc_lo, 0, v15
	v_mov_b32_e32 v16, 0
	s_and_not1_b32 s15, s15, exec_lo
	s_and_b32 s17, vcc_lo, exec_lo
	s_delay_alu instid0(SALU_CYCLE_1)
	s_or_b32 s15, s15, s17
	s_or_b32 exec_lo, exec_lo, s16
	s_and_saveexec_b32 s16, s15
	s_cbranch_execnz .LBB247_127
	s_branch .LBB247_128
.LBB247_497:
	s_mov_b32 s15, -1
	s_mov_b32 s17, exec_lo
	v_cmpx_eq_u16_e32 0x80, v14
; %bb.498:
	s_xor_b32 s15, exec_lo, -1
; %bb.499:
	s_or_b32 exec_lo, exec_lo, s17
	s_delay_alu instid0(SALU_CYCLE_1)
	s_and_b32 s15, s15, exec_lo
	s_or_saveexec_b32 s16, s16
	v_mov_b32_e32 v13, 0x7f800001
	s_xor_b32 exec_lo, exec_lo, s16
	s_cbranch_execz .LBB247_130
.LBB247_500:
	v_cmp_ne_u16_e32 vcc_lo, 0, v14
	v_mov_b32_e32 v13, 0
	s_and_not1_b32 s15, s15, exec_lo
	s_and_b32 s17, vcc_lo, exec_lo
	s_delay_alu instid0(SALU_CYCLE_1)
	s_or_b32 s15, s15, s17
	s_or_b32 exec_lo, exec_lo, s16
	s_and_saveexec_b32 s16, s15
	s_cbranch_execnz .LBB247_131
	s_branch .LBB247_132
.LBB247_501:
	s_mov_b32 s16, -1
	s_mov_b32 s18, exec_lo
	v_cmpx_eq_u16_e32 0x80, v12
; %bb.502:
	s_xor_b32 s16, exec_lo, -1
; %bb.503:
	s_or_b32 exec_lo, exec_lo, s18
	s_delay_alu instid0(SALU_CYCLE_1)
	s_and_b32 s16, s16, exec_lo
	s_or_saveexec_b32 s17, s17
	v_mov_b32_e32 v13, 0x7f800001
	s_xor_b32 exec_lo, exec_lo, s17
	s_cbranch_execz .LBB247_136
.LBB247_504:
	v_cmp_ne_u16_e32 vcc_lo, 0, v12
	v_mov_b32_e32 v13, 0
	s_and_not1_b32 s16, s16, exec_lo
	s_and_b32 s18, vcc_lo, exec_lo
	s_delay_alu instid0(SALU_CYCLE_1)
	s_or_b32 s16, s16, s18
	s_or_b32 exec_lo, exec_lo, s17
	s_and_saveexec_b32 s17, s16
	s_cbranch_execnz .LBB247_137
	s_branch .LBB247_138
.LBB247_505:
	s_mov_b32 s16, -1
	s_mov_b32 s18, exec_lo
	v_cmpx_eq_u16_e32 0x80, v12
; %bb.506:
	s_xor_b32 s16, exec_lo, -1
; %bb.507:
	s_or_b32 exec_lo, exec_lo, s18
	s_delay_alu instid0(SALU_CYCLE_1)
	s_and_b32 s16, s16, exec_lo
	s_or_saveexec_b32 s17, s17
	v_mov_b32_e32 v14, 0x7f800001
	s_xor_b32 exec_lo, exec_lo, s17
	s_cbranch_execz .LBB247_140
.LBB247_508:
	v_cmp_ne_u16_e32 vcc_lo, 0, v12
	v_mov_b32_e32 v14, 0
	s_and_not1_b32 s16, s16, exec_lo
	s_and_b32 s18, vcc_lo, exec_lo
	s_delay_alu instid0(SALU_CYCLE_1)
	s_or_b32 s16, s16, s18
	s_or_b32 exec_lo, exec_lo, s17
	s_and_saveexec_b32 s17, s16
	s_cbranch_execnz .LBB247_141
	s_branch .LBB247_142
.LBB247_509:
	s_mov_b32 s17, -1
	s_mov_b32 s19, exec_lo
	v_cmpx_eq_u16_e32 0x80, v13
; %bb.510:
	s_xor_b32 s17, exec_lo, -1
; %bb.511:
	s_or_b32 exec_lo, exec_lo, s19
	s_delay_alu instid0(SALU_CYCLE_1)
	s_and_b32 s17, s17, exec_lo
	s_or_saveexec_b32 s18, s18
	v_mov_b32_e32 v14, 0x7f800001
	s_xor_b32 exec_lo, exec_lo, s18
	s_cbranch_execz .LBB247_166
.LBB247_512:
	v_cmp_ne_u16_e32 vcc_lo, 0, v13
	v_mov_b32_e32 v14, 0
	s_and_not1_b32 s17, s17, exec_lo
	s_and_b32 s19, vcc_lo, exec_lo
	s_delay_alu instid0(SALU_CYCLE_1)
	s_or_b32 s17, s17, s19
	s_or_b32 exec_lo, exec_lo, s18
	s_and_saveexec_b32 s18, s17
	s_cbranch_execnz .LBB247_167
	s_branch .LBB247_168
.LBB247_513:
	s_mov_b32 s17, -1
	s_mov_b32 s19, exec_lo
	v_cmpx_eq_u16_e32 0x80, v12
; %bb.514:
	s_xor_b32 s17, exec_lo, -1
; %bb.515:
	s_or_b32 exec_lo, exec_lo, s19
	s_delay_alu instid0(SALU_CYCLE_1)
	s_and_b32 s17, s17, exec_lo
	s_or_saveexec_b32 s18, s18
	v_mov_b32_e32 v11, 0x7f800001
	s_xor_b32 exec_lo, exec_lo, s18
	s_cbranch_execz .LBB247_170
.LBB247_516:
	v_cmp_ne_u16_e32 vcc_lo, 0, v12
	v_mov_b32_e32 v11, 0
	s_and_not1_b32 s17, s17, exec_lo
	s_and_b32 s19, vcc_lo, exec_lo
	s_delay_alu instid0(SALU_CYCLE_1)
	s_or_b32 s17, s17, s19
	s_or_b32 exec_lo, exec_lo, s18
	s_and_saveexec_b32 s18, s17
	s_cbranch_execnz .LBB247_171
	s_branch .LBB247_172
.LBB247_517:
	s_mov_b32 s18, -1
	s_mov_b32 s20, exec_lo
	v_cmpx_eq_u16_e32 0x80, v10
; %bb.518:
	s_xor_b32 s18, exec_lo, -1
; %bb.519:
	s_or_b32 exec_lo, exec_lo, s20
	s_delay_alu instid0(SALU_CYCLE_1)
	s_and_b32 s18, s18, exec_lo
	s_or_saveexec_b32 s19, s19
	v_mov_b32_e32 v11, 0x7f800001
	s_xor_b32 exec_lo, exec_lo, s19
	s_cbranch_execz .LBB247_176
.LBB247_520:
	v_cmp_ne_u16_e32 vcc_lo, 0, v10
	v_mov_b32_e32 v11, 0
	s_and_not1_b32 s18, s18, exec_lo
	s_and_b32 s20, vcc_lo, exec_lo
	s_delay_alu instid0(SALU_CYCLE_1)
	s_or_b32 s18, s18, s20
	s_or_b32 exec_lo, exec_lo, s19
	s_and_saveexec_b32 s19, s18
	s_cbranch_execnz .LBB247_177
	s_branch .LBB247_178
.LBB247_521:
	s_mov_b32 s18, -1
	s_mov_b32 s20, exec_lo
	v_cmpx_eq_u16_e32 0x80, v10
; %bb.522:
	s_xor_b32 s18, exec_lo, -1
; %bb.523:
	s_or_b32 exec_lo, exec_lo, s20
	s_delay_alu instid0(SALU_CYCLE_1)
	s_and_b32 s18, s18, exec_lo
	s_or_saveexec_b32 s19, s19
	v_mov_b32_e32 v12, 0x7f800001
	s_xor_b32 exec_lo, exec_lo, s19
	s_cbranch_execz .LBB247_180
.LBB247_524:
	v_cmp_ne_u16_e32 vcc_lo, 0, v10
	v_mov_b32_e32 v12, 0
	s_and_not1_b32 s18, s18, exec_lo
	s_and_b32 s20, vcc_lo, exec_lo
	s_delay_alu instid0(SALU_CYCLE_1)
	s_or_b32 s18, s18, s20
	s_or_b32 exec_lo, exec_lo, s19
	s_and_saveexec_b32 s19, s18
	s_cbranch_execnz .LBB247_181
	s_branch .LBB247_182
.LBB247_525:
	s_mov_b32 s19, -1
	s_mov_b32 s21, exec_lo
	v_cmpx_eq_u16_e32 0x80, v11
; %bb.526:
	s_xor_b32 s19, exec_lo, -1
; %bb.527:
	s_or_b32 exec_lo, exec_lo, s21
	s_delay_alu instid0(SALU_CYCLE_1)
	s_and_b32 s19, s19, exec_lo
	s_or_saveexec_b32 s20, s20
	v_mov_b32_e32 v12, 0x7f800001
	s_xor_b32 exec_lo, exec_lo, s20
	s_cbranch_execz .LBB247_206
.LBB247_528:
	v_cmp_ne_u16_e32 vcc_lo, 0, v11
	v_mov_b32_e32 v12, 0
	s_and_not1_b32 s19, s19, exec_lo
	s_and_b32 s21, vcc_lo, exec_lo
	s_delay_alu instid0(SALU_CYCLE_1)
	s_or_b32 s19, s19, s21
	s_or_b32 exec_lo, exec_lo, s20
	s_and_saveexec_b32 s20, s19
	s_cbranch_execnz .LBB247_207
	s_branch .LBB247_208
.LBB247_529:
	s_mov_b32 s19, -1
	s_mov_b32 s21, exec_lo
	v_cmpx_eq_u16_e32 0x80, v10
; %bb.530:
	s_xor_b32 s19, exec_lo, -1
; %bb.531:
	s_or_b32 exec_lo, exec_lo, s21
	s_delay_alu instid0(SALU_CYCLE_1)
	s_and_b32 s19, s19, exec_lo
	s_or_saveexec_b32 s20, s20
	v_mov_b32_e32 v9, 0x7f800001
	s_xor_b32 exec_lo, exec_lo, s20
	s_cbranch_execz .LBB247_210
.LBB247_532:
	v_cmp_ne_u16_e32 vcc_lo, 0, v10
	v_mov_b32_e32 v9, 0
	s_and_not1_b32 s19, s19, exec_lo
	s_and_b32 s21, vcc_lo, exec_lo
	s_delay_alu instid0(SALU_CYCLE_1)
	s_or_b32 s19, s19, s21
	s_or_b32 exec_lo, exec_lo, s20
	s_and_saveexec_b32 s20, s19
	s_cbranch_execnz .LBB247_211
	s_branch .LBB247_212
.LBB247_533:
	s_mov_b32 s20, -1
	s_mov_b32 s22, exec_lo
	v_cmpx_eq_u16_e32 0x80, v8
; %bb.534:
	s_xor_b32 s20, exec_lo, -1
; %bb.535:
	s_or_b32 exec_lo, exec_lo, s22
	s_delay_alu instid0(SALU_CYCLE_1)
	s_and_b32 s20, s20, exec_lo
	s_or_saveexec_b32 s21, s21
	v_mov_b32_e32 v9, 0x7f800001
	s_xor_b32 exec_lo, exec_lo, s21
	s_cbranch_execz .LBB247_216
.LBB247_536:
	v_cmp_ne_u16_e32 vcc_lo, 0, v8
	v_mov_b32_e32 v9, 0
	s_and_not1_b32 s20, s20, exec_lo
	s_and_b32 s22, vcc_lo, exec_lo
	s_delay_alu instid0(SALU_CYCLE_1)
	s_or_b32 s20, s20, s22
	s_or_b32 exec_lo, exec_lo, s21
	s_and_saveexec_b32 s21, s20
	s_cbranch_execnz .LBB247_217
	s_branch .LBB247_218
.LBB247_537:
	s_mov_b32 s20, -1
	s_mov_b32 s22, exec_lo
	v_cmpx_eq_u16_e32 0x80, v8
; %bb.538:
	s_xor_b32 s20, exec_lo, -1
; %bb.539:
	s_or_b32 exec_lo, exec_lo, s22
	s_delay_alu instid0(SALU_CYCLE_1)
	s_and_b32 s20, s20, exec_lo
	s_or_saveexec_b32 s21, s21
	v_mov_b32_e32 v10, 0x7f800001
	s_xor_b32 exec_lo, exec_lo, s21
	s_cbranch_execz .LBB247_220
.LBB247_540:
	v_cmp_ne_u16_e32 vcc_lo, 0, v8
	v_mov_b32_e32 v10, 0
	s_and_not1_b32 s20, s20, exec_lo
	s_and_b32 s22, vcc_lo, exec_lo
	s_delay_alu instid0(SALU_CYCLE_1)
	s_or_b32 s20, s20, s22
	s_or_b32 exec_lo, exec_lo, s21
	s_and_saveexec_b32 s21, s20
	s_cbranch_execnz .LBB247_221
	s_branch .LBB247_222
.LBB247_541:
	s_mov_b32 s21, -1
	s_mov_b32 s23, exec_lo
	v_cmpx_eq_u16_e32 0x80, v9
; %bb.542:
	s_xor_b32 s21, exec_lo, -1
; %bb.543:
	s_or_b32 exec_lo, exec_lo, s23
	s_delay_alu instid0(SALU_CYCLE_1)
	s_and_b32 s21, s21, exec_lo
	s_or_saveexec_b32 s22, s22
	v_mov_b32_e32 v10, 0x7f800001
	s_xor_b32 exec_lo, exec_lo, s22
	s_cbranch_execz .LBB247_246
.LBB247_544:
	v_cmp_ne_u16_e32 vcc_lo, 0, v9
	v_mov_b32_e32 v10, 0
	s_and_not1_b32 s21, s21, exec_lo
	s_and_b32 s23, vcc_lo, exec_lo
	s_delay_alu instid0(SALU_CYCLE_1)
	s_or_b32 s21, s21, s23
	s_or_b32 exec_lo, exec_lo, s22
	s_and_saveexec_b32 s22, s21
	s_cbranch_execnz .LBB247_247
	s_branch .LBB247_248
.LBB247_545:
	s_mov_b32 s21, -1
	s_mov_b32 s23, exec_lo
	v_cmpx_eq_u16_e32 0x80, v8
; %bb.546:
	s_xor_b32 s21, exec_lo, -1
; %bb.547:
	s_or_b32 exec_lo, exec_lo, s23
	s_delay_alu instid0(SALU_CYCLE_1)
	s_and_b32 s21, s21, exec_lo
	s_or_saveexec_b32 s22, s22
	v_mov_b32_e32 v7, 0x7f800001
	s_xor_b32 exec_lo, exec_lo, s22
	s_cbranch_execz .LBB247_250
.LBB247_548:
	v_cmp_ne_u16_e32 vcc_lo, 0, v8
	v_mov_b32_e32 v7, 0
	s_and_not1_b32 s21, s21, exec_lo
	s_and_b32 s23, vcc_lo, exec_lo
	s_delay_alu instid0(SALU_CYCLE_1)
	s_or_b32 s21, s21, s23
	s_or_b32 exec_lo, exec_lo, s22
	s_and_saveexec_b32 s22, s21
	s_cbranch_execnz .LBB247_251
	s_branch .LBB247_252
.LBB247_549:
	s_mov_b32 s22, -1
	s_mov_b32 s24, exec_lo
	v_cmpx_eq_u16_e32 0x80, v6
; %bb.550:
	s_xor_b32 s22, exec_lo, -1
; %bb.551:
	s_or_b32 exec_lo, exec_lo, s24
	s_delay_alu instid0(SALU_CYCLE_1)
	s_and_b32 s22, s22, exec_lo
	s_or_saveexec_b32 s23, s23
	v_mov_b32_e32 v7, 0x7f800001
	s_xor_b32 exec_lo, exec_lo, s23
	s_cbranch_execz .LBB247_256
.LBB247_552:
	v_cmp_ne_u16_e32 vcc_lo, 0, v6
	v_mov_b32_e32 v7, 0
	s_and_not1_b32 s22, s22, exec_lo
	s_and_b32 s24, vcc_lo, exec_lo
	s_delay_alu instid0(SALU_CYCLE_1)
	s_or_b32 s22, s22, s24
	s_or_b32 exec_lo, exec_lo, s23
	s_and_saveexec_b32 s23, s22
	s_cbranch_execnz .LBB247_257
	s_branch .LBB247_258
.LBB247_553:
	s_mov_b32 s22, -1
	s_mov_b32 s24, exec_lo
	v_cmpx_eq_u16_e32 0x80, v6
; %bb.554:
	s_xor_b32 s22, exec_lo, -1
; %bb.555:
	s_or_b32 exec_lo, exec_lo, s24
	s_delay_alu instid0(SALU_CYCLE_1)
	s_and_b32 s22, s22, exec_lo
	s_or_saveexec_b32 s23, s23
	v_mov_b32_e32 v8, 0x7f800001
	s_xor_b32 exec_lo, exec_lo, s23
	s_cbranch_execz .LBB247_260
.LBB247_556:
	v_cmp_ne_u16_e32 vcc_lo, 0, v6
	v_mov_b32_e32 v8, 0
	s_and_not1_b32 s22, s22, exec_lo
	s_and_b32 s24, vcc_lo, exec_lo
	s_delay_alu instid0(SALU_CYCLE_1)
	s_or_b32 s22, s22, s24
	s_or_b32 exec_lo, exec_lo, s23
	s_and_saveexec_b32 s23, s22
	s_cbranch_execnz .LBB247_261
	s_branch .LBB247_262
.LBB247_557:
	s_mov_b32 s23, -1
	s_mov_b32 s25, exec_lo
	v_cmpx_eq_u16_e32 0x80, v7
; %bb.558:
	s_xor_b32 s23, exec_lo, -1
; %bb.559:
	s_or_b32 exec_lo, exec_lo, s25
	s_delay_alu instid0(SALU_CYCLE_1)
	s_and_b32 s23, s23, exec_lo
	s_or_saveexec_b32 s24, s24
	v_mov_b32_e32 v8, 0x7f800001
	s_xor_b32 exec_lo, exec_lo, s24
	s_cbranch_execz .LBB247_286
.LBB247_560:
	v_cmp_ne_u16_e32 vcc_lo, 0, v7
	v_mov_b32_e32 v8, 0
	s_and_not1_b32 s23, s23, exec_lo
	s_and_b32 s25, vcc_lo, exec_lo
	s_delay_alu instid0(SALU_CYCLE_1)
	s_or_b32 s23, s23, s25
	s_or_b32 exec_lo, exec_lo, s24
	s_and_saveexec_b32 s24, s23
	s_cbranch_execnz .LBB247_287
	s_branch .LBB247_288
.LBB247_561:
	s_mov_b32 s23, -1
	s_mov_b32 s25, exec_lo
	v_cmpx_eq_u16_e32 0x80, v6
; %bb.562:
	s_xor_b32 s23, exec_lo, -1
; %bb.563:
	s_or_b32 exec_lo, exec_lo, s25
	s_delay_alu instid0(SALU_CYCLE_1)
	s_and_b32 s23, s23, exec_lo
	s_or_saveexec_b32 s24, s24
	v_mov_b32_e32 v5, 0x7f800001
	s_xor_b32 exec_lo, exec_lo, s24
	s_cbranch_execz .LBB247_290
.LBB247_564:
	v_cmp_ne_u16_e32 vcc_lo, 0, v6
	v_mov_b32_e32 v5, 0
	s_and_not1_b32 s23, s23, exec_lo
	s_and_b32 s25, vcc_lo, exec_lo
	s_delay_alu instid0(SALU_CYCLE_1)
	s_or_b32 s23, s23, s25
	s_or_b32 exec_lo, exec_lo, s24
	s_and_saveexec_b32 s24, s23
	s_cbranch_execnz .LBB247_291
	s_branch .LBB247_292
.LBB247_565:
	s_mov_b32 s24, -1
	s_mov_b32 s26, exec_lo
	v_cmpx_eq_u16_e32 0x80, v4
; %bb.566:
	s_xor_b32 s24, exec_lo, -1
; %bb.567:
	s_or_b32 exec_lo, exec_lo, s26
	s_delay_alu instid0(SALU_CYCLE_1)
	s_and_b32 s24, s24, exec_lo
	s_or_saveexec_b32 s25, s25
	v_mov_b32_e32 v5, 0x7f800001
	s_xor_b32 exec_lo, exec_lo, s25
	s_cbranch_execz .LBB247_296
.LBB247_568:
	v_cmp_ne_u16_e32 vcc_lo, 0, v4
	v_mov_b32_e32 v5, 0
	s_and_not1_b32 s24, s24, exec_lo
	s_and_b32 s26, vcc_lo, exec_lo
	s_delay_alu instid0(SALU_CYCLE_1)
	s_or_b32 s24, s24, s26
	s_or_b32 exec_lo, exec_lo, s25
	s_and_saveexec_b32 s25, s24
	s_cbranch_execnz .LBB247_297
	s_branch .LBB247_298
.LBB247_569:
	s_mov_b32 s24, -1
	s_mov_b32 s26, exec_lo
	v_cmpx_eq_u16_e32 0x80, v4
; %bb.570:
	s_xor_b32 s24, exec_lo, -1
; %bb.571:
	s_or_b32 exec_lo, exec_lo, s26
	s_delay_alu instid0(SALU_CYCLE_1)
	s_and_b32 s24, s24, exec_lo
	s_or_saveexec_b32 s25, s25
	v_mov_b32_e32 v6, 0x7f800001
	s_xor_b32 exec_lo, exec_lo, s25
	s_cbranch_execz .LBB247_300
.LBB247_572:
	v_cmp_ne_u16_e32 vcc_lo, 0, v4
	v_mov_b32_e32 v6, 0
	s_and_not1_b32 s24, s24, exec_lo
	s_and_b32 s26, vcc_lo, exec_lo
	s_delay_alu instid0(SALU_CYCLE_1)
	s_or_b32 s24, s24, s26
	s_or_b32 exec_lo, exec_lo, s25
	s_and_saveexec_b32 s25, s24
	s_cbranch_execnz .LBB247_301
	s_branch .LBB247_302
.LBB247_573:
	s_mov_b32 s25, -1
	s_mov_b32 s27, exec_lo
	v_cmpx_eq_u16_e32 0x80, v4
; %bb.574:
	s_xor_b32 s25, exec_lo, -1
; %bb.575:
	s_or_b32 exec_lo, exec_lo, s27
	s_delay_alu instid0(SALU_CYCLE_1)
	s_and_b32 s25, s25, exec_lo
	s_or_saveexec_b32 s26, s26
	v_mov_b32_e32 v5, 0x7f800001
	s_xor_b32 exec_lo, exec_lo, s26
	s_cbranch_execz .LBB247_316
.LBB247_576:
	v_cmp_ne_u16_e32 vcc_lo, 0, v4
	v_mov_b32_e32 v5, 0
	s_and_not1_b32 s25, s25, exec_lo
	s_and_b32 s27, vcc_lo, exec_lo
	s_delay_alu instid0(SALU_CYCLE_1)
	s_or_b32 s25, s25, s27
	s_or_b32 exec_lo, exec_lo, s26
	s_and_saveexec_b32 s26, s25
	s_cbranch_execnz .LBB247_317
	s_branch .LBB247_318
.LBB247_577:
	s_mov_b32 s25, -1
	s_mov_b32 s27, exec_lo
	v_cmpx_eq_u16_e32 0x80, v3
; %bb.578:
	s_xor_b32 s25, exec_lo, -1
; %bb.579:
	s_or_b32 exec_lo, exec_lo, s27
	s_delay_alu instid0(SALU_CYCLE_1)
	s_and_b32 s25, s25, exec_lo
	s_or_saveexec_b32 s26, s26
	v_mov_b32_e32 v2, 0x7f800001
	s_xor_b32 exec_lo, exec_lo, s26
	s_cbranch_execz .LBB247_320
.LBB247_580:
	v_cmp_ne_u16_e32 vcc_lo, 0, v3
	v_mov_b32_e32 v2, 0
	s_and_not1_b32 s25, s25, exec_lo
	s_and_b32 s27, vcc_lo, exec_lo
	s_delay_alu instid0(SALU_CYCLE_1)
	s_or_b32 s25, s25, s27
	s_or_b32 exec_lo, exec_lo, s26
	s_and_saveexec_b32 s26, s25
	s_cbranch_execnz .LBB247_321
	s_branch .LBB247_322
	.section	.rodata,"a",@progbits
	.p2align	6, 0x0
	.amdhsa_kernel _ZN2at6native29vectorized_elementwise_kernelILi2ENS0_13BinaryFunctorIN3c1015Float8_e5m2fnuzES4_bNS0_12_GLOBAL__N_116CompareEqFunctorIS4_EEEESt5arrayIPcLm3EEEEviT0_T1_
		.amdhsa_group_segment_fixed_size 0
		.amdhsa_private_segment_fixed_size 0
		.amdhsa_kernarg_size 32
		.amdhsa_user_sgpr_count 2
		.amdhsa_user_sgpr_dispatch_ptr 0
		.amdhsa_user_sgpr_queue_ptr 0
		.amdhsa_user_sgpr_kernarg_segment_ptr 1
		.amdhsa_user_sgpr_dispatch_id 0
		.amdhsa_user_sgpr_kernarg_preload_length 0
		.amdhsa_user_sgpr_kernarg_preload_offset 0
		.amdhsa_user_sgpr_private_segment_size 0
		.amdhsa_wavefront_size32 1
		.amdhsa_uses_dynamic_stack 0
		.amdhsa_enable_private_segment 0
		.amdhsa_system_sgpr_workgroup_id_x 1
		.amdhsa_system_sgpr_workgroup_id_y 0
		.amdhsa_system_sgpr_workgroup_id_z 0
		.amdhsa_system_sgpr_workgroup_info 0
		.amdhsa_system_vgpr_workitem_id 0
		.amdhsa_next_free_vgpr 67
		.amdhsa_next_free_sgpr 33
		.amdhsa_named_barrier_count 0
		.amdhsa_reserve_vcc 1
		.amdhsa_float_round_mode_32 0
		.amdhsa_float_round_mode_16_64 0
		.amdhsa_float_denorm_mode_32 3
		.amdhsa_float_denorm_mode_16_64 3
		.amdhsa_fp16_overflow 0
		.amdhsa_memory_ordered 1
		.amdhsa_forward_progress 1
		.amdhsa_inst_pref_size 156
		.amdhsa_round_robin_scheduling 0
		.amdhsa_exception_fp_ieee_invalid_op 0
		.amdhsa_exception_fp_denorm_src 0
		.amdhsa_exception_fp_ieee_div_zero 0
		.amdhsa_exception_fp_ieee_overflow 0
		.amdhsa_exception_fp_ieee_underflow 0
		.amdhsa_exception_fp_ieee_inexact 0
		.amdhsa_exception_int_div_zero 0
	.end_amdhsa_kernel
	.section	.text._ZN2at6native29vectorized_elementwise_kernelILi2ENS0_13BinaryFunctorIN3c1015Float8_e5m2fnuzES4_bNS0_12_GLOBAL__N_116CompareEqFunctorIS4_EEEESt5arrayIPcLm3EEEEviT0_T1_,"axG",@progbits,_ZN2at6native29vectorized_elementwise_kernelILi2ENS0_13BinaryFunctorIN3c1015Float8_e5m2fnuzES4_bNS0_12_GLOBAL__N_116CompareEqFunctorIS4_EEEESt5arrayIPcLm3EEEEviT0_T1_,comdat
.Lfunc_end247:
	.size	_ZN2at6native29vectorized_elementwise_kernelILi2ENS0_13BinaryFunctorIN3c1015Float8_e5m2fnuzES4_bNS0_12_GLOBAL__N_116CompareEqFunctorIS4_EEEESt5arrayIPcLm3EEEEviT0_T1_, .Lfunc_end247-_ZN2at6native29vectorized_elementwise_kernelILi2ENS0_13BinaryFunctorIN3c1015Float8_e5m2fnuzES4_bNS0_12_GLOBAL__N_116CompareEqFunctorIS4_EEEESt5arrayIPcLm3EEEEviT0_T1_
                                        ; -- End function
	.set _ZN2at6native29vectorized_elementwise_kernelILi2ENS0_13BinaryFunctorIN3c1015Float8_e5m2fnuzES4_bNS0_12_GLOBAL__N_116CompareEqFunctorIS4_EEEESt5arrayIPcLm3EEEEviT0_T1_.num_vgpr, max(32, .L_ZN2at6native25elementwise_kernel_helperILb0ENS0_13BinaryFunctorIN3c1015Float8_e5m2fnuzES4_bNS0_12_GLOBAL__N_116CompareEqFunctorIS4_EEEENS0_6memory8policies11unroll_baseILi256ESt5arrayIPcLm3EE23TrivialOffsetCalculatorILi2EjESF_ILi1EjENS9_15LoadWithoutCastENS9_16StoreWithoutCastELi16ELi1EEEEEvT0_T1_.num_vgpr)
	.set _ZN2at6native29vectorized_elementwise_kernelILi2ENS0_13BinaryFunctorIN3c1015Float8_e5m2fnuzES4_bNS0_12_GLOBAL__N_116CompareEqFunctorIS4_EEEESt5arrayIPcLm3EEEEviT0_T1_.num_agpr, max(0, .L_ZN2at6native25elementwise_kernel_helperILb0ENS0_13BinaryFunctorIN3c1015Float8_e5m2fnuzES4_bNS0_12_GLOBAL__N_116CompareEqFunctorIS4_EEEENS0_6memory8policies11unroll_baseILi256ESt5arrayIPcLm3EE23TrivialOffsetCalculatorILi2EjESF_ILi1EjENS9_15LoadWithoutCastENS9_16StoreWithoutCastELi16ELi1EEEEEvT0_T1_.num_agpr)
	.set _ZN2at6native29vectorized_elementwise_kernelILi2ENS0_13BinaryFunctorIN3c1015Float8_e5m2fnuzES4_bNS0_12_GLOBAL__N_116CompareEqFunctorIS4_EEEESt5arrayIPcLm3EEEEviT0_T1_.numbered_sgpr, max(33, .L_ZN2at6native25elementwise_kernel_helperILb0ENS0_13BinaryFunctorIN3c1015Float8_e5m2fnuzES4_bNS0_12_GLOBAL__N_116CompareEqFunctorIS4_EEEENS0_6memory8policies11unroll_baseILi256ESt5arrayIPcLm3EE23TrivialOffsetCalculatorILi2EjESF_ILi1EjENS9_15LoadWithoutCastENS9_16StoreWithoutCastELi16ELi1EEEEEvT0_T1_.numbered_sgpr)
	.set _ZN2at6native29vectorized_elementwise_kernelILi2ENS0_13BinaryFunctorIN3c1015Float8_e5m2fnuzES4_bNS0_12_GLOBAL__N_116CompareEqFunctorIS4_EEEESt5arrayIPcLm3EEEEviT0_T1_.num_named_barrier, max(0, .L_ZN2at6native25elementwise_kernel_helperILb0ENS0_13BinaryFunctorIN3c1015Float8_e5m2fnuzES4_bNS0_12_GLOBAL__N_116CompareEqFunctorIS4_EEEENS0_6memory8policies11unroll_baseILi256ESt5arrayIPcLm3EE23TrivialOffsetCalculatorILi2EjESF_ILi1EjENS9_15LoadWithoutCastENS9_16StoreWithoutCastELi16ELi1EEEEEvT0_T1_.num_named_barrier)
	.set _ZN2at6native29vectorized_elementwise_kernelILi2ENS0_13BinaryFunctorIN3c1015Float8_e5m2fnuzES4_bNS0_12_GLOBAL__N_116CompareEqFunctorIS4_EEEESt5arrayIPcLm3EEEEviT0_T1_.private_seg_size, 0+max(.L_ZN2at6native25elementwise_kernel_helperILb0ENS0_13BinaryFunctorIN3c1015Float8_e5m2fnuzES4_bNS0_12_GLOBAL__N_116CompareEqFunctorIS4_EEEENS0_6memory8policies11unroll_baseILi256ESt5arrayIPcLm3EE23TrivialOffsetCalculatorILi2EjESF_ILi1EjENS9_15LoadWithoutCastENS9_16StoreWithoutCastELi16ELi1EEEEEvT0_T1_.private_seg_size)
	.set _ZN2at6native29vectorized_elementwise_kernelILi2ENS0_13BinaryFunctorIN3c1015Float8_e5m2fnuzES4_bNS0_12_GLOBAL__N_116CompareEqFunctorIS4_EEEESt5arrayIPcLm3EEEEviT0_T1_.uses_vcc, or(1, .L_ZN2at6native25elementwise_kernel_helperILb0ENS0_13BinaryFunctorIN3c1015Float8_e5m2fnuzES4_bNS0_12_GLOBAL__N_116CompareEqFunctorIS4_EEEENS0_6memory8policies11unroll_baseILi256ESt5arrayIPcLm3EE23TrivialOffsetCalculatorILi2EjESF_ILi1EjENS9_15LoadWithoutCastENS9_16StoreWithoutCastELi16ELi1EEEEEvT0_T1_.uses_vcc)
	.set _ZN2at6native29vectorized_elementwise_kernelILi2ENS0_13BinaryFunctorIN3c1015Float8_e5m2fnuzES4_bNS0_12_GLOBAL__N_116CompareEqFunctorIS4_EEEESt5arrayIPcLm3EEEEviT0_T1_.uses_flat_scratch, or(0, .L_ZN2at6native25elementwise_kernel_helperILb0ENS0_13BinaryFunctorIN3c1015Float8_e5m2fnuzES4_bNS0_12_GLOBAL__N_116CompareEqFunctorIS4_EEEENS0_6memory8policies11unroll_baseILi256ESt5arrayIPcLm3EE23TrivialOffsetCalculatorILi2EjESF_ILi1EjENS9_15LoadWithoutCastENS9_16StoreWithoutCastELi16ELi1EEEEEvT0_T1_.uses_flat_scratch)
	.set _ZN2at6native29vectorized_elementwise_kernelILi2ENS0_13BinaryFunctorIN3c1015Float8_e5m2fnuzES4_bNS0_12_GLOBAL__N_116CompareEqFunctorIS4_EEEESt5arrayIPcLm3EEEEviT0_T1_.has_dyn_sized_stack, or(0, .L_ZN2at6native25elementwise_kernel_helperILb0ENS0_13BinaryFunctorIN3c1015Float8_e5m2fnuzES4_bNS0_12_GLOBAL__N_116CompareEqFunctorIS4_EEEENS0_6memory8policies11unroll_baseILi256ESt5arrayIPcLm3EE23TrivialOffsetCalculatorILi2EjESF_ILi1EjENS9_15LoadWithoutCastENS9_16StoreWithoutCastELi16ELi1EEEEEvT0_T1_.has_dyn_sized_stack)
	.set _ZN2at6native29vectorized_elementwise_kernelILi2ENS0_13BinaryFunctorIN3c1015Float8_e5m2fnuzES4_bNS0_12_GLOBAL__N_116CompareEqFunctorIS4_EEEESt5arrayIPcLm3EEEEviT0_T1_.has_recursion, or(0, .L_ZN2at6native25elementwise_kernel_helperILb0ENS0_13BinaryFunctorIN3c1015Float8_e5m2fnuzES4_bNS0_12_GLOBAL__N_116CompareEqFunctorIS4_EEEENS0_6memory8policies11unroll_baseILi256ESt5arrayIPcLm3EE23TrivialOffsetCalculatorILi2EjESF_ILi1EjENS9_15LoadWithoutCastENS9_16StoreWithoutCastELi16ELi1EEEEEvT0_T1_.has_recursion)
	.set _ZN2at6native29vectorized_elementwise_kernelILi2ENS0_13BinaryFunctorIN3c1015Float8_e5m2fnuzES4_bNS0_12_GLOBAL__N_116CompareEqFunctorIS4_EEEESt5arrayIPcLm3EEEEviT0_T1_.has_indirect_call, or(0, .L_ZN2at6native25elementwise_kernel_helperILb0ENS0_13BinaryFunctorIN3c1015Float8_e5m2fnuzES4_bNS0_12_GLOBAL__N_116CompareEqFunctorIS4_EEEENS0_6memory8policies11unroll_baseILi256ESt5arrayIPcLm3EE23TrivialOffsetCalculatorILi2EjESF_ILi1EjENS9_15LoadWithoutCastENS9_16StoreWithoutCastELi16ELi1EEEEEvT0_T1_.has_indirect_call)
	.section	.AMDGPU.csdata,"",@progbits
; Kernel info:
; codeLenInByte = 19852
; TotalNumSgprs: 35
; NumVgprs: 67
; ScratchSize: 0
; MemoryBound: 0
; FloatMode: 240
; IeeeMode: 1
; LDSByteSize: 0 bytes/workgroup (compile time only)
; SGPRBlocks: 0
; VGPRBlocks: 4
; NumSGPRsForWavesPerEU: 35
; NumVGPRsForWavesPerEU: 67
; NamedBarCnt: 0
; Occupancy: 12
; WaveLimiterHint : 1
; COMPUTE_PGM_RSRC2:SCRATCH_EN: 0
; COMPUTE_PGM_RSRC2:USER_SGPR: 2
; COMPUTE_PGM_RSRC2:TRAP_HANDLER: 0
; COMPUTE_PGM_RSRC2:TGID_X_EN: 1
; COMPUTE_PGM_RSRC2:TGID_Y_EN: 0
; COMPUTE_PGM_RSRC2:TGID_Z_EN: 0
; COMPUTE_PGM_RSRC2:TIDIG_COMP_CNT: 0
	.section	.text._ZN2at6native27unrolled_elementwise_kernelINS0_13BinaryFunctorIN3c1015Float8_e5m2fnuzES4_bNS0_12_GLOBAL__N_116CompareEqFunctorIS4_EEEESt5arrayIPcLm3EELi4E23TrivialOffsetCalculatorILi2EjESC_ILi1EjENS0_6memory15LoadWithoutCastENSF_16StoreWithoutCastEEEviT_T0_T2_T3_T4_T5_,"axG",@progbits,_ZN2at6native27unrolled_elementwise_kernelINS0_13BinaryFunctorIN3c1015Float8_e5m2fnuzES4_bNS0_12_GLOBAL__N_116CompareEqFunctorIS4_EEEESt5arrayIPcLm3EELi4E23TrivialOffsetCalculatorILi2EjESC_ILi1EjENS0_6memory15LoadWithoutCastENSF_16StoreWithoutCastEEEviT_T0_T2_T3_T4_T5_,comdat
	.globl	_ZN2at6native27unrolled_elementwise_kernelINS0_13BinaryFunctorIN3c1015Float8_e5m2fnuzES4_bNS0_12_GLOBAL__N_116CompareEqFunctorIS4_EEEESt5arrayIPcLm3EELi4E23TrivialOffsetCalculatorILi2EjESC_ILi1EjENS0_6memory15LoadWithoutCastENSF_16StoreWithoutCastEEEviT_T0_T2_T3_T4_T5_ ; -- Begin function _ZN2at6native27unrolled_elementwise_kernelINS0_13BinaryFunctorIN3c1015Float8_e5m2fnuzES4_bNS0_12_GLOBAL__N_116CompareEqFunctorIS4_EEEESt5arrayIPcLm3EELi4E23TrivialOffsetCalculatorILi2EjESC_ILi1EjENS0_6memory15LoadWithoutCastENSF_16StoreWithoutCastEEEviT_T0_T2_T3_T4_T5_
	.p2align	8
	.type	_ZN2at6native27unrolled_elementwise_kernelINS0_13BinaryFunctorIN3c1015Float8_e5m2fnuzES4_bNS0_12_GLOBAL__N_116CompareEqFunctorIS4_EEEESt5arrayIPcLm3EELi4E23TrivialOffsetCalculatorILi2EjESC_ILi1EjENS0_6memory15LoadWithoutCastENSF_16StoreWithoutCastEEEviT_T0_T2_T3_T4_T5_,@function
_ZN2at6native27unrolled_elementwise_kernelINS0_13BinaryFunctorIN3c1015Float8_e5m2fnuzES4_bNS0_12_GLOBAL__N_116CompareEqFunctorIS4_EEEESt5arrayIPcLm3EELi4E23TrivialOffsetCalculatorILi2EjESC_ILi1EjENS0_6memory15LoadWithoutCastENSF_16StoreWithoutCastEEEviT_T0_T2_T3_T4_T5_: ; @_ZN2at6native27unrolled_elementwise_kernelINS0_13BinaryFunctorIN3c1015Float8_e5m2fnuzES4_bNS0_12_GLOBAL__N_116CompareEqFunctorIS4_EEEESt5arrayIPcLm3EELi4E23TrivialOffsetCalculatorILi2EjESC_ILi1EjENS0_6memory15LoadWithoutCastENSF_16StoreWithoutCastEEEviT_T0_T2_T3_T4_T5_
; %bb.0:
	s_load_b64 s[2:3], s[0:1], 0x0
	s_bfe_u32 s11, ttmp6, 0x4000c
	s_clause 0x1
	s_load_b128 s[4:7], s[0:1], 0x8
	s_load_b64 s[8:9], s[0:1], 0x18
	s_add_co_i32 s11, s11, 1
	s_and_b32 s10, ttmp6, 15
	s_wait_xcnt 0x0
	s_mul_i32 s0, ttmp9, s11
	s_getreg_b32 s12, hwreg(HW_REG_IB_STS2, 6, 4)
	s_add_co_i32 s10, s10, s0
	s_cmp_eq_u32 s12, 0
	v_dual_mov_b32 v5, 0 :: v_dual_mov_b32 v4, 0
	s_cselect_b32 s0, ttmp9, s10
	v_dual_mov_b32 v3, 0 :: v_dual_mov_b32 v7, 0
	s_lshl_b32 s1, s0, 10
	v_dual_mov_b32 v6, 0 :: v_dual_mov_b32 v10, 0
	v_dual_mov_b32 v8, 0 :: v_dual_bitop2_b32 v2, s1, v0 bitop3:0x54
	v_or_b32_e32 v1, 0x100, v0
	s_wait_kmcnt 0x0
	s_sub_co_i32 s2, s2, s1
	v_dual_mov_b32 v11, 0 :: v_dual_mov_b32 v9, 0
	v_cmp_gt_i32_e64 s0, s2, v0
	s_and_saveexec_b32 s10, s0
	s_cbranch_execz .LBB248_8
; %bb.1:
	s_clause 0x1
	global_load_u8 v11, v2, s[6:7]
	global_load_u8 v9, v2, s[8:9]
	v_or_b32_e32 v12, 0x100, v0
	v_dual_mov_b32 v8, 0 :: v_dual_mov_b32 v10, 0
	v_dual_mov_b32 v6, 0 :: v_dual_mov_b32 v7, 0
	;; [unrolled: 1-line block ×3, first 2 shown]
	s_mov_b32 s11, exec_lo
	s_wait_xcnt 0x0
	v_cmpx_gt_u32_e64 s2, v12
	s_cbranch_execz .LBB248_7
; %bb.2:
	v_dual_mov_b32 v6, 0 :: v_dual_add_nc_u32 v3, s1, v12
	v_or_b32_e32 v12, 0x200, v0
	v_dual_mov_b32 v7, 0 :: v_dual_mov_b32 v4, 0
	s_clause 0x1
	global_load_u8 v10, v3, s[6:7]
	global_load_u8 v8, v3, s[8:9]
	s_wait_xcnt 0x0
	v_mov_b32_e32 v3, 0
	s_mov_b32 s12, exec_lo
	v_cmpx_gt_u32_e64 s2, v12
	s_cbranch_execz .LBB248_6
; %bb.3:
	v_dual_mov_b32 v4, 0 :: v_dual_add_nc_u32 v3, s1, v12
	v_or_b32_e32 v12, 0x300, v0
	s_mov_b32 s13, exec_lo
	s_clause 0x1
	global_load_u8 v7, v3, s[6:7]
	global_load_u8 v6, v3, s[8:9]
	s_wait_xcnt 0x0
	v_mov_b32_e32 v3, 0
	v_cmpx_gt_u32_e64 s2, v12
	s_cbranch_execz .LBB248_5
; %bb.4:
	v_add_nc_u32_e32 v12, s1, v12
	s_clause 0x1
	global_load_u8 v4, v12, s[6:7]
	global_load_u8 v3, v12, s[8:9]
.LBB248_5:
	s_wait_xcnt 0x0
	s_or_b32 exec_lo, exec_lo, s13
.LBB248_6:
	s_delay_alu instid0(SALU_CYCLE_1)
	s_or_b32 exec_lo, exec_lo, s12
.LBB248_7:
	s_delay_alu instid0(SALU_CYCLE_1)
	s_or_b32 exec_lo, exec_lo, s11
.LBB248_8:
	s_delay_alu instid0(SALU_CYCLE_1)
	s_or_b32 exec_lo, exec_lo, s10
	s_cmp_lg_u32 s3, 0
	s_cselect_b32 s3, -1, 0
	s_and_saveexec_b32 s6, s0
	s_cbranch_execz .LBB248_30
; %bb.9:
	s_wait_loadcnt 0x1
	v_and_b32_e32 v5, 0xff, v11
	s_and_b32 vcc_lo, exec_lo, s3
	s_cbranch_vccz .LBB248_19
; %bb.10:
	s_mov_b32 s7, 0
	s_mov_b32 s8, exec_lo
	v_cmpx_lt_i16_e32 0x7f, v5
	s_xor_b32 s8, exec_lo, s8
	s_cbranch_execnz .LBB248_105
; %bb.11:
	s_or_saveexec_b32 s8, s8
	v_mov_b32_e32 v12, 0x7f800001
	s_xor_b32 exec_lo, exec_lo, s8
	s_cbranch_execnz .LBB248_108
.LBB248_12:
	s_or_b32 exec_lo, exec_lo, s8
	s_and_saveexec_b32 s8, s7
	s_cbranch_execz .LBB248_14
.LBB248_13:
	v_and_b32_e32 v12, 3, v11
	v_lshrrev_b16 v14, 2, v11
	s_delay_alu instid0(VALU_DEP_2) | instskip(NEXT) | instid1(VALU_DEP_1)
	v_clz_i32_u32_e32 v13, v12
	v_min_u32_e32 v13, 32, v13
	s_delay_alu instid0(VALU_DEP_3) | instskip(NEXT) | instid1(VALU_DEP_2)
	v_and_b32_e32 v14, 31, v14
	v_subrev_nc_u32_e32 v15, 29, v13
	v_sub_nc_u32_e32 v13, 30, v13
	s_delay_alu instid0(VALU_DEP_3) | instskip(NEXT) | instid1(VALU_DEP_2)
	v_cmp_eq_u32_e32 vcc_lo, 0, v14
	v_dual_lshlrev_b32 v15, v15, v11 :: v_dual_cndmask_b32 v13, v14, v13, vcc_lo
	s_delay_alu instid0(VALU_DEP_1) | instskip(NEXT) | instid1(VALU_DEP_2)
	v_and_b32_e32 v15, 3, v15
	v_lshl_add_u32 v13, v13, 23, 0x37800000
	s_delay_alu instid0(VALU_DEP_2) | instskip(NEXT) | instid1(VALU_DEP_1)
	v_cndmask_b32_e32 v12, v12, v15, vcc_lo
	v_dual_lshlrev_b32 v16, 24, v11 :: v_dual_lshlrev_b32 v12, 21, v12
	s_delay_alu instid0(VALU_DEP_1) | instskip(NEXT) | instid1(VALU_DEP_1)
	v_and_b32_e32 v14, 0x80000000, v16
	v_or3_b32 v12, v14, v13, v12
.LBB248_14:
	s_or_b32 exec_lo, exec_lo, s8
	s_wait_loadcnt 0x0
	v_and_b32_e32 v14, 0xff, v9
	s_mov_b32 s7, 0
	s_mov_b32 s8, exec_lo
	s_delay_alu instid0(VALU_DEP_1)
	v_cmpx_lt_i16_e32 0x7f, v14
	s_xor_b32 s8, exec_lo, s8
	s_cbranch_execnz .LBB248_109
; %bb.15:
	s_or_saveexec_b32 s8, s8
	v_mov_b32_e32 v13, 0x7f800001
	s_xor_b32 exec_lo, exec_lo, s8
	s_cbranch_execnz .LBB248_112
.LBB248_16:
	s_or_b32 exec_lo, exec_lo, s8
	s_and_saveexec_b32 s8, s7
	s_cbranch_execz .LBB248_18
.LBB248_17:
	v_and_b32_e32 v13, 3, v9
	v_lshrrev_b16 v15, 2, v9
	v_lshlrev_b32_e32 v17, 24, v9
	s_delay_alu instid0(VALU_DEP_3) | instskip(NEXT) | instid1(VALU_DEP_1)
	v_clz_i32_u32_e32 v14, v13
	v_min_u32_e32 v14, 32, v14
	s_delay_alu instid0(VALU_DEP_4) | instskip(NEXT) | instid1(VALU_DEP_2)
	v_and_b32_e32 v15, 31, v15
	v_subrev_nc_u32_e32 v16, 29, v14
	v_sub_nc_u32_e32 v14, 30, v14
	s_delay_alu instid0(VALU_DEP_3) | instskip(NEXT) | instid1(VALU_DEP_3)
	v_cmp_eq_u32_e32 vcc_lo, 0, v15
	v_lshlrev_b32_e32 v16, v16, v9
	s_delay_alu instid0(VALU_DEP_1) | instskip(SKIP_1) | instid1(VALU_DEP_2)
	v_dual_cndmask_b32 v14, v15, v14, vcc_lo :: v_dual_bitop2_b32 v16, 3, v16 bitop3:0x40
	v_and_b32_e32 v15, 0x80000000, v17
	v_cndmask_b32_e32 v13, v13, v16, vcc_lo
	s_delay_alu instid0(VALU_DEP_3) | instskip(NEXT) | instid1(VALU_DEP_2)
	v_lshl_add_u32 v14, v14, 23, 0x37800000
	v_lshlrev_b32_e32 v13, 21, v13
	s_delay_alu instid0(VALU_DEP_1)
	v_or3_b32 v13, v15, v14, v13
.LBB248_18:
	s_or_b32 exec_lo, exec_lo, s8
	s_delay_alu instid0(VALU_DEP_1)
	v_cmp_neq_f32_e64 s7, v12, v13
	s_branch .LBB248_29
.LBB248_19:
                                        ; implicit-def: $sgpr7
	s_cbranch_execz .LBB248_29
; %bb.20:
	s_mov_b32 s7, 0
	s_mov_b32 s8, exec_lo
	v_cmpx_lt_i16_e32 0x7f, v5
	s_xor_b32 s8, exec_lo, s8
	s_cbranch_execnz .LBB248_137
; %bb.21:
	s_or_saveexec_b32 s8, s8
	v_mov_b32_e32 v12, 0x7f800001
	s_xor_b32 exec_lo, exec_lo, s8
	s_cbranch_execnz .LBB248_140
.LBB248_22:
	s_or_b32 exec_lo, exec_lo, s8
	s_and_saveexec_b32 s8, s7
	s_cbranch_execz .LBB248_24
.LBB248_23:
	v_and_b32_e32 v5, 3, v11
	v_lshrrev_b16 v13, 2, v11
	s_delay_alu instid0(VALU_DEP_2) | instskip(NEXT) | instid1(VALU_DEP_1)
	v_clz_i32_u32_e32 v12, v5
	v_min_u32_e32 v12, 32, v12
	s_delay_alu instid0(VALU_DEP_3) | instskip(NEXT) | instid1(VALU_DEP_2)
	v_and_b32_e32 v13, 31, v13
	v_subrev_nc_u32_e32 v14, 29, v12
	v_sub_nc_u32_e32 v12, 30, v12
	s_delay_alu instid0(VALU_DEP_3) | instskip(NEXT) | instid1(VALU_DEP_3)
	v_cmp_eq_u32_e32 vcc_lo, 0, v13
	v_dual_lshlrev_b32 v14, v14, v11 :: v_dual_lshlrev_b32 v11, 24, v11
	s_delay_alu instid0(VALU_DEP_1) | instskip(NEXT) | instid1(VALU_DEP_2)
	v_and_b32_e32 v14, 3, v14
	v_and_b32_e32 v11, 0x80000000, v11
	s_delay_alu instid0(VALU_DEP_2) | instskip(NEXT) | instid1(VALU_DEP_1)
	v_cndmask_b32_e32 v5, v5, v14, vcc_lo
	v_dual_cndmask_b32 v12, v13, v12 :: v_dual_lshlrev_b32 v5, 21, v5
	s_delay_alu instid0(VALU_DEP_1) | instskip(NEXT) | instid1(VALU_DEP_1)
	v_lshl_add_u32 v12, v12, 23, 0x37800000
	v_or3_b32 v12, v11, v12, v5
.LBB248_24:
	s_or_b32 exec_lo, exec_lo, s8
	s_wait_loadcnt 0x0
	v_and_b32_e32 v11, 0xff, v9
	s_mov_b32 s7, 0
	s_mov_b32 s8, exec_lo
	s_delay_alu instid0(VALU_DEP_1)
	v_cmpx_lt_i16_e32 0x7f, v11
	s_xor_b32 s8, exec_lo, s8
	s_cbranch_execnz .LBB248_141
; %bb.25:
	s_or_saveexec_b32 s8, s8
	v_mov_b32_e32 v5, 0x7f800001
	s_xor_b32 exec_lo, exec_lo, s8
	s_cbranch_execnz .LBB248_144
.LBB248_26:
	s_or_b32 exec_lo, exec_lo, s8
	s_and_saveexec_b32 s8, s7
	s_cbranch_execz .LBB248_28
.LBB248_27:
	v_and_b32_e32 v5, 3, v9
	v_lshrrev_b16 v13, 2, v9
	s_delay_alu instid0(VALU_DEP_2) | instskip(NEXT) | instid1(VALU_DEP_1)
	v_clz_i32_u32_e32 v11, v5
	v_min_u32_e32 v11, 32, v11
	s_delay_alu instid0(VALU_DEP_3) | instskip(NEXT) | instid1(VALU_DEP_2)
	v_and_b32_e32 v13, 31, v13
	v_subrev_nc_u32_e32 v14, 29, v11
	v_sub_nc_u32_e32 v11, 30, v11
	s_delay_alu instid0(VALU_DEP_3) | instskip(NEXT) | instid1(VALU_DEP_3)
	v_cmp_eq_u32_e32 vcc_lo, 0, v13
	v_dual_lshlrev_b32 v14, v14, v9 :: v_dual_lshlrev_b32 v9, 24, v9
	s_delay_alu instid0(VALU_DEP_1) | instskip(NEXT) | instid1(VALU_DEP_2)
	v_and_b32_e32 v14, 3, v14
	v_and_b32_e32 v9, 0x80000000, v9
	s_delay_alu instid0(VALU_DEP_2) | instskip(NEXT) | instid1(VALU_DEP_1)
	v_cndmask_b32_e32 v5, v5, v14, vcc_lo
	v_dual_cndmask_b32 v11, v13, v11, vcc_lo :: v_dual_lshlrev_b32 v5, 21, v5
	s_delay_alu instid0(VALU_DEP_1) | instskip(NEXT) | instid1(VALU_DEP_1)
	v_lshl_add_u32 v11, v11, 23, 0x37800000
	v_or3_b32 v5, v9, v11, v5
.LBB248_28:
	s_or_b32 exec_lo, exec_lo, s8
	s_delay_alu instid0(VALU_DEP_1)
	v_cmp_eq_f32_e64 s7, v12, v5
.LBB248_29:
	s_delay_alu instid0(VALU_DEP_1)
	v_cndmask_b32_e64 v5, 0, 1, s7
.LBB248_30:
	s_or_b32 exec_lo, exec_lo, s6
	s_wait_loadcnt 0x0
	v_cndmask_b32_e64 v9, 0, 1, s3
	s_mov_b32 s6, exec_lo
	v_cmpx_gt_i32_e64 s2, v1
	s_cbranch_execz .LBB248_52
; %bb.31:
	v_and_b32_e32 v11, 0xff, v10
	s_and_not1_b32 vcc_lo, exec_lo, s3
	s_cbranch_vccnz .LBB248_41
; %bb.32:
	s_mov_b32 s3, 0
	s_mov_b32 s7, exec_lo
	v_cmpx_lt_i16_e32 0x7f, v11
	s_xor_b32 s7, exec_lo, s7
	s_cbranch_execnz .LBB248_113
; %bb.33:
	s_or_saveexec_b32 s7, s7
	v_mov_b32_e32 v12, 0x7f800001
	s_xor_b32 exec_lo, exec_lo, s7
	s_cbranch_execnz .LBB248_116
.LBB248_34:
	s_or_b32 exec_lo, exec_lo, s7
	s_and_saveexec_b32 s7, s3
	s_cbranch_execz .LBB248_36
.LBB248_35:
	v_and_b32_e32 v12, 3, v10
	v_lshrrev_b16 v14, 2, v10
	v_lshlrev_b32_e32 v16, 24, v10
	s_delay_alu instid0(VALU_DEP_3) | instskip(NEXT) | instid1(VALU_DEP_1)
	v_clz_i32_u32_e32 v13, v12
	v_min_u32_e32 v13, 32, v13
	s_delay_alu instid0(VALU_DEP_4) | instskip(NEXT) | instid1(VALU_DEP_2)
	v_and_b32_e32 v14, 31, v14
	v_subrev_nc_u32_e32 v15, 29, v13
	v_sub_nc_u32_e32 v13, 30, v13
	s_delay_alu instid0(VALU_DEP_3) | instskip(NEXT) | instid1(VALU_DEP_3)
	v_cmp_eq_u32_e32 vcc_lo, 0, v14
	v_lshlrev_b32_e32 v15, v15, v10
	s_delay_alu instid0(VALU_DEP_1) | instskip(SKIP_1) | instid1(VALU_DEP_2)
	v_dual_cndmask_b32 v13, v14, v13, vcc_lo :: v_dual_bitop2_b32 v15, 3, v15 bitop3:0x40
	v_and_b32_e32 v14, 0x80000000, v16
	v_cndmask_b32_e32 v12, v12, v15, vcc_lo
	s_delay_alu instid0(VALU_DEP_3) | instskip(NEXT) | instid1(VALU_DEP_2)
	v_lshl_add_u32 v13, v13, 23, 0x37800000
	v_lshlrev_b32_e32 v12, 21, v12
	s_delay_alu instid0(VALU_DEP_1)
	v_or3_b32 v12, v14, v13, v12
.LBB248_36:
	s_or_b32 exec_lo, exec_lo, s7
	v_and_b32_e32 v14, 0xff, v8
	s_mov_b32 s3, 0
	s_mov_b32 s7, exec_lo
	s_delay_alu instid0(VALU_DEP_1)
	v_cmpx_lt_i16_e32 0x7f, v14
	s_xor_b32 s7, exec_lo, s7
	s_cbranch_execnz .LBB248_117
; %bb.37:
	s_or_saveexec_b32 s7, s7
	v_mov_b32_e32 v13, 0x7f800001
	s_xor_b32 exec_lo, exec_lo, s7
	s_cbranch_execnz .LBB248_120
.LBB248_38:
	s_or_b32 exec_lo, exec_lo, s7
	s_and_saveexec_b32 s7, s3
	s_cbranch_execz .LBB248_40
.LBB248_39:
	v_and_b32_e32 v13, 3, v8
	v_lshrrev_b16 v15, 2, v8
	s_delay_alu instid0(VALU_DEP_2) | instskip(NEXT) | instid1(VALU_DEP_1)
	v_clz_i32_u32_e32 v14, v13
	v_min_u32_e32 v14, 32, v14
	s_delay_alu instid0(VALU_DEP_3) | instskip(NEXT) | instid1(VALU_DEP_2)
	v_and_b32_e32 v15, 31, v15
	v_subrev_nc_u32_e32 v16, 29, v14
	v_sub_nc_u32_e32 v14, 30, v14
	s_delay_alu instid0(VALU_DEP_3) | instskip(NEXT) | instid1(VALU_DEP_2)
	v_cmp_eq_u32_e32 vcc_lo, 0, v15
	v_dual_lshlrev_b32 v16, v16, v8 :: v_dual_cndmask_b32 v14, v15, v14, vcc_lo
	s_delay_alu instid0(VALU_DEP_1) | instskip(NEXT) | instid1(VALU_DEP_2)
	v_and_b32_e32 v16, 3, v16
	v_lshl_add_u32 v14, v14, 23, 0x37800000
	s_delay_alu instid0(VALU_DEP_2) | instskip(NEXT) | instid1(VALU_DEP_1)
	v_cndmask_b32_e32 v13, v13, v16, vcc_lo
	v_dual_lshlrev_b32 v17, 24, v8 :: v_dual_lshlrev_b32 v13, 21, v13
	s_delay_alu instid0(VALU_DEP_1) | instskip(NEXT) | instid1(VALU_DEP_1)
	v_and_b32_e32 v15, 0x80000000, v17
	v_or3_b32 v13, v15, v14, v13
.LBB248_40:
	s_or_b32 exec_lo, exec_lo, s7
	s_delay_alu instid0(VALU_DEP_1)
	v_cmp_neq_f32_e64 s3, v12, v13
	s_branch .LBB248_51
.LBB248_41:
                                        ; implicit-def: $sgpr3
	s_cbranch_execz .LBB248_51
; %bb.42:
	s_mov_b32 s3, 0
	s_mov_b32 s7, exec_lo
	v_cmpx_lt_i16_e32 0x7f, v11
	s_xor_b32 s7, exec_lo, s7
	s_cbranch_execnz .LBB248_145
; %bb.43:
	s_or_saveexec_b32 s7, s7
	v_mov_b32_e32 v12, 0x7f800001
	s_xor_b32 exec_lo, exec_lo, s7
	s_cbranch_execnz .LBB248_148
.LBB248_44:
	s_or_b32 exec_lo, exec_lo, s7
	s_and_saveexec_b32 s7, s3
	s_cbranch_execz .LBB248_46
.LBB248_45:
	v_and_b32_e32 v11, 3, v10
	v_lshrrev_b16 v13, 2, v10
	s_delay_alu instid0(VALU_DEP_2) | instskip(NEXT) | instid1(VALU_DEP_1)
	v_clz_i32_u32_e32 v12, v11
	v_min_u32_e32 v12, 32, v12
	s_delay_alu instid0(VALU_DEP_3) | instskip(NEXT) | instid1(VALU_DEP_2)
	v_and_b32_e32 v13, 31, v13
	v_subrev_nc_u32_e32 v14, 29, v12
	v_sub_nc_u32_e32 v12, 30, v12
	s_delay_alu instid0(VALU_DEP_3) | instskip(NEXT) | instid1(VALU_DEP_2)
	v_cmp_eq_u32_e32 vcc_lo, 0, v13
	v_dual_lshlrev_b32 v14, v14, v10 :: v_dual_cndmask_b32 v12, v13, v12, vcc_lo
	s_delay_alu instid0(VALU_DEP_1) | instskip(NEXT) | instid1(VALU_DEP_2)
	v_and_b32_e32 v14, 3, v14
	v_lshl_add_u32 v12, v12, 23, 0x37800000
	s_delay_alu instid0(VALU_DEP_2) | instskip(NEXT) | instid1(VALU_DEP_1)
	v_cndmask_b32_e32 v11, v11, v14, vcc_lo
	v_dual_lshlrev_b32 v10, 24, v10 :: v_dual_lshlrev_b32 v11, 21, v11
	s_delay_alu instid0(VALU_DEP_1) | instskip(NEXT) | instid1(VALU_DEP_1)
	v_and_b32_e32 v10, 0x80000000, v10
	v_or3_b32 v12, v10, v12, v11
.LBB248_46:
	s_or_b32 exec_lo, exec_lo, s7
	v_and_b32_e32 v11, 0xff, v8
	s_mov_b32 s3, 0
	s_mov_b32 s7, exec_lo
	s_delay_alu instid0(VALU_DEP_1)
	v_cmpx_lt_i16_e32 0x7f, v11
	s_xor_b32 s7, exec_lo, s7
	s_cbranch_execnz .LBB248_149
; %bb.47:
	s_or_saveexec_b32 s7, s7
	v_mov_b32_e32 v10, 0x7f800001
	s_xor_b32 exec_lo, exec_lo, s7
	s_cbranch_execnz .LBB248_152
.LBB248_48:
	s_or_b32 exec_lo, exec_lo, s7
	s_and_saveexec_b32 s7, s3
	s_cbranch_execz .LBB248_50
.LBB248_49:
	v_and_b32_e32 v10, 3, v8
	v_lshrrev_b16 v13, 2, v8
	s_delay_alu instid0(VALU_DEP_2) | instskip(NEXT) | instid1(VALU_DEP_1)
	v_clz_i32_u32_e32 v11, v10
	v_min_u32_e32 v11, 32, v11
	s_delay_alu instid0(VALU_DEP_3) | instskip(NEXT) | instid1(VALU_DEP_2)
	v_and_b32_e32 v13, 31, v13
	v_subrev_nc_u32_e32 v14, 29, v11
	v_sub_nc_u32_e32 v11, 30, v11
	s_delay_alu instid0(VALU_DEP_3) | instskip(NEXT) | instid1(VALU_DEP_3)
	v_cmp_eq_u32_e32 vcc_lo, 0, v13
	v_dual_lshlrev_b32 v14, v14, v8 :: v_dual_lshlrev_b32 v8, 24, v8
	s_delay_alu instid0(VALU_DEP_1) | instskip(NEXT) | instid1(VALU_DEP_2)
	v_dual_cndmask_b32 v11, v13, v11, vcc_lo :: v_dual_bitop2_b32 v14, 3, v14 bitop3:0x40
	v_and_b32_e32 v8, 0x80000000, v8
	s_delay_alu instid0(VALU_DEP_2) | instskip(NEXT) | instid1(VALU_DEP_3)
	v_cndmask_b32_e32 v10, v10, v14, vcc_lo
	v_lshl_add_u32 v11, v11, 23, 0x37800000
	s_delay_alu instid0(VALU_DEP_2) | instskip(NEXT) | instid1(VALU_DEP_1)
	v_lshlrev_b32_e32 v10, 21, v10
	v_or3_b32 v10, v8, v11, v10
.LBB248_50:
	s_or_b32 exec_lo, exec_lo, s7
	s_delay_alu instid0(VALU_DEP_1)
	v_cmp_eq_f32_e64 s3, v12, v10
.LBB248_51:
	s_delay_alu instid0(VALU_DEP_1) | instskip(NEXT) | instid1(VALU_DEP_1)
	v_cndmask_b32_e64 v8, 0, 1, s3
	v_lshlrev_b16 v8, 8, v8
	s_delay_alu instid0(VALU_DEP_1) | instskip(NEXT) | instid1(VALU_DEP_1)
	v_or_b32_e32 v5, v5, v8
	v_and_b32_e32 v5, 0xffff, v5
.LBB248_52:
	s_or_b32 exec_lo, exec_lo, s6
	v_or_b32_e32 v8, 0x200, v0
	s_mov_b32 s3, exec_lo
	s_delay_alu instid0(VALU_DEP_1)
	v_cmpx_gt_i32_e64 s2, v8
	s_cbranch_execz .LBB248_74
; %bb.53:
	v_cmp_ne_u32_e32 vcc_lo, 1, v9
	v_and_b32_e32 v8, 0xff, v7
	s_cbranch_vccnz .LBB248_63
; %bb.54:
	s_mov_b32 s6, 0
	s_mov_b32 s7, exec_lo
	s_delay_alu instid0(VALU_DEP_1)
	v_cmpx_lt_i16_e32 0x7f, v8
	s_xor_b32 s7, exec_lo, s7
	s_cbranch_execnz .LBB248_121
; %bb.55:
	s_or_saveexec_b32 s7, s7
	v_mov_b32_e32 v10, 0x7f800001
	s_xor_b32 exec_lo, exec_lo, s7
	s_cbranch_execnz .LBB248_124
.LBB248_56:
	s_or_b32 exec_lo, exec_lo, s7
	s_and_saveexec_b32 s7, s6
	s_cbranch_execz .LBB248_58
.LBB248_57:
	v_and_b32_e32 v10, 3, v7
	v_lshrrev_b16 v12, 2, v7
	v_lshlrev_b32_e32 v14, 24, v7
	s_delay_alu instid0(VALU_DEP_3) | instskip(NEXT) | instid1(VALU_DEP_1)
	v_clz_i32_u32_e32 v11, v10
	v_min_u32_e32 v11, 32, v11
	s_delay_alu instid0(VALU_DEP_4) | instskip(NEXT) | instid1(VALU_DEP_2)
	v_and_b32_e32 v12, 31, v12
	v_subrev_nc_u32_e32 v13, 29, v11
	v_sub_nc_u32_e32 v11, 30, v11
	s_delay_alu instid0(VALU_DEP_3) | instskip(NEXT) | instid1(VALU_DEP_3)
	v_cmp_eq_u32_e32 vcc_lo, 0, v12
	v_lshlrev_b32_e32 v13, v13, v7
	s_delay_alu instid0(VALU_DEP_1) | instskip(SKIP_1) | instid1(VALU_DEP_2)
	v_dual_cndmask_b32 v11, v12, v11, vcc_lo :: v_dual_bitop2_b32 v13, 3, v13 bitop3:0x40
	v_and_b32_e32 v12, 0x80000000, v14
	v_cndmask_b32_e32 v10, v10, v13, vcc_lo
	s_delay_alu instid0(VALU_DEP_3) | instskip(NEXT) | instid1(VALU_DEP_2)
	v_lshl_add_u32 v11, v11, 23, 0x37800000
	v_lshlrev_b32_e32 v10, 21, v10
	s_delay_alu instid0(VALU_DEP_1)
	v_or3_b32 v10, v12, v11, v10
.LBB248_58:
	s_or_b32 exec_lo, exec_lo, s7
	v_and_b32_e32 v12, 0xff, v6
	s_mov_b32 s6, 0
	s_mov_b32 s7, exec_lo
	s_delay_alu instid0(VALU_DEP_1)
	v_cmpx_lt_i16_e32 0x7f, v12
	s_xor_b32 s7, exec_lo, s7
	s_cbranch_execnz .LBB248_125
; %bb.59:
	s_or_saveexec_b32 s7, s7
	v_mov_b32_e32 v11, 0x7f800001
	s_xor_b32 exec_lo, exec_lo, s7
	s_cbranch_execnz .LBB248_128
.LBB248_60:
	s_or_b32 exec_lo, exec_lo, s7
	s_and_saveexec_b32 s7, s6
	s_cbranch_execz .LBB248_62
.LBB248_61:
	v_and_b32_e32 v11, 3, v6
	v_lshrrev_b16 v13, 2, v6
	s_delay_alu instid0(VALU_DEP_2) | instskip(NEXT) | instid1(VALU_DEP_1)
	v_clz_i32_u32_e32 v12, v11
	v_min_u32_e32 v12, 32, v12
	s_delay_alu instid0(VALU_DEP_3) | instskip(NEXT) | instid1(VALU_DEP_2)
	v_and_b32_e32 v13, 31, v13
	v_subrev_nc_u32_e32 v14, 29, v12
	v_sub_nc_u32_e32 v12, 30, v12
	s_delay_alu instid0(VALU_DEP_3) | instskip(NEXT) | instid1(VALU_DEP_2)
	v_cmp_eq_u32_e32 vcc_lo, 0, v13
	v_dual_lshlrev_b32 v14, v14, v6 :: v_dual_cndmask_b32 v12, v13, v12, vcc_lo
	s_delay_alu instid0(VALU_DEP_1) | instskip(NEXT) | instid1(VALU_DEP_2)
	v_and_b32_e32 v14, 3, v14
	v_lshl_add_u32 v12, v12, 23, 0x37800000
	s_delay_alu instid0(VALU_DEP_2) | instskip(NEXT) | instid1(VALU_DEP_1)
	v_cndmask_b32_e32 v11, v11, v14, vcc_lo
	v_dual_lshlrev_b32 v15, 24, v6 :: v_dual_lshlrev_b32 v11, 21, v11
	s_delay_alu instid0(VALU_DEP_1) | instskip(NEXT) | instid1(VALU_DEP_1)
	v_and_b32_e32 v13, 0x80000000, v15
	v_or3_b32 v11, v13, v12, v11
.LBB248_62:
	s_or_b32 exec_lo, exec_lo, s7
	s_delay_alu instid0(VALU_DEP_1)
	v_cmp_neq_f32_e64 s6, v10, v11
	s_branch .LBB248_73
.LBB248_63:
                                        ; implicit-def: $sgpr6
	s_cbranch_execz .LBB248_73
; %bb.64:
	s_mov_b32 s6, 0
	s_mov_b32 s7, exec_lo
	v_cmpx_lt_i16_e32 0x7f, v8
	s_xor_b32 s7, exec_lo, s7
	s_cbranch_execnz .LBB248_153
; %bb.65:
	s_or_saveexec_b32 s7, s7
	v_mov_b32_e32 v10, 0x7f800001
	s_xor_b32 exec_lo, exec_lo, s7
	s_cbranch_execnz .LBB248_156
.LBB248_66:
	s_or_b32 exec_lo, exec_lo, s7
	s_and_saveexec_b32 s7, s6
	s_cbranch_execz .LBB248_68
.LBB248_67:
	v_and_b32_e32 v8, 3, v7
	v_lshrrev_b16 v11, 2, v7
	s_delay_alu instid0(VALU_DEP_2) | instskip(NEXT) | instid1(VALU_DEP_1)
	v_clz_i32_u32_e32 v10, v8
	v_min_u32_e32 v10, 32, v10
	s_delay_alu instid0(VALU_DEP_3) | instskip(NEXT) | instid1(VALU_DEP_2)
	v_and_b32_e32 v11, 31, v11
	v_subrev_nc_u32_e32 v12, 29, v10
	v_sub_nc_u32_e32 v10, 30, v10
	s_delay_alu instid0(VALU_DEP_3) | instskip(NEXT) | instid1(VALU_DEP_3)
	v_cmp_eq_u32_e32 vcc_lo, 0, v11
	v_dual_lshlrev_b32 v12, v12, v7 :: v_dual_lshlrev_b32 v7, 24, v7
	s_delay_alu instid0(VALU_DEP_1) | instskip(NEXT) | instid1(VALU_DEP_2)
	v_dual_cndmask_b32 v10, v11, v10, vcc_lo :: v_dual_bitop2_b32 v12, 3, v12 bitop3:0x40
	v_and_b32_e32 v7, 0x80000000, v7
	s_delay_alu instid0(VALU_DEP_2) | instskip(NEXT) | instid1(VALU_DEP_3)
	v_cndmask_b32_e32 v8, v8, v12, vcc_lo
	v_lshl_add_u32 v10, v10, 23, 0x37800000
	s_delay_alu instid0(VALU_DEP_2) | instskip(NEXT) | instid1(VALU_DEP_1)
	v_lshlrev_b32_e32 v8, 21, v8
	v_or3_b32 v10, v7, v10, v8
.LBB248_68:
	s_or_b32 exec_lo, exec_lo, s7
	v_and_b32_e32 v8, 0xff, v6
	s_mov_b32 s6, 0
	s_mov_b32 s7, exec_lo
	s_delay_alu instid0(VALU_DEP_1)
	v_cmpx_lt_i16_e32 0x7f, v8
	s_xor_b32 s7, exec_lo, s7
	s_cbranch_execnz .LBB248_157
; %bb.69:
	s_or_saveexec_b32 s7, s7
	v_mov_b32_e32 v7, 0x7f800001
	s_xor_b32 exec_lo, exec_lo, s7
	s_cbranch_execnz .LBB248_160
.LBB248_70:
	s_or_b32 exec_lo, exec_lo, s7
	s_and_saveexec_b32 s7, s6
	s_cbranch_execz .LBB248_72
.LBB248_71:
	v_and_b32_e32 v7, 3, v6
	v_lshrrev_b16 v11, 2, v6
	s_delay_alu instid0(VALU_DEP_2) | instskip(NEXT) | instid1(VALU_DEP_1)
	v_clz_i32_u32_e32 v8, v7
	v_min_u32_e32 v8, 32, v8
	s_delay_alu instid0(VALU_DEP_3) | instskip(NEXT) | instid1(VALU_DEP_2)
	v_and_b32_e32 v11, 31, v11
	v_subrev_nc_u32_e32 v12, 29, v8
	v_sub_nc_u32_e32 v8, 30, v8
	s_delay_alu instid0(VALU_DEP_3) | instskip(NEXT) | instid1(VALU_DEP_3)
	v_cmp_eq_u32_e32 vcc_lo, 0, v11
	v_dual_lshlrev_b32 v12, v12, v6 :: v_dual_lshlrev_b32 v6, 24, v6
	s_delay_alu instid0(VALU_DEP_1) | instskip(NEXT) | instid1(VALU_DEP_2)
	v_and_b32_e32 v12, 3, v12
	v_and_b32_e32 v6, 0x80000000, v6
	s_delay_alu instid0(VALU_DEP_2) | instskip(NEXT) | instid1(VALU_DEP_1)
	v_cndmask_b32_e32 v7, v7, v12, vcc_lo
	v_dual_cndmask_b32 v8, v11, v8 :: v_dual_lshlrev_b32 v7, 21, v7
	s_delay_alu instid0(VALU_DEP_1) | instskip(NEXT) | instid1(VALU_DEP_1)
	v_lshl_add_u32 v8, v8, 23, 0x37800000
	v_or3_b32 v7, v6, v8, v7
.LBB248_72:
	s_or_b32 exec_lo, exec_lo, s7
	s_delay_alu instid0(VALU_DEP_1)
	v_cmp_eq_f32_e64 s6, v10, v7
.LBB248_73:
	s_delay_alu instid0(VALU_DEP_1) | instskip(NEXT) | instid1(VALU_DEP_1)
	v_cndmask_b32_e64 v6, 0, 1, s6
	v_lshl_or_b32 v5, v6, 16, v5
.LBB248_74:
	s_or_b32 exec_lo, exec_lo, s3
	v_or_b32_e32 v6, 0x300, v0
	s_mov_b32 s3, exec_lo
	s_delay_alu instid0(VALU_DEP_1)
	v_cmpx_gt_i32_e64 s2, v6
	s_cbranch_execz .LBB248_96
; %bb.75:
	v_cmp_ne_u32_e32 vcc_lo, 1, v9
	v_and_b32_e32 v6, 0xff, v4
	s_cbranch_vccnz .LBB248_85
; %bb.76:
	s_mov_b32 s6, 0
	s_mov_b32 s7, exec_lo
	s_delay_alu instid0(VALU_DEP_1)
	v_cmpx_lt_i16_e32 0x7f, v6
	s_xor_b32 s7, exec_lo, s7
	s_cbranch_execnz .LBB248_129
; %bb.77:
	s_or_saveexec_b32 s7, s7
	v_mov_b32_e32 v7, 0x7f800001
	s_xor_b32 exec_lo, exec_lo, s7
	s_cbranch_execnz .LBB248_132
.LBB248_78:
	s_or_b32 exec_lo, exec_lo, s7
	s_and_saveexec_b32 s7, s6
	s_cbranch_execz .LBB248_80
.LBB248_79:
	v_and_b32_e32 v7, 3, v4
	v_lshrrev_b16 v9, 2, v4
	v_lshlrev_b32_e32 v11, 24, v4
	s_delay_alu instid0(VALU_DEP_3) | instskip(NEXT) | instid1(VALU_DEP_1)
	v_clz_i32_u32_e32 v8, v7
	v_min_u32_e32 v8, 32, v8
	s_delay_alu instid0(VALU_DEP_4) | instskip(NEXT) | instid1(VALU_DEP_2)
	v_and_b32_e32 v9, 31, v9
	v_subrev_nc_u32_e32 v10, 29, v8
	v_sub_nc_u32_e32 v8, 30, v8
	s_delay_alu instid0(VALU_DEP_3) | instskip(NEXT) | instid1(VALU_DEP_3)
	v_cmp_eq_u32_e32 vcc_lo, 0, v9
	v_lshlrev_b32_e32 v10, v10, v4
	s_delay_alu instid0(VALU_DEP_1) | instskip(SKIP_1) | instid1(VALU_DEP_2)
	v_dual_cndmask_b32 v8, v9, v8, vcc_lo :: v_dual_bitop2_b32 v10, 3, v10 bitop3:0x40
	v_and_b32_e32 v9, 0x80000000, v11
	v_cndmask_b32_e32 v7, v7, v10, vcc_lo
	s_delay_alu instid0(VALU_DEP_3) | instskip(NEXT) | instid1(VALU_DEP_2)
	v_lshl_add_u32 v8, v8, 23, 0x37800000
	v_lshlrev_b32_e32 v7, 21, v7
	s_delay_alu instid0(VALU_DEP_1)
	v_or3_b32 v7, v9, v8, v7
.LBB248_80:
	s_or_b32 exec_lo, exec_lo, s7
	v_and_b32_e32 v9, 0xff, v3
	s_mov_b32 s6, 0
	s_mov_b32 s7, exec_lo
	s_delay_alu instid0(VALU_DEP_1)
	v_cmpx_lt_i16_e32 0x7f, v9
	s_xor_b32 s7, exec_lo, s7
	s_cbranch_execnz .LBB248_133
; %bb.81:
	s_or_saveexec_b32 s7, s7
	v_mov_b32_e32 v8, 0x7f800001
	s_xor_b32 exec_lo, exec_lo, s7
	s_cbranch_execnz .LBB248_136
.LBB248_82:
	s_or_b32 exec_lo, exec_lo, s7
	s_and_saveexec_b32 s7, s6
	s_cbranch_execz .LBB248_84
.LBB248_83:
	v_and_b32_e32 v8, 3, v3
	v_lshrrev_b16 v10, 2, v3
	s_delay_alu instid0(VALU_DEP_2) | instskip(NEXT) | instid1(VALU_DEP_1)
	v_clz_i32_u32_e32 v9, v8
	v_min_u32_e32 v9, 32, v9
	s_delay_alu instid0(VALU_DEP_3) | instskip(NEXT) | instid1(VALU_DEP_2)
	v_and_b32_e32 v10, 31, v10
	v_subrev_nc_u32_e32 v11, 29, v9
	v_sub_nc_u32_e32 v9, 30, v9
	s_delay_alu instid0(VALU_DEP_3) | instskip(NEXT) | instid1(VALU_DEP_2)
	v_cmp_eq_u32_e32 vcc_lo, 0, v10
	v_dual_lshlrev_b32 v11, v11, v3 :: v_dual_cndmask_b32 v9, v10, v9, vcc_lo
	s_delay_alu instid0(VALU_DEP_1) | instskip(NEXT) | instid1(VALU_DEP_2)
	v_and_b32_e32 v11, 3, v11
	v_lshl_add_u32 v9, v9, 23, 0x37800000
	s_delay_alu instid0(VALU_DEP_2) | instskip(NEXT) | instid1(VALU_DEP_1)
	v_cndmask_b32_e32 v8, v8, v11, vcc_lo
	v_dual_lshlrev_b32 v12, 24, v3 :: v_dual_lshlrev_b32 v8, 21, v8
	s_delay_alu instid0(VALU_DEP_1) | instskip(NEXT) | instid1(VALU_DEP_1)
	v_and_b32_e32 v10, 0x80000000, v12
	v_or3_b32 v8, v10, v9, v8
.LBB248_84:
	s_or_b32 exec_lo, exec_lo, s7
	s_delay_alu instid0(VALU_DEP_1)
	v_cmp_neq_f32_e64 s6, v7, v8
	s_branch .LBB248_95
.LBB248_85:
                                        ; implicit-def: $sgpr6
	s_cbranch_execz .LBB248_95
; %bb.86:
	s_mov_b32 s6, 0
	s_mov_b32 s7, exec_lo
	v_cmpx_lt_i16_e32 0x7f, v6
	s_xor_b32 s7, exec_lo, s7
	s_cbranch_execnz .LBB248_161
; %bb.87:
	s_or_saveexec_b32 s7, s7
	v_mov_b32_e32 v7, 0x7f800001
	s_xor_b32 exec_lo, exec_lo, s7
	s_cbranch_execnz .LBB248_164
.LBB248_88:
	s_or_b32 exec_lo, exec_lo, s7
	s_and_saveexec_b32 s7, s6
	s_cbranch_execz .LBB248_90
.LBB248_89:
	v_and_b32_e32 v6, 3, v4
	v_lshrrev_b16 v8, 2, v4
	s_delay_alu instid0(VALU_DEP_2) | instskip(NEXT) | instid1(VALU_DEP_1)
	v_clz_i32_u32_e32 v7, v6
	v_min_u32_e32 v7, 32, v7
	s_delay_alu instid0(VALU_DEP_3) | instskip(NEXT) | instid1(VALU_DEP_2)
	v_and_b32_e32 v8, 31, v8
	v_subrev_nc_u32_e32 v9, 29, v7
	v_sub_nc_u32_e32 v7, 30, v7
	s_delay_alu instid0(VALU_DEP_3) | instskip(NEXT) | instid1(VALU_DEP_3)
	v_cmp_eq_u32_e32 vcc_lo, 0, v8
	v_dual_lshlrev_b32 v9, v9, v4 :: v_dual_lshlrev_b32 v4, 24, v4
	s_delay_alu instid0(VALU_DEP_1) | instskip(NEXT) | instid1(VALU_DEP_2)
	v_dual_cndmask_b32 v7, v8, v7, vcc_lo :: v_dual_bitop2_b32 v9, 3, v9 bitop3:0x40
	v_and_b32_e32 v4, 0x80000000, v4
	s_delay_alu instid0(VALU_DEP_2) | instskip(NEXT) | instid1(VALU_DEP_3)
	v_cndmask_b32_e32 v6, v6, v9, vcc_lo
	v_lshl_add_u32 v7, v7, 23, 0x37800000
	s_delay_alu instid0(VALU_DEP_2) | instskip(NEXT) | instid1(VALU_DEP_1)
	v_lshlrev_b32_e32 v6, 21, v6
	v_or3_b32 v7, v4, v7, v6
.LBB248_90:
	s_or_b32 exec_lo, exec_lo, s7
	v_and_b32_e32 v6, 0xff, v3
	s_mov_b32 s6, 0
	s_mov_b32 s7, exec_lo
	s_delay_alu instid0(VALU_DEP_1)
	v_cmpx_lt_i16_e32 0x7f, v6
	s_xor_b32 s7, exec_lo, s7
	s_cbranch_execnz .LBB248_165
; %bb.91:
	s_or_saveexec_b32 s7, s7
	v_mov_b32_e32 v4, 0x7f800001
	s_xor_b32 exec_lo, exec_lo, s7
	s_cbranch_execnz .LBB248_168
.LBB248_92:
	s_or_b32 exec_lo, exec_lo, s7
	s_and_saveexec_b32 s7, s6
	s_cbranch_execz .LBB248_94
.LBB248_93:
	v_and_b32_e32 v4, 3, v3
	v_lshrrev_b16 v8, 2, v3
	s_delay_alu instid0(VALU_DEP_2) | instskip(NEXT) | instid1(VALU_DEP_1)
	v_clz_i32_u32_e32 v6, v4
	v_min_u32_e32 v6, 32, v6
	s_delay_alu instid0(VALU_DEP_3) | instskip(NEXT) | instid1(VALU_DEP_2)
	v_and_b32_e32 v8, 31, v8
	v_subrev_nc_u32_e32 v9, 29, v6
	v_sub_nc_u32_e32 v6, 30, v6
	s_delay_alu instid0(VALU_DEP_3) | instskip(NEXT) | instid1(VALU_DEP_3)
	v_cmp_eq_u32_e32 vcc_lo, 0, v8
	v_dual_lshlrev_b32 v9, v9, v3 :: v_dual_lshlrev_b32 v3, 24, v3
	s_delay_alu instid0(VALU_DEP_1) | instskip(NEXT) | instid1(VALU_DEP_2)
	v_and_b32_e32 v9, 3, v9
	v_and_b32_e32 v3, 0x80000000, v3
	s_delay_alu instid0(VALU_DEP_2) | instskip(NEXT) | instid1(VALU_DEP_1)
	v_cndmask_b32_e32 v4, v4, v9, vcc_lo
	v_dual_cndmask_b32 v6, v8, v6, vcc_lo :: v_dual_lshlrev_b32 v4, 21, v4
	s_delay_alu instid0(VALU_DEP_1) | instskip(NEXT) | instid1(VALU_DEP_1)
	v_lshl_add_u32 v6, v6, 23, 0x37800000
	v_or3_b32 v4, v3, v6, v4
.LBB248_94:
	s_or_b32 exec_lo, exec_lo, s7
	s_delay_alu instid0(VALU_DEP_1)
	v_cmp_eq_f32_e64 s6, v7, v4
.LBB248_95:
	s_delay_alu instid0(VALU_DEP_1) | instskip(SKIP_1) | instid1(VALU_DEP_2)
	v_cndmask_b32_e64 v3, 0, 1, s6
	v_lshrrev_b32_e32 v4, 16, v5
	v_lshlrev_b16 v3, 8, v3
	s_delay_alu instid0(VALU_DEP_1) | instskip(NEXT) | instid1(VALU_DEP_1)
	v_or_b32_e32 v3, v4, v3
	v_lshlrev_b32_e32 v3, 16, v3
	s_delay_alu instid0(VALU_DEP_1)
	v_and_or_b32 v5, 0xffff, v5, v3
.LBB248_96:
	s_or_b32 exec_lo, exec_lo, s3
	s_and_saveexec_b32 s3, s0
	s_delay_alu instid0(SALU_CYCLE_1)
	s_xor_b32 s0, exec_lo, s3
	s_cbranch_execz .LBB248_98
; %bb.97:
	v_mov_b32_e32 v0, v1
	global_store_b8 v2, v5, s[4:5]
.LBB248_98:
	s_wait_xcnt 0x0
	s_or_b32 exec_lo, exec_lo, s0
	s_delay_alu instid0(SALU_CYCLE_1)
	s_mov_b32 s0, exec_lo
	v_cmpx_gt_i32_e64 s2, v0
	s_cbranch_execnz .LBB248_102
; %bb.99:
	s_or_b32 exec_lo, exec_lo, s0
	s_delay_alu instid0(SALU_CYCLE_1)
	s_mov_b32 s0, exec_lo
	v_cmpx_gt_i32_e64 s2, v0
	s_cbranch_execnz .LBB248_103
.LBB248_100:
	s_or_b32 exec_lo, exec_lo, s0
	s_delay_alu instid0(SALU_CYCLE_1)
	s_mov_b32 s0, exec_lo
	v_cmpx_gt_i32_e64 s2, v0
	s_cbranch_execnz .LBB248_104
.LBB248_101:
	s_endpgm
.LBB248_102:
	v_add_nc_u32_e32 v1, 0x100, v0
	v_dual_add_nc_u32 v2, s1, v0 :: v_dual_lshrrev_b32 v3, 8, v5
	s_delay_alu instid0(VALU_DEP_2) | instskip(SKIP_3) | instid1(SALU_CYCLE_1)
	v_mov_b32_e32 v0, v1
	global_store_b8 v2, v3, s[4:5]
	s_wait_xcnt 0x0
	s_or_b32 exec_lo, exec_lo, s0
	s_mov_b32 s0, exec_lo
	v_cmpx_gt_i32_e64 s2, v0
	s_cbranch_execz .LBB248_100
.LBB248_103:
	v_add_nc_u32_e32 v1, 0x100, v0
	s_delay_alu instid0(VALU_DEP_1) | instskip(SKIP_3) | instid1(SALU_CYCLE_1)
	v_dual_add_nc_u32 v2, s1, v0 :: v_dual_mov_b32 v0, v1
	global_store_d16_hi_b8 v2, v5, s[4:5]
	s_wait_xcnt 0x0
	s_or_b32 exec_lo, exec_lo, s0
	s_mov_b32 s0, exec_lo
	v_cmpx_gt_i32_e64 s2, v0
	s_cbranch_execz .LBB248_101
.LBB248_104:
	v_dual_add_nc_u32 v0, s1, v0 :: v_dual_lshrrev_b32 v1, 24, v5
	global_store_b8 v0, v1, s[4:5]
	s_endpgm
.LBB248_105:
	s_mov_b32 s7, -1
	s_mov_b32 s9, exec_lo
	v_cmpx_eq_u16_e32 0x80, v5
; %bb.106:
	s_xor_b32 s7, exec_lo, -1
; %bb.107:
	s_or_b32 exec_lo, exec_lo, s9
	s_delay_alu instid0(SALU_CYCLE_1)
	s_and_b32 s7, s7, exec_lo
	s_or_saveexec_b32 s8, s8
	v_mov_b32_e32 v12, 0x7f800001
	s_xor_b32 exec_lo, exec_lo, s8
	s_cbranch_execz .LBB248_12
.LBB248_108:
	v_cmp_ne_u16_e32 vcc_lo, 0, v5
	v_mov_b32_e32 v12, 0
	s_and_not1_b32 s7, s7, exec_lo
	s_and_b32 s9, vcc_lo, exec_lo
	s_delay_alu instid0(SALU_CYCLE_1)
	s_or_b32 s7, s7, s9
	s_or_b32 exec_lo, exec_lo, s8
	s_and_saveexec_b32 s8, s7
	s_cbranch_execnz .LBB248_13
	s_branch .LBB248_14
.LBB248_109:
	s_mov_b32 s7, -1
	s_mov_b32 s9, exec_lo
	v_cmpx_eq_u16_e32 0x80, v14
; %bb.110:
	s_xor_b32 s7, exec_lo, -1
; %bb.111:
	s_or_b32 exec_lo, exec_lo, s9
	s_delay_alu instid0(SALU_CYCLE_1)
	s_and_b32 s7, s7, exec_lo
                                        ; implicit-def: $vgpr14
	s_or_saveexec_b32 s8, s8
	v_mov_b32_e32 v13, 0x7f800001
	s_xor_b32 exec_lo, exec_lo, s8
	s_cbranch_execz .LBB248_16
.LBB248_112:
	v_cmp_ne_u16_e32 vcc_lo, 0, v14
	v_mov_b32_e32 v13, 0
	s_and_not1_b32 s7, s7, exec_lo
	s_and_b32 s9, vcc_lo, exec_lo
	s_delay_alu instid0(SALU_CYCLE_1)
	s_or_b32 s7, s7, s9
	s_or_b32 exec_lo, exec_lo, s8
	s_and_saveexec_b32 s8, s7
	s_cbranch_execnz .LBB248_17
	s_branch .LBB248_18
.LBB248_113:
	s_mov_b32 s3, -1
	s_mov_b32 s8, exec_lo
	v_cmpx_eq_u16_e32 0x80, v11
; %bb.114:
	s_xor_b32 s3, exec_lo, -1
; %bb.115:
	s_or_b32 exec_lo, exec_lo, s8
	s_delay_alu instid0(SALU_CYCLE_1)
	s_and_b32 s3, s3, exec_lo
	s_or_saveexec_b32 s7, s7
	v_mov_b32_e32 v12, 0x7f800001
	s_xor_b32 exec_lo, exec_lo, s7
	s_cbranch_execz .LBB248_34
.LBB248_116:
	v_cmp_ne_u16_e32 vcc_lo, 0, v11
	v_mov_b32_e32 v12, 0
	s_and_not1_b32 s3, s3, exec_lo
	s_and_b32 s8, vcc_lo, exec_lo
	s_delay_alu instid0(SALU_CYCLE_1)
	s_or_b32 s3, s3, s8
	s_or_b32 exec_lo, exec_lo, s7
	s_and_saveexec_b32 s7, s3
	s_cbranch_execnz .LBB248_35
	s_branch .LBB248_36
.LBB248_117:
	s_mov_b32 s3, -1
	s_mov_b32 s8, exec_lo
	v_cmpx_eq_u16_e32 0x80, v14
; %bb.118:
	s_xor_b32 s3, exec_lo, -1
; %bb.119:
	s_or_b32 exec_lo, exec_lo, s8
	s_delay_alu instid0(SALU_CYCLE_1)
	s_and_b32 s3, s3, exec_lo
                                        ; implicit-def: $vgpr14
	s_or_saveexec_b32 s7, s7
	v_mov_b32_e32 v13, 0x7f800001
	s_xor_b32 exec_lo, exec_lo, s7
	s_cbranch_execz .LBB248_38
.LBB248_120:
	v_cmp_ne_u16_e32 vcc_lo, 0, v14
	v_mov_b32_e32 v13, 0
	s_and_not1_b32 s3, s3, exec_lo
	s_and_b32 s8, vcc_lo, exec_lo
	s_delay_alu instid0(SALU_CYCLE_1)
	s_or_b32 s3, s3, s8
	s_or_b32 exec_lo, exec_lo, s7
	s_and_saveexec_b32 s7, s3
	s_cbranch_execnz .LBB248_39
	s_branch .LBB248_40
.LBB248_121:
	s_mov_b32 s6, -1
	s_mov_b32 s8, exec_lo
	v_cmpx_eq_u16_e32 0x80, v8
; %bb.122:
	s_xor_b32 s6, exec_lo, -1
; %bb.123:
	s_or_b32 exec_lo, exec_lo, s8
	s_delay_alu instid0(SALU_CYCLE_1)
	s_and_b32 s6, s6, exec_lo
	s_or_saveexec_b32 s7, s7
	v_mov_b32_e32 v10, 0x7f800001
	s_xor_b32 exec_lo, exec_lo, s7
	s_cbranch_execz .LBB248_56
.LBB248_124:
	v_cmp_ne_u16_e32 vcc_lo, 0, v8
	v_mov_b32_e32 v10, 0
	s_and_not1_b32 s6, s6, exec_lo
	s_and_b32 s8, vcc_lo, exec_lo
	s_delay_alu instid0(SALU_CYCLE_1)
	s_or_b32 s6, s6, s8
	s_or_b32 exec_lo, exec_lo, s7
	s_and_saveexec_b32 s7, s6
	s_cbranch_execnz .LBB248_57
	s_branch .LBB248_58
.LBB248_125:
	s_mov_b32 s6, -1
	s_mov_b32 s8, exec_lo
	v_cmpx_eq_u16_e32 0x80, v12
; %bb.126:
	s_xor_b32 s6, exec_lo, -1
; %bb.127:
	s_or_b32 exec_lo, exec_lo, s8
	s_delay_alu instid0(SALU_CYCLE_1)
	s_and_b32 s6, s6, exec_lo
                                        ; implicit-def: $vgpr12
	s_or_saveexec_b32 s7, s7
	v_mov_b32_e32 v11, 0x7f800001
	s_xor_b32 exec_lo, exec_lo, s7
	s_cbranch_execz .LBB248_60
.LBB248_128:
	v_cmp_ne_u16_e32 vcc_lo, 0, v12
	v_mov_b32_e32 v11, 0
	s_and_not1_b32 s6, s6, exec_lo
	s_and_b32 s8, vcc_lo, exec_lo
	s_delay_alu instid0(SALU_CYCLE_1)
	s_or_b32 s6, s6, s8
	s_or_b32 exec_lo, exec_lo, s7
	s_and_saveexec_b32 s7, s6
	s_cbranch_execnz .LBB248_61
	s_branch .LBB248_62
.LBB248_129:
	s_mov_b32 s6, -1
	s_mov_b32 s8, exec_lo
	v_cmpx_eq_u16_e32 0x80, v6
; %bb.130:
	s_xor_b32 s6, exec_lo, -1
; %bb.131:
	s_or_b32 exec_lo, exec_lo, s8
	s_delay_alu instid0(SALU_CYCLE_1)
	s_and_b32 s6, s6, exec_lo
	s_or_saveexec_b32 s7, s7
	v_mov_b32_e32 v7, 0x7f800001
	s_xor_b32 exec_lo, exec_lo, s7
	s_cbranch_execz .LBB248_78
.LBB248_132:
	v_cmp_ne_u16_e32 vcc_lo, 0, v6
	v_mov_b32_e32 v7, 0
	s_and_not1_b32 s6, s6, exec_lo
	s_and_b32 s8, vcc_lo, exec_lo
	s_delay_alu instid0(SALU_CYCLE_1)
	s_or_b32 s6, s6, s8
	s_or_b32 exec_lo, exec_lo, s7
	s_and_saveexec_b32 s7, s6
	s_cbranch_execnz .LBB248_79
	s_branch .LBB248_80
.LBB248_133:
	s_mov_b32 s6, -1
	s_mov_b32 s8, exec_lo
	v_cmpx_eq_u16_e32 0x80, v9
; %bb.134:
	s_xor_b32 s6, exec_lo, -1
; %bb.135:
	s_or_b32 exec_lo, exec_lo, s8
	s_delay_alu instid0(SALU_CYCLE_1)
	s_and_b32 s6, s6, exec_lo
                                        ; implicit-def: $vgpr9
	s_or_saveexec_b32 s7, s7
	v_mov_b32_e32 v8, 0x7f800001
	s_xor_b32 exec_lo, exec_lo, s7
	s_cbranch_execz .LBB248_82
.LBB248_136:
	v_cmp_ne_u16_e32 vcc_lo, 0, v9
	v_mov_b32_e32 v8, 0
	s_and_not1_b32 s6, s6, exec_lo
	s_and_b32 s8, vcc_lo, exec_lo
	s_delay_alu instid0(SALU_CYCLE_1)
	s_or_b32 s6, s6, s8
	s_or_b32 exec_lo, exec_lo, s7
	s_and_saveexec_b32 s7, s6
	s_cbranch_execnz .LBB248_83
	s_branch .LBB248_84
.LBB248_137:
	s_mov_b32 s7, -1
	s_mov_b32 s9, exec_lo
	v_cmpx_eq_u16_e32 0x80, v5
; %bb.138:
	s_xor_b32 s7, exec_lo, -1
; %bb.139:
	s_or_b32 exec_lo, exec_lo, s9
	s_delay_alu instid0(SALU_CYCLE_1)
	s_and_b32 s7, s7, exec_lo
                                        ; implicit-def: $vgpr5
	s_or_saveexec_b32 s8, s8
	v_mov_b32_e32 v12, 0x7f800001
	s_xor_b32 exec_lo, exec_lo, s8
	s_cbranch_execz .LBB248_22
.LBB248_140:
	v_cmp_ne_u16_e32 vcc_lo, 0, v5
	v_mov_b32_e32 v12, 0
	s_and_not1_b32 s7, s7, exec_lo
	s_and_b32 s9, vcc_lo, exec_lo
	s_delay_alu instid0(SALU_CYCLE_1)
	s_or_b32 s7, s7, s9
	s_or_b32 exec_lo, exec_lo, s8
	s_and_saveexec_b32 s8, s7
	s_cbranch_execnz .LBB248_23
	s_branch .LBB248_24
.LBB248_141:
	s_mov_b32 s7, -1
	s_mov_b32 s9, exec_lo
	v_cmpx_eq_u16_e32 0x80, v11
; %bb.142:
	s_xor_b32 s7, exec_lo, -1
; %bb.143:
	s_or_b32 exec_lo, exec_lo, s9
	s_delay_alu instid0(SALU_CYCLE_1)
	s_and_b32 s7, s7, exec_lo
                                        ; implicit-def: $vgpr11
	s_or_saveexec_b32 s8, s8
	v_mov_b32_e32 v5, 0x7f800001
	s_xor_b32 exec_lo, exec_lo, s8
	s_cbranch_execz .LBB248_26
.LBB248_144:
	v_cmp_ne_u16_e32 vcc_lo, 0, v11
	v_mov_b32_e32 v5, 0
	s_and_not1_b32 s7, s7, exec_lo
	s_and_b32 s9, vcc_lo, exec_lo
	s_delay_alu instid0(SALU_CYCLE_1)
	s_or_b32 s7, s7, s9
	s_or_b32 exec_lo, exec_lo, s8
	s_and_saveexec_b32 s8, s7
	s_cbranch_execnz .LBB248_27
	s_branch .LBB248_28
.LBB248_145:
	s_mov_b32 s3, -1
	s_mov_b32 s8, exec_lo
	v_cmpx_eq_u16_e32 0x80, v11
; %bb.146:
	s_xor_b32 s3, exec_lo, -1
; %bb.147:
	s_or_b32 exec_lo, exec_lo, s8
	s_delay_alu instid0(SALU_CYCLE_1)
	s_and_b32 s3, s3, exec_lo
                                        ; implicit-def: $vgpr11
	s_or_saveexec_b32 s7, s7
	v_mov_b32_e32 v12, 0x7f800001
	s_xor_b32 exec_lo, exec_lo, s7
	s_cbranch_execz .LBB248_44
.LBB248_148:
	v_cmp_ne_u16_e32 vcc_lo, 0, v11
	v_mov_b32_e32 v12, 0
	s_and_not1_b32 s3, s3, exec_lo
	s_and_b32 s8, vcc_lo, exec_lo
	s_delay_alu instid0(SALU_CYCLE_1)
	s_or_b32 s3, s3, s8
	s_or_b32 exec_lo, exec_lo, s7
	s_and_saveexec_b32 s7, s3
	s_cbranch_execnz .LBB248_45
	s_branch .LBB248_46
.LBB248_149:
	s_mov_b32 s3, -1
	s_mov_b32 s8, exec_lo
	v_cmpx_eq_u16_e32 0x80, v11
; %bb.150:
	s_xor_b32 s3, exec_lo, -1
; %bb.151:
	s_or_b32 exec_lo, exec_lo, s8
	s_delay_alu instid0(SALU_CYCLE_1)
	s_and_b32 s3, s3, exec_lo
                                        ; implicit-def: $vgpr11
	s_or_saveexec_b32 s7, s7
	v_mov_b32_e32 v10, 0x7f800001
	s_xor_b32 exec_lo, exec_lo, s7
	s_cbranch_execz .LBB248_48
.LBB248_152:
	v_cmp_ne_u16_e32 vcc_lo, 0, v11
	v_mov_b32_e32 v10, 0
	s_and_not1_b32 s3, s3, exec_lo
	s_and_b32 s8, vcc_lo, exec_lo
	s_delay_alu instid0(SALU_CYCLE_1)
	s_or_b32 s3, s3, s8
	s_or_b32 exec_lo, exec_lo, s7
	s_and_saveexec_b32 s7, s3
	s_cbranch_execnz .LBB248_49
	s_branch .LBB248_50
.LBB248_153:
	s_mov_b32 s6, -1
	s_mov_b32 s8, exec_lo
	v_cmpx_eq_u16_e32 0x80, v8
; %bb.154:
	s_xor_b32 s6, exec_lo, -1
; %bb.155:
	s_or_b32 exec_lo, exec_lo, s8
	s_delay_alu instid0(SALU_CYCLE_1)
	s_and_b32 s6, s6, exec_lo
                                        ; implicit-def: $vgpr8
	s_or_saveexec_b32 s7, s7
	v_mov_b32_e32 v10, 0x7f800001
	s_xor_b32 exec_lo, exec_lo, s7
	s_cbranch_execz .LBB248_66
.LBB248_156:
	v_cmp_ne_u16_e32 vcc_lo, 0, v8
	v_mov_b32_e32 v10, 0
	s_and_not1_b32 s6, s6, exec_lo
	s_and_b32 s8, vcc_lo, exec_lo
	s_delay_alu instid0(SALU_CYCLE_1)
	s_or_b32 s6, s6, s8
	s_or_b32 exec_lo, exec_lo, s7
	s_and_saveexec_b32 s7, s6
	s_cbranch_execnz .LBB248_67
	s_branch .LBB248_68
.LBB248_157:
	s_mov_b32 s6, -1
	s_mov_b32 s8, exec_lo
	v_cmpx_eq_u16_e32 0x80, v8
; %bb.158:
	s_xor_b32 s6, exec_lo, -1
; %bb.159:
	s_or_b32 exec_lo, exec_lo, s8
	s_delay_alu instid0(SALU_CYCLE_1)
	s_and_b32 s6, s6, exec_lo
                                        ; implicit-def: $vgpr8
	s_or_saveexec_b32 s7, s7
	v_mov_b32_e32 v7, 0x7f800001
	s_xor_b32 exec_lo, exec_lo, s7
	s_cbranch_execz .LBB248_70
.LBB248_160:
	v_cmp_ne_u16_e32 vcc_lo, 0, v8
	v_mov_b32_e32 v7, 0
	s_and_not1_b32 s6, s6, exec_lo
	s_and_b32 s8, vcc_lo, exec_lo
	s_delay_alu instid0(SALU_CYCLE_1)
	s_or_b32 s6, s6, s8
	s_or_b32 exec_lo, exec_lo, s7
	s_and_saveexec_b32 s7, s6
	s_cbranch_execnz .LBB248_71
	s_branch .LBB248_72
.LBB248_161:
	s_mov_b32 s6, -1
	s_mov_b32 s8, exec_lo
	v_cmpx_eq_u16_e32 0x80, v6
; %bb.162:
	s_xor_b32 s6, exec_lo, -1
; %bb.163:
	s_or_b32 exec_lo, exec_lo, s8
	s_delay_alu instid0(SALU_CYCLE_1)
	s_and_b32 s6, s6, exec_lo
                                        ; implicit-def: $vgpr6
	s_or_saveexec_b32 s7, s7
	v_mov_b32_e32 v7, 0x7f800001
	s_xor_b32 exec_lo, exec_lo, s7
	s_cbranch_execz .LBB248_88
.LBB248_164:
	v_cmp_ne_u16_e32 vcc_lo, 0, v6
	v_mov_b32_e32 v7, 0
	s_and_not1_b32 s6, s6, exec_lo
	s_and_b32 s8, vcc_lo, exec_lo
	s_delay_alu instid0(SALU_CYCLE_1)
	s_or_b32 s6, s6, s8
	s_or_b32 exec_lo, exec_lo, s7
	s_and_saveexec_b32 s7, s6
	s_cbranch_execnz .LBB248_89
	s_branch .LBB248_90
.LBB248_165:
	s_mov_b32 s6, -1
	s_mov_b32 s8, exec_lo
	v_cmpx_eq_u16_e32 0x80, v6
; %bb.166:
	s_xor_b32 s6, exec_lo, -1
; %bb.167:
	s_or_b32 exec_lo, exec_lo, s8
	s_delay_alu instid0(SALU_CYCLE_1)
	s_and_b32 s6, s6, exec_lo
                                        ; implicit-def: $vgpr6
	s_or_saveexec_b32 s7, s7
	v_mov_b32_e32 v4, 0x7f800001
	s_xor_b32 exec_lo, exec_lo, s7
	s_cbranch_execz .LBB248_92
.LBB248_168:
	v_cmp_ne_u16_e32 vcc_lo, 0, v6
	v_mov_b32_e32 v4, 0
	s_and_not1_b32 s6, s6, exec_lo
	s_and_b32 s8, vcc_lo, exec_lo
	s_delay_alu instid0(SALU_CYCLE_1)
	s_or_b32 s6, s6, s8
	s_or_b32 exec_lo, exec_lo, s7
	s_and_saveexec_b32 s7, s6
	s_cbranch_execnz .LBB248_93
	s_branch .LBB248_94
	.section	.rodata,"a",@progbits
	.p2align	6, 0x0
	.amdhsa_kernel _ZN2at6native27unrolled_elementwise_kernelINS0_13BinaryFunctorIN3c1015Float8_e5m2fnuzES4_bNS0_12_GLOBAL__N_116CompareEqFunctorIS4_EEEESt5arrayIPcLm3EELi4E23TrivialOffsetCalculatorILi2EjESC_ILi1EjENS0_6memory15LoadWithoutCastENSF_16StoreWithoutCastEEEviT_T0_T2_T3_T4_T5_
		.amdhsa_group_segment_fixed_size 0
		.amdhsa_private_segment_fixed_size 0
		.amdhsa_kernarg_size 36
		.amdhsa_user_sgpr_count 2
		.amdhsa_user_sgpr_dispatch_ptr 0
		.amdhsa_user_sgpr_queue_ptr 0
		.amdhsa_user_sgpr_kernarg_segment_ptr 1
		.amdhsa_user_sgpr_dispatch_id 0
		.amdhsa_user_sgpr_kernarg_preload_length 0
		.amdhsa_user_sgpr_kernarg_preload_offset 0
		.amdhsa_user_sgpr_private_segment_size 0
		.amdhsa_wavefront_size32 1
		.amdhsa_uses_dynamic_stack 0
		.amdhsa_enable_private_segment 0
		.amdhsa_system_sgpr_workgroup_id_x 1
		.amdhsa_system_sgpr_workgroup_id_y 0
		.amdhsa_system_sgpr_workgroup_id_z 0
		.amdhsa_system_sgpr_workgroup_info 0
		.amdhsa_system_vgpr_workitem_id 0
		.amdhsa_next_free_vgpr 18
		.amdhsa_next_free_sgpr 14
		.amdhsa_named_barrier_count 0
		.amdhsa_reserve_vcc 1
		.amdhsa_float_round_mode_32 0
		.amdhsa_float_round_mode_16_64 0
		.amdhsa_float_denorm_mode_32 3
		.amdhsa_float_denorm_mode_16_64 3
		.amdhsa_fp16_overflow 0
		.amdhsa_memory_ordered 1
		.amdhsa_forward_progress 1
		.amdhsa_inst_pref_size 44
		.amdhsa_round_robin_scheduling 0
		.amdhsa_exception_fp_ieee_invalid_op 0
		.amdhsa_exception_fp_denorm_src 0
		.amdhsa_exception_fp_ieee_div_zero 0
		.amdhsa_exception_fp_ieee_overflow 0
		.amdhsa_exception_fp_ieee_underflow 0
		.amdhsa_exception_fp_ieee_inexact 0
		.amdhsa_exception_int_div_zero 0
	.end_amdhsa_kernel
	.section	.text._ZN2at6native27unrolled_elementwise_kernelINS0_13BinaryFunctorIN3c1015Float8_e5m2fnuzES4_bNS0_12_GLOBAL__N_116CompareEqFunctorIS4_EEEESt5arrayIPcLm3EELi4E23TrivialOffsetCalculatorILi2EjESC_ILi1EjENS0_6memory15LoadWithoutCastENSF_16StoreWithoutCastEEEviT_T0_T2_T3_T4_T5_,"axG",@progbits,_ZN2at6native27unrolled_elementwise_kernelINS0_13BinaryFunctorIN3c1015Float8_e5m2fnuzES4_bNS0_12_GLOBAL__N_116CompareEqFunctorIS4_EEEESt5arrayIPcLm3EELi4E23TrivialOffsetCalculatorILi2EjESC_ILi1EjENS0_6memory15LoadWithoutCastENSF_16StoreWithoutCastEEEviT_T0_T2_T3_T4_T5_,comdat
.Lfunc_end248:
	.size	_ZN2at6native27unrolled_elementwise_kernelINS0_13BinaryFunctorIN3c1015Float8_e5m2fnuzES4_bNS0_12_GLOBAL__N_116CompareEqFunctorIS4_EEEESt5arrayIPcLm3EELi4E23TrivialOffsetCalculatorILi2EjESC_ILi1EjENS0_6memory15LoadWithoutCastENSF_16StoreWithoutCastEEEviT_T0_T2_T3_T4_T5_, .Lfunc_end248-_ZN2at6native27unrolled_elementwise_kernelINS0_13BinaryFunctorIN3c1015Float8_e5m2fnuzES4_bNS0_12_GLOBAL__N_116CompareEqFunctorIS4_EEEESt5arrayIPcLm3EELi4E23TrivialOffsetCalculatorILi2EjESC_ILi1EjENS0_6memory15LoadWithoutCastENSF_16StoreWithoutCastEEEviT_T0_T2_T3_T4_T5_
                                        ; -- End function
	.set _ZN2at6native27unrolled_elementwise_kernelINS0_13BinaryFunctorIN3c1015Float8_e5m2fnuzES4_bNS0_12_GLOBAL__N_116CompareEqFunctorIS4_EEEESt5arrayIPcLm3EELi4E23TrivialOffsetCalculatorILi2EjESC_ILi1EjENS0_6memory15LoadWithoutCastENSF_16StoreWithoutCastEEEviT_T0_T2_T3_T4_T5_.num_vgpr, 18
	.set _ZN2at6native27unrolled_elementwise_kernelINS0_13BinaryFunctorIN3c1015Float8_e5m2fnuzES4_bNS0_12_GLOBAL__N_116CompareEqFunctorIS4_EEEESt5arrayIPcLm3EELi4E23TrivialOffsetCalculatorILi2EjESC_ILi1EjENS0_6memory15LoadWithoutCastENSF_16StoreWithoutCastEEEviT_T0_T2_T3_T4_T5_.num_agpr, 0
	.set _ZN2at6native27unrolled_elementwise_kernelINS0_13BinaryFunctorIN3c1015Float8_e5m2fnuzES4_bNS0_12_GLOBAL__N_116CompareEqFunctorIS4_EEEESt5arrayIPcLm3EELi4E23TrivialOffsetCalculatorILi2EjESC_ILi1EjENS0_6memory15LoadWithoutCastENSF_16StoreWithoutCastEEEviT_T0_T2_T3_T4_T5_.numbered_sgpr, 14
	.set _ZN2at6native27unrolled_elementwise_kernelINS0_13BinaryFunctorIN3c1015Float8_e5m2fnuzES4_bNS0_12_GLOBAL__N_116CompareEqFunctorIS4_EEEESt5arrayIPcLm3EELi4E23TrivialOffsetCalculatorILi2EjESC_ILi1EjENS0_6memory15LoadWithoutCastENSF_16StoreWithoutCastEEEviT_T0_T2_T3_T4_T5_.num_named_barrier, 0
	.set _ZN2at6native27unrolled_elementwise_kernelINS0_13BinaryFunctorIN3c1015Float8_e5m2fnuzES4_bNS0_12_GLOBAL__N_116CompareEqFunctorIS4_EEEESt5arrayIPcLm3EELi4E23TrivialOffsetCalculatorILi2EjESC_ILi1EjENS0_6memory15LoadWithoutCastENSF_16StoreWithoutCastEEEviT_T0_T2_T3_T4_T5_.private_seg_size, 0
	.set _ZN2at6native27unrolled_elementwise_kernelINS0_13BinaryFunctorIN3c1015Float8_e5m2fnuzES4_bNS0_12_GLOBAL__N_116CompareEqFunctorIS4_EEEESt5arrayIPcLm3EELi4E23TrivialOffsetCalculatorILi2EjESC_ILi1EjENS0_6memory15LoadWithoutCastENSF_16StoreWithoutCastEEEviT_T0_T2_T3_T4_T5_.uses_vcc, 1
	.set _ZN2at6native27unrolled_elementwise_kernelINS0_13BinaryFunctorIN3c1015Float8_e5m2fnuzES4_bNS0_12_GLOBAL__N_116CompareEqFunctorIS4_EEEESt5arrayIPcLm3EELi4E23TrivialOffsetCalculatorILi2EjESC_ILi1EjENS0_6memory15LoadWithoutCastENSF_16StoreWithoutCastEEEviT_T0_T2_T3_T4_T5_.uses_flat_scratch, 0
	.set _ZN2at6native27unrolled_elementwise_kernelINS0_13BinaryFunctorIN3c1015Float8_e5m2fnuzES4_bNS0_12_GLOBAL__N_116CompareEqFunctorIS4_EEEESt5arrayIPcLm3EELi4E23TrivialOffsetCalculatorILi2EjESC_ILi1EjENS0_6memory15LoadWithoutCastENSF_16StoreWithoutCastEEEviT_T0_T2_T3_T4_T5_.has_dyn_sized_stack, 0
	.set _ZN2at6native27unrolled_elementwise_kernelINS0_13BinaryFunctorIN3c1015Float8_e5m2fnuzES4_bNS0_12_GLOBAL__N_116CompareEqFunctorIS4_EEEESt5arrayIPcLm3EELi4E23TrivialOffsetCalculatorILi2EjESC_ILi1EjENS0_6memory15LoadWithoutCastENSF_16StoreWithoutCastEEEviT_T0_T2_T3_T4_T5_.has_recursion, 0
	.set _ZN2at6native27unrolled_elementwise_kernelINS0_13BinaryFunctorIN3c1015Float8_e5m2fnuzES4_bNS0_12_GLOBAL__N_116CompareEqFunctorIS4_EEEESt5arrayIPcLm3EELi4E23TrivialOffsetCalculatorILi2EjESC_ILi1EjENS0_6memory15LoadWithoutCastENSF_16StoreWithoutCastEEEviT_T0_T2_T3_T4_T5_.has_indirect_call, 0
	.section	.AMDGPU.csdata,"",@progbits
; Kernel info:
; codeLenInByte = 5588
; TotalNumSgprs: 16
; NumVgprs: 18
; ScratchSize: 0
; MemoryBound: 0
; FloatMode: 240
; IeeeMode: 1
; LDSByteSize: 0 bytes/workgroup (compile time only)
; SGPRBlocks: 0
; VGPRBlocks: 1
; NumSGPRsForWavesPerEU: 16
; NumVGPRsForWavesPerEU: 18
; NamedBarCnt: 0
; Occupancy: 16
; WaveLimiterHint : 0
; COMPUTE_PGM_RSRC2:SCRATCH_EN: 0
; COMPUTE_PGM_RSRC2:USER_SGPR: 2
; COMPUTE_PGM_RSRC2:TRAP_HANDLER: 0
; COMPUTE_PGM_RSRC2:TGID_X_EN: 1
; COMPUTE_PGM_RSRC2:TGID_Y_EN: 0
; COMPUTE_PGM_RSRC2:TGID_Z_EN: 0
; COMPUTE_PGM_RSRC2:TIDIG_COMP_CNT: 0
	.section	.text._ZN2at6native32elementwise_kernel_manual_unrollILi128ELi8EZNS0_22gpu_kernel_impl_nocastINS0_13BinaryFunctorIN3c1015Float8_e5m2fnuzES5_bNS0_12_GLOBAL__N_116CompareEqFunctorIS5_EEEEEEvRNS_18TensorIteratorBaseERKT_EUlibE_EEviT1_,"axG",@progbits,_ZN2at6native32elementwise_kernel_manual_unrollILi128ELi8EZNS0_22gpu_kernel_impl_nocastINS0_13BinaryFunctorIN3c1015Float8_e5m2fnuzES5_bNS0_12_GLOBAL__N_116CompareEqFunctorIS5_EEEEEEvRNS_18TensorIteratorBaseERKT_EUlibE_EEviT1_,comdat
	.globl	_ZN2at6native32elementwise_kernel_manual_unrollILi128ELi8EZNS0_22gpu_kernel_impl_nocastINS0_13BinaryFunctorIN3c1015Float8_e5m2fnuzES5_bNS0_12_GLOBAL__N_116CompareEqFunctorIS5_EEEEEEvRNS_18TensorIteratorBaseERKT_EUlibE_EEviT1_ ; -- Begin function _ZN2at6native32elementwise_kernel_manual_unrollILi128ELi8EZNS0_22gpu_kernel_impl_nocastINS0_13BinaryFunctorIN3c1015Float8_e5m2fnuzES5_bNS0_12_GLOBAL__N_116CompareEqFunctorIS5_EEEEEEvRNS_18TensorIteratorBaseERKT_EUlibE_EEviT1_
	.p2align	8
	.type	_ZN2at6native32elementwise_kernel_manual_unrollILi128ELi8EZNS0_22gpu_kernel_impl_nocastINS0_13BinaryFunctorIN3c1015Float8_e5m2fnuzES5_bNS0_12_GLOBAL__N_116CompareEqFunctorIS5_EEEEEEvRNS_18TensorIteratorBaseERKT_EUlibE_EEviT1_,@function
_ZN2at6native32elementwise_kernel_manual_unrollILi128ELi8EZNS0_22gpu_kernel_impl_nocastINS0_13BinaryFunctorIN3c1015Float8_e5m2fnuzES5_bNS0_12_GLOBAL__N_116CompareEqFunctorIS5_EEEEEEvRNS_18TensorIteratorBaseERKT_EUlibE_EEviT1_: ; @_ZN2at6native32elementwise_kernel_manual_unrollILi128ELi8EZNS0_22gpu_kernel_impl_nocastINS0_13BinaryFunctorIN3c1015Float8_e5m2fnuzES5_bNS0_12_GLOBAL__N_116CompareEqFunctorIS5_EEEEEEvRNS_18TensorIteratorBaseERKT_EUlibE_EEviT1_
; %bb.0:
	s_clause 0x1
	s_load_b32 s26, s[0:1], 0x8
	s_load_b32 s33, s[0:1], 0x0
	s_bfe_u32 s2, ttmp6, 0x4000c
	s_and_b32 s3, ttmp6, 15
	s_add_co_i32 s2, s2, 1
	s_getreg_b32 s4, hwreg(HW_REG_IB_STS2, 6, 4)
	s_mul_i32 s2, ttmp9, s2
	s_add_nc_u64 s[16:17], s[0:1], 8
	s_add_co_i32 s3, s3, s2
	s_cmp_eq_u32 s4, 0
	s_mov_b32 s21, 0
	s_cselect_b32 s2, ttmp9, s3
	s_wait_xcnt 0x0
	s_mov_b32 s0, exec_lo
	v_lshl_or_b32 v0, s2, 10, v0
	s_delay_alu instid0(VALU_DEP_1) | instskip(SKIP_2) | instid1(SALU_CYCLE_1)
	v_or_b32_e32 v22, 0x380, v0
	s_wait_kmcnt 0x0
	s_add_co_i32 s27, s26, -1
	s_cmp_gt_u32 s27, 1
	s_cselect_b32 s28, -1, 0
	v_cmpx_le_i32_e64 s33, v22
	s_xor_b32 s29, exec_lo, s0
	s_cbranch_execz .LBB249_378
; %bb.1:
	s_clause 0x5
	s_load_b128 s[4:7], s[16:17], 0x4
	s_load_b64 s[18:19], s[16:17], 0x14
	s_load_b96 s[12:14], s[16:17], 0x198
	s_load_b128 s[8:11], s[16:17], 0xc4
	s_load_b64 s[22:23], s[16:17], 0xd4
	s_load_b128 s[0:3], s[16:17], 0x188
	s_cmp_lg_u32 s26, 0
	s_mov_b32 s25, s21
	s_cselect_b32 s34, -1, 0
	s_min_u32 s31, s27, 15
	s_cmp_gt_u32 s26, 1
	s_cselect_b32 s30, -1, 0
	s_wait_kmcnt 0x0
	s_mov_b32 s20, s5
	s_mov_b32 s24, s18
	s_cmp_lg_u32 s14, 0
	s_mov_b32 s18, exec_lo
	s_cselect_b32 s5, -1, 0
	v_cmpx_gt_i32_e64 s33, v0
	s_cbranch_execnz .LBB249_9
; %bb.2:
	s_or_b32 exec_lo, exec_lo, s18
	s_delay_alu instid0(SALU_CYCLE_1)
	s_mov_b32 s18, exec_lo
	v_cmpx_gt_i32_e64 s33, v0
	s_cbranch_execnz .LBB249_41
.LBB249_3:
	s_or_b32 exec_lo, exec_lo, s18
	s_delay_alu instid0(SALU_CYCLE_1)
	s_mov_b32 s18, exec_lo
	v_cmpx_gt_i32_e64 s33, v0
	s_cbranch_execnz .LBB249_89
.LBB249_4:
	s_or_b32 exec_lo, exec_lo, s18
	s_delay_alu instid0(SALU_CYCLE_1)
	s_mov_b32 s18, exec_lo
	v_cmpx_gt_i32_e64 s33, v0
	s_cbranch_execnz .LBB249_137
.LBB249_5:
	s_or_b32 exec_lo, exec_lo, s18
	s_delay_alu instid0(SALU_CYCLE_1)
	s_mov_b32 s18, exec_lo
	v_cmpx_gt_i32_e64 s33, v0
	s_cbranch_execnz .LBB249_185
.LBB249_6:
	s_or_b32 exec_lo, exec_lo, s18
	s_delay_alu instid0(SALU_CYCLE_1)
	s_mov_b32 s18, exec_lo
	v_cmpx_gt_i32_e64 s33, v0
	s_cbranch_execnz .LBB249_233
.LBB249_7:
	s_or_b32 exec_lo, exec_lo, s18
	s_delay_alu instid0(SALU_CYCLE_1)
	s_mov_b32 s18, exec_lo
	v_cmpx_gt_i32_e64 s33, v0
	s_cbranch_execnz .LBB249_281
.LBB249_8:
	s_or_b32 exec_lo, exec_lo, s18
	s_delay_alu instid0(SALU_CYCLE_1)
	s_mov_b32 s18, exec_lo
	v_cmpx_gt_i32_e64 s33, v0
	s_cbranch_execnz .LBB249_329
	s_branch .LBB249_377
.LBB249_9:
	s_and_not1_b32 vcc_lo, exec_lo, s28
	s_cbranch_vccnz .LBB249_15
; %bb.10:
	s_and_not1_b32 vcc_lo, exec_lo, s34
	s_cbranch_vccnz .LBB249_16
; %bb.11:
	v_dual_mov_b32 v4, 0 :: v_dual_mov_b32 v1, v0
	v_dual_mov_b32 v6, 0 :: v_dual_mov_b32 v5, 0
	s_add_co_i32 s35, s31, 1
	s_mov_b64 s[14:15], 0xffffffffffffffe8
	s_and_b32 s35, s35, 30
	s_add_nc_u64 s[14:15], s[16:17], s[14:15]
.LBB249_12:                             ; =>This Inner Loop Header: Depth=1
	s_clause 0x1
	s_load_b128 s[36:39], s[14:15], 0x1c
	s_load_b64 s[44:45], s[14:15], 0x2c
	s_add_co_i32 s35, s35, -2
	s_delay_alu instid0(SALU_CYCLE_1) | instskip(SKIP_2) | instid1(VALU_DEP_1)
	s_cmp_lg_u32 s35, 0
	s_wait_kmcnt 0x0
	v_mul_hi_u32 v2, s37, v1
	v_add_nc_u32_e32 v2, v1, v2
	s_delay_alu instid0(VALU_DEP_1) | instskip(NEXT) | instid1(VALU_DEP_1)
	v_lshrrev_b32_e32 v2, s38, v2
	v_mul_hi_u32 v3, s44, v2
	v_mul_lo_u32 v7, v2, s36
	s_clause 0x1
	s_load_b128 s[40:43], s[14:15], 0xdc
	s_load_b64 s[36:37], s[14:15], 0xec
	s_wait_xcnt 0x0
	s_add_nc_u64 s[14:15], s[14:15], 24
	s_delay_alu instid0(VALU_DEP_2) | instskip(NEXT) | instid1(VALU_DEP_2)
	v_add_nc_u32_e32 v3, v2, v3
	v_sub_nc_u32_e32 v7, v1, v7
	s_delay_alu instid0(VALU_DEP_2) | instskip(SKIP_1) | instid1(VALU_DEP_2)
	v_lshrrev_b32_e32 v1, s45, v3
	s_wait_kmcnt 0x0
	v_mad_u32 v4, v7, s40, v4
	s_delay_alu instid0(VALU_DEP_2) | instskip(SKIP_2) | instid1(VALU_DEP_3)
	v_mul_lo_u32 v3, v1, s39
	v_mad_u32 v5, v7, s42, v5
	v_mad_u32 v6, v7, s41, v6
	v_sub_nc_u32_e32 v2, v2, v3
	s_delay_alu instid0(VALU_DEP_1) | instskip(NEXT) | instid1(VALU_DEP_4)
	v_mad_u32 v4, v2, s43, v4
	v_mad_u32 v5, v2, s37, v5
	s_delay_alu instid0(VALU_DEP_4)
	v_mad_u32 v6, v2, s36, v6
	s_cbranch_scc1 .LBB249_12
; %bb.13:
	s_bitcmp1_b32 s31, 0
	s_cselect_b32 s35, -1, 0
	s_delay_alu instid0(SALU_CYCLE_1)
	s_and_b32 vcc_lo, exec_lo, s35
	s_cbranch_vccnz .LBB249_17
; %bb.14:
	s_clause 0x1
	s_load_b96 s[36:38], s[14:15], 0x1c
	s_load_b96 s[40:42], s[14:15], 0xdc
	s_wait_xcnt 0x0
	s_wait_kmcnt 0x0
	v_mul_hi_u32 v2, s37, v1
	s_delay_alu instid0(VALU_DEP_1) | instskip(NEXT) | instid1(VALU_DEP_1)
	v_add_nc_u32_e32 v2, v1, v2
	v_lshrrev_b32_e32 v2, s38, v2
	s_delay_alu instid0(VALU_DEP_1) | instskip(NEXT) | instid1(VALU_DEP_1)
	v_mul_lo_u32 v2, v2, s36
	v_sub_nc_u32_e32 v1, v1, v2
	s_delay_alu instid0(VALU_DEP_1)
	v_mad_u32 v4, v1, s40, v4
	v_mad_u32 v6, v1, s41, v6
	;; [unrolled: 1-line block ×3, first 2 shown]
	s_cbranch_execz .LBB249_18
	s_branch .LBB249_20
.LBB249_15:
                                        ; implicit-def: $vgpr5
                                        ; implicit-def: $vgpr6
                                        ; implicit-def: $vgpr4
	s_branch .LBB249_18
.LBB249_16:
	v_dual_mov_b32 v5, 0 :: v_dual_mov_b32 v6, 0
	v_mov_b32_e32 v4, 0
.LBB249_17:
	s_cbranch_execnz .LBB249_20
.LBB249_18:
	v_mov_b32_e32 v1, 0
	s_and_not1_b32 vcc_lo, exec_lo, s30
	s_delay_alu instid0(VALU_DEP_1) | instskip(NEXT) | instid1(VALU_DEP_1)
	v_mul_u64_e32 v[2:3], s[20:21], v[0:1]
	v_add_nc_u32_e32 v2, v0, v3
	s_delay_alu instid0(VALU_DEP_1) | instskip(NEXT) | instid1(VALU_DEP_1)
	v_lshrrev_b32_e32 v2, s6, v2
	v_mul_lo_u32 v3, v2, s4
	s_delay_alu instid0(VALU_DEP_1) | instskip(NEXT) | instid1(VALU_DEP_1)
	v_sub_nc_u32_e32 v3, v0, v3
	v_mul_lo_u32 v4, v3, s8
	v_mul_lo_u32 v5, v3, s10
	;; [unrolled: 1-line block ×3, first 2 shown]
	s_cbranch_vccnz .LBB249_20
; %bb.19:
	v_mov_b32_e32 v3, v1
	s_delay_alu instid0(VALU_DEP_1) | instskip(NEXT) | instid1(VALU_DEP_1)
	v_mul_u64_e32 v[8:9], s[24:25], v[2:3]
	v_add_nc_u32_e32 v1, v2, v9
	s_delay_alu instid0(VALU_DEP_1) | instskip(NEXT) | instid1(VALU_DEP_1)
	v_lshrrev_b32_e32 v1, s19, v1
	v_mul_lo_u32 v1, v1, s7
	s_delay_alu instid0(VALU_DEP_1) | instskip(NEXT) | instid1(VALU_DEP_1)
	v_sub_nc_u32_e32 v1, v2, v1
	v_mad_u32 v4, v1, s11, v4
	v_mad_u32 v6, v1, s22, v6
	;; [unrolled: 1-line block ×3, first 2 shown]
.LBB249_20:
	global_load_u8 v2, v6, s[2:3]
	global_load_u8 v1, v5, s[12:13]
	s_and_b32 vcc_lo, exec_lo, s5
	s_wait_loadcnt 0x1
	v_and_b32_e32 v3, 0xff, v2
	s_cbranch_vccz .LBB249_30
; %bb.21:
	s_mov_b32 s14, 0
	s_mov_b32 s15, exec_lo
	s_wait_xcnt 0x0
	v_cmpx_lt_i16_e32 0x7f, v3
	s_xor_b32 s15, exec_lo, s15
	s_cbranch_execnz .LBB249_48
; %bb.22:
	s_or_saveexec_b32 s15, s15
	v_mov_b32_e32 v5, 0x7f800001
	s_xor_b32 exec_lo, exec_lo, s15
	s_cbranch_execnz .LBB249_51
.LBB249_23:
	s_or_b32 exec_lo, exec_lo, s15
	s_and_saveexec_b32 s15, s14
	s_cbranch_execz .LBB249_25
.LBB249_24:
	v_and_b32_e32 v5, 3, v2
	v_lshrrev_b16 v7, 2, v2
	v_lshlrev_b32_e32 v9, 24, v2
	s_delay_alu instid0(VALU_DEP_3) | instskip(NEXT) | instid1(VALU_DEP_1)
	v_clz_i32_u32_e32 v6, v5
	v_min_u32_e32 v6, 32, v6
	s_delay_alu instid0(VALU_DEP_4) | instskip(NEXT) | instid1(VALU_DEP_2)
	v_and_b32_e32 v7, 31, v7
	v_subrev_nc_u32_e32 v8, 29, v6
	v_sub_nc_u32_e32 v6, 30, v6
	s_delay_alu instid0(VALU_DEP_3) | instskip(NEXT) | instid1(VALU_DEP_3)
	v_cmp_eq_u32_e32 vcc_lo, 0, v7
	v_lshlrev_b32_e32 v8, v8, v2
	s_delay_alu instid0(VALU_DEP_1) | instskip(SKIP_1) | instid1(VALU_DEP_2)
	v_dual_cndmask_b32 v6, v7, v6, vcc_lo :: v_dual_bitop2_b32 v8, 3, v8 bitop3:0x40
	v_and_b32_e32 v7, 0x80000000, v9
	v_cndmask_b32_e32 v5, v5, v8, vcc_lo
	s_delay_alu instid0(VALU_DEP_3) | instskip(NEXT) | instid1(VALU_DEP_2)
	v_lshl_add_u32 v6, v6, 23, 0x37800000
	v_lshlrev_b32_e32 v5, 21, v5
	s_delay_alu instid0(VALU_DEP_1)
	v_or3_b32 v5, v7, v6, v5
.LBB249_25:
	s_or_b32 exec_lo, exec_lo, s15
	s_wait_loadcnt 0x0
	v_and_b32_e32 v7, 0xff, v1
	s_mov_b32 s14, 0
	s_mov_b32 s15, exec_lo
	s_delay_alu instid0(VALU_DEP_1)
	v_cmpx_lt_i16_e32 0x7f, v7
	s_xor_b32 s15, exec_lo, s15
	s_cbranch_execnz .LBB249_52
; %bb.26:
	s_or_saveexec_b32 s15, s15
	v_mov_b32_e32 v6, 0x7f800001
	s_xor_b32 exec_lo, exec_lo, s15
	s_cbranch_execnz .LBB249_55
.LBB249_27:
	s_or_b32 exec_lo, exec_lo, s15
	s_and_saveexec_b32 s15, s14
	s_cbranch_execz .LBB249_29
.LBB249_28:
	v_and_b32_e32 v6, 3, v1
	v_lshrrev_b16 v8, 2, v1
	s_delay_alu instid0(VALU_DEP_2) | instskip(NEXT) | instid1(VALU_DEP_1)
	v_clz_i32_u32_e32 v7, v6
	v_min_u32_e32 v7, 32, v7
	s_delay_alu instid0(VALU_DEP_3) | instskip(NEXT) | instid1(VALU_DEP_2)
	v_and_b32_e32 v8, 31, v8
	v_subrev_nc_u32_e32 v9, 29, v7
	v_sub_nc_u32_e32 v7, 30, v7
	s_delay_alu instid0(VALU_DEP_3) | instskip(NEXT) | instid1(VALU_DEP_2)
	v_cmp_eq_u32_e32 vcc_lo, 0, v8
	v_dual_lshlrev_b32 v9, v9, v1 :: v_dual_cndmask_b32 v7, v8, v7, vcc_lo
	s_delay_alu instid0(VALU_DEP_1) | instskip(NEXT) | instid1(VALU_DEP_2)
	v_and_b32_e32 v9, 3, v9
	v_lshl_add_u32 v7, v7, 23, 0x37800000
	s_delay_alu instid0(VALU_DEP_2) | instskip(NEXT) | instid1(VALU_DEP_1)
	v_cndmask_b32_e32 v6, v6, v9, vcc_lo
	v_dual_lshlrev_b32 v10, 24, v1 :: v_dual_lshlrev_b32 v6, 21, v6
	s_delay_alu instid0(VALU_DEP_1) | instskip(NEXT) | instid1(VALU_DEP_1)
	v_and_b32_e32 v8, 0x80000000, v10
	v_or3_b32 v6, v8, v7, v6
.LBB249_29:
	s_or_b32 exec_lo, exec_lo, s15
	s_delay_alu instid0(VALU_DEP_1)
	v_cmp_neq_f32_e64 s14, v5, v6
	s_branch .LBB249_40
.LBB249_30:
                                        ; implicit-def: $sgpr14
	s_cbranch_execz .LBB249_40
; %bb.31:
	s_mov_b32 s14, 0
	s_mov_b32 s15, exec_lo
	s_wait_xcnt 0x0
	v_cmpx_lt_i16_e32 0x7f, v3
	s_xor_b32 s15, exec_lo, s15
	s_cbranch_execnz .LBB249_56
; %bb.32:
	s_or_saveexec_b32 s15, s15
	v_mov_b32_e32 v5, 0x7f800001
	s_xor_b32 exec_lo, exec_lo, s15
	s_cbranch_execnz .LBB249_59
.LBB249_33:
	s_or_b32 exec_lo, exec_lo, s15
	s_and_saveexec_b32 s15, s14
	s_cbranch_execz .LBB249_35
.LBB249_34:
	v_and_b32_e32 v3, 3, v2
	v_lshrrev_b16 v6, 2, v2
	s_delay_alu instid0(VALU_DEP_2) | instskip(NEXT) | instid1(VALU_DEP_1)
	v_clz_i32_u32_e32 v5, v3
	v_min_u32_e32 v5, 32, v5
	s_delay_alu instid0(VALU_DEP_3) | instskip(NEXT) | instid1(VALU_DEP_2)
	v_and_b32_e32 v6, 31, v6
	v_subrev_nc_u32_e32 v7, 29, v5
	v_sub_nc_u32_e32 v5, 30, v5
	s_delay_alu instid0(VALU_DEP_3) | instskip(NEXT) | instid1(VALU_DEP_3)
	v_cmp_eq_u32_e32 vcc_lo, 0, v6
	v_dual_lshlrev_b32 v7, v7, v2 :: v_dual_lshlrev_b32 v2, 24, v2
	s_delay_alu instid0(VALU_DEP_1) | instskip(NEXT) | instid1(VALU_DEP_2)
	v_dual_cndmask_b32 v5, v6, v5, vcc_lo :: v_dual_bitop2_b32 v7, 3, v7 bitop3:0x40
	v_and_b32_e32 v2, 0x80000000, v2
	s_delay_alu instid0(VALU_DEP_2) | instskip(NEXT) | instid1(VALU_DEP_3)
	v_cndmask_b32_e32 v3, v3, v7, vcc_lo
	v_lshl_add_u32 v5, v5, 23, 0x37800000
	s_delay_alu instid0(VALU_DEP_2) | instskip(NEXT) | instid1(VALU_DEP_1)
	v_lshlrev_b32_e32 v3, 21, v3
	v_or3_b32 v5, v2, v5, v3
.LBB249_35:
	s_or_b32 exec_lo, exec_lo, s15
	s_wait_loadcnt 0x0
	v_and_b32_e32 v3, 0xff, v1
	s_mov_b32 s14, 0
	s_mov_b32 s15, exec_lo
	s_delay_alu instid0(VALU_DEP_1)
	v_cmpx_lt_i16_e32 0x7f, v3
	s_xor_b32 s15, exec_lo, s15
	s_cbranch_execnz .LBB249_60
; %bb.36:
	s_or_saveexec_b32 s15, s15
	v_mov_b32_e32 v2, 0x7f800001
	s_xor_b32 exec_lo, exec_lo, s15
	s_cbranch_execnz .LBB249_63
.LBB249_37:
	s_or_b32 exec_lo, exec_lo, s15
	s_and_saveexec_b32 s15, s14
	s_cbranch_execz .LBB249_39
.LBB249_38:
	v_and_b32_e32 v2, 3, v1
	v_lshrrev_b16 v6, 2, v1
	s_delay_alu instid0(VALU_DEP_2) | instskip(NEXT) | instid1(VALU_DEP_1)
	v_clz_i32_u32_e32 v3, v2
	v_min_u32_e32 v3, 32, v3
	s_delay_alu instid0(VALU_DEP_3) | instskip(NEXT) | instid1(VALU_DEP_2)
	v_and_b32_e32 v6, 31, v6
	v_subrev_nc_u32_e32 v7, 29, v3
	v_sub_nc_u32_e32 v3, 30, v3
	s_delay_alu instid0(VALU_DEP_3) | instskip(NEXT) | instid1(VALU_DEP_3)
	v_cmp_eq_u32_e32 vcc_lo, 0, v6
	v_dual_lshlrev_b32 v7, v7, v1 :: v_dual_lshlrev_b32 v1, 24, v1
	s_delay_alu instid0(VALU_DEP_1) | instskip(NEXT) | instid1(VALU_DEP_2)
	v_and_b32_e32 v7, 3, v7
	v_and_b32_e32 v1, 0x80000000, v1
	s_delay_alu instid0(VALU_DEP_2) | instskip(NEXT) | instid1(VALU_DEP_1)
	v_cndmask_b32_e32 v2, v2, v7, vcc_lo
	v_dual_cndmask_b32 v3, v6, v3 :: v_dual_lshlrev_b32 v2, 21, v2
	s_delay_alu instid0(VALU_DEP_1) | instskip(NEXT) | instid1(VALU_DEP_1)
	v_lshl_add_u32 v3, v3, 23, 0x37800000
	v_or3_b32 v2, v1, v3, v2
.LBB249_39:
	s_or_b32 exec_lo, exec_lo, s15
	s_delay_alu instid0(VALU_DEP_1)
	v_cmp_eq_f32_e64 s14, v5, v2
.LBB249_40:
	s_wait_loadcnt 0x0
	s_delay_alu instid0(VALU_DEP_1) | instskip(SKIP_4) | instid1(SALU_CYCLE_1)
	v_cndmask_b32_e64 v1, 0, 1, s14
	v_add_nc_u32_e32 v0, 0x80, v0
	global_store_b8 v4, v1, s[0:1]
	s_wait_xcnt 0x0
	s_or_b32 exec_lo, exec_lo, s18
	s_mov_b32 s18, exec_lo
	v_cmpx_gt_i32_e64 s33, v0
	s_cbranch_execz .LBB249_3
.LBB249_41:
	s_and_not1_b32 vcc_lo, exec_lo, s28
	s_cbranch_vccnz .LBB249_47
; %bb.42:
	s_and_not1_b32 vcc_lo, exec_lo, s34
	s_cbranch_vccnz .LBB249_64
; %bb.43:
	v_dual_mov_b32 v4, 0 :: v_dual_mov_b32 v1, v0
	v_dual_mov_b32 v6, 0 :: v_dual_mov_b32 v5, 0
	s_add_co_i32 s35, s31, 1
	s_mov_b64 s[14:15], 0xffffffffffffffe8
	s_and_b32 s35, s35, 30
	s_add_nc_u64 s[14:15], s[16:17], s[14:15]
.LBB249_44:                             ; =>This Inner Loop Header: Depth=1
	s_clause 0x1
	s_load_b128 s[36:39], s[14:15], 0x1c
	s_load_b64 s[44:45], s[14:15], 0x2c
	s_add_co_i32 s35, s35, -2
	s_delay_alu instid0(SALU_CYCLE_1) | instskip(SKIP_2) | instid1(VALU_DEP_1)
	s_cmp_eq_u32 s35, 0
	s_wait_kmcnt 0x0
	v_mul_hi_u32 v2, s37, v1
	v_add_nc_u32_e32 v2, v1, v2
	s_delay_alu instid0(VALU_DEP_1) | instskip(NEXT) | instid1(VALU_DEP_1)
	v_lshrrev_b32_e32 v2, s38, v2
	v_mul_hi_u32 v3, s44, v2
	v_mul_lo_u32 v7, v2, s36
	s_clause 0x1
	s_load_b128 s[40:43], s[14:15], 0xdc
	s_load_b64 s[36:37], s[14:15], 0xec
	s_wait_xcnt 0x0
	s_add_nc_u64 s[14:15], s[14:15], 24
	s_delay_alu instid0(VALU_DEP_2) | instskip(NEXT) | instid1(VALU_DEP_2)
	v_add_nc_u32_e32 v3, v2, v3
	v_sub_nc_u32_e32 v7, v1, v7
	s_delay_alu instid0(VALU_DEP_2) | instskip(SKIP_1) | instid1(VALU_DEP_2)
	v_lshrrev_b32_e32 v1, s45, v3
	s_wait_kmcnt 0x0
	v_mad_u32 v4, v7, s40, v4
	s_delay_alu instid0(VALU_DEP_2) | instskip(SKIP_2) | instid1(VALU_DEP_3)
	v_mul_lo_u32 v3, v1, s39
	v_mad_u32 v5, v7, s42, v5
	v_mad_u32 v6, v7, s41, v6
	v_sub_nc_u32_e32 v2, v2, v3
	s_delay_alu instid0(VALU_DEP_1) | instskip(NEXT) | instid1(VALU_DEP_4)
	v_mad_u32 v4, v2, s43, v4
	v_mad_u32 v5, v2, s37, v5
	s_delay_alu instid0(VALU_DEP_4)
	v_mad_u32 v6, v2, s36, v6
	s_cbranch_scc0 .LBB249_44
; %bb.45:
	s_bitcmp1_b32 s31, 0
	s_cselect_b32 s35, -1, 0
	s_delay_alu instid0(SALU_CYCLE_1)
	s_and_b32 vcc_lo, exec_lo, s35
	s_cbranch_vccnz .LBB249_65
; %bb.46:
	s_clause 0x1
	s_load_b96 s[36:38], s[14:15], 0x1c
	s_load_b96 s[40:42], s[14:15], 0xdc
	s_wait_kmcnt 0x0
	v_mul_hi_u32 v2, s37, v1
	s_delay_alu instid0(VALU_DEP_1) | instskip(NEXT) | instid1(VALU_DEP_1)
	v_add_nc_u32_e32 v2, v1, v2
	v_lshrrev_b32_e32 v2, s38, v2
	s_delay_alu instid0(VALU_DEP_1) | instskip(NEXT) | instid1(VALU_DEP_1)
	v_mul_lo_u32 v2, v2, s36
	v_sub_nc_u32_e32 v1, v1, v2
	s_delay_alu instid0(VALU_DEP_1)
	v_mad_u32 v4, v1, s40, v4
	v_mad_u32 v6, v1, s41, v6
	;; [unrolled: 1-line block ×3, first 2 shown]
	s_branch .LBB249_65
.LBB249_47:
                                        ; implicit-def: $vgpr5
                                        ; implicit-def: $vgpr6
                                        ; implicit-def: $vgpr4
	s_branch .LBB249_66
.LBB249_48:
	s_mov_b32 s14, -1
	s_mov_b32 s35, exec_lo
	v_cmpx_eq_u16_e32 0x80, v3
; %bb.49:
	s_xor_b32 s14, exec_lo, -1
; %bb.50:
	s_or_b32 exec_lo, exec_lo, s35
	s_delay_alu instid0(SALU_CYCLE_1)
	s_and_b32 s14, s14, exec_lo
	s_or_saveexec_b32 s15, s15
	v_mov_b32_e32 v5, 0x7f800001
	s_xor_b32 exec_lo, exec_lo, s15
	s_cbranch_execz .LBB249_23
.LBB249_51:
	v_cmp_ne_u16_e32 vcc_lo, 0, v3
	v_mov_b32_e32 v5, 0
	s_and_not1_b32 s14, s14, exec_lo
	s_and_b32 s35, vcc_lo, exec_lo
	s_delay_alu instid0(SALU_CYCLE_1)
	s_or_b32 s14, s14, s35
	s_or_b32 exec_lo, exec_lo, s15
	s_and_saveexec_b32 s15, s14
	s_cbranch_execnz .LBB249_24
	s_branch .LBB249_25
.LBB249_52:
	s_mov_b32 s14, -1
	s_mov_b32 s35, exec_lo
	v_cmpx_eq_u16_e32 0x80, v7
; %bb.53:
	s_xor_b32 s14, exec_lo, -1
; %bb.54:
	s_or_b32 exec_lo, exec_lo, s35
	s_delay_alu instid0(SALU_CYCLE_1)
	s_and_b32 s14, s14, exec_lo
                                        ; implicit-def: $vgpr7
	s_or_saveexec_b32 s15, s15
	v_mov_b32_e32 v6, 0x7f800001
	s_xor_b32 exec_lo, exec_lo, s15
	s_cbranch_execz .LBB249_27
.LBB249_55:
	v_cmp_ne_u16_e32 vcc_lo, 0, v7
	v_mov_b32_e32 v6, 0
	s_and_not1_b32 s14, s14, exec_lo
	s_and_b32 s35, vcc_lo, exec_lo
	s_delay_alu instid0(SALU_CYCLE_1)
	s_or_b32 s14, s14, s35
	s_or_b32 exec_lo, exec_lo, s15
	s_and_saveexec_b32 s15, s14
	s_cbranch_execnz .LBB249_28
	s_branch .LBB249_29
.LBB249_56:
	s_mov_b32 s14, -1
	s_mov_b32 s35, exec_lo
	v_cmpx_eq_u16_e32 0x80, v3
; %bb.57:
	s_xor_b32 s14, exec_lo, -1
; %bb.58:
	s_or_b32 exec_lo, exec_lo, s35
	s_delay_alu instid0(SALU_CYCLE_1)
	s_and_b32 s14, s14, exec_lo
                                        ; implicit-def: $vgpr3
	s_or_saveexec_b32 s15, s15
	v_mov_b32_e32 v5, 0x7f800001
	s_xor_b32 exec_lo, exec_lo, s15
	s_cbranch_execz .LBB249_33
.LBB249_59:
	v_cmp_ne_u16_e32 vcc_lo, 0, v3
	v_mov_b32_e32 v5, 0
	s_and_not1_b32 s14, s14, exec_lo
	s_and_b32 s35, vcc_lo, exec_lo
	s_delay_alu instid0(SALU_CYCLE_1)
	s_or_b32 s14, s14, s35
	s_or_b32 exec_lo, exec_lo, s15
	s_and_saveexec_b32 s15, s14
	s_cbranch_execnz .LBB249_34
	s_branch .LBB249_35
.LBB249_60:
	s_mov_b32 s14, -1
	s_mov_b32 s35, exec_lo
	v_cmpx_eq_u16_e32 0x80, v3
; %bb.61:
	s_xor_b32 s14, exec_lo, -1
; %bb.62:
	s_or_b32 exec_lo, exec_lo, s35
	s_delay_alu instid0(SALU_CYCLE_1)
	s_and_b32 s14, s14, exec_lo
                                        ; implicit-def: $vgpr3
	s_or_saveexec_b32 s15, s15
	v_mov_b32_e32 v2, 0x7f800001
	s_xor_b32 exec_lo, exec_lo, s15
	s_cbranch_execz .LBB249_37
.LBB249_63:
	v_cmp_ne_u16_e32 vcc_lo, 0, v3
	v_mov_b32_e32 v2, 0
	s_and_not1_b32 s14, s14, exec_lo
	s_and_b32 s35, vcc_lo, exec_lo
	s_delay_alu instid0(SALU_CYCLE_1)
	s_or_b32 s14, s14, s35
	s_or_b32 exec_lo, exec_lo, s15
	s_and_saveexec_b32 s15, s14
	s_cbranch_execnz .LBB249_38
	s_branch .LBB249_39
.LBB249_64:
	v_dual_mov_b32 v5, 0 :: v_dual_mov_b32 v6, 0
	v_mov_b32_e32 v4, 0
.LBB249_65:
	s_cbranch_execnz .LBB249_68
.LBB249_66:
	v_mov_b32_e32 v1, 0
	s_and_not1_b32 vcc_lo, exec_lo, s30
	s_delay_alu instid0(VALU_DEP_1) | instskip(NEXT) | instid1(VALU_DEP_1)
	v_mul_u64_e32 v[2:3], s[20:21], v[0:1]
	v_add_nc_u32_e32 v2, v0, v3
	s_delay_alu instid0(VALU_DEP_1) | instskip(NEXT) | instid1(VALU_DEP_1)
	v_lshrrev_b32_e32 v2, s6, v2
	v_mul_lo_u32 v3, v2, s4
	s_delay_alu instid0(VALU_DEP_1) | instskip(NEXT) | instid1(VALU_DEP_1)
	v_sub_nc_u32_e32 v3, v0, v3
	v_mul_lo_u32 v4, v3, s8
	v_mul_lo_u32 v5, v3, s10
	;; [unrolled: 1-line block ×3, first 2 shown]
	s_cbranch_vccnz .LBB249_68
; %bb.67:
	v_mov_b32_e32 v3, v1
	s_delay_alu instid0(VALU_DEP_1) | instskip(NEXT) | instid1(VALU_DEP_1)
	v_mul_u64_e32 v[8:9], s[24:25], v[2:3]
	v_add_nc_u32_e32 v1, v2, v9
	s_delay_alu instid0(VALU_DEP_1) | instskip(NEXT) | instid1(VALU_DEP_1)
	v_lshrrev_b32_e32 v1, s19, v1
	v_mul_lo_u32 v1, v1, s7
	s_delay_alu instid0(VALU_DEP_1) | instskip(NEXT) | instid1(VALU_DEP_1)
	v_sub_nc_u32_e32 v1, v2, v1
	v_mad_u32 v4, v1, s11, v4
	v_mad_u32 v6, v1, s22, v6
	;; [unrolled: 1-line block ×3, first 2 shown]
.LBB249_68:
	global_load_u8 v2, v6, s[2:3]
	global_load_u8 v1, v5, s[12:13]
	s_and_not1_b32 vcc_lo, exec_lo, s5
	s_wait_loadcnt 0x1
	v_and_b32_e32 v3, 0xff, v2
	s_cbranch_vccnz .LBB249_78
; %bb.69:
	s_mov_b32 s14, 0
	s_mov_b32 s15, exec_lo
	s_wait_xcnt 0x0
	v_cmpx_lt_i16_e32 0x7f, v3
	s_xor_b32 s15, exec_lo, s15
	s_cbranch_execnz .LBB249_96
; %bb.70:
	s_or_saveexec_b32 s15, s15
	v_mov_b32_e32 v5, 0x7f800001
	s_xor_b32 exec_lo, exec_lo, s15
	s_cbranch_execnz .LBB249_99
.LBB249_71:
	s_or_b32 exec_lo, exec_lo, s15
	s_and_saveexec_b32 s15, s14
	s_cbranch_execz .LBB249_73
.LBB249_72:
	v_and_b32_e32 v5, 3, v2
	v_lshrrev_b16 v7, 2, v2
	v_lshlrev_b32_e32 v9, 24, v2
	s_delay_alu instid0(VALU_DEP_3) | instskip(NEXT) | instid1(VALU_DEP_1)
	v_clz_i32_u32_e32 v6, v5
	v_min_u32_e32 v6, 32, v6
	s_delay_alu instid0(VALU_DEP_4) | instskip(NEXT) | instid1(VALU_DEP_2)
	v_and_b32_e32 v7, 31, v7
	v_subrev_nc_u32_e32 v8, 29, v6
	v_sub_nc_u32_e32 v6, 30, v6
	s_delay_alu instid0(VALU_DEP_3) | instskip(NEXT) | instid1(VALU_DEP_3)
	v_cmp_eq_u32_e32 vcc_lo, 0, v7
	v_lshlrev_b32_e32 v8, v8, v2
	s_delay_alu instid0(VALU_DEP_1) | instskip(SKIP_1) | instid1(VALU_DEP_2)
	v_dual_cndmask_b32 v6, v7, v6, vcc_lo :: v_dual_bitop2_b32 v8, 3, v8 bitop3:0x40
	v_and_b32_e32 v7, 0x80000000, v9
	v_cndmask_b32_e32 v5, v5, v8, vcc_lo
	s_delay_alu instid0(VALU_DEP_3) | instskip(NEXT) | instid1(VALU_DEP_2)
	v_lshl_add_u32 v6, v6, 23, 0x37800000
	v_lshlrev_b32_e32 v5, 21, v5
	s_delay_alu instid0(VALU_DEP_1)
	v_or3_b32 v5, v7, v6, v5
.LBB249_73:
	s_or_b32 exec_lo, exec_lo, s15
	s_wait_loadcnt 0x0
	v_and_b32_e32 v7, 0xff, v1
	s_mov_b32 s14, 0
	s_mov_b32 s15, exec_lo
	s_delay_alu instid0(VALU_DEP_1)
	v_cmpx_lt_i16_e32 0x7f, v7
	s_xor_b32 s15, exec_lo, s15
	s_cbranch_execnz .LBB249_100
; %bb.74:
	s_or_saveexec_b32 s15, s15
	v_mov_b32_e32 v6, 0x7f800001
	s_xor_b32 exec_lo, exec_lo, s15
	s_cbranch_execnz .LBB249_103
.LBB249_75:
	s_or_b32 exec_lo, exec_lo, s15
	s_and_saveexec_b32 s15, s14
	s_cbranch_execz .LBB249_77
.LBB249_76:
	v_and_b32_e32 v6, 3, v1
	v_lshrrev_b16 v8, 2, v1
	s_delay_alu instid0(VALU_DEP_2) | instskip(NEXT) | instid1(VALU_DEP_1)
	v_clz_i32_u32_e32 v7, v6
	v_min_u32_e32 v7, 32, v7
	s_delay_alu instid0(VALU_DEP_3) | instskip(NEXT) | instid1(VALU_DEP_2)
	v_and_b32_e32 v8, 31, v8
	v_subrev_nc_u32_e32 v9, 29, v7
	v_sub_nc_u32_e32 v7, 30, v7
	s_delay_alu instid0(VALU_DEP_3) | instskip(NEXT) | instid1(VALU_DEP_2)
	v_cmp_eq_u32_e32 vcc_lo, 0, v8
	v_dual_lshlrev_b32 v9, v9, v1 :: v_dual_cndmask_b32 v7, v8, v7, vcc_lo
	s_delay_alu instid0(VALU_DEP_1) | instskip(NEXT) | instid1(VALU_DEP_2)
	v_and_b32_e32 v9, 3, v9
	v_lshl_add_u32 v7, v7, 23, 0x37800000
	s_delay_alu instid0(VALU_DEP_2) | instskip(NEXT) | instid1(VALU_DEP_1)
	v_cndmask_b32_e32 v6, v6, v9, vcc_lo
	v_dual_lshlrev_b32 v10, 24, v1 :: v_dual_lshlrev_b32 v6, 21, v6
	s_delay_alu instid0(VALU_DEP_1) | instskip(NEXT) | instid1(VALU_DEP_1)
	v_and_b32_e32 v8, 0x80000000, v10
	v_or3_b32 v6, v8, v7, v6
.LBB249_77:
	s_or_b32 exec_lo, exec_lo, s15
	s_delay_alu instid0(VALU_DEP_1)
	v_cmp_neq_f32_e64 s14, v5, v6
	s_branch .LBB249_88
.LBB249_78:
                                        ; implicit-def: $sgpr14
	s_cbranch_execz .LBB249_88
; %bb.79:
	s_mov_b32 s14, 0
	s_mov_b32 s15, exec_lo
	s_wait_xcnt 0x0
	v_cmpx_lt_i16_e32 0x7f, v3
	s_xor_b32 s15, exec_lo, s15
	s_cbranch_execnz .LBB249_104
; %bb.80:
	s_or_saveexec_b32 s15, s15
	v_mov_b32_e32 v5, 0x7f800001
	s_xor_b32 exec_lo, exec_lo, s15
	s_cbranch_execnz .LBB249_107
.LBB249_81:
	s_or_b32 exec_lo, exec_lo, s15
	s_and_saveexec_b32 s15, s14
	s_cbranch_execz .LBB249_83
.LBB249_82:
	v_and_b32_e32 v3, 3, v2
	v_lshrrev_b16 v6, 2, v2
	s_delay_alu instid0(VALU_DEP_2) | instskip(NEXT) | instid1(VALU_DEP_1)
	v_clz_i32_u32_e32 v5, v3
	v_min_u32_e32 v5, 32, v5
	s_delay_alu instid0(VALU_DEP_3) | instskip(NEXT) | instid1(VALU_DEP_2)
	v_and_b32_e32 v6, 31, v6
	v_subrev_nc_u32_e32 v7, 29, v5
	v_sub_nc_u32_e32 v5, 30, v5
	s_delay_alu instid0(VALU_DEP_3) | instskip(NEXT) | instid1(VALU_DEP_3)
	v_cmp_eq_u32_e32 vcc_lo, 0, v6
	v_dual_lshlrev_b32 v7, v7, v2 :: v_dual_lshlrev_b32 v2, 24, v2
	s_delay_alu instid0(VALU_DEP_1) | instskip(NEXT) | instid1(VALU_DEP_2)
	v_dual_cndmask_b32 v5, v6, v5, vcc_lo :: v_dual_bitop2_b32 v7, 3, v7 bitop3:0x40
	v_and_b32_e32 v2, 0x80000000, v2
	s_delay_alu instid0(VALU_DEP_2) | instskip(NEXT) | instid1(VALU_DEP_3)
	v_cndmask_b32_e32 v3, v3, v7, vcc_lo
	v_lshl_add_u32 v5, v5, 23, 0x37800000
	s_delay_alu instid0(VALU_DEP_2) | instskip(NEXT) | instid1(VALU_DEP_1)
	v_lshlrev_b32_e32 v3, 21, v3
	v_or3_b32 v5, v2, v5, v3
.LBB249_83:
	s_or_b32 exec_lo, exec_lo, s15
	s_wait_loadcnt 0x0
	v_and_b32_e32 v3, 0xff, v1
	s_mov_b32 s14, 0
	s_mov_b32 s15, exec_lo
	s_delay_alu instid0(VALU_DEP_1)
	v_cmpx_lt_i16_e32 0x7f, v3
	s_xor_b32 s15, exec_lo, s15
	s_cbranch_execnz .LBB249_108
; %bb.84:
	s_or_saveexec_b32 s15, s15
	v_mov_b32_e32 v2, 0x7f800001
	s_xor_b32 exec_lo, exec_lo, s15
	s_cbranch_execnz .LBB249_111
.LBB249_85:
	s_or_b32 exec_lo, exec_lo, s15
	s_and_saveexec_b32 s15, s14
	s_cbranch_execz .LBB249_87
.LBB249_86:
	v_and_b32_e32 v2, 3, v1
	v_lshrrev_b16 v6, 2, v1
	s_delay_alu instid0(VALU_DEP_2) | instskip(NEXT) | instid1(VALU_DEP_1)
	v_clz_i32_u32_e32 v3, v2
	v_min_u32_e32 v3, 32, v3
	s_delay_alu instid0(VALU_DEP_3) | instskip(NEXT) | instid1(VALU_DEP_2)
	v_and_b32_e32 v6, 31, v6
	v_subrev_nc_u32_e32 v7, 29, v3
	v_sub_nc_u32_e32 v3, 30, v3
	s_delay_alu instid0(VALU_DEP_3) | instskip(NEXT) | instid1(VALU_DEP_3)
	v_cmp_eq_u32_e32 vcc_lo, 0, v6
	v_dual_lshlrev_b32 v7, v7, v1 :: v_dual_lshlrev_b32 v1, 24, v1
	s_delay_alu instid0(VALU_DEP_1) | instskip(NEXT) | instid1(VALU_DEP_2)
	v_and_b32_e32 v7, 3, v7
	v_and_b32_e32 v1, 0x80000000, v1
	s_delay_alu instid0(VALU_DEP_2) | instskip(NEXT) | instid1(VALU_DEP_1)
	v_cndmask_b32_e32 v2, v2, v7, vcc_lo
	v_dual_cndmask_b32 v3, v6, v3 :: v_dual_lshlrev_b32 v2, 21, v2
	s_delay_alu instid0(VALU_DEP_1) | instskip(NEXT) | instid1(VALU_DEP_1)
	v_lshl_add_u32 v3, v3, 23, 0x37800000
	v_or3_b32 v2, v1, v3, v2
.LBB249_87:
	s_or_b32 exec_lo, exec_lo, s15
	s_delay_alu instid0(VALU_DEP_1)
	v_cmp_eq_f32_e64 s14, v5, v2
.LBB249_88:
	s_wait_loadcnt 0x0
	s_delay_alu instid0(VALU_DEP_1) | instskip(SKIP_4) | instid1(SALU_CYCLE_1)
	v_cndmask_b32_e64 v1, 0, 1, s14
	v_add_nc_u32_e32 v0, 0x80, v0
	global_store_b8 v4, v1, s[0:1]
	s_wait_xcnt 0x0
	s_or_b32 exec_lo, exec_lo, s18
	s_mov_b32 s18, exec_lo
	v_cmpx_gt_i32_e64 s33, v0
	s_cbranch_execz .LBB249_4
.LBB249_89:
	s_and_not1_b32 vcc_lo, exec_lo, s28
	s_cbranch_vccnz .LBB249_95
; %bb.90:
	s_and_not1_b32 vcc_lo, exec_lo, s34
	s_cbranch_vccnz .LBB249_112
; %bb.91:
	v_dual_mov_b32 v4, 0 :: v_dual_mov_b32 v1, v0
	v_dual_mov_b32 v6, 0 :: v_dual_mov_b32 v5, 0
	s_add_co_i32 s35, s31, 1
	s_mov_b64 s[14:15], 0xffffffffffffffe8
	s_and_b32 s35, s35, 30
	s_add_nc_u64 s[14:15], s[16:17], s[14:15]
.LBB249_92:                             ; =>This Inner Loop Header: Depth=1
	s_clause 0x1
	s_load_b128 s[36:39], s[14:15], 0x1c
	s_load_b64 s[44:45], s[14:15], 0x2c
	s_add_co_i32 s35, s35, -2
	s_delay_alu instid0(SALU_CYCLE_1) | instskip(SKIP_2) | instid1(VALU_DEP_1)
	s_cmp_eq_u32 s35, 0
	s_wait_kmcnt 0x0
	v_mul_hi_u32 v2, s37, v1
	v_add_nc_u32_e32 v2, v1, v2
	s_delay_alu instid0(VALU_DEP_1) | instskip(NEXT) | instid1(VALU_DEP_1)
	v_lshrrev_b32_e32 v2, s38, v2
	v_mul_hi_u32 v3, s44, v2
	v_mul_lo_u32 v7, v2, s36
	s_clause 0x1
	s_load_b128 s[40:43], s[14:15], 0xdc
	s_load_b64 s[36:37], s[14:15], 0xec
	s_wait_xcnt 0x0
	s_add_nc_u64 s[14:15], s[14:15], 24
	s_delay_alu instid0(VALU_DEP_2) | instskip(NEXT) | instid1(VALU_DEP_2)
	v_add_nc_u32_e32 v3, v2, v3
	v_sub_nc_u32_e32 v7, v1, v7
	s_delay_alu instid0(VALU_DEP_2) | instskip(SKIP_1) | instid1(VALU_DEP_2)
	v_lshrrev_b32_e32 v1, s45, v3
	s_wait_kmcnt 0x0
	v_mad_u32 v4, v7, s40, v4
	s_delay_alu instid0(VALU_DEP_2) | instskip(SKIP_2) | instid1(VALU_DEP_3)
	v_mul_lo_u32 v3, v1, s39
	v_mad_u32 v5, v7, s42, v5
	v_mad_u32 v6, v7, s41, v6
	v_sub_nc_u32_e32 v2, v2, v3
	s_delay_alu instid0(VALU_DEP_1) | instskip(NEXT) | instid1(VALU_DEP_4)
	v_mad_u32 v4, v2, s43, v4
	v_mad_u32 v5, v2, s37, v5
	s_delay_alu instid0(VALU_DEP_4)
	v_mad_u32 v6, v2, s36, v6
	s_cbranch_scc0 .LBB249_92
; %bb.93:
	s_bitcmp1_b32 s31, 0
	s_cselect_b32 s35, -1, 0
	s_delay_alu instid0(SALU_CYCLE_1)
	s_and_b32 vcc_lo, exec_lo, s35
	s_cbranch_vccnz .LBB249_113
; %bb.94:
	s_clause 0x1
	s_load_b96 s[36:38], s[14:15], 0x1c
	s_load_b96 s[40:42], s[14:15], 0xdc
	s_wait_kmcnt 0x0
	v_mul_hi_u32 v2, s37, v1
	s_delay_alu instid0(VALU_DEP_1) | instskip(NEXT) | instid1(VALU_DEP_1)
	v_add_nc_u32_e32 v2, v1, v2
	v_lshrrev_b32_e32 v2, s38, v2
	s_delay_alu instid0(VALU_DEP_1) | instskip(NEXT) | instid1(VALU_DEP_1)
	v_mul_lo_u32 v2, v2, s36
	v_sub_nc_u32_e32 v1, v1, v2
	s_delay_alu instid0(VALU_DEP_1)
	v_mad_u32 v4, v1, s40, v4
	v_mad_u32 v6, v1, s41, v6
	;; [unrolled: 1-line block ×3, first 2 shown]
	s_branch .LBB249_113
.LBB249_95:
                                        ; implicit-def: $vgpr5
                                        ; implicit-def: $vgpr6
                                        ; implicit-def: $vgpr4
	s_branch .LBB249_114
.LBB249_96:
	s_mov_b32 s14, -1
	s_mov_b32 s35, exec_lo
	v_cmpx_eq_u16_e32 0x80, v3
; %bb.97:
	s_xor_b32 s14, exec_lo, -1
; %bb.98:
	s_or_b32 exec_lo, exec_lo, s35
	s_delay_alu instid0(SALU_CYCLE_1)
	s_and_b32 s14, s14, exec_lo
	s_or_saveexec_b32 s15, s15
	v_mov_b32_e32 v5, 0x7f800001
	s_xor_b32 exec_lo, exec_lo, s15
	s_cbranch_execz .LBB249_71
.LBB249_99:
	v_cmp_ne_u16_e32 vcc_lo, 0, v3
	v_mov_b32_e32 v5, 0
	s_and_not1_b32 s14, s14, exec_lo
	s_and_b32 s35, vcc_lo, exec_lo
	s_delay_alu instid0(SALU_CYCLE_1)
	s_or_b32 s14, s14, s35
	s_or_b32 exec_lo, exec_lo, s15
	s_and_saveexec_b32 s15, s14
	s_cbranch_execnz .LBB249_72
	s_branch .LBB249_73
.LBB249_100:
	s_mov_b32 s14, -1
	s_mov_b32 s35, exec_lo
	v_cmpx_eq_u16_e32 0x80, v7
; %bb.101:
	s_xor_b32 s14, exec_lo, -1
; %bb.102:
	s_or_b32 exec_lo, exec_lo, s35
	s_delay_alu instid0(SALU_CYCLE_1)
	s_and_b32 s14, s14, exec_lo
                                        ; implicit-def: $vgpr7
	s_or_saveexec_b32 s15, s15
	v_mov_b32_e32 v6, 0x7f800001
	s_xor_b32 exec_lo, exec_lo, s15
	s_cbranch_execz .LBB249_75
.LBB249_103:
	v_cmp_ne_u16_e32 vcc_lo, 0, v7
	v_mov_b32_e32 v6, 0
	s_and_not1_b32 s14, s14, exec_lo
	s_and_b32 s35, vcc_lo, exec_lo
	s_delay_alu instid0(SALU_CYCLE_1)
	s_or_b32 s14, s14, s35
	s_or_b32 exec_lo, exec_lo, s15
	s_and_saveexec_b32 s15, s14
	s_cbranch_execnz .LBB249_76
	s_branch .LBB249_77
.LBB249_104:
	s_mov_b32 s14, -1
	s_mov_b32 s35, exec_lo
	v_cmpx_eq_u16_e32 0x80, v3
; %bb.105:
	s_xor_b32 s14, exec_lo, -1
; %bb.106:
	s_or_b32 exec_lo, exec_lo, s35
	s_delay_alu instid0(SALU_CYCLE_1)
	s_and_b32 s14, s14, exec_lo
                                        ; implicit-def: $vgpr3
	s_or_saveexec_b32 s15, s15
	v_mov_b32_e32 v5, 0x7f800001
	s_xor_b32 exec_lo, exec_lo, s15
	s_cbranch_execz .LBB249_81
.LBB249_107:
	v_cmp_ne_u16_e32 vcc_lo, 0, v3
	v_mov_b32_e32 v5, 0
	s_and_not1_b32 s14, s14, exec_lo
	s_and_b32 s35, vcc_lo, exec_lo
	s_delay_alu instid0(SALU_CYCLE_1)
	s_or_b32 s14, s14, s35
	s_or_b32 exec_lo, exec_lo, s15
	s_and_saveexec_b32 s15, s14
	s_cbranch_execnz .LBB249_82
	s_branch .LBB249_83
.LBB249_108:
	s_mov_b32 s14, -1
	s_mov_b32 s35, exec_lo
	v_cmpx_eq_u16_e32 0x80, v3
; %bb.109:
	s_xor_b32 s14, exec_lo, -1
; %bb.110:
	s_or_b32 exec_lo, exec_lo, s35
	s_delay_alu instid0(SALU_CYCLE_1)
	s_and_b32 s14, s14, exec_lo
                                        ; implicit-def: $vgpr3
	s_or_saveexec_b32 s15, s15
	v_mov_b32_e32 v2, 0x7f800001
	s_xor_b32 exec_lo, exec_lo, s15
	s_cbranch_execz .LBB249_85
.LBB249_111:
	v_cmp_ne_u16_e32 vcc_lo, 0, v3
	v_mov_b32_e32 v2, 0
	s_and_not1_b32 s14, s14, exec_lo
	s_and_b32 s35, vcc_lo, exec_lo
	s_delay_alu instid0(SALU_CYCLE_1)
	s_or_b32 s14, s14, s35
	s_or_b32 exec_lo, exec_lo, s15
	s_and_saveexec_b32 s15, s14
	s_cbranch_execnz .LBB249_86
	s_branch .LBB249_87
.LBB249_112:
	v_dual_mov_b32 v5, 0 :: v_dual_mov_b32 v6, 0
	v_mov_b32_e32 v4, 0
.LBB249_113:
	s_cbranch_execnz .LBB249_116
.LBB249_114:
	v_mov_b32_e32 v1, 0
	s_and_not1_b32 vcc_lo, exec_lo, s30
	s_delay_alu instid0(VALU_DEP_1) | instskip(NEXT) | instid1(VALU_DEP_1)
	v_mul_u64_e32 v[2:3], s[20:21], v[0:1]
	v_add_nc_u32_e32 v2, v0, v3
	s_delay_alu instid0(VALU_DEP_1) | instskip(NEXT) | instid1(VALU_DEP_1)
	v_lshrrev_b32_e32 v2, s6, v2
	v_mul_lo_u32 v3, v2, s4
	s_delay_alu instid0(VALU_DEP_1) | instskip(NEXT) | instid1(VALU_DEP_1)
	v_sub_nc_u32_e32 v3, v0, v3
	v_mul_lo_u32 v4, v3, s8
	v_mul_lo_u32 v5, v3, s10
	;; [unrolled: 1-line block ×3, first 2 shown]
	s_cbranch_vccnz .LBB249_116
; %bb.115:
	v_mov_b32_e32 v3, v1
	s_delay_alu instid0(VALU_DEP_1) | instskip(NEXT) | instid1(VALU_DEP_1)
	v_mul_u64_e32 v[8:9], s[24:25], v[2:3]
	v_add_nc_u32_e32 v1, v2, v9
	s_delay_alu instid0(VALU_DEP_1) | instskip(NEXT) | instid1(VALU_DEP_1)
	v_lshrrev_b32_e32 v1, s19, v1
	v_mul_lo_u32 v1, v1, s7
	s_delay_alu instid0(VALU_DEP_1) | instskip(NEXT) | instid1(VALU_DEP_1)
	v_sub_nc_u32_e32 v1, v2, v1
	v_mad_u32 v4, v1, s11, v4
	v_mad_u32 v6, v1, s22, v6
	;; [unrolled: 1-line block ×3, first 2 shown]
.LBB249_116:
	global_load_u8 v2, v6, s[2:3]
	global_load_u8 v1, v5, s[12:13]
	s_and_not1_b32 vcc_lo, exec_lo, s5
	s_wait_loadcnt 0x1
	v_and_b32_e32 v3, 0xff, v2
	s_cbranch_vccnz .LBB249_126
; %bb.117:
	s_mov_b32 s14, 0
	s_mov_b32 s15, exec_lo
	s_wait_xcnt 0x0
	v_cmpx_lt_i16_e32 0x7f, v3
	s_xor_b32 s15, exec_lo, s15
	s_cbranch_execnz .LBB249_144
; %bb.118:
	s_or_saveexec_b32 s15, s15
	v_mov_b32_e32 v5, 0x7f800001
	s_xor_b32 exec_lo, exec_lo, s15
	s_cbranch_execnz .LBB249_147
.LBB249_119:
	s_or_b32 exec_lo, exec_lo, s15
	s_and_saveexec_b32 s15, s14
	s_cbranch_execz .LBB249_121
.LBB249_120:
	v_and_b32_e32 v5, 3, v2
	v_lshrrev_b16 v7, 2, v2
	v_lshlrev_b32_e32 v9, 24, v2
	s_delay_alu instid0(VALU_DEP_3) | instskip(NEXT) | instid1(VALU_DEP_1)
	v_clz_i32_u32_e32 v6, v5
	v_min_u32_e32 v6, 32, v6
	s_delay_alu instid0(VALU_DEP_4) | instskip(NEXT) | instid1(VALU_DEP_2)
	v_and_b32_e32 v7, 31, v7
	v_subrev_nc_u32_e32 v8, 29, v6
	v_sub_nc_u32_e32 v6, 30, v6
	s_delay_alu instid0(VALU_DEP_3) | instskip(NEXT) | instid1(VALU_DEP_3)
	v_cmp_eq_u32_e32 vcc_lo, 0, v7
	v_lshlrev_b32_e32 v8, v8, v2
	s_delay_alu instid0(VALU_DEP_1) | instskip(SKIP_1) | instid1(VALU_DEP_2)
	v_dual_cndmask_b32 v6, v7, v6, vcc_lo :: v_dual_bitop2_b32 v8, 3, v8 bitop3:0x40
	v_and_b32_e32 v7, 0x80000000, v9
	v_cndmask_b32_e32 v5, v5, v8, vcc_lo
	s_delay_alu instid0(VALU_DEP_3) | instskip(NEXT) | instid1(VALU_DEP_2)
	v_lshl_add_u32 v6, v6, 23, 0x37800000
	v_lshlrev_b32_e32 v5, 21, v5
	s_delay_alu instid0(VALU_DEP_1)
	v_or3_b32 v5, v7, v6, v5
.LBB249_121:
	s_or_b32 exec_lo, exec_lo, s15
	s_wait_loadcnt 0x0
	v_and_b32_e32 v7, 0xff, v1
	s_mov_b32 s14, 0
	s_mov_b32 s15, exec_lo
	s_delay_alu instid0(VALU_DEP_1)
	v_cmpx_lt_i16_e32 0x7f, v7
	s_xor_b32 s15, exec_lo, s15
	s_cbranch_execnz .LBB249_148
; %bb.122:
	s_or_saveexec_b32 s15, s15
	v_mov_b32_e32 v6, 0x7f800001
	s_xor_b32 exec_lo, exec_lo, s15
	s_cbranch_execnz .LBB249_151
.LBB249_123:
	s_or_b32 exec_lo, exec_lo, s15
	s_and_saveexec_b32 s15, s14
	s_cbranch_execz .LBB249_125
.LBB249_124:
	v_and_b32_e32 v6, 3, v1
	v_lshrrev_b16 v8, 2, v1
	s_delay_alu instid0(VALU_DEP_2) | instskip(NEXT) | instid1(VALU_DEP_1)
	v_clz_i32_u32_e32 v7, v6
	v_min_u32_e32 v7, 32, v7
	s_delay_alu instid0(VALU_DEP_3) | instskip(NEXT) | instid1(VALU_DEP_2)
	v_and_b32_e32 v8, 31, v8
	v_subrev_nc_u32_e32 v9, 29, v7
	v_sub_nc_u32_e32 v7, 30, v7
	s_delay_alu instid0(VALU_DEP_3) | instskip(NEXT) | instid1(VALU_DEP_2)
	v_cmp_eq_u32_e32 vcc_lo, 0, v8
	v_dual_lshlrev_b32 v9, v9, v1 :: v_dual_cndmask_b32 v7, v8, v7, vcc_lo
	s_delay_alu instid0(VALU_DEP_1) | instskip(NEXT) | instid1(VALU_DEP_2)
	v_and_b32_e32 v9, 3, v9
	v_lshl_add_u32 v7, v7, 23, 0x37800000
	s_delay_alu instid0(VALU_DEP_2) | instskip(NEXT) | instid1(VALU_DEP_1)
	v_cndmask_b32_e32 v6, v6, v9, vcc_lo
	v_dual_lshlrev_b32 v10, 24, v1 :: v_dual_lshlrev_b32 v6, 21, v6
	s_delay_alu instid0(VALU_DEP_1) | instskip(NEXT) | instid1(VALU_DEP_1)
	v_and_b32_e32 v8, 0x80000000, v10
	v_or3_b32 v6, v8, v7, v6
.LBB249_125:
	s_or_b32 exec_lo, exec_lo, s15
	s_delay_alu instid0(VALU_DEP_1)
	v_cmp_neq_f32_e64 s14, v5, v6
	s_branch .LBB249_136
.LBB249_126:
                                        ; implicit-def: $sgpr14
	s_cbranch_execz .LBB249_136
; %bb.127:
	s_mov_b32 s14, 0
	s_mov_b32 s15, exec_lo
	s_wait_xcnt 0x0
	v_cmpx_lt_i16_e32 0x7f, v3
	s_xor_b32 s15, exec_lo, s15
	s_cbranch_execnz .LBB249_152
; %bb.128:
	s_or_saveexec_b32 s15, s15
	v_mov_b32_e32 v5, 0x7f800001
	s_xor_b32 exec_lo, exec_lo, s15
	s_cbranch_execnz .LBB249_155
.LBB249_129:
	s_or_b32 exec_lo, exec_lo, s15
	s_and_saveexec_b32 s15, s14
	s_cbranch_execz .LBB249_131
.LBB249_130:
	v_and_b32_e32 v3, 3, v2
	v_lshrrev_b16 v6, 2, v2
	s_delay_alu instid0(VALU_DEP_2) | instskip(NEXT) | instid1(VALU_DEP_1)
	v_clz_i32_u32_e32 v5, v3
	v_min_u32_e32 v5, 32, v5
	s_delay_alu instid0(VALU_DEP_3) | instskip(NEXT) | instid1(VALU_DEP_2)
	v_and_b32_e32 v6, 31, v6
	v_subrev_nc_u32_e32 v7, 29, v5
	v_sub_nc_u32_e32 v5, 30, v5
	s_delay_alu instid0(VALU_DEP_3) | instskip(NEXT) | instid1(VALU_DEP_3)
	v_cmp_eq_u32_e32 vcc_lo, 0, v6
	v_dual_lshlrev_b32 v7, v7, v2 :: v_dual_lshlrev_b32 v2, 24, v2
	s_delay_alu instid0(VALU_DEP_1) | instskip(NEXT) | instid1(VALU_DEP_2)
	v_dual_cndmask_b32 v5, v6, v5, vcc_lo :: v_dual_bitop2_b32 v7, 3, v7 bitop3:0x40
	v_and_b32_e32 v2, 0x80000000, v2
	s_delay_alu instid0(VALU_DEP_2) | instskip(NEXT) | instid1(VALU_DEP_3)
	v_cndmask_b32_e32 v3, v3, v7, vcc_lo
	v_lshl_add_u32 v5, v5, 23, 0x37800000
	s_delay_alu instid0(VALU_DEP_2) | instskip(NEXT) | instid1(VALU_DEP_1)
	v_lshlrev_b32_e32 v3, 21, v3
	v_or3_b32 v5, v2, v5, v3
.LBB249_131:
	s_or_b32 exec_lo, exec_lo, s15
	s_wait_loadcnt 0x0
	v_and_b32_e32 v3, 0xff, v1
	s_mov_b32 s14, 0
	s_mov_b32 s15, exec_lo
	s_delay_alu instid0(VALU_DEP_1)
	v_cmpx_lt_i16_e32 0x7f, v3
	s_xor_b32 s15, exec_lo, s15
	s_cbranch_execnz .LBB249_156
; %bb.132:
	s_or_saveexec_b32 s15, s15
	v_mov_b32_e32 v2, 0x7f800001
	s_xor_b32 exec_lo, exec_lo, s15
	s_cbranch_execnz .LBB249_159
.LBB249_133:
	s_or_b32 exec_lo, exec_lo, s15
	s_and_saveexec_b32 s15, s14
	s_cbranch_execz .LBB249_135
.LBB249_134:
	v_and_b32_e32 v2, 3, v1
	v_lshrrev_b16 v6, 2, v1
	s_delay_alu instid0(VALU_DEP_2) | instskip(NEXT) | instid1(VALU_DEP_1)
	v_clz_i32_u32_e32 v3, v2
	v_min_u32_e32 v3, 32, v3
	s_delay_alu instid0(VALU_DEP_3) | instskip(NEXT) | instid1(VALU_DEP_2)
	v_and_b32_e32 v6, 31, v6
	v_subrev_nc_u32_e32 v7, 29, v3
	v_sub_nc_u32_e32 v3, 30, v3
	s_delay_alu instid0(VALU_DEP_3) | instskip(NEXT) | instid1(VALU_DEP_3)
	v_cmp_eq_u32_e32 vcc_lo, 0, v6
	v_dual_lshlrev_b32 v7, v7, v1 :: v_dual_lshlrev_b32 v1, 24, v1
	s_delay_alu instid0(VALU_DEP_1) | instskip(NEXT) | instid1(VALU_DEP_2)
	v_and_b32_e32 v7, 3, v7
	v_and_b32_e32 v1, 0x80000000, v1
	s_delay_alu instid0(VALU_DEP_2) | instskip(NEXT) | instid1(VALU_DEP_1)
	v_cndmask_b32_e32 v2, v2, v7, vcc_lo
	v_dual_cndmask_b32 v3, v6, v3 :: v_dual_lshlrev_b32 v2, 21, v2
	s_delay_alu instid0(VALU_DEP_1) | instskip(NEXT) | instid1(VALU_DEP_1)
	v_lshl_add_u32 v3, v3, 23, 0x37800000
	v_or3_b32 v2, v1, v3, v2
.LBB249_135:
	s_or_b32 exec_lo, exec_lo, s15
	s_delay_alu instid0(VALU_DEP_1)
	v_cmp_eq_f32_e64 s14, v5, v2
.LBB249_136:
	s_wait_loadcnt 0x0
	s_delay_alu instid0(VALU_DEP_1) | instskip(SKIP_4) | instid1(SALU_CYCLE_1)
	v_cndmask_b32_e64 v1, 0, 1, s14
	v_add_nc_u32_e32 v0, 0x80, v0
	global_store_b8 v4, v1, s[0:1]
	s_wait_xcnt 0x0
	s_or_b32 exec_lo, exec_lo, s18
	s_mov_b32 s18, exec_lo
	v_cmpx_gt_i32_e64 s33, v0
	s_cbranch_execz .LBB249_5
.LBB249_137:
	s_and_not1_b32 vcc_lo, exec_lo, s28
	s_cbranch_vccnz .LBB249_143
; %bb.138:
	s_and_not1_b32 vcc_lo, exec_lo, s34
	s_cbranch_vccnz .LBB249_160
; %bb.139:
	v_dual_mov_b32 v4, 0 :: v_dual_mov_b32 v1, v0
	v_dual_mov_b32 v6, 0 :: v_dual_mov_b32 v5, 0
	s_add_co_i32 s35, s31, 1
	s_mov_b64 s[14:15], 0xffffffffffffffe8
	s_and_b32 s35, s35, 30
	s_add_nc_u64 s[14:15], s[16:17], s[14:15]
.LBB249_140:                            ; =>This Inner Loop Header: Depth=1
	s_clause 0x1
	s_load_b128 s[36:39], s[14:15], 0x1c
	s_load_b64 s[44:45], s[14:15], 0x2c
	s_add_co_i32 s35, s35, -2
	s_delay_alu instid0(SALU_CYCLE_1) | instskip(SKIP_2) | instid1(VALU_DEP_1)
	s_cmp_eq_u32 s35, 0
	s_wait_kmcnt 0x0
	v_mul_hi_u32 v2, s37, v1
	v_add_nc_u32_e32 v2, v1, v2
	s_delay_alu instid0(VALU_DEP_1) | instskip(NEXT) | instid1(VALU_DEP_1)
	v_lshrrev_b32_e32 v2, s38, v2
	v_mul_hi_u32 v3, s44, v2
	v_mul_lo_u32 v7, v2, s36
	s_clause 0x1
	s_load_b128 s[40:43], s[14:15], 0xdc
	s_load_b64 s[36:37], s[14:15], 0xec
	s_wait_xcnt 0x0
	s_add_nc_u64 s[14:15], s[14:15], 24
	s_delay_alu instid0(VALU_DEP_2) | instskip(NEXT) | instid1(VALU_DEP_2)
	v_add_nc_u32_e32 v3, v2, v3
	v_sub_nc_u32_e32 v7, v1, v7
	s_delay_alu instid0(VALU_DEP_2) | instskip(SKIP_1) | instid1(VALU_DEP_2)
	v_lshrrev_b32_e32 v1, s45, v3
	s_wait_kmcnt 0x0
	v_mad_u32 v4, v7, s40, v4
	s_delay_alu instid0(VALU_DEP_2) | instskip(SKIP_2) | instid1(VALU_DEP_3)
	v_mul_lo_u32 v3, v1, s39
	v_mad_u32 v5, v7, s42, v5
	v_mad_u32 v6, v7, s41, v6
	v_sub_nc_u32_e32 v2, v2, v3
	s_delay_alu instid0(VALU_DEP_1) | instskip(NEXT) | instid1(VALU_DEP_4)
	v_mad_u32 v4, v2, s43, v4
	v_mad_u32 v5, v2, s37, v5
	s_delay_alu instid0(VALU_DEP_4)
	v_mad_u32 v6, v2, s36, v6
	s_cbranch_scc0 .LBB249_140
; %bb.141:
	s_bitcmp1_b32 s31, 0
	s_cselect_b32 s35, -1, 0
	s_delay_alu instid0(SALU_CYCLE_1)
	s_and_b32 vcc_lo, exec_lo, s35
	s_cbranch_vccnz .LBB249_161
; %bb.142:
	s_clause 0x1
	s_load_b96 s[36:38], s[14:15], 0x1c
	s_load_b96 s[40:42], s[14:15], 0xdc
	s_wait_kmcnt 0x0
	v_mul_hi_u32 v2, s37, v1
	s_delay_alu instid0(VALU_DEP_1) | instskip(NEXT) | instid1(VALU_DEP_1)
	v_add_nc_u32_e32 v2, v1, v2
	v_lshrrev_b32_e32 v2, s38, v2
	s_delay_alu instid0(VALU_DEP_1) | instskip(NEXT) | instid1(VALU_DEP_1)
	v_mul_lo_u32 v2, v2, s36
	v_sub_nc_u32_e32 v1, v1, v2
	s_delay_alu instid0(VALU_DEP_1)
	v_mad_u32 v4, v1, s40, v4
	v_mad_u32 v6, v1, s41, v6
	;; [unrolled: 1-line block ×3, first 2 shown]
	s_branch .LBB249_161
.LBB249_143:
                                        ; implicit-def: $vgpr5
                                        ; implicit-def: $vgpr6
                                        ; implicit-def: $vgpr4
	s_branch .LBB249_162
.LBB249_144:
	s_mov_b32 s14, -1
	s_mov_b32 s35, exec_lo
	v_cmpx_eq_u16_e32 0x80, v3
; %bb.145:
	s_xor_b32 s14, exec_lo, -1
; %bb.146:
	s_or_b32 exec_lo, exec_lo, s35
	s_delay_alu instid0(SALU_CYCLE_1)
	s_and_b32 s14, s14, exec_lo
	s_or_saveexec_b32 s15, s15
	v_mov_b32_e32 v5, 0x7f800001
	s_xor_b32 exec_lo, exec_lo, s15
	s_cbranch_execz .LBB249_119
.LBB249_147:
	v_cmp_ne_u16_e32 vcc_lo, 0, v3
	v_mov_b32_e32 v5, 0
	s_and_not1_b32 s14, s14, exec_lo
	s_and_b32 s35, vcc_lo, exec_lo
	s_delay_alu instid0(SALU_CYCLE_1)
	s_or_b32 s14, s14, s35
	s_or_b32 exec_lo, exec_lo, s15
	s_and_saveexec_b32 s15, s14
	s_cbranch_execnz .LBB249_120
	s_branch .LBB249_121
.LBB249_148:
	s_mov_b32 s14, -1
	s_mov_b32 s35, exec_lo
	v_cmpx_eq_u16_e32 0x80, v7
; %bb.149:
	s_xor_b32 s14, exec_lo, -1
; %bb.150:
	s_or_b32 exec_lo, exec_lo, s35
	s_delay_alu instid0(SALU_CYCLE_1)
	s_and_b32 s14, s14, exec_lo
                                        ; implicit-def: $vgpr7
	s_or_saveexec_b32 s15, s15
	v_mov_b32_e32 v6, 0x7f800001
	s_xor_b32 exec_lo, exec_lo, s15
	s_cbranch_execz .LBB249_123
.LBB249_151:
	v_cmp_ne_u16_e32 vcc_lo, 0, v7
	v_mov_b32_e32 v6, 0
	s_and_not1_b32 s14, s14, exec_lo
	s_and_b32 s35, vcc_lo, exec_lo
	s_delay_alu instid0(SALU_CYCLE_1)
	s_or_b32 s14, s14, s35
	s_or_b32 exec_lo, exec_lo, s15
	s_and_saveexec_b32 s15, s14
	s_cbranch_execnz .LBB249_124
	s_branch .LBB249_125
.LBB249_152:
	s_mov_b32 s14, -1
	s_mov_b32 s35, exec_lo
	v_cmpx_eq_u16_e32 0x80, v3
; %bb.153:
	s_xor_b32 s14, exec_lo, -1
; %bb.154:
	s_or_b32 exec_lo, exec_lo, s35
	s_delay_alu instid0(SALU_CYCLE_1)
	s_and_b32 s14, s14, exec_lo
                                        ; implicit-def: $vgpr3
	s_or_saveexec_b32 s15, s15
	v_mov_b32_e32 v5, 0x7f800001
	s_xor_b32 exec_lo, exec_lo, s15
	s_cbranch_execz .LBB249_129
.LBB249_155:
	v_cmp_ne_u16_e32 vcc_lo, 0, v3
	v_mov_b32_e32 v5, 0
	s_and_not1_b32 s14, s14, exec_lo
	s_and_b32 s35, vcc_lo, exec_lo
	s_delay_alu instid0(SALU_CYCLE_1)
	s_or_b32 s14, s14, s35
	s_or_b32 exec_lo, exec_lo, s15
	s_and_saveexec_b32 s15, s14
	s_cbranch_execnz .LBB249_130
	s_branch .LBB249_131
.LBB249_156:
	s_mov_b32 s14, -1
	s_mov_b32 s35, exec_lo
	v_cmpx_eq_u16_e32 0x80, v3
; %bb.157:
	s_xor_b32 s14, exec_lo, -1
; %bb.158:
	s_or_b32 exec_lo, exec_lo, s35
	s_delay_alu instid0(SALU_CYCLE_1)
	s_and_b32 s14, s14, exec_lo
                                        ; implicit-def: $vgpr3
	s_or_saveexec_b32 s15, s15
	v_mov_b32_e32 v2, 0x7f800001
	s_xor_b32 exec_lo, exec_lo, s15
	s_cbranch_execz .LBB249_133
.LBB249_159:
	v_cmp_ne_u16_e32 vcc_lo, 0, v3
	v_mov_b32_e32 v2, 0
	s_and_not1_b32 s14, s14, exec_lo
	s_and_b32 s35, vcc_lo, exec_lo
	s_delay_alu instid0(SALU_CYCLE_1)
	s_or_b32 s14, s14, s35
	s_or_b32 exec_lo, exec_lo, s15
	s_and_saveexec_b32 s15, s14
	s_cbranch_execnz .LBB249_134
	s_branch .LBB249_135
.LBB249_160:
	v_dual_mov_b32 v5, 0 :: v_dual_mov_b32 v6, 0
	v_mov_b32_e32 v4, 0
.LBB249_161:
	s_cbranch_execnz .LBB249_164
.LBB249_162:
	v_mov_b32_e32 v1, 0
	s_and_not1_b32 vcc_lo, exec_lo, s30
	s_delay_alu instid0(VALU_DEP_1) | instskip(NEXT) | instid1(VALU_DEP_1)
	v_mul_u64_e32 v[2:3], s[20:21], v[0:1]
	v_add_nc_u32_e32 v2, v0, v3
	s_delay_alu instid0(VALU_DEP_1) | instskip(NEXT) | instid1(VALU_DEP_1)
	v_lshrrev_b32_e32 v2, s6, v2
	v_mul_lo_u32 v3, v2, s4
	s_delay_alu instid0(VALU_DEP_1) | instskip(NEXT) | instid1(VALU_DEP_1)
	v_sub_nc_u32_e32 v3, v0, v3
	v_mul_lo_u32 v4, v3, s8
	v_mul_lo_u32 v5, v3, s10
	;; [unrolled: 1-line block ×3, first 2 shown]
	s_cbranch_vccnz .LBB249_164
; %bb.163:
	v_mov_b32_e32 v3, v1
	s_delay_alu instid0(VALU_DEP_1) | instskip(NEXT) | instid1(VALU_DEP_1)
	v_mul_u64_e32 v[8:9], s[24:25], v[2:3]
	v_add_nc_u32_e32 v1, v2, v9
	s_delay_alu instid0(VALU_DEP_1) | instskip(NEXT) | instid1(VALU_DEP_1)
	v_lshrrev_b32_e32 v1, s19, v1
	v_mul_lo_u32 v1, v1, s7
	s_delay_alu instid0(VALU_DEP_1) | instskip(NEXT) | instid1(VALU_DEP_1)
	v_sub_nc_u32_e32 v1, v2, v1
	v_mad_u32 v4, v1, s11, v4
	v_mad_u32 v6, v1, s22, v6
	;; [unrolled: 1-line block ×3, first 2 shown]
.LBB249_164:
	global_load_u8 v2, v6, s[2:3]
	global_load_u8 v1, v5, s[12:13]
	s_and_not1_b32 vcc_lo, exec_lo, s5
	s_wait_loadcnt 0x1
	v_and_b32_e32 v3, 0xff, v2
	s_cbranch_vccnz .LBB249_174
; %bb.165:
	s_mov_b32 s14, 0
	s_mov_b32 s15, exec_lo
	s_wait_xcnt 0x0
	v_cmpx_lt_i16_e32 0x7f, v3
	s_xor_b32 s15, exec_lo, s15
	s_cbranch_execnz .LBB249_192
; %bb.166:
	s_or_saveexec_b32 s15, s15
	v_mov_b32_e32 v5, 0x7f800001
	s_xor_b32 exec_lo, exec_lo, s15
	s_cbranch_execnz .LBB249_195
.LBB249_167:
	s_or_b32 exec_lo, exec_lo, s15
	s_and_saveexec_b32 s15, s14
	s_cbranch_execz .LBB249_169
.LBB249_168:
	v_and_b32_e32 v5, 3, v2
	v_lshrrev_b16 v7, 2, v2
	v_lshlrev_b32_e32 v9, 24, v2
	s_delay_alu instid0(VALU_DEP_3) | instskip(NEXT) | instid1(VALU_DEP_1)
	v_clz_i32_u32_e32 v6, v5
	v_min_u32_e32 v6, 32, v6
	s_delay_alu instid0(VALU_DEP_4) | instskip(NEXT) | instid1(VALU_DEP_2)
	v_and_b32_e32 v7, 31, v7
	v_subrev_nc_u32_e32 v8, 29, v6
	v_sub_nc_u32_e32 v6, 30, v6
	s_delay_alu instid0(VALU_DEP_3) | instskip(NEXT) | instid1(VALU_DEP_3)
	v_cmp_eq_u32_e32 vcc_lo, 0, v7
	v_lshlrev_b32_e32 v8, v8, v2
	s_delay_alu instid0(VALU_DEP_1) | instskip(SKIP_1) | instid1(VALU_DEP_2)
	v_dual_cndmask_b32 v6, v7, v6, vcc_lo :: v_dual_bitop2_b32 v8, 3, v8 bitop3:0x40
	v_and_b32_e32 v7, 0x80000000, v9
	v_cndmask_b32_e32 v5, v5, v8, vcc_lo
	s_delay_alu instid0(VALU_DEP_3) | instskip(NEXT) | instid1(VALU_DEP_2)
	v_lshl_add_u32 v6, v6, 23, 0x37800000
	v_lshlrev_b32_e32 v5, 21, v5
	s_delay_alu instid0(VALU_DEP_1)
	v_or3_b32 v5, v7, v6, v5
.LBB249_169:
	s_or_b32 exec_lo, exec_lo, s15
	s_wait_loadcnt 0x0
	v_and_b32_e32 v7, 0xff, v1
	s_mov_b32 s14, 0
	s_mov_b32 s15, exec_lo
	s_delay_alu instid0(VALU_DEP_1)
	v_cmpx_lt_i16_e32 0x7f, v7
	s_xor_b32 s15, exec_lo, s15
	s_cbranch_execnz .LBB249_196
; %bb.170:
	s_or_saveexec_b32 s15, s15
	v_mov_b32_e32 v6, 0x7f800001
	s_xor_b32 exec_lo, exec_lo, s15
	s_cbranch_execnz .LBB249_199
.LBB249_171:
	s_or_b32 exec_lo, exec_lo, s15
	s_and_saveexec_b32 s15, s14
	s_cbranch_execz .LBB249_173
.LBB249_172:
	v_and_b32_e32 v6, 3, v1
	v_lshrrev_b16 v8, 2, v1
	s_delay_alu instid0(VALU_DEP_2) | instskip(NEXT) | instid1(VALU_DEP_1)
	v_clz_i32_u32_e32 v7, v6
	v_min_u32_e32 v7, 32, v7
	s_delay_alu instid0(VALU_DEP_3) | instskip(NEXT) | instid1(VALU_DEP_2)
	v_and_b32_e32 v8, 31, v8
	v_subrev_nc_u32_e32 v9, 29, v7
	v_sub_nc_u32_e32 v7, 30, v7
	s_delay_alu instid0(VALU_DEP_3) | instskip(NEXT) | instid1(VALU_DEP_2)
	v_cmp_eq_u32_e32 vcc_lo, 0, v8
	v_dual_lshlrev_b32 v9, v9, v1 :: v_dual_cndmask_b32 v7, v8, v7, vcc_lo
	s_delay_alu instid0(VALU_DEP_1) | instskip(NEXT) | instid1(VALU_DEP_2)
	v_and_b32_e32 v9, 3, v9
	v_lshl_add_u32 v7, v7, 23, 0x37800000
	s_delay_alu instid0(VALU_DEP_2) | instskip(NEXT) | instid1(VALU_DEP_1)
	v_cndmask_b32_e32 v6, v6, v9, vcc_lo
	v_dual_lshlrev_b32 v10, 24, v1 :: v_dual_lshlrev_b32 v6, 21, v6
	s_delay_alu instid0(VALU_DEP_1) | instskip(NEXT) | instid1(VALU_DEP_1)
	v_and_b32_e32 v8, 0x80000000, v10
	v_or3_b32 v6, v8, v7, v6
.LBB249_173:
	s_or_b32 exec_lo, exec_lo, s15
	s_delay_alu instid0(VALU_DEP_1)
	v_cmp_neq_f32_e64 s14, v5, v6
	s_branch .LBB249_184
.LBB249_174:
                                        ; implicit-def: $sgpr14
	s_cbranch_execz .LBB249_184
; %bb.175:
	s_mov_b32 s14, 0
	s_mov_b32 s15, exec_lo
	s_wait_xcnt 0x0
	v_cmpx_lt_i16_e32 0x7f, v3
	s_xor_b32 s15, exec_lo, s15
	s_cbranch_execnz .LBB249_200
; %bb.176:
	s_or_saveexec_b32 s15, s15
	v_mov_b32_e32 v5, 0x7f800001
	s_xor_b32 exec_lo, exec_lo, s15
	s_cbranch_execnz .LBB249_203
.LBB249_177:
	s_or_b32 exec_lo, exec_lo, s15
	s_and_saveexec_b32 s15, s14
	s_cbranch_execz .LBB249_179
.LBB249_178:
	v_and_b32_e32 v3, 3, v2
	v_lshrrev_b16 v6, 2, v2
	s_delay_alu instid0(VALU_DEP_2) | instskip(NEXT) | instid1(VALU_DEP_1)
	v_clz_i32_u32_e32 v5, v3
	v_min_u32_e32 v5, 32, v5
	s_delay_alu instid0(VALU_DEP_3) | instskip(NEXT) | instid1(VALU_DEP_2)
	v_and_b32_e32 v6, 31, v6
	v_subrev_nc_u32_e32 v7, 29, v5
	v_sub_nc_u32_e32 v5, 30, v5
	s_delay_alu instid0(VALU_DEP_3) | instskip(NEXT) | instid1(VALU_DEP_3)
	v_cmp_eq_u32_e32 vcc_lo, 0, v6
	v_dual_lshlrev_b32 v7, v7, v2 :: v_dual_lshlrev_b32 v2, 24, v2
	s_delay_alu instid0(VALU_DEP_1) | instskip(NEXT) | instid1(VALU_DEP_2)
	v_dual_cndmask_b32 v5, v6, v5, vcc_lo :: v_dual_bitop2_b32 v7, 3, v7 bitop3:0x40
	v_and_b32_e32 v2, 0x80000000, v2
	s_delay_alu instid0(VALU_DEP_2) | instskip(NEXT) | instid1(VALU_DEP_3)
	v_cndmask_b32_e32 v3, v3, v7, vcc_lo
	v_lshl_add_u32 v5, v5, 23, 0x37800000
	s_delay_alu instid0(VALU_DEP_2) | instskip(NEXT) | instid1(VALU_DEP_1)
	v_lshlrev_b32_e32 v3, 21, v3
	v_or3_b32 v5, v2, v5, v3
.LBB249_179:
	s_or_b32 exec_lo, exec_lo, s15
	s_wait_loadcnt 0x0
	v_and_b32_e32 v3, 0xff, v1
	s_mov_b32 s14, 0
	s_mov_b32 s15, exec_lo
	s_delay_alu instid0(VALU_DEP_1)
	v_cmpx_lt_i16_e32 0x7f, v3
	s_xor_b32 s15, exec_lo, s15
	s_cbranch_execnz .LBB249_204
; %bb.180:
	s_or_saveexec_b32 s15, s15
	v_mov_b32_e32 v2, 0x7f800001
	s_xor_b32 exec_lo, exec_lo, s15
	s_cbranch_execnz .LBB249_207
.LBB249_181:
	s_or_b32 exec_lo, exec_lo, s15
	s_and_saveexec_b32 s15, s14
	s_cbranch_execz .LBB249_183
.LBB249_182:
	v_and_b32_e32 v2, 3, v1
	v_lshrrev_b16 v6, 2, v1
	s_delay_alu instid0(VALU_DEP_2) | instskip(NEXT) | instid1(VALU_DEP_1)
	v_clz_i32_u32_e32 v3, v2
	v_min_u32_e32 v3, 32, v3
	s_delay_alu instid0(VALU_DEP_3) | instskip(NEXT) | instid1(VALU_DEP_2)
	v_and_b32_e32 v6, 31, v6
	v_subrev_nc_u32_e32 v7, 29, v3
	v_sub_nc_u32_e32 v3, 30, v3
	s_delay_alu instid0(VALU_DEP_3) | instskip(NEXT) | instid1(VALU_DEP_3)
	v_cmp_eq_u32_e32 vcc_lo, 0, v6
	v_dual_lshlrev_b32 v7, v7, v1 :: v_dual_lshlrev_b32 v1, 24, v1
	s_delay_alu instid0(VALU_DEP_1) | instskip(NEXT) | instid1(VALU_DEP_2)
	v_and_b32_e32 v7, 3, v7
	v_and_b32_e32 v1, 0x80000000, v1
	s_delay_alu instid0(VALU_DEP_2) | instskip(NEXT) | instid1(VALU_DEP_1)
	v_cndmask_b32_e32 v2, v2, v7, vcc_lo
	v_dual_cndmask_b32 v3, v6, v3 :: v_dual_lshlrev_b32 v2, 21, v2
	s_delay_alu instid0(VALU_DEP_1) | instskip(NEXT) | instid1(VALU_DEP_1)
	v_lshl_add_u32 v3, v3, 23, 0x37800000
	v_or3_b32 v2, v1, v3, v2
.LBB249_183:
	s_or_b32 exec_lo, exec_lo, s15
	s_delay_alu instid0(VALU_DEP_1)
	v_cmp_eq_f32_e64 s14, v5, v2
.LBB249_184:
	s_wait_loadcnt 0x0
	s_delay_alu instid0(VALU_DEP_1) | instskip(SKIP_4) | instid1(SALU_CYCLE_1)
	v_cndmask_b32_e64 v1, 0, 1, s14
	v_add_nc_u32_e32 v0, 0x80, v0
	global_store_b8 v4, v1, s[0:1]
	s_wait_xcnt 0x0
	s_or_b32 exec_lo, exec_lo, s18
	s_mov_b32 s18, exec_lo
	v_cmpx_gt_i32_e64 s33, v0
	s_cbranch_execz .LBB249_6
.LBB249_185:
	s_and_not1_b32 vcc_lo, exec_lo, s28
	s_cbranch_vccnz .LBB249_191
; %bb.186:
	s_and_not1_b32 vcc_lo, exec_lo, s34
	s_cbranch_vccnz .LBB249_208
; %bb.187:
	v_dual_mov_b32 v4, 0 :: v_dual_mov_b32 v1, v0
	v_dual_mov_b32 v6, 0 :: v_dual_mov_b32 v5, 0
	s_add_co_i32 s35, s31, 1
	s_mov_b64 s[14:15], 0xffffffffffffffe8
	s_and_b32 s35, s35, 30
	s_add_nc_u64 s[14:15], s[16:17], s[14:15]
.LBB249_188:                            ; =>This Inner Loop Header: Depth=1
	s_clause 0x1
	s_load_b128 s[36:39], s[14:15], 0x1c
	s_load_b64 s[44:45], s[14:15], 0x2c
	s_add_co_i32 s35, s35, -2
	s_delay_alu instid0(SALU_CYCLE_1) | instskip(SKIP_2) | instid1(VALU_DEP_1)
	s_cmp_eq_u32 s35, 0
	s_wait_kmcnt 0x0
	v_mul_hi_u32 v2, s37, v1
	v_add_nc_u32_e32 v2, v1, v2
	s_delay_alu instid0(VALU_DEP_1) | instskip(NEXT) | instid1(VALU_DEP_1)
	v_lshrrev_b32_e32 v2, s38, v2
	v_mul_hi_u32 v3, s44, v2
	v_mul_lo_u32 v7, v2, s36
	s_clause 0x1
	s_load_b128 s[40:43], s[14:15], 0xdc
	s_load_b64 s[36:37], s[14:15], 0xec
	s_wait_xcnt 0x0
	s_add_nc_u64 s[14:15], s[14:15], 24
	s_delay_alu instid0(VALU_DEP_2) | instskip(NEXT) | instid1(VALU_DEP_2)
	v_add_nc_u32_e32 v3, v2, v3
	v_sub_nc_u32_e32 v7, v1, v7
	s_delay_alu instid0(VALU_DEP_2) | instskip(SKIP_1) | instid1(VALU_DEP_2)
	v_lshrrev_b32_e32 v1, s45, v3
	s_wait_kmcnt 0x0
	v_mad_u32 v4, v7, s40, v4
	s_delay_alu instid0(VALU_DEP_2) | instskip(SKIP_2) | instid1(VALU_DEP_3)
	v_mul_lo_u32 v3, v1, s39
	v_mad_u32 v5, v7, s42, v5
	v_mad_u32 v6, v7, s41, v6
	v_sub_nc_u32_e32 v2, v2, v3
	s_delay_alu instid0(VALU_DEP_1) | instskip(NEXT) | instid1(VALU_DEP_4)
	v_mad_u32 v4, v2, s43, v4
	v_mad_u32 v5, v2, s37, v5
	s_delay_alu instid0(VALU_DEP_4)
	v_mad_u32 v6, v2, s36, v6
	s_cbranch_scc0 .LBB249_188
; %bb.189:
	s_bitcmp1_b32 s31, 0
	s_cselect_b32 s35, -1, 0
	s_delay_alu instid0(SALU_CYCLE_1)
	s_and_b32 vcc_lo, exec_lo, s35
	s_cbranch_vccnz .LBB249_209
; %bb.190:
	s_clause 0x1
	s_load_b96 s[36:38], s[14:15], 0x1c
	s_load_b96 s[40:42], s[14:15], 0xdc
	s_wait_kmcnt 0x0
	v_mul_hi_u32 v2, s37, v1
	s_delay_alu instid0(VALU_DEP_1) | instskip(NEXT) | instid1(VALU_DEP_1)
	v_add_nc_u32_e32 v2, v1, v2
	v_lshrrev_b32_e32 v2, s38, v2
	s_delay_alu instid0(VALU_DEP_1) | instskip(NEXT) | instid1(VALU_DEP_1)
	v_mul_lo_u32 v2, v2, s36
	v_sub_nc_u32_e32 v1, v1, v2
	s_delay_alu instid0(VALU_DEP_1)
	v_mad_u32 v4, v1, s40, v4
	v_mad_u32 v6, v1, s41, v6
	;; [unrolled: 1-line block ×3, first 2 shown]
	s_branch .LBB249_209
.LBB249_191:
                                        ; implicit-def: $vgpr5
                                        ; implicit-def: $vgpr6
                                        ; implicit-def: $vgpr4
	s_branch .LBB249_210
.LBB249_192:
	s_mov_b32 s14, -1
	s_mov_b32 s35, exec_lo
	v_cmpx_eq_u16_e32 0x80, v3
; %bb.193:
	s_xor_b32 s14, exec_lo, -1
; %bb.194:
	s_or_b32 exec_lo, exec_lo, s35
	s_delay_alu instid0(SALU_CYCLE_1)
	s_and_b32 s14, s14, exec_lo
	s_or_saveexec_b32 s15, s15
	v_mov_b32_e32 v5, 0x7f800001
	s_xor_b32 exec_lo, exec_lo, s15
	s_cbranch_execz .LBB249_167
.LBB249_195:
	v_cmp_ne_u16_e32 vcc_lo, 0, v3
	v_mov_b32_e32 v5, 0
	s_and_not1_b32 s14, s14, exec_lo
	s_and_b32 s35, vcc_lo, exec_lo
	s_delay_alu instid0(SALU_CYCLE_1)
	s_or_b32 s14, s14, s35
	s_or_b32 exec_lo, exec_lo, s15
	s_and_saveexec_b32 s15, s14
	s_cbranch_execnz .LBB249_168
	s_branch .LBB249_169
.LBB249_196:
	s_mov_b32 s14, -1
	s_mov_b32 s35, exec_lo
	v_cmpx_eq_u16_e32 0x80, v7
; %bb.197:
	s_xor_b32 s14, exec_lo, -1
; %bb.198:
	s_or_b32 exec_lo, exec_lo, s35
	s_delay_alu instid0(SALU_CYCLE_1)
	s_and_b32 s14, s14, exec_lo
                                        ; implicit-def: $vgpr7
	s_or_saveexec_b32 s15, s15
	v_mov_b32_e32 v6, 0x7f800001
	s_xor_b32 exec_lo, exec_lo, s15
	s_cbranch_execz .LBB249_171
.LBB249_199:
	v_cmp_ne_u16_e32 vcc_lo, 0, v7
	v_mov_b32_e32 v6, 0
	s_and_not1_b32 s14, s14, exec_lo
	s_and_b32 s35, vcc_lo, exec_lo
	s_delay_alu instid0(SALU_CYCLE_1)
	s_or_b32 s14, s14, s35
	s_or_b32 exec_lo, exec_lo, s15
	s_and_saveexec_b32 s15, s14
	s_cbranch_execnz .LBB249_172
	s_branch .LBB249_173
.LBB249_200:
	s_mov_b32 s14, -1
	s_mov_b32 s35, exec_lo
	v_cmpx_eq_u16_e32 0x80, v3
; %bb.201:
	s_xor_b32 s14, exec_lo, -1
; %bb.202:
	s_or_b32 exec_lo, exec_lo, s35
	s_delay_alu instid0(SALU_CYCLE_1)
	s_and_b32 s14, s14, exec_lo
                                        ; implicit-def: $vgpr3
	s_or_saveexec_b32 s15, s15
	v_mov_b32_e32 v5, 0x7f800001
	s_xor_b32 exec_lo, exec_lo, s15
	s_cbranch_execz .LBB249_177
.LBB249_203:
	v_cmp_ne_u16_e32 vcc_lo, 0, v3
	v_mov_b32_e32 v5, 0
	s_and_not1_b32 s14, s14, exec_lo
	s_and_b32 s35, vcc_lo, exec_lo
	s_delay_alu instid0(SALU_CYCLE_1)
	s_or_b32 s14, s14, s35
	s_or_b32 exec_lo, exec_lo, s15
	s_and_saveexec_b32 s15, s14
	s_cbranch_execnz .LBB249_178
	s_branch .LBB249_179
.LBB249_204:
	s_mov_b32 s14, -1
	s_mov_b32 s35, exec_lo
	v_cmpx_eq_u16_e32 0x80, v3
; %bb.205:
	s_xor_b32 s14, exec_lo, -1
; %bb.206:
	s_or_b32 exec_lo, exec_lo, s35
	s_delay_alu instid0(SALU_CYCLE_1)
	s_and_b32 s14, s14, exec_lo
                                        ; implicit-def: $vgpr3
	s_or_saveexec_b32 s15, s15
	v_mov_b32_e32 v2, 0x7f800001
	s_xor_b32 exec_lo, exec_lo, s15
	s_cbranch_execz .LBB249_181
.LBB249_207:
	v_cmp_ne_u16_e32 vcc_lo, 0, v3
	v_mov_b32_e32 v2, 0
	s_and_not1_b32 s14, s14, exec_lo
	s_and_b32 s35, vcc_lo, exec_lo
	s_delay_alu instid0(SALU_CYCLE_1)
	s_or_b32 s14, s14, s35
	s_or_b32 exec_lo, exec_lo, s15
	s_and_saveexec_b32 s15, s14
	s_cbranch_execnz .LBB249_182
	s_branch .LBB249_183
.LBB249_208:
	v_dual_mov_b32 v5, 0 :: v_dual_mov_b32 v6, 0
	v_mov_b32_e32 v4, 0
.LBB249_209:
	s_cbranch_execnz .LBB249_212
.LBB249_210:
	v_mov_b32_e32 v1, 0
	s_and_not1_b32 vcc_lo, exec_lo, s30
	s_delay_alu instid0(VALU_DEP_1) | instskip(NEXT) | instid1(VALU_DEP_1)
	v_mul_u64_e32 v[2:3], s[20:21], v[0:1]
	v_add_nc_u32_e32 v2, v0, v3
	s_delay_alu instid0(VALU_DEP_1) | instskip(NEXT) | instid1(VALU_DEP_1)
	v_lshrrev_b32_e32 v2, s6, v2
	v_mul_lo_u32 v3, v2, s4
	s_delay_alu instid0(VALU_DEP_1) | instskip(NEXT) | instid1(VALU_DEP_1)
	v_sub_nc_u32_e32 v3, v0, v3
	v_mul_lo_u32 v4, v3, s8
	v_mul_lo_u32 v5, v3, s10
	v_mul_lo_u32 v6, v3, s9
	s_cbranch_vccnz .LBB249_212
; %bb.211:
	v_mov_b32_e32 v3, v1
	s_delay_alu instid0(VALU_DEP_1) | instskip(NEXT) | instid1(VALU_DEP_1)
	v_mul_u64_e32 v[8:9], s[24:25], v[2:3]
	v_add_nc_u32_e32 v1, v2, v9
	s_delay_alu instid0(VALU_DEP_1) | instskip(NEXT) | instid1(VALU_DEP_1)
	v_lshrrev_b32_e32 v1, s19, v1
	v_mul_lo_u32 v1, v1, s7
	s_delay_alu instid0(VALU_DEP_1) | instskip(NEXT) | instid1(VALU_DEP_1)
	v_sub_nc_u32_e32 v1, v2, v1
	v_mad_u32 v4, v1, s11, v4
	v_mad_u32 v6, v1, s22, v6
	;; [unrolled: 1-line block ×3, first 2 shown]
.LBB249_212:
	global_load_u8 v2, v6, s[2:3]
	global_load_u8 v1, v5, s[12:13]
	s_and_not1_b32 vcc_lo, exec_lo, s5
	s_wait_loadcnt 0x1
	v_and_b32_e32 v3, 0xff, v2
	s_cbranch_vccnz .LBB249_222
; %bb.213:
	s_mov_b32 s14, 0
	s_mov_b32 s15, exec_lo
	s_wait_xcnt 0x0
	v_cmpx_lt_i16_e32 0x7f, v3
	s_xor_b32 s15, exec_lo, s15
	s_cbranch_execnz .LBB249_240
; %bb.214:
	s_or_saveexec_b32 s15, s15
	v_mov_b32_e32 v5, 0x7f800001
	s_xor_b32 exec_lo, exec_lo, s15
	s_cbranch_execnz .LBB249_243
.LBB249_215:
	s_or_b32 exec_lo, exec_lo, s15
	s_and_saveexec_b32 s15, s14
	s_cbranch_execz .LBB249_217
.LBB249_216:
	v_and_b32_e32 v5, 3, v2
	v_lshrrev_b16 v7, 2, v2
	v_lshlrev_b32_e32 v9, 24, v2
	s_delay_alu instid0(VALU_DEP_3) | instskip(NEXT) | instid1(VALU_DEP_1)
	v_clz_i32_u32_e32 v6, v5
	v_min_u32_e32 v6, 32, v6
	s_delay_alu instid0(VALU_DEP_4) | instskip(NEXT) | instid1(VALU_DEP_2)
	v_and_b32_e32 v7, 31, v7
	v_subrev_nc_u32_e32 v8, 29, v6
	v_sub_nc_u32_e32 v6, 30, v6
	s_delay_alu instid0(VALU_DEP_3) | instskip(NEXT) | instid1(VALU_DEP_3)
	v_cmp_eq_u32_e32 vcc_lo, 0, v7
	v_lshlrev_b32_e32 v8, v8, v2
	s_delay_alu instid0(VALU_DEP_1) | instskip(SKIP_1) | instid1(VALU_DEP_2)
	v_dual_cndmask_b32 v6, v7, v6, vcc_lo :: v_dual_bitop2_b32 v8, 3, v8 bitop3:0x40
	v_and_b32_e32 v7, 0x80000000, v9
	v_cndmask_b32_e32 v5, v5, v8, vcc_lo
	s_delay_alu instid0(VALU_DEP_3) | instskip(NEXT) | instid1(VALU_DEP_2)
	v_lshl_add_u32 v6, v6, 23, 0x37800000
	v_lshlrev_b32_e32 v5, 21, v5
	s_delay_alu instid0(VALU_DEP_1)
	v_or3_b32 v5, v7, v6, v5
.LBB249_217:
	s_or_b32 exec_lo, exec_lo, s15
	s_wait_loadcnt 0x0
	v_and_b32_e32 v7, 0xff, v1
	s_mov_b32 s14, 0
	s_mov_b32 s15, exec_lo
	s_delay_alu instid0(VALU_DEP_1)
	v_cmpx_lt_i16_e32 0x7f, v7
	s_xor_b32 s15, exec_lo, s15
	s_cbranch_execnz .LBB249_244
; %bb.218:
	s_or_saveexec_b32 s15, s15
	v_mov_b32_e32 v6, 0x7f800001
	s_xor_b32 exec_lo, exec_lo, s15
	s_cbranch_execnz .LBB249_247
.LBB249_219:
	s_or_b32 exec_lo, exec_lo, s15
	s_and_saveexec_b32 s15, s14
	s_cbranch_execz .LBB249_221
.LBB249_220:
	v_and_b32_e32 v6, 3, v1
	v_lshrrev_b16 v8, 2, v1
	s_delay_alu instid0(VALU_DEP_2) | instskip(NEXT) | instid1(VALU_DEP_1)
	v_clz_i32_u32_e32 v7, v6
	v_min_u32_e32 v7, 32, v7
	s_delay_alu instid0(VALU_DEP_3) | instskip(NEXT) | instid1(VALU_DEP_2)
	v_and_b32_e32 v8, 31, v8
	v_subrev_nc_u32_e32 v9, 29, v7
	v_sub_nc_u32_e32 v7, 30, v7
	s_delay_alu instid0(VALU_DEP_3) | instskip(NEXT) | instid1(VALU_DEP_2)
	v_cmp_eq_u32_e32 vcc_lo, 0, v8
	v_dual_lshlrev_b32 v9, v9, v1 :: v_dual_cndmask_b32 v7, v8, v7, vcc_lo
	s_delay_alu instid0(VALU_DEP_1) | instskip(NEXT) | instid1(VALU_DEP_2)
	v_and_b32_e32 v9, 3, v9
	v_lshl_add_u32 v7, v7, 23, 0x37800000
	s_delay_alu instid0(VALU_DEP_2) | instskip(NEXT) | instid1(VALU_DEP_1)
	v_cndmask_b32_e32 v6, v6, v9, vcc_lo
	v_dual_lshlrev_b32 v10, 24, v1 :: v_dual_lshlrev_b32 v6, 21, v6
	s_delay_alu instid0(VALU_DEP_1) | instskip(NEXT) | instid1(VALU_DEP_1)
	v_and_b32_e32 v8, 0x80000000, v10
	v_or3_b32 v6, v8, v7, v6
.LBB249_221:
	s_or_b32 exec_lo, exec_lo, s15
	s_delay_alu instid0(VALU_DEP_1)
	v_cmp_neq_f32_e64 s14, v5, v6
	s_branch .LBB249_232
.LBB249_222:
                                        ; implicit-def: $sgpr14
	s_cbranch_execz .LBB249_232
; %bb.223:
	s_mov_b32 s14, 0
	s_mov_b32 s15, exec_lo
	s_wait_xcnt 0x0
	v_cmpx_lt_i16_e32 0x7f, v3
	s_xor_b32 s15, exec_lo, s15
	s_cbranch_execnz .LBB249_248
; %bb.224:
	s_or_saveexec_b32 s15, s15
	v_mov_b32_e32 v5, 0x7f800001
	s_xor_b32 exec_lo, exec_lo, s15
	s_cbranch_execnz .LBB249_251
.LBB249_225:
	s_or_b32 exec_lo, exec_lo, s15
	s_and_saveexec_b32 s15, s14
	s_cbranch_execz .LBB249_227
.LBB249_226:
	v_and_b32_e32 v3, 3, v2
	v_lshrrev_b16 v6, 2, v2
	s_delay_alu instid0(VALU_DEP_2) | instskip(NEXT) | instid1(VALU_DEP_1)
	v_clz_i32_u32_e32 v5, v3
	v_min_u32_e32 v5, 32, v5
	s_delay_alu instid0(VALU_DEP_3) | instskip(NEXT) | instid1(VALU_DEP_2)
	v_and_b32_e32 v6, 31, v6
	v_subrev_nc_u32_e32 v7, 29, v5
	v_sub_nc_u32_e32 v5, 30, v5
	s_delay_alu instid0(VALU_DEP_3) | instskip(NEXT) | instid1(VALU_DEP_3)
	v_cmp_eq_u32_e32 vcc_lo, 0, v6
	v_dual_lshlrev_b32 v7, v7, v2 :: v_dual_lshlrev_b32 v2, 24, v2
	s_delay_alu instid0(VALU_DEP_1) | instskip(NEXT) | instid1(VALU_DEP_2)
	v_dual_cndmask_b32 v5, v6, v5, vcc_lo :: v_dual_bitop2_b32 v7, 3, v7 bitop3:0x40
	v_and_b32_e32 v2, 0x80000000, v2
	s_delay_alu instid0(VALU_DEP_2) | instskip(NEXT) | instid1(VALU_DEP_3)
	v_cndmask_b32_e32 v3, v3, v7, vcc_lo
	v_lshl_add_u32 v5, v5, 23, 0x37800000
	s_delay_alu instid0(VALU_DEP_2) | instskip(NEXT) | instid1(VALU_DEP_1)
	v_lshlrev_b32_e32 v3, 21, v3
	v_or3_b32 v5, v2, v5, v3
.LBB249_227:
	s_or_b32 exec_lo, exec_lo, s15
	s_wait_loadcnt 0x0
	v_and_b32_e32 v3, 0xff, v1
	s_mov_b32 s14, 0
	s_mov_b32 s15, exec_lo
	s_delay_alu instid0(VALU_DEP_1)
	v_cmpx_lt_i16_e32 0x7f, v3
	s_xor_b32 s15, exec_lo, s15
	s_cbranch_execnz .LBB249_252
; %bb.228:
	s_or_saveexec_b32 s15, s15
	v_mov_b32_e32 v2, 0x7f800001
	s_xor_b32 exec_lo, exec_lo, s15
	s_cbranch_execnz .LBB249_255
.LBB249_229:
	s_or_b32 exec_lo, exec_lo, s15
	s_and_saveexec_b32 s15, s14
	s_cbranch_execz .LBB249_231
.LBB249_230:
	v_and_b32_e32 v2, 3, v1
	v_lshrrev_b16 v6, 2, v1
	s_delay_alu instid0(VALU_DEP_2) | instskip(NEXT) | instid1(VALU_DEP_1)
	v_clz_i32_u32_e32 v3, v2
	v_min_u32_e32 v3, 32, v3
	s_delay_alu instid0(VALU_DEP_3) | instskip(NEXT) | instid1(VALU_DEP_2)
	v_and_b32_e32 v6, 31, v6
	v_subrev_nc_u32_e32 v7, 29, v3
	v_sub_nc_u32_e32 v3, 30, v3
	s_delay_alu instid0(VALU_DEP_3) | instskip(NEXT) | instid1(VALU_DEP_3)
	v_cmp_eq_u32_e32 vcc_lo, 0, v6
	v_dual_lshlrev_b32 v7, v7, v1 :: v_dual_lshlrev_b32 v1, 24, v1
	s_delay_alu instid0(VALU_DEP_1) | instskip(NEXT) | instid1(VALU_DEP_2)
	v_and_b32_e32 v7, 3, v7
	v_and_b32_e32 v1, 0x80000000, v1
	s_delay_alu instid0(VALU_DEP_2) | instskip(NEXT) | instid1(VALU_DEP_1)
	v_cndmask_b32_e32 v2, v2, v7, vcc_lo
	v_dual_cndmask_b32 v3, v6, v3 :: v_dual_lshlrev_b32 v2, 21, v2
	s_delay_alu instid0(VALU_DEP_1) | instskip(NEXT) | instid1(VALU_DEP_1)
	v_lshl_add_u32 v3, v3, 23, 0x37800000
	v_or3_b32 v2, v1, v3, v2
.LBB249_231:
	s_or_b32 exec_lo, exec_lo, s15
	s_delay_alu instid0(VALU_DEP_1)
	v_cmp_eq_f32_e64 s14, v5, v2
.LBB249_232:
	s_wait_loadcnt 0x0
	s_delay_alu instid0(VALU_DEP_1) | instskip(SKIP_4) | instid1(SALU_CYCLE_1)
	v_cndmask_b32_e64 v1, 0, 1, s14
	v_add_nc_u32_e32 v0, 0x80, v0
	global_store_b8 v4, v1, s[0:1]
	s_wait_xcnt 0x0
	s_or_b32 exec_lo, exec_lo, s18
	s_mov_b32 s18, exec_lo
	v_cmpx_gt_i32_e64 s33, v0
	s_cbranch_execz .LBB249_7
.LBB249_233:
	s_and_not1_b32 vcc_lo, exec_lo, s28
	s_cbranch_vccnz .LBB249_239
; %bb.234:
	s_and_not1_b32 vcc_lo, exec_lo, s34
	s_cbranch_vccnz .LBB249_256
; %bb.235:
	v_dual_mov_b32 v4, 0 :: v_dual_mov_b32 v1, v0
	v_dual_mov_b32 v6, 0 :: v_dual_mov_b32 v5, 0
	s_add_co_i32 s35, s31, 1
	s_mov_b64 s[14:15], 0xffffffffffffffe8
	s_and_b32 s35, s35, 30
	s_add_nc_u64 s[14:15], s[16:17], s[14:15]
.LBB249_236:                            ; =>This Inner Loop Header: Depth=1
	s_clause 0x1
	s_load_b128 s[36:39], s[14:15], 0x1c
	s_load_b64 s[44:45], s[14:15], 0x2c
	s_add_co_i32 s35, s35, -2
	s_delay_alu instid0(SALU_CYCLE_1) | instskip(SKIP_2) | instid1(VALU_DEP_1)
	s_cmp_eq_u32 s35, 0
	s_wait_kmcnt 0x0
	v_mul_hi_u32 v2, s37, v1
	v_add_nc_u32_e32 v2, v1, v2
	s_delay_alu instid0(VALU_DEP_1) | instskip(NEXT) | instid1(VALU_DEP_1)
	v_lshrrev_b32_e32 v2, s38, v2
	v_mul_hi_u32 v3, s44, v2
	v_mul_lo_u32 v7, v2, s36
	s_clause 0x1
	s_load_b128 s[40:43], s[14:15], 0xdc
	s_load_b64 s[36:37], s[14:15], 0xec
	s_wait_xcnt 0x0
	s_add_nc_u64 s[14:15], s[14:15], 24
	s_delay_alu instid0(VALU_DEP_2) | instskip(NEXT) | instid1(VALU_DEP_2)
	v_add_nc_u32_e32 v3, v2, v3
	v_sub_nc_u32_e32 v7, v1, v7
	s_delay_alu instid0(VALU_DEP_2) | instskip(SKIP_1) | instid1(VALU_DEP_2)
	v_lshrrev_b32_e32 v1, s45, v3
	s_wait_kmcnt 0x0
	v_mad_u32 v4, v7, s40, v4
	s_delay_alu instid0(VALU_DEP_2) | instskip(SKIP_2) | instid1(VALU_DEP_3)
	v_mul_lo_u32 v3, v1, s39
	v_mad_u32 v5, v7, s42, v5
	v_mad_u32 v6, v7, s41, v6
	v_sub_nc_u32_e32 v2, v2, v3
	s_delay_alu instid0(VALU_DEP_1) | instskip(NEXT) | instid1(VALU_DEP_4)
	v_mad_u32 v4, v2, s43, v4
	v_mad_u32 v5, v2, s37, v5
	s_delay_alu instid0(VALU_DEP_4)
	v_mad_u32 v6, v2, s36, v6
	s_cbranch_scc0 .LBB249_236
; %bb.237:
	s_bitcmp1_b32 s31, 0
	s_cselect_b32 s35, -1, 0
	s_delay_alu instid0(SALU_CYCLE_1)
	s_and_b32 vcc_lo, exec_lo, s35
	s_cbranch_vccnz .LBB249_257
; %bb.238:
	s_clause 0x1
	s_load_b96 s[36:38], s[14:15], 0x1c
	s_load_b96 s[40:42], s[14:15], 0xdc
	s_wait_kmcnt 0x0
	v_mul_hi_u32 v2, s37, v1
	s_delay_alu instid0(VALU_DEP_1) | instskip(NEXT) | instid1(VALU_DEP_1)
	v_add_nc_u32_e32 v2, v1, v2
	v_lshrrev_b32_e32 v2, s38, v2
	s_delay_alu instid0(VALU_DEP_1) | instskip(NEXT) | instid1(VALU_DEP_1)
	v_mul_lo_u32 v2, v2, s36
	v_sub_nc_u32_e32 v1, v1, v2
	s_delay_alu instid0(VALU_DEP_1)
	v_mad_u32 v4, v1, s40, v4
	v_mad_u32 v6, v1, s41, v6
	;; [unrolled: 1-line block ×3, first 2 shown]
	s_branch .LBB249_257
.LBB249_239:
                                        ; implicit-def: $vgpr5
                                        ; implicit-def: $vgpr6
                                        ; implicit-def: $vgpr4
	s_branch .LBB249_258
.LBB249_240:
	s_mov_b32 s14, -1
	s_mov_b32 s35, exec_lo
	v_cmpx_eq_u16_e32 0x80, v3
; %bb.241:
	s_xor_b32 s14, exec_lo, -1
; %bb.242:
	s_or_b32 exec_lo, exec_lo, s35
	s_delay_alu instid0(SALU_CYCLE_1)
	s_and_b32 s14, s14, exec_lo
	s_or_saveexec_b32 s15, s15
	v_mov_b32_e32 v5, 0x7f800001
	s_xor_b32 exec_lo, exec_lo, s15
	s_cbranch_execz .LBB249_215
.LBB249_243:
	v_cmp_ne_u16_e32 vcc_lo, 0, v3
	v_mov_b32_e32 v5, 0
	s_and_not1_b32 s14, s14, exec_lo
	s_and_b32 s35, vcc_lo, exec_lo
	s_delay_alu instid0(SALU_CYCLE_1)
	s_or_b32 s14, s14, s35
	s_or_b32 exec_lo, exec_lo, s15
	s_and_saveexec_b32 s15, s14
	s_cbranch_execnz .LBB249_216
	s_branch .LBB249_217
.LBB249_244:
	s_mov_b32 s14, -1
	s_mov_b32 s35, exec_lo
	v_cmpx_eq_u16_e32 0x80, v7
; %bb.245:
	s_xor_b32 s14, exec_lo, -1
; %bb.246:
	s_or_b32 exec_lo, exec_lo, s35
	s_delay_alu instid0(SALU_CYCLE_1)
	s_and_b32 s14, s14, exec_lo
                                        ; implicit-def: $vgpr7
	s_or_saveexec_b32 s15, s15
	v_mov_b32_e32 v6, 0x7f800001
	s_xor_b32 exec_lo, exec_lo, s15
	s_cbranch_execz .LBB249_219
.LBB249_247:
	v_cmp_ne_u16_e32 vcc_lo, 0, v7
	v_mov_b32_e32 v6, 0
	s_and_not1_b32 s14, s14, exec_lo
	s_and_b32 s35, vcc_lo, exec_lo
	s_delay_alu instid0(SALU_CYCLE_1)
	s_or_b32 s14, s14, s35
	s_or_b32 exec_lo, exec_lo, s15
	s_and_saveexec_b32 s15, s14
	s_cbranch_execnz .LBB249_220
	s_branch .LBB249_221
.LBB249_248:
	s_mov_b32 s14, -1
	s_mov_b32 s35, exec_lo
	v_cmpx_eq_u16_e32 0x80, v3
; %bb.249:
	s_xor_b32 s14, exec_lo, -1
; %bb.250:
	s_or_b32 exec_lo, exec_lo, s35
	s_delay_alu instid0(SALU_CYCLE_1)
	s_and_b32 s14, s14, exec_lo
                                        ; implicit-def: $vgpr3
	s_or_saveexec_b32 s15, s15
	v_mov_b32_e32 v5, 0x7f800001
	s_xor_b32 exec_lo, exec_lo, s15
	s_cbranch_execz .LBB249_225
.LBB249_251:
	v_cmp_ne_u16_e32 vcc_lo, 0, v3
	v_mov_b32_e32 v5, 0
	s_and_not1_b32 s14, s14, exec_lo
	s_and_b32 s35, vcc_lo, exec_lo
	s_delay_alu instid0(SALU_CYCLE_1)
	s_or_b32 s14, s14, s35
	s_or_b32 exec_lo, exec_lo, s15
	s_and_saveexec_b32 s15, s14
	s_cbranch_execnz .LBB249_226
	s_branch .LBB249_227
.LBB249_252:
	s_mov_b32 s14, -1
	s_mov_b32 s35, exec_lo
	v_cmpx_eq_u16_e32 0x80, v3
; %bb.253:
	s_xor_b32 s14, exec_lo, -1
; %bb.254:
	s_or_b32 exec_lo, exec_lo, s35
	s_delay_alu instid0(SALU_CYCLE_1)
	s_and_b32 s14, s14, exec_lo
                                        ; implicit-def: $vgpr3
	s_or_saveexec_b32 s15, s15
	v_mov_b32_e32 v2, 0x7f800001
	s_xor_b32 exec_lo, exec_lo, s15
	s_cbranch_execz .LBB249_229
.LBB249_255:
	v_cmp_ne_u16_e32 vcc_lo, 0, v3
	v_mov_b32_e32 v2, 0
	s_and_not1_b32 s14, s14, exec_lo
	s_and_b32 s35, vcc_lo, exec_lo
	s_delay_alu instid0(SALU_CYCLE_1)
	s_or_b32 s14, s14, s35
	s_or_b32 exec_lo, exec_lo, s15
	s_and_saveexec_b32 s15, s14
	s_cbranch_execnz .LBB249_230
	s_branch .LBB249_231
.LBB249_256:
	v_dual_mov_b32 v5, 0 :: v_dual_mov_b32 v6, 0
	v_mov_b32_e32 v4, 0
.LBB249_257:
	s_cbranch_execnz .LBB249_260
.LBB249_258:
	v_mov_b32_e32 v1, 0
	s_and_not1_b32 vcc_lo, exec_lo, s30
	s_delay_alu instid0(VALU_DEP_1) | instskip(NEXT) | instid1(VALU_DEP_1)
	v_mul_u64_e32 v[2:3], s[20:21], v[0:1]
	v_add_nc_u32_e32 v2, v0, v3
	s_delay_alu instid0(VALU_DEP_1) | instskip(NEXT) | instid1(VALU_DEP_1)
	v_lshrrev_b32_e32 v2, s6, v2
	v_mul_lo_u32 v3, v2, s4
	s_delay_alu instid0(VALU_DEP_1) | instskip(NEXT) | instid1(VALU_DEP_1)
	v_sub_nc_u32_e32 v3, v0, v3
	v_mul_lo_u32 v4, v3, s8
	v_mul_lo_u32 v5, v3, s10
	;; [unrolled: 1-line block ×3, first 2 shown]
	s_cbranch_vccnz .LBB249_260
; %bb.259:
	v_mov_b32_e32 v3, v1
	s_delay_alu instid0(VALU_DEP_1) | instskip(NEXT) | instid1(VALU_DEP_1)
	v_mul_u64_e32 v[8:9], s[24:25], v[2:3]
	v_add_nc_u32_e32 v1, v2, v9
	s_delay_alu instid0(VALU_DEP_1) | instskip(NEXT) | instid1(VALU_DEP_1)
	v_lshrrev_b32_e32 v1, s19, v1
	v_mul_lo_u32 v1, v1, s7
	s_delay_alu instid0(VALU_DEP_1) | instskip(NEXT) | instid1(VALU_DEP_1)
	v_sub_nc_u32_e32 v1, v2, v1
	v_mad_u32 v4, v1, s11, v4
	v_mad_u32 v6, v1, s22, v6
	;; [unrolled: 1-line block ×3, first 2 shown]
.LBB249_260:
	global_load_u8 v2, v6, s[2:3]
	global_load_u8 v1, v5, s[12:13]
	s_and_not1_b32 vcc_lo, exec_lo, s5
	s_wait_loadcnt 0x1
	v_and_b32_e32 v3, 0xff, v2
	s_cbranch_vccnz .LBB249_270
; %bb.261:
	s_mov_b32 s14, 0
	s_mov_b32 s15, exec_lo
	s_wait_xcnt 0x0
	v_cmpx_lt_i16_e32 0x7f, v3
	s_xor_b32 s15, exec_lo, s15
	s_cbranch_execnz .LBB249_288
; %bb.262:
	s_or_saveexec_b32 s15, s15
	v_mov_b32_e32 v5, 0x7f800001
	s_xor_b32 exec_lo, exec_lo, s15
	s_cbranch_execnz .LBB249_291
.LBB249_263:
	s_or_b32 exec_lo, exec_lo, s15
	s_and_saveexec_b32 s15, s14
	s_cbranch_execz .LBB249_265
.LBB249_264:
	v_and_b32_e32 v5, 3, v2
	v_lshrrev_b16 v7, 2, v2
	v_lshlrev_b32_e32 v9, 24, v2
	s_delay_alu instid0(VALU_DEP_3) | instskip(NEXT) | instid1(VALU_DEP_1)
	v_clz_i32_u32_e32 v6, v5
	v_min_u32_e32 v6, 32, v6
	s_delay_alu instid0(VALU_DEP_4) | instskip(NEXT) | instid1(VALU_DEP_2)
	v_and_b32_e32 v7, 31, v7
	v_subrev_nc_u32_e32 v8, 29, v6
	v_sub_nc_u32_e32 v6, 30, v6
	s_delay_alu instid0(VALU_DEP_3) | instskip(NEXT) | instid1(VALU_DEP_3)
	v_cmp_eq_u32_e32 vcc_lo, 0, v7
	v_lshlrev_b32_e32 v8, v8, v2
	s_delay_alu instid0(VALU_DEP_1) | instskip(SKIP_1) | instid1(VALU_DEP_2)
	v_dual_cndmask_b32 v6, v7, v6, vcc_lo :: v_dual_bitop2_b32 v8, 3, v8 bitop3:0x40
	v_and_b32_e32 v7, 0x80000000, v9
	v_cndmask_b32_e32 v5, v5, v8, vcc_lo
	s_delay_alu instid0(VALU_DEP_3) | instskip(NEXT) | instid1(VALU_DEP_2)
	v_lshl_add_u32 v6, v6, 23, 0x37800000
	v_lshlrev_b32_e32 v5, 21, v5
	s_delay_alu instid0(VALU_DEP_1)
	v_or3_b32 v5, v7, v6, v5
.LBB249_265:
	s_or_b32 exec_lo, exec_lo, s15
	s_wait_loadcnt 0x0
	v_and_b32_e32 v7, 0xff, v1
	s_mov_b32 s14, 0
	s_mov_b32 s15, exec_lo
	s_delay_alu instid0(VALU_DEP_1)
	v_cmpx_lt_i16_e32 0x7f, v7
	s_xor_b32 s15, exec_lo, s15
	s_cbranch_execnz .LBB249_292
; %bb.266:
	s_or_saveexec_b32 s15, s15
	v_mov_b32_e32 v6, 0x7f800001
	s_xor_b32 exec_lo, exec_lo, s15
	s_cbranch_execnz .LBB249_295
.LBB249_267:
	s_or_b32 exec_lo, exec_lo, s15
	s_and_saveexec_b32 s15, s14
	s_cbranch_execz .LBB249_269
.LBB249_268:
	v_and_b32_e32 v6, 3, v1
	v_lshrrev_b16 v8, 2, v1
	s_delay_alu instid0(VALU_DEP_2) | instskip(NEXT) | instid1(VALU_DEP_1)
	v_clz_i32_u32_e32 v7, v6
	v_min_u32_e32 v7, 32, v7
	s_delay_alu instid0(VALU_DEP_3) | instskip(NEXT) | instid1(VALU_DEP_2)
	v_and_b32_e32 v8, 31, v8
	v_subrev_nc_u32_e32 v9, 29, v7
	v_sub_nc_u32_e32 v7, 30, v7
	s_delay_alu instid0(VALU_DEP_3) | instskip(NEXT) | instid1(VALU_DEP_2)
	v_cmp_eq_u32_e32 vcc_lo, 0, v8
	v_dual_lshlrev_b32 v9, v9, v1 :: v_dual_cndmask_b32 v7, v8, v7, vcc_lo
	s_delay_alu instid0(VALU_DEP_1) | instskip(NEXT) | instid1(VALU_DEP_2)
	v_and_b32_e32 v9, 3, v9
	v_lshl_add_u32 v7, v7, 23, 0x37800000
	s_delay_alu instid0(VALU_DEP_2) | instskip(NEXT) | instid1(VALU_DEP_1)
	v_cndmask_b32_e32 v6, v6, v9, vcc_lo
	v_dual_lshlrev_b32 v10, 24, v1 :: v_dual_lshlrev_b32 v6, 21, v6
	s_delay_alu instid0(VALU_DEP_1) | instskip(NEXT) | instid1(VALU_DEP_1)
	v_and_b32_e32 v8, 0x80000000, v10
	v_or3_b32 v6, v8, v7, v6
.LBB249_269:
	s_or_b32 exec_lo, exec_lo, s15
	s_delay_alu instid0(VALU_DEP_1)
	v_cmp_neq_f32_e64 s14, v5, v6
	s_branch .LBB249_280
.LBB249_270:
                                        ; implicit-def: $sgpr14
	s_cbranch_execz .LBB249_280
; %bb.271:
	s_mov_b32 s14, 0
	s_mov_b32 s15, exec_lo
	s_wait_xcnt 0x0
	v_cmpx_lt_i16_e32 0x7f, v3
	s_xor_b32 s15, exec_lo, s15
	s_cbranch_execnz .LBB249_296
; %bb.272:
	s_or_saveexec_b32 s15, s15
	v_mov_b32_e32 v5, 0x7f800001
	s_xor_b32 exec_lo, exec_lo, s15
	s_cbranch_execnz .LBB249_299
.LBB249_273:
	s_or_b32 exec_lo, exec_lo, s15
	s_and_saveexec_b32 s15, s14
	s_cbranch_execz .LBB249_275
.LBB249_274:
	v_and_b32_e32 v3, 3, v2
	v_lshrrev_b16 v6, 2, v2
	s_delay_alu instid0(VALU_DEP_2) | instskip(NEXT) | instid1(VALU_DEP_1)
	v_clz_i32_u32_e32 v5, v3
	v_min_u32_e32 v5, 32, v5
	s_delay_alu instid0(VALU_DEP_3) | instskip(NEXT) | instid1(VALU_DEP_2)
	v_and_b32_e32 v6, 31, v6
	v_subrev_nc_u32_e32 v7, 29, v5
	v_sub_nc_u32_e32 v5, 30, v5
	s_delay_alu instid0(VALU_DEP_3) | instskip(NEXT) | instid1(VALU_DEP_3)
	v_cmp_eq_u32_e32 vcc_lo, 0, v6
	v_dual_lshlrev_b32 v7, v7, v2 :: v_dual_lshlrev_b32 v2, 24, v2
	s_delay_alu instid0(VALU_DEP_1) | instskip(NEXT) | instid1(VALU_DEP_2)
	v_dual_cndmask_b32 v5, v6, v5, vcc_lo :: v_dual_bitop2_b32 v7, 3, v7 bitop3:0x40
	v_and_b32_e32 v2, 0x80000000, v2
	s_delay_alu instid0(VALU_DEP_2) | instskip(NEXT) | instid1(VALU_DEP_3)
	v_cndmask_b32_e32 v3, v3, v7, vcc_lo
	v_lshl_add_u32 v5, v5, 23, 0x37800000
	s_delay_alu instid0(VALU_DEP_2) | instskip(NEXT) | instid1(VALU_DEP_1)
	v_lshlrev_b32_e32 v3, 21, v3
	v_or3_b32 v5, v2, v5, v3
.LBB249_275:
	s_or_b32 exec_lo, exec_lo, s15
	s_wait_loadcnt 0x0
	v_and_b32_e32 v3, 0xff, v1
	s_mov_b32 s14, 0
	s_mov_b32 s15, exec_lo
	s_delay_alu instid0(VALU_DEP_1)
	v_cmpx_lt_i16_e32 0x7f, v3
	s_xor_b32 s15, exec_lo, s15
	s_cbranch_execnz .LBB249_300
; %bb.276:
	s_or_saveexec_b32 s15, s15
	v_mov_b32_e32 v2, 0x7f800001
	s_xor_b32 exec_lo, exec_lo, s15
	s_cbranch_execnz .LBB249_303
.LBB249_277:
	s_or_b32 exec_lo, exec_lo, s15
	s_and_saveexec_b32 s15, s14
	s_cbranch_execz .LBB249_279
.LBB249_278:
	v_and_b32_e32 v2, 3, v1
	v_lshrrev_b16 v6, 2, v1
	s_delay_alu instid0(VALU_DEP_2) | instskip(NEXT) | instid1(VALU_DEP_1)
	v_clz_i32_u32_e32 v3, v2
	v_min_u32_e32 v3, 32, v3
	s_delay_alu instid0(VALU_DEP_3) | instskip(NEXT) | instid1(VALU_DEP_2)
	v_and_b32_e32 v6, 31, v6
	v_subrev_nc_u32_e32 v7, 29, v3
	v_sub_nc_u32_e32 v3, 30, v3
	s_delay_alu instid0(VALU_DEP_3) | instskip(NEXT) | instid1(VALU_DEP_3)
	v_cmp_eq_u32_e32 vcc_lo, 0, v6
	v_dual_lshlrev_b32 v7, v7, v1 :: v_dual_lshlrev_b32 v1, 24, v1
	s_delay_alu instid0(VALU_DEP_1) | instskip(NEXT) | instid1(VALU_DEP_2)
	v_and_b32_e32 v7, 3, v7
	v_and_b32_e32 v1, 0x80000000, v1
	s_delay_alu instid0(VALU_DEP_2) | instskip(NEXT) | instid1(VALU_DEP_1)
	v_cndmask_b32_e32 v2, v2, v7, vcc_lo
	v_dual_cndmask_b32 v3, v6, v3 :: v_dual_lshlrev_b32 v2, 21, v2
	s_delay_alu instid0(VALU_DEP_1) | instskip(NEXT) | instid1(VALU_DEP_1)
	v_lshl_add_u32 v3, v3, 23, 0x37800000
	v_or3_b32 v2, v1, v3, v2
.LBB249_279:
	s_or_b32 exec_lo, exec_lo, s15
	s_delay_alu instid0(VALU_DEP_1)
	v_cmp_eq_f32_e64 s14, v5, v2
.LBB249_280:
	s_wait_loadcnt 0x0
	s_delay_alu instid0(VALU_DEP_1) | instskip(SKIP_4) | instid1(SALU_CYCLE_1)
	v_cndmask_b32_e64 v1, 0, 1, s14
	v_add_nc_u32_e32 v0, 0x80, v0
	global_store_b8 v4, v1, s[0:1]
	s_wait_xcnt 0x0
	s_or_b32 exec_lo, exec_lo, s18
	s_mov_b32 s18, exec_lo
	v_cmpx_gt_i32_e64 s33, v0
	s_cbranch_execz .LBB249_8
.LBB249_281:
	s_and_not1_b32 vcc_lo, exec_lo, s28
	s_cbranch_vccnz .LBB249_287
; %bb.282:
	s_and_not1_b32 vcc_lo, exec_lo, s34
	s_cbranch_vccnz .LBB249_304
; %bb.283:
	v_dual_mov_b32 v4, 0 :: v_dual_mov_b32 v1, v0
	v_dual_mov_b32 v6, 0 :: v_dual_mov_b32 v5, 0
	s_add_co_i32 s35, s31, 1
	s_mov_b64 s[14:15], 0xffffffffffffffe8
	s_and_b32 s35, s35, 30
	s_add_nc_u64 s[14:15], s[16:17], s[14:15]
.LBB249_284:                            ; =>This Inner Loop Header: Depth=1
	s_clause 0x1
	s_load_b128 s[36:39], s[14:15], 0x1c
	s_load_b64 s[44:45], s[14:15], 0x2c
	s_add_co_i32 s35, s35, -2
	s_delay_alu instid0(SALU_CYCLE_1) | instskip(SKIP_2) | instid1(VALU_DEP_1)
	s_cmp_eq_u32 s35, 0
	s_wait_kmcnt 0x0
	v_mul_hi_u32 v2, s37, v1
	v_add_nc_u32_e32 v2, v1, v2
	s_delay_alu instid0(VALU_DEP_1) | instskip(NEXT) | instid1(VALU_DEP_1)
	v_lshrrev_b32_e32 v2, s38, v2
	v_mul_hi_u32 v3, s44, v2
	v_mul_lo_u32 v7, v2, s36
	s_clause 0x1
	s_load_b128 s[40:43], s[14:15], 0xdc
	s_load_b64 s[36:37], s[14:15], 0xec
	s_wait_xcnt 0x0
	s_add_nc_u64 s[14:15], s[14:15], 24
	s_delay_alu instid0(VALU_DEP_2) | instskip(NEXT) | instid1(VALU_DEP_2)
	v_add_nc_u32_e32 v3, v2, v3
	v_sub_nc_u32_e32 v7, v1, v7
	s_delay_alu instid0(VALU_DEP_2) | instskip(SKIP_1) | instid1(VALU_DEP_2)
	v_lshrrev_b32_e32 v1, s45, v3
	s_wait_kmcnt 0x0
	v_mad_u32 v4, v7, s40, v4
	s_delay_alu instid0(VALU_DEP_2) | instskip(SKIP_2) | instid1(VALU_DEP_3)
	v_mul_lo_u32 v3, v1, s39
	v_mad_u32 v5, v7, s42, v5
	v_mad_u32 v6, v7, s41, v6
	v_sub_nc_u32_e32 v2, v2, v3
	s_delay_alu instid0(VALU_DEP_1) | instskip(NEXT) | instid1(VALU_DEP_4)
	v_mad_u32 v4, v2, s43, v4
	v_mad_u32 v5, v2, s37, v5
	s_delay_alu instid0(VALU_DEP_4)
	v_mad_u32 v6, v2, s36, v6
	s_cbranch_scc0 .LBB249_284
; %bb.285:
	s_bitcmp1_b32 s31, 0
	s_cselect_b32 s35, -1, 0
	s_delay_alu instid0(SALU_CYCLE_1)
	s_and_b32 vcc_lo, exec_lo, s35
	s_cbranch_vccnz .LBB249_305
; %bb.286:
	s_clause 0x1
	s_load_b96 s[36:38], s[14:15], 0x1c
	s_load_b96 s[40:42], s[14:15], 0xdc
	s_wait_kmcnt 0x0
	v_mul_hi_u32 v2, s37, v1
	s_delay_alu instid0(VALU_DEP_1) | instskip(NEXT) | instid1(VALU_DEP_1)
	v_add_nc_u32_e32 v2, v1, v2
	v_lshrrev_b32_e32 v2, s38, v2
	s_delay_alu instid0(VALU_DEP_1) | instskip(NEXT) | instid1(VALU_DEP_1)
	v_mul_lo_u32 v2, v2, s36
	v_sub_nc_u32_e32 v1, v1, v2
	s_delay_alu instid0(VALU_DEP_1)
	v_mad_u32 v4, v1, s40, v4
	v_mad_u32 v6, v1, s41, v6
	;; [unrolled: 1-line block ×3, first 2 shown]
	s_branch .LBB249_305
.LBB249_287:
                                        ; implicit-def: $vgpr5
                                        ; implicit-def: $vgpr6
                                        ; implicit-def: $vgpr4
	s_branch .LBB249_306
.LBB249_288:
	s_mov_b32 s14, -1
	s_mov_b32 s35, exec_lo
	v_cmpx_eq_u16_e32 0x80, v3
; %bb.289:
	s_xor_b32 s14, exec_lo, -1
; %bb.290:
	s_or_b32 exec_lo, exec_lo, s35
	s_delay_alu instid0(SALU_CYCLE_1)
	s_and_b32 s14, s14, exec_lo
	s_or_saveexec_b32 s15, s15
	v_mov_b32_e32 v5, 0x7f800001
	s_xor_b32 exec_lo, exec_lo, s15
	s_cbranch_execz .LBB249_263
.LBB249_291:
	v_cmp_ne_u16_e32 vcc_lo, 0, v3
	v_mov_b32_e32 v5, 0
	s_and_not1_b32 s14, s14, exec_lo
	s_and_b32 s35, vcc_lo, exec_lo
	s_delay_alu instid0(SALU_CYCLE_1)
	s_or_b32 s14, s14, s35
	s_or_b32 exec_lo, exec_lo, s15
	s_and_saveexec_b32 s15, s14
	s_cbranch_execnz .LBB249_264
	s_branch .LBB249_265
.LBB249_292:
	s_mov_b32 s14, -1
	s_mov_b32 s35, exec_lo
	v_cmpx_eq_u16_e32 0x80, v7
; %bb.293:
	s_xor_b32 s14, exec_lo, -1
; %bb.294:
	s_or_b32 exec_lo, exec_lo, s35
	s_delay_alu instid0(SALU_CYCLE_1)
	s_and_b32 s14, s14, exec_lo
                                        ; implicit-def: $vgpr7
	s_or_saveexec_b32 s15, s15
	v_mov_b32_e32 v6, 0x7f800001
	s_xor_b32 exec_lo, exec_lo, s15
	s_cbranch_execz .LBB249_267
.LBB249_295:
	v_cmp_ne_u16_e32 vcc_lo, 0, v7
	v_mov_b32_e32 v6, 0
	s_and_not1_b32 s14, s14, exec_lo
	s_and_b32 s35, vcc_lo, exec_lo
	s_delay_alu instid0(SALU_CYCLE_1)
	s_or_b32 s14, s14, s35
	s_or_b32 exec_lo, exec_lo, s15
	s_and_saveexec_b32 s15, s14
	s_cbranch_execnz .LBB249_268
	s_branch .LBB249_269
.LBB249_296:
	s_mov_b32 s14, -1
	s_mov_b32 s35, exec_lo
	v_cmpx_eq_u16_e32 0x80, v3
; %bb.297:
	s_xor_b32 s14, exec_lo, -1
; %bb.298:
	s_or_b32 exec_lo, exec_lo, s35
	s_delay_alu instid0(SALU_CYCLE_1)
	s_and_b32 s14, s14, exec_lo
                                        ; implicit-def: $vgpr3
	s_or_saveexec_b32 s15, s15
	v_mov_b32_e32 v5, 0x7f800001
	s_xor_b32 exec_lo, exec_lo, s15
	s_cbranch_execz .LBB249_273
.LBB249_299:
	v_cmp_ne_u16_e32 vcc_lo, 0, v3
	v_mov_b32_e32 v5, 0
	s_and_not1_b32 s14, s14, exec_lo
	s_and_b32 s35, vcc_lo, exec_lo
	s_delay_alu instid0(SALU_CYCLE_1)
	s_or_b32 s14, s14, s35
	s_or_b32 exec_lo, exec_lo, s15
	s_and_saveexec_b32 s15, s14
	s_cbranch_execnz .LBB249_274
	s_branch .LBB249_275
.LBB249_300:
	s_mov_b32 s14, -1
	s_mov_b32 s35, exec_lo
	v_cmpx_eq_u16_e32 0x80, v3
; %bb.301:
	s_xor_b32 s14, exec_lo, -1
; %bb.302:
	s_or_b32 exec_lo, exec_lo, s35
	s_delay_alu instid0(SALU_CYCLE_1)
	s_and_b32 s14, s14, exec_lo
                                        ; implicit-def: $vgpr3
	s_or_saveexec_b32 s15, s15
	v_mov_b32_e32 v2, 0x7f800001
	s_xor_b32 exec_lo, exec_lo, s15
	s_cbranch_execz .LBB249_277
.LBB249_303:
	v_cmp_ne_u16_e32 vcc_lo, 0, v3
	v_mov_b32_e32 v2, 0
	s_and_not1_b32 s14, s14, exec_lo
	s_and_b32 s35, vcc_lo, exec_lo
	s_delay_alu instid0(SALU_CYCLE_1)
	s_or_b32 s14, s14, s35
	s_or_b32 exec_lo, exec_lo, s15
	s_and_saveexec_b32 s15, s14
	s_cbranch_execnz .LBB249_278
	s_branch .LBB249_279
.LBB249_304:
	v_dual_mov_b32 v5, 0 :: v_dual_mov_b32 v6, 0
	v_mov_b32_e32 v4, 0
.LBB249_305:
	s_cbranch_execnz .LBB249_308
.LBB249_306:
	v_mov_b32_e32 v1, 0
	s_and_not1_b32 vcc_lo, exec_lo, s30
	s_delay_alu instid0(VALU_DEP_1) | instskip(NEXT) | instid1(VALU_DEP_1)
	v_mul_u64_e32 v[2:3], s[20:21], v[0:1]
	v_add_nc_u32_e32 v2, v0, v3
	s_delay_alu instid0(VALU_DEP_1) | instskip(NEXT) | instid1(VALU_DEP_1)
	v_lshrrev_b32_e32 v2, s6, v2
	v_mul_lo_u32 v3, v2, s4
	s_delay_alu instid0(VALU_DEP_1) | instskip(NEXT) | instid1(VALU_DEP_1)
	v_sub_nc_u32_e32 v3, v0, v3
	v_mul_lo_u32 v4, v3, s8
	v_mul_lo_u32 v5, v3, s10
	;; [unrolled: 1-line block ×3, first 2 shown]
	s_cbranch_vccnz .LBB249_308
; %bb.307:
	v_mov_b32_e32 v3, v1
	s_delay_alu instid0(VALU_DEP_1) | instskip(NEXT) | instid1(VALU_DEP_1)
	v_mul_u64_e32 v[8:9], s[24:25], v[2:3]
	v_add_nc_u32_e32 v1, v2, v9
	s_delay_alu instid0(VALU_DEP_1) | instskip(NEXT) | instid1(VALU_DEP_1)
	v_lshrrev_b32_e32 v1, s19, v1
	v_mul_lo_u32 v1, v1, s7
	s_delay_alu instid0(VALU_DEP_1) | instskip(NEXT) | instid1(VALU_DEP_1)
	v_sub_nc_u32_e32 v1, v2, v1
	v_mad_u32 v4, v1, s11, v4
	v_mad_u32 v6, v1, s22, v6
	v_mad_u32 v5, v1, s23, v5
.LBB249_308:
	global_load_u8 v2, v6, s[2:3]
	global_load_u8 v1, v5, s[12:13]
	s_and_not1_b32 vcc_lo, exec_lo, s5
	s_wait_loadcnt 0x1
	v_and_b32_e32 v3, 0xff, v2
	s_cbranch_vccnz .LBB249_318
; %bb.309:
	s_mov_b32 s14, 0
	s_mov_b32 s15, exec_lo
	s_wait_xcnt 0x0
	v_cmpx_lt_i16_e32 0x7f, v3
	s_xor_b32 s15, exec_lo, s15
	s_cbranch_execnz .LBB249_336
; %bb.310:
	s_or_saveexec_b32 s15, s15
	v_mov_b32_e32 v5, 0x7f800001
	s_xor_b32 exec_lo, exec_lo, s15
	s_cbranch_execnz .LBB249_339
.LBB249_311:
	s_or_b32 exec_lo, exec_lo, s15
	s_and_saveexec_b32 s15, s14
	s_cbranch_execz .LBB249_313
.LBB249_312:
	v_and_b32_e32 v5, 3, v2
	v_lshrrev_b16 v7, 2, v2
	v_lshlrev_b32_e32 v9, 24, v2
	s_delay_alu instid0(VALU_DEP_3) | instskip(NEXT) | instid1(VALU_DEP_1)
	v_clz_i32_u32_e32 v6, v5
	v_min_u32_e32 v6, 32, v6
	s_delay_alu instid0(VALU_DEP_4) | instskip(NEXT) | instid1(VALU_DEP_2)
	v_and_b32_e32 v7, 31, v7
	v_subrev_nc_u32_e32 v8, 29, v6
	v_sub_nc_u32_e32 v6, 30, v6
	s_delay_alu instid0(VALU_DEP_3) | instskip(NEXT) | instid1(VALU_DEP_3)
	v_cmp_eq_u32_e32 vcc_lo, 0, v7
	v_lshlrev_b32_e32 v8, v8, v2
	s_delay_alu instid0(VALU_DEP_1) | instskip(SKIP_1) | instid1(VALU_DEP_2)
	v_dual_cndmask_b32 v6, v7, v6, vcc_lo :: v_dual_bitop2_b32 v8, 3, v8 bitop3:0x40
	v_and_b32_e32 v7, 0x80000000, v9
	v_cndmask_b32_e32 v5, v5, v8, vcc_lo
	s_delay_alu instid0(VALU_DEP_3) | instskip(NEXT) | instid1(VALU_DEP_2)
	v_lshl_add_u32 v6, v6, 23, 0x37800000
	v_lshlrev_b32_e32 v5, 21, v5
	s_delay_alu instid0(VALU_DEP_1)
	v_or3_b32 v5, v7, v6, v5
.LBB249_313:
	s_or_b32 exec_lo, exec_lo, s15
	s_wait_loadcnt 0x0
	v_and_b32_e32 v7, 0xff, v1
	s_mov_b32 s14, 0
	s_mov_b32 s15, exec_lo
	s_delay_alu instid0(VALU_DEP_1)
	v_cmpx_lt_i16_e32 0x7f, v7
	s_xor_b32 s15, exec_lo, s15
	s_cbranch_execnz .LBB249_340
; %bb.314:
	s_or_saveexec_b32 s15, s15
	v_mov_b32_e32 v6, 0x7f800001
	s_xor_b32 exec_lo, exec_lo, s15
	s_cbranch_execnz .LBB249_343
.LBB249_315:
	s_or_b32 exec_lo, exec_lo, s15
	s_and_saveexec_b32 s15, s14
	s_cbranch_execz .LBB249_317
.LBB249_316:
	v_and_b32_e32 v6, 3, v1
	v_lshrrev_b16 v8, 2, v1
	s_delay_alu instid0(VALU_DEP_2) | instskip(NEXT) | instid1(VALU_DEP_1)
	v_clz_i32_u32_e32 v7, v6
	v_min_u32_e32 v7, 32, v7
	s_delay_alu instid0(VALU_DEP_3) | instskip(NEXT) | instid1(VALU_DEP_2)
	v_and_b32_e32 v8, 31, v8
	v_subrev_nc_u32_e32 v9, 29, v7
	v_sub_nc_u32_e32 v7, 30, v7
	s_delay_alu instid0(VALU_DEP_3) | instskip(NEXT) | instid1(VALU_DEP_2)
	v_cmp_eq_u32_e32 vcc_lo, 0, v8
	v_dual_lshlrev_b32 v9, v9, v1 :: v_dual_cndmask_b32 v7, v8, v7, vcc_lo
	s_delay_alu instid0(VALU_DEP_1) | instskip(NEXT) | instid1(VALU_DEP_2)
	v_and_b32_e32 v9, 3, v9
	v_lshl_add_u32 v7, v7, 23, 0x37800000
	s_delay_alu instid0(VALU_DEP_2) | instskip(NEXT) | instid1(VALU_DEP_1)
	v_cndmask_b32_e32 v6, v6, v9, vcc_lo
	v_dual_lshlrev_b32 v10, 24, v1 :: v_dual_lshlrev_b32 v6, 21, v6
	s_delay_alu instid0(VALU_DEP_1) | instskip(NEXT) | instid1(VALU_DEP_1)
	v_and_b32_e32 v8, 0x80000000, v10
	v_or3_b32 v6, v8, v7, v6
.LBB249_317:
	s_or_b32 exec_lo, exec_lo, s15
	s_delay_alu instid0(VALU_DEP_1)
	v_cmp_neq_f32_e64 s14, v5, v6
	s_branch .LBB249_328
.LBB249_318:
                                        ; implicit-def: $sgpr14
	s_cbranch_execz .LBB249_328
; %bb.319:
	s_mov_b32 s14, 0
	s_mov_b32 s15, exec_lo
	s_wait_xcnt 0x0
	v_cmpx_lt_i16_e32 0x7f, v3
	s_xor_b32 s15, exec_lo, s15
	s_cbranch_execnz .LBB249_344
; %bb.320:
	s_or_saveexec_b32 s15, s15
	v_mov_b32_e32 v5, 0x7f800001
	s_xor_b32 exec_lo, exec_lo, s15
	s_cbranch_execnz .LBB249_347
.LBB249_321:
	s_or_b32 exec_lo, exec_lo, s15
	s_and_saveexec_b32 s15, s14
	s_cbranch_execz .LBB249_323
.LBB249_322:
	v_and_b32_e32 v3, 3, v2
	v_lshrrev_b16 v6, 2, v2
	s_delay_alu instid0(VALU_DEP_2) | instskip(NEXT) | instid1(VALU_DEP_1)
	v_clz_i32_u32_e32 v5, v3
	v_min_u32_e32 v5, 32, v5
	s_delay_alu instid0(VALU_DEP_3) | instskip(NEXT) | instid1(VALU_DEP_2)
	v_and_b32_e32 v6, 31, v6
	v_subrev_nc_u32_e32 v7, 29, v5
	v_sub_nc_u32_e32 v5, 30, v5
	s_delay_alu instid0(VALU_DEP_3) | instskip(NEXT) | instid1(VALU_DEP_3)
	v_cmp_eq_u32_e32 vcc_lo, 0, v6
	v_dual_lshlrev_b32 v7, v7, v2 :: v_dual_lshlrev_b32 v2, 24, v2
	s_delay_alu instid0(VALU_DEP_1) | instskip(NEXT) | instid1(VALU_DEP_2)
	v_dual_cndmask_b32 v5, v6, v5, vcc_lo :: v_dual_bitop2_b32 v7, 3, v7 bitop3:0x40
	v_and_b32_e32 v2, 0x80000000, v2
	s_delay_alu instid0(VALU_DEP_2) | instskip(NEXT) | instid1(VALU_DEP_3)
	v_cndmask_b32_e32 v3, v3, v7, vcc_lo
	v_lshl_add_u32 v5, v5, 23, 0x37800000
	s_delay_alu instid0(VALU_DEP_2) | instskip(NEXT) | instid1(VALU_DEP_1)
	v_lshlrev_b32_e32 v3, 21, v3
	v_or3_b32 v5, v2, v5, v3
.LBB249_323:
	s_or_b32 exec_lo, exec_lo, s15
	s_wait_loadcnt 0x0
	v_and_b32_e32 v3, 0xff, v1
	s_mov_b32 s14, 0
	s_mov_b32 s15, exec_lo
	s_delay_alu instid0(VALU_DEP_1)
	v_cmpx_lt_i16_e32 0x7f, v3
	s_xor_b32 s15, exec_lo, s15
	s_cbranch_execnz .LBB249_348
; %bb.324:
	s_or_saveexec_b32 s15, s15
	v_mov_b32_e32 v2, 0x7f800001
	s_xor_b32 exec_lo, exec_lo, s15
	s_cbranch_execnz .LBB249_351
.LBB249_325:
	s_or_b32 exec_lo, exec_lo, s15
	s_and_saveexec_b32 s15, s14
	s_cbranch_execz .LBB249_327
.LBB249_326:
	v_and_b32_e32 v2, 3, v1
	v_lshrrev_b16 v6, 2, v1
	s_delay_alu instid0(VALU_DEP_2) | instskip(NEXT) | instid1(VALU_DEP_1)
	v_clz_i32_u32_e32 v3, v2
	v_min_u32_e32 v3, 32, v3
	s_delay_alu instid0(VALU_DEP_3) | instskip(NEXT) | instid1(VALU_DEP_2)
	v_and_b32_e32 v6, 31, v6
	v_subrev_nc_u32_e32 v7, 29, v3
	v_sub_nc_u32_e32 v3, 30, v3
	s_delay_alu instid0(VALU_DEP_3) | instskip(NEXT) | instid1(VALU_DEP_3)
	v_cmp_eq_u32_e32 vcc_lo, 0, v6
	v_dual_lshlrev_b32 v7, v7, v1 :: v_dual_lshlrev_b32 v1, 24, v1
	s_delay_alu instid0(VALU_DEP_1) | instskip(NEXT) | instid1(VALU_DEP_2)
	v_and_b32_e32 v7, 3, v7
	v_and_b32_e32 v1, 0x80000000, v1
	s_delay_alu instid0(VALU_DEP_2) | instskip(NEXT) | instid1(VALU_DEP_1)
	v_cndmask_b32_e32 v2, v2, v7, vcc_lo
	v_dual_cndmask_b32 v3, v6, v3 :: v_dual_lshlrev_b32 v2, 21, v2
	s_delay_alu instid0(VALU_DEP_1) | instskip(NEXT) | instid1(VALU_DEP_1)
	v_lshl_add_u32 v3, v3, 23, 0x37800000
	v_or3_b32 v2, v1, v3, v2
.LBB249_327:
	s_or_b32 exec_lo, exec_lo, s15
	s_delay_alu instid0(VALU_DEP_1)
	v_cmp_eq_f32_e64 s14, v5, v2
.LBB249_328:
	s_wait_loadcnt 0x0
	s_delay_alu instid0(VALU_DEP_1) | instskip(SKIP_4) | instid1(SALU_CYCLE_1)
	v_cndmask_b32_e64 v1, 0, 1, s14
	v_add_nc_u32_e32 v0, 0x80, v0
	global_store_b8 v4, v1, s[0:1]
	s_wait_xcnt 0x0
	s_or_b32 exec_lo, exec_lo, s18
	s_mov_b32 s18, exec_lo
	v_cmpx_gt_i32_e64 s33, v0
	s_cbranch_execz .LBB249_377
.LBB249_329:
	s_and_not1_b32 vcc_lo, exec_lo, s28
	s_cbranch_vccnz .LBB249_335
; %bb.330:
	s_and_not1_b32 vcc_lo, exec_lo, s34
	s_cbranch_vccnz .LBB249_352
; %bb.331:
	v_dual_mov_b32 v4, 0 :: v_dual_mov_b32 v1, v0
	v_dual_mov_b32 v6, 0 :: v_dual_mov_b32 v5, 0
	s_add_co_i32 s33, s31, 1
	s_mov_b64 s[14:15], 0xffffffffffffffe8
	s_and_b32 s33, s33, 30
	s_add_nc_u64 s[14:15], s[16:17], s[14:15]
.LBB249_332:                            ; =>This Inner Loop Header: Depth=1
	s_clause 0x1
	s_load_b128 s[36:39], s[14:15], 0x1c
	s_load_b64 s[34:35], s[14:15], 0x2c
	s_add_co_i32 s33, s33, -2
	s_delay_alu instid0(SALU_CYCLE_1) | instskip(SKIP_2) | instid1(VALU_DEP_1)
	s_cmp_eq_u32 s33, 0
	s_wait_kmcnt 0x0
	v_mul_hi_u32 v2, s37, v1
	v_add_nc_u32_e32 v2, v1, v2
	s_delay_alu instid0(VALU_DEP_1) | instskip(NEXT) | instid1(VALU_DEP_1)
	v_lshrrev_b32_e32 v2, s38, v2
	v_mul_hi_u32 v3, s34, v2
	v_mul_lo_u32 v7, v2, s36
	s_clause 0x1
	s_load_b128 s[40:43], s[14:15], 0xdc
	s_load_b64 s[36:37], s[14:15], 0xec
	s_wait_xcnt 0x0
	s_add_nc_u64 s[14:15], s[14:15], 24
	s_delay_alu instid0(VALU_DEP_2) | instskip(NEXT) | instid1(VALU_DEP_2)
	v_add_nc_u32_e32 v3, v2, v3
	v_sub_nc_u32_e32 v7, v1, v7
	s_delay_alu instid0(VALU_DEP_2) | instskip(SKIP_1) | instid1(VALU_DEP_2)
	v_lshrrev_b32_e32 v1, s35, v3
	s_wait_kmcnt 0x0
	v_mad_u32 v4, v7, s40, v4
	s_delay_alu instid0(VALU_DEP_2) | instskip(SKIP_2) | instid1(VALU_DEP_3)
	v_mul_lo_u32 v3, v1, s39
	v_mad_u32 v5, v7, s42, v5
	v_mad_u32 v6, v7, s41, v6
	v_sub_nc_u32_e32 v2, v2, v3
	s_delay_alu instid0(VALU_DEP_1) | instskip(NEXT) | instid1(VALU_DEP_4)
	v_mad_u32 v4, v2, s43, v4
	v_mad_u32 v5, v2, s37, v5
	s_delay_alu instid0(VALU_DEP_4)
	v_mad_u32 v6, v2, s36, v6
	s_cbranch_scc0 .LBB249_332
; %bb.333:
	s_bitcmp1_b32 s31, 0
	s_cselect_b32 s31, -1, 0
	s_delay_alu instid0(SALU_CYCLE_1)
	s_and_b32 vcc_lo, exec_lo, s31
	s_cbranch_vccnz .LBB249_353
; %bb.334:
	s_clause 0x1
	s_load_b96 s[36:38], s[14:15], 0x1c
	s_load_b96 s[40:42], s[14:15], 0xdc
	s_wait_kmcnt 0x0
	v_mul_hi_u32 v2, s37, v1
	s_delay_alu instid0(VALU_DEP_1) | instskip(NEXT) | instid1(VALU_DEP_1)
	v_add_nc_u32_e32 v2, v1, v2
	v_lshrrev_b32_e32 v2, s38, v2
	s_delay_alu instid0(VALU_DEP_1) | instskip(NEXT) | instid1(VALU_DEP_1)
	v_mul_lo_u32 v2, v2, s36
	v_sub_nc_u32_e32 v1, v1, v2
	s_delay_alu instid0(VALU_DEP_1)
	v_mad_u32 v4, v1, s40, v4
	v_mad_u32 v6, v1, s41, v6
	;; [unrolled: 1-line block ×3, first 2 shown]
	s_branch .LBB249_353
.LBB249_335:
                                        ; implicit-def: $vgpr5
                                        ; implicit-def: $vgpr6
                                        ; implicit-def: $vgpr4
	s_branch .LBB249_354
.LBB249_336:
	s_mov_b32 s14, -1
	s_mov_b32 s35, exec_lo
	v_cmpx_eq_u16_e32 0x80, v3
; %bb.337:
	s_xor_b32 s14, exec_lo, -1
; %bb.338:
	s_or_b32 exec_lo, exec_lo, s35
	s_delay_alu instid0(SALU_CYCLE_1)
	s_and_b32 s14, s14, exec_lo
	s_or_saveexec_b32 s15, s15
	v_mov_b32_e32 v5, 0x7f800001
	s_xor_b32 exec_lo, exec_lo, s15
	s_cbranch_execz .LBB249_311
.LBB249_339:
	v_cmp_ne_u16_e32 vcc_lo, 0, v3
	v_mov_b32_e32 v5, 0
	s_and_not1_b32 s14, s14, exec_lo
	s_and_b32 s35, vcc_lo, exec_lo
	s_delay_alu instid0(SALU_CYCLE_1)
	s_or_b32 s14, s14, s35
	s_or_b32 exec_lo, exec_lo, s15
	s_and_saveexec_b32 s15, s14
	s_cbranch_execnz .LBB249_312
	s_branch .LBB249_313
.LBB249_340:
	s_mov_b32 s14, -1
	s_mov_b32 s35, exec_lo
	v_cmpx_eq_u16_e32 0x80, v7
; %bb.341:
	s_xor_b32 s14, exec_lo, -1
; %bb.342:
	s_or_b32 exec_lo, exec_lo, s35
	s_delay_alu instid0(SALU_CYCLE_1)
	s_and_b32 s14, s14, exec_lo
                                        ; implicit-def: $vgpr7
	s_or_saveexec_b32 s15, s15
	v_mov_b32_e32 v6, 0x7f800001
	s_xor_b32 exec_lo, exec_lo, s15
	s_cbranch_execz .LBB249_315
.LBB249_343:
	v_cmp_ne_u16_e32 vcc_lo, 0, v7
	v_mov_b32_e32 v6, 0
	s_and_not1_b32 s14, s14, exec_lo
	s_and_b32 s35, vcc_lo, exec_lo
	s_delay_alu instid0(SALU_CYCLE_1)
	s_or_b32 s14, s14, s35
	s_or_b32 exec_lo, exec_lo, s15
	s_and_saveexec_b32 s15, s14
	s_cbranch_execnz .LBB249_316
	s_branch .LBB249_317
.LBB249_344:
	s_mov_b32 s14, -1
	s_mov_b32 s35, exec_lo
	v_cmpx_eq_u16_e32 0x80, v3
; %bb.345:
	s_xor_b32 s14, exec_lo, -1
; %bb.346:
	s_or_b32 exec_lo, exec_lo, s35
	s_delay_alu instid0(SALU_CYCLE_1)
	s_and_b32 s14, s14, exec_lo
                                        ; implicit-def: $vgpr3
	s_or_saveexec_b32 s15, s15
	v_mov_b32_e32 v5, 0x7f800001
	s_xor_b32 exec_lo, exec_lo, s15
	s_cbranch_execz .LBB249_321
.LBB249_347:
	v_cmp_ne_u16_e32 vcc_lo, 0, v3
	v_mov_b32_e32 v5, 0
	s_and_not1_b32 s14, s14, exec_lo
	s_and_b32 s35, vcc_lo, exec_lo
	s_delay_alu instid0(SALU_CYCLE_1)
	s_or_b32 s14, s14, s35
	s_or_b32 exec_lo, exec_lo, s15
	s_and_saveexec_b32 s15, s14
	s_cbranch_execnz .LBB249_322
	s_branch .LBB249_323
.LBB249_348:
	s_mov_b32 s14, -1
	s_mov_b32 s35, exec_lo
	v_cmpx_eq_u16_e32 0x80, v3
; %bb.349:
	s_xor_b32 s14, exec_lo, -1
; %bb.350:
	s_or_b32 exec_lo, exec_lo, s35
	s_delay_alu instid0(SALU_CYCLE_1)
	s_and_b32 s14, s14, exec_lo
                                        ; implicit-def: $vgpr3
	s_or_saveexec_b32 s15, s15
	v_mov_b32_e32 v2, 0x7f800001
	s_xor_b32 exec_lo, exec_lo, s15
	s_cbranch_execz .LBB249_325
.LBB249_351:
	v_cmp_ne_u16_e32 vcc_lo, 0, v3
	v_mov_b32_e32 v2, 0
	s_and_not1_b32 s14, s14, exec_lo
	s_and_b32 s35, vcc_lo, exec_lo
	s_delay_alu instid0(SALU_CYCLE_1)
	s_or_b32 s14, s14, s35
	s_or_b32 exec_lo, exec_lo, s15
	s_and_saveexec_b32 s15, s14
	s_cbranch_execnz .LBB249_326
	s_branch .LBB249_327
.LBB249_352:
	v_dual_mov_b32 v5, 0 :: v_dual_mov_b32 v6, 0
	v_mov_b32_e32 v4, 0
.LBB249_353:
	s_cbranch_execnz .LBB249_356
.LBB249_354:
	v_mov_b32_e32 v1, 0
	s_and_not1_b32 vcc_lo, exec_lo, s30
	s_delay_alu instid0(VALU_DEP_1) | instskip(NEXT) | instid1(VALU_DEP_1)
	v_mul_u64_e32 v[2:3], s[20:21], v[0:1]
	v_add_nc_u32_e32 v2, v0, v3
	s_delay_alu instid0(VALU_DEP_1) | instskip(NEXT) | instid1(VALU_DEP_1)
	v_lshrrev_b32_e32 v2, s6, v2
	v_mul_lo_u32 v3, v2, s4
	s_delay_alu instid0(VALU_DEP_1) | instskip(NEXT) | instid1(VALU_DEP_1)
	v_sub_nc_u32_e32 v0, v0, v3
	v_mul_lo_u32 v4, v0, s8
	v_mul_lo_u32 v5, v0, s10
	;; [unrolled: 1-line block ×3, first 2 shown]
	s_cbranch_vccnz .LBB249_356
; %bb.355:
	v_mov_b32_e32 v3, v1
	s_delay_alu instid0(VALU_DEP_1) | instskip(NEXT) | instid1(VALU_DEP_1)
	v_mul_u64_e32 v[0:1], s[24:25], v[2:3]
	v_add_nc_u32_e32 v0, v2, v1
	s_delay_alu instid0(VALU_DEP_1) | instskip(NEXT) | instid1(VALU_DEP_1)
	v_lshrrev_b32_e32 v0, s19, v0
	v_mul_lo_u32 v0, v0, s7
	s_delay_alu instid0(VALU_DEP_1) | instskip(NEXT) | instid1(VALU_DEP_1)
	v_sub_nc_u32_e32 v0, v2, v0
	v_mad_u32 v4, v0, s11, v4
	v_mad_u32 v6, v0, s22, v6
	;; [unrolled: 1-line block ×3, first 2 shown]
.LBB249_356:
	global_load_u8 v1, v6, s[2:3]
	global_load_u8 v0, v5, s[12:13]
	s_and_not1_b32 vcc_lo, exec_lo, s5
	s_wait_loadcnt 0x1
	v_and_b32_e32 v2, 0xff, v1
	s_cbranch_vccnz .LBB249_366
; %bb.357:
	s_wait_xcnt 0x1
	s_mov_b32 s2, 0
	s_mov_b32 s3, exec_lo
	s_wait_xcnt 0x0
	v_cmpx_lt_i16_e32 0x7f, v2
	s_xor_b32 s3, exec_lo, s3
	s_cbranch_execnz .LBB249_757
; %bb.358:
	s_or_saveexec_b32 s3, s3
	v_mov_b32_e32 v3, 0x7f800001
	s_xor_b32 exec_lo, exec_lo, s3
	s_cbranch_execnz .LBB249_760
.LBB249_359:
	s_or_b32 exec_lo, exec_lo, s3
	s_and_saveexec_b32 s3, s2
	s_cbranch_execz .LBB249_361
.LBB249_360:
	v_and_b32_e32 v3, 3, v1
	v_lshrrev_b16 v6, 2, v1
	v_lshlrev_b32_e32 v8, 24, v1
	s_delay_alu instid0(VALU_DEP_3) | instskip(NEXT) | instid1(VALU_DEP_1)
	v_clz_i32_u32_e32 v5, v3
	v_min_u32_e32 v5, 32, v5
	s_delay_alu instid0(VALU_DEP_4) | instskip(NEXT) | instid1(VALU_DEP_2)
	v_and_b32_e32 v6, 31, v6
	v_subrev_nc_u32_e32 v7, 29, v5
	v_sub_nc_u32_e32 v5, 30, v5
	s_delay_alu instid0(VALU_DEP_3) | instskip(NEXT) | instid1(VALU_DEP_3)
	v_cmp_eq_u32_e32 vcc_lo, 0, v6
	v_lshlrev_b32_e32 v7, v7, v1
	s_delay_alu instid0(VALU_DEP_1) | instskip(SKIP_1) | instid1(VALU_DEP_2)
	v_dual_cndmask_b32 v5, v6, v5, vcc_lo :: v_dual_bitop2_b32 v7, 3, v7 bitop3:0x40
	v_and_b32_e32 v6, 0x80000000, v8
	v_cndmask_b32_e32 v3, v3, v7, vcc_lo
	s_delay_alu instid0(VALU_DEP_3) | instskip(NEXT) | instid1(VALU_DEP_2)
	v_lshl_add_u32 v5, v5, 23, 0x37800000
	v_lshlrev_b32_e32 v3, 21, v3
	s_delay_alu instid0(VALU_DEP_1)
	v_or3_b32 v3, v6, v5, v3
.LBB249_361:
	s_or_b32 exec_lo, exec_lo, s3
	s_wait_loadcnt 0x0
	v_and_b32_e32 v6, 0xff, v0
	s_mov_b32 s2, 0
	s_mov_b32 s3, exec_lo
	s_delay_alu instid0(VALU_DEP_1)
	v_cmpx_lt_i16_e32 0x7f, v6
	s_xor_b32 s3, exec_lo, s3
	s_cbranch_execnz .LBB249_761
; %bb.362:
	s_or_saveexec_b32 s3, s3
	v_mov_b32_e32 v5, 0x7f800001
	s_xor_b32 exec_lo, exec_lo, s3
	s_cbranch_execnz .LBB249_764
.LBB249_363:
	s_or_b32 exec_lo, exec_lo, s3
	s_and_saveexec_b32 s3, s2
	s_cbranch_execz .LBB249_365
.LBB249_364:
	v_and_b32_e32 v5, 3, v0
	v_lshrrev_b16 v7, 2, v0
	s_delay_alu instid0(VALU_DEP_2) | instskip(NEXT) | instid1(VALU_DEP_1)
	v_clz_i32_u32_e32 v6, v5
	v_min_u32_e32 v6, 32, v6
	s_delay_alu instid0(VALU_DEP_3) | instskip(NEXT) | instid1(VALU_DEP_2)
	v_and_b32_e32 v7, 31, v7
	v_subrev_nc_u32_e32 v8, 29, v6
	v_sub_nc_u32_e32 v6, 30, v6
	s_delay_alu instid0(VALU_DEP_3) | instskip(NEXT) | instid1(VALU_DEP_2)
	v_cmp_eq_u32_e32 vcc_lo, 0, v7
	v_dual_lshlrev_b32 v8, v8, v0 :: v_dual_cndmask_b32 v6, v7, v6, vcc_lo
	s_delay_alu instid0(VALU_DEP_1) | instskip(NEXT) | instid1(VALU_DEP_2)
	v_and_b32_e32 v8, 3, v8
	v_lshl_add_u32 v6, v6, 23, 0x37800000
	s_delay_alu instid0(VALU_DEP_2) | instskip(NEXT) | instid1(VALU_DEP_1)
	v_cndmask_b32_e32 v5, v5, v8, vcc_lo
	v_dual_lshlrev_b32 v9, 24, v0 :: v_dual_lshlrev_b32 v5, 21, v5
	s_delay_alu instid0(VALU_DEP_1) | instskip(NEXT) | instid1(VALU_DEP_1)
	v_and_b32_e32 v7, 0x80000000, v9
	v_or3_b32 v5, v7, v6, v5
.LBB249_365:
	s_or_b32 exec_lo, exec_lo, s3
	s_delay_alu instid0(VALU_DEP_1)
	v_cmp_neq_f32_e64 s2, v3, v5
	s_branch .LBB249_376
.LBB249_366:
	s_wait_xcnt 0x1
                                        ; implicit-def: $sgpr2
	s_cbranch_execz .LBB249_376
; %bb.367:
	s_mov_b32 s2, 0
	s_mov_b32 s3, exec_lo
	s_wait_xcnt 0x0
	v_cmpx_lt_i16_e32 0x7f, v2
	s_xor_b32 s3, exec_lo, s3
	s_cbranch_execnz .LBB249_765
; %bb.368:
	s_or_saveexec_b32 s3, s3
	v_mov_b32_e32 v3, 0x7f800001
	s_xor_b32 exec_lo, exec_lo, s3
	s_cbranch_execnz .LBB249_768
.LBB249_369:
	s_or_b32 exec_lo, exec_lo, s3
	s_and_saveexec_b32 s3, s2
	s_cbranch_execz .LBB249_371
.LBB249_370:
	v_and_b32_e32 v2, 3, v1
	v_lshrrev_b16 v5, 2, v1
	s_delay_alu instid0(VALU_DEP_2) | instskip(NEXT) | instid1(VALU_DEP_1)
	v_clz_i32_u32_e32 v3, v2
	v_min_u32_e32 v3, 32, v3
	s_delay_alu instid0(VALU_DEP_3) | instskip(NEXT) | instid1(VALU_DEP_2)
	v_and_b32_e32 v5, 31, v5
	v_subrev_nc_u32_e32 v6, 29, v3
	v_sub_nc_u32_e32 v3, 30, v3
	s_delay_alu instid0(VALU_DEP_3) | instskip(NEXT) | instid1(VALU_DEP_3)
	v_cmp_eq_u32_e32 vcc_lo, 0, v5
	v_dual_lshlrev_b32 v6, v6, v1 :: v_dual_lshlrev_b32 v1, 24, v1
	s_delay_alu instid0(VALU_DEP_1) | instskip(NEXT) | instid1(VALU_DEP_2)
	v_dual_cndmask_b32 v3, v5, v3, vcc_lo :: v_dual_bitop2_b32 v6, 3, v6 bitop3:0x40
	v_and_b32_e32 v1, 0x80000000, v1
	s_delay_alu instid0(VALU_DEP_2) | instskip(NEXT) | instid1(VALU_DEP_3)
	v_cndmask_b32_e32 v2, v2, v6, vcc_lo
	v_lshl_add_u32 v3, v3, 23, 0x37800000
	s_delay_alu instid0(VALU_DEP_2) | instskip(NEXT) | instid1(VALU_DEP_1)
	v_lshlrev_b32_e32 v2, 21, v2
	v_or3_b32 v3, v1, v3, v2
.LBB249_371:
	s_or_b32 exec_lo, exec_lo, s3
	s_wait_loadcnt 0x0
	v_and_b32_e32 v2, 0xff, v0
	s_mov_b32 s2, 0
	s_mov_b32 s3, exec_lo
	s_delay_alu instid0(VALU_DEP_1)
	v_cmpx_lt_i16_e32 0x7f, v2
	s_xor_b32 s3, exec_lo, s3
	s_cbranch_execnz .LBB249_769
; %bb.372:
	s_or_saveexec_b32 s3, s3
	v_mov_b32_e32 v1, 0x7f800001
	s_xor_b32 exec_lo, exec_lo, s3
	s_cbranch_execnz .LBB249_772
.LBB249_373:
	s_or_b32 exec_lo, exec_lo, s3
	s_and_saveexec_b32 s3, s2
	s_cbranch_execz .LBB249_375
.LBB249_374:
	v_and_b32_e32 v1, 3, v0
	v_lshrrev_b16 v5, 2, v0
	s_delay_alu instid0(VALU_DEP_2) | instskip(NEXT) | instid1(VALU_DEP_1)
	v_clz_i32_u32_e32 v2, v1
	v_min_u32_e32 v2, 32, v2
	s_delay_alu instid0(VALU_DEP_3) | instskip(NEXT) | instid1(VALU_DEP_2)
	v_and_b32_e32 v5, 31, v5
	v_subrev_nc_u32_e32 v6, 29, v2
	v_sub_nc_u32_e32 v2, 30, v2
	s_delay_alu instid0(VALU_DEP_3) | instskip(NEXT) | instid1(VALU_DEP_3)
	v_cmp_eq_u32_e32 vcc_lo, 0, v5
	v_dual_lshlrev_b32 v6, v6, v0 :: v_dual_lshlrev_b32 v0, 24, v0
	s_delay_alu instid0(VALU_DEP_1) | instskip(NEXT) | instid1(VALU_DEP_2)
	v_and_b32_e32 v6, 3, v6
	v_and_b32_e32 v0, 0x80000000, v0
	s_delay_alu instid0(VALU_DEP_2) | instskip(NEXT) | instid1(VALU_DEP_1)
	v_cndmask_b32_e32 v1, v1, v6, vcc_lo
	v_dual_cndmask_b32 v2, v5, v2 :: v_dual_lshlrev_b32 v1, 21, v1
	s_delay_alu instid0(VALU_DEP_1) | instskip(NEXT) | instid1(VALU_DEP_1)
	v_lshl_add_u32 v2, v2, 23, 0x37800000
	v_or3_b32 v1, v0, v2, v1
.LBB249_375:
	s_or_b32 exec_lo, exec_lo, s3
	s_delay_alu instid0(VALU_DEP_1)
	v_cmp_eq_f32_e64 s2, v3, v1
.LBB249_376:
	s_wait_loadcnt 0x0
	s_delay_alu instid0(VALU_DEP_1)
	v_cndmask_b32_e64 v0, 0, 1, s2
	global_store_b8 v4, v0, s[0:1]
.LBB249_377:
	s_wait_xcnt 0x0
	s_or_b32 exec_lo, exec_lo, s18
                                        ; implicit-def: $vgpr22
                                        ; implicit-def: $vgpr0
.LBB249_378:
	s_and_not1_saveexec_b32 s0, s29
	s_cbranch_execz .LBB249_385
; %bb.379:
	v_cndmask_b32_e64 v7, 0, 1, s28
	s_and_not1_b32 vcc_lo, exec_lo, s28
	s_cbranch_vccnz .LBB249_386
; %bb.380:
	s_cmp_lg_u32 s26, 0
	s_mov_b32 s2, 0
	s_cbranch_scc0 .LBB249_390
; %bb.381:
	s_min_u32 s3, s27, 15
	v_dual_mov_b32 v1, 0 :: v_dual_mov_b32 v2, v0
	v_dual_mov_b32 v24, 0 :: v_dual_mov_b32 v23, 0
	s_add_co_i32 s4, s3, 1
	s_mov_b64 s[0:1], 0xffffffffffffffe8
	s_and_b32 s4, s4, 30
	s_add_nc_u64 s[0:1], s[16:17], s[0:1]
.LBB249_382:                            ; =>This Inner Loop Header: Depth=1
	s_clause 0x1
	s_load_b128 s[8:11], s[0:1], 0x1c
	s_load_b64 s[6:7], s[0:1], 0x2c
	s_add_co_i32 s4, s4, -2
	s_delay_alu instid0(SALU_CYCLE_1) | instskip(SKIP_2) | instid1(VALU_DEP_1)
	s_cmp_lg_u32 s4, 0
	s_wait_kmcnt 0x0
	v_mul_hi_u32 v3, s9, v2
	v_add_nc_u32_e32 v3, v2, v3
	s_delay_alu instid0(VALU_DEP_1) | instskip(NEXT) | instid1(VALU_DEP_1)
	v_lshrrev_b32_e32 v3, s10, v3
	v_mul_hi_u32 v4, s6, v3
	v_mul_lo_u32 v5, v3, s8
	s_clause 0x1
	s_load_b128 s[12:15], s[0:1], 0xdc
	s_load_b64 s[8:9], s[0:1], 0xec
	s_wait_xcnt 0x0
	s_add_nc_u64 s[0:1], s[0:1], 24
	s_delay_alu instid0(VALU_DEP_1) | instskip(NEXT) | instid1(VALU_DEP_1)
	v_dual_add_nc_u32 v4, v3, v4 :: v_dual_sub_nc_u32 v5, v2, v5
	v_lshrrev_b32_e32 v2, s7, v4
	s_wait_kmcnt 0x0
	s_delay_alu instid0(VALU_DEP_2) | instskip(NEXT) | instid1(VALU_DEP_2)
	v_mad_u32 v1, v5, s12, v1
	v_mul_lo_u32 v4, v2, s11
	v_mad_u32 v6, v5, s14, v23
	v_mad_u32 v5, v5, s13, v24
	s_delay_alu instid0(VALU_DEP_3) | instskip(NEXT) | instid1(VALU_DEP_1)
	v_sub_nc_u32_e32 v3, v3, v4
	v_mad_u32 v1, v3, s15, v1
	s_delay_alu instid0(VALU_DEP_4) | instskip(NEXT) | instid1(VALU_DEP_4)
	v_mad_u32 v23, v3, s9, v6
	v_mad_u32 v24, v3, s8, v5
	s_cbranch_scc1 .LBB249_382
; %bb.383:
	s_bitcmp1_b32 s3, 0
	s_cselect_b32 s3, -1, 0
	s_delay_alu instid0(SALU_CYCLE_1)
	s_and_b32 vcc_lo, exec_lo, s3
	s_cbranch_vccnz .LBB249_387
; %bb.384:
	s_clause 0x1
	s_load_b96 s[4:6], s[0:1], 0x1c
	s_load_b96 s[8:10], s[0:1], 0xdc
	s_wait_kmcnt 0x0
	v_mul_hi_u32 v3, s5, v2
	s_delay_alu instid0(VALU_DEP_1) | instskip(NEXT) | instid1(VALU_DEP_1)
	v_add_nc_u32_e32 v3, v2, v3
	v_lshrrev_b32_e32 v3, s6, v3
	s_delay_alu instid0(VALU_DEP_1) | instskip(NEXT) | instid1(VALU_DEP_1)
	v_mul_lo_u32 v3, v3, s4
	v_sub_nc_u32_e32 v2, v2, v3
	s_delay_alu instid0(VALU_DEP_1)
	v_mad_u32 v1, v2, s8, v1
	v_mad_u32 v24, v2, s9, v24
	;; [unrolled: 1-line block ×3, first 2 shown]
	s_and_not1_b32 vcc_lo, exec_lo, s2
	s_cbranch_vccz .LBB249_388
	s_branch .LBB249_391
.LBB249_385:
	s_endpgm
.LBB249_386:
	s_mov_b32 s2, -1
                                        ; implicit-def: $vgpr23
                                        ; implicit-def: $vgpr24
                                        ; implicit-def: $vgpr1
.LBB249_387:
	s_delay_alu instid0(SALU_CYCLE_1)
	s_and_not1_b32 vcc_lo, exec_lo, s2
	s_cbranch_vccnz .LBB249_391
.LBB249_388:
	s_clause 0x1
	s_load_b96 s[0:2], s[16:17], 0x4
	s_load_b96 s[4:6], s[16:17], 0xc4
	s_cmp_lt_u32 s26, 2
	s_wait_kmcnt 0x0
	v_mul_hi_u32 v1, s1, v0
	s_delay_alu instid0(VALU_DEP_1) | instskip(NEXT) | instid1(VALU_DEP_1)
	v_add_nc_u32_e32 v1, v0, v1
	v_lshrrev_b32_e32 v2, s2, v1
	s_delay_alu instid0(VALU_DEP_1) | instskip(NEXT) | instid1(VALU_DEP_1)
	v_mul_lo_u32 v1, v2, s0
	v_sub_nc_u32_e32 v3, v0, v1
	s_delay_alu instid0(VALU_DEP_1)
	v_mul_lo_u32 v1, v3, s4
	v_mul_lo_u32 v23, v3, s6
	v_mul_lo_u32 v24, v3, s5
	s_cbranch_scc1 .LBB249_391
; %bb.389:
	s_clause 0x1
	s_load_b96 s[0:2], s[16:17], 0x10
	s_load_b96 s[4:6], s[16:17], 0xd0
	s_wait_kmcnt 0x0
	v_mul_hi_u32 v3, s1, v2
	s_delay_alu instid0(VALU_DEP_1) | instskip(NEXT) | instid1(VALU_DEP_1)
	v_add_nc_u32_e32 v3, v2, v3
	v_lshrrev_b32_e32 v3, s2, v3
	s_delay_alu instid0(VALU_DEP_1) | instskip(NEXT) | instid1(VALU_DEP_1)
	v_mul_lo_u32 v3, v3, s0
	v_sub_nc_u32_e32 v2, v2, v3
	s_delay_alu instid0(VALU_DEP_1)
	v_mad_u32 v1, v2, s4, v1
	v_mad_u32 v24, v2, s5, v24
	;; [unrolled: 1-line block ×3, first 2 shown]
	s_branch .LBB249_391
.LBB249_390:
	v_dual_mov_b32 v23, 0 :: v_dual_mov_b32 v24, 0
	v_mov_b32_e32 v1, 0
	s_and_not1_b32 vcc_lo, exec_lo, s2
	s_cbranch_vccz .LBB249_388
.LBB249_391:
	v_cmp_ne_u32_e32 vcc_lo, 1, v7
	v_add_nc_u32_e32 v3, 0x80, v0
	s_cbranch_vccnz .LBB249_397
; %bb.392:
	s_cmp_lg_u32 s26, 0
	s_mov_b32 s2, 0
	s_cbranch_scc0 .LBB249_401
; %bb.393:
	s_min_u32 s3, s27, 15
	v_dual_mov_b32 v2, 0 :: v_dual_mov_b32 v4, v3
	v_dual_mov_b32 v21, 0 :: v_dual_mov_b32 v20, 0
	s_add_co_i32 s4, s3, 1
	s_mov_b64 s[0:1], 0xffffffffffffffe8
	s_and_b32 s4, s4, 30
	s_add_nc_u64 s[0:1], s[16:17], s[0:1]
.LBB249_394:                            ; =>This Inner Loop Header: Depth=1
	s_clause 0x1
	s_load_b128 s[8:11], s[0:1], 0x1c
	s_load_b64 s[6:7], s[0:1], 0x2c
	s_add_co_i32 s4, s4, -2
	s_delay_alu instid0(SALU_CYCLE_1) | instskip(SKIP_2) | instid1(VALU_DEP_1)
	s_cmp_lg_u32 s4, 0
	s_wait_kmcnt 0x0
	v_mul_hi_u32 v5, s9, v4
	v_add_nc_u32_e32 v5, v4, v5
	s_delay_alu instid0(VALU_DEP_1) | instskip(NEXT) | instid1(VALU_DEP_1)
	v_lshrrev_b32_e32 v5, s10, v5
	v_mul_hi_u32 v6, s6, v5
	v_mul_lo_u32 v8, v5, s8
	s_clause 0x1
	s_load_b128 s[12:15], s[0:1], 0xdc
	s_load_b64 s[8:9], s[0:1], 0xec
	s_wait_xcnt 0x0
	s_add_nc_u64 s[0:1], s[0:1], 24
	s_delay_alu instid0(VALU_DEP_1) | instskip(NEXT) | instid1(VALU_DEP_1)
	v_dual_add_nc_u32 v6, v5, v6 :: v_dual_sub_nc_u32 v8, v4, v8
	v_lshrrev_b32_e32 v4, s7, v6
	s_wait_kmcnt 0x0
	s_delay_alu instid0(VALU_DEP_2) | instskip(NEXT) | instid1(VALU_DEP_2)
	v_mad_u32 v2, v8, s12, v2
	v_mul_lo_u32 v6, v4, s11
	v_mad_u32 v9, v8, s14, v20
	v_mad_u32 v8, v8, s13, v21
	s_delay_alu instid0(VALU_DEP_3) | instskip(NEXT) | instid1(VALU_DEP_1)
	v_sub_nc_u32_e32 v5, v5, v6
	v_mad_u32 v2, v5, s15, v2
	s_delay_alu instid0(VALU_DEP_4) | instskip(NEXT) | instid1(VALU_DEP_4)
	v_mad_u32 v20, v5, s9, v9
	v_mad_u32 v21, v5, s8, v8
	s_cbranch_scc1 .LBB249_394
; %bb.395:
	s_bitcmp1_b32 s3, 0
	s_cselect_b32 s3, -1, 0
	s_delay_alu instid0(SALU_CYCLE_1)
	s_and_b32 vcc_lo, exec_lo, s3
	s_cbranch_vccnz .LBB249_398
; %bb.396:
	s_clause 0x1
	s_load_b96 s[4:6], s[0:1], 0x1c
	s_load_b96 s[8:10], s[0:1], 0xdc
	s_wait_kmcnt 0x0
	v_mul_hi_u32 v5, s5, v4
	s_delay_alu instid0(VALU_DEP_1) | instskip(NEXT) | instid1(VALU_DEP_1)
	v_add_nc_u32_e32 v5, v4, v5
	v_lshrrev_b32_e32 v5, s6, v5
	s_delay_alu instid0(VALU_DEP_1) | instskip(NEXT) | instid1(VALU_DEP_1)
	v_mul_lo_u32 v5, v5, s4
	v_sub_nc_u32_e32 v4, v4, v5
	s_delay_alu instid0(VALU_DEP_1)
	v_mad_u32 v2, v4, s8, v2
	v_mad_u32 v21, v4, s9, v21
	;; [unrolled: 1-line block ×3, first 2 shown]
	s_and_not1_b32 vcc_lo, exec_lo, s2
	s_cbranch_vccz .LBB249_399
	s_branch .LBB249_402
.LBB249_397:
	s_mov_b32 s2, -1
                                        ; implicit-def: $vgpr20
                                        ; implicit-def: $vgpr21
                                        ; implicit-def: $vgpr2
.LBB249_398:
	s_delay_alu instid0(SALU_CYCLE_1)
	s_and_not1_b32 vcc_lo, exec_lo, s2
	s_cbranch_vccnz .LBB249_402
.LBB249_399:
	s_clause 0x1
	s_load_b96 s[0:2], s[16:17], 0x4
	s_load_b96 s[4:6], s[16:17], 0xc4
	s_cmp_lt_u32 s26, 2
	s_wait_kmcnt 0x0
	v_mul_hi_u32 v2, s1, v3
	s_delay_alu instid0(VALU_DEP_1) | instskip(NEXT) | instid1(VALU_DEP_1)
	v_add_nc_u32_e32 v2, v3, v2
	v_lshrrev_b32_e32 v4, s2, v2
	s_delay_alu instid0(VALU_DEP_1) | instskip(NEXT) | instid1(VALU_DEP_1)
	v_mul_lo_u32 v2, v4, s0
	v_sub_nc_u32_e32 v3, v3, v2
	s_delay_alu instid0(VALU_DEP_1)
	v_mul_lo_u32 v2, v3, s4
	v_mul_lo_u32 v20, v3, s6
	;; [unrolled: 1-line block ×3, first 2 shown]
	s_cbranch_scc1 .LBB249_402
; %bb.400:
	s_clause 0x1
	s_load_b96 s[0:2], s[16:17], 0x10
	s_load_b96 s[4:6], s[16:17], 0xd0
	s_wait_kmcnt 0x0
	v_mul_hi_u32 v3, s1, v4
	s_delay_alu instid0(VALU_DEP_1) | instskip(NEXT) | instid1(VALU_DEP_1)
	v_add_nc_u32_e32 v3, v4, v3
	v_lshrrev_b32_e32 v3, s2, v3
	s_delay_alu instid0(VALU_DEP_1) | instskip(NEXT) | instid1(VALU_DEP_1)
	v_mul_lo_u32 v3, v3, s0
	v_sub_nc_u32_e32 v3, v4, v3
	s_delay_alu instid0(VALU_DEP_1)
	v_mad_u32 v2, v3, s4, v2
	v_mad_u32 v21, v3, s5, v21
	;; [unrolled: 1-line block ×3, first 2 shown]
	s_branch .LBB249_402
.LBB249_401:
	v_dual_mov_b32 v20, 0 :: v_dual_mov_b32 v21, 0
	v_mov_b32_e32 v2, 0
	s_and_not1_b32 vcc_lo, exec_lo, s2
	s_cbranch_vccz .LBB249_399
.LBB249_402:
	v_cmp_ne_u32_e32 vcc_lo, 1, v7
	v_add_nc_u32_e32 v4, 0x100, v0
	s_cbranch_vccnz .LBB249_408
; %bb.403:
	s_cmp_lg_u32 s26, 0
	s_mov_b32 s2, 0
	s_cbranch_scc0 .LBB249_412
; %bb.404:
	s_min_u32 s3, s27, 15
	v_dual_mov_b32 v3, 0 :: v_dual_mov_b32 v5, v4
	v_dual_mov_b32 v19, 0 :: v_dual_mov_b32 v18, 0
	s_add_co_i32 s4, s3, 1
	s_mov_b64 s[0:1], 0xffffffffffffffe8
	s_and_b32 s4, s4, 30
	s_add_nc_u64 s[0:1], s[16:17], s[0:1]
.LBB249_405:                            ; =>This Inner Loop Header: Depth=1
	s_clause 0x1
	s_load_b128 s[8:11], s[0:1], 0x1c
	s_load_b64 s[6:7], s[0:1], 0x2c
	s_add_co_i32 s4, s4, -2
	s_delay_alu instid0(SALU_CYCLE_1) | instskip(SKIP_2) | instid1(VALU_DEP_1)
	s_cmp_lg_u32 s4, 0
	s_wait_kmcnt 0x0
	v_mul_hi_u32 v6, s9, v5
	v_add_nc_u32_e32 v6, v5, v6
	s_delay_alu instid0(VALU_DEP_1) | instskip(NEXT) | instid1(VALU_DEP_1)
	v_lshrrev_b32_e32 v6, s10, v6
	v_mul_hi_u32 v8, s6, v6
	v_mul_lo_u32 v9, v6, s8
	s_clause 0x1
	s_load_b128 s[12:15], s[0:1], 0xdc
	s_load_b64 s[8:9], s[0:1], 0xec
	s_wait_xcnt 0x0
	s_add_nc_u64 s[0:1], s[0:1], 24
	s_delay_alu instid0(VALU_DEP_1) | instskip(NEXT) | instid1(VALU_DEP_1)
	v_dual_add_nc_u32 v8, v6, v8 :: v_dual_sub_nc_u32 v9, v5, v9
	v_lshrrev_b32_e32 v5, s7, v8
	s_wait_kmcnt 0x0
	s_delay_alu instid0(VALU_DEP_2) | instskip(NEXT) | instid1(VALU_DEP_2)
	v_mad_u32 v3, v9, s12, v3
	v_mul_lo_u32 v8, v5, s11
	v_mad_u32 v10, v9, s14, v18
	v_mad_u32 v9, v9, s13, v19
	s_delay_alu instid0(VALU_DEP_3) | instskip(NEXT) | instid1(VALU_DEP_1)
	v_sub_nc_u32_e32 v6, v6, v8
	v_mad_u32 v3, v6, s15, v3
	s_delay_alu instid0(VALU_DEP_4) | instskip(NEXT) | instid1(VALU_DEP_4)
	v_mad_u32 v18, v6, s9, v10
	v_mad_u32 v19, v6, s8, v9
	s_cbranch_scc1 .LBB249_405
; %bb.406:
	s_bitcmp1_b32 s3, 0
	s_cselect_b32 s3, -1, 0
	s_delay_alu instid0(SALU_CYCLE_1)
	s_and_b32 vcc_lo, exec_lo, s3
	s_cbranch_vccnz .LBB249_409
; %bb.407:
	s_clause 0x1
	s_load_b96 s[4:6], s[0:1], 0x1c
	s_load_b96 s[8:10], s[0:1], 0xdc
	s_wait_kmcnt 0x0
	v_mul_hi_u32 v6, s5, v5
	s_delay_alu instid0(VALU_DEP_1) | instskip(NEXT) | instid1(VALU_DEP_1)
	v_add_nc_u32_e32 v6, v5, v6
	v_lshrrev_b32_e32 v6, s6, v6
	s_delay_alu instid0(VALU_DEP_1) | instskip(NEXT) | instid1(VALU_DEP_1)
	v_mul_lo_u32 v6, v6, s4
	v_sub_nc_u32_e32 v5, v5, v6
	s_delay_alu instid0(VALU_DEP_1)
	v_mad_u32 v3, v5, s8, v3
	v_mad_u32 v19, v5, s9, v19
	;; [unrolled: 1-line block ×3, first 2 shown]
	s_and_not1_b32 vcc_lo, exec_lo, s2
	s_cbranch_vccz .LBB249_410
	s_branch .LBB249_413
.LBB249_408:
	s_mov_b32 s2, -1
                                        ; implicit-def: $vgpr18
                                        ; implicit-def: $vgpr19
                                        ; implicit-def: $vgpr3
.LBB249_409:
	s_delay_alu instid0(SALU_CYCLE_1)
	s_and_not1_b32 vcc_lo, exec_lo, s2
	s_cbranch_vccnz .LBB249_413
.LBB249_410:
	s_clause 0x1
	s_load_b96 s[0:2], s[16:17], 0x4
	s_load_b96 s[4:6], s[16:17], 0xc4
	s_cmp_lt_u32 s26, 2
	s_wait_kmcnt 0x0
	v_mul_hi_u32 v3, s1, v4
	s_delay_alu instid0(VALU_DEP_1) | instskip(NEXT) | instid1(VALU_DEP_1)
	v_add_nc_u32_e32 v3, v4, v3
	v_lshrrev_b32_e32 v5, s2, v3
	s_delay_alu instid0(VALU_DEP_1) | instskip(NEXT) | instid1(VALU_DEP_1)
	v_mul_lo_u32 v3, v5, s0
	v_sub_nc_u32_e32 v4, v4, v3
	s_delay_alu instid0(VALU_DEP_1)
	v_mul_lo_u32 v3, v4, s4
	v_mul_lo_u32 v18, v4, s6
	;; [unrolled: 1-line block ×3, first 2 shown]
	s_cbranch_scc1 .LBB249_413
; %bb.411:
	s_clause 0x1
	s_load_b96 s[0:2], s[16:17], 0x10
	s_load_b96 s[4:6], s[16:17], 0xd0
	s_wait_kmcnt 0x0
	v_mul_hi_u32 v4, s1, v5
	s_delay_alu instid0(VALU_DEP_1) | instskip(NEXT) | instid1(VALU_DEP_1)
	v_add_nc_u32_e32 v4, v5, v4
	v_lshrrev_b32_e32 v4, s2, v4
	s_delay_alu instid0(VALU_DEP_1) | instskip(NEXT) | instid1(VALU_DEP_1)
	v_mul_lo_u32 v4, v4, s0
	v_sub_nc_u32_e32 v4, v5, v4
	s_delay_alu instid0(VALU_DEP_1)
	v_mad_u32 v3, v4, s4, v3
	v_mad_u32 v19, v4, s5, v19
	;; [unrolled: 1-line block ×3, first 2 shown]
	s_branch .LBB249_413
.LBB249_412:
	v_dual_mov_b32 v18, 0 :: v_dual_mov_b32 v19, 0
	v_mov_b32_e32 v3, 0
	s_and_not1_b32 vcc_lo, exec_lo, s2
	s_cbranch_vccz .LBB249_410
.LBB249_413:
	v_cmp_ne_u32_e32 vcc_lo, 1, v7
	v_add_nc_u32_e32 v5, 0x180, v0
	s_cbranch_vccnz .LBB249_419
; %bb.414:
	s_cmp_lg_u32 s26, 0
	s_mov_b32 s2, 0
	s_cbranch_scc0 .LBB249_423
; %bb.415:
	s_min_u32 s3, s27, 15
	v_dual_mov_b32 v4, 0 :: v_dual_mov_b32 v6, v5
	v_dual_mov_b32 v17, 0 :: v_dual_mov_b32 v16, 0
	s_add_co_i32 s4, s3, 1
	s_mov_b64 s[0:1], 0xffffffffffffffe8
	s_and_b32 s4, s4, 30
	s_add_nc_u64 s[0:1], s[16:17], s[0:1]
.LBB249_416:                            ; =>This Inner Loop Header: Depth=1
	s_clause 0x1
	s_load_b128 s[8:11], s[0:1], 0x1c
	s_load_b64 s[6:7], s[0:1], 0x2c
	s_add_co_i32 s4, s4, -2
	s_delay_alu instid0(SALU_CYCLE_1) | instskip(SKIP_2) | instid1(VALU_DEP_1)
	s_cmp_lg_u32 s4, 0
	s_wait_kmcnt 0x0
	v_mul_hi_u32 v8, s9, v6
	v_add_nc_u32_e32 v8, v6, v8
	s_delay_alu instid0(VALU_DEP_1) | instskip(NEXT) | instid1(VALU_DEP_1)
	v_lshrrev_b32_e32 v8, s10, v8
	v_mul_hi_u32 v9, s6, v8
	v_mul_lo_u32 v10, v8, s8
	s_clause 0x1
	s_load_b128 s[12:15], s[0:1], 0xdc
	s_load_b64 s[8:9], s[0:1], 0xec
	s_wait_xcnt 0x0
	s_add_nc_u64 s[0:1], s[0:1], 24
	s_delay_alu instid0(VALU_DEP_1) | instskip(NEXT) | instid1(VALU_DEP_1)
	v_dual_add_nc_u32 v9, v8, v9 :: v_dual_sub_nc_u32 v10, v6, v10
	v_lshrrev_b32_e32 v6, s7, v9
	s_wait_kmcnt 0x0
	s_delay_alu instid0(VALU_DEP_2) | instskip(NEXT) | instid1(VALU_DEP_2)
	v_mad_u32 v4, v10, s12, v4
	v_mul_lo_u32 v9, v6, s11
	v_mad_u32 v11, v10, s14, v16
	v_mad_u32 v10, v10, s13, v17
	s_delay_alu instid0(VALU_DEP_3) | instskip(NEXT) | instid1(VALU_DEP_1)
	v_sub_nc_u32_e32 v8, v8, v9
	v_mad_u32 v4, v8, s15, v4
	s_delay_alu instid0(VALU_DEP_4) | instskip(NEXT) | instid1(VALU_DEP_4)
	v_mad_u32 v16, v8, s9, v11
	v_mad_u32 v17, v8, s8, v10
	s_cbranch_scc1 .LBB249_416
; %bb.417:
	s_bitcmp1_b32 s3, 0
	s_cselect_b32 s3, -1, 0
	s_delay_alu instid0(SALU_CYCLE_1)
	s_and_b32 vcc_lo, exec_lo, s3
	s_cbranch_vccnz .LBB249_420
; %bb.418:
	s_clause 0x1
	s_load_b96 s[4:6], s[0:1], 0x1c
	s_load_b96 s[8:10], s[0:1], 0xdc
	s_wait_kmcnt 0x0
	v_mul_hi_u32 v8, s5, v6
	s_delay_alu instid0(VALU_DEP_1) | instskip(NEXT) | instid1(VALU_DEP_1)
	v_add_nc_u32_e32 v8, v6, v8
	v_lshrrev_b32_e32 v8, s6, v8
	s_delay_alu instid0(VALU_DEP_1) | instskip(NEXT) | instid1(VALU_DEP_1)
	v_mul_lo_u32 v8, v8, s4
	v_sub_nc_u32_e32 v6, v6, v8
	s_delay_alu instid0(VALU_DEP_1)
	v_mad_u32 v4, v6, s8, v4
	v_mad_u32 v17, v6, s9, v17
	;; [unrolled: 1-line block ×3, first 2 shown]
	s_and_not1_b32 vcc_lo, exec_lo, s2
	s_cbranch_vccz .LBB249_421
	s_branch .LBB249_424
.LBB249_419:
	s_mov_b32 s2, -1
                                        ; implicit-def: $vgpr16
                                        ; implicit-def: $vgpr17
                                        ; implicit-def: $vgpr4
.LBB249_420:
	s_delay_alu instid0(SALU_CYCLE_1)
	s_and_not1_b32 vcc_lo, exec_lo, s2
	s_cbranch_vccnz .LBB249_424
.LBB249_421:
	s_clause 0x1
	s_load_b96 s[0:2], s[16:17], 0x4
	s_load_b96 s[4:6], s[16:17], 0xc4
	s_cmp_lt_u32 s26, 2
	s_wait_kmcnt 0x0
	v_mul_hi_u32 v4, s1, v5
	s_delay_alu instid0(VALU_DEP_1) | instskip(NEXT) | instid1(VALU_DEP_1)
	v_add_nc_u32_e32 v4, v5, v4
	v_lshrrev_b32_e32 v6, s2, v4
	s_delay_alu instid0(VALU_DEP_1) | instskip(NEXT) | instid1(VALU_DEP_1)
	v_mul_lo_u32 v4, v6, s0
	v_sub_nc_u32_e32 v5, v5, v4
	s_delay_alu instid0(VALU_DEP_1)
	v_mul_lo_u32 v4, v5, s4
	v_mul_lo_u32 v16, v5, s6
	;; [unrolled: 1-line block ×3, first 2 shown]
	s_cbranch_scc1 .LBB249_424
; %bb.422:
	s_clause 0x1
	s_load_b96 s[0:2], s[16:17], 0x10
	s_load_b96 s[4:6], s[16:17], 0xd0
	s_wait_kmcnt 0x0
	v_mul_hi_u32 v5, s1, v6
	s_delay_alu instid0(VALU_DEP_1) | instskip(NEXT) | instid1(VALU_DEP_1)
	v_add_nc_u32_e32 v5, v6, v5
	v_lshrrev_b32_e32 v5, s2, v5
	s_delay_alu instid0(VALU_DEP_1) | instskip(NEXT) | instid1(VALU_DEP_1)
	v_mul_lo_u32 v5, v5, s0
	v_sub_nc_u32_e32 v5, v6, v5
	s_delay_alu instid0(VALU_DEP_1)
	v_mad_u32 v4, v5, s4, v4
	v_mad_u32 v17, v5, s5, v17
	;; [unrolled: 1-line block ×3, first 2 shown]
	s_branch .LBB249_424
.LBB249_423:
	v_dual_mov_b32 v16, 0 :: v_dual_mov_b32 v17, 0
	v_mov_b32_e32 v4, 0
	s_and_not1_b32 vcc_lo, exec_lo, s2
	s_cbranch_vccz .LBB249_421
.LBB249_424:
	v_cmp_ne_u32_e32 vcc_lo, 1, v7
	v_add_nc_u32_e32 v6, 0x200, v0
	s_cbranch_vccnz .LBB249_430
; %bb.425:
	s_cmp_lg_u32 s26, 0
	s_mov_b32 s2, 0
	s_cbranch_scc0 .LBB249_434
; %bb.426:
	s_min_u32 s3, s27, 15
	v_dual_mov_b32 v5, 0 :: v_dual_mov_b32 v8, v6
	v_dual_mov_b32 v15, 0 :: v_dual_mov_b32 v14, 0
	s_add_co_i32 s4, s3, 1
	s_mov_b64 s[0:1], 0xffffffffffffffe8
	s_and_b32 s4, s4, 30
	s_add_nc_u64 s[0:1], s[16:17], s[0:1]
.LBB249_427:                            ; =>This Inner Loop Header: Depth=1
	s_clause 0x1
	s_load_b128 s[8:11], s[0:1], 0x1c
	s_load_b64 s[6:7], s[0:1], 0x2c
	s_add_co_i32 s4, s4, -2
	s_delay_alu instid0(SALU_CYCLE_1) | instskip(SKIP_2) | instid1(VALU_DEP_1)
	s_cmp_lg_u32 s4, 0
	s_wait_kmcnt 0x0
	v_mul_hi_u32 v9, s9, v8
	v_add_nc_u32_e32 v9, v8, v9
	s_delay_alu instid0(VALU_DEP_1) | instskip(NEXT) | instid1(VALU_DEP_1)
	v_lshrrev_b32_e32 v9, s10, v9
	v_mul_hi_u32 v10, s6, v9
	v_mul_lo_u32 v11, v9, s8
	s_clause 0x1
	s_load_b128 s[12:15], s[0:1], 0xdc
	s_load_b64 s[8:9], s[0:1], 0xec
	s_wait_xcnt 0x0
	s_add_nc_u64 s[0:1], s[0:1], 24
	s_delay_alu instid0(VALU_DEP_1) | instskip(NEXT) | instid1(VALU_DEP_1)
	v_dual_add_nc_u32 v10, v9, v10 :: v_dual_sub_nc_u32 v11, v8, v11
	v_lshrrev_b32_e32 v8, s7, v10
	s_wait_kmcnt 0x0
	s_delay_alu instid0(VALU_DEP_2) | instskip(NEXT) | instid1(VALU_DEP_2)
	v_mad_u32 v5, v11, s12, v5
	v_mul_lo_u32 v10, v8, s11
	v_mad_u32 v12, v11, s14, v14
	v_mad_u32 v11, v11, s13, v15
	s_delay_alu instid0(VALU_DEP_3) | instskip(NEXT) | instid1(VALU_DEP_1)
	v_sub_nc_u32_e32 v9, v9, v10
	v_mad_u32 v5, v9, s15, v5
	s_delay_alu instid0(VALU_DEP_4) | instskip(NEXT) | instid1(VALU_DEP_4)
	v_mad_u32 v14, v9, s9, v12
	v_mad_u32 v15, v9, s8, v11
	s_cbranch_scc1 .LBB249_427
; %bb.428:
	s_bitcmp1_b32 s3, 0
	s_cselect_b32 s3, -1, 0
	s_delay_alu instid0(SALU_CYCLE_1)
	s_and_b32 vcc_lo, exec_lo, s3
	s_cbranch_vccnz .LBB249_431
; %bb.429:
	s_clause 0x1
	s_load_b96 s[4:6], s[0:1], 0x1c
	s_load_b96 s[8:10], s[0:1], 0xdc
	s_wait_kmcnt 0x0
	v_mul_hi_u32 v9, s5, v8
	s_delay_alu instid0(VALU_DEP_1) | instskip(NEXT) | instid1(VALU_DEP_1)
	v_add_nc_u32_e32 v9, v8, v9
	v_lshrrev_b32_e32 v9, s6, v9
	s_delay_alu instid0(VALU_DEP_1) | instskip(NEXT) | instid1(VALU_DEP_1)
	v_mul_lo_u32 v9, v9, s4
	v_sub_nc_u32_e32 v8, v8, v9
	s_delay_alu instid0(VALU_DEP_1)
	v_mad_u32 v5, v8, s8, v5
	v_mad_u32 v15, v8, s9, v15
	;; [unrolled: 1-line block ×3, first 2 shown]
	s_and_not1_b32 vcc_lo, exec_lo, s2
	s_cbranch_vccz .LBB249_432
	s_branch .LBB249_435
.LBB249_430:
	s_mov_b32 s2, -1
                                        ; implicit-def: $vgpr14
                                        ; implicit-def: $vgpr15
                                        ; implicit-def: $vgpr5
.LBB249_431:
	s_delay_alu instid0(SALU_CYCLE_1)
	s_and_not1_b32 vcc_lo, exec_lo, s2
	s_cbranch_vccnz .LBB249_435
.LBB249_432:
	s_clause 0x1
	s_load_b96 s[0:2], s[16:17], 0x4
	s_load_b96 s[4:6], s[16:17], 0xc4
	s_cmp_lt_u32 s26, 2
	s_wait_kmcnt 0x0
	v_mul_hi_u32 v5, s1, v6
	s_delay_alu instid0(VALU_DEP_1) | instskip(NEXT) | instid1(VALU_DEP_1)
	v_add_nc_u32_e32 v5, v6, v5
	v_lshrrev_b32_e32 v8, s2, v5
	s_delay_alu instid0(VALU_DEP_1) | instskip(NEXT) | instid1(VALU_DEP_1)
	v_mul_lo_u32 v5, v8, s0
	v_sub_nc_u32_e32 v6, v6, v5
	s_delay_alu instid0(VALU_DEP_1)
	v_mul_lo_u32 v5, v6, s4
	v_mul_lo_u32 v14, v6, s6
	v_mul_lo_u32 v15, v6, s5
	s_cbranch_scc1 .LBB249_435
; %bb.433:
	s_clause 0x1
	s_load_b96 s[0:2], s[16:17], 0x10
	s_load_b96 s[4:6], s[16:17], 0xd0
	s_wait_kmcnt 0x0
	v_mul_hi_u32 v6, s1, v8
	s_delay_alu instid0(VALU_DEP_1) | instskip(NEXT) | instid1(VALU_DEP_1)
	v_add_nc_u32_e32 v6, v8, v6
	v_lshrrev_b32_e32 v6, s2, v6
	s_delay_alu instid0(VALU_DEP_1) | instskip(NEXT) | instid1(VALU_DEP_1)
	v_mul_lo_u32 v6, v6, s0
	v_sub_nc_u32_e32 v6, v8, v6
	s_delay_alu instid0(VALU_DEP_1)
	v_mad_u32 v5, v6, s4, v5
	v_mad_u32 v15, v6, s5, v15
	;; [unrolled: 1-line block ×3, first 2 shown]
	s_branch .LBB249_435
.LBB249_434:
	v_dual_mov_b32 v14, 0 :: v_dual_mov_b32 v15, 0
	v_mov_b32_e32 v5, 0
	s_and_not1_b32 vcc_lo, exec_lo, s2
	s_cbranch_vccz .LBB249_432
.LBB249_435:
	v_cmp_ne_u32_e32 vcc_lo, 1, v7
	v_add_nc_u32_e32 v8, 0x280, v0
	s_cbranch_vccnz .LBB249_441
; %bb.436:
	s_cmp_lg_u32 s26, 0
	s_mov_b32 s2, 0
	s_cbranch_scc0 .LBB249_445
; %bb.437:
	s_min_u32 s3, s27, 15
	v_dual_mov_b32 v6, 0 :: v_dual_mov_b32 v9, v8
	v_dual_mov_b32 v13, 0 :: v_dual_mov_b32 v12, 0
	s_add_co_i32 s4, s3, 1
	s_mov_b64 s[0:1], 0xffffffffffffffe8
	s_and_b32 s4, s4, 30
	s_add_nc_u64 s[0:1], s[16:17], s[0:1]
.LBB249_438:                            ; =>This Inner Loop Header: Depth=1
	s_clause 0x1
	s_load_b128 s[8:11], s[0:1], 0x1c
	s_load_b64 s[6:7], s[0:1], 0x2c
	s_add_co_i32 s4, s4, -2
	s_delay_alu instid0(SALU_CYCLE_1) | instskip(SKIP_2) | instid1(VALU_DEP_1)
	s_cmp_lg_u32 s4, 0
	s_wait_kmcnt 0x0
	v_mul_hi_u32 v10, s9, v9
	v_add_nc_u32_e32 v10, v9, v10
	s_delay_alu instid0(VALU_DEP_1) | instskip(NEXT) | instid1(VALU_DEP_1)
	v_lshrrev_b32_e32 v10, s10, v10
	v_mul_hi_u32 v11, s6, v10
	v_mul_lo_u32 v25, v10, s8
	s_clause 0x1
	s_load_b128 s[12:15], s[0:1], 0xdc
	s_load_b64 s[8:9], s[0:1], 0xec
	s_wait_xcnt 0x0
	s_add_nc_u64 s[0:1], s[0:1], 24
	s_delay_alu instid0(VALU_DEP_1) | instskip(NEXT) | instid1(VALU_DEP_1)
	v_dual_add_nc_u32 v11, v10, v11 :: v_dual_sub_nc_u32 v25, v9, v25
	v_lshrrev_b32_e32 v9, s7, v11
	s_wait_kmcnt 0x0
	s_delay_alu instid0(VALU_DEP_2) | instskip(NEXT) | instid1(VALU_DEP_2)
	v_mad_u32 v6, v25, s12, v6
	v_mul_lo_u32 v11, v9, s11
	v_mad_u32 v12, v25, s14, v12
	v_mad_u32 v13, v25, s13, v13
	s_delay_alu instid0(VALU_DEP_3) | instskip(NEXT) | instid1(VALU_DEP_1)
	v_sub_nc_u32_e32 v10, v10, v11
	v_mad_u32 v6, v10, s15, v6
	s_delay_alu instid0(VALU_DEP_4) | instskip(NEXT) | instid1(VALU_DEP_4)
	v_mad_u32 v12, v10, s9, v12
	v_mad_u32 v13, v10, s8, v13
	s_cbranch_scc1 .LBB249_438
; %bb.439:
	s_bitcmp1_b32 s3, 0
	s_cselect_b32 s3, -1, 0
	s_delay_alu instid0(SALU_CYCLE_1)
	s_and_b32 vcc_lo, exec_lo, s3
	s_cbranch_vccnz .LBB249_442
; %bb.440:
	s_clause 0x1
	s_load_b96 s[4:6], s[0:1], 0x1c
	s_load_b96 s[8:10], s[0:1], 0xdc
	s_wait_kmcnt 0x0
	v_mul_hi_u32 v10, s5, v9
	s_delay_alu instid0(VALU_DEP_1) | instskip(NEXT) | instid1(VALU_DEP_1)
	v_add_nc_u32_e32 v10, v9, v10
	v_lshrrev_b32_e32 v10, s6, v10
	s_delay_alu instid0(VALU_DEP_1) | instskip(NEXT) | instid1(VALU_DEP_1)
	v_mul_lo_u32 v10, v10, s4
	v_sub_nc_u32_e32 v9, v9, v10
	s_delay_alu instid0(VALU_DEP_1)
	v_mad_u32 v6, v9, s8, v6
	v_mad_u32 v13, v9, s9, v13
	;; [unrolled: 1-line block ×3, first 2 shown]
	s_and_not1_b32 vcc_lo, exec_lo, s2
	s_cbranch_vccz .LBB249_443
	s_branch .LBB249_446
.LBB249_441:
	s_mov_b32 s2, -1
                                        ; implicit-def: $vgpr12
                                        ; implicit-def: $vgpr13
                                        ; implicit-def: $vgpr6
.LBB249_442:
	s_delay_alu instid0(SALU_CYCLE_1)
	s_and_not1_b32 vcc_lo, exec_lo, s2
	s_cbranch_vccnz .LBB249_446
.LBB249_443:
	s_clause 0x1
	s_load_b96 s[0:2], s[16:17], 0x4
	s_load_b96 s[4:6], s[16:17], 0xc4
	s_cmp_lt_u32 s26, 2
	s_wait_kmcnt 0x0
	v_mul_hi_u32 v6, s1, v8
	s_delay_alu instid0(VALU_DEP_1) | instskip(NEXT) | instid1(VALU_DEP_1)
	v_add_nc_u32_e32 v6, v8, v6
	v_lshrrev_b32_e32 v9, s2, v6
	s_delay_alu instid0(VALU_DEP_1) | instskip(NEXT) | instid1(VALU_DEP_1)
	v_mul_lo_u32 v6, v9, s0
	v_sub_nc_u32_e32 v8, v8, v6
	s_delay_alu instid0(VALU_DEP_1)
	v_mul_lo_u32 v6, v8, s4
	v_mul_lo_u32 v12, v8, s6
	;; [unrolled: 1-line block ×3, first 2 shown]
	s_cbranch_scc1 .LBB249_446
; %bb.444:
	s_clause 0x1
	s_load_b96 s[0:2], s[16:17], 0x10
	s_load_b96 s[4:6], s[16:17], 0xd0
	s_wait_kmcnt 0x0
	v_mul_hi_u32 v8, s1, v9
	s_delay_alu instid0(VALU_DEP_1) | instskip(NEXT) | instid1(VALU_DEP_1)
	v_add_nc_u32_e32 v8, v9, v8
	v_lshrrev_b32_e32 v8, s2, v8
	s_delay_alu instid0(VALU_DEP_1) | instskip(NEXT) | instid1(VALU_DEP_1)
	v_mul_lo_u32 v8, v8, s0
	v_sub_nc_u32_e32 v8, v9, v8
	s_delay_alu instid0(VALU_DEP_1)
	v_mad_u32 v6, v8, s4, v6
	v_mad_u32 v13, v8, s5, v13
	;; [unrolled: 1-line block ×3, first 2 shown]
	s_branch .LBB249_446
.LBB249_445:
	v_dual_mov_b32 v12, 0 :: v_dual_mov_b32 v13, 0
	v_mov_b32_e32 v6, 0
	s_and_not1_b32 vcc_lo, exec_lo, s2
	s_cbranch_vccz .LBB249_443
.LBB249_446:
	v_cmp_ne_u32_e32 vcc_lo, 1, v7
	v_add_nc_u32_e32 v8, 0x300, v0
	s_cbranch_vccnz .LBB249_452
; %bb.447:
	s_cmp_lg_u32 s26, 0
	s_mov_b32 s2, 0
	s_cbranch_scc0 .LBB249_456
; %bb.448:
	s_min_u32 s3, s27, 15
	v_dual_mov_b32 v0, 0 :: v_dual_mov_b32 v9, v8
	v_dual_mov_b32 v11, 0 :: v_dual_mov_b32 v10, 0
	s_add_co_i32 s4, s3, 1
	s_mov_b64 s[0:1], 0xffffffffffffffe8
	s_and_b32 s4, s4, 30
	s_add_nc_u64 s[0:1], s[16:17], s[0:1]
.LBB249_449:                            ; =>This Inner Loop Header: Depth=1
	s_clause 0x1
	s_load_b128 s[8:11], s[0:1], 0x1c
	s_load_b64 s[6:7], s[0:1], 0x2c
	s_add_co_i32 s4, s4, -2
	s_delay_alu instid0(SALU_CYCLE_1) | instskip(SKIP_2) | instid1(VALU_DEP_1)
	s_cmp_lg_u32 s4, 0
	s_wait_kmcnt 0x0
	v_mul_hi_u32 v25, s9, v9
	v_add_nc_u32_e32 v25, v9, v25
	s_delay_alu instid0(VALU_DEP_1) | instskip(NEXT) | instid1(VALU_DEP_1)
	v_lshrrev_b32_e32 v25, s10, v25
	v_mul_hi_u32 v26, s6, v25
	v_mul_lo_u32 v27, v25, s8
	s_clause 0x1
	s_load_b128 s[12:15], s[0:1], 0xdc
	s_load_b64 s[8:9], s[0:1], 0xec
	s_wait_xcnt 0x0
	s_add_nc_u64 s[0:1], s[0:1], 24
	s_delay_alu instid0(VALU_DEP_2) | instskip(NEXT) | instid1(VALU_DEP_1)
	v_add_nc_u32_e32 v26, v25, v26
	v_dual_sub_nc_u32 v27, v9, v27 :: v_dual_lshrrev_b32 v9, s7, v26
	s_wait_kmcnt 0x0
	s_delay_alu instid0(VALU_DEP_1) | instskip(NEXT) | instid1(VALU_DEP_2)
	v_mad_u32 v0, v27, s12, v0
	v_mul_lo_u32 v26, v9, s11
	v_mad_u32 v10, v27, s14, v10
	v_mad_u32 v11, v27, s13, v11
	s_delay_alu instid0(VALU_DEP_3) | instskip(NEXT) | instid1(VALU_DEP_1)
	v_sub_nc_u32_e32 v25, v25, v26
	v_mad_u32 v0, v25, s15, v0
	s_delay_alu instid0(VALU_DEP_4) | instskip(NEXT) | instid1(VALU_DEP_4)
	v_mad_u32 v10, v25, s9, v10
	v_mad_u32 v11, v25, s8, v11
	s_cbranch_scc1 .LBB249_449
; %bb.450:
	s_bitcmp1_b32 s3, 0
	s_cselect_b32 s3, -1, 0
	s_delay_alu instid0(SALU_CYCLE_1)
	s_and_b32 vcc_lo, exec_lo, s3
	s_cbranch_vccnz .LBB249_453
; %bb.451:
	s_clause 0x1
	s_load_b96 s[4:6], s[0:1], 0x1c
	s_load_b96 s[8:10], s[0:1], 0xdc
	s_wait_kmcnt 0x0
	v_mul_hi_u32 v25, s5, v9
	s_delay_alu instid0(VALU_DEP_1) | instskip(NEXT) | instid1(VALU_DEP_1)
	v_add_nc_u32_e32 v25, v9, v25
	v_lshrrev_b32_e32 v25, s6, v25
	s_delay_alu instid0(VALU_DEP_1) | instskip(NEXT) | instid1(VALU_DEP_1)
	v_mul_lo_u32 v25, v25, s4
	v_sub_nc_u32_e32 v9, v9, v25
	s_delay_alu instid0(VALU_DEP_1)
	v_mad_u32 v0, v9, s8, v0
	v_mad_u32 v11, v9, s9, v11
	;; [unrolled: 1-line block ×3, first 2 shown]
	s_and_not1_b32 vcc_lo, exec_lo, s2
	s_cbranch_vccz .LBB249_454
	s_branch .LBB249_457
.LBB249_452:
	s_mov_b32 s2, -1
                                        ; implicit-def: $vgpr10
                                        ; implicit-def: $vgpr11
                                        ; implicit-def: $vgpr0
.LBB249_453:
	s_delay_alu instid0(SALU_CYCLE_1)
	s_and_not1_b32 vcc_lo, exec_lo, s2
	s_cbranch_vccnz .LBB249_457
.LBB249_454:
	s_clause 0x1
	s_load_b96 s[0:2], s[16:17], 0x4
	s_load_b96 s[4:6], s[16:17], 0xc4
	s_cmp_lt_u32 s26, 2
	s_wait_kmcnt 0x0
	v_mul_hi_u32 v0, s1, v8
	s_delay_alu instid0(VALU_DEP_1) | instskip(NEXT) | instid1(VALU_DEP_1)
	v_add_nc_u32_e32 v0, v8, v0
	v_lshrrev_b32_e32 v9, s2, v0
	s_delay_alu instid0(VALU_DEP_1) | instskip(NEXT) | instid1(VALU_DEP_1)
	v_mul_lo_u32 v0, v9, s0
	v_sub_nc_u32_e32 v8, v8, v0
	s_delay_alu instid0(VALU_DEP_1)
	v_mul_lo_u32 v0, v8, s4
	v_mul_lo_u32 v10, v8, s6
	;; [unrolled: 1-line block ×3, first 2 shown]
	s_cbranch_scc1 .LBB249_457
; %bb.455:
	s_clause 0x1
	s_load_b96 s[0:2], s[16:17], 0x10
	s_load_b96 s[4:6], s[16:17], 0xd0
	s_wait_kmcnt 0x0
	v_mul_hi_u32 v8, s1, v9
	s_delay_alu instid0(VALU_DEP_1) | instskip(NEXT) | instid1(VALU_DEP_1)
	v_add_nc_u32_e32 v8, v9, v8
	v_lshrrev_b32_e32 v8, s2, v8
	s_delay_alu instid0(VALU_DEP_1) | instskip(NEXT) | instid1(VALU_DEP_1)
	v_mul_lo_u32 v8, v8, s0
	v_sub_nc_u32_e32 v8, v9, v8
	s_delay_alu instid0(VALU_DEP_1)
	v_mad_u32 v0, v8, s4, v0
	v_mad_u32 v11, v8, s5, v11
	;; [unrolled: 1-line block ×3, first 2 shown]
	s_branch .LBB249_457
.LBB249_456:
	v_dual_mov_b32 v10, 0 :: v_dual_mov_b32 v11, 0
	v_mov_b32_e32 v0, 0
	s_and_not1_b32 vcc_lo, exec_lo, s2
	s_cbranch_vccz .LBB249_454
.LBB249_457:
	v_cmp_ne_u32_e32 vcc_lo, 1, v7
	s_cbranch_vccnz .LBB249_463
; %bb.458:
	s_cmp_lg_u32 s26, 0
	s_mov_b32 s2, 0
	s_cbranch_scc0 .LBB249_467
; %bb.459:
	s_min_u32 s3, s27, 15
	v_dual_mov_b32 v7, 0 :: v_dual_mov_b32 v25, v22
	v_dual_mov_b32 v9, 0 :: v_dual_mov_b32 v8, 0
	s_add_co_i32 s4, s3, 1
	s_mov_b64 s[0:1], 0xffffffffffffffe8
	s_and_b32 s4, s4, 30
	s_add_nc_u64 s[0:1], s[16:17], s[0:1]
.LBB249_460:                            ; =>This Inner Loop Header: Depth=1
	s_clause 0x1
	s_load_b128 s[8:11], s[0:1], 0x1c
	s_load_b64 s[6:7], s[0:1], 0x2c
	s_add_co_i32 s4, s4, -2
	s_delay_alu instid0(SALU_CYCLE_1) | instskip(SKIP_2) | instid1(VALU_DEP_1)
	s_cmp_lg_u32 s4, 0
	s_wait_kmcnt 0x0
	v_mul_hi_u32 v26, s9, v25
	v_add_nc_u32_e32 v26, v25, v26
	s_delay_alu instid0(VALU_DEP_1) | instskip(NEXT) | instid1(VALU_DEP_1)
	v_lshrrev_b32_e32 v26, s10, v26
	v_mul_hi_u32 v27, s6, v26
	v_mul_lo_u32 v28, v26, s8
	s_clause 0x1
	s_load_b128 s[12:15], s[0:1], 0xdc
	s_load_b64 s[8:9], s[0:1], 0xec
	s_wait_xcnt 0x0
	s_add_nc_u64 s[0:1], s[0:1], 24
	s_delay_alu instid0(VALU_DEP_1) | instskip(NEXT) | instid1(VALU_DEP_1)
	v_dual_add_nc_u32 v27, v26, v27 :: v_dual_sub_nc_u32 v28, v25, v28
	v_lshrrev_b32_e32 v25, s7, v27
	s_wait_kmcnt 0x0
	s_delay_alu instid0(VALU_DEP_2) | instskip(NEXT) | instid1(VALU_DEP_2)
	v_mad_u32 v7, v28, s12, v7
	v_mul_lo_u32 v27, v25, s11
	v_mad_u32 v8, v28, s14, v8
	v_mad_u32 v9, v28, s13, v9
	s_delay_alu instid0(VALU_DEP_3) | instskip(NEXT) | instid1(VALU_DEP_1)
	v_sub_nc_u32_e32 v26, v26, v27
	v_mad_u32 v7, v26, s15, v7
	s_delay_alu instid0(VALU_DEP_4) | instskip(NEXT) | instid1(VALU_DEP_4)
	v_mad_u32 v8, v26, s9, v8
	v_mad_u32 v9, v26, s8, v9
	s_cbranch_scc1 .LBB249_460
; %bb.461:
	s_bitcmp1_b32 s3, 0
	s_cselect_b32 s3, -1, 0
	s_delay_alu instid0(SALU_CYCLE_1)
	s_and_b32 vcc_lo, exec_lo, s3
	s_cbranch_vccnz .LBB249_464
; %bb.462:
	s_clause 0x1
	s_load_b96 s[4:6], s[0:1], 0x1c
	s_load_b96 s[8:10], s[0:1], 0xdc
	s_wait_kmcnt 0x0
	v_mul_hi_u32 v26, s5, v25
	s_delay_alu instid0(VALU_DEP_1) | instskip(NEXT) | instid1(VALU_DEP_1)
	v_add_nc_u32_e32 v26, v25, v26
	v_lshrrev_b32_e32 v26, s6, v26
	s_delay_alu instid0(VALU_DEP_1) | instskip(NEXT) | instid1(VALU_DEP_1)
	v_mul_lo_u32 v26, v26, s4
	v_sub_nc_u32_e32 v25, v25, v26
	s_delay_alu instid0(VALU_DEP_1)
	v_mad_u32 v7, v25, s8, v7
	v_mad_u32 v9, v25, s9, v9
	;; [unrolled: 1-line block ×3, first 2 shown]
	s_and_not1_b32 vcc_lo, exec_lo, s2
	s_cbranch_vccz .LBB249_465
	s_branch .LBB249_468
.LBB249_463:
	s_mov_b32 s2, -1
                                        ; implicit-def: $vgpr8
                                        ; implicit-def: $vgpr9
                                        ; implicit-def: $vgpr7
.LBB249_464:
	s_delay_alu instid0(SALU_CYCLE_1)
	s_and_not1_b32 vcc_lo, exec_lo, s2
	s_cbranch_vccnz .LBB249_468
.LBB249_465:
	s_clause 0x1
	s_load_b96 s[0:2], s[16:17], 0x4
	s_load_b96 s[4:6], s[16:17], 0xc4
	s_cmp_lt_u32 s26, 2
	s_wait_kmcnt 0x0
	v_mul_hi_u32 v7, s1, v22
	s_delay_alu instid0(VALU_DEP_1) | instskip(NEXT) | instid1(VALU_DEP_1)
	v_add_nc_u32_e32 v7, v22, v7
	v_lshrrev_b32_e32 v25, s2, v7
	s_delay_alu instid0(VALU_DEP_1) | instskip(NEXT) | instid1(VALU_DEP_1)
	v_mul_lo_u32 v7, v25, s0
	v_sub_nc_u32_e32 v9, v22, v7
	s_delay_alu instid0(VALU_DEP_1)
	v_mul_lo_u32 v7, v9, s4
	v_mul_lo_u32 v8, v9, s6
	;; [unrolled: 1-line block ×3, first 2 shown]
	s_cbranch_scc1 .LBB249_468
; %bb.466:
	s_clause 0x1
	s_load_b96 s[0:2], s[16:17], 0x10
	s_load_b96 s[4:6], s[16:17], 0xd0
	s_wait_kmcnt 0x0
	v_mul_hi_u32 v22, s1, v25
	s_delay_alu instid0(VALU_DEP_1) | instskip(NEXT) | instid1(VALU_DEP_1)
	v_add_nc_u32_e32 v22, v25, v22
	v_lshrrev_b32_e32 v22, s2, v22
	s_delay_alu instid0(VALU_DEP_1) | instskip(NEXT) | instid1(VALU_DEP_1)
	v_mul_lo_u32 v22, v22, s0
	v_sub_nc_u32_e32 v22, v25, v22
	s_delay_alu instid0(VALU_DEP_1)
	v_mad_u32 v7, v22, s4, v7
	v_mad_u32 v9, v22, s5, v9
	;; [unrolled: 1-line block ×3, first 2 shown]
	s_branch .LBB249_468
.LBB249_467:
	v_dual_mov_b32 v8, 0 :: v_dual_mov_b32 v9, 0
	v_mov_b32_e32 v7, 0
	s_and_not1_b32 vcc_lo, exec_lo, s2
	s_cbranch_vccz .LBB249_465
.LBB249_468:
	s_clause 0x1
	s_load_b128 s[0:3], s[16:17], 0x188
	s_load_b96 s[4:6], s[16:17], 0x198
	s_wait_kmcnt 0x0
	global_load_u8 v25, v24, s[2:3]
	global_load_u8 v22, v23, s[4:5]
	s_cmp_lg_u32 s6, 0
	s_mov_b32 s6, 0
	s_cselect_b32 s7, -1, 0
	s_delay_alu instid0(SALU_CYCLE_1)
	s_and_b32 vcc_lo, exec_lo, s7
	s_wait_loadcnt 0x1
	s_wait_xcnt 0x0
	v_and_b32_e32 v23, 0xff, v25
	s_cbranch_vccz .LBB249_478
; %bb.469:
	s_mov_b32 s8, exec_lo
	s_delay_alu instid0(VALU_DEP_1)
	v_cmpx_lt_i16_e32 0x7f, v23
	s_xor_b32 s8, exec_lo, s8
	s_cbranch_execnz .LBB249_629
; %bb.470:
	s_or_saveexec_b32 s8, s8
	v_mov_b32_e32 v24, 0x7f800001
	s_xor_b32 exec_lo, exec_lo, s8
	s_cbranch_execnz .LBB249_632
.LBB249_471:
	s_or_b32 exec_lo, exec_lo, s8
	s_and_saveexec_b32 s8, s6
	s_cbranch_execz .LBB249_473
.LBB249_472:
	v_and_b32_e32 v24, 3, v25
	v_lshrrev_b16 v27, 2, v25
	v_lshlrev_b32_e32 v29, 24, v25
	s_delay_alu instid0(VALU_DEP_3) | instskip(NEXT) | instid1(VALU_DEP_1)
	v_clz_i32_u32_e32 v26, v24
	v_min_u32_e32 v26, 32, v26
	s_delay_alu instid0(VALU_DEP_4) | instskip(NEXT) | instid1(VALU_DEP_2)
	v_and_b32_e32 v27, 31, v27
	v_subrev_nc_u32_e32 v28, 29, v26
	v_sub_nc_u32_e32 v26, 30, v26
	s_delay_alu instid0(VALU_DEP_3) | instskip(NEXT) | instid1(VALU_DEP_3)
	v_cmp_eq_u32_e32 vcc_lo, 0, v27
	v_lshlrev_b32_e32 v28, v28, v25
	s_delay_alu instid0(VALU_DEP_1) | instskip(SKIP_1) | instid1(VALU_DEP_2)
	v_dual_cndmask_b32 v26, v27, v26, vcc_lo :: v_dual_bitop2_b32 v28, 3, v28 bitop3:0x40
	v_and_b32_e32 v27, 0x80000000, v29
	v_cndmask_b32_e32 v24, v24, v28, vcc_lo
	s_delay_alu instid0(VALU_DEP_3) | instskip(NEXT) | instid1(VALU_DEP_2)
	v_lshl_add_u32 v26, v26, 23, 0x37800000
	v_lshlrev_b32_e32 v24, 21, v24
	s_delay_alu instid0(VALU_DEP_1)
	v_or3_b32 v24, v27, v26, v24
.LBB249_473:
	s_or_b32 exec_lo, exec_lo, s8
	s_wait_loadcnt 0x0
	v_and_b32_e32 v27, 0xff, v22
	s_mov_b32 s6, 0
	s_mov_b32 s8, exec_lo
	s_delay_alu instid0(VALU_DEP_1)
	v_cmpx_lt_i16_e32 0x7f, v27
	s_xor_b32 s8, exec_lo, s8
	s_cbranch_execnz .LBB249_633
; %bb.474:
	s_or_saveexec_b32 s8, s8
	v_mov_b32_e32 v26, 0x7f800001
	s_xor_b32 exec_lo, exec_lo, s8
	s_cbranch_execnz .LBB249_636
.LBB249_475:
	s_or_b32 exec_lo, exec_lo, s8
	s_and_saveexec_b32 s8, s6
	s_cbranch_execz .LBB249_477
.LBB249_476:
	v_and_b32_e32 v26, 3, v22
	v_lshrrev_b16 v28, 2, v22
	v_lshlrev_b32_e32 v30, 24, v22
	s_delay_alu instid0(VALU_DEP_3) | instskip(NEXT) | instid1(VALU_DEP_1)
	v_clz_i32_u32_e32 v27, v26
	v_min_u32_e32 v27, 32, v27
	s_delay_alu instid0(VALU_DEP_4) | instskip(NEXT) | instid1(VALU_DEP_2)
	v_and_b32_e32 v28, 31, v28
	v_subrev_nc_u32_e32 v29, 29, v27
	v_sub_nc_u32_e32 v27, 30, v27
	s_delay_alu instid0(VALU_DEP_3) | instskip(NEXT) | instid1(VALU_DEP_3)
	v_cmp_eq_u32_e32 vcc_lo, 0, v28
	v_lshlrev_b32_e32 v29, v29, v22
	s_delay_alu instid0(VALU_DEP_1) | instskip(SKIP_1) | instid1(VALU_DEP_2)
	v_dual_cndmask_b32 v27, v28, v27, vcc_lo :: v_dual_bitop2_b32 v29, 3, v29 bitop3:0x40
	v_and_b32_e32 v28, 0x80000000, v30
	v_cndmask_b32_e32 v26, v26, v29, vcc_lo
	s_delay_alu instid0(VALU_DEP_3) | instskip(NEXT) | instid1(VALU_DEP_2)
	v_lshl_add_u32 v27, v27, 23, 0x37800000
	v_lshlrev_b32_e32 v26, 21, v26
	s_delay_alu instid0(VALU_DEP_1)
	v_or3_b32 v26, v28, v27, v26
.LBB249_477:
	s_or_b32 exec_lo, exec_lo, s8
	s_delay_alu instid0(VALU_DEP_1)
	v_cmp_neq_f32_e64 s6, v24, v26
	s_branch .LBB249_488
.LBB249_478:
                                        ; implicit-def: $sgpr6
	s_cbranch_execz .LBB249_488
; %bb.479:
	s_mov_b32 s6, 0
	s_mov_b32 s8, exec_lo
	v_cmpx_lt_i16_e32 0x7f, v23
	s_xor_b32 s8, exec_lo, s8
	s_cbranch_execnz .LBB249_693
; %bb.480:
	s_or_saveexec_b32 s8, s8
	v_mov_b32_e32 v24, 0x7f800001
	s_xor_b32 exec_lo, exec_lo, s8
	s_cbranch_execnz .LBB249_696
.LBB249_481:
	s_or_b32 exec_lo, exec_lo, s8
	s_and_saveexec_b32 s8, s6
	s_cbranch_execz .LBB249_483
.LBB249_482:
	v_and_b32_e32 v23, 3, v25
	v_lshrrev_b16 v26, 2, v25
	s_delay_alu instid0(VALU_DEP_2) | instskip(NEXT) | instid1(VALU_DEP_1)
	v_clz_i32_u32_e32 v24, v23
	v_min_u32_e32 v24, 32, v24
	s_delay_alu instid0(VALU_DEP_3) | instskip(NEXT) | instid1(VALU_DEP_2)
	v_and_b32_e32 v26, 31, v26
	v_subrev_nc_u32_e32 v27, 29, v24
	v_sub_nc_u32_e32 v24, 30, v24
	s_delay_alu instid0(VALU_DEP_3) | instskip(NEXT) | instid1(VALU_DEP_3)
	v_cmp_eq_u32_e32 vcc_lo, 0, v26
	v_dual_lshlrev_b32 v27, v27, v25 :: v_dual_lshlrev_b32 v25, 24, v25
	s_delay_alu instid0(VALU_DEP_1) | instskip(NEXT) | instid1(VALU_DEP_2)
	v_dual_cndmask_b32 v24, v26, v24, vcc_lo :: v_dual_bitop2_b32 v27, 3, v27 bitop3:0x40
	v_and_b32_e32 v25, 0x80000000, v25
	s_delay_alu instid0(VALU_DEP_2) | instskip(NEXT) | instid1(VALU_DEP_3)
	v_cndmask_b32_e32 v23, v23, v27, vcc_lo
	v_lshl_add_u32 v24, v24, 23, 0x37800000
	s_delay_alu instid0(VALU_DEP_2) | instskip(NEXT) | instid1(VALU_DEP_1)
	v_lshlrev_b32_e32 v23, 21, v23
	v_or3_b32 v24, v25, v24, v23
.LBB249_483:
	s_or_b32 exec_lo, exec_lo, s8
	s_wait_loadcnt 0x0
	v_and_b32_e32 v25, 0xff, v22
	s_mov_b32 s6, 0
	s_mov_b32 s8, exec_lo
	s_delay_alu instid0(VALU_DEP_1)
	v_cmpx_lt_i16_e32 0x7f, v25
	s_xor_b32 s8, exec_lo, s8
	s_cbranch_execnz .LBB249_697
; %bb.484:
	s_or_saveexec_b32 s8, s8
	v_mov_b32_e32 v23, 0x7f800001
	s_xor_b32 exec_lo, exec_lo, s8
	s_cbranch_execnz .LBB249_700
.LBB249_485:
	s_or_b32 exec_lo, exec_lo, s8
	s_and_saveexec_b32 s8, s6
	s_cbranch_execz .LBB249_487
.LBB249_486:
	v_and_b32_e32 v23, 3, v22
	v_lshrrev_b16 v26, 2, v22
	s_delay_alu instid0(VALU_DEP_2) | instskip(NEXT) | instid1(VALU_DEP_1)
	v_clz_i32_u32_e32 v25, v23
	v_min_u32_e32 v25, 32, v25
	s_delay_alu instid0(VALU_DEP_3) | instskip(NEXT) | instid1(VALU_DEP_2)
	v_and_b32_e32 v26, 31, v26
	v_subrev_nc_u32_e32 v27, 29, v25
	v_sub_nc_u32_e32 v25, 30, v25
	s_delay_alu instid0(VALU_DEP_3) | instskip(NEXT) | instid1(VALU_DEP_3)
	v_cmp_eq_u32_e32 vcc_lo, 0, v26
	v_dual_lshlrev_b32 v27, v27, v22 :: v_dual_lshlrev_b32 v22, 24, v22
	s_delay_alu instid0(VALU_DEP_1) | instskip(NEXT) | instid1(VALU_DEP_2)
	v_dual_cndmask_b32 v25, v26, v25, vcc_lo :: v_dual_bitop2_b32 v27, 3, v27 bitop3:0x40
	v_and_b32_e32 v22, 0x80000000, v22
	s_delay_alu instid0(VALU_DEP_2) | instskip(NEXT) | instid1(VALU_DEP_3)
	v_cndmask_b32_e32 v23, v23, v27, vcc_lo
	v_lshl_add_u32 v25, v25, 23, 0x37800000
	s_delay_alu instid0(VALU_DEP_2) | instskip(NEXT) | instid1(VALU_DEP_1)
	v_lshlrev_b32_e32 v23, 21, v23
	v_or3_b32 v23, v22, v25, v23
.LBB249_487:
	s_or_b32 exec_lo, exec_lo, s8
	s_delay_alu instid0(VALU_DEP_1)
	v_cmp_eq_f32_e64 s6, v24, v23
.LBB249_488:
	global_load_u8 v23, v21, s[2:3]
	s_wait_loadcnt 0x1
	global_load_u8 v22, v20, s[4:5]
	s_and_b32 vcc_lo, exec_lo, s7
	s_wait_loadcnt 0x1
	s_wait_xcnt 0x0
	v_and_b32_e32 v20, 0xff, v23
	s_cbranch_vccz .LBB249_498
; %bb.489:
	s_mov_b32 s8, 0
	s_mov_b32 s9, exec_lo
	s_delay_alu instid0(VALU_DEP_1)
	v_cmpx_lt_i16_e32 0x7f, v20
	s_xor_b32 s9, exec_lo, s9
	s_cbranch_execnz .LBB249_637
; %bb.490:
	s_or_saveexec_b32 s9, s9
	v_mov_b32_e32 v21, 0x7f800001
	s_xor_b32 exec_lo, exec_lo, s9
	s_cbranch_execnz .LBB249_640
.LBB249_491:
	s_or_b32 exec_lo, exec_lo, s9
	s_and_saveexec_b32 s9, s8
	s_cbranch_execz .LBB249_493
.LBB249_492:
	v_and_b32_e32 v21, 3, v23
	v_lshrrev_b16 v25, 2, v23
	v_lshlrev_b32_e32 v27, 24, v23
	s_delay_alu instid0(VALU_DEP_3) | instskip(NEXT) | instid1(VALU_DEP_1)
	v_clz_i32_u32_e32 v24, v21
	v_min_u32_e32 v24, 32, v24
	s_delay_alu instid0(VALU_DEP_4) | instskip(NEXT) | instid1(VALU_DEP_2)
	v_and_b32_e32 v25, 31, v25
	v_subrev_nc_u32_e32 v26, 29, v24
	v_sub_nc_u32_e32 v24, 30, v24
	s_delay_alu instid0(VALU_DEP_3) | instskip(NEXT) | instid1(VALU_DEP_3)
	v_cmp_eq_u32_e32 vcc_lo, 0, v25
	v_lshlrev_b32_e32 v26, v26, v23
	s_delay_alu instid0(VALU_DEP_1) | instskip(NEXT) | instid1(VALU_DEP_1)
	v_and_b32_e32 v26, 3, v26
	v_cndmask_b32_e32 v21, v21, v26, vcc_lo
	v_cndmask_b32_e32 v24, v25, v24, vcc_lo
	v_and_b32_e32 v25, 0x80000000, v27
	s_delay_alu instid0(VALU_DEP_3) | instskip(NEXT) | instid1(VALU_DEP_3)
	v_lshlrev_b32_e32 v21, 21, v21
	v_lshl_add_u32 v24, v24, 23, 0x37800000
	s_delay_alu instid0(VALU_DEP_1)
	v_or3_b32 v21, v25, v24, v21
.LBB249_493:
	s_or_b32 exec_lo, exec_lo, s9
	s_wait_loadcnt 0x0
	v_and_b32_e32 v25, 0xff, v22
	s_mov_b32 s8, 0
	s_mov_b32 s9, exec_lo
	s_delay_alu instid0(VALU_DEP_1)
	v_cmpx_lt_i16_e32 0x7f, v25
	s_xor_b32 s9, exec_lo, s9
	s_cbranch_execnz .LBB249_641
; %bb.494:
	s_or_saveexec_b32 s9, s9
	v_mov_b32_e32 v24, 0x7f800001
	s_xor_b32 exec_lo, exec_lo, s9
	s_cbranch_execnz .LBB249_644
.LBB249_495:
	s_or_b32 exec_lo, exec_lo, s9
	s_and_saveexec_b32 s9, s8
	s_cbranch_execz .LBB249_497
.LBB249_496:
	v_and_b32_e32 v24, 3, v22
	v_lshrrev_b16 v26, 2, v22
	v_lshlrev_b32_e32 v28, 24, v22
	s_delay_alu instid0(VALU_DEP_3) | instskip(NEXT) | instid1(VALU_DEP_1)
	v_clz_i32_u32_e32 v25, v24
	v_min_u32_e32 v25, 32, v25
	s_delay_alu instid0(VALU_DEP_4) | instskip(NEXT) | instid1(VALU_DEP_2)
	v_and_b32_e32 v26, 31, v26
	v_subrev_nc_u32_e32 v27, 29, v25
	v_sub_nc_u32_e32 v25, 30, v25
	s_delay_alu instid0(VALU_DEP_3) | instskip(NEXT) | instid1(VALU_DEP_3)
	v_cmp_eq_u32_e32 vcc_lo, 0, v26
	v_lshlrev_b32_e32 v27, v27, v22
	s_delay_alu instid0(VALU_DEP_1) | instskip(SKIP_1) | instid1(VALU_DEP_2)
	v_dual_cndmask_b32 v25, v26, v25, vcc_lo :: v_dual_bitop2_b32 v27, 3, v27 bitop3:0x40
	v_and_b32_e32 v26, 0x80000000, v28
	v_cndmask_b32_e32 v24, v24, v27, vcc_lo
	s_delay_alu instid0(VALU_DEP_3) | instskip(NEXT) | instid1(VALU_DEP_2)
	v_lshl_add_u32 v25, v25, 23, 0x37800000
	v_lshlrev_b32_e32 v24, 21, v24
	s_delay_alu instid0(VALU_DEP_1)
	v_or3_b32 v24, v26, v25, v24
.LBB249_497:
	s_or_b32 exec_lo, exec_lo, s9
	s_delay_alu instid0(VALU_DEP_1)
	v_cmp_neq_f32_e64 s8, v21, v24
	s_branch .LBB249_508
.LBB249_498:
                                        ; implicit-def: $sgpr8
	s_cbranch_execz .LBB249_508
; %bb.499:
	s_mov_b32 s8, 0
	s_mov_b32 s9, exec_lo
	v_cmpx_lt_i16_e32 0x7f, v20
	s_xor_b32 s9, exec_lo, s9
	s_cbranch_execnz .LBB249_701
; %bb.500:
	s_or_saveexec_b32 s9, s9
	v_mov_b32_e32 v21, 0x7f800001
	s_xor_b32 exec_lo, exec_lo, s9
	s_cbranch_execnz .LBB249_704
.LBB249_501:
	s_or_b32 exec_lo, exec_lo, s9
	s_and_saveexec_b32 s9, s8
	s_cbranch_execz .LBB249_503
.LBB249_502:
	v_and_b32_e32 v20, 3, v23
	v_lshrrev_b16 v24, 2, v23
	s_delay_alu instid0(VALU_DEP_2) | instskip(NEXT) | instid1(VALU_DEP_1)
	v_clz_i32_u32_e32 v21, v20
	v_min_u32_e32 v21, 32, v21
	s_delay_alu instid0(VALU_DEP_3) | instskip(NEXT) | instid1(VALU_DEP_2)
	v_and_b32_e32 v24, 31, v24
	v_subrev_nc_u32_e32 v25, 29, v21
	v_sub_nc_u32_e32 v21, 30, v21
	s_delay_alu instid0(VALU_DEP_3) | instskip(NEXT) | instid1(VALU_DEP_3)
	v_cmp_eq_u32_e32 vcc_lo, 0, v24
	v_dual_lshlrev_b32 v25, v25, v23 :: v_dual_lshlrev_b32 v23, 24, v23
	s_delay_alu instid0(VALU_DEP_1) | instskip(NEXT) | instid1(VALU_DEP_2)
	v_and_b32_e32 v25, 3, v25
	v_and_b32_e32 v23, 0x80000000, v23
	s_delay_alu instid0(VALU_DEP_2) | instskip(NEXT) | instid1(VALU_DEP_1)
	v_cndmask_b32_e32 v20, v20, v25, vcc_lo
	v_dual_cndmask_b32 v21, v24, v21 :: v_dual_lshlrev_b32 v20, 21, v20
	s_delay_alu instid0(VALU_DEP_1) | instskip(NEXT) | instid1(VALU_DEP_1)
	v_lshl_add_u32 v21, v21, 23, 0x37800000
	v_or3_b32 v21, v23, v21, v20
.LBB249_503:
	s_or_b32 exec_lo, exec_lo, s9
	s_wait_loadcnt 0x0
	v_and_b32_e32 v23, 0xff, v22
	s_mov_b32 s8, 0
	s_mov_b32 s9, exec_lo
	s_delay_alu instid0(VALU_DEP_1)
	v_cmpx_lt_i16_e32 0x7f, v23
	s_xor_b32 s9, exec_lo, s9
	s_cbranch_execnz .LBB249_705
; %bb.504:
	s_or_saveexec_b32 s9, s9
	v_mov_b32_e32 v20, 0x7f800001
	s_xor_b32 exec_lo, exec_lo, s9
	s_cbranch_execnz .LBB249_708
.LBB249_505:
	s_or_b32 exec_lo, exec_lo, s9
	s_and_saveexec_b32 s9, s8
	s_cbranch_execz .LBB249_507
.LBB249_506:
	v_and_b32_e32 v20, 3, v22
	v_lshrrev_b16 v24, 2, v22
	s_delay_alu instid0(VALU_DEP_2) | instskip(NEXT) | instid1(VALU_DEP_1)
	v_clz_i32_u32_e32 v23, v20
	v_min_u32_e32 v23, 32, v23
	s_delay_alu instid0(VALU_DEP_3) | instskip(NEXT) | instid1(VALU_DEP_2)
	v_and_b32_e32 v24, 31, v24
	v_subrev_nc_u32_e32 v25, 29, v23
	v_sub_nc_u32_e32 v23, 30, v23
	s_delay_alu instid0(VALU_DEP_3) | instskip(NEXT) | instid1(VALU_DEP_3)
	v_cmp_eq_u32_e32 vcc_lo, 0, v24
	v_dual_lshlrev_b32 v25, v25, v22 :: v_dual_lshlrev_b32 v22, 24, v22
	s_delay_alu instid0(VALU_DEP_1) | instskip(NEXT) | instid1(VALU_DEP_2)
	v_and_b32_e32 v25, 3, v25
	v_and_b32_e32 v22, 0x80000000, v22
	s_delay_alu instid0(VALU_DEP_2) | instskip(NEXT) | instid1(VALU_DEP_1)
	v_cndmask_b32_e32 v20, v20, v25, vcc_lo
	v_dual_cndmask_b32 v23, v24, v23 :: v_dual_lshlrev_b32 v20, 21, v20
	s_delay_alu instid0(VALU_DEP_1) | instskip(NEXT) | instid1(VALU_DEP_1)
	v_lshl_add_u32 v23, v23, 23, 0x37800000
	v_or3_b32 v20, v22, v23, v20
.LBB249_507:
	s_or_b32 exec_lo, exec_lo, s9
	s_delay_alu instid0(VALU_DEP_1)
	v_cmp_eq_f32_e64 s8, v21, v20
.LBB249_508:
	global_load_u8 v21, v19, s[2:3]
	global_load_u8 v20, v18, s[4:5]
	s_and_b32 vcc_lo, exec_lo, s7
	s_wait_loadcnt 0x1
	s_wait_xcnt 0x0
	v_and_b32_e32 v18, 0xff, v21
	s_cbranch_vccz .LBB249_518
; %bb.509:
	s_mov_b32 s9, 0
	s_mov_b32 s10, exec_lo
	s_delay_alu instid0(VALU_DEP_1)
	v_cmpx_lt_i16_e32 0x7f, v18
	s_xor_b32 s10, exec_lo, s10
	s_cbranch_execnz .LBB249_645
; %bb.510:
	s_or_saveexec_b32 s10, s10
	v_mov_b32_e32 v19, 0x7f800001
	s_xor_b32 exec_lo, exec_lo, s10
	s_cbranch_execnz .LBB249_648
.LBB249_511:
	s_or_b32 exec_lo, exec_lo, s10
	s_and_saveexec_b32 s10, s9
	s_cbranch_execz .LBB249_513
.LBB249_512:
	v_and_b32_e32 v19, 3, v21
	v_lshrrev_b16 v23, 2, v21
	v_lshlrev_b32_e32 v25, 24, v21
	s_delay_alu instid0(VALU_DEP_3) | instskip(NEXT) | instid1(VALU_DEP_1)
	v_clz_i32_u32_e32 v22, v19
	v_min_u32_e32 v22, 32, v22
	s_delay_alu instid0(VALU_DEP_4) | instskip(NEXT) | instid1(VALU_DEP_2)
	v_and_b32_e32 v23, 31, v23
	v_subrev_nc_u32_e32 v24, 29, v22
	v_sub_nc_u32_e32 v22, 30, v22
	s_delay_alu instid0(VALU_DEP_3) | instskip(NEXT) | instid1(VALU_DEP_3)
	v_cmp_eq_u32_e32 vcc_lo, 0, v23
	v_lshlrev_b32_e32 v24, v24, v21
	s_delay_alu instid0(VALU_DEP_1) | instskip(NEXT) | instid1(VALU_DEP_1)
	v_and_b32_e32 v24, 3, v24
	v_cndmask_b32_e32 v19, v19, v24, vcc_lo
	v_cndmask_b32_e32 v22, v23, v22, vcc_lo
	v_and_b32_e32 v23, 0x80000000, v25
	s_delay_alu instid0(VALU_DEP_3) | instskip(NEXT) | instid1(VALU_DEP_3)
	v_lshlrev_b32_e32 v19, 21, v19
	v_lshl_add_u32 v22, v22, 23, 0x37800000
	s_delay_alu instid0(VALU_DEP_1)
	v_or3_b32 v19, v23, v22, v19
.LBB249_513:
	s_or_b32 exec_lo, exec_lo, s10
	s_wait_loadcnt 0x0
	v_and_b32_e32 v23, 0xff, v20
	s_mov_b32 s9, 0
	s_mov_b32 s10, exec_lo
	s_delay_alu instid0(VALU_DEP_1)
	v_cmpx_lt_i16_e32 0x7f, v23
	s_xor_b32 s10, exec_lo, s10
	s_cbranch_execnz .LBB249_649
; %bb.514:
	s_or_saveexec_b32 s10, s10
	v_mov_b32_e32 v22, 0x7f800001
	s_xor_b32 exec_lo, exec_lo, s10
	s_cbranch_execnz .LBB249_652
.LBB249_515:
	s_or_b32 exec_lo, exec_lo, s10
	s_and_saveexec_b32 s10, s9
	s_cbranch_execz .LBB249_517
.LBB249_516:
	v_and_b32_e32 v22, 3, v20
	v_lshrrev_b16 v24, 2, v20
	v_lshlrev_b32_e32 v26, 24, v20
	s_delay_alu instid0(VALU_DEP_3) | instskip(NEXT) | instid1(VALU_DEP_1)
	v_clz_i32_u32_e32 v23, v22
	v_min_u32_e32 v23, 32, v23
	s_delay_alu instid0(VALU_DEP_4) | instskip(NEXT) | instid1(VALU_DEP_2)
	v_and_b32_e32 v24, 31, v24
	v_subrev_nc_u32_e32 v25, 29, v23
	v_sub_nc_u32_e32 v23, 30, v23
	s_delay_alu instid0(VALU_DEP_3) | instskip(NEXT) | instid1(VALU_DEP_3)
	v_cmp_eq_u32_e32 vcc_lo, 0, v24
	v_lshlrev_b32_e32 v25, v25, v20
	s_delay_alu instid0(VALU_DEP_1) | instskip(SKIP_1) | instid1(VALU_DEP_2)
	v_dual_cndmask_b32 v23, v24, v23, vcc_lo :: v_dual_bitop2_b32 v25, 3, v25 bitop3:0x40
	v_and_b32_e32 v24, 0x80000000, v26
	v_cndmask_b32_e32 v22, v22, v25, vcc_lo
	s_delay_alu instid0(VALU_DEP_3) | instskip(NEXT) | instid1(VALU_DEP_2)
	v_lshl_add_u32 v23, v23, 23, 0x37800000
	v_lshlrev_b32_e32 v22, 21, v22
	s_delay_alu instid0(VALU_DEP_1)
	v_or3_b32 v22, v24, v23, v22
.LBB249_517:
	s_or_b32 exec_lo, exec_lo, s10
	s_delay_alu instid0(VALU_DEP_1)
	v_cmp_neq_f32_e64 s9, v19, v22
	s_branch .LBB249_528
.LBB249_518:
                                        ; implicit-def: $sgpr9
	s_cbranch_execz .LBB249_528
; %bb.519:
	s_mov_b32 s9, 0
	s_mov_b32 s10, exec_lo
	v_cmpx_lt_i16_e32 0x7f, v18
	s_xor_b32 s10, exec_lo, s10
	s_cbranch_execnz .LBB249_709
; %bb.520:
	s_or_saveexec_b32 s10, s10
	v_mov_b32_e32 v19, 0x7f800001
	s_xor_b32 exec_lo, exec_lo, s10
	s_cbranch_execnz .LBB249_712
.LBB249_521:
	s_or_b32 exec_lo, exec_lo, s10
	s_and_saveexec_b32 s10, s9
	s_cbranch_execz .LBB249_523
.LBB249_522:
	v_and_b32_e32 v18, 3, v21
	v_lshrrev_b16 v22, 2, v21
	s_delay_alu instid0(VALU_DEP_2) | instskip(NEXT) | instid1(VALU_DEP_1)
	v_clz_i32_u32_e32 v19, v18
	v_min_u32_e32 v19, 32, v19
	s_delay_alu instid0(VALU_DEP_3) | instskip(NEXT) | instid1(VALU_DEP_2)
	v_and_b32_e32 v22, 31, v22
	v_subrev_nc_u32_e32 v23, 29, v19
	v_sub_nc_u32_e32 v19, 30, v19
	s_delay_alu instid0(VALU_DEP_3) | instskip(NEXT) | instid1(VALU_DEP_3)
	v_cmp_eq_u32_e32 vcc_lo, 0, v22
	v_dual_lshlrev_b32 v23, v23, v21 :: v_dual_lshlrev_b32 v21, 24, v21
	s_delay_alu instid0(VALU_DEP_1) | instskip(NEXT) | instid1(VALU_DEP_2)
	v_and_b32_e32 v23, 3, v23
	v_and_b32_e32 v21, 0x80000000, v21
	s_delay_alu instid0(VALU_DEP_2) | instskip(NEXT) | instid1(VALU_DEP_1)
	v_cndmask_b32_e32 v18, v18, v23, vcc_lo
	v_dual_cndmask_b32 v19, v22, v19 :: v_dual_lshlrev_b32 v18, 21, v18
	s_delay_alu instid0(VALU_DEP_1) | instskip(NEXT) | instid1(VALU_DEP_1)
	v_lshl_add_u32 v19, v19, 23, 0x37800000
	v_or3_b32 v19, v21, v19, v18
.LBB249_523:
	s_or_b32 exec_lo, exec_lo, s10
	s_wait_loadcnt 0x0
	v_and_b32_e32 v21, 0xff, v20
	s_mov_b32 s9, 0
	s_mov_b32 s10, exec_lo
	s_delay_alu instid0(VALU_DEP_1)
	v_cmpx_lt_i16_e32 0x7f, v21
	s_xor_b32 s10, exec_lo, s10
	s_cbranch_execnz .LBB249_713
; %bb.524:
	s_or_saveexec_b32 s10, s10
	v_mov_b32_e32 v18, 0x7f800001
	s_xor_b32 exec_lo, exec_lo, s10
	s_cbranch_execnz .LBB249_716
.LBB249_525:
	s_or_b32 exec_lo, exec_lo, s10
	s_and_saveexec_b32 s10, s9
	s_cbranch_execz .LBB249_527
.LBB249_526:
	v_and_b32_e32 v18, 3, v20
	v_lshrrev_b16 v22, 2, v20
	s_delay_alu instid0(VALU_DEP_2) | instskip(NEXT) | instid1(VALU_DEP_1)
	v_clz_i32_u32_e32 v21, v18
	v_min_u32_e32 v21, 32, v21
	s_delay_alu instid0(VALU_DEP_3) | instskip(NEXT) | instid1(VALU_DEP_2)
	v_and_b32_e32 v22, 31, v22
	v_subrev_nc_u32_e32 v23, 29, v21
	v_sub_nc_u32_e32 v21, 30, v21
	s_delay_alu instid0(VALU_DEP_3) | instskip(NEXT) | instid1(VALU_DEP_3)
	v_cmp_eq_u32_e32 vcc_lo, 0, v22
	v_dual_lshlrev_b32 v23, v23, v20 :: v_dual_lshlrev_b32 v20, 24, v20
	s_delay_alu instid0(VALU_DEP_1) | instskip(NEXT) | instid1(VALU_DEP_2)
	v_and_b32_e32 v23, 3, v23
	v_and_b32_e32 v20, 0x80000000, v20
	s_delay_alu instid0(VALU_DEP_2) | instskip(NEXT) | instid1(VALU_DEP_1)
	v_cndmask_b32_e32 v18, v18, v23, vcc_lo
	v_dual_cndmask_b32 v21, v22, v21 :: v_dual_lshlrev_b32 v18, 21, v18
	s_delay_alu instid0(VALU_DEP_1) | instskip(NEXT) | instid1(VALU_DEP_1)
	v_lshl_add_u32 v21, v21, 23, 0x37800000
	v_or3_b32 v18, v20, v21, v18
.LBB249_527:
	s_or_b32 exec_lo, exec_lo, s10
	s_delay_alu instid0(VALU_DEP_1)
	v_cmp_eq_f32_e64 s9, v19, v18
.LBB249_528:
	global_load_u8 v19, v17, s[2:3]
	global_load_u8 v18, v16, s[4:5]
	s_and_b32 vcc_lo, exec_lo, s7
	s_wait_loadcnt 0x1
	s_wait_xcnt 0x0
	v_and_b32_e32 v16, 0xff, v19
	s_cbranch_vccz .LBB249_538
; %bb.529:
	s_mov_b32 s10, 0
	s_mov_b32 s11, exec_lo
	s_delay_alu instid0(VALU_DEP_1)
	v_cmpx_lt_i16_e32 0x7f, v16
	s_xor_b32 s11, exec_lo, s11
	s_cbranch_execnz .LBB249_653
; %bb.530:
	s_or_saveexec_b32 s11, s11
	v_mov_b32_e32 v17, 0x7f800001
	s_xor_b32 exec_lo, exec_lo, s11
	s_cbranch_execnz .LBB249_656
.LBB249_531:
	s_or_b32 exec_lo, exec_lo, s11
	s_and_saveexec_b32 s11, s10
	s_cbranch_execz .LBB249_533
.LBB249_532:
	v_and_b32_e32 v17, 3, v19
	v_lshrrev_b16 v21, 2, v19
	v_lshlrev_b32_e32 v23, 24, v19
	s_delay_alu instid0(VALU_DEP_3) | instskip(NEXT) | instid1(VALU_DEP_1)
	v_clz_i32_u32_e32 v20, v17
	v_min_u32_e32 v20, 32, v20
	s_delay_alu instid0(VALU_DEP_4) | instskip(NEXT) | instid1(VALU_DEP_2)
	v_and_b32_e32 v21, 31, v21
	v_subrev_nc_u32_e32 v22, 29, v20
	v_sub_nc_u32_e32 v20, 30, v20
	s_delay_alu instid0(VALU_DEP_3) | instskip(NEXT) | instid1(VALU_DEP_3)
	v_cmp_eq_u32_e32 vcc_lo, 0, v21
	v_lshlrev_b32_e32 v22, v22, v19
	s_delay_alu instid0(VALU_DEP_1) | instskip(NEXT) | instid1(VALU_DEP_1)
	v_and_b32_e32 v22, 3, v22
	v_cndmask_b32_e32 v17, v17, v22, vcc_lo
	v_cndmask_b32_e32 v20, v21, v20, vcc_lo
	v_and_b32_e32 v21, 0x80000000, v23
	s_delay_alu instid0(VALU_DEP_3) | instskip(NEXT) | instid1(VALU_DEP_3)
	v_lshlrev_b32_e32 v17, 21, v17
	v_lshl_add_u32 v20, v20, 23, 0x37800000
	s_delay_alu instid0(VALU_DEP_1)
	v_or3_b32 v17, v21, v20, v17
.LBB249_533:
	s_or_b32 exec_lo, exec_lo, s11
	s_wait_loadcnt 0x0
	v_and_b32_e32 v21, 0xff, v18
	s_mov_b32 s10, 0
	s_mov_b32 s11, exec_lo
	s_delay_alu instid0(VALU_DEP_1)
	v_cmpx_lt_i16_e32 0x7f, v21
	s_xor_b32 s11, exec_lo, s11
	s_cbranch_execnz .LBB249_657
; %bb.534:
	s_or_saveexec_b32 s11, s11
	v_mov_b32_e32 v20, 0x7f800001
	s_xor_b32 exec_lo, exec_lo, s11
	s_cbranch_execnz .LBB249_660
.LBB249_535:
	s_or_b32 exec_lo, exec_lo, s11
	s_and_saveexec_b32 s11, s10
	s_cbranch_execz .LBB249_537
.LBB249_536:
	v_and_b32_e32 v20, 3, v18
	v_lshrrev_b16 v22, 2, v18
	v_lshlrev_b32_e32 v24, 24, v18
	s_delay_alu instid0(VALU_DEP_3) | instskip(NEXT) | instid1(VALU_DEP_1)
	v_clz_i32_u32_e32 v21, v20
	v_min_u32_e32 v21, 32, v21
	s_delay_alu instid0(VALU_DEP_4) | instskip(NEXT) | instid1(VALU_DEP_2)
	v_and_b32_e32 v22, 31, v22
	v_subrev_nc_u32_e32 v23, 29, v21
	v_sub_nc_u32_e32 v21, 30, v21
	s_delay_alu instid0(VALU_DEP_3) | instskip(NEXT) | instid1(VALU_DEP_3)
	v_cmp_eq_u32_e32 vcc_lo, 0, v22
	v_lshlrev_b32_e32 v23, v23, v18
	s_delay_alu instid0(VALU_DEP_1) | instskip(SKIP_1) | instid1(VALU_DEP_2)
	v_dual_cndmask_b32 v21, v22, v21, vcc_lo :: v_dual_bitop2_b32 v23, 3, v23 bitop3:0x40
	v_and_b32_e32 v22, 0x80000000, v24
	v_cndmask_b32_e32 v20, v20, v23, vcc_lo
	s_delay_alu instid0(VALU_DEP_3) | instskip(NEXT) | instid1(VALU_DEP_2)
	v_lshl_add_u32 v21, v21, 23, 0x37800000
	v_lshlrev_b32_e32 v20, 21, v20
	s_delay_alu instid0(VALU_DEP_1)
	v_or3_b32 v20, v22, v21, v20
.LBB249_537:
	s_or_b32 exec_lo, exec_lo, s11
	s_delay_alu instid0(VALU_DEP_1)
	v_cmp_neq_f32_e64 s10, v17, v20
	s_branch .LBB249_548
.LBB249_538:
                                        ; implicit-def: $sgpr10
	s_cbranch_execz .LBB249_548
; %bb.539:
	s_mov_b32 s10, 0
	s_mov_b32 s11, exec_lo
	v_cmpx_lt_i16_e32 0x7f, v16
	s_xor_b32 s11, exec_lo, s11
	s_cbranch_execnz .LBB249_717
; %bb.540:
	s_or_saveexec_b32 s11, s11
	v_mov_b32_e32 v17, 0x7f800001
	s_xor_b32 exec_lo, exec_lo, s11
	s_cbranch_execnz .LBB249_720
.LBB249_541:
	s_or_b32 exec_lo, exec_lo, s11
	s_and_saveexec_b32 s11, s10
	s_cbranch_execz .LBB249_543
.LBB249_542:
	v_and_b32_e32 v16, 3, v19
	v_lshrrev_b16 v20, 2, v19
	s_delay_alu instid0(VALU_DEP_2) | instskip(NEXT) | instid1(VALU_DEP_1)
	v_clz_i32_u32_e32 v17, v16
	v_min_u32_e32 v17, 32, v17
	s_delay_alu instid0(VALU_DEP_3) | instskip(NEXT) | instid1(VALU_DEP_2)
	v_and_b32_e32 v20, 31, v20
	v_subrev_nc_u32_e32 v21, 29, v17
	v_sub_nc_u32_e32 v17, 30, v17
	s_delay_alu instid0(VALU_DEP_3) | instskip(NEXT) | instid1(VALU_DEP_3)
	v_cmp_eq_u32_e32 vcc_lo, 0, v20
	v_dual_lshlrev_b32 v21, v21, v19 :: v_dual_lshlrev_b32 v19, 24, v19
	s_delay_alu instid0(VALU_DEP_1) | instskip(NEXT) | instid1(VALU_DEP_2)
	v_and_b32_e32 v21, 3, v21
	v_and_b32_e32 v19, 0x80000000, v19
	s_delay_alu instid0(VALU_DEP_2) | instskip(NEXT) | instid1(VALU_DEP_1)
	v_cndmask_b32_e32 v16, v16, v21, vcc_lo
	v_dual_cndmask_b32 v17, v20, v17 :: v_dual_lshlrev_b32 v16, 21, v16
	s_delay_alu instid0(VALU_DEP_1) | instskip(NEXT) | instid1(VALU_DEP_1)
	v_lshl_add_u32 v17, v17, 23, 0x37800000
	v_or3_b32 v17, v19, v17, v16
.LBB249_543:
	s_or_b32 exec_lo, exec_lo, s11
	s_wait_loadcnt 0x0
	v_and_b32_e32 v19, 0xff, v18
	s_mov_b32 s10, 0
	s_mov_b32 s11, exec_lo
	s_delay_alu instid0(VALU_DEP_1)
	v_cmpx_lt_i16_e32 0x7f, v19
	s_xor_b32 s11, exec_lo, s11
	s_cbranch_execnz .LBB249_721
; %bb.544:
	s_or_saveexec_b32 s11, s11
	v_mov_b32_e32 v16, 0x7f800001
	s_xor_b32 exec_lo, exec_lo, s11
	s_cbranch_execnz .LBB249_724
.LBB249_545:
	s_or_b32 exec_lo, exec_lo, s11
	s_and_saveexec_b32 s11, s10
	s_cbranch_execz .LBB249_547
.LBB249_546:
	v_and_b32_e32 v16, 3, v18
	v_lshrrev_b16 v20, 2, v18
	s_delay_alu instid0(VALU_DEP_2) | instskip(NEXT) | instid1(VALU_DEP_1)
	v_clz_i32_u32_e32 v19, v16
	v_min_u32_e32 v19, 32, v19
	s_delay_alu instid0(VALU_DEP_3) | instskip(NEXT) | instid1(VALU_DEP_2)
	v_and_b32_e32 v20, 31, v20
	v_subrev_nc_u32_e32 v21, 29, v19
	v_sub_nc_u32_e32 v19, 30, v19
	s_delay_alu instid0(VALU_DEP_3) | instskip(NEXT) | instid1(VALU_DEP_3)
	v_cmp_eq_u32_e32 vcc_lo, 0, v20
	v_dual_lshlrev_b32 v21, v21, v18 :: v_dual_lshlrev_b32 v18, 24, v18
	s_delay_alu instid0(VALU_DEP_1) | instskip(NEXT) | instid1(VALU_DEP_2)
	v_and_b32_e32 v21, 3, v21
	v_and_b32_e32 v18, 0x80000000, v18
	s_delay_alu instid0(VALU_DEP_2) | instskip(NEXT) | instid1(VALU_DEP_1)
	v_cndmask_b32_e32 v16, v16, v21, vcc_lo
	v_dual_cndmask_b32 v19, v20, v19 :: v_dual_lshlrev_b32 v16, 21, v16
	s_delay_alu instid0(VALU_DEP_1) | instskip(NEXT) | instid1(VALU_DEP_1)
	v_lshl_add_u32 v19, v19, 23, 0x37800000
	v_or3_b32 v16, v18, v19, v16
.LBB249_547:
	s_or_b32 exec_lo, exec_lo, s11
	s_delay_alu instid0(VALU_DEP_1)
	v_cmp_eq_f32_e64 s10, v17, v16
.LBB249_548:
	global_load_u8 v17, v15, s[2:3]
	global_load_u8 v16, v14, s[4:5]
	s_and_b32 vcc_lo, exec_lo, s7
	s_wait_loadcnt 0x1
	s_wait_xcnt 0x0
	v_and_b32_e32 v14, 0xff, v17
	s_cbranch_vccz .LBB249_558
; %bb.549:
	s_mov_b32 s11, 0
	s_mov_b32 s12, exec_lo
	s_delay_alu instid0(VALU_DEP_1)
	v_cmpx_lt_i16_e32 0x7f, v14
	s_xor_b32 s12, exec_lo, s12
	s_cbranch_execnz .LBB249_661
; %bb.550:
	s_or_saveexec_b32 s12, s12
	v_mov_b32_e32 v15, 0x7f800001
	s_xor_b32 exec_lo, exec_lo, s12
	s_cbranch_execnz .LBB249_664
.LBB249_551:
	s_or_b32 exec_lo, exec_lo, s12
	s_and_saveexec_b32 s12, s11
	s_cbranch_execz .LBB249_553
.LBB249_552:
	v_and_b32_e32 v15, 3, v17
	v_lshrrev_b16 v19, 2, v17
	v_lshlrev_b32_e32 v21, 24, v17
	s_delay_alu instid0(VALU_DEP_3) | instskip(NEXT) | instid1(VALU_DEP_1)
	v_clz_i32_u32_e32 v18, v15
	v_min_u32_e32 v18, 32, v18
	s_delay_alu instid0(VALU_DEP_4) | instskip(NEXT) | instid1(VALU_DEP_2)
	v_and_b32_e32 v19, 31, v19
	v_subrev_nc_u32_e32 v20, 29, v18
	v_sub_nc_u32_e32 v18, 30, v18
	s_delay_alu instid0(VALU_DEP_3) | instskip(NEXT) | instid1(VALU_DEP_3)
	v_cmp_eq_u32_e32 vcc_lo, 0, v19
	v_lshlrev_b32_e32 v20, v20, v17
	s_delay_alu instid0(VALU_DEP_1) | instskip(NEXT) | instid1(VALU_DEP_1)
	v_and_b32_e32 v20, 3, v20
	v_cndmask_b32_e32 v15, v15, v20, vcc_lo
	v_cndmask_b32_e32 v18, v19, v18, vcc_lo
	v_and_b32_e32 v19, 0x80000000, v21
	s_delay_alu instid0(VALU_DEP_3) | instskip(NEXT) | instid1(VALU_DEP_3)
	v_lshlrev_b32_e32 v15, 21, v15
	v_lshl_add_u32 v18, v18, 23, 0x37800000
	s_delay_alu instid0(VALU_DEP_1)
	v_or3_b32 v15, v19, v18, v15
.LBB249_553:
	s_or_b32 exec_lo, exec_lo, s12
	s_wait_loadcnt 0x0
	v_and_b32_e32 v19, 0xff, v16
	s_mov_b32 s11, 0
	s_mov_b32 s12, exec_lo
	s_delay_alu instid0(VALU_DEP_1)
	v_cmpx_lt_i16_e32 0x7f, v19
	s_xor_b32 s12, exec_lo, s12
	s_cbranch_execnz .LBB249_665
; %bb.554:
	s_or_saveexec_b32 s12, s12
	v_mov_b32_e32 v18, 0x7f800001
	s_xor_b32 exec_lo, exec_lo, s12
	s_cbranch_execnz .LBB249_668
.LBB249_555:
	s_or_b32 exec_lo, exec_lo, s12
	s_and_saveexec_b32 s12, s11
	s_cbranch_execz .LBB249_557
.LBB249_556:
	v_and_b32_e32 v18, 3, v16
	v_lshrrev_b16 v20, 2, v16
	v_lshlrev_b32_e32 v22, 24, v16
	s_delay_alu instid0(VALU_DEP_3) | instskip(NEXT) | instid1(VALU_DEP_1)
	v_clz_i32_u32_e32 v19, v18
	v_min_u32_e32 v19, 32, v19
	s_delay_alu instid0(VALU_DEP_4) | instskip(NEXT) | instid1(VALU_DEP_2)
	v_and_b32_e32 v20, 31, v20
	v_subrev_nc_u32_e32 v21, 29, v19
	v_sub_nc_u32_e32 v19, 30, v19
	s_delay_alu instid0(VALU_DEP_3) | instskip(NEXT) | instid1(VALU_DEP_3)
	v_cmp_eq_u32_e32 vcc_lo, 0, v20
	v_lshlrev_b32_e32 v21, v21, v16
	s_delay_alu instid0(VALU_DEP_1) | instskip(SKIP_1) | instid1(VALU_DEP_2)
	v_dual_cndmask_b32 v19, v20, v19, vcc_lo :: v_dual_bitop2_b32 v21, 3, v21 bitop3:0x40
	v_and_b32_e32 v20, 0x80000000, v22
	v_cndmask_b32_e32 v18, v18, v21, vcc_lo
	s_delay_alu instid0(VALU_DEP_3) | instskip(NEXT) | instid1(VALU_DEP_2)
	v_lshl_add_u32 v19, v19, 23, 0x37800000
	v_lshlrev_b32_e32 v18, 21, v18
	s_delay_alu instid0(VALU_DEP_1)
	v_or3_b32 v18, v20, v19, v18
.LBB249_557:
	s_or_b32 exec_lo, exec_lo, s12
	s_delay_alu instid0(VALU_DEP_1)
	v_cmp_neq_f32_e64 s11, v15, v18
	s_branch .LBB249_568
.LBB249_558:
                                        ; implicit-def: $sgpr11
	s_cbranch_execz .LBB249_568
; %bb.559:
	s_mov_b32 s11, 0
	s_mov_b32 s12, exec_lo
	v_cmpx_lt_i16_e32 0x7f, v14
	s_xor_b32 s12, exec_lo, s12
	s_cbranch_execnz .LBB249_725
; %bb.560:
	s_or_saveexec_b32 s12, s12
	v_mov_b32_e32 v15, 0x7f800001
	s_xor_b32 exec_lo, exec_lo, s12
	s_cbranch_execnz .LBB249_728
.LBB249_561:
	s_or_b32 exec_lo, exec_lo, s12
	s_and_saveexec_b32 s12, s11
	s_cbranch_execz .LBB249_563
.LBB249_562:
	v_and_b32_e32 v14, 3, v17
	v_lshrrev_b16 v18, 2, v17
	s_delay_alu instid0(VALU_DEP_2) | instskip(NEXT) | instid1(VALU_DEP_1)
	v_clz_i32_u32_e32 v15, v14
	v_min_u32_e32 v15, 32, v15
	s_delay_alu instid0(VALU_DEP_3) | instskip(NEXT) | instid1(VALU_DEP_2)
	v_and_b32_e32 v18, 31, v18
	v_subrev_nc_u32_e32 v19, 29, v15
	v_sub_nc_u32_e32 v15, 30, v15
	s_delay_alu instid0(VALU_DEP_3) | instskip(NEXT) | instid1(VALU_DEP_3)
	v_cmp_eq_u32_e32 vcc_lo, 0, v18
	v_dual_lshlrev_b32 v19, v19, v17 :: v_dual_lshlrev_b32 v17, 24, v17
	s_delay_alu instid0(VALU_DEP_1) | instskip(NEXT) | instid1(VALU_DEP_2)
	v_and_b32_e32 v19, 3, v19
	v_and_b32_e32 v17, 0x80000000, v17
	s_delay_alu instid0(VALU_DEP_2) | instskip(NEXT) | instid1(VALU_DEP_1)
	v_cndmask_b32_e32 v14, v14, v19, vcc_lo
	v_dual_cndmask_b32 v15, v18, v15 :: v_dual_lshlrev_b32 v14, 21, v14
	s_delay_alu instid0(VALU_DEP_1) | instskip(NEXT) | instid1(VALU_DEP_1)
	v_lshl_add_u32 v15, v15, 23, 0x37800000
	v_or3_b32 v15, v17, v15, v14
.LBB249_563:
	s_or_b32 exec_lo, exec_lo, s12
	s_wait_loadcnt 0x0
	v_and_b32_e32 v17, 0xff, v16
	s_mov_b32 s11, 0
	s_mov_b32 s12, exec_lo
	s_delay_alu instid0(VALU_DEP_1)
	v_cmpx_lt_i16_e32 0x7f, v17
	s_xor_b32 s12, exec_lo, s12
	s_cbranch_execnz .LBB249_729
; %bb.564:
	s_or_saveexec_b32 s12, s12
	v_mov_b32_e32 v14, 0x7f800001
	s_xor_b32 exec_lo, exec_lo, s12
	s_cbranch_execnz .LBB249_732
.LBB249_565:
	s_or_b32 exec_lo, exec_lo, s12
	s_and_saveexec_b32 s12, s11
	s_cbranch_execz .LBB249_567
.LBB249_566:
	v_and_b32_e32 v14, 3, v16
	v_lshrrev_b16 v18, 2, v16
	s_delay_alu instid0(VALU_DEP_2) | instskip(NEXT) | instid1(VALU_DEP_1)
	v_clz_i32_u32_e32 v17, v14
	v_min_u32_e32 v17, 32, v17
	s_delay_alu instid0(VALU_DEP_3) | instskip(NEXT) | instid1(VALU_DEP_2)
	v_and_b32_e32 v18, 31, v18
	v_subrev_nc_u32_e32 v19, 29, v17
	v_sub_nc_u32_e32 v17, 30, v17
	s_delay_alu instid0(VALU_DEP_3) | instskip(NEXT) | instid1(VALU_DEP_3)
	v_cmp_eq_u32_e32 vcc_lo, 0, v18
	v_dual_lshlrev_b32 v19, v19, v16 :: v_dual_lshlrev_b32 v16, 24, v16
	s_delay_alu instid0(VALU_DEP_1) | instskip(NEXT) | instid1(VALU_DEP_2)
	v_and_b32_e32 v19, 3, v19
	v_and_b32_e32 v16, 0x80000000, v16
	s_delay_alu instid0(VALU_DEP_2) | instskip(NEXT) | instid1(VALU_DEP_1)
	v_cndmask_b32_e32 v14, v14, v19, vcc_lo
	v_dual_cndmask_b32 v17, v18, v17 :: v_dual_lshlrev_b32 v14, 21, v14
	s_delay_alu instid0(VALU_DEP_1) | instskip(NEXT) | instid1(VALU_DEP_1)
	v_lshl_add_u32 v17, v17, 23, 0x37800000
	v_or3_b32 v14, v16, v17, v14
.LBB249_567:
	s_or_b32 exec_lo, exec_lo, s12
	s_delay_alu instid0(VALU_DEP_1)
	v_cmp_eq_f32_e64 s11, v15, v14
.LBB249_568:
	global_load_u8 v15, v13, s[2:3]
	global_load_u8 v14, v12, s[4:5]
	s_and_b32 vcc_lo, exec_lo, s7
	s_wait_loadcnt 0x1
	s_wait_xcnt 0x0
	v_and_b32_e32 v12, 0xff, v15
	s_cbranch_vccz .LBB249_578
; %bb.569:
	s_mov_b32 s12, 0
	s_mov_b32 s13, exec_lo
	s_delay_alu instid0(VALU_DEP_1)
	v_cmpx_lt_i16_e32 0x7f, v12
	s_xor_b32 s13, exec_lo, s13
	s_cbranch_execnz .LBB249_669
; %bb.570:
	s_or_saveexec_b32 s13, s13
	v_mov_b32_e32 v13, 0x7f800001
	s_xor_b32 exec_lo, exec_lo, s13
	s_cbranch_execnz .LBB249_672
.LBB249_571:
	s_or_b32 exec_lo, exec_lo, s13
	s_and_saveexec_b32 s13, s12
	s_cbranch_execz .LBB249_573
.LBB249_572:
	v_and_b32_e32 v13, 3, v15
	v_lshrrev_b16 v17, 2, v15
	v_lshlrev_b32_e32 v19, 24, v15
	s_delay_alu instid0(VALU_DEP_3) | instskip(NEXT) | instid1(VALU_DEP_1)
	v_clz_i32_u32_e32 v16, v13
	v_min_u32_e32 v16, 32, v16
	s_delay_alu instid0(VALU_DEP_4) | instskip(NEXT) | instid1(VALU_DEP_2)
	v_and_b32_e32 v17, 31, v17
	v_subrev_nc_u32_e32 v18, 29, v16
	v_sub_nc_u32_e32 v16, 30, v16
	s_delay_alu instid0(VALU_DEP_3) | instskip(NEXT) | instid1(VALU_DEP_3)
	v_cmp_eq_u32_e32 vcc_lo, 0, v17
	v_lshlrev_b32_e32 v18, v18, v15
	s_delay_alu instid0(VALU_DEP_1) | instskip(NEXT) | instid1(VALU_DEP_1)
	v_and_b32_e32 v18, 3, v18
	v_cndmask_b32_e32 v13, v13, v18, vcc_lo
	v_cndmask_b32_e32 v16, v17, v16, vcc_lo
	v_and_b32_e32 v17, 0x80000000, v19
	s_delay_alu instid0(VALU_DEP_3) | instskip(NEXT) | instid1(VALU_DEP_3)
	v_lshlrev_b32_e32 v13, 21, v13
	v_lshl_add_u32 v16, v16, 23, 0x37800000
	s_delay_alu instid0(VALU_DEP_1)
	v_or3_b32 v13, v17, v16, v13
.LBB249_573:
	s_or_b32 exec_lo, exec_lo, s13
	s_wait_loadcnt 0x0
	v_and_b32_e32 v17, 0xff, v14
	s_mov_b32 s12, 0
	s_mov_b32 s13, exec_lo
	s_delay_alu instid0(VALU_DEP_1)
	v_cmpx_lt_i16_e32 0x7f, v17
	s_xor_b32 s13, exec_lo, s13
	s_cbranch_execnz .LBB249_673
; %bb.574:
	s_or_saveexec_b32 s13, s13
	v_mov_b32_e32 v16, 0x7f800001
	s_xor_b32 exec_lo, exec_lo, s13
	s_cbranch_execnz .LBB249_676
.LBB249_575:
	s_or_b32 exec_lo, exec_lo, s13
	s_and_saveexec_b32 s13, s12
	s_cbranch_execz .LBB249_577
.LBB249_576:
	v_and_b32_e32 v16, 3, v14
	v_lshrrev_b16 v18, 2, v14
	v_lshlrev_b32_e32 v20, 24, v14
	s_delay_alu instid0(VALU_DEP_3) | instskip(NEXT) | instid1(VALU_DEP_1)
	v_clz_i32_u32_e32 v17, v16
	v_min_u32_e32 v17, 32, v17
	s_delay_alu instid0(VALU_DEP_4) | instskip(NEXT) | instid1(VALU_DEP_2)
	v_and_b32_e32 v18, 31, v18
	v_subrev_nc_u32_e32 v19, 29, v17
	v_sub_nc_u32_e32 v17, 30, v17
	s_delay_alu instid0(VALU_DEP_3) | instskip(NEXT) | instid1(VALU_DEP_3)
	v_cmp_eq_u32_e32 vcc_lo, 0, v18
	v_lshlrev_b32_e32 v19, v19, v14
	s_delay_alu instid0(VALU_DEP_1) | instskip(SKIP_1) | instid1(VALU_DEP_2)
	v_dual_cndmask_b32 v17, v18, v17, vcc_lo :: v_dual_bitop2_b32 v19, 3, v19 bitop3:0x40
	v_and_b32_e32 v18, 0x80000000, v20
	v_cndmask_b32_e32 v16, v16, v19, vcc_lo
	s_delay_alu instid0(VALU_DEP_3) | instskip(NEXT) | instid1(VALU_DEP_2)
	v_lshl_add_u32 v17, v17, 23, 0x37800000
	v_lshlrev_b32_e32 v16, 21, v16
	s_delay_alu instid0(VALU_DEP_1)
	v_or3_b32 v16, v18, v17, v16
.LBB249_577:
	s_or_b32 exec_lo, exec_lo, s13
	s_delay_alu instid0(VALU_DEP_1)
	v_cmp_neq_f32_e64 s12, v13, v16
	s_branch .LBB249_588
.LBB249_578:
                                        ; implicit-def: $sgpr12
	s_cbranch_execz .LBB249_588
; %bb.579:
	s_mov_b32 s12, 0
	s_mov_b32 s13, exec_lo
	v_cmpx_lt_i16_e32 0x7f, v12
	s_xor_b32 s13, exec_lo, s13
	s_cbranch_execnz .LBB249_733
; %bb.580:
	s_or_saveexec_b32 s13, s13
	v_mov_b32_e32 v13, 0x7f800001
	s_xor_b32 exec_lo, exec_lo, s13
	s_cbranch_execnz .LBB249_736
.LBB249_581:
	s_or_b32 exec_lo, exec_lo, s13
	s_and_saveexec_b32 s13, s12
	s_cbranch_execz .LBB249_583
.LBB249_582:
	v_and_b32_e32 v12, 3, v15
	v_lshrrev_b16 v16, 2, v15
	s_delay_alu instid0(VALU_DEP_2) | instskip(NEXT) | instid1(VALU_DEP_1)
	v_clz_i32_u32_e32 v13, v12
	v_min_u32_e32 v13, 32, v13
	s_delay_alu instid0(VALU_DEP_3) | instskip(NEXT) | instid1(VALU_DEP_2)
	v_and_b32_e32 v16, 31, v16
	v_subrev_nc_u32_e32 v17, 29, v13
	v_sub_nc_u32_e32 v13, 30, v13
	s_delay_alu instid0(VALU_DEP_3) | instskip(NEXT) | instid1(VALU_DEP_3)
	v_cmp_eq_u32_e32 vcc_lo, 0, v16
	v_dual_lshlrev_b32 v17, v17, v15 :: v_dual_lshlrev_b32 v15, 24, v15
	s_delay_alu instid0(VALU_DEP_1) | instskip(NEXT) | instid1(VALU_DEP_2)
	v_and_b32_e32 v17, 3, v17
	v_and_b32_e32 v15, 0x80000000, v15
	s_delay_alu instid0(VALU_DEP_2) | instskip(NEXT) | instid1(VALU_DEP_1)
	v_cndmask_b32_e32 v12, v12, v17, vcc_lo
	v_dual_cndmask_b32 v13, v16, v13 :: v_dual_lshlrev_b32 v12, 21, v12
	s_delay_alu instid0(VALU_DEP_1) | instskip(NEXT) | instid1(VALU_DEP_1)
	v_lshl_add_u32 v13, v13, 23, 0x37800000
	v_or3_b32 v13, v15, v13, v12
.LBB249_583:
	s_or_b32 exec_lo, exec_lo, s13
	s_wait_loadcnt 0x0
	v_and_b32_e32 v15, 0xff, v14
	s_mov_b32 s12, 0
	s_mov_b32 s13, exec_lo
	s_delay_alu instid0(VALU_DEP_1)
	v_cmpx_lt_i16_e32 0x7f, v15
	s_xor_b32 s13, exec_lo, s13
	s_cbranch_execnz .LBB249_737
; %bb.584:
	s_or_saveexec_b32 s13, s13
	v_mov_b32_e32 v12, 0x7f800001
	s_xor_b32 exec_lo, exec_lo, s13
	s_cbranch_execnz .LBB249_740
.LBB249_585:
	s_or_b32 exec_lo, exec_lo, s13
	s_and_saveexec_b32 s13, s12
	s_cbranch_execz .LBB249_587
.LBB249_586:
	v_and_b32_e32 v12, 3, v14
	v_lshrrev_b16 v16, 2, v14
	s_delay_alu instid0(VALU_DEP_2) | instskip(NEXT) | instid1(VALU_DEP_1)
	v_clz_i32_u32_e32 v15, v12
	v_min_u32_e32 v15, 32, v15
	s_delay_alu instid0(VALU_DEP_3) | instskip(NEXT) | instid1(VALU_DEP_2)
	v_and_b32_e32 v16, 31, v16
	v_subrev_nc_u32_e32 v17, 29, v15
	v_sub_nc_u32_e32 v15, 30, v15
	s_delay_alu instid0(VALU_DEP_3) | instskip(NEXT) | instid1(VALU_DEP_3)
	v_cmp_eq_u32_e32 vcc_lo, 0, v16
	v_dual_lshlrev_b32 v17, v17, v14 :: v_dual_lshlrev_b32 v14, 24, v14
	s_delay_alu instid0(VALU_DEP_1) | instskip(NEXT) | instid1(VALU_DEP_2)
	v_and_b32_e32 v17, 3, v17
	v_and_b32_e32 v14, 0x80000000, v14
	s_delay_alu instid0(VALU_DEP_2) | instskip(NEXT) | instid1(VALU_DEP_1)
	v_cndmask_b32_e32 v12, v12, v17, vcc_lo
	v_dual_cndmask_b32 v15, v16, v15 :: v_dual_lshlrev_b32 v12, 21, v12
	s_delay_alu instid0(VALU_DEP_1) | instskip(NEXT) | instid1(VALU_DEP_1)
	v_lshl_add_u32 v15, v15, 23, 0x37800000
	v_or3_b32 v12, v14, v15, v12
.LBB249_587:
	s_or_b32 exec_lo, exec_lo, s13
	s_delay_alu instid0(VALU_DEP_1)
	v_cmp_eq_f32_e64 s12, v13, v12
.LBB249_588:
	global_load_u8 v13, v11, s[2:3]
	global_load_u8 v12, v10, s[4:5]
	s_and_b32 vcc_lo, exec_lo, s7
	s_wait_loadcnt 0x1
	s_wait_xcnt 0x0
	v_and_b32_e32 v10, 0xff, v13
	s_cbranch_vccz .LBB249_598
; %bb.589:
	s_mov_b32 s13, 0
	s_mov_b32 s14, exec_lo
	s_delay_alu instid0(VALU_DEP_1)
	v_cmpx_lt_i16_e32 0x7f, v10
	s_xor_b32 s14, exec_lo, s14
	s_cbranch_execnz .LBB249_677
; %bb.590:
	s_or_saveexec_b32 s14, s14
	v_mov_b32_e32 v11, 0x7f800001
	s_xor_b32 exec_lo, exec_lo, s14
	s_cbranch_execnz .LBB249_680
.LBB249_591:
	s_or_b32 exec_lo, exec_lo, s14
	s_and_saveexec_b32 s14, s13
	s_cbranch_execz .LBB249_593
.LBB249_592:
	v_and_b32_e32 v11, 3, v13
	v_lshrrev_b16 v15, 2, v13
	v_lshlrev_b32_e32 v17, 24, v13
	s_delay_alu instid0(VALU_DEP_3) | instskip(NEXT) | instid1(VALU_DEP_1)
	v_clz_i32_u32_e32 v14, v11
	v_min_u32_e32 v14, 32, v14
	s_delay_alu instid0(VALU_DEP_4) | instskip(NEXT) | instid1(VALU_DEP_2)
	v_and_b32_e32 v15, 31, v15
	v_subrev_nc_u32_e32 v16, 29, v14
	v_sub_nc_u32_e32 v14, 30, v14
	s_delay_alu instid0(VALU_DEP_3) | instskip(NEXT) | instid1(VALU_DEP_3)
	v_cmp_eq_u32_e32 vcc_lo, 0, v15
	v_lshlrev_b32_e32 v16, v16, v13
	s_delay_alu instid0(VALU_DEP_1) | instskip(NEXT) | instid1(VALU_DEP_1)
	v_and_b32_e32 v16, 3, v16
	v_cndmask_b32_e32 v11, v11, v16, vcc_lo
	v_cndmask_b32_e32 v14, v15, v14, vcc_lo
	v_and_b32_e32 v15, 0x80000000, v17
	s_delay_alu instid0(VALU_DEP_3) | instskip(NEXT) | instid1(VALU_DEP_3)
	v_lshlrev_b32_e32 v11, 21, v11
	v_lshl_add_u32 v14, v14, 23, 0x37800000
	s_delay_alu instid0(VALU_DEP_1)
	v_or3_b32 v11, v15, v14, v11
.LBB249_593:
	s_or_b32 exec_lo, exec_lo, s14
	s_wait_loadcnt 0x0
	v_and_b32_e32 v15, 0xff, v12
	s_mov_b32 s13, 0
	s_mov_b32 s14, exec_lo
	s_delay_alu instid0(VALU_DEP_1)
	v_cmpx_lt_i16_e32 0x7f, v15
	s_xor_b32 s14, exec_lo, s14
	s_cbranch_execnz .LBB249_681
; %bb.594:
	s_or_saveexec_b32 s14, s14
	v_mov_b32_e32 v14, 0x7f800001
	s_xor_b32 exec_lo, exec_lo, s14
	s_cbranch_execnz .LBB249_684
.LBB249_595:
	s_or_b32 exec_lo, exec_lo, s14
	s_and_saveexec_b32 s14, s13
	s_cbranch_execz .LBB249_597
.LBB249_596:
	v_and_b32_e32 v14, 3, v12
	v_lshrrev_b16 v16, 2, v12
	v_lshlrev_b32_e32 v18, 24, v12
	s_delay_alu instid0(VALU_DEP_3) | instskip(NEXT) | instid1(VALU_DEP_1)
	v_clz_i32_u32_e32 v15, v14
	v_min_u32_e32 v15, 32, v15
	s_delay_alu instid0(VALU_DEP_4) | instskip(NEXT) | instid1(VALU_DEP_2)
	v_and_b32_e32 v16, 31, v16
	v_subrev_nc_u32_e32 v17, 29, v15
	v_sub_nc_u32_e32 v15, 30, v15
	s_delay_alu instid0(VALU_DEP_3) | instskip(NEXT) | instid1(VALU_DEP_3)
	v_cmp_eq_u32_e32 vcc_lo, 0, v16
	v_lshlrev_b32_e32 v17, v17, v12
	s_delay_alu instid0(VALU_DEP_1) | instskip(SKIP_1) | instid1(VALU_DEP_2)
	v_dual_cndmask_b32 v15, v16, v15, vcc_lo :: v_dual_bitop2_b32 v17, 3, v17 bitop3:0x40
	v_and_b32_e32 v16, 0x80000000, v18
	v_cndmask_b32_e32 v14, v14, v17, vcc_lo
	s_delay_alu instid0(VALU_DEP_3) | instskip(NEXT) | instid1(VALU_DEP_2)
	v_lshl_add_u32 v15, v15, 23, 0x37800000
	v_lshlrev_b32_e32 v14, 21, v14
	s_delay_alu instid0(VALU_DEP_1)
	v_or3_b32 v14, v16, v15, v14
.LBB249_597:
	s_or_b32 exec_lo, exec_lo, s14
	s_delay_alu instid0(VALU_DEP_1)
	v_cmp_neq_f32_e64 s13, v11, v14
	s_branch .LBB249_608
.LBB249_598:
                                        ; implicit-def: $sgpr13
	s_cbranch_execz .LBB249_608
; %bb.599:
	s_mov_b32 s13, 0
	s_mov_b32 s14, exec_lo
	v_cmpx_lt_i16_e32 0x7f, v10
	s_xor_b32 s14, exec_lo, s14
	s_cbranch_execnz .LBB249_741
; %bb.600:
	s_or_saveexec_b32 s14, s14
	v_mov_b32_e32 v11, 0x7f800001
	s_xor_b32 exec_lo, exec_lo, s14
	s_cbranch_execnz .LBB249_744
.LBB249_601:
	s_or_b32 exec_lo, exec_lo, s14
	s_and_saveexec_b32 s14, s13
	s_cbranch_execz .LBB249_603
.LBB249_602:
	v_and_b32_e32 v10, 3, v13
	v_lshrrev_b16 v14, 2, v13
	s_delay_alu instid0(VALU_DEP_2) | instskip(NEXT) | instid1(VALU_DEP_1)
	v_clz_i32_u32_e32 v11, v10
	v_min_u32_e32 v11, 32, v11
	s_delay_alu instid0(VALU_DEP_3) | instskip(NEXT) | instid1(VALU_DEP_2)
	v_and_b32_e32 v14, 31, v14
	v_subrev_nc_u32_e32 v15, 29, v11
	v_sub_nc_u32_e32 v11, 30, v11
	s_delay_alu instid0(VALU_DEP_3) | instskip(NEXT) | instid1(VALU_DEP_3)
	v_cmp_eq_u32_e32 vcc_lo, 0, v14
	v_dual_lshlrev_b32 v15, v15, v13 :: v_dual_lshlrev_b32 v13, 24, v13
	s_delay_alu instid0(VALU_DEP_1) | instskip(NEXT) | instid1(VALU_DEP_2)
	v_and_b32_e32 v15, 3, v15
	v_and_b32_e32 v13, 0x80000000, v13
	s_delay_alu instid0(VALU_DEP_2) | instskip(NEXT) | instid1(VALU_DEP_1)
	v_cndmask_b32_e32 v10, v10, v15, vcc_lo
	v_dual_cndmask_b32 v11, v14, v11 :: v_dual_lshlrev_b32 v10, 21, v10
	s_delay_alu instid0(VALU_DEP_1) | instskip(NEXT) | instid1(VALU_DEP_1)
	v_lshl_add_u32 v11, v11, 23, 0x37800000
	v_or3_b32 v11, v13, v11, v10
.LBB249_603:
	s_or_b32 exec_lo, exec_lo, s14
	s_wait_loadcnt 0x0
	v_and_b32_e32 v13, 0xff, v12
	s_mov_b32 s13, 0
	s_mov_b32 s14, exec_lo
	s_delay_alu instid0(VALU_DEP_1)
	v_cmpx_lt_i16_e32 0x7f, v13
	s_xor_b32 s14, exec_lo, s14
	s_cbranch_execnz .LBB249_745
; %bb.604:
	s_or_saveexec_b32 s14, s14
	v_mov_b32_e32 v10, 0x7f800001
	s_xor_b32 exec_lo, exec_lo, s14
	s_cbranch_execnz .LBB249_748
.LBB249_605:
	s_or_b32 exec_lo, exec_lo, s14
	s_and_saveexec_b32 s14, s13
	s_cbranch_execz .LBB249_607
.LBB249_606:
	v_and_b32_e32 v10, 3, v12
	v_lshrrev_b16 v14, 2, v12
	s_delay_alu instid0(VALU_DEP_2) | instskip(NEXT) | instid1(VALU_DEP_1)
	v_clz_i32_u32_e32 v13, v10
	v_min_u32_e32 v13, 32, v13
	s_delay_alu instid0(VALU_DEP_3) | instskip(NEXT) | instid1(VALU_DEP_2)
	v_and_b32_e32 v14, 31, v14
	v_subrev_nc_u32_e32 v15, 29, v13
	v_sub_nc_u32_e32 v13, 30, v13
	s_delay_alu instid0(VALU_DEP_3) | instskip(NEXT) | instid1(VALU_DEP_3)
	v_cmp_eq_u32_e32 vcc_lo, 0, v14
	v_dual_lshlrev_b32 v15, v15, v12 :: v_dual_lshlrev_b32 v12, 24, v12
	s_delay_alu instid0(VALU_DEP_1) | instskip(NEXT) | instid1(VALU_DEP_2)
	v_and_b32_e32 v15, 3, v15
	v_and_b32_e32 v12, 0x80000000, v12
	s_delay_alu instid0(VALU_DEP_2) | instskip(NEXT) | instid1(VALU_DEP_1)
	v_cndmask_b32_e32 v10, v10, v15, vcc_lo
	v_dual_cndmask_b32 v13, v14, v13 :: v_dual_lshlrev_b32 v10, 21, v10
	s_delay_alu instid0(VALU_DEP_1) | instskip(NEXT) | instid1(VALU_DEP_1)
	v_lshl_add_u32 v13, v13, 23, 0x37800000
	v_or3_b32 v10, v12, v13, v10
.LBB249_607:
	s_or_b32 exec_lo, exec_lo, s14
	s_delay_alu instid0(VALU_DEP_1)
	v_cmp_eq_f32_e64 s13, v11, v10
.LBB249_608:
	global_load_u8 v11, v9, s[2:3]
	global_load_u8 v10, v8, s[4:5]
	s_and_b32 vcc_lo, exec_lo, s7
	s_wait_loadcnt 0x1
	s_wait_xcnt 0x0
	v_and_b32_e32 v8, 0xff, v11
	s_cbranch_vccz .LBB249_618
; %bb.609:
	s_mov_b32 s2, 0
	s_mov_b32 s3, exec_lo
	s_delay_alu instid0(VALU_DEP_1)
	v_cmpx_lt_i16_e32 0x7f, v8
	s_xor_b32 s3, exec_lo, s3
	s_cbranch_execnz .LBB249_685
; %bb.610:
	s_or_saveexec_b32 s3, s3
	v_mov_b32_e32 v9, 0x7f800001
	s_xor_b32 exec_lo, exec_lo, s3
	s_cbranch_execnz .LBB249_688
.LBB249_611:
	s_or_b32 exec_lo, exec_lo, s3
	s_and_saveexec_b32 s3, s2
	s_cbranch_execz .LBB249_613
.LBB249_612:
	v_and_b32_e32 v9, 3, v11
	v_lshrrev_b16 v13, 2, v11
	v_lshlrev_b32_e32 v15, 24, v11
	s_delay_alu instid0(VALU_DEP_3) | instskip(NEXT) | instid1(VALU_DEP_1)
	v_clz_i32_u32_e32 v12, v9
	v_min_u32_e32 v12, 32, v12
	s_delay_alu instid0(VALU_DEP_4) | instskip(NEXT) | instid1(VALU_DEP_2)
	v_and_b32_e32 v13, 31, v13
	v_subrev_nc_u32_e32 v14, 29, v12
	v_sub_nc_u32_e32 v12, 30, v12
	s_delay_alu instid0(VALU_DEP_3) | instskip(NEXT) | instid1(VALU_DEP_3)
	v_cmp_eq_u32_e32 vcc_lo, 0, v13
	v_lshlrev_b32_e32 v14, v14, v11
	s_delay_alu instid0(VALU_DEP_1) | instskip(NEXT) | instid1(VALU_DEP_1)
	v_and_b32_e32 v14, 3, v14
	v_cndmask_b32_e32 v9, v9, v14, vcc_lo
	v_cndmask_b32_e32 v12, v13, v12, vcc_lo
	v_and_b32_e32 v13, 0x80000000, v15
	s_delay_alu instid0(VALU_DEP_3) | instskip(NEXT) | instid1(VALU_DEP_3)
	v_lshlrev_b32_e32 v9, 21, v9
	v_lshl_add_u32 v12, v12, 23, 0x37800000
	s_delay_alu instid0(VALU_DEP_1)
	v_or3_b32 v9, v13, v12, v9
.LBB249_613:
	s_or_b32 exec_lo, exec_lo, s3
	s_wait_loadcnt 0x0
	v_and_b32_e32 v13, 0xff, v10
	s_mov_b32 s2, 0
	s_mov_b32 s3, exec_lo
	s_delay_alu instid0(VALU_DEP_1)
	v_cmpx_lt_i16_e32 0x7f, v13
	s_xor_b32 s3, exec_lo, s3
	s_cbranch_execnz .LBB249_689
; %bb.614:
	s_or_saveexec_b32 s3, s3
	v_mov_b32_e32 v12, 0x7f800001
	s_xor_b32 exec_lo, exec_lo, s3
	s_cbranch_execnz .LBB249_692
.LBB249_615:
	s_or_b32 exec_lo, exec_lo, s3
	s_and_saveexec_b32 s3, s2
	s_cbranch_execz .LBB249_617
.LBB249_616:
	v_and_b32_e32 v12, 3, v10
	v_lshrrev_b16 v14, 2, v10
	v_lshlrev_b32_e32 v16, 24, v10
	s_delay_alu instid0(VALU_DEP_3) | instskip(NEXT) | instid1(VALU_DEP_1)
	v_clz_i32_u32_e32 v13, v12
	v_min_u32_e32 v13, 32, v13
	s_delay_alu instid0(VALU_DEP_4) | instskip(NEXT) | instid1(VALU_DEP_2)
	v_and_b32_e32 v14, 31, v14
	v_subrev_nc_u32_e32 v15, 29, v13
	v_sub_nc_u32_e32 v13, 30, v13
	s_delay_alu instid0(VALU_DEP_3) | instskip(NEXT) | instid1(VALU_DEP_3)
	v_cmp_eq_u32_e32 vcc_lo, 0, v14
	v_lshlrev_b32_e32 v15, v15, v10
	s_delay_alu instid0(VALU_DEP_1) | instskip(SKIP_1) | instid1(VALU_DEP_2)
	v_dual_cndmask_b32 v13, v14, v13, vcc_lo :: v_dual_bitop2_b32 v15, 3, v15 bitop3:0x40
	v_and_b32_e32 v14, 0x80000000, v16
	v_cndmask_b32_e32 v12, v12, v15, vcc_lo
	s_delay_alu instid0(VALU_DEP_3) | instskip(NEXT) | instid1(VALU_DEP_2)
	v_lshl_add_u32 v13, v13, 23, 0x37800000
	v_lshlrev_b32_e32 v12, 21, v12
	s_delay_alu instid0(VALU_DEP_1)
	v_or3_b32 v12, v14, v13, v12
.LBB249_617:
	s_or_b32 exec_lo, exec_lo, s3
	s_delay_alu instid0(VALU_DEP_1)
	v_cmp_neq_f32_e64 s2, v9, v12
	s_branch .LBB249_628
.LBB249_618:
                                        ; implicit-def: $sgpr2
	s_cbranch_execz .LBB249_628
; %bb.619:
	s_mov_b32 s2, 0
	s_mov_b32 s3, exec_lo
	v_cmpx_lt_i16_e32 0x7f, v8
	s_xor_b32 s3, exec_lo, s3
	s_cbranch_execnz .LBB249_749
; %bb.620:
	s_or_saveexec_b32 s3, s3
	v_mov_b32_e32 v9, 0x7f800001
	s_xor_b32 exec_lo, exec_lo, s3
	s_cbranch_execnz .LBB249_752
.LBB249_621:
	s_or_b32 exec_lo, exec_lo, s3
	s_and_saveexec_b32 s3, s2
	s_cbranch_execz .LBB249_623
.LBB249_622:
	v_and_b32_e32 v8, 3, v11
	v_lshrrev_b16 v12, 2, v11
	s_delay_alu instid0(VALU_DEP_2) | instskip(NEXT) | instid1(VALU_DEP_1)
	v_clz_i32_u32_e32 v9, v8
	v_min_u32_e32 v9, 32, v9
	s_delay_alu instid0(VALU_DEP_3) | instskip(NEXT) | instid1(VALU_DEP_2)
	v_and_b32_e32 v12, 31, v12
	v_subrev_nc_u32_e32 v13, 29, v9
	v_sub_nc_u32_e32 v9, 30, v9
	s_delay_alu instid0(VALU_DEP_3) | instskip(NEXT) | instid1(VALU_DEP_3)
	v_cmp_eq_u32_e32 vcc_lo, 0, v12
	v_dual_lshlrev_b32 v13, v13, v11 :: v_dual_lshlrev_b32 v11, 24, v11
	s_delay_alu instid0(VALU_DEP_1) | instskip(NEXT) | instid1(VALU_DEP_2)
	v_and_b32_e32 v13, 3, v13
	v_and_b32_e32 v11, 0x80000000, v11
	s_delay_alu instid0(VALU_DEP_2) | instskip(NEXT) | instid1(VALU_DEP_1)
	v_cndmask_b32_e32 v8, v8, v13, vcc_lo
	v_dual_cndmask_b32 v9, v12, v9 :: v_dual_lshlrev_b32 v8, 21, v8
	s_delay_alu instid0(VALU_DEP_1) | instskip(NEXT) | instid1(VALU_DEP_1)
	v_lshl_add_u32 v9, v9, 23, 0x37800000
	v_or3_b32 v9, v11, v9, v8
.LBB249_623:
	s_or_b32 exec_lo, exec_lo, s3
	s_wait_loadcnt 0x0
	v_and_b32_e32 v11, 0xff, v10
	s_mov_b32 s2, 0
	s_mov_b32 s3, exec_lo
	s_delay_alu instid0(VALU_DEP_1)
	v_cmpx_lt_i16_e32 0x7f, v11
	s_xor_b32 s3, exec_lo, s3
	s_cbranch_execnz .LBB249_753
; %bb.624:
	s_or_saveexec_b32 s3, s3
	v_mov_b32_e32 v8, 0x7f800001
	s_xor_b32 exec_lo, exec_lo, s3
	s_cbranch_execnz .LBB249_756
.LBB249_625:
	s_or_b32 exec_lo, exec_lo, s3
	s_and_saveexec_b32 s3, s2
	s_cbranch_execz .LBB249_627
.LBB249_626:
	v_and_b32_e32 v8, 3, v10
	v_lshrrev_b16 v12, 2, v10
	s_delay_alu instid0(VALU_DEP_2) | instskip(NEXT) | instid1(VALU_DEP_1)
	v_clz_i32_u32_e32 v11, v8
	v_min_u32_e32 v11, 32, v11
	s_delay_alu instid0(VALU_DEP_3) | instskip(NEXT) | instid1(VALU_DEP_2)
	v_and_b32_e32 v12, 31, v12
	v_subrev_nc_u32_e32 v13, 29, v11
	v_sub_nc_u32_e32 v11, 30, v11
	s_delay_alu instid0(VALU_DEP_3) | instskip(NEXT) | instid1(VALU_DEP_3)
	v_cmp_eq_u32_e32 vcc_lo, 0, v12
	v_dual_lshlrev_b32 v13, v13, v10 :: v_dual_lshlrev_b32 v10, 24, v10
	s_delay_alu instid0(VALU_DEP_1) | instskip(NEXT) | instid1(VALU_DEP_2)
	v_and_b32_e32 v13, 3, v13
	v_and_b32_e32 v10, 0x80000000, v10
	s_delay_alu instid0(VALU_DEP_2) | instskip(NEXT) | instid1(VALU_DEP_1)
	v_cndmask_b32_e32 v8, v8, v13, vcc_lo
	v_dual_cndmask_b32 v11, v12, v11 :: v_dual_lshlrev_b32 v8, 21, v8
	s_delay_alu instid0(VALU_DEP_1) | instskip(NEXT) | instid1(VALU_DEP_1)
	v_lshl_add_u32 v11, v11, 23, 0x37800000
	v_or3_b32 v8, v10, v11, v8
.LBB249_627:
	s_or_b32 exec_lo, exec_lo, s3
	s_delay_alu instid0(VALU_DEP_1)
	v_cmp_eq_f32_e64 s2, v9, v8
.LBB249_628:
	v_cndmask_b32_e64 v11, 0, 1, s6
	v_cndmask_b32_e64 v12, 0, 1, s8
	v_cndmask_b32_e64 v13, 0, 1, s9
	v_cndmask_b32_e64 v14, 0, 1, s10
	s_wait_loadcnt 0x0
	v_cndmask_b32_e64 v10, 0, 1, s11
	v_cndmask_b32_e64 v8, 0, 1, s13
	v_cndmask_b32_e64 v9, 0, 1, s12
	v_cndmask_b32_e64 v15, 0, 1, s2
	s_clause 0x7
	global_store_b8 v1, v11, s[0:1]
	global_store_b8 v2, v12, s[0:1]
	global_store_b8 v3, v13, s[0:1]
	global_store_b8 v4, v14, s[0:1]
	global_store_b8 v5, v10, s[0:1]
	global_store_b8 v6, v9, s[0:1]
	global_store_b8 v0, v8, s[0:1]
	global_store_b8 v7, v15, s[0:1]
	s_endpgm
.LBB249_629:
	s_mov_b32 s6, -1
	s_mov_b32 s9, exec_lo
	v_cmpx_eq_u16_e32 0x80, v23
; %bb.630:
	s_xor_b32 s6, exec_lo, -1
; %bb.631:
	s_or_b32 exec_lo, exec_lo, s9
	s_delay_alu instid0(SALU_CYCLE_1)
	s_and_b32 s6, s6, exec_lo
	s_or_saveexec_b32 s8, s8
	v_mov_b32_e32 v24, 0x7f800001
	s_xor_b32 exec_lo, exec_lo, s8
	s_cbranch_execz .LBB249_471
.LBB249_632:
	v_cmp_ne_u16_e32 vcc_lo, 0, v23
	v_mov_b32_e32 v24, 0
	s_and_not1_b32 s6, s6, exec_lo
	s_and_b32 s9, vcc_lo, exec_lo
	s_delay_alu instid0(SALU_CYCLE_1)
	s_or_b32 s6, s6, s9
	s_or_b32 exec_lo, exec_lo, s8
	s_and_saveexec_b32 s8, s6
	s_cbranch_execnz .LBB249_472
	s_branch .LBB249_473
.LBB249_633:
	s_mov_b32 s6, -1
	s_mov_b32 s9, exec_lo
	v_cmpx_eq_u16_e32 0x80, v27
; %bb.634:
	s_xor_b32 s6, exec_lo, -1
; %bb.635:
	s_or_b32 exec_lo, exec_lo, s9
	s_delay_alu instid0(SALU_CYCLE_1)
	s_and_b32 s6, s6, exec_lo
                                        ; implicit-def: $vgpr27
	s_or_saveexec_b32 s8, s8
	v_mov_b32_e32 v26, 0x7f800001
	s_xor_b32 exec_lo, exec_lo, s8
	s_cbranch_execz .LBB249_475
.LBB249_636:
	v_cmp_ne_u16_e32 vcc_lo, 0, v27
	v_mov_b32_e32 v26, 0
	s_and_not1_b32 s6, s6, exec_lo
	s_and_b32 s9, vcc_lo, exec_lo
	s_delay_alu instid0(SALU_CYCLE_1)
	s_or_b32 s6, s6, s9
	s_or_b32 exec_lo, exec_lo, s8
	s_and_saveexec_b32 s8, s6
	s_cbranch_execnz .LBB249_476
	s_branch .LBB249_477
.LBB249_637:
	s_mov_b32 s8, -1
	s_mov_b32 s10, exec_lo
	v_cmpx_eq_u16_e32 0x80, v20
; %bb.638:
	s_xor_b32 s8, exec_lo, -1
; %bb.639:
	s_or_b32 exec_lo, exec_lo, s10
	s_delay_alu instid0(SALU_CYCLE_1)
	s_and_b32 s8, s8, exec_lo
	s_or_saveexec_b32 s9, s9
	v_mov_b32_e32 v21, 0x7f800001
	s_xor_b32 exec_lo, exec_lo, s9
	s_cbranch_execz .LBB249_491
.LBB249_640:
	v_cmp_ne_u16_e32 vcc_lo, 0, v20
	v_mov_b32_e32 v21, 0
	s_and_not1_b32 s8, s8, exec_lo
	s_and_b32 s10, vcc_lo, exec_lo
	s_delay_alu instid0(SALU_CYCLE_1)
	s_or_b32 s8, s8, s10
	s_or_b32 exec_lo, exec_lo, s9
	s_and_saveexec_b32 s9, s8
	s_cbranch_execnz .LBB249_492
	s_branch .LBB249_493
.LBB249_641:
	s_mov_b32 s8, -1
	s_mov_b32 s10, exec_lo
	v_cmpx_eq_u16_e32 0x80, v25
; %bb.642:
	s_xor_b32 s8, exec_lo, -1
; %bb.643:
	s_or_b32 exec_lo, exec_lo, s10
	s_delay_alu instid0(SALU_CYCLE_1)
	s_and_b32 s8, s8, exec_lo
                                        ; implicit-def: $vgpr25
	s_or_saveexec_b32 s9, s9
	v_mov_b32_e32 v24, 0x7f800001
	s_xor_b32 exec_lo, exec_lo, s9
	s_cbranch_execz .LBB249_495
.LBB249_644:
	v_cmp_ne_u16_e32 vcc_lo, 0, v25
	v_mov_b32_e32 v24, 0
	s_and_not1_b32 s8, s8, exec_lo
	s_and_b32 s10, vcc_lo, exec_lo
	s_delay_alu instid0(SALU_CYCLE_1)
	s_or_b32 s8, s8, s10
	s_or_b32 exec_lo, exec_lo, s9
	s_and_saveexec_b32 s9, s8
	s_cbranch_execnz .LBB249_496
	s_branch .LBB249_497
.LBB249_645:
	s_mov_b32 s9, -1
	s_mov_b32 s11, exec_lo
	v_cmpx_eq_u16_e32 0x80, v18
; %bb.646:
	s_xor_b32 s9, exec_lo, -1
; %bb.647:
	s_or_b32 exec_lo, exec_lo, s11
	s_delay_alu instid0(SALU_CYCLE_1)
	s_and_b32 s9, s9, exec_lo
	s_or_saveexec_b32 s10, s10
	v_mov_b32_e32 v19, 0x7f800001
	s_xor_b32 exec_lo, exec_lo, s10
	s_cbranch_execz .LBB249_511
.LBB249_648:
	v_cmp_ne_u16_e32 vcc_lo, 0, v18
	v_mov_b32_e32 v19, 0
	s_and_not1_b32 s9, s9, exec_lo
	s_and_b32 s11, vcc_lo, exec_lo
	s_delay_alu instid0(SALU_CYCLE_1)
	s_or_b32 s9, s9, s11
	s_or_b32 exec_lo, exec_lo, s10
	s_and_saveexec_b32 s10, s9
	s_cbranch_execnz .LBB249_512
	s_branch .LBB249_513
.LBB249_649:
	s_mov_b32 s9, -1
	s_mov_b32 s11, exec_lo
	v_cmpx_eq_u16_e32 0x80, v23
; %bb.650:
	s_xor_b32 s9, exec_lo, -1
; %bb.651:
	s_or_b32 exec_lo, exec_lo, s11
	s_delay_alu instid0(SALU_CYCLE_1)
	s_and_b32 s9, s9, exec_lo
                                        ; implicit-def: $vgpr23
	s_or_saveexec_b32 s10, s10
	v_mov_b32_e32 v22, 0x7f800001
	s_xor_b32 exec_lo, exec_lo, s10
	s_cbranch_execz .LBB249_515
.LBB249_652:
	v_cmp_ne_u16_e32 vcc_lo, 0, v23
	v_mov_b32_e32 v22, 0
	s_and_not1_b32 s9, s9, exec_lo
	s_and_b32 s11, vcc_lo, exec_lo
	s_delay_alu instid0(SALU_CYCLE_1)
	s_or_b32 s9, s9, s11
	s_or_b32 exec_lo, exec_lo, s10
	s_and_saveexec_b32 s10, s9
	s_cbranch_execnz .LBB249_516
	s_branch .LBB249_517
.LBB249_653:
	s_mov_b32 s10, -1
	s_mov_b32 s12, exec_lo
	v_cmpx_eq_u16_e32 0x80, v16
; %bb.654:
	s_xor_b32 s10, exec_lo, -1
; %bb.655:
	s_or_b32 exec_lo, exec_lo, s12
	s_delay_alu instid0(SALU_CYCLE_1)
	s_and_b32 s10, s10, exec_lo
	s_or_saveexec_b32 s11, s11
	v_mov_b32_e32 v17, 0x7f800001
	s_xor_b32 exec_lo, exec_lo, s11
	s_cbranch_execz .LBB249_531
.LBB249_656:
	v_cmp_ne_u16_e32 vcc_lo, 0, v16
	v_mov_b32_e32 v17, 0
	s_and_not1_b32 s10, s10, exec_lo
	s_and_b32 s12, vcc_lo, exec_lo
	s_delay_alu instid0(SALU_CYCLE_1)
	s_or_b32 s10, s10, s12
	s_or_b32 exec_lo, exec_lo, s11
	s_and_saveexec_b32 s11, s10
	s_cbranch_execnz .LBB249_532
	s_branch .LBB249_533
.LBB249_657:
	s_mov_b32 s10, -1
	s_mov_b32 s12, exec_lo
	v_cmpx_eq_u16_e32 0x80, v21
; %bb.658:
	s_xor_b32 s10, exec_lo, -1
; %bb.659:
	s_or_b32 exec_lo, exec_lo, s12
	s_delay_alu instid0(SALU_CYCLE_1)
	s_and_b32 s10, s10, exec_lo
                                        ; implicit-def: $vgpr21
	s_or_saveexec_b32 s11, s11
	v_mov_b32_e32 v20, 0x7f800001
	s_xor_b32 exec_lo, exec_lo, s11
	s_cbranch_execz .LBB249_535
.LBB249_660:
	v_cmp_ne_u16_e32 vcc_lo, 0, v21
	v_mov_b32_e32 v20, 0
	s_and_not1_b32 s10, s10, exec_lo
	s_and_b32 s12, vcc_lo, exec_lo
	s_delay_alu instid0(SALU_CYCLE_1)
	s_or_b32 s10, s10, s12
	s_or_b32 exec_lo, exec_lo, s11
	s_and_saveexec_b32 s11, s10
	s_cbranch_execnz .LBB249_536
	s_branch .LBB249_537
.LBB249_661:
	s_mov_b32 s11, -1
	s_mov_b32 s13, exec_lo
	v_cmpx_eq_u16_e32 0x80, v14
; %bb.662:
	s_xor_b32 s11, exec_lo, -1
; %bb.663:
	s_or_b32 exec_lo, exec_lo, s13
	s_delay_alu instid0(SALU_CYCLE_1)
	s_and_b32 s11, s11, exec_lo
	s_or_saveexec_b32 s12, s12
	v_mov_b32_e32 v15, 0x7f800001
	s_xor_b32 exec_lo, exec_lo, s12
	s_cbranch_execz .LBB249_551
.LBB249_664:
	v_cmp_ne_u16_e32 vcc_lo, 0, v14
	v_mov_b32_e32 v15, 0
	s_and_not1_b32 s11, s11, exec_lo
	s_and_b32 s13, vcc_lo, exec_lo
	s_delay_alu instid0(SALU_CYCLE_1)
	s_or_b32 s11, s11, s13
	s_or_b32 exec_lo, exec_lo, s12
	s_and_saveexec_b32 s12, s11
	s_cbranch_execnz .LBB249_552
	s_branch .LBB249_553
.LBB249_665:
	s_mov_b32 s11, -1
	s_mov_b32 s13, exec_lo
	v_cmpx_eq_u16_e32 0x80, v19
; %bb.666:
	s_xor_b32 s11, exec_lo, -1
; %bb.667:
	s_or_b32 exec_lo, exec_lo, s13
	s_delay_alu instid0(SALU_CYCLE_1)
	s_and_b32 s11, s11, exec_lo
                                        ; implicit-def: $vgpr19
	s_or_saveexec_b32 s12, s12
	v_mov_b32_e32 v18, 0x7f800001
	s_xor_b32 exec_lo, exec_lo, s12
	s_cbranch_execz .LBB249_555
.LBB249_668:
	v_cmp_ne_u16_e32 vcc_lo, 0, v19
	v_mov_b32_e32 v18, 0
	s_and_not1_b32 s11, s11, exec_lo
	s_and_b32 s13, vcc_lo, exec_lo
	s_delay_alu instid0(SALU_CYCLE_1)
	s_or_b32 s11, s11, s13
	s_or_b32 exec_lo, exec_lo, s12
	s_and_saveexec_b32 s12, s11
	s_cbranch_execnz .LBB249_556
	s_branch .LBB249_557
.LBB249_669:
	s_mov_b32 s12, -1
	s_mov_b32 s14, exec_lo
	v_cmpx_eq_u16_e32 0x80, v12
; %bb.670:
	s_xor_b32 s12, exec_lo, -1
; %bb.671:
	s_or_b32 exec_lo, exec_lo, s14
	s_delay_alu instid0(SALU_CYCLE_1)
	s_and_b32 s12, s12, exec_lo
	s_or_saveexec_b32 s13, s13
	v_mov_b32_e32 v13, 0x7f800001
	s_xor_b32 exec_lo, exec_lo, s13
	s_cbranch_execz .LBB249_571
.LBB249_672:
	v_cmp_ne_u16_e32 vcc_lo, 0, v12
	v_mov_b32_e32 v13, 0
	s_and_not1_b32 s12, s12, exec_lo
	s_and_b32 s14, vcc_lo, exec_lo
	s_delay_alu instid0(SALU_CYCLE_1)
	s_or_b32 s12, s12, s14
	s_or_b32 exec_lo, exec_lo, s13
	s_and_saveexec_b32 s13, s12
	s_cbranch_execnz .LBB249_572
	s_branch .LBB249_573
.LBB249_673:
	s_mov_b32 s12, -1
	s_mov_b32 s14, exec_lo
	v_cmpx_eq_u16_e32 0x80, v17
; %bb.674:
	s_xor_b32 s12, exec_lo, -1
; %bb.675:
	s_or_b32 exec_lo, exec_lo, s14
	s_delay_alu instid0(SALU_CYCLE_1)
	s_and_b32 s12, s12, exec_lo
                                        ; implicit-def: $vgpr17
	s_or_saveexec_b32 s13, s13
	v_mov_b32_e32 v16, 0x7f800001
	s_xor_b32 exec_lo, exec_lo, s13
	s_cbranch_execz .LBB249_575
.LBB249_676:
	v_cmp_ne_u16_e32 vcc_lo, 0, v17
	v_mov_b32_e32 v16, 0
	s_and_not1_b32 s12, s12, exec_lo
	s_and_b32 s14, vcc_lo, exec_lo
	s_delay_alu instid0(SALU_CYCLE_1)
	s_or_b32 s12, s12, s14
	s_or_b32 exec_lo, exec_lo, s13
	s_and_saveexec_b32 s13, s12
	s_cbranch_execnz .LBB249_576
	s_branch .LBB249_577
.LBB249_677:
	s_mov_b32 s13, -1
	s_mov_b32 s15, exec_lo
	v_cmpx_eq_u16_e32 0x80, v10
; %bb.678:
	s_xor_b32 s13, exec_lo, -1
; %bb.679:
	s_or_b32 exec_lo, exec_lo, s15
	s_delay_alu instid0(SALU_CYCLE_1)
	s_and_b32 s13, s13, exec_lo
	s_or_saveexec_b32 s14, s14
	v_mov_b32_e32 v11, 0x7f800001
	s_xor_b32 exec_lo, exec_lo, s14
	s_cbranch_execz .LBB249_591
.LBB249_680:
	v_cmp_ne_u16_e32 vcc_lo, 0, v10
	v_mov_b32_e32 v11, 0
	s_and_not1_b32 s13, s13, exec_lo
	s_and_b32 s15, vcc_lo, exec_lo
	s_delay_alu instid0(SALU_CYCLE_1)
	s_or_b32 s13, s13, s15
	s_or_b32 exec_lo, exec_lo, s14
	s_and_saveexec_b32 s14, s13
	s_cbranch_execnz .LBB249_592
	s_branch .LBB249_593
.LBB249_681:
	s_mov_b32 s13, -1
	s_mov_b32 s15, exec_lo
	v_cmpx_eq_u16_e32 0x80, v15
; %bb.682:
	s_xor_b32 s13, exec_lo, -1
; %bb.683:
	s_or_b32 exec_lo, exec_lo, s15
	s_delay_alu instid0(SALU_CYCLE_1)
	s_and_b32 s13, s13, exec_lo
                                        ; implicit-def: $vgpr15
	s_or_saveexec_b32 s14, s14
	v_mov_b32_e32 v14, 0x7f800001
	s_xor_b32 exec_lo, exec_lo, s14
	s_cbranch_execz .LBB249_595
.LBB249_684:
	v_cmp_ne_u16_e32 vcc_lo, 0, v15
	v_mov_b32_e32 v14, 0
	s_and_not1_b32 s13, s13, exec_lo
	s_and_b32 s15, vcc_lo, exec_lo
	s_delay_alu instid0(SALU_CYCLE_1)
	s_or_b32 s13, s13, s15
	s_or_b32 exec_lo, exec_lo, s14
	s_and_saveexec_b32 s14, s13
	s_cbranch_execnz .LBB249_596
	s_branch .LBB249_597
.LBB249_685:
	s_mov_b32 s2, -1
	s_mov_b32 s4, exec_lo
	v_cmpx_eq_u16_e32 0x80, v8
; %bb.686:
	s_xor_b32 s2, exec_lo, -1
; %bb.687:
	s_or_b32 exec_lo, exec_lo, s4
	s_delay_alu instid0(SALU_CYCLE_1)
	s_and_b32 s2, s2, exec_lo
	s_or_saveexec_b32 s3, s3
	v_mov_b32_e32 v9, 0x7f800001
	s_xor_b32 exec_lo, exec_lo, s3
	s_cbranch_execz .LBB249_611
.LBB249_688:
	v_cmp_ne_u16_e32 vcc_lo, 0, v8
	v_mov_b32_e32 v9, 0
	s_and_not1_b32 s2, s2, exec_lo
	s_and_b32 s4, vcc_lo, exec_lo
	s_delay_alu instid0(SALU_CYCLE_1)
	s_or_b32 s2, s2, s4
	s_or_b32 exec_lo, exec_lo, s3
	s_and_saveexec_b32 s3, s2
	s_cbranch_execnz .LBB249_612
	s_branch .LBB249_613
.LBB249_689:
	s_mov_b32 s2, -1
	s_mov_b32 s4, exec_lo
	v_cmpx_eq_u16_e32 0x80, v13
; %bb.690:
	s_xor_b32 s2, exec_lo, -1
; %bb.691:
	s_or_b32 exec_lo, exec_lo, s4
	s_delay_alu instid0(SALU_CYCLE_1)
	s_and_b32 s2, s2, exec_lo
                                        ; implicit-def: $vgpr13
	s_or_saveexec_b32 s3, s3
	v_mov_b32_e32 v12, 0x7f800001
	s_xor_b32 exec_lo, exec_lo, s3
	s_cbranch_execz .LBB249_615
.LBB249_692:
	v_cmp_ne_u16_e32 vcc_lo, 0, v13
	v_mov_b32_e32 v12, 0
	s_and_not1_b32 s2, s2, exec_lo
	s_and_b32 s4, vcc_lo, exec_lo
	s_delay_alu instid0(SALU_CYCLE_1)
	s_or_b32 s2, s2, s4
	s_or_b32 exec_lo, exec_lo, s3
	s_and_saveexec_b32 s3, s2
	s_cbranch_execnz .LBB249_616
	s_branch .LBB249_617
.LBB249_693:
	s_mov_b32 s6, -1
	s_mov_b32 s9, exec_lo
	v_cmpx_eq_u16_e32 0x80, v23
; %bb.694:
	s_xor_b32 s6, exec_lo, -1
; %bb.695:
	s_or_b32 exec_lo, exec_lo, s9
	s_delay_alu instid0(SALU_CYCLE_1)
	s_and_b32 s6, s6, exec_lo
                                        ; implicit-def: $vgpr23
	s_or_saveexec_b32 s8, s8
	v_mov_b32_e32 v24, 0x7f800001
	s_xor_b32 exec_lo, exec_lo, s8
	s_cbranch_execz .LBB249_481
.LBB249_696:
	v_cmp_ne_u16_e32 vcc_lo, 0, v23
	v_mov_b32_e32 v24, 0
	s_and_not1_b32 s6, s6, exec_lo
	s_and_b32 s9, vcc_lo, exec_lo
	s_delay_alu instid0(SALU_CYCLE_1)
	s_or_b32 s6, s6, s9
	s_or_b32 exec_lo, exec_lo, s8
	s_and_saveexec_b32 s8, s6
	s_cbranch_execnz .LBB249_482
	s_branch .LBB249_483
.LBB249_697:
	s_mov_b32 s6, -1
	s_mov_b32 s9, exec_lo
	v_cmpx_eq_u16_e32 0x80, v25
; %bb.698:
	s_xor_b32 s6, exec_lo, -1
; %bb.699:
	s_or_b32 exec_lo, exec_lo, s9
	s_delay_alu instid0(SALU_CYCLE_1)
	s_and_b32 s6, s6, exec_lo
                                        ; implicit-def: $vgpr25
	s_or_saveexec_b32 s8, s8
	v_mov_b32_e32 v23, 0x7f800001
	s_xor_b32 exec_lo, exec_lo, s8
	s_cbranch_execz .LBB249_485
.LBB249_700:
	v_cmp_ne_u16_e32 vcc_lo, 0, v25
	v_mov_b32_e32 v23, 0
	s_and_not1_b32 s6, s6, exec_lo
	s_and_b32 s9, vcc_lo, exec_lo
	s_delay_alu instid0(SALU_CYCLE_1)
	s_or_b32 s6, s6, s9
	s_or_b32 exec_lo, exec_lo, s8
	s_and_saveexec_b32 s8, s6
	s_cbranch_execnz .LBB249_486
	s_branch .LBB249_487
.LBB249_701:
	s_mov_b32 s8, -1
	s_mov_b32 s10, exec_lo
	v_cmpx_eq_u16_e32 0x80, v20
; %bb.702:
	s_xor_b32 s8, exec_lo, -1
; %bb.703:
	s_or_b32 exec_lo, exec_lo, s10
	s_delay_alu instid0(SALU_CYCLE_1)
	s_and_b32 s8, s8, exec_lo
                                        ; implicit-def: $vgpr20
	s_or_saveexec_b32 s9, s9
	v_mov_b32_e32 v21, 0x7f800001
	s_xor_b32 exec_lo, exec_lo, s9
	s_cbranch_execz .LBB249_501
.LBB249_704:
	v_cmp_ne_u16_e32 vcc_lo, 0, v20
	v_mov_b32_e32 v21, 0
	s_and_not1_b32 s8, s8, exec_lo
	s_and_b32 s10, vcc_lo, exec_lo
	s_delay_alu instid0(SALU_CYCLE_1)
	s_or_b32 s8, s8, s10
	s_or_b32 exec_lo, exec_lo, s9
	s_and_saveexec_b32 s9, s8
	s_cbranch_execnz .LBB249_502
	s_branch .LBB249_503
.LBB249_705:
	s_mov_b32 s8, -1
	s_mov_b32 s10, exec_lo
	v_cmpx_eq_u16_e32 0x80, v23
; %bb.706:
	s_xor_b32 s8, exec_lo, -1
; %bb.707:
	s_or_b32 exec_lo, exec_lo, s10
	s_delay_alu instid0(SALU_CYCLE_1)
	s_and_b32 s8, s8, exec_lo
                                        ; implicit-def: $vgpr23
	s_or_saveexec_b32 s9, s9
	v_mov_b32_e32 v20, 0x7f800001
	s_xor_b32 exec_lo, exec_lo, s9
	s_cbranch_execz .LBB249_505
.LBB249_708:
	v_cmp_ne_u16_e32 vcc_lo, 0, v23
	v_mov_b32_e32 v20, 0
	s_and_not1_b32 s8, s8, exec_lo
	s_and_b32 s10, vcc_lo, exec_lo
	s_delay_alu instid0(SALU_CYCLE_1)
	s_or_b32 s8, s8, s10
	s_or_b32 exec_lo, exec_lo, s9
	s_and_saveexec_b32 s9, s8
	s_cbranch_execnz .LBB249_506
	s_branch .LBB249_507
.LBB249_709:
	s_mov_b32 s9, -1
	s_mov_b32 s11, exec_lo
	v_cmpx_eq_u16_e32 0x80, v18
; %bb.710:
	s_xor_b32 s9, exec_lo, -1
; %bb.711:
	s_or_b32 exec_lo, exec_lo, s11
	s_delay_alu instid0(SALU_CYCLE_1)
	s_and_b32 s9, s9, exec_lo
                                        ; implicit-def: $vgpr18
	s_or_saveexec_b32 s10, s10
	v_mov_b32_e32 v19, 0x7f800001
	s_xor_b32 exec_lo, exec_lo, s10
	s_cbranch_execz .LBB249_521
.LBB249_712:
	v_cmp_ne_u16_e32 vcc_lo, 0, v18
	v_mov_b32_e32 v19, 0
	s_and_not1_b32 s9, s9, exec_lo
	s_and_b32 s11, vcc_lo, exec_lo
	s_delay_alu instid0(SALU_CYCLE_1)
	s_or_b32 s9, s9, s11
	s_or_b32 exec_lo, exec_lo, s10
	s_and_saveexec_b32 s10, s9
	s_cbranch_execnz .LBB249_522
	s_branch .LBB249_523
.LBB249_713:
	s_mov_b32 s9, -1
	s_mov_b32 s11, exec_lo
	v_cmpx_eq_u16_e32 0x80, v21
; %bb.714:
	s_xor_b32 s9, exec_lo, -1
; %bb.715:
	s_or_b32 exec_lo, exec_lo, s11
	s_delay_alu instid0(SALU_CYCLE_1)
	s_and_b32 s9, s9, exec_lo
                                        ; implicit-def: $vgpr21
	s_or_saveexec_b32 s10, s10
	v_mov_b32_e32 v18, 0x7f800001
	s_xor_b32 exec_lo, exec_lo, s10
	s_cbranch_execz .LBB249_525
.LBB249_716:
	v_cmp_ne_u16_e32 vcc_lo, 0, v21
	v_mov_b32_e32 v18, 0
	s_and_not1_b32 s9, s9, exec_lo
	s_and_b32 s11, vcc_lo, exec_lo
	s_delay_alu instid0(SALU_CYCLE_1)
	s_or_b32 s9, s9, s11
	s_or_b32 exec_lo, exec_lo, s10
	s_and_saveexec_b32 s10, s9
	s_cbranch_execnz .LBB249_526
	s_branch .LBB249_527
.LBB249_717:
	s_mov_b32 s10, -1
	s_mov_b32 s12, exec_lo
	v_cmpx_eq_u16_e32 0x80, v16
; %bb.718:
	s_xor_b32 s10, exec_lo, -1
; %bb.719:
	s_or_b32 exec_lo, exec_lo, s12
	s_delay_alu instid0(SALU_CYCLE_1)
	s_and_b32 s10, s10, exec_lo
                                        ; implicit-def: $vgpr16
	s_or_saveexec_b32 s11, s11
	v_mov_b32_e32 v17, 0x7f800001
	s_xor_b32 exec_lo, exec_lo, s11
	s_cbranch_execz .LBB249_541
.LBB249_720:
	v_cmp_ne_u16_e32 vcc_lo, 0, v16
	v_mov_b32_e32 v17, 0
	s_and_not1_b32 s10, s10, exec_lo
	s_and_b32 s12, vcc_lo, exec_lo
	s_delay_alu instid0(SALU_CYCLE_1)
	s_or_b32 s10, s10, s12
	s_or_b32 exec_lo, exec_lo, s11
	s_and_saveexec_b32 s11, s10
	s_cbranch_execnz .LBB249_542
	s_branch .LBB249_543
.LBB249_721:
	s_mov_b32 s10, -1
	s_mov_b32 s12, exec_lo
	v_cmpx_eq_u16_e32 0x80, v19
; %bb.722:
	s_xor_b32 s10, exec_lo, -1
; %bb.723:
	s_or_b32 exec_lo, exec_lo, s12
	s_delay_alu instid0(SALU_CYCLE_1)
	s_and_b32 s10, s10, exec_lo
                                        ; implicit-def: $vgpr19
	s_or_saveexec_b32 s11, s11
	v_mov_b32_e32 v16, 0x7f800001
	s_xor_b32 exec_lo, exec_lo, s11
	s_cbranch_execz .LBB249_545
.LBB249_724:
	v_cmp_ne_u16_e32 vcc_lo, 0, v19
	v_mov_b32_e32 v16, 0
	s_and_not1_b32 s10, s10, exec_lo
	s_and_b32 s12, vcc_lo, exec_lo
	s_delay_alu instid0(SALU_CYCLE_1)
	s_or_b32 s10, s10, s12
	s_or_b32 exec_lo, exec_lo, s11
	s_and_saveexec_b32 s11, s10
	s_cbranch_execnz .LBB249_546
	s_branch .LBB249_547
.LBB249_725:
	s_mov_b32 s11, -1
	s_mov_b32 s13, exec_lo
	v_cmpx_eq_u16_e32 0x80, v14
; %bb.726:
	s_xor_b32 s11, exec_lo, -1
; %bb.727:
	s_or_b32 exec_lo, exec_lo, s13
	s_delay_alu instid0(SALU_CYCLE_1)
	s_and_b32 s11, s11, exec_lo
                                        ; implicit-def: $vgpr14
	s_or_saveexec_b32 s12, s12
	v_mov_b32_e32 v15, 0x7f800001
	s_xor_b32 exec_lo, exec_lo, s12
	s_cbranch_execz .LBB249_561
.LBB249_728:
	v_cmp_ne_u16_e32 vcc_lo, 0, v14
	v_mov_b32_e32 v15, 0
	s_and_not1_b32 s11, s11, exec_lo
	s_and_b32 s13, vcc_lo, exec_lo
	s_delay_alu instid0(SALU_CYCLE_1)
	s_or_b32 s11, s11, s13
	s_or_b32 exec_lo, exec_lo, s12
	s_and_saveexec_b32 s12, s11
	s_cbranch_execnz .LBB249_562
	s_branch .LBB249_563
.LBB249_729:
	s_mov_b32 s11, -1
	s_mov_b32 s13, exec_lo
	v_cmpx_eq_u16_e32 0x80, v17
; %bb.730:
	s_xor_b32 s11, exec_lo, -1
; %bb.731:
	s_or_b32 exec_lo, exec_lo, s13
	s_delay_alu instid0(SALU_CYCLE_1)
	s_and_b32 s11, s11, exec_lo
                                        ; implicit-def: $vgpr17
	s_or_saveexec_b32 s12, s12
	v_mov_b32_e32 v14, 0x7f800001
	s_xor_b32 exec_lo, exec_lo, s12
	s_cbranch_execz .LBB249_565
.LBB249_732:
	v_cmp_ne_u16_e32 vcc_lo, 0, v17
	v_mov_b32_e32 v14, 0
	s_and_not1_b32 s11, s11, exec_lo
	s_and_b32 s13, vcc_lo, exec_lo
	s_delay_alu instid0(SALU_CYCLE_1)
	s_or_b32 s11, s11, s13
	s_or_b32 exec_lo, exec_lo, s12
	s_and_saveexec_b32 s12, s11
	s_cbranch_execnz .LBB249_566
	s_branch .LBB249_567
.LBB249_733:
	s_mov_b32 s12, -1
	s_mov_b32 s14, exec_lo
	v_cmpx_eq_u16_e32 0x80, v12
; %bb.734:
	s_xor_b32 s12, exec_lo, -1
; %bb.735:
	s_or_b32 exec_lo, exec_lo, s14
	s_delay_alu instid0(SALU_CYCLE_1)
	s_and_b32 s12, s12, exec_lo
                                        ; implicit-def: $vgpr12
	s_or_saveexec_b32 s13, s13
	v_mov_b32_e32 v13, 0x7f800001
	s_xor_b32 exec_lo, exec_lo, s13
	s_cbranch_execz .LBB249_581
.LBB249_736:
	v_cmp_ne_u16_e32 vcc_lo, 0, v12
	v_mov_b32_e32 v13, 0
	s_and_not1_b32 s12, s12, exec_lo
	s_and_b32 s14, vcc_lo, exec_lo
	s_delay_alu instid0(SALU_CYCLE_1)
	s_or_b32 s12, s12, s14
	s_or_b32 exec_lo, exec_lo, s13
	s_and_saveexec_b32 s13, s12
	s_cbranch_execnz .LBB249_582
	s_branch .LBB249_583
.LBB249_737:
	s_mov_b32 s12, -1
	s_mov_b32 s14, exec_lo
	v_cmpx_eq_u16_e32 0x80, v15
; %bb.738:
	s_xor_b32 s12, exec_lo, -1
; %bb.739:
	s_or_b32 exec_lo, exec_lo, s14
	s_delay_alu instid0(SALU_CYCLE_1)
	s_and_b32 s12, s12, exec_lo
                                        ; implicit-def: $vgpr15
	s_or_saveexec_b32 s13, s13
	v_mov_b32_e32 v12, 0x7f800001
	s_xor_b32 exec_lo, exec_lo, s13
	s_cbranch_execz .LBB249_585
.LBB249_740:
	v_cmp_ne_u16_e32 vcc_lo, 0, v15
	v_mov_b32_e32 v12, 0
	s_and_not1_b32 s12, s12, exec_lo
	s_and_b32 s14, vcc_lo, exec_lo
	s_delay_alu instid0(SALU_CYCLE_1)
	s_or_b32 s12, s12, s14
	s_or_b32 exec_lo, exec_lo, s13
	s_and_saveexec_b32 s13, s12
	s_cbranch_execnz .LBB249_586
	s_branch .LBB249_587
.LBB249_741:
	s_mov_b32 s13, -1
	s_mov_b32 s15, exec_lo
	v_cmpx_eq_u16_e32 0x80, v10
; %bb.742:
	s_xor_b32 s13, exec_lo, -1
; %bb.743:
	s_or_b32 exec_lo, exec_lo, s15
	s_delay_alu instid0(SALU_CYCLE_1)
	s_and_b32 s13, s13, exec_lo
                                        ; implicit-def: $vgpr10
	s_or_saveexec_b32 s14, s14
	v_mov_b32_e32 v11, 0x7f800001
	s_xor_b32 exec_lo, exec_lo, s14
	s_cbranch_execz .LBB249_601
.LBB249_744:
	v_cmp_ne_u16_e32 vcc_lo, 0, v10
	v_mov_b32_e32 v11, 0
	s_and_not1_b32 s13, s13, exec_lo
	s_and_b32 s15, vcc_lo, exec_lo
	s_delay_alu instid0(SALU_CYCLE_1)
	s_or_b32 s13, s13, s15
	s_or_b32 exec_lo, exec_lo, s14
	s_and_saveexec_b32 s14, s13
	s_cbranch_execnz .LBB249_602
	s_branch .LBB249_603
.LBB249_745:
	s_mov_b32 s13, -1
	s_mov_b32 s15, exec_lo
	v_cmpx_eq_u16_e32 0x80, v13
; %bb.746:
	s_xor_b32 s13, exec_lo, -1
; %bb.747:
	s_or_b32 exec_lo, exec_lo, s15
	s_delay_alu instid0(SALU_CYCLE_1)
	s_and_b32 s13, s13, exec_lo
                                        ; implicit-def: $vgpr13
	s_or_saveexec_b32 s14, s14
	v_mov_b32_e32 v10, 0x7f800001
	s_xor_b32 exec_lo, exec_lo, s14
	s_cbranch_execz .LBB249_605
.LBB249_748:
	v_cmp_ne_u16_e32 vcc_lo, 0, v13
	v_mov_b32_e32 v10, 0
	s_and_not1_b32 s13, s13, exec_lo
	s_and_b32 s15, vcc_lo, exec_lo
	s_delay_alu instid0(SALU_CYCLE_1)
	s_or_b32 s13, s13, s15
	s_or_b32 exec_lo, exec_lo, s14
	s_and_saveexec_b32 s14, s13
	s_cbranch_execnz .LBB249_606
	s_branch .LBB249_607
.LBB249_749:
	s_mov_b32 s2, -1
	s_mov_b32 s4, exec_lo
	v_cmpx_eq_u16_e32 0x80, v8
; %bb.750:
	s_xor_b32 s2, exec_lo, -1
; %bb.751:
	s_or_b32 exec_lo, exec_lo, s4
	s_delay_alu instid0(SALU_CYCLE_1)
	s_and_b32 s2, s2, exec_lo
                                        ; implicit-def: $vgpr8
	s_or_saveexec_b32 s3, s3
	v_mov_b32_e32 v9, 0x7f800001
	s_xor_b32 exec_lo, exec_lo, s3
	s_cbranch_execz .LBB249_621
.LBB249_752:
	v_cmp_ne_u16_e32 vcc_lo, 0, v8
	v_mov_b32_e32 v9, 0
	s_and_not1_b32 s2, s2, exec_lo
	s_and_b32 s4, vcc_lo, exec_lo
	s_delay_alu instid0(SALU_CYCLE_1)
	s_or_b32 s2, s2, s4
	s_or_b32 exec_lo, exec_lo, s3
	s_and_saveexec_b32 s3, s2
	s_cbranch_execnz .LBB249_622
	s_branch .LBB249_623
.LBB249_753:
	s_mov_b32 s2, -1
	s_mov_b32 s4, exec_lo
	v_cmpx_eq_u16_e32 0x80, v11
; %bb.754:
	s_xor_b32 s2, exec_lo, -1
; %bb.755:
	s_or_b32 exec_lo, exec_lo, s4
	s_delay_alu instid0(SALU_CYCLE_1)
	s_and_b32 s2, s2, exec_lo
                                        ; implicit-def: $vgpr11
	s_or_saveexec_b32 s3, s3
	v_mov_b32_e32 v8, 0x7f800001
	s_xor_b32 exec_lo, exec_lo, s3
	s_cbranch_execz .LBB249_625
.LBB249_756:
	v_cmp_ne_u16_e32 vcc_lo, 0, v11
	v_mov_b32_e32 v8, 0
	s_and_not1_b32 s2, s2, exec_lo
	s_and_b32 s4, vcc_lo, exec_lo
	s_delay_alu instid0(SALU_CYCLE_1)
	s_or_b32 s2, s2, s4
	s_or_b32 exec_lo, exec_lo, s3
	s_and_saveexec_b32 s3, s2
	s_cbranch_execnz .LBB249_626
	s_branch .LBB249_627
.LBB249_757:
	s_mov_b32 s2, -1
	s_mov_b32 s4, exec_lo
	v_cmpx_eq_u16_e32 0x80, v2
; %bb.758:
	s_xor_b32 s2, exec_lo, -1
; %bb.759:
	s_or_b32 exec_lo, exec_lo, s4
	s_delay_alu instid0(SALU_CYCLE_1)
	s_and_b32 s2, s2, exec_lo
	s_or_saveexec_b32 s3, s3
	v_mov_b32_e32 v3, 0x7f800001
	s_xor_b32 exec_lo, exec_lo, s3
	s_cbranch_execz .LBB249_359
.LBB249_760:
	v_cmp_ne_u16_e32 vcc_lo, 0, v2
	v_mov_b32_e32 v3, 0
	s_and_not1_b32 s2, s2, exec_lo
	s_and_b32 s4, vcc_lo, exec_lo
	s_delay_alu instid0(SALU_CYCLE_1)
	s_or_b32 s2, s2, s4
	s_or_b32 exec_lo, exec_lo, s3
	s_and_saveexec_b32 s3, s2
	s_cbranch_execnz .LBB249_360
	s_branch .LBB249_361
.LBB249_761:
	s_mov_b32 s2, -1
	s_mov_b32 s4, exec_lo
	v_cmpx_eq_u16_e32 0x80, v6
; %bb.762:
	s_xor_b32 s2, exec_lo, -1
; %bb.763:
	s_or_b32 exec_lo, exec_lo, s4
	s_delay_alu instid0(SALU_CYCLE_1)
	s_and_b32 s2, s2, exec_lo
                                        ; implicit-def: $vgpr6
	s_or_saveexec_b32 s3, s3
	v_mov_b32_e32 v5, 0x7f800001
	s_xor_b32 exec_lo, exec_lo, s3
	s_cbranch_execz .LBB249_363
.LBB249_764:
	v_cmp_ne_u16_e32 vcc_lo, 0, v6
	v_mov_b32_e32 v5, 0
	s_and_not1_b32 s2, s2, exec_lo
	s_and_b32 s4, vcc_lo, exec_lo
	s_delay_alu instid0(SALU_CYCLE_1)
	s_or_b32 s2, s2, s4
	s_or_b32 exec_lo, exec_lo, s3
	s_and_saveexec_b32 s3, s2
	s_cbranch_execnz .LBB249_364
	s_branch .LBB249_365
.LBB249_765:
	s_mov_b32 s2, -1
	s_mov_b32 s4, exec_lo
	v_cmpx_eq_u16_e32 0x80, v2
; %bb.766:
	s_xor_b32 s2, exec_lo, -1
; %bb.767:
	s_or_b32 exec_lo, exec_lo, s4
	s_delay_alu instid0(SALU_CYCLE_1)
	s_and_b32 s2, s2, exec_lo
                                        ; implicit-def: $vgpr2
	s_or_saveexec_b32 s3, s3
	v_mov_b32_e32 v3, 0x7f800001
	s_xor_b32 exec_lo, exec_lo, s3
	s_cbranch_execz .LBB249_369
.LBB249_768:
	v_cmp_ne_u16_e32 vcc_lo, 0, v2
	v_mov_b32_e32 v3, 0
	s_and_not1_b32 s2, s2, exec_lo
	s_and_b32 s4, vcc_lo, exec_lo
	s_delay_alu instid0(SALU_CYCLE_1)
	s_or_b32 s2, s2, s4
	s_or_b32 exec_lo, exec_lo, s3
	s_and_saveexec_b32 s3, s2
	s_cbranch_execnz .LBB249_370
	s_branch .LBB249_371
.LBB249_769:
	s_mov_b32 s2, -1
	s_mov_b32 s4, exec_lo
	v_cmpx_eq_u16_e32 0x80, v2
; %bb.770:
	s_xor_b32 s2, exec_lo, -1
; %bb.771:
	s_or_b32 exec_lo, exec_lo, s4
	s_delay_alu instid0(SALU_CYCLE_1)
	s_and_b32 s2, s2, exec_lo
                                        ; implicit-def: $vgpr2
	s_or_saveexec_b32 s3, s3
	v_mov_b32_e32 v1, 0x7f800001
	s_xor_b32 exec_lo, exec_lo, s3
	s_cbranch_execz .LBB249_373
.LBB249_772:
	v_cmp_ne_u16_e32 vcc_lo, 0, v2
	v_mov_b32_e32 v1, 0
	s_and_not1_b32 s2, s2, exec_lo
	s_and_b32 s4, vcc_lo, exec_lo
	s_delay_alu instid0(SALU_CYCLE_1)
	s_or_b32 s2, s2, s4
	s_or_b32 exec_lo, exec_lo, s3
	s_and_saveexec_b32 s3, s2
	s_cbranch_execnz .LBB249_374
	s_branch .LBB249_375
	.section	.rodata,"a",@progbits
	.p2align	6, 0x0
	.amdhsa_kernel _ZN2at6native32elementwise_kernel_manual_unrollILi128ELi8EZNS0_22gpu_kernel_impl_nocastINS0_13BinaryFunctorIN3c1015Float8_e5m2fnuzES5_bNS0_12_GLOBAL__N_116CompareEqFunctorIS5_EEEEEEvRNS_18TensorIteratorBaseERKT_EUlibE_EEviT1_
		.amdhsa_group_segment_fixed_size 0
		.amdhsa_private_segment_fixed_size 0
		.amdhsa_kernarg_size 432
		.amdhsa_user_sgpr_count 2
		.amdhsa_user_sgpr_dispatch_ptr 0
		.amdhsa_user_sgpr_queue_ptr 0
		.amdhsa_user_sgpr_kernarg_segment_ptr 1
		.amdhsa_user_sgpr_dispatch_id 0
		.amdhsa_user_sgpr_kernarg_preload_length 0
		.amdhsa_user_sgpr_kernarg_preload_offset 0
		.amdhsa_user_sgpr_private_segment_size 0
		.amdhsa_wavefront_size32 1
		.amdhsa_uses_dynamic_stack 0
		.amdhsa_enable_private_segment 0
		.amdhsa_system_sgpr_workgroup_id_x 1
		.amdhsa_system_sgpr_workgroup_id_y 0
		.amdhsa_system_sgpr_workgroup_id_z 0
		.amdhsa_system_sgpr_workgroup_info 0
		.amdhsa_system_vgpr_workitem_id 0
		.amdhsa_next_free_vgpr 31
		.amdhsa_next_free_sgpr 46
		.amdhsa_named_barrier_count 0
		.amdhsa_reserve_vcc 1
		.amdhsa_float_round_mode_32 0
		.amdhsa_float_round_mode_16_64 0
		.amdhsa_float_denorm_mode_32 3
		.amdhsa_float_denorm_mode_16_64 3
		.amdhsa_fp16_overflow 0
		.amdhsa_memory_ordered 1
		.amdhsa_forward_progress 1
		.amdhsa_inst_pref_size 229
		.amdhsa_round_robin_scheduling 0
		.amdhsa_exception_fp_ieee_invalid_op 0
		.amdhsa_exception_fp_denorm_src 0
		.amdhsa_exception_fp_ieee_div_zero 0
		.amdhsa_exception_fp_ieee_overflow 0
		.amdhsa_exception_fp_ieee_underflow 0
		.amdhsa_exception_fp_ieee_inexact 0
		.amdhsa_exception_int_div_zero 0
	.end_amdhsa_kernel
	.section	.text._ZN2at6native32elementwise_kernel_manual_unrollILi128ELi8EZNS0_22gpu_kernel_impl_nocastINS0_13BinaryFunctorIN3c1015Float8_e5m2fnuzES5_bNS0_12_GLOBAL__N_116CompareEqFunctorIS5_EEEEEEvRNS_18TensorIteratorBaseERKT_EUlibE_EEviT1_,"axG",@progbits,_ZN2at6native32elementwise_kernel_manual_unrollILi128ELi8EZNS0_22gpu_kernel_impl_nocastINS0_13BinaryFunctorIN3c1015Float8_e5m2fnuzES5_bNS0_12_GLOBAL__N_116CompareEqFunctorIS5_EEEEEEvRNS_18TensorIteratorBaseERKT_EUlibE_EEviT1_,comdat
.Lfunc_end249:
	.size	_ZN2at6native32elementwise_kernel_manual_unrollILi128ELi8EZNS0_22gpu_kernel_impl_nocastINS0_13BinaryFunctorIN3c1015Float8_e5m2fnuzES5_bNS0_12_GLOBAL__N_116CompareEqFunctorIS5_EEEEEEvRNS_18TensorIteratorBaseERKT_EUlibE_EEviT1_, .Lfunc_end249-_ZN2at6native32elementwise_kernel_manual_unrollILi128ELi8EZNS0_22gpu_kernel_impl_nocastINS0_13BinaryFunctorIN3c1015Float8_e5m2fnuzES5_bNS0_12_GLOBAL__N_116CompareEqFunctorIS5_EEEEEEvRNS_18TensorIteratorBaseERKT_EUlibE_EEviT1_
                                        ; -- End function
	.set _ZN2at6native32elementwise_kernel_manual_unrollILi128ELi8EZNS0_22gpu_kernel_impl_nocastINS0_13BinaryFunctorIN3c1015Float8_e5m2fnuzES5_bNS0_12_GLOBAL__N_116CompareEqFunctorIS5_EEEEEEvRNS_18TensorIteratorBaseERKT_EUlibE_EEviT1_.num_vgpr, 31
	.set _ZN2at6native32elementwise_kernel_manual_unrollILi128ELi8EZNS0_22gpu_kernel_impl_nocastINS0_13BinaryFunctorIN3c1015Float8_e5m2fnuzES5_bNS0_12_GLOBAL__N_116CompareEqFunctorIS5_EEEEEEvRNS_18TensorIteratorBaseERKT_EUlibE_EEviT1_.num_agpr, 0
	.set _ZN2at6native32elementwise_kernel_manual_unrollILi128ELi8EZNS0_22gpu_kernel_impl_nocastINS0_13BinaryFunctorIN3c1015Float8_e5m2fnuzES5_bNS0_12_GLOBAL__N_116CompareEqFunctorIS5_EEEEEEvRNS_18TensorIteratorBaseERKT_EUlibE_EEviT1_.numbered_sgpr, 46
	.set _ZN2at6native32elementwise_kernel_manual_unrollILi128ELi8EZNS0_22gpu_kernel_impl_nocastINS0_13BinaryFunctorIN3c1015Float8_e5m2fnuzES5_bNS0_12_GLOBAL__N_116CompareEqFunctorIS5_EEEEEEvRNS_18TensorIteratorBaseERKT_EUlibE_EEviT1_.num_named_barrier, 0
	.set _ZN2at6native32elementwise_kernel_manual_unrollILi128ELi8EZNS0_22gpu_kernel_impl_nocastINS0_13BinaryFunctorIN3c1015Float8_e5m2fnuzES5_bNS0_12_GLOBAL__N_116CompareEqFunctorIS5_EEEEEEvRNS_18TensorIteratorBaseERKT_EUlibE_EEviT1_.private_seg_size, 0
	.set _ZN2at6native32elementwise_kernel_manual_unrollILi128ELi8EZNS0_22gpu_kernel_impl_nocastINS0_13BinaryFunctorIN3c1015Float8_e5m2fnuzES5_bNS0_12_GLOBAL__N_116CompareEqFunctorIS5_EEEEEEvRNS_18TensorIteratorBaseERKT_EUlibE_EEviT1_.uses_vcc, 1
	.set _ZN2at6native32elementwise_kernel_manual_unrollILi128ELi8EZNS0_22gpu_kernel_impl_nocastINS0_13BinaryFunctorIN3c1015Float8_e5m2fnuzES5_bNS0_12_GLOBAL__N_116CompareEqFunctorIS5_EEEEEEvRNS_18TensorIteratorBaseERKT_EUlibE_EEviT1_.uses_flat_scratch, 0
	.set _ZN2at6native32elementwise_kernel_manual_unrollILi128ELi8EZNS0_22gpu_kernel_impl_nocastINS0_13BinaryFunctorIN3c1015Float8_e5m2fnuzES5_bNS0_12_GLOBAL__N_116CompareEqFunctorIS5_EEEEEEvRNS_18TensorIteratorBaseERKT_EUlibE_EEviT1_.has_dyn_sized_stack, 0
	.set _ZN2at6native32elementwise_kernel_manual_unrollILi128ELi8EZNS0_22gpu_kernel_impl_nocastINS0_13BinaryFunctorIN3c1015Float8_e5m2fnuzES5_bNS0_12_GLOBAL__N_116CompareEqFunctorIS5_EEEEEEvRNS_18TensorIteratorBaseERKT_EUlibE_EEviT1_.has_recursion, 0
	.set _ZN2at6native32elementwise_kernel_manual_unrollILi128ELi8EZNS0_22gpu_kernel_impl_nocastINS0_13BinaryFunctorIN3c1015Float8_e5m2fnuzES5_bNS0_12_GLOBAL__N_116CompareEqFunctorIS5_EEEEEEvRNS_18TensorIteratorBaseERKT_EUlibE_EEviT1_.has_indirect_call, 0
	.section	.AMDGPU.csdata,"",@progbits
; Kernel info:
; codeLenInByte = 29220
; TotalNumSgprs: 48
; NumVgprs: 31
; ScratchSize: 0
; MemoryBound: 0
; FloatMode: 240
; IeeeMode: 1
; LDSByteSize: 0 bytes/workgroup (compile time only)
; SGPRBlocks: 0
; VGPRBlocks: 1
; NumSGPRsForWavesPerEU: 48
; NumVGPRsForWavesPerEU: 31
; NamedBarCnt: 0
; Occupancy: 16
; WaveLimiterHint : 1
; COMPUTE_PGM_RSRC2:SCRATCH_EN: 0
; COMPUTE_PGM_RSRC2:USER_SGPR: 2
; COMPUTE_PGM_RSRC2:TRAP_HANDLER: 0
; COMPUTE_PGM_RSRC2:TGID_X_EN: 1
; COMPUTE_PGM_RSRC2:TGID_Y_EN: 0
; COMPUTE_PGM_RSRC2:TGID_Z_EN: 0
; COMPUTE_PGM_RSRC2:TIDIG_COMP_CNT: 0
	.text
	.p2align	2                               ; -- Begin function _ZN2at6native6invokeINS0_13BinaryFunctorIN3c1015Float8_e5m2fnuzES4_bNS0_12_GLOBAL__N_116CompareEqFunctorIS4_EEEEi15function_traitsIS8_EEENT1_11result_typeERKT_PrKPcPKT0_PKNS3_10ScalarTypeEi
	.type	_ZN2at6native6invokeINS0_13BinaryFunctorIN3c1015Float8_e5m2fnuzES4_bNS0_12_GLOBAL__N_116CompareEqFunctorIS4_EEEEi15function_traitsIS8_EEENT1_11result_typeERKT_PrKPcPKT0_PKNS3_10ScalarTypeEi,@function
_ZN2at6native6invokeINS0_13BinaryFunctorIN3c1015Float8_e5m2fnuzES4_bNS0_12_GLOBAL__N_116CompareEqFunctorIS4_EEEEi15function_traitsIS8_EEENT1_11result_typeERKT_PrKPcPKT0_PKNS3_10ScalarTypeEi: ; @_ZN2at6native6invokeINS0_13BinaryFunctorIN3c1015Float8_e5m2fnuzES4_bNS0_12_GLOBAL__N_116CompareEqFunctorIS4_EEEEi15function_traitsIS8_EEENT1_11result_typeERKT_PrKPcPKT0_PKNS3_10ScalarTypeEi
; %bb.0:
	s_wait_loadcnt_dscnt 0x0
	s_wait_kmcnt 0x0
	v_dual_mov_b32 v9, v6 :: v_dual_mov_b32 v8, v5
	v_dual_mov_b32 v5, v4 :: v_dual_mov_b32 v4, v3
	;; [unrolled: 1-line block ×3, first 2 shown]
	flat_load_b32 v1, v[4:5]
	flat_load_b64 v[10:11], v[2:3]
	flat_load_u8 v6, v[8:9]
	s_mov_b32 s3, 0
	s_mov_b32 s0, 0
	s_mov_b32 s1, exec_lo
	s_wait_loadcnt_dscnt 0x202
	v_mul_lo_u32 v12, v1, v7
                                        ; implicit-def: $vgpr1
	s_delay_alu instid0(VALU_DEP_1) | instskip(SKIP_1) | instid1(VALU_DEP_1)
	v_ashrrev_i32_e32 v13, 31, v12
	s_wait_loadcnt_dscnt 0x101
	v_add_nc_u64_e32 v[10:11], v[10:11], v[12:13]
	s_wait_loadcnt_dscnt 0x0
	v_cmpx_lt_i16_e32 10, v6
	s_xor_b32 s1, exec_lo, s1
	s_cbranch_execz .LBB250_13
; %bb.1:
	s_mov_b32 s4, 0
	s_mov_b32 s2, exec_lo
                                        ; implicit-def: $vgpr1
	v_cmpx_lt_i16_e32 25, v6
	s_xor_b32 s2, exec_lo, s2
	s_cbranch_execnz .LBB250_268
; %bb.2:
	s_and_not1_saveexec_b32 s2, s2
	s_cbranch_execnz .LBB250_335
.LBB250_3:
	s_or_b32 exec_lo, exec_lo, s2
	s_mov_b32 s2, 0
	s_and_saveexec_b32 s5, s4
	s_cbranch_execnz .LBB250_372
.LBB250_4:
	s_or_b32 exec_lo, exec_lo, s5
	s_and_saveexec_b32 s4, s0
	s_delay_alu instid0(SALU_CYCLE_1)
	s_xor_b32 s0, exec_lo, s4
	s_cbranch_execz .LBB250_12
.LBB250_5:
	s_wait_loadcnt_dscnt 0x0
	flat_load_u8 v1, v[10:11]
	s_mov_b32 s5, 0
	s_mov_b32 s4, exec_lo
	s_wait_loadcnt_dscnt 0x0
	v_cmp_ne_u16_e32 vcc_lo, 0, v1
	v_mov_b32_e32 v1, 0x80
	s_wait_xcnt 0x0
	v_cndmask_b32_e64 v10, 0, 1.0, vcc_lo
	s_delay_alu instid0(VALU_DEP_1)
	v_cmpx_gt_u32_e32 0x47800000, v10
	s_cbranch_execz .LBB250_11
; %bb.6:
	s_mov_b32 s6, exec_lo
                                        ; implicit-def: $vgpr6
	v_cmpx_lt_u32_e32 0x37ffffff, v10
	s_xor_b32 s6, exec_lo, s6
	s_cbranch_execnz .LBB250_496
; %bb.7:
	s_and_not1_saveexec_b32 s6, s6
	s_cbranch_execnz .LBB250_497
.LBB250_8:
	s_or_b32 exec_lo, exec_lo, s6
	v_mov_b32_e32 v1, 0
	s_and_saveexec_b32 s6, s5
.LBB250_9:
	v_mov_b32_e32 v1, v6
.LBB250_10:
	s_or_b32 exec_lo, exec_lo, s6
.LBB250_11:
	s_delay_alu instid0(SALU_CYCLE_1) | instskip(NEXT) | instid1(SALU_CYCLE_1)
	s_or_b32 exec_lo, exec_lo, s4
	s_or_b32 s3, s3, exec_lo
.LBB250_12:
	s_or_b32 exec_lo, exec_lo, s0
	s_delay_alu instid0(SALU_CYCLE_1)
	s_and_b32 s0, s2, exec_lo
	s_and_b32 s3, s3, exec_lo
                                        ; implicit-def: $vgpr6
                                        ; implicit-def: $vgpr10_vgpr11
.LBB250_13:
	s_and_not1_saveexec_b32 s1, s1
	s_cbranch_execz .LBB250_121
; %bb.14:
	s_mov_b32 s2, exec_lo
                                        ; implicit-def: $vgpr1
	v_cmpx_lt_i16_e32 4, v6
	s_xor_b32 s2, exec_lo, s2
	s_cbranch_execz .LBB250_72
; %bb.15:
	s_mov_b32 s4, exec_lo
                                        ; implicit-def: $vgpr1
	v_cmpx_lt_i16_e32 7, v6
	s_xor_b32 s4, exec_lo, s4
	;; [unrolled: 6-line block ×4, first 2 shown]
	s_cbranch_execz .LBB250_25
; %bb.18:
	flat_load_b64 v[10:11], v[10:11]
	s_wait_loadcnt_dscnt 0x101
	v_mov_b32_e32 v1, 0x80
	s_mov_b32 s7, exec_lo
	s_wait_loadcnt_dscnt 0x0
	v_cvt_f32_f64_e32 v6, v[10:11]
	s_wait_xcnt 0x0
	s_delay_alu instid0(VALU_DEP_1) | instskip(NEXT) | instid1(VALU_DEP_1)
	v_and_b32_e32 v10, 0x7fffffff, v6
	v_cmpx_gt_u32_e32 0x47800000, v10
	s_cbranch_execz .LBB250_24
; %bb.19:
	v_cmp_lt_u32_e32 vcc_lo, 0x37ffffff, v10
	s_mov_b32 s8, 0
                                        ; implicit-def: $vgpr10
	s_and_saveexec_b32 s9, vcc_lo
	s_delay_alu instid0(SALU_CYCLE_1)
	s_xor_b32 s9, exec_lo, s9
	s_cbranch_execnz .LBB250_530
; %bb.20:
	s_and_not1_saveexec_b32 s9, s9
	s_cbranch_execnz .LBB250_531
.LBB250_21:
	s_or_b32 exec_lo, exec_lo, s9
	v_mov_b32_e32 v1, 0
	s_and_saveexec_b32 s9, s8
.LBB250_22:
	v_lshrrev_b32_e32 v1, 24, v6
	s_delay_alu instid0(VALU_DEP_1)
	v_and_or_b32 v1, 0x80, v1, v10
.LBB250_23:
	s_or_b32 exec_lo, exec_lo, s9
.LBB250_24:
	s_delay_alu instid0(SALU_CYCLE_1)
	s_or_b32 exec_lo, exec_lo, s7
                                        ; implicit-def: $vgpr10_vgpr11
.LBB250_25:
	s_and_not1_saveexec_b32 s6, s6
	s_cbranch_execz .LBB250_33
; %bb.26:
	flat_load_b32 v6, v[10:11]
	s_wait_loadcnt_dscnt 0x101
	v_mov_b32_e32 v1, 0x80
	s_mov_b32 s7, exec_lo
	s_wait_loadcnt_dscnt 0x0
	v_and_b32_e32 v10, 0x7fffffff, v6
	s_delay_alu instid0(VALU_DEP_1)
	v_cmpx_gt_u32_e32 0x47800000, v10
	s_cbranch_execz .LBB250_32
; %bb.27:
	v_cmp_lt_u32_e32 vcc_lo, 0x37ffffff, v10
	s_mov_b32 s8, 0
                                        ; implicit-def: $vgpr10
	s_and_saveexec_b32 s9, vcc_lo
	s_delay_alu instid0(SALU_CYCLE_1)
	s_xor_b32 s9, exec_lo, s9
	s_cbranch_execnz .LBB250_532
; %bb.28:
	s_and_not1_saveexec_b32 s9, s9
	s_cbranch_execnz .LBB250_533
.LBB250_29:
	s_or_b32 exec_lo, exec_lo, s9
	v_mov_b32_e32 v1, 0
	s_and_saveexec_b32 s9, s8
.LBB250_30:
	v_lshrrev_b32_e32 v1, 24, v6
	s_delay_alu instid0(VALU_DEP_1)
	v_and_or_b32 v1, 0x80, v1, v10
.LBB250_31:
	s_or_b32 exec_lo, exec_lo, s9
.LBB250_32:
	s_delay_alu instid0(SALU_CYCLE_1)
	s_or_b32 exec_lo, exec_lo, s7
.LBB250_33:
	s_delay_alu instid0(SALU_CYCLE_1)
	s_or_b32 exec_lo, exec_lo, s6
                                        ; implicit-def: $vgpr10_vgpr11
.LBB250_34:
	s_and_not1_saveexec_b32 s5, s5
	s_cbranch_execz .LBB250_42
; %bb.35:
	s_wait_loadcnt_dscnt 0x0
	flat_load_b32 v1, v[10:11]
	s_mov_b32 s6, exec_lo
	s_wait_loadcnt_dscnt 0x0
	v_cvt_f32_f16_e32 v6, v1
	v_mov_b32_e32 v1, 0x80
	s_wait_xcnt 0x0
	s_delay_alu instid0(VALU_DEP_2) | instskip(NEXT) | instid1(VALU_DEP_1)
	v_and_b32_e32 v10, 0x7fffffff, v6
	v_cmpx_gt_u32_e32 0x47800000, v10
	s_cbranch_execz .LBB250_41
; %bb.36:
	v_cmp_lt_u32_e32 vcc_lo, 0x37ffffff, v10
	s_mov_b32 s7, 0
                                        ; implicit-def: $vgpr10
	s_and_saveexec_b32 s8, vcc_lo
	s_delay_alu instid0(SALU_CYCLE_1)
	s_xor_b32 s8, exec_lo, s8
	s_cbranch_execnz .LBB250_502
; %bb.37:
	s_and_not1_saveexec_b32 s8, s8
	s_cbranch_execnz .LBB250_503
.LBB250_38:
	s_or_b32 exec_lo, exec_lo, s8
	v_mov_b32_e32 v1, 0
	s_and_saveexec_b32 s8, s7
.LBB250_39:
	v_lshrrev_b32_e32 v1, 24, v6
	s_delay_alu instid0(VALU_DEP_1)
	v_and_or_b32 v1, 0x80, v1, v10
.LBB250_40:
	s_or_b32 exec_lo, exec_lo, s8
.LBB250_41:
	s_delay_alu instid0(SALU_CYCLE_1)
	s_or_b32 exec_lo, exec_lo, s6
.LBB250_42:
	s_delay_alu instid0(SALU_CYCLE_1)
	s_or_b32 exec_lo, exec_lo, s5
                                        ; implicit-def: $vgpr6
                                        ; implicit-def: $vgpr10_vgpr11
.LBB250_43:
	s_and_not1_saveexec_b32 s4, s4
	s_cbranch_execz .LBB250_71
; %bb.44:
	s_mov_b32 s5, exec_lo
                                        ; implicit-def: $vgpr1
	v_cmpx_lt_i16_e32 5, v6
	s_xor_b32 s5, exec_lo, s5
	s_cbranch_execz .LBB250_62
; %bb.45:
	s_mov_b32 s6, exec_lo
                                        ; implicit-def: $vgpr1
	v_cmpx_lt_i16_e32 6, v6
	s_xor_b32 s6, exec_lo, s6
	s_cbranch_execz .LBB250_53
; %bb.46:
	flat_load_b64 v[10:11], v[10:11]
	s_wait_loadcnt_dscnt 0x101
	v_mov_b32_e32 v1, 0x80
	s_mov_b32 s7, exec_lo
	s_wait_loadcnt_dscnt 0x0
	v_cvt_f32_f64_e32 v6, v[10:11]
	s_wait_xcnt 0x0
	s_delay_alu instid0(VALU_DEP_1) | instskip(NEXT) | instid1(VALU_DEP_1)
	v_and_b32_e32 v10, 0x7fffffff, v6
	v_cmpx_gt_u32_e32 0x47800000, v10
	s_cbranch_execz .LBB250_52
; %bb.47:
	v_cmp_lt_u32_e32 vcc_lo, 0x37ffffff, v10
	s_mov_b32 s8, 0
                                        ; implicit-def: $vgpr10
	s_and_saveexec_b32 s9, vcc_lo
	s_delay_alu instid0(SALU_CYCLE_1)
	s_xor_b32 s9, exec_lo, s9
	s_cbranch_execnz .LBB250_534
; %bb.48:
	s_and_not1_saveexec_b32 s9, s9
	s_cbranch_execnz .LBB250_535
.LBB250_49:
	s_or_b32 exec_lo, exec_lo, s9
	v_mov_b32_e32 v1, 0
	s_and_saveexec_b32 s9, s8
.LBB250_50:
	v_lshrrev_b32_e32 v1, 24, v6
	s_delay_alu instid0(VALU_DEP_1)
	v_and_or_b32 v1, 0x80, v1, v10
.LBB250_51:
	s_or_b32 exec_lo, exec_lo, s9
.LBB250_52:
	s_delay_alu instid0(SALU_CYCLE_1)
	s_or_b32 exec_lo, exec_lo, s7
                                        ; implicit-def: $vgpr10_vgpr11
.LBB250_53:
	s_and_not1_saveexec_b32 s6, s6
	s_cbranch_execz .LBB250_61
; %bb.54:
	flat_load_b32 v6, v[10:11]
	s_wait_loadcnt_dscnt 0x101
	v_mov_b32_e32 v1, 0x80
	s_mov_b32 s7, exec_lo
	s_wait_loadcnt_dscnt 0x0
	v_and_b32_e32 v10, 0x7fffffff, v6
	s_delay_alu instid0(VALU_DEP_1)
	v_cmpx_gt_u32_e32 0x47800000, v10
	s_cbranch_execz .LBB250_60
; %bb.55:
	v_cmp_lt_u32_e32 vcc_lo, 0x37ffffff, v10
	s_mov_b32 s8, 0
                                        ; implicit-def: $vgpr10
	s_and_saveexec_b32 s9, vcc_lo
	s_delay_alu instid0(SALU_CYCLE_1)
	s_xor_b32 s9, exec_lo, s9
	s_cbranch_execnz .LBB250_536
; %bb.56:
	s_and_not1_saveexec_b32 s9, s9
	s_cbranch_execnz .LBB250_537
.LBB250_57:
	s_or_b32 exec_lo, exec_lo, s9
	v_mov_b32_e32 v1, 0
	s_and_saveexec_b32 s9, s8
.LBB250_58:
	v_lshrrev_b32_e32 v1, 24, v6
	s_delay_alu instid0(VALU_DEP_1)
	v_and_or_b32 v1, 0x80, v1, v10
.LBB250_59:
	s_or_b32 exec_lo, exec_lo, s9
.LBB250_60:
	s_delay_alu instid0(SALU_CYCLE_1)
	s_or_b32 exec_lo, exec_lo, s7
.LBB250_61:
	s_delay_alu instid0(SALU_CYCLE_1)
	s_or_b32 exec_lo, exec_lo, s6
                                        ; implicit-def: $vgpr10_vgpr11
.LBB250_62:
	s_and_not1_saveexec_b32 s5, s5
	s_cbranch_execz .LBB250_70
; %bb.63:
	s_wait_loadcnt_dscnt 0x0
	flat_load_u16 v1, v[10:11]
	s_mov_b32 s6, exec_lo
	s_wait_loadcnt_dscnt 0x0
	v_cvt_f32_f16_e32 v6, v1
	v_mov_b32_e32 v1, 0x80
	s_wait_xcnt 0x0
	s_delay_alu instid0(VALU_DEP_2) | instskip(NEXT) | instid1(VALU_DEP_1)
	v_and_b32_e32 v10, 0x7fffffff, v6
	v_cmpx_gt_u32_e32 0x47800000, v10
	s_cbranch_execz .LBB250_69
; %bb.64:
	v_cmp_lt_u32_e32 vcc_lo, 0x37ffffff, v10
	s_mov_b32 s7, 0
                                        ; implicit-def: $vgpr10
	s_and_saveexec_b32 s8, vcc_lo
	s_delay_alu instid0(SALU_CYCLE_1)
	s_xor_b32 s8, exec_lo, s8
	s_cbranch_execnz .LBB250_504
; %bb.65:
	s_and_not1_saveexec_b32 s8, s8
	s_cbranch_execnz .LBB250_505
.LBB250_66:
	s_or_b32 exec_lo, exec_lo, s8
	v_mov_b32_e32 v1, 0
	s_and_saveexec_b32 s8, s7
.LBB250_67:
	v_lshrrev_b32_e32 v1, 24, v6
	s_delay_alu instid0(VALU_DEP_1)
	v_and_or_b32 v1, 0x80, v1, v10
.LBB250_68:
	s_or_b32 exec_lo, exec_lo, s8
.LBB250_69:
	s_delay_alu instid0(SALU_CYCLE_1)
	s_or_b32 exec_lo, exec_lo, s6
.LBB250_70:
	s_delay_alu instid0(SALU_CYCLE_1)
	s_or_b32 exec_lo, exec_lo, s5
.LBB250_71:
	s_delay_alu instid0(SALU_CYCLE_1)
	s_or_b32 exec_lo, exec_lo, s4
                                        ; implicit-def: $vgpr6
                                        ; implicit-def: $vgpr10_vgpr11
.LBB250_72:
	s_and_not1_saveexec_b32 s2, s2
	s_cbranch_execz .LBB250_120
; %bb.73:
	s_mov_b32 s4, exec_lo
                                        ; implicit-def: $vgpr1
	v_cmpx_lt_i16_e32 1, v6
	s_xor_b32 s4, exec_lo, s4
	s_cbranch_execz .LBB250_101
; %bb.74:
	s_mov_b32 s5, exec_lo
                                        ; implicit-def: $vgpr1
	v_cmpx_lt_i16_e32 2, v6
	s_xor_b32 s5, exec_lo, s5
	;; [unrolled: 6-line block ×3, first 2 shown]
	s_cbranch_execz .LBB250_83
; %bb.76:
	flat_load_b64 v[10:11], v[10:11]
	s_mov_b32 s7, exec_lo
	s_wait_loadcnt_dscnt 0x0
	v_xor_b32_e32 v1, v10, v11
	v_cls_i32_e32 v6, v11
	s_delay_alu instid0(VALU_DEP_2) | instskip(NEXT) | instid1(VALU_DEP_1)
	v_ashrrev_i32_e32 v1, 31, v1
	v_add_nc_u32_e32 v1, 32, v1
	s_delay_alu instid0(VALU_DEP_1) | instskip(SKIP_1) | instid1(VALU_DEP_1)
	v_add_min_u32_e64 v1, v6, -1, v1
	s_wait_xcnt 0x0
	v_lshlrev_b64_e32 v[10:11], v1, v[10:11]
	v_sub_nc_u32_e32 v1, 32, v1
	s_delay_alu instid0(VALU_DEP_2) | instskip(NEXT) | instid1(VALU_DEP_1)
	v_min_u32_e32 v6, 1, v10
	v_or_b32_e32 v6, v11, v6
	s_delay_alu instid0(VALU_DEP_1) | instskip(NEXT) | instid1(VALU_DEP_1)
	v_cvt_f32_i32_e32 v6, v6
	v_ldexp_f32 v6, v6, v1
	v_mov_b32_e32 v1, 0x80
	s_delay_alu instid0(VALU_DEP_2) | instskip(NEXT) | instid1(VALU_DEP_1)
	v_and_b32_e32 v10, 0x7fffffff, v6
	v_cmpx_gt_u32_e32 0x47800000, v10
	s_cbranch_execz .LBB250_82
; %bb.77:
	v_cmp_lt_u32_e32 vcc_lo, 0x37ffffff, v10
	s_mov_b32 s8, 0
                                        ; implicit-def: $vgpr10
	s_and_saveexec_b32 s9, vcc_lo
	s_delay_alu instid0(SALU_CYCLE_1)
	s_xor_b32 s9, exec_lo, s9
	s_cbranch_execnz .LBB250_538
; %bb.78:
	s_and_not1_saveexec_b32 s9, s9
	s_cbranch_execnz .LBB250_539
.LBB250_79:
	s_or_b32 exec_lo, exec_lo, s9
	v_mov_b32_e32 v1, 0
	s_and_saveexec_b32 s9, s8
.LBB250_80:
	v_lshrrev_b32_e32 v1, 24, v6
	s_delay_alu instid0(VALU_DEP_1)
	v_and_or_b32 v1, 0x80, v1, v10
.LBB250_81:
	s_or_b32 exec_lo, exec_lo, s9
.LBB250_82:
	s_delay_alu instid0(SALU_CYCLE_1)
	s_or_b32 exec_lo, exec_lo, s7
                                        ; implicit-def: $vgpr10_vgpr11
.LBB250_83:
	s_and_not1_saveexec_b32 s6, s6
	s_cbranch_execz .LBB250_91
; %bb.84:
	s_wait_loadcnt_dscnt 0x0
	flat_load_b32 v1, v[10:11]
	s_mov_b32 s7, exec_lo
	s_wait_loadcnt_dscnt 0x0
	v_cvt_f32_i32_e32 v6, v1
	v_mov_b32_e32 v1, 0x80
	s_wait_xcnt 0x0
	s_delay_alu instid0(VALU_DEP_2) | instskip(NEXT) | instid1(VALU_DEP_1)
	v_and_b32_e32 v10, 0x7fffffff, v6
	v_cmpx_gt_u32_e32 0x47800000, v10
	s_cbranch_execz .LBB250_90
; %bb.85:
	v_cmp_lt_u32_e32 vcc_lo, 0x37ffffff, v10
	s_mov_b32 s8, 0
                                        ; implicit-def: $vgpr10
	s_and_saveexec_b32 s9, vcc_lo
	s_delay_alu instid0(SALU_CYCLE_1)
	s_xor_b32 s9, exec_lo, s9
	s_cbranch_execnz .LBB250_540
; %bb.86:
	s_and_not1_saveexec_b32 s9, s9
	s_cbranch_execnz .LBB250_541
.LBB250_87:
	s_or_b32 exec_lo, exec_lo, s9
	v_mov_b32_e32 v1, 0
	s_and_saveexec_b32 s9, s8
.LBB250_88:
	v_lshrrev_b32_e32 v1, 24, v6
	s_delay_alu instid0(VALU_DEP_1)
	v_and_or_b32 v1, 0x80, v1, v10
.LBB250_89:
	s_or_b32 exec_lo, exec_lo, s9
.LBB250_90:
	s_delay_alu instid0(SALU_CYCLE_1)
	s_or_b32 exec_lo, exec_lo, s7
.LBB250_91:
	s_delay_alu instid0(SALU_CYCLE_1)
	s_or_b32 exec_lo, exec_lo, s6
                                        ; implicit-def: $vgpr10_vgpr11
.LBB250_92:
	s_and_not1_saveexec_b32 s5, s5
	s_cbranch_execz .LBB250_100
; %bb.93:
	s_wait_loadcnt_dscnt 0x0
	flat_load_i16 v1, v[10:11]
	s_mov_b32 s6, exec_lo
	s_wait_loadcnt_dscnt 0x0
	v_cvt_f32_i32_e32 v6, v1
	v_mov_b32_e32 v1, 0x80
	s_wait_xcnt 0x0
	s_delay_alu instid0(VALU_DEP_2) | instskip(NEXT) | instid1(VALU_DEP_1)
	v_and_b32_e32 v10, 0x7fffffff, v6
	v_cmpx_gt_u32_e32 0x47800000, v10
	s_cbranch_execz .LBB250_99
; %bb.94:
	v_cmp_lt_u32_e32 vcc_lo, 0x37ffffff, v10
	s_mov_b32 s7, 0
                                        ; implicit-def: $vgpr10
	s_and_saveexec_b32 s8, vcc_lo
	s_delay_alu instid0(SALU_CYCLE_1)
	s_xor_b32 s8, exec_lo, s8
	s_cbranch_execnz .LBB250_506
; %bb.95:
	s_and_not1_saveexec_b32 s8, s8
	s_cbranch_execnz .LBB250_507
.LBB250_96:
	s_or_b32 exec_lo, exec_lo, s8
	v_mov_b32_e32 v1, 0
	s_and_saveexec_b32 s8, s7
.LBB250_97:
	v_lshrrev_b32_e32 v1, 24, v6
	s_delay_alu instid0(VALU_DEP_1)
	v_and_or_b32 v1, 0x80, v1, v10
.LBB250_98:
	s_or_b32 exec_lo, exec_lo, s8
.LBB250_99:
	s_delay_alu instid0(SALU_CYCLE_1)
	s_or_b32 exec_lo, exec_lo, s6
.LBB250_100:
	s_delay_alu instid0(SALU_CYCLE_1)
	s_or_b32 exec_lo, exec_lo, s5
                                        ; implicit-def: $vgpr6
                                        ; implicit-def: $vgpr10_vgpr11
.LBB250_101:
	s_and_not1_saveexec_b32 s4, s4
	s_cbranch_execz .LBB250_119
; %bb.102:
	s_mov_b32 s5, exec_lo
                                        ; implicit-def: $vgpr1
	v_cmpx_lt_i16_e32 0, v6
	s_xor_b32 s5, exec_lo, s5
	s_cbranch_execz .LBB250_110
; %bb.103:
	s_wait_loadcnt_dscnt 0x0
	flat_load_i8 v1, v[10:11]
	s_mov_b32 s6, exec_lo
	s_wait_loadcnt_dscnt 0x0
	v_cvt_f32_i32_e32 v6, v1
	v_mov_b32_e32 v1, 0x80
	s_wait_xcnt 0x0
	s_delay_alu instid0(VALU_DEP_2) | instskip(NEXT) | instid1(VALU_DEP_1)
	v_and_b32_e32 v10, 0x7fffffff, v6
	v_cmpx_gt_u32_e32 0x47800000, v10
	s_cbranch_execz .LBB250_109
; %bb.104:
	v_cmp_lt_u32_e32 vcc_lo, 0x37ffffff, v10
	s_mov_b32 s7, 0
                                        ; implicit-def: $vgpr10
	s_and_saveexec_b32 s8, vcc_lo
	s_delay_alu instid0(SALU_CYCLE_1)
	s_xor_b32 s8, exec_lo, s8
	s_cbranch_execnz .LBB250_508
; %bb.105:
	s_and_not1_saveexec_b32 s8, s8
	s_cbranch_execnz .LBB250_509
.LBB250_106:
	s_or_b32 exec_lo, exec_lo, s8
	v_mov_b32_e32 v1, 0
	s_and_saveexec_b32 s8, s7
.LBB250_107:
	v_lshrrev_b32_e32 v1, 24, v6
	s_delay_alu instid0(VALU_DEP_1)
	v_and_or_b32 v1, 0x80, v1, v10
.LBB250_108:
	s_or_b32 exec_lo, exec_lo, s8
.LBB250_109:
	s_delay_alu instid0(SALU_CYCLE_1)
	s_or_b32 exec_lo, exec_lo, s6
                                        ; implicit-def: $vgpr10_vgpr11
.LBB250_110:
	s_and_not1_saveexec_b32 s5, s5
	s_cbranch_execz .LBB250_118
; %bb.111:
	s_wait_loadcnt_dscnt 0x0
	flat_load_u8 v1, v[10:11]
	s_mov_b32 s6, exec_lo
	s_wait_loadcnt_dscnt 0x0
	v_cvt_f32_ubyte0_e32 v10, v1
	v_mov_b32_e32 v1, 0x80
	s_delay_alu instid0(VALU_DEP_2)
	v_cmpx_gt_u32_e32 0x47800000, v10
	s_cbranch_execz .LBB250_117
; %bb.112:
	s_mov_b32 s7, 0
	s_mov_b32 s8, exec_lo
                                        ; implicit-def: $vgpr6
	v_cmpx_lt_u32_e32 0x37ffffff, v10
	s_xor_b32 s8, exec_lo, s8
	s_cbranch_execnz .LBB250_510
; %bb.113:
	s_and_not1_saveexec_b32 s8, s8
	s_cbranch_execnz .LBB250_511
.LBB250_114:
	s_or_b32 exec_lo, exec_lo, s8
	v_mov_b32_e32 v1, 0
	s_and_saveexec_b32 s8, s7
.LBB250_115:
	v_mov_b32_e32 v1, v6
.LBB250_116:
	s_or_b32 exec_lo, exec_lo, s8
.LBB250_117:
	s_delay_alu instid0(SALU_CYCLE_1)
	s_or_b32 exec_lo, exec_lo, s6
.LBB250_118:
	s_delay_alu instid0(SALU_CYCLE_1)
	s_or_b32 exec_lo, exec_lo, s5
.LBB250_119:
	s_delay_alu instid0(SALU_CYCLE_1)
	s_or_b32 exec_lo, exec_lo, s4
.LBB250_120:
	s_delay_alu instid0(SALU_CYCLE_1) | instskip(NEXT) | instid1(SALU_CYCLE_1)
	s_or_b32 exec_lo, exec_lo, s2
	s_or_b32 s3, s3, exec_lo
.LBB250_121:
	s_or_b32 exec_lo, exec_lo, s1
	s_mov_b32 s5, 0
	s_mov_b32 s4, 0
	s_mov_b32 s2, 0
                                        ; implicit-def: $vgpr6
                                        ; implicit-def: $vgpr10_vgpr11
                                        ; implicit-def: $vgpr12
	s_and_saveexec_b32 s1, s3
	s_cbranch_execnz .LBB250_127
; %bb.122:
	s_or_b32 exec_lo, exec_lo, s1
	s_and_saveexec_b32 s1, s0
	s_cbranch_execnz .LBB250_133
.LBB250_123:
	s_or_b32 exec_lo, exec_lo, s1
	s_and_saveexec_b32 s0, s5
	s_delay_alu instid0(SALU_CYCLE_1)
	s_xor_b32 s0, exec_lo, s0
	s_cbranch_execnz .LBB250_134
.LBB250_124:
	s_or_b32 exec_lo, exec_lo, s0
	s_and_saveexec_b32 s0, s4
	s_cbranch_execnz .LBB250_141
.LBB250_125:
	s_or_b32 exec_lo, exec_lo, s0
                                        ; implicit-def: $sgpr1
	s_and_saveexec_b32 s0, s2
	s_cbranch_execnz .LBB250_248
.LBB250_126:
	s_or_b32 exec_lo, exec_lo, s0
	s_delay_alu instid0(VALU_DEP_1)
	v_cndmask_b32_e64 v0, 0, 1, s1
	s_wait_loadcnt_dscnt 0x0
	s_set_pc_i64 s[30:31]
.LBB250_127:
	flat_load_b32 v12, v[4:5] offset:4
	flat_load_b64 v[10:11], v[2:3] offset:8
	flat_load_u8 v6, v[8:9] offset:1
	s_mov_b32 s4, -1
	s_mov_b32 s3, 0
	s_mov_b32 s5, s0
	;; [unrolled: 1-line block ×3, first 2 shown]
	s_mov_b32 s2, exec_lo
	s_wait_loadcnt_dscnt 0x202
	s_wait_xcnt 0x1
	v_mul_lo_u32 v2, v12, v7
                                        ; implicit-def: $vgpr12
	s_delay_alu instid0(VALU_DEP_1) | instskip(SKIP_1) | instid1(VALU_DEP_1)
	v_ashrrev_i32_e32 v3, 31, v2
	s_wait_loadcnt_dscnt 0x101
	v_add_nc_u64_e32 v[10:11], v[10:11], v[2:3]
	s_wait_loadcnt_dscnt 0x0
	v_cmpx_lt_i16_e32 10, v6
	s_cbranch_execz .LBB250_132
; %bb.128:
	s_mov_b32 s5, 0
	s_mov_b32 s4, exec_lo
                                        ; implicit-def: $vgpr12
	v_cmpx_lt_i16_e32 25, v6
	s_xor_b32 s4, exec_lo, s4
	s_cbranch_execnz .LBB250_373
; %bb.129:
	s_and_not1_saveexec_b32 s4, s4
	s_cbranch_execnz .LBB250_440
.LBB250_130:
	s_or_b32 exec_lo, exec_lo, s4
	s_mov_b32 s7, s0
	s_and_saveexec_b32 s4, s6
	s_cbranch_execnz .LBB250_477
.LBB250_131:
	s_or_b32 exec_lo, exec_lo, s4
	s_delay_alu instid0(SALU_CYCLE_1)
	s_and_b32 s6, s5, exec_lo
	s_and_not1_b32 s5, s0, exec_lo
	s_and_b32 s7, s7, exec_lo
	s_xor_b32 s4, exec_lo, -1
	s_and_b32 s3, s3, exec_lo
	s_or_b32 s5, s5, s7
.LBB250_132:
	s_or_b32 exec_lo, exec_lo, s2
	s_delay_alu instid0(SALU_CYCLE_1)
	s_and_b32 s2, s6, exec_lo
	s_and_not1_b32 s0, s0, exec_lo
	s_and_b32 s6, s5, exec_lo
	s_and_b32 s4, s4, exec_lo
	s_and_b32 s5, s3, exec_lo
	s_or_b32 s0, s0, s6
	s_or_b32 exec_lo, exec_lo, s1
	s_and_saveexec_b32 s1, s0
	s_cbranch_execz .LBB250_123
.LBB250_133:
	; divergent unreachable
	s_or_b32 exec_lo, exec_lo, s1
	s_and_saveexec_b32 s0, s5
	s_delay_alu instid0(SALU_CYCLE_1)
	s_xor_b32 s0, exec_lo, s0
	s_cbranch_execz .LBB250_124
.LBB250_134:
	flat_load_u8 v2, v[10:11]
	s_wait_loadcnt_dscnt 0x101
	v_mov_b32_e32 v12, 0x80
	s_mov_b32 s3, 0
	s_mov_b32 s1, exec_lo
	s_wait_loadcnt_dscnt 0x0
	v_cmp_ne_u16_e32 vcc_lo, 0, v2
	v_cndmask_b32_e64 v3, 0, 1.0, vcc_lo
	s_wait_xcnt 0x0
	s_delay_alu instid0(VALU_DEP_1)
	v_cmpx_gt_u32_e32 0x47800000, v3
	s_cbranch_execz .LBB250_140
; %bb.135:
	s_mov_b32 s5, exec_lo
                                        ; implicit-def: $vgpr2
	v_cmpx_lt_u32_e32 0x37ffffff, v3
	s_xor_b32 s5, exec_lo, s5
	s_cbranch_execnz .LBB250_478
; %bb.136:
	s_and_not1_saveexec_b32 s5, s5
	s_cbranch_execnz .LBB250_479
.LBB250_137:
	s_or_b32 exec_lo, exec_lo, s5
	v_mov_b32_e32 v12, 0
	s_and_saveexec_b32 s5, s3
.LBB250_138:
	v_mov_b32_e32 v12, v2
.LBB250_139:
	s_or_b32 exec_lo, exec_lo, s5
.LBB250_140:
	s_delay_alu instid0(SALU_CYCLE_1) | instskip(NEXT) | instid1(SALU_CYCLE_1)
	s_or_b32 exec_lo, exec_lo, s1
	s_or_b32 s2, s2, exec_lo
	s_or_b32 exec_lo, exec_lo, s0
	s_and_saveexec_b32 s0, s4
	s_cbranch_execz .LBB250_125
.LBB250_141:
	s_mov_b32 s1, exec_lo
                                        ; implicit-def: $vgpr12
	v_cmpx_lt_i16_e32 4, v6
	s_xor_b32 s1, exec_lo, s1
	s_cbranch_execz .LBB250_199
; %bb.142:
	s_mov_b32 s3, exec_lo
                                        ; implicit-def: $vgpr12
	v_cmpx_lt_i16_e32 7, v6
	s_xor_b32 s3, exec_lo, s3
	s_cbranch_execz .LBB250_170
; %bb.143:
	;; [unrolled: 6-line block ×4, first 2 shown]
	flat_load_b64 v[2:3], v[10:11]
	s_wait_loadcnt_dscnt 0x101
	v_mov_b32_e32 v12, 0x80
	s_mov_b32 s6, exec_lo
	s_wait_loadcnt_dscnt 0x0
	v_cvt_f32_f64_e32 v2, v[2:3]
	s_delay_alu instid0(VALU_DEP_1) | instskip(SKIP_1) | instid1(VALU_DEP_1)
	v_and_b32_e32 v3, 0x7fffffff, v2
	s_wait_xcnt 0x0
	v_cmpx_gt_u32_e32 0x47800000, v3
	s_cbranch_execz .LBB250_151
; %bb.146:
	v_cmp_lt_u32_e32 vcc_lo, 0x37ffffff, v3
	s_mov_b32 s7, 0
                                        ; implicit-def: $vgpr3
	s_and_saveexec_b32 s8, vcc_lo
	s_delay_alu instid0(SALU_CYCLE_1)
	s_xor_b32 s8, exec_lo, s8
	s_cbranch_execnz .LBB250_542
; %bb.147:
	s_and_not1_saveexec_b32 s8, s8
	s_cbranch_execnz .LBB250_543
.LBB250_148:
	s_or_b32 exec_lo, exec_lo, s8
	v_mov_b32_e32 v12, 0
	s_and_saveexec_b32 s8, s7
.LBB250_149:
	v_lshrrev_b32_e32 v2, 24, v2
	s_delay_alu instid0(VALU_DEP_1)
	v_and_or_b32 v12, 0x80, v2, v3
.LBB250_150:
	s_or_b32 exec_lo, exec_lo, s8
.LBB250_151:
	s_delay_alu instid0(SALU_CYCLE_1)
	s_or_b32 exec_lo, exec_lo, s6
                                        ; implicit-def: $vgpr10_vgpr11
.LBB250_152:
	s_and_not1_saveexec_b32 s5, s5
	s_cbranch_execz .LBB250_160
; %bb.153:
	flat_load_b32 v2, v[10:11]
	s_wait_loadcnt_dscnt 0x101
	v_mov_b32_e32 v12, 0x80
	s_mov_b32 s6, exec_lo
	s_wait_loadcnt_dscnt 0x0
	v_and_b32_e32 v3, 0x7fffffff, v2
	s_wait_xcnt 0x0
	s_delay_alu instid0(VALU_DEP_1)
	v_cmpx_gt_u32_e32 0x47800000, v3
	s_cbranch_execz .LBB250_159
; %bb.154:
	v_cmp_lt_u32_e32 vcc_lo, 0x37ffffff, v3
	s_mov_b32 s7, 0
                                        ; implicit-def: $vgpr3
	s_and_saveexec_b32 s8, vcc_lo
	s_delay_alu instid0(SALU_CYCLE_1)
	s_xor_b32 s8, exec_lo, s8
	s_cbranch_execnz .LBB250_544
; %bb.155:
	s_and_not1_saveexec_b32 s8, s8
	s_cbranch_execnz .LBB250_545
.LBB250_156:
	s_or_b32 exec_lo, exec_lo, s8
	v_mov_b32_e32 v12, 0
	s_and_saveexec_b32 s8, s7
.LBB250_157:
	v_lshrrev_b32_e32 v2, 24, v2
	s_delay_alu instid0(VALU_DEP_1)
	v_and_or_b32 v12, 0x80, v2, v3
.LBB250_158:
	s_or_b32 exec_lo, exec_lo, s8
.LBB250_159:
	s_delay_alu instid0(SALU_CYCLE_1)
	s_or_b32 exec_lo, exec_lo, s6
.LBB250_160:
	s_delay_alu instid0(SALU_CYCLE_1)
	s_or_b32 exec_lo, exec_lo, s5
                                        ; implicit-def: $vgpr10_vgpr11
.LBB250_161:
	s_and_not1_saveexec_b32 s4, s4
	s_cbranch_execz .LBB250_169
; %bb.162:
	flat_load_b32 v2, v[10:11]
	s_wait_loadcnt_dscnt 0x101
	v_mov_b32_e32 v12, 0x80
	s_mov_b32 s5, exec_lo
	s_wait_loadcnt_dscnt 0x0
	v_cvt_f32_f16_e32 v2, v2
	s_delay_alu instid0(VALU_DEP_1) | instskip(SKIP_1) | instid1(VALU_DEP_1)
	v_and_b32_e32 v3, 0x7fffffff, v2
	s_wait_xcnt 0x0
	v_cmpx_gt_u32_e32 0x47800000, v3
	s_cbranch_execz .LBB250_168
; %bb.163:
	v_cmp_lt_u32_e32 vcc_lo, 0x37ffffff, v3
	s_mov_b32 s6, 0
                                        ; implicit-def: $vgpr3
	s_and_saveexec_b32 s7, vcc_lo
	s_delay_alu instid0(SALU_CYCLE_1)
	s_xor_b32 s7, exec_lo, s7
	s_cbranch_execnz .LBB250_512
; %bb.164:
	s_and_not1_saveexec_b32 s7, s7
	s_cbranch_execnz .LBB250_513
.LBB250_165:
	s_or_b32 exec_lo, exec_lo, s7
	v_mov_b32_e32 v12, 0
	s_and_saveexec_b32 s7, s6
.LBB250_166:
	v_lshrrev_b32_e32 v2, 24, v2
	s_delay_alu instid0(VALU_DEP_1)
	v_and_or_b32 v12, 0x80, v2, v3
.LBB250_167:
	s_or_b32 exec_lo, exec_lo, s7
.LBB250_168:
	s_delay_alu instid0(SALU_CYCLE_1)
	s_or_b32 exec_lo, exec_lo, s5
.LBB250_169:
	s_delay_alu instid0(SALU_CYCLE_1)
	s_or_b32 exec_lo, exec_lo, s4
                                        ; implicit-def: $vgpr10_vgpr11
.LBB250_170:
	s_and_not1_saveexec_b32 s3, s3
	s_cbranch_execz .LBB250_198
; %bb.171:
	s_mov_b32 s4, exec_lo
                                        ; implicit-def: $vgpr12
	v_cmpx_lt_i16_e32 5, v6
	s_xor_b32 s4, exec_lo, s4
	s_cbranch_execz .LBB250_189
; %bb.172:
	s_mov_b32 s5, exec_lo
                                        ; implicit-def: $vgpr12
	v_cmpx_lt_i16_e32 6, v6
	s_xor_b32 s5, exec_lo, s5
	s_cbranch_execz .LBB250_180
; %bb.173:
	flat_load_b64 v[2:3], v[10:11]
	s_wait_loadcnt_dscnt 0x101
	v_mov_b32_e32 v12, 0x80
	s_mov_b32 s6, exec_lo
	s_wait_loadcnt_dscnt 0x0
	v_cvt_f32_f64_e32 v2, v[2:3]
	s_delay_alu instid0(VALU_DEP_1) | instskip(SKIP_1) | instid1(VALU_DEP_1)
	v_and_b32_e32 v3, 0x7fffffff, v2
	s_wait_xcnt 0x0
	v_cmpx_gt_u32_e32 0x47800000, v3
	s_cbranch_execz .LBB250_179
; %bb.174:
	v_cmp_lt_u32_e32 vcc_lo, 0x37ffffff, v3
	s_mov_b32 s7, 0
                                        ; implicit-def: $vgpr3
	s_and_saveexec_b32 s8, vcc_lo
	s_delay_alu instid0(SALU_CYCLE_1)
	s_xor_b32 s8, exec_lo, s8
	s_cbranch_execnz .LBB250_546
; %bb.175:
	s_and_not1_saveexec_b32 s8, s8
	s_cbranch_execnz .LBB250_547
.LBB250_176:
	s_or_b32 exec_lo, exec_lo, s8
	v_mov_b32_e32 v12, 0
	s_and_saveexec_b32 s8, s7
.LBB250_177:
	v_lshrrev_b32_e32 v2, 24, v2
	s_delay_alu instid0(VALU_DEP_1)
	v_and_or_b32 v12, 0x80, v2, v3
.LBB250_178:
	s_or_b32 exec_lo, exec_lo, s8
.LBB250_179:
	s_delay_alu instid0(SALU_CYCLE_1)
	s_or_b32 exec_lo, exec_lo, s6
                                        ; implicit-def: $vgpr10_vgpr11
.LBB250_180:
	s_and_not1_saveexec_b32 s5, s5
	s_cbranch_execz .LBB250_188
; %bb.181:
	flat_load_b32 v2, v[10:11]
	s_wait_loadcnt_dscnt 0x101
	v_mov_b32_e32 v12, 0x80
	s_mov_b32 s6, exec_lo
	s_wait_loadcnt_dscnt 0x0
	v_and_b32_e32 v3, 0x7fffffff, v2
	s_wait_xcnt 0x0
	s_delay_alu instid0(VALU_DEP_1)
	v_cmpx_gt_u32_e32 0x47800000, v3
	s_cbranch_execz .LBB250_187
; %bb.182:
	v_cmp_lt_u32_e32 vcc_lo, 0x37ffffff, v3
	s_mov_b32 s7, 0
                                        ; implicit-def: $vgpr3
	s_and_saveexec_b32 s8, vcc_lo
	s_delay_alu instid0(SALU_CYCLE_1)
	s_xor_b32 s8, exec_lo, s8
	s_cbranch_execnz .LBB250_548
; %bb.183:
	s_and_not1_saveexec_b32 s8, s8
	s_cbranch_execnz .LBB250_549
.LBB250_184:
	s_or_b32 exec_lo, exec_lo, s8
	v_mov_b32_e32 v12, 0
	s_and_saveexec_b32 s8, s7
.LBB250_185:
	v_lshrrev_b32_e32 v2, 24, v2
	s_delay_alu instid0(VALU_DEP_1)
	v_and_or_b32 v12, 0x80, v2, v3
.LBB250_186:
	s_or_b32 exec_lo, exec_lo, s8
.LBB250_187:
	s_delay_alu instid0(SALU_CYCLE_1)
	s_or_b32 exec_lo, exec_lo, s6
.LBB250_188:
	s_delay_alu instid0(SALU_CYCLE_1)
	s_or_b32 exec_lo, exec_lo, s5
                                        ; implicit-def: $vgpr10_vgpr11
.LBB250_189:
	s_and_not1_saveexec_b32 s4, s4
	s_cbranch_execz .LBB250_197
; %bb.190:
	flat_load_u16 v2, v[10:11]
	s_wait_loadcnt_dscnt 0x101
	v_mov_b32_e32 v12, 0x80
	s_mov_b32 s5, exec_lo
	s_wait_loadcnt_dscnt 0x0
	v_cvt_f32_f16_e32 v2, v2
	s_delay_alu instid0(VALU_DEP_1) | instskip(SKIP_1) | instid1(VALU_DEP_1)
	v_and_b32_e32 v3, 0x7fffffff, v2
	s_wait_xcnt 0x0
	v_cmpx_gt_u32_e32 0x47800000, v3
	s_cbranch_execz .LBB250_196
; %bb.191:
	v_cmp_lt_u32_e32 vcc_lo, 0x37ffffff, v3
	s_mov_b32 s6, 0
                                        ; implicit-def: $vgpr3
	s_and_saveexec_b32 s7, vcc_lo
	s_delay_alu instid0(SALU_CYCLE_1)
	s_xor_b32 s7, exec_lo, s7
	s_cbranch_execnz .LBB250_514
; %bb.192:
	s_and_not1_saveexec_b32 s7, s7
	s_cbranch_execnz .LBB250_515
.LBB250_193:
	s_or_b32 exec_lo, exec_lo, s7
	v_mov_b32_e32 v12, 0
	s_and_saveexec_b32 s7, s6
.LBB250_194:
	v_lshrrev_b32_e32 v2, 24, v2
	s_delay_alu instid0(VALU_DEP_1)
	v_and_or_b32 v12, 0x80, v2, v3
.LBB250_195:
	s_or_b32 exec_lo, exec_lo, s7
.LBB250_196:
	s_delay_alu instid0(SALU_CYCLE_1)
	s_or_b32 exec_lo, exec_lo, s5
.LBB250_197:
	s_delay_alu instid0(SALU_CYCLE_1)
	s_or_b32 exec_lo, exec_lo, s4
.LBB250_198:
	s_delay_alu instid0(SALU_CYCLE_1)
	s_or_b32 exec_lo, exec_lo, s3
                                        ; implicit-def: $vgpr10_vgpr11
.LBB250_199:
	s_and_not1_saveexec_b32 s1, s1
	s_cbranch_execz .LBB250_247
; %bb.200:
	s_mov_b32 s3, exec_lo
                                        ; implicit-def: $vgpr12
	v_cmpx_lt_i16_e32 1, v6
	s_xor_b32 s3, exec_lo, s3
	s_cbranch_execz .LBB250_228
; %bb.201:
	s_mov_b32 s4, exec_lo
                                        ; implicit-def: $vgpr12
	v_cmpx_lt_i16_e32 2, v6
	s_xor_b32 s4, exec_lo, s4
	;; [unrolled: 6-line block ×3, first 2 shown]
	s_cbranch_execz .LBB250_210
; %bb.203:
	flat_load_b64 v[2:3], v[10:11]
	s_mov_b32 s6, exec_lo
	s_wait_loadcnt_dscnt 0x101
	v_mov_b32_e32 v12, 0x80
	s_wait_loadcnt_dscnt 0x0
	v_xor_b32_e32 v4, v2, v3
	v_cls_i32_e32 v5, v3
	s_delay_alu instid0(VALU_DEP_2) | instskip(NEXT) | instid1(VALU_DEP_1)
	v_ashrrev_i32_e32 v4, 31, v4
	v_add_nc_u32_e32 v4, 32, v4
	s_delay_alu instid0(VALU_DEP_1) | instskip(NEXT) | instid1(VALU_DEP_1)
	v_add_min_u32_e64 v4, v5, -1, v4
	v_lshlrev_b64_e32 v[2:3], v4, v[2:3]
	s_delay_alu instid0(VALU_DEP_1) | instskip(NEXT) | instid1(VALU_DEP_1)
	v_min_u32_e32 v2, 1, v2
	v_dual_sub_nc_u32 v3, 32, v4 :: v_dual_bitop2_b32 v2, v3, v2 bitop3:0x54
	s_delay_alu instid0(VALU_DEP_1) | instskip(NEXT) | instid1(VALU_DEP_1)
	v_cvt_f32_i32_e32 v2, v2
	v_ldexp_f32 v2, v2, v3
	s_delay_alu instid0(VALU_DEP_1) | instskip(SKIP_1) | instid1(VALU_DEP_1)
	v_and_b32_e32 v3, 0x7fffffff, v2
	s_wait_xcnt 0x0
	v_cmpx_gt_u32_e32 0x47800000, v3
	s_cbranch_execz .LBB250_209
; %bb.204:
	v_cmp_lt_u32_e32 vcc_lo, 0x37ffffff, v3
	s_mov_b32 s7, 0
                                        ; implicit-def: $vgpr3
	s_and_saveexec_b32 s8, vcc_lo
	s_delay_alu instid0(SALU_CYCLE_1)
	s_xor_b32 s8, exec_lo, s8
	s_cbranch_execnz .LBB250_550
; %bb.205:
	s_and_not1_saveexec_b32 s8, s8
	s_cbranch_execnz .LBB250_551
.LBB250_206:
	s_or_b32 exec_lo, exec_lo, s8
	v_mov_b32_e32 v12, 0
	s_and_saveexec_b32 s8, s7
.LBB250_207:
	v_lshrrev_b32_e32 v2, 24, v2
	s_delay_alu instid0(VALU_DEP_1)
	v_and_or_b32 v12, 0x80, v2, v3
.LBB250_208:
	s_or_b32 exec_lo, exec_lo, s8
.LBB250_209:
	s_delay_alu instid0(SALU_CYCLE_1)
	s_or_b32 exec_lo, exec_lo, s6
                                        ; implicit-def: $vgpr10_vgpr11
.LBB250_210:
	s_and_not1_saveexec_b32 s5, s5
	s_cbranch_execz .LBB250_218
; %bb.211:
	flat_load_b32 v2, v[10:11]
	s_wait_loadcnt_dscnt 0x101
	v_mov_b32_e32 v12, 0x80
	s_mov_b32 s6, exec_lo
	s_wait_loadcnt_dscnt 0x0
	v_cvt_f32_i32_e32 v2, v2
	s_delay_alu instid0(VALU_DEP_1) | instskip(SKIP_1) | instid1(VALU_DEP_1)
	v_and_b32_e32 v3, 0x7fffffff, v2
	s_wait_xcnt 0x0
	v_cmpx_gt_u32_e32 0x47800000, v3
	s_cbranch_execz .LBB250_217
; %bb.212:
	v_cmp_lt_u32_e32 vcc_lo, 0x37ffffff, v3
	s_mov_b32 s7, 0
                                        ; implicit-def: $vgpr3
	s_and_saveexec_b32 s8, vcc_lo
	s_delay_alu instid0(SALU_CYCLE_1)
	s_xor_b32 s8, exec_lo, s8
	s_cbranch_execnz .LBB250_552
; %bb.213:
	s_and_not1_saveexec_b32 s8, s8
	s_cbranch_execnz .LBB250_553
.LBB250_214:
	s_or_b32 exec_lo, exec_lo, s8
	v_mov_b32_e32 v12, 0
	s_and_saveexec_b32 s8, s7
.LBB250_215:
	v_lshrrev_b32_e32 v2, 24, v2
	s_delay_alu instid0(VALU_DEP_1)
	v_and_or_b32 v12, 0x80, v2, v3
.LBB250_216:
	s_or_b32 exec_lo, exec_lo, s8
.LBB250_217:
	s_delay_alu instid0(SALU_CYCLE_1)
	s_or_b32 exec_lo, exec_lo, s6
.LBB250_218:
	s_delay_alu instid0(SALU_CYCLE_1)
	s_or_b32 exec_lo, exec_lo, s5
                                        ; implicit-def: $vgpr10_vgpr11
.LBB250_219:
	s_and_not1_saveexec_b32 s4, s4
	s_cbranch_execz .LBB250_227
; %bb.220:
	flat_load_i16 v2, v[10:11]
	s_wait_loadcnt_dscnt 0x101
	v_mov_b32_e32 v12, 0x80
	s_mov_b32 s5, exec_lo
	s_wait_loadcnt_dscnt 0x0
	v_cvt_f32_i32_e32 v2, v2
	s_delay_alu instid0(VALU_DEP_1) | instskip(SKIP_1) | instid1(VALU_DEP_1)
	v_and_b32_e32 v3, 0x7fffffff, v2
	s_wait_xcnt 0x0
	v_cmpx_gt_u32_e32 0x47800000, v3
	s_cbranch_execz .LBB250_226
; %bb.221:
	v_cmp_lt_u32_e32 vcc_lo, 0x37ffffff, v3
	s_mov_b32 s6, 0
                                        ; implicit-def: $vgpr3
	s_and_saveexec_b32 s7, vcc_lo
	s_delay_alu instid0(SALU_CYCLE_1)
	s_xor_b32 s7, exec_lo, s7
	s_cbranch_execnz .LBB250_516
; %bb.222:
	s_and_not1_saveexec_b32 s7, s7
	s_cbranch_execnz .LBB250_517
.LBB250_223:
	s_or_b32 exec_lo, exec_lo, s7
	v_mov_b32_e32 v12, 0
	s_and_saveexec_b32 s7, s6
.LBB250_224:
	v_lshrrev_b32_e32 v2, 24, v2
	s_delay_alu instid0(VALU_DEP_1)
	v_and_or_b32 v12, 0x80, v2, v3
.LBB250_225:
	s_or_b32 exec_lo, exec_lo, s7
.LBB250_226:
	s_delay_alu instid0(SALU_CYCLE_1)
	s_or_b32 exec_lo, exec_lo, s5
.LBB250_227:
	s_delay_alu instid0(SALU_CYCLE_1)
	s_or_b32 exec_lo, exec_lo, s4
                                        ; implicit-def: $vgpr10_vgpr11
.LBB250_228:
	s_and_not1_saveexec_b32 s3, s3
	s_cbranch_execz .LBB250_246
; %bb.229:
	s_mov_b32 s4, exec_lo
                                        ; implicit-def: $vgpr12
	v_cmpx_lt_i16_e32 0, v6
	s_xor_b32 s4, exec_lo, s4
	s_cbranch_execz .LBB250_237
; %bb.230:
	flat_load_i8 v2, v[10:11]
	s_wait_loadcnt_dscnt 0x101
	v_mov_b32_e32 v12, 0x80
	s_mov_b32 s5, exec_lo
	s_wait_loadcnt_dscnt 0x0
	v_cvt_f32_i32_e32 v2, v2
	s_delay_alu instid0(VALU_DEP_1) | instskip(SKIP_1) | instid1(VALU_DEP_1)
	v_and_b32_e32 v3, 0x7fffffff, v2
	s_wait_xcnt 0x0
	v_cmpx_gt_u32_e32 0x47800000, v3
	s_cbranch_execz .LBB250_236
; %bb.231:
	v_cmp_lt_u32_e32 vcc_lo, 0x37ffffff, v3
	s_mov_b32 s6, 0
                                        ; implicit-def: $vgpr3
	s_and_saveexec_b32 s7, vcc_lo
	s_delay_alu instid0(SALU_CYCLE_1)
	s_xor_b32 s7, exec_lo, s7
	s_cbranch_execnz .LBB250_518
; %bb.232:
	s_and_not1_saveexec_b32 s7, s7
	s_cbranch_execnz .LBB250_519
.LBB250_233:
	s_or_b32 exec_lo, exec_lo, s7
	v_mov_b32_e32 v12, 0
	s_and_saveexec_b32 s7, s6
.LBB250_234:
	v_lshrrev_b32_e32 v2, 24, v2
	s_delay_alu instid0(VALU_DEP_1)
	v_and_or_b32 v12, 0x80, v2, v3
.LBB250_235:
	s_or_b32 exec_lo, exec_lo, s7
.LBB250_236:
	s_delay_alu instid0(SALU_CYCLE_1)
	s_or_b32 exec_lo, exec_lo, s5
                                        ; implicit-def: $vgpr10_vgpr11
.LBB250_237:
	s_and_not1_saveexec_b32 s4, s4
	s_cbranch_execz .LBB250_245
; %bb.238:
	flat_load_u8 v2, v[10:11]
	s_wait_loadcnt_dscnt 0x101
	v_mov_b32_e32 v12, 0x80
	s_mov_b32 s5, exec_lo
	s_wait_loadcnt_dscnt 0x0
	v_cvt_f32_ubyte0_e32 v3, v2
	s_wait_xcnt 0x0
	s_delay_alu instid0(VALU_DEP_1)
	v_cmpx_gt_u32_e32 0x47800000, v3
	s_cbranch_execz .LBB250_244
; %bb.239:
	s_mov_b32 s6, 0
	s_mov_b32 s7, exec_lo
                                        ; implicit-def: $vgpr2
	v_cmpx_lt_u32_e32 0x37ffffff, v3
	s_xor_b32 s7, exec_lo, s7
	s_cbranch_execnz .LBB250_520
; %bb.240:
	s_and_not1_saveexec_b32 s7, s7
	s_cbranch_execnz .LBB250_521
.LBB250_241:
	s_or_b32 exec_lo, exec_lo, s7
	v_mov_b32_e32 v12, 0
	s_and_saveexec_b32 s7, s6
.LBB250_242:
	v_mov_b32_e32 v12, v2
.LBB250_243:
	s_or_b32 exec_lo, exec_lo, s7
.LBB250_244:
	s_delay_alu instid0(SALU_CYCLE_1)
	s_or_b32 exec_lo, exec_lo, s5
.LBB250_245:
	s_delay_alu instid0(SALU_CYCLE_1)
	s_or_b32 exec_lo, exec_lo, s4
.LBB250_246:
	s_delay_alu instid0(SALU_CYCLE_1)
	s_or_b32 exec_lo, exec_lo, s3
.LBB250_247:
	s_delay_alu instid0(SALU_CYCLE_1) | instskip(NEXT) | instid1(SALU_CYCLE_1)
	s_or_b32 exec_lo, exec_lo, s1
	s_or_b32 s2, s2, exec_lo
	s_or_b32 exec_lo, exec_lo, s0
                                        ; implicit-def: $sgpr1
	s_and_saveexec_b32 s0, s2
	s_cbranch_execz .LBB250_126
.LBB250_248:
	s_mov_b32 s2, exec_lo
                                        ; implicit-def: $sgpr1
	v_cmpx_ne_u32_e32 0, v0
	s_xor_b32 s2, exec_lo, s2
	s_cbranch_execz .LBB250_258
; %bb.249:
	s_wait_loadcnt_dscnt 0x0
	v_and_b32_e32 v2, 0xff, v1
	s_mov_b32 s1, 0
	s_mov_b32 s3, exec_lo
	s_delay_alu instid0(VALU_DEP_1)
	v_cmpx_lt_i16_e32 0x7f, v2
	s_xor_b32 s3, exec_lo, s3
	s_cbranch_execnz .LBB250_480
; %bb.250:
	s_or_saveexec_b32 s3, s3
	v_mov_b32_e32 v0, 0x7f800001
	s_xor_b32 exec_lo, exec_lo, s3
	s_cbranch_execnz .LBB250_483
.LBB250_251:
	s_or_b32 exec_lo, exec_lo, s3
	s_and_saveexec_b32 s3, s1
	s_cbranch_execz .LBB250_253
.LBB250_252:
	v_and_b32_e32 v0, 3, v1
	v_lshrrev_b16 v3, 2, v1
	s_delay_alu instid0(VALU_DEP_2) | instskip(NEXT) | instid1(VALU_DEP_1)
	v_clz_i32_u32_e32 v2, v0
	v_min_u32_e32 v2, 32, v2
	s_delay_alu instid0(VALU_DEP_3) | instskip(NEXT) | instid1(VALU_DEP_2)
	v_and_b32_e32 v3, 31, v3
	v_subrev_nc_u32_e32 v4, 29, v2
	v_sub_nc_u32_e32 v2, 30, v2
	s_delay_alu instid0(VALU_DEP_3) | instskip(NEXT) | instid1(VALU_DEP_3)
	v_cmp_eq_u32_e32 vcc_lo, 0, v3
	v_dual_lshlrev_b32 v4, v4, v1 :: v_dual_lshlrev_b32 v1, 24, v1
	s_delay_alu instid0(VALU_DEP_1) | instskip(NEXT) | instid1(VALU_DEP_2)
	v_dual_cndmask_b32 v2, v3, v2, vcc_lo :: v_dual_bitop2_b32 v4, 3, v4 bitop3:0x40
	v_and_b32_e32 v1, 0x80000000, v1
	s_delay_alu instid0(VALU_DEP_2) | instskip(NEXT) | instid1(VALU_DEP_3)
	v_cndmask_b32_e32 v0, v0, v4, vcc_lo
	v_lshl_add_u32 v2, v2, 23, 0x37800000
	s_delay_alu instid0(VALU_DEP_2) | instskip(NEXT) | instid1(VALU_DEP_1)
	v_lshlrev_b32_e32 v0, 21, v0
	v_or3_b32 v0, v1, v2, v0
.LBB250_253:
	s_or_b32 exec_lo, exec_lo, s3
	v_and_b32_e32 v2, 0xff, v12
	s_mov_b32 s1, 0
	s_mov_b32 s3, exec_lo
	s_delay_alu instid0(VALU_DEP_1)
	v_cmpx_lt_i16_e32 0x7f, v2
	s_xor_b32 s3, exec_lo, s3
	s_cbranch_execnz .LBB250_484
; %bb.254:
	s_or_saveexec_b32 s3, s3
	v_mov_b32_e32 v1, 0x7f800001
	s_xor_b32 exec_lo, exec_lo, s3
	s_cbranch_execnz .LBB250_487
.LBB250_255:
	s_or_b32 exec_lo, exec_lo, s3
	s_and_saveexec_b32 s3, s1
	s_cbranch_execz .LBB250_257
.LBB250_256:
	v_and_b32_e32 v1, 3, v12
	v_lshrrev_b16 v3, 2, v12
	s_delay_alu instid0(VALU_DEP_2) | instskip(NEXT) | instid1(VALU_DEP_1)
	v_clz_i32_u32_e32 v2, v1
	v_min_u32_e32 v2, 32, v2
	s_delay_alu instid0(VALU_DEP_3) | instskip(NEXT) | instid1(VALU_DEP_2)
	v_and_b32_e32 v3, 31, v3
	v_subrev_nc_u32_e32 v4, 29, v2
	v_sub_nc_u32_e32 v2, 30, v2
	s_delay_alu instid0(VALU_DEP_3) | instskip(NEXT) | instid1(VALU_DEP_2)
	v_cmp_eq_u32_e32 vcc_lo, 0, v3
	v_dual_lshlrev_b32 v4, v4, v12 :: v_dual_cndmask_b32 v2, v3, v2, vcc_lo
	s_delay_alu instid0(VALU_DEP_1) | instskip(NEXT) | instid1(VALU_DEP_2)
	v_and_b32_e32 v4, 3, v4
	v_lshl_add_u32 v2, v2, 23, 0x37800000
	s_delay_alu instid0(VALU_DEP_2) | instskip(NEXT) | instid1(VALU_DEP_1)
	v_cndmask_b32_e32 v1, v1, v4, vcc_lo
	v_dual_lshlrev_b32 v5, 24, v12 :: v_dual_lshlrev_b32 v1, 21, v1
	s_delay_alu instid0(VALU_DEP_1) | instskip(NEXT) | instid1(VALU_DEP_1)
	v_and_b32_e32 v3, 0x80000000, v5
	v_or3_b32 v1, v3, v2, v1
.LBB250_257:
	s_or_b32 exec_lo, exec_lo, s3
	s_delay_alu instid0(VALU_DEP_1)
	v_cmp_neq_f32_e64 s1, v0, v1
                                        ; implicit-def: $vgpr12
                                        ; implicit-def: $vgpr1
.LBB250_258:
	s_and_not1_saveexec_b32 s2, s2
	s_cbranch_execz .LBB250_126
; %bb.259:
	s_wait_loadcnt_dscnt 0x0
	v_and_b32_e32 v2, 0xff, v1
	s_mov_b32 s2, 0
	s_mov_b32 s3, exec_lo
	s_delay_alu instid0(VALU_DEP_1)
	v_cmpx_lt_i16_e32 0x7f, v2
	s_xor_b32 s3, exec_lo, s3
	s_cbranch_execnz .LBB250_488
; %bb.260:
	s_or_saveexec_b32 s3, s3
	v_mov_b32_e32 v0, 0x7f800001
	s_xor_b32 exec_lo, exec_lo, s3
	s_cbranch_execnz .LBB250_491
.LBB250_261:
	s_or_b32 exec_lo, exec_lo, s3
	s_and_saveexec_b32 s3, s2
	s_cbranch_execz .LBB250_263
.LBB250_262:
	v_and_b32_e32 v0, 3, v1
	v_lshrrev_b16 v3, 2, v1
	s_delay_alu instid0(VALU_DEP_2) | instskip(NEXT) | instid1(VALU_DEP_1)
	v_clz_i32_u32_e32 v2, v0
	v_min_u32_e32 v2, 32, v2
	s_delay_alu instid0(VALU_DEP_3) | instskip(NEXT) | instid1(VALU_DEP_2)
	v_and_b32_e32 v3, 31, v3
	v_subrev_nc_u32_e32 v4, 29, v2
	v_sub_nc_u32_e32 v2, 30, v2
	s_delay_alu instid0(VALU_DEP_3) | instskip(NEXT) | instid1(VALU_DEP_3)
	v_cmp_eq_u32_e32 vcc_lo, 0, v3
	v_dual_lshlrev_b32 v4, v4, v1 :: v_dual_lshlrev_b32 v1, 24, v1
	s_delay_alu instid0(VALU_DEP_1) | instskip(NEXT) | instid1(VALU_DEP_2)
	v_dual_cndmask_b32 v2, v3, v2, vcc_lo :: v_dual_bitop2_b32 v4, 3, v4 bitop3:0x40
	v_and_b32_e32 v1, 0x80000000, v1
	s_delay_alu instid0(VALU_DEP_2) | instskip(NEXT) | instid1(VALU_DEP_3)
	v_cndmask_b32_e32 v0, v0, v4, vcc_lo
	v_lshl_add_u32 v2, v2, 23, 0x37800000
	s_delay_alu instid0(VALU_DEP_2) | instskip(NEXT) | instid1(VALU_DEP_1)
	v_lshlrev_b32_e32 v0, 21, v0
	v_or3_b32 v0, v1, v2, v0
.LBB250_263:
	s_or_b32 exec_lo, exec_lo, s3
	v_and_b32_e32 v2, 0xff, v12
	s_mov_b32 s2, 0
	s_mov_b32 s3, exec_lo
	s_delay_alu instid0(VALU_DEP_1)
	v_cmpx_lt_i16_e32 0x7f, v2
	s_xor_b32 s3, exec_lo, s3
	s_cbranch_execnz .LBB250_492
; %bb.264:
	s_or_saveexec_b32 s3, s3
	v_mov_b32_e32 v1, 0x7f800001
	s_xor_b32 exec_lo, exec_lo, s3
	s_cbranch_execnz .LBB250_495
.LBB250_265:
	s_or_b32 exec_lo, exec_lo, s3
	s_and_saveexec_b32 s3, s2
	s_cbranch_execz .LBB250_267
.LBB250_266:
	v_and_b32_e32 v1, 3, v12
	v_lshrrev_b16 v3, 2, v12
	s_delay_alu instid0(VALU_DEP_2) | instskip(NEXT) | instid1(VALU_DEP_1)
	v_clz_i32_u32_e32 v2, v1
	v_min_u32_e32 v2, 32, v2
	s_delay_alu instid0(VALU_DEP_3) | instskip(NEXT) | instid1(VALU_DEP_2)
	v_and_b32_e32 v3, 31, v3
	v_subrev_nc_u32_e32 v4, 29, v2
	v_sub_nc_u32_e32 v2, 30, v2
	s_delay_alu instid0(VALU_DEP_3) | instskip(NEXT) | instid1(VALU_DEP_2)
	v_cmp_eq_u32_e32 vcc_lo, 0, v3
	v_dual_lshlrev_b32 v4, v4, v12 :: v_dual_cndmask_b32 v2, v3, v2, vcc_lo
	s_delay_alu instid0(VALU_DEP_1) | instskip(NEXT) | instid1(VALU_DEP_2)
	v_and_b32_e32 v4, 3, v4
	v_lshl_add_u32 v2, v2, 23, 0x37800000
	s_delay_alu instid0(VALU_DEP_2) | instskip(NEXT) | instid1(VALU_DEP_1)
	v_cndmask_b32_e32 v1, v1, v4, vcc_lo
	v_dual_lshlrev_b32 v5, 24, v12 :: v_dual_lshlrev_b32 v1, 21, v1
	s_delay_alu instid0(VALU_DEP_1) | instskip(NEXT) | instid1(VALU_DEP_1)
	v_and_b32_e32 v3, 0x80000000, v5
	v_or3_b32 v1, v3, v2, v1
.LBB250_267:
	s_or_b32 exec_lo, exec_lo, s3
	s_delay_alu instid0(VALU_DEP_1) | instskip(SKIP_2) | instid1(SALU_CYCLE_1)
	v_cmp_eq_f32_e32 vcc_lo, v0, v1
	s_and_not1_b32 s1, s1, exec_lo
	s_and_b32 s2, vcc_lo, exec_lo
	s_or_b32 s1, s1, s2
	s_or_b32 exec_lo, exec_lo, s0
	v_cndmask_b32_e64 v0, 0, 1, s1
	s_set_pc_i64 s[30:31]
.LBB250_268:
	s_mov_b32 s5, 0
	s_mov_b32 s3, exec_lo
                                        ; implicit-def: $vgpr1
	v_cmpx_lt_i16_e32 28, v6
	s_xor_b32 s3, exec_lo, s3
	s_cbranch_execz .LBB250_302
; %bb.269:
	s_mov_b32 s6, 0
	s_mov_b32 s7, 0
	s_mov_b32 s4, exec_lo
                                        ; implicit-def: $vgpr1
	v_cmpx_lt_i16_e32 43, v6
	s_xor_b32 s4, exec_lo, s4
	s_cbranch_execz .LBB250_291
; %bb.270:
	s_mov_b32 s7, exec_lo
                                        ; implicit-def: $vgpr1
	v_cmpx_lt_i16_e32 45, v6
	s_xor_b32 s7, exec_lo, s7
	s_cbranch_execz .LBB250_280
; %bb.271:
	s_mov_b32 s8, -1
	s_mov_b32 s5, exec_lo
                                        ; implicit-def: $vgpr1
	v_cmpx_eq_u16_e32 46, v6
	s_cbranch_execz .LBB250_279
; %bb.272:
	flat_load_b32 v1, v[10:11]
	s_mov_b32 s6, exec_lo
	s_wait_loadcnt_dscnt 0x0
	v_dual_mov_b32 v1, 0x80 :: v_dual_lshlrev_b32 v6, 16, v1
	s_delay_alu instid0(VALU_DEP_1) | instskip(SKIP_1) | instid1(VALU_DEP_1)
	v_and_b32_e32 v12, 0x7fffffff, v6
	s_wait_xcnt 0x0
	v_cmpx_gt_u32_e32 0x47800000, v12
	s_cbranch_execz .LBB250_278
; %bb.273:
	v_cmp_lt_u32_e32 vcc_lo, 0x37ffffff, v12
	s_mov_b32 s8, 0
                                        ; implicit-def: $vgpr12
	s_and_saveexec_b32 s9, vcc_lo
	s_delay_alu instid0(SALU_CYCLE_1)
	s_xor_b32 s9, exec_lo, s9
	s_cbranch_execnz .LBB250_568
; %bb.274:
	s_and_not1_saveexec_b32 s9, s9
	s_cbranch_execnz .LBB250_569
.LBB250_275:
	s_or_b32 exec_lo, exec_lo, s9
	v_mov_b32_e32 v1, 0
	s_and_saveexec_b32 s9, s8
.LBB250_276:
	v_lshrrev_b32_e32 v1, 24, v6
	s_delay_alu instid0(VALU_DEP_1)
	v_and_or_b32 v1, 0x80, v1, v12
.LBB250_277:
	s_or_b32 exec_lo, exec_lo, s9
.LBB250_278:
	s_delay_alu instid0(SALU_CYCLE_1) | instskip(NEXT) | instid1(SALU_CYCLE_1)
	s_or_b32 exec_lo, exec_lo, s6
	s_mov_b32 s6, exec_lo
	s_xor_b32 s8, exec_lo, -1
.LBB250_279:
	s_or_b32 exec_lo, exec_lo, s5
	s_delay_alu instid0(SALU_CYCLE_1)
	s_and_b32 s6, s6, exec_lo
	s_and_b32 s5, s8, exec_lo
                                        ; implicit-def: $vgpr6
.LBB250_280:
	s_and_not1_saveexec_b32 s7, s7
	s_cbranch_execz .LBB250_290
; %bb.281:
	s_mov_b32 s9, -1
	s_mov_b32 s10, s6
	s_mov_b32 s8, exec_lo
                                        ; implicit-def: $vgpr1
	v_cmpx_eq_u16_e32 44, v6
	s_cbranch_execz .LBB250_289
; %bb.282:
	flat_load_u8 v1, v[10:11]
	s_mov_b32 s10, 0
	s_mov_b32 s9, exec_lo
	s_wait_loadcnt_dscnt 0x0
	v_lshlrev_b32_e32 v6, 23, v1
	v_cmp_ne_u32_e32 vcc_lo, 0xff, v1
	s_delay_alu instid0(VALU_DEP_2) | instskip(SKIP_2) | instid1(VALU_DEP_3)
	v_cndmask_b32_e32 v6, 0x7f800001, v6, vcc_lo
	v_cmp_ne_u32_e32 vcc_lo, 0, v1
	v_mov_b32_e32 v1, 0x80
	v_cndmask_b32_e32 v12, 0x400000, v6, vcc_lo
	s_wait_xcnt 0x0
	s_delay_alu instid0(VALU_DEP_1)
	v_cmpx_gt_u32_e32 0x47800000, v12
	s_cbranch_execz .LBB250_288
; %bb.283:
	s_mov_b32 s11, exec_lo
                                        ; implicit-def: $vgpr6
	v_cmpx_lt_u32_e32 0x37ffffff, v12
	s_xor_b32 s11, exec_lo, s11
	s_cbranch_execnz .LBB250_570
; %bb.284:
	s_and_not1_saveexec_b32 s11, s11
	s_cbranch_execnz .LBB250_571
.LBB250_285:
	s_or_b32 exec_lo, exec_lo, s11
	v_mov_b32_e32 v1, 0
	s_and_saveexec_b32 s11, s10
.LBB250_286:
	v_mov_b32_e32 v1, v6
.LBB250_287:
	s_or_b32 exec_lo, exec_lo, s11
.LBB250_288:
	s_delay_alu instid0(SALU_CYCLE_1) | instskip(NEXT) | instid1(SALU_CYCLE_1)
	s_or_b32 exec_lo, exec_lo, s9
	s_or_b32 s10, s6, exec_lo
	s_xor_b32 s9, exec_lo, -1
.LBB250_289:
	s_or_b32 exec_lo, exec_lo, s8
	s_delay_alu instid0(SALU_CYCLE_1)
	s_and_not1_b32 s6, s6, exec_lo
	s_and_b32 s8, s10, exec_lo
	s_and_not1_b32 s5, s5, exec_lo
	s_and_b32 s9, s9, exec_lo
	s_or_b32 s6, s6, s8
	s_or_b32 s5, s5, s9
.LBB250_290:
	s_or_b32 exec_lo, exec_lo, s7
	s_delay_alu instid0(SALU_CYCLE_1)
	s_and_b32 s7, s6, exec_lo
	s_and_b32 s6, s5, exec_lo
                                        ; implicit-def: $vgpr6
.LBB250_291:
	s_and_not1_saveexec_b32 s4, s4
	s_cbranch_execz .LBB250_301
; %bb.292:
	s_mov_b32 s8, -1
	s_mov_b32 s9, s7
	s_mov_b32 s5, exec_lo
                                        ; implicit-def: $vgpr1
	v_cmpx_eq_u16_e32 29, v6
	s_cbranch_execz .LBB250_300
; %bb.293:
	flat_load_b64 v[12:13], v[10:11]
	s_mov_b32 s8, exec_lo
	s_wait_loadcnt_dscnt 0x0
	v_clz_i32_u32_e32 v1, v13
	s_delay_alu instid0(VALU_DEP_1) | instskip(NEXT) | instid1(VALU_DEP_1)
	v_min_u32_e32 v1, 32, v1
	v_lshlrev_b64_e32 v[12:13], v1, v[12:13]
	v_sub_nc_u32_e32 v1, 32, v1
	s_delay_alu instid0(VALU_DEP_2) | instskip(NEXT) | instid1(VALU_DEP_1)
	v_min_u32_e32 v6, 1, v12
	v_or_b32_e32 v6, v13, v6
	s_delay_alu instid0(VALU_DEP_1) | instskip(NEXT) | instid1(VALU_DEP_1)
	v_cvt_f32_u32_e32 v6, v6
	v_ldexp_f32 v12, v6, v1
	v_mov_b32_e32 v1, 0x80
	s_wait_xcnt 0x0
	s_delay_alu instid0(VALU_DEP_2)
	v_cmpx_gt_u32_e32 0x47800000, v12
	s_cbranch_execz .LBB250_299
; %bb.294:
	s_mov_b32 s9, 0
	s_mov_b32 s10, exec_lo
                                        ; implicit-def: $vgpr6
	v_cmpx_lt_u32_e32 0x37ffffff, v12
	s_xor_b32 s10, exec_lo, s10
	s_cbranch_execnz .LBB250_554
; %bb.295:
	s_and_not1_saveexec_b32 s10, s10
	s_cbranch_execnz .LBB250_555
.LBB250_296:
	s_or_b32 exec_lo, exec_lo, s10
	v_mov_b32_e32 v1, 0
	s_and_saveexec_b32 s10, s9
.LBB250_297:
	v_mov_b32_e32 v1, v6
.LBB250_298:
	s_or_b32 exec_lo, exec_lo, s10
.LBB250_299:
	s_delay_alu instid0(SALU_CYCLE_1) | instskip(NEXT) | instid1(SALU_CYCLE_1)
	s_or_b32 exec_lo, exec_lo, s8
	s_or_b32 s9, s7, exec_lo
	s_xor_b32 s8, exec_lo, -1
.LBB250_300:
	s_or_b32 exec_lo, exec_lo, s5
	s_delay_alu instid0(SALU_CYCLE_1)
	s_and_not1_b32 s5, s7, exec_lo
	s_and_b32 s7, s9, exec_lo
	s_and_not1_b32 s6, s6, exec_lo
	s_and_b32 s8, s8, exec_lo
	s_or_b32 s7, s5, s7
	s_or_b32 s6, s6, s8
.LBB250_301:
	s_or_b32 exec_lo, exec_lo, s4
	s_delay_alu instid0(SALU_CYCLE_1)
	s_and_b32 s5, s7, exec_lo
	s_and_b32 s4, s6, exec_lo
                                        ; implicit-def: $vgpr6
.LBB250_302:
	s_and_not1_saveexec_b32 s3, s3
	s_cbranch_execz .LBB250_334
; %bb.303:
	s_mov_b32 s6, exec_lo
                                        ; implicit-def: $vgpr1
	v_cmpx_lt_i16_e32 26, v6
	s_xor_b32 s6, exec_lo, s6
	s_cbranch_execz .LBB250_321
; %bb.304:
	s_mov_b32 s7, exec_lo
                                        ; implicit-def: $vgpr1
	v_cmpx_lt_i16_e32 27, v6
	s_xor_b32 s7, exec_lo, s7
	s_cbranch_execz .LBB250_312
; %bb.305:
	flat_load_b32 v1, v[10:11]
	s_mov_b32 s8, exec_lo
	s_wait_loadcnt_dscnt 0x0
	v_cvt_f32_u32_e32 v12, v1
	v_mov_b32_e32 v1, 0x80
	s_wait_xcnt 0x0
	s_delay_alu instid0(VALU_DEP_2)
	v_cmpx_gt_u32_e32 0x47800000, v12
	s_cbranch_execz .LBB250_311
; %bb.306:
	s_mov_b32 s9, 0
	s_mov_b32 s10, exec_lo
                                        ; implicit-def: $vgpr6
	v_cmpx_lt_u32_e32 0x37ffffff, v12
	s_xor_b32 s10, exec_lo, s10
	s_cbranch_execnz .LBB250_556
; %bb.307:
	s_and_not1_saveexec_b32 s10, s10
	s_cbranch_execnz .LBB250_557
.LBB250_308:
	s_or_b32 exec_lo, exec_lo, s10
	v_mov_b32_e32 v1, 0
	s_and_saveexec_b32 s10, s9
.LBB250_309:
	v_mov_b32_e32 v1, v6
.LBB250_310:
	s_or_b32 exec_lo, exec_lo, s10
.LBB250_311:
	s_delay_alu instid0(SALU_CYCLE_1)
	s_or_b32 exec_lo, exec_lo, s8
.LBB250_312:
	s_and_not1_saveexec_b32 s7, s7
	s_cbranch_execz .LBB250_320
; %bb.313:
	flat_load_u16 v1, v[10:11]
	s_mov_b32 s8, exec_lo
	s_wait_loadcnt_dscnt 0x0
	v_cvt_f32_u32_e32 v12, v1
	v_mov_b32_e32 v1, 0x80
	s_wait_xcnt 0x0
	s_delay_alu instid0(VALU_DEP_2)
	v_cmpx_gt_u32_e32 0x47800000, v12
	s_cbranch_execz .LBB250_319
; %bb.314:
	s_mov_b32 s9, 0
	s_mov_b32 s10, exec_lo
                                        ; implicit-def: $vgpr6
	v_cmpx_lt_u32_e32 0x37ffffff, v12
	s_xor_b32 s10, exec_lo, s10
	s_cbranch_execnz .LBB250_558
; %bb.315:
	s_and_not1_saveexec_b32 s10, s10
	s_cbranch_execnz .LBB250_559
.LBB250_316:
	s_or_b32 exec_lo, exec_lo, s10
	v_mov_b32_e32 v1, 0
	s_and_saveexec_b32 s10, s9
.LBB250_317:
	v_mov_b32_e32 v1, v6
.LBB250_318:
	s_or_b32 exec_lo, exec_lo, s10
.LBB250_319:
	s_delay_alu instid0(SALU_CYCLE_1)
	s_or_b32 exec_lo, exec_lo, s8
.LBB250_320:
	s_delay_alu instid0(SALU_CYCLE_1)
	s_or_b32 exec_lo, exec_lo, s7
.LBB250_321:
	s_and_not1_saveexec_b32 s6, s6
	s_cbranch_execz .LBB250_333
; %bb.322:
	flat_load_u8 v1, v[10:11]
	s_mov_b32 s7, 0
	s_mov_b32 s8, exec_lo
	s_wait_loadcnt_dscnt 0x0
	v_cmpx_lt_i16_e32 0x7f, v1
	s_xor_b32 s8, exec_lo, s8
	s_cbranch_execnz .LBB250_498
; %bb.323:
	s_or_saveexec_b32 s8, s8
	v_mov_b32_e32 v6, 0x7f800001
	s_xor_b32 exec_lo, exec_lo, s8
	s_cbranch_execnz .LBB250_501
.LBB250_324:
	s_or_b32 exec_lo, exec_lo, s8
	s_and_saveexec_b32 s8, s7
	s_cbranch_execz .LBB250_326
.LBB250_325:
	v_and_b32_e32 v6, 0xffff, v1
	s_delay_alu instid0(VALU_DEP_1) | instskip(SKIP_1) | instid1(VALU_DEP_2)
	v_and_b32_e32 v12, 7, v6
	v_bfe_u32 v15, v6, 3, 4
	v_clz_i32_u32_e32 v13, v12
	s_delay_alu instid0(VALU_DEP_2) | instskip(NEXT) | instid1(VALU_DEP_2)
	v_cmp_eq_u32_e32 vcc_lo, 0, v15
	v_min_u32_e32 v13, 32, v13
	s_delay_alu instid0(VALU_DEP_1) | instskip(NEXT) | instid1(VALU_DEP_1)
	v_subrev_nc_u32_e32 v14, 28, v13
	v_dual_lshlrev_b32 v6, v14, v6 :: v_dual_sub_nc_u32 v13, 29, v13
	s_delay_alu instid0(VALU_DEP_1) | instskip(NEXT) | instid1(VALU_DEP_1)
	v_dual_lshlrev_b32 v1, 24, v1 :: v_dual_bitop2_b32 v6, 7, v6 bitop3:0x40
	v_dual_cndmask_b32 v6, v12, v6 :: v_dual_cndmask_b32 v13, v15, v13
	s_delay_alu instid0(VALU_DEP_2) | instskip(NEXT) | instid1(VALU_DEP_2)
	v_and_b32_e32 v1, 0x80000000, v1
	v_lshlrev_b32_e32 v6, 20, v6
	s_delay_alu instid0(VALU_DEP_3) | instskip(NEXT) | instid1(VALU_DEP_1)
	v_lshl_add_u32 v12, v13, 23, 0x3b800000
	v_or3_b32 v6, v1, v12, v6
.LBB250_326:
	s_or_b32 exec_lo, exec_lo, s8
	s_delay_alu instid0(VALU_DEP_1) | instskip(SKIP_2) | instid1(VALU_DEP_2)
	v_and_b32_e32 v12, 0x7fffffff, v6
	v_mov_b32_e32 v1, 0x80
	s_mov_b32 s7, exec_lo
	v_cmpx_gt_u32_e32 0x47800000, v12
	s_cbranch_execz .LBB250_332
; %bb.327:
	v_cmp_lt_u32_e32 vcc_lo, 0x37ffffff, v12
	s_mov_b32 s8, 0
                                        ; implicit-def: $vgpr12
	s_and_saveexec_b32 s9, vcc_lo
	s_delay_alu instid0(SALU_CYCLE_1)
	s_xor_b32 s9, exec_lo, s9
	s_cbranch_execnz .LBB250_522
; %bb.328:
	s_and_not1_saveexec_b32 s9, s9
	s_cbranch_execnz .LBB250_523
.LBB250_329:
	s_or_b32 exec_lo, exec_lo, s9
	v_mov_b32_e32 v1, 0
	s_and_saveexec_b32 s9, s8
.LBB250_330:
	v_lshrrev_b32_e32 v1, 24, v6
	s_delay_alu instid0(VALU_DEP_1)
	v_and_or_b32 v1, 0x80, v1, v12
.LBB250_331:
	s_or_b32 exec_lo, exec_lo, s9
.LBB250_332:
	s_delay_alu instid0(SALU_CYCLE_1)
	s_or_b32 exec_lo, exec_lo, s7
.LBB250_333:
	s_delay_alu instid0(SALU_CYCLE_1) | instskip(NEXT) | instid1(SALU_CYCLE_1)
	s_or_b32 exec_lo, exec_lo, s6
	s_or_b32 s5, s5, exec_lo
.LBB250_334:
	s_or_b32 exec_lo, exec_lo, s3
	s_delay_alu instid0(SALU_CYCLE_1)
	s_and_b32 s3, s5, exec_lo
	s_and_b32 s4, s4, exec_lo
                                        ; implicit-def: $vgpr6
	s_and_not1_saveexec_b32 s2, s2
	s_cbranch_execz .LBB250_3
.LBB250_335:
	s_mov_b32 s5, s3
	s_mov_b32 s0, exec_lo
                                        ; implicit-def: $vgpr1
	v_cmpx_lt_i16_e32 22, v6
	s_xor_b32 s0, exec_lo, s0
	s_cbranch_execz .LBB250_357
; %bb.336:
	s_mov_b32 s5, exec_lo
                                        ; implicit-def: $vgpr1
	v_cmpx_lt_i16_e32 23, v6
	s_xor_b32 s5, exec_lo, s5
	s_cbranch_execz .LBB250_348
; %bb.337:
	;; [unrolled: 6-line block ×3, first 2 shown]
	flat_load_u8 v1, v[10:11]
.LBB250_339:
	s_wait_xcnt 0x0
	s_and_not1_saveexec_b32 s6, s6
	s_cbranch_execz .LBB250_347
; %bb.340:
	s_wait_loadcnt_dscnt 0x0
	flat_load_u8 v1, v[10:11]
	s_mov_b32 s8, 0
	s_mov_b32 s7, exec_lo
	s_wait_loadcnt_dscnt 0x0
	v_lshlrev_b32_e32 v1, 24, v1
	s_delay_alu instid0(VALU_DEP_1) | instskip(NEXT) | instid1(VALU_DEP_1)
	v_and_b32_e32 v6, 0x7f000000, v1
	v_clz_i32_u32_e32 v12, v6
	v_cmp_ne_u32_e32 vcc_lo, 0, v6
	v_add_nc_u32_e32 v14, 0x1000000, v6
	s_delay_alu instid0(VALU_DEP_3) | instskip(NEXT) | instid1(VALU_DEP_1)
	v_min_u32_e32 v12, 32, v12
	v_sub_nc_u32_e64 v12, v12, 4 clamp
	s_delay_alu instid0(VALU_DEP_1) | instskip(NEXT) | instid1(VALU_DEP_1)
	v_dual_lshlrev_b32 v13, v12, v6 :: v_dual_lshlrev_b32 v12, 23, v12
	v_lshrrev_b32_e32 v13, 4, v13
	s_delay_alu instid0(VALU_DEP_1) | instskip(NEXT) | instid1(VALU_DEP_1)
	v_dual_sub_nc_u32 v12, v13, v12 :: v_dual_ashrrev_i32 v13, 8, v14
	v_add_nc_u32_e32 v12, 0x3c000000, v12
	s_delay_alu instid0(VALU_DEP_1) | instskip(NEXT) | instid1(VALU_DEP_1)
	v_and_or_b32 v12, 0x7f800000, v13, v12
	v_cndmask_b32_e32 v13, 0, v12, vcc_lo
	s_delay_alu instid0(VALU_DEP_1) | instskip(SKIP_1) | instid1(VALU_DEP_2)
	v_and_or_b32 v6, 0x80000000, v1, v13
	v_mov_b32_e32 v1, 0x80
	v_and_b32_e32 v12, 0x7fffffff, v6
	s_wait_xcnt 0x0
	s_delay_alu instid0(VALU_DEP_1)
	v_cmpx_gt_u32_e32 0x47800000, v12
	s_cbranch_execz .LBB250_346
; %bb.341:
	v_cmp_lt_u32_e32 vcc_lo, 0x37ffffff, v12
                                        ; implicit-def: $vgpr12
	s_and_saveexec_b32 s9, vcc_lo
	s_delay_alu instid0(SALU_CYCLE_1)
	s_xor_b32 s9, exec_lo, s9
	s_cbranch_execnz .LBB250_560
; %bb.342:
	s_and_not1_saveexec_b32 s9, s9
	s_cbranch_execnz .LBB250_561
.LBB250_343:
	s_or_b32 exec_lo, exec_lo, s9
	v_mov_b32_e32 v1, 0
	s_and_saveexec_b32 s9, s8
.LBB250_344:
	v_lshrrev_b32_e32 v1, 24, v6
	s_delay_alu instid0(VALU_DEP_1)
	v_and_or_b32 v1, 0x80, v1, v12
.LBB250_345:
	s_or_b32 exec_lo, exec_lo, s9
.LBB250_346:
	s_delay_alu instid0(SALU_CYCLE_1)
	s_or_b32 exec_lo, exec_lo, s7
.LBB250_347:
	s_delay_alu instid0(SALU_CYCLE_1)
	s_or_b32 exec_lo, exec_lo, s6
.LBB250_348:
	s_and_not1_saveexec_b32 s5, s5
	s_cbranch_execz .LBB250_356
; %bb.349:
	s_wait_loadcnt_dscnt 0x0
	flat_load_u8 v1, v[10:11]
	s_mov_b32 s6, exec_lo
	s_wait_loadcnt_dscnt 0x0
	v_lshlrev_b32_e32 v6, 25, v1
	v_lshlrev_b16 v1, 8, v1
	s_delay_alu instid0(VALU_DEP_2) | instskip(NEXT) | instid1(VALU_DEP_2)
	v_cmp_gt_u32_e32 vcc_lo, 0x8000000, v6
	v_and_or_b32 v13, 0x7f00, v1, 0.5
	v_lshrrev_b32_e32 v12, 4, v6
	v_bfe_i32 v1, v1, 0, 16
	s_delay_alu instid0(VALU_DEP_3) | instskip(NEXT) | instid1(VALU_DEP_3)
	v_add_f32_e32 v13, -0.5, v13
	v_or_b32_e32 v12, 0x70000000, v12
	s_delay_alu instid0(VALU_DEP_1) | instskip(NEXT) | instid1(VALU_DEP_1)
	v_mul_f32_e32 v12, 0x7800000, v12
	v_cndmask_b32_e32 v13, v12, v13, vcc_lo
	s_delay_alu instid0(VALU_DEP_1) | instskip(SKIP_1) | instid1(VALU_DEP_2)
	v_and_or_b32 v6, 0x80000000, v1, v13
	v_mov_b32_e32 v1, 0x80
	v_and_b32_e32 v12, 0x7fffffff, v6
	s_wait_xcnt 0x0
	s_delay_alu instid0(VALU_DEP_1)
	v_cmpx_gt_u32_e32 0x47800000, v12
	s_cbranch_execz .LBB250_355
; %bb.350:
	v_cmp_lt_u32_e32 vcc_lo, 0x37ffffff, v12
	s_mov_b32 s7, 0
                                        ; implicit-def: $vgpr12
	s_and_saveexec_b32 s8, vcc_lo
	s_delay_alu instid0(SALU_CYCLE_1)
	s_xor_b32 s8, exec_lo, s8
	s_cbranch_execnz .LBB250_524
; %bb.351:
	s_and_not1_saveexec_b32 s8, s8
	s_cbranch_execnz .LBB250_525
.LBB250_352:
	s_or_b32 exec_lo, exec_lo, s8
	v_mov_b32_e32 v1, 0
	s_and_saveexec_b32 s8, s7
.LBB250_353:
	v_lshrrev_b32_e32 v1, 24, v6
	s_delay_alu instid0(VALU_DEP_1)
	v_and_or_b32 v1, 0x80, v1, v12
.LBB250_354:
	s_or_b32 exec_lo, exec_lo, s8
.LBB250_355:
	s_delay_alu instid0(SALU_CYCLE_1)
	s_or_b32 exec_lo, exec_lo, s6
.LBB250_356:
	s_delay_alu instid0(SALU_CYCLE_1) | instskip(NEXT) | instid1(SALU_CYCLE_1)
	s_or_b32 exec_lo, exec_lo, s5
	s_or_b32 s5, s3, exec_lo
                                        ; implicit-def: $vgpr6
.LBB250_357:
	s_or_saveexec_b32 s0, s0
	s_mov_b32 s6, 0
	s_mov_b32 s7, s4
	s_xor_b32 exec_lo, exec_lo, s0
	s_cbranch_execz .LBB250_371
; %bb.358:
	s_mov_b32 s7, s4
	s_mov_b32 s8, s5
	s_mov_b32 s6, exec_lo
                                        ; implicit-def: $vgpr1
	v_cmpx_lt_i16_e32 14, v6
	s_xor_b32 s6, exec_lo, s6
	s_cbranch_execz .LBB250_368
; %bb.359:
	s_mov_b32 s8, -1
	s_mov_b32 s9, s5
	s_mov_b32 s7, exec_lo
                                        ; implicit-def: $vgpr1
	v_cmpx_eq_u16_e32 15, v6
	s_cbranch_execz .LBB250_367
; %bb.360:
	flat_load_u16 v6, v[10:11]
	s_wait_loadcnt_dscnt 0x101
	v_mov_b32_e32 v1, 0x80
	s_mov_b32 s8, exec_lo
	s_wait_loadcnt_dscnt 0x0
	v_lshlrev_b32_e32 v13, 16, v6
	s_delay_alu instid0(VALU_DEP_1) | instskip(SKIP_1) | instid1(VALU_DEP_1)
	v_and_b32_e32 v12, 0x7fffffff, v13
	s_wait_xcnt 0x0
	v_cmpx_gt_u32_e32 0x47800000, v12
	s_cbranch_execz .LBB250_366
; %bb.361:
	v_cmp_lt_u32_e32 vcc_lo, 0x37ffffff, v12
	s_mov_b32 s9, 0
                                        ; implicit-def: $vgpr12
	s_and_saveexec_b32 s10, vcc_lo
	s_delay_alu instid0(SALU_CYCLE_1)
	s_xor_b32 s10, exec_lo, s10
	s_cbranch_execnz .LBB250_562
; %bb.362:
	s_and_not1_saveexec_b32 s10, s10
	s_cbranch_execnz .LBB250_563
.LBB250_363:
	s_or_b32 exec_lo, exec_lo, s10
	v_mov_b32_e32 v1, 0
	s_and_saveexec_b32 s10, s9
.LBB250_364:
	v_lshrrev_b32_e32 v1, 8, v6
	s_delay_alu instid0(VALU_DEP_1)
	v_and_or_b32 v1, 0x80, v1, v12
.LBB250_365:
	s_or_b32 exec_lo, exec_lo, s10
.LBB250_366:
	s_delay_alu instid0(SALU_CYCLE_1) | instskip(NEXT) | instid1(SALU_CYCLE_1)
	s_or_b32 exec_lo, exec_lo, s8
	s_or_b32 s9, s5, exec_lo
	s_xor_b32 s8, exec_lo, -1
.LBB250_367:
	s_or_b32 exec_lo, exec_lo, s7
	s_delay_alu instid0(SALU_CYCLE_1)
	s_and_not1_b32 s7, s5, exec_lo
	s_and_b32 s9, s9, exec_lo
	s_and_not1_b32 s10, s4, exec_lo
	s_and_b32 s11, s8, exec_lo
	s_or_b32 s8, s7, s9
	s_or_b32 s7, s10, s11
                                        ; implicit-def: $vgpr6
.LBB250_368:
	s_or_saveexec_b32 s6, s6
	s_mov_b32 s9, 0
	s_xor_b32 exec_lo, exec_lo, s6
; %bb.369:
	v_cmp_ne_u16_e32 vcc_lo, 11, v6
	s_and_not1_b32 s7, s7, exec_lo
	s_mov_b32 s9, exec_lo
	s_and_b32 s10, vcc_lo, exec_lo
	s_delay_alu instid0(SALU_CYCLE_1)
	s_or_b32 s7, s7, s10
; %bb.370:
	s_or_b32 exec_lo, exec_lo, s6
	s_delay_alu instid0(SALU_CYCLE_1)
	s_and_not1_b32 s5, s5, exec_lo
	s_and_b32 s6, s8, exec_lo
	s_and_not1_b32 s8, s4, exec_lo
	s_and_b32 s7, s7, exec_lo
	s_or_b32 s5, s5, s6
	s_and_b32 s6, s9, exec_lo
	s_or_b32 s7, s8, s7
.LBB250_371:
	s_or_b32 exec_lo, exec_lo, s0
	s_delay_alu instid0(SALU_CYCLE_1)
	s_and_not1_b32 s0, s3, exec_lo
	s_and_b32 s3, s5, exec_lo
	s_and_not1_b32 s4, s4, exec_lo
	s_and_b32 s5, s7, exec_lo
	s_or_b32 s3, s0, s3
	s_and_b32 s0, s6, exec_lo
	s_or_b32 s4, s4, s5
	s_or_b32 exec_lo, exec_lo, s2
	s_mov_b32 s2, 0
	s_and_saveexec_b32 s5, s4
	s_cbranch_execz .LBB250_4
.LBB250_372:
	s_mov_b32 s2, exec_lo
	s_and_not1_b32 s0, s0, exec_lo
	s_trap 2
	s_or_b32 exec_lo, exec_lo, s5
	s_and_saveexec_b32 s4, s0
	s_delay_alu instid0(SALU_CYCLE_1)
	s_xor_b32 s0, exec_lo, s4
	s_cbranch_execnz .LBB250_5
	s_branch .LBB250_12
.LBB250_373:
	s_mov_b32 s7, 0
	s_mov_b32 s5, exec_lo
                                        ; implicit-def: $vgpr12
	v_cmpx_lt_i16_e32 28, v6
	s_xor_b32 s5, exec_lo, s5
	s_cbranch_execz .LBB250_407
; %bb.374:
	s_mov_b32 s8, 0
	s_mov_b32 s9, 0
	s_mov_b32 s6, exec_lo
                                        ; implicit-def: $vgpr12
	v_cmpx_lt_i16_e32 43, v6
	s_xor_b32 s6, exec_lo, s6
	s_cbranch_execz .LBB250_396
; %bb.375:
	s_mov_b32 s9, exec_lo
                                        ; implicit-def: $vgpr12
	v_cmpx_lt_i16_e32 45, v6
	s_xor_b32 s9, exec_lo, s9
	s_cbranch_execz .LBB250_385
; %bb.376:
	s_mov_b32 s10, -1
	s_mov_b32 s7, exec_lo
                                        ; implicit-def: $vgpr12
	v_cmpx_eq_u16_e32 46, v6
	s_cbranch_execz .LBB250_384
; %bb.377:
	flat_load_b32 v2, v[10:11]
	v_mov_b32_e32 v12, 0x80
	s_mov_b32 s8, exec_lo
	s_wait_loadcnt_dscnt 0x0
	v_lshlrev_b32_e32 v2, 16, v2
	s_delay_alu instid0(VALU_DEP_1) | instskip(SKIP_1) | instid1(VALU_DEP_1)
	v_and_b32_e32 v3, 0x7fffffff, v2
	s_wait_xcnt 0x0
	v_cmpx_gt_u32_e32 0x47800000, v3
	s_cbranch_execz .LBB250_383
; %bb.378:
	v_cmp_lt_u32_e32 vcc_lo, 0x37ffffff, v3
	s_mov_b32 s10, 0
                                        ; implicit-def: $vgpr3
	s_and_saveexec_b32 s11, vcc_lo
	s_delay_alu instid0(SALU_CYCLE_1)
	s_xor_b32 s11, exec_lo, s11
	s_cbranch_execnz .LBB250_582
; %bb.379:
	s_and_not1_saveexec_b32 s11, s11
	s_cbranch_execnz .LBB250_583
.LBB250_380:
	s_or_b32 exec_lo, exec_lo, s11
	v_mov_b32_e32 v12, 0
	s_and_saveexec_b32 s11, s10
.LBB250_381:
	v_lshrrev_b32_e32 v2, 24, v2
	s_delay_alu instid0(VALU_DEP_1)
	v_and_or_b32 v12, 0x80, v2, v3
.LBB250_382:
	s_or_b32 exec_lo, exec_lo, s11
.LBB250_383:
	s_delay_alu instid0(SALU_CYCLE_1) | instskip(NEXT) | instid1(SALU_CYCLE_1)
	s_or_b32 exec_lo, exec_lo, s8
	s_mov_b32 s8, exec_lo
	s_xor_b32 s10, exec_lo, -1
.LBB250_384:
	s_or_b32 exec_lo, exec_lo, s7
	s_delay_alu instid0(SALU_CYCLE_1)
	s_and_b32 s8, s8, exec_lo
	s_and_b32 s7, s10, exec_lo
.LBB250_385:
	s_and_not1_saveexec_b32 s9, s9
	s_cbranch_execz .LBB250_395
; %bb.386:
	s_mov_b32 s11, -1
	s_mov_b32 s12, s8
	s_mov_b32 s10, exec_lo
                                        ; implicit-def: $vgpr12
	v_cmpx_eq_u16_e32 44, v6
	s_cbranch_execz .LBB250_394
; %bb.387:
	flat_load_u8 v2, v[10:11]
	s_mov_b32 s12, 0
	s_mov_b32 s11, exec_lo
	s_wait_loadcnt_dscnt 0x0
	v_dual_mov_b32 v12, 0x80 :: v_dual_lshlrev_b32 v3, 23, v2
	v_cmp_ne_u32_e32 vcc_lo, 0xff, v2
	s_delay_alu instid0(VALU_DEP_2) | instskip(SKIP_1) | instid1(VALU_DEP_2)
	v_cndmask_b32_e32 v3, 0x7f800001, v3, vcc_lo
	v_cmp_ne_u32_e32 vcc_lo, 0, v2
	v_cndmask_b32_e32 v3, 0x400000, v3, vcc_lo
	s_wait_xcnt 0x0
	s_delay_alu instid0(VALU_DEP_1)
	v_cmpx_gt_u32_e32 0x47800000, v3
	s_cbranch_execz .LBB250_393
; %bb.388:
	s_mov_b32 s13, exec_lo
                                        ; implicit-def: $vgpr2
	v_cmpx_lt_u32_e32 0x37ffffff, v3
	s_xor_b32 s13, exec_lo, s13
	s_cbranch_execnz .LBB250_584
; %bb.389:
	s_and_not1_saveexec_b32 s13, s13
	s_cbranch_execnz .LBB250_585
.LBB250_390:
	s_or_b32 exec_lo, exec_lo, s13
	v_mov_b32_e32 v12, 0
	s_and_saveexec_b32 s13, s12
.LBB250_391:
	v_mov_b32_e32 v12, v2
.LBB250_392:
	s_or_b32 exec_lo, exec_lo, s13
.LBB250_393:
	s_delay_alu instid0(SALU_CYCLE_1) | instskip(NEXT) | instid1(SALU_CYCLE_1)
	s_or_b32 exec_lo, exec_lo, s11
	s_or_b32 s12, s8, exec_lo
	s_xor_b32 s11, exec_lo, -1
.LBB250_394:
	s_or_b32 exec_lo, exec_lo, s10
	s_delay_alu instid0(SALU_CYCLE_1)
	s_and_not1_b32 s8, s8, exec_lo
	s_and_b32 s10, s12, exec_lo
	s_and_not1_b32 s7, s7, exec_lo
	s_and_b32 s11, s11, exec_lo
	s_or_b32 s8, s8, s10
	s_or_b32 s7, s7, s11
.LBB250_395:
	s_or_b32 exec_lo, exec_lo, s9
	s_delay_alu instid0(SALU_CYCLE_1)
	s_and_b32 s9, s8, exec_lo
	s_and_b32 s8, s7, exec_lo
.LBB250_396:
	s_and_not1_saveexec_b32 s6, s6
	s_cbranch_execz .LBB250_406
; %bb.397:
	s_mov_b32 s10, -1
	s_mov_b32 s11, s9
	s_mov_b32 s7, exec_lo
                                        ; implicit-def: $vgpr12
	v_cmpx_eq_u16_e32 29, v6
	s_cbranch_execz .LBB250_405
; %bb.398:
	flat_load_b64 v[2:3], v[10:11]
	v_mov_b32_e32 v12, 0x80
	s_mov_b32 s10, exec_lo
	s_wait_loadcnt_dscnt 0x0
	v_clz_i32_u32_e32 v4, v3
	s_delay_alu instid0(VALU_DEP_1) | instskip(NEXT) | instid1(VALU_DEP_1)
	v_min_u32_e32 v4, 32, v4
	v_lshlrev_b64_e32 v[2:3], v4, v[2:3]
	s_delay_alu instid0(VALU_DEP_1) | instskip(NEXT) | instid1(VALU_DEP_1)
	v_min_u32_e32 v2, 1, v2
	v_dual_sub_nc_u32 v3, 32, v4 :: v_dual_bitop2_b32 v2, v3, v2 bitop3:0x54
	s_delay_alu instid0(VALU_DEP_1) | instskip(NEXT) | instid1(VALU_DEP_1)
	v_cvt_f32_u32_e32 v2, v2
	v_ldexp_f32 v3, v2, v3
	s_wait_xcnt 0x0
	s_delay_alu instid0(VALU_DEP_1)
	v_cmpx_gt_u32_e32 0x47800000, v3
	s_cbranch_execz .LBB250_404
; %bb.399:
	s_mov_b32 s11, 0
	s_mov_b32 s12, exec_lo
                                        ; implicit-def: $vgpr2
	v_cmpx_lt_u32_e32 0x37ffffff, v3
	s_xor_b32 s12, exec_lo, s12
	s_cbranch_execnz .LBB250_572
; %bb.400:
	s_and_not1_saveexec_b32 s12, s12
	s_cbranch_execnz .LBB250_573
.LBB250_401:
	s_or_b32 exec_lo, exec_lo, s12
	v_mov_b32_e32 v12, 0
	s_and_saveexec_b32 s12, s11
.LBB250_402:
	v_mov_b32_e32 v12, v2
.LBB250_403:
	s_or_b32 exec_lo, exec_lo, s12
.LBB250_404:
	s_delay_alu instid0(SALU_CYCLE_1) | instskip(NEXT) | instid1(SALU_CYCLE_1)
	s_or_b32 exec_lo, exec_lo, s10
	s_or_b32 s11, s9, exec_lo
	s_xor_b32 s10, exec_lo, -1
.LBB250_405:
	s_or_b32 exec_lo, exec_lo, s7
	s_delay_alu instid0(SALU_CYCLE_1)
	s_and_not1_b32 s7, s9, exec_lo
	s_and_b32 s9, s11, exec_lo
	s_and_not1_b32 s8, s8, exec_lo
	s_and_b32 s10, s10, exec_lo
	s_or_b32 s9, s7, s9
	s_or_b32 s8, s8, s10
.LBB250_406:
	s_or_b32 exec_lo, exec_lo, s6
	s_delay_alu instid0(SALU_CYCLE_1)
	s_and_b32 s7, s9, exec_lo
	s_and_b32 s6, s8, exec_lo
.LBB250_407:
	s_and_not1_saveexec_b32 s5, s5
	s_cbranch_execz .LBB250_439
; %bb.408:
	s_mov_b32 s8, exec_lo
                                        ; implicit-def: $vgpr12
	v_cmpx_lt_i16_e32 26, v6
	s_xor_b32 s8, exec_lo, s8
	s_cbranch_execz .LBB250_426
; %bb.409:
	s_mov_b32 s9, exec_lo
                                        ; implicit-def: $vgpr12
	v_cmpx_lt_i16_e32 27, v6
	s_xor_b32 s9, exec_lo, s9
	s_cbranch_execz .LBB250_417
; %bb.410:
	flat_load_b32 v2, v[10:11]
	v_mov_b32_e32 v12, 0x80
	s_mov_b32 s10, exec_lo
	s_wait_loadcnt_dscnt 0x0
	v_cvt_f32_u32_e32 v3, v2
	s_wait_xcnt 0x0
	s_delay_alu instid0(VALU_DEP_1)
	v_cmpx_gt_u32_e32 0x47800000, v3
	s_cbranch_execz .LBB250_416
; %bb.411:
	s_mov_b32 s11, 0
	s_mov_b32 s12, exec_lo
                                        ; implicit-def: $vgpr2
	v_cmpx_lt_u32_e32 0x37ffffff, v3
	s_xor_b32 s12, exec_lo, s12
	s_cbranch_execnz .LBB250_574
; %bb.412:
	s_and_not1_saveexec_b32 s12, s12
	s_cbranch_execnz .LBB250_575
.LBB250_413:
	s_or_b32 exec_lo, exec_lo, s12
	v_mov_b32_e32 v12, 0
	s_and_saveexec_b32 s12, s11
.LBB250_414:
	v_mov_b32_e32 v12, v2
.LBB250_415:
	s_or_b32 exec_lo, exec_lo, s12
.LBB250_416:
	s_delay_alu instid0(SALU_CYCLE_1)
	s_or_b32 exec_lo, exec_lo, s10
.LBB250_417:
	s_and_not1_saveexec_b32 s9, s9
	s_cbranch_execz .LBB250_425
; %bb.418:
	flat_load_u16 v2, v[10:11]
	v_mov_b32_e32 v12, 0x80
	s_mov_b32 s10, exec_lo
	s_wait_loadcnt_dscnt 0x0
	v_cvt_f32_u32_e32 v3, v2
	s_wait_xcnt 0x0
	s_delay_alu instid0(VALU_DEP_1)
	v_cmpx_gt_u32_e32 0x47800000, v3
	s_cbranch_execz .LBB250_424
; %bb.419:
	s_mov_b32 s11, 0
	s_mov_b32 s12, exec_lo
                                        ; implicit-def: $vgpr2
	v_cmpx_lt_u32_e32 0x37ffffff, v3
	s_xor_b32 s12, exec_lo, s12
	s_cbranch_execnz .LBB250_576
; %bb.420:
	s_and_not1_saveexec_b32 s12, s12
	s_cbranch_execnz .LBB250_577
.LBB250_421:
	s_or_b32 exec_lo, exec_lo, s12
	v_mov_b32_e32 v12, 0
	s_and_saveexec_b32 s12, s11
.LBB250_422:
	v_mov_b32_e32 v12, v2
.LBB250_423:
	s_or_b32 exec_lo, exec_lo, s12
.LBB250_424:
	s_delay_alu instid0(SALU_CYCLE_1)
	s_or_b32 exec_lo, exec_lo, s10
.LBB250_425:
	s_delay_alu instid0(SALU_CYCLE_1)
	s_or_b32 exec_lo, exec_lo, s9
.LBB250_426:
	s_and_not1_saveexec_b32 s8, s8
	s_cbranch_execz .LBB250_438
; %bb.427:
	flat_load_u8 v3, v[10:11]
	s_mov_b32 s9, 0
	s_mov_b32 s10, exec_lo
	s_wait_loadcnt_dscnt 0x0
	v_cmpx_lt_i16_e32 0x7f, v3
	s_xor_b32 s10, exec_lo, s10
	s_cbranch_execnz .LBB250_526
; %bb.428:
	s_or_saveexec_b32 s10, s10
	v_mov_b32_e32 v2, 0x7f800001
	s_xor_b32 exec_lo, exec_lo, s10
	s_cbranch_execnz .LBB250_529
.LBB250_429:
	s_or_b32 exec_lo, exec_lo, s10
	s_and_saveexec_b32 s10, s9
	s_cbranch_execz .LBB250_431
.LBB250_430:
	v_and_b32_e32 v2, 0xffff, v3
	s_delay_alu instid0(VALU_DEP_1) | instskip(SKIP_1) | instid1(VALU_DEP_2)
	v_and_b32_e32 v4, 7, v2
	v_bfe_u32 v8, v2, 3, 4
	v_clz_i32_u32_e32 v5, v4
	s_delay_alu instid0(VALU_DEP_2) | instskip(NEXT) | instid1(VALU_DEP_2)
	v_cmp_eq_u32_e32 vcc_lo, 0, v8
	v_min_u32_e32 v5, 32, v5
	s_delay_alu instid0(VALU_DEP_1) | instskip(NEXT) | instid1(VALU_DEP_1)
	v_subrev_nc_u32_e32 v7, 28, v5
	v_dual_lshlrev_b32 v2, v7, v2 :: v_dual_sub_nc_u32 v5, 29, v5
	s_delay_alu instid0(VALU_DEP_1) | instskip(NEXT) | instid1(VALU_DEP_2)
	v_dual_lshlrev_b32 v3, 24, v3 :: v_dual_bitop2_b32 v2, 7, v2 bitop3:0x40
	v_cndmask_b32_e32 v5, v8, v5, vcc_lo
	s_delay_alu instid0(VALU_DEP_2) | instskip(NEXT) | instid1(VALU_DEP_3)
	v_cndmask_b32_e32 v2, v4, v2, vcc_lo
	v_and_b32_e32 v3, 0x80000000, v3
	s_delay_alu instid0(VALU_DEP_3) | instskip(NEXT) | instid1(VALU_DEP_3)
	v_lshl_add_u32 v4, v5, 23, 0x3b800000
	v_lshlrev_b32_e32 v2, 20, v2
	s_delay_alu instid0(VALU_DEP_1)
	v_or3_b32 v2, v3, v4, v2
.LBB250_431:
	s_or_b32 exec_lo, exec_lo, s10
	s_delay_alu instid0(VALU_DEP_1) | instskip(SKIP_2) | instid1(VALU_DEP_2)
	v_and_b32_e32 v3, 0x7fffffff, v2
	v_mov_b32_e32 v12, 0x80
	s_mov_b32 s9, exec_lo
	v_cmpx_gt_u32_e32 0x47800000, v3
	s_cbranch_execz .LBB250_437
; %bb.432:
	v_cmp_lt_u32_e32 vcc_lo, 0x37ffffff, v3
	s_mov_b32 s10, 0
                                        ; implicit-def: $vgpr3
	s_and_saveexec_b32 s11, vcc_lo
	s_delay_alu instid0(SALU_CYCLE_1)
	s_xor_b32 s11, exec_lo, s11
	s_cbranch_execnz .LBB250_564
; %bb.433:
	s_and_not1_saveexec_b32 s11, s11
	s_cbranch_execnz .LBB250_565
.LBB250_434:
	s_or_b32 exec_lo, exec_lo, s11
	v_mov_b32_e32 v12, 0
	s_and_saveexec_b32 s11, s10
.LBB250_435:
	v_lshrrev_b32_e32 v2, 24, v2
	s_delay_alu instid0(VALU_DEP_1)
	v_and_or_b32 v12, 0x80, v2, v3
.LBB250_436:
	s_or_b32 exec_lo, exec_lo, s11
.LBB250_437:
	s_delay_alu instid0(SALU_CYCLE_1)
	s_or_b32 exec_lo, exec_lo, s9
.LBB250_438:
	s_delay_alu instid0(SALU_CYCLE_1) | instskip(NEXT) | instid1(SALU_CYCLE_1)
	s_or_b32 exec_lo, exec_lo, s8
	s_or_b32 s7, s7, exec_lo
.LBB250_439:
	s_or_b32 exec_lo, exec_lo, s5
	s_delay_alu instid0(SALU_CYCLE_1)
	s_and_b32 s5, s7, exec_lo
	s_and_b32 s6, s6, exec_lo
	s_and_not1_saveexec_b32 s4, s4
	s_cbranch_execz .LBB250_130
.LBB250_440:
	s_mov_b32 s7, s5
	s_mov_b32 s3, exec_lo
                                        ; implicit-def: $vgpr12
	v_cmpx_lt_i16_e32 22, v6
	s_xor_b32 s3, exec_lo, s3
	s_cbranch_execz .LBB250_462
; %bb.441:
	s_mov_b32 s7, exec_lo
                                        ; implicit-def: $vgpr12
	v_cmpx_lt_i16_e32 23, v6
	s_xor_b32 s7, exec_lo, s7
	s_cbranch_execz .LBB250_453
; %bb.442:
	;; [unrolled: 6-line block ×3, first 2 shown]
	flat_load_u8 v12, v[10:11]
.LBB250_444:
	s_wait_xcnt 0x0
	s_and_not1_saveexec_b32 s8, s8
	s_cbranch_execz .LBB250_452
; %bb.445:
	flat_load_u8 v2, v[10:11]
	s_wait_loadcnt_dscnt 0x101
	v_mov_b32_e32 v12, 0x80
	s_mov_b32 s10, 0
	s_mov_b32 s9, exec_lo
	s_wait_loadcnt_dscnt 0x0
	v_lshlrev_b32_e32 v2, 24, v2
	s_delay_alu instid0(VALU_DEP_1) | instskip(NEXT) | instid1(VALU_DEP_1)
	v_and_b32_e32 v3, 0x7f000000, v2
	v_clz_i32_u32_e32 v4, v3
	v_cmp_ne_u32_e32 vcc_lo, 0, v3
	v_add_nc_u32_e32 v7, 0x1000000, v3
	s_delay_alu instid0(VALU_DEP_3) | instskip(NEXT) | instid1(VALU_DEP_1)
	v_min_u32_e32 v4, 32, v4
	v_sub_nc_u32_e64 v4, v4, 4 clamp
	s_delay_alu instid0(VALU_DEP_1) | instskip(NEXT) | instid1(VALU_DEP_1)
	v_dual_lshlrev_b32 v5, v4, v3 :: v_dual_lshlrev_b32 v4, 23, v4
	v_lshrrev_b32_e32 v5, 4, v5
	s_delay_alu instid0(VALU_DEP_1) | instskip(NEXT) | instid1(VALU_DEP_1)
	v_dual_sub_nc_u32 v4, v5, v4 :: v_dual_ashrrev_i32 v5, 8, v7
	v_add_nc_u32_e32 v4, 0x3c000000, v4
	s_delay_alu instid0(VALU_DEP_1) | instskip(NEXT) | instid1(VALU_DEP_1)
	v_and_or_b32 v4, 0x7f800000, v5, v4
	v_cndmask_b32_e32 v4, 0, v4, vcc_lo
	s_delay_alu instid0(VALU_DEP_1) | instskip(NEXT) | instid1(VALU_DEP_1)
	v_and_or_b32 v2, 0x80000000, v2, v4
	v_and_b32_e32 v3, 0x7fffffff, v2
	s_wait_xcnt 0x0
	s_delay_alu instid0(VALU_DEP_1)
	v_cmpx_gt_u32_e32 0x47800000, v3
	s_cbranch_execz .LBB250_451
; %bb.446:
	v_cmp_lt_u32_e32 vcc_lo, 0x37ffffff, v3
                                        ; implicit-def: $vgpr3
	s_and_saveexec_b32 s11, vcc_lo
	s_delay_alu instid0(SALU_CYCLE_1)
	s_xor_b32 s11, exec_lo, s11
	s_cbranch_execnz .LBB250_578
; %bb.447:
	s_and_not1_saveexec_b32 s11, s11
	s_cbranch_execnz .LBB250_579
.LBB250_448:
	s_or_b32 exec_lo, exec_lo, s11
	v_mov_b32_e32 v12, 0
	s_and_saveexec_b32 s11, s10
.LBB250_449:
	v_lshrrev_b32_e32 v2, 24, v2
	s_delay_alu instid0(VALU_DEP_1)
	v_and_or_b32 v12, 0x80, v2, v3
.LBB250_450:
	s_or_b32 exec_lo, exec_lo, s11
.LBB250_451:
	s_delay_alu instid0(SALU_CYCLE_1)
	s_or_b32 exec_lo, exec_lo, s9
.LBB250_452:
	s_delay_alu instid0(SALU_CYCLE_1)
	s_or_b32 exec_lo, exec_lo, s8
.LBB250_453:
	s_and_not1_saveexec_b32 s7, s7
	s_cbranch_execz .LBB250_461
; %bb.454:
	flat_load_u8 v2, v[10:11]
	s_wait_loadcnt_dscnt 0x101
	v_mov_b32_e32 v12, 0x80
	s_mov_b32 s8, exec_lo
	s_wait_loadcnt_dscnt 0x0
	v_lshlrev_b32_e32 v3, 25, v2
	v_lshlrev_b16 v2, 8, v2
	s_delay_alu instid0(VALU_DEP_1) | instskip(SKIP_1) | instid1(VALU_DEP_2)
	v_and_or_b32 v5, 0x7f00, v2, 0.5
	v_bfe_i32 v2, v2, 0, 16
	v_dual_add_f32 v5, -0.5, v5 :: v_dual_lshrrev_b32 v4, 4, v3
	v_cmp_gt_u32_e32 vcc_lo, 0x8000000, v3
	s_delay_alu instid0(VALU_DEP_2) | instskip(NEXT) | instid1(VALU_DEP_1)
	v_or_b32_e32 v4, 0x70000000, v4
	v_mul_f32_e32 v4, 0x7800000, v4
	s_delay_alu instid0(VALU_DEP_1) | instskip(NEXT) | instid1(VALU_DEP_1)
	v_cndmask_b32_e32 v4, v4, v5, vcc_lo
	v_and_or_b32 v2, 0x80000000, v2, v4
	s_delay_alu instid0(VALU_DEP_1) | instskip(SKIP_1) | instid1(VALU_DEP_1)
	v_and_b32_e32 v3, 0x7fffffff, v2
	s_wait_xcnt 0x0
	v_cmpx_gt_u32_e32 0x47800000, v3
	s_cbranch_execz .LBB250_460
; %bb.455:
	v_cmp_lt_u32_e32 vcc_lo, 0x37ffffff, v3
	s_mov_b32 s9, 0
                                        ; implicit-def: $vgpr3
	s_and_saveexec_b32 s10, vcc_lo
	s_delay_alu instid0(SALU_CYCLE_1)
	s_xor_b32 s10, exec_lo, s10
	s_cbranch_execnz .LBB250_566
; %bb.456:
	s_and_not1_saveexec_b32 s10, s10
	s_cbranch_execnz .LBB250_567
.LBB250_457:
	s_or_b32 exec_lo, exec_lo, s10
	v_mov_b32_e32 v12, 0
	s_and_saveexec_b32 s10, s9
.LBB250_458:
	v_lshrrev_b32_e32 v2, 24, v2
	s_delay_alu instid0(VALU_DEP_1)
	v_and_or_b32 v12, 0x80, v2, v3
.LBB250_459:
	s_or_b32 exec_lo, exec_lo, s10
.LBB250_460:
	s_delay_alu instid0(SALU_CYCLE_1)
	s_or_b32 exec_lo, exec_lo, s8
.LBB250_461:
	s_delay_alu instid0(SALU_CYCLE_1) | instskip(NEXT) | instid1(SALU_CYCLE_1)
	s_or_b32 exec_lo, exec_lo, s7
	s_or_b32 s7, s5, exec_lo
.LBB250_462:
	s_or_saveexec_b32 s3, s3
	s_mov_b32 s8, 0
	s_mov_b32 s9, s6
	s_xor_b32 exec_lo, exec_lo, s3
	s_cbranch_execz .LBB250_476
; %bb.463:
	s_mov_b32 s9, s6
	s_mov_b32 s10, s7
	s_mov_b32 s8, exec_lo
                                        ; implicit-def: $vgpr12
	v_cmpx_lt_i16_e32 14, v6
	s_xor_b32 s8, exec_lo, s8
	s_cbranch_execz .LBB250_473
; %bb.464:
	s_mov_b32 s10, -1
	s_mov_b32 s11, s7
	s_mov_b32 s9, exec_lo
                                        ; implicit-def: $vgpr12
	v_cmpx_eq_u16_e32 15, v6
	s_cbranch_execz .LBB250_472
; %bb.465:
	flat_load_u16 v2, v[10:11]
	s_wait_loadcnt_dscnt 0x101
	v_mov_b32_e32 v12, 0x80
	s_mov_b32 s10, exec_lo
	s_wait_loadcnt_dscnt 0x0
	v_lshlrev_b32_e32 v4, 16, v2
	s_delay_alu instid0(VALU_DEP_1) | instskip(SKIP_1) | instid1(VALU_DEP_1)
	v_and_b32_e32 v3, 0x7fffffff, v4
	s_wait_xcnt 0x0
	v_cmpx_gt_u32_e32 0x47800000, v3
	s_cbranch_execz .LBB250_471
; %bb.466:
	v_cmp_lt_u32_e32 vcc_lo, 0x37ffffff, v3
	s_mov_b32 s11, 0
                                        ; implicit-def: $vgpr3
	s_and_saveexec_b32 s12, vcc_lo
	s_delay_alu instid0(SALU_CYCLE_1)
	s_xor_b32 s12, exec_lo, s12
	s_cbranch_execnz .LBB250_580
; %bb.467:
	s_and_not1_saveexec_b32 s12, s12
	s_cbranch_execnz .LBB250_581
.LBB250_468:
	s_or_b32 exec_lo, exec_lo, s12
	v_mov_b32_e32 v12, 0
	s_and_saveexec_b32 s12, s11
.LBB250_469:
	v_lshrrev_b32_e32 v2, 8, v2
	s_delay_alu instid0(VALU_DEP_1)
	v_and_or_b32 v12, 0x80, v2, v3
.LBB250_470:
	s_or_b32 exec_lo, exec_lo, s12
.LBB250_471:
	s_delay_alu instid0(SALU_CYCLE_1) | instskip(NEXT) | instid1(SALU_CYCLE_1)
	s_or_b32 exec_lo, exec_lo, s10
	s_or_b32 s11, s7, exec_lo
	s_xor_b32 s10, exec_lo, -1
.LBB250_472:
	s_or_b32 exec_lo, exec_lo, s9
	s_delay_alu instid0(SALU_CYCLE_1)
	s_and_not1_b32 s9, s7, exec_lo
	s_and_b32 s11, s11, exec_lo
	s_and_not1_b32 s12, s6, exec_lo
	s_and_b32 s13, s10, exec_lo
	s_or_b32 s10, s9, s11
	s_or_b32 s9, s12, s13
.LBB250_473:
	s_or_saveexec_b32 s11, s8
	s_mov_b32 s8, 0
	s_xor_b32 exec_lo, exec_lo, s11
; %bb.474:
	v_cmp_ne_u16_e32 vcc_lo, 11, v6
	s_and_not1_b32 s9, s9, exec_lo
	s_mov_b32 s8, exec_lo
	s_and_b32 s12, vcc_lo, exec_lo
	s_delay_alu instid0(SALU_CYCLE_1)
	s_or_b32 s9, s9, s12
; %bb.475:
	s_or_b32 exec_lo, exec_lo, s11
	s_delay_alu instid0(SALU_CYCLE_1)
	s_and_not1_b32 s7, s7, exec_lo
	s_and_b32 s10, s10, exec_lo
	s_and_b32 s9, s9, exec_lo
	s_or_b32 s7, s7, s10
	s_and_not1_b32 s10, s6, exec_lo
	s_and_b32 s8, s8, exec_lo
	s_or_b32 s9, s10, s9
.LBB250_476:
	s_or_b32 exec_lo, exec_lo, s3
	s_delay_alu instid0(SALU_CYCLE_1)
	s_and_not1_b32 s3, s5, exec_lo
	s_and_b32 s5, s7, exec_lo
	s_and_not1_b32 s6, s6, exec_lo
	s_and_b32 s7, s9, exec_lo
	s_or_b32 s5, s3, s5
	s_and_b32 s3, s8, exec_lo
	s_or_b32 s6, s6, s7
	s_or_b32 exec_lo, exec_lo, s4
	s_mov_b32 s7, s0
	s_and_saveexec_b32 s4, s6
	s_cbranch_execz .LBB250_131
.LBB250_477:
	s_and_not1_b32 s3, s3, exec_lo
	s_or_b32 s7, s0, exec_lo
	s_trap 2
	s_branch .LBB250_131
.LBB250_478:
	v_bfe_u32 v2, v3, 21, 1
	s_mov_b32 s3, exec_lo
	s_delay_alu instid0(VALU_DEP_1) | instskip(NEXT) | instid1(VALU_DEP_1)
	v_add3_u32 v2, v3, v2, 0x88fffff
                                        ; implicit-def: $vgpr3
	v_lshrrev_b32_e32 v2, 21, v2
	s_and_not1_saveexec_b32 s5, s5
	s_cbranch_execz .LBB250_137
.LBB250_479:
	v_add_f32_e32 v2, 0x42800000, v3
	s_and_not1_b32 s3, s3, exec_lo
	s_delay_alu instid0(VALU_DEP_1) | instskip(NEXT) | instid1(VALU_DEP_1)
	v_and_b32_e32 v2, 0xff, v2
	v_cmp_ne_u32_e32 vcc_lo, 0, v2
	s_and_b32 s6, vcc_lo, exec_lo
	s_delay_alu instid0(SALU_CYCLE_1)
	s_or_b32 s3, s3, s6
	s_or_b32 exec_lo, exec_lo, s5
	v_mov_b32_e32 v12, 0
	s_and_saveexec_b32 s5, s3
	s_cbranch_execnz .LBB250_138
	s_branch .LBB250_139
.LBB250_480:
	s_mov_b32 s1, -1
	s_mov_b32 s4, exec_lo
	v_cmpx_eq_u16_e32 0x80, v2
; %bb.481:
	s_xor_b32 s1, exec_lo, -1
; %bb.482:
	s_or_b32 exec_lo, exec_lo, s4
	s_delay_alu instid0(SALU_CYCLE_1)
	s_and_b32 s1, s1, exec_lo
                                        ; implicit-def: $vgpr2
	s_or_saveexec_b32 s3, s3
	v_mov_b32_e32 v0, 0x7f800001
	s_xor_b32 exec_lo, exec_lo, s3
	s_cbranch_execz .LBB250_251
.LBB250_483:
	v_cmp_ne_u16_e32 vcc_lo, 0, v2
	v_mov_b32_e32 v0, 0
	s_and_not1_b32 s1, s1, exec_lo
	s_and_b32 s4, vcc_lo, exec_lo
	s_delay_alu instid0(SALU_CYCLE_1)
	s_or_b32 s1, s1, s4
	s_or_b32 exec_lo, exec_lo, s3
	s_and_saveexec_b32 s3, s1
	s_cbranch_execnz .LBB250_252
	s_branch .LBB250_253
.LBB250_484:
	s_mov_b32 s1, -1
	s_mov_b32 s4, exec_lo
	v_cmpx_eq_u16_e32 0x80, v2
; %bb.485:
	s_xor_b32 s1, exec_lo, -1
; %bb.486:
	s_or_b32 exec_lo, exec_lo, s4
	s_delay_alu instid0(SALU_CYCLE_1)
	s_and_b32 s1, s1, exec_lo
                                        ; implicit-def: $vgpr2
	s_or_saveexec_b32 s3, s3
	v_mov_b32_e32 v1, 0x7f800001
	s_xor_b32 exec_lo, exec_lo, s3
	s_cbranch_execz .LBB250_255
.LBB250_487:
	v_cmp_ne_u16_e32 vcc_lo, 0, v2
	v_mov_b32_e32 v1, 0
	s_and_not1_b32 s1, s1, exec_lo
	s_and_b32 s4, vcc_lo, exec_lo
	s_delay_alu instid0(SALU_CYCLE_1)
	s_or_b32 s1, s1, s4
	s_or_b32 exec_lo, exec_lo, s3
	s_and_saveexec_b32 s3, s1
	s_cbranch_execnz .LBB250_256
	s_branch .LBB250_257
.LBB250_488:
	s_mov_b32 s2, -1
	s_mov_b32 s4, exec_lo
	v_cmpx_eq_u16_e32 0x80, v2
; %bb.489:
	s_xor_b32 s2, exec_lo, -1
; %bb.490:
	s_or_b32 exec_lo, exec_lo, s4
	s_delay_alu instid0(SALU_CYCLE_1)
	s_and_b32 s2, s2, exec_lo
                                        ; implicit-def: $vgpr2
	s_or_saveexec_b32 s3, s3
	v_mov_b32_e32 v0, 0x7f800001
	s_xor_b32 exec_lo, exec_lo, s3
	s_cbranch_execz .LBB250_261
.LBB250_491:
	v_cmp_ne_u16_e32 vcc_lo, 0, v2
	v_mov_b32_e32 v0, 0
	s_and_not1_b32 s2, s2, exec_lo
	s_and_b32 s4, vcc_lo, exec_lo
	s_delay_alu instid0(SALU_CYCLE_1)
	s_or_b32 s2, s2, s4
	s_or_b32 exec_lo, exec_lo, s3
	s_and_saveexec_b32 s3, s2
	s_cbranch_execnz .LBB250_262
	s_branch .LBB250_263
.LBB250_492:
	s_mov_b32 s2, -1
	s_mov_b32 s4, exec_lo
	v_cmpx_eq_u16_e32 0x80, v2
; %bb.493:
	s_xor_b32 s2, exec_lo, -1
; %bb.494:
	s_or_b32 exec_lo, exec_lo, s4
	s_delay_alu instid0(SALU_CYCLE_1)
	s_and_b32 s2, s2, exec_lo
                                        ; implicit-def: $vgpr2
	s_or_saveexec_b32 s3, s3
	v_mov_b32_e32 v1, 0x7f800001
	s_xor_b32 exec_lo, exec_lo, s3
	s_cbranch_execz .LBB250_265
.LBB250_495:
	v_cmp_ne_u16_e32 vcc_lo, 0, v2
	v_mov_b32_e32 v1, 0
	s_and_not1_b32 s2, s2, exec_lo
	s_and_b32 s4, vcc_lo, exec_lo
	s_delay_alu instid0(SALU_CYCLE_1)
	s_or_b32 s2, s2, s4
	s_or_b32 exec_lo, exec_lo, s3
	s_and_saveexec_b32 s3, s2
	s_cbranch_execnz .LBB250_266
	s_branch .LBB250_267
.LBB250_496:
	v_bfe_u32 v1, v10, 21, 1
	s_mov_b32 s5, exec_lo
	s_delay_alu instid0(VALU_DEP_1) | instskip(NEXT) | instid1(VALU_DEP_1)
	v_add3_u32 v1, v10, v1, 0x88fffff
                                        ; implicit-def: $vgpr10
	v_lshrrev_b32_e32 v6, 21, v1
	s_and_not1_saveexec_b32 s6, s6
	s_cbranch_execz .LBB250_8
.LBB250_497:
	v_add_f32_e32 v1, 0x42800000, v10
	s_and_not1_b32 s5, s5, exec_lo
	s_delay_alu instid0(VALU_DEP_1) | instskip(NEXT) | instid1(VALU_DEP_1)
	v_and_b32_e32 v6, 0xff, v1
	v_cmp_ne_u32_e32 vcc_lo, 0, v6
	s_and_b32 s7, vcc_lo, exec_lo
	s_delay_alu instid0(SALU_CYCLE_1)
	s_or_b32 s5, s5, s7
	s_or_b32 exec_lo, exec_lo, s6
	v_mov_b32_e32 v1, 0
	s_and_saveexec_b32 s6, s5
	s_cbranch_execnz .LBB250_9
	s_branch .LBB250_10
.LBB250_498:
	s_mov_b32 s7, -1
	s_mov_b32 s9, exec_lo
	v_cmpx_eq_u16_e32 0x80, v1
; %bb.499:
	s_xor_b32 s7, exec_lo, -1
; %bb.500:
	s_or_b32 exec_lo, exec_lo, s9
	s_delay_alu instid0(SALU_CYCLE_1)
	s_and_b32 s7, s7, exec_lo
	s_or_saveexec_b32 s8, s8
	v_mov_b32_e32 v6, 0x7f800001
	s_xor_b32 exec_lo, exec_lo, s8
	s_cbranch_execz .LBB250_324
.LBB250_501:
	v_cmp_ne_u16_e32 vcc_lo, 0, v1
	v_mov_b32_e32 v6, 0
	s_and_not1_b32 s7, s7, exec_lo
	s_and_b32 s9, vcc_lo, exec_lo
	s_delay_alu instid0(SALU_CYCLE_1)
	s_or_b32 s7, s7, s9
	s_or_b32 exec_lo, exec_lo, s8
	s_and_saveexec_b32 s8, s7
	s_cbranch_execnz .LBB250_325
	s_branch .LBB250_326
.LBB250_502:
	v_bfe_u32 v1, v6, 21, 1
	s_mov_b32 s7, exec_lo
	s_delay_alu instid0(VALU_DEP_1) | instskip(NEXT) | instid1(VALU_DEP_1)
	v_add3_u32 v1, v6, v1, 0x88fffff
	v_lshrrev_b32_e32 v10, 21, v1
	s_and_not1_saveexec_b32 s8, s8
	s_cbranch_execz .LBB250_38
.LBB250_503:
	v_add_f32_e64 v1, 0x42800000, |v6|
	s_and_not1_b32 s7, s7, exec_lo
	s_delay_alu instid0(VALU_DEP_1) | instskip(NEXT) | instid1(VALU_DEP_1)
	v_and_b32_e32 v10, 0xff, v1
	v_cmp_ne_u32_e32 vcc_lo, 0, v10
	s_and_b32 s9, vcc_lo, exec_lo
	s_delay_alu instid0(SALU_CYCLE_1)
	s_or_b32 s7, s7, s9
	s_or_b32 exec_lo, exec_lo, s8
	v_mov_b32_e32 v1, 0
	s_and_saveexec_b32 s8, s7
	s_cbranch_execnz .LBB250_39
	s_branch .LBB250_40
.LBB250_504:
	v_bfe_u32 v1, v6, 21, 1
	s_mov_b32 s7, exec_lo
	s_delay_alu instid0(VALU_DEP_1) | instskip(NEXT) | instid1(VALU_DEP_1)
	v_add3_u32 v1, v6, v1, 0x88fffff
	v_lshrrev_b32_e32 v10, 21, v1
	s_and_not1_saveexec_b32 s8, s8
	s_cbranch_execz .LBB250_66
.LBB250_505:
	v_add_f32_e64 v1, 0x42800000, |v6|
	s_and_not1_b32 s7, s7, exec_lo
	s_delay_alu instid0(VALU_DEP_1) | instskip(NEXT) | instid1(VALU_DEP_1)
	v_and_b32_e32 v10, 0xff, v1
	v_cmp_ne_u32_e32 vcc_lo, 0, v10
	s_and_b32 s9, vcc_lo, exec_lo
	s_delay_alu instid0(SALU_CYCLE_1)
	s_or_b32 s7, s7, s9
	s_or_b32 exec_lo, exec_lo, s8
	v_mov_b32_e32 v1, 0
	s_and_saveexec_b32 s8, s7
	s_cbranch_execnz .LBB250_67
	s_branch .LBB250_68
.LBB250_506:
	v_bfe_u32 v1, v6, 21, 1
	s_mov_b32 s7, exec_lo
	s_delay_alu instid0(VALU_DEP_1) | instskip(NEXT) | instid1(VALU_DEP_1)
	v_add3_u32 v1, v6, v1, 0x88fffff
	v_lshrrev_b32_e32 v10, 21, v1
	s_and_not1_saveexec_b32 s8, s8
	s_cbranch_execz .LBB250_96
.LBB250_507:
	v_add_f32_e64 v1, 0x42800000, |v6|
	s_and_not1_b32 s7, s7, exec_lo
	s_delay_alu instid0(VALU_DEP_1) | instskip(NEXT) | instid1(VALU_DEP_1)
	v_and_b32_e32 v10, 0xff, v1
	v_cmp_ne_u32_e32 vcc_lo, 0, v10
	s_and_b32 s9, vcc_lo, exec_lo
	s_delay_alu instid0(SALU_CYCLE_1)
	s_or_b32 s7, s7, s9
	s_or_b32 exec_lo, exec_lo, s8
	v_mov_b32_e32 v1, 0
	s_and_saveexec_b32 s8, s7
	s_cbranch_execnz .LBB250_97
	s_branch .LBB250_98
.LBB250_508:
	v_bfe_u32 v1, v6, 21, 1
	s_mov_b32 s7, exec_lo
	s_delay_alu instid0(VALU_DEP_1) | instskip(NEXT) | instid1(VALU_DEP_1)
	v_add3_u32 v1, v6, v1, 0x88fffff
	v_lshrrev_b32_e32 v10, 21, v1
	s_and_not1_saveexec_b32 s8, s8
	s_cbranch_execz .LBB250_106
.LBB250_509:
	v_add_f32_e64 v1, 0x42800000, |v6|
	s_and_not1_b32 s7, s7, exec_lo
	s_delay_alu instid0(VALU_DEP_1) | instskip(NEXT) | instid1(VALU_DEP_1)
	v_and_b32_e32 v10, 0xff, v1
	v_cmp_ne_u32_e32 vcc_lo, 0, v10
	s_and_b32 s9, vcc_lo, exec_lo
	s_delay_alu instid0(SALU_CYCLE_1)
	s_or_b32 s7, s7, s9
	s_or_b32 exec_lo, exec_lo, s8
	v_mov_b32_e32 v1, 0
	s_and_saveexec_b32 s8, s7
	s_cbranch_execnz .LBB250_107
	s_branch .LBB250_108
.LBB250_510:
	v_bfe_u32 v1, v10, 21, 1
	s_mov_b32 s7, exec_lo
	s_delay_alu instid0(VALU_DEP_1) | instskip(NEXT) | instid1(VALU_DEP_1)
	v_add3_u32 v1, v10, v1, 0x88fffff
                                        ; implicit-def: $vgpr10
	v_lshrrev_b32_e32 v6, 21, v1
	s_and_not1_saveexec_b32 s8, s8
	s_cbranch_execz .LBB250_114
.LBB250_511:
	v_add_f32_e32 v1, 0x42800000, v10
	s_and_not1_b32 s7, s7, exec_lo
	s_delay_alu instid0(VALU_DEP_1) | instskip(NEXT) | instid1(VALU_DEP_1)
	v_and_b32_e32 v6, 0xff, v1
	v_cmp_ne_u32_e32 vcc_lo, 0, v6
	s_and_b32 s9, vcc_lo, exec_lo
	s_delay_alu instid0(SALU_CYCLE_1)
	s_or_b32 s7, s7, s9
	s_or_b32 exec_lo, exec_lo, s8
	v_mov_b32_e32 v1, 0
	s_and_saveexec_b32 s8, s7
	s_cbranch_execnz .LBB250_115
	s_branch .LBB250_116
.LBB250_512:
	v_bfe_u32 v3, v2, 21, 1
	s_mov_b32 s6, exec_lo
	s_delay_alu instid0(VALU_DEP_1) | instskip(NEXT) | instid1(VALU_DEP_1)
	v_add3_u32 v3, v2, v3, 0x88fffff
	v_lshrrev_b32_e32 v3, 21, v3
	s_and_not1_saveexec_b32 s7, s7
	s_cbranch_execz .LBB250_165
.LBB250_513:
	v_add_f32_e64 v3, 0x42800000, |v2|
	s_and_not1_b32 s6, s6, exec_lo
	s_delay_alu instid0(VALU_DEP_1) | instskip(NEXT) | instid1(VALU_DEP_1)
	v_and_b32_e32 v3, 0xff, v3
	v_cmp_ne_u32_e32 vcc_lo, 0, v3
	s_and_b32 s8, vcc_lo, exec_lo
	s_delay_alu instid0(SALU_CYCLE_1)
	s_or_b32 s6, s6, s8
	s_or_b32 exec_lo, exec_lo, s7
	v_mov_b32_e32 v12, 0
	s_and_saveexec_b32 s7, s6
	s_cbranch_execnz .LBB250_166
	s_branch .LBB250_167
.LBB250_514:
	v_bfe_u32 v3, v2, 21, 1
	s_mov_b32 s6, exec_lo
	s_delay_alu instid0(VALU_DEP_1) | instskip(NEXT) | instid1(VALU_DEP_1)
	v_add3_u32 v3, v2, v3, 0x88fffff
	v_lshrrev_b32_e32 v3, 21, v3
	s_and_not1_saveexec_b32 s7, s7
	s_cbranch_execz .LBB250_193
.LBB250_515:
	v_add_f32_e64 v3, 0x42800000, |v2|
	s_and_not1_b32 s6, s6, exec_lo
	s_delay_alu instid0(VALU_DEP_1) | instskip(NEXT) | instid1(VALU_DEP_1)
	v_and_b32_e32 v3, 0xff, v3
	v_cmp_ne_u32_e32 vcc_lo, 0, v3
	s_and_b32 s8, vcc_lo, exec_lo
	s_delay_alu instid0(SALU_CYCLE_1)
	s_or_b32 s6, s6, s8
	s_or_b32 exec_lo, exec_lo, s7
	v_mov_b32_e32 v12, 0
	s_and_saveexec_b32 s7, s6
	s_cbranch_execnz .LBB250_194
	s_branch .LBB250_195
.LBB250_516:
	v_bfe_u32 v3, v2, 21, 1
	s_mov_b32 s6, exec_lo
	s_delay_alu instid0(VALU_DEP_1) | instskip(NEXT) | instid1(VALU_DEP_1)
	v_add3_u32 v3, v2, v3, 0x88fffff
	v_lshrrev_b32_e32 v3, 21, v3
	s_and_not1_saveexec_b32 s7, s7
	s_cbranch_execz .LBB250_223
.LBB250_517:
	v_add_f32_e64 v3, 0x42800000, |v2|
	s_and_not1_b32 s6, s6, exec_lo
	s_delay_alu instid0(VALU_DEP_1) | instskip(NEXT) | instid1(VALU_DEP_1)
	v_and_b32_e32 v3, 0xff, v3
	v_cmp_ne_u32_e32 vcc_lo, 0, v3
	s_and_b32 s8, vcc_lo, exec_lo
	s_delay_alu instid0(SALU_CYCLE_1)
	s_or_b32 s6, s6, s8
	s_or_b32 exec_lo, exec_lo, s7
	v_mov_b32_e32 v12, 0
	s_and_saveexec_b32 s7, s6
	s_cbranch_execnz .LBB250_224
	s_branch .LBB250_225
.LBB250_518:
	v_bfe_u32 v3, v2, 21, 1
	s_mov_b32 s6, exec_lo
	s_delay_alu instid0(VALU_DEP_1) | instskip(NEXT) | instid1(VALU_DEP_1)
	v_add3_u32 v3, v2, v3, 0x88fffff
	v_lshrrev_b32_e32 v3, 21, v3
	s_and_not1_saveexec_b32 s7, s7
	s_cbranch_execz .LBB250_233
.LBB250_519:
	v_add_f32_e64 v3, 0x42800000, |v2|
	s_and_not1_b32 s6, s6, exec_lo
	s_delay_alu instid0(VALU_DEP_1) | instskip(NEXT) | instid1(VALU_DEP_1)
	v_and_b32_e32 v3, 0xff, v3
	v_cmp_ne_u32_e32 vcc_lo, 0, v3
	s_and_b32 s8, vcc_lo, exec_lo
	s_delay_alu instid0(SALU_CYCLE_1)
	s_or_b32 s6, s6, s8
	s_or_b32 exec_lo, exec_lo, s7
	v_mov_b32_e32 v12, 0
	s_and_saveexec_b32 s7, s6
	s_cbranch_execnz .LBB250_234
	s_branch .LBB250_235
.LBB250_520:
	v_bfe_u32 v2, v3, 21, 1
	s_mov_b32 s6, exec_lo
	s_delay_alu instid0(VALU_DEP_1) | instskip(NEXT) | instid1(VALU_DEP_1)
	v_add3_u32 v2, v3, v2, 0x88fffff
                                        ; implicit-def: $vgpr3
	v_lshrrev_b32_e32 v2, 21, v2
	s_and_not1_saveexec_b32 s7, s7
	s_cbranch_execz .LBB250_241
.LBB250_521:
	v_add_f32_e32 v2, 0x42800000, v3
	s_and_not1_b32 s6, s6, exec_lo
	s_delay_alu instid0(VALU_DEP_1) | instskip(NEXT) | instid1(VALU_DEP_1)
	v_and_b32_e32 v2, 0xff, v2
	v_cmp_ne_u32_e32 vcc_lo, 0, v2
	s_and_b32 s8, vcc_lo, exec_lo
	s_delay_alu instid0(SALU_CYCLE_1)
	s_or_b32 s6, s6, s8
	s_or_b32 exec_lo, exec_lo, s7
	v_mov_b32_e32 v12, 0
	s_and_saveexec_b32 s7, s6
	s_cbranch_execnz .LBB250_242
	s_branch .LBB250_243
.LBB250_522:
	v_bfe_u32 v1, v6, 21, 1
	s_mov_b32 s8, exec_lo
	s_delay_alu instid0(VALU_DEP_1) | instskip(NEXT) | instid1(VALU_DEP_1)
	v_add3_u32 v1, v6, v1, 0x88fffff
	v_lshrrev_b32_e32 v12, 21, v1
	s_and_not1_saveexec_b32 s9, s9
	s_cbranch_execz .LBB250_329
.LBB250_523:
	v_add_f32_e64 v1, 0x42800000, |v6|
	s_and_not1_b32 s8, s8, exec_lo
	s_delay_alu instid0(VALU_DEP_1) | instskip(NEXT) | instid1(VALU_DEP_1)
	v_and_b32_e32 v12, 0xff, v1
	v_cmp_ne_u32_e32 vcc_lo, 0, v12
	s_and_b32 s10, vcc_lo, exec_lo
	s_delay_alu instid0(SALU_CYCLE_1)
	s_or_b32 s8, s8, s10
	s_or_b32 exec_lo, exec_lo, s9
	v_mov_b32_e32 v1, 0
	s_and_saveexec_b32 s9, s8
	s_cbranch_execnz .LBB250_330
	s_branch .LBB250_331
.LBB250_524:
	v_bfe_u32 v1, v13, 21, 1
	s_mov_b32 s7, exec_lo
	s_delay_alu instid0(VALU_DEP_1) | instskip(NEXT) | instid1(VALU_DEP_1)
	v_add3_u32 v1, v6, v1, 0x88fffff
	v_lshrrev_b32_e32 v12, 21, v1
	s_and_not1_saveexec_b32 s8, s8
	s_cbranch_execz .LBB250_352
.LBB250_525:
	v_add_f32_e64 v1, 0x42800000, |v6|
	s_and_not1_b32 s7, s7, exec_lo
	s_delay_alu instid0(VALU_DEP_1) | instskip(NEXT) | instid1(VALU_DEP_1)
	v_and_b32_e32 v12, 0xff, v1
	v_cmp_ne_u32_e32 vcc_lo, 0, v12
	s_and_b32 s9, vcc_lo, exec_lo
	s_delay_alu instid0(SALU_CYCLE_1)
	s_or_b32 s7, s7, s9
	s_or_b32 exec_lo, exec_lo, s8
	v_mov_b32_e32 v1, 0
	s_and_saveexec_b32 s8, s7
	s_cbranch_execnz .LBB250_353
	s_branch .LBB250_354
.LBB250_526:
	s_mov_b32 s9, -1
	s_mov_b32 s11, exec_lo
	v_cmpx_eq_u16_e32 0x80, v3
; %bb.527:
	s_xor_b32 s9, exec_lo, -1
; %bb.528:
	s_or_b32 exec_lo, exec_lo, s11
	s_delay_alu instid0(SALU_CYCLE_1)
	s_and_b32 s9, s9, exec_lo
	s_or_saveexec_b32 s10, s10
	v_mov_b32_e32 v2, 0x7f800001
	s_xor_b32 exec_lo, exec_lo, s10
	s_cbranch_execz .LBB250_429
.LBB250_529:
	v_cmp_ne_u16_e32 vcc_lo, 0, v3
	v_mov_b32_e32 v2, 0
	s_and_not1_b32 s9, s9, exec_lo
	s_and_b32 s11, vcc_lo, exec_lo
	s_delay_alu instid0(SALU_CYCLE_1)
	s_or_b32 s9, s9, s11
	s_or_b32 exec_lo, exec_lo, s10
	s_and_saveexec_b32 s10, s9
	s_cbranch_execnz .LBB250_430
	s_branch .LBB250_431
.LBB250_530:
	v_bfe_u32 v1, v6, 21, 1
	s_mov_b32 s8, exec_lo
	s_delay_alu instid0(VALU_DEP_1) | instskip(NEXT) | instid1(VALU_DEP_1)
	v_add3_u32 v1, v6, v1, 0x88fffff
	v_lshrrev_b32_e32 v10, 21, v1
	s_and_not1_saveexec_b32 s9, s9
	s_cbranch_execz .LBB250_21
.LBB250_531:
	v_add_f32_e64 v1, 0x42800000, |v6|
	s_and_not1_b32 s8, s8, exec_lo
	s_delay_alu instid0(VALU_DEP_1) | instskip(NEXT) | instid1(VALU_DEP_1)
	v_and_b32_e32 v10, 0xff, v1
	v_cmp_ne_u32_e32 vcc_lo, 0, v10
	s_and_b32 s10, vcc_lo, exec_lo
	s_delay_alu instid0(SALU_CYCLE_1)
	s_or_b32 s8, s8, s10
	s_or_b32 exec_lo, exec_lo, s9
	v_mov_b32_e32 v1, 0
	s_and_saveexec_b32 s9, s8
	s_cbranch_execnz .LBB250_22
	s_branch .LBB250_23
.LBB250_532:
	v_bfe_u32 v1, v6, 21, 1
	s_mov_b32 s8, exec_lo
	s_delay_alu instid0(VALU_DEP_1) | instskip(NEXT) | instid1(VALU_DEP_1)
	v_add3_u32 v1, v6, v1, 0x88fffff
	v_lshrrev_b32_e32 v10, 21, v1
	s_and_not1_saveexec_b32 s9, s9
	s_cbranch_execz .LBB250_29
.LBB250_533:
	v_add_f32_e64 v1, 0x42800000, |v6|
	s_and_not1_b32 s8, s8, exec_lo
	s_delay_alu instid0(VALU_DEP_1) | instskip(NEXT) | instid1(VALU_DEP_1)
	v_and_b32_e32 v10, 0xff, v1
	v_cmp_ne_u32_e32 vcc_lo, 0, v10
	s_and_b32 s10, vcc_lo, exec_lo
	s_delay_alu instid0(SALU_CYCLE_1)
	s_or_b32 s8, s8, s10
	s_or_b32 exec_lo, exec_lo, s9
	v_mov_b32_e32 v1, 0
	s_and_saveexec_b32 s9, s8
	s_cbranch_execnz .LBB250_30
	s_branch .LBB250_31
.LBB250_534:
	v_bfe_u32 v1, v6, 21, 1
	s_mov_b32 s8, exec_lo
	s_delay_alu instid0(VALU_DEP_1) | instskip(NEXT) | instid1(VALU_DEP_1)
	v_add3_u32 v1, v6, v1, 0x88fffff
	v_lshrrev_b32_e32 v10, 21, v1
	s_and_not1_saveexec_b32 s9, s9
	s_cbranch_execz .LBB250_49
.LBB250_535:
	v_add_f32_e64 v1, 0x42800000, |v6|
	s_and_not1_b32 s8, s8, exec_lo
	s_delay_alu instid0(VALU_DEP_1) | instskip(NEXT) | instid1(VALU_DEP_1)
	v_and_b32_e32 v10, 0xff, v1
	v_cmp_ne_u32_e32 vcc_lo, 0, v10
	s_and_b32 s10, vcc_lo, exec_lo
	s_delay_alu instid0(SALU_CYCLE_1)
	s_or_b32 s8, s8, s10
	s_or_b32 exec_lo, exec_lo, s9
	v_mov_b32_e32 v1, 0
	s_and_saveexec_b32 s9, s8
	s_cbranch_execnz .LBB250_50
	s_branch .LBB250_51
.LBB250_536:
	v_bfe_u32 v1, v6, 21, 1
	s_mov_b32 s8, exec_lo
	s_delay_alu instid0(VALU_DEP_1) | instskip(NEXT) | instid1(VALU_DEP_1)
	v_add3_u32 v1, v6, v1, 0x88fffff
	v_lshrrev_b32_e32 v10, 21, v1
	s_and_not1_saveexec_b32 s9, s9
	s_cbranch_execz .LBB250_57
.LBB250_537:
	v_add_f32_e64 v1, 0x42800000, |v6|
	s_and_not1_b32 s8, s8, exec_lo
	s_delay_alu instid0(VALU_DEP_1) | instskip(NEXT) | instid1(VALU_DEP_1)
	v_and_b32_e32 v10, 0xff, v1
	v_cmp_ne_u32_e32 vcc_lo, 0, v10
	s_and_b32 s10, vcc_lo, exec_lo
	s_delay_alu instid0(SALU_CYCLE_1)
	s_or_b32 s8, s8, s10
	s_or_b32 exec_lo, exec_lo, s9
	v_mov_b32_e32 v1, 0
	s_and_saveexec_b32 s9, s8
	s_cbranch_execnz .LBB250_58
	s_branch .LBB250_59
.LBB250_538:
	v_bfe_u32 v1, v6, 21, 1
	s_mov_b32 s8, exec_lo
	s_delay_alu instid0(VALU_DEP_1) | instskip(NEXT) | instid1(VALU_DEP_1)
	v_add3_u32 v1, v6, v1, 0x88fffff
	v_lshrrev_b32_e32 v10, 21, v1
	s_and_not1_saveexec_b32 s9, s9
	s_cbranch_execz .LBB250_79
.LBB250_539:
	v_add_f32_e64 v1, 0x42800000, |v6|
	s_and_not1_b32 s8, s8, exec_lo
	s_delay_alu instid0(VALU_DEP_1) | instskip(NEXT) | instid1(VALU_DEP_1)
	v_and_b32_e32 v10, 0xff, v1
	v_cmp_ne_u32_e32 vcc_lo, 0, v10
	s_and_b32 s10, vcc_lo, exec_lo
	s_delay_alu instid0(SALU_CYCLE_1)
	s_or_b32 s8, s8, s10
	s_or_b32 exec_lo, exec_lo, s9
	v_mov_b32_e32 v1, 0
	s_and_saveexec_b32 s9, s8
	s_cbranch_execnz .LBB250_80
	s_branch .LBB250_81
.LBB250_540:
	v_bfe_u32 v1, v6, 21, 1
	s_mov_b32 s8, exec_lo
	s_delay_alu instid0(VALU_DEP_1) | instskip(NEXT) | instid1(VALU_DEP_1)
	v_add3_u32 v1, v6, v1, 0x88fffff
	v_lshrrev_b32_e32 v10, 21, v1
	s_and_not1_saveexec_b32 s9, s9
	s_cbranch_execz .LBB250_87
.LBB250_541:
	v_add_f32_e64 v1, 0x42800000, |v6|
	s_and_not1_b32 s8, s8, exec_lo
	s_delay_alu instid0(VALU_DEP_1) | instskip(NEXT) | instid1(VALU_DEP_1)
	v_and_b32_e32 v10, 0xff, v1
	v_cmp_ne_u32_e32 vcc_lo, 0, v10
	s_and_b32 s10, vcc_lo, exec_lo
	s_delay_alu instid0(SALU_CYCLE_1)
	s_or_b32 s8, s8, s10
	s_or_b32 exec_lo, exec_lo, s9
	v_mov_b32_e32 v1, 0
	s_and_saveexec_b32 s9, s8
	s_cbranch_execnz .LBB250_88
	s_branch .LBB250_89
.LBB250_542:
	v_bfe_u32 v3, v2, 21, 1
	s_mov_b32 s7, exec_lo
	s_delay_alu instid0(VALU_DEP_1) | instskip(NEXT) | instid1(VALU_DEP_1)
	v_add3_u32 v3, v2, v3, 0x88fffff
	v_lshrrev_b32_e32 v3, 21, v3
	s_and_not1_saveexec_b32 s8, s8
	s_cbranch_execz .LBB250_148
.LBB250_543:
	v_add_f32_e64 v3, 0x42800000, |v2|
	s_and_not1_b32 s7, s7, exec_lo
	s_delay_alu instid0(VALU_DEP_1) | instskip(NEXT) | instid1(VALU_DEP_1)
	v_and_b32_e32 v3, 0xff, v3
	v_cmp_ne_u32_e32 vcc_lo, 0, v3
	s_and_b32 s9, vcc_lo, exec_lo
	s_delay_alu instid0(SALU_CYCLE_1)
	s_or_b32 s7, s7, s9
	s_or_b32 exec_lo, exec_lo, s8
	v_mov_b32_e32 v12, 0
	s_and_saveexec_b32 s8, s7
	s_cbranch_execnz .LBB250_149
	s_branch .LBB250_150
.LBB250_544:
	v_bfe_u32 v3, v2, 21, 1
	s_mov_b32 s7, exec_lo
	s_delay_alu instid0(VALU_DEP_1) | instskip(NEXT) | instid1(VALU_DEP_1)
	v_add3_u32 v3, v2, v3, 0x88fffff
	v_lshrrev_b32_e32 v3, 21, v3
	s_and_not1_saveexec_b32 s8, s8
	s_cbranch_execz .LBB250_156
.LBB250_545:
	v_add_f32_e64 v3, 0x42800000, |v2|
	s_and_not1_b32 s7, s7, exec_lo
	s_delay_alu instid0(VALU_DEP_1) | instskip(NEXT) | instid1(VALU_DEP_1)
	v_and_b32_e32 v3, 0xff, v3
	v_cmp_ne_u32_e32 vcc_lo, 0, v3
	s_and_b32 s9, vcc_lo, exec_lo
	s_delay_alu instid0(SALU_CYCLE_1)
	s_or_b32 s7, s7, s9
	s_or_b32 exec_lo, exec_lo, s8
	v_mov_b32_e32 v12, 0
	s_and_saveexec_b32 s8, s7
	s_cbranch_execnz .LBB250_157
	s_branch .LBB250_158
.LBB250_546:
	v_bfe_u32 v3, v2, 21, 1
	s_mov_b32 s7, exec_lo
	s_delay_alu instid0(VALU_DEP_1) | instskip(NEXT) | instid1(VALU_DEP_1)
	v_add3_u32 v3, v2, v3, 0x88fffff
	v_lshrrev_b32_e32 v3, 21, v3
	s_and_not1_saveexec_b32 s8, s8
	s_cbranch_execz .LBB250_176
.LBB250_547:
	v_add_f32_e64 v3, 0x42800000, |v2|
	s_and_not1_b32 s7, s7, exec_lo
	s_delay_alu instid0(VALU_DEP_1) | instskip(NEXT) | instid1(VALU_DEP_1)
	v_and_b32_e32 v3, 0xff, v3
	v_cmp_ne_u32_e32 vcc_lo, 0, v3
	s_and_b32 s9, vcc_lo, exec_lo
	s_delay_alu instid0(SALU_CYCLE_1)
	s_or_b32 s7, s7, s9
	s_or_b32 exec_lo, exec_lo, s8
	v_mov_b32_e32 v12, 0
	s_and_saveexec_b32 s8, s7
	s_cbranch_execnz .LBB250_177
	s_branch .LBB250_178
.LBB250_548:
	v_bfe_u32 v3, v2, 21, 1
	s_mov_b32 s7, exec_lo
	s_delay_alu instid0(VALU_DEP_1) | instskip(NEXT) | instid1(VALU_DEP_1)
	v_add3_u32 v3, v2, v3, 0x88fffff
	v_lshrrev_b32_e32 v3, 21, v3
	s_and_not1_saveexec_b32 s8, s8
	s_cbranch_execz .LBB250_184
.LBB250_549:
	v_add_f32_e64 v3, 0x42800000, |v2|
	s_and_not1_b32 s7, s7, exec_lo
	s_delay_alu instid0(VALU_DEP_1) | instskip(NEXT) | instid1(VALU_DEP_1)
	v_and_b32_e32 v3, 0xff, v3
	v_cmp_ne_u32_e32 vcc_lo, 0, v3
	s_and_b32 s9, vcc_lo, exec_lo
	s_delay_alu instid0(SALU_CYCLE_1)
	s_or_b32 s7, s7, s9
	s_or_b32 exec_lo, exec_lo, s8
	v_mov_b32_e32 v12, 0
	s_and_saveexec_b32 s8, s7
	s_cbranch_execnz .LBB250_185
	s_branch .LBB250_186
.LBB250_550:
	v_bfe_u32 v3, v2, 21, 1
	s_mov_b32 s7, exec_lo
	s_delay_alu instid0(VALU_DEP_1) | instskip(NEXT) | instid1(VALU_DEP_1)
	v_add3_u32 v3, v2, v3, 0x88fffff
	v_lshrrev_b32_e32 v3, 21, v3
	s_and_not1_saveexec_b32 s8, s8
	s_cbranch_execz .LBB250_206
.LBB250_551:
	v_add_f32_e64 v3, 0x42800000, |v2|
	s_and_not1_b32 s7, s7, exec_lo
	s_delay_alu instid0(VALU_DEP_1) | instskip(NEXT) | instid1(VALU_DEP_1)
	v_and_b32_e32 v3, 0xff, v3
	v_cmp_ne_u32_e32 vcc_lo, 0, v3
	s_and_b32 s9, vcc_lo, exec_lo
	s_delay_alu instid0(SALU_CYCLE_1)
	s_or_b32 s7, s7, s9
	s_or_b32 exec_lo, exec_lo, s8
	v_mov_b32_e32 v12, 0
	s_and_saveexec_b32 s8, s7
	s_cbranch_execnz .LBB250_207
	s_branch .LBB250_208
.LBB250_552:
	v_bfe_u32 v3, v2, 21, 1
	s_mov_b32 s7, exec_lo
	s_delay_alu instid0(VALU_DEP_1) | instskip(NEXT) | instid1(VALU_DEP_1)
	v_add3_u32 v3, v2, v3, 0x88fffff
	v_lshrrev_b32_e32 v3, 21, v3
	s_and_not1_saveexec_b32 s8, s8
	s_cbranch_execz .LBB250_214
.LBB250_553:
	v_add_f32_e64 v3, 0x42800000, |v2|
	s_and_not1_b32 s7, s7, exec_lo
	s_delay_alu instid0(VALU_DEP_1) | instskip(NEXT) | instid1(VALU_DEP_1)
	v_and_b32_e32 v3, 0xff, v3
	v_cmp_ne_u32_e32 vcc_lo, 0, v3
	s_and_b32 s9, vcc_lo, exec_lo
	s_delay_alu instid0(SALU_CYCLE_1)
	s_or_b32 s7, s7, s9
	s_or_b32 exec_lo, exec_lo, s8
	v_mov_b32_e32 v12, 0
	s_and_saveexec_b32 s8, s7
	s_cbranch_execnz .LBB250_215
	s_branch .LBB250_216
.LBB250_554:
	v_bfe_u32 v1, v12, 21, 1
	s_mov_b32 s9, exec_lo
	s_delay_alu instid0(VALU_DEP_1) | instskip(NEXT) | instid1(VALU_DEP_1)
	v_add3_u32 v1, v12, v1, 0x88fffff
                                        ; implicit-def: $vgpr12
	v_lshrrev_b32_e32 v6, 21, v1
	s_and_not1_saveexec_b32 s10, s10
	s_cbranch_execz .LBB250_296
.LBB250_555:
	v_add_f32_e32 v1, 0x42800000, v12
	s_and_not1_b32 s9, s9, exec_lo
	s_delay_alu instid0(VALU_DEP_1) | instskip(NEXT) | instid1(VALU_DEP_1)
	v_and_b32_e32 v6, 0xff, v1
	v_cmp_ne_u32_e32 vcc_lo, 0, v6
	s_and_b32 s11, vcc_lo, exec_lo
	s_delay_alu instid0(SALU_CYCLE_1)
	s_or_b32 s9, s9, s11
	s_or_b32 exec_lo, exec_lo, s10
	v_mov_b32_e32 v1, 0
	s_and_saveexec_b32 s10, s9
	s_cbranch_execnz .LBB250_297
	s_branch .LBB250_298
.LBB250_556:
	v_bfe_u32 v1, v12, 21, 1
	s_mov_b32 s9, exec_lo
	s_delay_alu instid0(VALU_DEP_1) | instskip(NEXT) | instid1(VALU_DEP_1)
	v_add3_u32 v1, v12, v1, 0x88fffff
                                        ; implicit-def: $vgpr12
	v_lshrrev_b32_e32 v6, 21, v1
	s_and_not1_saveexec_b32 s10, s10
	s_cbranch_execz .LBB250_308
.LBB250_557:
	v_add_f32_e32 v1, 0x42800000, v12
	s_and_not1_b32 s9, s9, exec_lo
	s_delay_alu instid0(VALU_DEP_1) | instskip(NEXT) | instid1(VALU_DEP_1)
	v_and_b32_e32 v6, 0xff, v1
	v_cmp_ne_u32_e32 vcc_lo, 0, v6
	s_and_b32 s11, vcc_lo, exec_lo
	s_delay_alu instid0(SALU_CYCLE_1)
	s_or_b32 s9, s9, s11
	s_or_b32 exec_lo, exec_lo, s10
	v_mov_b32_e32 v1, 0
	s_and_saveexec_b32 s10, s9
	s_cbranch_execnz .LBB250_309
	s_branch .LBB250_310
.LBB250_558:
	v_bfe_u32 v1, v12, 21, 1
	s_mov_b32 s9, exec_lo
	s_delay_alu instid0(VALU_DEP_1) | instskip(NEXT) | instid1(VALU_DEP_1)
	v_add3_u32 v1, v12, v1, 0x88fffff
                                        ; implicit-def: $vgpr12
	v_lshrrev_b32_e32 v6, 21, v1
	s_and_not1_saveexec_b32 s10, s10
	s_cbranch_execz .LBB250_316
.LBB250_559:
	v_add_f32_e32 v1, 0x42800000, v12
	s_and_not1_b32 s9, s9, exec_lo
	s_delay_alu instid0(VALU_DEP_1) | instskip(NEXT) | instid1(VALU_DEP_1)
	v_and_b32_e32 v6, 0xff, v1
	v_cmp_ne_u32_e32 vcc_lo, 0, v6
	s_and_b32 s11, vcc_lo, exec_lo
	s_delay_alu instid0(SALU_CYCLE_1)
	s_or_b32 s9, s9, s11
	s_or_b32 exec_lo, exec_lo, s10
	v_mov_b32_e32 v1, 0
	s_and_saveexec_b32 s10, s9
	s_cbranch_execnz .LBB250_317
	s_branch .LBB250_318
.LBB250_560:
	v_bfe_u32 v1, v13, 21, 1
	s_mov_b32 s8, exec_lo
	s_delay_alu instid0(VALU_DEP_1) | instskip(NEXT) | instid1(VALU_DEP_1)
	v_add3_u32 v1, v6, v1, 0x88fffff
	v_lshrrev_b32_e32 v12, 21, v1
	s_and_not1_saveexec_b32 s9, s9
	s_cbranch_execz .LBB250_343
.LBB250_561:
	v_add_f32_e64 v1, 0x42800000, |v6|
	s_and_not1_b32 s8, s8, exec_lo
	s_delay_alu instid0(VALU_DEP_1) | instskip(NEXT) | instid1(VALU_DEP_1)
	v_and_b32_e32 v12, 0xff, v1
	v_cmp_ne_u32_e32 vcc_lo, 0, v12
	s_and_b32 s10, vcc_lo, exec_lo
	s_delay_alu instid0(SALU_CYCLE_1)
	s_or_b32 s8, s8, s10
	s_or_b32 exec_lo, exec_lo, s9
	v_mov_b32_e32 v1, 0
	s_and_saveexec_b32 s9, s8
	s_cbranch_execnz .LBB250_344
	s_branch .LBB250_345
.LBB250_562:
	v_bfe_u32 v1, v6, 5, 1
	s_mov_b32 s9, exec_lo
	s_delay_alu instid0(VALU_DEP_1) | instskip(NEXT) | instid1(VALU_DEP_1)
	v_add3_u32 v1, v13, v1, 0x88fffff
                                        ; implicit-def: $vgpr13
	v_lshrrev_b32_e32 v12, 21, v1
	s_and_not1_saveexec_b32 s10, s10
	s_cbranch_execz .LBB250_363
.LBB250_563:
	v_add_f32_e64 v1, 0x42800000, |v13|
	s_and_not1_b32 s9, s9, exec_lo
	s_delay_alu instid0(VALU_DEP_1) | instskip(NEXT) | instid1(VALU_DEP_1)
	v_and_b32_e32 v12, 0xff, v1
	v_cmp_ne_u32_e32 vcc_lo, 0, v12
	s_and_b32 s11, vcc_lo, exec_lo
	s_delay_alu instid0(SALU_CYCLE_1)
	s_or_b32 s9, s9, s11
	s_or_b32 exec_lo, exec_lo, s10
	v_mov_b32_e32 v1, 0
	s_and_saveexec_b32 s10, s9
	s_cbranch_execnz .LBB250_364
	s_branch .LBB250_365
.LBB250_564:
	v_bfe_u32 v3, v2, 21, 1
	s_mov_b32 s10, exec_lo
	s_delay_alu instid0(VALU_DEP_1) | instskip(NEXT) | instid1(VALU_DEP_1)
	v_add3_u32 v3, v2, v3, 0x88fffff
	v_lshrrev_b32_e32 v3, 21, v3
	s_and_not1_saveexec_b32 s11, s11
	s_cbranch_execz .LBB250_434
.LBB250_565:
	v_add_f32_e64 v3, 0x42800000, |v2|
	s_and_not1_b32 s10, s10, exec_lo
	s_delay_alu instid0(VALU_DEP_1) | instskip(NEXT) | instid1(VALU_DEP_1)
	v_and_b32_e32 v3, 0xff, v3
	v_cmp_ne_u32_e32 vcc_lo, 0, v3
	s_and_b32 s12, vcc_lo, exec_lo
	s_delay_alu instid0(SALU_CYCLE_1)
	s_or_b32 s10, s10, s12
	s_or_b32 exec_lo, exec_lo, s11
	v_mov_b32_e32 v12, 0
	s_and_saveexec_b32 s11, s10
	s_cbranch_execnz .LBB250_435
	s_branch .LBB250_436
.LBB250_566:
	v_bfe_u32 v3, v4, 21, 1
	s_mov_b32 s9, exec_lo
	s_delay_alu instid0(VALU_DEP_1) | instskip(NEXT) | instid1(VALU_DEP_1)
	v_add3_u32 v3, v2, v3, 0x88fffff
	v_lshrrev_b32_e32 v3, 21, v3
	s_and_not1_saveexec_b32 s10, s10
	s_cbranch_execz .LBB250_457
.LBB250_567:
	v_add_f32_e64 v3, 0x42800000, |v2|
	s_and_not1_b32 s9, s9, exec_lo
	s_delay_alu instid0(VALU_DEP_1) | instskip(NEXT) | instid1(VALU_DEP_1)
	v_and_b32_e32 v3, 0xff, v3
	v_cmp_ne_u32_e32 vcc_lo, 0, v3
	s_and_b32 s11, vcc_lo, exec_lo
	s_delay_alu instid0(SALU_CYCLE_1)
	s_or_b32 s9, s9, s11
	s_or_b32 exec_lo, exec_lo, s10
	v_mov_b32_e32 v12, 0
	s_and_saveexec_b32 s10, s9
	s_cbranch_execnz .LBB250_458
	s_branch .LBB250_459
.LBB250_568:
	v_bfe_u32 v1, v6, 21, 1
	s_mov_b32 s8, exec_lo
	s_delay_alu instid0(VALU_DEP_1) | instskip(NEXT) | instid1(VALU_DEP_1)
	v_add3_u32 v1, v6, v1, 0x88fffff
	v_lshrrev_b32_e32 v12, 21, v1
	s_and_not1_saveexec_b32 s9, s9
	s_cbranch_execz .LBB250_275
.LBB250_569:
	v_add_f32_e64 v1, 0x42800000, |v6|
	s_and_not1_b32 s8, s8, exec_lo
	s_delay_alu instid0(VALU_DEP_1) | instskip(NEXT) | instid1(VALU_DEP_1)
	v_and_b32_e32 v12, 0xff, v1
	v_cmp_ne_u32_e32 vcc_lo, 0, v12
	s_and_b32 s10, vcc_lo, exec_lo
	s_delay_alu instid0(SALU_CYCLE_1)
	s_or_b32 s8, s8, s10
	s_or_b32 exec_lo, exec_lo, s9
	v_mov_b32_e32 v1, 0
	s_and_saveexec_b32 s9, s8
	s_cbranch_execnz .LBB250_276
	s_branch .LBB250_277
.LBB250_570:
	v_bfe_u32 v1, v12, 21, 1
	s_mov_b32 s10, exec_lo
	s_delay_alu instid0(VALU_DEP_1) | instskip(NEXT) | instid1(VALU_DEP_1)
	v_add3_u32 v1, v12, v1, 0x88fffff
                                        ; implicit-def: $vgpr12
	v_lshrrev_b32_e32 v6, 21, v1
	s_and_not1_saveexec_b32 s11, s11
	s_cbranch_execz .LBB250_285
.LBB250_571:
	v_add_f32_e32 v1, 0x42800000, v12
	s_and_not1_b32 s10, s10, exec_lo
	s_delay_alu instid0(VALU_DEP_1) | instskip(NEXT) | instid1(VALU_DEP_1)
	v_and_b32_e32 v6, 0xff, v1
	v_cmp_ne_u32_e32 vcc_lo, 0, v6
	s_and_b32 s12, vcc_lo, exec_lo
	s_delay_alu instid0(SALU_CYCLE_1)
	s_or_b32 s10, s10, s12
	s_or_b32 exec_lo, exec_lo, s11
	v_mov_b32_e32 v1, 0
	s_and_saveexec_b32 s11, s10
	s_cbranch_execnz .LBB250_286
	s_branch .LBB250_287
.LBB250_572:
	v_bfe_u32 v2, v3, 21, 1
	s_mov_b32 s11, exec_lo
	s_delay_alu instid0(VALU_DEP_1) | instskip(NEXT) | instid1(VALU_DEP_1)
	v_add3_u32 v2, v3, v2, 0x88fffff
                                        ; implicit-def: $vgpr3
	v_lshrrev_b32_e32 v2, 21, v2
	s_and_not1_saveexec_b32 s12, s12
	s_cbranch_execz .LBB250_401
.LBB250_573:
	v_add_f32_e32 v2, 0x42800000, v3
	s_and_not1_b32 s11, s11, exec_lo
	s_delay_alu instid0(VALU_DEP_1) | instskip(NEXT) | instid1(VALU_DEP_1)
	v_and_b32_e32 v2, 0xff, v2
	v_cmp_ne_u32_e32 vcc_lo, 0, v2
	s_and_b32 s13, vcc_lo, exec_lo
	s_delay_alu instid0(SALU_CYCLE_1)
	s_or_b32 s11, s11, s13
	s_or_b32 exec_lo, exec_lo, s12
	v_mov_b32_e32 v12, 0
	s_and_saveexec_b32 s12, s11
	s_cbranch_execnz .LBB250_402
	s_branch .LBB250_403
.LBB250_574:
	v_bfe_u32 v2, v3, 21, 1
	s_mov_b32 s11, exec_lo
	s_delay_alu instid0(VALU_DEP_1) | instskip(NEXT) | instid1(VALU_DEP_1)
	v_add3_u32 v2, v3, v2, 0x88fffff
                                        ; implicit-def: $vgpr3
	v_lshrrev_b32_e32 v2, 21, v2
	s_and_not1_saveexec_b32 s12, s12
	s_cbranch_execz .LBB250_413
.LBB250_575:
	v_add_f32_e32 v2, 0x42800000, v3
	s_and_not1_b32 s11, s11, exec_lo
	s_delay_alu instid0(VALU_DEP_1) | instskip(NEXT) | instid1(VALU_DEP_1)
	v_and_b32_e32 v2, 0xff, v2
	v_cmp_ne_u32_e32 vcc_lo, 0, v2
	s_and_b32 s13, vcc_lo, exec_lo
	s_delay_alu instid0(SALU_CYCLE_1)
	s_or_b32 s11, s11, s13
	s_or_b32 exec_lo, exec_lo, s12
	v_mov_b32_e32 v12, 0
	s_and_saveexec_b32 s12, s11
	s_cbranch_execnz .LBB250_414
	s_branch .LBB250_415
.LBB250_576:
	v_bfe_u32 v2, v3, 21, 1
	s_mov_b32 s11, exec_lo
	s_delay_alu instid0(VALU_DEP_1) | instskip(NEXT) | instid1(VALU_DEP_1)
	v_add3_u32 v2, v3, v2, 0x88fffff
                                        ; implicit-def: $vgpr3
	v_lshrrev_b32_e32 v2, 21, v2
	s_and_not1_saveexec_b32 s12, s12
	s_cbranch_execz .LBB250_421
.LBB250_577:
	v_add_f32_e32 v2, 0x42800000, v3
	s_and_not1_b32 s11, s11, exec_lo
	s_delay_alu instid0(VALU_DEP_1) | instskip(NEXT) | instid1(VALU_DEP_1)
	v_and_b32_e32 v2, 0xff, v2
	v_cmp_ne_u32_e32 vcc_lo, 0, v2
	s_and_b32 s13, vcc_lo, exec_lo
	s_delay_alu instid0(SALU_CYCLE_1)
	s_or_b32 s11, s11, s13
	s_or_b32 exec_lo, exec_lo, s12
	v_mov_b32_e32 v12, 0
	s_and_saveexec_b32 s12, s11
	s_cbranch_execnz .LBB250_422
	s_branch .LBB250_423
.LBB250_578:
	v_bfe_u32 v3, v4, 21, 1
	s_mov_b32 s10, exec_lo
	s_delay_alu instid0(VALU_DEP_1) | instskip(NEXT) | instid1(VALU_DEP_1)
	v_add3_u32 v3, v2, v3, 0x88fffff
	v_lshrrev_b32_e32 v3, 21, v3
	s_and_not1_saveexec_b32 s11, s11
	s_cbranch_execz .LBB250_448
.LBB250_579:
	v_add_f32_e64 v3, 0x42800000, |v2|
	s_and_not1_b32 s10, s10, exec_lo
	s_delay_alu instid0(VALU_DEP_1) | instskip(NEXT) | instid1(VALU_DEP_1)
	v_and_b32_e32 v3, 0xff, v3
	v_cmp_ne_u32_e32 vcc_lo, 0, v3
	s_and_b32 s12, vcc_lo, exec_lo
	s_delay_alu instid0(SALU_CYCLE_1)
	s_or_b32 s10, s10, s12
	s_or_b32 exec_lo, exec_lo, s11
	v_mov_b32_e32 v12, 0
	s_and_saveexec_b32 s11, s10
	s_cbranch_execnz .LBB250_449
	s_branch .LBB250_450
.LBB250_580:
	v_bfe_u32 v3, v2, 5, 1
	s_mov_b32 s11, exec_lo
	s_delay_alu instid0(VALU_DEP_1) | instskip(NEXT) | instid1(VALU_DEP_1)
	v_add3_u32 v3, v4, v3, 0x88fffff
                                        ; implicit-def: $vgpr4
	v_lshrrev_b32_e32 v3, 21, v3
	s_and_not1_saveexec_b32 s12, s12
	s_cbranch_execz .LBB250_468
.LBB250_581:
	v_add_f32_e64 v3, 0x42800000, |v4|
	s_and_not1_b32 s11, s11, exec_lo
	s_delay_alu instid0(VALU_DEP_1) | instskip(NEXT) | instid1(VALU_DEP_1)
	v_and_b32_e32 v3, 0xff, v3
	v_cmp_ne_u32_e32 vcc_lo, 0, v3
	s_and_b32 s13, vcc_lo, exec_lo
	s_delay_alu instid0(SALU_CYCLE_1)
	s_or_b32 s11, s11, s13
	s_or_b32 exec_lo, exec_lo, s12
	v_mov_b32_e32 v12, 0
	s_and_saveexec_b32 s12, s11
	s_cbranch_execnz .LBB250_469
	s_branch .LBB250_470
.LBB250_582:
	v_bfe_u32 v3, v2, 21, 1
	s_mov_b32 s10, exec_lo
	s_delay_alu instid0(VALU_DEP_1) | instskip(NEXT) | instid1(VALU_DEP_1)
	v_add3_u32 v3, v2, v3, 0x88fffff
	v_lshrrev_b32_e32 v3, 21, v3
	s_and_not1_saveexec_b32 s11, s11
	s_cbranch_execz .LBB250_380
.LBB250_583:
	v_add_f32_e64 v3, 0x42800000, |v2|
	s_and_not1_b32 s10, s10, exec_lo
	s_delay_alu instid0(VALU_DEP_1) | instskip(NEXT) | instid1(VALU_DEP_1)
	v_and_b32_e32 v3, 0xff, v3
	v_cmp_ne_u32_e32 vcc_lo, 0, v3
	s_and_b32 s12, vcc_lo, exec_lo
	s_delay_alu instid0(SALU_CYCLE_1)
	s_or_b32 s10, s10, s12
	s_or_b32 exec_lo, exec_lo, s11
	v_mov_b32_e32 v12, 0
	s_and_saveexec_b32 s11, s10
	s_cbranch_execnz .LBB250_381
	s_branch .LBB250_382
.LBB250_584:
	v_bfe_u32 v2, v3, 21, 1
	s_mov_b32 s12, exec_lo
	s_delay_alu instid0(VALU_DEP_1) | instskip(NEXT) | instid1(VALU_DEP_1)
	v_add3_u32 v2, v3, v2, 0x88fffff
                                        ; implicit-def: $vgpr3
	v_lshrrev_b32_e32 v2, 21, v2
	s_and_not1_saveexec_b32 s13, s13
	s_cbranch_execz .LBB250_390
.LBB250_585:
	v_add_f32_e32 v2, 0x42800000, v3
	s_and_not1_b32 s12, s12, exec_lo
	s_delay_alu instid0(VALU_DEP_1) | instskip(NEXT) | instid1(VALU_DEP_1)
	v_and_b32_e32 v2, 0xff, v2
	v_cmp_ne_u32_e32 vcc_lo, 0, v2
	s_and_b32 s14, vcc_lo, exec_lo
	s_delay_alu instid0(SALU_CYCLE_1)
	s_or_b32 s12, s12, s14
	s_or_b32 exec_lo, exec_lo, s13
	v_mov_b32_e32 v12, 0
	s_and_saveexec_b32 s13, s12
	s_cbranch_execnz .LBB250_391
	s_branch .LBB250_392
.Lfunc_end250:
	.size	_ZN2at6native6invokeINS0_13BinaryFunctorIN3c1015Float8_e5m2fnuzES4_bNS0_12_GLOBAL__N_116CompareEqFunctorIS4_EEEEi15function_traitsIS8_EEENT1_11result_typeERKT_PrKPcPKT0_PKNS3_10ScalarTypeEi, .Lfunc_end250-_ZN2at6native6invokeINS0_13BinaryFunctorIN3c1015Float8_e5m2fnuzES4_bNS0_12_GLOBAL__N_116CompareEqFunctorIS4_EEEEi15function_traitsIS8_EEENT1_11result_typeERKT_PrKPcPKT0_PKNS3_10ScalarTypeEi
                                        ; -- End function
	.set .L_ZN2at6native6invokeINS0_13BinaryFunctorIN3c1015Float8_e5m2fnuzES4_bNS0_12_GLOBAL__N_116CompareEqFunctorIS4_EEEEi15function_traitsIS8_EEENT1_11result_typeERKT_PrKPcPKT0_PKNS3_10ScalarTypeEi.num_vgpr, 16
	.set .L_ZN2at6native6invokeINS0_13BinaryFunctorIN3c1015Float8_e5m2fnuzES4_bNS0_12_GLOBAL__N_116CompareEqFunctorIS4_EEEEi15function_traitsIS8_EEENT1_11result_typeERKT_PrKPcPKT0_PKNS3_10ScalarTypeEi.num_agpr, 0
	.set .L_ZN2at6native6invokeINS0_13BinaryFunctorIN3c1015Float8_e5m2fnuzES4_bNS0_12_GLOBAL__N_116CompareEqFunctorIS4_EEEEi15function_traitsIS8_EEENT1_11result_typeERKT_PrKPcPKT0_PKNS3_10ScalarTypeEi.numbered_sgpr, 32
	.set .L_ZN2at6native6invokeINS0_13BinaryFunctorIN3c1015Float8_e5m2fnuzES4_bNS0_12_GLOBAL__N_116CompareEqFunctorIS4_EEEEi15function_traitsIS8_EEENT1_11result_typeERKT_PrKPcPKT0_PKNS3_10ScalarTypeEi.num_named_barrier, 0
	.set .L_ZN2at6native6invokeINS0_13BinaryFunctorIN3c1015Float8_e5m2fnuzES4_bNS0_12_GLOBAL__N_116CompareEqFunctorIS4_EEEEi15function_traitsIS8_EEENT1_11result_typeERKT_PrKPcPKT0_PKNS3_10ScalarTypeEi.private_seg_size, 0
	.set .L_ZN2at6native6invokeINS0_13BinaryFunctorIN3c1015Float8_e5m2fnuzES4_bNS0_12_GLOBAL__N_116CompareEqFunctorIS4_EEEEi15function_traitsIS8_EEENT1_11result_typeERKT_PrKPcPKT0_PKNS3_10ScalarTypeEi.uses_vcc, 1
	.set .L_ZN2at6native6invokeINS0_13BinaryFunctorIN3c1015Float8_e5m2fnuzES4_bNS0_12_GLOBAL__N_116CompareEqFunctorIS4_EEEEi15function_traitsIS8_EEENT1_11result_typeERKT_PrKPcPKT0_PKNS3_10ScalarTypeEi.uses_flat_scratch, 0
	.set .L_ZN2at6native6invokeINS0_13BinaryFunctorIN3c1015Float8_e5m2fnuzES4_bNS0_12_GLOBAL__N_116CompareEqFunctorIS4_EEEEi15function_traitsIS8_EEENT1_11result_typeERKT_PrKPcPKT0_PKNS3_10ScalarTypeEi.has_dyn_sized_stack, 0
	.set .L_ZN2at6native6invokeINS0_13BinaryFunctorIN3c1015Float8_e5m2fnuzES4_bNS0_12_GLOBAL__N_116CompareEqFunctorIS4_EEEEi15function_traitsIS8_EEENT1_11result_typeERKT_PrKPcPKT0_PKNS3_10ScalarTypeEi.has_recursion, 0
	.set .L_ZN2at6native6invokeINS0_13BinaryFunctorIN3c1015Float8_e5m2fnuzES4_bNS0_12_GLOBAL__N_116CompareEqFunctorIS4_EEEEi15function_traitsIS8_EEENT1_11result_typeERKT_PrKPcPKT0_PKNS3_10ScalarTypeEi.has_indirect_call, 0
	.section	.AMDGPU.csdata,"",@progbits
; Function info:
; codeLenInByte = 15128
; TotalNumSgprs: 34
; NumVgprs: 16
; ScratchSize: 0
; MemoryBound: 0
	.section	.text._ZN2at6native32elementwise_kernel_manual_unrollILi128ELi4EZNS0_15gpu_kernel_implINS0_13BinaryFunctorIN3c1015Float8_e5m2fnuzES5_bNS0_12_GLOBAL__N_116CompareEqFunctorIS5_EEEEEEvRNS_18TensorIteratorBaseERKT_EUlibE_EEviT1_,"axG",@progbits,_ZN2at6native32elementwise_kernel_manual_unrollILi128ELi4EZNS0_15gpu_kernel_implINS0_13BinaryFunctorIN3c1015Float8_e5m2fnuzES5_bNS0_12_GLOBAL__N_116CompareEqFunctorIS5_EEEEEEvRNS_18TensorIteratorBaseERKT_EUlibE_EEviT1_,comdat
	.globl	_ZN2at6native32elementwise_kernel_manual_unrollILi128ELi4EZNS0_15gpu_kernel_implINS0_13BinaryFunctorIN3c1015Float8_e5m2fnuzES5_bNS0_12_GLOBAL__N_116CompareEqFunctorIS5_EEEEEEvRNS_18TensorIteratorBaseERKT_EUlibE_EEviT1_ ; -- Begin function _ZN2at6native32elementwise_kernel_manual_unrollILi128ELi4EZNS0_15gpu_kernel_implINS0_13BinaryFunctorIN3c1015Float8_e5m2fnuzES5_bNS0_12_GLOBAL__N_116CompareEqFunctorIS5_EEEEEEvRNS_18TensorIteratorBaseERKT_EUlibE_EEviT1_
	.p2align	8
	.type	_ZN2at6native32elementwise_kernel_manual_unrollILi128ELi4EZNS0_15gpu_kernel_implINS0_13BinaryFunctorIN3c1015Float8_e5m2fnuzES5_bNS0_12_GLOBAL__N_116CompareEqFunctorIS5_EEEEEEvRNS_18TensorIteratorBaseERKT_EUlibE_EEviT1_,@function
_ZN2at6native32elementwise_kernel_manual_unrollILi128ELi4EZNS0_15gpu_kernel_implINS0_13BinaryFunctorIN3c1015Float8_e5m2fnuzES5_bNS0_12_GLOBAL__N_116CompareEqFunctorIS5_EEEEEEvRNS_18TensorIteratorBaseERKT_EUlibE_EEviT1_: ; @_ZN2at6native32elementwise_kernel_manual_unrollILi128ELi4EZNS0_15gpu_kernel_implINS0_13BinaryFunctorIN3c1015Float8_e5m2fnuzES5_bNS0_12_GLOBAL__N_116CompareEqFunctorIS5_EEEEEEvRNS_18TensorIteratorBaseERKT_EUlibE_EEviT1_
; %bb.0:
	s_clause 0x2
	s_load_b256 s[4:11], s[0:1], 0x8
	s_load_b128 s[12:15], s[0:1], 0x28
	s_load_b32 s18, s[0:1], 0x0
	s_bfe_u32 s2, ttmp6, 0x4000c
	s_wait_xcnt 0x0
	s_and_b32 s0, ttmp6, 15
	s_add_co_i32 s2, s2, 1
	s_mov_b32 s17, 0
	s_mul_i32 s1, ttmp9, s2
	s_getreg_b32 s2, hwreg(HW_REG_IB_STS2, 6, 4)
	s_add_co_i32 s0, s0, s1
	s_cmp_eq_u32 s2, 0
	s_mov_b32 s32, 64
	s_cselect_b32 s0, ttmp9, s0
	s_delay_alu instid0(SALU_CYCLE_1) | instskip(SKIP_2) | instid1(VALU_DEP_2)
	v_lshl_or_b32 v16, s0, 9, v0
	v_mbcnt_lo_u32_b32 v0, -1, 0
	s_mov_b32 s0, exec_lo
	v_or_b32_e32 v1, 0x180, v16
	s_wait_kmcnt 0x0
	v_mov_b64_e32 v[10:11], s[12:13]
	v_mov_b64_e32 v[2:3], s[4:5]
	;; [unrolled: 1-line block ×6, first 2 shown]
	s_mov_b32 s15, 0
	s_clause 0x2
	scratch_store_b128 off, v[2:5], off
	scratch_store_b128 off, v[6:9], off offset:16
	scratch_store_b128 off, v[10:13], off offset:32
	s_wait_xcnt 0x0
	v_cmpx_le_i32_e64 s18, v1
	s_xor_b32 s16, exec_lo, s0
	s_cbranch_execz .LBB251_394
; %bb.1:
	s_clause 0x3
	scratch_load_b64 v[18:19], off, off
	scratch_load_b32 v26, off, off offset:24
	scratch_load_b32 v17, off, off offset:36
	scratch_load_u8 v27, off, off offset:40
	v_dual_mov_b32 v0, 0 :: v_dual_lshlrev_b32 v1, 20, v0
	s_mov_b32 s20, 0
	s_mov_b32 s0, -1
	s_mov_b32 s19, exec_lo
	s_delay_alu instid0(VALU_DEP_1) | instskip(NEXT) | instid1(VALU_DEP_1)
	v_add_nc_u64_e32 v[0:1], src_flat_scratch_base_lo, v[0:1]
	v_add_nc_u64_e32 v[24:25], 8, v[0:1]
	v_add_nc_u64_e32 v[22:23], 28, v[0:1]
	v_add_nc_u64_e32 v[20:21], 41, v[0:1]
	s_wait_xcnt 0x0
	v_cmpx_gt_i32_e64 s18, v16
	s_cbranch_execz .LBB251_87
; %bb.2:
	s_wait_loadcnt 0x1
	v_dual_mov_b32 v0, v17 :: v_dual_mov_b32 v1, v24
	v_dual_mov_b32 v2, v25 :: v_dual_mov_b32 v3, v22
	;; [unrolled: 1-line block ×4, first 2 shown]
	s_get_pc_i64 s[0:1]
	s_add_nc_u64 s[0:1], s[0:1], _ZN2at6native6invokeINS0_13BinaryFunctorIN3c1015Float8_e5m2fnuzES4_bNS0_12_GLOBAL__N_116CompareEqFunctorIS4_EEEEi15function_traitsIS8_EEENT1_11result_typeERKT_PrKPcPKT0_PKNS3_10ScalarTypeEi@rel64+4
	s_delay_alu instid0(SALU_CYCLE_1)
	s_swap_pc_i64 s[30:31], s[0:1]
	v_and_b32_e32 v0, 1, v0
	v_and_b32_e32 v2, 0xff, v27
	s_mov_b32 s1, 0
	s_mov_b32 s3, 0
	s_mov_b32 s2, exec_lo
	v_cmp_eq_u32_e32 vcc_lo, 1, v0
	v_mul_lo_u32 v0, v26, v16
	s_delay_alu instid0(VALU_DEP_1) | instskip(NEXT) | instid1(VALU_DEP_1)
	v_ashrrev_i32_e32 v1, 31, v0
	v_add_nc_u64_e32 v[0:1], v[18:19], v[0:1]
	v_cmpx_lt_i16_e32 10, v2
	s_xor_b32 s2, exec_lo, s2
	s_cbranch_execz .LBB251_1964
; %bb.3:
	s_mov_b32 s4, exec_lo
	v_cmpx_lt_i16_e32 25, v2
	s_xor_b32 s4, exec_lo, s4
	s_cbranch_execz .LBB251_39
; %bb.4:
	s_mov_b32 s5, 0
	s_mov_b32 s3, exec_lo
	v_cmpx_lt_i16_e32 28, v2
	s_xor_b32 s3, exec_lo, s3
	s_cbranch_execz .LBB251_22
; %bb.5:
	s_mov_b32 s7, 0
	;; [unrolled: 6-line block ×3, first 2 shown]
	s_mov_b32 s1, exec_lo
	v_cmpx_lt_i16_e32 45, v2
	s_xor_b32 s1, exec_lo, s1
	s_cbranch_execz .LBB251_10
; %bb.7:
	s_mov_b32 s8, -1
	s_mov_b32 s7, exec_lo
	v_cmpx_eq_u16_e32 46, v2
	s_cbranch_execz .LBB251_9
; %bb.8:
	v_cndmask_b32_e64 v2, 0, 1.0, vcc_lo
	s_mov_b32 s6, exec_lo
	s_xor_b32 s8, exec_lo, -1
	s_delay_alu instid0(VALU_DEP_1) | instskip(NEXT) | instid1(VALU_DEP_1)
	v_bfe_u32 v3, v2, 16, 1
	v_add3_u32 v2, v2, v3, 0x7fff
	s_delay_alu instid0(VALU_DEP_1)
	v_lshrrev_b32_e32 v2, 16, v2
	flat_store_b32 v[0:1], v2
.LBB251_9:
	s_wait_xcnt 0x0
	s_or_b32 exec_lo, exec_lo, s7
	s_delay_alu instid0(SALU_CYCLE_1)
	s_and_b32 s7, s8, exec_lo
	s_and_b32 s6, s6, exec_lo
                                        ; implicit-def: $vgpr2
                                        ; implicit-def: $vgpr0_vgpr1
.LBB251_10:
	s_and_not1_saveexec_b32 s8, s1
	s_cbranch_execz .LBB251_16
; %bb.11:
	s_mov_b32 s10, -1
	s_mov_b32 s1, s6
	s_mov_b32 s9, exec_lo
	v_cmpx_eq_u16_e32 44, v2
	s_cbranch_execz .LBB251_15
; %bb.12:
	v_cndmask_b32_e64 v4, 0, 1.0, vcc_lo
	s_mov_b32 s10, exec_lo
	s_delay_alu instid0(VALU_DEP_1) | instskip(NEXT) | instid1(VALU_DEP_1)
	v_dual_mov_b32 v3, 0xff :: v_dual_lshrrev_b32 v2, 23, v4
	v_cmpx_ne_u32_e32 0xff, v2
; %bb.13:
	v_and_b32_e32 v3, 0x400000, v4
	v_and_or_b32 v4, 0x3fffff, v4, v2
	s_delay_alu instid0(VALU_DEP_2) | instskip(NEXT) | instid1(VALU_DEP_2)
	v_cmp_ne_u32_e64 s0, 0, v3
	v_cmp_ne_u32_e64 s1, 0, v4
	s_and_b32 s0, s0, s1
	s_delay_alu instid0(SALU_CYCLE_1) | instskip(NEXT) | instid1(VALU_DEP_1)
	v_cndmask_b32_e64 v3, 0, 1, s0
	v_add_nc_u32_e32 v3, v2, v3
; %bb.14:
	s_or_b32 exec_lo, exec_lo, s10
	s_delay_alu instid0(SALU_CYCLE_1)
	s_xor_b32 s10, exec_lo, -1
	s_or_b32 s1, s6, exec_lo
	flat_store_b8 v[0:1], v3
.LBB251_15:
	s_wait_xcnt 0x0
	s_or_b32 exec_lo, exec_lo, s9
	s_delay_alu instid0(SALU_CYCLE_1)
	s_and_not1_b32 s0, s7, exec_lo
	s_and_b32 s7, s10, exec_lo
	s_and_not1_b32 s6, s6, exec_lo
	s_and_b32 s1, s1, exec_lo
	s_or_b32 s7, s0, s7
	s_or_b32 s6, s6, s1
.LBB251_16:
	s_or_b32 exec_lo, exec_lo, s8
	s_delay_alu instid0(SALU_CYCLE_1)
	s_and_b32 s7, s7, exec_lo
	s_and_b32 s1, s6, exec_lo
                                        ; implicit-def: $vgpr2
                                        ; implicit-def: $vgpr0_vgpr1
.LBB251_17:
	s_and_not1_saveexec_b32 s5, s5
	s_cbranch_execz .LBB251_21
; %bb.18:
	s_mov_b32 s9, -1
	s_mov_b32 s6, s1
	s_mov_b32 s8, exec_lo
	v_cmpx_eq_u16_e32 29, v2
	s_cbranch_execz .LBB251_20
; %bb.19:
	s_mov_b32 s0, 0
	v_cndmask_b32_e64 v2, 0, 1, vcc_lo
	v_mov_b32_e32 v3, s0
	s_xor_b32 s9, exec_lo, -1
	s_or_b32 s6, s1, exec_lo
	flat_store_b64 v[0:1], v[2:3]
.LBB251_20:
	s_wait_xcnt 0x0
	s_or_b32 exec_lo, exec_lo, s8
	s_delay_alu instid0(SALU_CYCLE_1)
	s_and_not1_b32 s0, s7, exec_lo
	s_and_b32 s7, s9, exec_lo
	s_and_not1_b32 s1, s1, exec_lo
	s_and_b32 s6, s6, exec_lo
	s_or_b32 s7, s0, s7
	s_or_b32 s1, s1, s6
.LBB251_21:
	s_or_b32 exec_lo, exec_lo, s5
	s_delay_alu instid0(SALU_CYCLE_1)
	s_and_b32 s5, s7, exec_lo
	s_and_b32 s1, s1, exec_lo
                                        ; implicit-def: $vgpr0_vgpr1
                                        ; implicit-def: $vgpr2
.LBB251_22:
	s_and_not1_saveexec_b32 s3, s3
	s_cbranch_execz .LBB251_38
; %bb.23:
	s_mov_b32 s6, exec_lo
	v_cmpx_lt_i16_e32 26, v2
	s_xor_b32 s6, exec_lo, s6
	s_cbranch_execz .LBB251_29
; %bb.24:
	v_cmp_lt_i16_e64 s0, 27, v2
	s_and_saveexec_b32 s7, s0
	s_delay_alu instid0(SALU_CYCLE_1)
	s_xor_b32 s0, exec_lo, s7
	s_cbranch_execz .LBB251_26
; %bb.25:
	v_cndmask_b32_e64 v2, 0, 1, vcc_lo
	flat_store_b32 v[0:1], v2
                                        ; implicit-def: $vgpr0_vgpr1
.LBB251_26:
	s_wait_xcnt 0x0
	s_and_not1_saveexec_b32 s0, s0
	s_cbranch_execz .LBB251_28
; %bb.27:
	v_cndmask_b32_e64 v2, 0, 1, vcc_lo
	flat_store_b16 v[0:1], v2
.LBB251_28:
	s_wait_xcnt 0x0
	s_or_b32 exec_lo, exec_lo, s0
                                        ; implicit-def: $vgpr0_vgpr1
.LBB251_29:
	s_and_not1_saveexec_b32 s6, s6
	s_cbranch_execz .LBB251_37
; %bb.30:
	v_cndmask_b32_e64 v3, 0, 1.0, vcc_lo
	v_mov_b32_e32 v4, 0x80
	s_mov_b32 s7, exec_lo
	s_delay_alu instid0(VALU_DEP_2)
	v_cmpx_gt_u32_e32 0x43800000, v3
	s_cbranch_execz .LBB251_36
; %bb.31:
	v_cmp_lt_u32_e64 s0, 0x3bffffff, v3
	s_mov_b32 s8, 0
                                        ; implicit-def: $vgpr2
	s_and_saveexec_b32 s9, s0
	s_delay_alu instid0(SALU_CYCLE_1)
	s_xor_b32 s0, exec_lo, s9
	s_cbranch_execz .LBB251_2325
; %bb.32:
	v_bfe_u32 v2, v3, 20, 1
	s_mov_b32 s8, exec_lo
	s_delay_alu instid0(VALU_DEP_1) | instskip(NEXT) | instid1(VALU_DEP_1)
	v_add3_u32 v2, v3, v2, 0x487ffff
                                        ; implicit-def: $vgpr3
	v_lshrrev_b32_e32 v2, 20, v2
	s_and_not1_saveexec_b32 s9, s0
	s_cbranch_execnz .LBB251_2326
.LBB251_33:
	s_or_b32 exec_lo, exec_lo, s9
	v_mov_b32_e32 v4, 0
	s_and_saveexec_b32 s0, s8
.LBB251_34:
	v_mov_b32_e32 v4, v2
.LBB251_35:
	s_or_b32 exec_lo, exec_lo, s0
.LBB251_36:
	s_delay_alu instid0(SALU_CYCLE_1)
	s_or_b32 exec_lo, exec_lo, s7
	flat_store_b8 v[0:1], v4
.LBB251_37:
	s_wait_xcnt 0x0
	s_or_b32 exec_lo, exec_lo, s6
	s_delay_alu instid0(SALU_CYCLE_1)
	s_or_b32 s1, s1, exec_lo
.LBB251_38:
	s_or_b32 exec_lo, exec_lo, s3
	s_delay_alu instid0(SALU_CYCLE_1)
	s_and_b32 s3, s5, exec_lo
	s_and_b32 s1, s1, exec_lo
                                        ; implicit-def: $vgpr2
                                        ; implicit-def: $vgpr0_vgpr1
.LBB251_39:
	s_and_not1_saveexec_b32 s4, s4
	s_cbranch_execz .LBB251_83
; %bb.40:
	s_mov_b32 s6, s1
	s_mov_b32 s5, exec_lo
	v_cmpx_lt_i16_e32 22, v2
	s_xor_b32 s5, exec_lo, s5
	s_cbranch_execz .LBB251_72
; %bb.41:
	s_mov_b32 s6, exec_lo
	v_cmpx_lt_i16_e32 23, v2
	s_xor_b32 s6, exec_lo, s6
	s_cbranch_execz .LBB251_61
; %bb.42:
	;; [unrolled: 5-line block ×3, first 2 shown]
	v_cndmask_b32_e64 v3, 0, 1.0, vcc_lo
	v_mov_b32_e32 v4, 0x80
	s_mov_b32 s8, exec_lo
	s_delay_alu instid0(VALU_DEP_2)
	v_cmpx_gt_u32_e32 0x47800000, v3
	s_cbranch_execz .LBB251_49
; %bb.44:
	v_cmp_lt_u32_e64 s0, 0x37ffffff, v3
	s_mov_b32 s9, 0
                                        ; implicit-def: $vgpr2
	s_and_saveexec_b32 s10, s0
	s_delay_alu instid0(SALU_CYCLE_1)
	s_xor_b32 s0, exec_lo, s10
	s_cbranch_execz .LBB251_2406
; %bb.45:
	v_bfe_u32 v2, v3, 21, 1
	s_mov_b32 s9, exec_lo
	s_delay_alu instid0(VALU_DEP_1) | instskip(NEXT) | instid1(VALU_DEP_1)
	v_add3_u32 v2, v3, v2, 0x88fffff
                                        ; implicit-def: $vgpr3
	v_lshrrev_b32_e32 v2, 21, v2
	s_and_not1_saveexec_b32 s10, s0
	s_cbranch_execnz .LBB251_2407
.LBB251_46:
	s_or_b32 exec_lo, exec_lo, s10
	v_mov_b32_e32 v4, 0
	s_and_saveexec_b32 s0, s9
.LBB251_47:
	v_mov_b32_e32 v4, v2
.LBB251_48:
	s_or_b32 exec_lo, exec_lo, s0
.LBB251_49:
	s_delay_alu instid0(SALU_CYCLE_1)
	s_or_b32 exec_lo, exec_lo, s8
	flat_store_b8 v[0:1], v4
                                        ; implicit-def: $vgpr0_vgpr1
.LBB251_50:
	s_wait_xcnt 0x0
	s_and_not1_saveexec_b32 s7, s7
	s_cbranch_execz .LBB251_60
; %bb.51:
	v_cndmask_b32_e64 v3, 0, 1.0, vcc_lo
	s_mov_b32 s8, exec_lo
                                        ; implicit-def: $vgpr2
	s_delay_alu instid0(VALU_DEP_1)
	v_cmpx_gt_u32_e32 0x43f00000, v3
	s_xor_b32 s8, exec_lo, s8
	s_cbranch_execz .LBB251_57
; %bb.52:
	s_mov_b32 s9, exec_lo
                                        ; implicit-def: $vgpr2
	v_cmpx_lt_u32_e32 0x3c7fffff, v3
	s_xor_b32 s9, exec_lo, s9
; %bb.53:
	v_bfe_u32 v2, v3, 20, 1
	s_delay_alu instid0(VALU_DEP_1) | instskip(NEXT) | instid1(VALU_DEP_1)
	v_add3_u32 v2, v3, v2, 0x407ffff
	v_and_b32_e32 v3, 0xff00000, v2
	v_lshrrev_b32_e32 v2, 20, v2
	s_delay_alu instid0(VALU_DEP_2) | instskip(NEXT) | instid1(VALU_DEP_1)
	v_cmp_ne_u32_e64 s0, 0x7f00000, v3
                                        ; implicit-def: $vgpr3
	v_cndmask_b32_e64 v2, 0x7e, v2, s0
; %bb.54:
	s_and_not1_saveexec_b32 s0, s9
; %bb.55:
	v_add_f32_e32 v2, 0x46800000, v3
; %bb.56:
	s_or_b32 exec_lo, exec_lo, s0
                                        ; implicit-def: $vgpr3
.LBB251_57:
	s_and_not1_saveexec_b32 s8, s8
; %bb.58:
	v_mov_b32_e32 v2, 0x7f
	v_cmp_lt_u32_e64 s0, 0x7f800000, v3
	s_delay_alu instid0(VALU_DEP_1)
	v_cndmask_b32_e64 v2, 0x7e, v2, s0
; %bb.59:
	s_or_b32 exec_lo, exec_lo, s8
	flat_store_b8 v[0:1], v2
.LBB251_60:
	s_wait_xcnt 0x0
	s_or_b32 exec_lo, exec_lo, s7
                                        ; implicit-def: $vgpr0_vgpr1
.LBB251_61:
	s_and_not1_saveexec_b32 s6, s6
	s_cbranch_execz .LBB251_71
; %bb.62:
	v_cndmask_b32_e64 v3, 0, 1.0, vcc_lo
	s_mov_b32 s7, exec_lo
                                        ; implicit-def: $vgpr2
	s_delay_alu instid0(VALU_DEP_1)
	v_cmpx_gt_u32_e32 0x47800000, v3
	s_xor_b32 s7, exec_lo, s7
	s_cbranch_execz .LBB251_68
; %bb.63:
	v_cmp_lt_u32_e64 s0, 0x387fffff, v3
                                        ; implicit-def: $vgpr2
	s_and_saveexec_b32 s8, s0
	s_delay_alu instid0(SALU_CYCLE_1)
	s_xor_b32 s0, exec_lo, s8
; %bb.64:
	v_bfe_u32 v2, v3, 21, 1
	s_delay_alu instid0(VALU_DEP_1) | instskip(NEXT) | instid1(VALU_DEP_1)
	v_add3_u32 v2, v3, v2, 0x80fffff
                                        ; implicit-def: $vgpr3
	v_lshrrev_b32_e32 v2, 21, v2
; %bb.65:
	s_and_not1_saveexec_b32 s0, s0
; %bb.66:
	v_add_f32_e32 v2, 0x43000000, v3
; %bb.67:
	s_or_b32 exec_lo, exec_lo, s0
                                        ; implicit-def: $vgpr3
.LBB251_68:
	s_and_not1_saveexec_b32 s7, s7
; %bb.69:
	v_mov_b32_e32 v2, 0x7f
	v_cmp_lt_u32_e64 s0, 0x7f800000, v3
	s_delay_alu instid0(VALU_DEP_1)
	v_cndmask_b32_e64 v2, 0x7c, v2, s0
; %bb.70:
	s_or_b32 exec_lo, exec_lo, s7
	flat_store_b8 v[0:1], v2
.LBB251_71:
	s_wait_xcnt 0x0
	s_or_b32 exec_lo, exec_lo, s6
	s_delay_alu instid0(SALU_CYCLE_1)
	s_or_b32 s6, s1, exec_lo
                                        ; implicit-def: $vgpr2
                                        ; implicit-def: $vgpr0_vgpr1
.LBB251_72:
	s_or_saveexec_b32 s5, s5
	s_mov_b32 s0, s3
	s_xor_b32 exec_lo, exec_lo, s5
	s_cbranch_execz .LBB251_82
; %bb.73:
	s_mov_b32 s7, s6
	s_mov_b32 s8, s3
	s_mov_b32 s9, exec_lo
	v_cmpx_lt_i16_e32 14, v2
	s_xor_b32 s9, exec_lo, s9
	s_cbranch_execz .LBB251_77
; %bb.74:
	s_mov_b32 s8, -1
	s_mov_b32 s7, s6
	s_mov_b32 s10, exec_lo
	v_cmpx_eq_u16_e32 15, v2
	s_cbranch_execz .LBB251_76
; %bb.75:
	v_cndmask_b32_e64 v2, 0, 1.0, vcc_lo
	s_xor_b32 s8, exec_lo, -1
	s_or_b32 s7, s6, exec_lo
	s_delay_alu instid0(VALU_DEP_1) | instskip(NEXT) | instid1(VALU_DEP_1)
	v_bfe_u32 v3, v2, 16, 1
	v_add3_u32 v2, v2, v3, 0x7fff
	flat_store_d16_hi_b16 v[0:1], v2
.LBB251_76:
	s_wait_xcnt 0x0
	s_or_b32 exec_lo, exec_lo, s10
	s_delay_alu instid0(SALU_CYCLE_1)
	s_and_not1_b32 s0, s3, exec_lo
	s_and_b32 s8, s8, exec_lo
	s_and_not1_b32 s10, s6, exec_lo
	s_and_b32 s7, s7, exec_lo
	s_or_b32 s8, s0, s8
	s_or_b32 s7, s10, s7
                                        ; implicit-def: $vgpr2
                                        ; implicit-def: $vgpr0_vgpr1
.LBB251_77:
	s_and_not1_saveexec_b32 s9, s9
	s_cbranch_execz .LBB251_81
; %bb.78:
	s_mov_b32 s11, -1
	s_mov_b32 s10, s7
	s_mov_b32 s12, exec_lo
	v_cmpx_eq_u16_e32 11, v2
	s_cbranch_execz .LBB251_80
; %bb.79:
	v_cndmask_b32_e64 v2, 0, 1, vcc_lo
	s_xor_b32 s11, exec_lo, -1
	s_or_b32 s10, s7, exec_lo
	flat_store_b8 v[0:1], v2
.LBB251_80:
	s_wait_xcnt 0x0
	s_or_b32 exec_lo, exec_lo, s12
	s_delay_alu instid0(SALU_CYCLE_1)
	s_and_not1_b32 s0, s8, exec_lo
	s_and_b32 s8, s11, exec_lo
	s_and_not1_b32 s7, s7, exec_lo
	s_and_b32 s10, s10, exec_lo
	s_or_b32 s8, s0, s8
	s_or_b32 s7, s7, s10
.LBB251_81:
	s_or_b32 exec_lo, exec_lo, s9
	s_delay_alu instid0(SALU_CYCLE_1)
	s_and_not1_b32 s0, s3, exec_lo
	s_and_b32 s8, s8, exec_lo
	s_and_not1_b32 s6, s6, exec_lo
	s_and_b32 s7, s7, exec_lo
	s_or_b32 s0, s0, s8
	s_or_b32 s6, s6, s7
.LBB251_82:
	s_or_b32 exec_lo, exec_lo, s5
	s_delay_alu instid0(SALU_CYCLE_1)
	s_and_not1_b32 s3, s3, exec_lo
	s_and_b32 s0, s0, exec_lo
	s_and_not1_b32 s1, s1, exec_lo
	s_and_b32 s5, s6, exec_lo
	s_or_b32 s3, s3, s0
	s_or_b32 s1, s1, s5
.LBB251_83:
	s_or_b32 exec_lo, exec_lo, s4
	s_delay_alu instid0(SALU_CYCLE_1)
	s_and_b32 s3, s3, exec_lo
	s_and_b32 s1, s1, exec_lo
                                        ; implicit-def: $vgpr2
                                        ; implicit-def: $vgpr0_vgpr1
	s_and_not1_saveexec_b32 s2, s2
	s_cbranch_execnz .LBB251_1965
.LBB251_84:
	s_or_b32 exec_lo, exec_lo, s2
	s_mov_b32 s0, 0
	s_and_saveexec_b32 s2, s1
.LBB251_85:
	v_add_nc_u32_e32 v16, 0x80, v16
	s_mov_b32 s0, exec_lo
.LBB251_86:
	s_or_b32 exec_lo, exec_lo, s2
	s_delay_alu instid0(SALU_CYCLE_1)
	s_and_b32 s15, s3, exec_lo
	s_or_not1_b32 s0, s0, exec_lo
.LBB251_87:
	s_or_b32 exec_lo, exec_lo, s19
	s_mov_b32 s2, 0
                                        ; implicit-def: $sgpr1
                                        ; implicit-def: $vgpr2
                                        ; implicit-def: $vgpr0_vgpr1
	s_and_saveexec_b32 s19, s0
	s_cbranch_execz .LBB251_349
; %bb.88:
	s_mov_b32 s3, -1
	s_mov_b32 s20, s15
	s_mov_b32 s21, exec_lo
	v_cmpx_gt_i32_e64 s18, v16
	s_cbranch_execz .LBB251_174
; %bb.89:
	s_wait_loadcnt 0x1
	v_dual_mov_b32 v0, v17 :: v_dual_mov_b32 v1, v24
	v_dual_mov_b32 v2, v25 :: v_dual_mov_b32 v3, v22
	;; [unrolled: 1-line block ×4, first 2 shown]
	s_get_pc_i64 s[0:1]
	s_add_nc_u64 s[0:1], s[0:1], _ZN2at6native6invokeINS0_13BinaryFunctorIN3c1015Float8_e5m2fnuzES4_bNS0_12_GLOBAL__N_116CompareEqFunctorIS4_EEEEi15function_traitsIS8_EEENT1_11result_typeERKT_PrKPcPKT0_PKNS3_10ScalarTypeEi@rel64+4
	s_delay_alu instid0(SALU_CYCLE_1)
	s_swap_pc_i64 s[30:31], s[0:1]
	v_and_b32_e32 v0, 1, v0
	v_and_b32_e32 v2, 0xff, v27
	s_mov_b32 s1, 0
	s_mov_b32 s3, s15
	s_mov_b32 s2, exec_lo
	v_cmp_eq_u32_e32 vcc_lo, 1, v0
	v_mul_lo_u32 v0, v26, v16
	s_delay_alu instid0(VALU_DEP_1) | instskip(NEXT) | instid1(VALU_DEP_1)
	v_ashrrev_i32_e32 v1, 31, v0
	v_add_nc_u64_e32 v[0:1], v[18:19], v[0:1]
	v_cmpx_lt_i16_e32 10, v2
	s_xor_b32 s2, exec_lo, s2
	s_cbranch_execz .LBB251_2045
; %bb.90:
	s_mov_b32 s3, s15
	s_mov_b32 s4, exec_lo
	v_cmpx_lt_i16_e32 25, v2
	s_xor_b32 s4, exec_lo, s4
	s_cbranch_execz .LBB251_126
; %bb.91:
	s_mov_b32 s5, s15
	s_mov_b32 s3, exec_lo
	v_cmpx_lt_i16_e32 28, v2
	s_xor_b32 s3, exec_lo, s3
	s_cbranch_execz .LBB251_109
; %bb.92:
	s_mov_b32 s7, s15
	s_mov_b32 s5, exec_lo
	v_cmpx_lt_i16_e32 43, v2
	s_xor_b32 s5, exec_lo, s5
	s_cbranch_execz .LBB251_104
; %bb.93:
	s_mov_b32 s6, 0
	s_mov_b32 s7, s15
	s_mov_b32 s1, exec_lo
	v_cmpx_lt_i16_e32 45, v2
	s_xor_b32 s1, exec_lo, s1
	s_cbranch_execz .LBB251_97
; %bb.94:
	s_mov_b32 s8, -1
	s_mov_b32 s7, exec_lo
	v_cmpx_eq_u16_e32 46, v2
	s_cbranch_execz .LBB251_96
; %bb.95:
	v_cndmask_b32_e64 v2, 0, 1.0, vcc_lo
	s_mov_b32 s6, exec_lo
	s_xor_b32 s8, exec_lo, -1
	s_delay_alu instid0(VALU_DEP_1) | instskip(NEXT) | instid1(VALU_DEP_1)
	v_bfe_u32 v3, v2, 16, 1
	v_add3_u32 v2, v2, v3, 0x7fff
	s_delay_alu instid0(VALU_DEP_1)
	v_lshrrev_b32_e32 v2, 16, v2
	flat_store_b32 v[0:1], v2
.LBB251_96:
	s_wait_xcnt 0x0
	s_or_b32 exec_lo, exec_lo, s7
	s_delay_alu instid0(SALU_CYCLE_1)
	s_and_not1_b32 s0, s15, exec_lo
	s_and_b32 s7, s8, exec_lo
	s_and_b32 s6, s6, exec_lo
	s_or_b32 s7, s0, s7
                                        ; implicit-def: $vgpr2
                                        ; implicit-def: $vgpr0_vgpr1
.LBB251_97:
	s_and_not1_saveexec_b32 s8, s1
	s_cbranch_execz .LBB251_103
; %bb.98:
	s_mov_b32 s10, -1
	s_mov_b32 s1, s6
	s_mov_b32 s9, exec_lo
	v_cmpx_eq_u16_e32 44, v2
	s_cbranch_execz .LBB251_102
; %bb.99:
	v_cndmask_b32_e64 v4, 0, 1.0, vcc_lo
	s_mov_b32 s10, exec_lo
	s_delay_alu instid0(VALU_DEP_1) | instskip(NEXT) | instid1(VALU_DEP_1)
	v_dual_mov_b32 v3, 0xff :: v_dual_lshrrev_b32 v2, 23, v4
	v_cmpx_ne_u32_e32 0xff, v2
; %bb.100:
	v_and_b32_e32 v3, 0x400000, v4
	v_and_or_b32 v4, 0x3fffff, v4, v2
	s_delay_alu instid0(VALU_DEP_2) | instskip(NEXT) | instid1(VALU_DEP_2)
	v_cmp_ne_u32_e64 s0, 0, v3
	v_cmp_ne_u32_e64 s1, 0, v4
	s_and_b32 s0, s0, s1
	s_delay_alu instid0(SALU_CYCLE_1) | instskip(NEXT) | instid1(VALU_DEP_1)
	v_cndmask_b32_e64 v3, 0, 1, s0
	v_add_nc_u32_e32 v3, v2, v3
; %bb.101:
	s_or_b32 exec_lo, exec_lo, s10
	s_delay_alu instid0(SALU_CYCLE_1)
	s_xor_b32 s10, exec_lo, -1
	s_or_b32 s1, s6, exec_lo
	flat_store_b8 v[0:1], v3
.LBB251_102:
	s_wait_xcnt 0x0
	s_or_b32 exec_lo, exec_lo, s9
	s_delay_alu instid0(SALU_CYCLE_1)
	s_and_not1_b32 s0, s7, exec_lo
	s_and_b32 s7, s10, exec_lo
	s_and_not1_b32 s6, s6, exec_lo
	s_and_b32 s1, s1, exec_lo
	s_or_b32 s7, s0, s7
	s_or_b32 s6, s6, s1
.LBB251_103:
	s_or_b32 exec_lo, exec_lo, s8
	s_delay_alu instid0(SALU_CYCLE_1) | instskip(SKIP_1) | instid1(SALU_CYCLE_1)
	s_and_not1_b32 s0, s15, exec_lo
	s_and_b32 s1, s7, exec_lo
                                        ; implicit-def: $vgpr2
                                        ; implicit-def: $vgpr0_vgpr1
	s_or_b32 s7, s0, s1
	s_and_b32 s1, s6, exec_lo
.LBB251_104:
	s_and_not1_saveexec_b32 s5, s5
	s_cbranch_execz .LBB251_108
; %bb.105:
	s_mov_b32 s9, -1
	s_mov_b32 s6, s1
	s_mov_b32 s8, exec_lo
	v_cmpx_eq_u16_e32 29, v2
	s_cbranch_execz .LBB251_107
; %bb.106:
	s_mov_b32 s0, 0
	v_cndmask_b32_e64 v2, 0, 1, vcc_lo
	v_mov_b32_e32 v3, s0
	s_xor_b32 s9, exec_lo, -1
	s_or_b32 s6, s1, exec_lo
	flat_store_b64 v[0:1], v[2:3]
.LBB251_107:
	s_wait_xcnt 0x0
	s_or_b32 exec_lo, exec_lo, s8
	s_delay_alu instid0(SALU_CYCLE_1)
	s_and_not1_b32 s0, s7, exec_lo
	s_and_b32 s7, s9, exec_lo
	s_and_not1_b32 s1, s1, exec_lo
	s_and_b32 s6, s6, exec_lo
	s_or_b32 s7, s0, s7
	s_or_b32 s1, s1, s6
.LBB251_108:
	s_or_b32 exec_lo, exec_lo, s5
	s_delay_alu instid0(SALU_CYCLE_1)
	s_and_not1_b32 s0, s15, exec_lo
	s_and_b32 s5, s7, exec_lo
	s_and_b32 s1, s1, exec_lo
	s_or_b32 s5, s0, s5
                                        ; implicit-def: $vgpr0_vgpr1
                                        ; implicit-def: $vgpr2
.LBB251_109:
	s_and_not1_saveexec_b32 s3, s3
	s_cbranch_execz .LBB251_125
; %bb.110:
	s_mov_b32 s6, exec_lo
	v_cmpx_lt_i16_e32 26, v2
	s_xor_b32 s6, exec_lo, s6
	s_cbranch_execz .LBB251_116
; %bb.111:
	v_cmp_lt_i16_e64 s0, 27, v2
	s_and_saveexec_b32 s7, s0
	s_delay_alu instid0(SALU_CYCLE_1)
	s_xor_b32 s0, exec_lo, s7
	s_cbranch_execz .LBB251_113
; %bb.112:
	v_cndmask_b32_e64 v2, 0, 1, vcc_lo
	flat_store_b32 v[0:1], v2
                                        ; implicit-def: $vgpr0_vgpr1
.LBB251_113:
	s_wait_xcnt 0x0
	s_and_not1_saveexec_b32 s0, s0
	s_cbranch_execz .LBB251_115
; %bb.114:
	v_cndmask_b32_e64 v2, 0, 1, vcc_lo
	flat_store_b16 v[0:1], v2
.LBB251_115:
	s_wait_xcnt 0x0
	s_or_b32 exec_lo, exec_lo, s0
                                        ; implicit-def: $vgpr0_vgpr1
.LBB251_116:
	s_and_not1_saveexec_b32 s6, s6
	s_cbranch_execz .LBB251_124
; %bb.117:
	v_cndmask_b32_e64 v3, 0, 1.0, vcc_lo
	v_mov_b32_e32 v4, 0x80
	s_mov_b32 s7, exec_lo
	s_delay_alu instid0(VALU_DEP_2)
	v_cmpx_gt_u32_e32 0x43800000, v3
	s_cbranch_execz .LBB251_123
; %bb.118:
	v_cmp_lt_u32_e64 s0, 0x3bffffff, v3
	s_mov_b32 s8, 0
                                        ; implicit-def: $vgpr2
	s_and_saveexec_b32 s9, s0
	s_delay_alu instid0(SALU_CYCLE_1)
	s_xor_b32 s0, exec_lo, s9
	s_cbranch_execz .LBB251_2408
; %bb.119:
	v_bfe_u32 v2, v3, 20, 1
	s_mov_b32 s8, exec_lo
	s_delay_alu instid0(VALU_DEP_1) | instskip(NEXT) | instid1(VALU_DEP_1)
	v_add3_u32 v2, v3, v2, 0x487ffff
                                        ; implicit-def: $vgpr3
	v_lshrrev_b32_e32 v2, 20, v2
	s_and_not1_saveexec_b32 s9, s0
	s_cbranch_execnz .LBB251_2409
.LBB251_120:
	s_or_b32 exec_lo, exec_lo, s9
	v_mov_b32_e32 v4, 0
	s_and_saveexec_b32 s0, s8
.LBB251_121:
	v_mov_b32_e32 v4, v2
.LBB251_122:
	s_or_b32 exec_lo, exec_lo, s0
.LBB251_123:
	s_delay_alu instid0(SALU_CYCLE_1)
	s_or_b32 exec_lo, exec_lo, s7
	flat_store_b8 v[0:1], v4
.LBB251_124:
	s_wait_xcnt 0x0
	s_or_b32 exec_lo, exec_lo, s6
	s_delay_alu instid0(SALU_CYCLE_1)
	s_or_b32 s1, s1, exec_lo
.LBB251_125:
	s_or_b32 exec_lo, exec_lo, s3
	s_delay_alu instid0(SALU_CYCLE_1)
	s_and_not1_b32 s0, s15, exec_lo
	s_and_b32 s3, s5, exec_lo
	s_and_b32 s1, s1, exec_lo
	s_or_b32 s3, s0, s3
                                        ; implicit-def: $vgpr2
                                        ; implicit-def: $vgpr0_vgpr1
.LBB251_126:
	s_and_not1_saveexec_b32 s4, s4
	s_cbranch_execz .LBB251_170
; %bb.127:
	s_mov_b32 s6, s1
	s_mov_b32 s5, exec_lo
	v_cmpx_lt_i16_e32 22, v2
	s_xor_b32 s5, exec_lo, s5
	s_cbranch_execz .LBB251_159
; %bb.128:
	s_mov_b32 s6, exec_lo
	v_cmpx_lt_i16_e32 23, v2
	s_xor_b32 s6, exec_lo, s6
	s_cbranch_execz .LBB251_148
; %bb.129:
	;; [unrolled: 5-line block ×3, first 2 shown]
	v_cndmask_b32_e64 v3, 0, 1.0, vcc_lo
	v_mov_b32_e32 v4, 0x80
	s_mov_b32 s8, exec_lo
	s_delay_alu instid0(VALU_DEP_2)
	v_cmpx_gt_u32_e32 0x47800000, v3
	s_cbranch_execz .LBB251_136
; %bb.131:
	v_cmp_lt_u32_e64 s0, 0x37ffffff, v3
	s_mov_b32 s9, 0
                                        ; implicit-def: $vgpr2
	s_and_saveexec_b32 s10, s0
	s_delay_alu instid0(SALU_CYCLE_1)
	s_xor_b32 s0, exec_lo, s10
	s_cbranch_execz .LBB251_2505
; %bb.132:
	v_bfe_u32 v2, v3, 21, 1
	s_mov_b32 s9, exec_lo
	s_delay_alu instid0(VALU_DEP_1) | instskip(NEXT) | instid1(VALU_DEP_1)
	v_add3_u32 v2, v3, v2, 0x88fffff
                                        ; implicit-def: $vgpr3
	v_lshrrev_b32_e32 v2, 21, v2
	s_and_not1_saveexec_b32 s10, s0
	s_cbranch_execnz .LBB251_2506
.LBB251_133:
	s_or_b32 exec_lo, exec_lo, s10
	v_mov_b32_e32 v4, 0
	s_and_saveexec_b32 s0, s9
.LBB251_134:
	v_mov_b32_e32 v4, v2
.LBB251_135:
	s_or_b32 exec_lo, exec_lo, s0
.LBB251_136:
	s_delay_alu instid0(SALU_CYCLE_1)
	s_or_b32 exec_lo, exec_lo, s8
	flat_store_b8 v[0:1], v4
                                        ; implicit-def: $vgpr0_vgpr1
.LBB251_137:
	s_wait_xcnt 0x0
	s_and_not1_saveexec_b32 s7, s7
	s_cbranch_execz .LBB251_147
; %bb.138:
	v_cndmask_b32_e64 v3, 0, 1.0, vcc_lo
	s_mov_b32 s8, exec_lo
                                        ; implicit-def: $vgpr2
	s_delay_alu instid0(VALU_DEP_1)
	v_cmpx_gt_u32_e32 0x43f00000, v3
	s_xor_b32 s8, exec_lo, s8
	s_cbranch_execz .LBB251_144
; %bb.139:
	s_mov_b32 s9, exec_lo
                                        ; implicit-def: $vgpr2
	v_cmpx_lt_u32_e32 0x3c7fffff, v3
	s_xor_b32 s9, exec_lo, s9
; %bb.140:
	v_bfe_u32 v2, v3, 20, 1
	s_delay_alu instid0(VALU_DEP_1) | instskip(NEXT) | instid1(VALU_DEP_1)
	v_add3_u32 v2, v3, v2, 0x407ffff
	v_and_b32_e32 v3, 0xff00000, v2
	v_lshrrev_b32_e32 v2, 20, v2
	s_delay_alu instid0(VALU_DEP_2) | instskip(NEXT) | instid1(VALU_DEP_1)
	v_cmp_ne_u32_e64 s0, 0x7f00000, v3
                                        ; implicit-def: $vgpr3
	v_cndmask_b32_e64 v2, 0x7e, v2, s0
; %bb.141:
	s_and_not1_saveexec_b32 s0, s9
; %bb.142:
	v_add_f32_e32 v2, 0x46800000, v3
; %bb.143:
	s_or_b32 exec_lo, exec_lo, s0
                                        ; implicit-def: $vgpr3
.LBB251_144:
	s_and_not1_saveexec_b32 s8, s8
; %bb.145:
	v_mov_b32_e32 v2, 0x7f
	v_cmp_lt_u32_e64 s0, 0x7f800000, v3
	s_delay_alu instid0(VALU_DEP_1)
	v_cndmask_b32_e64 v2, 0x7e, v2, s0
; %bb.146:
	s_or_b32 exec_lo, exec_lo, s8
	flat_store_b8 v[0:1], v2
.LBB251_147:
	s_wait_xcnt 0x0
	s_or_b32 exec_lo, exec_lo, s7
                                        ; implicit-def: $vgpr0_vgpr1
.LBB251_148:
	s_and_not1_saveexec_b32 s6, s6
	s_cbranch_execz .LBB251_158
; %bb.149:
	v_cndmask_b32_e64 v3, 0, 1.0, vcc_lo
	s_mov_b32 s7, exec_lo
                                        ; implicit-def: $vgpr2
	s_delay_alu instid0(VALU_DEP_1)
	v_cmpx_gt_u32_e32 0x47800000, v3
	s_xor_b32 s7, exec_lo, s7
	s_cbranch_execz .LBB251_155
; %bb.150:
	v_cmp_lt_u32_e64 s0, 0x387fffff, v3
                                        ; implicit-def: $vgpr2
	s_and_saveexec_b32 s8, s0
	s_delay_alu instid0(SALU_CYCLE_1)
	s_xor_b32 s0, exec_lo, s8
; %bb.151:
	v_bfe_u32 v2, v3, 21, 1
	s_delay_alu instid0(VALU_DEP_1) | instskip(NEXT) | instid1(VALU_DEP_1)
	v_add3_u32 v2, v3, v2, 0x80fffff
                                        ; implicit-def: $vgpr3
	v_lshrrev_b32_e32 v2, 21, v2
; %bb.152:
	s_and_not1_saveexec_b32 s0, s0
; %bb.153:
	v_add_f32_e32 v2, 0x43000000, v3
; %bb.154:
	s_or_b32 exec_lo, exec_lo, s0
                                        ; implicit-def: $vgpr3
.LBB251_155:
	s_and_not1_saveexec_b32 s7, s7
; %bb.156:
	v_mov_b32_e32 v2, 0x7f
	v_cmp_lt_u32_e64 s0, 0x7f800000, v3
	s_delay_alu instid0(VALU_DEP_1)
	v_cndmask_b32_e64 v2, 0x7c, v2, s0
; %bb.157:
	s_or_b32 exec_lo, exec_lo, s7
	flat_store_b8 v[0:1], v2
.LBB251_158:
	s_wait_xcnt 0x0
	s_or_b32 exec_lo, exec_lo, s6
	s_delay_alu instid0(SALU_CYCLE_1)
	s_or_b32 s6, s1, exec_lo
                                        ; implicit-def: $vgpr2
                                        ; implicit-def: $vgpr0_vgpr1
.LBB251_159:
	s_or_saveexec_b32 s5, s5
	s_mov_b32 s0, s3
	s_xor_b32 exec_lo, exec_lo, s5
	s_cbranch_execz .LBB251_169
; %bb.160:
	s_mov_b32 s7, s6
	s_mov_b32 s8, s3
	s_mov_b32 s9, exec_lo
	v_cmpx_lt_i16_e32 14, v2
	s_xor_b32 s9, exec_lo, s9
	s_cbranch_execz .LBB251_164
; %bb.161:
	s_mov_b32 s8, -1
	s_mov_b32 s7, s6
	s_mov_b32 s10, exec_lo
	v_cmpx_eq_u16_e32 15, v2
	s_cbranch_execz .LBB251_163
; %bb.162:
	v_cndmask_b32_e64 v2, 0, 1.0, vcc_lo
	s_xor_b32 s8, exec_lo, -1
	s_or_b32 s7, s6, exec_lo
	s_delay_alu instid0(VALU_DEP_1) | instskip(NEXT) | instid1(VALU_DEP_1)
	v_bfe_u32 v3, v2, 16, 1
	v_add3_u32 v2, v2, v3, 0x7fff
	flat_store_d16_hi_b16 v[0:1], v2
.LBB251_163:
	s_wait_xcnt 0x0
	s_or_b32 exec_lo, exec_lo, s10
	s_delay_alu instid0(SALU_CYCLE_1)
	s_and_not1_b32 s0, s3, exec_lo
	s_and_b32 s8, s8, exec_lo
	s_and_not1_b32 s10, s6, exec_lo
	s_and_b32 s7, s7, exec_lo
	s_or_b32 s8, s0, s8
	s_or_b32 s7, s10, s7
                                        ; implicit-def: $vgpr2
                                        ; implicit-def: $vgpr0_vgpr1
.LBB251_164:
	s_and_not1_saveexec_b32 s9, s9
	s_cbranch_execz .LBB251_168
; %bb.165:
	s_mov_b32 s11, -1
	s_mov_b32 s10, s7
	s_mov_b32 s12, exec_lo
	v_cmpx_eq_u16_e32 11, v2
	s_cbranch_execz .LBB251_167
; %bb.166:
	v_cndmask_b32_e64 v2, 0, 1, vcc_lo
	s_xor_b32 s11, exec_lo, -1
	s_or_b32 s10, s7, exec_lo
	flat_store_b8 v[0:1], v2
.LBB251_167:
	s_wait_xcnt 0x0
	s_or_b32 exec_lo, exec_lo, s12
	s_delay_alu instid0(SALU_CYCLE_1)
	s_and_not1_b32 s0, s8, exec_lo
	s_and_b32 s8, s11, exec_lo
	s_and_not1_b32 s7, s7, exec_lo
	s_and_b32 s10, s10, exec_lo
	s_or_b32 s8, s0, s8
	s_or_b32 s7, s7, s10
.LBB251_168:
	s_or_b32 exec_lo, exec_lo, s9
	s_delay_alu instid0(SALU_CYCLE_1)
	s_and_not1_b32 s0, s3, exec_lo
	s_and_b32 s8, s8, exec_lo
	s_and_not1_b32 s6, s6, exec_lo
	s_and_b32 s7, s7, exec_lo
	s_or_b32 s0, s0, s8
	s_or_b32 s6, s6, s7
.LBB251_169:
	s_or_b32 exec_lo, exec_lo, s5
	s_delay_alu instid0(SALU_CYCLE_1)
	s_and_not1_b32 s3, s3, exec_lo
	s_and_b32 s0, s0, exec_lo
	s_and_not1_b32 s1, s1, exec_lo
	s_and_b32 s5, s6, exec_lo
	s_or_b32 s3, s3, s0
	s_or_b32 s1, s1, s5
.LBB251_170:
	s_or_b32 exec_lo, exec_lo, s4
	s_delay_alu instid0(SALU_CYCLE_1)
	s_and_not1_b32 s0, s15, exec_lo
	s_and_b32 s3, s3, exec_lo
	s_and_b32 s1, s1, exec_lo
	s_or_b32 s3, s0, s3
                                        ; implicit-def: $vgpr2
                                        ; implicit-def: $vgpr0_vgpr1
	s_and_not1_saveexec_b32 s2, s2
	s_cbranch_execnz .LBB251_2046
.LBB251_171:
	s_or_b32 exec_lo, exec_lo, s2
	s_mov_b32 s0, 0
	s_and_saveexec_b32 s2, s1
.LBB251_172:
	v_add_nc_u32_e32 v16, 0x80, v16
	s_mov_b32 s0, exec_lo
.LBB251_173:
	s_or_b32 exec_lo, exec_lo, s2
	s_delay_alu instid0(SALU_CYCLE_1)
	s_and_not1_b32 s1, s15, exec_lo
	s_and_b32 s2, s3, exec_lo
	s_or_not1_b32 s3, s0, exec_lo
	s_or_b32 s20, s1, s2
.LBB251_174:
	s_or_b32 exec_lo, exec_lo, s21
	s_mov_b32 s0, 0
	s_mov_b32 s2, 0
                                        ; implicit-def: $sgpr1
                                        ; implicit-def: $vgpr2
                                        ; implicit-def: $vgpr0_vgpr1
	s_and_saveexec_b32 s21, s3
	s_cbranch_execz .LBB251_346
; %bb.175:
	s_mov_b32 s3, -1
	s_mov_b32 s23, s20
	s_mov_b32 s22, exec_lo
	v_cmpx_gt_i32_e64 s18, v16
	s_cbranch_execz .LBB251_261
; %bb.176:
	s_wait_loadcnt 0x1
	v_dual_mov_b32 v0, v17 :: v_dual_mov_b32 v1, v24
	v_dual_mov_b32 v2, v25 :: v_dual_mov_b32 v3, v22
	;; [unrolled: 1-line block ×4, first 2 shown]
	s_get_pc_i64 s[0:1]
	s_add_nc_u64 s[0:1], s[0:1], _ZN2at6native6invokeINS0_13BinaryFunctorIN3c1015Float8_e5m2fnuzES4_bNS0_12_GLOBAL__N_116CompareEqFunctorIS4_EEEEi15function_traitsIS8_EEENT1_11result_typeERKT_PrKPcPKT0_PKNS3_10ScalarTypeEi@rel64+4
	s_delay_alu instid0(SALU_CYCLE_1)
	s_swap_pc_i64 s[30:31], s[0:1]
	v_and_b32_e32 v0, 1, v0
	v_and_b32_e32 v2, 0xff, v27
	s_mov_b32 s1, 0
	s_mov_b32 s3, s20
	s_mov_b32 s2, exec_lo
	v_cmp_eq_u32_e32 vcc_lo, 1, v0
	v_mul_lo_u32 v0, v26, v16
	s_delay_alu instid0(VALU_DEP_1) | instskip(NEXT) | instid1(VALU_DEP_1)
	v_ashrrev_i32_e32 v1, 31, v0
	v_add_nc_u64_e32 v[0:1], v[18:19], v[0:1]
	v_cmpx_lt_i16_e32 10, v2
	s_xor_b32 s2, exec_lo, s2
	s_cbranch_execz .LBB251_2126
; %bb.177:
	s_mov_b32 s3, s20
	s_mov_b32 s4, exec_lo
	v_cmpx_lt_i16_e32 25, v2
	s_xor_b32 s4, exec_lo, s4
	s_cbranch_execz .LBB251_213
; %bb.178:
	s_mov_b32 s5, s20
	s_mov_b32 s3, exec_lo
	;; [unrolled: 6-line block ×3, first 2 shown]
	v_cmpx_lt_i16_e32 43, v2
	s_xor_b32 s5, exec_lo, s5
	s_cbranch_execz .LBB251_191
; %bb.180:
	s_mov_b32 s6, 0
	s_mov_b32 s7, s20
	s_mov_b32 s1, exec_lo
	v_cmpx_lt_i16_e32 45, v2
	s_xor_b32 s1, exec_lo, s1
	s_cbranch_execz .LBB251_184
; %bb.181:
	s_mov_b32 s8, -1
	s_mov_b32 s7, exec_lo
	v_cmpx_eq_u16_e32 46, v2
	s_cbranch_execz .LBB251_183
; %bb.182:
	v_cndmask_b32_e64 v2, 0, 1.0, vcc_lo
	s_mov_b32 s6, exec_lo
	s_xor_b32 s8, exec_lo, -1
	s_delay_alu instid0(VALU_DEP_1) | instskip(NEXT) | instid1(VALU_DEP_1)
	v_bfe_u32 v3, v2, 16, 1
	v_add3_u32 v2, v2, v3, 0x7fff
	s_delay_alu instid0(VALU_DEP_1)
	v_lshrrev_b32_e32 v2, 16, v2
	flat_store_b32 v[0:1], v2
.LBB251_183:
	s_wait_xcnt 0x0
	s_or_b32 exec_lo, exec_lo, s7
	s_delay_alu instid0(SALU_CYCLE_1)
	s_and_not1_b32 s0, s20, exec_lo
	s_and_b32 s7, s8, exec_lo
	s_and_b32 s6, s6, exec_lo
	s_or_b32 s7, s0, s7
                                        ; implicit-def: $vgpr2
                                        ; implicit-def: $vgpr0_vgpr1
.LBB251_184:
	s_and_not1_saveexec_b32 s8, s1
	s_cbranch_execz .LBB251_190
; %bb.185:
	s_mov_b32 s10, -1
	s_mov_b32 s1, s6
	s_mov_b32 s9, exec_lo
	v_cmpx_eq_u16_e32 44, v2
	s_cbranch_execz .LBB251_189
; %bb.186:
	v_cndmask_b32_e64 v4, 0, 1.0, vcc_lo
	s_mov_b32 s10, exec_lo
	s_delay_alu instid0(VALU_DEP_1) | instskip(NEXT) | instid1(VALU_DEP_1)
	v_dual_mov_b32 v3, 0xff :: v_dual_lshrrev_b32 v2, 23, v4
	v_cmpx_ne_u32_e32 0xff, v2
; %bb.187:
	v_and_b32_e32 v3, 0x400000, v4
	v_and_or_b32 v4, 0x3fffff, v4, v2
	s_delay_alu instid0(VALU_DEP_2) | instskip(NEXT) | instid1(VALU_DEP_2)
	v_cmp_ne_u32_e64 s0, 0, v3
	v_cmp_ne_u32_e64 s1, 0, v4
	s_and_b32 s0, s0, s1
	s_delay_alu instid0(SALU_CYCLE_1) | instskip(NEXT) | instid1(VALU_DEP_1)
	v_cndmask_b32_e64 v3, 0, 1, s0
	v_add_nc_u32_e32 v3, v2, v3
; %bb.188:
	s_or_b32 exec_lo, exec_lo, s10
	s_delay_alu instid0(SALU_CYCLE_1)
	s_xor_b32 s10, exec_lo, -1
	s_or_b32 s1, s6, exec_lo
	flat_store_b8 v[0:1], v3
.LBB251_189:
	s_wait_xcnt 0x0
	s_or_b32 exec_lo, exec_lo, s9
	s_delay_alu instid0(SALU_CYCLE_1)
	s_and_not1_b32 s0, s7, exec_lo
	s_and_b32 s7, s10, exec_lo
	s_and_not1_b32 s6, s6, exec_lo
	s_and_b32 s1, s1, exec_lo
	s_or_b32 s7, s0, s7
	s_or_b32 s6, s6, s1
.LBB251_190:
	s_or_b32 exec_lo, exec_lo, s8
	s_delay_alu instid0(SALU_CYCLE_1) | instskip(SKIP_1) | instid1(SALU_CYCLE_1)
	s_and_not1_b32 s0, s20, exec_lo
	s_and_b32 s1, s7, exec_lo
                                        ; implicit-def: $vgpr2
                                        ; implicit-def: $vgpr0_vgpr1
	s_or_b32 s7, s0, s1
	s_and_b32 s1, s6, exec_lo
.LBB251_191:
	s_and_not1_saveexec_b32 s5, s5
	s_cbranch_execz .LBB251_195
; %bb.192:
	s_mov_b32 s9, -1
	s_mov_b32 s6, s1
	s_mov_b32 s8, exec_lo
	v_cmpx_eq_u16_e32 29, v2
	s_cbranch_execz .LBB251_194
; %bb.193:
	s_mov_b32 s0, 0
	v_cndmask_b32_e64 v2, 0, 1, vcc_lo
	v_mov_b32_e32 v3, s0
	s_xor_b32 s9, exec_lo, -1
	s_or_b32 s6, s1, exec_lo
	flat_store_b64 v[0:1], v[2:3]
.LBB251_194:
	s_wait_xcnt 0x0
	s_or_b32 exec_lo, exec_lo, s8
	s_delay_alu instid0(SALU_CYCLE_1)
	s_and_not1_b32 s0, s7, exec_lo
	s_and_b32 s7, s9, exec_lo
	s_and_not1_b32 s1, s1, exec_lo
	s_and_b32 s6, s6, exec_lo
	s_or_b32 s7, s0, s7
	s_or_b32 s1, s1, s6
.LBB251_195:
	s_or_b32 exec_lo, exec_lo, s5
	s_delay_alu instid0(SALU_CYCLE_1)
	s_and_not1_b32 s0, s20, exec_lo
	s_and_b32 s5, s7, exec_lo
	s_and_b32 s1, s1, exec_lo
	s_or_b32 s5, s0, s5
                                        ; implicit-def: $vgpr0_vgpr1
                                        ; implicit-def: $vgpr2
.LBB251_196:
	s_and_not1_saveexec_b32 s3, s3
	s_cbranch_execz .LBB251_212
; %bb.197:
	s_mov_b32 s6, exec_lo
	v_cmpx_lt_i16_e32 26, v2
	s_xor_b32 s6, exec_lo, s6
	s_cbranch_execz .LBB251_203
; %bb.198:
	v_cmp_lt_i16_e64 s0, 27, v2
	s_and_saveexec_b32 s7, s0
	s_delay_alu instid0(SALU_CYCLE_1)
	s_xor_b32 s0, exec_lo, s7
	s_cbranch_execz .LBB251_200
; %bb.199:
	v_cndmask_b32_e64 v2, 0, 1, vcc_lo
	flat_store_b32 v[0:1], v2
                                        ; implicit-def: $vgpr0_vgpr1
.LBB251_200:
	s_wait_xcnt 0x0
	s_and_not1_saveexec_b32 s0, s0
	s_cbranch_execz .LBB251_202
; %bb.201:
	v_cndmask_b32_e64 v2, 0, 1, vcc_lo
	flat_store_b16 v[0:1], v2
.LBB251_202:
	s_wait_xcnt 0x0
	s_or_b32 exec_lo, exec_lo, s0
                                        ; implicit-def: $vgpr0_vgpr1
.LBB251_203:
	s_and_not1_saveexec_b32 s6, s6
	s_cbranch_execz .LBB251_211
; %bb.204:
	v_cndmask_b32_e64 v3, 0, 1.0, vcc_lo
	v_mov_b32_e32 v4, 0x80
	s_mov_b32 s7, exec_lo
	s_delay_alu instid0(VALU_DEP_2)
	v_cmpx_gt_u32_e32 0x43800000, v3
	s_cbranch_execz .LBB251_210
; %bb.205:
	v_cmp_lt_u32_e64 s0, 0x3bffffff, v3
	s_mov_b32 s8, 0
                                        ; implicit-def: $vgpr2
	s_and_saveexec_b32 s9, s0
	s_delay_alu instid0(SALU_CYCLE_1)
	s_xor_b32 s0, exec_lo, s9
	s_cbranch_execz .LBB251_2507
; %bb.206:
	v_bfe_u32 v2, v3, 20, 1
	s_mov_b32 s8, exec_lo
	s_delay_alu instid0(VALU_DEP_1) | instskip(NEXT) | instid1(VALU_DEP_1)
	v_add3_u32 v2, v3, v2, 0x487ffff
                                        ; implicit-def: $vgpr3
	v_lshrrev_b32_e32 v2, 20, v2
	s_and_not1_saveexec_b32 s9, s0
	s_cbranch_execnz .LBB251_2508
.LBB251_207:
	s_or_b32 exec_lo, exec_lo, s9
	v_mov_b32_e32 v4, 0
	s_and_saveexec_b32 s0, s8
.LBB251_208:
	v_mov_b32_e32 v4, v2
.LBB251_209:
	s_or_b32 exec_lo, exec_lo, s0
.LBB251_210:
	s_delay_alu instid0(SALU_CYCLE_1)
	s_or_b32 exec_lo, exec_lo, s7
	flat_store_b8 v[0:1], v4
.LBB251_211:
	s_wait_xcnt 0x0
	s_or_b32 exec_lo, exec_lo, s6
	s_delay_alu instid0(SALU_CYCLE_1)
	s_or_b32 s1, s1, exec_lo
.LBB251_212:
	s_or_b32 exec_lo, exec_lo, s3
	s_delay_alu instid0(SALU_CYCLE_1)
	s_and_not1_b32 s0, s20, exec_lo
	s_and_b32 s3, s5, exec_lo
	s_and_b32 s1, s1, exec_lo
	s_or_b32 s3, s0, s3
                                        ; implicit-def: $vgpr2
                                        ; implicit-def: $vgpr0_vgpr1
.LBB251_213:
	s_and_not1_saveexec_b32 s4, s4
	s_cbranch_execz .LBB251_257
; %bb.214:
	s_mov_b32 s6, s1
	s_mov_b32 s5, exec_lo
	v_cmpx_lt_i16_e32 22, v2
	s_xor_b32 s5, exec_lo, s5
	s_cbranch_execz .LBB251_246
; %bb.215:
	s_mov_b32 s6, exec_lo
	v_cmpx_lt_i16_e32 23, v2
	s_xor_b32 s6, exec_lo, s6
	s_cbranch_execz .LBB251_235
; %bb.216:
	s_mov_b32 s7, exec_lo
	v_cmpx_lt_i16_e32 24, v2
	s_xor_b32 s7, exec_lo, s7
	s_cbranch_execz .LBB251_224
; %bb.217:
	v_cndmask_b32_e64 v3, 0, 1.0, vcc_lo
	v_mov_b32_e32 v4, 0x80
	s_mov_b32 s8, exec_lo
	s_delay_alu instid0(VALU_DEP_2)
	v_cmpx_gt_u32_e32 0x47800000, v3
	s_cbranch_execz .LBB251_223
; %bb.218:
	v_cmp_lt_u32_e64 s0, 0x37ffffff, v3
	s_mov_b32 s9, 0
                                        ; implicit-def: $vgpr2
	s_and_saveexec_b32 s10, s0
	s_delay_alu instid0(SALU_CYCLE_1)
	s_xor_b32 s0, exec_lo, s10
	s_cbranch_execz .LBB251_2596
; %bb.219:
	v_bfe_u32 v2, v3, 21, 1
	s_mov_b32 s9, exec_lo
	s_delay_alu instid0(VALU_DEP_1) | instskip(NEXT) | instid1(VALU_DEP_1)
	v_add3_u32 v2, v3, v2, 0x88fffff
                                        ; implicit-def: $vgpr3
	v_lshrrev_b32_e32 v2, 21, v2
	s_and_not1_saveexec_b32 s10, s0
	s_cbranch_execnz .LBB251_2597
.LBB251_220:
	s_or_b32 exec_lo, exec_lo, s10
	v_mov_b32_e32 v4, 0
	s_and_saveexec_b32 s0, s9
.LBB251_221:
	v_mov_b32_e32 v4, v2
.LBB251_222:
	s_or_b32 exec_lo, exec_lo, s0
.LBB251_223:
	s_delay_alu instid0(SALU_CYCLE_1)
	s_or_b32 exec_lo, exec_lo, s8
	flat_store_b8 v[0:1], v4
                                        ; implicit-def: $vgpr0_vgpr1
.LBB251_224:
	s_wait_xcnt 0x0
	s_and_not1_saveexec_b32 s7, s7
	s_cbranch_execz .LBB251_234
; %bb.225:
	v_cndmask_b32_e64 v3, 0, 1.0, vcc_lo
	s_mov_b32 s8, exec_lo
                                        ; implicit-def: $vgpr2
	s_delay_alu instid0(VALU_DEP_1)
	v_cmpx_gt_u32_e32 0x43f00000, v3
	s_xor_b32 s8, exec_lo, s8
	s_cbranch_execz .LBB251_231
; %bb.226:
	s_mov_b32 s9, exec_lo
                                        ; implicit-def: $vgpr2
	v_cmpx_lt_u32_e32 0x3c7fffff, v3
	s_xor_b32 s9, exec_lo, s9
; %bb.227:
	v_bfe_u32 v2, v3, 20, 1
	s_delay_alu instid0(VALU_DEP_1) | instskip(NEXT) | instid1(VALU_DEP_1)
	v_add3_u32 v2, v3, v2, 0x407ffff
	v_and_b32_e32 v3, 0xff00000, v2
	v_lshrrev_b32_e32 v2, 20, v2
	s_delay_alu instid0(VALU_DEP_2) | instskip(NEXT) | instid1(VALU_DEP_1)
	v_cmp_ne_u32_e64 s0, 0x7f00000, v3
                                        ; implicit-def: $vgpr3
	v_cndmask_b32_e64 v2, 0x7e, v2, s0
; %bb.228:
	s_and_not1_saveexec_b32 s0, s9
; %bb.229:
	v_add_f32_e32 v2, 0x46800000, v3
; %bb.230:
	s_or_b32 exec_lo, exec_lo, s0
                                        ; implicit-def: $vgpr3
.LBB251_231:
	s_and_not1_saveexec_b32 s8, s8
; %bb.232:
	v_mov_b32_e32 v2, 0x7f
	v_cmp_lt_u32_e64 s0, 0x7f800000, v3
	s_delay_alu instid0(VALU_DEP_1)
	v_cndmask_b32_e64 v2, 0x7e, v2, s0
; %bb.233:
	s_or_b32 exec_lo, exec_lo, s8
	flat_store_b8 v[0:1], v2
.LBB251_234:
	s_wait_xcnt 0x0
	s_or_b32 exec_lo, exec_lo, s7
                                        ; implicit-def: $vgpr0_vgpr1
.LBB251_235:
	s_and_not1_saveexec_b32 s6, s6
	s_cbranch_execz .LBB251_245
; %bb.236:
	v_cndmask_b32_e64 v3, 0, 1.0, vcc_lo
	s_mov_b32 s7, exec_lo
                                        ; implicit-def: $vgpr2
	s_delay_alu instid0(VALU_DEP_1)
	v_cmpx_gt_u32_e32 0x47800000, v3
	s_xor_b32 s7, exec_lo, s7
	s_cbranch_execz .LBB251_242
; %bb.237:
	v_cmp_lt_u32_e64 s0, 0x387fffff, v3
                                        ; implicit-def: $vgpr2
	s_and_saveexec_b32 s8, s0
	s_delay_alu instid0(SALU_CYCLE_1)
	s_xor_b32 s0, exec_lo, s8
; %bb.238:
	v_bfe_u32 v2, v3, 21, 1
	s_delay_alu instid0(VALU_DEP_1) | instskip(NEXT) | instid1(VALU_DEP_1)
	v_add3_u32 v2, v3, v2, 0x80fffff
                                        ; implicit-def: $vgpr3
	v_lshrrev_b32_e32 v2, 21, v2
; %bb.239:
	s_and_not1_saveexec_b32 s0, s0
; %bb.240:
	v_add_f32_e32 v2, 0x43000000, v3
; %bb.241:
	s_or_b32 exec_lo, exec_lo, s0
                                        ; implicit-def: $vgpr3
.LBB251_242:
	s_and_not1_saveexec_b32 s7, s7
; %bb.243:
	v_mov_b32_e32 v2, 0x7f
	v_cmp_lt_u32_e64 s0, 0x7f800000, v3
	s_delay_alu instid0(VALU_DEP_1)
	v_cndmask_b32_e64 v2, 0x7c, v2, s0
; %bb.244:
	s_or_b32 exec_lo, exec_lo, s7
	flat_store_b8 v[0:1], v2
.LBB251_245:
	s_wait_xcnt 0x0
	s_or_b32 exec_lo, exec_lo, s6
	s_delay_alu instid0(SALU_CYCLE_1)
	s_or_b32 s6, s1, exec_lo
                                        ; implicit-def: $vgpr2
                                        ; implicit-def: $vgpr0_vgpr1
.LBB251_246:
	s_or_saveexec_b32 s5, s5
	s_mov_b32 s0, s3
	s_xor_b32 exec_lo, exec_lo, s5
	s_cbranch_execz .LBB251_256
; %bb.247:
	s_mov_b32 s7, s6
	s_mov_b32 s8, s3
	s_mov_b32 s9, exec_lo
	v_cmpx_lt_i16_e32 14, v2
	s_xor_b32 s9, exec_lo, s9
	s_cbranch_execz .LBB251_251
; %bb.248:
	s_mov_b32 s8, -1
	s_mov_b32 s7, s6
	s_mov_b32 s10, exec_lo
	v_cmpx_eq_u16_e32 15, v2
	s_cbranch_execz .LBB251_250
; %bb.249:
	v_cndmask_b32_e64 v2, 0, 1.0, vcc_lo
	s_xor_b32 s8, exec_lo, -1
	s_or_b32 s7, s6, exec_lo
	s_delay_alu instid0(VALU_DEP_1) | instskip(NEXT) | instid1(VALU_DEP_1)
	v_bfe_u32 v3, v2, 16, 1
	v_add3_u32 v2, v2, v3, 0x7fff
	flat_store_d16_hi_b16 v[0:1], v2
.LBB251_250:
	s_wait_xcnt 0x0
	s_or_b32 exec_lo, exec_lo, s10
	s_delay_alu instid0(SALU_CYCLE_1)
	s_and_not1_b32 s0, s3, exec_lo
	s_and_b32 s8, s8, exec_lo
	s_and_not1_b32 s10, s6, exec_lo
	s_and_b32 s7, s7, exec_lo
	s_or_b32 s8, s0, s8
	s_or_b32 s7, s10, s7
                                        ; implicit-def: $vgpr2
                                        ; implicit-def: $vgpr0_vgpr1
.LBB251_251:
	s_and_not1_saveexec_b32 s9, s9
	s_cbranch_execz .LBB251_255
; %bb.252:
	s_mov_b32 s11, -1
	s_mov_b32 s10, s7
	s_mov_b32 s12, exec_lo
	v_cmpx_eq_u16_e32 11, v2
	s_cbranch_execz .LBB251_254
; %bb.253:
	v_cndmask_b32_e64 v2, 0, 1, vcc_lo
	s_xor_b32 s11, exec_lo, -1
	s_or_b32 s10, s7, exec_lo
	flat_store_b8 v[0:1], v2
.LBB251_254:
	s_wait_xcnt 0x0
	s_or_b32 exec_lo, exec_lo, s12
	s_delay_alu instid0(SALU_CYCLE_1)
	s_and_not1_b32 s0, s8, exec_lo
	s_and_b32 s8, s11, exec_lo
	s_and_not1_b32 s7, s7, exec_lo
	s_and_b32 s10, s10, exec_lo
	s_or_b32 s8, s0, s8
	s_or_b32 s7, s7, s10
.LBB251_255:
	s_or_b32 exec_lo, exec_lo, s9
	s_delay_alu instid0(SALU_CYCLE_1)
	s_and_not1_b32 s0, s3, exec_lo
	s_and_b32 s8, s8, exec_lo
	s_and_not1_b32 s6, s6, exec_lo
	s_and_b32 s7, s7, exec_lo
	s_or_b32 s0, s0, s8
	s_or_b32 s6, s6, s7
.LBB251_256:
	s_or_b32 exec_lo, exec_lo, s5
	s_delay_alu instid0(SALU_CYCLE_1)
	s_and_not1_b32 s3, s3, exec_lo
	s_and_b32 s0, s0, exec_lo
	s_and_not1_b32 s1, s1, exec_lo
	s_and_b32 s5, s6, exec_lo
	s_or_b32 s3, s3, s0
	s_or_b32 s1, s1, s5
.LBB251_257:
	s_or_b32 exec_lo, exec_lo, s4
	s_delay_alu instid0(SALU_CYCLE_1)
	s_and_not1_b32 s0, s20, exec_lo
	s_and_b32 s3, s3, exec_lo
	s_and_b32 s1, s1, exec_lo
	s_or_b32 s3, s0, s3
                                        ; implicit-def: $vgpr2
                                        ; implicit-def: $vgpr0_vgpr1
	s_and_not1_saveexec_b32 s2, s2
	s_cbranch_execnz .LBB251_2127
.LBB251_258:
	s_or_b32 exec_lo, exec_lo, s2
	s_mov_b32 s0, 0
	s_and_saveexec_b32 s2, s1
.LBB251_259:
	v_add_nc_u32_e32 v16, 0x80, v16
	s_mov_b32 s0, exec_lo
.LBB251_260:
	s_or_b32 exec_lo, exec_lo, s2
	s_delay_alu instid0(SALU_CYCLE_1)
	s_and_not1_b32 s1, s20, exec_lo
	s_and_b32 s2, s3, exec_lo
	s_or_not1_b32 s3, s0, exec_lo
	s_or_b32 s23, s1, s2
.LBB251_261:
	s_or_b32 exec_lo, exec_lo, s22
	s_mov_b32 s0, 0
	s_mov_b32 s2, 0
                                        ; implicit-def: $sgpr1
                                        ; implicit-def: $vgpr2
                                        ; implicit-def: $vgpr0_vgpr1
	s_and_saveexec_b32 s22, s3
	s_cbranch_execz .LBB251_345
; %bb.262:
	v_cmp_gt_i32_e32 vcc_lo, s18, v16
	s_mov_b32 s3, s23
                                        ; implicit-def: $sgpr1
                                        ; implicit-def: $vgpr2
                                        ; implicit-def: $vgpr0_vgpr1
	s_and_saveexec_b32 s18, vcc_lo
	s_cbranch_execz .LBB251_344
; %bb.263:
	s_wait_loadcnt 0x1
	v_dual_mov_b32 v0, v17 :: v_dual_mov_b32 v1, v24
	v_dual_mov_b32 v2, v25 :: v_dual_mov_b32 v3, v22
	;; [unrolled: 1-line block ×4, first 2 shown]
	s_get_pc_i64 s[0:1]
	s_add_nc_u64 s[0:1], s[0:1], _ZN2at6native6invokeINS0_13BinaryFunctorIN3c1015Float8_e5m2fnuzES4_bNS0_12_GLOBAL__N_116CompareEqFunctorIS4_EEEEi15function_traitsIS8_EEENT1_11result_typeERKT_PrKPcPKT0_PKNS3_10ScalarTypeEi@rel64+4
	s_delay_alu instid0(SALU_CYCLE_1)
	s_swap_pc_i64 s[30:31], s[0:1]
	v_and_b32_e32 v0, 1, v0
	v_and_b32_e32 v2, 0xff, v27
	s_mov_b32 s0, 0
	s_mov_b32 s3, -1
	s_mov_b32 s4, s23
	v_cmp_eq_u32_e64 s1, 1, v0
	v_mul_lo_u32 v0, v26, v16
	s_mov_b32 s2, exec_lo
	s_delay_alu instid0(VALU_DEP_1) | instskip(NEXT) | instid1(VALU_DEP_1)
	v_ashrrev_i32_e32 v1, 31, v0
	v_add_nc_u64_e32 v[0:1], v[18:19], v[0:1]
	v_cmpx_lt_i16_e32 10, v2
	s_cbranch_execz .LBB251_343
; %bb.264:
	s_mov_b32 s0, s23
	s_mov_b32 s3, exec_lo
	v_cmpx_lt_i16_e32 25, v2
	s_xor_b32 s3, exec_lo, s3
	s_cbranch_execz .LBB251_300
; %bb.265:
	s_mov_b32 s0, s23
	s_mov_b32 s4, exec_lo
	v_cmpx_lt_i16_e32 28, v2
	s_xor_b32 s4, exec_lo, s4
	;; [unrolled: 6-line block ×4, first 2 shown]
	s_cbranch_execz .LBB251_271
; %bb.268:
	s_mov_b32 s7, -1
	s_mov_b32 s6, exec_lo
	v_cmpx_eq_u16_e32 46, v2
	s_cbranch_execz .LBB251_270
; %bb.269:
	v_cndmask_b32_e64 v3, 0, 1.0, s1
	s_xor_b32 s7, exec_lo, -1
	s_delay_alu instid0(VALU_DEP_1) | instskip(NEXT) | instid1(VALU_DEP_1)
	v_bfe_u32 v4, v3, 16, 1
	v_add3_u32 v3, v3, v4, 0x7fff
	s_delay_alu instid0(VALU_DEP_1)
	v_lshrrev_b32_e32 v3, 16, v3
	flat_store_b32 v[0:1], v3
.LBB251_270:
	s_wait_xcnt 0x0
	s_or_b32 exec_lo, exec_lo, s6
	s_delay_alu instid0(SALU_CYCLE_1) | instskip(SKIP_1) | instid1(SALU_CYCLE_1)
	s_and_not1_b32 s6, s23, exec_lo
	s_and_b32 s7, s7, exec_lo
	s_or_b32 s6, s6, s7
.LBB251_271:
	s_and_not1_saveexec_b32 s7, s0
	s_cbranch_execz .LBB251_277
; %bb.272:
	s_mov_b32 s0, -1
	s_mov_b32 s8, exec_lo
	v_cmpx_eq_u16_e32 44, v2
	s_cbranch_execz .LBB251_276
; %bb.273:
	v_cndmask_b32_e64 v5, 0, 1.0, s1
	s_mov_b32 s9, exec_lo
	s_delay_alu instid0(VALU_DEP_1) | instskip(NEXT) | instid1(VALU_DEP_1)
	v_dual_mov_b32 v4, 0xff :: v_dual_lshrrev_b32 v3, 23, v5
	v_cmpx_ne_u32_e32 0xff, v3
; %bb.274:
	v_and_b32_e32 v4, 0x400000, v5
	v_and_or_b32 v5, 0x3fffff, v5, v3
	s_delay_alu instid0(VALU_DEP_2) | instskip(NEXT) | instid1(VALU_DEP_2)
	v_cmp_ne_u32_e32 vcc_lo, 0, v4
	v_cmp_ne_u32_e64 s0, 0, v5
	s_and_b32 s0, vcc_lo, s0
	s_delay_alu instid0(SALU_CYCLE_1) | instskip(NEXT) | instid1(VALU_DEP_1)
	v_cndmask_b32_e64 v4, 0, 1, s0
	v_add_nc_u32_e32 v4, v3, v4
; %bb.275:
	s_or_b32 exec_lo, exec_lo, s9
	s_delay_alu instid0(SALU_CYCLE_1)
	s_xor_b32 s0, exec_lo, -1
	flat_store_b8 v[0:1], v4
.LBB251_276:
	s_wait_xcnt 0x0
	s_or_b32 exec_lo, exec_lo, s8
	s_delay_alu instid0(SALU_CYCLE_1) | instskip(SKIP_1) | instid1(SALU_CYCLE_1)
	s_and_not1_b32 s6, s6, exec_lo
	s_and_b32 s0, s0, exec_lo
	s_or_b32 s6, s6, s0
.LBB251_277:
	s_or_b32 exec_lo, exec_lo, s7
	s_delay_alu instid0(SALU_CYCLE_1) | instskip(SKIP_1) | instid1(SALU_CYCLE_1)
	s_and_not1_b32 s0, s23, exec_lo
	s_and_b32 s6, s6, exec_lo
	s_or_b32 s0, s0, s6
.LBB251_278:
	s_and_not1_saveexec_b32 s5, s5
	s_cbranch_execz .LBB251_282
; %bb.279:
	s_mov_b32 s7, -1
	s_mov_b32 s6, exec_lo
	v_cmpx_eq_u16_e32 29, v2
	s_cbranch_execz .LBB251_281
; %bb.280:
	s_mov_b32 s7, 0
	v_cndmask_b32_e64 v4, 0, 1, s1
	v_mov_b32_e32 v5, s7
	s_xor_b32 s7, exec_lo, -1
	flat_store_b64 v[0:1], v[4:5]
.LBB251_281:
	s_wait_xcnt 0x0
	s_or_b32 exec_lo, exec_lo, s6
	s_delay_alu instid0(SALU_CYCLE_1) | instskip(SKIP_1) | instid1(SALU_CYCLE_1)
	s_and_not1_b32 s0, s0, exec_lo
	s_and_b32 s6, s7, exec_lo
	s_or_b32 s0, s0, s6
.LBB251_282:
	s_or_b32 exec_lo, exec_lo, s5
	s_delay_alu instid0(SALU_CYCLE_1) | instskip(SKIP_1) | instid1(SALU_CYCLE_1)
	s_and_not1_b32 s5, s23, exec_lo
	s_and_b32 s0, s0, exec_lo
	s_or_b32 s0, s5, s0
.LBB251_283:
	s_and_not1_saveexec_b32 s4, s4
	s_cbranch_execz .LBB251_299
; %bb.284:
	s_mov_b32 s5, exec_lo
	v_cmpx_lt_i16_e32 26, v2
	s_xor_b32 s5, exec_lo, s5
	s_cbranch_execz .LBB251_290
; %bb.285:
	v_cndmask_b32_e64 v3, 0, 1, s1
	s_mov_b32 s6, exec_lo
	v_cmpx_lt_i16_e32 27, v2
	s_xor_b32 s6, exec_lo, s6
	s_cbranch_execz .LBB251_287
; %bb.286:
	flat_store_b32 v[0:1], v3
                                        ; implicit-def: $vgpr3
.LBB251_287:
	s_wait_xcnt 0x0
	s_and_not1_saveexec_b32 s6, s6
	s_cbranch_execz .LBB251_289
; %bb.288:
	flat_store_b16 v[0:1], v3
.LBB251_289:
	s_wait_xcnt 0x0
	s_or_b32 exec_lo, exec_lo, s6
.LBB251_290:
	s_and_not1_saveexec_b32 s5, s5
	s_cbranch_execz .LBB251_298
; %bb.291:
	v_cndmask_b32_e64 v4, 0, 1.0, s1
	v_mov_b32_e32 v5, 0x80
	s_mov_b32 s6, exec_lo
	s_delay_alu instid0(VALU_DEP_2)
	v_cmpx_gt_u32_e32 0x43800000, v4
	s_cbranch_execz .LBB251_297
; %bb.292:
	s_mov_b32 s7, 0
	s_mov_b32 s8, exec_lo
                                        ; implicit-def: $vgpr3
	v_cmpx_lt_u32_e32 0x3bffffff, v4
	s_xor_b32 s8, exec_lo, s8
	s_cbranch_execz .LBB251_2598
; %bb.293:
	v_bfe_u32 v3, v4, 20, 1
	s_mov_b32 s7, exec_lo
	s_delay_alu instid0(VALU_DEP_1) | instskip(NEXT) | instid1(VALU_DEP_1)
	v_add3_u32 v3, v4, v3, 0x487ffff
                                        ; implicit-def: $vgpr4
	v_lshrrev_b32_e32 v3, 20, v3
	s_and_not1_saveexec_b32 s8, s8
	s_cbranch_execnz .LBB251_2599
.LBB251_294:
	s_or_b32 exec_lo, exec_lo, s8
	v_mov_b32_e32 v5, 0
	s_and_saveexec_b32 s8, s7
.LBB251_295:
	v_mov_b32_e32 v5, v3
.LBB251_296:
	s_or_b32 exec_lo, exec_lo, s8
.LBB251_297:
	s_delay_alu instid0(SALU_CYCLE_1)
	s_or_b32 exec_lo, exec_lo, s6
	flat_store_b8 v[0:1], v5
.LBB251_298:
	s_wait_xcnt 0x0
	s_or_b32 exec_lo, exec_lo, s5
.LBB251_299:
	s_delay_alu instid0(SALU_CYCLE_1) | instskip(NEXT) | instid1(SALU_CYCLE_1)
	s_or_b32 exec_lo, exec_lo, s4
	s_and_not1_b32 s4, s23, exec_lo
	s_and_b32 s0, s0, exec_lo
	s_delay_alu instid0(SALU_CYCLE_1)
	s_or_b32 s0, s4, s0
.LBB251_300:
	s_or_saveexec_b32 s3, s3
	s_mov_b32 s4, 0
	s_xor_b32 exec_lo, exec_lo, s3
	s_cbranch_execz .LBB251_342
; %bb.301:
	s_mov_b32 s4, exec_lo
	v_cmpx_lt_i16_e32 22, v2
	s_xor_b32 s4, exec_lo, s4
	s_cbranch_execz .LBB251_333
; %bb.302:
	s_mov_b32 s5, exec_lo
	v_cmpx_lt_i16_e32 23, v2
	s_xor_b32 s5, exec_lo, s5
	;; [unrolled: 5-line block ×3, first 2 shown]
	s_cbranch_execz .LBB251_311
; %bb.304:
	v_cndmask_b32_e64 v4, 0, 1.0, s1
	v_mov_b32_e32 v5, 0x80
	s_mov_b32 s7, exec_lo
	s_delay_alu instid0(VALU_DEP_2)
	v_cmpx_gt_u32_e32 0x47800000, v4
	s_cbranch_execz .LBB251_310
; %bb.305:
	s_mov_b32 s8, 0
	s_mov_b32 s9, exec_lo
                                        ; implicit-def: $vgpr3
	v_cmpx_lt_u32_e32 0x37ffffff, v4
	s_xor_b32 s9, exec_lo, s9
	s_cbranch_execz .LBB251_2685
; %bb.306:
	v_bfe_u32 v3, v4, 21, 1
	s_mov_b32 s8, exec_lo
	s_delay_alu instid0(VALU_DEP_1) | instskip(NEXT) | instid1(VALU_DEP_1)
	v_add3_u32 v3, v4, v3, 0x88fffff
                                        ; implicit-def: $vgpr4
	v_lshrrev_b32_e32 v3, 21, v3
	s_and_not1_saveexec_b32 s9, s9
	s_cbranch_execnz .LBB251_2686
.LBB251_307:
	s_or_b32 exec_lo, exec_lo, s9
	v_mov_b32_e32 v5, 0
	s_and_saveexec_b32 s9, s8
.LBB251_308:
	v_mov_b32_e32 v5, v3
.LBB251_309:
	s_or_b32 exec_lo, exec_lo, s9
.LBB251_310:
	s_delay_alu instid0(SALU_CYCLE_1)
	s_or_b32 exec_lo, exec_lo, s7
	flat_store_b8 v[0:1], v5
.LBB251_311:
	s_wait_xcnt 0x0
	s_and_not1_saveexec_b32 s6, s6
	s_cbranch_execz .LBB251_321
; %bb.312:
	v_cndmask_b32_e64 v4, 0, 1.0, s1
	s_mov_b32 s7, exec_lo
                                        ; implicit-def: $vgpr3
	s_delay_alu instid0(VALU_DEP_1)
	v_cmpx_gt_u32_e32 0x43f00000, v4
	s_xor_b32 s7, exec_lo, s7
	s_cbranch_execz .LBB251_318
; %bb.313:
	s_mov_b32 s8, exec_lo
                                        ; implicit-def: $vgpr3
	v_cmpx_lt_u32_e32 0x3c7fffff, v4
	s_xor_b32 s8, exec_lo, s8
; %bb.314:
	v_bfe_u32 v3, v4, 20, 1
	s_delay_alu instid0(VALU_DEP_1) | instskip(NEXT) | instid1(VALU_DEP_1)
	v_add3_u32 v3, v4, v3, 0x407ffff
	v_and_b32_e32 v4, 0xff00000, v3
	v_lshrrev_b32_e32 v3, 20, v3
	s_delay_alu instid0(VALU_DEP_2) | instskip(NEXT) | instid1(VALU_DEP_2)
	v_cmp_ne_u32_e32 vcc_lo, 0x7f00000, v4
                                        ; implicit-def: $vgpr4
	v_cndmask_b32_e32 v3, 0x7e, v3, vcc_lo
; %bb.315:
	s_and_not1_saveexec_b32 s8, s8
; %bb.316:
	v_add_f32_e32 v3, 0x46800000, v4
; %bb.317:
	s_or_b32 exec_lo, exec_lo, s8
                                        ; implicit-def: $vgpr4
.LBB251_318:
	s_and_not1_saveexec_b32 s7, s7
; %bb.319:
	v_mov_b32_e32 v3, 0x7f
	v_cmp_lt_u32_e32 vcc_lo, 0x7f800000, v4
	s_delay_alu instid0(VALU_DEP_2)
	v_cndmask_b32_e32 v3, 0x7e, v3, vcc_lo
; %bb.320:
	s_or_b32 exec_lo, exec_lo, s7
	flat_store_b8 v[0:1], v3
.LBB251_321:
	s_wait_xcnt 0x0
	s_or_b32 exec_lo, exec_lo, s6
.LBB251_322:
	s_and_not1_saveexec_b32 s5, s5
	s_cbranch_execz .LBB251_332
; %bb.323:
	v_cndmask_b32_e64 v4, 0, 1.0, s1
	s_mov_b32 s6, exec_lo
                                        ; implicit-def: $vgpr3
	s_delay_alu instid0(VALU_DEP_1)
	v_cmpx_gt_u32_e32 0x47800000, v4
	s_xor_b32 s6, exec_lo, s6
	s_cbranch_execz .LBB251_329
; %bb.324:
	s_mov_b32 s7, exec_lo
                                        ; implicit-def: $vgpr3
	v_cmpx_lt_u32_e32 0x387fffff, v4
	s_xor_b32 s7, exec_lo, s7
; %bb.325:
	v_bfe_u32 v3, v4, 21, 1
	s_delay_alu instid0(VALU_DEP_1) | instskip(NEXT) | instid1(VALU_DEP_1)
	v_add3_u32 v3, v4, v3, 0x80fffff
                                        ; implicit-def: $vgpr4
	v_lshrrev_b32_e32 v3, 21, v3
; %bb.326:
	s_and_not1_saveexec_b32 s7, s7
; %bb.327:
	v_add_f32_e32 v3, 0x43000000, v4
; %bb.328:
	s_or_b32 exec_lo, exec_lo, s7
                                        ; implicit-def: $vgpr4
.LBB251_329:
	s_and_not1_saveexec_b32 s6, s6
; %bb.330:
	v_mov_b32_e32 v3, 0x7f
	v_cmp_lt_u32_e32 vcc_lo, 0x7f800000, v4
	s_delay_alu instid0(VALU_DEP_2)
	v_cndmask_b32_e32 v3, 0x7c, v3, vcc_lo
; %bb.331:
	s_or_b32 exec_lo, exec_lo, s6
	flat_store_b8 v[0:1], v3
.LBB251_332:
	s_wait_xcnt 0x0
	s_or_b32 exec_lo, exec_lo, s5
.LBB251_333:
	s_or_saveexec_b32 s4, s4
	s_mov_b32 s5, 0
	s_mov_b32 s6, s0
	s_xor_b32 exec_lo, exec_lo, s4
	s_cbranch_execz .LBB251_341
; %bb.334:
	s_mov_b32 s5, s0
	s_mov_b32 s6, exec_lo
	v_cmpx_lt_i16_e32 14, v2
	s_xor_b32 s6, exec_lo, s6
	s_cbranch_execz .LBB251_338
; %bb.335:
	s_mov_b32 s7, -1
	s_mov_b32 s5, exec_lo
	v_cmpx_eq_u16_e32 15, v2
	s_cbranch_execz .LBB251_337
; %bb.336:
	v_cndmask_b32_e64 v3, 0, 1.0, s1
	s_xor_b32 s7, exec_lo, -1
	s_delay_alu instid0(VALU_DEP_1) | instskip(NEXT) | instid1(VALU_DEP_1)
	v_bfe_u32 v4, v3, 16, 1
	v_add3_u32 v3, v3, v4, 0x7fff
	flat_store_d16_hi_b16 v[0:1], v3
.LBB251_337:
	s_wait_xcnt 0x0
	s_or_b32 exec_lo, exec_lo, s5
	s_delay_alu instid0(SALU_CYCLE_1) | instskip(SKIP_1) | instid1(SALU_CYCLE_1)
	s_and_not1_b32 s5, s0, exec_lo
	s_and_b32 s7, s7, exec_lo
	s_or_b32 s5, s5, s7
.LBB251_338:
	s_or_saveexec_b32 s6, s6
	s_mov_b32 s7, 0
	s_xor_b32 exec_lo, exec_lo, s6
; %bb.339:
	v_cmp_ne_u16_e32 vcc_lo, 11, v2
	s_and_not1_b32 s5, s5, exec_lo
	s_mov_b32 s7, exec_lo
	s_and_b32 s8, vcc_lo, exec_lo
	s_delay_alu instid0(SALU_CYCLE_1)
	s_or_b32 s5, s5, s8
; %bb.340:
	s_or_b32 exec_lo, exec_lo, s6
	s_delay_alu instid0(SALU_CYCLE_1)
	s_and_not1_b32 s6, s0, exec_lo
	s_and_b32 s8, s5, exec_lo
	s_and_b32 s5, s7, exec_lo
	s_or_b32 s6, s6, s8
.LBB251_341:
	s_or_b32 exec_lo, exec_lo, s4
	s_delay_alu instid0(SALU_CYCLE_1)
	s_and_not1_b32 s0, s0, exec_lo
	s_and_b32 s6, s6, exec_lo
	s_and_b32 s4, s5, exec_lo
	s_or_b32 s0, s0, s6
.LBB251_342:
	s_or_b32 exec_lo, exec_lo, s3
	s_delay_alu instid0(SALU_CYCLE_1)
	s_and_not1_b32 s5, s23, exec_lo
	s_and_b32 s6, s0, exec_lo
	s_xor_b32 s3, exec_lo, -1
	s_and_b32 s0, s4, exec_lo
	s_or_b32 s4, s5, s6
.LBB251_343:
	s_or_b32 exec_lo, exec_lo, s2
	s_delay_alu instid0(SALU_CYCLE_1)
	s_and_b32 s2, s3, exec_lo
	s_and_not1_b32 s3, s23, exec_lo
	s_and_b32 s4, s4, exec_lo
	s_and_b32 s0, s0, exec_lo
	s_or_b32 s3, s3, s4
.LBB251_344:
	s_or_b32 exec_lo, exec_lo, s18
	s_delay_alu instid0(SALU_CYCLE_1)
	s_and_not1_b32 s4, s23, exec_lo
	s_and_b32 s3, s3, exec_lo
	s_and_b32 s2, s2, exec_lo
	s_and_b32 s0, s0, exec_lo
	s_or_b32 s23, s4, s3
.LBB251_345:
	s_or_b32 exec_lo, exec_lo, s22
	s_delay_alu instid0(SALU_CYCLE_1)
	s_and_not1_b32 s3, s20, exec_lo
	s_and_b32 s4, s23, exec_lo
	s_and_b32 s2, s2, exec_lo
	;; [unrolled: 1-line block ×3, first 2 shown]
	s_or_b32 s20, s3, s4
.LBB251_346:
	s_or_b32 exec_lo, exec_lo, s21
	s_delay_alu instid0(SALU_CYCLE_1)
	s_and_not1_b32 s3, s15, exec_lo
	s_and_b32 s4, s20, exec_lo
	s_and_b32 s2, s2, exec_lo
	;; [unrolled: 1-line block ×3, first 2 shown]
	s_or_b32 s15, s3, s4
	s_or_b32 exec_lo, exec_lo, s19
	s_mov_b32 s0, 0
	s_and_saveexec_b32 s3, s15
	s_cbranch_execz .LBB251_350
.LBB251_347:
	s_mov_b32 s0, exec_lo
	s_and_not1_b32 s20, s20, exec_lo
	s_trap 2
	s_or_b32 exec_lo, exec_lo, s3
	s_and_saveexec_b32 s3, s20
	s_delay_alu instid0(SALU_CYCLE_1)
	s_xor_b32 s3, exec_lo, s3
	s_cbranch_execnz .LBB251_351
.LBB251_348:
	s_or_b32 exec_lo, exec_lo, s3
	s_and_saveexec_b32 s3, s2
	s_delay_alu instid0(SALU_CYCLE_1)
	s_xor_b32 s2, exec_lo, s3
	s_cbranch_execnz .LBB251_352
	s_branch .LBB251_393
.LBB251_349:
	s_or_b32 exec_lo, exec_lo, s19
	s_mov_b32 s0, 0
	s_and_saveexec_b32 s3, s15
	s_cbranch_execnz .LBB251_347
.LBB251_350:
	s_or_b32 exec_lo, exec_lo, s3
	s_and_saveexec_b32 s3, s20
	s_delay_alu instid0(SALU_CYCLE_1)
	s_xor_b32 s3, exec_lo, s3
	s_cbranch_execz .LBB251_348
.LBB251_351:
	v_cndmask_b32_e64 v3, 0, 1, s1
	flat_store_b8 v[0:1], v3
	s_wait_xcnt 0x0
	s_or_b32 exec_lo, exec_lo, s3
	s_and_saveexec_b32 s3, s2
	s_delay_alu instid0(SALU_CYCLE_1)
	s_xor_b32 s2, exec_lo, s3
	s_cbranch_execz .LBB251_393
.LBB251_352:
	s_mov_b32 s3, exec_lo
	v_cmpx_lt_i16_e32 4, v2
	s_xor_b32 s3, exec_lo, s3
	s_cbranch_execz .LBB251_374
; %bb.353:
	s_mov_b32 s4, exec_lo
	v_cmpx_lt_i16_e32 7, v2
	s_xor_b32 s4, exec_lo, s4
	s_cbranch_execz .LBB251_363
; %bb.354:
	;; [unrolled: 5-line block ×4, first 2 shown]
	v_cndmask_b32_e64 v3, 0, 1, s1
	v_mov_b32_e32 v6, 0
	s_delay_alu instid0(VALU_DEP_2) | instskip(NEXT) | instid1(VALU_DEP_2)
	v_cvt_f64_u32_e32 v[4:5], v3
	v_mov_b32_e32 v7, v6
	flat_store_b128 v[0:1], v[4:7]
.LBB251_357:
	s_wait_xcnt 0x0
	s_and_not1_saveexec_b32 s6, s6
	s_cbranch_execz .LBB251_359
; %bb.358:
	v_cndmask_b32_e64 v4, 0, 1.0, s1
	v_mov_b32_e32 v5, 0
	flat_store_b64 v[0:1], v[4:5]
.LBB251_359:
	s_wait_xcnt 0x0
	s_or_b32 exec_lo, exec_lo, s6
.LBB251_360:
	s_and_not1_saveexec_b32 s5, s5
	s_cbranch_execz .LBB251_362
; %bb.361:
	v_cndmask_b32_e64 v3, 0, 1.0, s1
	s_delay_alu instid0(VALU_DEP_1) | instskip(NEXT) | instid1(VALU_DEP_1)
	v_cvt_f16_f32_e32 v3, v3
	v_and_b32_e32 v3, 0xffff, v3
	flat_store_b32 v[0:1], v3
.LBB251_362:
	s_wait_xcnt 0x0
	s_or_b32 exec_lo, exec_lo, s5
.LBB251_363:
	s_and_not1_saveexec_b32 s4, s4
	s_cbranch_execz .LBB251_373
; %bb.364:
	s_mov_b32 s5, exec_lo
	v_cmpx_lt_i16_e32 5, v2
	s_xor_b32 s5, exec_lo, s5
	s_cbranch_execz .LBB251_370
; %bb.365:
	s_mov_b32 s6, exec_lo
	v_cmpx_lt_i16_e32 6, v2
	s_xor_b32 s6, exec_lo, s6
	s_cbranch_execz .LBB251_367
; %bb.366:
	v_cndmask_b32_e64 v3, 0, 1, s1
	s_delay_alu instid0(VALU_DEP_1)
	v_cvt_f64_u32_e32 v[4:5], v3
	flat_store_b64 v[0:1], v[4:5]
.LBB251_367:
	s_wait_xcnt 0x0
	s_and_not1_saveexec_b32 s6, s6
	s_cbranch_execz .LBB251_369
; %bb.368:
	v_cndmask_b32_e64 v3, 0, 1.0, s1
	flat_store_b32 v[0:1], v3
.LBB251_369:
	s_wait_xcnt 0x0
	s_or_b32 exec_lo, exec_lo, s6
.LBB251_370:
	s_and_not1_saveexec_b32 s5, s5
	s_cbranch_execz .LBB251_372
; %bb.371:
	v_cndmask_b32_e64 v3, 0, 1.0, s1
	s_delay_alu instid0(VALU_DEP_1)
	v_cvt_f16_f32_e32 v3, v3
	flat_store_b16 v[0:1], v3
.LBB251_372:
	s_wait_xcnt 0x0
	s_or_b32 exec_lo, exec_lo, s5
.LBB251_373:
	s_delay_alu instid0(SALU_CYCLE_1)
	s_or_b32 exec_lo, exec_lo, s4
.LBB251_374:
	s_and_not1_saveexec_b32 s3, s3
	s_cbranch_execz .LBB251_392
; %bb.375:
	s_mov_b32 s4, exec_lo
	v_cmpx_lt_i16_e32 1, v2
	s_xor_b32 s4, exec_lo, s4
	s_cbranch_execz .LBB251_385
; %bb.376:
	s_mov_b32 s5, exec_lo
	v_cmpx_lt_i16_e32 2, v2
	s_xor_b32 s5, exec_lo, s5
	;; [unrolled: 5-line block ×3, first 2 shown]
	s_cbranch_execz .LBB251_379
; %bb.378:
	s_mov_b32 s7, 0
	v_cndmask_b32_e64 v4, 0, 1, s1
	v_mov_b32_e32 v5, s7
	flat_store_b64 v[0:1], v[4:5]
                                        ; implicit-def: $vgpr0_vgpr1
.LBB251_379:
	s_wait_xcnt 0x0
	s_and_not1_saveexec_b32 s6, s6
	s_cbranch_execz .LBB251_381
; %bb.380:
	v_cndmask_b32_e64 v3, 0, 1, s1
	flat_store_b32 v[0:1], v3
.LBB251_381:
	s_wait_xcnt 0x0
	s_or_b32 exec_lo, exec_lo, s6
                                        ; implicit-def: $vgpr0_vgpr1
.LBB251_382:
	s_and_not1_saveexec_b32 s5, s5
	s_cbranch_execz .LBB251_384
; %bb.383:
	v_cndmask_b32_e64 v3, 0, 1, s1
	flat_store_b16 v[0:1], v3
.LBB251_384:
	s_wait_xcnt 0x0
	s_or_b32 exec_lo, exec_lo, s5
                                        ; implicit-def: $vgpr0_vgpr1
.LBB251_385:
	s_and_not1_saveexec_b32 s4, s4
	s_cbranch_execz .LBB251_391
; %bb.386:
	v_cmp_lt_i16_e32 vcc_lo, 0, v2
	v_cndmask_b32_e64 v2, 0, 1, s1
	s_and_saveexec_b32 s1, vcc_lo
	s_delay_alu instid0(SALU_CYCLE_1)
	s_xor_b32 s1, exec_lo, s1
	s_cbranch_execz .LBB251_388
; %bb.387:
	flat_store_b8 v[0:1], v2
                                        ; implicit-def: $vgpr0_vgpr1
                                        ; implicit-def: $vgpr2
.LBB251_388:
	s_wait_xcnt 0x0
	s_and_not1_saveexec_b32 s1, s1
	s_cbranch_execz .LBB251_390
; %bb.389:
	flat_store_b8 v[0:1], v2
.LBB251_390:
	s_wait_xcnt 0x0
	s_or_b32 exec_lo, exec_lo, s1
.LBB251_391:
	s_delay_alu instid0(SALU_CYCLE_1)
	s_or_b32 exec_lo, exec_lo, s4
.LBB251_392:
	s_delay_alu instid0(SALU_CYCLE_1)
	s_or_b32 exec_lo, exec_lo, s3
.LBB251_393:
	s_delay_alu instid0(SALU_CYCLE_1) | instskip(NEXT) | instid1(SALU_CYCLE_1)
	s_or_b32 exec_lo, exec_lo, s2
	s_and_b32 s15, s0, exec_lo
                                        ; implicit-def: $vgpr16
                                        ; implicit-def: $vgpr0
.LBB251_394:
	s_or_saveexec_b32 s16, s16
	s_mov_b32 s0, 0
                                        ; implicit-def: $sgpr18
                                        ; implicit-def: $vgpr12_vgpr13
                                        ; implicit-def: $vgpr7
	s_xor_b32 exec_lo, exec_lo, s16
	s_cbranch_execz .LBB251_1922
; %bb.395:
	s_wait_loadcnt 0x1
	scratch_load_b32 v17, off, off offset:36
	s_mov_b32 s18, 8
	s_delay_alu instid0(SALU_CYCLE_1)
	v_dual_mov_b32 v0, s18 :: v_dual_lshlrev_b32 v1, 20, v0
	s_mov_b32 s19, 28
	s_mov_b32 s20, 41
	s_get_pc_i64 s[0:1]
	s_add_nc_u64 s[0:1], s[0:1], _ZN2at6native6invokeINS0_13BinaryFunctorIN3c1015Float8_e5m2fnuzES4_bNS0_12_GLOBAL__N_116CompareEqFunctorIS4_EEEEi15function_traitsIS8_EEENT1_11result_typeERKT_PrKPcPKT0_PKNS3_10ScalarTypeEi@rel64+4
	v_add_nc_u64_e32 v[2:3], src_flat_scratch_base_lo, v[0:1]
	v_mov_b32_e32 v0, s19
	s_delay_alu instid0(VALU_DEP_1) | instskip(SKIP_1) | instid1(VALU_DEP_1)
	v_add_nc_u64_e32 v[4:5], src_flat_scratch_base_lo, v[0:1]
	v_mov_b32_e32 v0, s20
	v_add_nc_u64_e32 v[6:7], src_flat_scratch_base_lo, v[0:1]
	v_dual_mov_b32 v1, v2 :: v_dual_mov_b32 v2, v3
	s_delay_alu instid0(VALU_DEP_4) | instskip(NEXT) | instid1(VALU_DEP_3)
	v_dual_mov_b32 v3, v4 :: v_dual_mov_b32 v4, v5
	v_dual_mov_b32 v5, v6 :: v_dual_mov_b32 v6, v7
	s_wait_loadcnt 0x0
	v_dual_mov_b32 v7, v16 :: v_dual_mov_b32 v0, v17
	s_swap_pc_i64 s[30:31], s[0:1]
	s_delay_alu instid0(VALU_DEP_1) | instskip(SKIP_3) | instid1(VALU_DEP_2)
	v_and_b32_e32 v0, 1, v0
	v_add_nc_u32_e32 v8, 0x80, v16
	s_mov_b32 s2, s15
	s_mov_b32 s1, exec_lo
                                        ; implicit-def: $vgpr21
	v_cmp_eq_u32_e32 vcc_lo, 1, v0
	s_clause 0x2
	scratch_load_b32 v19, off, s19
	scratch_load_b64 v[4:5], off, s18
	scratch_load_u8 v18, off, s20
                                        ; kill: killed $sgpr19
                                        ; kill: killed $sgpr20
                                        ; kill: killed $sgpr18
	s_clause 0x1
	scratch_load_b64 v[0:1], off, off
	scratch_load_b32 v14, off, off offset:24
	s_wait_loadcnt 0x4
	v_mul_lo_u32 v6, v19, v8
	s_delay_alu instid0(VALU_DEP_1) | instskip(SKIP_1) | instid1(VALU_DEP_1)
	v_ashrrev_i32_e32 v7, 31, v6
	s_wait_loadcnt 0x3
	v_add_nc_u64_e32 v[2:3], v[4:5], v[6:7]
	s_wait_loadcnt 0x2
	s_wait_xcnt 0x0
	v_cmpx_lt_i16_e32 10, v18
	s_xor_b32 s1, exec_lo, s1
	s_cbranch_execz .LBB251_476
; %bb.396:
	s_mov_b32 s2, 0
	s_mov_b32 s5, 0
	;; [unrolled: 1-line block ×3, first 2 shown]
	s_mov_b32 s3, exec_lo
                                        ; implicit-def: $vgpr21
	v_cmpx_lt_i16_e32 25, v18
	s_xor_b32 s3, exec_lo, s3
	s_cbranch_execz .LBB251_2006
; %bb.397:
	s_mov_b32 s6, 0
	s_mov_b32 s4, exec_lo
                                        ; implicit-def: $vgpr21
	v_cmpx_lt_i16_e32 28, v18
	s_xor_b32 s4, exec_lo, s4
	s_cbranch_execz .LBB251_431
; %bb.398:
	s_mov_b32 s7, 0
	s_mov_b32 s8, 0
	s_mov_b32 s5, exec_lo
                                        ; implicit-def: $vgpr21
	v_cmpx_lt_i16_e32 43, v18
	s_xor_b32 s5, exec_lo, s5
	s_cbranch_execz .LBB251_420
; %bb.399:
	s_mov_b32 s8, exec_lo
                                        ; implicit-def: $vgpr21
	v_cmpx_lt_i16_e32 45, v18
	s_xor_b32 s8, exec_lo, s8
	s_cbranch_execz .LBB251_409
; %bb.400:
	s_mov_b32 s9, -1
	s_mov_b32 s6, exec_lo
                                        ; implicit-def: $vgpr21
	v_cmpx_eq_u16_e32 46, v18
	s_cbranch_execz .LBB251_408
; %bb.401:
	flat_load_b32 v7, v[2:3]
	v_mov_b32_e32 v21, 0x80
	s_mov_b32 s7, exec_lo
	s_wait_loadcnt_dscnt 0x0
	v_lshlrev_b32_e32 v7, 16, v7
	s_delay_alu instid0(VALU_DEP_1) | instskip(SKIP_1) | instid1(VALU_DEP_1)
	v_and_b32_e32 v9, 0x7fffffff, v7
	s_wait_xcnt 0x0
	v_cmpx_gt_u32_e32 0x47800000, v9
	s_cbranch_execz .LBB251_407
; %bb.402:
	v_cmp_lt_u32_e64 s0, 0x37ffffff, v9
	s_mov_b32 s9, 0
                                        ; implicit-def: $vgpr9
	s_and_saveexec_b32 s10, s0
	s_delay_alu instid0(SALU_CYCLE_1)
	s_xor_b32 s0, exec_lo, s10
	s_cbranch_execz .LBB251_2410
; %bb.403:
	v_bfe_u32 v9, v7, 21, 1
	s_mov_b32 s9, exec_lo
	s_delay_alu instid0(VALU_DEP_1) | instskip(NEXT) | instid1(VALU_DEP_1)
	v_add3_u32 v9, v7, v9, 0x88fffff
	v_lshrrev_b32_e32 v9, 21, v9
	s_and_not1_saveexec_b32 s10, s0
	s_cbranch_execnz .LBB251_2411
.LBB251_404:
	s_or_b32 exec_lo, exec_lo, s10
	v_mov_b32_e32 v21, 0
	s_and_saveexec_b32 s0, s9
.LBB251_405:
	v_lshrrev_b32_e32 v7, 24, v7
	s_delay_alu instid0(VALU_DEP_1)
	v_and_or_b32 v21, 0x80, v7, v9
.LBB251_406:
	s_or_b32 exec_lo, exec_lo, s0
.LBB251_407:
	s_delay_alu instid0(SALU_CYCLE_1) | instskip(NEXT) | instid1(SALU_CYCLE_1)
	s_or_b32 exec_lo, exec_lo, s7
	s_mov_b32 s7, exec_lo
	s_xor_b32 s9, exec_lo, -1
.LBB251_408:
	s_or_b32 exec_lo, exec_lo, s6
	s_delay_alu instid0(SALU_CYCLE_1)
	s_and_b32 s7, s7, exec_lo
	s_and_b32 s6, s9, exec_lo
.LBB251_409:
	s_and_not1_saveexec_b32 s8, s8
	s_cbranch_execz .LBB251_419
; %bb.410:
	s_mov_b32 s10, -1
	s_mov_b32 s11, s7
	s_mov_b32 s9, exec_lo
                                        ; implicit-def: $vgpr21
	v_cmpx_eq_u16_e32 44, v18
	s_cbranch_execz .LBB251_418
; %bb.411:
	flat_load_u8 v7, v[2:3]
	v_mov_b32_e32 v21, 0x80
	s_mov_b32 s11, 0
	s_mov_b32 s10, exec_lo
	s_wait_loadcnt_dscnt 0x0
	v_lshlrev_b32_e32 v9, 23, v7
	v_cmp_ne_u32_e64 s0, 0xff, v7
	s_delay_alu instid0(VALU_DEP_1) | instskip(SKIP_1) | instid1(VALU_DEP_1)
	v_cndmask_b32_e64 v9, 0x7f800001, v9, s0
	v_cmp_ne_u32_e64 s0, 0, v7
	v_cndmask_b32_e64 v9, 0x400000, v9, s0
	s_wait_xcnt 0x0
	s_delay_alu instid0(VALU_DEP_1)
	v_cmpx_gt_u32_e32 0x47800000, v9
	s_cbranch_execz .LBB251_417
; %bb.412:
	v_cmp_lt_u32_e64 s0, 0x37ffffff, v9
                                        ; implicit-def: $vgpr7
	s_and_saveexec_b32 s12, s0
	s_delay_alu instid0(SALU_CYCLE_1)
	s_xor_b32 s0, exec_lo, s12
	s_cbranch_execz .LBB251_2412
; %bb.413:
	v_bfe_u32 v7, v9, 21, 1
	s_mov_b32 s11, exec_lo
	s_delay_alu instid0(VALU_DEP_1) | instskip(NEXT) | instid1(VALU_DEP_1)
	v_add3_u32 v7, v9, v7, 0x88fffff
                                        ; implicit-def: $vgpr9
	v_lshrrev_b32_e32 v7, 21, v7
	s_and_not1_saveexec_b32 s12, s0
	s_cbranch_execnz .LBB251_2413
.LBB251_414:
	s_or_b32 exec_lo, exec_lo, s12
	v_mov_b32_e32 v21, 0
	s_and_saveexec_b32 s0, s11
.LBB251_415:
	v_mov_b32_e32 v21, v7
.LBB251_416:
	s_or_b32 exec_lo, exec_lo, s0
.LBB251_417:
	s_delay_alu instid0(SALU_CYCLE_1) | instskip(NEXT) | instid1(SALU_CYCLE_1)
	s_or_b32 exec_lo, exec_lo, s10
	s_or_b32 s11, s7, exec_lo
	s_xor_b32 s10, exec_lo, -1
.LBB251_418:
	s_or_b32 exec_lo, exec_lo, s9
	s_delay_alu instid0(SALU_CYCLE_1)
	s_and_not1_b32 s0, s7, exec_lo
	s_and_b32 s7, s11, exec_lo
	s_and_not1_b32 s6, s6, exec_lo
	s_and_b32 s9, s10, exec_lo
	s_or_b32 s7, s0, s7
	s_or_b32 s6, s6, s9
.LBB251_419:
	s_or_b32 exec_lo, exec_lo, s8
	s_delay_alu instid0(SALU_CYCLE_1)
	s_and_b32 s8, s7, exec_lo
	s_and_b32 s7, s6, exec_lo
.LBB251_420:
	s_and_not1_saveexec_b32 s5, s5
	s_cbranch_execz .LBB251_430
; %bb.421:
	s_mov_b32 s9, -1
	s_mov_b32 s10, s8
	s_mov_b32 s6, exec_lo
                                        ; implicit-def: $vgpr21
	v_cmpx_eq_u16_e32 29, v18
	s_cbranch_execz .LBB251_429
; %bb.422:
	flat_load_b64 v[10:11], v[2:3]
	v_mov_b32_e32 v21, 0x80
	s_mov_b32 s9, exec_lo
	s_wait_loadcnt_dscnt 0x0
	v_clz_i32_u32_e32 v7, v11
	s_delay_alu instid0(VALU_DEP_1) | instskip(NEXT) | instid1(VALU_DEP_1)
	v_min_u32_e32 v7, 32, v7
	v_lshlrev_b64_e32 v[10:11], v7, v[10:11]
	v_sub_nc_u32_e32 v7, 32, v7
	s_delay_alu instid0(VALU_DEP_2) | instskip(NEXT) | instid1(VALU_DEP_1)
	v_min_u32_e32 v9, 1, v10
	v_or_b32_e32 v9, v11, v9
	s_delay_alu instid0(VALU_DEP_1) | instskip(NEXT) | instid1(VALU_DEP_1)
	v_cvt_f32_u32_e32 v9, v9
	v_ldexp_f32 v9, v9, v7
	s_wait_xcnt 0x0
	s_delay_alu instid0(VALU_DEP_1)
	v_cmpx_gt_u32_e32 0x47800000, v9
	s_cbranch_execz .LBB251_428
; %bb.423:
	v_cmp_lt_u32_e64 s0, 0x37ffffff, v9
	s_mov_b32 s10, 0
                                        ; implicit-def: $vgpr7
	s_and_saveexec_b32 s11, s0
	s_delay_alu instid0(SALU_CYCLE_1)
	s_xor_b32 s0, exec_lo, s11
	s_cbranch_execz .LBB251_2327
; %bb.424:
	v_bfe_u32 v7, v9, 21, 1
	s_mov_b32 s10, exec_lo
	s_delay_alu instid0(VALU_DEP_1) | instskip(NEXT) | instid1(VALU_DEP_1)
	v_add3_u32 v7, v9, v7, 0x88fffff
                                        ; implicit-def: $vgpr9
	v_lshrrev_b32_e32 v7, 21, v7
	s_and_not1_saveexec_b32 s11, s0
	s_cbranch_execnz .LBB251_2328
.LBB251_425:
	s_or_b32 exec_lo, exec_lo, s11
	v_mov_b32_e32 v21, 0
	s_and_saveexec_b32 s0, s10
.LBB251_426:
	v_mov_b32_e32 v21, v7
.LBB251_427:
	s_or_b32 exec_lo, exec_lo, s0
.LBB251_428:
	s_delay_alu instid0(SALU_CYCLE_1) | instskip(NEXT) | instid1(SALU_CYCLE_1)
	s_or_b32 exec_lo, exec_lo, s9
	s_or_b32 s10, s8, exec_lo
	s_xor_b32 s9, exec_lo, -1
.LBB251_429:
	s_or_b32 exec_lo, exec_lo, s6
	s_delay_alu instid0(SALU_CYCLE_1)
	s_and_not1_b32 s0, s8, exec_lo
	s_and_b32 s6, s10, exec_lo
	s_and_not1_b32 s7, s7, exec_lo
	s_and_b32 s9, s9, exec_lo
	s_or_b32 s8, s0, s6
	s_or_b32 s7, s7, s9
.LBB251_430:
	s_or_b32 exec_lo, exec_lo, s5
	s_delay_alu instid0(SALU_CYCLE_1)
	s_and_b32 s6, s8, exec_lo
	s_and_b32 s5, s7, exec_lo
.LBB251_431:
	s_and_not1_saveexec_b32 s4, s4
	s_cbranch_execz .LBB251_465
; %bb.432:
	s_mov_b32 s7, exec_lo
                                        ; implicit-def: $vgpr21
	v_cmpx_lt_i16_e32 26, v18
	s_xor_b32 s7, exec_lo, s7
	s_cbranch_execz .LBB251_450
; %bb.433:
	s_mov_b32 s8, exec_lo
                                        ; implicit-def: $vgpr21
	v_cmpx_lt_i16_e32 27, v18
	s_xor_b32 s8, exec_lo, s8
	s_cbranch_execz .LBB251_441
; %bb.434:
	flat_load_b32 v7, v[2:3]
	v_mov_b32_e32 v21, 0x80
	s_mov_b32 s9, exec_lo
	s_wait_loadcnt_dscnt 0x0
	v_cvt_f32_u32_e32 v9, v7
	s_wait_xcnt 0x0
	s_delay_alu instid0(VALU_DEP_1)
	v_cmpx_gt_u32_e32 0x47800000, v9
	s_cbranch_execz .LBB251_440
; %bb.435:
	v_cmp_lt_u32_e64 s0, 0x37ffffff, v9
	s_mov_b32 s10, 0
                                        ; implicit-def: $vgpr7
	s_and_saveexec_b32 s11, s0
	s_delay_alu instid0(SALU_CYCLE_1)
	s_xor_b32 s0, exec_lo, s11
	s_cbranch_execz .LBB251_2329
; %bb.436:
	v_bfe_u32 v7, v9, 21, 1
	s_mov_b32 s10, exec_lo
	s_delay_alu instid0(VALU_DEP_1) | instskip(NEXT) | instid1(VALU_DEP_1)
	v_add3_u32 v7, v9, v7, 0x88fffff
                                        ; implicit-def: $vgpr9
	v_lshrrev_b32_e32 v7, 21, v7
	s_and_not1_saveexec_b32 s11, s0
	s_cbranch_execnz .LBB251_2330
.LBB251_437:
	s_or_b32 exec_lo, exec_lo, s11
	v_mov_b32_e32 v21, 0
	s_and_saveexec_b32 s0, s10
.LBB251_438:
	v_mov_b32_e32 v21, v7
.LBB251_439:
	s_or_b32 exec_lo, exec_lo, s0
.LBB251_440:
	s_delay_alu instid0(SALU_CYCLE_1)
	s_or_b32 exec_lo, exec_lo, s9
.LBB251_441:
	s_and_not1_saveexec_b32 s8, s8
	s_cbranch_execz .LBB251_449
; %bb.442:
	flat_load_u16 v7, v[2:3]
	v_mov_b32_e32 v21, 0x80
	s_mov_b32 s9, exec_lo
	s_wait_loadcnt_dscnt 0x0
	v_cvt_f32_u32_e32 v9, v7
	s_wait_xcnt 0x0
	s_delay_alu instid0(VALU_DEP_1)
	v_cmpx_gt_u32_e32 0x47800000, v9
	s_cbranch_execz .LBB251_448
; %bb.443:
	v_cmp_lt_u32_e64 s0, 0x37ffffff, v9
	s_mov_b32 s10, 0
                                        ; implicit-def: $vgpr7
	s_and_saveexec_b32 s11, s0
	s_delay_alu instid0(SALU_CYCLE_1)
	s_xor_b32 s0, exec_lo, s11
	s_cbranch_execz .LBB251_2331
; %bb.444:
	v_bfe_u32 v7, v9, 21, 1
	s_mov_b32 s10, exec_lo
	s_delay_alu instid0(VALU_DEP_1) | instskip(NEXT) | instid1(VALU_DEP_1)
	v_add3_u32 v7, v9, v7, 0x88fffff
                                        ; implicit-def: $vgpr9
	v_lshrrev_b32_e32 v7, 21, v7
	s_and_not1_saveexec_b32 s11, s0
	s_cbranch_execnz .LBB251_2332
.LBB251_445:
	s_or_b32 exec_lo, exec_lo, s11
	v_mov_b32_e32 v21, 0
	s_and_saveexec_b32 s0, s10
.LBB251_446:
	v_mov_b32_e32 v21, v7
.LBB251_447:
	s_or_b32 exec_lo, exec_lo, s0
.LBB251_448:
	s_delay_alu instid0(SALU_CYCLE_1)
	s_or_b32 exec_lo, exec_lo, s9
.LBB251_449:
	s_delay_alu instid0(SALU_CYCLE_1)
	s_or_b32 exec_lo, exec_lo, s8
.LBB251_450:
	s_and_not1_saveexec_b32 s7, s7
	s_cbranch_execz .LBB251_464
; %bb.451:
	flat_load_u8 v9, v[2:3]
	s_mov_b32 s8, 0
	s_mov_b32 s9, exec_lo
	s_wait_loadcnt_dscnt 0x0
	v_cmpx_lt_i16_e32 0x7f, v9
	s_xor_b32 s9, exec_lo, s9
	s_cbranch_execz .LBB251_2217
; %bb.452:
	s_mov_b32 s8, -1
	s_mov_b32 s10, exec_lo
	v_cmpx_eq_u16_e32 0x80, v9
; %bb.453:
	s_xor_b32 s8, exec_lo, -1
; %bb.454:
	s_or_b32 exec_lo, exec_lo, s10
	s_delay_alu instid0(SALU_CYCLE_1)
	s_and_b32 s8, s8, exec_lo
	s_or_saveexec_b32 s9, s9
	v_mov_b32_e32 v7, 0x7f800001
	s_xor_b32 exec_lo, exec_lo, s9
	s_cbranch_execnz .LBB251_2218
.LBB251_455:
	s_or_b32 exec_lo, exec_lo, s9
	s_and_saveexec_b32 s9, s8
	s_cbranch_execz .LBB251_457
.LBB251_456:
	v_and_b32_e32 v7, 0xffff, v9
	s_delay_alu instid0(VALU_DEP_1) | instskip(SKIP_1) | instid1(VALU_DEP_2)
	v_dual_lshlrev_b32 v9, 24, v9 :: v_dual_bitop2_b32 v10, 7, v7 bitop3:0x40
	v_bfe_u32 v13, v7, 3, 4
	v_and_b32_e32 v9, 0x80000000, v9
	s_delay_alu instid0(VALU_DEP_3) | instskip(NEXT) | instid1(VALU_DEP_3)
	v_clz_i32_u32_e32 v11, v10
	v_cmp_eq_u32_e64 s0, 0, v13
	s_delay_alu instid0(VALU_DEP_2) | instskip(NEXT) | instid1(VALU_DEP_1)
	v_min_u32_e32 v11, 32, v11
	v_subrev_nc_u32_e32 v12, 28, v11
	v_sub_nc_u32_e32 v11, 29, v11
	s_delay_alu instid0(VALU_DEP_2) | instskip(NEXT) | instid1(VALU_DEP_2)
	v_lshlrev_b32_e32 v7, v12, v7
	v_cndmask_b32_e64 v11, v13, v11, s0
	s_delay_alu instid0(VALU_DEP_2) | instskip(NEXT) | instid1(VALU_DEP_1)
	v_and_b32_e32 v7, 7, v7
	v_cndmask_b32_e64 v7, v10, v7, s0
	s_delay_alu instid0(VALU_DEP_3) | instskip(NEXT) | instid1(VALU_DEP_2)
	v_lshl_add_u32 v10, v11, 23, 0x3b800000
	v_lshlrev_b32_e32 v7, 20, v7
	s_delay_alu instid0(VALU_DEP_1)
	v_or3_b32 v7, v9, v10, v7
.LBB251_457:
	s_or_b32 exec_lo, exec_lo, s9
	s_delay_alu instid0(VALU_DEP_1) | instskip(SKIP_2) | instid1(VALU_DEP_2)
	v_and_b32_e32 v9, 0x7fffffff, v7
	v_mov_b32_e32 v21, 0x80
	s_mov_b32 s8, exec_lo
	v_cmpx_gt_u32_e32 0x47800000, v9
	s_cbranch_execz .LBB251_463
; %bb.458:
	v_cmp_lt_u32_e64 s0, 0x37ffffff, v9
	s_mov_b32 s9, 0
                                        ; implicit-def: $vgpr9
	s_and_saveexec_b32 s10, s0
	s_delay_alu instid0(SALU_CYCLE_1)
	s_xor_b32 s0, exec_lo, s10
	s_cbranch_execz .LBB251_2260
; %bb.459:
	v_bfe_u32 v9, v7, 21, 1
	s_mov_b32 s9, exec_lo
	s_delay_alu instid0(VALU_DEP_1) | instskip(NEXT) | instid1(VALU_DEP_1)
	v_add3_u32 v9, v7, v9, 0x88fffff
	v_lshrrev_b32_e32 v9, 21, v9
	s_and_not1_saveexec_b32 s10, s0
	s_cbranch_execnz .LBB251_2261
.LBB251_460:
	s_or_b32 exec_lo, exec_lo, s10
	v_mov_b32_e32 v21, 0
	s_and_saveexec_b32 s0, s9
.LBB251_461:
	v_lshrrev_b32_e32 v7, 24, v7
	s_delay_alu instid0(VALU_DEP_1)
	v_and_or_b32 v21, 0x80, v7, v9
.LBB251_462:
	s_or_b32 exec_lo, exec_lo, s0
.LBB251_463:
	s_delay_alu instid0(SALU_CYCLE_1)
	s_or_b32 exec_lo, exec_lo, s8
.LBB251_464:
	s_delay_alu instid0(SALU_CYCLE_1) | instskip(NEXT) | instid1(SALU_CYCLE_1)
	s_or_b32 exec_lo, exec_lo, s7
	s_or_b32 s6, s6, exec_lo
.LBB251_465:
	s_or_b32 exec_lo, exec_lo, s4
	s_delay_alu instid0(SALU_CYCLE_1)
	s_and_b32 s4, s6, exec_lo
	s_and_b32 s5, s5, exec_lo
	s_and_not1_saveexec_b32 s3, s3
	s_cbranch_execnz .LBB251_2007
.LBB251_466:
	s_or_b32 exec_lo, exec_lo, s3
	s_mov_b32 s3, s15
	s_and_saveexec_b32 s0, s5
	s_cbranch_execnz .LBB251_2044
.LBB251_467:
	s_or_b32 exec_lo, exec_lo, s0
	s_and_saveexec_b32 s0, s2
	s_delay_alu instid0(SALU_CYCLE_1)
	s_xor_b32 s2, exec_lo, s0
	s_cbranch_execz .LBB251_475
.LBB251_468:
	flat_load_u8 v2, v[2:3]
	s_wait_loadcnt_dscnt 0x101
	v_mov_b32_e32 v21, 0x80
	s_mov_b32 s6, 0
	s_mov_b32 s5, exec_lo
	s_wait_loadcnt_dscnt 0x0
	v_cmp_ne_u16_e64 s0, 0, v2
	s_wait_xcnt 0x0
	s_delay_alu instid0(VALU_DEP_1) | instskip(NEXT) | instid1(VALU_DEP_1)
	v_cndmask_b32_e64 v3, 0, 1.0, s0
	v_cmpx_gt_u32_e32 0x47800000, v3
	s_cbranch_execz .LBB251_474
; %bb.469:
	v_cmp_lt_u32_e64 s0, 0x37ffffff, v3
                                        ; implicit-def: $vgpr2
	s_and_saveexec_b32 s7, s0
	s_delay_alu instid0(SALU_CYCLE_1)
	s_xor_b32 s0, exec_lo, s7
	s_cbranch_execz .LBB251_2168
; %bb.470:
	v_bfe_u32 v2, v3, 21, 1
	s_mov_b32 s6, exec_lo
	s_delay_alu instid0(VALU_DEP_1) | instskip(NEXT) | instid1(VALU_DEP_1)
	v_add3_u32 v2, v3, v2, 0x88fffff
                                        ; implicit-def: $vgpr3
	v_lshrrev_b32_e32 v2, 21, v2
	s_and_not1_saveexec_b32 s7, s0
	s_cbranch_execnz .LBB251_2169
.LBB251_471:
	s_or_b32 exec_lo, exec_lo, s7
	v_mov_b32_e32 v21, 0
	s_and_saveexec_b32 s0, s6
.LBB251_472:
	v_mov_b32_e32 v21, v2
.LBB251_473:
	s_or_b32 exec_lo, exec_lo, s0
.LBB251_474:
	s_delay_alu instid0(SALU_CYCLE_1) | instskip(NEXT) | instid1(SALU_CYCLE_1)
	s_or_b32 exec_lo, exec_lo, s5
	s_or_b32 s4, s4, exec_lo
.LBB251_475:
	s_or_b32 exec_lo, exec_lo, s2
	s_delay_alu instid0(SALU_CYCLE_1)
	s_and_not1_b32 s0, s15, exec_lo
	s_and_b32 s2, s3, exec_lo
	s_and_b32 s17, s4, exec_lo
	s_or_b32 s2, s0, s2
                                        ; implicit-def: $vgpr2_vgpr3
.LBB251_476:
	s_and_not1_saveexec_b32 s1, s1
	s_cbranch_execz .LBB251_584
; %bb.477:
	s_mov_b32 s3, exec_lo
                                        ; implicit-def: $vgpr21
	v_cmpx_lt_i16_e32 4, v18
	s_xor_b32 s3, exec_lo, s3
	s_cbranch_execz .LBB251_535
; %bb.478:
	s_mov_b32 s4, exec_lo
                                        ; implicit-def: $vgpr21
	v_cmpx_lt_i16_e32 7, v18
	s_xor_b32 s4, exec_lo, s4
	;; [unrolled: 6-line block ×4, first 2 shown]
	s_cbranch_execz .LBB251_488
; %bb.481:
	flat_load_b64 v[2:3], v[2:3]
	s_wait_loadcnt_dscnt 0x101
	v_mov_b32_e32 v21, 0x80
	s_mov_b32 s7, exec_lo
	s_wait_loadcnt_dscnt 0x0
	v_cvt_f32_f64_e32 v2, v[2:3]
	s_delay_alu instid0(VALU_DEP_1) | instskip(NEXT) | instid1(VALU_DEP_1)
	v_and_b32_e32 v3, 0x7fffffff, v2
	v_cmpx_gt_u32_e32 0x47800000, v3
	s_cbranch_execz .LBB251_487
; %bb.482:
	v_cmp_lt_u32_e64 s0, 0x37ffffff, v3
	s_mov_b32 s8, 0
                                        ; implicit-def: $vgpr3
	s_and_saveexec_b32 s9, s0
	s_delay_alu instid0(SALU_CYCLE_1)
	s_xor_b32 s0, exec_lo, s9
	s_cbranch_execz .LBB251_2333
; %bb.483:
	v_bfe_u32 v3, v2, 21, 1
	s_mov_b32 s8, exec_lo
	s_delay_alu instid0(VALU_DEP_1) | instskip(NEXT) | instid1(VALU_DEP_1)
	v_add3_u32 v3, v2, v3, 0x88fffff
	v_lshrrev_b32_e32 v3, 21, v3
	s_and_not1_saveexec_b32 s9, s0
	s_cbranch_execnz .LBB251_2334
.LBB251_484:
	s_or_b32 exec_lo, exec_lo, s9
	v_mov_b32_e32 v21, 0
	s_and_saveexec_b32 s0, s8
.LBB251_485:
	v_lshrrev_b32_e32 v2, 24, v2
	s_delay_alu instid0(VALU_DEP_1)
	v_and_or_b32 v21, 0x80, v2, v3
.LBB251_486:
	s_or_b32 exec_lo, exec_lo, s0
.LBB251_487:
	s_delay_alu instid0(SALU_CYCLE_1)
	s_or_b32 exec_lo, exec_lo, s7
                                        ; implicit-def: $vgpr2_vgpr3
.LBB251_488:
	s_and_not1_saveexec_b32 s6, s6
	s_cbranch_execz .LBB251_496
; %bb.489:
	flat_load_b32 v2, v[2:3]
	s_wait_loadcnt_dscnt 0x101
	v_mov_b32_e32 v21, 0x80
	s_mov_b32 s7, exec_lo
	s_wait_loadcnt_dscnt 0x0
	v_and_b32_e32 v3, 0x7fffffff, v2
	s_delay_alu instid0(VALU_DEP_1)
	v_cmpx_gt_u32_e32 0x47800000, v3
	s_cbranch_execz .LBB251_495
; %bb.490:
	v_cmp_lt_u32_e64 s0, 0x37ffffff, v3
	s_mov_b32 s8, 0
                                        ; implicit-def: $vgpr3
	s_and_saveexec_b32 s9, s0
	s_delay_alu instid0(SALU_CYCLE_1)
	s_xor_b32 s0, exec_lo, s9
	s_cbranch_execz .LBB251_2335
; %bb.491:
	v_bfe_u32 v3, v2, 21, 1
	s_mov_b32 s8, exec_lo
	s_delay_alu instid0(VALU_DEP_1) | instskip(NEXT) | instid1(VALU_DEP_1)
	v_add3_u32 v3, v2, v3, 0x88fffff
	v_lshrrev_b32_e32 v3, 21, v3
	s_and_not1_saveexec_b32 s9, s0
	s_cbranch_execnz .LBB251_2336
.LBB251_492:
	s_or_b32 exec_lo, exec_lo, s9
	v_mov_b32_e32 v21, 0
	s_and_saveexec_b32 s0, s8
.LBB251_493:
	v_lshrrev_b32_e32 v2, 24, v2
	s_delay_alu instid0(VALU_DEP_1)
	v_and_or_b32 v21, 0x80, v2, v3
.LBB251_494:
	s_or_b32 exec_lo, exec_lo, s0
.LBB251_495:
	s_delay_alu instid0(SALU_CYCLE_1)
	s_or_b32 exec_lo, exec_lo, s7
.LBB251_496:
	s_delay_alu instid0(SALU_CYCLE_1)
	s_or_b32 exec_lo, exec_lo, s6
                                        ; implicit-def: $vgpr2_vgpr3
.LBB251_497:
	s_and_not1_saveexec_b32 s5, s5
	s_cbranch_execz .LBB251_505
; %bb.498:
	flat_load_b32 v2, v[2:3]
	s_wait_loadcnt_dscnt 0x101
	v_mov_b32_e32 v21, 0x80
	s_mov_b32 s6, exec_lo
	s_wait_loadcnt_dscnt 0x0
	v_cvt_f32_f16_e32 v2, v2
	s_delay_alu instid0(VALU_DEP_1) | instskip(NEXT) | instid1(VALU_DEP_1)
	v_and_b32_e32 v3, 0x7fffffff, v2
	v_cmpx_gt_u32_e32 0x47800000, v3
	s_cbranch_execz .LBB251_504
; %bb.499:
	v_cmp_lt_u32_e64 s0, 0x37ffffff, v3
	s_mov_b32 s7, 0
                                        ; implicit-def: $vgpr3
	s_and_saveexec_b32 s8, s0
	s_delay_alu instid0(SALU_CYCLE_1)
	s_xor_b32 s0, exec_lo, s8
	s_cbranch_execz .LBB251_2262
; %bb.500:
	v_bfe_u32 v3, v2, 21, 1
	s_mov_b32 s7, exec_lo
	s_delay_alu instid0(VALU_DEP_1) | instskip(NEXT) | instid1(VALU_DEP_1)
	v_add3_u32 v3, v2, v3, 0x88fffff
	v_lshrrev_b32_e32 v3, 21, v3
	s_and_not1_saveexec_b32 s8, s0
	s_cbranch_execnz .LBB251_2263
.LBB251_501:
	s_or_b32 exec_lo, exec_lo, s8
	v_mov_b32_e32 v21, 0
	s_and_saveexec_b32 s0, s7
.LBB251_502:
	v_lshrrev_b32_e32 v2, 24, v2
	s_delay_alu instid0(VALU_DEP_1)
	v_and_or_b32 v21, 0x80, v2, v3
.LBB251_503:
	s_or_b32 exec_lo, exec_lo, s0
.LBB251_504:
	s_delay_alu instid0(SALU_CYCLE_1)
	s_or_b32 exec_lo, exec_lo, s6
.LBB251_505:
	s_delay_alu instid0(SALU_CYCLE_1)
	s_or_b32 exec_lo, exec_lo, s5
                                        ; implicit-def: $vgpr2_vgpr3
.LBB251_506:
	s_and_not1_saveexec_b32 s4, s4
	s_cbranch_execz .LBB251_534
; %bb.507:
	s_mov_b32 s5, exec_lo
                                        ; implicit-def: $vgpr21
	v_cmpx_lt_i16_e32 5, v18
	s_xor_b32 s5, exec_lo, s5
	s_cbranch_execz .LBB251_525
; %bb.508:
	s_mov_b32 s6, exec_lo
                                        ; implicit-def: $vgpr21
	v_cmpx_lt_i16_e32 6, v18
	s_xor_b32 s6, exec_lo, s6
	s_cbranch_execz .LBB251_516
; %bb.509:
	flat_load_b64 v[2:3], v[2:3]
	s_wait_loadcnt_dscnt 0x101
	v_mov_b32_e32 v21, 0x80
	s_mov_b32 s7, exec_lo
	s_wait_loadcnt_dscnt 0x0
	v_cvt_f32_f64_e32 v2, v[2:3]
	s_delay_alu instid0(VALU_DEP_1) | instskip(NEXT) | instid1(VALU_DEP_1)
	v_and_b32_e32 v3, 0x7fffffff, v2
	v_cmpx_gt_u32_e32 0x47800000, v3
	s_cbranch_execz .LBB251_515
; %bb.510:
	v_cmp_lt_u32_e64 s0, 0x37ffffff, v3
	s_mov_b32 s8, 0
                                        ; implicit-def: $vgpr3
	s_and_saveexec_b32 s9, s0
	s_delay_alu instid0(SALU_CYCLE_1)
	s_xor_b32 s0, exec_lo, s9
	s_cbranch_execz .LBB251_2337
; %bb.511:
	v_bfe_u32 v3, v2, 21, 1
	s_mov_b32 s8, exec_lo
	s_delay_alu instid0(VALU_DEP_1) | instskip(NEXT) | instid1(VALU_DEP_1)
	v_add3_u32 v3, v2, v3, 0x88fffff
	v_lshrrev_b32_e32 v3, 21, v3
	s_and_not1_saveexec_b32 s9, s0
	s_cbranch_execnz .LBB251_2338
.LBB251_512:
	s_or_b32 exec_lo, exec_lo, s9
	v_mov_b32_e32 v21, 0
	s_and_saveexec_b32 s0, s8
.LBB251_513:
	v_lshrrev_b32_e32 v2, 24, v2
	s_delay_alu instid0(VALU_DEP_1)
	v_and_or_b32 v21, 0x80, v2, v3
.LBB251_514:
	s_or_b32 exec_lo, exec_lo, s0
.LBB251_515:
	s_delay_alu instid0(SALU_CYCLE_1)
	s_or_b32 exec_lo, exec_lo, s7
                                        ; implicit-def: $vgpr2_vgpr3
.LBB251_516:
	s_and_not1_saveexec_b32 s6, s6
	s_cbranch_execz .LBB251_524
; %bb.517:
	flat_load_b32 v2, v[2:3]
	s_wait_loadcnt_dscnt 0x101
	v_mov_b32_e32 v21, 0x80
	s_mov_b32 s7, exec_lo
	s_wait_loadcnt_dscnt 0x0
	v_and_b32_e32 v3, 0x7fffffff, v2
	s_delay_alu instid0(VALU_DEP_1)
	v_cmpx_gt_u32_e32 0x47800000, v3
	s_cbranch_execz .LBB251_523
; %bb.518:
	v_cmp_lt_u32_e64 s0, 0x37ffffff, v3
	s_mov_b32 s8, 0
                                        ; implicit-def: $vgpr3
	s_and_saveexec_b32 s9, s0
	s_delay_alu instid0(SALU_CYCLE_1)
	s_xor_b32 s0, exec_lo, s9
	s_cbranch_execz .LBB251_2339
; %bb.519:
	v_bfe_u32 v3, v2, 21, 1
	s_mov_b32 s8, exec_lo
	s_delay_alu instid0(VALU_DEP_1) | instskip(NEXT) | instid1(VALU_DEP_1)
	v_add3_u32 v3, v2, v3, 0x88fffff
	v_lshrrev_b32_e32 v3, 21, v3
	s_and_not1_saveexec_b32 s9, s0
	s_cbranch_execnz .LBB251_2340
.LBB251_520:
	s_or_b32 exec_lo, exec_lo, s9
	v_mov_b32_e32 v21, 0
	s_and_saveexec_b32 s0, s8
.LBB251_521:
	v_lshrrev_b32_e32 v2, 24, v2
	s_delay_alu instid0(VALU_DEP_1)
	v_and_or_b32 v21, 0x80, v2, v3
.LBB251_522:
	s_or_b32 exec_lo, exec_lo, s0
.LBB251_523:
	s_delay_alu instid0(SALU_CYCLE_1)
	s_or_b32 exec_lo, exec_lo, s7
.LBB251_524:
	s_delay_alu instid0(SALU_CYCLE_1)
	s_or_b32 exec_lo, exec_lo, s6
                                        ; implicit-def: $vgpr2_vgpr3
.LBB251_525:
	s_and_not1_saveexec_b32 s5, s5
	s_cbranch_execz .LBB251_533
; %bb.526:
	flat_load_u16 v2, v[2:3]
	s_wait_loadcnt_dscnt 0x101
	v_mov_b32_e32 v21, 0x80
	s_mov_b32 s6, exec_lo
	s_wait_loadcnt_dscnt 0x0
	v_cvt_f32_f16_e32 v2, v2
	s_delay_alu instid0(VALU_DEP_1) | instskip(NEXT) | instid1(VALU_DEP_1)
	v_and_b32_e32 v3, 0x7fffffff, v2
	v_cmpx_gt_u32_e32 0x47800000, v3
	s_cbranch_execz .LBB251_532
; %bb.527:
	v_cmp_lt_u32_e64 s0, 0x37ffffff, v3
	s_mov_b32 s7, 0
                                        ; implicit-def: $vgpr3
	s_and_saveexec_b32 s8, s0
	s_delay_alu instid0(SALU_CYCLE_1)
	s_xor_b32 s0, exec_lo, s8
	s_cbranch_execz .LBB251_2264
; %bb.528:
	v_bfe_u32 v3, v2, 21, 1
	s_mov_b32 s7, exec_lo
	s_delay_alu instid0(VALU_DEP_1) | instskip(NEXT) | instid1(VALU_DEP_1)
	v_add3_u32 v3, v2, v3, 0x88fffff
	v_lshrrev_b32_e32 v3, 21, v3
	s_and_not1_saveexec_b32 s8, s0
	s_cbranch_execnz .LBB251_2265
.LBB251_529:
	s_or_b32 exec_lo, exec_lo, s8
	v_mov_b32_e32 v21, 0
	s_and_saveexec_b32 s0, s7
.LBB251_530:
	v_lshrrev_b32_e32 v2, 24, v2
	s_delay_alu instid0(VALU_DEP_1)
	v_and_or_b32 v21, 0x80, v2, v3
.LBB251_531:
	s_or_b32 exec_lo, exec_lo, s0
.LBB251_532:
	s_delay_alu instid0(SALU_CYCLE_1)
	s_or_b32 exec_lo, exec_lo, s6
.LBB251_533:
	s_delay_alu instid0(SALU_CYCLE_1)
	s_or_b32 exec_lo, exec_lo, s5
.LBB251_534:
	s_delay_alu instid0(SALU_CYCLE_1)
	s_or_b32 exec_lo, exec_lo, s4
                                        ; implicit-def: $vgpr2_vgpr3
.LBB251_535:
	s_and_not1_saveexec_b32 s3, s3
	s_cbranch_execz .LBB251_583
; %bb.536:
	s_mov_b32 s4, exec_lo
                                        ; implicit-def: $vgpr21
	v_cmpx_lt_i16_e32 1, v18
	s_xor_b32 s4, exec_lo, s4
	s_cbranch_execz .LBB251_564
; %bb.537:
	s_mov_b32 s5, exec_lo
                                        ; implicit-def: $vgpr21
	v_cmpx_lt_i16_e32 2, v18
	s_xor_b32 s5, exec_lo, s5
	;; [unrolled: 6-line block ×3, first 2 shown]
	s_cbranch_execz .LBB251_546
; %bb.539:
	flat_load_b64 v[2:3], v[2:3]
	s_wait_loadcnt_dscnt 0x101
	v_mov_b32_e32 v21, 0x80
	s_mov_b32 s7, exec_lo
	s_wait_loadcnt_dscnt 0x0
	v_xor_b32_e32 v7, v2, v3
	v_cls_i32_e32 v9, v3
	s_delay_alu instid0(VALU_DEP_2) | instskip(NEXT) | instid1(VALU_DEP_1)
	v_ashrrev_i32_e32 v7, 31, v7
	v_add_nc_u32_e32 v7, 32, v7
	s_delay_alu instid0(VALU_DEP_1) | instskip(SKIP_1) | instid1(VALU_DEP_1)
	v_add_min_u32_e64 v7, v9, -1, v7
	s_wait_xcnt 0x0
	v_lshlrev_b64_e32 v[2:3], v7, v[2:3]
	s_delay_alu instid0(VALU_DEP_1) | instskip(NEXT) | instid1(VALU_DEP_1)
	v_min_u32_e32 v2, 1, v2
	v_dual_sub_nc_u32 v3, 32, v7 :: v_dual_bitop2_b32 v2, v3, v2 bitop3:0x54
	s_delay_alu instid0(VALU_DEP_1) | instskip(NEXT) | instid1(VALU_DEP_1)
	v_cvt_f32_i32_e32 v2, v2
	v_ldexp_f32 v2, v2, v3
	s_delay_alu instid0(VALU_DEP_1) | instskip(NEXT) | instid1(VALU_DEP_1)
	v_and_b32_e32 v3, 0x7fffffff, v2
	v_cmpx_gt_u32_e32 0x47800000, v3
	s_cbranch_execz .LBB251_545
; %bb.540:
	v_cmp_lt_u32_e64 s0, 0x37ffffff, v3
	s_mov_b32 s8, 0
                                        ; implicit-def: $vgpr3
	s_and_saveexec_b32 s9, s0
	s_delay_alu instid0(SALU_CYCLE_1)
	s_xor_b32 s0, exec_lo, s9
	s_cbranch_execz .LBB251_2341
; %bb.541:
	v_bfe_u32 v3, v2, 21, 1
	s_mov_b32 s8, exec_lo
	s_delay_alu instid0(VALU_DEP_1) | instskip(NEXT) | instid1(VALU_DEP_1)
	v_add3_u32 v3, v2, v3, 0x88fffff
	v_lshrrev_b32_e32 v3, 21, v3
	s_and_not1_saveexec_b32 s9, s0
	s_cbranch_execnz .LBB251_2342
.LBB251_542:
	s_or_b32 exec_lo, exec_lo, s9
	v_mov_b32_e32 v21, 0
	s_and_saveexec_b32 s0, s8
.LBB251_543:
	v_lshrrev_b32_e32 v2, 24, v2
	s_delay_alu instid0(VALU_DEP_1)
	v_and_or_b32 v21, 0x80, v2, v3
.LBB251_544:
	s_or_b32 exec_lo, exec_lo, s0
.LBB251_545:
	s_delay_alu instid0(SALU_CYCLE_1)
	s_or_b32 exec_lo, exec_lo, s7
                                        ; implicit-def: $vgpr2_vgpr3
.LBB251_546:
	s_and_not1_saveexec_b32 s6, s6
	s_cbranch_execz .LBB251_554
; %bb.547:
	flat_load_b32 v2, v[2:3]
	s_wait_loadcnt_dscnt 0x101
	v_mov_b32_e32 v21, 0x80
	s_mov_b32 s7, exec_lo
	s_wait_loadcnt_dscnt 0x0
	v_cvt_f32_i32_e32 v2, v2
	s_delay_alu instid0(VALU_DEP_1) | instskip(NEXT) | instid1(VALU_DEP_1)
	v_and_b32_e32 v3, 0x7fffffff, v2
	v_cmpx_gt_u32_e32 0x47800000, v3
	s_cbranch_execz .LBB251_553
; %bb.548:
	v_cmp_lt_u32_e64 s0, 0x37ffffff, v3
	s_mov_b32 s8, 0
                                        ; implicit-def: $vgpr3
	s_and_saveexec_b32 s9, s0
	s_delay_alu instid0(SALU_CYCLE_1)
	s_xor_b32 s0, exec_lo, s9
	s_cbranch_execz .LBB251_2343
; %bb.549:
	v_bfe_u32 v3, v2, 21, 1
	s_mov_b32 s8, exec_lo
	s_delay_alu instid0(VALU_DEP_1) | instskip(NEXT) | instid1(VALU_DEP_1)
	v_add3_u32 v3, v2, v3, 0x88fffff
	v_lshrrev_b32_e32 v3, 21, v3
	s_and_not1_saveexec_b32 s9, s0
	s_cbranch_execnz .LBB251_2344
.LBB251_550:
	s_or_b32 exec_lo, exec_lo, s9
	v_mov_b32_e32 v21, 0
	s_and_saveexec_b32 s0, s8
.LBB251_551:
	v_lshrrev_b32_e32 v2, 24, v2
	s_delay_alu instid0(VALU_DEP_1)
	v_and_or_b32 v21, 0x80, v2, v3
.LBB251_552:
	s_or_b32 exec_lo, exec_lo, s0
.LBB251_553:
	s_delay_alu instid0(SALU_CYCLE_1)
	s_or_b32 exec_lo, exec_lo, s7
.LBB251_554:
	s_delay_alu instid0(SALU_CYCLE_1)
	s_or_b32 exec_lo, exec_lo, s6
                                        ; implicit-def: $vgpr2_vgpr3
.LBB251_555:
	s_and_not1_saveexec_b32 s5, s5
	s_cbranch_execz .LBB251_563
; %bb.556:
	flat_load_i16 v2, v[2:3]
	s_wait_loadcnt_dscnt 0x101
	v_mov_b32_e32 v21, 0x80
	s_mov_b32 s6, exec_lo
	s_wait_loadcnt_dscnt 0x0
	v_cvt_f32_i32_e32 v2, v2
	s_delay_alu instid0(VALU_DEP_1) | instskip(NEXT) | instid1(VALU_DEP_1)
	v_and_b32_e32 v3, 0x7fffffff, v2
	v_cmpx_gt_u32_e32 0x47800000, v3
	s_cbranch_execz .LBB251_562
; %bb.557:
	v_cmp_lt_u32_e64 s0, 0x37ffffff, v3
	s_mov_b32 s7, 0
                                        ; implicit-def: $vgpr3
	s_and_saveexec_b32 s8, s0
	s_delay_alu instid0(SALU_CYCLE_1)
	s_xor_b32 s0, exec_lo, s8
	s_cbranch_execz .LBB251_2266
; %bb.558:
	v_bfe_u32 v3, v2, 21, 1
	s_mov_b32 s7, exec_lo
	s_delay_alu instid0(VALU_DEP_1) | instskip(NEXT) | instid1(VALU_DEP_1)
	v_add3_u32 v3, v2, v3, 0x88fffff
	v_lshrrev_b32_e32 v3, 21, v3
	s_and_not1_saveexec_b32 s8, s0
	s_cbranch_execnz .LBB251_2267
.LBB251_559:
	s_or_b32 exec_lo, exec_lo, s8
	v_mov_b32_e32 v21, 0
	s_and_saveexec_b32 s0, s7
.LBB251_560:
	v_lshrrev_b32_e32 v2, 24, v2
	s_delay_alu instid0(VALU_DEP_1)
	v_and_or_b32 v21, 0x80, v2, v3
.LBB251_561:
	s_or_b32 exec_lo, exec_lo, s0
.LBB251_562:
	s_delay_alu instid0(SALU_CYCLE_1)
	s_or_b32 exec_lo, exec_lo, s6
.LBB251_563:
	s_delay_alu instid0(SALU_CYCLE_1)
	s_or_b32 exec_lo, exec_lo, s5
                                        ; implicit-def: $vgpr2_vgpr3
.LBB251_564:
	s_and_not1_saveexec_b32 s4, s4
	s_cbranch_execz .LBB251_582
; %bb.565:
	s_mov_b32 s5, exec_lo
                                        ; implicit-def: $vgpr21
	v_cmpx_lt_i16_e32 0, v18
	s_xor_b32 s5, exec_lo, s5
	s_cbranch_execz .LBB251_573
; %bb.566:
	flat_load_i8 v2, v[2:3]
	s_wait_loadcnt_dscnt 0x101
	v_mov_b32_e32 v21, 0x80
	s_mov_b32 s6, exec_lo
	s_wait_loadcnt_dscnt 0x0
	v_cvt_f32_i32_e32 v2, v2
	s_delay_alu instid0(VALU_DEP_1) | instskip(NEXT) | instid1(VALU_DEP_1)
	v_and_b32_e32 v3, 0x7fffffff, v2
	v_cmpx_gt_u32_e32 0x47800000, v3
	s_cbranch_execz .LBB251_572
; %bb.567:
	v_cmp_lt_u32_e64 s0, 0x37ffffff, v3
	s_mov_b32 s7, 0
                                        ; implicit-def: $vgpr3
	s_and_saveexec_b32 s8, s0
	s_delay_alu instid0(SALU_CYCLE_1)
	s_xor_b32 s0, exec_lo, s8
	s_cbranch_execz .LBB251_2268
; %bb.568:
	v_bfe_u32 v3, v2, 21, 1
	s_mov_b32 s7, exec_lo
	s_delay_alu instid0(VALU_DEP_1) | instskip(NEXT) | instid1(VALU_DEP_1)
	v_add3_u32 v3, v2, v3, 0x88fffff
	v_lshrrev_b32_e32 v3, 21, v3
	s_and_not1_saveexec_b32 s8, s0
	s_cbranch_execnz .LBB251_2269
.LBB251_569:
	s_or_b32 exec_lo, exec_lo, s8
	v_mov_b32_e32 v21, 0
	s_and_saveexec_b32 s0, s7
.LBB251_570:
	v_lshrrev_b32_e32 v2, 24, v2
	s_delay_alu instid0(VALU_DEP_1)
	v_and_or_b32 v21, 0x80, v2, v3
.LBB251_571:
	s_or_b32 exec_lo, exec_lo, s0
.LBB251_572:
	s_delay_alu instid0(SALU_CYCLE_1)
	s_or_b32 exec_lo, exec_lo, s6
                                        ; implicit-def: $vgpr2_vgpr3
.LBB251_573:
	s_and_not1_saveexec_b32 s5, s5
	s_cbranch_execz .LBB251_581
; %bb.574:
	flat_load_u8 v2, v[2:3]
	s_wait_loadcnt_dscnt 0x101
	v_mov_b32_e32 v21, 0x80
	s_mov_b32 s6, exec_lo
	s_wait_loadcnt_dscnt 0x0
	v_cvt_f32_ubyte0_e32 v3, v2
	s_delay_alu instid0(VALU_DEP_1)
	v_cmpx_gt_u32_e32 0x47800000, v3
	s_cbranch_execz .LBB251_580
; %bb.575:
	v_cmp_lt_u32_e64 s0, 0x37ffffff, v3
	s_mov_b32 s7, 0
                                        ; implicit-def: $vgpr2
	s_and_saveexec_b32 s8, s0
	s_delay_alu instid0(SALU_CYCLE_1)
	s_xor_b32 s0, exec_lo, s8
	s_cbranch_execz .LBB251_2270
; %bb.576:
	v_bfe_u32 v2, v3, 21, 1
	s_mov_b32 s7, exec_lo
	s_delay_alu instid0(VALU_DEP_1) | instskip(NEXT) | instid1(VALU_DEP_1)
	v_add3_u32 v2, v3, v2, 0x88fffff
                                        ; implicit-def: $vgpr3
	v_lshrrev_b32_e32 v2, 21, v2
	s_and_not1_saveexec_b32 s8, s0
	s_cbranch_execnz .LBB251_2271
.LBB251_577:
	s_or_b32 exec_lo, exec_lo, s8
	v_mov_b32_e32 v21, 0
	s_and_saveexec_b32 s0, s7
.LBB251_578:
	v_mov_b32_e32 v21, v2
.LBB251_579:
	s_or_b32 exec_lo, exec_lo, s0
.LBB251_580:
	s_delay_alu instid0(SALU_CYCLE_1)
	s_or_b32 exec_lo, exec_lo, s6
.LBB251_581:
	s_delay_alu instid0(SALU_CYCLE_1)
	s_or_b32 exec_lo, exec_lo, s5
.LBB251_582:
	s_delay_alu instid0(SALU_CYCLE_1)
	s_or_b32 exec_lo, exec_lo, s4
.LBB251_583:
	s_delay_alu instid0(SALU_CYCLE_1) | instskip(NEXT) | instid1(SALU_CYCLE_1)
	s_or_b32 exec_lo, exec_lo, s3
	s_or_b32 s17, s17, exec_lo
.LBB251_584:
	s_or_b32 exec_lo, exec_lo, s1
	s_mov_b32 s1, 0
	s_mov_b32 s5, 0
                                        ; implicit-def: $sgpr18
                                        ; implicit-def: $vgpr12_vgpr13
                                        ; implicit-def: $vgpr7
	s_and_saveexec_b32 s3, s17
	s_cbranch_execz .LBB251_1919
; %bb.585:
	s_clause 0x2
	scratch_load_b32 v20, off, off offset:32
	scratch_load_b64 v[2:3], off, off offset:16
	scratch_load_u8 v15, off, off offset:42
	s_mov_b32 s6, 0
	s_mov_b32 s4, s2
	s_mov_b32 s1, exec_lo
	s_wait_loadcnt 0x2
	v_mul_lo_u32 v8, v20, v8
	s_delay_alu instid0(VALU_DEP_1) | instskip(SKIP_1) | instid1(VALU_DEP_1)
	v_ashrrev_i32_e32 v9, 31, v8
	s_wait_loadcnt 0x1
	v_add_nc_u64_e32 v[10:11], v[2:3], v[8:9]
                                        ; implicit-def: $vgpr9
	s_wait_loadcnt 0x0
	v_cmpx_lt_i16_e32 10, v15
	s_xor_b32 s1, exec_lo, s1
	s_cbranch_execz .LBB251_666
; %bb.586:
	s_mov_b32 s4, 0
	s_mov_b32 s7, 0
	s_mov_b32 s5, exec_lo
                                        ; implicit-def: $vgpr9
	v_cmpx_lt_i16_e32 25, v15
	s_xor_b32 s5, exec_lo, s5
	s_cbranch_execz .LBB251_2087
; %bb.587:
	s_mov_b32 s8, 0
	s_mov_b32 s6, exec_lo
                                        ; implicit-def: $vgpr9
	v_cmpx_lt_i16_e32 28, v15
	s_xor_b32 s6, exec_lo, s6
	s_cbranch_execz .LBB251_621
; %bb.588:
	s_mov_b32 s9, 0
	s_mov_b32 s10, 0
	s_mov_b32 s7, exec_lo
                                        ; implicit-def: $vgpr9
	v_cmpx_lt_i16_e32 43, v15
	s_xor_b32 s7, exec_lo, s7
	s_cbranch_execz .LBB251_610
; %bb.589:
	s_mov_b32 s10, exec_lo
                                        ; implicit-def: $vgpr9
	v_cmpx_lt_i16_e32 45, v15
	s_xor_b32 s10, exec_lo, s10
	s_cbranch_execz .LBB251_599
; %bb.590:
	s_mov_b32 s11, -1
	s_mov_b32 s8, exec_lo
                                        ; implicit-def: $vgpr9
	v_cmpx_eq_u16_e32 46, v15
	s_cbranch_execz .LBB251_598
; %bb.591:
	flat_load_b32 v7, v[10:11]
	v_mov_b32_e32 v9, 0x80
	s_mov_b32 s9, exec_lo
	s_wait_loadcnt_dscnt 0x0
	v_lshlrev_b32_e32 v7, 16, v7
	s_delay_alu instid0(VALU_DEP_1) | instskip(SKIP_1) | instid1(VALU_DEP_1)
	v_and_b32_e32 v12, 0x7fffffff, v7
	s_wait_xcnt 0x0
	v_cmpx_gt_u32_e32 0x47800000, v12
	s_cbranch_execz .LBB251_597
; %bb.592:
	v_cmp_lt_u32_e64 s0, 0x37ffffff, v12
	s_mov_b32 s11, 0
                                        ; implicit-def: $vgpr12
	s_and_saveexec_b32 s12, s0
	s_delay_alu instid0(SALU_CYCLE_1)
	s_xor_b32 s0, exec_lo, s12
	s_cbranch_execz .LBB251_2509
; %bb.593:
	v_bfe_u32 v9, v7, 21, 1
	s_mov_b32 s11, exec_lo
	s_delay_alu instid0(VALU_DEP_1) | instskip(NEXT) | instid1(VALU_DEP_1)
	v_add3_u32 v9, v7, v9, 0x88fffff
	v_lshrrev_b32_e32 v12, 21, v9
	s_and_not1_saveexec_b32 s12, s0
	s_cbranch_execnz .LBB251_2510
.LBB251_594:
	s_or_b32 exec_lo, exec_lo, s12
	v_mov_b32_e32 v9, 0
	s_and_saveexec_b32 s0, s11
.LBB251_595:
	v_lshrrev_b32_e32 v7, 24, v7
	s_delay_alu instid0(VALU_DEP_1)
	v_and_or_b32 v9, 0x80, v7, v12
.LBB251_596:
	s_or_b32 exec_lo, exec_lo, s0
.LBB251_597:
	s_delay_alu instid0(SALU_CYCLE_1) | instskip(NEXT) | instid1(SALU_CYCLE_1)
	s_or_b32 exec_lo, exec_lo, s9
	s_mov_b32 s9, exec_lo
	s_xor_b32 s11, exec_lo, -1
.LBB251_598:
	s_or_b32 exec_lo, exec_lo, s8
	s_delay_alu instid0(SALU_CYCLE_1)
	s_and_b32 s9, s9, exec_lo
	s_and_b32 s8, s11, exec_lo
.LBB251_599:
	s_and_not1_saveexec_b32 s10, s10
	s_cbranch_execz .LBB251_609
; %bb.600:
	s_mov_b32 s12, -1
	s_mov_b32 s13, s9
	s_mov_b32 s11, exec_lo
                                        ; implicit-def: $vgpr9
	v_cmpx_eq_u16_e32 44, v15
	s_cbranch_execz .LBB251_608
; %bb.601:
	flat_load_u8 v7, v[10:11]
	s_mov_b32 s13, 0
	s_mov_b32 s12, exec_lo
	s_wait_loadcnt_dscnt 0x0
	v_lshlrev_b32_e32 v9, 23, v7
	v_cmp_ne_u32_e64 s0, 0xff, v7
	s_delay_alu instid0(VALU_DEP_1) | instskip(SKIP_1) | instid1(VALU_DEP_1)
	v_cndmask_b32_e64 v9, 0x7f800001, v9, s0
	v_cmp_ne_u32_e64 s0, 0, v7
	v_cndmask_b32_e64 v12, 0x400000, v9, s0
	v_mov_b32_e32 v9, 0x80
	s_wait_xcnt 0x0
	s_delay_alu instid0(VALU_DEP_2)
	v_cmpx_gt_u32_e32 0x47800000, v12
	s_cbranch_execz .LBB251_607
; %bb.602:
	v_cmp_lt_u32_e64 s0, 0x37ffffff, v12
                                        ; implicit-def: $vgpr7
	s_and_saveexec_b32 s14, s0
	s_delay_alu instid0(SALU_CYCLE_1)
	s_xor_b32 s0, exec_lo, s14
	s_cbranch_execz .LBB251_2511
; %bb.603:
	v_bfe_u32 v7, v12, 21, 1
	s_mov_b32 s13, exec_lo
	s_delay_alu instid0(VALU_DEP_1) | instskip(NEXT) | instid1(VALU_DEP_1)
	v_add3_u32 v7, v12, v7, 0x88fffff
                                        ; implicit-def: $vgpr12
	v_lshrrev_b32_e32 v7, 21, v7
	s_and_not1_saveexec_b32 s14, s0
	s_cbranch_execnz .LBB251_2512
.LBB251_604:
	s_or_b32 exec_lo, exec_lo, s14
	v_mov_b32_e32 v9, 0
	s_and_saveexec_b32 s0, s13
.LBB251_605:
	v_mov_b32_e32 v9, v7
.LBB251_606:
	s_or_b32 exec_lo, exec_lo, s0
.LBB251_607:
	s_delay_alu instid0(SALU_CYCLE_1) | instskip(NEXT) | instid1(SALU_CYCLE_1)
	s_or_b32 exec_lo, exec_lo, s12
	s_or_b32 s13, s9, exec_lo
	s_xor_b32 s12, exec_lo, -1
.LBB251_608:
	s_or_b32 exec_lo, exec_lo, s11
	s_delay_alu instid0(SALU_CYCLE_1)
	s_and_not1_b32 s0, s9, exec_lo
	s_and_b32 s9, s13, exec_lo
	s_and_not1_b32 s8, s8, exec_lo
	s_and_b32 s11, s12, exec_lo
	s_or_b32 s9, s0, s9
	s_or_b32 s8, s8, s11
.LBB251_609:
	s_or_b32 exec_lo, exec_lo, s10
	s_delay_alu instid0(SALU_CYCLE_1)
	s_and_b32 s10, s9, exec_lo
	s_and_b32 s9, s8, exec_lo
.LBB251_610:
	s_and_not1_saveexec_b32 s7, s7
	s_cbranch_execz .LBB251_620
; %bb.611:
	s_mov_b32 s11, -1
	s_mov_b32 s12, s10
	s_mov_b32 s8, exec_lo
                                        ; implicit-def: $vgpr9
	v_cmpx_eq_u16_e32 29, v15
	s_cbranch_execz .LBB251_619
; %bb.612:
	flat_load_b64 v[12:13], v[10:11]
	s_mov_b32 s11, exec_lo
	s_wait_loadcnt_dscnt 0x0
	v_clz_i32_u32_e32 v7, v13
	s_delay_alu instid0(VALU_DEP_1) | instskip(NEXT) | instid1(VALU_DEP_1)
	v_min_u32_e32 v7, 32, v7
	v_lshlrev_b64_e32 v[12:13], v7, v[12:13]
	v_sub_nc_u32_e32 v7, 32, v7
	s_delay_alu instid0(VALU_DEP_2) | instskip(NEXT) | instid1(VALU_DEP_1)
	v_min_u32_e32 v9, 1, v12
	v_or_b32_e32 v9, v13, v9
	s_delay_alu instid0(VALU_DEP_1) | instskip(NEXT) | instid1(VALU_DEP_1)
	v_cvt_f32_u32_e32 v9, v9
	v_ldexp_f32 v12, v9, v7
	v_mov_b32_e32 v9, 0x80
	s_wait_xcnt 0x0
	s_delay_alu instid0(VALU_DEP_2)
	v_cmpx_gt_u32_e32 0x47800000, v12
	s_cbranch_execz .LBB251_618
; %bb.613:
	v_cmp_lt_u32_e64 s0, 0x37ffffff, v12
	s_mov_b32 s12, 0
                                        ; implicit-def: $vgpr7
	s_and_saveexec_b32 s13, s0
	s_delay_alu instid0(SALU_CYCLE_1)
	s_xor_b32 s0, exec_lo, s13
	s_cbranch_execz .LBB251_2414
; %bb.614:
	v_bfe_u32 v7, v12, 21, 1
	s_mov_b32 s12, exec_lo
	s_delay_alu instid0(VALU_DEP_1) | instskip(NEXT) | instid1(VALU_DEP_1)
	v_add3_u32 v7, v12, v7, 0x88fffff
                                        ; implicit-def: $vgpr12
	v_lshrrev_b32_e32 v7, 21, v7
	s_and_not1_saveexec_b32 s13, s0
	s_cbranch_execnz .LBB251_2415
.LBB251_615:
	s_or_b32 exec_lo, exec_lo, s13
	v_mov_b32_e32 v9, 0
	s_and_saveexec_b32 s0, s12
.LBB251_616:
	v_mov_b32_e32 v9, v7
.LBB251_617:
	s_or_b32 exec_lo, exec_lo, s0
.LBB251_618:
	s_delay_alu instid0(SALU_CYCLE_1) | instskip(NEXT) | instid1(SALU_CYCLE_1)
	s_or_b32 exec_lo, exec_lo, s11
	s_or_b32 s12, s10, exec_lo
	s_xor_b32 s11, exec_lo, -1
.LBB251_619:
	s_or_b32 exec_lo, exec_lo, s8
	s_delay_alu instid0(SALU_CYCLE_1)
	s_and_not1_b32 s0, s10, exec_lo
	s_and_b32 s8, s12, exec_lo
	s_and_not1_b32 s9, s9, exec_lo
	s_and_b32 s11, s11, exec_lo
	s_or_b32 s10, s0, s8
	s_or_b32 s9, s9, s11
.LBB251_620:
	s_or_b32 exec_lo, exec_lo, s7
	s_delay_alu instid0(SALU_CYCLE_1)
	s_and_b32 s8, s10, exec_lo
	s_and_b32 s7, s9, exec_lo
.LBB251_621:
	s_and_not1_saveexec_b32 s6, s6
	s_cbranch_execz .LBB251_655
; %bb.622:
	s_mov_b32 s9, exec_lo
                                        ; implicit-def: $vgpr9
	v_cmpx_lt_i16_e32 26, v15
	s_xor_b32 s9, exec_lo, s9
	s_cbranch_execz .LBB251_640
; %bb.623:
	s_mov_b32 s10, exec_lo
                                        ; implicit-def: $vgpr9
	v_cmpx_lt_i16_e32 27, v15
	s_xor_b32 s10, exec_lo, s10
	s_cbranch_execz .LBB251_631
; %bb.624:
	flat_load_b32 v7, v[10:11]
	v_mov_b32_e32 v9, 0x80
	s_mov_b32 s11, exec_lo
	s_wait_loadcnt_dscnt 0x0
	v_cvt_f32_u32_e32 v12, v7
	s_wait_xcnt 0x0
	s_delay_alu instid0(VALU_DEP_1)
	v_cmpx_gt_u32_e32 0x47800000, v12
	s_cbranch_execz .LBB251_630
; %bb.625:
	v_cmp_lt_u32_e64 s0, 0x37ffffff, v12
	s_mov_b32 s12, 0
                                        ; implicit-def: $vgpr7
	s_and_saveexec_b32 s13, s0
	s_delay_alu instid0(SALU_CYCLE_1)
	s_xor_b32 s0, exec_lo, s13
	s_cbranch_execz .LBB251_2416
; %bb.626:
	v_bfe_u32 v7, v12, 21, 1
	s_mov_b32 s12, exec_lo
	s_delay_alu instid0(VALU_DEP_1) | instskip(NEXT) | instid1(VALU_DEP_1)
	v_add3_u32 v7, v12, v7, 0x88fffff
                                        ; implicit-def: $vgpr12
	v_lshrrev_b32_e32 v7, 21, v7
	s_and_not1_saveexec_b32 s13, s0
	s_cbranch_execnz .LBB251_2417
.LBB251_627:
	s_or_b32 exec_lo, exec_lo, s13
	v_mov_b32_e32 v9, 0
	s_and_saveexec_b32 s0, s12
.LBB251_628:
	v_mov_b32_e32 v9, v7
.LBB251_629:
	s_or_b32 exec_lo, exec_lo, s0
.LBB251_630:
	s_delay_alu instid0(SALU_CYCLE_1)
	s_or_b32 exec_lo, exec_lo, s11
.LBB251_631:
	s_and_not1_saveexec_b32 s10, s10
	s_cbranch_execz .LBB251_639
; %bb.632:
	flat_load_u16 v7, v[10:11]
	v_mov_b32_e32 v9, 0x80
	s_mov_b32 s11, exec_lo
	s_wait_loadcnt_dscnt 0x0
	v_cvt_f32_u32_e32 v12, v7
	s_wait_xcnt 0x0
	s_delay_alu instid0(VALU_DEP_1)
	v_cmpx_gt_u32_e32 0x47800000, v12
	s_cbranch_execz .LBB251_638
; %bb.633:
	v_cmp_lt_u32_e64 s0, 0x37ffffff, v12
	s_mov_b32 s12, 0
                                        ; implicit-def: $vgpr7
	s_and_saveexec_b32 s13, s0
	s_delay_alu instid0(SALU_CYCLE_1)
	s_xor_b32 s0, exec_lo, s13
	s_cbranch_execz .LBB251_2418
; %bb.634:
	v_bfe_u32 v7, v12, 21, 1
	s_mov_b32 s12, exec_lo
	s_delay_alu instid0(VALU_DEP_1) | instskip(NEXT) | instid1(VALU_DEP_1)
	v_add3_u32 v7, v12, v7, 0x88fffff
                                        ; implicit-def: $vgpr12
	v_lshrrev_b32_e32 v7, 21, v7
	s_and_not1_saveexec_b32 s13, s0
	s_cbranch_execnz .LBB251_2419
.LBB251_635:
	s_or_b32 exec_lo, exec_lo, s13
	v_mov_b32_e32 v9, 0
	s_and_saveexec_b32 s0, s12
.LBB251_636:
	v_mov_b32_e32 v9, v7
.LBB251_637:
	s_or_b32 exec_lo, exec_lo, s0
.LBB251_638:
	s_delay_alu instid0(SALU_CYCLE_1)
	s_or_b32 exec_lo, exec_lo, s11
.LBB251_639:
	s_delay_alu instid0(SALU_CYCLE_1)
	s_or_b32 exec_lo, exec_lo, s10
.LBB251_640:
	s_and_not1_saveexec_b32 s9, s9
	s_cbranch_execz .LBB251_654
; %bb.641:
	flat_load_u8 v9, v[10:11]
	s_mov_b32 s10, 0
	s_mov_b32 s11, exec_lo
	s_wait_loadcnt_dscnt 0x0
	v_cmpx_lt_i16_e32 0x7f, v9
	s_xor_b32 s11, exec_lo, s11
	s_cbranch_execz .LBB251_2272
; %bb.642:
	s_mov_b32 s10, -1
	s_mov_b32 s12, exec_lo
	v_cmpx_eq_u16_e32 0x80, v9
; %bb.643:
	s_xor_b32 s10, exec_lo, -1
; %bb.644:
	s_or_b32 exec_lo, exec_lo, s12
	s_delay_alu instid0(SALU_CYCLE_1)
	s_and_b32 s10, s10, exec_lo
	s_or_saveexec_b32 s11, s11
	v_mov_b32_e32 v7, 0x7f800001
	s_xor_b32 exec_lo, exec_lo, s11
	s_cbranch_execnz .LBB251_2273
.LBB251_645:
	s_or_b32 exec_lo, exec_lo, s11
	s_and_saveexec_b32 s11, s10
	s_cbranch_execz .LBB251_647
.LBB251_646:
	v_and_b32_e32 v7, 0xffff, v9
	s_delay_alu instid0(VALU_DEP_1) | instskip(SKIP_1) | instid1(VALU_DEP_2)
	v_and_b32_e32 v12, 7, v7
	v_bfe_u32 v23, v7, 3, 4
	v_clz_i32_u32_e32 v13, v12
	s_delay_alu instid0(VALU_DEP_2) | instskip(NEXT) | instid1(VALU_DEP_2)
	v_cmp_eq_u32_e64 s0, 0, v23
	v_min_u32_e32 v13, 32, v13
	s_delay_alu instid0(VALU_DEP_1) | instskip(NEXT) | instid1(VALU_DEP_1)
	v_subrev_nc_u32_e32 v22, 28, v13
	v_dual_lshlrev_b32 v7, v22, v7 :: v_dual_sub_nc_u32 v13, 29, v13
	s_delay_alu instid0(VALU_DEP_1) | instskip(NEXT) | instid1(VALU_DEP_1)
	v_dual_lshlrev_b32 v9, 24, v9 :: v_dual_bitop2_b32 v7, 7, v7 bitop3:0x40
	v_dual_cndmask_b32 v7, v12, v7, s0 :: v_dual_cndmask_b32 v13, v23, v13, s0
	s_delay_alu instid0(VALU_DEP_2) | instskip(NEXT) | instid1(VALU_DEP_2)
	v_and_b32_e32 v9, 0x80000000, v9
	v_lshlrev_b32_e32 v7, 20, v7
	s_delay_alu instid0(VALU_DEP_3) | instskip(NEXT) | instid1(VALU_DEP_1)
	v_lshl_add_u32 v12, v13, 23, 0x3b800000
	v_or3_b32 v7, v9, v12, v7
.LBB251_647:
	s_or_b32 exec_lo, exec_lo, s11
	s_delay_alu instid0(VALU_DEP_1) | instskip(SKIP_2) | instid1(VALU_DEP_2)
	v_and_b32_e32 v12, 0x7fffffff, v7
	v_mov_b32_e32 v9, 0x80
	s_mov_b32 s10, exec_lo
	v_cmpx_gt_u32_e32 0x47800000, v12
	s_cbranch_execz .LBB251_653
; %bb.648:
	v_cmp_lt_u32_e64 s0, 0x37ffffff, v12
	s_mov_b32 s11, 0
                                        ; implicit-def: $vgpr12
	s_and_saveexec_b32 s12, s0
	s_delay_alu instid0(SALU_CYCLE_1)
	s_xor_b32 s0, exec_lo, s12
	s_cbranch_execz .LBB251_2345
; %bb.649:
	v_bfe_u32 v9, v7, 21, 1
	s_mov_b32 s11, exec_lo
	s_delay_alu instid0(VALU_DEP_1) | instskip(NEXT) | instid1(VALU_DEP_1)
	v_add3_u32 v9, v7, v9, 0x88fffff
	v_lshrrev_b32_e32 v12, 21, v9
	s_and_not1_saveexec_b32 s12, s0
	s_cbranch_execnz .LBB251_2346
.LBB251_650:
	s_or_b32 exec_lo, exec_lo, s12
	v_mov_b32_e32 v9, 0
	s_and_saveexec_b32 s0, s11
.LBB251_651:
	v_lshrrev_b32_e32 v7, 24, v7
	s_delay_alu instid0(VALU_DEP_1)
	v_and_or_b32 v9, 0x80, v7, v12
.LBB251_652:
	s_or_b32 exec_lo, exec_lo, s0
.LBB251_653:
	s_delay_alu instid0(SALU_CYCLE_1)
	s_or_b32 exec_lo, exec_lo, s10
.LBB251_654:
	s_delay_alu instid0(SALU_CYCLE_1) | instskip(NEXT) | instid1(SALU_CYCLE_1)
	s_or_b32 exec_lo, exec_lo, s9
	s_or_b32 s8, s8, exec_lo
.LBB251_655:
	s_or_b32 exec_lo, exec_lo, s6
	s_delay_alu instid0(SALU_CYCLE_1)
	s_and_b32 s6, s8, exec_lo
	s_and_b32 s7, s7, exec_lo
	s_and_not1_saveexec_b32 s5, s5
	s_cbranch_execnz .LBB251_2088
.LBB251_656:
	s_or_b32 exec_lo, exec_lo, s5
	s_mov_b32 s5, s2
	s_and_saveexec_b32 s0, s7
	s_cbranch_execnz .LBB251_2125
.LBB251_657:
	s_or_b32 exec_lo, exec_lo, s0
	s_and_saveexec_b32 s0, s4
	s_delay_alu instid0(SALU_CYCLE_1)
	s_xor_b32 s4, exec_lo, s0
	s_cbranch_execz .LBB251_665
.LBB251_658:
	flat_load_u8 v7, v[10:11]
	s_wait_loadcnt_dscnt 0x101
	v_mov_b32_e32 v9, 0x80
	s_mov_b32 s8, 0
	s_mov_b32 s7, exec_lo
	s_wait_loadcnt_dscnt 0x0
	v_cmp_ne_u16_e64 s0, 0, v7
	s_wait_xcnt 0x0
	s_delay_alu instid0(VALU_DEP_1) | instskip(NEXT) | instid1(VALU_DEP_1)
	v_cndmask_b32_e64 v10, 0, 1.0, s0
	v_cmpx_gt_u32_e32 0x47800000, v10
	s_cbranch_execz .LBB251_664
; %bb.659:
	v_cmp_lt_u32_e64 s0, 0x37ffffff, v10
                                        ; implicit-def: $vgpr7
	s_and_saveexec_b32 s9, s0
	s_delay_alu instid0(SALU_CYCLE_1)
	s_xor_b32 s0, exec_lo, s9
	s_cbranch_execz .LBB251_2219
; %bb.660:
	v_bfe_u32 v7, v10, 21, 1
	s_mov_b32 s8, exec_lo
	s_delay_alu instid0(VALU_DEP_1) | instskip(NEXT) | instid1(VALU_DEP_1)
	v_add3_u32 v7, v10, v7, 0x88fffff
                                        ; implicit-def: $vgpr10
	v_lshrrev_b32_e32 v7, 21, v7
	s_and_not1_saveexec_b32 s9, s0
	s_cbranch_execnz .LBB251_2220
.LBB251_661:
	s_or_b32 exec_lo, exec_lo, s9
	v_mov_b32_e32 v9, 0
	s_and_saveexec_b32 s0, s8
.LBB251_662:
	v_mov_b32_e32 v9, v7
.LBB251_663:
	s_or_b32 exec_lo, exec_lo, s0
.LBB251_664:
	s_delay_alu instid0(SALU_CYCLE_1) | instskip(NEXT) | instid1(SALU_CYCLE_1)
	s_or_b32 exec_lo, exec_lo, s7
	s_or_b32 s6, s6, exec_lo
.LBB251_665:
	s_or_b32 exec_lo, exec_lo, s4
	s_delay_alu instid0(SALU_CYCLE_1)
	s_and_not1_b32 s0, s2, exec_lo
	s_and_b32 s4, s5, exec_lo
	s_and_b32 s6, s6, exec_lo
	s_or_b32 s4, s0, s4
                                        ; implicit-def: $vgpr10_vgpr11
.LBB251_666:
	s_and_not1_saveexec_b32 s1, s1
	s_cbranch_execz .LBB251_774
; %bb.667:
	s_mov_b32 s5, exec_lo
                                        ; implicit-def: $vgpr9
	v_cmpx_lt_i16_e32 4, v15
	s_xor_b32 s5, exec_lo, s5
	s_cbranch_execz .LBB251_725
; %bb.668:
	s_mov_b32 s7, exec_lo
                                        ; implicit-def: $vgpr9
	v_cmpx_lt_i16_e32 7, v15
	s_xor_b32 s7, exec_lo, s7
	;; [unrolled: 6-line block ×4, first 2 shown]
	s_cbranch_execz .LBB251_678
; %bb.671:
	flat_load_b64 v[10:11], v[10:11]
	s_wait_loadcnt_dscnt 0x101
	v_mov_b32_e32 v9, 0x80
	s_mov_b32 s10, exec_lo
	s_wait_loadcnt_dscnt 0x0
	v_cvt_f32_f64_e32 v7, v[10:11]
	s_wait_xcnt 0x0
	s_delay_alu instid0(VALU_DEP_1) | instskip(NEXT) | instid1(VALU_DEP_1)
	v_and_b32_e32 v10, 0x7fffffff, v7
	v_cmpx_gt_u32_e32 0x47800000, v10
	s_cbranch_execz .LBB251_677
; %bb.672:
	v_cmp_lt_u32_e64 s0, 0x37ffffff, v10
	s_mov_b32 s11, 0
                                        ; implicit-def: $vgpr10
	s_and_saveexec_b32 s12, s0
	s_delay_alu instid0(SALU_CYCLE_1)
	s_xor_b32 s0, exec_lo, s12
	s_cbranch_execz .LBB251_2420
; %bb.673:
	v_bfe_u32 v9, v7, 21, 1
	s_mov_b32 s11, exec_lo
	s_delay_alu instid0(VALU_DEP_1) | instskip(NEXT) | instid1(VALU_DEP_1)
	v_add3_u32 v9, v7, v9, 0x88fffff
	v_lshrrev_b32_e32 v10, 21, v9
	s_and_not1_saveexec_b32 s12, s0
	s_cbranch_execnz .LBB251_2421
.LBB251_674:
	s_or_b32 exec_lo, exec_lo, s12
	v_mov_b32_e32 v9, 0
	s_and_saveexec_b32 s0, s11
.LBB251_675:
	v_lshrrev_b32_e32 v7, 24, v7
	s_delay_alu instid0(VALU_DEP_1)
	v_and_or_b32 v9, 0x80, v7, v10
.LBB251_676:
	s_or_b32 exec_lo, exec_lo, s0
.LBB251_677:
	s_delay_alu instid0(SALU_CYCLE_1)
	s_or_b32 exec_lo, exec_lo, s10
                                        ; implicit-def: $vgpr10_vgpr11
.LBB251_678:
	s_and_not1_saveexec_b32 s9, s9
	s_cbranch_execz .LBB251_686
; %bb.679:
	flat_load_b32 v7, v[10:11]
	s_wait_loadcnt_dscnt 0x101
	v_mov_b32_e32 v9, 0x80
	s_mov_b32 s10, exec_lo
	s_wait_loadcnt_dscnt 0x0
	v_and_b32_e32 v10, 0x7fffffff, v7
	s_delay_alu instid0(VALU_DEP_1)
	v_cmpx_gt_u32_e32 0x47800000, v10
	s_cbranch_execz .LBB251_685
; %bb.680:
	v_cmp_lt_u32_e64 s0, 0x37ffffff, v10
	s_mov_b32 s11, 0
                                        ; implicit-def: $vgpr10
	s_and_saveexec_b32 s12, s0
	s_delay_alu instid0(SALU_CYCLE_1)
	s_xor_b32 s0, exec_lo, s12
	s_cbranch_execz .LBB251_2422
; %bb.681:
	v_bfe_u32 v9, v7, 21, 1
	s_mov_b32 s11, exec_lo
	s_delay_alu instid0(VALU_DEP_1) | instskip(NEXT) | instid1(VALU_DEP_1)
	v_add3_u32 v9, v7, v9, 0x88fffff
	v_lshrrev_b32_e32 v10, 21, v9
	s_and_not1_saveexec_b32 s12, s0
	s_cbranch_execnz .LBB251_2423
.LBB251_682:
	s_or_b32 exec_lo, exec_lo, s12
	v_mov_b32_e32 v9, 0
	s_and_saveexec_b32 s0, s11
.LBB251_683:
	v_lshrrev_b32_e32 v7, 24, v7
	s_delay_alu instid0(VALU_DEP_1)
	v_and_or_b32 v9, 0x80, v7, v10
.LBB251_684:
	s_or_b32 exec_lo, exec_lo, s0
.LBB251_685:
	s_delay_alu instid0(SALU_CYCLE_1)
	s_or_b32 exec_lo, exec_lo, s10
.LBB251_686:
	s_delay_alu instid0(SALU_CYCLE_1)
	s_or_b32 exec_lo, exec_lo, s9
                                        ; implicit-def: $vgpr10_vgpr11
.LBB251_687:
	s_and_not1_saveexec_b32 s8, s8
	s_cbranch_execz .LBB251_695
; %bb.688:
	flat_load_b32 v7, v[10:11]
	s_wait_loadcnt_dscnt 0x101
	v_mov_b32_e32 v9, 0x80
	s_mov_b32 s9, exec_lo
	s_wait_loadcnt_dscnt 0x0
	v_cvt_f32_f16_e32 v7, v7
	s_wait_xcnt 0x0
	s_delay_alu instid0(VALU_DEP_1) | instskip(NEXT) | instid1(VALU_DEP_1)
	v_and_b32_e32 v10, 0x7fffffff, v7
	v_cmpx_gt_u32_e32 0x47800000, v10
	s_cbranch_execz .LBB251_694
; %bb.689:
	v_cmp_lt_u32_e64 s0, 0x37ffffff, v10
	s_mov_b32 s10, 0
                                        ; implicit-def: $vgpr10
	s_and_saveexec_b32 s11, s0
	s_delay_alu instid0(SALU_CYCLE_1)
	s_xor_b32 s0, exec_lo, s11
	s_cbranch_execz .LBB251_2347
; %bb.690:
	v_bfe_u32 v9, v7, 21, 1
	s_mov_b32 s10, exec_lo
	s_delay_alu instid0(VALU_DEP_1) | instskip(NEXT) | instid1(VALU_DEP_1)
	v_add3_u32 v9, v7, v9, 0x88fffff
	v_lshrrev_b32_e32 v10, 21, v9
	s_and_not1_saveexec_b32 s11, s0
	s_cbranch_execnz .LBB251_2348
.LBB251_691:
	s_or_b32 exec_lo, exec_lo, s11
	v_mov_b32_e32 v9, 0
	s_and_saveexec_b32 s0, s10
.LBB251_692:
	v_lshrrev_b32_e32 v7, 24, v7
	s_delay_alu instid0(VALU_DEP_1)
	v_and_or_b32 v9, 0x80, v7, v10
.LBB251_693:
	s_or_b32 exec_lo, exec_lo, s0
.LBB251_694:
	s_delay_alu instid0(SALU_CYCLE_1)
	s_or_b32 exec_lo, exec_lo, s9
.LBB251_695:
	s_delay_alu instid0(SALU_CYCLE_1)
	s_or_b32 exec_lo, exec_lo, s8
                                        ; implicit-def: $vgpr10_vgpr11
.LBB251_696:
	s_and_not1_saveexec_b32 s7, s7
	s_cbranch_execz .LBB251_724
; %bb.697:
	s_mov_b32 s8, exec_lo
                                        ; implicit-def: $vgpr9
	v_cmpx_lt_i16_e32 5, v15
	s_xor_b32 s8, exec_lo, s8
	s_cbranch_execz .LBB251_715
; %bb.698:
	s_mov_b32 s9, exec_lo
                                        ; implicit-def: $vgpr9
	v_cmpx_lt_i16_e32 6, v15
	s_xor_b32 s9, exec_lo, s9
	s_cbranch_execz .LBB251_706
; %bb.699:
	flat_load_b64 v[10:11], v[10:11]
	s_wait_loadcnt_dscnt 0x101
	v_mov_b32_e32 v9, 0x80
	s_mov_b32 s10, exec_lo
	s_wait_loadcnt_dscnt 0x0
	v_cvt_f32_f64_e32 v7, v[10:11]
	s_wait_xcnt 0x0
	s_delay_alu instid0(VALU_DEP_1) | instskip(NEXT) | instid1(VALU_DEP_1)
	v_and_b32_e32 v10, 0x7fffffff, v7
	v_cmpx_gt_u32_e32 0x47800000, v10
	s_cbranch_execz .LBB251_705
; %bb.700:
	v_cmp_lt_u32_e64 s0, 0x37ffffff, v10
	s_mov_b32 s11, 0
                                        ; implicit-def: $vgpr10
	s_and_saveexec_b32 s12, s0
	s_delay_alu instid0(SALU_CYCLE_1)
	s_xor_b32 s0, exec_lo, s12
	s_cbranch_execz .LBB251_2424
; %bb.701:
	v_bfe_u32 v9, v7, 21, 1
	s_mov_b32 s11, exec_lo
	s_delay_alu instid0(VALU_DEP_1) | instskip(NEXT) | instid1(VALU_DEP_1)
	v_add3_u32 v9, v7, v9, 0x88fffff
	v_lshrrev_b32_e32 v10, 21, v9
	s_and_not1_saveexec_b32 s12, s0
	s_cbranch_execnz .LBB251_2425
.LBB251_702:
	s_or_b32 exec_lo, exec_lo, s12
	v_mov_b32_e32 v9, 0
	s_and_saveexec_b32 s0, s11
.LBB251_703:
	v_lshrrev_b32_e32 v7, 24, v7
	s_delay_alu instid0(VALU_DEP_1)
	v_and_or_b32 v9, 0x80, v7, v10
.LBB251_704:
	s_or_b32 exec_lo, exec_lo, s0
.LBB251_705:
	s_delay_alu instid0(SALU_CYCLE_1)
	s_or_b32 exec_lo, exec_lo, s10
                                        ; implicit-def: $vgpr10_vgpr11
.LBB251_706:
	s_and_not1_saveexec_b32 s9, s9
	s_cbranch_execz .LBB251_714
; %bb.707:
	flat_load_b32 v7, v[10:11]
	s_wait_loadcnt_dscnt 0x101
	v_mov_b32_e32 v9, 0x80
	s_mov_b32 s10, exec_lo
	s_wait_loadcnt_dscnt 0x0
	v_and_b32_e32 v10, 0x7fffffff, v7
	s_delay_alu instid0(VALU_DEP_1)
	v_cmpx_gt_u32_e32 0x47800000, v10
	s_cbranch_execz .LBB251_713
; %bb.708:
	v_cmp_lt_u32_e64 s0, 0x37ffffff, v10
	s_mov_b32 s11, 0
                                        ; implicit-def: $vgpr10
	s_and_saveexec_b32 s12, s0
	s_delay_alu instid0(SALU_CYCLE_1)
	s_xor_b32 s0, exec_lo, s12
	s_cbranch_execz .LBB251_2426
; %bb.709:
	v_bfe_u32 v9, v7, 21, 1
	s_mov_b32 s11, exec_lo
	s_delay_alu instid0(VALU_DEP_1) | instskip(NEXT) | instid1(VALU_DEP_1)
	v_add3_u32 v9, v7, v9, 0x88fffff
	v_lshrrev_b32_e32 v10, 21, v9
	s_and_not1_saveexec_b32 s12, s0
	s_cbranch_execnz .LBB251_2427
.LBB251_710:
	s_or_b32 exec_lo, exec_lo, s12
	v_mov_b32_e32 v9, 0
	s_and_saveexec_b32 s0, s11
.LBB251_711:
	v_lshrrev_b32_e32 v7, 24, v7
	s_delay_alu instid0(VALU_DEP_1)
	v_and_or_b32 v9, 0x80, v7, v10
.LBB251_712:
	s_or_b32 exec_lo, exec_lo, s0
.LBB251_713:
	s_delay_alu instid0(SALU_CYCLE_1)
	s_or_b32 exec_lo, exec_lo, s10
.LBB251_714:
	s_delay_alu instid0(SALU_CYCLE_1)
	s_or_b32 exec_lo, exec_lo, s9
                                        ; implicit-def: $vgpr10_vgpr11
.LBB251_715:
	s_and_not1_saveexec_b32 s8, s8
	s_cbranch_execz .LBB251_723
; %bb.716:
	flat_load_u16 v7, v[10:11]
	s_wait_loadcnt_dscnt 0x101
	v_mov_b32_e32 v9, 0x80
	s_mov_b32 s9, exec_lo
	s_wait_loadcnt_dscnt 0x0
	v_cvt_f32_f16_e32 v7, v7
	s_wait_xcnt 0x0
	s_delay_alu instid0(VALU_DEP_1) | instskip(NEXT) | instid1(VALU_DEP_1)
	v_and_b32_e32 v10, 0x7fffffff, v7
	v_cmpx_gt_u32_e32 0x47800000, v10
	s_cbranch_execz .LBB251_722
; %bb.717:
	v_cmp_lt_u32_e64 s0, 0x37ffffff, v10
	s_mov_b32 s10, 0
                                        ; implicit-def: $vgpr10
	s_and_saveexec_b32 s11, s0
	s_delay_alu instid0(SALU_CYCLE_1)
	s_xor_b32 s0, exec_lo, s11
	s_cbranch_execz .LBB251_2349
; %bb.718:
	v_bfe_u32 v9, v7, 21, 1
	s_mov_b32 s10, exec_lo
	s_delay_alu instid0(VALU_DEP_1) | instskip(NEXT) | instid1(VALU_DEP_1)
	v_add3_u32 v9, v7, v9, 0x88fffff
	v_lshrrev_b32_e32 v10, 21, v9
	s_and_not1_saveexec_b32 s11, s0
	s_cbranch_execnz .LBB251_2350
.LBB251_719:
	s_or_b32 exec_lo, exec_lo, s11
	v_mov_b32_e32 v9, 0
	s_and_saveexec_b32 s0, s10
.LBB251_720:
	v_lshrrev_b32_e32 v7, 24, v7
	s_delay_alu instid0(VALU_DEP_1)
	v_and_or_b32 v9, 0x80, v7, v10
.LBB251_721:
	s_or_b32 exec_lo, exec_lo, s0
.LBB251_722:
	s_delay_alu instid0(SALU_CYCLE_1)
	s_or_b32 exec_lo, exec_lo, s9
.LBB251_723:
	s_delay_alu instid0(SALU_CYCLE_1)
	s_or_b32 exec_lo, exec_lo, s8
.LBB251_724:
	s_delay_alu instid0(SALU_CYCLE_1)
	s_or_b32 exec_lo, exec_lo, s7
                                        ; implicit-def: $vgpr10_vgpr11
.LBB251_725:
	s_and_not1_saveexec_b32 s5, s5
	s_cbranch_execz .LBB251_773
; %bb.726:
	s_mov_b32 s7, exec_lo
                                        ; implicit-def: $vgpr9
	v_cmpx_lt_i16_e32 1, v15
	s_xor_b32 s7, exec_lo, s7
	s_cbranch_execz .LBB251_754
; %bb.727:
	s_mov_b32 s8, exec_lo
                                        ; implicit-def: $vgpr9
	v_cmpx_lt_i16_e32 2, v15
	s_xor_b32 s8, exec_lo, s8
	;; [unrolled: 6-line block ×3, first 2 shown]
	s_cbranch_execz .LBB251_736
; %bb.729:
	flat_load_b64 v[10:11], v[10:11]
	s_mov_b32 s10, exec_lo
	s_wait_loadcnt_dscnt 0x0
	v_xor_b32_e32 v7, v10, v11
	v_cls_i32_e32 v9, v11
	s_delay_alu instid0(VALU_DEP_2) | instskip(NEXT) | instid1(VALU_DEP_1)
	v_ashrrev_i32_e32 v7, 31, v7
	v_add_nc_u32_e32 v7, 32, v7
	s_delay_alu instid0(VALU_DEP_1) | instskip(SKIP_1) | instid1(VALU_DEP_1)
	v_add_min_u32_e64 v7, v9, -1, v7
	s_wait_xcnt 0x0
	v_lshlrev_b64_e32 v[10:11], v7, v[10:11]
	v_sub_nc_u32_e32 v7, 32, v7
	s_delay_alu instid0(VALU_DEP_2) | instskip(NEXT) | instid1(VALU_DEP_1)
	v_min_u32_e32 v9, 1, v10
	v_or_b32_e32 v9, v11, v9
	s_delay_alu instid0(VALU_DEP_1) | instskip(NEXT) | instid1(VALU_DEP_1)
	v_cvt_f32_i32_e32 v9, v9
	v_ldexp_f32 v7, v9, v7
	v_mov_b32_e32 v9, 0x80
	s_delay_alu instid0(VALU_DEP_2) | instskip(NEXT) | instid1(VALU_DEP_1)
	v_and_b32_e32 v10, 0x7fffffff, v7
	v_cmpx_gt_u32_e32 0x47800000, v10
	s_cbranch_execz .LBB251_735
; %bb.730:
	v_cmp_lt_u32_e64 s0, 0x37ffffff, v10
	s_mov_b32 s11, 0
                                        ; implicit-def: $vgpr10
	s_and_saveexec_b32 s12, s0
	s_delay_alu instid0(SALU_CYCLE_1)
	s_xor_b32 s0, exec_lo, s12
	s_cbranch_execz .LBB251_2428
; %bb.731:
	v_bfe_u32 v9, v7, 21, 1
	s_mov_b32 s11, exec_lo
	s_delay_alu instid0(VALU_DEP_1) | instskip(NEXT) | instid1(VALU_DEP_1)
	v_add3_u32 v9, v7, v9, 0x88fffff
	v_lshrrev_b32_e32 v10, 21, v9
	s_and_not1_saveexec_b32 s12, s0
	s_cbranch_execnz .LBB251_2429
.LBB251_732:
	s_or_b32 exec_lo, exec_lo, s12
	v_mov_b32_e32 v9, 0
	s_and_saveexec_b32 s0, s11
.LBB251_733:
	v_lshrrev_b32_e32 v7, 24, v7
	s_delay_alu instid0(VALU_DEP_1)
	v_and_or_b32 v9, 0x80, v7, v10
.LBB251_734:
	s_or_b32 exec_lo, exec_lo, s0
.LBB251_735:
	s_delay_alu instid0(SALU_CYCLE_1)
	s_or_b32 exec_lo, exec_lo, s10
                                        ; implicit-def: $vgpr10_vgpr11
.LBB251_736:
	s_and_not1_saveexec_b32 s9, s9
	s_cbranch_execz .LBB251_744
; %bb.737:
	flat_load_b32 v7, v[10:11]
	s_wait_loadcnt_dscnt 0x101
	v_mov_b32_e32 v9, 0x80
	s_mov_b32 s10, exec_lo
	s_wait_loadcnt_dscnt 0x0
	v_cvt_f32_i32_e32 v7, v7
	s_wait_xcnt 0x0
	s_delay_alu instid0(VALU_DEP_1) | instskip(NEXT) | instid1(VALU_DEP_1)
	v_and_b32_e32 v10, 0x7fffffff, v7
	v_cmpx_gt_u32_e32 0x47800000, v10
	s_cbranch_execz .LBB251_743
; %bb.738:
	v_cmp_lt_u32_e64 s0, 0x37ffffff, v10
	s_mov_b32 s11, 0
                                        ; implicit-def: $vgpr10
	s_and_saveexec_b32 s12, s0
	s_delay_alu instid0(SALU_CYCLE_1)
	s_xor_b32 s0, exec_lo, s12
	s_cbranch_execz .LBB251_2430
; %bb.739:
	v_bfe_u32 v9, v7, 21, 1
	s_mov_b32 s11, exec_lo
	s_delay_alu instid0(VALU_DEP_1) | instskip(NEXT) | instid1(VALU_DEP_1)
	v_add3_u32 v9, v7, v9, 0x88fffff
	v_lshrrev_b32_e32 v10, 21, v9
	s_and_not1_saveexec_b32 s12, s0
	s_cbranch_execnz .LBB251_2431
.LBB251_740:
	s_or_b32 exec_lo, exec_lo, s12
	v_mov_b32_e32 v9, 0
	s_and_saveexec_b32 s0, s11
.LBB251_741:
	v_lshrrev_b32_e32 v7, 24, v7
	s_delay_alu instid0(VALU_DEP_1)
	v_and_or_b32 v9, 0x80, v7, v10
.LBB251_742:
	s_or_b32 exec_lo, exec_lo, s0
.LBB251_743:
	s_delay_alu instid0(SALU_CYCLE_1)
	s_or_b32 exec_lo, exec_lo, s10
.LBB251_744:
	s_delay_alu instid0(SALU_CYCLE_1)
	s_or_b32 exec_lo, exec_lo, s9
                                        ; implicit-def: $vgpr10_vgpr11
.LBB251_745:
	s_and_not1_saveexec_b32 s8, s8
	s_cbranch_execz .LBB251_753
; %bb.746:
	flat_load_i16 v7, v[10:11]
	s_wait_loadcnt_dscnt 0x101
	v_mov_b32_e32 v9, 0x80
	s_mov_b32 s9, exec_lo
	s_wait_loadcnt_dscnt 0x0
	v_cvt_f32_i32_e32 v7, v7
	s_wait_xcnt 0x0
	s_delay_alu instid0(VALU_DEP_1) | instskip(NEXT) | instid1(VALU_DEP_1)
	v_and_b32_e32 v10, 0x7fffffff, v7
	v_cmpx_gt_u32_e32 0x47800000, v10
	s_cbranch_execz .LBB251_752
; %bb.747:
	v_cmp_lt_u32_e64 s0, 0x37ffffff, v10
	s_mov_b32 s10, 0
                                        ; implicit-def: $vgpr10
	s_and_saveexec_b32 s11, s0
	s_delay_alu instid0(SALU_CYCLE_1)
	s_xor_b32 s0, exec_lo, s11
	s_cbranch_execz .LBB251_2351
; %bb.748:
	v_bfe_u32 v9, v7, 21, 1
	s_mov_b32 s10, exec_lo
	s_delay_alu instid0(VALU_DEP_1) | instskip(NEXT) | instid1(VALU_DEP_1)
	v_add3_u32 v9, v7, v9, 0x88fffff
	v_lshrrev_b32_e32 v10, 21, v9
	s_and_not1_saveexec_b32 s11, s0
	s_cbranch_execnz .LBB251_2352
.LBB251_749:
	s_or_b32 exec_lo, exec_lo, s11
	v_mov_b32_e32 v9, 0
	s_and_saveexec_b32 s0, s10
.LBB251_750:
	v_lshrrev_b32_e32 v7, 24, v7
	s_delay_alu instid0(VALU_DEP_1)
	v_and_or_b32 v9, 0x80, v7, v10
.LBB251_751:
	s_or_b32 exec_lo, exec_lo, s0
.LBB251_752:
	s_delay_alu instid0(SALU_CYCLE_1)
	s_or_b32 exec_lo, exec_lo, s9
.LBB251_753:
	s_delay_alu instid0(SALU_CYCLE_1)
	s_or_b32 exec_lo, exec_lo, s8
                                        ; implicit-def: $vgpr10_vgpr11
.LBB251_754:
	s_and_not1_saveexec_b32 s7, s7
	s_cbranch_execz .LBB251_772
; %bb.755:
	s_mov_b32 s8, exec_lo
                                        ; implicit-def: $vgpr9
	v_cmpx_lt_i16_e32 0, v15
	s_xor_b32 s8, exec_lo, s8
	s_cbranch_execz .LBB251_763
; %bb.756:
	flat_load_i8 v7, v[10:11]
	s_wait_loadcnt_dscnt 0x101
	v_mov_b32_e32 v9, 0x80
	s_mov_b32 s9, exec_lo
	s_wait_loadcnt_dscnt 0x0
	v_cvt_f32_i32_e32 v7, v7
	s_wait_xcnt 0x0
	s_delay_alu instid0(VALU_DEP_1) | instskip(NEXT) | instid1(VALU_DEP_1)
	v_and_b32_e32 v10, 0x7fffffff, v7
	v_cmpx_gt_u32_e32 0x47800000, v10
	s_cbranch_execz .LBB251_762
; %bb.757:
	v_cmp_lt_u32_e64 s0, 0x37ffffff, v10
	s_mov_b32 s10, 0
                                        ; implicit-def: $vgpr10
	s_and_saveexec_b32 s11, s0
	s_delay_alu instid0(SALU_CYCLE_1)
	s_xor_b32 s0, exec_lo, s11
	s_cbranch_execz .LBB251_2353
; %bb.758:
	v_bfe_u32 v9, v7, 21, 1
	s_mov_b32 s10, exec_lo
	s_delay_alu instid0(VALU_DEP_1) | instskip(NEXT) | instid1(VALU_DEP_1)
	v_add3_u32 v9, v7, v9, 0x88fffff
	v_lshrrev_b32_e32 v10, 21, v9
	s_and_not1_saveexec_b32 s11, s0
	s_cbranch_execnz .LBB251_2354
.LBB251_759:
	s_or_b32 exec_lo, exec_lo, s11
	v_mov_b32_e32 v9, 0
	s_and_saveexec_b32 s0, s10
.LBB251_760:
	v_lshrrev_b32_e32 v7, 24, v7
	s_delay_alu instid0(VALU_DEP_1)
	v_and_or_b32 v9, 0x80, v7, v10
.LBB251_761:
	s_or_b32 exec_lo, exec_lo, s0
.LBB251_762:
	s_delay_alu instid0(SALU_CYCLE_1)
	s_or_b32 exec_lo, exec_lo, s9
                                        ; implicit-def: $vgpr10_vgpr11
.LBB251_763:
	s_and_not1_saveexec_b32 s8, s8
	s_cbranch_execz .LBB251_771
; %bb.764:
	flat_load_u8 v7, v[10:11]
	s_wait_loadcnt_dscnt 0x101
	v_mov_b32_e32 v9, 0x80
	s_mov_b32 s9, exec_lo
	s_wait_loadcnt_dscnt 0x0
	v_cvt_f32_ubyte0_e32 v10, v7
	s_delay_alu instid0(VALU_DEP_1)
	v_cmpx_gt_u32_e32 0x47800000, v10
	s_cbranch_execz .LBB251_770
; %bb.765:
	v_cmp_lt_u32_e64 s0, 0x37ffffff, v10
	s_mov_b32 s10, 0
                                        ; implicit-def: $vgpr7
	s_and_saveexec_b32 s11, s0
	s_delay_alu instid0(SALU_CYCLE_1)
	s_xor_b32 s0, exec_lo, s11
	s_cbranch_execz .LBB251_2355
; %bb.766:
	v_bfe_u32 v7, v10, 21, 1
	s_mov_b32 s10, exec_lo
	s_delay_alu instid0(VALU_DEP_1) | instskip(NEXT) | instid1(VALU_DEP_1)
	v_add3_u32 v7, v10, v7, 0x88fffff
                                        ; implicit-def: $vgpr10
	v_lshrrev_b32_e32 v7, 21, v7
	s_and_not1_saveexec_b32 s11, s0
	s_cbranch_execnz .LBB251_2356
.LBB251_767:
	s_or_b32 exec_lo, exec_lo, s11
	v_mov_b32_e32 v9, 0
	s_and_saveexec_b32 s0, s10
.LBB251_768:
	v_mov_b32_e32 v9, v7
.LBB251_769:
	s_or_b32 exec_lo, exec_lo, s0
.LBB251_770:
	s_delay_alu instid0(SALU_CYCLE_1)
	s_or_b32 exec_lo, exec_lo, s9
.LBB251_771:
	s_delay_alu instid0(SALU_CYCLE_1)
	s_or_b32 exec_lo, exec_lo, s8
.LBB251_772:
	s_delay_alu instid0(SALU_CYCLE_1)
	s_or_b32 exec_lo, exec_lo, s7
.LBB251_773:
	s_delay_alu instid0(SALU_CYCLE_1) | instskip(NEXT) | instid1(SALU_CYCLE_1)
	s_or_b32 exec_lo, exec_lo, s5
	s_or_b32 s6, s6, exec_lo
.LBB251_774:
	s_or_b32 exec_lo, exec_lo, s1
	s_mov_b32 s0, 0
	s_mov_b32 s7, 0
                                        ; implicit-def: $sgpr18
                                        ; implicit-def: $vgpr12_vgpr13
                                        ; implicit-def: $vgpr7
	s_and_saveexec_b32 s5, s6
	s_cbranch_execz .LBB251_1918
; %bb.775:
	v_cmp_ne_u32_e64 s0, 0, v17
                                        ; implicit-def: $sgpr7
	s_and_saveexec_b32 s1, s0
	s_delay_alu instid0(SALU_CYCLE_1)
	s_xor_b32 s6, exec_lo, s1
	s_cbranch_execz .LBB251_789
; %bb.776:
	s_wait_dscnt 0x0
	v_and_b32_e32 v10, 0xff, v21
	s_mov_b32 s7, 0
	s_mov_b32 s8, exec_lo
	s_delay_alu instid0(VALU_DEP_1)
	v_cmpx_lt_i16_e32 0x7f, v10
	s_xor_b32 s8, exec_lo, s8
	s_cbranch_execz .LBB251_2170
; %bb.777:
	s_mov_b32 s7, -1
	s_mov_b32 s9, exec_lo
	v_cmpx_eq_u16_e32 0x80, v10
; %bb.778:
	s_xor_b32 s7, exec_lo, -1
; %bb.779:
	s_or_b32 exec_lo, exec_lo, s9
	s_delay_alu instid0(SALU_CYCLE_1)
	s_and_b32 s7, s7, exec_lo
                                        ; implicit-def: $vgpr10
	s_or_saveexec_b32 s8, s8
	v_mov_b32_e32 v7, 0x7f800001
	s_xor_b32 exec_lo, exec_lo, s8
	s_cbranch_execnz .LBB251_2171
.LBB251_780:
	s_or_b32 exec_lo, exec_lo, s8
	s_and_saveexec_b32 s8, s7
	s_cbranch_execz .LBB251_782
.LBB251_781:
	v_and_b32_e32 v7, 3, v21
	v_lshrrev_b16 v11, 2, v21
	v_lshlrev_b32_e32 v13, 24, v21
	s_delay_alu instid0(VALU_DEP_3) | instskip(NEXT) | instid1(VALU_DEP_1)
	v_clz_i32_u32_e32 v10, v7
	v_min_u32_e32 v10, 32, v10
	s_delay_alu instid0(VALU_DEP_4) | instskip(NEXT) | instid1(VALU_DEP_2)
	v_and_b32_e32 v11, 31, v11
	v_subrev_nc_u32_e32 v12, 29, v10
	v_sub_nc_u32_e32 v10, 30, v10
	s_delay_alu instid0(VALU_DEP_3) | instskip(NEXT) | instid1(VALU_DEP_3)
	v_cmp_eq_u32_e64 s1, 0, v11
	v_lshlrev_b32_e32 v12, v12, v21
	s_delay_alu instid0(VALU_DEP_1) | instskip(NEXT) | instid1(VALU_DEP_1)
	v_and_b32_e32 v12, 3, v12
	v_cndmask_b32_e64 v7, v7, v12, s1
	v_cndmask_b32_e64 v10, v11, v10, s1
	v_and_b32_e32 v11, 0x80000000, v13
	s_delay_alu instid0(VALU_DEP_3) | instskip(NEXT) | instid1(VALU_DEP_3)
	v_lshlrev_b32_e32 v7, 21, v7
	v_lshl_add_u32 v10, v10, 23, 0x37800000
	s_delay_alu instid0(VALU_DEP_1)
	v_or3_b32 v7, v11, v10, v7
.LBB251_782:
	s_or_b32 exec_lo, exec_lo, s8
	s_wait_loadcnt 0x0
	v_and_b32_e32 v11, 0xff, v9
	s_mov_b32 s7, 0
	s_mov_b32 s8, exec_lo
	s_delay_alu instid0(VALU_DEP_1)
	v_cmpx_lt_i16_e32 0x7f, v11
	s_xor_b32 s8, exec_lo, s8
	s_cbranch_execz .LBB251_2172
; %bb.783:
	s_mov_b32 s7, -1
	s_mov_b32 s9, exec_lo
	v_cmpx_eq_u16_e32 0x80, v11
; %bb.784:
	s_xor_b32 s7, exec_lo, -1
; %bb.785:
	s_or_b32 exec_lo, exec_lo, s9
	s_delay_alu instid0(SALU_CYCLE_1)
	s_and_b32 s7, s7, exec_lo
                                        ; implicit-def: $vgpr11
	s_or_saveexec_b32 s8, s8
	v_mov_b32_e32 v10, 0x7f800001
	s_xor_b32 exec_lo, exec_lo, s8
	s_cbranch_execnz .LBB251_2173
.LBB251_786:
	s_or_b32 exec_lo, exec_lo, s8
	s_and_saveexec_b32 s8, s7
	s_cbranch_execz .LBB251_788
.LBB251_787:
	v_and_b32_e32 v10, 3, v9
	v_lshrrev_b16 v12, 2, v9
	s_delay_alu instid0(VALU_DEP_2) | instskip(NEXT) | instid1(VALU_DEP_1)
	v_clz_i32_u32_e32 v11, v10
	v_min_u32_e32 v11, 32, v11
	s_delay_alu instid0(VALU_DEP_3) | instskip(NEXT) | instid1(VALU_DEP_2)
	v_and_b32_e32 v12, 31, v12
	v_subrev_nc_u32_e32 v13, 29, v11
	v_sub_nc_u32_e32 v11, 30, v11
	s_delay_alu instid0(VALU_DEP_3) | instskip(NEXT) | instid1(VALU_DEP_1)
	v_cmp_eq_u32_e64 s1, 0, v12
	v_dual_lshlrev_b32 v13, v13, v9 :: v_dual_cndmask_b32 v11, v12, v11, s1
	s_delay_alu instid0(VALU_DEP_1) | instskip(NEXT) | instid1(VALU_DEP_2)
	v_and_b32_e32 v13, 3, v13
	v_lshl_add_u32 v11, v11, 23, 0x37800000
	s_delay_alu instid0(VALU_DEP_2) | instskip(NEXT) | instid1(VALU_DEP_1)
	v_cndmask_b32_e64 v10, v10, v13, s1
	v_dual_lshlrev_b32 v9, 24, v9 :: v_dual_lshlrev_b32 v10, 21, v10
	s_delay_alu instid0(VALU_DEP_1) | instskip(NEXT) | instid1(VALU_DEP_1)
	v_and_b32_e32 v9, 0x80000000, v9
	v_or3_b32 v10, v9, v11, v10
.LBB251_788:
	s_or_b32 exec_lo, exec_lo, s8
	s_delay_alu instid0(VALU_DEP_1)
	v_cmp_neq_f32_e64 s7, v7, v10
                                        ; implicit-def: $vgpr9
                                        ; implicit-def: $vgpr21
.LBB251_789:
	s_and_not1_saveexec_b32 s6, s6
	s_cbranch_execz .LBB251_803
; %bb.790:
	s_wait_dscnt 0x0
	v_and_b32_e32 v10, 0xff, v21
	s_mov_b32 s8, 0
	s_mov_b32 s9, exec_lo
	s_delay_alu instid0(VALU_DEP_1)
	v_cmpx_lt_i16_e32 0x7f, v10
	s_xor_b32 s9, exec_lo, s9
	s_cbranch_execz .LBB251_2174
; %bb.791:
	s_mov_b32 s8, -1
	s_mov_b32 s10, exec_lo
	v_cmpx_eq_u16_e32 0x80, v10
; %bb.792:
	s_xor_b32 s8, exec_lo, -1
; %bb.793:
	s_or_b32 exec_lo, exec_lo, s10
	s_delay_alu instid0(SALU_CYCLE_1)
	s_and_b32 s8, s8, exec_lo
                                        ; implicit-def: $vgpr10
	s_or_saveexec_b32 s9, s9
	v_mov_b32_e32 v7, 0x7f800001
	s_xor_b32 exec_lo, exec_lo, s9
	s_cbranch_execnz .LBB251_2175
.LBB251_794:
	s_or_b32 exec_lo, exec_lo, s9
	s_and_saveexec_b32 s9, s8
	s_cbranch_execz .LBB251_796
.LBB251_795:
	v_and_b32_e32 v7, 3, v21
	v_lshrrev_b16 v11, 2, v21
	v_lshlrev_b32_e32 v13, 24, v21
	s_delay_alu instid0(VALU_DEP_3) | instskip(NEXT) | instid1(VALU_DEP_1)
	v_clz_i32_u32_e32 v10, v7
	v_min_u32_e32 v10, 32, v10
	s_delay_alu instid0(VALU_DEP_4) | instskip(NEXT) | instid1(VALU_DEP_2)
	v_and_b32_e32 v11, 31, v11
	v_subrev_nc_u32_e32 v12, 29, v10
	v_sub_nc_u32_e32 v10, 30, v10
	s_delay_alu instid0(VALU_DEP_3) | instskip(NEXT) | instid1(VALU_DEP_3)
	v_cmp_eq_u32_e64 s1, 0, v11
	v_lshlrev_b32_e32 v12, v12, v21
	s_delay_alu instid0(VALU_DEP_1) | instskip(NEXT) | instid1(VALU_DEP_1)
	v_and_b32_e32 v12, 3, v12
	v_cndmask_b32_e64 v7, v7, v12, s1
	v_cndmask_b32_e64 v10, v11, v10, s1
	v_and_b32_e32 v11, 0x80000000, v13
	s_delay_alu instid0(VALU_DEP_3) | instskip(NEXT) | instid1(VALU_DEP_3)
	v_lshlrev_b32_e32 v7, 21, v7
	v_lshl_add_u32 v10, v10, 23, 0x37800000
	s_delay_alu instid0(VALU_DEP_1)
	v_or3_b32 v7, v11, v10, v7
.LBB251_796:
	s_or_b32 exec_lo, exec_lo, s9
	s_wait_loadcnt 0x0
	v_and_b32_e32 v11, 0xff, v9
	s_mov_b32 s8, 0
	s_mov_b32 s9, exec_lo
	s_delay_alu instid0(VALU_DEP_1)
	v_cmpx_lt_i16_e32 0x7f, v11
	s_xor_b32 s9, exec_lo, s9
	s_cbranch_execz .LBB251_2176
; %bb.797:
	s_mov_b32 s8, -1
	s_mov_b32 s10, exec_lo
	v_cmpx_eq_u16_e32 0x80, v11
; %bb.798:
	s_xor_b32 s8, exec_lo, -1
; %bb.799:
	s_or_b32 exec_lo, exec_lo, s10
	s_delay_alu instid0(SALU_CYCLE_1)
	s_and_b32 s8, s8, exec_lo
                                        ; implicit-def: $vgpr11
	s_or_saveexec_b32 s9, s9
	v_mov_b32_e32 v10, 0x7f800001
	s_xor_b32 exec_lo, exec_lo, s9
	s_cbranch_execnz .LBB251_2177
.LBB251_800:
	s_or_b32 exec_lo, exec_lo, s9
	s_and_saveexec_b32 s9, s8
	s_cbranch_execz .LBB251_802
.LBB251_801:
	v_and_b32_e32 v10, 3, v9
	v_lshrrev_b16 v12, 2, v9
	s_delay_alu instid0(VALU_DEP_2) | instskip(NEXT) | instid1(VALU_DEP_1)
	v_clz_i32_u32_e32 v11, v10
	v_min_u32_e32 v11, 32, v11
	s_delay_alu instid0(VALU_DEP_3) | instskip(NEXT) | instid1(VALU_DEP_2)
	v_and_b32_e32 v12, 31, v12
	v_subrev_nc_u32_e32 v13, 29, v11
	v_sub_nc_u32_e32 v11, 30, v11
	s_delay_alu instid0(VALU_DEP_3) | instskip(NEXT) | instid1(VALU_DEP_1)
	v_cmp_eq_u32_e64 s1, 0, v12
	v_dual_lshlrev_b32 v13, v13, v9 :: v_dual_cndmask_b32 v11, v12, v11, s1
	s_delay_alu instid0(VALU_DEP_1) | instskip(NEXT) | instid1(VALU_DEP_2)
	v_and_b32_e32 v13, 3, v13
	v_lshl_add_u32 v11, v11, 23, 0x37800000
	s_delay_alu instid0(VALU_DEP_2) | instskip(NEXT) | instid1(VALU_DEP_1)
	v_cndmask_b32_e64 v10, v10, v13, s1
	v_dual_lshlrev_b32 v9, 24, v9 :: v_dual_lshlrev_b32 v10, 21, v10
	s_delay_alu instid0(VALU_DEP_1) | instskip(NEXT) | instid1(VALU_DEP_1)
	v_and_b32_e32 v9, 0x80000000, v9
	v_or3_b32 v10, v9, v11, v10
.LBB251_802:
	s_or_b32 exec_lo, exec_lo, s9
	s_delay_alu instid0(VALU_DEP_1) | instskip(SKIP_2) | instid1(SALU_CYCLE_1)
	v_cmp_eq_f32_e64 s1, v7, v10
	s_and_not1_b32 s7, s7, exec_lo
	s_and_b32 s1, s1, exec_lo
	s_or_b32 s7, s7, s1
.LBB251_803:
	s_or_b32 exec_lo, exec_lo, s6
	v_lshlrev_b32_e32 v17, 7, v19
	s_mov_b32 s9, 0
	s_mov_b32 s6, s4
	s_mov_b32 s8, exec_lo
                                        ; implicit-def: $vgpr19
	s_delay_alu instid0(VALU_DEP_1) | instskip(NEXT) | instid1(VALU_DEP_1)
	v_add_nc_u32_e32 v10, v6, v17
	v_ashrrev_i32_e32 v11, 31, v10
	s_delay_alu instid0(VALU_DEP_1)
	v_add_nc_u64_e32 v[6:7], v[4:5], v[10:11]
	v_cmpx_lt_i16_e32 10, v18
	s_xor_b32 s8, exec_lo, s8
	s_cbranch_execz .LBB251_884
; %bb.804:
	s_mov_b32 s6, 0
	s_mov_b32 s11, 0
	;; [unrolled: 1-line block ×3, first 2 shown]
	s_mov_b32 s9, exec_lo
                                        ; implicit-def: $vgpr19
	v_cmpx_lt_i16_e32 25, v18
	s_xor_b32 s9, exec_lo, s9
	s_cbranch_execz .LBB251_2178
; %bb.805:
	s_mov_b32 s12, 0
	s_mov_b32 s10, exec_lo
                                        ; implicit-def: $vgpr19
	v_cmpx_lt_i16_e32 28, v18
	s_xor_b32 s10, exec_lo, s10
	s_cbranch_execz .LBB251_839
; %bb.806:
	s_mov_b32 s13, 0
	s_mov_b32 s14, 0
	s_mov_b32 s11, exec_lo
                                        ; implicit-def: $vgpr19
	v_cmpx_lt_i16_e32 43, v18
	s_xor_b32 s11, exec_lo, s11
	s_cbranch_execz .LBB251_828
; %bb.807:
	s_mov_b32 s14, exec_lo
                                        ; implicit-def: $vgpr19
	v_cmpx_lt_i16_e32 45, v18
	s_xor_b32 s14, exec_lo, s14
	s_cbranch_execz .LBB251_817
; %bb.808:
	s_mov_b32 s17, -1
	s_mov_b32 s12, exec_lo
                                        ; implicit-def: $vgpr19
	v_cmpx_eq_u16_e32 46, v18
	s_cbranch_execz .LBB251_816
; %bb.809:
	s_wait_loadcnt_dscnt 0x0
	flat_load_b32 v9, v[6:7]
	v_mov_b32_e32 v19, 0x80
	s_mov_b32 s13, exec_lo
	s_wait_loadcnt_dscnt 0x0
	v_lshlrev_b32_e32 v9, 16, v9
	s_delay_alu instid0(VALU_DEP_1) | instskip(SKIP_1) | instid1(VALU_DEP_1)
	v_and_b32_e32 v11, 0x7fffffff, v9
	s_wait_xcnt 0x0
	v_cmpx_gt_u32_e32 0x47800000, v11
	s_cbranch_execz .LBB251_815
; %bb.810:
	v_cmp_lt_u32_e64 s1, 0x37ffffff, v11
	s_mov_b32 s17, 0
                                        ; implicit-def: $vgpr11
	s_and_saveexec_b32 s18, s1
	s_delay_alu instid0(SALU_CYCLE_1)
	s_xor_b32 s1, exec_lo, s18
	s_cbranch_execz .LBB251_2600
; %bb.811:
	v_bfe_u32 v11, v9, 21, 1
	s_mov_b32 s17, exec_lo
	s_delay_alu instid0(VALU_DEP_1) | instskip(NEXT) | instid1(VALU_DEP_1)
	v_add3_u32 v11, v9, v11, 0x88fffff
	v_lshrrev_b32_e32 v11, 21, v11
	s_and_not1_saveexec_b32 s18, s1
	s_cbranch_execnz .LBB251_2601
.LBB251_812:
	s_or_b32 exec_lo, exec_lo, s18
	v_mov_b32_e32 v19, 0
	s_and_saveexec_b32 s1, s17
.LBB251_813:
	v_lshrrev_b32_e32 v9, 24, v9
	s_delay_alu instid0(VALU_DEP_1)
	v_and_or_b32 v19, 0x80, v9, v11
.LBB251_814:
	s_or_b32 exec_lo, exec_lo, s1
.LBB251_815:
	s_delay_alu instid0(SALU_CYCLE_1) | instskip(NEXT) | instid1(SALU_CYCLE_1)
	s_or_b32 exec_lo, exec_lo, s13
	s_mov_b32 s13, exec_lo
	s_xor_b32 s17, exec_lo, -1
.LBB251_816:
	s_or_b32 exec_lo, exec_lo, s12
	s_delay_alu instid0(SALU_CYCLE_1)
	s_and_b32 s13, s13, exec_lo
	s_and_b32 s12, s17, exec_lo
.LBB251_817:
	s_and_not1_saveexec_b32 s14, s14
	s_cbranch_execz .LBB251_827
; %bb.818:
	s_mov_b32 s18, -1
	s_mov_b32 s19, s13
	s_mov_b32 s17, exec_lo
                                        ; implicit-def: $vgpr19
	v_cmpx_eq_u16_e32 44, v18
	s_cbranch_execz .LBB251_826
; %bb.819:
	s_wait_loadcnt_dscnt 0x0
	flat_load_u8 v9, v[6:7]
	v_mov_b32_e32 v19, 0x80
	s_mov_b32 s19, 0
	s_mov_b32 s18, exec_lo
	s_wait_loadcnt_dscnt 0x0
	v_lshlrev_b32_e32 v11, 23, v9
	v_cmp_ne_u32_e64 s1, 0xff, v9
	s_delay_alu instid0(VALU_DEP_1) | instskip(SKIP_1) | instid1(VALU_DEP_1)
	v_cndmask_b32_e64 v11, 0x7f800001, v11, s1
	v_cmp_ne_u32_e64 s1, 0, v9
	v_cndmask_b32_e64 v11, 0x400000, v11, s1
	s_wait_xcnt 0x0
	s_delay_alu instid0(VALU_DEP_1)
	v_cmpx_gt_u32_e32 0x47800000, v11
	s_cbranch_execz .LBB251_825
; %bb.820:
	v_cmp_lt_u32_e64 s1, 0x37ffffff, v11
                                        ; implicit-def: $vgpr9
	s_and_saveexec_b32 s20, s1
	s_delay_alu instid0(SALU_CYCLE_1)
	s_xor_b32 s1, exec_lo, s20
	s_cbranch_execz .LBB251_2602
; %bb.821:
	v_bfe_u32 v9, v11, 21, 1
	s_mov_b32 s19, exec_lo
	s_delay_alu instid0(VALU_DEP_1) | instskip(NEXT) | instid1(VALU_DEP_1)
	v_add3_u32 v9, v11, v9, 0x88fffff
                                        ; implicit-def: $vgpr11
	v_lshrrev_b32_e32 v9, 21, v9
	s_and_not1_saveexec_b32 s20, s1
	s_cbranch_execnz .LBB251_2603
.LBB251_822:
	s_or_b32 exec_lo, exec_lo, s20
	v_mov_b32_e32 v19, 0
	s_and_saveexec_b32 s1, s19
.LBB251_823:
	v_mov_b32_e32 v19, v9
.LBB251_824:
	s_or_b32 exec_lo, exec_lo, s1
.LBB251_825:
	s_delay_alu instid0(SALU_CYCLE_1) | instskip(NEXT) | instid1(SALU_CYCLE_1)
	s_or_b32 exec_lo, exec_lo, s18
	s_or_b32 s19, s13, exec_lo
	s_xor_b32 s18, exec_lo, -1
.LBB251_826:
	s_or_b32 exec_lo, exec_lo, s17
	s_delay_alu instid0(SALU_CYCLE_1)
	s_and_not1_b32 s1, s13, exec_lo
	s_and_b32 s13, s19, exec_lo
	s_and_not1_b32 s12, s12, exec_lo
	s_and_b32 s17, s18, exec_lo
	s_or_b32 s13, s1, s13
	s_or_b32 s12, s12, s17
.LBB251_827:
	s_or_b32 exec_lo, exec_lo, s14
	s_delay_alu instid0(SALU_CYCLE_1)
	s_and_b32 s14, s13, exec_lo
	s_and_b32 s13, s12, exec_lo
.LBB251_828:
	s_and_not1_saveexec_b32 s11, s11
	s_cbranch_execz .LBB251_838
; %bb.829:
	s_mov_b32 s17, -1
	s_mov_b32 s18, s14
	s_mov_b32 s12, exec_lo
                                        ; implicit-def: $vgpr19
	v_cmpx_eq_u16_e32 29, v18
	s_cbranch_execz .LBB251_837
; %bb.830:
	flat_load_b64 v[12:13], v[6:7]
	v_mov_b32_e32 v19, 0x80
	s_mov_b32 s17, exec_lo
	s_wait_loadcnt_dscnt 0x0
	v_clz_i32_u32_e32 v9, v13
	s_delay_alu instid0(VALU_DEP_1) | instskip(NEXT) | instid1(VALU_DEP_1)
	v_min_u32_e32 v9, 32, v9
	v_lshlrev_b64_e32 v[12:13], v9, v[12:13]
	v_sub_nc_u32_e32 v9, 32, v9
	s_delay_alu instid0(VALU_DEP_2) | instskip(NEXT) | instid1(VALU_DEP_1)
	v_min_u32_e32 v11, 1, v12
	v_or_b32_e32 v11, v13, v11
	s_delay_alu instid0(VALU_DEP_1) | instskip(NEXT) | instid1(VALU_DEP_1)
	v_cvt_f32_u32_e32 v11, v11
	v_ldexp_f32 v11, v11, v9
	s_wait_xcnt 0x0
	s_delay_alu instid0(VALU_DEP_1)
	v_cmpx_gt_u32_e32 0x47800000, v11
	s_cbranch_execz .LBB251_836
; %bb.831:
	v_cmp_lt_u32_e64 s1, 0x37ffffff, v11
	s_mov_b32 s18, 0
                                        ; implicit-def: $vgpr9
	s_and_saveexec_b32 s19, s1
	s_delay_alu instid0(SALU_CYCLE_1)
	s_xor_b32 s1, exec_lo, s19
	s_cbranch_execz .LBB251_2513
; %bb.832:
	v_bfe_u32 v9, v11, 21, 1
	s_mov_b32 s18, exec_lo
	s_delay_alu instid0(VALU_DEP_1) | instskip(NEXT) | instid1(VALU_DEP_1)
	v_add3_u32 v9, v11, v9, 0x88fffff
                                        ; implicit-def: $vgpr11
	v_lshrrev_b32_e32 v9, 21, v9
	s_and_not1_saveexec_b32 s19, s1
	s_cbranch_execnz .LBB251_2514
.LBB251_833:
	s_or_b32 exec_lo, exec_lo, s19
	v_mov_b32_e32 v19, 0
	s_and_saveexec_b32 s1, s18
.LBB251_834:
	v_mov_b32_e32 v19, v9
.LBB251_835:
	s_or_b32 exec_lo, exec_lo, s1
.LBB251_836:
	s_delay_alu instid0(SALU_CYCLE_1) | instskip(NEXT) | instid1(SALU_CYCLE_1)
	s_or_b32 exec_lo, exec_lo, s17
	s_or_b32 s18, s14, exec_lo
	s_xor_b32 s17, exec_lo, -1
.LBB251_837:
	s_or_b32 exec_lo, exec_lo, s12
	s_delay_alu instid0(SALU_CYCLE_1)
	s_and_not1_b32 s1, s14, exec_lo
	s_and_b32 s12, s18, exec_lo
	s_and_not1_b32 s13, s13, exec_lo
	s_and_b32 s17, s17, exec_lo
	s_or_b32 s14, s1, s12
	s_or_b32 s13, s13, s17
.LBB251_838:
	s_or_b32 exec_lo, exec_lo, s11
	s_delay_alu instid0(SALU_CYCLE_1)
	s_and_b32 s12, s14, exec_lo
	s_and_b32 s11, s13, exec_lo
.LBB251_839:
	s_and_not1_saveexec_b32 s10, s10
	s_cbranch_execz .LBB251_873
; %bb.840:
	s_mov_b32 s13, exec_lo
                                        ; implicit-def: $vgpr19
	v_cmpx_lt_i16_e32 26, v18
	s_xor_b32 s13, exec_lo, s13
	s_cbranch_execz .LBB251_858
; %bb.841:
	s_mov_b32 s14, exec_lo
                                        ; implicit-def: $vgpr19
	v_cmpx_lt_i16_e32 27, v18
	s_xor_b32 s14, exec_lo, s14
	s_cbranch_execz .LBB251_849
; %bb.842:
	s_wait_loadcnt_dscnt 0x0
	flat_load_b32 v9, v[6:7]
	v_mov_b32_e32 v19, 0x80
	s_mov_b32 s17, exec_lo
	s_wait_loadcnt_dscnt 0x0
	v_cvt_f32_u32_e32 v11, v9
	s_wait_xcnt 0x0
	s_delay_alu instid0(VALU_DEP_1)
	v_cmpx_gt_u32_e32 0x47800000, v11
	s_cbranch_execz .LBB251_848
; %bb.843:
	v_cmp_lt_u32_e64 s1, 0x37ffffff, v11
	s_mov_b32 s18, 0
                                        ; implicit-def: $vgpr9
	s_and_saveexec_b32 s19, s1
	s_delay_alu instid0(SALU_CYCLE_1)
	s_xor_b32 s1, exec_lo, s19
	s_cbranch_execz .LBB251_2515
; %bb.844:
	v_bfe_u32 v9, v11, 21, 1
	s_mov_b32 s18, exec_lo
	s_delay_alu instid0(VALU_DEP_1) | instskip(NEXT) | instid1(VALU_DEP_1)
	v_add3_u32 v9, v11, v9, 0x88fffff
                                        ; implicit-def: $vgpr11
	v_lshrrev_b32_e32 v9, 21, v9
	s_and_not1_saveexec_b32 s19, s1
	s_cbranch_execnz .LBB251_2516
.LBB251_845:
	s_or_b32 exec_lo, exec_lo, s19
	v_mov_b32_e32 v19, 0
	s_and_saveexec_b32 s1, s18
.LBB251_846:
	v_mov_b32_e32 v19, v9
.LBB251_847:
	s_or_b32 exec_lo, exec_lo, s1
.LBB251_848:
	s_delay_alu instid0(SALU_CYCLE_1)
	s_or_b32 exec_lo, exec_lo, s17
.LBB251_849:
	s_and_not1_saveexec_b32 s14, s14
	s_cbranch_execz .LBB251_857
; %bb.850:
	s_wait_loadcnt_dscnt 0x0
	flat_load_u16 v9, v[6:7]
	v_mov_b32_e32 v19, 0x80
	s_mov_b32 s17, exec_lo
	s_wait_loadcnt_dscnt 0x0
	v_cvt_f32_u32_e32 v11, v9
	s_wait_xcnt 0x0
	s_delay_alu instid0(VALU_DEP_1)
	v_cmpx_gt_u32_e32 0x47800000, v11
	s_cbranch_execz .LBB251_856
; %bb.851:
	v_cmp_lt_u32_e64 s1, 0x37ffffff, v11
	s_mov_b32 s18, 0
                                        ; implicit-def: $vgpr9
	s_and_saveexec_b32 s19, s1
	s_delay_alu instid0(SALU_CYCLE_1)
	s_xor_b32 s1, exec_lo, s19
	s_cbranch_execz .LBB251_2517
; %bb.852:
	v_bfe_u32 v9, v11, 21, 1
	s_mov_b32 s18, exec_lo
	s_delay_alu instid0(VALU_DEP_1) | instskip(NEXT) | instid1(VALU_DEP_1)
	v_add3_u32 v9, v11, v9, 0x88fffff
                                        ; implicit-def: $vgpr11
	v_lshrrev_b32_e32 v9, 21, v9
	s_and_not1_saveexec_b32 s19, s1
	s_cbranch_execnz .LBB251_2518
.LBB251_853:
	s_or_b32 exec_lo, exec_lo, s19
	v_mov_b32_e32 v19, 0
	s_and_saveexec_b32 s1, s18
.LBB251_854:
	v_mov_b32_e32 v19, v9
.LBB251_855:
	s_or_b32 exec_lo, exec_lo, s1
.LBB251_856:
	s_delay_alu instid0(SALU_CYCLE_1)
	s_or_b32 exec_lo, exec_lo, s17
.LBB251_857:
	s_delay_alu instid0(SALU_CYCLE_1)
	s_or_b32 exec_lo, exec_lo, s14
.LBB251_858:
	s_and_not1_saveexec_b32 s13, s13
	s_cbranch_execz .LBB251_872
; %bb.859:
	flat_load_u8 v11, v[6:7]
	s_mov_b32 s14, 0
	s_mov_b32 s17, exec_lo
	s_wait_loadcnt_dscnt 0x0
	v_cmpx_lt_i16_e32 0x7f, v11
	s_xor_b32 s17, exec_lo, s17
	s_cbranch_execz .LBB251_2357
; %bb.860:
	s_mov_b32 s14, -1
	s_mov_b32 s18, exec_lo
	v_cmpx_eq_u16_e32 0x80, v11
; %bb.861:
	s_xor_b32 s14, exec_lo, -1
; %bb.862:
	s_or_b32 exec_lo, exec_lo, s18
	s_delay_alu instid0(SALU_CYCLE_1)
	s_and_b32 s14, s14, exec_lo
	s_or_saveexec_b32 s17, s17
	v_mov_b32_e32 v9, 0x7f800001
	s_xor_b32 exec_lo, exec_lo, s17
	s_cbranch_execnz .LBB251_2358
.LBB251_863:
	s_or_b32 exec_lo, exec_lo, s17
	s_and_saveexec_b32 s17, s14
	s_cbranch_execz .LBB251_865
.LBB251_864:
	v_and_b32_e32 v9, 0xffff, v11
	s_delay_alu instid0(VALU_DEP_1) | instskip(SKIP_1) | instid1(VALU_DEP_2)
	v_dual_lshlrev_b32 v11, 24, v11 :: v_dual_bitop2_b32 v12, 7, v9 bitop3:0x40
	v_bfe_u32 v21, v9, 3, 4
	v_and_b32_e32 v11, 0x80000000, v11
	s_delay_alu instid0(VALU_DEP_3) | instskip(NEXT) | instid1(VALU_DEP_3)
	v_clz_i32_u32_e32 v13, v12
	v_cmp_eq_u32_e64 s1, 0, v21
	s_delay_alu instid0(VALU_DEP_2) | instskip(NEXT) | instid1(VALU_DEP_1)
	v_min_u32_e32 v13, 32, v13
	v_subrev_nc_u32_e32 v19, 28, v13
	v_sub_nc_u32_e32 v13, 29, v13
	s_delay_alu instid0(VALU_DEP_2) | instskip(NEXT) | instid1(VALU_DEP_2)
	v_lshlrev_b32_e32 v9, v19, v9
	v_cndmask_b32_e64 v13, v21, v13, s1
	s_delay_alu instid0(VALU_DEP_2) | instskip(NEXT) | instid1(VALU_DEP_1)
	v_and_b32_e32 v9, 7, v9
	v_cndmask_b32_e64 v9, v12, v9, s1
	s_delay_alu instid0(VALU_DEP_3) | instskip(NEXT) | instid1(VALU_DEP_2)
	v_lshl_add_u32 v12, v13, 23, 0x3b800000
	v_lshlrev_b32_e32 v9, 20, v9
	s_delay_alu instid0(VALU_DEP_1)
	v_or3_b32 v9, v11, v12, v9
.LBB251_865:
	s_or_b32 exec_lo, exec_lo, s17
	s_delay_alu instid0(VALU_DEP_1) | instskip(SKIP_2) | instid1(VALU_DEP_2)
	v_and_b32_e32 v11, 0x7fffffff, v9
	v_mov_b32_e32 v19, 0x80
	s_mov_b32 s14, exec_lo
	v_cmpx_gt_u32_e32 0x47800000, v11
	s_cbranch_execz .LBB251_871
; %bb.866:
	v_cmp_lt_u32_e64 s1, 0x37ffffff, v11
	s_mov_b32 s17, 0
                                        ; implicit-def: $vgpr11
	s_and_saveexec_b32 s18, s1
	s_delay_alu instid0(SALU_CYCLE_1)
	s_xor_b32 s1, exec_lo, s18
	s_cbranch_execz .LBB251_2432
; %bb.867:
	v_bfe_u32 v11, v9, 21, 1
	s_mov_b32 s17, exec_lo
	s_delay_alu instid0(VALU_DEP_1) | instskip(NEXT) | instid1(VALU_DEP_1)
	v_add3_u32 v11, v9, v11, 0x88fffff
	v_lshrrev_b32_e32 v11, 21, v11
	s_and_not1_saveexec_b32 s18, s1
	s_cbranch_execnz .LBB251_2433
.LBB251_868:
	s_or_b32 exec_lo, exec_lo, s18
	v_mov_b32_e32 v19, 0
	s_and_saveexec_b32 s1, s17
.LBB251_869:
	v_lshrrev_b32_e32 v9, 24, v9
	s_delay_alu instid0(VALU_DEP_1)
	v_and_or_b32 v19, 0x80, v9, v11
.LBB251_870:
	s_or_b32 exec_lo, exec_lo, s1
.LBB251_871:
	s_delay_alu instid0(SALU_CYCLE_1)
	s_or_b32 exec_lo, exec_lo, s14
.LBB251_872:
	s_delay_alu instid0(SALU_CYCLE_1) | instskip(NEXT) | instid1(SALU_CYCLE_1)
	s_or_b32 exec_lo, exec_lo, s13
	s_or_b32 s12, s12, exec_lo
.LBB251_873:
	s_or_b32 exec_lo, exec_lo, s10
	s_delay_alu instid0(SALU_CYCLE_1)
	s_and_b32 s10, s12, exec_lo
	s_and_b32 s11, s11, exec_lo
	s_and_not1_saveexec_b32 s9, s9
	s_cbranch_execnz .LBB251_2179
.LBB251_874:
	s_or_b32 exec_lo, exec_lo, s9
	s_mov_b32 s9, s4
	s_and_saveexec_b32 s1, s11
	s_cbranch_execnz .LBB251_2216
.LBB251_875:
	s_or_b32 exec_lo, exec_lo, s1
	s_and_saveexec_b32 s1, s6
	s_delay_alu instid0(SALU_CYCLE_1)
	s_xor_b32 s6, exec_lo, s1
	s_cbranch_execz .LBB251_883
.LBB251_876:
	flat_load_u8 v6, v[6:7]
	s_wait_loadcnt_dscnt 0x101
	v_mov_b32_e32 v19, 0x80
	s_mov_b32 s12, 0
	s_mov_b32 s11, exec_lo
	s_wait_loadcnt_dscnt 0x0
	v_cmp_ne_u16_e64 s1, 0, v6
	s_wait_xcnt 0x0
	s_delay_alu instid0(VALU_DEP_1) | instskip(NEXT) | instid1(VALU_DEP_1)
	v_cndmask_b32_e64 v7, 0, 1.0, s1
	v_cmpx_gt_u32_e32 0x47800000, v7
	s_cbranch_execz .LBB251_882
; %bb.877:
	v_cmp_lt_u32_e64 s1, 0x37ffffff, v7
                                        ; implicit-def: $vgpr6
	s_and_saveexec_b32 s13, s1
	s_delay_alu instid0(SALU_CYCLE_1)
	s_xor_b32 s1, exec_lo, s13
	s_cbranch_execz .LBB251_2274
; %bb.878:
	v_bfe_u32 v6, v7, 21, 1
	s_mov_b32 s12, exec_lo
	s_delay_alu instid0(VALU_DEP_1) | instskip(NEXT) | instid1(VALU_DEP_1)
	v_add3_u32 v6, v7, v6, 0x88fffff
                                        ; implicit-def: $vgpr7
	v_lshrrev_b32_e32 v6, 21, v6
	s_and_not1_saveexec_b32 s13, s1
	s_cbranch_execnz .LBB251_2275
.LBB251_879:
	s_or_b32 exec_lo, exec_lo, s13
	v_mov_b32_e32 v19, 0
	s_and_saveexec_b32 s1, s12
.LBB251_880:
	v_mov_b32_e32 v19, v6
.LBB251_881:
	s_or_b32 exec_lo, exec_lo, s1
.LBB251_882:
	s_delay_alu instid0(SALU_CYCLE_1) | instskip(NEXT) | instid1(SALU_CYCLE_1)
	s_or_b32 exec_lo, exec_lo, s11
	s_or_b32 s10, s10, exec_lo
.LBB251_883:
	s_or_b32 exec_lo, exec_lo, s6
	s_delay_alu instid0(SALU_CYCLE_1)
	s_and_not1_b32 s1, s4, exec_lo
	s_and_b32 s6, s9, exec_lo
	s_and_b32 s9, s10, exec_lo
	s_or_b32 s6, s1, s6
                                        ; implicit-def: $vgpr6_vgpr7
.LBB251_884:
	s_and_not1_saveexec_b32 s8, s8
	s_cbranch_execz .LBB251_992
; %bb.885:
	s_mov_b32 s10, exec_lo
                                        ; implicit-def: $vgpr19
	v_cmpx_lt_i16_e32 4, v18
	s_xor_b32 s10, exec_lo, s10
	s_cbranch_execz .LBB251_943
; %bb.886:
	s_mov_b32 s11, exec_lo
                                        ; implicit-def: $vgpr19
	v_cmpx_lt_i16_e32 7, v18
	s_xor_b32 s11, exec_lo, s11
	s_cbranch_execz .LBB251_914
; %bb.887:
	s_mov_b32 s12, exec_lo
                                        ; implicit-def: $vgpr19
	v_cmpx_lt_i16_e32 8, v18
	s_xor_b32 s12, exec_lo, s12
	s_cbranch_execz .LBB251_905
; %bb.888:
	s_mov_b32 s13, exec_lo
                                        ; implicit-def: $vgpr19
	v_cmpx_lt_i16_e32 9, v18
	s_xor_b32 s13, exec_lo, s13
	s_cbranch_execz .LBB251_896
; %bb.889:
	flat_load_b64 v[6:7], v[6:7]
	s_wait_loadcnt_dscnt 0x101
	v_mov_b32_e32 v19, 0x80
	s_mov_b32 s14, exec_lo
	s_wait_loadcnt_dscnt 0x0
	v_cvt_f32_f64_e32 v6, v[6:7]
	s_delay_alu instid0(VALU_DEP_1) | instskip(NEXT) | instid1(VALU_DEP_1)
	v_and_b32_e32 v7, 0x7fffffff, v6
	v_cmpx_gt_u32_e32 0x47800000, v7
	s_cbranch_execz .LBB251_895
; %bb.890:
	v_cmp_lt_u32_e64 s1, 0x37ffffff, v7
	s_mov_b32 s17, 0
                                        ; implicit-def: $vgpr7
	s_and_saveexec_b32 s18, s1
	s_delay_alu instid0(SALU_CYCLE_1)
	s_xor_b32 s1, exec_lo, s18
	s_cbranch_execz .LBB251_2519
; %bb.891:
	v_bfe_u32 v7, v6, 21, 1
	s_mov_b32 s17, exec_lo
	s_delay_alu instid0(VALU_DEP_1) | instskip(NEXT) | instid1(VALU_DEP_1)
	v_add3_u32 v7, v6, v7, 0x88fffff
	v_lshrrev_b32_e32 v7, 21, v7
	s_and_not1_saveexec_b32 s18, s1
	s_cbranch_execnz .LBB251_2520
.LBB251_892:
	s_or_b32 exec_lo, exec_lo, s18
	v_mov_b32_e32 v19, 0
	s_and_saveexec_b32 s1, s17
.LBB251_893:
	v_lshrrev_b32_e32 v6, 24, v6
	s_delay_alu instid0(VALU_DEP_1)
	v_and_or_b32 v19, 0x80, v6, v7
.LBB251_894:
	s_or_b32 exec_lo, exec_lo, s1
.LBB251_895:
	s_delay_alu instid0(SALU_CYCLE_1)
	s_or_b32 exec_lo, exec_lo, s14
                                        ; implicit-def: $vgpr6_vgpr7
.LBB251_896:
	s_and_not1_saveexec_b32 s13, s13
	s_cbranch_execz .LBB251_904
; %bb.897:
	flat_load_b32 v6, v[6:7]
	s_wait_loadcnt_dscnt 0x101
	v_mov_b32_e32 v19, 0x80
	s_mov_b32 s14, exec_lo
	s_wait_loadcnt_dscnt 0x0
	v_and_b32_e32 v7, 0x7fffffff, v6
	s_delay_alu instid0(VALU_DEP_1)
	v_cmpx_gt_u32_e32 0x47800000, v7
	s_cbranch_execz .LBB251_903
; %bb.898:
	v_cmp_lt_u32_e64 s1, 0x37ffffff, v7
	s_mov_b32 s17, 0
                                        ; implicit-def: $vgpr7
	s_and_saveexec_b32 s18, s1
	s_delay_alu instid0(SALU_CYCLE_1)
	s_xor_b32 s1, exec_lo, s18
	s_cbranch_execz .LBB251_2521
; %bb.899:
	v_bfe_u32 v7, v6, 21, 1
	s_mov_b32 s17, exec_lo
	s_delay_alu instid0(VALU_DEP_1) | instskip(NEXT) | instid1(VALU_DEP_1)
	v_add3_u32 v7, v6, v7, 0x88fffff
	v_lshrrev_b32_e32 v7, 21, v7
	s_and_not1_saveexec_b32 s18, s1
	s_cbranch_execnz .LBB251_2522
.LBB251_900:
	s_or_b32 exec_lo, exec_lo, s18
	v_mov_b32_e32 v19, 0
	s_and_saveexec_b32 s1, s17
.LBB251_901:
	v_lshrrev_b32_e32 v6, 24, v6
	s_delay_alu instid0(VALU_DEP_1)
	v_and_or_b32 v19, 0x80, v6, v7
.LBB251_902:
	s_or_b32 exec_lo, exec_lo, s1
.LBB251_903:
	s_delay_alu instid0(SALU_CYCLE_1)
	s_or_b32 exec_lo, exec_lo, s14
.LBB251_904:
	s_delay_alu instid0(SALU_CYCLE_1)
	s_or_b32 exec_lo, exec_lo, s13
                                        ; implicit-def: $vgpr6_vgpr7
.LBB251_905:
	s_and_not1_saveexec_b32 s12, s12
	s_cbranch_execz .LBB251_913
; %bb.906:
	flat_load_b32 v6, v[6:7]
	s_wait_loadcnt_dscnt 0x101
	v_mov_b32_e32 v19, 0x80
	s_mov_b32 s13, exec_lo
	s_wait_loadcnt_dscnt 0x0
	v_cvt_f32_f16_e32 v6, v6
	s_delay_alu instid0(VALU_DEP_1) | instskip(NEXT) | instid1(VALU_DEP_1)
	v_and_b32_e32 v7, 0x7fffffff, v6
	v_cmpx_gt_u32_e32 0x47800000, v7
	s_cbranch_execz .LBB251_912
; %bb.907:
	v_cmp_lt_u32_e64 s1, 0x37ffffff, v7
	s_mov_b32 s14, 0
                                        ; implicit-def: $vgpr7
	s_and_saveexec_b32 s17, s1
	s_delay_alu instid0(SALU_CYCLE_1)
	s_xor_b32 s1, exec_lo, s17
	s_cbranch_execz .LBB251_2434
; %bb.908:
	v_bfe_u32 v7, v6, 21, 1
	s_mov_b32 s14, exec_lo
	s_delay_alu instid0(VALU_DEP_1) | instskip(NEXT) | instid1(VALU_DEP_1)
	v_add3_u32 v7, v6, v7, 0x88fffff
	v_lshrrev_b32_e32 v7, 21, v7
	s_and_not1_saveexec_b32 s17, s1
	s_cbranch_execnz .LBB251_2435
.LBB251_909:
	s_or_b32 exec_lo, exec_lo, s17
	v_mov_b32_e32 v19, 0
	s_and_saveexec_b32 s1, s14
.LBB251_910:
	v_lshrrev_b32_e32 v6, 24, v6
	s_delay_alu instid0(VALU_DEP_1)
	v_and_or_b32 v19, 0x80, v6, v7
.LBB251_911:
	s_or_b32 exec_lo, exec_lo, s1
.LBB251_912:
	s_delay_alu instid0(SALU_CYCLE_1)
	s_or_b32 exec_lo, exec_lo, s13
.LBB251_913:
	s_delay_alu instid0(SALU_CYCLE_1)
	s_or_b32 exec_lo, exec_lo, s12
                                        ; implicit-def: $vgpr6_vgpr7
.LBB251_914:
	s_and_not1_saveexec_b32 s11, s11
	s_cbranch_execz .LBB251_942
; %bb.915:
	s_mov_b32 s12, exec_lo
                                        ; implicit-def: $vgpr19
	v_cmpx_lt_i16_e32 5, v18
	s_xor_b32 s12, exec_lo, s12
	s_cbranch_execz .LBB251_933
; %bb.916:
	s_mov_b32 s13, exec_lo
                                        ; implicit-def: $vgpr19
	v_cmpx_lt_i16_e32 6, v18
	s_xor_b32 s13, exec_lo, s13
	s_cbranch_execz .LBB251_924
; %bb.917:
	flat_load_b64 v[6:7], v[6:7]
	s_wait_loadcnt_dscnt 0x101
	v_mov_b32_e32 v19, 0x80
	s_mov_b32 s14, exec_lo
	s_wait_loadcnt_dscnt 0x0
	v_cvt_f32_f64_e32 v6, v[6:7]
	s_delay_alu instid0(VALU_DEP_1) | instskip(NEXT) | instid1(VALU_DEP_1)
	v_and_b32_e32 v7, 0x7fffffff, v6
	v_cmpx_gt_u32_e32 0x47800000, v7
	s_cbranch_execz .LBB251_923
; %bb.918:
	v_cmp_lt_u32_e64 s1, 0x37ffffff, v7
	s_mov_b32 s17, 0
                                        ; implicit-def: $vgpr7
	s_and_saveexec_b32 s18, s1
	s_delay_alu instid0(SALU_CYCLE_1)
	s_xor_b32 s1, exec_lo, s18
	s_cbranch_execz .LBB251_2523
; %bb.919:
	v_bfe_u32 v7, v6, 21, 1
	s_mov_b32 s17, exec_lo
	s_delay_alu instid0(VALU_DEP_1) | instskip(NEXT) | instid1(VALU_DEP_1)
	v_add3_u32 v7, v6, v7, 0x88fffff
	v_lshrrev_b32_e32 v7, 21, v7
	s_and_not1_saveexec_b32 s18, s1
	s_cbranch_execnz .LBB251_2524
.LBB251_920:
	s_or_b32 exec_lo, exec_lo, s18
	v_mov_b32_e32 v19, 0
	s_and_saveexec_b32 s1, s17
.LBB251_921:
	v_lshrrev_b32_e32 v6, 24, v6
	s_delay_alu instid0(VALU_DEP_1)
	v_and_or_b32 v19, 0x80, v6, v7
.LBB251_922:
	s_or_b32 exec_lo, exec_lo, s1
.LBB251_923:
	s_delay_alu instid0(SALU_CYCLE_1)
	s_or_b32 exec_lo, exec_lo, s14
                                        ; implicit-def: $vgpr6_vgpr7
.LBB251_924:
	s_and_not1_saveexec_b32 s13, s13
	s_cbranch_execz .LBB251_932
; %bb.925:
	flat_load_b32 v6, v[6:7]
	s_wait_loadcnt_dscnt 0x101
	v_mov_b32_e32 v19, 0x80
	s_mov_b32 s14, exec_lo
	s_wait_loadcnt_dscnt 0x0
	v_and_b32_e32 v7, 0x7fffffff, v6
	s_delay_alu instid0(VALU_DEP_1)
	v_cmpx_gt_u32_e32 0x47800000, v7
	s_cbranch_execz .LBB251_931
; %bb.926:
	v_cmp_lt_u32_e64 s1, 0x37ffffff, v7
	s_mov_b32 s17, 0
                                        ; implicit-def: $vgpr7
	s_and_saveexec_b32 s18, s1
	s_delay_alu instid0(SALU_CYCLE_1)
	s_xor_b32 s1, exec_lo, s18
	s_cbranch_execz .LBB251_2525
; %bb.927:
	v_bfe_u32 v7, v6, 21, 1
	s_mov_b32 s17, exec_lo
	s_delay_alu instid0(VALU_DEP_1) | instskip(NEXT) | instid1(VALU_DEP_1)
	v_add3_u32 v7, v6, v7, 0x88fffff
	v_lshrrev_b32_e32 v7, 21, v7
	s_and_not1_saveexec_b32 s18, s1
	s_cbranch_execnz .LBB251_2526
.LBB251_928:
	s_or_b32 exec_lo, exec_lo, s18
	v_mov_b32_e32 v19, 0
	s_and_saveexec_b32 s1, s17
.LBB251_929:
	v_lshrrev_b32_e32 v6, 24, v6
	s_delay_alu instid0(VALU_DEP_1)
	v_and_or_b32 v19, 0x80, v6, v7
.LBB251_930:
	s_or_b32 exec_lo, exec_lo, s1
.LBB251_931:
	s_delay_alu instid0(SALU_CYCLE_1)
	s_or_b32 exec_lo, exec_lo, s14
.LBB251_932:
	s_delay_alu instid0(SALU_CYCLE_1)
	s_or_b32 exec_lo, exec_lo, s13
                                        ; implicit-def: $vgpr6_vgpr7
.LBB251_933:
	s_and_not1_saveexec_b32 s12, s12
	s_cbranch_execz .LBB251_941
; %bb.934:
	flat_load_u16 v6, v[6:7]
	s_wait_loadcnt_dscnt 0x101
	v_mov_b32_e32 v19, 0x80
	s_mov_b32 s13, exec_lo
	s_wait_loadcnt_dscnt 0x0
	v_cvt_f32_f16_e32 v6, v6
	s_delay_alu instid0(VALU_DEP_1) | instskip(NEXT) | instid1(VALU_DEP_1)
	v_and_b32_e32 v7, 0x7fffffff, v6
	v_cmpx_gt_u32_e32 0x47800000, v7
	s_cbranch_execz .LBB251_940
; %bb.935:
	v_cmp_lt_u32_e64 s1, 0x37ffffff, v7
	s_mov_b32 s14, 0
                                        ; implicit-def: $vgpr7
	s_and_saveexec_b32 s17, s1
	s_delay_alu instid0(SALU_CYCLE_1)
	s_xor_b32 s1, exec_lo, s17
	s_cbranch_execz .LBB251_2436
; %bb.936:
	v_bfe_u32 v7, v6, 21, 1
	s_mov_b32 s14, exec_lo
	s_delay_alu instid0(VALU_DEP_1) | instskip(NEXT) | instid1(VALU_DEP_1)
	v_add3_u32 v7, v6, v7, 0x88fffff
	v_lshrrev_b32_e32 v7, 21, v7
	s_and_not1_saveexec_b32 s17, s1
	s_cbranch_execnz .LBB251_2437
.LBB251_937:
	s_or_b32 exec_lo, exec_lo, s17
	v_mov_b32_e32 v19, 0
	s_and_saveexec_b32 s1, s14
.LBB251_938:
	v_lshrrev_b32_e32 v6, 24, v6
	s_delay_alu instid0(VALU_DEP_1)
	v_and_or_b32 v19, 0x80, v6, v7
.LBB251_939:
	s_or_b32 exec_lo, exec_lo, s1
.LBB251_940:
	s_delay_alu instid0(SALU_CYCLE_1)
	s_or_b32 exec_lo, exec_lo, s13
.LBB251_941:
	s_delay_alu instid0(SALU_CYCLE_1)
	s_or_b32 exec_lo, exec_lo, s12
.LBB251_942:
	s_delay_alu instid0(SALU_CYCLE_1)
	s_or_b32 exec_lo, exec_lo, s11
                                        ; implicit-def: $vgpr6_vgpr7
.LBB251_943:
	s_and_not1_saveexec_b32 s10, s10
	s_cbranch_execz .LBB251_991
; %bb.944:
	s_mov_b32 s11, exec_lo
                                        ; implicit-def: $vgpr19
	v_cmpx_lt_i16_e32 1, v18
	s_xor_b32 s11, exec_lo, s11
	s_cbranch_execz .LBB251_972
; %bb.945:
	s_mov_b32 s12, exec_lo
                                        ; implicit-def: $vgpr19
	v_cmpx_lt_i16_e32 2, v18
	s_xor_b32 s12, exec_lo, s12
	;; [unrolled: 6-line block ×3, first 2 shown]
	s_cbranch_execz .LBB251_954
; %bb.947:
	flat_load_b64 v[6:7], v[6:7]
	s_wait_loadcnt_dscnt 0x101
	v_mov_b32_e32 v19, 0x80
	s_mov_b32 s14, exec_lo
	s_wait_loadcnt_dscnt 0x0
	v_xor_b32_e32 v9, v6, v7
	v_cls_i32_e32 v11, v7
	s_delay_alu instid0(VALU_DEP_2) | instskip(NEXT) | instid1(VALU_DEP_1)
	v_ashrrev_i32_e32 v9, 31, v9
	v_add_nc_u32_e32 v9, 32, v9
	s_delay_alu instid0(VALU_DEP_1) | instskip(SKIP_1) | instid1(VALU_DEP_1)
	v_add_min_u32_e64 v9, v11, -1, v9
	s_wait_xcnt 0x0
	v_lshlrev_b64_e32 v[6:7], v9, v[6:7]
	s_delay_alu instid0(VALU_DEP_1) | instskip(NEXT) | instid1(VALU_DEP_1)
	v_min_u32_e32 v6, 1, v6
	v_dual_sub_nc_u32 v7, 32, v9 :: v_dual_bitop2_b32 v6, v7, v6 bitop3:0x54
	s_delay_alu instid0(VALU_DEP_1) | instskip(NEXT) | instid1(VALU_DEP_1)
	v_cvt_f32_i32_e32 v6, v6
	v_ldexp_f32 v6, v6, v7
	s_delay_alu instid0(VALU_DEP_1) | instskip(NEXT) | instid1(VALU_DEP_1)
	v_and_b32_e32 v7, 0x7fffffff, v6
	v_cmpx_gt_u32_e32 0x47800000, v7
	s_cbranch_execz .LBB251_953
; %bb.948:
	v_cmp_lt_u32_e64 s1, 0x37ffffff, v7
	s_mov_b32 s17, 0
                                        ; implicit-def: $vgpr7
	s_and_saveexec_b32 s18, s1
	s_delay_alu instid0(SALU_CYCLE_1)
	s_xor_b32 s1, exec_lo, s18
	s_cbranch_execz .LBB251_2527
; %bb.949:
	v_bfe_u32 v7, v6, 21, 1
	s_mov_b32 s17, exec_lo
	s_delay_alu instid0(VALU_DEP_1) | instskip(NEXT) | instid1(VALU_DEP_1)
	v_add3_u32 v7, v6, v7, 0x88fffff
	v_lshrrev_b32_e32 v7, 21, v7
	s_and_not1_saveexec_b32 s18, s1
	s_cbranch_execnz .LBB251_2528
.LBB251_950:
	s_or_b32 exec_lo, exec_lo, s18
	v_mov_b32_e32 v19, 0
	s_and_saveexec_b32 s1, s17
.LBB251_951:
	v_lshrrev_b32_e32 v6, 24, v6
	s_delay_alu instid0(VALU_DEP_1)
	v_and_or_b32 v19, 0x80, v6, v7
.LBB251_952:
	s_or_b32 exec_lo, exec_lo, s1
.LBB251_953:
	s_delay_alu instid0(SALU_CYCLE_1)
	s_or_b32 exec_lo, exec_lo, s14
                                        ; implicit-def: $vgpr6_vgpr7
.LBB251_954:
	s_and_not1_saveexec_b32 s13, s13
	s_cbranch_execz .LBB251_962
; %bb.955:
	flat_load_b32 v6, v[6:7]
	s_wait_loadcnt_dscnt 0x101
	v_mov_b32_e32 v19, 0x80
	s_mov_b32 s14, exec_lo
	s_wait_loadcnt_dscnt 0x0
	v_cvt_f32_i32_e32 v6, v6
	s_delay_alu instid0(VALU_DEP_1) | instskip(NEXT) | instid1(VALU_DEP_1)
	v_and_b32_e32 v7, 0x7fffffff, v6
	v_cmpx_gt_u32_e32 0x47800000, v7
	s_cbranch_execz .LBB251_961
; %bb.956:
	v_cmp_lt_u32_e64 s1, 0x37ffffff, v7
	s_mov_b32 s17, 0
                                        ; implicit-def: $vgpr7
	s_and_saveexec_b32 s18, s1
	s_delay_alu instid0(SALU_CYCLE_1)
	s_xor_b32 s1, exec_lo, s18
	s_cbranch_execz .LBB251_2529
; %bb.957:
	v_bfe_u32 v7, v6, 21, 1
	s_mov_b32 s17, exec_lo
	s_delay_alu instid0(VALU_DEP_1) | instskip(NEXT) | instid1(VALU_DEP_1)
	v_add3_u32 v7, v6, v7, 0x88fffff
	v_lshrrev_b32_e32 v7, 21, v7
	s_and_not1_saveexec_b32 s18, s1
	s_cbranch_execnz .LBB251_2530
.LBB251_958:
	s_or_b32 exec_lo, exec_lo, s18
	v_mov_b32_e32 v19, 0
	s_and_saveexec_b32 s1, s17
.LBB251_959:
	v_lshrrev_b32_e32 v6, 24, v6
	s_delay_alu instid0(VALU_DEP_1)
	v_and_or_b32 v19, 0x80, v6, v7
.LBB251_960:
	s_or_b32 exec_lo, exec_lo, s1
.LBB251_961:
	s_delay_alu instid0(SALU_CYCLE_1)
	s_or_b32 exec_lo, exec_lo, s14
.LBB251_962:
	s_delay_alu instid0(SALU_CYCLE_1)
	s_or_b32 exec_lo, exec_lo, s13
                                        ; implicit-def: $vgpr6_vgpr7
.LBB251_963:
	s_and_not1_saveexec_b32 s12, s12
	s_cbranch_execz .LBB251_971
; %bb.964:
	flat_load_i16 v6, v[6:7]
	s_wait_loadcnt_dscnt 0x101
	v_mov_b32_e32 v19, 0x80
	s_mov_b32 s13, exec_lo
	s_wait_loadcnt_dscnt 0x0
	v_cvt_f32_i32_e32 v6, v6
	s_delay_alu instid0(VALU_DEP_1) | instskip(NEXT) | instid1(VALU_DEP_1)
	v_and_b32_e32 v7, 0x7fffffff, v6
	v_cmpx_gt_u32_e32 0x47800000, v7
	s_cbranch_execz .LBB251_970
; %bb.965:
	v_cmp_lt_u32_e64 s1, 0x37ffffff, v7
	s_mov_b32 s14, 0
                                        ; implicit-def: $vgpr7
	s_and_saveexec_b32 s17, s1
	s_delay_alu instid0(SALU_CYCLE_1)
	s_xor_b32 s1, exec_lo, s17
	s_cbranch_execz .LBB251_2438
; %bb.966:
	v_bfe_u32 v7, v6, 21, 1
	s_mov_b32 s14, exec_lo
	s_delay_alu instid0(VALU_DEP_1) | instskip(NEXT) | instid1(VALU_DEP_1)
	v_add3_u32 v7, v6, v7, 0x88fffff
	v_lshrrev_b32_e32 v7, 21, v7
	s_and_not1_saveexec_b32 s17, s1
	s_cbranch_execnz .LBB251_2439
.LBB251_967:
	s_or_b32 exec_lo, exec_lo, s17
	v_mov_b32_e32 v19, 0
	s_and_saveexec_b32 s1, s14
.LBB251_968:
	v_lshrrev_b32_e32 v6, 24, v6
	s_delay_alu instid0(VALU_DEP_1)
	v_and_or_b32 v19, 0x80, v6, v7
.LBB251_969:
	s_or_b32 exec_lo, exec_lo, s1
.LBB251_970:
	s_delay_alu instid0(SALU_CYCLE_1)
	s_or_b32 exec_lo, exec_lo, s13
.LBB251_971:
	s_delay_alu instid0(SALU_CYCLE_1)
	s_or_b32 exec_lo, exec_lo, s12
                                        ; implicit-def: $vgpr6_vgpr7
.LBB251_972:
	s_and_not1_saveexec_b32 s11, s11
	s_cbranch_execz .LBB251_990
; %bb.973:
	s_mov_b32 s12, exec_lo
                                        ; implicit-def: $vgpr19
	v_cmpx_lt_i16_e32 0, v18
	s_xor_b32 s12, exec_lo, s12
	s_cbranch_execz .LBB251_981
; %bb.974:
	flat_load_i8 v6, v[6:7]
	s_wait_loadcnt_dscnt 0x101
	v_mov_b32_e32 v19, 0x80
	s_mov_b32 s13, exec_lo
	s_wait_loadcnt_dscnt 0x0
	v_cvt_f32_i32_e32 v6, v6
	s_delay_alu instid0(VALU_DEP_1) | instskip(NEXT) | instid1(VALU_DEP_1)
	v_and_b32_e32 v7, 0x7fffffff, v6
	v_cmpx_gt_u32_e32 0x47800000, v7
	s_cbranch_execz .LBB251_980
; %bb.975:
	v_cmp_lt_u32_e64 s1, 0x37ffffff, v7
	s_mov_b32 s14, 0
                                        ; implicit-def: $vgpr7
	s_and_saveexec_b32 s17, s1
	s_delay_alu instid0(SALU_CYCLE_1)
	s_xor_b32 s1, exec_lo, s17
	s_cbranch_execz .LBB251_2440
; %bb.976:
	v_bfe_u32 v7, v6, 21, 1
	s_mov_b32 s14, exec_lo
	s_delay_alu instid0(VALU_DEP_1) | instskip(NEXT) | instid1(VALU_DEP_1)
	v_add3_u32 v7, v6, v7, 0x88fffff
	v_lshrrev_b32_e32 v7, 21, v7
	s_and_not1_saveexec_b32 s17, s1
	s_cbranch_execnz .LBB251_2441
.LBB251_977:
	s_or_b32 exec_lo, exec_lo, s17
	v_mov_b32_e32 v19, 0
	s_and_saveexec_b32 s1, s14
.LBB251_978:
	v_lshrrev_b32_e32 v6, 24, v6
	s_delay_alu instid0(VALU_DEP_1)
	v_and_or_b32 v19, 0x80, v6, v7
.LBB251_979:
	s_or_b32 exec_lo, exec_lo, s1
.LBB251_980:
	s_delay_alu instid0(SALU_CYCLE_1)
	s_or_b32 exec_lo, exec_lo, s13
                                        ; implicit-def: $vgpr6_vgpr7
.LBB251_981:
	s_and_not1_saveexec_b32 s12, s12
	s_cbranch_execz .LBB251_989
; %bb.982:
	flat_load_u8 v6, v[6:7]
	s_wait_loadcnt_dscnt 0x101
	v_mov_b32_e32 v19, 0x80
	s_mov_b32 s13, exec_lo
	s_wait_loadcnt_dscnt 0x0
	v_cvt_f32_ubyte0_e32 v7, v6
	s_delay_alu instid0(VALU_DEP_1)
	v_cmpx_gt_u32_e32 0x47800000, v7
	s_cbranch_execz .LBB251_988
; %bb.983:
	v_cmp_lt_u32_e64 s1, 0x37ffffff, v7
	s_mov_b32 s14, 0
                                        ; implicit-def: $vgpr6
	s_and_saveexec_b32 s17, s1
	s_delay_alu instid0(SALU_CYCLE_1)
	s_xor_b32 s1, exec_lo, s17
	s_cbranch_execz .LBB251_2442
; %bb.984:
	v_bfe_u32 v6, v7, 21, 1
	s_mov_b32 s14, exec_lo
	s_delay_alu instid0(VALU_DEP_1) | instskip(NEXT) | instid1(VALU_DEP_1)
	v_add3_u32 v6, v7, v6, 0x88fffff
                                        ; implicit-def: $vgpr7
	v_lshrrev_b32_e32 v6, 21, v6
	s_and_not1_saveexec_b32 s17, s1
	s_cbranch_execnz .LBB251_2443
.LBB251_985:
	s_or_b32 exec_lo, exec_lo, s17
	v_mov_b32_e32 v19, 0
	s_and_saveexec_b32 s1, s14
.LBB251_986:
	v_mov_b32_e32 v19, v6
.LBB251_987:
	s_or_b32 exec_lo, exec_lo, s1
.LBB251_988:
	s_delay_alu instid0(SALU_CYCLE_1)
	s_or_b32 exec_lo, exec_lo, s13
.LBB251_989:
	s_delay_alu instid0(SALU_CYCLE_1)
	s_or_b32 exec_lo, exec_lo, s12
.LBB251_990:
	s_delay_alu instid0(SALU_CYCLE_1)
	s_or_b32 exec_lo, exec_lo, s11
.LBB251_991:
	s_delay_alu instid0(SALU_CYCLE_1) | instskip(NEXT) | instid1(SALU_CYCLE_1)
	s_or_b32 exec_lo, exec_lo, s10
	s_or_b32 s9, s9, exec_lo
.LBB251_992:
	s_or_b32 exec_lo, exec_lo, s8
	s_mov_b32 s1, 0
	s_mov_b32 s10, 0
                                        ; implicit-def: $sgpr18
                                        ; implicit-def: $vgpr12_vgpr13
                                        ; implicit-def: $vgpr7
	s_and_saveexec_b32 s8, s9
	s_cbranch_execz .LBB251_1917
; %bb.993:
	v_lshlrev_b32_e32 v11, 7, v20
	s_mov_b32 s11, 0
	s_mov_b32 s9, s6
	s_mov_b32 s10, exec_lo
                                        ; implicit-def: $vgpr20
	s_delay_alu instid0(VALU_DEP_1) | instskip(NEXT) | instid1(VALU_DEP_1)
	v_add_nc_u32_e32 v6, v8, v11
	v_ashrrev_i32_e32 v7, 31, v6
	s_wait_loadcnt_dscnt 0x0
	s_delay_alu instid0(VALU_DEP_1)
	v_add_nc_u64_e32 v[8:9], v[2:3], v[6:7]
	v_cmpx_lt_i16_e32 10, v15
	s_xor_b32 s10, exec_lo, s10
	s_cbranch_execz .LBB251_1074
; %bb.994:
	s_mov_b32 s9, 0
	s_mov_b32 s13, 0
	;; [unrolled: 1-line block ×3, first 2 shown]
	s_mov_b32 s11, exec_lo
                                        ; implicit-def: $vgpr20
	v_cmpx_lt_i16_e32 25, v15
	s_xor_b32 s11, exec_lo, s11
	s_cbranch_execz .LBB251_2221
; %bb.995:
	s_mov_b32 s14, 0
	s_mov_b32 s12, exec_lo
                                        ; implicit-def: $vgpr20
	v_cmpx_lt_i16_e32 28, v15
	s_xor_b32 s12, exec_lo, s12
	s_cbranch_execz .LBB251_1029
; %bb.996:
	s_mov_b32 s17, 0
	s_mov_b32 s18, 0
	s_mov_b32 s13, exec_lo
                                        ; implicit-def: $vgpr20
	v_cmpx_lt_i16_e32 43, v15
	s_xor_b32 s13, exec_lo, s13
	s_cbranch_execz .LBB251_1018
; %bb.997:
	s_mov_b32 s18, exec_lo
                                        ; implicit-def: $vgpr20
	v_cmpx_lt_i16_e32 45, v15
	s_xor_b32 s18, exec_lo, s18
	s_cbranch_execz .LBB251_1007
; %bb.998:
	s_mov_b32 s19, -1
	s_mov_b32 s14, exec_lo
                                        ; implicit-def: $vgpr20
	v_cmpx_eq_u16_e32 46, v15
	s_cbranch_execz .LBB251_1006
; %bb.999:
	flat_load_b32 v7, v[8:9]
	s_mov_b32 s17, exec_lo
	s_wait_loadcnt_dscnt 0x0
	v_dual_mov_b32 v20, 0x80 :: v_dual_lshlrev_b32 v7, 16, v7
	s_delay_alu instid0(VALU_DEP_1) | instskip(SKIP_1) | instid1(VALU_DEP_1)
	v_and_b32_e32 v12, 0x7fffffff, v7
	s_wait_xcnt 0x0
	v_cmpx_gt_u32_e32 0x47800000, v12
	s_cbranch_execz .LBB251_1005
; %bb.1000:
	v_cmp_lt_u32_e64 s1, 0x37ffffff, v12
	s_mov_b32 s19, 0
                                        ; implicit-def: $vgpr12
	s_and_saveexec_b32 s20, s1
	s_delay_alu instid0(SALU_CYCLE_1)
	s_xor_b32 s1, exec_lo, s20
	s_cbranch_execz .LBB251_2687
; %bb.1001:
	v_bfe_u32 v12, v7, 21, 1
	s_mov_b32 s19, exec_lo
	s_delay_alu instid0(VALU_DEP_1) | instskip(NEXT) | instid1(VALU_DEP_1)
	v_add3_u32 v12, v7, v12, 0x88fffff
	v_lshrrev_b32_e32 v12, 21, v12
	s_and_not1_saveexec_b32 s20, s1
	s_cbranch_execnz .LBB251_2688
.LBB251_1002:
	s_or_b32 exec_lo, exec_lo, s20
	v_mov_b32_e32 v20, 0
	s_and_saveexec_b32 s1, s19
.LBB251_1003:
	v_lshrrev_b32_e32 v7, 24, v7
	s_delay_alu instid0(VALU_DEP_1)
	v_and_or_b32 v20, 0x80, v7, v12
.LBB251_1004:
	s_or_b32 exec_lo, exec_lo, s1
.LBB251_1005:
	s_delay_alu instid0(SALU_CYCLE_1) | instskip(NEXT) | instid1(SALU_CYCLE_1)
	s_or_b32 exec_lo, exec_lo, s17
	s_mov_b32 s17, exec_lo
	s_xor_b32 s19, exec_lo, -1
.LBB251_1006:
	s_or_b32 exec_lo, exec_lo, s14
	s_delay_alu instid0(SALU_CYCLE_1)
	s_and_b32 s17, s17, exec_lo
	s_and_b32 s14, s19, exec_lo
.LBB251_1007:
	s_and_not1_saveexec_b32 s18, s18
	s_cbranch_execz .LBB251_1017
; %bb.1008:
	s_mov_b32 s20, -1
	s_mov_b32 s21, s17
	s_mov_b32 s19, exec_lo
                                        ; implicit-def: $vgpr20
	v_cmpx_eq_u16_e32 44, v15
	s_cbranch_execz .LBB251_1016
; %bb.1009:
	flat_load_u8 v7, v[8:9]
	v_mov_b32_e32 v20, 0x80
	s_mov_b32 s21, 0
	s_mov_b32 s20, exec_lo
	s_wait_loadcnt_dscnt 0x0
	v_lshlrev_b32_e32 v12, 23, v7
	v_cmp_ne_u32_e64 s1, 0xff, v7
	s_delay_alu instid0(VALU_DEP_1) | instskip(SKIP_1) | instid1(VALU_DEP_1)
	v_cndmask_b32_e64 v12, 0x7f800001, v12, s1
	v_cmp_ne_u32_e64 s1, 0, v7
	v_cndmask_b32_e64 v12, 0x400000, v12, s1
	s_wait_xcnt 0x0
	s_delay_alu instid0(VALU_DEP_1)
	v_cmpx_gt_u32_e32 0x47800000, v12
	s_cbranch_execz .LBB251_1015
; %bb.1010:
	v_cmp_lt_u32_e64 s1, 0x37ffffff, v12
                                        ; implicit-def: $vgpr7
	s_and_saveexec_b32 s22, s1
	s_delay_alu instid0(SALU_CYCLE_1)
	s_xor_b32 s1, exec_lo, s22
	s_cbranch_execz .LBB251_2689
; %bb.1011:
	v_bfe_u32 v7, v12, 21, 1
	s_mov_b32 s21, exec_lo
	s_delay_alu instid0(VALU_DEP_1) | instskip(NEXT) | instid1(VALU_DEP_1)
	v_add3_u32 v7, v12, v7, 0x88fffff
                                        ; implicit-def: $vgpr12
	v_lshrrev_b32_e32 v7, 21, v7
	s_and_not1_saveexec_b32 s22, s1
	s_cbranch_execnz .LBB251_2690
.LBB251_1012:
	s_or_b32 exec_lo, exec_lo, s22
	v_mov_b32_e32 v20, 0
	s_and_saveexec_b32 s1, s21
.LBB251_1013:
	v_mov_b32_e32 v20, v7
.LBB251_1014:
	s_or_b32 exec_lo, exec_lo, s1
.LBB251_1015:
	s_delay_alu instid0(SALU_CYCLE_1) | instskip(NEXT) | instid1(SALU_CYCLE_1)
	s_or_b32 exec_lo, exec_lo, s20
	s_or_b32 s21, s17, exec_lo
	s_xor_b32 s20, exec_lo, -1
.LBB251_1016:
	s_or_b32 exec_lo, exec_lo, s19
	s_delay_alu instid0(SALU_CYCLE_1)
	s_and_not1_b32 s1, s17, exec_lo
	s_and_b32 s17, s21, exec_lo
	s_and_not1_b32 s14, s14, exec_lo
	s_and_b32 s19, s20, exec_lo
	s_or_b32 s17, s1, s17
	s_or_b32 s14, s14, s19
.LBB251_1017:
	s_or_b32 exec_lo, exec_lo, s18
	s_delay_alu instid0(SALU_CYCLE_1)
	s_and_b32 s18, s17, exec_lo
	s_and_b32 s17, s14, exec_lo
.LBB251_1018:
	s_and_not1_saveexec_b32 s13, s13
	s_cbranch_execz .LBB251_1028
; %bb.1019:
	s_mov_b32 s19, -1
	s_mov_b32 s20, s18
	s_mov_b32 s14, exec_lo
                                        ; implicit-def: $vgpr20
	v_cmpx_eq_u16_e32 29, v15
	s_cbranch_execz .LBB251_1027
; %bb.1020:
	flat_load_b64 v[12:13], v[8:9]
	v_mov_b32_e32 v20, 0x80
	s_mov_b32 s19, exec_lo
	s_wait_loadcnt_dscnt 0x0
	v_clz_i32_u32_e32 v7, v13
	s_delay_alu instid0(VALU_DEP_1) | instskip(NEXT) | instid1(VALU_DEP_1)
	v_min_u32_e32 v7, 32, v7
	v_lshlrev_b64_e32 v[12:13], v7, v[12:13]
	v_sub_nc_u32_e32 v7, 32, v7
	s_delay_alu instid0(VALU_DEP_2) | instskip(NEXT) | instid1(VALU_DEP_1)
	v_min_u32_e32 v12, 1, v12
	v_or_b32_e32 v12, v13, v12
	s_delay_alu instid0(VALU_DEP_1) | instskip(NEXT) | instid1(VALU_DEP_1)
	v_cvt_f32_u32_e32 v12, v12
	v_ldexp_f32 v12, v12, v7
	s_wait_xcnt 0x0
	s_delay_alu instid0(VALU_DEP_1)
	v_cmpx_gt_u32_e32 0x47800000, v12
	s_cbranch_execz .LBB251_1026
; %bb.1021:
	v_cmp_lt_u32_e64 s1, 0x37ffffff, v12
	s_mov_b32 s20, 0
                                        ; implicit-def: $vgpr7
	s_and_saveexec_b32 s21, s1
	s_delay_alu instid0(SALU_CYCLE_1)
	s_xor_b32 s1, exec_lo, s21
	s_cbranch_execz .LBB251_2604
; %bb.1022:
	v_bfe_u32 v7, v12, 21, 1
	s_mov_b32 s20, exec_lo
	s_delay_alu instid0(VALU_DEP_1) | instskip(NEXT) | instid1(VALU_DEP_1)
	v_add3_u32 v7, v12, v7, 0x88fffff
                                        ; implicit-def: $vgpr12
	v_lshrrev_b32_e32 v7, 21, v7
	s_and_not1_saveexec_b32 s21, s1
	s_cbranch_execnz .LBB251_2605
.LBB251_1023:
	s_or_b32 exec_lo, exec_lo, s21
	v_mov_b32_e32 v20, 0
	s_and_saveexec_b32 s1, s20
.LBB251_1024:
	v_mov_b32_e32 v20, v7
.LBB251_1025:
	s_or_b32 exec_lo, exec_lo, s1
.LBB251_1026:
	s_delay_alu instid0(SALU_CYCLE_1) | instskip(NEXT) | instid1(SALU_CYCLE_1)
	s_or_b32 exec_lo, exec_lo, s19
	s_or_b32 s20, s18, exec_lo
	s_xor_b32 s19, exec_lo, -1
.LBB251_1027:
	s_or_b32 exec_lo, exec_lo, s14
	s_delay_alu instid0(SALU_CYCLE_1)
	s_and_not1_b32 s1, s18, exec_lo
	s_and_b32 s14, s20, exec_lo
	s_and_not1_b32 s17, s17, exec_lo
	s_and_b32 s19, s19, exec_lo
	s_or_b32 s18, s1, s14
	s_or_b32 s17, s17, s19
.LBB251_1028:
	s_or_b32 exec_lo, exec_lo, s13
	s_delay_alu instid0(SALU_CYCLE_1)
	s_and_b32 s14, s18, exec_lo
	s_and_b32 s13, s17, exec_lo
.LBB251_1029:
	s_and_not1_saveexec_b32 s12, s12
	s_cbranch_execz .LBB251_1063
; %bb.1030:
	s_mov_b32 s17, exec_lo
                                        ; implicit-def: $vgpr20
	v_cmpx_lt_i16_e32 26, v15
	s_xor_b32 s17, exec_lo, s17
	s_cbranch_execz .LBB251_1048
; %bb.1031:
	s_mov_b32 s18, exec_lo
                                        ; implicit-def: $vgpr20
	v_cmpx_lt_i16_e32 27, v15
	s_xor_b32 s18, exec_lo, s18
	s_cbranch_execz .LBB251_1039
; %bb.1032:
	flat_load_b32 v7, v[8:9]
	v_mov_b32_e32 v20, 0x80
	s_mov_b32 s19, exec_lo
	s_wait_loadcnt_dscnt 0x0
	v_cvt_f32_u32_e32 v12, v7
	s_wait_xcnt 0x0
	s_delay_alu instid0(VALU_DEP_1)
	v_cmpx_gt_u32_e32 0x47800000, v12
	s_cbranch_execz .LBB251_1038
; %bb.1033:
	v_cmp_lt_u32_e64 s1, 0x37ffffff, v12
	s_mov_b32 s20, 0
                                        ; implicit-def: $vgpr7
	s_and_saveexec_b32 s21, s1
	s_delay_alu instid0(SALU_CYCLE_1)
	s_xor_b32 s1, exec_lo, s21
	s_cbranch_execz .LBB251_2606
; %bb.1034:
	v_bfe_u32 v7, v12, 21, 1
	s_mov_b32 s20, exec_lo
	s_delay_alu instid0(VALU_DEP_1) | instskip(NEXT) | instid1(VALU_DEP_1)
	v_add3_u32 v7, v12, v7, 0x88fffff
                                        ; implicit-def: $vgpr12
	v_lshrrev_b32_e32 v7, 21, v7
	s_and_not1_saveexec_b32 s21, s1
	s_cbranch_execnz .LBB251_2607
.LBB251_1035:
	s_or_b32 exec_lo, exec_lo, s21
	v_mov_b32_e32 v20, 0
	s_and_saveexec_b32 s1, s20
.LBB251_1036:
	v_mov_b32_e32 v20, v7
.LBB251_1037:
	s_or_b32 exec_lo, exec_lo, s1
.LBB251_1038:
	s_delay_alu instid0(SALU_CYCLE_1)
	s_or_b32 exec_lo, exec_lo, s19
.LBB251_1039:
	s_and_not1_saveexec_b32 s18, s18
	s_cbranch_execz .LBB251_1047
; %bb.1040:
	flat_load_u16 v7, v[8:9]
	v_mov_b32_e32 v20, 0x80
	s_mov_b32 s19, exec_lo
	s_wait_loadcnt_dscnt 0x0
	v_cvt_f32_u32_e32 v12, v7
	s_wait_xcnt 0x0
	s_delay_alu instid0(VALU_DEP_1)
	v_cmpx_gt_u32_e32 0x47800000, v12
	s_cbranch_execz .LBB251_1046
; %bb.1041:
	v_cmp_lt_u32_e64 s1, 0x37ffffff, v12
	s_mov_b32 s20, 0
                                        ; implicit-def: $vgpr7
	s_and_saveexec_b32 s21, s1
	s_delay_alu instid0(SALU_CYCLE_1)
	s_xor_b32 s1, exec_lo, s21
	s_cbranch_execz .LBB251_2608
; %bb.1042:
	v_bfe_u32 v7, v12, 21, 1
	s_mov_b32 s20, exec_lo
	s_delay_alu instid0(VALU_DEP_1) | instskip(NEXT) | instid1(VALU_DEP_1)
	v_add3_u32 v7, v12, v7, 0x88fffff
                                        ; implicit-def: $vgpr12
	v_lshrrev_b32_e32 v7, 21, v7
	s_and_not1_saveexec_b32 s21, s1
	s_cbranch_execnz .LBB251_2609
.LBB251_1043:
	s_or_b32 exec_lo, exec_lo, s21
	v_mov_b32_e32 v20, 0
	s_and_saveexec_b32 s1, s20
.LBB251_1044:
	v_mov_b32_e32 v20, v7
.LBB251_1045:
	s_or_b32 exec_lo, exec_lo, s1
.LBB251_1046:
	s_delay_alu instid0(SALU_CYCLE_1)
	s_or_b32 exec_lo, exec_lo, s19
.LBB251_1047:
	s_delay_alu instid0(SALU_CYCLE_1)
	s_or_b32 exec_lo, exec_lo, s18
.LBB251_1048:
	s_and_not1_saveexec_b32 s17, s17
	s_cbranch_execz .LBB251_1062
; %bb.1049:
	flat_load_u8 v12, v[8:9]
	s_mov_b32 s18, 0
	s_mov_b32 s19, exec_lo
	s_wait_loadcnt_dscnt 0x0
	v_cmpx_lt_i16_e32 0x7f, v12
	s_xor_b32 s19, exec_lo, s19
	s_cbranch_execz .LBB251_2444
; %bb.1050:
	s_mov_b32 s18, -1
	s_mov_b32 s20, exec_lo
	v_cmpx_eq_u16_e32 0x80, v12
; %bb.1051:
	s_xor_b32 s18, exec_lo, -1
; %bb.1052:
	s_or_b32 exec_lo, exec_lo, s20
	s_delay_alu instid0(SALU_CYCLE_1)
	s_and_b32 s18, s18, exec_lo
	s_or_saveexec_b32 s19, s19
	v_mov_b32_e32 v7, 0x7f800001
	s_xor_b32 exec_lo, exec_lo, s19
	s_cbranch_execnz .LBB251_2445
.LBB251_1053:
	s_or_b32 exec_lo, exec_lo, s19
	s_and_saveexec_b32 s19, s18
	s_cbranch_execz .LBB251_1055
.LBB251_1054:
	v_and_b32_e32 v7, 0xffff, v12
	s_delay_alu instid0(VALU_DEP_1) | instskip(SKIP_1) | instid1(VALU_DEP_2)
	v_and_b32_e32 v13, 7, v7
	v_bfe_u32 v22, v7, 3, 4
	v_clz_i32_u32_e32 v20, v13
	s_delay_alu instid0(VALU_DEP_2) | instskip(NEXT) | instid1(VALU_DEP_2)
	v_cmp_eq_u32_e64 s1, 0, v22
	v_min_u32_e32 v20, 32, v20
	s_delay_alu instid0(VALU_DEP_1) | instskip(NEXT) | instid1(VALU_DEP_1)
	v_subrev_nc_u32_e32 v21, 28, v20
	v_dual_lshlrev_b32 v7, v21, v7 :: v_dual_sub_nc_u32 v20, 29, v20
	s_delay_alu instid0(VALU_DEP_1) | instskip(NEXT) | instid1(VALU_DEP_1)
	v_dual_lshlrev_b32 v12, 24, v12 :: v_dual_bitop2_b32 v7, 7, v7 bitop3:0x40
	v_dual_cndmask_b32 v7, v13, v7, s1 :: v_dual_cndmask_b32 v20, v22, v20, s1
	s_delay_alu instid0(VALU_DEP_2) | instskip(NEXT) | instid1(VALU_DEP_2)
	v_and_b32_e32 v12, 0x80000000, v12
	v_lshlrev_b32_e32 v7, 20, v7
	s_delay_alu instid0(VALU_DEP_3) | instskip(NEXT) | instid1(VALU_DEP_1)
	v_lshl_add_u32 v13, v20, 23, 0x3b800000
	v_or3_b32 v7, v12, v13, v7
.LBB251_1055:
	s_or_b32 exec_lo, exec_lo, s19
	s_delay_alu instid0(VALU_DEP_1) | instskip(SKIP_2) | instid1(VALU_DEP_2)
	v_and_b32_e32 v12, 0x7fffffff, v7
	v_mov_b32_e32 v20, 0x80
	s_mov_b32 s18, exec_lo
	v_cmpx_gt_u32_e32 0x47800000, v12
	s_cbranch_execz .LBB251_1061
; %bb.1056:
	v_cmp_lt_u32_e64 s1, 0x37ffffff, v12
	s_mov_b32 s19, 0
                                        ; implicit-def: $vgpr12
	s_and_saveexec_b32 s20, s1
	s_delay_alu instid0(SALU_CYCLE_1)
	s_xor_b32 s1, exec_lo, s20
	s_cbranch_execz .LBB251_2531
; %bb.1057:
	v_bfe_u32 v12, v7, 21, 1
	s_mov_b32 s19, exec_lo
	s_delay_alu instid0(VALU_DEP_1) | instskip(NEXT) | instid1(VALU_DEP_1)
	v_add3_u32 v12, v7, v12, 0x88fffff
	v_lshrrev_b32_e32 v12, 21, v12
	s_and_not1_saveexec_b32 s20, s1
	s_cbranch_execnz .LBB251_2532
.LBB251_1058:
	s_or_b32 exec_lo, exec_lo, s20
	v_mov_b32_e32 v20, 0
	s_and_saveexec_b32 s1, s19
.LBB251_1059:
	v_lshrrev_b32_e32 v7, 24, v7
	s_delay_alu instid0(VALU_DEP_1)
	v_and_or_b32 v20, 0x80, v7, v12
.LBB251_1060:
	s_or_b32 exec_lo, exec_lo, s1
.LBB251_1061:
	s_delay_alu instid0(SALU_CYCLE_1)
	s_or_b32 exec_lo, exec_lo, s18
.LBB251_1062:
	s_delay_alu instid0(SALU_CYCLE_1) | instskip(NEXT) | instid1(SALU_CYCLE_1)
	s_or_b32 exec_lo, exec_lo, s17
	s_or_b32 s14, s14, exec_lo
.LBB251_1063:
	s_or_b32 exec_lo, exec_lo, s12
	s_delay_alu instid0(SALU_CYCLE_1)
	s_and_b32 s12, s14, exec_lo
	s_and_b32 s13, s13, exec_lo
	s_and_not1_saveexec_b32 s11, s11
	s_cbranch_execnz .LBB251_2222
.LBB251_1064:
	s_or_b32 exec_lo, exec_lo, s11
	s_mov_b32 s11, s6
	s_and_saveexec_b32 s1, s13
	s_cbranch_execnz .LBB251_2259
.LBB251_1065:
	s_or_b32 exec_lo, exec_lo, s1
	s_and_saveexec_b32 s1, s9
	s_delay_alu instid0(SALU_CYCLE_1)
	s_xor_b32 s9, exec_lo, s1
	s_cbranch_execz .LBB251_1073
.LBB251_1066:
	flat_load_u8 v7, v[8:9]
	s_wait_loadcnt_dscnt 0x101
	v_mov_b32_e32 v20, 0x80
	s_mov_b32 s14, 0
	s_mov_b32 s13, exec_lo
	s_wait_loadcnt_dscnt 0x0
	v_cmp_ne_u16_e64 s1, 0, v7
	s_wait_xcnt 0x0
	s_delay_alu instid0(VALU_DEP_1) | instskip(NEXT) | instid1(VALU_DEP_1)
	v_cndmask_b32_e64 v8, 0, 1.0, s1
	v_cmpx_gt_u32_e32 0x47800000, v8
	s_cbranch_execz .LBB251_1072
; %bb.1067:
	v_cmp_lt_u32_e64 s1, 0x37ffffff, v8
                                        ; implicit-def: $vgpr7
	s_and_saveexec_b32 s17, s1
	s_delay_alu instid0(SALU_CYCLE_1)
	s_xor_b32 s1, exec_lo, s17
	s_cbranch_execz .LBB251_2359
; %bb.1068:
	v_bfe_u32 v7, v8, 21, 1
	s_mov_b32 s14, exec_lo
	s_delay_alu instid0(VALU_DEP_1) | instskip(NEXT) | instid1(VALU_DEP_1)
	v_add3_u32 v7, v8, v7, 0x88fffff
                                        ; implicit-def: $vgpr8
	v_lshrrev_b32_e32 v7, 21, v7
	s_and_not1_saveexec_b32 s17, s1
	s_cbranch_execnz .LBB251_2360
.LBB251_1069:
	s_or_b32 exec_lo, exec_lo, s17
	v_mov_b32_e32 v20, 0
	s_and_saveexec_b32 s1, s14
.LBB251_1070:
	v_mov_b32_e32 v20, v7
.LBB251_1071:
	s_or_b32 exec_lo, exec_lo, s1
.LBB251_1072:
	s_delay_alu instid0(SALU_CYCLE_1) | instskip(NEXT) | instid1(SALU_CYCLE_1)
	s_or_b32 exec_lo, exec_lo, s13
	s_or_b32 s12, s12, exec_lo
.LBB251_1073:
	s_or_b32 exec_lo, exec_lo, s9
	s_delay_alu instid0(SALU_CYCLE_1)
	s_and_not1_b32 s1, s6, exec_lo
	s_and_b32 s9, s11, exec_lo
	s_and_b32 s11, s12, exec_lo
	s_or_b32 s9, s1, s9
                                        ; implicit-def: $vgpr8_vgpr9
.LBB251_1074:
	s_and_not1_saveexec_b32 s10, s10
	s_cbranch_execz .LBB251_1182
; %bb.1075:
	s_mov_b32 s12, exec_lo
                                        ; implicit-def: $vgpr20
	v_cmpx_lt_i16_e32 4, v15
	s_xor_b32 s12, exec_lo, s12
	s_cbranch_execz .LBB251_1133
; %bb.1076:
	s_mov_b32 s13, exec_lo
                                        ; implicit-def: $vgpr20
	v_cmpx_lt_i16_e32 7, v15
	s_xor_b32 s13, exec_lo, s13
	;; [unrolled: 6-line block ×4, first 2 shown]
	s_cbranch_execz .LBB251_1086
; %bb.1079:
	flat_load_b64 v[8:9], v[8:9]
	s_wait_loadcnt_dscnt 0x101
	v_mov_b32_e32 v20, 0x80
	s_mov_b32 s18, exec_lo
	s_wait_loadcnt_dscnt 0x0
	v_cvt_f32_f64_e32 v7, v[8:9]
	s_wait_xcnt 0x0
	s_delay_alu instid0(VALU_DEP_1) | instskip(NEXT) | instid1(VALU_DEP_1)
	v_and_b32_e32 v8, 0x7fffffff, v7
	v_cmpx_gt_u32_e32 0x47800000, v8
	s_cbranch_execz .LBB251_1085
; %bb.1080:
	v_cmp_lt_u32_e64 s1, 0x37ffffff, v8
	s_mov_b32 s19, 0
                                        ; implicit-def: $vgpr8
	s_and_saveexec_b32 s20, s1
	s_delay_alu instid0(SALU_CYCLE_1)
	s_xor_b32 s1, exec_lo, s20
	s_cbranch_execz .LBB251_2610
; %bb.1081:
	v_bfe_u32 v8, v7, 21, 1
	s_mov_b32 s19, exec_lo
	s_delay_alu instid0(VALU_DEP_1) | instskip(NEXT) | instid1(VALU_DEP_1)
	v_add3_u32 v8, v7, v8, 0x88fffff
	v_lshrrev_b32_e32 v8, 21, v8
	s_and_not1_saveexec_b32 s20, s1
	s_cbranch_execnz .LBB251_2611
.LBB251_1082:
	s_or_b32 exec_lo, exec_lo, s20
	v_mov_b32_e32 v20, 0
	s_and_saveexec_b32 s1, s19
.LBB251_1083:
	v_lshrrev_b32_e32 v7, 24, v7
	s_delay_alu instid0(VALU_DEP_1)
	v_and_or_b32 v20, 0x80, v7, v8
.LBB251_1084:
	s_or_b32 exec_lo, exec_lo, s1
.LBB251_1085:
	s_delay_alu instid0(SALU_CYCLE_1)
	s_or_b32 exec_lo, exec_lo, s18
                                        ; implicit-def: $vgpr8_vgpr9
.LBB251_1086:
	s_and_not1_saveexec_b32 s17, s17
	s_cbranch_execz .LBB251_1094
; %bb.1087:
	flat_load_b32 v7, v[8:9]
	s_wait_loadcnt_dscnt 0x101
	v_mov_b32_e32 v20, 0x80
	s_mov_b32 s18, exec_lo
	s_wait_loadcnt_dscnt 0x0
	v_and_b32_e32 v8, 0x7fffffff, v7
	s_delay_alu instid0(VALU_DEP_1)
	v_cmpx_gt_u32_e32 0x47800000, v8
	s_cbranch_execz .LBB251_1093
; %bb.1088:
	v_cmp_lt_u32_e64 s1, 0x37ffffff, v8
	s_mov_b32 s19, 0
                                        ; implicit-def: $vgpr8
	s_and_saveexec_b32 s20, s1
	s_delay_alu instid0(SALU_CYCLE_1)
	s_xor_b32 s1, exec_lo, s20
	s_cbranch_execz .LBB251_2612
; %bb.1089:
	v_bfe_u32 v8, v7, 21, 1
	s_mov_b32 s19, exec_lo
	s_delay_alu instid0(VALU_DEP_1) | instskip(NEXT) | instid1(VALU_DEP_1)
	v_add3_u32 v8, v7, v8, 0x88fffff
	v_lshrrev_b32_e32 v8, 21, v8
	s_and_not1_saveexec_b32 s20, s1
	s_cbranch_execnz .LBB251_2613
.LBB251_1090:
	s_or_b32 exec_lo, exec_lo, s20
	v_mov_b32_e32 v20, 0
	s_and_saveexec_b32 s1, s19
.LBB251_1091:
	v_lshrrev_b32_e32 v7, 24, v7
	s_delay_alu instid0(VALU_DEP_1)
	v_and_or_b32 v20, 0x80, v7, v8
.LBB251_1092:
	s_or_b32 exec_lo, exec_lo, s1
.LBB251_1093:
	s_delay_alu instid0(SALU_CYCLE_1)
	s_or_b32 exec_lo, exec_lo, s18
.LBB251_1094:
	s_delay_alu instid0(SALU_CYCLE_1)
	s_or_b32 exec_lo, exec_lo, s17
                                        ; implicit-def: $vgpr8_vgpr9
.LBB251_1095:
	s_and_not1_saveexec_b32 s14, s14
	s_cbranch_execz .LBB251_1103
; %bb.1096:
	flat_load_b32 v7, v[8:9]
	s_wait_loadcnt_dscnt 0x101
	v_mov_b32_e32 v20, 0x80
	s_mov_b32 s17, exec_lo
	s_wait_loadcnt_dscnt 0x0
	v_cvt_f32_f16_e32 v7, v7
	s_wait_xcnt 0x0
	s_delay_alu instid0(VALU_DEP_1) | instskip(NEXT) | instid1(VALU_DEP_1)
	v_and_b32_e32 v8, 0x7fffffff, v7
	v_cmpx_gt_u32_e32 0x47800000, v8
	s_cbranch_execz .LBB251_1102
; %bb.1097:
	v_cmp_lt_u32_e64 s1, 0x37ffffff, v8
	s_mov_b32 s18, 0
                                        ; implicit-def: $vgpr8
	s_and_saveexec_b32 s19, s1
	s_delay_alu instid0(SALU_CYCLE_1)
	s_xor_b32 s1, exec_lo, s19
	s_cbranch_execz .LBB251_2533
; %bb.1098:
	v_bfe_u32 v8, v7, 21, 1
	s_mov_b32 s18, exec_lo
	s_delay_alu instid0(VALU_DEP_1) | instskip(NEXT) | instid1(VALU_DEP_1)
	v_add3_u32 v8, v7, v8, 0x88fffff
	v_lshrrev_b32_e32 v8, 21, v8
	s_and_not1_saveexec_b32 s19, s1
	s_cbranch_execnz .LBB251_2534
.LBB251_1099:
	s_or_b32 exec_lo, exec_lo, s19
	v_mov_b32_e32 v20, 0
	s_and_saveexec_b32 s1, s18
.LBB251_1100:
	v_lshrrev_b32_e32 v7, 24, v7
	s_delay_alu instid0(VALU_DEP_1)
	v_and_or_b32 v20, 0x80, v7, v8
.LBB251_1101:
	s_or_b32 exec_lo, exec_lo, s1
.LBB251_1102:
	s_delay_alu instid0(SALU_CYCLE_1)
	s_or_b32 exec_lo, exec_lo, s17
.LBB251_1103:
	s_delay_alu instid0(SALU_CYCLE_1)
	s_or_b32 exec_lo, exec_lo, s14
                                        ; implicit-def: $vgpr8_vgpr9
.LBB251_1104:
	s_and_not1_saveexec_b32 s13, s13
	s_cbranch_execz .LBB251_1132
; %bb.1105:
	s_mov_b32 s14, exec_lo
                                        ; implicit-def: $vgpr20
	v_cmpx_lt_i16_e32 5, v15
	s_xor_b32 s14, exec_lo, s14
	s_cbranch_execz .LBB251_1123
; %bb.1106:
	s_mov_b32 s17, exec_lo
                                        ; implicit-def: $vgpr20
	v_cmpx_lt_i16_e32 6, v15
	s_xor_b32 s17, exec_lo, s17
	s_cbranch_execz .LBB251_1114
; %bb.1107:
	flat_load_b64 v[8:9], v[8:9]
	s_wait_loadcnt_dscnt 0x101
	v_mov_b32_e32 v20, 0x80
	s_mov_b32 s18, exec_lo
	s_wait_loadcnt_dscnt 0x0
	v_cvt_f32_f64_e32 v7, v[8:9]
	s_wait_xcnt 0x0
	s_delay_alu instid0(VALU_DEP_1) | instskip(NEXT) | instid1(VALU_DEP_1)
	v_and_b32_e32 v8, 0x7fffffff, v7
	v_cmpx_gt_u32_e32 0x47800000, v8
	s_cbranch_execz .LBB251_1113
; %bb.1108:
	v_cmp_lt_u32_e64 s1, 0x37ffffff, v8
	s_mov_b32 s19, 0
                                        ; implicit-def: $vgpr8
	s_and_saveexec_b32 s20, s1
	s_delay_alu instid0(SALU_CYCLE_1)
	s_xor_b32 s1, exec_lo, s20
	s_cbranch_execz .LBB251_2614
; %bb.1109:
	v_bfe_u32 v8, v7, 21, 1
	s_mov_b32 s19, exec_lo
	s_delay_alu instid0(VALU_DEP_1) | instskip(NEXT) | instid1(VALU_DEP_1)
	v_add3_u32 v8, v7, v8, 0x88fffff
	v_lshrrev_b32_e32 v8, 21, v8
	s_and_not1_saveexec_b32 s20, s1
	s_cbranch_execnz .LBB251_2615
.LBB251_1110:
	s_or_b32 exec_lo, exec_lo, s20
	v_mov_b32_e32 v20, 0
	s_and_saveexec_b32 s1, s19
.LBB251_1111:
	v_lshrrev_b32_e32 v7, 24, v7
	s_delay_alu instid0(VALU_DEP_1)
	v_and_or_b32 v20, 0x80, v7, v8
.LBB251_1112:
	s_or_b32 exec_lo, exec_lo, s1
.LBB251_1113:
	s_delay_alu instid0(SALU_CYCLE_1)
	s_or_b32 exec_lo, exec_lo, s18
                                        ; implicit-def: $vgpr8_vgpr9
.LBB251_1114:
	s_and_not1_saveexec_b32 s17, s17
	s_cbranch_execz .LBB251_1122
; %bb.1115:
	flat_load_b32 v7, v[8:9]
	s_wait_loadcnt_dscnt 0x101
	v_mov_b32_e32 v20, 0x80
	s_mov_b32 s18, exec_lo
	s_wait_loadcnt_dscnt 0x0
	v_and_b32_e32 v8, 0x7fffffff, v7
	s_delay_alu instid0(VALU_DEP_1)
	v_cmpx_gt_u32_e32 0x47800000, v8
	s_cbranch_execz .LBB251_1121
; %bb.1116:
	v_cmp_lt_u32_e64 s1, 0x37ffffff, v8
	s_mov_b32 s19, 0
                                        ; implicit-def: $vgpr8
	s_and_saveexec_b32 s20, s1
	s_delay_alu instid0(SALU_CYCLE_1)
	s_xor_b32 s1, exec_lo, s20
	s_cbranch_execz .LBB251_2616
; %bb.1117:
	v_bfe_u32 v8, v7, 21, 1
	s_mov_b32 s19, exec_lo
	s_delay_alu instid0(VALU_DEP_1) | instskip(NEXT) | instid1(VALU_DEP_1)
	v_add3_u32 v8, v7, v8, 0x88fffff
	v_lshrrev_b32_e32 v8, 21, v8
	s_and_not1_saveexec_b32 s20, s1
	s_cbranch_execnz .LBB251_2617
.LBB251_1118:
	s_or_b32 exec_lo, exec_lo, s20
	v_mov_b32_e32 v20, 0
	s_and_saveexec_b32 s1, s19
.LBB251_1119:
	v_lshrrev_b32_e32 v7, 24, v7
	s_delay_alu instid0(VALU_DEP_1)
	v_and_or_b32 v20, 0x80, v7, v8
.LBB251_1120:
	s_or_b32 exec_lo, exec_lo, s1
.LBB251_1121:
	s_delay_alu instid0(SALU_CYCLE_1)
	s_or_b32 exec_lo, exec_lo, s18
.LBB251_1122:
	s_delay_alu instid0(SALU_CYCLE_1)
	s_or_b32 exec_lo, exec_lo, s17
                                        ; implicit-def: $vgpr8_vgpr9
.LBB251_1123:
	s_and_not1_saveexec_b32 s14, s14
	s_cbranch_execz .LBB251_1131
; %bb.1124:
	flat_load_u16 v7, v[8:9]
	s_wait_loadcnt_dscnt 0x101
	v_mov_b32_e32 v20, 0x80
	s_mov_b32 s17, exec_lo
	s_wait_loadcnt_dscnt 0x0
	v_cvt_f32_f16_e32 v7, v7
	s_wait_xcnt 0x0
	s_delay_alu instid0(VALU_DEP_1) | instskip(NEXT) | instid1(VALU_DEP_1)
	v_and_b32_e32 v8, 0x7fffffff, v7
	v_cmpx_gt_u32_e32 0x47800000, v8
	s_cbranch_execz .LBB251_1130
; %bb.1125:
	v_cmp_lt_u32_e64 s1, 0x37ffffff, v8
	s_mov_b32 s18, 0
                                        ; implicit-def: $vgpr8
	s_and_saveexec_b32 s19, s1
	s_delay_alu instid0(SALU_CYCLE_1)
	s_xor_b32 s1, exec_lo, s19
	s_cbranch_execz .LBB251_2535
; %bb.1126:
	v_bfe_u32 v8, v7, 21, 1
	s_mov_b32 s18, exec_lo
	s_delay_alu instid0(VALU_DEP_1) | instskip(NEXT) | instid1(VALU_DEP_1)
	v_add3_u32 v8, v7, v8, 0x88fffff
	v_lshrrev_b32_e32 v8, 21, v8
	s_and_not1_saveexec_b32 s19, s1
	s_cbranch_execnz .LBB251_2536
.LBB251_1127:
	s_or_b32 exec_lo, exec_lo, s19
	v_mov_b32_e32 v20, 0
	s_and_saveexec_b32 s1, s18
.LBB251_1128:
	v_lshrrev_b32_e32 v7, 24, v7
	s_delay_alu instid0(VALU_DEP_1)
	v_and_or_b32 v20, 0x80, v7, v8
.LBB251_1129:
	s_or_b32 exec_lo, exec_lo, s1
.LBB251_1130:
	s_delay_alu instid0(SALU_CYCLE_1)
	s_or_b32 exec_lo, exec_lo, s17
.LBB251_1131:
	s_delay_alu instid0(SALU_CYCLE_1)
	s_or_b32 exec_lo, exec_lo, s14
.LBB251_1132:
	s_delay_alu instid0(SALU_CYCLE_1)
	s_or_b32 exec_lo, exec_lo, s13
                                        ; implicit-def: $vgpr8_vgpr9
.LBB251_1133:
	s_and_not1_saveexec_b32 s12, s12
	s_cbranch_execz .LBB251_1181
; %bb.1134:
	s_mov_b32 s13, exec_lo
                                        ; implicit-def: $vgpr20
	v_cmpx_lt_i16_e32 1, v15
	s_xor_b32 s13, exec_lo, s13
	s_cbranch_execz .LBB251_1162
; %bb.1135:
	s_mov_b32 s14, exec_lo
                                        ; implicit-def: $vgpr20
	v_cmpx_lt_i16_e32 2, v15
	s_xor_b32 s14, exec_lo, s14
	;; [unrolled: 6-line block ×3, first 2 shown]
	s_cbranch_execz .LBB251_1144
; %bb.1137:
	flat_load_b64 v[8:9], v[8:9]
	s_mov_b32 s18, exec_lo
	s_wait_loadcnt_dscnt 0x101
	v_mov_b32_e32 v20, 0x80
	s_wait_loadcnt_dscnt 0x0
	v_xor_b32_e32 v7, v8, v9
	v_cls_i32_e32 v12, v9
	s_delay_alu instid0(VALU_DEP_2) | instskip(NEXT) | instid1(VALU_DEP_1)
	v_ashrrev_i32_e32 v7, 31, v7
	v_add_nc_u32_e32 v7, 32, v7
	s_delay_alu instid0(VALU_DEP_1) | instskip(SKIP_1) | instid1(VALU_DEP_1)
	v_add_min_u32_e64 v7, v12, -1, v7
	s_wait_xcnt 0x0
	v_lshlrev_b64_e32 v[8:9], v7, v[8:9]
	v_sub_nc_u32_e32 v7, 32, v7
	s_delay_alu instid0(VALU_DEP_2) | instskip(NEXT) | instid1(VALU_DEP_1)
	v_min_u32_e32 v8, 1, v8
	v_or_b32_e32 v8, v9, v8
	s_delay_alu instid0(VALU_DEP_1) | instskip(NEXT) | instid1(VALU_DEP_1)
	v_cvt_f32_i32_e32 v8, v8
	v_ldexp_f32 v7, v8, v7
	s_delay_alu instid0(VALU_DEP_1) | instskip(NEXT) | instid1(VALU_DEP_1)
	v_and_b32_e32 v8, 0x7fffffff, v7
	v_cmpx_gt_u32_e32 0x47800000, v8
	s_cbranch_execz .LBB251_1143
; %bb.1138:
	v_cmp_lt_u32_e64 s1, 0x37ffffff, v8
	s_mov_b32 s19, 0
                                        ; implicit-def: $vgpr8
	s_and_saveexec_b32 s20, s1
	s_delay_alu instid0(SALU_CYCLE_1)
	s_xor_b32 s1, exec_lo, s20
	s_cbranch_execz .LBB251_2618
; %bb.1139:
	v_bfe_u32 v8, v7, 21, 1
	s_mov_b32 s19, exec_lo
	s_delay_alu instid0(VALU_DEP_1) | instskip(NEXT) | instid1(VALU_DEP_1)
	v_add3_u32 v8, v7, v8, 0x88fffff
	v_lshrrev_b32_e32 v8, 21, v8
	s_and_not1_saveexec_b32 s20, s1
	s_cbranch_execnz .LBB251_2619
.LBB251_1140:
	s_or_b32 exec_lo, exec_lo, s20
	v_mov_b32_e32 v20, 0
	s_and_saveexec_b32 s1, s19
.LBB251_1141:
	v_lshrrev_b32_e32 v7, 24, v7
	s_delay_alu instid0(VALU_DEP_1)
	v_and_or_b32 v20, 0x80, v7, v8
.LBB251_1142:
	s_or_b32 exec_lo, exec_lo, s1
.LBB251_1143:
	s_delay_alu instid0(SALU_CYCLE_1)
	s_or_b32 exec_lo, exec_lo, s18
                                        ; implicit-def: $vgpr8_vgpr9
.LBB251_1144:
	s_and_not1_saveexec_b32 s17, s17
	s_cbranch_execz .LBB251_1152
; %bb.1145:
	flat_load_b32 v7, v[8:9]
	s_wait_loadcnt_dscnt 0x101
	v_mov_b32_e32 v20, 0x80
	s_mov_b32 s18, exec_lo
	s_wait_loadcnt_dscnt 0x0
	v_cvt_f32_i32_e32 v7, v7
	s_wait_xcnt 0x0
	s_delay_alu instid0(VALU_DEP_1) | instskip(NEXT) | instid1(VALU_DEP_1)
	v_and_b32_e32 v8, 0x7fffffff, v7
	v_cmpx_gt_u32_e32 0x47800000, v8
	s_cbranch_execz .LBB251_1151
; %bb.1146:
	v_cmp_lt_u32_e64 s1, 0x37ffffff, v8
	s_mov_b32 s19, 0
                                        ; implicit-def: $vgpr8
	s_and_saveexec_b32 s20, s1
	s_delay_alu instid0(SALU_CYCLE_1)
	s_xor_b32 s1, exec_lo, s20
	s_cbranch_execz .LBB251_2620
; %bb.1147:
	v_bfe_u32 v8, v7, 21, 1
	s_mov_b32 s19, exec_lo
	s_delay_alu instid0(VALU_DEP_1) | instskip(NEXT) | instid1(VALU_DEP_1)
	v_add3_u32 v8, v7, v8, 0x88fffff
	v_lshrrev_b32_e32 v8, 21, v8
	s_and_not1_saveexec_b32 s20, s1
	s_cbranch_execnz .LBB251_2621
.LBB251_1148:
	s_or_b32 exec_lo, exec_lo, s20
	v_mov_b32_e32 v20, 0
	s_and_saveexec_b32 s1, s19
.LBB251_1149:
	v_lshrrev_b32_e32 v7, 24, v7
	s_delay_alu instid0(VALU_DEP_1)
	v_and_or_b32 v20, 0x80, v7, v8
.LBB251_1150:
	s_or_b32 exec_lo, exec_lo, s1
.LBB251_1151:
	s_delay_alu instid0(SALU_CYCLE_1)
	s_or_b32 exec_lo, exec_lo, s18
.LBB251_1152:
	s_delay_alu instid0(SALU_CYCLE_1)
	s_or_b32 exec_lo, exec_lo, s17
                                        ; implicit-def: $vgpr8_vgpr9
.LBB251_1153:
	s_and_not1_saveexec_b32 s14, s14
	s_cbranch_execz .LBB251_1161
; %bb.1154:
	flat_load_i16 v7, v[8:9]
	s_wait_loadcnt_dscnt 0x101
	v_mov_b32_e32 v20, 0x80
	s_mov_b32 s17, exec_lo
	s_wait_loadcnt_dscnt 0x0
	v_cvt_f32_i32_e32 v7, v7
	s_wait_xcnt 0x0
	s_delay_alu instid0(VALU_DEP_1) | instskip(NEXT) | instid1(VALU_DEP_1)
	v_and_b32_e32 v8, 0x7fffffff, v7
	v_cmpx_gt_u32_e32 0x47800000, v8
	s_cbranch_execz .LBB251_1160
; %bb.1155:
	v_cmp_lt_u32_e64 s1, 0x37ffffff, v8
	s_mov_b32 s18, 0
                                        ; implicit-def: $vgpr8
	s_and_saveexec_b32 s19, s1
	s_delay_alu instid0(SALU_CYCLE_1)
	s_xor_b32 s1, exec_lo, s19
	s_cbranch_execz .LBB251_2537
; %bb.1156:
	v_bfe_u32 v8, v7, 21, 1
	s_mov_b32 s18, exec_lo
	s_delay_alu instid0(VALU_DEP_1) | instskip(NEXT) | instid1(VALU_DEP_1)
	v_add3_u32 v8, v7, v8, 0x88fffff
	v_lshrrev_b32_e32 v8, 21, v8
	s_and_not1_saveexec_b32 s19, s1
	s_cbranch_execnz .LBB251_2538
.LBB251_1157:
	s_or_b32 exec_lo, exec_lo, s19
	v_mov_b32_e32 v20, 0
	s_and_saveexec_b32 s1, s18
.LBB251_1158:
	v_lshrrev_b32_e32 v7, 24, v7
	s_delay_alu instid0(VALU_DEP_1)
	v_and_or_b32 v20, 0x80, v7, v8
.LBB251_1159:
	s_or_b32 exec_lo, exec_lo, s1
.LBB251_1160:
	s_delay_alu instid0(SALU_CYCLE_1)
	s_or_b32 exec_lo, exec_lo, s17
.LBB251_1161:
	s_delay_alu instid0(SALU_CYCLE_1)
	s_or_b32 exec_lo, exec_lo, s14
                                        ; implicit-def: $vgpr8_vgpr9
.LBB251_1162:
	s_and_not1_saveexec_b32 s13, s13
	s_cbranch_execz .LBB251_1180
; %bb.1163:
	s_mov_b32 s14, exec_lo
                                        ; implicit-def: $vgpr20
	v_cmpx_lt_i16_e32 0, v15
	s_xor_b32 s14, exec_lo, s14
	s_cbranch_execz .LBB251_1171
; %bb.1164:
	flat_load_i8 v7, v[8:9]
	s_wait_loadcnt_dscnt 0x101
	v_mov_b32_e32 v20, 0x80
	s_mov_b32 s17, exec_lo
	s_wait_loadcnt_dscnt 0x0
	v_cvt_f32_i32_e32 v7, v7
	s_wait_xcnt 0x0
	s_delay_alu instid0(VALU_DEP_1) | instskip(NEXT) | instid1(VALU_DEP_1)
	v_and_b32_e32 v8, 0x7fffffff, v7
	v_cmpx_gt_u32_e32 0x47800000, v8
	s_cbranch_execz .LBB251_1170
; %bb.1165:
	v_cmp_lt_u32_e64 s1, 0x37ffffff, v8
	s_mov_b32 s18, 0
                                        ; implicit-def: $vgpr8
	s_and_saveexec_b32 s19, s1
	s_delay_alu instid0(SALU_CYCLE_1)
	s_xor_b32 s1, exec_lo, s19
	s_cbranch_execz .LBB251_2539
; %bb.1166:
	v_bfe_u32 v8, v7, 21, 1
	s_mov_b32 s18, exec_lo
	s_delay_alu instid0(VALU_DEP_1) | instskip(NEXT) | instid1(VALU_DEP_1)
	v_add3_u32 v8, v7, v8, 0x88fffff
	v_lshrrev_b32_e32 v8, 21, v8
	s_and_not1_saveexec_b32 s19, s1
	s_cbranch_execnz .LBB251_2540
.LBB251_1167:
	s_or_b32 exec_lo, exec_lo, s19
	v_mov_b32_e32 v20, 0
	s_and_saveexec_b32 s1, s18
.LBB251_1168:
	v_lshrrev_b32_e32 v7, 24, v7
	s_delay_alu instid0(VALU_DEP_1)
	v_and_or_b32 v20, 0x80, v7, v8
.LBB251_1169:
	s_or_b32 exec_lo, exec_lo, s1
.LBB251_1170:
	s_delay_alu instid0(SALU_CYCLE_1)
	s_or_b32 exec_lo, exec_lo, s17
                                        ; implicit-def: $vgpr8_vgpr9
.LBB251_1171:
	s_and_not1_saveexec_b32 s14, s14
	s_cbranch_execz .LBB251_1179
; %bb.1172:
	flat_load_u8 v7, v[8:9]
	s_wait_loadcnt_dscnt 0x101
	v_mov_b32_e32 v20, 0x80
	s_mov_b32 s17, exec_lo
	s_wait_loadcnt_dscnt 0x0
	v_cvt_f32_ubyte0_e32 v8, v7
	s_delay_alu instid0(VALU_DEP_1)
	v_cmpx_gt_u32_e32 0x47800000, v8
	s_cbranch_execz .LBB251_1178
; %bb.1173:
	v_cmp_lt_u32_e64 s1, 0x37ffffff, v8
	s_mov_b32 s18, 0
                                        ; implicit-def: $vgpr7
	s_and_saveexec_b32 s19, s1
	s_delay_alu instid0(SALU_CYCLE_1)
	s_xor_b32 s1, exec_lo, s19
	s_cbranch_execz .LBB251_2541
; %bb.1174:
	v_bfe_u32 v7, v8, 21, 1
	s_mov_b32 s18, exec_lo
	s_delay_alu instid0(VALU_DEP_1) | instskip(NEXT) | instid1(VALU_DEP_1)
	v_add3_u32 v7, v8, v7, 0x88fffff
                                        ; implicit-def: $vgpr8
	v_lshrrev_b32_e32 v7, 21, v7
	s_and_not1_saveexec_b32 s19, s1
	s_cbranch_execnz .LBB251_2542
.LBB251_1175:
	s_or_b32 exec_lo, exec_lo, s19
	v_mov_b32_e32 v20, 0
	s_and_saveexec_b32 s1, s18
.LBB251_1176:
	v_mov_b32_e32 v20, v7
.LBB251_1177:
	s_or_b32 exec_lo, exec_lo, s1
.LBB251_1178:
	s_delay_alu instid0(SALU_CYCLE_1)
	s_or_b32 exec_lo, exec_lo, s17
.LBB251_1179:
	s_delay_alu instid0(SALU_CYCLE_1)
	s_or_b32 exec_lo, exec_lo, s14
.LBB251_1180:
	s_delay_alu instid0(SALU_CYCLE_1)
	s_or_b32 exec_lo, exec_lo, s13
.LBB251_1181:
	s_delay_alu instid0(SALU_CYCLE_1) | instskip(NEXT) | instid1(SALU_CYCLE_1)
	s_or_b32 exec_lo, exec_lo, s12
	s_or_b32 s11, s11, exec_lo
.LBB251_1182:
	s_or_b32 exec_lo, exec_lo, s10
	s_mov_b32 s1, 0
	s_mov_b32 s13, 0
                                        ; implicit-def: $sgpr18
                                        ; implicit-def: $vgpr12_vgpr13
                                        ; implicit-def: $vgpr7
	s_and_saveexec_b32 s10, s11
	s_cbranch_execz .LBB251_1916
; %bb.1183:
                                        ; implicit-def: $sgpr11
	s_and_saveexec_b32 s1, s0
	s_delay_alu instid0(SALU_CYCLE_1)
	s_xor_b32 s12, exec_lo, s1
	s_cbranch_execz .LBB251_1197
; %bb.1184:
	v_and_b32_e32 v8, 0xff, v19
	s_mov_b32 s11, 0
	s_mov_b32 s13, exec_lo
	s_delay_alu instid0(VALU_DEP_1)
	v_cmpx_lt_i16_e32 0x7f, v8
	s_xor_b32 s13, exec_lo, s13
	s_cbranch_execz .LBB251_2276
; %bb.1185:
	s_mov_b32 s11, -1
	s_mov_b32 s14, exec_lo
	v_cmpx_eq_u16_e32 0x80, v8
; %bb.1186:
	s_xor_b32 s11, exec_lo, -1
; %bb.1187:
	s_or_b32 exec_lo, exec_lo, s14
	s_delay_alu instid0(SALU_CYCLE_1)
	s_and_b32 s11, s11, exec_lo
                                        ; implicit-def: $vgpr8
	s_or_saveexec_b32 s13, s13
	v_mov_b32_e32 v7, 0x7f800001
	s_xor_b32 exec_lo, exec_lo, s13
	s_cbranch_execnz .LBB251_2277
.LBB251_1188:
	s_or_b32 exec_lo, exec_lo, s13
	s_and_saveexec_b32 s13, s11
	s_cbranch_execz .LBB251_1190
.LBB251_1189:
	v_and_b32_e32 v7, 3, v19
	v_lshrrev_b16 v9, 2, v19
	v_lshlrev_b32_e32 v13, 24, v19
	s_delay_alu instid0(VALU_DEP_3) | instskip(NEXT) | instid1(VALU_DEP_1)
	v_clz_i32_u32_e32 v8, v7
	v_min_u32_e32 v8, 32, v8
	s_delay_alu instid0(VALU_DEP_4) | instskip(NEXT) | instid1(VALU_DEP_2)
	v_and_b32_e32 v9, 31, v9
	v_subrev_nc_u32_e32 v12, 29, v8
	v_sub_nc_u32_e32 v8, 30, v8
	s_delay_alu instid0(VALU_DEP_3) | instskip(NEXT) | instid1(VALU_DEP_3)
	v_cmp_eq_u32_e64 s1, 0, v9
	v_lshlrev_b32_e32 v12, v12, v19
	s_delay_alu instid0(VALU_DEP_1) | instskip(NEXT) | instid1(VALU_DEP_1)
	v_and_b32_e32 v12, 3, v12
	v_cndmask_b32_e64 v7, v7, v12, s1
	v_cndmask_b32_e64 v8, v9, v8, s1
	v_and_b32_e32 v9, 0x80000000, v13
	s_delay_alu instid0(VALU_DEP_3) | instskip(NEXT) | instid1(VALU_DEP_3)
	v_lshlrev_b32_e32 v7, 21, v7
	v_lshl_add_u32 v8, v8, 23, 0x37800000
	s_delay_alu instid0(VALU_DEP_1)
	v_or3_b32 v7, v9, v8, v7
.LBB251_1190:
	s_or_b32 exec_lo, exec_lo, s13
	s_wait_loadcnt_dscnt 0x0
	v_and_b32_e32 v9, 0xff, v20
	s_mov_b32 s11, 0
	s_mov_b32 s13, exec_lo
	s_delay_alu instid0(VALU_DEP_1)
	v_cmpx_lt_i16_e32 0x7f, v9
	s_xor_b32 s13, exec_lo, s13
	s_cbranch_execz .LBB251_2278
; %bb.1191:
	s_mov_b32 s11, -1
	s_mov_b32 s14, exec_lo
	v_cmpx_eq_u16_e32 0x80, v9
; %bb.1192:
	s_xor_b32 s11, exec_lo, -1
; %bb.1193:
	s_or_b32 exec_lo, exec_lo, s14
	s_delay_alu instid0(SALU_CYCLE_1)
	s_and_b32 s11, s11, exec_lo
                                        ; implicit-def: $vgpr9
	s_or_saveexec_b32 s13, s13
	v_mov_b32_e32 v8, 0x7f800001
	s_xor_b32 exec_lo, exec_lo, s13
	s_cbranch_execnz .LBB251_2279
.LBB251_1194:
	s_or_b32 exec_lo, exec_lo, s13
	s_and_saveexec_b32 s13, s11
	s_cbranch_execz .LBB251_1196
.LBB251_1195:
	v_and_b32_e32 v8, 3, v20
	v_lshrrev_b16 v12, 2, v20
	v_lshlrev_b32_e32 v19, 24, v20
	s_delay_alu instid0(VALU_DEP_3) | instskip(NEXT) | instid1(VALU_DEP_1)
	v_clz_i32_u32_e32 v9, v8
	v_min_u32_e32 v9, 32, v9
	s_delay_alu instid0(VALU_DEP_4) | instskip(NEXT) | instid1(VALU_DEP_2)
	v_and_b32_e32 v12, 31, v12
	v_subrev_nc_u32_e32 v13, 29, v9
	v_sub_nc_u32_e32 v9, 30, v9
	s_delay_alu instid0(VALU_DEP_3) | instskip(NEXT) | instid1(VALU_DEP_3)
	v_cmp_eq_u32_e64 s1, 0, v12
	v_lshlrev_b32_e32 v13, v13, v20
	s_delay_alu instid0(VALU_DEP_1) | instskip(NEXT) | instid1(VALU_DEP_1)
	v_and_b32_e32 v13, 3, v13
	v_cndmask_b32_e64 v8, v8, v13, s1
	v_cndmask_b32_e64 v9, v12, v9, s1
	v_and_b32_e32 v12, 0x80000000, v19
	s_delay_alu instid0(VALU_DEP_3) | instskip(NEXT) | instid1(VALU_DEP_3)
	v_lshlrev_b32_e32 v8, 21, v8
	v_lshl_add_u32 v9, v9, 23, 0x37800000
	s_delay_alu instid0(VALU_DEP_1)
	v_or3_b32 v8, v12, v9, v8
.LBB251_1196:
	s_or_b32 exec_lo, exec_lo, s13
	s_delay_alu instid0(VALU_DEP_1)
	v_cmp_neq_f32_e64 s11, v7, v8
                                        ; implicit-def: $vgpr20
                                        ; implicit-def: $vgpr19
.LBB251_1197:
	s_and_not1_saveexec_b32 s12, s12
	s_cbranch_execz .LBB251_1211
; %bb.1198:
	v_and_b32_e32 v8, 0xff, v19
	s_mov_b32 s13, 0
	s_mov_b32 s14, exec_lo
	s_delay_alu instid0(VALU_DEP_1)
	v_cmpx_lt_i16_e32 0x7f, v8
	s_xor_b32 s14, exec_lo, s14
	s_cbranch_execz .LBB251_2280
; %bb.1199:
	s_mov_b32 s13, -1
	s_mov_b32 s17, exec_lo
	v_cmpx_eq_u16_e32 0x80, v8
; %bb.1200:
	s_xor_b32 s13, exec_lo, -1
; %bb.1201:
	s_or_b32 exec_lo, exec_lo, s17
	s_delay_alu instid0(SALU_CYCLE_1)
	s_and_b32 s13, s13, exec_lo
                                        ; implicit-def: $vgpr8
	s_or_saveexec_b32 s14, s14
	v_mov_b32_e32 v7, 0x7f800001
	s_xor_b32 exec_lo, exec_lo, s14
	s_cbranch_execnz .LBB251_2281
.LBB251_1202:
	s_or_b32 exec_lo, exec_lo, s14
	s_and_saveexec_b32 s14, s13
	s_cbranch_execz .LBB251_1204
.LBB251_1203:
	v_and_b32_e32 v7, 3, v19
	v_lshrrev_b16 v9, 2, v19
	v_lshlrev_b32_e32 v13, 24, v19
	s_delay_alu instid0(VALU_DEP_3) | instskip(NEXT) | instid1(VALU_DEP_1)
	v_clz_i32_u32_e32 v8, v7
	v_min_u32_e32 v8, 32, v8
	s_delay_alu instid0(VALU_DEP_4) | instskip(NEXT) | instid1(VALU_DEP_2)
	v_and_b32_e32 v9, 31, v9
	v_subrev_nc_u32_e32 v12, 29, v8
	v_sub_nc_u32_e32 v8, 30, v8
	s_delay_alu instid0(VALU_DEP_3) | instskip(NEXT) | instid1(VALU_DEP_3)
	v_cmp_eq_u32_e64 s1, 0, v9
	v_lshlrev_b32_e32 v12, v12, v19
	s_delay_alu instid0(VALU_DEP_1) | instskip(NEXT) | instid1(VALU_DEP_1)
	v_and_b32_e32 v12, 3, v12
	v_cndmask_b32_e64 v7, v7, v12, s1
	v_cndmask_b32_e64 v8, v9, v8, s1
	v_and_b32_e32 v9, 0x80000000, v13
	s_delay_alu instid0(VALU_DEP_3) | instskip(NEXT) | instid1(VALU_DEP_3)
	v_lshlrev_b32_e32 v7, 21, v7
	v_lshl_add_u32 v8, v8, 23, 0x37800000
	s_delay_alu instid0(VALU_DEP_1)
	v_or3_b32 v7, v9, v8, v7
.LBB251_1204:
	s_or_b32 exec_lo, exec_lo, s14
	s_wait_loadcnt_dscnt 0x0
	v_and_b32_e32 v9, 0xff, v20
	s_mov_b32 s13, 0
	s_mov_b32 s14, exec_lo
	s_delay_alu instid0(VALU_DEP_1)
	v_cmpx_lt_i16_e32 0x7f, v9
	s_xor_b32 s14, exec_lo, s14
	s_cbranch_execz .LBB251_2282
; %bb.1205:
	s_mov_b32 s13, -1
	s_mov_b32 s17, exec_lo
	v_cmpx_eq_u16_e32 0x80, v9
; %bb.1206:
	s_xor_b32 s13, exec_lo, -1
; %bb.1207:
	s_or_b32 exec_lo, exec_lo, s17
	s_delay_alu instid0(SALU_CYCLE_1)
	s_and_b32 s13, s13, exec_lo
                                        ; implicit-def: $vgpr9
	s_or_saveexec_b32 s14, s14
	v_mov_b32_e32 v8, 0x7f800001
	s_xor_b32 exec_lo, exec_lo, s14
	s_cbranch_execnz .LBB251_2283
.LBB251_1208:
	s_or_b32 exec_lo, exec_lo, s14
	s_and_saveexec_b32 s14, s13
	s_cbranch_execz .LBB251_1210
.LBB251_1209:
	v_and_b32_e32 v8, 3, v20
	v_lshrrev_b16 v12, 2, v20
	v_lshlrev_b32_e32 v19, 24, v20
	s_delay_alu instid0(VALU_DEP_3) | instskip(NEXT) | instid1(VALU_DEP_1)
	v_clz_i32_u32_e32 v9, v8
	v_min_u32_e32 v9, 32, v9
	s_delay_alu instid0(VALU_DEP_4) | instskip(NEXT) | instid1(VALU_DEP_2)
	v_and_b32_e32 v12, 31, v12
	v_subrev_nc_u32_e32 v13, 29, v9
	v_sub_nc_u32_e32 v9, 30, v9
	s_delay_alu instid0(VALU_DEP_3) | instskip(NEXT) | instid1(VALU_DEP_3)
	v_cmp_eq_u32_e64 s1, 0, v12
	v_lshlrev_b32_e32 v13, v13, v20
	s_delay_alu instid0(VALU_DEP_1) | instskip(NEXT) | instid1(VALU_DEP_1)
	v_and_b32_e32 v13, 3, v13
	v_cndmask_b32_e64 v8, v8, v13, s1
	v_cndmask_b32_e64 v9, v12, v9, s1
	v_and_b32_e32 v12, 0x80000000, v19
	s_delay_alu instid0(VALU_DEP_3) | instskip(NEXT) | instid1(VALU_DEP_3)
	v_lshlrev_b32_e32 v8, 21, v8
	v_lshl_add_u32 v9, v9, 23, 0x37800000
	s_delay_alu instid0(VALU_DEP_1)
	v_or3_b32 v8, v12, v9, v8
.LBB251_1210:
	s_or_b32 exec_lo, exec_lo, s14
	s_delay_alu instid0(VALU_DEP_1) | instskip(SKIP_2) | instid1(SALU_CYCLE_1)
	v_cmp_eq_f32_e64 s1, v7, v8
	s_and_not1_b32 s11, s11, exec_lo
	s_and_b32 s1, s1, exec_lo
	s_or_b32 s11, s11, s1
.LBB251_1211:
	s_or_b32 exec_lo, exec_lo, s12
	v_add_nc_u32_e32 v8, v10, v17
	s_mov_b32 s14, 0
	s_mov_b32 s12, s9
	s_mov_b32 s13, exec_lo
	s_delay_alu instid0(VALU_DEP_1) | instskip(NEXT) | instid1(VALU_DEP_1)
	v_ashrrev_i32_e32 v9, 31, v8
	v_add_nc_u64_e32 v[4:5], v[4:5], v[8:9]
                                        ; implicit-def: $vgpr8
	v_cmpx_lt_i16_e32 10, v18
	s_xor_b32 s13, exec_lo, s13
	s_cbranch_execz .LBB251_1292
; %bb.1212:
	s_mov_b32 s12, 0
	s_mov_b32 s18, 0
	;; [unrolled: 1-line block ×3, first 2 shown]
	s_mov_b32 s14, exec_lo
                                        ; implicit-def: $vgpr8
	v_cmpx_lt_i16_e32 25, v18
	s_xor_b32 s14, exec_lo, s14
	s_cbranch_execz .LBB251_2284
; %bb.1213:
	s_mov_b32 s19, 0
	s_mov_b32 s17, exec_lo
                                        ; implicit-def: $vgpr8
	v_cmpx_lt_i16_e32 28, v18
	s_xor_b32 s17, exec_lo, s17
	s_cbranch_execz .LBB251_1247
; %bb.1214:
	s_mov_b32 s20, 0
	s_mov_b32 s21, 0
	s_mov_b32 s18, exec_lo
                                        ; implicit-def: $vgpr8
	v_cmpx_lt_i16_e32 43, v18
	s_xor_b32 s18, exec_lo, s18
	s_cbranch_execz .LBB251_1236
; %bb.1215:
	s_mov_b32 s21, exec_lo
                                        ; implicit-def: $vgpr8
	v_cmpx_lt_i16_e32 45, v18
	s_xor_b32 s21, exec_lo, s21
	s_cbranch_execz .LBB251_1225
; %bb.1216:
	s_mov_b32 s22, -1
	s_mov_b32 s19, exec_lo
                                        ; implicit-def: $vgpr8
	v_cmpx_eq_u16_e32 46, v18
	s_cbranch_execz .LBB251_1224
; %bb.1217:
	flat_load_b32 v7, v[4:5]
	s_mov_b32 s20, exec_lo
	s_wait_loadcnt_dscnt 0x0
	v_dual_mov_b32 v8, 0x80 :: v_dual_lshlrev_b32 v7, 16, v7
	s_delay_alu instid0(VALU_DEP_1) | instskip(SKIP_1) | instid1(VALU_DEP_1)
	v_and_b32_e32 v9, 0x7fffffff, v7
	s_wait_xcnt 0x0
	v_cmpx_gt_u32_e32 0x47800000, v9
	s_cbranch_execz .LBB251_1223
; %bb.1218:
	v_cmp_lt_u32_e64 s1, 0x37ffffff, v9
	s_mov_b32 s22, 0
                                        ; implicit-def: $vgpr9
	s_and_saveexec_b32 s23, s1
	s_delay_alu instid0(SALU_CYCLE_1)
	s_xor_b32 s1, exec_lo, s23
	s_cbranch_execz .LBB251_2770
; %bb.1219:
	v_bfe_u32 v8, v7, 21, 1
	s_mov_b32 s22, exec_lo
	s_delay_alu instid0(VALU_DEP_1) | instskip(NEXT) | instid1(VALU_DEP_1)
	v_add3_u32 v8, v7, v8, 0x88fffff
	v_lshrrev_b32_e32 v9, 21, v8
	s_and_not1_saveexec_b32 s23, s1
	s_cbranch_execnz .LBB251_2771
.LBB251_1220:
	s_or_b32 exec_lo, exec_lo, s23
	v_mov_b32_e32 v8, 0
	s_and_saveexec_b32 s1, s22
.LBB251_1221:
	v_lshrrev_b32_e32 v7, 24, v7
	s_delay_alu instid0(VALU_DEP_1)
	v_and_or_b32 v8, 0x80, v7, v9
.LBB251_1222:
	s_or_b32 exec_lo, exec_lo, s1
.LBB251_1223:
	s_delay_alu instid0(SALU_CYCLE_1) | instskip(NEXT) | instid1(SALU_CYCLE_1)
	s_or_b32 exec_lo, exec_lo, s20
	s_mov_b32 s20, exec_lo
	s_xor_b32 s22, exec_lo, -1
.LBB251_1224:
	s_or_b32 exec_lo, exec_lo, s19
	s_delay_alu instid0(SALU_CYCLE_1)
	s_and_b32 s20, s20, exec_lo
	s_and_b32 s19, s22, exec_lo
                                        ; implicit-def: $vgpr18
.LBB251_1225:
	s_and_not1_saveexec_b32 s21, s21
	s_cbranch_execz .LBB251_1235
; %bb.1226:
	s_mov_b32 s23, -1
	s_mov_b32 s24, s20
	s_mov_b32 s22, exec_lo
                                        ; implicit-def: $vgpr8
	v_cmpx_eq_u16_e32 44, v18
	s_cbranch_execz .LBB251_1234
; %bb.1227:
	flat_load_u8 v7, v[4:5]
	s_mov_b32 s24, 0
	s_mov_b32 s23, exec_lo
	s_wait_loadcnt_dscnt 0x0
	v_lshlrev_b32_e32 v8, 23, v7
	v_cmp_ne_u32_e64 s1, 0xff, v7
	s_delay_alu instid0(VALU_DEP_1) | instskip(SKIP_1) | instid1(VALU_DEP_1)
	v_cndmask_b32_e64 v8, 0x7f800001, v8, s1
	v_cmp_ne_u32_e64 s1, 0, v7
	v_cndmask_b32_e64 v9, 0x400000, v8, s1
	v_mov_b32_e32 v8, 0x80
	s_wait_xcnt 0x0
	s_delay_alu instid0(VALU_DEP_2)
	v_cmpx_gt_u32_e32 0x47800000, v9
	s_cbranch_execz .LBB251_1233
; %bb.1228:
	v_cmp_lt_u32_e64 s1, 0x37ffffff, v9
                                        ; implicit-def: $vgpr7
	s_and_saveexec_b32 s25, s1
	s_delay_alu instid0(SALU_CYCLE_1)
	s_xor_b32 s1, exec_lo, s25
	s_cbranch_execz .LBB251_2772
; %bb.1229:
	v_bfe_u32 v7, v9, 21, 1
	s_mov_b32 s24, exec_lo
	s_delay_alu instid0(VALU_DEP_1) | instskip(NEXT) | instid1(VALU_DEP_1)
	v_add3_u32 v7, v9, v7, 0x88fffff
                                        ; implicit-def: $vgpr9
	v_lshrrev_b32_e32 v7, 21, v7
	s_and_not1_saveexec_b32 s25, s1
	s_cbranch_execnz .LBB251_2773
.LBB251_1230:
	s_or_b32 exec_lo, exec_lo, s25
	v_mov_b32_e32 v8, 0
	s_and_saveexec_b32 s1, s24
.LBB251_1231:
	v_mov_b32_e32 v8, v7
.LBB251_1232:
	s_or_b32 exec_lo, exec_lo, s1
.LBB251_1233:
	s_delay_alu instid0(SALU_CYCLE_1) | instskip(NEXT) | instid1(SALU_CYCLE_1)
	s_or_b32 exec_lo, exec_lo, s23
	s_or_b32 s24, s20, exec_lo
	s_xor_b32 s23, exec_lo, -1
.LBB251_1234:
	s_or_b32 exec_lo, exec_lo, s22
	s_delay_alu instid0(SALU_CYCLE_1)
	s_and_not1_b32 s1, s20, exec_lo
	s_and_b32 s20, s24, exec_lo
	s_and_not1_b32 s19, s19, exec_lo
	s_and_b32 s22, s23, exec_lo
	s_or_b32 s20, s1, s20
	s_or_b32 s19, s19, s22
.LBB251_1235:
	s_or_b32 exec_lo, exec_lo, s21
	s_delay_alu instid0(SALU_CYCLE_1)
	s_and_b32 s21, s20, exec_lo
	s_and_b32 s20, s19, exec_lo
                                        ; implicit-def: $vgpr18
.LBB251_1236:
	s_and_not1_saveexec_b32 s18, s18
	s_cbranch_execz .LBB251_1246
; %bb.1237:
	s_mov_b32 s22, -1
	s_mov_b32 s23, s21
	s_mov_b32 s19, exec_lo
                                        ; implicit-def: $vgpr8
	v_cmpx_eq_u16_e32 29, v18
	s_cbranch_execz .LBB251_1245
; %bb.1238:
	flat_load_b64 v[8:9], v[4:5]
	s_mov_b32 s22, exec_lo
	s_wait_loadcnt_dscnt 0x0
	v_clz_i32_u32_e32 v7, v9
	s_delay_alu instid0(VALU_DEP_1) | instskip(NEXT) | instid1(VALU_DEP_1)
	v_min_u32_e32 v7, 32, v7
	v_lshlrev_b64_e32 v[8:9], v7, v[8:9]
	v_sub_nc_u32_e32 v7, 32, v7
	s_delay_alu instid0(VALU_DEP_2) | instskip(NEXT) | instid1(VALU_DEP_1)
	v_min_u32_e32 v8, 1, v8
	v_or_b32_e32 v8, v9, v8
	s_delay_alu instid0(VALU_DEP_1) | instskip(NEXT) | instid1(VALU_DEP_1)
	v_cvt_f32_u32_e32 v8, v8
	v_ldexp_f32 v9, v8, v7
	v_mov_b32_e32 v8, 0x80
	s_wait_xcnt 0x0
	s_delay_alu instid0(VALU_DEP_2)
	v_cmpx_gt_u32_e32 0x47800000, v9
	s_cbranch_execz .LBB251_1244
; %bb.1239:
	v_cmp_lt_u32_e64 s1, 0x37ffffff, v9
	s_mov_b32 s23, 0
                                        ; implicit-def: $vgpr7
	s_and_saveexec_b32 s24, s1
	s_delay_alu instid0(SALU_CYCLE_1)
	s_xor_b32 s1, exec_lo, s24
	s_cbranch_execz .LBB251_2691
; %bb.1240:
	v_bfe_u32 v7, v9, 21, 1
	s_mov_b32 s23, exec_lo
	s_delay_alu instid0(VALU_DEP_1) | instskip(NEXT) | instid1(VALU_DEP_1)
	v_add3_u32 v7, v9, v7, 0x88fffff
                                        ; implicit-def: $vgpr9
	v_lshrrev_b32_e32 v7, 21, v7
	s_and_not1_saveexec_b32 s24, s1
	s_cbranch_execnz .LBB251_2692
.LBB251_1241:
	s_or_b32 exec_lo, exec_lo, s24
	v_mov_b32_e32 v8, 0
	s_and_saveexec_b32 s1, s23
.LBB251_1242:
	v_mov_b32_e32 v8, v7
.LBB251_1243:
	s_or_b32 exec_lo, exec_lo, s1
.LBB251_1244:
	s_delay_alu instid0(SALU_CYCLE_1) | instskip(NEXT) | instid1(SALU_CYCLE_1)
	s_or_b32 exec_lo, exec_lo, s22
	s_or_b32 s23, s21, exec_lo
	s_xor_b32 s22, exec_lo, -1
.LBB251_1245:
	s_or_b32 exec_lo, exec_lo, s19
	s_delay_alu instid0(SALU_CYCLE_1)
	s_and_not1_b32 s1, s21, exec_lo
	s_and_b32 s19, s23, exec_lo
	s_and_not1_b32 s20, s20, exec_lo
	s_and_b32 s22, s22, exec_lo
	s_or_b32 s21, s1, s19
	s_or_b32 s20, s20, s22
.LBB251_1246:
	s_or_b32 exec_lo, exec_lo, s18
	s_delay_alu instid0(SALU_CYCLE_1)
	s_and_b32 s19, s21, exec_lo
	s_and_b32 s18, s20, exec_lo
                                        ; implicit-def: $vgpr18
.LBB251_1247:
	s_and_not1_saveexec_b32 s17, s17
	s_cbranch_execz .LBB251_1281
; %bb.1248:
	s_mov_b32 s20, exec_lo
                                        ; implicit-def: $vgpr8
	v_cmpx_lt_i16_e32 26, v18
	s_xor_b32 s20, exec_lo, s20
	s_cbranch_execz .LBB251_1266
; %bb.1249:
	s_mov_b32 s21, exec_lo
                                        ; implicit-def: $vgpr8
	v_cmpx_lt_i16_e32 27, v18
	s_xor_b32 s21, exec_lo, s21
	s_cbranch_execz .LBB251_1257
; %bb.1250:
	flat_load_b32 v7, v[4:5]
	v_mov_b32_e32 v8, 0x80
	s_mov_b32 s22, exec_lo
	s_wait_loadcnt_dscnt 0x0
	v_cvt_f32_u32_e32 v9, v7
	s_wait_xcnt 0x0
	s_delay_alu instid0(VALU_DEP_1)
	v_cmpx_gt_u32_e32 0x47800000, v9
	s_cbranch_execz .LBB251_1256
; %bb.1251:
	v_cmp_lt_u32_e64 s1, 0x37ffffff, v9
	s_mov_b32 s23, 0
                                        ; implicit-def: $vgpr7
	s_and_saveexec_b32 s24, s1
	s_delay_alu instid0(SALU_CYCLE_1)
	s_xor_b32 s1, exec_lo, s24
	s_cbranch_execz .LBB251_2693
; %bb.1252:
	v_bfe_u32 v7, v9, 21, 1
	s_mov_b32 s23, exec_lo
	s_delay_alu instid0(VALU_DEP_1) | instskip(NEXT) | instid1(VALU_DEP_1)
	v_add3_u32 v7, v9, v7, 0x88fffff
                                        ; implicit-def: $vgpr9
	v_lshrrev_b32_e32 v7, 21, v7
	s_and_not1_saveexec_b32 s24, s1
	s_cbranch_execnz .LBB251_2694
.LBB251_1253:
	s_or_b32 exec_lo, exec_lo, s24
	v_mov_b32_e32 v8, 0
	s_and_saveexec_b32 s1, s23
.LBB251_1254:
	v_mov_b32_e32 v8, v7
.LBB251_1255:
	s_or_b32 exec_lo, exec_lo, s1
.LBB251_1256:
	s_delay_alu instid0(SALU_CYCLE_1)
	s_or_b32 exec_lo, exec_lo, s22
.LBB251_1257:
	s_and_not1_saveexec_b32 s21, s21
	s_cbranch_execz .LBB251_1265
; %bb.1258:
	flat_load_u16 v7, v[4:5]
	v_mov_b32_e32 v8, 0x80
	s_mov_b32 s22, exec_lo
	s_wait_loadcnt_dscnt 0x0
	v_cvt_f32_u32_e32 v9, v7
	s_wait_xcnt 0x0
	s_delay_alu instid0(VALU_DEP_1)
	v_cmpx_gt_u32_e32 0x47800000, v9
	s_cbranch_execz .LBB251_1264
; %bb.1259:
	v_cmp_lt_u32_e64 s1, 0x37ffffff, v9
	s_mov_b32 s23, 0
                                        ; implicit-def: $vgpr7
	s_and_saveexec_b32 s24, s1
	s_delay_alu instid0(SALU_CYCLE_1)
	s_xor_b32 s1, exec_lo, s24
	s_cbranch_execz .LBB251_2695
; %bb.1260:
	v_bfe_u32 v7, v9, 21, 1
	s_mov_b32 s23, exec_lo
	s_delay_alu instid0(VALU_DEP_1) | instskip(NEXT) | instid1(VALU_DEP_1)
	v_add3_u32 v7, v9, v7, 0x88fffff
                                        ; implicit-def: $vgpr9
	v_lshrrev_b32_e32 v7, 21, v7
	s_and_not1_saveexec_b32 s24, s1
	s_cbranch_execnz .LBB251_2696
.LBB251_1261:
	s_or_b32 exec_lo, exec_lo, s24
	v_mov_b32_e32 v8, 0
	s_and_saveexec_b32 s1, s23
.LBB251_1262:
	v_mov_b32_e32 v8, v7
.LBB251_1263:
	s_or_b32 exec_lo, exec_lo, s1
.LBB251_1264:
	s_delay_alu instid0(SALU_CYCLE_1)
	s_or_b32 exec_lo, exec_lo, s22
.LBB251_1265:
	s_delay_alu instid0(SALU_CYCLE_1)
	s_or_b32 exec_lo, exec_lo, s21
.LBB251_1266:
	s_and_not1_saveexec_b32 s20, s20
	s_cbranch_execz .LBB251_1280
; %bb.1267:
	flat_load_u8 v8, v[4:5]
	s_mov_b32 s21, 0
	s_mov_b32 s22, exec_lo
	s_wait_loadcnt_dscnt 0x0
	v_cmpx_lt_i16_e32 0x7f, v8
	s_xor_b32 s22, exec_lo, s22
	s_cbranch_execz .LBB251_2543
; %bb.1268:
	s_mov_b32 s21, -1
	s_mov_b32 s23, exec_lo
	v_cmpx_eq_u16_e32 0x80, v8
; %bb.1269:
	s_xor_b32 s21, exec_lo, -1
; %bb.1270:
	s_or_b32 exec_lo, exec_lo, s23
	s_delay_alu instid0(SALU_CYCLE_1)
	s_and_b32 s21, s21, exec_lo
	s_or_saveexec_b32 s22, s22
	v_mov_b32_e32 v7, 0x7f800001
	s_xor_b32 exec_lo, exec_lo, s22
	s_cbranch_execnz .LBB251_2544
.LBB251_1271:
	s_or_b32 exec_lo, exec_lo, s22
	s_and_saveexec_b32 s22, s21
	s_cbranch_execz .LBB251_1273
.LBB251_1272:
	v_and_b32_e32 v7, 0xffff, v8
	s_delay_alu instid0(VALU_DEP_1) | instskip(SKIP_1) | instid1(VALU_DEP_2)
	v_and_b32_e32 v9, 7, v7
	v_bfe_u32 v13, v7, 3, 4
	v_clz_i32_u32_e32 v10, v9
	s_delay_alu instid0(VALU_DEP_2) | instskip(NEXT) | instid1(VALU_DEP_2)
	v_cmp_eq_u32_e64 s1, 0, v13
	v_min_u32_e32 v10, 32, v10
	s_delay_alu instid0(VALU_DEP_1) | instskip(NEXT) | instid1(VALU_DEP_1)
	v_subrev_nc_u32_e32 v12, 28, v10
	v_dual_lshlrev_b32 v7, v12, v7 :: v_dual_sub_nc_u32 v10, 29, v10
	s_delay_alu instid0(VALU_DEP_1) | instskip(NEXT) | instid1(VALU_DEP_2)
	v_dual_lshlrev_b32 v8, 24, v8 :: v_dual_bitop2_b32 v7, 7, v7 bitop3:0x40
	v_cndmask_b32_e64 v10, v13, v10, s1
	s_delay_alu instid0(VALU_DEP_2) | instskip(NEXT) | instid1(VALU_DEP_3)
	v_cndmask_b32_e64 v7, v9, v7, s1
	v_and_b32_e32 v8, 0x80000000, v8
	s_delay_alu instid0(VALU_DEP_3) | instskip(NEXT) | instid1(VALU_DEP_3)
	v_lshl_add_u32 v9, v10, 23, 0x3b800000
	v_lshlrev_b32_e32 v7, 20, v7
	s_delay_alu instid0(VALU_DEP_1)
	v_or3_b32 v7, v8, v9, v7
.LBB251_1273:
	s_or_b32 exec_lo, exec_lo, s22
	s_delay_alu instid0(VALU_DEP_1) | instskip(SKIP_2) | instid1(VALU_DEP_2)
	v_and_b32_e32 v9, 0x7fffffff, v7
	v_mov_b32_e32 v8, 0x80
	s_mov_b32 s21, exec_lo
	v_cmpx_gt_u32_e32 0x47800000, v9
	s_cbranch_execz .LBB251_1279
; %bb.1274:
	v_cmp_lt_u32_e64 s1, 0x37ffffff, v9
	s_mov_b32 s22, 0
                                        ; implicit-def: $vgpr9
	s_and_saveexec_b32 s23, s1
	s_delay_alu instid0(SALU_CYCLE_1)
	s_xor_b32 s1, exec_lo, s23
	s_cbranch_execz .LBB251_2622
; %bb.1275:
	v_bfe_u32 v8, v7, 21, 1
	s_mov_b32 s22, exec_lo
	s_delay_alu instid0(VALU_DEP_1) | instskip(NEXT) | instid1(VALU_DEP_1)
	v_add3_u32 v8, v7, v8, 0x88fffff
	v_lshrrev_b32_e32 v9, 21, v8
	s_and_not1_saveexec_b32 s23, s1
	s_cbranch_execnz .LBB251_2623
.LBB251_1276:
	s_or_b32 exec_lo, exec_lo, s23
	v_mov_b32_e32 v8, 0
	s_and_saveexec_b32 s1, s22
.LBB251_1277:
	v_lshrrev_b32_e32 v7, 24, v7
	s_delay_alu instid0(VALU_DEP_1)
	v_and_or_b32 v8, 0x80, v7, v9
.LBB251_1278:
	s_or_b32 exec_lo, exec_lo, s1
.LBB251_1279:
	s_delay_alu instid0(SALU_CYCLE_1)
	s_or_b32 exec_lo, exec_lo, s21
.LBB251_1280:
	s_delay_alu instid0(SALU_CYCLE_1) | instskip(NEXT) | instid1(SALU_CYCLE_1)
	s_or_b32 exec_lo, exec_lo, s20
	s_or_b32 s19, s19, exec_lo
.LBB251_1281:
	s_or_b32 exec_lo, exec_lo, s17
	s_delay_alu instid0(SALU_CYCLE_1)
	s_and_b32 s17, s19, exec_lo
	s_and_b32 s18, s18, exec_lo
                                        ; implicit-def: $vgpr18
	s_and_not1_saveexec_b32 s14, s14
	s_cbranch_execnz .LBB251_2285
.LBB251_1282:
	s_or_b32 exec_lo, exec_lo, s14
	s_mov_b32 s14, s9
	s_and_saveexec_b32 s1, s18
	s_cbranch_execnz .LBB251_2322
.LBB251_1283:
	s_or_b32 exec_lo, exec_lo, s1
	s_and_saveexec_b32 s1, s12
	s_delay_alu instid0(SALU_CYCLE_1)
	s_xor_b32 s12, exec_lo, s1
	s_cbranch_execz .LBB251_1291
.LBB251_1284:
	flat_load_u8 v4, v[4:5]
	s_wait_loadcnt_dscnt 0x101
	v_mov_b32_e32 v8, 0x80
	s_mov_b32 s19, 0
	s_mov_b32 s18, exec_lo
	s_wait_loadcnt_dscnt 0x0
	v_cmp_ne_u16_e64 s1, 0, v4
	s_wait_xcnt 0x0
	s_delay_alu instid0(VALU_DEP_1) | instskip(NEXT) | instid1(VALU_DEP_1)
	v_cndmask_b32_e64 v5, 0, 1.0, s1
	v_cmpx_gt_u32_e32 0x47800000, v5
	s_cbranch_execz .LBB251_1290
; %bb.1285:
	v_cmp_lt_u32_e64 s1, 0x37ffffff, v5
                                        ; implicit-def: $vgpr4
	s_and_saveexec_b32 s20, s1
	s_delay_alu instid0(SALU_CYCLE_1)
	s_xor_b32 s1, exec_lo, s20
	s_cbranch_execz .LBB251_2446
; %bb.1286:
	v_bfe_u32 v4, v5, 21, 1
	s_mov_b32 s19, exec_lo
	s_delay_alu instid0(VALU_DEP_1) | instskip(NEXT) | instid1(VALU_DEP_1)
	v_add3_u32 v4, v5, v4, 0x88fffff
                                        ; implicit-def: $vgpr5
	v_lshrrev_b32_e32 v4, 21, v4
	s_and_not1_saveexec_b32 s20, s1
	s_cbranch_execnz .LBB251_2447
.LBB251_1287:
	s_or_b32 exec_lo, exec_lo, s20
	v_mov_b32_e32 v8, 0
	s_and_saveexec_b32 s1, s19
.LBB251_1288:
	v_mov_b32_e32 v8, v4
.LBB251_1289:
	s_or_b32 exec_lo, exec_lo, s1
.LBB251_1290:
	s_delay_alu instid0(SALU_CYCLE_1) | instskip(NEXT) | instid1(SALU_CYCLE_1)
	s_or_b32 exec_lo, exec_lo, s18
	s_or_b32 s17, s17, exec_lo
.LBB251_1291:
	s_or_b32 exec_lo, exec_lo, s12
	s_delay_alu instid0(SALU_CYCLE_1)
	s_and_not1_b32 s1, s9, exec_lo
	s_and_b32 s12, s14, exec_lo
	s_and_b32 s14, s17, exec_lo
	s_or_b32 s12, s1, s12
                                        ; implicit-def: $vgpr18
                                        ; implicit-def: $vgpr4_vgpr5
.LBB251_1292:
	s_and_not1_saveexec_b32 s13, s13
	s_cbranch_execz .LBB251_1400
; %bb.1293:
	s_mov_b32 s17, exec_lo
                                        ; implicit-def: $vgpr8
	v_cmpx_lt_i16_e32 4, v18
	s_xor_b32 s17, exec_lo, s17
	s_cbranch_execz .LBB251_1351
; %bb.1294:
	s_mov_b32 s18, exec_lo
                                        ; implicit-def: $vgpr8
	v_cmpx_lt_i16_e32 7, v18
	s_xor_b32 s18, exec_lo, s18
	;; [unrolled: 6-line block ×4, first 2 shown]
	s_cbranch_execz .LBB251_1304
; %bb.1297:
	flat_load_b64 v[4:5], v[4:5]
	s_wait_loadcnt_dscnt 0x101
	v_mov_b32_e32 v8, 0x80
	s_mov_b32 s21, exec_lo
	s_wait_loadcnt_dscnt 0x0
	v_cvt_f32_f64_e32 v4, v[4:5]
	s_delay_alu instid0(VALU_DEP_1) | instskip(NEXT) | instid1(VALU_DEP_1)
	v_and_b32_e32 v5, 0x7fffffff, v4
	v_cmpx_gt_u32_e32 0x47800000, v5
	s_cbranch_execz .LBB251_1303
; %bb.1298:
	v_cmp_lt_u32_e64 s1, 0x37ffffff, v5
	s_mov_b32 s22, 0
                                        ; implicit-def: $vgpr5
	s_and_saveexec_b32 s23, s1
	s_delay_alu instid0(SALU_CYCLE_1)
	s_xor_b32 s1, exec_lo, s23
	s_cbranch_execz .LBB251_2697
; %bb.1299:
	v_bfe_u32 v5, v4, 21, 1
	s_mov_b32 s22, exec_lo
	s_delay_alu instid0(VALU_DEP_1) | instskip(NEXT) | instid1(VALU_DEP_1)
	v_add3_u32 v5, v4, v5, 0x88fffff
	v_lshrrev_b32_e32 v5, 21, v5
	s_and_not1_saveexec_b32 s23, s1
	s_cbranch_execnz .LBB251_2698
.LBB251_1300:
	s_or_b32 exec_lo, exec_lo, s23
	v_mov_b32_e32 v8, 0
	s_and_saveexec_b32 s1, s22
.LBB251_1301:
	v_lshrrev_b32_e32 v4, 24, v4
	s_delay_alu instid0(VALU_DEP_1)
	v_and_or_b32 v8, 0x80, v4, v5
.LBB251_1302:
	s_or_b32 exec_lo, exec_lo, s1
.LBB251_1303:
	s_delay_alu instid0(SALU_CYCLE_1)
	s_or_b32 exec_lo, exec_lo, s21
                                        ; implicit-def: $vgpr4_vgpr5
.LBB251_1304:
	s_and_not1_saveexec_b32 s20, s20
	s_cbranch_execz .LBB251_1312
; %bb.1305:
	flat_load_b32 v4, v[4:5]
	s_wait_loadcnt_dscnt 0x101
	v_mov_b32_e32 v8, 0x80
	s_mov_b32 s21, exec_lo
	s_wait_loadcnt_dscnt 0x0
	v_and_b32_e32 v5, 0x7fffffff, v4
	s_delay_alu instid0(VALU_DEP_1)
	v_cmpx_gt_u32_e32 0x47800000, v5
	s_cbranch_execz .LBB251_1311
; %bb.1306:
	v_cmp_lt_u32_e64 s1, 0x37ffffff, v5
	s_mov_b32 s22, 0
                                        ; implicit-def: $vgpr5
	s_and_saveexec_b32 s23, s1
	s_delay_alu instid0(SALU_CYCLE_1)
	s_xor_b32 s1, exec_lo, s23
	s_cbranch_execz .LBB251_2699
; %bb.1307:
	v_bfe_u32 v5, v4, 21, 1
	s_mov_b32 s22, exec_lo
	s_delay_alu instid0(VALU_DEP_1) | instskip(NEXT) | instid1(VALU_DEP_1)
	v_add3_u32 v5, v4, v5, 0x88fffff
	v_lshrrev_b32_e32 v5, 21, v5
	s_and_not1_saveexec_b32 s23, s1
	s_cbranch_execnz .LBB251_2700
.LBB251_1308:
	s_or_b32 exec_lo, exec_lo, s23
	v_mov_b32_e32 v8, 0
	s_and_saveexec_b32 s1, s22
.LBB251_1309:
	v_lshrrev_b32_e32 v4, 24, v4
	s_delay_alu instid0(VALU_DEP_1)
	v_and_or_b32 v8, 0x80, v4, v5
.LBB251_1310:
	s_or_b32 exec_lo, exec_lo, s1
.LBB251_1311:
	s_delay_alu instid0(SALU_CYCLE_1)
	s_or_b32 exec_lo, exec_lo, s21
.LBB251_1312:
	s_delay_alu instid0(SALU_CYCLE_1)
	s_or_b32 exec_lo, exec_lo, s20
                                        ; implicit-def: $vgpr4_vgpr5
.LBB251_1313:
	s_and_not1_saveexec_b32 s19, s19
	s_cbranch_execz .LBB251_1321
; %bb.1314:
	flat_load_b32 v4, v[4:5]
	s_wait_loadcnt_dscnt 0x101
	v_mov_b32_e32 v8, 0x80
	s_mov_b32 s20, exec_lo
	s_wait_loadcnt_dscnt 0x0
	v_cvt_f32_f16_e32 v4, v4
	s_delay_alu instid0(VALU_DEP_1) | instskip(NEXT) | instid1(VALU_DEP_1)
	v_and_b32_e32 v5, 0x7fffffff, v4
	v_cmpx_gt_u32_e32 0x47800000, v5
	s_cbranch_execz .LBB251_1320
; %bb.1315:
	v_cmp_lt_u32_e64 s1, 0x37ffffff, v5
	s_mov_b32 s21, 0
                                        ; implicit-def: $vgpr5
	s_and_saveexec_b32 s22, s1
	s_delay_alu instid0(SALU_CYCLE_1)
	s_xor_b32 s1, exec_lo, s22
	s_cbranch_execz .LBB251_2624
; %bb.1316:
	v_bfe_u32 v5, v4, 21, 1
	s_mov_b32 s21, exec_lo
	s_delay_alu instid0(VALU_DEP_1) | instskip(NEXT) | instid1(VALU_DEP_1)
	v_add3_u32 v5, v4, v5, 0x88fffff
	v_lshrrev_b32_e32 v5, 21, v5
	s_and_not1_saveexec_b32 s22, s1
	s_cbranch_execnz .LBB251_2625
.LBB251_1317:
	s_or_b32 exec_lo, exec_lo, s22
	v_mov_b32_e32 v8, 0
	s_and_saveexec_b32 s1, s21
.LBB251_1318:
	v_lshrrev_b32_e32 v4, 24, v4
	s_delay_alu instid0(VALU_DEP_1)
	v_and_or_b32 v8, 0x80, v4, v5
.LBB251_1319:
	s_or_b32 exec_lo, exec_lo, s1
.LBB251_1320:
	s_delay_alu instid0(SALU_CYCLE_1)
	s_or_b32 exec_lo, exec_lo, s20
.LBB251_1321:
	s_delay_alu instid0(SALU_CYCLE_1)
	s_or_b32 exec_lo, exec_lo, s19
                                        ; implicit-def: $vgpr18
                                        ; implicit-def: $vgpr4_vgpr5
.LBB251_1322:
	s_and_not1_saveexec_b32 s18, s18
	s_cbranch_execz .LBB251_1350
; %bb.1323:
	s_mov_b32 s19, exec_lo
                                        ; implicit-def: $vgpr8
	v_cmpx_lt_i16_e32 5, v18
	s_xor_b32 s19, exec_lo, s19
	s_cbranch_execz .LBB251_1341
; %bb.1324:
	s_mov_b32 s20, exec_lo
                                        ; implicit-def: $vgpr8
	v_cmpx_lt_i16_e32 6, v18
	s_xor_b32 s20, exec_lo, s20
	s_cbranch_execz .LBB251_1332
; %bb.1325:
	flat_load_b64 v[4:5], v[4:5]
	s_wait_loadcnt_dscnt 0x101
	v_mov_b32_e32 v8, 0x80
	s_mov_b32 s21, exec_lo
	s_wait_loadcnt_dscnt 0x0
	v_cvt_f32_f64_e32 v4, v[4:5]
	s_delay_alu instid0(VALU_DEP_1) | instskip(NEXT) | instid1(VALU_DEP_1)
	v_and_b32_e32 v5, 0x7fffffff, v4
	v_cmpx_gt_u32_e32 0x47800000, v5
	s_cbranch_execz .LBB251_1331
; %bb.1326:
	v_cmp_lt_u32_e64 s1, 0x37ffffff, v5
	s_mov_b32 s22, 0
                                        ; implicit-def: $vgpr5
	s_and_saveexec_b32 s23, s1
	s_delay_alu instid0(SALU_CYCLE_1)
	s_xor_b32 s1, exec_lo, s23
	s_cbranch_execz .LBB251_2701
; %bb.1327:
	v_bfe_u32 v5, v4, 21, 1
	s_mov_b32 s22, exec_lo
	s_delay_alu instid0(VALU_DEP_1) | instskip(NEXT) | instid1(VALU_DEP_1)
	v_add3_u32 v5, v4, v5, 0x88fffff
	v_lshrrev_b32_e32 v5, 21, v5
	s_and_not1_saveexec_b32 s23, s1
	s_cbranch_execnz .LBB251_2702
.LBB251_1328:
	s_or_b32 exec_lo, exec_lo, s23
	v_mov_b32_e32 v8, 0
	s_and_saveexec_b32 s1, s22
.LBB251_1329:
	v_lshrrev_b32_e32 v4, 24, v4
	s_delay_alu instid0(VALU_DEP_1)
	v_and_or_b32 v8, 0x80, v4, v5
.LBB251_1330:
	s_or_b32 exec_lo, exec_lo, s1
.LBB251_1331:
	s_delay_alu instid0(SALU_CYCLE_1)
	s_or_b32 exec_lo, exec_lo, s21
                                        ; implicit-def: $vgpr4_vgpr5
.LBB251_1332:
	s_and_not1_saveexec_b32 s20, s20
	s_cbranch_execz .LBB251_1340
; %bb.1333:
	flat_load_b32 v4, v[4:5]
	s_wait_loadcnt_dscnt 0x101
	v_mov_b32_e32 v8, 0x80
	s_mov_b32 s21, exec_lo
	s_wait_loadcnt_dscnt 0x0
	v_and_b32_e32 v5, 0x7fffffff, v4
	s_delay_alu instid0(VALU_DEP_1)
	v_cmpx_gt_u32_e32 0x47800000, v5
	s_cbranch_execz .LBB251_1339
; %bb.1334:
	v_cmp_lt_u32_e64 s1, 0x37ffffff, v5
	s_mov_b32 s22, 0
                                        ; implicit-def: $vgpr5
	s_and_saveexec_b32 s23, s1
	s_delay_alu instid0(SALU_CYCLE_1)
	s_xor_b32 s1, exec_lo, s23
	s_cbranch_execz .LBB251_2703
; %bb.1335:
	v_bfe_u32 v5, v4, 21, 1
	s_mov_b32 s22, exec_lo
	s_delay_alu instid0(VALU_DEP_1) | instskip(NEXT) | instid1(VALU_DEP_1)
	v_add3_u32 v5, v4, v5, 0x88fffff
	v_lshrrev_b32_e32 v5, 21, v5
	s_and_not1_saveexec_b32 s23, s1
	s_cbranch_execnz .LBB251_2704
.LBB251_1336:
	s_or_b32 exec_lo, exec_lo, s23
	v_mov_b32_e32 v8, 0
	s_and_saveexec_b32 s1, s22
.LBB251_1337:
	v_lshrrev_b32_e32 v4, 24, v4
	s_delay_alu instid0(VALU_DEP_1)
	v_and_or_b32 v8, 0x80, v4, v5
.LBB251_1338:
	s_or_b32 exec_lo, exec_lo, s1
.LBB251_1339:
	s_delay_alu instid0(SALU_CYCLE_1)
	s_or_b32 exec_lo, exec_lo, s21
.LBB251_1340:
	s_delay_alu instid0(SALU_CYCLE_1)
	s_or_b32 exec_lo, exec_lo, s20
                                        ; implicit-def: $vgpr4_vgpr5
.LBB251_1341:
	s_and_not1_saveexec_b32 s19, s19
	s_cbranch_execz .LBB251_1349
; %bb.1342:
	flat_load_u16 v4, v[4:5]
	s_wait_loadcnt_dscnt 0x101
	v_mov_b32_e32 v8, 0x80
	s_mov_b32 s20, exec_lo
	s_wait_loadcnt_dscnt 0x0
	v_cvt_f32_f16_e32 v4, v4
	s_delay_alu instid0(VALU_DEP_1) | instskip(NEXT) | instid1(VALU_DEP_1)
	v_and_b32_e32 v5, 0x7fffffff, v4
	v_cmpx_gt_u32_e32 0x47800000, v5
	s_cbranch_execz .LBB251_1348
; %bb.1343:
	v_cmp_lt_u32_e64 s1, 0x37ffffff, v5
	s_mov_b32 s21, 0
                                        ; implicit-def: $vgpr5
	s_and_saveexec_b32 s22, s1
	s_delay_alu instid0(SALU_CYCLE_1)
	s_xor_b32 s1, exec_lo, s22
	s_cbranch_execz .LBB251_2626
; %bb.1344:
	v_bfe_u32 v5, v4, 21, 1
	s_mov_b32 s21, exec_lo
	s_delay_alu instid0(VALU_DEP_1) | instskip(NEXT) | instid1(VALU_DEP_1)
	v_add3_u32 v5, v4, v5, 0x88fffff
	v_lshrrev_b32_e32 v5, 21, v5
	s_and_not1_saveexec_b32 s22, s1
	s_cbranch_execnz .LBB251_2627
.LBB251_1345:
	s_or_b32 exec_lo, exec_lo, s22
	v_mov_b32_e32 v8, 0
	s_and_saveexec_b32 s1, s21
.LBB251_1346:
	v_lshrrev_b32_e32 v4, 24, v4
	s_delay_alu instid0(VALU_DEP_1)
	v_and_or_b32 v8, 0x80, v4, v5
.LBB251_1347:
	s_or_b32 exec_lo, exec_lo, s1
.LBB251_1348:
	s_delay_alu instid0(SALU_CYCLE_1)
	s_or_b32 exec_lo, exec_lo, s20
.LBB251_1349:
	s_delay_alu instid0(SALU_CYCLE_1)
	s_or_b32 exec_lo, exec_lo, s19
.LBB251_1350:
	s_delay_alu instid0(SALU_CYCLE_1)
	s_or_b32 exec_lo, exec_lo, s18
                                        ; implicit-def: $vgpr18
                                        ; implicit-def: $vgpr4_vgpr5
.LBB251_1351:
	s_and_not1_saveexec_b32 s17, s17
	s_cbranch_execz .LBB251_1399
; %bb.1352:
	s_mov_b32 s18, exec_lo
                                        ; implicit-def: $vgpr8
	v_cmpx_lt_i16_e32 1, v18
	s_xor_b32 s18, exec_lo, s18
	s_cbranch_execz .LBB251_1380
; %bb.1353:
	s_mov_b32 s19, exec_lo
                                        ; implicit-def: $vgpr8
	v_cmpx_lt_i16_e32 2, v18
	s_xor_b32 s19, exec_lo, s19
	;; [unrolled: 6-line block ×3, first 2 shown]
	s_cbranch_execz .LBB251_1362
; %bb.1355:
	flat_load_b64 v[4:5], v[4:5]
	s_mov_b32 s21, exec_lo
	s_wait_loadcnt_dscnt 0x0
	v_xor_b32_e32 v7, v4, v5
	v_cls_i32_e32 v8, v5
	s_delay_alu instid0(VALU_DEP_2) | instskip(NEXT) | instid1(VALU_DEP_1)
	v_ashrrev_i32_e32 v7, 31, v7
	v_add_nc_u32_e32 v7, 32, v7
	s_delay_alu instid0(VALU_DEP_1) | instskip(SKIP_2) | instid1(VALU_DEP_2)
	v_add_min_u32_e64 v7, v8, -1, v7
	v_mov_b32_e32 v8, 0x80
	s_wait_xcnt 0x0
	v_lshlrev_b64_e32 v[4:5], v7, v[4:5]
	s_delay_alu instid0(VALU_DEP_1) | instskip(NEXT) | instid1(VALU_DEP_1)
	v_min_u32_e32 v4, 1, v4
	v_dual_sub_nc_u32 v5, 32, v7 :: v_dual_bitop2_b32 v4, v5, v4 bitop3:0x54
	s_delay_alu instid0(VALU_DEP_1) | instskip(NEXT) | instid1(VALU_DEP_1)
	v_cvt_f32_i32_e32 v4, v4
	v_ldexp_f32 v4, v4, v5
	s_delay_alu instid0(VALU_DEP_1) | instskip(NEXT) | instid1(VALU_DEP_1)
	v_and_b32_e32 v5, 0x7fffffff, v4
	v_cmpx_gt_u32_e32 0x47800000, v5
	s_cbranch_execz .LBB251_1361
; %bb.1356:
	v_cmp_lt_u32_e64 s1, 0x37ffffff, v5
	s_mov_b32 s22, 0
                                        ; implicit-def: $vgpr5
	s_and_saveexec_b32 s23, s1
	s_delay_alu instid0(SALU_CYCLE_1)
	s_xor_b32 s1, exec_lo, s23
	s_cbranch_execz .LBB251_2705
; %bb.1357:
	v_bfe_u32 v5, v4, 21, 1
	s_mov_b32 s22, exec_lo
	s_delay_alu instid0(VALU_DEP_1) | instskip(NEXT) | instid1(VALU_DEP_1)
	v_add3_u32 v5, v4, v5, 0x88fffff
	v_lshrrev_b32_e32 v5, 21, v5
	s_and_not1_saveexec_b32 s23, s1
	s_cbranch_execnz .LBB251_2706
.LBB251_1358:
	s_or_b32 exec_lo, exec_lo, s23
	v_mov_b32_e32 v8, 0
	s_and_saveexec_b32 s1, s22
.LBB251_1359:
	v_lshrrev_b32_e32 v4, 24, v4
	s_delay_alu instid0(VALU_DEP_1)
	v_and_or_b32 v8, 0x80, v4, v5
.LBB251_1360:
	s_or_b32 exec_lo, exec_lo, s1
.LBB251_1361:
	s_delay_alu instid0(SALU_CYCLE_1)
	s_or_b32 exec_lo, exec_lo, s21
                                        ; implicit-def: $vgpr4_vgpr5
.LBB251_1362:
	s_and_not1_saveexec_b32 s20, s20
	s_cbranch_execz .LBB251_1370
; %bb.1363:
	flat_load_b32 v4, v[4:5]
	s_wait_loadcnt_dscnt 0x101
	v_mov_b32_e32 v8, 0x80
	s_mov_b32 s21, exec_lo
	s_wait_loadcnt_dscnt 0x0
	v_cvt_f32_i32_e32 v4, v4
	s_delay_alu instid0(VALU_DEP_1) | instskip(NEXT) | instid1(VALU_DEP_1)
	v_and_b32_e32 v5, 0x7fffffff, v4
	v_cmpx_gt_u32_e32 0x47800000, v5
	s_cbranch_execz .LBB251_1369
; %bb.1364:
	v_cmp_lt_u32_e64 s1, 0x37ffffff, v5
	s_mov_b32 s22, 0
                                        ; implicit-def: $vgpr5
	s_and_saveexec_b32 s23, s1
	s_delay_alu instid0(SALU_CYCLE_1)
	s_xor_b32 s1, exec_lo, s23
	s_cbranch_execz .LBB251_2707
; %bb.1365:
	v_bfe_u32 v5, v4, 21, 1
	s_mov_b32 s22, exec_lo
	s_delay_alu instid0(VALU_DEP_1) | instskip(NEXT) | instid1(VALU_DEP_1)
	v_add3_u32 v5, v4, v5, 0x88fffff
	v_lshrrev_b32_e32 v5, 21, v5
	s_and_not1_saveexec_b32 s23, s1
	s_cbranch_execnz .LBB251_2708
.LBB251_1366:
	s_or_b32 exec_lo, exec_lo, s23
	v_mov_b32_e32 v8, 0
	s_and_saveexec_b32 s1, s22
.LBB251_1367:
	v_lshrrev_b32_e32 v4, 24, v4
	s_delay_alu instid0(VALU_DEP_1)
	v_and_or_b32 v8, 0x80, v4, v5
.LBB251_1368:
	s_or_b32 exec_lo, exec_lo, s1
.LBB251_1369:
	s_delay_alu instid0(SALU_CYCLE_1)
	s_or_b32 exec_lo, exec_lo, s21
.LBB251_1370:
	s_delay_alu instid0(SALU_CYCLE_1)
	s_or_b32 exec_lo, exec_lo, s20
                                        ; implicit-def: $vgpr4_vgpr5
.LBB251_1371:
	s_and_not1_saveexec_b32 s19, s19
	s_cbranch_execz .LBB251_1379
; %bb.1372:
	flat_load_i16 v4, v[4:5]
	s_wait_loadcnt_dscnt 0x101
	v_mov_b32_e32 v8, 0x80
	s_mov_b32 s20, exec_lo
	s_wait_loadcnt_dscnt 0x0
	v_cvt_f32_i32_e32 v4, v4
	s_delay_alu instid0(VALU_DEP_1) | instskip(NEXT) | instid1(VALU_DEP_1)
	v_and_b32_e32 v5, 0x7fffffff, v4
	v_cmpx_gt_u32_e32 0x47800000, v5
	s_cbranch_execz .LBB251_1378
; %bb.1373:
	v_cmp_lt_u32_e64 s1, 0x37ffffff, v5
	s_mov_b32 s21, 0
                                        ; implicit-def: $vgpr5
	s_and_saveexec_b32 s22, s1
	s_delay_alu instid0(SALU_CYCLE_1)
	s_xor_b32 s1, exec_lo, s22
	s_cbranch_execz .LBB251_2628
; %bb.1374:
	v_bfe_u32 v5, v4, 21, 1
	s_mov_b32 s21, exec_lo
	s_delay_alu instid0(VALU_DEP_1) | instskip(NEXT) | instid1(VALU_DEP_1)
	v_add3_u32 v5, v4, v5, 0x88fffff
	v_lshrrev_b32_e32 v5, 21, v5
	s_and_not1_saveexec_b32 s22, s1
	s_cbranch_execnz .LBB251_2629
.LBB251_1375:
	s_or_b32 exec_lo, exec_lo, s22
	v_mov_b32_e32 v8, 0
	s_and_saveexec_b32 s1, s21
.LBB251_1376:
	v_lshrrev_b32_e32 v4, 24, v4
	s_delay_alu instid0(VALU_DEP_1)
	v_and_or_b32 v8, 0x80, v4, v5
.LBB251_1377:
	s_or_b32 exec_lo, exec_lo, s1
.LBB251_1378:
	s_delay_alu instid0(SALU_CYCLE_1)
	s_or_b32 exec_lo, exec_lo, s20
.LBB251_1379:
	s_delay_alu instid0(SALU_CYCLE_1)
	s_or_b32 exec_lo, exec_lo, s19
                                        ; implicit-def: $vgpr18
                                        ; implicit-def: $vgpr4_vgpr5
.LBB251_1380:
	s_and_not1_saveexec_b32 s18, s18
	s_cbranch_execz .LBB251_1398
; %bb.1381:
	s_mov_b32 s19, exec_lo
                                        ; implicit-def: $vgpr8
	v_cmpx_lt_i16_e32 0, v18
	s_xor_b32 s19, exec_lo, s19
	s_cbranch_execz .LBB251_1389
; %bb.1382:
	flat_load_i8 v4, v[4:5]
	s_wait_loadcnt_dscnt 0x101
	v_mov_b32_e32 v8, 0x80
	s_mov_b32 s20, exec_lo
	s_wait_loadcnt_dscnt 0x0
	v_cvt_f32_i32_e32 v4, v4
	s_delay_alu instid0(VALU_DEP_1) | instskip(NEXT) | instid1(VALU_DEP_1)
	v_and_b32_e32 v5, 0x7fffffff, v4
	v_cmpx_gt_u32_e32 0x47800000, v5
	s_cbranch_execz .LBB251_1388
; %bb.1383:
	v_cmp_lt_u32_e64 s1, 0x37ffffff, v5
	s_mov_b32 s21, 0
                                        ; implicit-def: $vgpr5
	s_and_saveexec_b32 s22, s1
	s_delay_alu instid0(SALU_CYCLE_1)
	s_xor_b32 s1, exec_lo, s22
	s_cbranch_execz .LBB251_2630
; %bb.1384:
	v_bfe_u32 v5, v4, 21, 1
	s_mov_b32 s21, exec_lo
	s_delay_alu instid0(VALU_DEP_1) | instskip(NEXT) | instid1(VALU_DEP_1)
	v_add3_u32 v5, v4, v5, 0x88fffff
	v_lshrrev_b32_e32 v5, 21, v5
	s_and_not1_saveexec_b32 s22, s1
	s_cbranch_execnz .LBB251_2631
.LBB251_1385:
	s_or_b32 exec_lo, exec_lo, s22
	v_mov_b32_e32 v8, 0
	s_and_saveexec_b32 s1, s21
.LBB251_1386:
	v_lshrrev_b32_e32 v4, 24, v4
	s_delay_alu instid0(VALU_DEP_1)
	v_and_or_b32 v8, 0x80, v4, v5
.LBB251_1387:
	s_or_b32 exec_lo, exec_lo, s1
.LBB251_1388:
	s_delay_alu instid0(SALU_CYCLE_1)
	s_or_b32 exec_lo, exec_lo, s20
                                        ; implicit-def: $vgpr4_vgpr5
.LBB251_1389:
	s_and_not1_saveexec_b32 s19, s19
	s_cbranch_execz .LBB251_1397
; %bb.1390:
	flat_load_u8 v4, v[4:5]
	s_wait_loadcnt_dscnt 0x101
	v_mov_b32_e32 v8, 0x80
	s_mov_b32 s20, exec_lo
	s_wait_loadcnt_dscnt 0x0
	v_cvt_f32_ubyte0_e32 v5, v4
	s_delay_alu instid0(VALU_DEP_1)
	v_cmpx_gt_u32_e32 0x47800000, v5
	s_cbranch_execz .LBB251_1396
; %bb.1391:
	v_cmp_lt_u32_e64 s1, 0x37ffffff, v5
	s_mov_b32 s21, 0
                                        ; implicit-def: $vgpr4
	s_and_saveexec_b32 s22, s1
	s_delay_alu instid0(SALU_CYCLE_1)
	s_xor_b32 s1, exec_lo, s22
	s_cbranch_execz .LBB251_2632
; %bb.1392:
	v_bfe_u32 v4, v5, 21, 1
	s_mov_b32 s21, exec_lo
	s_delay_alu instid0(VALU_DEP_1) | instskip(NEXT) | instid1(VALU_DEP_1)
	v_add3_u32 v4, v5, v4, 0x88fffff
                                        ; implicit-def: $vgpr5
	v_lshrrev_b32_e32 v4, 21, v4
	s_and_not1_saveexec_b32 s22, s1
	s_cbranch_execnz .LBB251_2633
.LBB251_1393:
	s_or_b32 exec_lo, exec_lo, s22
	v_mov_b32_e32 v8, 0
	s_and_saveexec_b32 s1, s21
.LBB251_1394:
	v_mov_b32_e32 v8, v4
.LBB251_1395:
	s_or_b32 exec_lo, exec_lo, s1
.LBB251_1396:
	s_delay_alu instid0(SALU_CYCLE_1)
	s_or_b32 exec_lo, exec_lo, s20
.LBB251_1397:
	s_delay_alu instid0(SALU_CYCLE_1)
	s_or_b32 exec_lo, exec_lo, s19
.LBB251_1398:
	s_delay_alu instid0(SALU_CYCLE_1)
	s_or_b32 exec_lo, exec_lo, s18
.LBB251_1399:
	s_delay_alu instid0(SALU_CYCLE_1) | instskip(NEXT) | instid1(SALU_CYCLE_1)
	s_or_b32 exec_lo, exec_lo, s17
	s_or_b32 s14, s14, exec_lo
.LBB251_1400:
	s_or_b32 exec_lo, exec_lo, s13
	s_mov_b32 s1, 0
	s_mov_b32 s17, 0
                                        ; implicit-def: $sgpr18
                                        ; implicit-def: $vgpr12_vgpr13
                                        ; implicit-def: $vgpr7
	s_and_saveexec_b32 s13, s14
	s_cbranch_execz .LBB251_1915
; %bb.1401:
	v_add_nc_u32_e32 v4, v6, v11
	s_mov_b32 s19, 0
	s_mov_b32 s14, s12
	s_mov_b32 s17, exec_lo
	s_delay_alu instid0(VALU_DEP_1) | instskip(NEXT) | instid1(VALU_DEP_1)
	v_ashrrev_i32_e32 v5, 31, v4
	v_add_nc_u64_e32 v[2:3], v[2:3], v[4:5]
                                        ; implicit-def: $vgpr4
	v_cmpx_lt_i16_e32 10, v15
	s_xor_b32 s17, exec_lo, s17
	s_cbranch_execz .LBB251_1482
; %bb.1402:
	s_mov_b32 s14, 0
	s_mov_b32 s20, 0
	s_mov_b32 s18, exec_lo
                                        ; implicit-def: $vgpr4
	v_cmpx_lt_i16_e32 25, v15
	s_xor_b32 s18, exec_lo, s18
	s_cbranch_execz .LBB251_2361
; %bb.1403:
	s_mov_b32 s21, 0
	s_mov_b32 s19, exec_lo
                                        ; implicit-def: $vgpr4
	v_cmpx_lt_i16_e32 28, v15
	s_xor_b32 s19, exec_lo, s19
	s_cbranch_execz .LBB251_1437
; %bb.1404:
	s_mov_b32 s22, 0
	s_mov_b32 s23, 0
	s_mov_b32 s20, exec_lo
                                        ; implicit-def: $vgpr4
	v_cmpx_lt_i16_e32 43, v15
	s_xor_b32 s20, exec_lo, s20
	s_cbranch_execz .LBB251_1426
; %bb.1405:
	s_mov_b32 s23, exec_lo
                                        ; implicit-def: $vgpr4
	v_cmpx_lt_i16_e32 45, v15
	s_xor_b32 s23, exec_lo, s23
	s_cbranch_execz .LBB251_1415
; %bb.1406:
	s_mov_b32 s24, -1
	s_mov_b32 s21, exec_lo
                                        ; implicit-def: $vgpr4
	v_cmpx_eq_u16_e32 46, v15
	s_cbranch_execz .LBB251_1414
; %bb.1407:
	flat_load_b32 v4, v[2:3]
	s_mov_b32 s22, exec_lo
	s_wait_loadcnt_dscnt 0x0
	v_dual_mov_b32 v4, 0x80 :: v_dual_lshlrev_b32 v5, 16, v4
	s_delay_alu instid0(VALU_DEP_1) | instskip(SKIP_1) | instid1(VALU_DEP_1)
	v_and_b32_e32 v6, 0x7fffffff, v5
	s_wait_xcnt 0x0
	v_cmpx_gt_u32_e32 0x47800000, v6
	s_cbranch_execz .LBB251_1413
; %bb.1408:
	v_cmp_lt_u32_e64 s1, 0x37ffffff, v6
	s_mov_b32 s24, 0
                                        ; implicit-def: $vgpr6
	s_and_saveexec_b32 s25, s1
	s_delay_alu instid0(SALU_CYCLE_1)
	s_xor_b32 s1, exec_lo, s25
	s_cbranch_execz .LBB251_2798
; %bb.1409:
	v_bfe_u32 v4, v5, 21, 1
	s_mov_b32 s24, exec_lo
	s_delay_alu instid0(VALU_DEP_1) | instskip(NEXT) | instid1(VALU_DEP_1)
	v_add3_u32 v4, v5, v4, 0x88fffff
	v_lshrrev_b32_e32 v6, 21, v4
	s_and_not1_saveexec_b32 s25, s1
	s_cbranch_execnz .LBB251_2799
.LBB251_1410:
	s_or_b32 exec_lo, exec_lo, s25
	v_mov_b32_e32 v4, 0
	s_and_saveexec_b32 s1, s24
.LBB251_1411:
	v_lshrrev_b32_e32 v4, 24, v5
	s_delay_alu instid0(VALU_DEP_1)
	v_and_or_b32 v4, 0x80, v4, v6
.LBB251_1412:
	s_or_b32 exec_lo, exec_lo, s1
.LBB251_1413:
	s_delay_alu instid0(SALU_CYCLE_1) | instskip(NEXT) | instid1(SALU_CYCLE_1)
	s_or_b32 exec_lo, exec_lo, s22
	s_mov_b32 s22, exec_lo
	s_xor_b32 s24, exec_lo, -1
.LBB251_1414:
	s_or_b32 exec_lo, exec_lo, s21
	s_delay_alu instid0(SALU_CYCLE_1)
	s_and_b32 s22, s22, exec_lo
	s_and_b32 s21, s24, exec_lo
                                        ; implicit-def: $vgpr15
.LBB251_1415:
	s_and_not1_saveexec_b32 s23, s23
	s_cbranch_execz .LBB251_1425
; %bb.1416:
	s_mov_b32 s25, -1
	s_mov_b32 s26, s22
	s_mov_b32 s24, exec_lo
                                        ; implicit-def: $vgpr4
	v_cmpx_eq_u16_e32 44, v15
	s_cbranch_execz .LBB251_1424
; %bb.1417:
	flat_load_u8 v4, v[2:3]
	s_mov_b32 s26, 0
	s_mov_b32 s25, exec_lo
	s_wait_loadcnt_dscnt 0x0
	v_lshlrev_b32_e32 v5, 23, v4
	v_cmp_ne_u32_e64 s1, 0xff, v4
	s_delay_alu instid0(VALU_DEP_1) | instskip(SKIP_2) | instid1(VALU_DEP_2)
	v_cndmask_b32_e64 v5, 0x7f800001, v5, s1
	v_cmp_ne_u32_e64 s1, 0, v4
	v_mov_b32_e32 v4, 0x80
	v_cndmask_b32_e64 v6, 0x400000, v5, s1
	s_wait_xcnt 0x0
	s_delay_alu instid0(VALU_DEP_1)
	v_cmpx_gt_u32_e32 0x47800000, v6
	s_cbranch_execz .LBB251_1423
; %bb.1418:
	v_cmp_lt_u32_e64 s1, 0x37ffffff, v6
                                        ; implicit-def: $vgpr5
	s_and_saveexec_b32 s27, s1
	s_delay_alu instid0(SALU_CYCLE_1)
	s_xor_b32 s1, exec_lo, s27
	s_cbranch_execz .LBB251_2800
; %bb.1419:
	v_bfe_u32 v4, v6, 21, 1
	s_mov_b32 s26, exec_lo
	s_delay_alu instid0(VALU_DEP_1) | instskip(NEXT) | instid1(VALU_DEP_1)
	v_add3_u32 v4, v6, v4, 0x88fffff
                                        ; implicit-def: $vgpr6
	v_lshrrev_b32_e32 v5, 21, v4
	s_and_not1_saveexec_b32 s27, s1
	s_cbranch_execnz .LBB251_2801
.LBB251_1420:
	s_or_b32 exec_lo, exec_lo, s27
	v_mov_b32_e32 v4, 0
	s_and_saveexec_b32 s1, s26
.LBB251_1421:
	v_mov_b32_e32 v4, v5
.LBB251_1422:
	s_or_b32 exec_lo, exec_lo, s1
.LBB251_1423:
	s_delay_alu instid0(SALU_CYCLE_1) | instskip(NEXT) | instid1(SALU_CYCLE_1)
	s_or_b32 exec_lo, exec_lo, s25
	s_or_b32 s26, s22, exec_lo
	s_xor_b32 s25, exec_lo, -1
.LBB251_1424:
	s_or_b32 exec_lo, exec_lo, s24
	s_delay_alu instid0(SALU_CYCLE_1)
	s_and_not1_b32 s1, s22, exec_lo
	s_and_b32 s22, s26, exec_lo
	s_and_not1_b32 s21, s21, exec_lo
	s_and_b32 s24, s25, exec_lo
	s_or_b32 s22, s1, s22
	s_or_b32 s21, s21, s24
.LBB251_1425:
	s_or_b32 exec_lo, exec_lo, s23
	s_delay_alu instid0(SALU_CYCLE_1)
	s_and_b32 s23, s22, exec_lo
	s_and_b32 s22, s21, exec_lo
                                        ; implicit-def: $vgpr15
.LBB251_1426:
	s_and_not1_saveexec_b32 s20, s20
	s_cbranch_execz .LBB251_1436
; %bb.1427:
	s_mov_b32 s24, -1
	s_mov_b32 s25, s23
	s_mov_b32 s21, exec_lo
                                        ; implicit-def: $vgpr4
	v_cmpx_eq_u16_e32 29, v15
	s_cbranch_execz .LBB251_1435
; %bb.1428:
	flat_load_b64 v[4:5], v[2:3]
	s_mov_b32 s24, exec_lo
	s_wait_loadcnt_dscnt 0x0
	v_clz_i32_u32_e32 v6, v5
	s_delay_alu instid0(VALU_DEP_1) | instskip(NEXT) | instid1(VALU_DEP_1)
	v_min_u32_e32 v6, 32, v6
	v_lshlrev_b64_e32 v[4:5], v6, v[4:5]
	s_delay_alu instid0(VALU_DEP_1) | instskip(NEXT) | instid1(VALU_DEP_1)
	v_min_u32_e32 v4, 1, v4
	v_dual_sub_nc_u32 v5, 32, v6 :: v_dual_bitop2_b32 v4, v5, v4 bitop3:0x54
	s_delay_alu instid0(VALU_DEP_1) | instskip(NEXT) | instid1(VALU_DEP_1)
	v_cvt_f32_u32_e32 v4, v4
	v_ldexp_f32 v6, v4, v5
	v_mov_b32_e32 v4, 0x80
	s_wait_xcnt 0x0
	s_delay_alu instid0(VALU_DEP_2)
	v_cmpx_gt_u32_e32 0x47800000, v6
	s_cbranch_execz .LBB251_1434
; %bb.1429:
	v_cmp_lt_u32_e64 s1, 0x37ffffff, v6
	s_mov_b32 s25, 0
                                        ; implicit-def: $vgpr5
	s_and_saveexec_b32 s26, s1
	s_delay_alu instid0(SALU_CYCLE_1)
	s_xor_b32 s1, exec_lo, s26
	s_cbranch_execz .LBB251_2774
; %bb.1430:
	v_bfe_u32 v4, v6, 21, 1
	s_mov_b32 s25, exec_lo
	s_delay_alu instid0(VALU_DEP_1) | instskip(NEXT) | instid1(VALU_DEP_1)
	v_add3_u32 v4, v6, v4, 0x88fffff
                                        ; implicit-def: $vgpr6
	v_lshrrev_b32_e32 v5, 21, v4
	s_and_not1_saveexec_b32 s26, s1
	s_cbranch_execnz .LBB251_2775
.LBB251_1431:
	s_or_b32 exec_lo, exec_lo, s26
	v_mov_b32_e32 v4, 0
	s_and_saveexec_b32 s1, s25
.LBB251_1432:
	v_mov_b32_e32 v4, v5
.LBB251_1433:
	s_or_b32 exec_lo, exec_lo, s1
.LBB251_1434:
	s_delay_alu instid0(SALU_CYCLE_1) | instskip(NEXT) | instid1(SALU_CYCLE_1)
	s_or_b32 exec_lo, exec_lo, s24
	s_or_b32 s25, s23, exec_lo
	s_xor_b32 s24, exec_lo, -1
.LBB251_1435:
	s_or_b32 exec_lo, exec_lo, s21
	s_delay_alu instid0(SALU_CYCLE_1)
	s_and_not1_b32 s1, s23, exec_lo
	s_and_b32 s21, s25, exec_lo
	s_and_not1_b32 s22, s22, exec_lo
	s_and_b32 s24, s24, exec_lo
	s_or_b32 s23, s1, s21
	s_or_b32 s22, s22, s24
.LBB251_1436:
	s_or_b32 exec_lo, exec_lo, s20
	s_delay_alu instid0(SALU_CYCLE_1)
	s_and_b32 s21, s23, exec_lo
	s_and_b32 s20, s22, exec_lo
                                        ; implicit-def: $vgpr15
.LBB251_1437:
	s_and_not1_saveexec_b32 s19, s19
	s_cbranch_execz .LBB251_1471
; %bb.1438:
	s_mov_b32 s22, exec_lo
                                        ; implicit-def: $vgpr4
	v_cmpx_lt_i16_e32 26, v15
	s_xor_b32 s22, exec_lo, s22
	s_cbranch_execz .LBB251_1456
; %bb.1439:
	s_mov_b32 s23, exec_lo
                                        ; implicit-def: $vgpr4
	v_cmpx_lt_i16_e32 27, v15
	s_xor_b32 s23, exec_lo, s23
	s_cbranch_execz .LBB251_1447
; %bb.1440:
	flat_load_b32 v4, v[2:3]
	s_mov_b32 s24, exec_lo
	s_wait_loadcnt_dscnt 0x0
	v_cvt_f32_u32_e32 v6, v4
	v_mov_b32_e32 v4, 0x80
	s_wait_xcnt 0x0
	s_delay_alu instid0(VALU_DEP_2)
	v_cmpx_gt_u32_e32 0x47800000, v6
	s_cbranch_execz .LBB251_1446
; %bb.1441:
	v_cmp_lt_u32_e64 s1, 0x37ffffff, v6
	s_mov_b32 s25, 0
                                        ; implicit-def: $vgpr5
	s_and_saveexec_b32 s26, s1
	s_delay_alu instid0(SALU_CYCLE_1)
	s_xor_b32 s1, exec_lo, s26
	s_cbranch_execz .LBB251_2776
; %bb.1442:
	v_bfe_u32 v4, v6, 21, 1
	s_mov_b32 s25, exec_lo
	s_delay_alu instid0(VALU_DEP_1) | instskip(NEXT) | instid1(VALU_DEP_1)
	v_add3_u32 v4, v6, v4, 0x88fffff
                                        ; implicit-def: $vgpr6
	v_lshrrev_b32_e32 v5, 21, v4
	s_and_not1_saveexec_b32 s26, s1
	s_cbranch_execnz .LBB251_2777
.LBB251_1443:
	s_or_b32 exec_lo, exec_lo, s26
	v_mov_b32_e32 v4, 0
	s_and_saveexec_b32 s1, s25
.LBB251_1444:
	v_mov_b32_e32 v4, v5
.LBB251_1445:
	s_or_b32 exec_lo, exec_lo, s1
.LBB251_1446:
	s_delay_alu instid0(SALU_CYCLE_1)
	s_or_b32 exec_lo, exec_lo, s24
.LBB251_1447:
	s_and_not1_saveexec_b32 s23, s23
	s_cbranch_execz .LBB251_1455
; %bb.1448:
	flat_load_u16 v4, v[2:3]
	s_mov_b32 s24, exec_lo
	s_wait_loadcnt_dscnt 0x0
	v_cvt_f32_u32_e32 v6, v4
	v_mov_b32_e32 v4, 0x80
	s_wait_xcnt 0x0
	s_delay_alu instid0(VALU_DEP_2)
	v_cmpx_gt_u32_e32 0x47800000, v6
	s_cbranch_execz .LBB251_1454
; %bb.1449:
	v_cmp_lt_u32_e64 s1, 0x37ffffff, v6
	s_mov_b32 s25, 0
                                        ; implicit-def: $vgpr5
	s_and_saveexec_b32 s26, s1
	s_delay_alu instid0(SALU_CYCLE_1)
	s_xor_b32 s1, exec_lo, s26
	s_cbranch_execz .LBB251_2778
; %bb.1450:
	v_bfe_u32 v4, v6, 21, 1
	s_mov_b32 s25, exec_lo
	s_delay_alu instid0(VALU_DEP_1) | instskip(NEXT) | instid1(VALU_DEP_1)
	v_add3_u32 v4, v6, v4, 0x88fffff
                                        ; implicit-def: $vgpr6
	v_lshrrev_b32_e32 v5, 21, v4
	s_and_not1_saveexec_b32 s26, s1
	s_cbranch_execnz .LBB251_2779
.LBB251_1451:
	s_or_b32 exec_lo, exec_lo, s26
	v_mov_b32_e32 v4, 0
	s_and_saveexec_b32 s1, s25
.LBB251_1452:
	v_mov_b32_e32 v4, v5
.LBB251_1453:
	s_or_b32 exec_lo, exec_lo, s1
.LBB251_1454:
	s_delay_alu instid0(SALU_CYCLE_1)
	s_or_b32 exec_lo, exec_lo, s24
.LBB251_1455:
	s_delay_alu instid0(SALU_CYCLE_1)
	s_or_b32 exec_lo, exec_lo, s23
.LBB251_1456:
	s_and_not1_saveexec_b32 s22, s22
	s_cbranch_execz .LBB251_1470
; %bb.1457:
	flat_load_u8 v4, v[2:3]
	s_mov_b32 s23, 0
	s_mov_b32 s24, exec_lo
	s_wait_loadcnt_dscnt 0x0
	v_cmpx_lt_i16_e32 0x7f, v4
	s_xor_b32 s24, exec_lo, s24
	s_cbranch_execz .LBB251_2634
; %bb.1458:
	s_mov_b32 s23, -1
	s_mov_b32 s25, exec_lo
	v_cmpx_eq_u16_e32 0x80, v4
; %bb.1459:
	s_xor_b32 s23, exec_lo, -1
; %bb.1460:
	s_or_b32 exec_lo, exec_lo, s25
	s_delay_alu instid0(SALU_CYCLE_1)
	s_and_b32 s23, s23, exec_lo
	s_or_saveexec_b32 s24, s24
	v_mov_b32_e32 v5, 0x7f800001
	s_xor_b32 exec_lo, exec_lo, s24
	s_cbranch_execnz .LBB251_2635
.LBB251_1461:
	s_or_b32 exec_lo, exec_lo, s24
	s_and_saveexec_b32 s24, s23
	s_cbranch_execz .LBB251_1463
.LBB251_1462:
	v_and_b32_e32 v5, 0xffff, v4
	s_delay_alu instid0(VALU_DEP_1) | instskip(SKIP_1) | instid1(VALU_DEP_2)
	v_and_b32_e32 v6, 7, v5
	v_bfe_u32 v10, v5, 3, 4
	v_clz_i32_u32_e32 v7, v6
	s_delay_alu instid0(VALU_DEP_2) | instskip(NEXT) | instid1(VALU_DEP_2)
	v_cmp_eq_u32_e64 s1, 0, v10
	v_min_u32_e32 v7, 32, v7
	s_delay_alu instid0(VALU_DEP_1) | instskip(NEXT) | instid1(VALU_DEP_1)
	v_subrev_nc_u32_e32 v9, 28, v7
	v_dual_lshlrev_b32 v5, v9, v5 :: v_dual_sub_nc_u32 v7, 29, v7
	s_delay_alu instid0(VALU_DEP_1) | instskip(NEXT) | instid1(VALU_DEP_2)
	v_dual_lshlrev_b32 v4, 24, v4 :: v_dual_bitop2_b32 v5, 7, v5 bitop3:0x40
	v_cndmask_b32_e64 v7, v10, v7, s1
	s_delay_alu instid0(VALU_DEP_2) | instskip(NEXT) | instid1(VALU_DEP_3)
	v_cndmask_b32_e64 v5, v6, v5, s1
	v_and_b32_e32 v4, 0x80000000, v4
	s_delay_alu instid0(VALU_DEP_3) | instskip(NEXT) | instid1(VALU_DEP_3)
	v_lshl_add_u32 v6, v7, 23, 0x3b800000
	v_lshlrev_b32_e32 v5, 20, v5
	s_delay_alu instid0(VALU_DEP_1)
	v_or3_b32 v5, v4, v6, v5
.LBB251_1463:
	s_or_b32 exec_lo, exec_lo, s24
	s_delay_alu instid0(VALU_DEP_1) | instskip(SKIP_2) | instid1(VALU_DEP_2)
	v_and_b32_e32 v6, 0x7fffffff, v5
	v_mov_b32_e32 v4, 0x80
	s_mov_b32 s23, exec_lo
	v_cmpx_gt_u32_e32 0x47800000, v6
	s_cbranch_execz .LBB251_1469
; %bb.1464:
	v_cmp_lt_u32_e64 s1, 0x37ffffff, v6
	s_mov_b32 s24, 0
                                        ; implicit-def: $vgpr6
	s_and_saveexec_b32 s25, s1
	s_delay_alu instid0(SALU_CYCLE_1)
	s_xor_b32 s1, exec_lo, s25
	s_cbranch_execz .LBB251_2709
; %bb.1465:
	v_bfe_u32 v4, v5, 21, 1
	s_mov_b32 s24, exec_lo
	s_delay_alu instid0(VALU_DEP_1) | instskip(NEXT) | instid1(VALU_DEP_1)
	v_add3_u32 v4, v5, v4, 0x88fffff
	v_lshrrev_b32_e32 v6, 21, v4
	s_and_not1_saveexec_b32 s25, s1
	s_cbranch_execnz .LBB251_2710
.LBB251_1466:
	s_or_b32 exec_lo, exec_lo, s25
	v_mov_b32_e32 v4, 0
	s_and_saveexec_b32 s1, s24
.LBB251_1467:
	v_lshrrev_b32_e32 v4, 24, v5
	s_delay_alu instid0(VALU_DEP_1)
	v_and_or_b32 v4, 0x80, v4, v6
.LBB251_1468:
	s_or_b32 exec_lo, exec_lo, s1
.LBB251_1469:
	s_delay_alu instid0(SALU_CYCLE_1)
	s_or_b32 exec_lo, exec_lo, s23
.LBB251_1470:
	s_delay_alu instid0(SALU_CYCLE_1) | instskip(NEXT) | instid1(SALU_CYCLE_1)
	s_or_b32 exec_lo, exec_lo, s22
	s_or_b32 s21, s21, exec_lo
.LBB251_1471:
	s_or_b32 exec_lo, exec_lo, s19
	s_delay_alu instid0(SALU_CYCLE_1)
	s_and_b32 s19, s21, exec_lo
	s_and_b32 s20, s20, exec_lo
                                        ; implicit-def: $vgpr15
	s_and_not1_saveexec_b32 s18, s18
	s_cbranch_execnz .LBB251_2362
.LBB251_1472:
	s_or_b32 exec_lo, exec_lo, s18
	s_mov_b32 s18, s12
	s_and_saveexec_b32 s1, s20
	s_cbranch_execnz .LBB251_2399
.LBB251_1473:
	s_or_b32 exec_lo, exec_lo, s1
	s_and_saveexec_b32 s1, s14
	s_delay_alu instid0(SALU_CYCLE_1)
	s_xor_b32 s14, exec_lo, s1
	s_cbranch_execz .LBB251_1481
.LBB251_1474:
	flat_load_u8 v2, v[2:3]
	s_wait_loadcnt_dscnt 0x101
	v_mov_b32_e32 v4, 0x80
	s_mov_b32 s21, 0
	s_mov_b32 s20, exec_lo
	s_wait_loadcnt_dscnt 0x0
	v_cmp_ne_u16_e64 s1, 0, v2
	s_wait_xcnt 0x0
	s_delay_alu instid0(VALU_DEP_1) | instskip(NEXT) | instid1(VALU_DEP_1)
	v_cndmask_b32_e64 v3, 0, 1.0, s1
	v_cmpx_gt_u32_e32 0x47800000, v3
	s_cbranch_execz .LBB251_1480
; %bb.1475:
	v_cmp_lt_u32_e64 s1, 0x37ffffff, v3
                                        ; implicit-def: $vgpr2
	s_and_saveexec_b32 s22, s1
	s_delay_alu instid0(SALU_CYCLE_1)
	s_xor_b32 s1, exec_lo, s22
	s_cbranch_execz .LBB251_2545
; %bb.1476:
	v_bfe_u32 v2, v3, 21, 1
	s_mov_b32 s21, exec_lo
	s_delay_alu instid0(VALU_DEP_1) | instskip(NEXT) | instid1(VALU_DEP_1)
	v_add3_u32 v2, v3, v2, 0x88fffff
                                        ; implicit-def: $vgpr3
	v_lshrrev_b32_e32 v2, 21, v2
	s_and_not1_saveexec_b32 s22, s1
	s_cbranch_execnz .LBB251_2546
.LBB251_1477:
	s_or_b32 exec_lo, exec_lo, s22
	v_mov_b32_e32 v4, 0
	s_and_saveexec_b32 s1, s21
.LBB251_1478:
	v_mov_b32_e32 v4, v2
.LBB251_1479:
	s_or_b32 exec_lo, exec_lo, s1
.LBB251_1480:
	s_delay_alu instid0(SALU_CYCLE_1) | instskip(NEXT) | instid1(SALU_CYCLE_1)
	s_or_b32 exec_lo, exec_lo, s20
	s_or_b32 s19, s19, exec_lo
.LBB251_1481:
	s_or_b32 exec_lo, exec_lo, s14
	s_delay_alu instid0(SALU_CYCLE_1)
	s_and_not1_b32 s1, s12, exec_lo
	s_and_b32 s14, s18, exec_lo
	s_and_b32 s19, s19, exec_lo
	s_or_b32 s14, s1, s14
                                        ; implicit-def: $vgpr15
                                        ; implicit-def: $vgpr2_vgpr3
.LBB251_1482:
	s_and_not1_saveexec_b32 s17, s17
	s_cbranch_execz .LBB251_1590
; %bb.1483:
	s_mov_b32 s18, exec_lo
                                        ; implicit-def: $vgpr4
	v_cmpx_lt_i16_e32 4, v15
	s_xor_b32 s18, exec_lo, s18
	s_cbranch_execz .LBB251_1541
; %bb.1484:
	s_mov_b32 s20, exec_lo
                                        ; implicit-def: $vgpr4
	v_cmpx_lt_i16_e32 7, v15
	s_xor_b32 s20, exec_lo, s20
	;; [unrolled: 6-line block ×4, first 2 shown]
	s_cbranch_execz .LBB251_1494
; %bb.1487:
	flat_load_b64 v[2:3], v[2:3]
	s_wait_loadcnt_dscnt 0x101
	v_mov_b32_e32 v4, 0x80
	s_mov_b32 s23, exec_lo
	s_wait_loadcnt_dscnt 0x0
	v_cvt_f32_f64_e32 v2, v[2:3]
	s_delay_alu instid0(VALU_DEP_1) | instskip(NEXT) | instid1(VALU_DEP_1)
	v_and_b32_e32 v3, 0x7fffffff, v2
	v_cmpx_gt_u32_e32 0x47800000, v3
	s_cbranch_execz .LBB251_1493
; %bb.1488:
	v_cmp_lt_u32_e64 s1, 0x37ffffff, v3
	s_mov_b32 s24, 0
                                        ; implicit-def: $vgpr3
	s_and_saveexec_b32 s25, s1
	s_delay_alu instid0(SALU_CYCLE_1)
	s_xor_b32 s1, exec_lo, s25
	s_cbranch_execz .LBB251_2780
; %bb.1489:
	v_bfe_u32 v3, v2, 21, 1
	s_mov_b32 s24, exec_lo
	s_delay_alu instid0(VALU_DEP_1) | instskip(NEXT) | instid1(VALU_DEP_1)
	v_add3_u32 v3, v2, v3, 0x88fffff
	v_lshrrev_b32_e32 v3, 21, v3
	s_and_not1_saveexec_b32 s25, s1
	s_cbranch_execnz .LBB251_2781
.LBB251_1490:
	s_or_b32 exec_lo, exec_lo, s25
	v_mov_b32_e32 v4, 0
	s_and_saveexec_b32 s1, s24
.LBB251_1491:
	v_lshrrev_b32_e32 v2, 24, v2
	s_delay_alu instid0(VALU_DEP_1)
	v_and_or_b32 v4, 0x80, v2, v3
.LBB251_1492:
	s_or_b32 exec_lo, exec_lo, s1
.LBB251_1493:
	s_delay_alu instid0(SALU_CYCLE_1)
	s_or_b32 exec_lo, exec_lo, s23
                                        ; implicit-def: $vgpr2_vgpr3
.LBB251_1494:
	s_and_not1_saveexec_b32 s22, s22
	s_cbranch_execz .LBB251_1502
; %bb.1495:
	flat_load_b32 v2, v[2:3]
	s_wait_loadcnt_dscnt 0x101
	v_mov_b32_e32 v4, 0x80
	s_mov_b32 s23, exec_lo
	s_wait_loadcnt_dscnt 0x0
	v_and_b32_e32 v3, 0x7fffffff, v2
	s_delay_alu instid0(VALU_DEP_1)
	v_cmpx_gt_u32_e32 0x47800000, v3
	s_cbranch_execz .LBB251_1501
; %bb.1496:
	v_cmp_lt_u32_e64 s1, 0x37ffffff, v3
	s_mov_b32 s24, 0
                                        ; implicit-def: $vgpr3
	s_and_saveexec_b32 s25, s1
	s_delay_alu instid0(SALU_CYCLE_1)
	s_xor_b32 s1, exec_lo, s25
	s_cbranch_execz .LBB251_2782
; %bb.1497:
	v_bfe_u32 v3, v2, 21, 1
	s_mov_b32 s24, exec_lo
	s_delay_alu instid0(VALU_DEP_1) | instskip(NEXT) | instid1(VALU_DEP_1)
	v_add3_u32 v3, v2, v3, 0x88fffff
	v_lshrrev_b32_e32 v3, 21, v3
	s_and_not1_saveexec_b32 s25, s1
	s_cbranch_execnz .LBB251_2783
.LBB251_1498:
	s_or_b32 exec_lo, exec_lo, s25
	v_mov_b32_e32 v4, 0
	s_and_saveexec_b32 s1, s24
.LBB251_1499:
	v_lshrrev_b32_e32 v2, 24, v2
	s_delay_alu instid0(VALU_DEP_1)
	v_and_or_b32 v4, 0x80, v2, v3
.LBB251_1500:
	s_or_b32 exec_lo, exec_lo, s1
.LBB251_1501:
	s_delay_alu instid0(SALU_CYCLE_1)
	s_or_b32 exec_lo, exec_lo, s23
.LBB251_1502:
	s_delay_alu instid0(SALU_CYCLE_1)
	s_or_b32 exec_lo, exec_lo, s22
                                        ; implicit-def: $vgpr2_vgpr3
.LBB251_1503:
	s_and_not1_saveexec_b32 s21, s21
	s_cbranch_execz .LBB251_1511
; %bb.1504:
	flat_load_b32 v2, v[2:3]
	s_wait_loadcnt_dscnt 0x101
	v_mov_b32_e32 v4, 0x80
	s_mov_b32 s22, exec_lo
	s_wait_loadcnt_dscnt 0x0
	v_cvt_f32_f16_e32 v2, v2
	s_delay_alu instid0(VALU_DEP_1) | instskip(NEXT) | instid1(VALU_DEP_1)
	v_and_b32_e32 v3, 0x7fffffff, v2
	v_cmpx_gt_u32_e32 0x47800000, v3
	s_cbranch_execz .LBB251_1510
; %bb.1505:
	v_cmp_lt_u32_e64 s1, 0x37ffffff, v3
	s_mov_b32 s23, 0
                                        ; implicit-def: $vgpr3
	s_and_saveexec_b32 s24, s1
	s_delay_alu instid0(SALU_CYCLE_1)
	s_xor_b32 s1, exec_lo, s24
	s_cbranch_execz .LBB251_2711
; %bb.1506:
	v_bfe_u32 v3, v2, 21, 1
	s_mov_b32 s23, exec_lo
	s_delay_alu instid0(VALU_DEP_1) | instskip(NEXT) | instid1(VALU_DEP_1)
	v_add3_u32 v3, v2, v3, 0x88fffff
	v_lshrrev_b32_e32 v3, 21, v3
	s_and_not1_saveexec_b32 s24, s1
	s_cbranch_execnz .LBB251_2712
.LBB251_1507:
	s_or_b32 exec_lo, exec_lo, s24
	v_mov_b32_e32 v4, 0
	s_and_saveexec_b32 s1, s23
.LBB251_1508:
	v_lshrrev_b32_e32 v2, 24, v2
	s_delay_alu instid0(VALU_DEP_1)
	v_and_or_b32 v4, 0x80, v2, v3
.LBB251_1509:
	s_or_b32 exec_lo, exec_lo, s1
.LBB251_1510:
	s_delay_alu instid0(SALU_CYCLE_1)
	s_or_b32 exec_lo, exec_lo, s22
.LBB251_1511:
	s_delay_alu instid0(SALU_CYCLE_1)
	s_or_b32 exec_lo, exec_lo, s21
                                        ; implicit-def: $vgpr15
                                        ; implicit-def: $vgpr2_vgpr3
.LBB251_1512:
	s_and_not1_saveexec_b32 s20, s20
	s_cbranch_execz .LBB251_1540
; %bb.1513:
	s_mov_b32 s21, exec_lo
                                        ; implicit-def: $vgpr4
	v_cmpx_lt_i16_e32 5, v15
	s_xor_b32 s21, exec_lo, s21
	s_cbranch_execz .LBB251_1531
; %bb.1514:
	s_mov_b32 s22, exec_lo
                                        ; implicit-def: $vgpr4
	v_cmpx_lt_i16_e32 6, v15
	s_xor_b32 s22, exec_lo, s22
	s_cbranch_execz .LBB251_1522
; %bb.1515:
	flat_load_b64 v[2:3], v[2:3]
	s_wait_loadcnt_dscnt 0x101
	v_mov_b32_e32 v4, 0x80
	s_mov_b32 s23, exec_lo
	s_wait_loadcnt_dscnt 0x0
	v_cvt_f32_f64_e32 v2, v[2:3]
	s_delay_alu instid0(VALU_DEP_1) | instskip(NEXT) | instid1(VALU_DEP_1)
	v_and_b32_e32 v3, 0x7fffffff, v2
	v_cmpx_gt_u32_e32 0x47800000, v3
	s_cbranch_execz .LBB251_1521
; %bb.1516:
	v_cmp_lt_u32_e64 s1, 0x37ffffff, v3
	s_mov_b32 s24, 0
                                        ; implicit-def: $vgpr3
	s_and_saveexec_b32 s25, s1
	s_delay_alu instid0(SALU_CYCLE_1)
	s_xor_b32 s1, exec_lo, s25
	s_cbranch_execz .LBB251_2784
; %bb.1517:
	v_bfe_u32 v3, v2, 21, 1
	s_mov_b32 s24, exec_lo
	s_delay_alu instid0(VALU_DEP_1) | instskip(NEXT) | instid1(VALU_DEP_1)
	v_add3_u32 v3, v2, v3, 0x88fffff
	v_lshrrev_b32_e32 v3, 21, v3
	s_and_not1_saveexec_b32 s25, s1
	s_cbranch_execnz .LBB251_2785
.LBB251_1518:
	s_or_b32 exec_lo, exec_lo, s25
	v_mov_b32_e32 v4, 0
	s_and_saveexec_b32 s1, s24
.LBB251_1519:
	v_lshrrev_b32_e32 v2, 24, v2
	s_delay_alu instid0(VALU_DEP_1)
	v_and_or_b32 v4, 0x80, v2, v3
.LBB251_1520:
	s_or_b32 exec_lo, exec_lo, s1
.LBB251_1521:
	s_delay_alu instid0(SALU_CYCLE_1)
	s_or_b32 exec_lo, exec_lo, s23
                                        ; implicit-def: $vgpr2_vgpr3
.LBB251_1522:
	s_and_not1_saveexec_b32 s22, s22
	s_cbranch_execz .LBB251_1530
; %bb.1523:
	flat_load_b32 v2, v[2:3]
	s_wait_loadcnt_dscnt 0x101
	v_mov_b32_e32 v4, 0x80
	s_mov_b32 s23, exec_lo
	s_wait_loadcnt_dscnt 0x0
	v_and_b32_e32 v3, 0x7fffffff, v2
	s_delay_alu instid0(VALU_DEP_1)
	v_cmpx_gt_u32_e32 0x47800000, v3
	s_cbranch_execz .LBB251_1529
; %bb.1524:
	v_cmp_lt_u32_e64 s1, 0x37ffffff, v3
	s_mov_b32 s24, 0
                                        ; implicit-def: $vgpr3
	s_and_saveexec_b32 s25, s1
	s_delay_alu instid0(SALU_CYCLE_1)
	s_xor_b32 s1, exec_lo, s25
	s_cbranch_execz .LBB251_2786
; %bb.1525:
	v_bfe_u32 v3, v2, 21, 1
	s_mov_b32 s24, exec_lo
	s_delay_alu instid0(VALU_DEP_1) | instskip(NEXT) | instid1(VALU_DEP_1)
	v_add3_u32 v3, v2, v3, 0x88fffff
	v_lshrrev_b32_e32 v3, 21, v3
	s_and_not1_saveexec_b32 s25, s1
	s_cbranch_execnz .LBB251_2787
.LBB251_1526:
	s_or_b32 exec_lo, exec_lo, s25
	v_mov_b32_e32 v4, 0
	s_and_saveexec_b32 s1, s24
.LBB251_1527:
	v_lshrrev_b32_e32 v2, 24, v2
	s_delay_alu instid0(VALU_DEP_1)
	v_and_or_b32 v4, 0x80, v2, v3
.LBB251_1528:
	s_or_b32 exec_lo, exec_lo, s1
.LBB251_1529:
	s_delay_alu instid0(SALU_CYCLE_1)
	s_or_b32 exec_lo, exec_lo, s23
.LBB251_1530:
	s_delay_alu instid0(SALU_CYCLE_1)
	s_or_b32 exec_lo, exec_lo, s22
                                        ; implicit-def: $vgpr2_vgpr3
.LBB251_1531:
	s_and_not1_saveexec_b32 s21, s21
	s_cbranch_execz .LBB251_1539
; %bb.1532:
	flat_load_u16 v2, v[2:3]
	s_wait_loadcnt_dscnt 0x101
	v_mov_b32_e32 v4, 0x80
	s_mov_b32 s22, exec_lo
	s_wait_loadcnt_dscnt 0x0
	v_cvt_f32_f16_e32 v2, v2
	s_delay_alu instid0(VALU_DEP_1) | instskip(NEXT) | instid1(VALU_DEP_1)
	v_and_b32_e32 v3, 0x7fffffff, v2
	v_cmpx_gt_u32_e32 0x47800000, v3
	s_cbranch_execz .LBB251_1538
; %bb.1533:
	v_cmp_lt_u32_e64 s1, 0x37ffffff, v3
	s_mov_b32 s23, 0
                                        ; implicit-def: $vgpr3
	s_and_saveexec_b32 s24, s1
	s_delay_alu instid0(SALU_CYCLE_1)
	s_xor_b32 s1, exec_lo, s24
	s_cbranch_execz .LBB251_2713
; %bb.1534:
	v_bfe_u32 v3, v2, 21, 1
	s_mov_b32 s23, exec_lo
	s_delay_alu instid0(VALU_DEP_1) | instskip(NEXT) | instid1(VALU_DEP_1)
	v_add3_u32 v3, v2, v3, 0x88fffff
	v_lshrrev_b32_e32 v3, 21, v3
	s_and_not1_saveexec_b32 s24, s1
	s_cbranch_execnz .LBB251_2714
.LBB251_1535:
	s_or_b32 exec_lo, exec_lo, s24
	v_mov_b32_e32 v4, 0
	s_and_saveexec_b32 s1, s23
.LBB251_1536:
	v_lshrrev_b32_e32 v2, 24, v2
	s_delay_alu instid0(VALU_DEP_1)
	v_and_or_b32 v4, 0x80, v2, v3
.LBB251_1537:
	s_or_b32 exec_lo, exec_lo, s1
.LBB251_1538:
	s_delay_alu instid0(SALU_CYCLE_1)
	s_or_b32 exec_lo, exec_lo, s22
.LBB251_1539:
	s_delay_alu instid0(SALU_CYCLE_1)
	s_or_b32 exec_lo, exec_lo, s21
.LBB251_1540:
	s_delay_alu instid0(SALU_CYCLE_1)
	s_or_b32 exec_lo, exec_lo, s20
                                        ; implicit-def: $vgpr15
                                        ; implicit-def: $vgpr2_vgpr3
.LBB251_1541:
	s_and_not1_saveexec_b32 s18, s18
	s_cbranch_execz .LBB251_1589
; %bb.1542:
	s_mov_b32 s20, exec_lo
                                        ; implicit-def: $vgpr4
	v_cmpx_lt_i16_e32 1, v15
	s_xor_b32 s20, exec_lo, s20
	s_cbranch_execz .LBB251_1570
; %bb.1543:
	s_mov_b32 s21, exec_lo
                                        ; implicit-def: $vgpr4
	v_cmpx_lt_i16_e32 2, v15
	s_xor_b32 s21, exec_lo, s21
	s_cbranch_execz .LBB251_1561
; %bb.1544:
	s_mov_b32 s22, exec_lo
                                        ; implicit-def: $vgpr4
	v_cmpx_lt_i16_e32 3, v15
	s_xor_b32 s22, exec_lo, s22
	s_cbranch_execz .LBB251_1552
; %bb.1545:
	flat_load_b64 v[2:3], v[2:3]
	s_mov_b32 s23, exec_lo
	s_wait_loadcnt_dscnt 0x0
	v_xor_b32_e32 v4, v2, v3
	v_cls_i32_e32 v5, v3
	s_delay_alu instid0(VALU_DEP_2) | instskip(NEXT) | instid1(VALU_DEP_1)
	v_ashrrev_i32_e32 v4, 31, v4
	v_add_nc_u32_e32 v4, 32, v4
	s_delay_alu instid0(VALU_DEP_1) | instskip(SKIP_1) | instid1(VALU_DEP_1)
	v_add_min_u32_e64 v4, v5, -1, v4
	s_wait_xcnt 0x0
	v_lshlrev_b64_e32 v[2:3], v4, v[2:3]
	s_delay_alu instid0(VALU_DEP_1) | instskip(NEXT) | instid1(VALU_DEP_1)
	v_min_u32_e32 v2, 1, v2
	v_dual_sub_nc_u32 v3, 32, v4 :: v_dual_bitop2_b32 v2, v3, v2 bitop3:0x54
	v_mov_b32_e32 v4, 0x80
	s_delay_alu instid0(VALU_DEP_2) | instskip(NEXT) | instid1(VALU_DEP_1)
	v_cvt_f32_i32_e32 v2, v2
	v_ldexp_f32 v2, v2, v3
	s_delay_alu instid0(VALU_DEP_1) | instskip(NEXT) | instid1(VALU_DEP_1)
	v_and_b32_e32 v3, 0x7fffffff, v2
	v_cmpx_gt_u32_e32 0x47800000, v3
	s_cbranch_execz .LBB251_1551
; %bb.1546:
	v_cmp_lt_u32_e64 s1, 0x37ffffff, v3
	s_mov_b32 s24, 0
                                        ; implicit-def: $vgpr3
	s_and_saveexec_b32 s25, s1
	s_delay_alu instid0(SALU_CYCLE_1)
	s_xor_b32 s1, exec_lo, s25
	s_cbranch_execz .LBB251_2788
; %bb.1547:
	v_bfe_u32 v3, v2, 21, 1
	s_mov_b32 s24, exec_lo
	s_delay_alu instid0(VALU_DEP_1) | instskip(NEXT) | instid1(VALU_DEP_1)
	v_add3_u32 v3, v2, v3, 0x88fffff
	v_lshrrev_b32_e32 v3, 21, v3
	s_and_not1_saveexec_b32 s25, s1
	s_cbranch_execnz .LBB251_2789
.LBB251_1548:
	s_or_b32 exec_lo, exec_lo, s25
	v_mov_b32_e32 v4, 0
	s_and_saveexec_b32 s1, s24
.LBB251_1549:
	v_lshrrev_b32_e32 v2, 24, v2
	s_delay_alu instid0(VALU_DEP_1)
	v_and_or_b32 v4, 0x80, v2, v3
.LBB251_1550:
	s_or_b32 exec_lo, exec_lo, s1
.LBB251_1551:
	s_delay_alu instid0(SALU_CYCLE_1)
	s_or_b32 exec_lo, exec_lo, s23
                                        ; implicit-def: $vgpr2_vgpr3
.LBB251_1552:
	s_and_not1_saveexec_b32 s22, s22
	s_cbranch_execz .LBB251_1560
; %bb.1553:
	flat_load_b32 v2, v[2:3]
	s_wait_loadcnt_dscnt 0x101
	v_mov_b32_e32 v4, 0x80
	s_mov_b32 s23, exec_lo
	s_wait_loadcnt_dscnt 0x0
	v_cvt_f32_i32_e32 v2, v2
	s_delay_alu instid0(VALU_DEP_1) | instskip(NEXT) | instid1(VALU_DEP_1)
	v_and_b32_e32 v3, 0x7fffffff, v2
	v_cmpx_gt_u32_e32 0x47800000, v3
	s_cbranch_execz .LBB251_1559
; %bb.1554:
	v_cmp_lt_u32_e64 s1, 0x37ffffff, v3
	s_mov_b32 s24, 0
                                        ; implicit-def: $vgpr3
	s_and_saveexec_b32 s25, s1
	s_delay_alu instid0(SALU_CYCLE_1)
	s_xor_b32 s1, exec_lo, s25
	s_cbranch_execz .LBB251_2790
; %bb.1555:
	v_bfe_u32 v3, v2, 21, 1
	s_mov_b32 s24, exec_lo
	s_delay_alu instid0(VALU_DEP_1) | instskip(NEXT) | instid1(VALU_DEP_1)
	v_add3_u32 v3, v2, v3, 0x88fffff
	v_lshrrev_b32_e32 v3, 21, v3
	s_and_not1_saveexec_b32 s25, s1
	s_cbranch_execnz .LBB251_2791
.LBB251_1556:
	s_or_b32 exec_lo, exec_lo, s25
	v_mov_b32_e32 v4, 0
	s_and_saveexec_b32 s1, s24
.LBB251_1557:
	v_lshrrev_b32_e32 v2, 24, v2
	s_delay_alu instid0(VALU_DEP_1)
	v_and_or_b32 v4, 0x80, v2, v3
.LBB251_1558:
	s_or_b32 exec_lo, exec_lo, s1
.LBB251_1559:
	s_delay_alu instid0(SALU_CYCLE_1)
	s_or_b32 exec_lo, exec_lo, s23
.LBB251_1560:
	s_delay_alu instid0(SALU_CYCLE_1)
	s_or_b32 exec_lo, exec_lo, s22
                                        ; implicit-def: $vgpr2_vgpr3
.LBB251_1561:
	s_and_not1_saveexec_b32 s21, s21
	s_cbranch_execz .LBB251_1569
; %bb.1562:
	flat_load_i16 v2, v[2:3]
	s_wait_loadcnt_dscnt 0x101
	v_mov_b32_e32 v4, 0x80
	s_mov_b32 s22, exec_lo
	s_wait_loadcnt_dscnt 0x0
	v_cvt_f32_i32_e32 v2, v2
	s_delay_alu instid0(VALU_DEP_1) | instskip(NEXT) | instid1(VALU_DEP_1)
	v_and_b32_e32 v3, 0x7fffffff, v2
	v_cmpx_gt_u32_e32 0x47800000, v3
	s_cbranch_execz .LBB251_1568
; %bb.1563:
	v_cmp_lt_u32_e64 s1, 0x37ffffff, v3
	s_mov_b32 s23, 0
                                        ; implicit-def: $vgpr3
	s_and_saveexec_b32 s24, s1
	s_delay_alu instid0(SALU_CYCLE_1)
	s_xor_b32 s1, exec_lo, s24
	s_cbranch_execz .LBB251_2715
; %bb.1564:
	v_bfe_u32 v3, v2, 21, 1
	s_mov_b32 s23, exec_lo
	s_delay_alu instid0(VALU_DEP_1) | instskip(NEXT) | instid1(VALU_DEP_1)
	v_add3_u32 v3, v2, v3, 0x88fffff
	v_lshrrev_b32_e32 v3, 21, v3
	s_and_not1_saveexec_b32 s24, s1
	s_cbranch_execnz .LBB251_2716
.LBB251_1565:
	s_or_b32 exec_lo, exec_lo, s24
	v_mov_b32_e32 v4, 0
	s_and_saveexec_b32 s1, s23
.LBB251_1566:
	v_lshrrev_b32_e32 v2, 24, v2
	s_delay_alu instid0(VALU_DEP_1)
	v_and_or_b32 v4, 0x80, v2, v3
.LBB251_1567:
	s_or_b32 exec_lo, exec_lo, s1
.LBB251_1568:
	s_delay_alu instid0(SALU_CYCLE_1)
	s_or_b32 exec_lo, exec_lo, s22
.LBB251_1569:
	s_delay_alu instid0(SALU_CYCLE_1)
	s_or_b32 exec_lo, exec_lo, s21
                                        ; implicit-def: $vgpr15
                                        ; implicit-def: $vgpr2_vgpr3
.LBB251_1570:
	s_and_not1_saveexec_b32 s20, s20
	s_cbranch_execz .LBB251_1588
; %bb.1571:
	s_mov_b32 s21, exec_lo
                                        ; implicit-def: $vgpr4
	v_cmpx_lt_i16_e32 0, v15
	s_xor_b32 s21, exec_lo, s21
	s_cbranch_execz .LBB251_1579
; %bb.1572:
	flat_load_i8 v2, v[2:3]
	s_wait_loadcnt_dscnt 0x101
	v_mov_b32_e32 v4, 0x80
	s_mov_b32 s22, exec_lo
	s_wait_loadcnt_dscnt 0x0
	v_cvt_f32_i32_e32 v2, v2
	s_delay_alu instid0(VALU_DEP_1) | instskip(NEXT) | instid1(VALU_DEP_1)
	v_and_b32_e32 v3, 0x7fffffff, v2
	v_cmpx_gt_u32_e32 0x47800000, v3
	s_cbranch_execz .LBB251_1578
; %bb.1573:
	v_cmp_lt_u32_e64 s1, 0x37ffffff, v3
	s_mov_b32 s23, 0
                                        ; implicit-def: $vgpr3
	s_and_saveexec_b32 s24, s1
	s_delay_alu instid0(SALU_CYCLE_1)
	s_xor_b32 s1, exec_lo, s24
	s_cbranch_execz .LBB251_2717
; %bb.1574:
	v_bfe_u32 v3, v2, 21, 1
	s_mov_b32 s23, exec_lo
	s_delay_alu instid0(VALU_DEP_1) | instskip(NEXT) | instid1(VALU_DEP_1)
	v_add3_u32 v3, v2, v3, 0x88fffff
	v_lshrrev_b32_e32 v3, 21, v3
	s_and_not1_saveexec_b32 s24, s1
	s_cbranch_execnz .LBB251_2718
.LBB251_1575:
	s_or_b32 exec_lo, exec_lo, s24
	v_mov_b32_e32 v4, 0
	s_and_saveexec_b32 s1, s23
.LBB251_1576:
	v_lshrrev_b32_e32 v2, 24, v2
	s_delay_alu instid0(VALU_DEP_1)
	v_and_or_b32 v4, 0x80, v2, v3
.LBB251_1577:
	s_or_b32 exec_lo, exec_lo, s1
.LBB251_1578:
	s_delay_alu instid0(SALU_CYCLE_1)
	s_or_b32 exec_lo, exec_lo, s22
                                        ; implicit-def: $vgpr2_vgpr3
.LBB251_1579:
	s_and_not1_saveexec_b32 s21, s21
	s_cbranch_execz .LBB251_1587
; %bb.1580:
	flat_load_u8 v2, v[2:3]
	s_wait_loadcnt_dscnt 0x101
	v_mov_b32_e32 v4, 0x80
	s_mov_b32 s22, exec_lo
	s_wait_loadcnt_dscnt 0x0
	v_cvt_f32_ubyte0_e32 v3, v2
	s_delay_alu instid0(VALU_DEP_1)
	v_cmpx_gt_u32_e32 0x47800000, v3
	s_cbranch_execz .LBB251_1586
; %bb.1581:
	v_cmp_lt_u32_e64 s1, 0x37ffffff, v3
	s_mov_b32 s23, 0
                                        ; implicit-def: $vgpr2
	s_and_saveexec_b32 s24, s1
	s_delay_alu instid0(SALU_CYCLE_1)
	s_xor_b32 s1, exec_lo, s24
	s_cbranch_execz .LBB251_2719
; %bb.1582:
	v_bfe_u32 v2, v3, 21, 1
	s_mov_b32 s23, exec_lo
	s_delay_alu instid0(VALU_DEP_1) | instskip(NEXT) | instid1(VALU_DEP_1)
	v_add3_u32 v2, v3, v2, 0x88fffff
                                        ; implicit-def: $vgpr3
	v_lshrrev_b32_e32 v2, 21, v2
	s_and_not1_saveexec_b32 s24, s1
	s_cbranch_execnz .LBB251_2720
.LBB251_1583:
	s_or_b32 exec_lo, exec_lo, s24
	v_mov_b32_e32 v4, 0
	s_and_saveexec_b32 s1, s23
.LBB251_1584:
	v_mov_b32_e32 v4, v2
.LBB251_1585:
	s_or_b32 exec_lo, exec_lo, s1
.LBB251_1586:
	s_delay_alu instid0(SALU_CYCLE_1)
	s_or_b32 exec_lo, exec_lo, s22
.LBB251_1587:
	s_delay_alu instid0(SALU_CYCLE_1)
	s_or_b32 exec_lo, exec_lo, s21
.LBB251_1588:
	s_delay_alu instid0(SALU_CYCLE_1)
	s_or_b32 exec_lo, exec_lo, s20
.LBB251_1589:
	s_delay_alu instid0(SALU_CYCLE_1) | instskip(NEXT) | instid1(SALU_CYCLE_1)
	s_or_b32 exec_lo, exec_lo, s18
	s_or_b32 s19, s19, exec_lo
.LBB251_1590:
	s_or_b32 exec_lo, exec_lo, s17
	s_mov_b32 s1, 0
	s_mov_b32 s20, 0
                                        ; implicit-def: $sgpr18
                                        ; implicit-def: $vgpr12_vgpr13
                                        ; implicit-def: $vgpr7
	s_and_saveexec_b32 s17, s19
	s_cbranch_execz .LBB251_1914
; %bb.1591:
                                        ; implicit-def: $sgpr18
	s_and_saveexec_b32 s1, s0
	s_delay_alu instid0(SALU_CYCLE_1)
	s_xor_b32 s1, exec_lo, s1
	s_cbranch_execz .LBB251_1605
; %bb.1592:
	s_wait_loadcnt_dscnt 0x0
	v_and_b32_e32 v3, 0xff, v8
	s_mov_b32 s18, 0
	s_mov_b32 s19, exec_lo
	s_delay_alu instid0(VALU_DEP_1)
	v_cmpx_lt_i16_e32 0x7f, v3
	s_xor_b32 s19, exec_lo, s19
	s_cbranch_execz .LBB251_2448
; %bb.1593:
	s_mov_b32 s18, -1
	s_mov_b32 s20, exec_lo
	v_cmpx_eq_u16_e32 0x80, v3
; %bb.1594:
	s_xor_b32 s18, exec_lo, -1
; %bb.1595:
	s_or_b32 exec_lo, exec_lo, s20
	s_delay_alu instid0(SALU_CYCLE_1)
	s_and_b32 s18, s18, exec_lo
                                        ; implicit-def: $vgpr3
	s_or_saveexec_b32 s19, s19
	v_mov_b32_e32 v2, 0x7f800001
	s_xor_b32 exec_lo, exec_lo, s19
	s_cbranch_execnz .LBB251_2449
.LBB251_1596:
	s_or_b32 exec_lo, exec_lo, s19
	s_and_saveexec_b32 s19, s18
	s_cbranch_execz .LBB251_1598
.LBB251_1597:
	v_and_b32_e32 v2, 3, v8
	v_lshrrev_b16 v5, 2, v8
	v_lshlrev_b32_e32 v7, 24, v8
	s_delay_alu instid0(VALU_DEP_3) | instskip(NEXT) | instid1(VALU_DEP_1)
	v_clz_i32_u32_e32 v3, v2
	v_min_u32_e32 v3, 32, v3
	s_delay_alu instid0(VALU_DEP_4) | instskip(NEXT) | instid1(VALU_DEP_2)
	v_and_b32_e32 v5, 31, v5
	v_subrev_nc_u32_e32 v6, 29, v3
	v_sub_nc_u32_e32 v3, 30, v3
	s_delay_alu instid0(VALU_DEP_3) | instskip(NEXT) | instid1(VALU_DEP_3)
	v_cmp_eq_u32_e64 s0, 0, v5
	v_lshlrev_b32_e32 v6, v6, v8
	s_delay_alu instid0(VALU_DEP_1) | instskip(SKIP_1) | instid1(VALU_DEP_2)
	v_dual_cndmask_b32 v3, v5, v3, s0 :: v_dual_bitop2_b32 v6, 3, v6 bitop3:0x40
	v_and_b32_e32 v5, 0x80000000, v7
	v_cndmask_b32_e64 v2, v2, v6, s0
	s_delay_alu instid0(VALU_DEP_3) | instskip(NEXT) | instid1(VALU_DEP_2)
	v_lshl_add_u32 v3, v3, 23, 0x37800000
	v_lshlrev_b32_e32 v2, 21, v2
	s_delay_alu instid0(VALU_DEP_1)
	v_or3_b32 v2, v5, v3, v2
.LBB251_1598:
	s_or_b32 exec_lo, exec_lo, s19
	v_and_b32_e32 v5, 0xff, v4
	s_mov_b32 s18, 0
	s_mov_b32 s19, exec_lo
	s_delay_alu instid0(VALU_DEP_1)
	v_cmpx_lt_i16_e32 0x7f, v5
	s_xor_b32 s19, exec_lo, s19
	s_cbranch_execz .LBB251_2450
; %bb.1599:
	s_mov_b32 s18, -1
	s_mov_b32 s20, exec_lo
	v_cmpx_eq_u16_e32 0x80, v5
; %bb.1600:
	s_xor_b32 s18, exec_lo, -1
; %bb.1601:
	s_or_b32 exec_lo, exec_lo, s20
	s_delay_alu instid0(SALU_CYCLE_1)
	s_and_b32 s18, s18, exec_lo
                                        ; implicit-def: $vgpr5
	s_or_saveexec_b32 s19, s19
	v_mov_b32_e32 v3, 0x7f800001
	s_xor_b32 exec_lo, exec_lo, s19
	s_cbranch_execnz .LBB251_2451
.LBB251_1602:
	s_or_b32 exec_lo, exec_lo, s19
	s_and_saveexec_b32 s19, s18
	s_cbranch_execz .LBB251_1604
.LBB251_1603:
	v_and_b32_e32 v3, 3, v4
	v_lshrrev_b16 v6, 2, v4
	s_delay_alu instid0(VALU_DEP_2) | instskip(NEXT) | instid1(VALU_DEP_1)
	v_clz_i32_u32_e32 v5, v3
	v_min_u32_e32 v5, 32, v5
	s_delay_alu instid0(VALU_DEP_3) | instskip(NEXT) | instid1(VALU_DEP_2)
	v_and_b32_e32 v6, 31, v6
	v_subrev_nc_u32_e32 v7, 29, v5
	v_sub_nc_u32_e32 v5, 30, v5
	s_delay_alu instid0(VALU_DEP_3) | instskip(NEXT) | instid1(VALU_DEP_3)
	v_cmp_eq_u32_e64 s0, 0, v6
	v_dual_lshlrev_b32 v7, v7, v4 :: v_dual_lshlrev_b32 v4, 24, v4
	s_delay_alu instid0(VALU_DEP_1) | instskip(NEXT) | instid1(VALU_DEP_2)
	v_dual_cndmask_b32 v5, v6, v5, s0 :: v_dual_bitop2_b32 v7, 3, v7 bitop3:0x40
	v_and_b32_e32 v4, 0x80000000, v4
	s_delay_alu instid0(VALU_DEP_2) | instskip(NEXT) | instid1(VALU_DEP_3)
	v_cndmask_b32_e64 v3, v3, v7, s0
	v_lshl_add_u32 v5, v5, 23, 0x37800000
	s_delay_alu instid0(VALU_DEP_2) | instskip(NEXT) | instid1(VALU_DEP_1)
	v_lshlrev_b32_e32 v3, 21, v3
	v_or3_b32 v3, v4, v5, v3
.LBB251_1604:
	s_or_b32 exec_lo, exec_lo, s19
	s_delay_alu instid0(VALU_DEP_1)
	v_cmp_neq_f32_e64 s18, v2, v3
                                        ; implicit-def: $vgpr4
                                        ; implicit-def: $vgpr8
.LBB251_1605:
	s_and_not1_saveexec_b32 s1, s1
	s_cbranch_execz .LBB251_1619
; %bb.1606:
	s_wait_loadcnt_dscnt 0x0
	v_and_b32_e32 v3, 0xff, v8
	s_mov_b32 s19, 0
	s_mov_b32 s20, exec_lo
	s_delay_alu instid0(VALU_DEP_1)
	v_cmpx_lt_i16_e32 0x7f, v3
	s_xor_b32 s20, exec_lo, s20
	s_cbranch_execz .LBB251_2452
; %bb.1607:
	s_mov_b32 s19, -1
	s_mov_b32 s21, exec_lo
	v_cmpx_eq_u16_e32 0x80, v3
; %bb.1608:
	s_xor_b32 s19, exec_lo, -1
; %bb.1609:
	s_or_b32 exec_lo, exec_lo, s21
	s_delay_alu instid0(SALU_CYCLE_1)
	s_and_b32 s19, s19, exec_lo
                                        ; implicit-def: $vgpr3
	s_or_saveexec_b32 s20, s20
	v_mov_b32_e32 v2, 0x7f800001
	s_xor_b32 exec_lo, exec_lo, s20
	s_cbranch_execnz .LBB251_2453
.LBB251_1610:
	s_or_b32 exec_lo, exec_lo, s20
	s_and_saveexec_b32 s20, s19
	s_cbranch_execz .LBB251_1612
.LBB251_1611:
	v_and_b32_e32 v2, 3, v8
	v_lshrrev_b16 v5, 2, v8
	v_lshlrev_b32_e32 v7, 24, v8
	s_delay_alu instid0(VALU_DEP_3) | instskip(NEXT) | instid1(VALU_DEP_1)
	v_clz_i32_u32_e32 v3, v2
	v_min_u32_e32 v3, 32, v3
	s_delay_alu instid0(VALU_DEP_4) | instskip(NEXT) | instid1(VALU_DEP_2)
	v_and_b32_e32 v5, 31, v5
	v_subrev_nc_u32_e32 v6, 29, v3
	v_sub_nc_u32_e32 v3, 30, v3
	s_delay_alu instid0(VALU_DEP_3) | instskip(NEXT) | instid1(VALU_DEP_3)
	v_cmp_eq_u32_e64 s0, 0, v5
	v_lshlrev_b32_e32 v6, v6, v8
	s_delay_alu instid0(VALU_DEP_1) | instskip(SKIP_1) | instid1(VALU_DEP_2)
	v_dual_cndmask_b32 v3, v5, v3, s0 :: v_dual_bitop2_b32 v6, 3, v6 bitop3:0x40
	v_and_b32_e32 v5, 0x80000000, v7
	v_cndmask_b32_e64 v2, v2, v6, s0
	s_delay_alu instid0(VALU_DEP_3) | instskip(NEXT) | instid1(VALU_DEP_2)
	v_lshl_add_u32 v3, v3, 23, 0x37800000
	v_lshlrev_b32_e32 v2, 21, v2
	s_delay_alu instid0(VALU_DEP_1)
	v_or3_b32 v2, v5, v3, v2
.LBB251_1612:
	s_or_b32 exec_lo, exec_lo, s20
	v_and_b32_e32 v5, 0xff, v4
	s_mov_b32 s19, 0
	s_mov_b32 s20, exec_lo
	s_delay_alu instid0(VALU_DEP_1)
	v_cmpx_lt_i16_e32 0x7f, v5
	s_xor_b32 s20, exec_lo, s20
	s_cbranch_execz .LBB251_2454
; %bb.1613:
	s_mov_b32 s19, -1
	s_mov_b32 s21, exec_lo
	v_cmpx_eq_u16_e32 0x80, v5
; %bb.1614:
	s_xor_b32 s19, exec_lo, -1
; %bb.1615:
	s_or_b32 exec_lo, exec_lo, s21
	s_delay_alu instid0(SALU_CYCLE_1)
	s_and_b32 s19, s19, exec_lo
                                        ; implicit-def: $vgpr5
	s_or_saveexec_b32 s20, s20
	v_mov_b32_e32 v3, 0x7f800001
	s_xor_b32 exec_lo, exec_lo, s20
	s_cbranch_execnz .LBB251_2455
.LBB251_1616:
	s_or_b32 exec_lo, exec_lo, s20
	s_and_saveexec_b32 s20, s19
	s_cbranch_execz .LBB251_1618
.LBB251_1617:
	v_and_b32_e32 v3, 3, v4
	v_lshrrev_b16 v6, 2, v4
	s_delay_alu instid0(VALU_DEP_2) | instskip(NEXT) | instid1(VALU_DEP_1)
	v_clz_i32_u32_e32 v5, v3
	v_min_u32_e32 v5, 32, v5
	s_delay_alu instid0(VALU_DEP_3) | instskip(NEXT) | instid1(VALU_DEP_2)
	v_and_b32_e32 v6, 31, v6
	v_subrev_nc_u32_e32 v7, 29, v5
	v_sub_nc_u32_e32 v5, 30, v5
	s_delay_alu instid0(VALU_DEP_3) | instskip(NEXT) | instid1(VALU_DEP_3)
	v_cmp_eq_u32_e64 s0, 0, v6
	v_dual_lshlrev_b32 v7, v7, v4 :: v_dual_lshlrev_b32 v4, 24, v4
	s_delay_alu instid0(VALU_DEP_1) | instskip(NEXT) | instid1(VALU_DEP_2)
	v_dual_cndmask_b32 v5, v6, v5, s0 :: v_dual_bitop2_b32 v7, 3, v7 bitop3:0x40
	v_and_b32_e32 v4, 0x80000000, v4
	s_delay_alu instid0(VALU_DEP_2) | instskip(NEXT) | instid1(VALU_DEP_3)
	v_cndmask_b32_e64 v3, v3, v7, s0
	v_lshl_add_u32 v5, v5, 23, 0x37800000
	s_delay_alu instid0(VALU_DEP_2) | instskip(NEXT) | instid1(VALU_DEP_1)
	v_lshlrev_b32_e32 v3, 21, v3
	v_or3_b32 v3, v4, v5, v3
.LBB251_1618:
	s_or_b32 exec_lo, exec_lo, s20
	s_delay_alu instid0(VALU_DEP_1) | instskip(SKIP_2) | instid1(SALU_CYCLE_1)
	v_cmp_eq_f32_e64 s0, v2, v3
	s_and_not1_b32 s18, s18, exec_lo
	s_and_b32 s0, s0, exec_lo
	s_or_b32 s18, s18, s0
.LBB251_1619:
	s_or_b32 exec_lo, exec_lo, s1
	scratch_load_u8 v7, off, off offset:40
	v_mul_lo_u32 v2, v14, v16
	s_mov_b32 s20, 0
	s_mov_b32 s1, s14
	s_mov_b32 s19, exec_lo
	s_delay_alu instid0(VALU_DEP_1) | instskip(SKIP_1) | instid1(VALU_DEP_1)
	v_ashrrev_i32_e32 v3, 31, v2
	s_wait_loadcnt_dscnt 0x100
	v_add_nc_u64_e32 v[4:5], v[0:1], v[2:3]
	s_wait_loadcnt 0x0
	v_cmpx_lt_i16_e32 10, v7
	s_xor_b32 s19, exec_lo, s19
	s_cbranch_execz .LBB251_1660
; %bb.1620:
	s_mov_b32 s21, 0
	s_mov_b32 s1, 0
	s_mov_b32 s22, exec_lo
	v_cmpx_lt_i16_e32 25, v7
	s_xor_b32 s22, exec_lo, s22
	s_cbranch_execz .LBB251_2456
; %bb.1621:
	s_mov_b32 s23, 0
	s_mov_b32 s20, exec_lo
	v_cmpx_lt_i16_e32 28, v7
	s_xor_b32 s20, exec_lo, s20
	s_cbranch_execz .LBB251_1639
; %bb.1622:
	;; [unrolled: 6-line block ×4, first 2 shown]
	s_mov_b32 s26, -1
	s_mov_b32 s25, exec_lo
	v_cmpx_eq_u16_e32 46, v7
	s_cbranch_execz .LBB251_1626
; %bb.1625:
	v_cndmask_b32_e64 v3, 0, 1.0, vcc_lo
	s_mov_b32 s24, exec_lo
	s_xor_b32 s26, exec_lo, -1
	s_delay_alu instid0(VALU_DEP_1) | instskip(NEXT) | instid1(VALU_DEP_1)
	v_bfe_u32 v6, v3, 16, 1
	v_add3_u32 v3, v3, v6, 0x7fff
	s_delay_alu instid0(VALU_DEP_1)
	v_lshrrev_b32_e32 v3, 16, v3
	flat_store_b32 v[4:5], v3
.LBB251_1626:
	s_wait_xcnt 0x0
	s_or_b32 exec_lo, exec_lo, s25
	s_delay_alu instid0(SALU_CYCLE_1)
	s_and_b32 s25, s24, exec_lo
	s_and_b32 s24, s26, exec_lo
.LBB251_1627:
	s_and_not1_saveexec_b32 s26, s1
	s_cbranch_execz .LBB251_1633
; %bb.1628:
	s_mov_b32 s1, -1
	s_mov_b32 s28, s25
	s_mov_b32 s27, exec_lo
	v_cmpx_eq_u16_e32 44, v7
	s_cbranch_execz .LBB251_1632
; %bb.1629:
	v_cndmask_b32_e64 v8, 0, 1.0, vcc_lo
	s_mov_b32 s28, exec_lo
	s_delay_alu instid0(VALU_DEP_1) | instskip(NEXT) | instid1(VALU_DEP_1)
	v_dual_mov_b32 v6, 0xff :: v_dual_lshrrev_b32 v3, 23, v8
	v_cmpx_ne_u32_e32 0xff, v3
; %bb.1630:
	v_and_b32_e32 v6, 0x400000, v8
	v_and_or_b32 v8, 0x3fffff, v8, v3
	s_delay_alu instid0(VALU_DEP_2) | instskip(NEXT) | instid1(VALU_DEP_2)
	v_cmp_ne_u32_e64 s0, 0, v6
	v_cmp_ne_u32_e64 s1, 0, v8
	s_and_b32 s0, s0, s1
	s_delay_alu instid0(SALU_CYCLE_1) | instskip(NEXT) | instid1(VALU_DEP_1)
	v_cndmask_b32_e64 v6, 0, 1, s0
	v_add_nc_u32_e32 v6, v3, v6
; %bb.1631:
	s_or_b32 exec_lo, exec_lo, s28
	s_delay_alu instid0(SALU_CYCLE_1)
	s_or_b32 s28, s25, exec_lo
	s_xor_b32 s1, exec_lo, -1
	flat_store_b8 v[4:5], v6
.LBB251_1632:
	s_wait_xcnt 0x0
	s_or_b32 exec_lo, exec_lo, s27
	s_delay_alu instid0(SALU_CYCLE_1)
	s_and_not1_b32 s0, s25, exec_lo
	s_and_b32 s25, s28, exec_lo
	s_and_not1_b32 s24, s24, exec_lo
	s_and_b32 s1, s1, exec_lo
	s_or_b32 s25, s0, s25
	s_or_b32 s24, s24, s1
.LBB251_1633:
	s_or_b32 exec_lo, exec_lo, s26
	s_delay_alu instid0(SALU_CYCLE_1)
	s_and_b32 s25, s25, exec_lo
	s_and_b32 s1, s24, exec_lo
.LBB251_1634:
	s_and_not1_saveexec_b32 s23, s23
	s_cbranch_execz .LBB251_1638
; %bb.1635:
	s_mov_b32 s24, -1
	s_mov_b32 s27, s25
	s_mov_b32 s26, exec_lo
	v_cmpx_eq_u16_e32 29, v7
	s_cbranch_execz .LBB251_1637
; %bb.1636:
	s_mov_b32 s0, 0
	v_cndmask_b32_e64 v8, 0, 1, vcc_lo
	v_mov_b32_e32 v9, s0
	s_or_b32 s27, s25, exec_lo
	s_xor_b32 s24, exec_lo, -1
	flat_store_b64 v[4:5], v[8:9]
.LBB251_1637:
	s_wait_xcnt 0x0
	s_or_b32 exec_lo, exec_lo, s26
	s_delay_alu instid0(SALU_CYCLE_1)
	s_and_not1_b32 s0, s25, exec_lo
	s_and_b32 s25, s27, exec_lo
	s_and_not1_b32 s1, s1, exec_lo
	s_and_b32 s24, s24, exec_lo
	s_or_b32 s25, s0, s25
	s_or_b32 s1, s1, s24
.LBB251_1638:
	s_or_b32 exec_lo, exec_lo, s23
	s_delay_alu instid0(SALU_CYCLE_1)
	s_and_b32 s23, s25, exec_lo
	s_and_b32 s1, s1, exec_lo
.LBB251_1639:
	s_and_not1_saveexec_b32 s20, s20
	s_cbranch_execz .LBB251_1655
; %bb.1640:
	s_mov_b32 s24, exec_lo
	v_cmpx_lt_i16_e32 26, v7
	s_xor_b32 s24, exec_lo, s24
	s_cbranch_execz .LBB251_1646
; %bb.1641:
	v_cmp_lt_i16_e64 s0, 27, v7
	s_and_saveexec_b32 s25, s0
	s_delay_alu instid0(SALU_CYCLE_1)
	s_xor_b32 s0, exec_lo, s25
	s_cbranch_execz .LBB251_1643
; %bb.1642:
	v_cndmask_b32_e64 v3, 0, 1, vcc_lo
	flat_store_b32 v[4:5], v3
.LBB251_1643:
	s_wait_xcnt 0x0
	s_and_not1_saveexec_b32 s0, s0
	s_cbranch_execz .LBB251_1645
; %bb.1644:
	v_cndmask_b32_e64 v3, 0, 1, vcc_lo
	flat_store_b16 v[4:5], v3
.LBB251_1645:
	s_wait_xcnt 0x0
	s_or_b32 exec_lo, exec_lo, s0
.LBB251_1646:
	s_and_not1_saveexec_b32 s24, s24
	s_cbranch_execz .LBB251_1654
; %bb.1647:
	v_cndmask_b32_e64 v6, 0, 1.0, vcc_lo
	v_mov_b32_e32 v8, 0x80
	s_mov_b32 s25, exec_lo
	s_delay_alu instid0(VALU_DEP_2)
	v_cmpx_gt_u32_e32 0x43800000, v6
	s_cbranch_execz .LBB251_1653
; %bb.1648:
	v_cmp_lt_u32_e64 s0, 0x3bffffff, v6
	s_mov_b32 s26, 0
                                        ; implicit-def: $vgpr3
	s_and_saveexec_b32 s27, s0
	s_delay_alu instid0(SALU_CYCLE_1)
	s_xor_b32 s0, exec_lo, s27
	s_cbranch_execz .LBB251_2792
; %bb.1649:
	v_bfe_u32 v3, v6, 20, 1
	s_mov_b32 s26, exec_lo
	s_delay_alu instid0(VALU_DEP_1) | instskip(NEXT) | instid1(VALU_DEP_1)
	v_add3_u32 v3, v6, v3, 0x487ffff
                                        ; implicit-def: $vgpr6
	v_lshrrev_b32_e32 v3, 20, v3
	s_and_not1_saveexec_b32 s27, s0
	s_cbranch_execnz .LBB251_2793
.LBB251_1650:
	s_or_b32 exec_lo, exec_lo, s27
	v_mov_b32_e32 v8, 0
	s_and_saveexec_b32 s0, s26
.LBB251_1651:
	v_mov_b32_e32 v8, v3
.LBB251_1652:
	s_or_b32 exec_lo, exec_lo, s0
.LBB251_1653:
	s_delay_alu instid0(SALU_CYCLE_1)
	s_or_b32 exec_lo, exec_lo, s25
	flat_store_b8 v[4:5], v8
.LBB251_1654:
	s_wait_xcnt 0x0
	s_or_b32 exec_lo, exec_lo, s24
	s_delay_alu instid0(SALU_CYCLE_1)
	s_or_b32 s23, s23, exec_lo
.LBB251_1655:
	s_or_b32 exec_lo, exec_lo, s20
	s_delay_alu instid0(SALU_CYCLE_1)
	s_and_b32 s20, s23, exec_lo
	s_and_b32 s1, s1, exec_lo
	s_and_not1_saveexec_b32 s22, s22
	s_cbranch_execnz .LBB251_2457
.LBB251_1656:
	s_or_b32 exec_lo, exec_lo, s22
	s_mov_b32 s0, s14
	s_and_saveexec_b32 s22, s1
	s_cbranch_execnz .LBB251_2498
.LBB251_1657:
	s_or_b32 exec_lo, exec_lo, s22
	s_and_saveexec_b32 s1, s21
	s_delay_alu instid0(SALU_CYCLE_1)
	s_xor_b32 s1, exec_lo, s1
	s_cbranch_execz .LBB251_1659
.LBB251_1658:
	v_cndmask_b32_e64 v3, 0, 1, vcc_lo
	s_or_b32 s20, s20, exec_lo
	flat_store_b8 v[4:5], v3
.LBB251_1659:
	s_wait_xcnt 0x0
	s_or_b32 exec_lo, exec_lo, s1
	s_delay_alu instid0(SALU_CYCLE_1)
	s_and_not1_b32 s1, s14, exec_lo
	s_and_b32 s0, s0, exec_lo
	s_and_b32 s20, s20, exec_lo
	s_or_b32 s1, s1, s0
                                        ; implicit-def: $vgpr4_vgpr5
.LBB251_1660:
	s_and_not1_saveexec_b32 s19, s19
	s_cbranch_execz .LBB251_1702
; %bb.1661:
	s_mov_b32 s21, exec_lo
	v_cmpx_lt_i16_e32 4, v7
	s_xor_b32 s21, exec_lo, s21
	s_cbranch_execz .LBB251_1683
; %bb.1662:
	s_mov_b32 s22, exec_lo
	v_cmpx_lt_i16_e32 7, v7
	s_xor_b32 s22, exec_lo, s22
	;; [unrolled: 5-line block ×3, first 2 shown]
	s_cbranch_execz .LBB251_1669
; %bb.1664:
	v_cmp_lt_i16_e64 s0, 9, v7
	s_and_saveexec_b32 s24, s0
	s_delay_alu instid0(SALU_CYCLE_1)
	s_xor_b32 s0, exec_lo, s24
	s_cbranch_execz .LBB251_1666
; %bb.1665:
	v_cndmask_b32_e64 v3, 0, 1, vcc_lo
	v_mov_b32_e32 v10, 0
	s_delay_alu instid0(VALU_DEP_2) | instskip(NEXT) | instid1(VALU_DEP_2)
	v_cvt_f64_u32_e32 v[8:9], v3
	v_mov_b32_e32 v11, v10
	flat_store_b128 v[4:5], v[8:11]
                                        ; implicit-def: $vgpr4_vgpr5
.LBB251_1666:
	s_wait_xcnt 0x0
	s_and_not1_saveexec_b32 s0, s0
	s_cbranch_execz .LBB251_1668
; %bb.1667:
	v_cndmask_b32_e64 v8, 0, 1.0, vcc_lo
	v_mov_b32_e32 v9, 0
	flat_store_b64 v[4:5], v[8:9]
.LBB251_1668:
	s_wait_xcnt 0x0
	s_or_b32 exec_lo, exec_lo, s0
                                        ; implicit-def: $vgpr4_vgpr5
.LBB251_1669:
	s_and_not1_saveexec_b32 s0, s23
	s_cbranch_execz .LBB251_1671
; %bb.1670:
	v_cndmask_b32_e64 v3, 0, 1.0, vcc_lo
	s_delay_alu instid0(VALU_DEP_1) | instskip(NEXT) | instid1(VALU_DEP_1)
	v_cvt_f16_f32_e32 v3, v3
	v_and_b32_e32 v3, 0xffff, v3
	flat_store_b32 v[4:5], v3
.LBB251_1671:
	s_wait_xcnt 0x0
	s_or_b32 exec_lo, exec_lo, s0
                                        ; implicit-def: $vgpr4_vgpr5
.LBB251_1672:
	s_and_not1_saveexec_b32 s22, s22
	s_cbranch_execz .LBB251_1682
; %bb.1673:
	s_mov_b32 s23, exec_lo
	v_cmpx_lt_i16_e32 5, v7
	s_xor_b32 s23, exec_lo, s23
	s_cbranch_execz .LBB251_1679
; %bb.1674:
	v_cmp_lt_i16_e64 s0, 6, v7
	s_and_saveexec_b32 s24, s0
	s_delay_alu instid0(SALU_CYCLE_1)
	s_xor_b32 s0, exec_lo, s24
	s_cbranch_execz .LBB251_1676
; %bb.1675:
	v_cndmask_b32_e64 v3, 0, 1, vcc_lo
	s_delay_alu instid0(VALU_DEP_1)
	v_cvt_f64_u32_e32 v[8:9], v3
	flat_store_b64 v[4:5], v[8:9]
                                        ; implicit-def: $vgpr4_vgpr5
.LBB251_1676:
	s_wait_xcnt 0x0
	s_and_not1_saveexec_b32 s0, s0
	s_cbranch_execz .LBB251_1678
; %bb.1677:
	v_cndmask_b32_e64 v3, 0, 1.0, vcc_lo
	flat_store_b32 v[4:5], v3
.LBB251_1678:
	s_wait_xcnt 0x0
	s_or_b32 exec_lo, exec_lo, s0
                                        ; implicit-def: $vgpr4_vgpr5
.LBB251_1679:
	s_and_not1_saveexec_b32 s0, s23
	s_cbranch_execz .LBB251_1681
; %bb.1680:
	v_cndmask_b32_e64 v3, 0, 1.0, vcc_lo
	s_delay_alu instid0(VALU_DEP_1)
	v_cvt_f16_f32_e32 v3, v3
	flat_store_b16 v[4:5], v3
.LBB251_1681:
	s_wait_xcnt 0x0
	s_or_b32 exec_lo, exec_lo, s0
.LBB251_1682:
	s_delay_alu instid0(SALU_CYCLE_1)
	s_or_b32 exec_lo, exec_lo, s22
                                        ; implicit-def: $vgpr4_vgpr5
.LBB251_1683:
	s_and_not1_saveexec_b32 s21, s21
	s_cbranch_execz .LBB251_1701
; %bb.1684:
	s_mov_b32 s22, exec_lo
	v_cmpx_lt_i16_e32 1, v7
	s_xor_b32 s22, exec_lo, s22
	s_cbranch_execz .LBB251_1694
; %bb.1685:
	s_mov_b32 s23, exec_lo
	v_cmpx_lt_i16_e32 2, v7
	s_xor_b32 s23, exec_lo, s23
	s_cbranch_execz .LBB251_1691
; %bb.1686:
	v_cmp_lt_i16_e64 s0, 3, v7
	s_and_saveexec_b32 s24, s0
	s_delay_alu instid0(SALU_CYCLE_1)
	s_xor_b32 s0, exec_lo, s24
	s_cbranch_execz .LBB251_1688
; %bb.1687:
	s_mov_b32 s24, 0
	v_cndmask_b32_e64 v8, 0, 1, vcc_lo
	v_mov_b32_e32 v9, s24
	flat_store_b64 v[4:5], v[8:9]
                                        ; implicit-def: $vgpr4_vgpr5
.LBB251_1688:
	s_wait_xcnt 0x0
	s_and_not1_saveexec_b32 s0, s0
	s_cbranch_execz .LBB251_1690
; %bb.1689:
	v_cndmask_b32_e64 v3, 0, 1, vcc_lo
	flat_store_b32 v[4:5], v3
.LBB251_1690:
	s_wait_xcnt 0x0
	s_or_b32 exec_lo, exec_lo, s0
                                        ; implicit-def: $vgpr4_vgpr5
.LBB251_1691:
	s_and_not1_saveexec_b32 s0, s23
	s_cbranch_execz .LBB251_1693
; %bb.1692:
	v_cndmask_b32_e64 v3, 0, 1, vcc_lo
	flat_store_b16 v[4:5], v3
.LBB251_1693:
	s_wait_xcnt 0x0
	s_or_b32 exec_lo, exec_lo, s0
                                        ; implicit-def: $vgpr4_vgpr5
.LBB251_1694:
	s_and_not1_saveexec_b32 s22, s22
	s_cbranch_execz .LBB251_1700
; %bb.1695:
	v_cmp_lt_i16_e64 s0, 0, v7
	v_cndmask_b32_e64 v3, 0, 1, vcc_lo
	s_and_saveexec_b32 s23, s0
	s_delay_alu instid0(SALU_CYCLE_1)
	s_xor_b32 s0, exec_lo, s23
	s_cbranch_execz .LBB251_1697
; %bb.1696:
	flat_store_b8 v[4:5], v3
                                        ; implicit-def: $vgpr4_vgpr5
                                        ; implicit-def: $vgpr3
.LBB251_1697:
	s_wait_xcnt 0x0
	s_and_not1_saveexec_b32 s0, s0
	s_cbranch_execz .LBB251_1699
; %bb.1698:
	flat_store_b8 v[4:5], v3
.LBB251_1699:
	s_wait_xcnt 0x0
	s_or_b32 exec_lo, exec_lo, s0
.LBB251_1700:
	s_delay_alu instid0(SALU_CYCLE_1)
	s_or_b32 exec_lo, exec_lo, s22
.LBB251_1701:
	s_delay_alu instid0(SALU_CYCLE_1) | instskip(NEXT) | instid1(SALU_CYCLE_1)
	s_or_b32 exec_lo, exec_lo, s21
	s_or_b32 s20, s20, exec_lo
.LBB251_1702:
	s_or_b32 exec_lo, exec_lo, s19
	s_mov_b32 s0, 0
	s_mov_b32 s22, 0
                                        ; implicit-def: $vgpr12_vgpr13
	s_and_saveexec_b32 s19, s20
	s_cbranch_execz .LBB251_1913
; %bb.1703:
	v_lshlrev_b32_e32 v6, 7, v14
	s_mov_b32 s20, s1
	s_mov_b32 s21, exec_lo
	s_delay_alu instid0(VALU_DEP_1) | instskip(NEXT) | instid1(VALU_DEP_1)
	v_add_nc_u32_e32 v2, v2, v6
	v_ashrrev_i32_e32 v3, 31, v2
	s_delay_alu instid0(VALU_DEP_1)
	v_add_nc_u64_e32 v[4:5], v[0:1], v[2:3]
	v_cmpx_lt_i16_e32 10, v7
	s_xor_b32 s21, exec_lo, s21
	s_cbranch_execz .LBB251_1744
; %bb.1704:
	s_mov_b32 s20, 0
	s_mov_b32 s23, exec_lo
	v_cmpx_lt_i16_e32 25, v7
	s_xor_b32 s23, exec_lo, s23
	s_cbranch_execz .LBB251_2547
; %bb.1705:
	s_mov_b32 s24, 0
	s_mov_b32 s20, exec_lo
	v_cmpx_lt_i16_e32 28, v7
	s_xor_b32 s20, exec_lo, s20
	s_cbranch_execz .LBB251_1723
; %bb.1706:
	s_mov_b32 s25, 0
	s_mov_b32 s24, exec_lo
	v_cmpx_lt_i16_e32 43, v7
	s_xor_b32 s24, exec_lo, s24
	s_cbranch_execz .LBB251_1718
; %bb.1707:
	s_mov_b32 s26, 0
	s_mov_b32 s0, exec_lo
	v_cmpx_lt_i16_e32 45, v7
	s_xor_b32 s0, exec_lo, s0
	s_cbranch_execz .LBB251_1711
; %bb.1708:
	s_mov_b32 s27, -1
	s_mov_b32 s26, exec_lo
	v_cmpx_eq_u16_e32 46, v7
	s_cbranch_execz .LBB251_1710
; %bb.1709:
	v_cndmask_b32_e64 v3, 0, 1.0, s7
	s_mov_b32 s25, exec_lo
	s_xor_b32 s27, exec_lo, -1
	s_delay_alu instid0(VALU_DEP_1) | instskip(NEXT) | instid1(VALU_DEP_1)
	v_bfe_u32 v8, v3, 16, 1
	v_add3_u32 v3, v3, v8, 0x7fff
	s_delay_alu instid0(VALU_DEP_1)
	v_lshrrev_b32_e32 v3, 16, v3
	flat_store_b32 v[4:5], v3
.LBB251_1710:
	s_wait_xcnt 0x0
	s_or_b32 exec_lo, exec_lo, s26
	s_delay_alu instid0(SALU_CYCLE_1)
	s_and_b32 s26, s25, exec_lo
	s_and_b32 s25, s27, exec_lo
.LBB251_1711:
	s_and_not1_saveexec_b32 s27, s0
	s_cbranch_execz .LBB251_1717
; %bb.1712:
	s_mov_b32 s0, -1
	s_mov_b32 s29, s26
	s_mov_b32 s28, exec_lo
	v_cmpx_eq_u16_e32 44, v7
	s_cbranch_execz .LBB251_1716
; %bb.1713:
	v_cndmask_b32_e64 v9, 0, 1.0, s7
	s_mov_b32 s29, exec_lo
	s_delay_alu instid0(VALU_DEP_1) | instskip(NEXT) | instid1(VALU_DEP_1)
	v_dual_mov_b32 v8, 0xff :: v_dual_lshrrev_b32 v3, 23, v9
	v_cmpx_ne_u32_e32 0xff, v3
; %bb.1714:
	v_and_b32_e32 v8, 0x400000, v9
	v_and_or_b32 v9, 0x3fffff, v9, v3
	s_delay_alu instid0(VALU_DEP_2) | instskip(NEXT) | instid1(VALU_DEP_2)
	v_cmp_ne_u32_e32 vcc_lo, 0, v8
	v_cmp_ne_u32_e64 s0, 0, v9
	s_and_b32 s0, vcc_lo, s0
	s_delay_alu instid0(SALU_CYCLE_1) | instskip(NEXT) | instid1(VALU_DEP_1)
	v_cndmask_b32_e64 v8, 0, 1, s0
	v_add_nc_u32_e32 v8, v3, v8
; %bb.1715:
	s_or_b32 exec_lo, exec_lo, s29
	s_delay_alu instid0(SALU_CYCLE_1)
	s_or_b32 s29, s26, exec_lo
	s_xor_b32 s0, exec_lo, -1
	flat_store_b8 v[4:5], v8
.LBB251_1716:
	s_wait_xcnt 0x0
	s_or_b32 exec_lo, exec_lo, s28
	s_delay_alu instid0(SALU_CYCLE_1)
	s_and_not1_b32 s26, s26, exec_lo
	s_and_b32 s28, s29, exec_lo
	s_and_not1_b32 s25, s25, exec_lo
	s_and_b32 s0, s0, exec_lo
	s_or_b32 s26, s26, s28
	s_or_b32 s25, s25, s0
.LBB251_1717:
	s_or_b32 exec_lo, exec_lo, s27
	s_delay_alu instid0(SALU_CYCLE_1)
	s_and_b32 s0, s26, exec_lo
	s_and_b32 s25, s25, exec_lo
.LBB251_1718:
	s_and_not1_saveexec_b32 s24, s24
	s_cbranch_execz .LBB251_1722
; %bb.1719:
	s_mov_b32 s26, -1
	s_mov_b32 s28, s0
	s_mov_b32 s27, exec_lo
	v_cmpx_eq_u16_e32 29, v7
	s_cbranch_execz .LBB251_1721
; %bb.1720:
	s_mov_b32 s26, 0
	v_cndmask_b32_e64 v8, 0, 1, s7
	v_mov_b32_e32 v9, s26
	s_or_b32 s28, s0, exec_lo
	s_xor_b32 s26, exec_lo, -1
	flat_store_b64 v[4:5], v[8:9]
.LBB251_1721:
	s_wait_xcnt 0x0
	s_or_b32 exec_lo, exec_lo, s27
	s_delay_alu instid0(SALU_CYCLE_1)
	s_and_not1_b32 s0, s0, exec_lo
	s_and_b32 s27, s28, exec_lo
	s_and_not1_b32 s25, s25, exec_lo
	s_and_b32 s26, s26, exec_lo
	s_or_b32 s0, s0, s27
	s_or_b32 s25, s25, s26
.LBB251_1722:
	s_or_b32 exec_lo, exec_lo, s24
	s_delay_alu instid0(SALU_CYCLE_1)
	s_and_b32 s0, s0, exec_lo
	s_and_b32 s24, s25, exec_lo
.LBB251_1723:
	s_and_not1_saveexec_b32 s20, s20
	s_cbranch_execz .LBB251_1739
; %bb.1724:
	s_mov_b32 s25, exec_lo
	v_cmpx_lt_i16_e32 26, v7
	s_xor_b32 s25, exec_lo, s25
	s_cbranch_execz .LBB251_1730
; %bb.1725:
	s_mov_b32 s26, exec_lo
	v_cmpx_lt_i16_e32 27, v7
	s_xor_b32 s26, exec_lo, s26
	s_cbranch_execz .LBB251_1727
; %bb.1726:
	v_cndmask_b32_e64 v3, 0, 1, s7
	flat_store_b32 v[4:5], v3
.LBB251_1727:
	s_wait_xcnt 0x0
	s_and_not1_saveexec_b32 s26, s26
	s_cbranch_execz .LBB251_1729
; %bb.1728:
	v_cndmask_b32_e64 v3, 0, 1, s7
	flat_store_b16 v[4:5], v3
.LBB251_1729:
	s_wait_xcnt 0x0
	s_or_b32 exec_lo, exec_lo, s26
.LBB251_1730:
	s_and_not1_saveexec_b32 s25, s25
	s_cbranch_execz .LBB251_1738
; %bb.1731:
	v_cndmask_b32_e64 v8, 0, 1.0, s7
	v_mov_b32_e32 v9, 0x80
	s_mov_b32 s26, exec_lo
	s_delay_alu instid0(VALU_DEP_2)
	v_cmpx_gt_u32_e32 0x43800000, v8
	s_cbranch_execz .LBB251_1737
; %bb.1732:
	s_mov_b32 s27, 0
	s_mov_b32 s28, exec_lo
                                        ; implicit-def: $vgpr3
	v_cmpx_lt_u32_e32 0x3bffffff, v8
	s_xor_b32 s28, exec_lo, s28
	s_cbranch_execz .LBB251_2802
; %bb.1733:
	v_bfe_u32 v3, v8, 20, 1
	s_mov_b32 s27, exec_lo
	s_delay_alu instid0(VALU_DEP_1) | instskip(NEXT) | instid1(VALU_DEP_1)
	v_add3_u32 v3, v8, v3, 0x487ffff
                                        ; implicit-def: $vgpr8
	v_lshrrev_b32_e32 v3, 20, v3
	s_and_not1_saveexec_b32 s28, s28
	s_cbranch_execnz .LBB251_2803
.LBB251_1734:
	s_or_b32 exec_lo, exec_lo, s28
	v_mov_b32_e32 v9, 0
	s_and_saveexec_b32 s28, s27
.LBB251_1735:
	v_mov_b32_e32 v9, v3
.LBB251_1736:
	s_or_b32 exec_lo, exec_lo, s28
.LBB251_1737:
	s_delay_alu instid0(SALU_CYCLE_1)
	s_or_b32 exec_lo, exec_lo, s26
	flat_store_b8 v[4:5], v9
.LBB251_1738:
	s_wait_xcnt 0x0
	s_or_b32 exec_lo, exec_lo, s25
	s_delay_alu instid0(SALU_CYCLE_1)
	s_or_b32 s0, s0, exec_lo
.LBB251_1739:
	s_or_b32 exec_lo, exec_lo, s20
	s_delay_alu instid0(SALU_CYCLE_1)
	s_and_b32 s0, s0, exec_lo
	s_and_b32 s20, s24, exec_lo
	s_and_not1_saveexec_b32 s23, s23
	s_cbranch_execnz .LBB251_2548
.LBB251_1740:
	s_or_b32 exec_lo, exec_lo, s23
	s_mov_b32 s23, s1
	s_and_saveexec_b32 s24, s20
	s_cbranch_execnz .LBB251_2589
.LBB251_1741:
	s_or_b32 exec_lo, exec_lo, s24
	s_and_saveexec_b32 s20, s22
	s_delay_alu instid0(SALU_CYCLE_1)
	s_xor_b32 s20, exec_lo, s20
	s_cbranch_execz .LBB251_1743
.LBB251_1742:
	v_cndmask_b32_e64 v3, 0, 1, s7
	s_or_b32 s0, s0, exec_lo
	flat_store_b8 v[4:5], v3
.LBB251_1743:
	s_wait_xcnt 0x0
	s_or_b32 exec_lo, exec_lo, s20
	s_delay_alu instid0(SALU_CYCLE_1)
	s_and_not1_b32 s20, s1, exec_lo
	s_and_b32 s22, s23, exec_lo
	s_and_b32 s0, s0, exec_lo
	s_or_b32 s20, s20, s22
                                        ; implicit-def: $vgpr4_vgpr5
.LBB251_1744:
	s_and_not1_saveexec_b32 s21, s21
	s_cbranch_execz .LBB251_1786
; %bb.1745:
	s_mov_b32 s22, exec_lo
	v_cmpx_lt_i16_e32 4, v7
	s_xor_b32 s22, exec_lo, s22
	s_cbranch_execz .LBB251_1767
; %bb.1746:
	s_mov_b32 s23, exec_lo
	v_cmpx_lt_i16_e32 7, v7
	s_xor_b32 s23, exec_lo, s23
	;; [unrolled: 5-line block ×4, first 2 shown]
	s_cbranch_execz .LBB251_1750
; %bb.1749:
	v_cndmask_b32_e64 v3, 0, 1, s7
	v_mov_b32_e32 v10, 0
	s_delay_alu instid0(VALU_DEP_2) | instskip(NEXT) | instid1(VALU_DEP_2)
	v_cvt_f64_u32_e32 v[8:9], v3
	v_mov_b32_e32 v11, v10
	flat_store_b128 v[4:5], v[8:11]
                                        ; implicit-def: $vgpr4_vgpr5
.LBB251_1750:
	s_wait_xcnt 0x0
	s_and_not1_saveexec_b32 s25, s25
	s_cbranch_execz .LBB251_1752
; %bb.1751:
	v_cndmask_b32_e64 v8, 0, 1.0, s7
	v_mov_b32_e32 v9, 0
	flat_store_b64 v[4:5], v[8:9]
.LBB251_1752:
	s_wait_xcnt 0x0
	s_or_b32 exec_lo, exec_lo, s25
                                        ; implicit-def: $vgpr4_vgpr5
.LBB251_1753:
	s_and_not1_saveexec_b32 s24, s24
	s_cbranch_execz .LBB251_1755
; %bb.1754:
	v_cndmask_b32_e64 v3, 0, 1.0, s7
	s_delay_alu instid0(VALU_DEP_1) | instskip(NEXT) | instid1(VALU_DEP_1)
	v_cvt_f16_f32_e32 v3, v3
	v_and_b32_e32 v3, 0xffff, v3
	flat_store_b32 v[4:5], v3
.LBB251_1755:
	s_wait_xcnt 0x0
	s_or_b32 exec_lo, exec_lo, s24
                                        ; implicit-def: $vgpr4_vgpr5
.LBB251_1756:
	s_and_not1_saveexec_b32 s23, s23
	s_cbranch_execz .LBB251_1766
; %bb.1757:
	s_mov_b32 s24, exec_lo
	v_cmpx_lt_i16_e32 5, v7
	s_xor_b32 s24, exec_lo, s24
	s_cbranch_execz .LBB251_1763
; %bb.1758:
	s_mov_b32 s25, exec_lo
	v_cmpx_lt_i16_e32 6, v7
	s_xor_b32 s25, exec_lo, s25
	s_cbranch_execz .LBB251_1760
; %bb.1759:
	v_cndmask_b32_e64 v3, 0, 1, s7
	s_delay_alu instid0(VALU_DEP_1)
	v_cvt_f64_u32_e32 v[8:9], v3
	flat_store_b64 v[4:5], v[8:9]
                                        ; implicit-def: $vgpr4_vgpr5
.LBB251_1760:
	s_wait_xcnt 0x0
	s_and_not1_saveexec_b32 s25, s25
	s_cbranch_execz .LBB251_1762
; %bb.1761:
	v_cndmask_b32_e64 v3, 0, 1.0, s7
	flat_store_b32 v[4:5], v3
.LBB251_1762:
	s_wait_xcnt 0x0
	s_or_b32 exec_lo, exec_lo, s25
                                        ; implicit-def: $vgpr4_vgpr5
.LBB251_1763:
	s_and_not1_saveexec_b32 s24, s24
	s_cbranch_execz .LBB251_1765
; %bb.1764:
	v_cndmask_b32_e64 v3, 0, 1.0, s7
	s_delay_alu instid0(VALU_DEP_1)
	v_cvt_f16_f32_e32 v3, v3
	flat_store_b16 v[4:5], v3
.LBB251_1765:
	s_wait_xcnt 0x0
	s_or_b32 exec_lo, exec_lo, s24
.LBB251_1766:
	s_delay_alu instid0(SALU_CYCLE_1)
	s_or_b32 exec_lo, exec_lo, s23
                                        ; implicit-def: $vgpr4_vgpr5
.LBB251_1767:
	s_and_not1_saveexec_b32 s22, s22
	s_cbranch_execz .LBB251_1785
; %bb.1768:
	s_mov_b32 s23, exec_lo
	v_cmpx_lt_i16_e32 1, v7
	s_xor_b32 s23, exec_lo, s23
	s_cbranch_execz .LBB251_1778
; %bb.1769:
	s_mov_b32 s24, exec_lo
	v_cmpx_lt_i16_e32 2, v7
	s_xor_b32 s24, exec_lo, s24
	;; [unrolled: 5-line block ×3, first 2 shown]
	s_cbranch_execz .LBB251_1772
; %bb.1771:
	s_mov_b32 s26, 0
	v_cndmask_b32_e64 v8, 0, 1, s7
	v_mov_b32_e32 v9, s26
	flat_store_b64 v[4:5], v[8:9]
                                        ; implicit-def: $vgpr4_vgpr5
.LBB251_1772:
	s_wait_xcnt 0x0
	s_and_not1_saveexec_b32 s25, s25
	s_cbranch_execz .LBB251_1774
; %bb.1773:
	v_cndmask_b32_e64 v3, 0, 1, s7
	flat_store_b32 v[4:5], v3
.LBB251_1774:
	s_wait_xcnt 0x0
	s_or_b32 exec_lo, exec_lo, s25
                                        ; implicit-def: $vgpr4_vgpr5
.LBB251_1775:
	s_and_not1_saveexec_b32 s24, s24
	s_cbranch_execz .LBB251_1777
; %bb.1776:
	v_cndmask_b32_e64 v3, 0, 1, s7
	flat_store_b16 v[4:5], v3
.LBB251_1777:
	s_wait_xcnt 0x0
	s_or_b32 exec_lo, exec_lo, s24
                                        ; implicit-def: $vgpr4_vgpr5
.LBB251_1778:
	s_and_not1_saveexec_b32 s23, s23
	s_cbranch_execz .LBB251_1784
; %bb.1779:
	v_cndmask_b32_e64 v3, 0, 1, s7
	s_mov_b32 s7, exec_lo
	v_cmpx_lt_i16_e32 0, v7
	s_xor_b32 s7, exec_lo, s7
	s_cbranch_execz .LBB251_1781
; %bb.1780:
	flat_store_b8 v[4:5], v3
                                        ; implicit-def: $vgpr4_vgpr5
                                        ; implicit-def: $vgpr3
.LBB251_1781:
	s_wait_xcnt 0x0
	s_and_not1_saveexec_b32 s7, s7
	s_cbranch_execz .LBB251_1783
; %bb.1782:
	flat_store_b8 v[4:5], v3
.LBB251_1783:
	s_wait_xcnt 0x0
	s_or_b32 exec_lo, exec_lo, s7
.LBB251_1784:
	s_delay_alu instid0(SALU_CYCLE_1)
	s_or_b32 exec_lo, exec_lo, s23
.LBB251_1785:
	s_delay_alu instid0(SALU_CYCLE_1) | instskip(NEXT) | instid1(SALU_CYCLE_1)
	s_or_b32 exec_lo, exec_lo, s22
	s_or_b32 s0, s0, exec_lo
.LBB251_1786:
	s_or_b32 exec_lo, exec_lo, s21
	s_mov_b32 s21, 0
	s_mov_b32 s23, 0
                                        ; implicit-def: $vgpr12_vgpr13
	s_and_saveexec_b32 s7, s0
	s_cbranch_execz .LBB251_1912
; %bb.1787:
	v_add_nc_u32_e32 v2, v2, v6
	s_mov_b32 s0, 0
	s_mov_b32 s21, s20
	s_mov_b32 s22, exec_lo
	s_delay_alu instid0(VALU_DEP_1) | instskip(NEXT) | instid1(VALU_DEP_1)
	v_ashrrev_i32_e32 v3, 31, v2
	v_add_nc_u64_e32 v[4:5], v[0:1], v[2:3]
	v_cmpx_lt_i16_e32 10, v7
	s_xor_b32 s22, exec_lo, s22
	s_cbranch_execz .LBB251_1828
; %bb.1788:
	s_mov_b32 s21, 0
	s_mov_b32 s24, exec_lo
	v_cmpx_lt_i16_e32 25, v7
	s_xor_b32 s24, exec_lo, s24
	s_cbranch_execz .LBB251_2636
; %bb.1789:
	s_mov_b32 s25, 0
	s_mov_b32 s21, exec_lo
	;; [unrolled: 6-line block ×4, first 2 shown]
	v_cmpx_lt_i16_e32 45, v7
	s_xor_b32 s0, exec_lo, s0
	s_cbranch_execz .LBB251_1795
; %bb.1792:
	s_mov_b32 s28, -1
	s_mov_b32 s27, exec_lo
	v_cmpx_eq_u16_e32 46, v7
	s_cbranch_execz .LBB251_1794
; %bb.1793:
	v_cndmask_b32_e64 v3, 0, 1.0, s11
	s_mov_b32 s26, exec_lo
	s_xor_b32 s28, exec_lo, -1
	s_delay_alu instid0(VALU_DEP_1) | instskip(NEXT) | instid1(VALU_DEP_1)
	v_bfe_u32 v8, v3, 16, 1
	v_add3_u32 v3, v3, v8, 0x7fff
	s_delay_alu instid0(VALU_DEP_1)
	v_lshrrev_b32_e32 v3, 16, v3
	flat_store_b32 v[4:5], v3
.LBB251_1794:
	s_wait_xcnt 0x0
	s_or_b32 exec_lo, exec_lo, s27
	s_delay_alu instid0(SALU_CYCLE_1)
	s_and_b32 s27, s26, exec_lo
	s_and_b32 s26, s28, exec_lo
.LBB251_1795:
	s_and_not1_saveexec_b32 s28, s0
	s_cbranch_execz .LBB251_1801
; %bb.1796:
	s_mov_b32 s0, -1
	s_mov_b32 s30, s27
	s_mov_b32 s29, exec_lo
	v_cmpx_eq_u16_e32 44, v7
	s_cbranch_execz .LBB251_1800
; %bb.1797:
	v_cndmask_b32_e64 v9, 0, 1.0, s11
	s_mov_b32 s30, exec_lo
	s_delay_alu instid0(VALU_DEP_1) | instskip(NEXT) | instid1(VALU_DEP_1)
	v_dual_mov_b32 v8, 0xff :: v_dual_lshrrev_b32 v3, 23, v9
	v_cmpx_ne_u32_e32 0xff, v3
; %bb.1798:
	v_and_b32_e32 v8, 0x400000, v9
	v_and_or_b32 v9, 0x3fffff, v9, v3
	s_delay_alu instid0(VALU_DEP_2) | instskip(NEXT) | instid1(VALU_DEP_2)
	v_cmp_ne_u32_e32 vcc_lo, 0, v8
	v_cmp_ne_u32_e64 s0, 0, v9
	s_and_b32 s0, vcc_lo, s0
	s_delay_alu instid0(SALU_CYCLE_1) | instskip(NEXT) | instid1(VALU_DEP_1)
	v_cndmask_b32_e64 v8, 0, 1, s0
	v_add_nc_u32_e32 v8, v3, v8
; %bb.1799:
	s_or_b32 exec_lo, exec_lo, s30
	s_delay_alu instid0(SALU_CYCLE_1)
	s_or_b32 s30, s27, exec_lo
	s_xor_b32 s0, exec_lo, -1
	flat_store_b8 v[4:5], v8
.LBB251_1800:
	s_wait_xcnt 0x0
	s_or_b32 exec_lo, exec_lo, s29
	s_delay_alu instid0(SALU_CYCLE_1)
	s_and_not1_b32 s27, s27, exec_lo
	s_and_b32 s29, s30, exec_lo
	s_and_not1_b32 s26, s26, exec_lo
	s_and_b32 s0, s0, exec_lo
	s_or_b32 s27, s27, s29
	s_or_b32 s26, s26, s0
.LBB251_1801:
	s_or_b32 exec_lo, exec_lo, s28
	s_delay_alu instid0(SALU_CYCLE_1)
	s_and_b32 s0, s27, exec_lo
	s_and_b32 s26, s26, exec_lo
.LBB251_1802:
	s_and_not1_saveexec_b32 s25, s25
	s_cbranch_execz .LBB251_1806
; %bb.1803:
	s_mov_b32 s27, -1
	s_mov_b32 s29, s0
	s_mov_b32 s28, exec_lo
	v_cmpx_eq_u16_e32 29, v7
	s_cbranch_execz .LBB251_1805
; %bb.1804:
	s_mov_b32 s27, 0
	v_cndmask_b32_e64 v8, 0, 1, s11
	v_mov_b32_e32 v9, s27
	s_or_b32 s29, s0, exec_lo
	s_xor_b32 s27, exec_lo, -1
	flat_store_b64 v[4:5], v[8:9]
.LBB251_1805:
	s_wait_xcnt 0x0
	s_or_b32 exec_lo, exec_lo, s28
	s_delay_alu instid0(SALU_CYCLE_1)
	s_and_not1_b32 s0, s0, exec_lo
	s_and_b32 s28, s29, exec_lo
	s_and_not1_b32 s26, s26, exec_lo
	s_and_b32 s27, s27, exec_lo
	s_or_b32 s0, s0, s28
	s_or_b32 s26, s26, s27
.LBB251_1806:
	s_or_b32 exec_lo, exec_lo, s25
	s_delay_alu instid0(SALU_CYCLE_1)
	s_and_b32 s0, s0, exec_lo
	s_and_b32 s25, s26, exec_lo
.LBB251_1807:
	s_and_not1_saveexec_b32 s21, s21
	s_cbranch_execz .LBB251_1823
; %bb.1808:
	s_mov_b32 s26, exec_lo
	v_cmpx_lt_i16_e32 26, v7
	s_xor_b32 s26, exec_lo, s26
	s_cbranch_execz .LBB251_1814
; %bb.1809:
	s_mov_b32 s27, exec_lo
	v_cmpx_lt_i16_e32 27, v7
	s_xor_b32 s27, exec_lo, s27
	s_cbranch_execz .LBB251_1811
; %bb.1810:
	v_cndmask_b32_e64 v3, 0, 1, s11
	flat_store_b32 v[4:5], v3
.LBB251_1811:
	s_wait_xcnt 0x0
	s_and_not1_saveexec_b32 s27, s27
	s_cbranch_execz .LBB251_1813
; %bb.1812:
	v_cndmask_b32_e64 v3, 0, 1, s11
	flat_store_b16 v[4:5], v3
.LBB251_1813:
	s_wait_xcnt 0x0
	s_or_b32 exec_lo, exec_lo, s27
.LBB251_1814:
	s_and_not1_saveexec_b32 s26, s26
	s_cbranch_execz .LBB251_1822
; %bb.1815:
	v_cndmask_b32_e64 v8, 0, 1.0, s11
	v_mov_b32_e32 v9, 0x80
	s_mov_b32 s27, exec_lo
	s_delay_alu instid0(VALU_DEP_2)
	v_cmpx_gt_u32_e32 0x43800000, v8
	s_cbranch_execz .LBB251_1821
; %bb.1816:
	s_mov_b32 s28, 0
	s_mov_b32 s29, exec_lo
                                        ; implicit-def: $vgpr3
	v_cmpx_lt_u32_e32 0x3bffffff, v8
	s_xor_b32 s29, exec_lo, s29
	s_cbranch_execz .LBB251_2806
; %bb.1817:
	v_bfe_u32 v3, v8, 20, 1
	s_mov_b32 s28, exec_lo
	s_delay_alu instid0(VALU_DEP_1) | instskip(NEXT) | instid1(VALU_DEP_1)
	v_add3_u32 v3, v8, v3, 0x487ffff
                                        ; implicit-def: $vgpr8
	v_lshrrev_b32_e32 v3, 20, v3
	s_and_not1_saveexec_b32 s29, s29
	s_cbranch_execnz .LBB251_2807
.LBB251_1818:
	s_or_b32 exec_lo, exec_lo, s29
	v_mov_b32_e32 v9, 0
	s_and_saveexec_b32 s29, s28
.LBB251_1819:
	v_mov_b32_e32 v9, v3
.LBB251_1820:
	s_or_b32 exec_lo, exec_lo, s29
.LBB251_1821:
	s_delay_alu instid0(SALU_CYCLE_1)
	s_or_b32 exec_lo, exec_lo, s27
	flat_store_b8 v[4:5], v9
.LBB251_1822:
	s_wait_xcnt 0x0
	s_or_b32 exec_lo, exec_lo, s26
	s_delay_alu instid0(SALU_CYCLE_1)
	s_or_b32 s0, s0, exec_lo
.LBB251_1823:
	s_or_b32 exec_lo, exec_lo, s21
	s_delay_alu instid0(SALU_CYCLE_1)
	s_and_b32 s0, s0, exec_lo
	s_and_b32 s21, s25, exec_lo
	s_and_not1_saveexec_b32 s24, s24
	s_cbranch_execnz .LBB251_2637
.LBB251_1824:
	s_or_b32 exec_lo, exec_lo, s24
	s_mov_b32 s24, s20
	s_and_saveexec_b32 s25, s21
	s_cbranch_execnz .LBB251_2678
.LBB251_1825:
	s_or_b32 exec_lo, exec_lo, s25
	s_and_saveexec_b32 s21, s23
	s_delay_alu instid0(SALU_CYCLE_1)
	s_xor_b32 s21, exec_lo, s21
	s_cbranch_execz .LBB251_1827
.LBB251_1826:
	v_cndmask_b32_e64 v3, 0, 1, s11
	s_or_b32 s0, s0, exec_lo
	flat_store_b8 v[4:5], v3
.LBB251_1827:
	s_wait_xcnt 0x0
	s_or_b32 exec_lo, exec_lo, s21
	s_delay_alu instid0(SALU_CYCLE_1)
	s_and_not1_b32 s21, s20, exec_lo
	s_and_b32 s23, s24, exec_lo
	s_and_b32 s0, s0, exec_lo
	s_or_b32 s21, s21, s23
                                        ; implicit-def: $vgpr4_vgpr5
.LBB251_1828:
	s_and_not1_saveexec_b32 s22, s22
	s_cbranch_execz .LBB251_1870
; %bb.1829:
	s_mov_b32 s23, exec_lo
	v_cmpx_lt_i16_e32 4, v7
	s_xor_b32 s23, exec_lo, s23
	s_cbranch_execz .LBB251_1851
; %bb.1830:
	s_mov_b32 s24, exec_lo
	v_cmpx_lt_i16_e32 7, v7
	s_xor_b32 s24, exec_lo, s24
	;; [unrolled: 5-line block ×4, first 2 shown]
	s_cbranch_execz .LBB251_1834
; %bb.1833:
	v_cndmask_b32_e64 v3, 0, 1, s11
	v_mov_b32_e32 v10, 0
	s_delay_alu instid0(VALU_DEP_2) | instskip(NEXT) | instid1(VALU_DEP_2)
	v_cvt_f64_u32_e32 v[8:9], v3
	v_mov_b32_e32 v11, v10
	flat_store_b128 v[4:5], v[8:11]
                                        ; implicit-def: $vgpr4_vgpr5
.LBB251_1834:
	s_wait_xcnt 0x0
	s_and_not1_saveexec_b32 s26, s26
	s_cbranch_execz .LBB251_1836
; %bb.1835:
	v_cndmask_b32_e64 v8, 0, 1.0, s11
	v_mov_b32_e32 v9, 0
	flat_store_b64 v[4:5], v[8:9]
.LBB251_1836:
	s_wait_xcnt 0x0
	s_or_b32 exec_lo, exec_lo, s26
                                        ; implicit-def: $vgpr4_vgpr5
.LBB251_1837:
	s_and_not1_saveexec_b32 s25, s25
	s_cbranch_execz .LBB251_1839
; %bb.1838:
	v_cndmask_b32_e64 v3, 0, 1.0, s11
	s_delay_alu instid0(VALU_DEP_1) | instskip(NEXT) | instid1(VALU_DEP_1)
	v_cvt_f16_f32_e32 v3, v3
	v_and_b32_e32 v3, 0xffff, v3
	flat_store_b32 v[4:5], v3
.LBB251_1839:
	s_wait_xcnt 0x0
	s_or_b32 exec_lo, exec_lo, s25
                                        ; implicit-def: $vgpr4_vgpr5
.LBB251_1840:
	s_and_not1_saveexec_b32 s24, s24
	s_cbranch_execz .LBB251_1850
; %bb.1841:
	s_mov_b32 s25, exec_lo
	v_cmpx_lt_i16_e32 5, v7
	s_xor_b32 s25, exec_lo, s25
	s_cbranch_execz .LBB251_1847
; %bb.1842:
	s_mov_b32 s26, exec_lo
	v_cmpx_lt_i16_e32 6, v7
	s_xor_b32 s26, exec_lo, s26
	s_cbranch_execz .LBB251_1844
; %bb.1843:
	v_cndmask_b32_e64 v3, 0, 1, s11
	s_delay_alu instid0(VALU_DEP_1)
	v_cvt_f64_u32_e32 v[8:9], v3
	flat_store_b64 v[4:5], v[8:9]
                                        ; implicit-def: $vgpr4_vgpr5
.LBB251_1844:
	s_wait_xcnt 0x0
	s_and_not1_saveexec_b32 s26, s26
	s_cbranch_execz .LBB251_1846
; %bb.1845:
	v_cndmask_b32_e64 v3, 0, 1.0, s11
	flat_store_b32 v[4:5], v3
.LBB251_1846:
	s_wait_xcnt 0x0
	s_or_b32 exec_lo, exec_lo, s26
                                        ; implicit-def: $vgpr4_vgpr5
.LBB251_1847:
	s_and_not1_saveexec_b32 s25, s25
	s_cbranch_execz .LBB251_1849
; %bb.1848:
	v_cndmask_b32_e64 v3, 0, 1.0, s11
	s_delay_alu instid0(VALU_DEP_1)
	v_cvt_f16_f32_e32 v3, v3
	flat_store_b16 v[4:5], v3
.LBB251_1849:
	s_wait_xcnt 0x0
	s_or_b32 exec_lo, exec_lo, s25
.LBB251_1850:
	s_delay_alu instid0(SALU_CYCLE_1)
	s_or_b32 exec_lo, exec_lo, s24
                                        ; implicit-def: $vgpr4_vgpr5
.LBB251_1851:
	s_and_not1_saveexec_b32 s23, s23
	s_cbranch_execz .LBB251_1869
; %bb.1852:
	s_mov_b32 s24, exec_lo
	v_cmpx_lt_i16_e32 1, v7
	s_xor_b32 s24, exec_lo, s24
	s_cbranch_execz .LBB251_1862
; %bb.1853:
	s_mov_b32 s25, exec_lo
	v_cmpx_lt_i16_e32 2, v7
	s_xor_b32 s25, exec_lo, s25
	;; [unrolled: 5-line block ×3, first 2 shown]
	s_cbranch_execz .LBB251_1856
; %bb.1855:
	s_mov_b32 s27, 0
	v_cndmask_b32_e64 v8, 0, 1, s11
	v_mov_b32_e32 v9, s27
	flat_store_b64 v[4:5], v[8:9]
                                        ; implicit-def: $vgpr4_vgpr5
.LBB251_1856:
	s_wait_xcnt 0x0
	s_and_not1_saveexec_b32 s26, s26
	s_cbranch_execz .LBB251_1858
; %bb.1857:
	v_cndmask_b32_e64 v3, 0, 1, s11
	flat_store_b32 v[4:5], v3
.LBB251_1858:
	s_wait_xcnt 0x0
	s_or_b32 exec_lo, exec_lo, s26
                                        ; implicit-def: $vgpr4_vgpr5
.LBB251_1859:
	s_and_not1_saveexec_b32 s25, s25
	s_cbranch_execz .LBB251_1861
; %bb.1860:
	v_cndmask_b32_e64 v3, 0, 1, s11
	flat_store_b16 v[4:5], v3
.LBB251_1861:
	s_wait_xcnt 0x0
	s_or_b32 exec_lo, exec_lo, s25
                                        ; implicit-def: $vgpr4_vgpr5
.LBB251_1862:
	s_and_not1_saveexec_b32 s24, s24
	s_cbranch_execz .LBB251_1868
; %bb.1863:
	v_cndmask_b32_e64 v3, 0, 1, s11
	s_mov_b32 s11, exec_lo
	v_cmpx_lt_i16_e32 0, v7
	s_xor_b32 s11, exec_lo, s11
	s_cbranch_execz .LBB251_1865
; %bb.1864:
	flat_store_b8 v[4:5], v3
                                        ; implicit-def: $vgpr4_vgpr5
                                        ; implicit-def: $vgpr3
.LBB251_1865:
	s_wait_xcnt 0x0
	s_and_not1_saveexec_b32 s11, s11
	s_cbranch_execz .LBB251_1867
; %bb.1866:
	flat_store_b8 v[4:5], v3
.LBB251_1867:
	s_wait_xcnt 0x0
	s_or_b32 exec_lo, exec_lo, s11
.LBB251_1868:
	s_delay_alu instid0(SALU_CYCLE_1)
	s_or_b32 exec_lo, exec_lo, s24
.LBB251_1869:
	s_delay_alu instid0(SALU_CYCLE_1) | instskip(NEXT) | instid1(SALU_CYCLE_1)
	s_or_b32 exec_lo, exec_lo, s23
	s_or_b32 s0, s0, exec_lo
.LBB251_1870:
	s_or_b32 exec_lo, exec_lo, s22
	s_mov_b32 s22, 0
	s_mov_b32 s23, 0
                                        ; implicit-def: $vgpr12_vgpr13
	s_and_saveexec_b32 s11, s0
	s_cbranch_execz .LBB251_1911
; %bb.1871:
	v_add_nc_u32_e32 v2, v2, v6
	s_mov_b32 s0, 0
	s_mov_b32 s23, -1
	s_mov_b32 s24, s21
	s_mov_b32 s22, exec_lo
	v_ashrrev_i32_e32 v3, 31, v2
	s_delay_alu instid0(VALU_DEP_1)
	v_add_nc_u64_e32 v[12:13], v[0:1], v[2:3]
	v_cmpx_lt_i16_e32 10, v7
	s_cbranch_execz .LBB251_1910
; %bb.1872:
	s_mov_b32 s24, 0
	s_mov_b32 s23, exec_lo
	v_cmpx_lt_i16_e32 25, v7
	s_xor_b32 s23, exec_lo, s23
	s_cbranch_execz .LBB251_2721
; %bb.1873:
	s_mov_b32 s25, exec_lo
	v_cmpx_lt_i16_e32 28, v7
	s_xor_b32 s25, exec_lo, s25
	s_cbranch_execz .LBB251_1891
; %bb.1874:
	;; [unrolled: 5-line block ×3, first 2 shown]
	s_mov_b32 s27, 0
	s_mov_b32 s0, exec_lo
	v_cmpx_lt_i16_e32 45, v7
	s_xor_b32 s0, exec_lo, s0
	s_cbranch_execz .LBB251_1879
; %bb.1876:
	s_mov_b32 s28, -1
	s_mov_b32 s27, exec_lo
	v_cmpx_eq_u16_e32 46, v7
	s_cbranch_execz .LBB251_1878
; %bb.1877:
	v_cndmask_b32_e64 v0, 0, 1.0, s18
	s_xor_b32 s28, exec_lo, -1
	s_delay_alu instid0(VALU_DEP_1) | instskip(NEXT) | instid1(VALU_DEP_1)
	v_bfe_u32 v1, v0, 16, 1
	v_add3_u32 v0, v0, v1, 0x7fff
	s_delay_alu instid0(VALU_DEP_1)
	v_lshrrev_b32_e32 v0, 16, v0
	flat_store_b32 v[12:13], v0
.LBB251_1878:
	s_wait_xcnt 0x0
	s_or_b32 exec_lo, exec_lo, s27
	s_delay_alu instid0(SALU_CYCLE_1)
	s_and_b32 s27, s28, exec_lo
.LBB251_1879:
	s_and_not1_saveexec_b32 s28, s0
	s_cbranch_execz .LBB251_1885
; %bb.1880:
	s_mov_b32 s0, -1
	s_mov_b32 s29, exec_lo
	v_cmpx_eq_u16_e32 44, v7
	s_cbranch_execz .LBB251_1884
; %bb.1881:
	v_cndmask_b32_e64 v2, 0, 1.0, s18
	s_mov_b32 s30, exec_lo
	s_delay_alu instid0(VALU_DEP_1) | instskip(NEXT) | instid1(VALU_DEP_1)
	v_dual_mov_b32 v1, 0xff :: v_dual_lshrrev_b32 v0, 23, v2
	v_cmpx_ne_u32_e32 0xff, v0
; %bb.1882:
	v_and_b32_e32 v1, 0x400000, v2
	v_and_or_b32 v2, 0x3fffff, v2, v0
	s_delay_alu instid0(VALU_DEP_2) | instskip(NEXT) | instid1(VALU_DEP_2)
	v_cmp_ne_u32_e32 vcc_lo, 0, v1
	v_cmp_ne_u32_e64 s0, 0, v2
	s_and_b32 s0, vcc_lo, s0
	s_delay_alu instid0(SALU_CYCLE_1) | instskip(NEXT) | instid1(VALU_DEP_1)
	v_cndmask_b32_e64 v1, 0, 1, s0
	v_add_nc_u32_e32 v1, v0, v1
; %bb.1883:
	s_or_b32 exec_lo, exec_lo, s30
	s_delay_alu instid0(SALU_CYCLE_1)
	s_xor_b32 s0, exec_lo, -1
	flat_store_b8 v[12:13], v1
.LBB251_1884:
	s_wait_xcnt 0x0
	s_or_b32 exec_lo, exec_lo, s29
	s_delay_alu instid0(SALU_CYCLE_1) | instskip(SKIP_1) | instid1(SALU_CYCLE_1)
	s_and_not1_b32 s27, s27, exec_lo
	s_and_b32 s0, s0, exec_lo
	s_or_b32 s27, s27, s0
.LBB251_1885:
	s_or_b32 exec_lo, exec_lo, s28
	s_delay_alu instid0(SALU_CYCLE_1)
	s_and_b32 s0, s27, exec_lo
.LBB251_1886:
	s_and_not1_saveexec_b32 s26, s26
	s_cbranch_execz .LBB251_1890
; %bb.1887:
	s_mov_b32 s28, -1
	s_mov_b32 s27, exec_lo
	v_cmpx_eq_u16_e32 29, v7
	s_cbranch_execz .LBB251_1889
; %bb.1888:
	s_mov_b32 s28, 0
	v_cndmask_b32_e64 v0, 0, 1, s18
	v_mov_b32_e32 v1, s28
	s_xor_b32 s28, exec_lo, -1
	flat_store_b64 v[12:13], v[0:1]
.LBB251_1889:
	s_wait_xcnt 0x0
	s_or_b32 exec_lo, exec_lo, s27
	s_delay_alu instid0(SALU_CYCLE_1) | instskip(SKIP_1) | instid1(SALU_CYCLE_1)
	s_and_not1_b32 s0, s0, exec_lo
	s_and_b32 s27, s28, exec_lo
	s_or_b32 s0, s0, s27
.LBB251_1890:
	s_or_b32 exec_lo, exec_lo, s26
	s_delay_alu instid0(SALU_CYCLE_1)
	s_and_b32 s0, s0, exec_lo
.LBB251_1891:
	s_and_not1_saveexec_b32 s25, s25
	s_cbranch_execz .LBB251_1907
; %bb.1892:
	s_mov_b32 s26, exec_lo
	v_cmpx_lt_i16_e32 26, v7
	s_xor_b32 s26, exec_lo, s26
	s_cbranch_execz .LBB251_1898
; %bb.1893:
	v_cndmask_b32_e64 v0, 0, 1, s18
	s_mov_b32 s27, exec_lo
	v_cmpx_lt_i16_e32 27, v7
	s_xor_b32 s27, exec_lo, s27
	s_cbranch_execz .LBB251_1895
; %bb.1894:
	flat_store_b32 v[12:13], v0
                                        ; implicit-def: $vgpr0
.LBB251_1895:
	s_wait_xcnt 0x0
	s_and_not1_saveexec_b32 s27, s27
	s_cbranch_execz .LBB251_1897
; %bb.1896:
	flat_store_b16 v[12:13], v0
.LBB251_1897:
	s_wait_xcnt 0x0
	s_or_b32 exec_lo, exec_lo, s27
.LBB251_1898:
	s_and_not1_saveexec_b32 s26, s26
	s_cbranch_execz .LBB251_1906
; %bb.1899:
	v_cndmask_b32_e64 v1, 0, 1.0, s18
	v_mov_b32_e32 v2, 0x80
	s_mov_b32 s27, exec_lo
	s_delay_alu instid0(VALU_DEP_2)
	v_cmpx_gt_u32_e32 0x43800000, v1
	s_cbranch_execz .LBB251_1905
; %bb.1900:
	s_mov_b32 s28, 0
	s_mov_b32 s29, exec_lo
                                        ; implicit-def: $vgpr0
	v_cmpx_lt_u32_e32 0x3bffffff, v1
	s_xor_b32 s29, exec_lo, s29
	s_cbranch_execz .LBB251_2810
; %bb.1901:
	v_bfe_u32 v0, v1, 20, 1
	s_mov_b32 s28, exec_lo
	s_delay_alu instid0(VALU_DEP_1) | instskip(NEXT) | instid1(VALU_DEP_1)
	v_add3_u32 v0, v1, v0, 0x487ffff
                                        ; implicit-def: $vgpr1
	v_lshrrev_b32_e32 v0, 20, v0
	s_and_not1_saveexec_b32 s29, s29
	s_cbranch_execnz .LBB251_2811
.LBB251_1902:
	s_or_b32 exec_lo, exec_lo, s29
	v_mov_b32_e32 v2, 0
	s_and_saveexec_b32 s29, s28
.LBB251_1903:
	v_mov_b32_e32 v2, v0
.LBB251_1904:
	s_or_b32 exec_lo, exec_lo, s29
.LBB251_1905:
	s_delay_alu instid0(SALU_CYCLE_1)
	s_or_b32 exec_lo, exec_lo, s27
	flat_store_b8 v[12:13], v2
.LBB251_1906:
	s_wait_xcnt 0x0
	s_or_b32 exec_lo, exec_lo, s26
.LBB251_1907:
	s_delay_alu instid0(SALU_CYCLE_1) | instskip(NEXT) | instid1(SALU_CYCLE_1)
	s_or_b32 exec_lo, exec_lo, s25
	s_and_b32 s0, s0, exec_lo
	s_and_not1_saveexec_b32 s23, s23
	s_cbranch_execnz .LBB251_2722
.LBB251_1908:
	s_or_b32 exec_lo, exec_lo, s23
	s_mov_b32 s25, s21
	s_and_saveexec_b32 s23, s0
	s_cbranch_execnz .LBB251_2763
.LBB251_1909:
	s_or_b32 exec_lo, exec_lo, s23
	s_delay_alu instid0(SALU_CYCLE_1)
	s_and_not1_b32 s26, s21, exec_lo
	s_and_b32 s25, s25, exec_lo
	s_xor_b32 s23, exec_lo, -1
	s_and_b32 s0, s24, exec_lo
	s_or_b32 s24, s26, s25
.LBB251_1910:
	s_or_b32 exec_lo, exec_lo, s22
	s_delay_alu instid0(SALU_CYCLE_1)
	s_and_not1_b32 s21, s21, exec_lo
	s_and_b32 s24, s24, exec_lo
	s_and_b32 s23, s23, exec_lo
	;; [unrolled: 1-line block ×3, first 2 shown]
	s_or_b32 s21, s21, s24
.LBB251_1911:
	s_or_b32 exec_lo, exec_lo, s11
	s_delay_alu instid0(SALU_CYCLE_1)
	s_and_not1_b32 s0, s20, exec_lo
	s_and_b32 s11, s21, exec_lo
	s_and_b32 s23, s23, exec_lo
	;; [unrolled: 1-line block ×3, first 2 shown]
	s_or_b32 s20, s0, s11
.LBB251_1912:
	s_or_b32 exec_lo, exec_lo, s7
	s_delay_alu instid0(SALU_CYCLE_1)
	s_and_not1_b32 s1, s1, exec_lo
	s_and_b32 s7, s20, exec_lo
	s_and_b32 s22, s23, exec_lo
	;; [unrolled: 1-line block ×3, first 2 shown]
	s_or_b32 s1, s1, s7
.LBB251_1913:
	s_or_b32 exec_lo, exec_lo, s19
	s_delay_alu instid0(SALU_CYCLE_1)
	s_and_not1_b32 s7, s14, exec_lo
	s_and_b32 s11, s1, exec_lo
	s_and_b32 s20, s22, exec_lo
	s_and_b32 s1, s0, exec_lo
	s_or_b32 s14, s7, s11
.LBB251_1914:
	s_or_b32 exec_lo, exec_lo, s17
	s_delay_alu instid0(SALU_CYCLE_1)
	s_and_not1_b32 s0, s12, exec_lo
	s_and_b32 s7, s14, exec_lo
	s_and_b32 s17, s20, exec_lo
	;; [unrolled: 1-line block ×3, first 2 shown]
	s_or_b32 s12, s0, s7
.LBB251_1915:
	s_or_b32 exec_lo, exec_lo, s13
	s_delay_alu instid0(SALU_CYCLE_1)
	s_and_not1_b32 s0, s9, exec_lo
	s_and_b32 s7, s12, exec_lo
	s_and_b32 s13, s17, exec_lo
	;; [unrolled: 1-line block ×3, first 2 shown]
	s_or_b32 s9, s0, s7
.LBB251_1916:
	s_or_b32 exec_lo, exec_lo, s10
	s_delay_alu instid0(SALU_CYCLE_1)
	s_and_not1_b32 s0, s6, exec_lo
	s_and_b32 s6, s9, exec_lo
	s_and_b32 s10, s13, exec_lo
	;; [unrolled: 1-line block ×3, first 2 shown]
	s_or_b32 s6, s0, s6
.LBB251_1917:
	s_or_b32 exec_lo, exec_lo, s8
	s_delay_alu instid0(SALU_CYCLE_1)
	s_and_not1_b32 s4, s4, exec_lo
	s_and_b32 s6, s6, exec_lo
	s_and_b32 s7, s10, exec_lo
	;; [unrolled: 1-line block ×3, first 2 shown]
	s_or_b32 s4, s4, s6
.LBB251_1918:
	s_or_b32 exec_lo, exec_lo, s5
	s_delay_alu instid0(SALU_CYCLE_1)
	s_and_not1_b32 s2, s2, exec_lo
	s_and_b32 s4, s4, exec_lo
	s_and_b32 s5, s7, exec_lo
	s_and_b32 s1, s0, exec_lo
	s_or_b32 s2, s2, s4
.LBB251_1919:
	s_or_b32 exec_lo, exec_lo, s3
	s_delay_alu instid0(SALU_CYCLE_1)
	s_and_not1_b32 s3, s15, exec_lo
	s_and_b32 s2, s2, exec_lo
	s_and_b32 s0, s5, exec_lo
	;; [unrolled: 1-line block ×3, first 2 shown]
	s_or_b32 s15, s3, s2
	s_or_b32 exec_lo, exec_lo, s16
	s_and_saveexec_b32 s1, s15
	s_cbranch_execnz .LBB251_1923
.LBB251_1920:
	s_or_b32 exec_lo, exec_lo, s1
	s_and_saveexec_b32 s1, s17
	s_delay_alu instid0(SALU_CYCLE_1)
	s_xor_b32 s1, exec_lo, s1
	s_cbranch_execz .LBB251_1924
.LBB251_1921:
	s_wait_loadcnt 0x1
	v_cndmask_b32_e64 v0, 0, 1, s18
	flat_store_b8 v[12:13], v0
	s_wait_xcnt 0x0
	s_or_b32 exec_lo, exec_lo, s1
	s_and_saveexec_b32 s1, s0
	s_cbranch_execz .LBB251_1963
	s_branch .LBB251_1925
.LBB251_1922:
	s_or_b32 exec_lo, exec_lo, s16
	s_and_saveexec_b32 s1, s15
	s_cbranch_execz .LBB251_1920
.LBB251_1923:
	; divergent unreachable
	s_or_b32 exec_lo, exec_lo, s1
	s_and_saveexec_b32 s1, s17
	s_delay_alu instid0(SALU_CYCLE_1)
	s_xor_b32 s1, exec_lo, s1
	s_cbranch_execnz .LBB251_1921
.LBB251_1924:
	s_or_b32 exec_lo, exec_lo, s1
	s_and_saveexec_b32 s1, s0
	s_cbranch_execz .LBB251_1963
.LBB251_1925:
	s_mov_b32 s0, exec_lo
	v_cmpx_lt_i16_e32 4, v7
	s_xor_b32 s0, exec_lo, s0
	s_cbranch_execz .LBB251_1947
; %bb.1926:
	s_mov_b32 s1, exec_lo
	v_cmpx_lt_i16_e32 7, v7
	s_xor_b32 s1, exec_lo, s1
	s_cbranch_execz .LBB251_1936
; %bb.1927:
	;; [unrolled: 5-line block ×4, first 2 shown]
	s_wait_loadcnt 0x1
	v_cndmask_b32_e64 v0, 0, 1, s18
	v_mov_b32_e32 v2, 0
	s_delay_alu instid0(VALU_DEP_2) | instskip(NEXT) | instid1(VALU_DEP_2)
	v_cvt_f64_u32_e32 v[0:1], v0
	v_mov_b32_e32 v3, v2
	flat_store_b128 v[12:13], v[0:3]
.LBB251_1930:
	s_wait_xcnt 0x0
	s_and_not1_saveexec_b32 s3, s3
	s_cbranch_execz .LBB251_1932
; %bb.1931:
	s_wait_loadcnt 0x1
	v_cndmask_b32_e64 v0, 0, 1.0, s18
	v_mov_b32_e32 v1, 0
	flat_store_b64 v[12:13], v[0:1]
.LBB251_1932:
	s_wait_xcnt 0x0
	s_or_b32 exec_lo, exec_lo, s3
.LBB251_1933:
	s_and_not1_saveexec_b32 s2, s2
	s_cbranch_execz .LBB251_1935
; %bb.1934:
	s_wait_loadcnt 0x1
	v_cndmask_b32_e64 v0, 0, 1.0, s18
	s_delay_alu instid0(VALU_DEP_1) | instskip(NEXT) | instid1(VALU_DEP_1)
	v_cvt_f16_f32_e32 v0, v0
	v_and_b32_e32 v0, 0xffff, v0
	flat_store_b32 v[12:13], v0
.LBB251_1935:
	s_wait_xcnt 0x0
	s_or_b32 exec_lo, exec_lo, s2
.LBB251_1936:
	s_and_not1_saveexec_b32 s1, s1
	s_cbranch_execz .LBB251_1946
; %bb.1937:
	s_mov_b32 s2, exec_lo
	v_cmpx_lt_i16_e32 5, v7
	s_xor_b32 s2, exec_lo, s2
	s_cbranch_execz .LBB251_1943
; %bb.1938:
	s_mov_b32 s3, exec_lo
	v_cmpx_lt_i16_e32 6, v7
	s_xor_b32 s3, exec_lo, s3
	s_cbranch_execz .LBB251_1940
; %bb.1939:
	s_wait_loadcnt 0x1
	v_cndmask_b32_e64 v0, 0, 1, s18
	s_delay_alu instid0(VALU_DEP_1)
	v_cvt_f64_u32_e32 v[0:1], v0
	flat_store_b64 v[12:13], v[0:1]
.LBB251_1940:
	s_wait_xcnt 0x0
	s_and_not1_saveexec_b32 s3, s3
	s_cbranch_execz .LBB251_1942
; %bb.1941:
	s_wait_loadcnt 0x1
	v_cndmask_b32_e64 v0, 0, 1.0, s18
	flat_store_b32 v[12:13], v0
.LBB251_1942:
	s_wait_xcnt 0x0
	s_or_b32 exec_lo, exec_lo, s3
.LBB251_1943:
	s_and_not1_saveexec_b32 s2, s2
	s_cbranch_execz .LBB251_1945
; %bb.1944:
	s_wait_loadcnt 0x1
	v_cndmask_b32_e64 v0, 0, 1.0, s18
	s_delay_alu instid0(VALU_DEP_1)
	v_cvt_f16_f32_e32 v0, v0
	flat_store_b16 v[12:13], v0
.LBB251_1945:
	s_wait_xcnt 0x0
	s_or_b32 exec_lo, exec_lo, s2
.LBB251_1946:
	s_delay_alu instid0(SALU_CYCLE_1)
	s_or_b32 exec_lo, exec_lo, s1
.LBB251_1947:
	s_and_not1_saveexec_b32 s0, s0
	s_cbranch_execz .LBB251_1963
; %bb.1948:
	s_mov_b32 s0, exec_lo
	v_cmpx_lt_i16_e32 1, v7
	s_xor_b32 s0, exec_lo, s0
	s_cbranch_execz .LBB251_1958
; %bb.1949:
	s_mov_b32 s1, exec_lo
	v_cmpx_lt_i16_e32 2, v7
	s_xor_b32 s1, exec_lo, s1
	;; [unrolled: 5-line block ×3, first 2 shown]
	s_cbranch_execz .LBB251_1952
; %bb.1951:
	s_mov_b32 s3, 0
	s_wait_loadcnt 0x1
	v_cndmask_b32_e64 v0, 0, 1, s18
	v_mov_b32_e32 v1, s3
	flat_store_b64 v[12:13], v[0:1]
                                        ; implicit-def: $vgpr12_vgpr13
.LBB251_1952:
	s_wait_xcnt 0x0
	s_and_not1_saveexec_b32 s2, s2
	s_cbranch_execz .LBB251_1954
; %bb.1953:
	s_wait_loadcnt 0x1
	v_cndmask_b32_e64 v0, 0, 1, s18
	flat_store_b32 v[12:13], v0
.LBB251_1954:
	s_wait_xcnt 0x0
	s_or_b32 exec_lo, exec_lo, s2
                                        ; implicit-def: $vgpr12_vgpr13
.LBB251_1955:
	s_and_not1_saveexec_b32 s1, s1
	s_cbranch_execz .LBB251_1957
; %bb.1956:
	s_wait_loadcnt 0x1
	v_cndmask_b32_e64 v0, 0, 1, s18
	flat_store_b16 v[12:13], v0
.LBB251_1957:
	s_wait_xcnt 0x0
	s_or_b32 exec_lo, exec_lo, s1
                                        ; implicit-def: $vgpr12_vgpr13
.LBB251_1958:
	s_and_not1_saveexec_b32 s0, s0
	s_cbranch_execz .LBB251_1963
; %bb.1959:
	s_wait_loadcnt 0x1
	v_cndmask_b32_e64 v0, 0, 1, s18
	s_mov_b32 s0, exec_lo
	v_cmpx_lt_i16_e32 0, v7
	s_xor_b32 s0, exec_lo, s0
	s_cbranch_execz .LBB251_1961
; %bb.1960:
	flat_store_b8 v[12:13], v0
                                        ; implicit-def: $vgpr12_vgpr13
                                        ; implicit-def: $vgpr0
.LBB251_1961:
	s_wait_xcnt 0x0
	s_and_not1_saveexec_b32 s0, s0
	s_cbranch_execz .LBB251_1963
; %bb.1962:
	flat_store_b8 v[12:13], v0
	s_endpgm
.LBB251_1963:
	s_endpgm
.LBB251_1964:
	s_and_not1_saveexec_b32 s2, s2
	s_cbranch_execz .LBB251_84
.LBB251_1965:
	s_mov_b32 s4, exec_lo
	v_cmpx_lt_i16_e32 4, v2
	s_xor_b32 s4, exec_lo, s4
	s_cbranch_execz .LBB251_1987
; %bb.1966:
	s_mov_b32 s5, exec_lo
	v_cmpx_lt_i16_e32 7, v2
	s_xor_b32 s5, exec_lo, s5
	s_cbranch_execz .LBB251_1976
; %bb.1967:
	;; [unrolled: 5-line block ×3, first 2 shown]
	v_cmp_lt_i16_e64 s0, 9, v2
	s_and_saveexec_b32 s7, s0
	s_delay_alu instid0(SALU_CYCLE_1)
	s_xor_b32 s0, exec_lo, s7
	s_cbranch_execz .LBB251_1970
; %bb.1969:
	v_cndmask_b32_e64 v2, 0, 1, vcc_lo
	v_mov_b32_e32 v4, 0
	s_delay_alu instid0(VALU_DEP_2) | instskip(NEXT) | instid1(VALU_DEP_2)
	v_cvt_f64_u32_e32 v[2:3], v2
	v_mov_b32_e32 v5, v4
	flat_store_b128 v[0:1], v[2:5]
                                        ; implicit-def: $vgpr0_vgpr1
.LBB251_1970:
	s_wait_xcnt 0x0
	s_and_not1_saveexec_b32 s0, s0
	s_cbranch_execz .LBB251_1972
; %bb.1971:
	v_cndmask_b32_e64 v2, 0, 1.0, vcc_lo
	v_mov_b32_e32 v3, 0
	flat_store_b64 v[0:1], v[2:3]
.LBB251_1972:
	s_wait_xcnt 0x0
	s_or_b32 exec_lo, exec_lo, s0
                                        ; implicit-def: $vgpr0_vgpr1
.LBB251_1973:
	s_and_not1_saveexec_b32 s0, s6
	s_cbranch_execz .LBB251_1975
; %bb.1974:
	v_cndmask_b32_e64 v2, 0, 1.0, vcc_lo
	s_delay_alu instid0(VALU_DEP_1) | instskip(NEXT) | instid1(VALU_DEP_1)
	v_cvt_f16_f32_e32 v2, v2
	v_and_b32_e32 v2, 0xffff, v2
	flat_store_b32 v[0:1], v2
.LBB251_1975:
	s_wait_xcnt 0x0
	s_or_b32 exec_lo, exec_lo, s0
                                        ; implicit-def: $vgpr0_vgpr1
                                        ; implicit-def: $vgpr2
.LBB251_1976:
	s_and_not1_saveexec_b32 s5, s5
	s_cbranch_execz .LBB251_1986
; %bb.1977:
	s_mov_b32 s6, exec_lo
	v_cmpx_lt_i16_e32 5, v2
	s_xor_b32 s6, exec_lo, s6
	s_cbranch_execz .LBB251_1983
; %bb.1978:
	v_cmp_lt_i16_e64 s0, 6, v2
	s_and_saveexec_b32 s7, s0
	s_delay_alu instid0(SALU_CYCLE_1)
	s_xor_b32 s0, exec_lo, s7
	s_cbranch_execz .LBB251_1980
; %bb.1979:
	v_cndmask_b32_e64 v2, 0, 1, vcc_lo
	s_delay_alu instid0(VALU_DEP_1)
	v_cvt_f64_u32_e32 v[2:3], v2
	flat_store_b64 v[0:1], v[2:3]
                                        ; implicit-def: $vgpr0_vgpr1
.LBB251_1980:
	s_wait_xcnt 0x0
	s_and_not1_saveexec_b32 s0, s0
	s_cbranch_execz .LBB251_1982
; %bb.1981:
	v_cndmask_b32_e64 v2, 0, 1.0, vcc_lo
	flat_store_b32 v[0:1], v2
.LBB251_1982:
	s_wait_xcnt 0x0
	s_or_b32 exec_lo, exec_lo, s0
                                        ; implicit-def: $vgpr0_vgpr1
.LBB251_1983:
	s_and_not1_saveexec_b32 s0, s6
	s_cbranch_execz .LBB251_1985
; %bb.1984:
	v_cndmask_b32_e64 v2, 0, 1.0, vcc_lo
	s_delay_alu instid0(VALU_DEP_1)
	v_cvt_f16_f32_e32 v2, v2
	flat_store_b16 v[0:1], v2
.LBB251_1985:
	s_wait_xcnt 0x0
	s_or_b32 exec_lo, exec_lo, s0
.LBB251_1986:
	s_delay_alu instid0(SALU_CYCLE_1)
	s_or_b32 exec_lo, exec_lo, s5
                                        ; implicit-def: $vgpr2
                                        ; implicit-def: $vgpr0_vgpr1
.LBB251_1987:
	s_and_not1_saveexec_b32 s4, s4
	s_cbranch_execz .LBB251_2005
; %bb.1988:
	s_mov_b32 s5, exec_lo
	v_cmpx_lt_i16_e32 1, v2
	s_xor_b32 s5, exec_lo, s5
	s_cbranch_execz .LBB251_1998
; %bb.1989:
	s_mov_b32 s6, exec_lo
	v_cmpx_lt_i16_e32 2, v2
	s_xor_b32 s6, exec_lo, s6
	s_cbranch_execz .LBB251_1995
; %bb.1990:
	v_cmp_lt_i16_e64 s0, 3, v2
	s_and_saveexec_b32 s7, s0
	s_delay_alu instid0(SALU_CYCLE_1)
	s_xor_b32 s0, exec_lo, s7
	s_cbranch_execz .LBB251_1992
; %bb.1991:
	s_mov_b32 s7, 0
	v_cndmask_b32_e64 v2, 0, 1, vcc_lo
	v_mov_b32_e32 v3, s7
	flat_store_b64 v[0:1], v[2:3]
                                        ; implicit-def: $vgpr0_vgpr1
.LBB251_1992:
	s_wait_xcnt 0x0
	s_and_not1_saveexec_b32 s0, s0
	s_cbranch_execz .LBB251_1994
; %bb.1993:
	v_cndmask_b32_e64 v2, 0, 1, vcc_lo
	flat_store_b32 v[0:1], v2
.LBB251_1994:
	s_wait_xcnt 0x0
	s_or_b32 exec_lo, exec_lo, s0
                                        ; implicit-def: $vgpr0_vgpr1
.LBB251_1995:
	s_and_not1_saveexec_b32 s0, s6
	s_cbranch_execz .LBB251_1997
; %bb.1996:
	v_cndmask_b32_e64 v2, 0, 1, vcc_lo
	flat_store_b16 v[0:1], v2
.LBB251_1997:
	s_wait_xcnt 0x0
	s_or_b32 exec_lo, exec_lo, s0
                                        ; implicit-def: $vgpr0_vgpr1
                                        ; implicit-def: $vgpr2
.LBB251_1998:
	s_and_not1_saveexec_b32 s5, s5
	s_cbranch_execz .LBB251_2004
; %bb.1999:
	v_cmp_lt_i16_e64 s0, 0, v2
	v_cndmask_b32_e64 v2, 0, 1, vcc_lo
	s_and_saveexec_b32 s6, s0
	s_delay_alu instid0(SALU_CYCLE_1)
	s_xor_b32 s0, exec_lo, s6
	s_cbranch_execz .LBB251_2001
; %bb.2000:
	flat_store_b8 v[0:1], v2
                                        ; implicit-def: $vgpr0_vgpr1
                                        ; implicit-def: $vgpr2
.LBB251_2001:
	s_wait_xcnt 0x0
	s_and_not1_saveexec_b32 s0, s0
	s_cbranch_execz .LBB251_2003
; %bb.2002:
	flat_store_b8 v[0:1], v2
.LBB251_2003:
	s_wait_xcnt 0x0
	s_or_b32 exec_lo, exec_lo, s0
.LBB251_2004:
	s_delay_alu instid0(SALU_CYCLE_1)
	s_or_b32 exec_lo, exec_lo, s5
.LBB251_2005:
	s_delay_alu instid0(SALU_CYCLE_1) | instskip(NEXT) | instid1(SALU_CYCLE_1)
	s_or_b32 exec_lo, exec_lo, s4
	s_or_b32 s1, s1, exec_lo
	s_or_b32 exec_lo, exec_lo, s2
	s_mov_b32 s0, 0
	s_and_saveexec_b32 s2, s1
	s_cbranch_execnz .LBB251_85
	s_branch .LBB251_86
.LBB251_2006:
	s_and_not1_saveexec_b32 s3, s3
	s_cbranch_execz .LBB251_466
.LBB251_2007:
	s_mov_b32 s6, s4
	s_mov_b32 s2, exec_lo
                                        ; implicit-def: $vgpr21
	v_cmpx_lt_i16_e32 22, v18
	s_xor_b32 s2, exec_lo, s2
	s_cbranch_execz .LBB251_2029
; %bb.2008:
	s_mov_b32 s6, exec_lo
                                        ; implicit-def: $vgpr21
	v_cmpx_lt_i16_e32 23, v18
	s_xor_b32 s6, exec_lo, s6
	s_cbranch_execz .LBB251_2020
; %bb.2009:
	v_cmp_lt_i16_e64 s0, 24, v18
                                        ; implicit-def: $vgpr21
	s_and_saveexec_b32 s7, s0
	s_delay_alu instid0(SALU_CYCLE_1)
	s_xor_b32 s0, exec_lo, s7
	s_cbranch_execz .LBB251_2011
; %bb.2010:
	flat_load_u8 v21, v[2:3]
.LBB251_2011:
	s_wait_xcnt 0x0
	s_and_not1_saveexec_b32 s7, s0
	s_cbranch_execz .LBB251_2019
; %bb.2012:
	flat_load_u8 v7, v[2:3]
	s_wait_loadcnt_dscnt 0x101
	v_mov_b32_e32 v21, 0x80
	s_mov_b32 s9, 0
	s_mov_b32 s8, exec_lo
	s_wait_loadcnt_dscnt 0x0
	v_lshlrev_b32_e32 v7, 24, v7
	s_delay_alu instid0(VALU_DEP_1) | instskip(NEXT) | instid1(VALU_DEP_1)
	v_and_b32_e32 v9, 0x7f000000, v7
	v_clz_i32_u32_e32 v10, v9
	v_add_nc_u32_e32 v12, 0x1000000, v9
	v_cmp_ne_u32_e64 s0, 0, v9
	s_delay_alu instid0(VALU_DEP_3) | instskip(NEXT) | instid1(VALU_DEP_1)
	v_min_u32_e32 v10, 32, v10
	v_sub_nc_u32_e64 v10, v10, 4 clamp
	s_delay_alu instid0(VALU_DEP_1) | instskip(NEXT) | instid1(VALU_DEP_1)
	v_dual_lshlrev_b32 v11, v10, v9 :: v_dual_lshlrev_b32 v10, 23, v10
	v_lshrrev_b32_e32 v11, 4, v11
	s_delay_alu instid0(VALU_DEP_1) | instskip(NEXT) | instid1(VALU_DEP_1)
	v_dual_sub_nc_u32 v10, v11, v10 :: v_dual_ashrrev_i32 v11, 8, v12
	v_add_nc_u32_e32 v10, 0x3c000000, v10
	s_delay_alu instid0(VALU_DEP_1) | instskip(NEXT) | instid1(VALU_DEP_1)
	v_and_or_b32 v10, 0x7f800000, v11, v10
	v_cndmask_b32_e64 v10, 0, v10, s0
	s_delay_alu instid0(VALU_DEP_1) | instskip(NEXT) | instid1(VALU_DEP_1)
	v_and_or_b32 v7, 0x80000000, v7, v10
	v_and_b32_e32 v9, 0x7fffffff, v7
	s_wait_xcnt 0x0
	s_delay_alu instid0(VALU_DEP_1)
	v_cmpx_gt_u32_e32 0x47800000, v9
	s_cbranch_execz .LBB251_2018
; %bb.2013:
	v_cmp_lt_u32_e64 s0, 0x37ffffff, v9
                                        ; implicit-def: $vgpr9
	s_and_saveexec_b32 s10, s0
	s_delay_alu instid0(SALU_CYCLE_1)
	s_xor_b32 s0, exec_lo, s10
	s_cbranch_execz .LBB251_2400
; %bb.2014:
	v_bfe_u32 v9, v10, 21, 1
	s_mov_b32 s9, exec_lo
	s_delay_alu instid0(VALU_DEP_1) | instskip(NEXT) | instid1(VALU_DEP_1)
	v_add3_u32 v9, v7, v9, 0x88fffff
	v_lshrrev_b32_e32 v9, 21, v9
	s_and_not1_saveexec_b32 s10, s0
	s_cbranch_execnz .LBB251_2401
.LBB251_2015:
	s_or_b32 exec_lo, exec_lo, s10
	v_mov_b32_e32 v21, 0
	s_and_saveexec_b32 s0, s9
.LBB251_2016:
	v_lshrrev_b32_e32 v7, 24, v7
	s_delay_alu instid0(VALU_DEP_1)
	v_and_or_b32 v21, 0x80, v7, v9
.LBB251_2017:
	s_or_b32 exec_lo, exec_lo, s0
.LBB251_2018:
	s_delay_alu instid0(SALU_CYCLE_1)
	s_or_b32 exec_lo, exec_lo, s8
.LBB251_2019:
	s_delay_alu instid0(SALU_CYCLE_1)
	s_or_b32 exec_lo, exec_lo, s7
.LBB251_2020:
	s_and_not1_saveexec_b32 s6, s6
	s_cbranch_execz .LBB251_2028
; %bb.2021:
	flat_load_u8 v7, v[2:3]
	s_wait_loadcnt_dscnt 0x101
	v_mov_b32_e32 v21, 0x80
	s_mov_b32 s7, exec_lo
	s_wait_loadcnt_dscnt 0x0
	v_lshlrev_b32_e32 v9, 25, v7
	v_lshlrev_b16 v7, 8, v7
	s_delay_alu instid0(VALU_DEP_1) | instskip(NEXT) | instid1(VALU_DEP_3)
	v_and_or_b32 v11, 0x7f00, v7, 0.5
	v_lshrrev_b32_e32 v10, 4, v9
	v_bfe_i32 v7, v7, 0, 16
	s_delay_alu instid0(VALU_DEP_3) | instskip(NEXT) | instid1(VALU_DEP_3)
	v_add_f32_e32 v11, -0.5, v11
	v_or_b32_e32 v10, 0x70000000, v10
	s_delay_alu instid0(VALU_DEP_1) | instskip(SKIP_1) | instid1(VALU_DEP_1)
	v_mul_f32_e32 v10, 0x7800000, v10
	v_cmp_gt_u32_e64 s0, 0x8000000, v9
	v_cndmask_b32_e64 v10, v10, v11, s0
	s_delay_alu instid0(VALU_DEP_1) | instskip(NEXT) | instid1(VALU_DEP_1)
	v_and_or_b32 v7, 0x80000000, v7, v10
	v_and_b32_e32 v9, 0x7fffffff, v7
	s_wait_xcnt 0x0
	s_delay_alu instid0(VALU_DEP_1)
	v_cmpx_gt_u32_e32 0x47800000, v9
	s_cbranch_execz .LBB251_2027
; %bb.2022:
	v_cmp_lt_u32_e64 s0, 0x37ffffff, v9
	s_mov_b32 s8, 0
                                        ; implicit-def: $vgpr9
	s_and_saveexec_b32 s9, s0
	s_delay_alu instid0(SALU_CYCLE_1)
	s_xor_b32 s0, exec_lo, s9
	s_cbranch_execz .LBB251_2323
; %bb.2023:
	v_bfe_u32 v9, v10, 21, 1
	s_mov_b32 s8, exec_lo
	s_delay_alu instid0(VALU_DEP_1) | instskip(NEXT) | instid1(VALU_DEP_1)
	v_add3_u32 v9, v7, v9, 0x88fffff
	v_lshrrev_b32_e32 v9, 21, v9
	s_and_not1_saveexec_b32 s9, s0
	s_cbranch_execnz .LBB251_2324
.LBB251_2024:
	s_or_b32 exec_lo, exec_lo, s9
	v_mov_b32_e32 v21, 0
	s_and_saveexec_b32 s0, s8
.LBB251_2025:
	v_lshrrev_b32_e32 v7, 24, v7
	s_delay_alu instid0(VALU_DEP_1)
	v_and_or_b32 v21, 0x80, v7, v9
.LBB251_2026:
	s_or_b32 exec_lo, exec_lo, s0
.LBB251_2027:
	s_delay_alu instid0(SALU_CYCLE_1)
	s_or_b32 exec_lo, exec_lo, s7
.LBB251_2028:
	s_delay_alu instid0(SALU_CYCLE_1) | instskip(NEXT) | instid1(SALU_CYCLE_1)
	s_or_b32 exec_lo, exec_lo, s6
	s_or_b32 s6, s4, exec_lo
.LBB251_2029:
	s_or_saveexec_b32 s2, s2
	s_mov_b32 s0, 0
	s_mov_b32 s7, s5
	s_xor_b32 exec_lo, exec_lo, s2
	s_cbranch_execz .LBB251_2043
; %bb.2030:
	s_mov_b32 s8, s5
	s_mov_b32 s9, s6
	s_mov_b32 s7, exec_lo
                                        ; implicit-def: $vgpr21
	v_cmpx_lt_i16_e32 14, v18
	s_xor_b32 s7, exec_lo, s7
	s_cbranch_execz .LBB251_2040
; %bb.2031:
	s_mov_b32 s9, -1
	s_mov_b32 s10, s6
	s_mov_b32 s8, exec_lo
                                        ; implicit-def: $vgpr21
	v_cmpx_eq_u16_e32 15, v18
	s_cbranch_execz .LBB251_2039
; %bb.2032:
	flat_load_u16 v7, v[2:3]
	s_mov_b32 s9, exec_lo
	s_wait_loadcnt_dscnt 0x0
	v_dual_mov_b32 v21, 0x80 :: v_dual_lshlrev_b32 v10, 16, v7
	s_delay_alu instid0(VALU_DEP_1) | instskip(SKIP_1) | instid1(VALU_DEP_1)
	v_and_b32_e32 v9, 0x7fffffff, v10
	s_wait_xcnt 0x0
	v_cmpx_gt_u32_e32 0x47800000, v9
	s_cbranch_execz .LBB251_2038
; %bb.2033:
	v_cmp_lt_u32_e64 s0, 0x37ffffff, v9
	s_mov_b32 s10, 0
                                        ; implicit-def: $vgpr9
	s_and_saveexec_b32 s11, s0
	s_delay_alu instid0(SALU_CYCLE_1)
	s_xor_b32 s0, exec_lo, s11
	s_cbranch_execz .LBB251_2402
; %bb.2034:
	v_bfe_u32 v9, v7, 5, 1
	s_mov_b32 s10, exec_lo
	s_delay_alu instid0(VALU_DEP_1) | instskip(NEXT) | instid1(VALU_DEP_1)
	v_add3_u32 v9, v10, v9, 0x88fffff
                                        ; implicit-def: $vgpr10
	v_lshrrev_b32_e32 v9, 21, v9
	s_and_not1_saveexec_b32 s11, s0
	s_cbranch_execnz .LBB251_2403
.LBB251_2035:
	s_or_b32 exec_lo, exec_lo, s11
	v_mov_b32_e32 v21, 0
	s_and_saveexec_b32 s0, s10
.LBB251_2036:
	v_lshrrev_b32_e32 v7, 8, v7
	s_delay_alu instid0(VALU_DEP_1)
	v_and_or_b32 v21, 0x80, v7, v9
.LBB251_2037:
	s_or_b32 exec_lo, exec_lo, s0
.LBB251_2038:
	s_delay_alu instid0(SALU_CYCLE_1) | instskip(NEXT) | instid1(SALU_CYCLE_1)
	s_or_b32 exec_lo, exec_lo, s9
	s_or_b32 s10, s6, exec_lo
	s_xor_b32 s9, exec_lo, -1
.LBB251_2039:
	s_or_b32 exec_lo, exec_lo, s8
	s_delay_alu instid0(SALU_CYCLE_1)
	s_and_not1_b32 s0, s6, exec_lo
	s_and_b32 s8, s10, exec_lo
	s_and_not1_b32 s10, s5, exec_lo
	s_and_b32 s11, s9, exec_lo
	s_or_b32 s9, s0, s8
	s_or_b32 s8, s10, s11
.LBB251_2040:
	s_or_saveexec_b32 s10, s7
	s_mov_b32 s7, 0
	s_xor_b32 exec_lo, exec_lo, s10
; %bb.2041:
	v_cmp_ne_u16_e64 s0, 11, v18
	s_and_not1_b32 s8, s8, exec_lo
	s_mov_b32 s7, exec_lo
	s_and_b32 s0, s0, exec_lo
	s_delay_alu instid0(SALU_CYCLE_1)
	s_or_b32 s8, s8, s0
; %bb.2042:
	s_or_b32 exec_lo, exec_lo, s10
	s_delay_alu instid0(SALU_CYCLE_1)
	s_and_not1_b32 s0, s6, exec_lo
	s_and_b32 s6, s9, exec_lo
	s_and_not1_b32 s9, s5, exec_lo
	s_and_b32 s8, s8, exec_lo
	s_or_b32 s6, s0, s6
	s_and_b32 s0, s7, exec_lo
	s_or_b32 s7, s9, s8
.LBB251_2043:
	s_or_b32 exec_lo, exec_lo, s2
	s_delay_alu instid0(SALU_CYCLE_1)
	s_and_not1_b32 s2, s4, exec_lo
	s_and_b32 s4, s6, exec_lo
	s_and_not1_b32 s5, s5, exec_lo
	s_and_b32 s6, s7, exec_lo
	s_or_b32 s4, s2, s4
	s_and_b32 s2, s0, exec_lo
	s_or_b32 s5, s5, s6
	s_or_b32 exec_lo, exec_lo, s3
	s_mov_b32 s3, s15
	s_and_saveexec_b32 s0, s5
	s_cbranch_execz .LBB251_467
.LBB251_2044:
	s_or_b32 s3, s15, exec_lo
	s_and_not1_b32 s2, s2, exec_lo
	s_trap 2
	s_or_b32 exec_lo, exec_lo, s0
	s_and_saveexec_b32 s0, s2
	s_delay_alu instid0(SALU_CYCLE_1)
	s_xor_b32 s2, exec_lo, s0
	s_cbranch_execnz .LBB251_468
	s_branch .LBB251_475
.LBB251_2045:
	s_and_not1_saveexec_b32 s2, s2
	s_cbranch_execz .LBB251_171
.LBB251_2046:
	s_mov_b32 s4, exec_lo
	v_cmpx_lt_i16_e32 4, v2
	s_xor_b32 s4, exec_lo, s4
	s_cbranch_execz .LBB251_2068
; %bb.2047:
	s_mov_b32 s5, exec_lo
	v_cmpx_lt_i16_e32 7, v2
	s_xor_b32 s5, exec_lo, s5
	s_cbranch_execz .LBB251_2057
; %bb.2048:
	;; [unrolled: 5-line block ×3, first 2 shown]
	v_cmp_lt_i16_e64 s0, 9, v2
	s_and_saveexec_b32 s7, s0
	s_delay_alu instid0(SALU_CYCLE_1)
	s_xor_b32 s0, exec_lo, s7
	s_cbranch_execz .LBB251_2051
; %bb.2050:
	v_cndmask_b32_e64 v2, 0, 1, vcc_lo
	v_mov_b32_e32 v4, 0
	s_delay_alu instid0(VALU_DEP_2) | instskip(NEXT) | instid1(VALU_DEP_2)
	v_cvt_f64_u32_e32 v[2:3], v2
	v_mov_b32_e32 v5, v4
	flat_store_b128 v[0:1], v[2:5]
                                        ; implicit-def: $vgpr0_vgpr1
.LBB251_2051:
	s_wait_xcnt 0x0
	s_and_not1_saveexec_b32 s0, s0
	s_cbranch_execz .LBB251_2053
; %bb.2052:
	v_cndmask_b32_e64 v2, 0, 1.0, vcc_lo
	v_mov_b32_e32 v3, 0
	flat_store_b64 v[0:1], v[2:3]
.LBB251_2053:
	s_wait_xcnt 0x0
	s_or_b32 exec_lo, exec_lo, s0
                                        ; implicit-def: $vgpr0_vgpr1
.LBB251_2054:
	s_and_not1_saveexec_b32 s0, s6
	s_cbranch_execz .LBB251_2056
; %bb.2055:
	v_cndmask_b32_e64 v2, 0, 1.0, vcc_lo
	s_delay_alu instid0(VALU_DEP_1) | instskip(NEXT) | instid1(VALU_DEP_1)
	v_cvt_f16_f32_e32 v2, v2
	v_and_b32_e32 v2, 0xffff, v2
	flat_store_b32 v[0:1], v2
.LBB251_2056:
	s_wait_xcnt 0x0
	s_or_b32 exec_lo, exec_lo, s0
                                        ; implicit-def: $vgpr0_vgpr1
                                        ; implicit-def: $vgpr2
.LBB251_2057:
	s_and_not1_saveexec_b32 s5, s5
	s_cbranch_execz .LBB251_2067
; %bb.2058:
	s_mov_b32 s6, exec_lo
	v_cmpx_lt_i16_e32 5, v2
	s_xor_b32 s6, exec_lo, s6
	s_cbranch_execz .LBB251_2064
; %bb.2059:
	v_cmp_lt_i16_e64 s0, 6, v2
	s_and_saveexec_b32 s7, s0
	s_delay_alu instid0(SALU_CYCLE_1)
	s_xor_b32 s0, exec_lo, s7
	s_cbranch_execz .LBB251_2061
; %bb.2060:
	v_cndmask_b32_e64 v2, 0, 1, vcc_lo
	s_delay_alu instid0(VALU_DEP_1)
	v_cvt_f64_u32_e32 v[2:3], v2
	flat_store_b64 v[0:1], v[2:3]
                                        ; implicit-def: $vgpr0_vgpr1
.LBB251_2061:
	s_wait_xcnt 0x0
	s_and_not1_saveexec_b32 s0, s0
	s_cbranch_execz .LBB251_2063
; %bb.2062:
	v_cndmask_b32_e64 v2, 0, 1.0, vcc_lo
	flat_store_b32 v[0:1], v2
.LBB251_2063:
	s_wait_xcnt 0x0
	s_or_b32 exec_lo, exec_lo, s0
                                        ; implicit-def: $vgpr0_vgpr1
.LBB251_2064:
	s_and_not1_saveexec_b32 s0, s6
	s_cbranch_execz .LBB251_2066
; %bb.2065:
	v_cndmask_b32_e64 v2, 0, 1.0, vcc_lo
	s_delay_alu instid0(VALU_DEP_1)
	v_cvt_f16_f32_e32 v2, v2
	flat_store_b16 v[0:1], v2
.LBB251_2066:
	s_wait_xcnt 0x0
	s_or_b32 exec_lo, exec_lo, s0
.LBB251_2067:
	s_delay_alu instid0(SALU_CYCLE_1)
	s_or_b32 exec_lo, exec_lo, s5
                                        ; implicit-def: $vgpr2
                                        ; implicit-def: $vgpr0_vgpr1
.LBB251_2068:
	s_and_not1_saveexec_b32 s4, s4
	s_cbranch_execz .LBB251_2086
; %bb.2069:
	s_mov_b32 s5, exec_lo
	v_cmpx_lt_i16_e32 1, v2
	s_xor_b32 s5, exec_lo, s5
	s_cbranch_execz .LBB251_2079
; %bb.2070:
	s_mov_b32 s6, exec_lo
	v_cmpx_lt_i16_e32 2, v2
	s_xor_b32 s6, exec_lo, s6
	s_cbranch_execz .LBB251_2076
; %bb.2071:
	v_cmp_lt_i16_e64 s0, 3, v2
	s_and_saveexec_b32 s7, s0
	s_delay_alu instid0(SALU_CYCLE_1)
	s_xor_b32 s0, exec_lo, s7
	s_cbranch_execz .LBB251_2073
; %bb.2072:
	s_mov_b32 s7, 0
	v_cndmask_b32_e64 v2, 0, 1, vcc_lo
	v_mov_b32_e32 v3, s7
	flat_store_b64 v[0:1], v[2:3]
                                        ; implicit-def: $vgpr0_vgpr1
.LBB251_2073:
	s_wait_xcnt 0x0
	s_and_not1_saveexec_b32 s0, s0
	s_cbranch_execz .LBB251_2075
; %bb.2074:
	v_cndmask_b32_e64 v2, 0, 1, vcc_lo
	flat_store_b32 v[0:1], v2
.LBB251_2075:
	s_wait_xcnt 0x0
	s_or_b32 exec_lo, exec_lo, s0
                                        ; implicit-def: $vgpr0_vgpr1
.LBB251_2076:
	s_and_not1_saveexec_b32 s0, s6
	s_cbranch_execz .LBB251_2078
; %bb.2077:
	v_cndmask_b32_e64 v2, 0, 1, vcc_lo
	flat_store_b16 v[0:1], v2
.LBB251_2078:
	s_wait_xcnt 0x0
	s_or_b32 exec_lo, exec_lo, s0
                                        ; implicit-def: $vgpr0_vgpr1
                                        ; implicit-def: $vgpr2
.LBB251_2079:
	s_and_not1_saveexec_b32 s5, s5
	s_cbranch_execz .LBB251_2085
; %bb.2080:
	v_cmp_lt_i16_e64 s0, 0, v2
	v_cndmask_b32_e64 v2, 0, 1, vcc_lo
	s_and_saveexec_b32 s6, s0
	s_delay_alu instid0(SALU_CYCLE_1)
	s_xor_b32 s0, exec_lo, s6
	s_cbranch_execz .LBB251_2082
; %bb.2081:
	flat_store_b8 v[0:1], v2
                                        ; implicit-def: $vgpr0_vgpr1
                                        ; implicit-def: $vgpr2
.LBB251_2082:
	s_wait_xcnt 0x0
	s_and_not1_saveexec_b32 s0, s0
	s_cbranch_execz .LBB251_2084
; %bb.2083:
	flat_store_b8 v[0:1], v2
.LBB251_2084:
	s_wait_xcnt 0x0
	s_or_b32 exec_lo, exec_lo, s0
.LBB251_2085:
	s_delay_alu instid0(SALU_CYCLE_1)
	s_or_b32 exec_lo, exec_lo, s5
.LBB251_2086:
	s_delay_alu instid0(SALU_CYCLE_1) | instskip(NEXT) | instid1(SALU_CYCLE_1)
	s_or_b32 exec_lo, exec_lo, s4
	s_or_b32 s1, s1, exec_lo
	s_or_b32 exec_lo, exec_lo, s2
	s_mov_b32 s0, 0
	s_and_saveexec_b32 s2, s1
	s_cbranch_execnz .LBB251_172
	s_branch .LBB251_173
.LBB251_2087:
	s_and_not1_saveexec_b32 s5, s5
	s_cbranch_execz .LBB251_656
.LBB251_2088:
	s_mov_b32 s8, s6
	s_mov_b32 s4, exec_lo
                                        ; implicit-def: $vgpr9
	v_cmpx_lt_i16_e32 22, v15
	s_xor_b32 s4, exec_lo, s4
	s_cbranch_execz .LBB251_2110
; %bb.2089:
	s_mov_b32 s8, exec_lo
                                        ; implicit-def: $vgpr9
	v_cmpx_lt_i16_e32 23, v15
	s_xor_b32 s8, exec_lo, s8
	s_cbranch_execz .LBB251_2101
; %bb.2090:
	v_cmp_lt_i16_e64 s0, 24, v15
                                        ; implicit-def: $vgpr9
	s_and_saveexec_b32 s9, s0
	s_delay_alu instid0(SALU_CYCLE_1)
	s_xor_b32 s0, exec_lo, s9
	s_cbranch_execz .LBB251_2092
; %bb.2091:
	flat_load_u8 v9, v[10:11]
.LBB251_2092:
	s_wait_xcnt 0x0
	s_and_not1_saveexec_b32 s9, s0
	s_cbranch_execz .LBB251_2100
; %bb.2093:
	flat_load_u8 v7, v[10:11]
	s_mov_b32 s11, 0
	s_mov_b32 s10, exec_lo
	s_wait_loadcnt_dscnt 0x0
	v_lshlrev_b32_e32 v7, 24, v7
	s_delay_alu instid0(VALU_DEP_1) | instskip(NEXT) | instid1(VALU_DEP_1)
	v_and_b32_e32 v9, 0x7f000000, v7
	v_clz_i32_u32_e32 v12, v9
	v_add_nc_u32_e32 v22, 0x1000000, v9
	v_cmp_ne_u32_e64 s0, 0, v9
	s_delay_alu instid0(VALU_DEP_3) | instskip(NEXT) | instid1(VALU_DEP_1)
	v_min_u32_e32 v12, 32, v12
	v_sub_nc_u32_e64 v12, v12, 4 clamp
	s_delay_alu instid0(VALU_DEP_1) | instskip(SKIP_1) | instid1(VALU_DEP_2)
	v_dual_lshlrev_b32 v13, v12, v9 :: v_dual_lshlrev_b32 v12, 23, v12
	v_mov_b32_e32 v9, 0x80
	v_lshrrev_b32_e32 v13, 4, v13
	s_delay_alu instid0(VALU_DEP_1) | instskip(NEXT) | instid1(VALU_DEP_1)
	v_dual_sub_nc_u32 v12, v13, v12 :: v_dual_ashrrev_i32 v13, 8, v22
	v_add_nc_u32_e32 v12, 0x3c000000, v12
	s_delay_alu instid0(VALU_DEP_1) | instskip(NEXT) | instid1(VALU_DEP_1)
	v_and_or_b32 v12, 0x7f800000, v13, v12
	v_cndmask_b32_e64 v13, 0, v12, s0
	s_delay_alu instid0(VALU_DEP_1) | instskip(NEXT) | instid1(VALU_DEP_1)
	v_and_or_b32 v7, 0x80000000, v7, v13
	v_and_b32_e32 v12, 0x7fffffff, v7
	s_wait_xcnt 0x0
	s_delay_alu instid0(VALU_DEP_1)
	v_cmpx_gt_u32_e32 0x47800000, v12
	s_cbranch_execz .LBB251_2099
; %bb.2094:
	v_cmp_lt_u32_e64 s0, 0x37ffffff, v12
                                        ; implicit-def: $vgpr12
	s_and_saveexec_b32 s12, s0
	s_delay_alu instid0(SALU_CYCLE_1)
	s_xor_b32 s0, exec_lo, s12
	s_cbranch_execz .LBB251_2499
; %bb.2095:
	v_bfe_u32 v9, v13, 21, 1
	s_mov_b32 s11, exec_lo
	s_delay_alu instid0(VALU_DEP_1) | instskip(NEXT) | instid1(VALU_DEP_1)
	v_add3_u32 v9, v7, v9, 0x88fffff
	v_lshrrev_b32_e32 v12, 21, v9
	s_and_not1_saveexec_b32 s12, s0
	s_cbranch_execnz .LBB251_2500
.LBB251_2096:
	s_or_b32 exec_lo, exec_lo, s12
	v_mov_b32_e32 v9, 0
	s_and_saveexec_b32 s0, s11
.LBB251_2097:
	v_lshrrev_b32_e32 v7, 24, v7
	s_delay_alu instid0(VALU_DEP_1)
	v_and_or_b32 v9, 0x80, v7, v12
.LBB251_2098:
	s_or_b32 exec_lo, exec_lo, s0
.LBB251_2099:
	s_delay_alu instid0(SALU_CYCLE_1)
	s_or_b32 exec_lo, exec_lo, s10
.LBB251_2100:
	s_delay_alu instid0(SALU_CYCLE_1)
	s_or_b32 exec_lo, exec_lo, s9
.LBB251_2101:
	s_and_not1_saveexec_b32 s8, s8
	s_cbranch_execz .LBB251_2109
; %bb.2102:
	flat_load_u8 v7, v[10:11]
	s_mov_b32 s9, exec_lo
	s_wait_loadcnt_dscnt 0x0
	v_lshlrev_b32_e32 v9, 25, v7
	v_lshlrev_b16 v7, 8, v7
	s_delay_alu instid0(VALU_DEP_1) | instskip(SKIP_1) | instid1(VALU_DEP_2)
	v_and_or_b32 v13, 0x7f00, v7, 0.5
	v_bfe_i32 v7, v7, 0, 16
	v_add_f32_e32 v13, -0.5, v13
	v_lshrrev_b32_e32 v12, 4, v9
	v_cmp_gt_u32_e64 s0, 0x8000000, v9
	v_mov_b32_e32 v9, 0x80
	s_delay_alu instid0(VALU_DEP_3) | instskip(NEXT) | instid1(VALU_DEP_1)
	v_or_b32_e32 v12, 0x70000000, v12
	v_mul_f32_e32 v12, 0x7800000, v12
	s_delay_alu instid0(VALU_DEP_1) | instskip(NEXT) | instid1(VALU_DEP_1)
	v_cndmask_b32_e64 v13, v12, v13, s0
	v_and_or_b32 v7, 0x80000000, v7, v13
	s_delay_alu instid0(VALU_DEP_1) | instskip(SKIP_1) | instid1(VALU_DEP_1)
	v_and_b32_e32 v12, 0x7fffffff, v7
	s_wait_xcnt 0x0
	v_cmpx_gt_u32_e32 0x47800000, v12
	s_cbranch_execz .LBB251_2108
; %bb.2103:
	v_cmp_lt_u32_e64 s0, 0x37ffffff, v12
	s_mov_b32 s10, 0
                                        ; implicit-def: $vgpr12
	s_and_saveexec_b32 s11, s0
	s_delay_alu instid0(SALU_CYCLE_1)
	s_xor_b32 s0, exec_lo, s11
	s_cbranch_execz .LBB251_2404
; %bb.2104:
	v_bfe_u32 v9, v13, 21, 1
	s_mov_b32 s10, exec_lo
	s_delay_alu instid0(VALU_DEP_1) | instskip(NEXT) | instid1(VALU_DEP_1)
	v_add3_u32 v9, v7, v9, 0x88fffff
	v_lshrrev_b32_e32 v12, 21, v9
	s_and_not1_saveexec_b32 s11, s0
	s_cbranch_execnz .LBB251_2405
.LBB251_2105:
	s_or_b32 exec_lo, exec_lo, s11
	v_mov_b32_e32 v9, 0
	s_and_saveexec_b32 s0, s10
.LBB251_2106:
	v_lshrrev_b32_e32 v7, 24, v7
	s_delay_alu instid0(VALU_DEP_1)
	v_and_or_b32 v9, 0x80, v7, v12
.LBB251_2107:
	s_or_b32 exec_lo, exec_lo, s0
.LBB251_2108:
	s_delay_alu instid0(SALU_CYCLE_1)
	s_or_b32 exec_lo, exec_lo, s9
.LBB251_2109:
	s_delay_alu instid0(SALU_CYCLE_1) | instskip(NEXT) | instid1(SALU_CYCLE_1)
	s_or_b32 exec_lo, exec_lo, s8
	s_or_b32 s8, s6, exec_lo
.LBB251_2110:
	s_or_saveexec_b32 s4, s4
	s_mov_b32 s0, 0
	s_mov_b32 s9, s7
	s_xor_b32 exec_lo, exec_lo, s4
	s_cbranch_execz .LBB251_2124
; %bb.2111:
	s_mov_b32 s10, s7
	s_mov_b32 s11, s8
	s_mov_b32 s9, exec_lo
                                        ; implicit-def: $vgpr9
	v_cmpx_lt_i16_e32 14, v15
	s_xor_b32 s9, exec_lo, s9
	s_cbranch_execz .LBB251_2121
; %bb.2112:
	s_mov_b32 s11, -1
	s_mov_b32 s12, s8
	s_mov_b32 s10, exec_lo
                                        ; implicit-def: $vgpr9
	v_cmpx_eq_u16_e32 15, v15
	s_cbranch_execz .LBB251_2120
; %bb.2113:
	flat_load_u16 v7, v[10:11]
	s_wait_loadcnt_dscnt 0x101
	v_mov_b32_e32 v9, 0x80
	s_mov_b32 s11, exec_lo
	s_wait_loadcnt_dscnt 0x0
	v_lshlrev_b32_e32 v13, 16, v7
	s_delay_alu instid0(VALU_DEP_1) | instskip(SKIP_1) | instid1(VALU_DEP_1)
	v_and_b32_e32 v12, 0x7fffffff, v13
	s_wait_xcnt 0x0
	v_cmpx_gt_u32_e32 0x47800000, v12
	s_cbranch_execz .LBB251_2119
; %bb.2114:
	v_cmp_lt_u32_e64 s0, 0x37ffffff, v12
	s_mov_b32 s12, 0
                                        ; implicit-def: $vgpr12
	s_and_saveexec_b32 s13, s0
	s_delay_alu instid0(SALU_CYCLE_1)
	s_xor_b32 s0, exec_lo, s13
	s_cbranch_execz .LBB251_2501
; %bb.2115:
	v_bfe_u32 v9, v7, 5, 1
	s_mov_b32 s12, exec_lo
	s_delay_alu instid0(VALU_DEP_1) | instskip(NEXT) | instid1(VALU_DEP_1)
	v_add3_u32 v9, v13, v9, 0x88fffff
                                        ; implicit-def: $vgpr13
	v_lshrrev_b32_e32 v12, 21, v9
	s_and_not1_saveexec_b32 s13, s0
	s_cbranch_execnz .LBB251_2502
.LBB251_2116:
	s_or_b32 exec_lo, exec_lo, s13
	v_mov_b32_e32 v9, 0
	s_and_saveexec_b32 s0, s12
.LBB251_2117:
	v_lshrrev_b32_e32 v7, 8, v7
	s_delay_alu instid0(VALU_DEP_1)
	v_and_or_b32 v9, 0x80, v7, v12
.LBB251_2118:
	s_or_b32 exec_lo, exec_lo, s0
.LBB251_2119:
	s_delay_alu instid0(SALU_CYCLE_1) | instskip(NEXT) | instid1(SALU_CYCLE_1)
	s_or_b32 exec_lo, exec_lo, s11
	s_or_b32 s12, s8, exec_lo
	s_xor_b32 s11, exec_lo, -1
.LBB251_2120:
	s_or_b32 exec_lo, exec_lo, s10
	s_delay_alu instid0(SALU_CYCLE_1)
	s_and_not1_b32 s0, s8, exec_lo
	s_and_b32 s10, s12, exec_lo
	s_and_not1_b32 s12, s7, exec_lo
	s_and_b32 s13, s11, exec_lo
	s_or_b32 s11, s0, s10
	s_or_b32 s10, s12, s13
.LBB251_2121:
	s_or_saveexec_b32 s12, s9
	s_mov_b32 s9, 0
	s_xor_b32 exec_lo, exec_lo, s12
; %bb.2122:
	v_cmp_ne_u16_e64 s0, 11, v15
	s_and_not1_b32 s10, s10, exec_lo
	s_mov_b32 s9, exec_lo
	s_and_b32 s0, s0, exec_lo
	s_delay_alu instid0(SALU_CYCLE_1)
	s_or_b32 s10, s10, s0
; %bb.2123:
	s_or_b32 exec_lo, exec_lo, s12
	s_delay_alu instid0(SALU_CYCLE_1)
	s_and_not1_b32 s0, s8, exec_lo
	s_and_b32 s8, s11, exec_lo
	s_and_not1_b32 s11, s7, exec_lo
	s_and_b32 s10, s10, exec_lo
	s_or_b32 s8, s0, s8
	s_and_b32 s0, s9, exec_lo
	s_or_b32 s9, s11, s10
.LBB251_2124:
	s_or_b32 exec_lo, exec_lo, s4
	s_delay_alu instid0(SALU_CYCLE_1)
	s_and_not1_b32 s4, s6, exec_lo
	s_and_b32 s6, s8, exec_lo
	s_and_not1_b32 s7, s7, exec_lo
	s_and_b32 s8, s9, exec_lo
	s_or_b32 s6, s4, s6
	s_and_b32 s4, s0, exec_lo
	s_or_b32 s7, s7, s8
	s_or_b32 exec_lo, exec_lo, s5
	s_mov_b32 s5, s2
	s_and_saveexec_b32 s0, s7
	s_cbranch_execz .LBB251_657
.LBB251_2125:
	s_or_b32 s5, s2, exec_lo
	s_and_not1_b32 s4, s4, exec_lo
	s_trap 2
	s_or_b32 exec_lo, exec_lo, s0
	s_and_saveexec_b32 s0, s4
	s_delay_alu instid0(SALU_CYCLE_1)
	s_xor_b32 s4, exec_lo, s0
	s_cbranch_execnz .LBB251_658
	s_branch .LBB251_665
.LBB251_2126:
	s_and_not1_saveexec_b32 s2, s2
	s_cbranch_execz .LBB251_258
.LBB251_2127:
	s_mov_b32 s4, exec_lo
	v_cmpx_lt_i16_e32 4, v2
	s_xor_b32 s4, exec_lo, s4
	s_cbranch_execz .LBB251_2149
; %bb.2128:
	s_mov_b32 s5, exec_lo
	v_cmpx_lt_i16_e32 7, v2
	s_xor_b32 s5, exec_lo, s5
	s_cbranch_execz .LBB251_2138
; %bb.2129:
	;; [unrolled: 5-line block ×3, first 2 shown]
	v_cmp_lt_i16_e64 s0, 9, v2
	s_and_saveexec_b32 s7, s0
	s_delay_alu instid0(SALU_CYCLE_1)
	s_xor_b32 s0, exec_lo, s7
	s_cbranch_execz .LBB251_2132
; %bb.2131:
	v_cndmask_b32_e64 v2, 0, 1, vcc_lo
	v_mov_b32_e32 v4, 0
	s_delay_alu instid0(VALU_DEP_2) | instskip(NEXT) | instid1(VALU_DEP_2)
	v_cvt_f64_u32_e32 v[2:3], v2
	v_mov_b32_e32 v5, v4
	flat_store_b128 v[0:1], v[2:5]
                                        ; implicit-def: $vgpr0_vgpr1
.LBB251_2132:
	s_wait_xcnt 0x0
	s_and_not1_saveexec_b32 s0, s0
	s_cbranch_execz .LBB251_2134
; %bb.2133:
	v_cndmask_b32_e64 v2, 0, 1.0, vcc_lo
	v_mov_b32_e32 v3, 0
	flat_store_b64 v[0:1], v[2:3]
.LBB251_2134:
	s_wait_xcnt 0x0
	s_or_b32 exec_lo, exec_lo, s0
                                        ; implicit-def: $vgpr0_vgpr1
.LBB251_2135:
	s_and_not1_saveexec_b32 s0, s6
	s_cbranch_execz .LBB251_2137
; %bb.2136:
	v_cndmask_b32_e64 v2, 0, 1.0, vcc_lo
	s_delay_alu instid0(VALU_DEP_1) | instskip(NEXT) | instid1(VALU_DEP_1)
	v_cvt_f16_f32_e32 v2, v2
	v_and_b32_e32 v2, 0xffff, v2
	flat_store_b32 v[0:1], v2
.LBB251_2137:
	s_wait_xcnt 0x0
	s_or_b32 exec_lo, exec_lo, s0
                                        ; implicit-def: $vgpr0_vgpr1
                                        ; implicit-def: $vgpr2
.LBB251_2138:
	s_and_not1_saveexec_b32 s5, s5
	s_cbranch_execz .LBB251_2148
; %bb.2139:
	s_mov_b32 s6, exec_lo
	v_cmpx_lt_i16_e32 5, v2
	s_xor_b32 s6, exec_lo, s6
	s_cbranch_execz .LBB251_2145
; %bb.2140:
	v_cmp_lt_i16_e64 s0, 6, v2
	s_and_saveexec_b32 s7, s0
	s_delay_alu instid0(SALU_CYCLE_1)
	s_xor_b32 s0, exec_lo, s7
	s_cbranch_execz .LBB251_2142
; %bb.2141:
	v_cndmask_b32_e64 v2, 0, 1, vcc_lo
	s_delay_alu instid0(VALU_DEP_1)
	v_cvt_f64_u32_e32 v[2:3], v2
	flat_store_b64 v[0:1], v[2:3]
                                        ; implicit-def: $vgpr0_vgpr1
.LBB251_2142:
	s_wait_xcnt 0x0
	s_and_not1_saveexec_b32 s0, s0
	s_cbranch_execz .LBB251_2144
; %bb.2143:
	v_cndmask_b32_e64 v2, 0, 1.0, vcc_lo
	flat_store_b32 v[0:1], v2
.LBB251_2144:
	s_wait_xcnt 0x0
	s_or_b32 exec_lo, exec_lo, s0
                                        ; implicit-def: $vgpr0_vgpr1
.LBB251_2145:
	s_and_not1_saveexec_b32 s0, s6
	s_cbranch_execz .LBB251_2147
; %bb.2146:
	v_cndmask_b32_e64 v2, 0, 1.0, vcc_lo
	s_delay_alu instid0(VALU_DEP_1)
	v_cvt_f16_f32_e32 v2, v2
	flat_store_b16 v[0:1], v2
.LBB251_2147:
	s_wait_xcnt 0x0
	s_or_b32 exec_lo, exec_lo, s0
.LBB251_2148:
	s_delay_alu instid0(SALU_CYCLE_1)
	s_or_b32 exec_lo, exec_lo, s5
                                        ; implicit-def: $vgpr2
                                        ; implicit-def: $vgpr0_vgpr1
.LBB251_2149:
	s_and_not1_saveexec_b32 s4, s4
	s_cbranch_execz .LBB251_2167
; %bb.2150:
	s_mov_b32 s5, exec_lo
	v_cmpx_lt_i16_e32 1, v2
	s_xor_b32 s5, exec_lo, s5
	s_cbranch_execz .LBB251_2160
; %bb.2151:
	s_mov_b32 s6, exec_lo
	v_cmpx_lt_i16_e32 2, v2
	s_xor_b32 s6, exec_lo, s6
	s_cbranch_execz .LBB251_2157
; %bb.2152:
	v_cmp_lt_i16_e64 s0, 3, v2
	s_and_saveexec_b32 s7, s0
	s_delay_alu instid0(SALU_CYCLE_1)
	s_xor_b32 s0, exec_lo, s7
	s_cbranch_execz .LBB251_2154
; %bb.2153:
	s_mov_b32 s7, 0
	v_cndmask_b32_e64 v2, 0, 1, vcc_lo
	v_mov_b32_e32 v3, s7
	flat_store_b64 v[0:1], v[2:3]
                                        ; implicit-def: $vgpr0_vgpr1
.LBB251_2154:
	s_wait_xcnt 0x0
	s_and_not1_saveexec_b32 s0, s0
	s_cbranch_execz .LBB251_2156
; %bb.2155:
	v_cndmask_b32_e64 v2, 0, 1, vcc_lo
	flat_store_b32 v[0:1], v2
.LBB251_2156:
	s_wait_xcnt 0x0
	s_or_b32 exec_lo, exec_lo, s0
                                        ; implicit-def: $vgpr0_vgpr1
.LBB251_2157:
	s_and_not1_saveexec_b32 s0, s6
	s_cbranch_execz .LBB251_2159
; %bb.2158:
	v_cndmask_b32_e64 v2, 0, 1, vcc_lo
	flat_store_b16 v[0:1], v2
.LBB251_2159:
	s_wait_xcnt 0x0
	s_or_b32 exec_lo, exec_lo, s0
                                        ; implicit-def: $vgpr0_vgpr1
                                        ; implicit-def: $vgpr2
.LBB251_2160:
	s_and_not1_saveexec_b32 s5, s5
	s_cbranch_execz .LBB251_2166
; %bb.2161:
	v_cmp_lt_i16_e64 s0, 0, v2
	v_cndmask_b32_e64 v2, 0, 1, vcc_lo
	s_and_saveexec_b32 s6, s0
	s_delay_alu instid0(SALU_CYCLE_1)
	s_xor_b32 s0, exec_lo, s6
	s_cbranch_execz .LBB251_2163
; %bb.2162:
	flat_store_b8 v[0:1], v2
                                        ; implicit-def: $vgpr0_vgpr1
                                        ; implicit-def: $vgpr2
.LBB251_2163:
	s_wait_xcnt 0x0
	s_and_not1_saveexec_b32 s0, s0
	s_cbranch_execz .LBB251_2165
; %bb.2164:
	flat_store_b8 v[0:1], v2
.LBB251_2165:
	s_wait_xcnt 0x0
	s_or_b32 exec_lo, exec_lo, s0
.LBB251_2166:
	s_delay_alu instid0(SALU_CYCLE_1)
	s_or_b32 exec_lo, exec_lo, s5
.LBB251_2167:
	s_delay_alu instid0(SALU_CYCLE_1) | instskip(NEXT) | instid1(SALU_CYCLE_1)
	s_or_b32 exec_lo, exec_lo, s4
	s_or_b32 s1, s1, exec_lo
	s_or_b32 exec_lo, exec_lo, s2
	s_mov_b32 s0, 0
	s_and_saveexec_b32 s2, s1
	s_cbranch_execnz .LBB251_259
	s_branch .LBB251_260
.LBB251_2168:
	s_and_not1_saveexec_b32 s7, s0
	s_cbranch_execz .LBB251_471
.LBB251_2169:
	v_add_f32_e32 v2, 0x42800000, v3
	s_and_not1_b32 s6, s6, exec_lo
	s_delay_alu instid0(VALU_DEP_1) | instskip(NEXT) | instid1(VALU_DEP_1)
	v_and_b32_e32 v2, 0xff, v2
	v_cmp_ne_u32_e64 s0, 0, v2
	s_and_b32 s0, s0, exec_lo
	s_delay_alu instid0(SALU_CYCLE_1)
	s_or_b32 s6, s6, s0
	s_or_b32 exec_lo, exec_lo, s7
	v_mov_b32_e32 v21, 0
	s_and_saveexec_b32 s0, s6
	s_cbranch_execnz .LBB251_472
	s_branch .LBB251_473
.LBB251_2170:
	s_or_saveexec_b32 s8, s8
	v_mov_b32_e32 v7, 0x7f800001
	s_xor_b32 exec_lo, exec_lo, s8
	s_cbranch_execz .LBB251_780
.LBB251_2171:
	v_cmp_ne_u16_e64 s1, 0, v10
	v_mov_b32_e32 v7, 0
	s_and_not1_b32 s7, s7, exec_lo
	s_and_b32 s1, s1, exec_lo
	s_delay_alu instid0(SALU_CYCLE_1)
	s_or_b32 s7, s7, s1
	s_or_b32 exec_lo, exec_lo, s8
	s_and_saveexec_b32 s8, s7
	s_cbranch_execnz .LBB251_781
	s_branch .LBB251_782
.LBB251_2172:
	s_or_saveexec_b32 s8, s8
	v_mov_b32_e32 v10, 0x7f800001
	s_xor_b32 exec_lo, exec_lo, s8
	s_cbranch_execz .LBB251_786
.LBB251_2173:
	v_cmp_ne_u16_e64 s1, 0, v11
	v_mov_b32_e32 v10, 0
	s_and_not1_b32 s7, s7, exec_lo
	s_and_b32 s1, s1, exec_lo
	s_delay_alu instid0(SALU_CYCLE_1)
	s_or_b32 s7, s7, s1
	s_or_b32 exec_lo, exec_lo, s8
	s_and_saveexec_b32 s8, s7
	s_cbranch_execnz .LBB251_787
	s_branch .LBB251_788
.LBB251_2174:
	s_or_saveexec_b32 s9, s9
	v_mov_b32_e32 v7, 0x7f800001
	s_xor_b32 exec_lo, exec_lo, s9
	s_cbranch_execz .LBB251_794
.LBB251_2175:
	v_cmp_ne_u16_e64 s1, 0, v10
	v_mov_b32_e32 v7, 0
	s_and_not1_b32 s8, s8, exec_lo
	s_and_b32 s1, s1, exec_lo
	s_delay_alu instid0(SALU_CYCLE_1)
	s_or_b32 s8, s8, s1
	s_or_b32 exec_lo, exec_lo, s9
	s_and_saveexec_b32 s9, s8
	s_cbranch_execnz .LBB251_795
	s_branch .LBB251_796
.LBB251_2176:
	s_or_saveexec_b32 s9, s9
	v_mov_b32_e32 v10, 0x7f800001
	s_xor_b32 exec_lo, exec_lo, s9
	s_cbranch_execz .LBB251_800
.LBB251_2177:
	v_cmp_ne_u16_e64 s1, 0, v11
	v_mov_b32_e32 v10, 0
	s_and_not1_b32 s8, s8, exec_lo
	s_and_b32 s1, s1, exec_lo
	s_delay_alu instid0(SALU_CYCLE_1)
	s_or_b32 s8, s8, s1
	s_or_b32 exec_lo, exec_lo, s9
	s_and_saveexec_b32 s9, s8
	s_cbranch_execnz .LBB251_801
	s_branch .LBB251_802
.LBB251_2178:
	s_and_not1_saveexec_b32 s9, s9
	s_cbranch_execz .LBB251_874
.LBB251_2179:
	s_mov_b32 s12, s10
	s_mov_b32 s6, exec_lo
                                        ; implicit-def: $vgpr19
	v_cmpx_lt_i16_e32 22, v18
	s_xor_b32 s6, exec_lo, s6
	s_cbranch_execz .LBB251_2201
; %bb.2180:
	s_mov_b32 s12, exec_lo
                                        ; implicit-def: $vgpr19
	v_cmpx_lt_i16_e32 23, v18
	s_xor_b32 s12, exec_lo, s12
	s_cbranch_execz .LBB251_2192
; %bb.2181:
	v_cmp_lt_i16_e64 s1, 24, v18
                                        ; implicit-def: $vgpr19
	s_and_saveexec_b32 s13, s1
	s_delay_alu instid0(SALU_CYCLE_1)
	s_xor_b32 s1, exec_lo, s13
	s_cbranch_execz .LBB251_2183
; %bb.2182:
	flat_load_u8 v19, v[6:7]
.LBB251_2183:
	s_wait_xcnt 0x0
	s_and_not1_saveexec_b32 s13, s1
	s_cbranch_execz .LBB251_2191
; %bb.2184:
	s_wait_loadcnt_dscnt 0x0
	flat_load_u8 v9, v[6:7]
	s_mov_b32 s17, 0
	s_mov_b32 s14, exec_lo
	s_wait_loadcnt_dscnt 0x0
	v_lshlrev_b32_e32 v9, 24, v9
	s_delay_alu instid0(VALU_DEP_1) | instskip(NEXT) | instid1(VALU_DEP_1)
	v_and_b32_e32 v11, 0x7f000000, v9
	v_clz_i32_u32_e32 v12, v11
	v_add_nc_u32_e32 v19, 0x1000000, v11
	v_cmp_ne_u32_e64 s1, 0, v11
	s_delay_alu instid0(VALU_DEP_3) | instskip(NEXT) | instid1(VALU_DEP_1)
	v_min_u32_e32 v12, 32, v12
	v_sub_nc_u32_e64 v12, v12, 4 clamp
	s_delay_alu instid0(VALU_DEP_1) | instskip(NEXT) | instid1(VALU_DEP_1)
	v_dual_lshlrev_b32 v13, v12, v11 :: v_dual_lshlrev_b32 v12, 23, v12
	v_lshrrev_b32_e32 v13, 4, v13
	s_delay_alu instid0(VALU_DEP_1) | instskip(SKIP_1) | instid1(VALU_DEP_2)
	v_dual_sub_nc_u32 v12, v13, v12 :: v_dual_ashrrev_i32 v13, 8, v19
	v_mov_b32_e32 v19, 0x80
	v_add_nc_u32_e32 v12, 0x3c000000, v12
	s_delay_alu instid0(VALU_DEP_1) | instskip(NEXT) | instid1(VALU_DEP_1)
	v_and_or_b32 v12, 0x7f800000, v13, v12
	v_cndmask_b32_e64 v12, 0, v12, s1
	s_delay_alu instid0(VALU_DEP_1) | instskip(NEXT) | instid1(VALU_DEP_1)
	v_and_or_b32 v9, 0x80000000, v9, v12
	v_and_b32_e32 v11, 0x7fffffff, v9
	s_wait_xcnt 0x0
	s_delay_alu instid0(VALU_DEP_1)
	v_cmpx_gt_u32_e32 0x47800000, v11
	s_cbranch_execz .LBB251_2190
; %bb.2185:
	v_cmp_lt_u32_e64 s1, 0x37ffffff, v11
                                        ; implicit-def: $vgpr11
	s_and_saveexec_b32 s18, s1
	s_delay_alu instid0(SALU_CYCLE_1)
	s_xor_b32 s1, exec_lo, s18
	s_cbranch_execz .LBB251_2590
; %bb.2186:
	v_bfe_u32 v11, v12, 21, 1
	s_mov_b32 s17, exec_lo
	s_delay_alu instid0(VALU_DEP_1) | instskip(NEXT) | instid1(VALU_DEP_1)
	v_add3_u32 v11, v9, v11, 0x88fffff
	v_lshrrev_b32_e32 v11, 21, v11
	s_and_not1_saveexec_b32 s18, s1
	s_cbranch_execnz .LBB251_2591
.LBB251_2187:
	s_or_b32 exec_lo, exec_lo, s18
	v_mov_b32_e32 v19, 0
	s_and_saveexec_b32 s1, s17
.LBB251_2188:
	v_lshrrev_b32_e32 v9, 24, v9
	s_delay_alu instid0(VALU_DEP_1)
	v_and_or_b32 v19, 0x80, v9, v11
.LBB251_2189:
	s_or_b32 exec_lo, exec_lo, s1
.LBB251_2190:
	s_delay_alu instid0(SALU_CYCLE_1)
	s_or_b32 exec_lo, exec_lo, s14
.LBB251_2191:
	s_delay_alu instid0(SALU_CYCLE_1)
	s_or_b32 exec_lo, exec_lo, s13
.LBB251_2192:
	s_and_not1_saveexec_b32 s12, s12
	s_cbranch_execz .LBB251_2200
; %bb.2193:
	s_wait_loadcnt_dscnt 0x0
	flat_load_u8 v9, v[6:7]
	v_mov_b32_e32 v19, 0x80
	s_mov_b32 s13, exec_lo
	s_wait_loadcnt_dscnt 0x0
	v_lshlrev_b32_e32 v11, 25, v9
	v_lshlrev_b16 v9, 8, v9
	s_delay_alu instid0(VALU_DEP_1) | instskip(NEXT) | instid1(VALU_DEP_3)
	v_and_or_b32 v13, 0x7f00, v9, 0.5
	v_lshrrev_b32_e32 v12, 4, v11
	v_bfe_i32 v9, v9, 0, 16
	s_delay_alu instid0(VALU_DEP_3) | instskip(NEXT) | instid1(VALU_DEP_3)
	v_add_f32_e32 v13, -0.5, v13
	v_or_b32_e32 v12, 0x70000000, v12
	s_delay_alu instid0(VALU_DEP_1) | instskip(SKIP_1) | instid1(VALU_DEP_1)
	v_mul_f32_e32 v12, 0x7800000, v12
	v_cmp_gt_u32_e64 s1, 0x8000000, v11
	v_cndmask_b32_e64 v12, v12, v13, s1
	s_delay_alu instid0(VALU_DEP_1) | instskip(NEXT) | instid1(VALU_DEP_1)
	v_and_or_b32 v9, 0x80000000, v9, v12
	v_and_b32_e32 v11, 0x7fffffff, v9
	s_wait_xcnt 0x0
	s_delay_alu instid0(VALU_DEP_1)
	v_cmpx_gt_u32_e32 0x47800000, v11
	s_cbranch_execz .LBB251_2199
; %bb.2194:
	v_cmp_lt_u32_e64 s1, 0x37ffffff, v11
	s_mov_b32 s14, 0
                                        ; implicit-def: $vgpr11
	s_and_saveexec_b32 s17, s1
	s_delay_alu instid0(SALU_CYCLE_1)
	s_xor_b32 s1, exec_lo, s17
	s_cbranch_execz .LBB251_2503
; %bb.2195:
	v_bfe_u32 v11, v12, 21, 1
	s_mov_b32 s14, exec_lo
	s_delay_alu instid0(VALU_DEP_1) | instskip(NEXT) | instid1(VALU_DEP_1)
	v_add3_u32 v11, v9, v11, 0x88fffff
	v_lshrrev_b32_e32 v11, 21, v11
	s_and_not1_saveexec_b32 s17, s1
	s_cbranch_execnz .LBB251_2504
.LBB251_2196:
	s_or_b32 exec_lo, exec_lo, s17
	v_mov_b32_e32 v19, 0
	s_and_saveexec_b32 s1, s14
.LBB251_2197:
	v_lshrrev_b32_e32 v9, 24, v9
	s_delay_alu instid0(VALU_DEP_1)
	v_and_or_b32 v19, 0x80, v9, v11
.LBB251_2198:
	s_or_b32 exec_lo, exec_lo, s1
.LBB251_2199:
	s_delay_alu instid0(SALU_CYCLE_1)
	s_or_b32 exec_lo, exec_lo, s13
.LBB251_2200:
	s_delay_alu instid0(SALU_CYCLE_1) | instskip(NEXT) | instid1(SALU_CYCLE_1)
	s_or_b32 exec_lo, exec_lo, s12
	s_or_b32 s12, s10, exec_lo
.LBB251_2201:
	s_or_saveexec_b32 s6, s6
	s_mov_b32 s1, 0
	s_mov_b32 s13, s11
	s_xor_b32 exec_lo, exec_lo, s6
	s_cbranch_execz .LBB251_2215
; %bb.2202:
	s_mov_b32 s14, s11
	s_mov_b32 s17, s12
	s_mov_b32 s13, exec_lo
                                        ; implicit-def: $vgpr19
	v_cmpx_lt_i16_e32 14, v18
	s_xor_b32 s13, exec_lo, s13
	s_cbranch_execz .LBB251_2212
; %bb.2203:
	s_mov_b32 s17, -1
	s_mov_b32 s18, s12
	s_mov_b32 s14, exec_lo
                                        ; implicit-def: $vgpr19
	v_cmpx_eq_u16_e32 15, v18
	s_cbranch_execz .LBB251_2211
; %bb.2204:
	s_wait_loadcnt_dscnt 0x0
	flat_load_u16 v9, v[6:7]
	s_mov_b32 s17, exec_lo
	s_wait_loadcnt_dscnt 0x0
	v_dual_mov_b32 v19, 0x80 :: v_dual_lshlrev_b32 v12, 16, v9
	s_delay_alu instid0(VALU_DEP_1) | instskip(SKIP_1) | instid1(VALU_DEP_1)
	v_and_b32_e32 v11, 0x7fffffff, v12
	s_wait_xcnt 0x0
	v_cmpx_gt_u32_e32 0x47800000, v11
	s_cbranch_execz .LBB251_2210
; %bb.2205:
	v_cmp_lt_u32_e64 s1, 0x37ffffff, v11
	s_mov_b32 s18, 0
                                        ; implicit-def: $vgpr11
	s_and_saveexec_b32 s19, s1
	s_delay_alu instid0(SALU_CYCLE_1)
	s_xor_b32 s1, exec_lo, s19
	s_cbranch_execz .LBB251_2592
; %bb.2206:
	v_bfe_u32 v11, v9, 5, 1
	s_mov_b32 s18, exec_lo
	s_delay_alu instid0(VALU_DEP_1) | instskip(NEXT) | instid1(VALU_DEP_1)
	v_add3_u32 v11, v12, v11, 0x88fffff
                                        ; implicit-def: $vgpr12
	v_lshrrev_b32_e32 v11, 21, v11
	s_and_not1_saveexec_b32 s19, s1
	s_cbranch_execnz .LBB251_2593
.LBB251_2207:
	s_or_b32 exec_lo, exec_lo, s19
	v_mov_b32_e32 v19, 0
	s_and_saveexec_b32 s1, s18
.LBB251_2208:
	v_lshrrev_b32_e32 v9, 8, v9
	s_delay_alu instid0(VALU_DEP_1)
	v_and_or_b32 v19, 0x80, v9, v11
.LBB251_2209:
	s_or_b32 exec_lo, exec_lo, s1
.LBB251_2210:
	s_delay_alu instid0(SALU_CYCLE_1) | instskip(NEXT) | instid1(SALU_CYCLE_1)
	s_or_b32 exec_lo, exec_lo, s17
	s_or_b32 s18, s12, exec_lo
	s_xor_b32 s17, exec_lo, -1
.LBB251_2211:
	s_or_b32 exec_lo, exec_lo, s14
	s_delay_alu instid0(SALU_CYCLE_1)
	s_and_not1_b32 s1, s12, exec_lo
	s_and_b32 s14, s18, exec_lo
	s_and_not1_b32 s18, s11, exec_lo
	s_and_b32 s19, s17, exec_lo
	s_or_b32 s17, s1, s14
	s_or_b32 s14, s18, s19
.LBB251_2212:
	s_or_saveexec_b32 s18, s13
	s_mov_b32 s13, 0
	s_xor_b32 exec_lo, exec_lo, s18
; %bb.2213:
	v_cmp_ne_u16_e64 s1, 11, v18
	s_and_not1_b32 s14, s14, exec_lo
	s_mov_b32 s13, exec_lo
	s_and_b32 s1, s1, exec_lo
	s_delay_alu instid0(SALU_CYCLE_1)
	s_or_b32 s14, s14, s1
; %bb.2214:
	s_or_b32 exec_lo, exec_lo, s18
	s_delay_alu instid0(SALU_CYCLE_1)
	s_and_not1_b32 s1, s12, exec_lo
	s_and_b32 s12, s17, exec_lo
	s_and_not1_b32 s17, s11, exec_lo
	s_and_b32 s14, s14, exec_lo
	s_or_b32 s12, s1, s12
	s_and_b32 s1, s13, exec_lo
	s_or_b32 s13, s17, s14
.LBB251_2215:
	s_or_b32 exec_lo, exec_lo, s6
	s_delay_alu instid0(SALU_CYCLE_1)
	s_and_not1_b32 s6, s10, exec_lo
	s_and_b32 s10, s12, exec_lo
	s_and_not1_b32 s11, s11, exec_lo
	s_and_b32 s12, s13, exec_lo
	s_or_b32 s10, s6, s10
	s_and_b32 s6, s1, exec_lo
	s_or_b32 s11, s11, s12
	s_or_b32 exec_lo, exec_lo, s9
	s_mov_b32 s9, s4
	s_and_saveexec_b32 s1, s11
	s_cbranch_execz .LBB251_875
.LBB251_2216:
	s_or_b32 s9, s4, exec_lo
	s_and_not1_b32 s6, s6, exec_lo
	s_trap 2
	s_or_b32 exec_lo, exec_lo, s1
	s_and_saveexec_b32 s1, s6
	s_delay_alu instid0(SALU_CYCLE_1)
	s_xor_b32 s6, exec_lo, s1
	s_cbranch_execnz .LBB251_876
	s_branch .LBB251_883
.LBB251_2217:
	s_or_saveexec_b32 s9, s9
	v_mov_b32_e32 v7, 0x7f800001
	s_xor_b32 exec_lo, exec_lo, s9
	s_cbranch_execz .LBB251_455
.LBB251_2218:
	v_cmp_ne_u16_e64 s0, 0, v9
	v_mov_b32_e32 v7, 0
	s_and_not1_b32 s8, s8, exec_lo
	s_and_b32 s0, s0, exec_lo
	s_delay_alu instid0(SALU_CYCLE_1)
	s_or_b32 s8, s8, s0
	s_or_b32 exec_lo, exec_lo, s9
	s_and_saveexec_b32 s9, s8
	s_cbranch_execnz .LBB251_456
	s_branch .LBB251_457
.LBB251_2219:
	s_and_not1_saveexec_b32 s9, s0
	s_cbranch_execz .LBB251_661
.LBB251_2220:
	v_add_f32_e32 v7, 0x42800000, v10
	s_and_not1_b32 s8, s8, exec_lo
	s_delay_alu instid0(VALU_DEP_1) | instskip(NEXT) | instid1(VALU_DEP_1)
	v_and_b32_e32 v7, 0xff, v7
	v_cmp_ne_u32_e64 s0, 0, v7
	s_and_b32 s0, s0, exec_lo
	s_delay_alu instid0(SALU_CYCLE_1)
	s_or_b32 s8, s8, s0
	s_or_b32 exec_lo, exec_lo, s9
	v_mov_b32_e32 v9, 0
	s_and_saveexec_b32 s0, s8
	s_cbranch_execnz .LBB251_662
	s_branch .LBB251_663
.LBB251_2221:
	s_and_not1_saveexec_b32 s11, s11
	s_cbranch_execz .LBB251_1064
.LBB251_2222:
	s_mov_b32 s14, s12
	s_mov_b32 s9, exec_lo
                                        ; implicit-def: $vgpr20
	v_cmpx_lt_i16_e32 22, v15
	s_xor_b32 s9, exec_lo, s9
	s_cbranch_execz .LBB251_2244
; %bb.2223:
	s_mov_b32 s14, exec_lo
                                        ; implicit-def: $vgpr20
	v_cmpx_lt_i16_e32 23, v15
	s_xor_b32 s14, exec_lo, s14
	s_cbranch_execz .LBB251_2235
; %bb.2224:
	v_cmp_lt_i16_e64 s1, 24, v15
                                        ; implicit-def: $vgpr20
	s_and_saveexec_b32 s17, s1
	s_delay_alu instid0(SALU_CYCLE_1)
	s_xor_b32 s1, exec_lo, s17
	s_cbranch_execz .LBB251_2226
; %bb.2225:
	flat_load_u8 v20, v[8:9]
.LBB251_2226:
	s_wait_xcnt 0x0
	s_and_not1_saveexec_b32 s17, s1
	s_cbranch_execz .LBB251_2234
; %bb.2227:
	flat_load_u8 v7, v[8:9]
	s_mov_b32 s19, 0
	s_mov_b32 s18, exec_lo
	s_wait_loadcnt_dscnt 0x0
	v_lshlrev_b32_e32 v7, 24, v7
	s_delay_alu instid0(VALU_DEP_1) | instskip(NEXT) | instid1(VALU_DEP_1)
	v_and_b32_e32 v12, 0x7f000000, v7
	v_clz_i32_u32_e32 v13, v12
	v_add_nc_u32_e32 v21, 0x1000000, v12
	v_cmp_ne_u32_e64 s1, 0, v12
	s_delay_alu instid0(VALU_DEP_3) | instskip(NEXT) | instid1(VALU_DEP_1)
	v_min_u32_e32 v13, 32, v13
	v_sub_nc_u32_e64 v13, v13, 4 clamp
	s_delay_alu instid0(VALU_DEP_1) | instskip(NEXT) | instid1(VALU_DEP_1)
	v_dual_lshlrev_b32 v20, v13, v12 :: v_dual_lshlrev_b32 v13, 23, v13
	v_lshrrev_b32_e32 v20, 4, v20
	s_delay_alu instid0(VALU_DEP_1) | instskip(SKIP_1) | instid1(VALU_DEP_2)
	v_sub_nc_u32_e32 v13, v20, v13
	v_ashrrev_i32_e32 v20, 8, v21
	v_add_nc_u32_e32 v13, 0x3c000000, v13
	s_delay_alu instid0(VALU_DEP_1) | instskip(SKIP_1) | instid1(VALU_DEP_2)
	v_and_or_b32 v13, 0x7f800000, v20, v13
	v_mov_b32_e32 v20, 0x80
	v_cndmask_b32_e64 v13, 0, v13, s1
	s_delay_alu instid0(VALU_DEP_1) | instskip(NEXT) | instid1(VALU_DEP_1)
	v_and_or_b32 v7, 0x80000000, v7, v13
	v_and_b32_e32 v12, 0x7fffffff, v7
	s_wait_xcnt 0x0
	s_delay_alu instid0(VALU_DEP_1)
	v_cmpx_gt_u32_e32 0x47800000, v12
	s_cbranch_execz .LBB251_2233
; %bb.2228:
	v_cmp_lt_u32_e64 s1, 0x37ffffff, v12
                                        ; implicit-def: $vgpr12
	s_and_saveexec_b32 s20, s1
	s_delay_alu instid0(SALU_CYCLE_1)
	s_xor_b32 s1, exec_lo, s20
	s_cbranch_execz .LBB251_2679
; %bb.2229:
	v_bfe_u32 v12, v13, 21, 1
	s_mov_b32 s19, exec_lo
	s_delay_alu instid0(VALU_DEP_1) | instskip(NEXT) | instid1(VALU_DEP_1)
	v_add3_u32 v12, v7, v12, 0x88fffff
	v_lshrrev_b32_e32 v12, 21, v12
	s_and_not1_saveexec_b32 s20, s1
	s_cbranch_execnz .LBB251_2680
.LBB251_2230:
	s_or_b32 exec_lo, exec_lo, s20
	v_mov_b32_e32 v20, 0
	s_and_saveexec_b32 s1, s19
.LBB251_2231:
	v_lshrrev_b32_e32 v7, 24, v7
	s_delay_alu instid0(VALU_DEP_1)
	v_and_or_b32 v20, 0x80, v7, v12
.LBB251_2232:
	s_or_b32 exec_lo, exec_lo, s1
.LBB251_2233:
	s_delay_alu instid0(SALU_CYCLE_1)
	s_or_b32 exec_lo, exec_lo, s18
.LBB251_2234:
	s_delay_alu instid0(SALU_CYCLE_1)
	s_or_b32 exec_lo, exec_lo, s17
.LBB251_2235:
	s_and_not1_saveexec_b32 s14, s14
	s_cbranch_execz .LBB251_2243
; %bb.2236:
	flat_load_u8 v7, v[8:9]
	s_mov_b32 s17, exec_lo
	s_wait_loadcnt_dscnt 0x0
	v_lshlrev_b32_e32 v12, 25, v7
	v_lshlrev_b16 v7, 8, v7
	s_delay_alu instid0(VALU_DEP_1) | instskip(SKIP_1) | instid1(VALU_DEP_2)
	v_and_or_b32 v20, 0x7f00, v7, 0.5
	v_bfe_i32 v7, v7, 0, 16
	v_add_f32_e32 v20, -0.5, v20
	v_lshrrev_b32_e32 v13, 4, v12
	v_cmp_gt_u32_e64 s1, 0x8000000, v12
	s_delay_alu instid0(VALU_DEP_2) | instskip(NEXT) | instid1(VALU_DEP_1)
	v_or_b32_e32 v13, 0x70000000, v13
	v_mul_f32_e32 v13, 0x7800000, v13
	s_delay_alu instid0(VALU_DEP_1) | instskip(SKIP_1) | instid1(VALU_DEP_2)
	v_cndmask_b32_e64 v13, v13, v20, s1
	v_mov_b32_e32 v20, 0x80
	v_and_or_b32 v7, 0x80000000, v7, v13
	s_delay_alu instid0(VALU_DEP_1) | instskip(SKIP_1) | instid1(VALU_DEP_1)
	v_and_b32_e32 v12, 0x7fffffff, v7
	s_wait_xcnt 0x0
	v_cmpx_gt_u32_e32 0x47800000, v12
	s_cbranch_execz .LBB251_2242
; %bb.2237:
	v_cmp_lt_u32_e64 s1, 0x37ffffff, v12
	s_mov_b32 s18, 0
                                        ; implicit-def: $vgpr12
	s_and_saveexec_b32 s19, s1
	s_delay_alu instid0(SALU_CYCLE_1)
	s_xor_b32 s1, exec_lo, s19
	s_cbranch_execz .LBB251_2594
; %bb.2238:
	v_bfe_u32 v12, v13, 21, 1
	s_mov_b32 s18, exec_lo
	s_delay_alu instid0(VALU_DEP_1) | instskip(NEXT) | instid1(VALU_DEP_1)
	v_add3_u32 v12, v7, v12, 0x88fffff
	v_lshrrev_b32_e32 v12, 21, v12
	s_and_not1_saveexec_b32 s19, s1
	s_cbranch_execnz .LBB251_2595
.LBB251_2239:
	s_or_b32 exec_lo, exec_lo, s19
	v_mov_b32_e32 v20, 0
	s_and_saveexec_b32 s1, s18
.LBB251_2240:
	v_lshrrev_b32_e32 v7, 24, v7
	s_delay_alu instid0(VALU_DEP_1)
	v_and_or_b32 v20, 0x80, v7, v12
.LBB251_2241:
	s_or_b32 exec_lo, exec_lo, s1
.LBB251_2242:
	s_delay_alu instid0(SALU_CYCLE_1)
	s_or_b32 exec_lo, exec_lo, s17
.LBB251_2243:
	s_delay_alu instid0(SALU_CYCLE_1) | instskip(NEXT) | instid1(SALU_CYCLE_1)
	s_or_b32 exec_lo, exec_lo, s14
	s_or_b32 s14, s12, exec_lo
.LBB251_2244:
	s_or_saveexec_b32 s9, s9
	s_mov_b32 s1, 0
	s_mov_b32 s17, s13
	s_xor_b32 exec_lo, exec_lo, s9
	s_cbranch_execz .LBB251_2258
; %bb.2245:
	s_mov_b32 s18, s13
	s_mov_b32 s19, s14
	s_mov_b32 s17, exec_lo
                                        ; implicit-def: $vgpr20
	v_cmpx_lt_i16_e32 14, v15
	s_xor_b32 s17, exec_lo, s17
	s_cbranch_execz .LBB251_2255
; %bb.2246:
	s_mov_b32 s19, -1
	s_mov_b32 s20, s14
	s_mov_b32 s18, exec_lo
                                        ; implicit-def: $vgpr20
	v_cmpx_eq_u16_e32 15, v15
	s_cbranch_execz .LBB251_2254
; %bb.2247:
	flat_load_u16 v7, v[8:9]
	s_mov_b32 s19, exec_lo
	s_wait_loadcnt_dscnt 0x0
	v_dual_mov_b32 v20, 0x80 :: v_dual_lshlrev_b32 v13, 16, v7
	s_delay_alu instid0(VALU_DEP_1) | instskip(SKIP_1) | instid1(VALU_DEP_1)
	v_and_b32_e32 v12, 0x7fffffff, v13
	s_wait_xcnt 0x0
	v_cmpx_gt_u32_e32 0x47800000, v12
	s_cbranch_execz .LBB251_2253
; %bb.2248:
	v_cmp_lt_u32_e64 s1, 0x37ffffff, v12
	s_mov_b32 s20, 0
                                        ; implicit-def: $vgpr12
	s_and_saveexec_b32 s21, s1
	s_delay_alu instid0(SALU_CYCLE_1)
	s_xor_b32 s1, exec_lo, s21
	s_cbranch_execz .LBB251_2681
; %bb.2249:
	v_bfe_u32 v12, v7, 5, 1
	s_mov_b32 s20, exec_lo
	s_delay_alu instid0(VALU_DEP_1) | instskip(NEXT) | instid1(VALU_DEP_1)
	v_add3_u32 v12, v13, v12, 0x88fffff
                                        ; implicit-def: $vgpr13
	v_lshrrev_b32_e32 v12, 21, v12
	s_and_not1_saveexec_b32 s21, s1
	s_cbranch_execnz .LBB251_2682
.LBB251_2250:
	s_or_b32 exec_lo, exec_lo, s21
	v_mov_b32_e32 v20, 0
	s_and_saveexec_b32 s1, s20
.LBB251_2251:
	v_lshrrev_b32_e32 v7, 8, v7
	s_delay_alu instid0(VALU_DEP_1)
	v_and_or_b32 v20, 0x80, v7, v12
.LBB251_2252:
	s_or_b32 exec_lo, exec_lo, s1
.LBB251_2253:
	s_delay_alu instid0(SALU_CYCLE_1) | instskip(NEXT) | instid1(SALU_CYCLE_1)
	s_or_b32 exec_lo, exec_lo, s19
	s_or_b32 s20, s14, exec_lo
	s_xor_b32 s19, exec_lo, -1
.LBB251_2254:
	s_or_b32 exec_lo, exec_lo, s18
	s_delay_alu instid0(SALU_CYCLE_1)
	s_and_not1_b32 s1, s14, exec_lo
	s_and_b32 s18, s20, exec_lo
	s_and_not1_b32 s20, s13, exec_lo
	s_and_b32 s21, s19, exec_lo
	s_or_b32 s19, s1, s18
	s_or_b32 s18, s20, s21
.LBB251_2255:
	s_or_saveexec_b32 s20, s17
	s_mov_b32 s17, 0
	s_xor_b32 exec_lo, exec_lo, s20
; %bb.2256:
	v_cmp_ne_u16_e64 s1, 11, v15
	s_and_not1_b32 s18, s18, exec_lo
	s_mov_b32 s17, exec_lo
	s_and_b32 s1, s1, exec_lo
	s_delay_alu instid0(SALU_CYCLE_1)
	s_or_b32 s18, s18, s1
; %bb.2257:
	s_or_b32 exec_lo, exec_lo, s20
	s_delay_alu instid0(SALU_CYCLE_1)
	s_and_not1_b32 s1, s14, exec_lo
	s_and_b32 s14, s19, exec_lo
	s_and_not1_b32 s19, s13, exec_lo
	s_and_b32 s18, s18, exec_lo
	s_or_b32 s14, s1, s14
	s_and_b32 s1, s17, exec_lo
	s_or_b32 s17, s19, s18
.LBB251_2258:
	s_or_b32 exec_lo, exec_lo, s9
	s_delay_alu instid0(SALU_CYCLE_1)
	s_and_not1_b32 s9, s12, exec_lo
	s_and_b32 s12, s14, exec_lo
	s_and_not1_b32 s13, s13, exec_lo
	s_and_b32 s14, s17, exec_lo
	s_or_b32 s12, s9, s12
	s_and_b32 s9, s1, exec_lo
	s_or_b32 s13, s13, s14
	s_or_b32 exec_lo, exec_lo, s11
	s_mov_b32 s11, s6
	s_and_saveexec_b32 s1, s13
	s_cbranch_execz .LBB251_1065
.LBB251_2259:
	s_or_b32 s11, s6, exec_lo
	s_and_not1_b32 s9, s9, exec_lo
	s_trap 2
	s_or_b32 exec_lo, exec_lo, s1
	s_and_saveexec_b32 s1, s9
	s_delay_alu instid0(SALU_CYCLE_1)
	s_xor_b32 s9, exec_lo, s1
	s_cbranch_execnz .LBB251_1066
	s_branch .LBB251_1073
.LBB251_2260:
	s_and_not1_saveexec_b32 s10, s0
	s_cbranch_execz .LBB251_460
.LBB251_2261:
	v_add_f32_e64 v9, 0x42800000, |v7|
	s_and_not1_b32 s9, s9, exec_lo
	s_delay_alu instid0(VALU_DEP_1) | instskip(NEXT) | instid1(VALU_DEP_1)
	v_and_b32_e32 v9, 0xff, v9
	v_cmp_ne_u32_e64 s0, 0, v9
	s_and_b32 s0, s0, exec_lo
	s_delay_alu instid0(SALU_CYCLE_1)
	s_or_b32 s9, s9, s0
	s_or_b32 exec_lo, exec_lo, s10
	v_mov_b32_e32 v21, 0
	s_and_saveexec_b32 s0, s9
	s_cbranch_execnz .LBB251_461
	s_branch .LBB251_462
.LBB251_2262:
	s_and_not1_saveexec_b32 s8, s0
	s_cbranch_execz .LBB251_501
.LBB251_2263:
	v_add_f32_e64 v3, 0x42800000, |v2|
	s_and_not1_b32 s7, s7, exec_lo
	s_delay_alu instid0(VALU_DEP_1) | instskip(NEXT) | instid1(VALU_DEP_1)
	v_and_b32_e32 v3, 0xff, v3
	v_cmp_ne_u32_e64 s0, 0, v3
	s_and_b32 s0, s0, exec_lo
	s_delay_alu instid0(SALU_CYCLE_1)
	s_or_b32 s7, s7, s0
	s_or_b32 exec_lo, exec_lo, s8
	v_mov_b32_e32 v21, 0
	s_and_saveexec_b32 s0, s7
	s_cbranch_execnz .LBB251_502
	s_branch .LBB251_503
.LBB251_2264:
	s_and_not1_saveexec_b32 s8, s0
	s_cbranch_execz .LBB251_529
.LBB251_2265:
	v_add_f32_e64 v3, 0x42800000, |v2|
	s_and_not1_b32 s7, s7, exec_lo
	s_delay_alu instid0(VALU_DEP_1) | instskip(NEXT) | instid1(VALU_DEP_1)
	v_and_b32_e32 v3, 0xff, v3
	v_cmp_ne_u32_e64 s0, 0, v3
	s_and_b32 s0, s0, exec_lo
	s_delay_alu instid0(SALU_CYCLE_1)
	s_or_b32 s7, s7, s0
	s_or_b32 exec_lo, exec_lo, s8
	v_mov_b32_e32 v21, 0
	s_and_saveexec_b32 s0, s7
	s_cbranch_execnz .LBB251_530
	s_branch .LBB251_531
.LBB251_2266:
	s_and_not1_saveexec_b32 s8, s0
	s_cbranch_execz .LBB251_559
.LBB251_2267:
	v_add_f32_e64 v3, 0x42800000, |v2|
	s_and_not1_b32 s7, s7, exec_lo
	s_delay_alu instid0(VALU_DEP_1) | instskip(NEXT) | instid1(VALU_DEP_1)
	v_and_b32_e32 v3, 0xff, v3
	v_cmp_ne_u32_e64 s0, 0, v3
	s_and_b32 s0, s0, exec_lo
	s_delay_alu instid0(SALU_CYCLE_1)
	s_or_b32 s7, s7, s0
	s_or_b32 exec_lo, exec_lo, s8
	v_mov_b32_e32 v21, 0
	s_and_saveexec_b32 s0, s7
	s_cbranch_execnz .LBB251_560
	s_branch .LBB251_561
.LBB251_2268:
	s_and_not1_saveexec_b32 s8, s0
	s_cbranch_execz .LBB251_569
.LBB251_2269:
	v_add_f32_e64 v3, 0x42800000, |v2|
	s_and_not1_b32 s7, s7, exec_lo
	s_delay_alu instid0(VALU_DEP_1) | instskip(NEXT) | instid1(VALU_DEP_1)
	v_and_b32_e32 v3, 0xff, v3
	v_cmp_ne_u32_e64 s0, 0, v3
	s_and_b32 s0, s0, exec_lo
	s_delay_alu instid0(SALU_CYCLE_1)
	s_or_b32 s7, s7, s0
	s_or_b32 exec_lo, exec_lo, s8
	v_mov_b32_e32 v21, 0
	s_and_saveexec_b32 s0, s7
	s_cbranch_execnz .LBB251_570
	s_branch .LBB251_571
.LBB251_2270:
	s_and_not1_saveexec_b32 s8, s0
	s_cbranch_execz .LBB251_577
.LBB251_2271:
	v_add_f32_e32 v2, 0x42800000, v3
	s_and_not1_b32 s7, s7, exec_lo
	s_delay_alu instid0(VALU_DEP_1) | instskip(NEXT) | instid1(VALU_DEP_1)
	v_and_b32_e32 v2, 0xff, v2
	v_cmp_ne_u32_e64 s0, 0, v2
	s_and_b32 s0, s0, exec_lo
	s_delay_alu instid0(SALU_CYCLE_1)
	s_or_b32 s7, s7, s0
	s_or_b32 exec_lo, exec_lo, s8
	v_mov_b32_e32 v21, 0
	s_and_saveexec_b32 s0, s7
	s_cbranch_execnz .LBB251_578
	s_branch .LBB251_579
.LBB251_2272:
	s_or_saveexec_b32 s11, s11
	v_mov_b32_e32 v7, 0x7f800001
	s_xor_b32 exec_lo, exec_lo, s11
	s_cbranch_execz .LBB251_645
.LBB251_2273:
	v_cmp_ne_u16_e64 s0, 0, v9
	v_mov_b32_e32 v7, 0
	s_and_not1_b32 s10, s10, exec_lo
	s_and_b32 s0, s0, exec_lo
	s_delay_alu instid0(SALU_CYCLE_1)
	s_or_b32 s10, s10, s0
	s_or_b32 exec_lo, exec_lo, s11
	s_and_saveexec_b32 s11, s10
	s_cbranch_execnz .LBB251_646
	s_branch .LBB251_647
.LBB251_2274:
	s_and_not1_saveexec_b32 s13, s1
	s_cbranch_execz .LBB251_879
.LBB251_2275:
	v_add_f32_e32 v6, 0x42800000, v7
	s_and_not1_b32 s12, s12, exec_lo
	s_delay_alu instid0(VALU_DEP_1) | instskip(NEXT) | instid1(VALU_DEP_1)
	v_and_b32_e32 v6, 0xff, v6
	v_cmp_ne_u32_e64 s1, 0, v6
	s_and_b32 s1, s1, exec_lo
	s_delay_alu instid0(SALU_CYCLE_1)
	s_or_b32 s12, s12, s1
	s_or_b32 exec_lo, exec_lo, s13
	v_mov_b32_e32 v19, 0
	s_and_saveexec_b32 s1, s12
	s_cbranch_execnz .LBB251_880
	s_branch .LBB251_881
.LBB251_2276:
	s_or_saveexec_b32 s13, s13
	v_mov_b32_e32 v7, 0x7f800001
	s_xor_b32 exec_lo, exec_lo, s13
	s_cbranch_execz .LBB251_1188
.LBB251_2277:
	v_cmp_ne_u16_e64 s1, 0, v8
	v_mov_b32_e32 v7, 0
	s_and_not1_b32 s11, s11, exec_lo
	s_and_b32 s1, s1, exec_lo
	s_delay_alu instid0(SALU_CYCLE_1)
	s_or_b32 s11, s11, s1
	s_or_b32 exec_lo, exec_lo, s13
	s_and_saveexec_b32 s13, s11
	s_cbranch_execnz .LBB251_1189
	s_branch .LBB251_1190
.LBB251_2278:
	s_or_saveexec_b32 s13, s13
	v_mov_b32_e32 v8, 0x7f800001
	s_xor_b32 exec_lo, exec_lo, s13
	s_cbranch_execz .LBB251_1194
.LBB251_2279:
	v_cmp_ne_u16_e64 s1, 0, v9
	v_mov_b32_e32 v8, 0
	s_and_not1_b32 s11, s11, exec_lo
	s_and_b32 s1, s1, exec_lo
	s_delay_alu instid0(SALU_CYCLE_1)
	s_or_b32 s11, s11, s1
	s_or_b32 exec_lo, exec_lo, s13
	s_and_saveexec_b32 s13, s11
	s_cbranch_execnz .LBB251_1195
	s_branch .LBB251_1196
.LBB251_2280:
	s_or_saveexec_b32 s14, s14
	v_mov_b32_e32 v7, 0x7f800001
	s_xor_b32 exec_lo, exec_lo, s14
	s_cbranch_execz .LBB251_1202
.LBB251_2281:
	v_cmp_ne_u16_e64 s1, 0, v8
	v_mov_b32_e32 v7, 0
	s_and_not1_b32 s13, s13, exec_lo
	s_and_b32 s1, s1, exec_lo
	s_delay_alu instid0(SALU_CYCLE_1)
	s_or_b32 s13, s13, s1
	s_or_b32 exec_lo, exec_lo, s14
	s_and_saveexec_b32 s14, s13
	s_cbranch_execnz .LBB251_1203
	s_branch .LBB251_1204
.LBB251_2282:
	s_or_saveexec_b32 s14, s14
	v_mov_b32_e32 v8, 0x7f800001
	s_xor_b32 exec_lo, exec_lo, s14
	s_cbranch_execz .LBB251_1208
.LBB251_2283:
	v_cmp_ne_u16_e64 s1, 0, v9
	v_mov_b32_e32 v8, 0
	s_and_not1_b32 s13, s13, exec_lo
	s_and_b32 s1, s1, exec_lo
	s_delay_alu instid0(SALU_CYCLE_1)
	s_or_b32 s13, s13, s1
	s_or_b32 exec_lo, exec_lo, s14
	s_and_saveexec_b32 s14, s13
	s_cbranch_execnz .LBB251_1209
	s_branch .LBB251_1210
.LBB251_2284:
	s_and_not1_saveexec_b32 s14, s14
	s_cbranch_execz .LBB251_1282
.LBB251_2285:
	s_mov_b32 s19, s17
	s_mov_b32 s12, exec_lo
                                        ; implicit-def: $vgpr8
	v_cmpx_lt_i16_e32 22, v18
	s_xor_b32 s12, exec_lo, s12
	s_cbranch_execz .LBB251_2307
; %bb.2286:
	s_mov_b32 s19, exec_lo
                                        ; implicit-def: $vgpr8
	v_cmpx_lt_i16_e32 23, v18
	s_xor_b32 s19, exec_lo, s19
	s_cbranch_execz .LBB251_2298
; %bb.2287:
	v_cmp_lt_i16_e64 s1, 24, v18
                                        ; implicit-def: $vgpr8
	s_and_saveexec_b32 s20, s1
	s_delay_alu instid0(SALU_CYCLE_1)
	s_xor_b32 s1, exec_lo, s20
	s_cbranch_execz .LBB251_2289
; %bb.2288:
	flat_load_u8 v8, v[4:5]
.LBB251_2289:
	s_wait_xcnt 0x0
	s_and_not1_saveexec_b32 s20, s1
	s_cbranch_execz .LBB251_2297
; %bb.2290:
	flat_load_u8 v7, v[4:5]
	s_mov_b32 s22, 0
	s_mov_b32 s21, exec_lo
	s_wait_loadcnt_dscnt 0x0
	v_lshlrev_b32_e32 v7, 24, v7
	s_delay_alu instid0(VALU_DEP_1) | instskip(NEXT) | instid1(VALU_DEP_1)
	v_and_b32_e32 v8, 0x7f000000, v7
	v_clz_i32_u32_e32 v9, v8
	v_add_nc_u32_e32 v12, 0x1000000, v8
	v_cmp_ne_u32_e64 s1, 0, v8
	s_delay_alu instid0(VALU_DEP_3) | instskip(NEXT) | instid1(VALU_DEP_1)
	v_min_u32_e32 v9, 32, v9
	v_sub_nc_u32_e64 v9, v9, 4 clamp
	s_delay_alu instid0(VALU_DEP_1) | instskip(SKIP_1) | instid1(VALU_DEP_2)
	v_dual_lshlrev_b32 v10, v9, v8 :: v_dual_lshlrev_b32 v9, 23, v9
	v_mov_b32_e32 v8, 0x80
	v_lshrrev_b32_e32 v10, 4, v10
	s_delay_alu instid0(VALU_DEP_1) | instskip(NEXT) | instid1(VALU_DEP_1)
	v_dual_sub_nc_u32 v9, v10, v9 :: v_dual_ashrrev_i32 v10, 8, v12
	v_add_nc_u32_e32 v9, 0x3c000000, v9
	s_delay_alu instid0(VALU_DEP_1) | instskip(NEXT) | instid1(VALU_DEP_1)
	v_and_or_b32 v9, 0x7f800000, v10, v9
	v_cndmask_b32_e64 v10, 0, v9, s1
	s_delay_alu instid0(VALU_DEP_1) | instskip(NEXT) | instid1(VALU_DEP_1)
	v_and_or_b32 v7, 0x80000000, v7, v10
	v_and_b32_e32 v9, 0x7fffffff, v7
	s_wait_xcnt 0x0
	s_delay_alu instid0(VALU_DEP_1)
	v_cmpx_gt_u32_e32 0x47800000, v9
	s_cbranch_execz .LBB251_2296
; %bb.2291:
	v_cmp_lt_u32_e64 s1, 0x37ffffff, v9
                                        ; implicit-def: $vgpr9
	s_and_saveexec_b32 s23, s1
	s_delay_alu instid0(SALU_CYCLE_1)
	s_xor_b32 s1, exec_lo, s23
	s_cbranch_execz .LBB251_2764
; %bb.2292:
	v_bfe_u32 v8, v10, 21, 1
	s_mov_b32 s22, exec_lo
	s_delay_alu instid0(VALU_DEP_1) | instskip(NEXT) | instid1(VALU_DEP_1)
	v_add3_u32 v8, v7, v8, 0x88fffff
	v_lshrrev_b32_e32 v9, 21, v8
	s_and_not1_saveexec_b32 s23, s1
	s_cbranch_execnz .LBB251_2765
.LBB251_2293:
	s_or_b32 exec_lo, exec_lo, s23
	v_mov_b32_e32 v8, 0
	s_and_saveexec_b32 s1, s22
.LBB251_2294:
	v_lshrrev_b32_e32 v7, 24, v7
	s_delay_alu instid0(VALU_DEP_1)
	v_and_or_b32 v8, 0x80, v7, v9
.LBB251_2295:
	s_or_b32 exec_lo, exec_lo, s1
.LBB251_2296:
	s_delay_alu instid0(SALU_CYCLE_1)
	s_or_b32 exec_lo, exec_lo, s21
.LBB251_2297:
	s_delay_alu instid0(SALU_CYCLE_1)
	s_or_b32 exec_lo, exec_lo, s20
.LBB251_2298:
	s_and_not1_saveexec_b32 s19, s19
	s_cbranch_execz .LBB251_2306
; %bb.2299:
	flat_load_u8 v7, v[4:5]
	s_mov_b32 s20, exec_lo
	s_wait_loadcnt_dscnt 0x0
	v_lshlrev_b32_e32 v8, 25, v7
	v_lshlrev_b16 v7, 8, v7
	s_delay_alu instid0(VALU_DEP_1) | instskip(SKIP_1) | instid1(VALU_DEP_2)
	v_and_or_b32 v10, 0x7f00, v7, 0.5
	v_bfe_i32 v7, v7, 0, 16
	v_dual_add_f32 v10, -0.5, v10 :: v_dual_lshrrev_b32 v9, 4, v8
	v_cmp_gt_u32_e64 s1, 0x8000000, v8
	v_mov_b32_e32 v8, 0x80
	s_delay_alu instid0(VALU_DEP_3) | instskip(NEXT) | instid1(VALU_DEP_1)
	v_or_b32_e32 v9, 0x70000000, v9
	v_mul_f32_e32 v9, 0x7800000, v9
	s_delay_alu instid0(VALU_DEP_1) | instskip(NEXT) | instid1(VALU_DEP_1)
	v_cndmask_b32_e64 v10, v9, v10, s1
	v_and_or_b32 v7, 0x80000000, v7, v10
	s_delay_alu instid0(VALU_DEP_1) | instskip(SKIP_1) | instid1(VALU_DEP_1)
	v_and_b32_e32 v9, 0x7fffffff, v7
	s_wait_xcnt 0x0
	v_cmpx_gt_u32_e32 0x47800000, v9
	s_cbranch_execz .LBB251_2305
; %bb.2300:
	v_cmp_lt_u32_e64 s1, 0x37ffffff, v9
	s_mov_b32 s21, 0
                                        ; implicit-def: $vgpr9
	s_and_saveexec_b32 s22, s1
	s_delay_alu instid0(SALU_CYCLE_1)
	s_xor_b32 s1, exec_lo, s22
	s_cbranch_execz .LBB251_2683
; %bb.2301:
	v_bfe_u32 v8, v10, 21, 1
	s_mov_b32 s21, exec_lo
	s_delay_alu instid0(VALU_DEP_1) | instskip(NEXT) | instid1(VALU_DEP_1)
	v_add3_u32 v8, v7, v8, 0x88fffff
	v_lshrrev_b32_e32 v9, 21, v8
	s_and_not1_saveexec_b32 s22, s1
	s_cbranch_execnz .LBB251_2684
.LBB251_2302:
	s_or_b32 exec_lo, exec_lo, s22
	v_mov_b32_e32 v8, 0
	s_and_saveexec_b32 s1, s21
.LBB251_2303:
	v_lshrrev_b32_e32 v7, 24, v7
	s_delay_alu instid0(VALU_DEP_1)
	v_and_or_b32 v8, 0x80, v7, v9
.LBB251_2304:
	s_or_b32 exec_lo, exec_lo, s1
.LBB251_2305:
	s_delay_alu instid0(SALU_CYCLE_1)
	s_or_b32 exec_lo, exec_lo, s20
.LBB251_2306:
	s_delay_alu instid0(SALU_CYCLE_1) | instskip(NEXT) | instid1(SALU_CYCLE_1)
	s_or_b32 exec_lo, exec_lo, s19
	s_or_b32 s19, s17, exec_lo
                                        ; implicit-def: $vgpr18
.LBB251_2307:
	s_or_saveexec_b32 s12, s12
	s_mov_b32 s1, 0
	s_mov_b32 s20, s18
	s_xor_b32 exec_lo, exec_lo, s12
	s_cbranch_execz .LBB251_2321
; %bb.2308:
	s_mov_b32 s21, s18
	s_mov_b32 s22, s19
	s_mov_b32 s20, exec_lo
                                        ; implicit-def: $vgpr8
	v_cmpx_lt_i16_e32 14, v18
	s_xor_b32 s20, exec_lo, s20
	s_cbranch_execz .LBB251_2318
; %bb.2309:
	s_mov_b32 s22, -1
	s_mov_b32 s23, s19
	s_mov_b32 s21, exec_lo
                                        ; implicit-def: $vgpr8
	v_cmpx_eq_u16_e32 15, v18
	s_cbranch_execz .LBB251_2317
; %bb.2310:
	flat_load_u16 v7, v[4:5]
	s_wait_loadcnt_dscnt 0x101
	v_mov_b32_e32 v8, 0x80
	s_mov_b32 s22, exec_lo
	s_wait_loadcnt_dscnt 0x0
	v_lshlrev_b32_e32 v10, 16, v7
	s_delay_alu instid0(VALU_DEP_1) | instskip(SKIP_1) | instid1(VALU_DEP_1)
	v_and_b32_e32 v9, 0x7fffffff, v10
	s_wait_xcnt 0x0
	v_cmpx_gt_u32_e32 0x47800000, v9
	s_cbranch_execz .LBB251_2316
; %bb.2311:
	v_cmp_lt_u32_e64 s1, 0x37ffffff, v9
	s_mov_b32 s23, 0
                                        ; implicit-def: $vgpr9
	s_and_saveexec_b32 s24, s1
	s_delay_alu instid0(SALU_CYCLE_1)
	s_xor_b32 s1, exec_lo, s24
	s_cbranch_execz .LBB251_2766
; %bb.2312:
	v_bfe_u32 v8, v7, 5, 1
	s_mov_b32 s23, exec_lo
	s_delay_alu instid0(VALU_DEP_1) | instskip(NEXT) | instid1(VALU_DEP_1)
	v_add3_u32 v8, v10, v8, 0x88fffff
                                        ; implicit-def: $vgpr10
	v_lshrrev_b32_e32 v9, 21, v8
	s_and_not1_saveexec_b32 s24, s1
	s_cbranch_execnz .LBB251_2767
.LBB251_2313:
	s_or_b32 exec_lo, exec_lo, s24
	v_mov_b32_e32 v8, 0
	s_and_saveexec_b32 s1, s23
.LBB251_2314:
	v_lshrrev_b32_e32 v7, 8, v7
	s_delay_alu instid0(VALU_DEP_1)
	v_and_or_b32 v8, 0x80, v7, v9
.LBB251_2315:
	s_or_b32 exec_lo, exec_lo, s1
.LBB251_2316:
	s_delay_alu instid0(SALU_CYCLE_1) | instskip(NEXT) | instid1(SALU_CYCLE_1)
	s_or_b32 exec_lo, exec_lo, s22
	s_or_b32 s23, s19, exec_lo
	s_xor_b32 s22, exec_lo, -1
.LBB251_2317:
	s_or_b32 exec_lo, exec_lo, s21
	s_delay_alu instid0(SALU_CYCLE_1)
	s_and_not1_b32 s1, s19, exec_lo
	s_and_b32 s21, s23, exec_lo
	s_and_not1_b32 s23, s18, exec_lo
	s_and_b32 s24, s22, exec_lo
	s_or_b32 s22, s1, s21
	s_or_b32 s21, s23, s24
                                        ; implicit-def: $vgpr18
.LBB251_2318:
	s_or_saveexec_b32 s20, s20
	s_mov_b32 s23, 0
	s_xor_b32 exec_lo, exec_lo, s20
; %bb.2319:
	v_cmp_ne_u16_e64 s1, 11, v18
	s_and_not1_b32 s21, s21, exec_lo
	s_mov_b32 s23, exec_lo
	s_and_b32 s1, s1, exec_lo
	s_delay_alu instid0(SALU_CYCLE_1)
	s_or_b32 s21, s21, s1
; %bb.2320:
	s_or_b32 exec_lo, exec_lo, s20
	s_delay_alu instid0(SALU_CYCLE_1)
	s_and_not1_b32 s1, s19, exec_lo
	s_and_b32 s19, s22, exec_lo
	s_and_not1_b32 s20, s18, exec_lo
	s_and_b32 s21, s21, exec_lo
	s_or_b32 s19, s1, s19
	s_and_b32 s1, s23, exec_lo
	s_or_b32 s20, s20, s21
.LBB251_2321:
	s_or_b32 exec_lo, exec_lo, s12
	s_delay_alu instid0(SALU_CYCLE_1)
	s_and_not1_b32 s12, s17, exec_lo
	s_and_b32 s17, s19, exec_lo
	s_and_not1_b32 s18, s18, exec_lo
	s_and_b32 s19, s20, exec_lo
	s_or_b32 s17, s12, s17
	s_and_b32 s12, s1, exec_lo
	s_or_b32 s18, s18, s19
	s_or_b32 exec_lo, exec_lo, s14
	s_mov_b32 s14, s9
	s_and_saveexec_b32 s1, s18
	s_cbranch_execz .LBB251_1283
.LBB251_2322:
	s_or_b32 s14, s9, exec_lo
	s_and_not1_b32 s12, s12, exec_lo
	s_trap 2
	s_or_b32 exec_lo, exec_lo, s1
	s_and_saveexec_b32 s1, s12
	s_delay_alu instid0(SALU_CYCLE_1)
	s_xor_b32 s12, exec_lo, s1
	s_cbranch_execnz .LBB251_1284
	s_branch .LBB251_1291
.LBB251_2323:
	s_and_not1_saveexec_b32 s9, s0
	s_cbranch_execz .LBB251_2024
.LBB251_2324:
	v_add_f32_e64 v9, 0x42800000, |v7|
	s_and_not1_b32 s8, s8, exec_lo
	s_delay_alu instid0(VALU_DEP_1) | instskip(NEXT) | instid1(VALU_DEP_1)
	v_and_b32_e32 v9, 0xff, v9
	v_cmp_ne_u32_e64 s0, 0, v9
	s_and_b32 s0, s0, exec_lo
	s_delay_alu instid0(SALU_CYCLE_1)
	s_or_b32 s8, s8, s0
	s_or_b32 exec_lo, exec_lo, s9
	v_mov_b32_e32 v21, 0
	s_and_saveexec_b32 s0, s8
	s_cbranch_execnz .LBB251_2025
	s_branch .LBB251_2026
.LBB251_2325:
	s_and_not1_saveexec_b32 s9, s0
	s_cbranch_execz .LBB251_33
.LBB251_2326:
	v_add_f32_e32 v2, 0x46000000, v3
	s_and_not1_b32 s8, s8, exec_lo
	s_delay_alu instid0(VALU_DEP_1) | instskip(NEXT) | instid1(VALU_DEP_1)
	v_and_b32_e32 v2, 0xff, v2
	v_cmp_ne_u32_e64 s0, 0, v2
	s_and_b32 s0, s0, exec_lo
	s_delay_alu instid0(SALU_CYCLE_1)
	s_or_b32 s8, s8, s0
	s_or_b32 exec_lo, exec_lo, s9
	v_mov_b32_e32 v4, 0
	s_and_saveexec_b32 s0, s8
	s_cbranch_execnz .LBB251_34
	s_branch .LBB251_35
.LBB251_2327:
	s_and_not1_saveexec_b32 s11, s0
	s_cbranch_execz .LBB251_425
.LBB251_2328:
	v_add_f32_e32 v7, 0x42800000, v9
	s_and_not1_b32 s10, s10, exec_lo
	s_delay_alu instid0(VALU_DEP_1) | instskip(NEXT) | instid1(VALU_DEP_1)
	v_and_b32_e32 v7, 0xff, v7
	v_cmp_ne_u32_e64 s0, 0, v7
	s_and_b32 s0, s0, exec_lo
	s_delay_alu instid0(SALU_CYCLE_1)
	s_or_b32 s10, s10, s0
	s_or_b32 exec_lo, exec_lo, s11
	v_mov_b32_e32 v21, 0
	s_and_saveexec_b32 s0, s10
	s_cbranch_execnz .LBB251_426
	s_branch .LBB251_427
.LBB251_2329:
	s_and_not1_saveexec_b32 s11, s0
	s_cbranch_execz .LBB251_437
.LBB251_2330:
	v_add_f32_e32 v7, 0x42800000, v9
	s_and_not1_b32 s10, s10, exec_lo
	s_delay_alu instid0(VALU_DEP_1) | instskip(NEXT) | instid1(VALU_DEP_1)
	v_and_b32_e32 v7, 0xff, v7
	v_cmp_ne_u32_e64 s0, 0, v7
	s_and_b32 s0, s0, exec_lo
	s_delay_alu instid0(SALU_CYCLE_1)
	s_or_b32 s10, s10, s0
	s_or_b32 exec_lo, exec_lo, s11
	v_mov_b32_e32 v21, 0
	s_and_saveexec_b32 s0, s10
	s_cbranch_execnz .LBB251_438
	s_branch .LBB251_439
.LBB251_2331:
	s_and_not1_saveexec_b32 s11, s0
	s_cbranch_execz .LBB251_445
.LBB251_2332:
	v_add_f32_e32 v7, 0x42800000, v9
	s_and_not1_b32 s10, s10, exec_lo
	s_delay_alu instid0(VALU_DEP_1) | instskip(NEXT) | instid1(VALU_DEP_1)
	v_and_b32_e32 v7, 0xff, v7
	v_cmp_ne_u32_e64 s0, 0, v7
	s_and_b32 s0, s0, exec_lo
	s_delay_alu instid0(SALU_CYCLE_1)
	s_or_b32 s10, s10, s0
	s_or_b32 exec_lo, exec_lo, s11
	v_mov_b32_e32 v21, 0
	s_and_saveexec_b32 s0, s10
	s_cbranch_execnz .LBB251_446
	s_branch .LBB251_447
.LBB251_2333:
	s_and_not1_saveexec_b32 s9, s0
	s_cbranch_execz .LBB251_484
.LBB251_2334:
	v_add_f32_e64 v3, 0x42800000, |v2|
	s_and_not1_b32 s8, s8, exec_lo
	s_delay_alu instid0(VALU_DEP_1) | instskip(NEXT) | instid1(VALU_DEP_1)
	v_and_b32_e32 v3, 0xff, v3
	v_cmp_ne_u32_e64 s0, 0, v3
	s_and_b32 s0, s0, exec_lo
	s_delay_alu instid0(SALU_CYCLE_1)
	s_or_b32 s8, s8, s0
	s_or_b32 exec_lo, exec_lo, s9
	v_mov_b32_e32 v21, 0
	s_and_saveexec_b32 s0, s8
	s_cbranch_execnz .LBB251_485
	s_branch .LBB251_486
.LBB251_2335:
	s_and_not1_saveexec_b32 s9, s0
	s_cbranch_execz .LBB251_492
.LBB251_2336:
	v_add_f32_e64 v3, 0x42800000, |v2|
	s_and_not1_b32 s8, s8, exec_lo
	s_delay_alu instid0(VALU_DEP_1) | instskip(NEXT) | instid1(VALU_DEP_1)
	v_and_b32_e32 v3, 0xff, v3
	v_cmp_ne_u32_e64 s0, 0, v3
	s_and_b32 s0, s0, exec_lo
	s_delay_alu instid0(SALU_CYCLE_1)
	s_or_b32 s8, s8, s0
	s_or_b32 exec_lo, exec_lo, s9
	v_mov_b32_e32 v21, 0
	s_and_saveexec_b32 s0, s8
	s_cbranch_execnz .LBB251_493
	s_branch .LBB251_494
.LBB251_2337:
	s_and_not1_saveexec_b32 s9, s0
	s_cbranch_execz .LBB251_512
.LBB251_2338:
	v_add_f32_e64 v3, 0x42800000, |v2|
	s_and_not1_b32 s8, s8, exec_lo
	s_delay_alu instid0(VALU_DEP_1) | instskip(NEXT) | instid1(VALU_DEP_1)
	v_and_b32_e32 v3, 0xff, v3
	v_cmp_ne_u32_e64 s0, 0, v3
	s_and_b32 s0, s0, exec_lo
	s_delay_alu instid0(SALU_CYCLE_1)
	s_or_b32 s8, s8, s0
	s_or_b32 exec_lo, exec_lo, s9
	v_mov_b32_e32 v21, 0
	s_and_saveexec_b32 s0, s8
	s_cbranch_execnz .LBB251_513
	s_branch .LBB251_514
.LBB251_2339:
	s_and_not1_saveexec_b32 s9, s0
	s_cbranch_execz .LBB251_520
.LBB251_2340:
	v_add_f32_e64 v3, 0x42800000, |v2|
	s_and_not1_b32 s8, s8, exec_lo
	s_delay_alu instid0(VALU_DEP_1) | instskip(NEXT) | instid1(VALU_DEP_1)
	v_and_b32_e32 v3, 0xff, v3
	v_cmp_ne_u32_e64 s0, 0, v3
	s_and_b32 s0, s0, exec_lo
	s_delay_alu instid0(SALU_CYCLE_1)
	s_or_b32 s8, s8, s0
	s_or_b32 exec_lo, exec_lo, s9
	v_mov_b32_e32 v21, 0
	s_and_saveexec_b32 s0, s8
	s_cbranch_execnz .LBB251_521
	s_branch .LBB251_522
.LBB251_2341:
	s_and_not1_saveexec_b32 s9, s0
	s_cbranch_execz .LBB251_542
.LBB251_2342:
	v_add_f32_e64 v3, 0x42800000, |v2|
	s_and_not1_b32 s8, s8, exec_lo
	s_delay_alu instid0(VALU_DEP_1) | instskip(NEXT) | instid1(VALU_DEP_1)
	v_and_b32_e32 v3, 0xff, v3
	v_cmp_ne_u32_e64 s0, 0, v3
	s_and_b32 s0, s0, exec_lo
	s_delay_alu instid0(SALU_CYCLE_1)
	s_or_b32 s8, s8, s0
	s_or_b32 exec_lo, exec_lo, s9
	v_mov_b32_e32 v21, 0
	s_and_saveexec_b32 s0, s8
	s_cbranch_execnz .LBB251_543
	s_branch .LBB251_544
.LBB251_2343:
	s_and_not1_saveexec_b32 s9, s0
	s_cbranch_execz .LBB251_550
.LBB251_2344:
	v_add_f32_e64 v3, 0x42800000, |v2|
	s_and_not1_b32 s8, s8, exec_lo
	s_delay_alu instid0(VALU_DEP_1) | instskip(NEXT) | instid1(VALU_DEP_1)
	v_and_b32_e32 v3, 0xff, v3
	v_cmp_ne_u32_e64 s0, 0, v3
	s_and_b32 s0, s0, exec_lo
	s_delay_alu instid0(SALU_CYCLE_1)
	s_or_b32 s8, s8, s0
	s_or_b32 exec_lo, exec_lo, s9
	v_mov_b32_e32 v21, 0
	s_and_saveexec_b32 s0, s8
	s_cbranch_execnz .LBB251_551
	s_branch .LBB251_552
.LBB251_2345:
	s_and_not1_saveexec_b32 s12, s0
	s_cbranch_execz .LBB251_650
.LBB251_2346:
	v_add_f32_e64 v9, 0x42800000, |v7|
	s_and_not1_b32 s11, s11, exec_lo
	s_delay_alu instid0(VALU_DEP_1) | instskip(NEXT) | instid1(VALU_DEP_1)
	v_and_b32_e32 v12, 0xff, v9
	v_cmp_ne_u32_e64 s0, 0, v12
	s_and_b32 s0, s0, exec_lo
	s_delay_alu instid0(SALU_CYCLE_1)
	s_or_b32 s11, s11, s0
	s_or_b32 exec_lo, exec_lo, s12
	v_mov_b32_e32 v9, 0
	s_and_saveexec_b32 s0, s11
	s_cbranch_execnz .LBB251_651
	s_branch .LBB251_652
.LBB251_2347:
	s_and_not1_saveexec_b32 s11, s0
	s_cbranch_execz .LBB251_691
.LBB251_2348:
	v_add_f32_e64 v9, 0x42800000, |v7|
	s_and_not1_b32 s10, s10, exec_lo
	s_delay_alu instid0(VALU_DEP_1) | instskip(NEXT) | instid1(VALU_DEP_1)
	v_and_b32_e32 v10, 0xff, v9
	v_cmp_ne_u32_e64 s0, 0, v10
	s_and_b32 s0, s0, exec_lo
	s_delay_alu instid0(SALU_CYCLE_1)
	s_or_b32 s10, s10, s0
	s_or_b32 exec_lo, exec_lo, s11
	v_mov_b32_e32 v9, 0
	s_and_saveexec_b32 s0, s10
	s_cbranch_execnz .LBB251_692
	s_branch .LBB251_693
.LBB251_2349:
	s_and_not1_saveexec_b32 s11, s0
	s_cbranch_execz .LBB251_719
.LBB251_2350:
	v_add_f32_e64 v9, 0x42800000, |v7|
	s_and_not1_b32 s10, s10, exec_lo
	s_delay_alu instid0(VALU_DEP_1) | instskip(NEXT) | instid1(VALU_DEP_1)
	v_and_b32_e32 v10, 0xff, v9
	v_cmp_ne_u32_e64 s0, 0, v10
	s_and_b32 s0, s0, exec_lo
	s_delay_alu instid0(SALU_CYCLE_1)
	s_or_b32 s10, s10, s0
	s_or_b32 exec_lo, exec_lo, s11
	v_mov_b32_e32 v9, 0
	s_and_saveexec_b32 s0, s10
	s_cbranch_execnz .LBB251_720
	s_branch .LBB251_721
.LBB251_2351:
	s_and_not1_saveexec_b32 s11, s0
	s_cbranch_execz .LBB251_749
.LBB251_2352:
	v_add_f32_e64 v9, 0x42800000, |v7|
	s_and_not1_b32 s10, s10, exec_lo
	s_delay_alu instid0(VALU_DEP_1) | instskip(NEXT) | instid1(VALU_DEP_1)
	v_and_b32_e32 v10, 0xff, v9
	v_cmp_ne_u32_e64 s0, 0, v10
	s_and_b32 s0, s0, exec_lo
	s_delay_alu instid0(SALU_CYCLE_1)
	s_or_b32 s10, s10, s0
	s_or_b32 exec_lo, exec_lo, s11
	v_mov_b32_e32 v9, 0
	s_and_saveexec_b32 s0, s10
	s_cbranch_execnz .LBB251_750
	s_branch .LBB251_751
.LBB251_2353:
	s_and_not1_saveexec_b32 s11, s0
	s_cbranch_execz .LBB251_759
.LBB251_2354:
	v_add_f32_e64 v9, 0x42800000, |v7|
	s_and_not1_b32 s10, s10, exec_lo
	s_delay_alu instid0(VALU_DEP_1) | instskip(NEXT) | instid1(VALU_DEP_1)
	v_and_b32_e32 v10, 0xff, v9
	v_cmp_ne_u32_e64 s0, 0, v10
	s_and_b32 s0, s0, exec_lo
	s_delay_alu instid0(SALU_CYCLE_1)
	s_or_b32 s10, s10, s0
	s_or_b32 exec_lo, exec_lo, s11
	v_mov_b32_e32 v9, 0
	s_and_saveexec_b32 s0, s10
	s_cbranch_execnz .LBB251_760
	s_branch .LBB251_761
.LBB251_2355:
	s_and_not1_saveexec_b32 s11, s0
	s_cbranch_execz .LBB251_767
.LBB251_2356:
	v_add_f32_e32 v7, 0x42800000, v10
	s_and_not1_b32 s10, s10, exec_lo
	s_delay_alu instid0(VALU_DEP_1) | instskip(NEXT) | instid1(VALU_DEP_1)
	v_and_b32_e32 v7, 0xff, v7
	v_cmp_ne_u32_e64 s0, 0, v7
	s_and_b32 s0, s0, exec_lo
	s_delay_alu instid0(SALU_CYCLE_1)
	s_or_b32 s10, s10, s0
	s_or_b32 exec_lo, exec_lo, s11
	v_mov_b32_e32 v9, 0
	s_and_saveexec_b32 s0, s10
	s_cbranch_execnz .LBB251_768
	s_branch .LBB251_769
.LBB251_2357:
	s_or_saveexec_b32 s17, s17
	v_mov_b32_e32 v9, 0x7f800001
	s_xor_b32 exec_lo, exec_lo, s17
	s_cbranch_execz .LBB251_863
.LBB251_2358:
	v_cmp_ne_u16_e64 s1, 0, v11
	v_mov_b32_e32 v9, 0
	s_and_not1_b32 s14, s14, exec_lo
	s_and_b32 s1, s1, exec_lo
	s_delay_alu instid0(SALU_CYCLE_1)
	s_or_b32 s14, s14, s1
	s_or_b32 exec_lo, exec_lo, s17
	s_and_saveexec_b32 s17, s14
	s_cbranch_execnz .LBB251_864
	s_branch .LBB251_865
.LBB251_2359:
	s_and_not1_saveexec_b32 s17, s1
	s_cbranch_execz .LBB251_1069
.LBB251_2360:
	v_add_f32_e32 v7, 0x42800000, v8
	s_and_not1_b32 s14, s14, exec_lo
	s_delay_alu instid0(VALU_DEP_1) | instskip(NEXT) | instid1(VALU_DEP_1)
	v_and_b32_e32 v7, 0xff, v7
	v_cmp_ne_u32_e64 s1, 0, v7
	s_and_b32 s1, s1, exec_lo
	s_delay_alu instid0(SALU_CYCLE_1)
	s_or_b32 s14, s14, s1
	s_or_b32 exec_lo, exec_lo, s17
	v_mov_b32_e32 v20, 0
	s_and_saveexec_b32 s1, s14
	s_cbranch_execnz .LBB251_1070
	s_branch .LBB251_1071
.LBB251_2361:
	s_and_not1_saveexec_b32 s18, s18
	s_cbranch_execz .LBB251_1472
.LBB251_2362:
	s_mov_b32 s21, s19
	s_mov_b32 s14, exec_lo
                                        ; implicit-def: $vgpr4
	v_cmpx_lt_i16_e32 22, v15
	s_xor_b32 s14, exec_lo, s14
	s_cbranch_execz .LBB251_2384
; %bb.2363:
	s_mov_b32 s21, exec_lo
                                        ; implicit-def: $vgpr4
	v_cmpx_lt_i16_e32 23, v15
	s_xor_b32 s21, exec_lo, s21
	s_cbranch_execz .LBB251_2375
; %bb.2364:
	v_cmp_lt_i16_e64 s1, 24, v15
                                        ; implicit-def: $vgpr4
	s_and_saveexec_b32 s22, s1
	s_delay_alu instid0(SALU_CYCLE_1)
	s_xor_b32 s1, exec_lo, s22
	s_cbranch_execz .LBB251_2366
; %bb.2365:
	flat_load_u8 v4, v[2:3]
.LBB251_2366:
	s_wait_xcnt 0x0
	s_and_not1_saveexec_b32 s22, s1
	s_cbranch_execz .LBB251_2374
; %bb.2367:
	s_wait_loadcnt_dscnt 0x0
	flat_load_u8 v4, v[2:3]
	s_mov_b32 s24, 0
	s_mov_b32 s23, exec_lo
	s_wait_loadcnt_dscnt 0x0
	v_lshlrev_b32_e32 v4, 24, v4
	s_delay_alu instid0(VALU_DEP_1) | instskip(NEXT) | instid1(VALU_DEP_1)
	v_and_b32_e32 v5, 0x7f000000, v4
	v_clz_i32_u32_e32 v6, v5
	v_add_nc_u32_e32 v9, 0x1000000, v5
	v_cmp_ne_u32_e64 s1, 0, v5
	s_delay_alu instid0(VALU_DEP_3) | instskip(NEXT) | instid1(VALU_DEP_1)
	v_min_u32_e32 v6, 32, v6
	v_sub_nc_u32_e64 v6, v6, 4 clamp
	s_delay_alu instid0(VALU_DEP_1) | instskip(NEXT) | instid1(VALU_DEP_1)
	v_dual_lshlrev_b32 v7, v6, v5 :: v_dual_lshlrev_b32 v6, 23, v6
	v_lshrrev_b32_e32 v7, 4, v7
	s_delay_alu instid0(VALU_DEP_1) | instskip(NEXT) | instid1(VALU_DEP_1)
	v_dual_sub_nc_u32 v6, v7, v6 :: v_dual_ashrrev_i32 v7, 8, v9
	v_add_nc_u32_e32 v6, 0x3c000000, v6
	s_delay_alu instid0(VALU_DEP_1) | instskip(NEXT) | instid1(VALU_DEP_1)
	v_and_or_b32 v6, 0x7f800000, v7, v6
	v_cndmask_b32_e64 v7, 0, v6, s1
	s_delay_alu instid0(VALU_DEP_1) | instskip(SKIP_1) | instid1(VALU_DEP_2)
	v_and_or_b32 v5, 0x80000000, v4, v7
	v_mov_b32_e32 v4, 0x80
	v_and_b32_e32 v6, 0x7fffffff, v5
	s_wait_xcnt 0x0
	s_delay_alu instid0(VALU_DEP_1)
	v_cmpx_gt_u32_e32 0x47800000, v6
	s_cbranch_execz .LBB251_2373
; %bb.2368:
	v_cmp_lt_u32_e64 s1, 0x37ffffff, v6
                                        ; implicit-def: $vgpr6
	s_and_saveexec_b32 s25, s1
	s_delay_alu instid0(SALU_CYCLE_1)
	s_xor_b32 s1, exec_lo, s25
	s_cbranch_execz .LBB251_2794
; %bb.2369:
	v_bfe_u32 v4, v7, 21, 1
	s_mov_b32 s24, exec_lo
	s_delay_alu instid0(VALU_DEP_1) | instskip(NEXT) | instid1(VALU_DEP_1)
	v_add3_u32 v4, v5, v4, 0x88fffff
	v_lshrrev_b32_e32 v6, 21, v4
	s_and_not1_saveexec_b32 s25, s1
	s_cbranch_execnz .LBB251_2795
.LBB251_2370:
	s_or_b32 exec_lo, exec_lo, s25
	v_mov_b32_e32 v4, 0
	s_and_saveexec_b32 s1, s24
.LBB251_2371:
	v_lshrrev_b32_e32 v4, 24, v5
	s_delay_alu instid0(VALU_DEP_1)
	v_and_or_b32 v4, 0x80, v4, v6
.LBB251_2372:
	s_or_b32 exec_lo, exec_lo, s1
.LBB251_2373:
	s_delay_alu instid0(SALU_CYCLE_1)
	s_or_b32 exec_lo, exec_lo, s23
.LBB251_2374:
	s_delay_alu instid0(SALU_CYCLE_1)
	s_or_b32 exec_lo, exec_lo, s22
.LBB251_2375:
	s_and_not1_saveexec_b32 s21, s21
	s_cbranch_execz .LBB251_2383
; %bb.2376:
	s_wait_loadcnt_dscnt 0x0
	flat_load_u8 v4, v[2:3]
	s_mov_b32 s22, exec_lo
	s_wait_loadcnt_dscnt 0x0
	v_lshlrev_b32_e32 v5, 25, v4
	v_lshlrev_b16 v4, 8, v4
	s_delay_alu instid0(VALU_DEP_1) | instskip(SKIP_1) | instid1(VALU_DEP_2)
	v_and_or_b32 v7, 0x7f00, v4, 0.5
	v_bfe_i32 v4, v4, 0, 16
	v_dual_add_f32 v7, -0.5, v7 :: v_dual_lshrrev_b32 v6, 4, v5
	v_cmp_gt_u32_e64 s1, 0x8000000, v5
	s_delay_alu instid0(VALU_DEP_2) | instskip(NEXT) | instid1(VALU_DEP_1)
	v_or_b32_e32 v6, 0x70000000, v6
	v_mul_f32_e32 v6, 0x7800000, v6
	s_delay_alu instid0(VALU_DEP_1) | instskip(NEXT) | instid1(VALU_DEP_1)
	v_cndmask_b32_e64 v7, v6, v7, s1
	v_and_or_b32 v5, 0x80000000, v4, v7
	v_mov_b32_e32 v4, 0x80
	s_delay_alu instid0(VALU_DEP_2) | instskip(SKIP_1) | instid1(VALU_DEP_1)
	v_and_b32_e32 v6, 0x7fffffff, v5
	s_wait_xcnt 0x0
	v_cmpx_gt_u32_e32 0x47800000, v6
	s_cbranch_execz .LBB251_2382
; %bb.2377:
	v_cmp_lt_u32_e64 s1, 0x37ffffff, v6
	s_mov_b32 s23, 0
                                        ; implicit-def: $vgpr6
	s_and_saveexec_b32 s24, s1
	s_delay_alu instid0(SALU_CYCLE_1)
	s_xor_b32 s1, exec_lo, s24
	s_cbranch_execz .LBB251_2768
; %bb.2378:
	v_bfe_u32 v4, v7, 21, 1
	s_mov_b32 s23, exec_lo
	s_delay_alu instid0(VALU_DEP_1) | instskip(NEXT) | instid1(VALU_DEP_1)
	v_add3_u32 v4, v5, v4, 0x88fffff
	v_lshrrev_b32_e32 v6, 21, v4
	s_and_not1_saveexec_b32 s24, s1
	s_cbranch_execnz .LBB251_2769
.LBB251_2379:
	s_or_b32 exec_lo, exec_lo, s24
	v_mov_b32_e32 v4, 0
	s_and_saveexec_b32 s1, s23
.LBB251_2380:
	v_lshrrev_b32_e32 v4, 24, v5
	s_delay_alu instid0(VALU_DEP_1)
	v_and_or_b32 v4, 0x80, v4, v6
.LBB251_2381:
	s_or_b32 exec_lo, exec_lo, s1
.LBB251_2382:
	s_delay_alu instid0(SALU_CYCLE_1)
	s_or_b32 exec_lo, exec_lo, s22
.LBB251_2383:
	s_delay_alu instid0(SALU_CYCLE_1) | instskip(NEXT) | instid1(SALU_CYCLE_1)
	s_or_b32 exec_lo, exec_lo, s21
	s_or_b32 s21, s19, exec_lo
                                        ; implicit-def: $vgpr15
.LBB251_2384:
	s_or_saveexec_b32 s14, s14
	s_mov_b32 s1, 0
	s_mov_b32 s22, s20
	s_xor_b32 exec_lo, exec_lo, s14
	s_cbranch_execz .LBB251_2398
; %bb.2385:
	s_mov_b32 s23, s20
	s_mov_b32 s24, s21
	s_mov_b32 s22, exec_lo
                                        ; implicit-def: $vgpr4
	v_cmpx_lt_i16_e32 14, v15
	s_xor_b32 s22, exec_lo, s22
	s_cbranch_execz .LBB251_2395
; %bb.2386:
	s_mov_b32 s24, -1
	s_mov_b32 s25, s21
	s_mov_b32 s23, exec_lo
                                        ; implicit-def: $vgpr4
	v_cmpx_eq_u16_e32 15, v15
	s_cbranch_execz .LBB251_2394
; %bb.2387:
	flat_load_u16 v5, v[2:3]
	s_mov_b32 s24, exec_lo
	s_wait_loadcnt_dscnt 0x0
	v_dual_mov_b32 v4, 0x80 :: v_dual_lshlrev_b32 v7, 16, v5
	s_delay_alu instid0(VALU_DEP_1) | instskip(SKIP_1) | instid1(VALU_DEP_1)
	v_and_b32_e32 v6, 0x7fffffff, v7
	s_wait_xcnt 0x0
	v_cmpx_gt_u32_e32 0x47800000, v6
	s_cbranch_execz .LBB251_2393
; %bb.2388:
	v_cmp_lt_u32_e64 s1, 0x37ffffff, v6
	s_mov_b32 s25, 0
                                        ; implicit-def: $vgpr6
	s_and_saveexec_b32 s26, s1
	s_delay_alu instid0(SALU_CYCLE_1)
	s_xor_b32 s1, exec_lo, s26
	s_cbranch_execz .LBB251_2796
; %bb.2389:
	v_bfe_u32 v4, v5, 5, 1
	s_mov_b32 s25, exec_lo
	s_delay_alu instid0(VALU_DEP_1) | instskip(NEXT) | instid1(VALU_DEP_1)
	v_add3_u32 v4, v7, v4, 0x88fffff
                                        ; implicit-def: $vgpr7
	v_lshrrev_b32_e32 v6, 21, v4
	s_and_not1_saveexec_b32 s26, s1
	s_cbranch_execnz .LBB251_2797
.LBB251_2390:
	s_or_b32 exec_lo, exec_lo, s26
	v_mov_b32_e32 v4, 0
	s_and_saveexec_b32 s1, s25
.LBB251_2391:
	v_lshrrev_b32_e32 v4, 8, v5
	s_delay_alu instid0(VALU_DEP_1)
	v_and_or_b32 v4, 0x80, v4, v6
.LBB251_2392:
	s_or_b32 exec_lo, exec_lo, s1
.LBB251_2393:
	s_delay_alu instid0(SALU_CYCLE_1) | instskip(NEXT) | instid1(SALU_CYCLE_1)
	s_or_b32 exec_lo, exec_lo, s24
	s_or_b32 s25, s21, exec_lo
	s_xor_b32 s24, exec_lo, -1
.LBB251_2394:
	s_or_b32 exec_lo, exec_lo, s23
	s_delay_alu instid0(SALU_CYCLE_1)
	s_and_not1_b32 s1, s21, exec_lo
	s_and_b32 s23, s25, exec_lo
	s_and_not1_b32 s25, s20, exec_lo
	s_and_b32 s26, s24, exec_lo
	s_or_b32 s24, s1, s23
	s_or_b32 s23, s25, s26
                                        ; implicit-def: $vgpr15
.LBB251_2395:
	s_or_saveexec_b32 s22, s22
	s_mov_b32 s25, 0
	s_xor_b32 exec_lo, exec_lo, s22
; %bb.2396:
	v_cmp_ne_u16_e64 s1, 11, v15
	s_and_not1_b32 s23, s23, exec_lo
	s_mov_b32 s25, exec_lo
	s_and_b32 s1, s1, exec_lo
	s_delay_alu instid0(SALU_CYCLE_1)
	s_or_b32 s23, s23, s1
; %bb.2397:
	s_or_b32 exec_lo, exec_lo, s22
	s_delay_alu instid0(SALU_CYCLE_1)
	s_and_not1_b32 s1, s21, exec_lo
	s_and_b32 s21, s24, exec_lo
	s_and_not1_b32 s22, s20, exec_lo
	s_and_b32 s23, s23, exec_lo
	s_or_b32 s21, s1, s21
	s_and_b32 s1, s25, exec_lo
	s_or_b32 s22, s22, s23
.LBB251_2398:
	s_or_b32 exec_lo, exec_lo, s14
	s_delay_alu instid0(SALU_CYCLE_1)
	s_and_not1_b32 s14, s19, exec_lo
	s_and_b32 s19, s21, exec_lo
	s_and_not1_b32 s20, s20, exec_lo
	s_and_b32 s21, s22, exec_lo
	s_or_b32 s19, s14, s19
	s_and_b32 s14, s1, exec_lo
	s_or_b32 s20, s20, s21
	s_or_b32 exec_lo, exec_lo, s18
	s_mov_b32 s18, s12
	s_and_saveexec_b32 s1, s20
	s_cbranch_execz .LBB251_1473
.LBB251_2399:
	s_or_b32 s18, s12, exec_lo
	s_and_not1_b32 s14, s14, exec_lo
	s_trap 2
	s_or_b32 exec_lo, exec_lo, s1
	s_and_saveexec_b32 s1, s14
	s_delay_alu instid0(SALU_CYCLE_1)
	s_xor_b32 s14, exec_lo, s1
	s_cbranch_execnz .LBB251_1474
	s_branch .LBB251_1481
.LBB251_2400:
	s_and_not1_saveexec_b32 s10, s0
	s_cbranch_execz .LBB251_2015
.LBB251_2401:
	v_add_f32_e64 v9, 0x42800000, |v7|
	s_and_not1_b32 s9, s9, exec_lo
	s_delay_alu instid0(VALU_DEP_1) | instskip(NEXT) | instid1(VALU_DEP_1)
	v_and_b32_e32 v9, 0xff, v9
	v_cmp_ne_u32_e64 s0, 0, v9
	s_and_b32 s0, s0, exec_lo
	s_delay_alu instid0(SALU_CYCLE_1)
	s_or_b32 s9, s9, s0
	s_or_b32 exec_lo, exec_lo, s10
	v_mov_b32_e32 v21, 0
	s_and_saveexec_b32 s0, s9
	s_cbranch_execnz .LBB251_2016
	s_branch .LBB251_2017
.LBB251_2402:
	s_and_not1_saveexec_b32 s11, s0
	s_cbranch_execz .LBB251_2035
.LBB251_2403:
	v_add_f32_e64 v9, 0x42800000, |v10|
	s_and_not1_b32 s10, s10, exec_lo
	s_delay_alu instid0(VALU_DEP_1) | instskip(NEXT) | instid1(VALU_DEP_1)
	v_and_b32_e32 v9, 0xff, v9
	v_cmp_ne_u32_e64 s0, 0, v9
	s_and_b32 s0, s0, exec_lo
	s_delay_alu instid0(SALU_CYCLE_1)
	s_or_b32 s10, s10, s0
	s_or_b32 exec_lo, exec_lo, s11
	v_mov_b32_e32 v21, 0
	s_and_saveexec_b32 s0, s10
	s_cbranch_execnz .LBB251_2036
	s_branch .LBB251_2037
.LBB251_2404:
	s_and_not1_saveexec_b32 s11, s0
	s_cbranch_execz .LBB251_2105
.LBB251_2405:
	v_add_f32_e64 v9, 0x42800000, |v7|
	s_and_not1_b32 s10, s10, exec_lo
	s_delay_alu instid0(VALU_DEP_1) | instskip(NEXT) | instid1(VALU_DEP_1)
	v_and_b32_e32 v12, 0xff, v9
	v_cmp_ne_u32_e64 s0, 0, v12
	s_and_b32 s0, s0, exec_lo
	s_delay_alu instid0(SALU_CYCLE_1)
	s_or_b32 s10, s10, s0
	s_or_b32 exec_lo, exec_lo, s11
	v_mov_b32_e32 v9, 0
	s_and_saveexec_b32 s0, s10
	s_cbranch_execnz .LBB251_2106
	s_branch .LBB251_2107
.LBB251_2406:
	s_and_not1_saveexec_b32 s10, s0
	s_cbranch_execz .LBB251_46
.LBB251_2407:
	v_add_f32_e32 v2, 0x42800000, v3
	s_and_not1_b32 s9, s9, exec_lo
	s_delay_alu instid0(VALU_DEP_1) | instskip(NEXT) | instid1(VALU_DEP_1)
	v_and_b32_e32 v2, 0xff, v2
	v_cmp_ne_u32_e64 s0, 0, v2
	s_and_b32 s0, s0, exec_lo
	s_delay_alu instid0(SALU_CYCLE_1)
	s_or_b32 s9, s9, s0
	s_or_b32 exec_lo, exec_lo, s10
	v_mov_b32_e32 v4, 0
	s_and_saveexec_b32 s0, s9
	s_cbranch_execnz .LBB251_47
	s_branch .LBB251_48
.LBB251_2408:
	s_and_not1_saveexec_b32 s9, s0
	s_cbranch_execz .LBB251_120
.LBB251_2409:
	v_add_f32_e32 v2, 0x46000000, v3
	s_and_not1_b32 s8, s8, exec_lo
	s_delay_alu instid0(VALU_DEP_1) | instskip(NEXT) | instid1(VALU_DEP_1)
	v_and_b32_e32 v2, 0xff, v2
	v_cmp_ne_u32_e64 s0, 0, v2
	s_and_b32 s0, s0, exec_lo
	s_delay_alu instid0(SALU_CYCLE_1)
	s_or_b32 s8, s8, s0
	s_or_b32 exec_lo, exec_lo, s9
	v_mov_b32_e32 v4, 0
	s_and_saveexec_b32 s0, s8
	s_cbranch_execnz .LBB251_121
	s_branch .LBB251_122
.LBB251_2410:
	s_and_not1_saveexec_b32 s10, s0
	s_cbranch_execz .LBB251_404
.LBB251_2411:
	v_add_f32_e64 v9, 0x42800000, |v7|
	s_and_not1_b32 s9, s9, exec_lo
	s_delay_alu instid0(VALU_DEP_1) | instskip(NEXT) | instid1(VALU_DEP_1)
	v_and_b32_e32 v9, 0xff, v9
	v_cmp_ne_u32_e64 s0, 0, v9
	s_and_b32 s0, s0, exec_lo
	s_delay_alu instid0(SALU_CYCLE_1)
	s_or_b32 s9, s9, s0
	s_or_b32 exec_lo, exec_lo, s10
	v_mov_b32_e32 v21, 0
	s_and_saveexec_b32 s0, s9
	s_cbranch_execnz .LBB251_405
	s_branch .LBB251_406
.LBB251_2412:
	s_and_not1_saveexec_b32 s12, s0
	s_cbranch_execz .LBB251_414
.LBB251_2413:
	v_add_f32_e32 v7, 0x42800000, v9
	s_and_not1_b32 s11, s11, exec_lo
	s_delay_alu instid0(VALU_DEP_1) | instskip(NEXT) | instid1(VALU_DEP_1)
	v_and_b32_e32 v7, 0xff, v7
	v_cmp_ne_u32_e64 s0, 0, v7
	s_and_b32 s0, s0, exec_lo
	s_delay_alu instid0(SALU_CYCLE_1)
	s_or_b32 s11, s11, s0
	s_or_b32 exec_lo, exec_lo, s12
	v_mov_b32_e32 v21, 0
	s_and_saveexec_b32 s0, s11
	s_cbranch_execnz .LBB251_415
	s_branch .LBB251_416
.LBB251_2414:
	s_and_not1_saveexec_b32 s13, s0
	s_cbranch_execz .LBB251_615
.LBB251_2415:
	v_add_f32_e32 v7, 0x42800000, v12
	s_and_not1_b32 s12, s12, exec_lo
	s_delay_alu instid0(VALU_DEP_1) | instskip(NEXT) | instid1(VALU_DEP_1)
	v_and_b32_e32 v7, 0xff, v7
	v_cmp_ne_u32_e64 s0, 0, v7
	s_and_b32 s0, s0, exec_lo
	s_delay_alu instid0(SALU_CYCLE_1)
	s_or_b32 s12, s12, s0
	s_or_b32 exec_lo, exec_lo, s13
	v_mov_b32_e32 v9, 0
	s_and_saveexec_b32 s0, s12
	s_cbranch_execnz .LBB251_616
	s_branch .LBB251_617
.LBB251_2416:
	s_and_not1_saveexec_b32 s13, s0
	s_cbranch_execz .LBB251_627
.LBB251_2417:
	v_add_f32_e32 v7, 0x42800000, v12
	s_and_not1_b32 s12, s12, exec_lo
	s_delay_alu instid0(VALU_DEP_1) | instskip(NEXT) | instid1(VALU_DEP_1)
	v_and_b32_e32 v7, 0xff, v7
	v_cmp_ne_u32_e64 s0, 0, v7
	s_and_b32 s0, s0, exec_lo
	s_delay_alu instid0(SALU_CYCLE_1)
	s_or_b32 s12, s12, s0
	s_or_b32 exec_lo, exec_lo, s13
	v_mov_b32_e32 v9, 0
	s_and_saveexec_b32 s0, s12
	s_cbranch_execnz .LBB251_628
	s_branch .LBB251_629
.LBB251_2418:
	s_and_not1_saveexec_b32 s13, s0
	s_cbranch_execz .LBB251_635
.LBB251_2419:
	v_add_f32_e32 v7, 0x42800000, v12
	s_and_not1_b32 s12, s12, exec_lo
	s_delay_alu instid0(VALU_DEP_1) | instskip(NEXT) | instid1(VALU_DEP_1)
	v_and_b32_e32 v7, 0xff, v7
	v_cmp_ne_u32_e64 s0, 0, v7
	s_and_b32 s0, s0, exec_lo
	s_delay_alu instid0(SALU_CYCLE_1)
	s_or_b32 s12, s12, s0
	s_or_b32 exec_lo, exec_lo, s13
	v_mov_b32_e32 v9, 0
	s_and_saveexec_b32 s0, s12
	s_cbranch_execnz .LBB251_636
	s_branch .LBB251_637
.LBB251_2420:
	s_and_not1_saveexec_b32 s12, s0
	s_cbranch_execz .LBB251_674
.LBB251_2421:
	v_add_f32_e64 v9, 0x42800000, |v7|
	s_and_not1_b32 s11, s11, exec_lo
	s_delay_alu instid0(VALU_DEP_1) | instskip(NEXT) | instid1(VALU_DEP_1)
	v_and_b32_e32 v10, 0xff, v9
	v_cmp_ne_u32_e64 s0, 0, v10
	s_and_b32 s0, s0, exec_lo
	s_delay_alu instid0(SALU_CYCLE_1)
	s_or_b32 s11, s11, s0
	s_or_b32 exec_lo, exec_lo, s12
	v_mov_b32_e32 v9, 0
	s_and_saveexec_b32 s0, s11
	s_cbranch_execnz .LBB251_675
	s_branch .LBB251_676
.LBB251_2422:
	s_and_not1_saveexec_b32 s12, s0
	s_cbranch_execz .LBB251_682
.LBB251_2423:
	v_add_f32_e64 v9, 0x42800000, |v7|
	s_and_not1_b32 s11, s11, exec_lo
	s_delay_alu instid0(VALU_DEP_1) | instskip(NEXT) | instid1(VALU_DEP_1)
	v_and_b32_e32 v10, 0xff, v9
	v_cmp_ne_u32_e64 s0, 0, v10
	s_and_b32 s0, s0, exec_lo
	s_delay_alu instid0(SALU_CYCLE_1)
	s_or_b32 s11, s11, s0
	s_or_b32 exec_lo, exec_lo, s12
	v_mov_b32_e32 v9, 0
	s_and_saveexec_b32 s0, s11
	s_cbranch_execnz .LBB251_683
	s_branch .LBB251_684
.LBB251_2424:
	s_and_not1_saveexec_b32 s12, s0
	s_cbranch_execz .LBB251_702
.LBB251_2425:
	v_add_f32_e64 v9, 0x42800000, |v7|
	s_and_not1_b32 s11, s11, exec_lo
	s_delay_alu instid0(VALU_DEP_1) | instskip(NEXT) | instid1(VALU_DEP_1)
	v_and_b32_e32 v10, 0xff, v9
	v_cmp_ne_u32_e64 s0, 0, v10
	s_and_b32 s0, s0, exec_lo
	s_delay_alu instid0(SALU_CYCLE_1)
	s_or_b32 s11, s11, s0
	s_or_b32 exec_lo, exec_lo, s12
	v_mov_b32_e32 v9, 0
	s_and_saveexec_b32 s0, s11
	s_cbranch_execnz .LBB251_703
	s_branch .LBB251_704
.LBB251_2426:
	s_and_not1_saveexec_b32 s12, s0
	s_cbranch_execz .LBB251_710
.LBB251_2427:
	v_add_f32_e64 v9, 0x42800000, |v7|
	s_and_not1_b32 s11, s11, exec_lo
	s_delay_alu instid0(VALU_DEP_1) | instskip(NEXT) | instid1(VALU_DEP_1)
	v_and_b32_e32 v10, 0xff, v9
	v_cmp_ne_u32_e64 s0, 0, v10
	s_and_b32 s0, s0, exec_lo
	s_delay_alu instid0(SALU_CYCLE_1)
	s_or_b32 s11, s11, s0
	s_or_b32 exec_lo, exec_lo, s12
	v_mov_b32_e32 v9, 0
	s_and_saveexec_b32 s0, s11
	s_cbranch_execnz .LBB251_711
	s_branch .LBB251_712
.LBB251_2428:
	s_and_not1_saveexec_b32 s12, s0
	s_cbranch_execz .LBB251_732
.LBB251_2429:
	v_add_f32_e64 v9, 0x42800000, |v7|
	s_and_not1_b32 s11, s11, exec_lo
	s_delay_alu instid0(VALU_DEP_1) | instskip(NEXT) | instid1(VALU_DEP_1)
	v_and_b32_e32 v10, 0xff, v9
	v_cmp_ne_u32_e64 s0, 0, v10
	s_and_b32 s0, s0, exec_lo
	s_delay_alu instid0(SALU_CYCLE_1)
	s_or_b32 s11, s11, s0
	s_or_b32 exec_lo, exec_lo, s12
	v_mov_b32_e32 v9, 0
	s_and_saveexec_b32 s0, s11
	s_cbranch_execnz .LBB251_733
	s_branch .LBB251_734
.LBB251_2430:
	s_and_not1_saveexec_b32 s12, s0
	s_cbranch_execz .LBB251_740
.LBB251_2431:
	v_add_f32_e64 v9, 0x42800000, |v7|
	s_and_not1_b32 s11, s11, exec_lo
	s_delay_alu instid0(VALU_DEP_1) | instskip(NEXT) | instid1(VALU_DEP_1)
	v_and_b32_e32 v10, 0xff, v9
	v_cmp_ne_u32_e64 s0, 0, v10
	s_and_b32 s0, s0, exec_lo
	s_delay_alu instid0(SALU_CYCLE_1)
	s_or_b32 s11, s11, s0
	s_or_b32 exec_lo, exec_lo, s12
	v_mov_b32_e32 v9, 0
	s_and_saveexec_b32 s0, s11
	s_cbranch_execnz .LBB251_741
	s_branch .LBB251_742
.LBB251_2432:
	s_and_not1_saveexec_b32 s18, s1
	s_cbranch_execz .LBB251_868
.LBB251_2433:
	v_add_f32_e64 v11, 0x42800000, |v9|
	s_and_not1_b32 s17, s17, exec_lo
	s_delay_alu instid0(VALU_DEP_1) | instskip(NEXT) | instid1(VALU_DEP_1)
	v_and_b32_e32 v11, 0xff, v11
	v_cmp_ne_u32_e64 s1, 0, v11
	s_and_b32 s1, s1, exec_lo
	s_delay_alu instid0(SALU_CYCLE_1)
	s_or_b32 s17, s17, s1
	s_or_b32 exec_lo, exec_lo, s18
	v_mov_b32_e32 v19, 0
	s_and_saveexec_b32 s1, s17
	s_cbranch_execnz .LBB251_869
	s_branch .LBB251_870
.LBB251_2434:
	s_and_not1_saveexec_b32 s17, s1
	s_cbranch_execz .LBB251_909
.LBB251_2435:
	v_add_f32_e64 v7, 0x42800000, |v6|
	s_and_not1_b32 s14, s14, exec_lo
	s_delay_alu instid0(VALU_DEP_1) | instskip(NEXT) | instid1(VALU_DEP_1)
	v_and_b32_e32 v7, 0xff, v7
	v_cmp_ne_u32_e64 s1, 0, v7
	s_and_b32 s1, s1, exec_lo
	s_delay_alu instid0(SALU_CYCLE_1)
	s_or_b32 s14, s14, s1
	s_or_b32 exec_lo, exec_lo, s17
	v_mov_b32_e32 v19, 0
	s_and_saveexec_b32 s1, s14
	s_cbranch_execnz .LBB251_910
	s_branch .LBB251_911
.LBB251_2436:
	s_and_not1_saveexec_b32 s17, s1
	s_cbranch_execz .LBB251_937
.LBB251_2437:
	v_add_f32_e64 v7, 0x42800000, |v6|
	s_and_not1_b32 s14, s14, exec_lo
	s_delay_alu instid0(VALU_DEP_1) | instskip(NEXT) | instid1(VALU_DEP_1)
	v_and_b32_e32 v7, 0xff, v7
	v_cmp_ne_u32_e64 s1, 0, v7
	s_and_b32 s1, s1, exec_lo
	s_delay_alu instid0(SALU_CYCLE_1)
	s_or_b32 s14, s14, s1
	s_or_b32 exec_lo, exec_lo, s17
	v_mov_b32_e32 v19, 0
	s_and_saveexec_b32 s1, s14
	s_cbranch_execnz .LBB251_938
	s_branch .LBB251_939
.LBB251_2438:
	s_and_not1_saveexec_b32 s17, s1
	s_cbranch_execz .LBB251_967
.LBB251_2439:
	v_add_f32_e64 v7, 0x42800000, |v6|
	s_and_not1_b32 s14, s14, exec_lo
	s_delay_alu instid0(VALU_DEP_1) | instskip(NEXT) | instid1(VALU_DEP_1)
	v_and_b32_e32 v7, 0xff, v7
	v_cmp_ne_u32_e64 s1, 0, v7
	s_and_b32 s1, s1, exec_lo
	s_delay_alu instid0(SALU_CYCLE_1)
	s_or_b32 s14, s14, s1
	s_or_b32 exec_lo, exec_lo, s17
	v_mov_b32_e32 v19, 0
	s_and_saveexec_b32 s1, s14
	s_cbranch_execnz .LBB251_968
	s_branch .LBB251_969
.LBB251_2440:
	s_and_not1_saveexec_b32 s17, s1
	s_cbranch_execz .LBB251_977
.LBB251_2441:
	v_add_f32_e64 v7, 0x42800000, |v6|
	s_and_not1_b32 s14, s14, exec_lo
	s_delay_alu instid0(VALU_DEP_1) | instskip(NEXT) | instid1(VALU_DEP_1)
	v_and_b32_e32 v7, 0xff, v7
	v_cmp_ne_u32_e64 s1, 0, v7
	s_and_b32 s1, s1, exec_lo
	s_delay_alu instid0(SALU_CYCLE_1)
	s_or_b32 s14, s14, s1
	s_or_b32 exec_lo, exec_lo, s17
	v_mov_b32_e32 v19, 0
	s_and_saveexec_b32 s1, s14
	s_cbranch_execnz .LBB251_978
	s_branch .LBB251_979
.LBB251_2442:
	s_and_not1_saveexec_b32 s17, s1
	s_cbranch_execz .LBB251_985
.LBB251_2443:
	v_add_f32_e32 v6, 0x42800000, v7
	s_and_not1_b32 s14, s14, exec_lo
	s_delay_alu instid0(VALU_DEP_1) | instskip(NEXT) | instid1(VALU_DEP_1)
	v_and_b32_e32 v6, 0xff, v6
	v_cmp_ne_u32_e64 s1, 0, v6
	s_and_b32 s1, s1, exec_lo
	s_delay_alu instid0(SALU_CYCLE_1)
	s_or_b32 s14, s14, s1
	s_or_b32 exec_lo, exec_lo, s17
	v_mov_b32_e32 v19, 0
	s_and_saveexec_b32 s1, s14
	s_cbranch_execnz .LBB251_986
	s_branch .LBB251_987
.LBB251_2444:
	s_or_saveexec_b32 s19, s19
	v_mov_b32_e32 v7, 0x7f800001
	s_xor_b32 exec_lo, exec_lo, s19
	s_cbranch_execz .LBB251_1053
.LBB251_2445:
	v_cmp_ne_u16_e64 s1, 0, v12
	v_mov_b32_e32 v7, 0
	s_and_not1_b32 s18, s18, exec_lo
	s_and_b32 s1, s1, exec_lo
	s_delay_alu instid0(SALU_CYCLE_1)
	s_or_b32 s18, s18, s1
	s_or_b32 exec_lo, exec_lo, s19
	s_and_saveexec_b32 s19, s18
	s_cbranch_execnz .LBB251_1054
	s_branch .LBB251_1055
.LBB251_2446:
	s_and_not1_saveexec_b32 s20, s1
	s_cbranch_execz .LBB251_1287
.LBB251_2447:
	v_add_f32_e32 v4, 0x42800000, v5
	s_and_not1_b32 s19, s19, exec_lo
	s_delay_alu instid0(VALU_DEP_1) | instskip(NEXT) | instid1(VALU_DEP_1)
	v_and_b32_e32 v4, 0xff, v4
	v_cmp_ne_u32_e64 s1, 0, v4
	s_and_b32 s1, s1, exec_lo
	s_delay_alu instid0(SALU_CYCLE_1)
	s_or_b32 s19, s19, s1
	s_or_b32 exec_lo, exec_lo, s20
	v_mov_b32_e32 v8, 0
	s_and_saveexec_b32 s1, s19
	s_cbranch_execnz .LBB251_1288
	s_branch .LBB251_1289
.LBB251_2448:
	s_or_saveexec_b32 s19, s19
	v_mov_b32_e32 v2, 0x7f800001
	s_xor_b32 exec_lo, exec_lo, s19
	s_cbranch_execz .LBB251_1596
.LBB251_2449:
	v_cmp_ne_u16_e64 s0, 0, v3
	v_mov_b32_e32 v2, 0
	s_and_not1_b32 s18, s18, exec_lo
	s_and_b32 s0, s0, exec_lo
	s_delay_alu instid0(SALU_CYCLE_1)
	s_or_b32 s18, s18, s0
	s_or_b32 exec_lo, exec_lo, s19
	s_and_saveexec_b32 s19, s18
	s_cbranch_execnz .LBB251_1597
	s_branch .LBB251_1598
.LBB251_2450:
	s_or_saveexec_b32 s19, s19
	v_mov_b32_e32 v3, 0x7f800001
	s_xor_b32 exec_lo, exec_lo, s19
	s_cbranch_execz .LBB251_1602
.LBB251_2451:
	v_cmp_ne_u16_e64 s0, 0, v5
	v_mov_b32_e32 v3, 0
	s_and_not1_b32 s18, s18, exec_lo
	s_and_b32 s0, s0, exec_lo
	s_delay_alu instid0(SALU_CYCLE_1)
	s_or_b32 s18, s18, s0
	s_or_b32 exec_lo, exec_lo, s19
	s_and_saveexec_b32 s19, s18
	s_cbranch_execnz .LBB251_1603
	s_branch .LBB251_1604
.LBB251_2452:
	s_or_saveexec_b32 s20, s20
	v_mov_b32_e32 v2, 0x7f800001
	s_xor_b32 exec_lo, exec_lo, s20
	s_cbranch_execz .LBB251_1610
.LBB251_2453:
	v_cmp_ne_u16_e64 s0, 0, v3
	v_mov_b32_e32 v2, 0
	s_and_not1_b32 s19, s19, exec_lo
	s_and_b32 s0, s0, exec_lo
	s_delay_alu instid0(SALU_CYCLE_1)
	s_or_b32 s19, s19, s0
	s_or_b32 exec_lo, exec_lo, s20
	s_and_saveexec_b32 s20, s19
	s_cbranch_execnz .LBB251_1611
	s_branch .LBB251_1612
.LBB251_2454:
	s_or_saveexec_b32 s20, s20
	v_mov_b32_e32 v3, 0x7f800001
	s_xor_b32 exec_lo, exec_lo, s20
	s_cbranch_execz .LBB251_1616
.LBB251_2455:
	v_cmp_ne_u16_e64 s0, 0, v5
	v_mov_b32_e32 v3, 0
	s_and_not1_b32 s19, s19, exec_lo
	s_and_b32 s0, s0, exec_lo
	s_delay_alu instid0(SALU_CYCLE_1)
	s_or_b32 s19, s19, s0
	s_or_b32 exec_lo, exec_lo, s20
	s_and_saveexec_b32 s20, s19
	s_cbranch_execnz .LBB251_1617
	s_branch .LBB251_1618
.LBB251_2456:
	s_and_not1_saveexec_b32 s22, s22
	s_cbranch_execz .LBB251_1656
.LBB251_2457:
	s_mov_b32 s23, s20
	s_mov_b32 s21, exec_lo
	v_cmpx_lt_i16_e32 22, v7
	s_xor_b32 s21, exec_lo, s21
	s_cbranch_execz .LBB251_2489
; %bb.2458:
	s_mov_b32 s23, exec_lo
	v_cmpx_lt_i16_e32 23, v7
	s_xor_b32 s23, exec_lo, s23
	s_cbranch_execz .LBB251_2478
; %bb.2459:
	;; [unrolled: 5-line block ×3, first 2 shown]
	v_cndmask_b32_e64 v6, 0, 1.0, vcc_lo
	v_mov_b32_e32 v8, 0x80
	s_mov_b32 s25, exec_lo
	s_delay_alu instid0(VALU_DEP_2)
	v_cmpx_gt_u32_e32 0x47800000, v6
	s_cbranch_execz .LBB251_2466
; %bb.2461:
	v_cmp_lt_u32_e64 s0, 0x37ffffff, v6
	s_mov_b32 s26, 0
                                        ; implicit-def: $vgpr3
	s_and_saveexec_b32 s27, s0
	s_delay_alu instid0(SALU_CYCLE_1)
	s_xor_b32 s0, exec_lo, s27
	s_cbranch_execz .LBB251_2804
; %bb.2462:
	v_bfe_u32 v3, v6, 21, 1
	s_mov_b32 s26, exec_lo
	s_delay_alu instid0(VALU_DEP_1) | instskip(NEXT) | instid1(VALU_DEP_1)
	v_add3_u32 v3, v6, v3, 0x88fffff
                                        ; implicit-def: $vgpr6
	v_lshrrev_b32_e32 v3, 21, v3
	s_and_not1_saveexec_b32 s27, s0
	s_cbranch_execnz .LBB251_2805
.LBB251_2463:
	s_or_b32 exec_lo, exec_lo, s27
	v_mov_b32_e32 v8, 0
	s_and_saveexec_b32 s0, s26
.LBB251_2464:
	v_mov_b32_e32 v8, v3
.LBB251_2465:
	s_or_b32 exec_lo, exec_lo, s0
.LBB251_2466:
	s_delay_alu instid0(SALU_CYCLE_1)
	s_or_b32 exec_lo, exec_lo, s25
	flat_store_b8 v[4:5], v8
.LBB251_2467:
	s_wait_xcnt 0x0
	s_and_not1_saveexec_b32 s24, s24
	s_cbranch_execz .LBB251_2477
; %bb.2468:
	v_cndmask_b32_e64 v6, 0, 1.0, vcc_lo
	s_mov_b32 s25, exec_lo
                                        ; implicit-def: $vgpr3
	s_delay_alu instid0(VALU_DEP_1)
	v_cmpx_gt_u32_e32 0x43f00000, v6
	s_xor_b32 s25, exec_lo, s25
	s_cbranch_execz .LBB251_2474
; %bb.2469:
	s_mov_b32 s26, exec_lo
                                        ; implicit-def: $vgpr3
	v_cmpx_lt_u32_e32 0x3c7fffff, v6
	s_xor_b32 s26, exec_lo, s26
; %bb.2470:
	v_bfe_u32 v3, v6, 20, 1
	s_delay_alu instid0(VALU_DEP_1) | instskip(NEXT) | instid1(VALU_DEP_1)
	v_add3_u32 v3, v6, v3, 0x407ffff
	v_and_b32_e32 v6, 0xff00000, v3
	v_lshrrev_b32_e32 v3, 20, v3
	s_delay_alu instid0(VALU_DEP_2) | instskip(NEXT) | instid1(VALU_DEP_1)
	v_cmp_ne_u32_e64 s0, 0x7f00000, v6
                                        ; implicit-def: $vgpr6
	v_cndmask_b32_e64 v3, 0x7e, v3, s0
; %bb.2471:
	s_and_not1_saveexec_b32 s0, s26
; %bb.2472:
	v_add_f32_e32 v3, 0x46800000, v6
; %bb.2473:
	s_or_b32 exec_lo, exec_lo, s0
                                        ; implicit-def: $vgpr6
.LBB251_2474:
	s_and_not1_saveexec_b32 s25, s25
; %bb.2475:
	v_mov_b32_e32 v3, 0x7f
	v_cmp_lt_u32_e64 s0, 0x7f800000, v6
	s_delay_alu instid0(VALU_DEP_1)
	v_cndmask_b32_e64 v3, 0x7e, v3, s0
; %bb.2476:
	s_or_b32 exec_lo, exec_lo, s25
	flat_store_b8 v[4:5], v3
.LBB251_2477:
	s_wait_xcnt 0x0
	s_or_b32 exec_lo, exec_lo, s24
.LBB251_2478:
	s_and_not1_saveexec_b32 s23, s23
	s_cbranch_execz .LBB251_2488
; %bb.2479:
	v_cndmask_b32_e64 v6, 0, 1.0, vcc_lo
	s_mov_b32 s24, exec_lo
                                        ; implicit-def: $vgpr3
	s_delay_alu instid0(VALU_DEP_1)
	v_cmpx_gt_u32_e32 0x47800000, v6
	s_xor_b32 s24, exec_lo, s24
	s_cbranch_execz .LBB251_2485
; %bb.2480:
	v_cmp_lt_u32_e64 s0, 0x387fffff, v6
                                        ; implicit-def: $vgpr3
	s_and_saveexec_b32 s25, s0
	s_delay_alu instid0(SALU_CYCLE_1)
	s_xor_b32 s0, exec_lo, s25
; %bb.2481:
	v_bfe_u32 v3, v6, 21, 1
	s_delay_alu instid0(VALU_DEP_1) | instskip(NEXT) | instid1(VALU_DEP_1)
	v_add3_u32 v3, v6, v3, 0x80fffff
                                        ; implicit-def: $vgpr6
	v_lshrrev_b32_e32 v3, 21, v3
; %bb.2482:
	s_and_not1_saveexec_b32 s0, s0
; %bb.2483:
	v_add_f32_e32 v3, 0x43000000, v6
; %bb.2484:
	s_or_b32 exec_lo, exec_lo, s0
                                        ; implicit-def: $vgpr6
.LBB251_2485:
	s_and_not1_saveexec_b32 s24, s24
; %bb.2486:
	v_mov_b32_e32 v3, 0x7f
	v_cmp_lt_u32_e64 s0, 0x7f800000, v6
	s_delay_alu instid0(VALU_DEP_1)
	v_cndmask_b32_e64 v3, 0x7c, v3, s0
; %bb.2487:
	s_or_b32 exec_lo, exec_lo, s24
	flat_store_b8 v[4:5], v3
.LBB251_2488:
	s_wait_xcnt 0x0
	s_or_b32 exec_lo, exec_lo, s23
	s_delay_alu instid0(SALU_CYCLE_1)
	s_or_b32 s23, s20, exec_lo
.LBB251_2489:
	s_or_saveexec_b32 s21, s21
	s_mov_b32 s0, 0
	s_mov_b32 s24, s1
	s_xor_b32 exec_lo, exec_lo, s21
	s_cbranch_execz .LBB251_2497
; %bb.2490:
	s_mov_b32 s24, s1
	s_mov_b32 s26, s23
	s_mov_b32 s25, exec_lo
	v_cmpx_lt_i16_e32 14, v7
	s_xor_b32 s25, exec_lo, s25
	s_cbranch_execz .LBB251_2494
; %bb.2491:
	s_mov_b32 s24, -1
	s_mov_b32 s27, s23
	s_mov_b32 s26, exec_lo
	v_cmpx_eq_u16_e32 15, v7
	s_cbranch_execz .LBB251_2493
; %bb.2492:
	v_cndmask_b32_e64 v3, 0, 1.0, vcc_lo
	s_or_b32 s27, s23, exec_lo
	s_xor_b32 s24, exec_lo, -1
	s_delay_alu instid0(VALU_DEP_1) | instskip(NEXT) | instid1(VALU_DEP_1)
	v_bfe_u32 v6, v3, 16, 1
	v_add3_u32 v3, v3, v6, 0x7fff
	flat_store_d16_hi_b16 v[4:5], v3
.LBB251_2493:
	s_wait_xcnt 0x0
	s_or_b32 exec_lo, exec_lo, s26
	s_delay_alu instid0(SALU_CYCLE_1)
	s_and_not1_b32 s0, s23, exec_lo
	s_and_b32 s26, s27, exec_lo
	s_and_not1_b32 s27, s1, exec_lo
	s_and_b32 s24, s24, exec_lo
	s_or_b32 s26, s0, s26
	s_or_b32 s24, s27, s24
.LBB251_2494:
	s_or_saveexec_b32 s27, s25
	s_mov_b32 s25, 0
	s_xor_b32 exec_lo, exec_lo, s27
; %bb.2495:
	v_cmp_ne_u16_e64 s0, 11, v7
	s_and_not1_b32 s24, s24, exec_lo
	s_mov_b32 s25, exec_lo
	s_and_b32 s0, s0, exec_lo
	s_delay_alu instid0(SALU_CYCLE_1)
	s_or_b32 s24, s24, s0
; %bb.2496:
	s_or_b32 exec_lo, exec_lo, s27
	s_delay_alu instid0(SALU_CYCLE_1)
	s_and_not1_b32 s0, s23, exec_lo
	s_and_b32 s23, s26, exec_lo
	s_and_not1_b32 s26, s1, exec_lo
	s_and_b32 s24, s24, exec_lo
	s_or_b32 s23, s0, s23
	s_and_b32 s0, s25, exec_lo
	s_or_b32 s24, s26, s24
.LBB251_2497:
	s_or_b32 exec_lo, exec_lo, s21
	s_delay_alu instid0(SALU_CYCLE_1)
	s_and_not1_b32 s20, s20, exec_lo
	s_and_b32 s21, s23, exec_lo
	s_and_not1_b32 s1, s1, exec_lo
	s_and_b32 s23, s24, exec_lo
	s_or_b32 s20, s20, s21
	s_and_b32 s21, s0, exec_lo
	s_or_b32 s1, s1, s23
	s_or_b32 exec_lo, exec_lo, s22
	s_mov_b32 s0, s14
	s_and_saveexec_b32 s22, s1
	s_cbranch_execz .LBB251_1657
.LBB251_2498:
	s_or_b32 s0, s14, exec_lo
	s_and_not1_b32 s21, s21, exec_lo
	s_trap 2
	s_or_b32 exec_lo, exec_lo, s22
	s_and_saveexec_b32 s1, s21
	s_delay_alu instid0(SALU_CYCLE_1)
	s_xor_b32 s1, exec_lo, s1
	s_cbranch_execnz .LBB251_1658
	s_branch .LBB251_1659
.LBB251_2499:
	s_and_not1_saveexec_b32 s12, s0
	s_cbranch_execz .LBB251_2096
.LBB251_2500:
	v_add_f32_e64 v9, 0x42800000, |v7|
	s_and_not1_b32 s11, s11, exec_lo
	s_delay_alu instid0(VALU_DEP_1) | instskip(NEXT) | instid1(VALU_DEP_1)
	v_and_b32_e32 v12, 0xff, v9
	v_cmp_ne_u32_e64 s0, 0, v12
	s_and_b32 s0, s0, exec_lo
	s_delay_alu instid0(SALU_CYCLE_1)
	s_or_b32 s11, s11, s0
	s_or_b32 exec_lo, exec_lo, s12
	v_mov_b32_e32 v9, 0
	s_and_saveexec_b32 s0, s11
	s_cbranch_execnz .LBB251_2097
	s_branch .LBB251_2098
.LBB251_2501:
	s_and_not1_saveexec_b32 s13, s0
	s_cbranch_execz .LBB251_2116
.LBB251_2502:
	v_add_f32_e64 v9, 0x42800000, |v13|
	s_and_not1_b32 s12, s12, exec_lo
	s_delay_alu instid0(VALU_DEP_1) | instskip(NEXT) | instid1(VALU_DEP_1)
	v_and_b32_e32 v12, 0xff, v9
	v_cmp_ne_u32_e64 s0, 0, v12
	s_and_b32 s0, s0, exec_lo
	s_delay_alu instid0(SALU_CYCLE_1)
	s_or_b32 s12, s12, s0
	s_or_b32 exec_lo, exec_lo, s13
	v_mov_b32_e32 v9, 0
	s_and_saveexec_b32 s0, s12
	s_cbranch_execnz .LBB251_2117
	s_branch .LBB251_2118
.LBB251_2503:
	s_and_not1_saveexec_b32 s17, s1
	s_cbranch_execz .LBB251_2196
.LBB251_2504:
	v_add_f32_e64 v11, 0x42800000, |v9|
	s_and_not1_b32 s14, s14, exec_lo
	s_delay_alu instid0(VALU_DEP_1) | instskip(NEXT) | instid1(VALU_DEP_1)
	v_and_b32_e32 v11, 0xff, v11
	v_cmp_ne_u32_e64 s1, 0, v11
	s_and_b32 s1, s1, exec_lo
	s_delay_alu instid0(SALU_CYCLE_1)
	s_or_b32 s14, s14, s1
	s_or_b32 exec_lo, exec_lo, s17
	v_mov_b32_e32 v19, 0
	s_and_saveexec_b32 s1, s14
	s_cbranch_execnz .LBB251_2197
	s_branch .LBB251_2198
.LBB251_2505:
	s_and_not1_saveexec_b32 s10, s0
	s_cbranch_execz .LBB251_133
.LBB251_2506:
	v_add_f32_e32 v2, 0x42800000, v3
	s_and_not1_b32 s9, s9, exec_lo
	s_delay_alu instid0(VALU_DEP_1) | instskip(NEXT) | instid1(VALU_DEP_1)
	v_and_b32_e32 v2, 0xff, v2
	v_cmp_ne_u32_e64 s0, 0, v2
	s_and_b32 s0, s0, exec_lo
	s_delay_alu instid0(SALU_CYCLE_1)
	s_or_b32 s9, s9, s0
	s_or_b32 exec_lo, exec_lo, s10
	v_mov_b32_e32 v4, 0
	s_and_saveexec_b32 s0, s9
	s_cbranch_execnz .LBB251_134
	s_branch .LBB251_135
.LBB251_2507:
	s_and_not1_saveexec_b32 s9, s0
	s_cbranch_execz .LBB251_207
.LBB251_2508:
	v_add_f32_e32 v2, 0x46000000, v3
	s_and_not1_b32 s8, s8, exec_lo
	s_delay_alu instid0(VALU_DEP_1) | instskip(NEXT) | instid1(VALU_DEP_1)
	v_and_b32_e32 v2, 0xff, v2
	v_cmp_ne_u32_e64 s0, 0, v2
	s_and_b32 s0, s0, exec_lo
	s_delay_alu instid0(SALU_CYCLE_1)
	s_or_b32 s8, s8, s0
	s_or_b32 exec_lo, exec_lo, s9
	v_mov_b32_e32 v4, 0
	s_and_saveexec_b32 s0, s8
	s_cbranch_execnz .LBB251_208
	s_branch .LBB251_209
.LBB251_2509:
	s_and_not1_saveexec_b32 s12, s0
	s_cbranch_execz .LBB251_594
.LBB251_2510:
	v_add_f32_e64 v9, 0x42800000, |v7|
	s_and_not1_b32 s11, s11, exec_lo
	s_delay_alu instid0(VALU_DEP_1) | instskip(NEXT) | instid1(VALU_DEP_1)
	v_and_b32_e32 v12, 0xff, v9
	v_cmp_ne_u32_e64 s0, 0, v12
	s_and_b32 s0, s0, exec_lo
	s_delay_alu instid0(SALU_CYCLE_1)
	s_or_b32 s11, s11, s0
	s_or_b32 exec_lo, exec_lo, s12
	v_mov_b32_e32 v9, 0
	s_and_saveexec_b32 s0, s11
	s_cbranch_execnz .LBB251_595
	s_branch .LBB251_596
.LBB251_2511:
	s_and_not1_saveexec_b32 s14, s0
	s_cbranch_execz .LBB251_604
.LBB251_2512:
	v_add_f32_e32 v7, 0x42800000, v12
	s_and_not1_b32 s13, s13, exec_lo
	s_delay_alu instid0(VALU_DEP_1) | instskip(NEXT) | instid1(VALU_DEP_1)
	v_and_b32_e32 v7, 0xff, v7
	v_cmp_ne_u32_e64 s0, 0, v7
	s_and_b32 s0, s0, exec_lo
	s_delay_alu instid0(SALU_CYCLE_1)
	s_or_b32 s13, s13, s0
	s_or_b32 exec_lo, exec_lo, s14
	v_mov_b32_e32 v9, 0
	s_and_saveexec_b32 s0, s13
	s_cbranch_execnz .LBB251_605
	s_branch .LBB251_606
.LBB251_2513:
	s_and_not1_saveexec_b32 s19, s1
	s_cbranch_execz .LBB251_833
.LBB251_2514:
	v_add_f32_e32 v9, 0x42800000, v11
	s_and_not1_b32 s18, s18, exec_lo
	s_delay_alu instid0(VALU_DEP_1) | instskip(NEXT) | instid1(VALU_DEP_1)
	v_and_b32_e32 v9, 0xff, v9
	v_cmp_ne_u32_e64 s1, 0, v9
	s_and_b32 s1, s1, exec_lo
	s_delay_alu instid0(SALU_CYCLE_1)
	s_or_b32 s18, s18, s1
	s_or_b32 exec_lo, exec_lo, s19
	v_mov_b32_e32 v19, 0
	s_and_saveexec_b32 s1, s18
	s_cbranch_execnz .LBB251_834
	s_branch .LBB251_835
.LBB251_2515:
	s_and_not1_saveexec_b32 s19, s1
	s_cbranch_execz .LBB251_845
.LBB251_2516:
	v_add_f32_e32 v9, 0x42800000, v11
	s_and_not1_b32 s18, s18, exec_lo
	s_delay_alu instid0(VALU_DEP_1) | instskip(NEXT) | instid1(VALU_DEP_1)
	v_and_b32_e32 v9, 0xff, v9
	v_cmp_ne_u32_e64 s1, 0, v9
	s_and_b32 s1, s1, exec_lo
	s_delay_alu instid0(SALU_CYCLE_1)
	s_or_b32 s18, s18, s1
	s_or_b32 exec_lo, exec_lo, s19
	v_mov_b32_e32 v19, 0
	s_and_saveexec_b32 s1, s18
	s_cbranch_execnz .LBB251_846
	s_branch .LBB251_847
.LBB251_2517:
	s_and_not1_saveexec_b32 s19, s1
	s_cbranch_execz .LBB251_853
.LBB251_2518:
	v_add_f32_e32 v9, 0x42800000, v11
	s_and_not1_b32 s18, s18, exec_lo
	s_delay_alu instid0(VALU_DEP_1) | instskip(NEXT) | instid1(VALU_DEP_1)
	v_and_b32_e32 v9, 0xff, v9
	v_cmp_ne_u32_e64 s1, 0, v9
	s_and_b32 s1, s1, exec_lo
	s_delay_alu instid0(SALU_CYCLE_1)
	s_or_b32 s18, s18, s1
	s_or_b32 exec_lo, exec_lo, s19
	v_mov_b32_e32 v19, 0
	s_and_saveexec_b32 s1, s18
	s_cbranch_execnz .LBB251_854
	s_branch .LBB251_855
.LBB251_2519:
	s_and_not1_saveexec_b32 s18, s1
	s_cbranch_execz .LBB251_892
.LBB251_2520:
	v_add_f32_e64 v7, 0x42800000, |v6|
	s_and_not1_b32 s17, s17, exec_lo
	s_delay_alu instid0(VALU_DEP_1) | instskip(NEXT) | instid1(VALU_DEP_1)
	v_and_b32_e32 v7, 0xff, v7
	v_cmp_ne_u32_e64 s1, 0, v7
	s_and_b32 s1, s1, exec_lo
	s_delay_alu instid0(SALU_CYCLE_1)
	s_or_b32 s17, s17, s1
	s_or_b32 exec_lo, exec_lo, s18
	v_mov_b32_e32 v19, 0
	s_and_saveexec_b32 s1, s17
	s_cbranch_execnz .LBB251_893
	s_branch .LBB251_894
.LBB251_2521:
	s_and_not1_saveexec_b32 s18, s1
	s_cbranch_execz .LBB251_900
.LBB251_2522:
	v_add_f32_e64 v7, 0x42800000, |v6|
	s_and_not1_b32 s17, s17, exec_lo
	s_delay_alu instid0(VALU_DEP_1) | instskip(NEXT) | instid1(VALU_DEP_1)
	v_and_b32_e32 v7, 0xff, v7
	v_cmp_ne_u32_e64 s1, 0, v7
	s_and_b32 s1, s1, exec_lo
	s_delay_alu instid0(SALU_CYCLE_1)
	s_or_b32 s17, s17, s1
	s_or_b32 exec_lo, exec_lo, s18
	v_mov_b32_e32 v19, 0
	s_and_saveexec_b32 s1, s17
	s_cbranch_execnz .LBB251_901
	s_branch .LBB251_902
.LBB251_2523:
	s_and_not1_saveexec_b32 s18, s1
	s_cbranch_execz .LBB251_920
.LBB251_2524:
	v_add_f32_e64 v7, 0x42800000, |v6|
	s_and_not1_b32 s17, s17, exec_lo
	s_delay_alu instid0(VALU_DEP_1) | instskip(NEXT) | instid1(VALU_DEP_1)
	v_and_b32_e32 v7, 0xff, v7
	v_cmp_ne_u32_e64 s1, 0, v7
	s_and_b32 s1, s1, exec_lo
	s_delay_alu instid0(SALU_CYCLE_1)
	s_or_b32 s17, s17, s1
	s_or_b32 exec_lo, exec_lo, s18
	v_mov_b32_e32 v19, 0
	s_and_saveexec_b32 s1, s17
	s_cbranch_execnz .LBB251_921
	s_branch .LBB251_922
.LBB251_2525:
	s_and_not1_saveexec_b32 s18, s1
	s_cbranch_execz .LBB251_928
.LBB251_2526:
	v_add_f32_e64 v7, 0x42800000, |v6|
	s_and_not1_b32 s17, s17, exec_lo
	s_delay_alu instid0(VALU_DEP_1) | instskip(NEXT) | instid1(VALU_DEP_1)
	v_and_b32_e32 v7, 0xff, v7
	v_cmp_ne_u32_e64 s1, 0, v7
	s_and_b32 s1, s1, exec_lo
	s_delay_alu instid0(SALU_CYCLE_1)
	s_or_b32 s17, s17, s1
	s_or_b32 exec_lo, exec_lo, s18
	v_mov_b32_e32 v19, 0
	s_and_saveexec_b32 s1, s17
	s_cbranch_execnz .LBB251_929
	s_branch .LBB251_930
.LBB251_2527:
	s_and_not1_saveexec_b32 s18, s1
	s_cbranch_execz .LBB251_950
.LBB251_2528:
	v_add_f32_e64 v7, 0x42800000, |v6|
	s_and_not1_b32 s17, s17, exec_lo
	s_delay_alu instid0(VALU_DEP_1) | instskip(NEXT) | instid1(VALU_DEP_1)
	v_and_b32_e32 v7, 0xff, v7
	v_cmp_ne_u32_e64 s1, 0, v7
	s_and_b32 s1, s1, exec_lo
	s_delay_alu instid0(SALU_CYCLE_1)
	s_or_b32 s17, s17, s1
	s_or_b32 exec_lo, exec_lo, s18
	v_mov_b32_e32 v19, 0
	s_and_saveexec_b32 s1, s17
	s_cbranch_execnz .LBB251_951
	s_branch .LBB251_952
.LBB251_2529:
	s_and_not1_saveexec_b32 s18, s1
	s_cbranch_execz .LBB251_958
.LBB251_2530:
	v_add_f32_e64 v7, 0x42800000, |v6|
	s_and_not1_b32 s17, s17, exec_lo
	s_delay_alu instid0(VALU_DEP_1) | instskip(NEXT) | instid1(VALU_DEP_1)
	v_and_b32_e32 v7, 0xff, v7
	v_cmp_ne_u32_e64 s1, 0, v7
	s_and_b32 s1, s1, exec_lo
	s_delay_alu instid0(SALU_CYCLE_1)
	s_or_b32 s17, s17, s1
	s_or_b32 exec_lo, exec_lo, s18
	v_mov_b32_e32 v19, 0
	s_and_saveexec_b32 s1, s17
	s_cbranch_execnz .LBB251_959
	s_branch .LBB251_960
.LBB251_2531:
	s_and_not1_saveexec_b32 s20, s1
	s_cbranch_execz .LBB251_1058
.LBB251_2532:
	v_add_f32_e64 v12, 0x42800000, |v7|
	s_and_not1_b32 s19, s19, exec_lo
	s_delay_alu instid0(VALU_DEP_1) | instskip(NEXT) | instid1(VALU_DEP_1)
	v_and_b32_e32 v12, 0xff, v12
	v_cmp_ne_u32_e64 s1, 0, v12
	s_and_b32 s1, s1, exec_lo
	s_delay_alu instid0(SALU_CYCLE_1)
	s_or_b32 s19, s19, s1
	s_or_b32 exec_lo, exec_lo, s20
	v_mov_b32_e32 v20, 0
	s_and_saveexec_b32 s1, s19
	s_cbranch_execnz .LBB251_1059
	s_branch .LBB251_1060
.LBB251_2533:
	s_and_not1_saveexec_b32 s19, s1
	s_cbranch_execz .LBB251_1099
.LBB251_2534:
	v_add_f32_e64 v8, 0x42800000, |v7|
	s_and_not1_b32 s18, s18, exec_lo
	s_delay_alu instid0(VALU_DEP_1) | instskip(NEXT) | instid1(VALU_DEP_1)
	v_and_b32_e32 v8, 0xff, v8
	v_cmp_ne_u32_e64 s1, 0, v8
	s_and_b32 s1, s1, exec_lo
	s_delay_alu instid0(SALU_CYCLE_1)
	s_or_b32 s18, s18, s1
	s_or_b32 exec_lo, exec_lo, s19
	v_mov_b32_e32 v20, 0
	s_and_saveexec_b32 s1, s18
	s_cbranch_execnz .LBB251_1100
	s_branch .LBB251_1101
.LBB251_2535:
	s_and_not1_saveexec_b32 s19, s1
	s_cbranch_execz .LBB251_1127
.LBB251_2536:
	v_add_f32_e64 v8, 0x42800000, |v7|
	s_and_not1_b32 s18, s18, exec_lo
	s_delay_alu instid0(VALU_DEP_1) | instskip(NEXT) | instid1(VALU_DEP_1)
	v_and_b32_e32 v8, 0xff, v8
	v_cmp_ne_u32_e64 s1, 0, v8
	s_and_b32 s1, s1, exec_lo
	s_delay_alu instid0(SALU_CYCLE_1)
	s_or_b32 s18, s18, s1
	s_or_b32 exec_lo, exec_lo, s19
	v_mov_b32_e32 v20, 0
	s_and_saveexec_b32 s1, s18
	s_cbranch_execnz .LBB251_1128
	s_branch .LBB251_1129
.LBB251_2537:
	s_and_not1_saveexec_b32 s19, s1
	s_cbranch_execz .LBB251_1157
.LBB251_2538:
	v_add_f32_e64 v8, 0x42800000, |v7|
	s_and_not1_b32 s18, s18, exec_lo
	s_delay_alu instid0(VALU_DEP_1) | instskip(NEXT) | instid1(VALU_DEP_1)
	v_and_b32_e32 v8, 0xff, v8
	v_cmp_ne_u32_e64 s1, 0, v8
	s_and_b32 s1, s1, exec_lo
	s_delay_alu instid0(SALU_CYCLE_1)
	s_or_b32 s18, s18, s1
	s_or_b32 exec_lo, exec_lo, s19
	v_mov_b32_e32 v20, 0
	s_and_saveexec_b32 s1, s18
	s_cbranch_execnz .LBB251_1158
	s_branch .LBB251_1159
.LBB251_2539:
	s_and_not1_saveexec_b32 s19, s1
	s_cbranch_execz .LBB251_1167
.LBB251_2540:
	v_add_f32_e64 v8, 0x42800000, |v7|
	s_and_not1_b32 s18, s18, exec_lo
	s_delay_alu instid0(VALU_DEP_1) | instskip(NEXT) | instid1(VALU_DEP_1)
	v_and_b32_e32 v8, 0xff, v8
	v_cmp_ne_u32_e64 s1, 0, v8
	s_and_b32 s1, s1, exec_lo
	s_delay_alu instid0(SALU_CYCLE_1)
	s_or_b32 s18, s18, s1
	s_or_b32 exec_lo, exec_lo, s19
	v_mov_b32_e32 v20, 0
	s_and_saveexec_b32 s1, s18
	s_cbranch_execnz .LBB251_1168
	s_branch .LBB251_1169
.LBB251_2541:
	s_and_not1_saveexec_b32 s19, s1
	s_cbranch_execz .LBB251_1175
.LBB251_2542:
	v_add_f32_e32 v7, 0x42800000, v8
	s_and_not1_b32 s18, s18, exec_lo
	s_delay_alu instid0(VALU_DEP_1) | instskip(NEXT) | instid1(VALU_DEP_1)
	v_and_b32_e32 v7, 0xff, v7
	v_cmp_ne_u32_e64 s1, 0, v7
	s_and_b32 s1, s1, exec_lo
	s_delay_alu instid0(SALU_CYCLE_1)
	s_or_b32 s18, s18, s1
	s_or_b32 exec_lo, exec_lo, s19
	v_mov_b32_e32 v20, 0
	s_and_saveexec_b32 s1, s18
	s_cbranch_execnz .LBB251_1176
	s_branch .LBB251_1177
.LBB251_2543:
	s_or_saveexec_b32 s22, s22
	v_mov_b32_e32 v7, 0x7f800001
	s_xor_b32 exec_lo, exec_lo, s22
	s_cbranch_execz .LBB251_1271
.LBB251_2544:
	v_cmp_ne_u16_e64 s1, 0, v8
	v_mov_b32_e32 v7, 0
	s_and_not1_b32 s21, s21, exec_lo
	s_and_b32 s1, s1, exec_lo
	s_delay_alu instid0(SALU_CYCLE_1)
	s_or_b32 s21, s21, s1
	s_or_b32 exec_lo, exec_lo, s22
	s_and_saveexec_b32 s22, s21
	s_cbranch_execnz .LBB251_1272
	s_branch .LBB251_1273
.LBB251_2545:
	s_and_not1_saveexec_b32 s22, s1
	s_cbranch_execz .LBB251_1477
.LBB251_2546:
	v_add_f32_e32 v2, 0x42800000, v3
	s_and_not1_b32 s21, s21, exec_lo
	s_delay_alu instid0(VALU_DEP_1) | instskip(NEXT) | instid1(VALU_DEP_1)
	v_and_b32_e32 v2, 0xff, v2
	v_cmp_ne_u32_e64 s1, 0, v2
	s_and_b32 s1, s1, exec_lo
	s_delay_alu instid0(SALU_CYCLE_1)
	s_or_b32 s21, s21, s1
	s_or_b32 exec_lo, exec_lo, s22
	v_mov_b32_e32 v4, 0
	s_and_saveexec_b32 s1, s21
	s_cbranch_execnz .LBB251_1478
	s_branch .LBB251_1479
.LBB251_2547:
	s_and_not1_saveexec_b32 s23, s23
	s_cbranch_execz .LBB251_1740
.LBB251_2548:
	s_mov_b32 s24, s0
	s_mov_b32 s22, exec_lo
	v_cmpx_lt_i16_e32 22, v7
	s_xor_b32 s22, exec_lo, s22
	s_cbranch_execz .LBB251_2580
; %bb.2549:
	s_mov_b32 s24, exec_lo
	v_cmpx_lt_i16_e32 23, v7
	s_xor_b32 s24, exec_lo, s24
	s_cbranch_execz .LBB251_2569
; %bb.2550:
	;; [unrolled: 5-line block ×3, first 2 shown]
	v_cndmask_b32_e64 v8, 0, 1.0, s7
	v_mov_b32_e32 v9, 0x80
	s_mov_b32 s26, exec_lo
	s_delay_alu instid0(VALU_DEP_2)
	v_cmpx_gt_u32_e32 0x47800000, v8
	s_cbranch_execz .LBB251_2557
; %bb.2552:
	s_mov_b32 s27, 0
	s_mov_b32 s28, exec_lo
                                        ; implicit-def: $vgpr3
	v_cmpx_lt_u32_e32 0x37ffffff, v8
	s_xor_b32 s28, exec_lo, s28
	s_cbranch_execz .LBB251_2808
; %bb.2553:
	v_bfe_u32 v3, v8, 21, 1
	s_mov_b32 s27, exec_lo
	s_delay_alu instid0(VALU_DEP_1) | instskip(NEXT) | instid1(VALU_DEP_1)
	v_add3_u32 v3, v8, v3, 0x88fffff
                                        ; implicit-def: $vgpr8
	v_lshrrev_b32_e32 v3, 21, v3
	s_and_not1_saveexec_b32 s28, s28
	s_cbranch_execnz .LBB251_2809
.LBB251_2554:
	s_or_b32 exec_lo, exec_lo, s28
	v_mov_b32_e32 v9, 0
	s_and_saveexec_b32 s28, s27
.LBB251_2555:
	v_mov_b32_e32 v9, v3
.LBB251_2556:
	s_or_b32 exec_lo, exec_lo, s28
.LBB251_2557:
	s_delay_alu instid0(SALU_CYCLE_1)
	s_or_b32 exec_lo, exec_lo, s26
	flat_store_b8 v[4:5], v9
.LBB251_2558:
	s_wait_xcnt 0x0
	s_and_not1_saveexec_b32 s25, s25
	s_cbranch_execz .LBB251_2568
; %bb.2559:
	v_cndmask_b32_e64 v8, 0, 1.0, s7
	s_mov_b32 s26, exec_lo
                                        ; implicit-def: $vgpr3
	s_delay_alu instid0(VALU_DEP_1)
	v_cmpx_gt_u32_e32 0x43f00000, v8
	s_xor_b32 s26, exec_lo, s26
	s_cbranch_execz .LBB251_2565
; %bb.2560:
	s_mov_b32 s27, exec_lo
                                        ; implicit-def: $vgpr3
	v_cmpx_lt_u32_e32 0x3c7fffff, v8
	s_xor_b32 s27, exec_lo, s27
; %bb.2561:
	v_bfe_u32 v3, v8, 20, 1
	s_delay_alu instid0(VALU_DEP_1) | instskip(NEXT) | instid1(VALU_DEP_1)
	v_add3_u32 v3, v8, v3, 0x407ffff
	v_and_b32_e32 v8, 0xff00000, v3
	v_lshrrev_b32_e32 v3, 20, v3
	s_delay_alu instid0(VALU_DEP_2) | instskip(NEXT) | instid1(VALU_DEP_2)
	v_cmp_ne_u32_e32 vcc_lo, 0x7f00000, v8
                                        ; implicit-def: $vgpr8
	v_cndmask_b32_e32 v3, 0x7e, v3, vcc_lo
; %bb.2562:
	s_and_not1_saveexec_b32 s27, s27
; %bb.2563:
	v_add_f32_e32 v3, 0x46800000, v8
; %bb.2564:
	s_or_b32 exec_lo, exec_lo, s27
                                        ; implicit-def: $vgpr8
.LBB251_2565:
	s_and_not1_saveexec_b32 s26, s26
; %bb.2566:
	v_mov_b32_e32 v3, 0x7f
	v_cmp_lt_u32_e32 vcc_lo, 0x7f800000, v8
	s_delay_alu instid0(VALU_DEP_2)
	v_cndmask_b32_e32 v3, 0x7e, v3, vcc_lo
; %bb.2567:
	s_or_b32 exec_lo, exec_lo, s26
	flat_store_b8 v[4:5], v3
.LBB251_2568:
	s_wait_xcnt 0x0
	s_or_b32 exec_lo, exec_lo, s25
.LBB251_2569:
	s_and_not1_saveexec_b32 s24, s24
	s_cbranch_execz .LBB251_2579
; %bb.2570:
	v_cndmask_b32_e64 v8, 0, 1.0, s7
	s_mov_b32 s25, exec_lo
                                        ; implicit-def: $vgpr3
	s_delay_alu instid0(VALU_DEP_1)
	v_cmpx_gt_u32_e32 0x47800000, v8
	s_xor_b32 s25, exec_lo, s25
	s_cbranch_execz .LBB251_2576
; %bb.2571:
	s_mov_b32 s26, exec_lo
                                        ; implicit-def: $vgpr3
	v_cmpx_lt_u32_e32 0x387fffff, v8
	s_xor_b32 s26, exec_lo, s26
; %bb.2572:
	v_bfe_u32 v3, v8, 21, 1
	s_delay_alu instid0(VALU_DEP_1) | instskip(NEXT) | instid1(VALU_DEP_1)
	v_add3_u32 v3, v8, v3, 0x80fffff
                                        ; implicit-def: $vgpr8
	v_lshrrev_b32_e32 v3, 21, v3
; %bb.2573:
	s_and_not1_saveexec_b32 s26, s26
; %bb.2574:
	v_add_f32_e32 v3, 0x43000000, v8
; %bb.2575:
	s_or_b32 exec_lo, exec_lo, s26
                                        ; implicit-def: $vgpr8
.LBB251_2576:
	s_and_not1_saveexec_b32 s25, s25
; %bb.2577:
	v_mov_b32_e32 v3, 0x7f
	v_cmp_lt_u32_e32 vcc_lo, 0x7f800000, v8
	s_delay_alu instid0(VALU_DEP_2)
	v_cndmask_b32_e32 v3, 0x7c, v3, vcc_lo
; %bb.2578:
	s_or_b32 exec_lo, exec_lo, s25
	flat_store_b8 v[4:5], v3
.LBB251_2579:
	s_wait_xcnt 0x0
	s_or_b32 exec_lo, exec_lo, s24
	s_delay_alu instid0(SALU_CYCLE_1)
	s_or_b32 s24, s0, exec_lo
.LBB251_2580:
	s_or_saveexec_b32 s22, s22
	s_mov_b32 s25, 0
	s_mov_b32 s26, s20
	s_xor_b32 exec_lo, exec_lo, s22
	s_cbranch_execz .LBB251_2588
; %bb.2581:
	s_mov_b32 s25, s20
	s_mov_b32 s27, s24
	s_mov_b32 s26, exec_lo
	v_cmpx_lt_i16_e32 14, v7
	s_xor_b32 s26, exec_lo, s26
	s_cbranch_execz .LBB251_2585
; %bb.2582:
	s_mov_b32 s25, -1
	s_mov_b32 s28, s24
	s_mov_b32 s27, exec_lo
	v_cmpx_eq_u16_e32 15, v7
	s_cbranch_execz .LBB251_2584
; %bb.2583:
	v_cndmask_b32_e64 v3, 0, 1.0, s7
	s_or_b32 s28, s24, exec_lo
	s_xor_b32 s25, exec_lo, -1
	s_delay_alu instid0(VALU_DEP_1) | instskip(NEXT) | instid1(VALU_DEP_1)
	v_bfe_u32 v8, v3, 16, 1
	v_add3_u32 v3, v3, v8, 0x7fff
	flat_store_d16_hi_b16 v[4:5], v3
.LBB251_2584:
	s_wait_xcnt 0x0
	s_or_b32 exec_lo, exec_lo, s27
	s_delay_alu instid0(SALU_CYCLE_1)
	s_and_not1_b32 s27, s24, exec_lo
	s_and_b32 s28, s28, exec_lo
	s_and_not1_b32 s29, s20, exec_lo
	s_and_b32 s25, s25, exec_lo
	s_or_b32 s27, s27, s28
	s_or_b32 s25, s29, s25
.LBB251_2585:
	s_or_saveexec_b32 s28, s26
	s_mov_b32 s26, 0
	s_xor_b32 exec_lo, exec_lo, s28
; %bb.2586:
	v_cmp_ne_u16_e32 vcc_lo, 11, v7
	s_and_not1_b32 s25, s25, exec_lo
	s_mov_b32 s26, exec_lo
	s_and_b32 s29, vcc_lo, exec_lo
	s_delay_alu instid0(SALU_CYCLE_1)
	s_or_b32 s25, s25, s29
; %bb.2587:
	s_or_b32 exec_lo, exec_lo, s28
	s_delay_alu instid0(SALU_CYCLE_1)
	s_and_not1_b32 s24, s24, exec_lo
	s_and_b32 s27, s27, exec_lo
	s_and_b32 s28, s25, exec_lo
	s_or_b32 s24, s24, s27
	s_and_not1_b32 s27, s20, exec_lo
	s_and_b32 s25, s26, exec_lo
	s_or_b32 s26, s27, s28
.LBB251_2588:
	s_or_b32 exec_lo, exec_lo, s22
	s_delay_alu instid0(SALU_CYCLE_1)
	s_and_not1_b32 s0, s0, exec_lo
	s_and_b32 s22, s24, exec_lo
	s_and_not1_b32 s20, s20, exec_lo
	s_and_b32 s24, s26, exec_lo
	s_or_b32 s0, s0, s22
	s_and_b32 s22, s25, exec_lo
	s_or_b32 s20, s20, s24
	s_or_b32 exec_lo, exec_lo, s23
	s_mov_b32 s23, s1
	s_and_saveexec_b32 s24, s20
	s_cbranch_execz .LBB251_1741
.LBB251_2589:
	s_or_b32 s23, s1, exec_lo
	s_and_not1_b32 s22, s22, exec_lo
	s_trap 2
	s_or_b32 exec_lo, exec_lo, s24
	s_and_saveexec_b32 s20, s22
	s_delay_alu instid0(SALU_CYCLE_1)
	s_xor_b32 s20, exec_lo, s20
	s_cbranch_execnz .LBB251_1742
	s_branch .LBB251_1743
.LBB251_2590:
	s_and_not1_saveexec_b32 s18, s1
	s_cbranch_execz .LBB251_2187
.LBB251_2591:
	v_add_f32_e64 v11, 0x42800000, |v9|
	s_and_not1_b32 s17, s17, exec_lo
	s_delay_alu instid0(VALU_DEP_1) | instskip(NEXT) | instid1(VALU_DEP_1)
	v_and_b32_e32 v11, 0xff, v11
	v_cmp_ne_u32_e64 s1, 0, v11
	s_and_b32 s1, s1, exec_lo
	s_delay_alu instid0(SALU_CYCLE_1)
	s_or_b32 s17, s17, s1
	s_or_b32 exec_lo, exec_lo, s18
	v_mov_b32_e32 v19, 0
	s_and_saveexec_b32 s1, s17
	s_cbranch_execnz .LBB251_2188
	s_branch .LBB251_2189
.LBB251_2592:
	s_and_not1_saveexec_b32 s19, s1
	s_cbranch_execz .LBB251_2207
.LBB251_2593:
	v_add_f32_e64 v11, 0x42800000, |v12|
	s_and_not1_b32 s18, s18, exec_lo
	s_delay_alu instid0(VALU_DEP_1) | instskip(NEXT) | instid1(VALU_DEP_1)
	v_and_b32_e32 v11, 0xff, v11
	v_cmp_ne_u32_e64 s1, 0, v11
	s_and_b32 s1, s1, exec_lo
	s_delay_alu instid0(SALU_CYCLE_1)
	s_or_b32 s18, s18, s1
	s_or_b32 exec_lo, exec_lo, s19
	v_mov_b32_e32 v19, 0
	s_and_saveexec_b32 s1, s18
	s_cbranch_execnz .LBB251_2208
	s_branch .LBB251_2209
.LBB251_2594:
	s_and_not1_saveexec_b32 s19, s1
	s_cbranch_execz .LBB251_2239
.LBB251_2595:
	v_add_f32_e64 v12, 0x42800000, |v7|
	s_and_not1_b32 s18, s18, exec_lo
	s_delay_alu instid0(VALU_DEP_1) | instskip(NEXT) | instid1(VALU_DEP_1)
	v_and_b32_e32 v12, 0xff, v12
	v_cmp_ne_u32_e64 s1, 0, v12
	s_and_b32 s1, s1, exec_lo
	s_delay_alu instid0(SALU_CYCLE_1)
	s_or_b32 s18, s18, s1
	s_or_b32 exec_lo, exec_lo, s19
	v_mov_b32_e32 v20, 0
	s_and_saveexec_b32 s1, s18
	s_cbranch_execnz .LBB251_2240
	s_branch .LBB251_2241
.LBB251_2596:
	s_and_not1_saveexec_b32 s10, s0
	s_cbranch_execz .LBB251_220
.LBB251_2597:
	v_add_f32_e32 v2, 0x42800000, v3
	s_and_not1_b32 s9, s9, exec_lo
	s_delay_alu instid0(VALU_DEP_1) | instskip(NEXT) | instid1(VALU_DEP_1)
	v_and_b32_e32 v2, 0xff, v2
	v_cmp_ne_u32_e64 s0, 0, v2
	s_and_b32 s0, s0, exec_lo
	s_delay_alu instid0(SALU_CYCLE_1)
	s_or_b32 s9, s9, s0
	s_or_b32 exec_lo, exec_lo, s10
	v_mov_b32_e32 v4, 0
	s_and_saveexec_b32 s0, s9
	s_cbranch_execnz .LBB251_221
	s_branch .LBB251_222
.LBB251_2598:
	s_and_not1_saveexec_b32 s8, s8
	s_cbranch_execz .LBB251_294
.LBB251_2599:
	v_add_f32_e32 v3, 0x46000000, v4
	s_and_not1_b32 s7, s7, exec_lo
	s_delay_alu instid0(VALU_DEP_1) | instskip(NEXT) | instid1(VALU_DEP_1)
	v_and_b32_e32 v3, 0xff, v3
	v_cmp_ne_u32_e32 vcc_lo, 0, v3
	s_and_b32 s9, vcc_lo, exec_lo
	s_delay_alu instid0(SALU_CYCLE_1)
	s_or_b32 s7, s7, s9
	s_or_b32 exec_lo, exec_lo, s8
	v_mov_b32_e32 v5, 0
	s_and_saveexec_b32 s8, s7
	s_cbranch_execnz .LBB251_295
	s_branch .LBB251_296
.LBB251_2600:
	s_and_not1_saveexec_b32 s18, s1
	s_cbranch_execz .LBB251_812
.LBB251_2601:
	v_add_f32_e64 v11, 0x42800000, |v9|
	s_and_not1_b32 s17, s17, exec_lo
	s_delay_alu instid0(VALU_DEP_1) | instskip(NEXT) | instid1(VALU_DEP_1)
	v_and_b32_e32 v11, 0xff, v11
	v_cmp_ne_u32_e64 s1, 0, v11
	s_and_b32 s1, s1, exec_lo
	s_delay_alu instid0(SALU_CYCLE_1)
	s_or_b32 s17, s17, s1
	s_or_b32 exec_lo, exec_lo, s18
	v_mov_b32_e32 v19, 0
	s_and_saveexec_b32 s1, s17
	s_cbranch_execnz .LBB251_813
	s_branch .LBB251_814
.LBB251_2602:
	s_and_not1_saveexec_b32 s20, s1
	s_cbranch_execz .LBB251_822
.LBB251_2603:
	v_add_f32_e32 v9, 0x42800000, v11
	s_and_not1_b32 s19, s19, exec_lo
	s_delay_alu instid0(VALU_DEP_1) | instskip(NEXT) | instid1(VALU_DEP_1)
	v_and_b32_e32 v9, 0xff, v9
	v_cmp_ne_u32_e64 s1, 0, v9
	s_and_b32 s1, s1, exec_lo
	s_delay_alu instid0(SALU_CYCLE_1)
	s_or_b32 s19, s19, s1
	s_or_b32 exec_lo, exec_lo, s20
	v_mov_b32_e32 v19, 0
	s_and_saveexec_b32 s1, s19
	s_cbranch_execnz .LBB251_823
	s_branch .LBB251_824
.LBB251_2604:
	s_and_not1_saveexec_b32 s21, s1
	s_cbranch_execz .LBB251_1023
.LBB251_2605:
	v_add_f32_e32 v7, 0x42800000, v12
	s_and_not1_b32 s20, s20, exec_lo
	s_delay_alu instid0(VALU_DEP_1) | instskip(NEXT) | instid1(VALU_DEP_1)
	v_and_b32_e32 v7, 0xff, v7
	v_cmp_ne_u32_e64 s1, 0, v7
	s_and_b32 s1, s1, exec_lo
	s_delay_alu instid0(SALU_CYCLE_1)
	s_or_b32 s20, s20, s1
	s_or_b32 exec_lo, exec_lo, s21
	v_mov_b32_e32 v20, 0
	s_and_saveexec_b32 s1, s20
	s_cbranch_execnz .LBB251_1024
	s_branch .LBB251_1025
.LBB251_2606:
	s_and_not1_saveexec_b32 s21, s1
	s_cbranch_execz .LBB251_1035
.LBB251_2607:
	v_add_f32_e32 v7, 0x42800000, v12
	s_and_not1_b32 s20, s20, exec_lo
	s_delay_alu instid0(VALU_DEP_1) | instskip(NEXT) | instid1(VALU_DEP_1)
	v_and_b32_e32 v7, 0xff, v7
	v_cmp_ne_u32_e64 s1, 0, v7
	s_and_b32 s1, s1, exec_lo
	s_delay_alu instid0(SALU_CYCLE_1)
	s_or_b32 s20, s20, s1
	s_or_b32 exec_lo, exec_lo, s21
	v_mov_b32_e32 v20, 0
	s_and_saveexec_b32 s1, s20
	s_cbranch_execnz .LBB251_1036
	s_branch .LBB251_1037
.LBB251_2608:
	s_and_not1_saveexec_b32 s21, s1
	s_cbranch_execz .LBB251_1043
.LBB251_2609:
	v_add_f32_e32 v7, 0x42800000, v12
	s_and_not1_b32 s20, s20, exec_lo
	s_delay_alu instid0(VALU_DEP_1) | instskip(NEXT) | instid1(VALU_DEP_1)
	v_and_b32_e32 v7, 0xff, v7
	v_cmp_ne_u32_e64 s1, 0, v7
	s_and_b32 s1, s1, exec_lo
	s_delay_alu instid0(SALU_CYCLE_1)
	s_or_b32 s20, s20, s1
	s_or_b32 exec_lo, exec_lo, s21
	v_mov_b32_e32 v20, 0
	s_and_saveexec_b32 s1, s20
	s_cbranch_execnz .LBB251_1044
	s_branch .LBB251_1045
.LBB251_2610:
	s_and_not1_saveexec_b32 s20, s1
	s_cbranch_execz .LBB251_1082
.LBB251_2611:
	v_add_f32_e64 v8, 0x42800000, |v7|
	s_and_not1_b32 s19, s19, exec_lo
	s_delay_alu instid0(VALU_DEP_1) | instskip(NEXT) | instid1(VALU_DEP_1)
	v_and_b32_e32 v8, 0xff, v8
	v_cmp_ne_u32_e64 s1, 0, v8
	s_and_b32 s1, s1, exec_lo
	s_delay_alu instid0(SALU_CYCLE_1)
	s_or_b32 s19, s19, s1
	s_or_b32 exec_lo, exec_lo, s20
	v_mov_b32_e32 v20, 0
	s_and_saveexec_b32 s1, s19
	s_cbranch_execnz .LBB251_1083
	s_branch .LBB251_1084
.LBB251_2612:
	s_and_not1_saveexec_b32 s20, s1
	s_cbranch_execz .LBB251_1090
.LBB251_2613:
	v_add_f32_e64 v8, 0x42800000, |v7|
	s_and_not1_b32 s19, s19, exec_lo
	s_delay_alu instid0(VALU_DEP_1) | instskip(NEXT) | instid1(VALU_DEP_1)
	v_and_b32_e32 v8, 0xff, v8
	v_cmp_ne_u32_e64 s1, 0, v8
	s_and_b32 s1, s1, exec_lo
	s_delay_alu instid0(SALU_CYCLE_1)
	s_or_b32 s19, s19, s1
	s_or_b32 exec_lo, exec_lo, s20
	v_mov_b32_e32 v20, 0
	s_and_saveexec_b32 s1, s19
	s_cbranch_execnz .LBB251_1091
	s_branch .LBB251_1092
.LBB251_2614:
	s_and_not1_saveexec_b32 s20, s1
	s_cbranch_execz .LBB251_1110
.LBB251_2615:
	v_add_f32_e64 v8, 0x42800000, |v7|
	s_and_not1_b32 s19, s19, exec_lo
	s_delay_alu instid0(VALU_DEP_1) | instskip(NEXT) | instid1(VALU_DEP_1)
	v_and_b32_e32 v8, 0xff, v8
	v_cmp_ne_u32_e64 s1, 0, v8
	s_and_b32 s1, s1, exec_lo
	s_delay_alu instid0(SALU_CYCLE_1)
	s_or_b32 s19, s19, s1
	s_or_b32 exec_lo, exec_lo, s20
	v_mov_b32_e32 v20, 0
	s_and_saveexec_b32 s1, s19
	s_cbranch_execnz .LBB251_1111
	s_branch .LBB251_1112
.LBB251_2616:
	s_and_not1_saveexec_b32 s20, s1
	s_cbranch_execz .LBB251_1118
.LBB251_2617:
	v_add_f32_e64 v8, 0x42800000, |v7|
	s_and_not1_b32 s19, s19, exec_lo
	s_delay_alu instid0(VALU_DEP_1) | instskip(NEXT) | instid1(VALU_DEP_1)
	v_and_b32_e32 v8, 0xff, v8
	v_cmp_ne_u32_e64 s1, 0, v8
	s_and_b32 s1, s1, exec_lo
	s_delay_alu instid0(SALU_CYCLE_1)
	s_or_b32 s19, s19, s1
	s_or_b32 exec_lo, exec_lo, s20
	v_mov_b32_e32 v20, 0
	s_and_saveexec_b32 s1, s19
	s_cbranch_execnz .LBB251_1119
	s_branch .LBB251_1120
.LBB251_2618:
	s_and_not1_saveexec_b32 s20, s1
	s_cbranch_execz .LBB251_1140
.LBB251_2619:
	v_add_f32_e64 v8, 0x42800000, |v7|
	s_and_not1_b32 s19, s19, exec_lo
	s_delay_alu instid0(VALU_DEP_1) | instskip(NEXT) | instid1(VALU_DEP_1)
	v_and_b32_e32 v8, 0xff, v8
	v_cmp_ne_u32_e64 s1, 0, v8
	s_and_b32 s1, s1, exec_lo
	s_delay_alu instid0(SALU_CYCLE_1)
	s_or_b32 s19, s19, s1
	s_or_b32 exec_lo, exec_lo, s20
	v_mov_b32_e32 v20, 0
	s_and_saveexec_b32 s1, s19
	s_cbranch_execnz .LBB251_1141
	s_branch .LBB251_1142
.LBB251_2620:
	s_and_not1_saveexec_b32 s20, s1
	s_cbranch_execz .LBB251_1148
.LBB251_2621:
	v_add_f32_e64 v8, 0x42800000, |v7|
	s_and_not1_b32 s19, s19, exec_lo
	s_delay_alu instid0(VALU_DEP_1) | instskip(NEXT) | instid1(VALU_DEP_1)
	v_and_b32_e32 v8, 0xff, v8
	v_cmp_ne_u32_e64 s1, 0, v8
	s_and_b32 s1, s1, exec_lo
	s_delay_alu instid0(SALU_CYCLE_1)
	s_or_b32 s19, s19, s1
	s_or_b32 exec_lo, exec_lo, s20
	v_mov_b32_e32 v20, 0
	s_and_saveexec_b32 s1, s19
	s_cbranch_execnz .LBB251_1149
	s_branch .LBB251_1150
.LBB251_2622:
	s_and_not1_saveexec_b32 s23, s1
	s_cbranch_execz .LBB251_1276
.LBB251_2623:
	v_add_f32_e64 v8, 0x42800000, |v7|
	s_and_not1_b32 s22, s22, exec_lo
	s_delay_alu instid0(VALU_DEP_1) | instskip(NEXT) | instid1(VALU_DEP_1)
	v_and_b32_e32 v9, 0xff, v8
	v_cmp_ne_u32_e64 s1, 0, v9
	s_and_b32 s1, s1, exec_lo
	s_delay_alu instid0(SALU_CYCLE_1)
	s_or_b32 s22, s22, s1
	s_or_b32 exec_lo, exec_lo, s23
	v_mov_b32_e32 v8, 0
	s_and_saveexec_b32 s1, s22
	s_cbranch_execnz .LBB251_1277
	s_branch .LBB251_1278
.LBB251_2624:
	s_and_not1_saveexec_b32 s22, s1
	s_cbranch_execz .LBB251_1317
.LBB251_2625:
	v_add_f32_e64 v5, 0x42800000, |v4|
	s_and_not1_b32 s21, s21, exec_lo
	s_delay_alu instid0(VALU_DEP_1) | instskip(NEXT) | instid1(VALU_DEP_1)
	v_and_b32_e32 v5, 0xff, v5
	v_cmp_ne_u32_e64 s1, 0, v5
	s_and_b32 s1, s1, exec_lo
	s_delay_alu instid0(SALU_CYCLE_1)
	s_or_b32 s21, s21, s1
	s_or_b32 exec_lo, exec_lo, s22
	v_mov_b32_e32 v8, 0
	s_and_saveexec_b32 s1, s21
	s_cbranch_execnz .LBB251_1318
	s_branch .LBB251_1319
.LBB251_2626:
	s_and_not1_saveexec_b32 s22, s1
	s_cbranch_execz .LBB251_1345
.LBB251_2627:
	v_add_f32_e64 v5, 0x42800000, |v4|
	s_and_not1_b32 s21, s21, exec_lo
	s_delay_alu instid0(VALU_DEP_1) | instskip(NEXT) | instid1(VALU_DEP_1)
	v_and_b32_e32 v5, 0xff, v5
	v_cmp_ne_u32_e64 s1, 0, v5
	s_and_b32 s1, s1, exec_lo
	s_delay_alu instid0(SALU_CYCLE_1)
	s_or_b32 s21, s21, s1
	s_or_b32 exec_lo, exec_lo, s22
	v_mov_b32_e32 v8, 0
	s_and_saveexec_b32 s1, s21
	s_cbranch_execnz .LBB251_1346
	s_branch .LBB251_1347
.LBB251_2628:
	s_and_not1_saveexec_b32 s22, s1
	s_cbranch_execz .LBB251_1375
.LBB251_2629:
	v_add_f32_e64 v5, 0x42800000, |v4|
	s_and_not1_b32 s21, s21, exec_lo
	s_delay_alu instid0(VALU_DEP_1) | instskip(NEXT) | instid1(VALU_DEP_1)
	v_and_b32_e32 v5, 0xff, v5
	v_cmp_ne_u32_e64 s1, 0, v5
	s_and_b32 s1, s1, exec_lo
	s_delay_alu instid0(SALU_CYCLE_1)
	s_or_b32 s21, s21, s1
	s_or_b32 exec_lo, exec_lo, s22
	v_mov_b32_e32 v8, 0
	s_and_saveexec_b32 s1, s21
	s_cbranch_execnz .LBB251_1376
	s_branch .LBB251_1377
.LBB251_2630:
	s_and_not1_saveexec_b32 s22, s1
	s_cbranch_execz .LBB251_1385
.LBB251_2631:
	v_add_f32_e64 v5, 0x42800000, |v4|
	s_and_not1_b32 s21, s21, exec_lo
	s_delay_alu instid0(VALU_DEP_1) | instskip(NEXT) | instid1(VALU_DEP_1)
	v_and_b32_e32 v5, 0xff, v5
	v_cmp_ne_u32_e64 s1, 0, v5
	s_and_b32 s1, s1, exec_lo
	s_delay_alu instid0(SALU_CYCLE_1)
	s_or_b32 s21, s21, s1
	s_or_b32 exec_lo, exec_lo, s22
	v_mov_b32_e32 v8, 0
	s_and_saveexec_b32 s1, s21
	s_cbranch_execnz .LBB251_1386
	s_branch .LBB251_1387
.LBB251_2632:
	s_and_not1_saveexec_b32 s22, s1
	s_cbranch_execz .LBB251_1393
.LBB251_2633:
	v_add_f32_e32 v4, 0x42800000, v5
	s_and_not1_b32 s21, s21, exec_lo
	s_delay_alu instid0(VALU_DEP_1) | instskip(NEXT) | instid1(VALU_DEP_1)
	v_and_b32_e32 v4, 0xff, v4
	v_cmp_ne_u32_e64 s1, 0, v4
	s_and_b32 s1, s1, exec_lo
	s_delay_alu instid0(SALU_CYCLE_1)
	s_or_b32 s21, s21, s1
	s_or_b32 exec_lo, exec_lo, s22
	v_mov_b32_e32 v8, 0
	s_and_saveexec_b32 s1, s21
	s_cbranch_execnz .LBB251_1394
	s_branch .LBB251_1395
.LBB251_2634:
	s_or_saveexec_b32 s24, s24
	v_mov_b32_e32 v5, 0x7f800001
	s_xor_b32 exec_lo, exec_lo, s24
	s_cbranch_execz .LBB251_1461
.LBB251_2635:
	v_cmp_ne_u16_e64 s1, 0, v4
	v_mov_b32_e32 v5, 0
	s_and_not1_b32 s23, s23, exec_lo
	s_and_b32 s1, s1, exec_lo
	s_delay_alu instid0(SALU_CYCLE_1)
	s_or_b32 s23, s23, s1
	s_or_b32 exec_lo, exec_lo, s24
	s_and_saveexec_b32 s24, s23
	s_cbranch_execnz .LBB251_1462
	s_branch .LBB251_1463
.LBB251_2636:
	s_and_not1_saveexec_b32 s24, s24
	s_cbranch_execz .LBB251_1824
.LBB251_2637:
	s_mov_b32 s25, s0
	s_mov_b32 s23, exec_lo
	v_cmpx_lt_i16_e32 22, v7
	s_xor_b32 s23, exec_lo, s23
	s_cbranch_execz .LBB251_2669
; %bb.2638:
	s_mov_b32 s25, exec_lo
	v_cmpx_lt_i16_e32 23, v7
	s_xor_b32 s25, exec_lo, s25
	s_cbranch_execz .LBB251_2658
; %bb.2639:
	s_mov_b32 s26, exec_lo
	v_cmpx_lt_i16_e32 24, v7
	s_xor_b32 s26, exec_lo, s26
	s_cbranch_execz .LBB251_2647
; %bb.2640:
	v_cndmask_b32_e64 v8, 0, 1.0, s11
	v_mov_b32_e32 v9, 0x80
	s_mov_b32 s27, exec_lo
	s_delay_alu instid0(VALU_DEP_2)
	v_cmpx_gt_u32_e32 0x47800000, v8
	s_cbranch_execz .LBB251_2646
; %bb.2641:
	s_mov_b32 s28, 0
	s_mov_b32 s29, exec_lo
                                        ; implicit-def: $vgpr3
	v_cmpx_lt_u32_e32 0x37ffffff, v8
	s_xor_b32 s29, exec_lo, s29
	s_cbranch_execz .LBB251_2812
; %bb.2642:
	v_bfe_u32 v3, v8, 21, 1
	s_mov_b32 s28, exec_lo
	s_delay_alu instid0(VALU_DEP_1) | instskip(NEXT) | instid1(VALU_DEP_1)
	v_add3_u32 v3, v8, v3, 0x88fffff
                                        ; implicit-def: $vgpr8
	v_lshrrev_b32_e32 v3, 21, v3
	s_and_not1_saveexec_b32 s29, s29
	s_cbranch_execnz .LBB251_2813
.LBB251_2643:
	s_or_b32 exec_lo, exec_lo, s29
	v_mov_b32_e32 v9, 0
	s_and_saveexec_b32 s29, s28
.LBB251_2644:
	v_mov_b32_e32 v9, v3
.LBB251_2645:
	s_or_b32 exec_lo, exec_lo, s29
.LBB251_2646:
	s_delay_alu instid0(SALU_CYCLE_1)
	s_or_b32 exec_lo, exec_lo, s27
	flat_store_b8 v[4:5], v9
.LBB251_2647:
	s_wait_xcnt 0x0
	s_and_not1_saveexec_b32 s26, s26
	s_cbranch_execz .LBB251_2657
; %bb.2648:
	v_cndmask_b32_e64 v8, 0, 1.0, s11
	s_mov_b32 s27, exec_lo
                                        ; implicit-def: $vgpr3
	s_delay_alu instid0(VALU_DEP_1)
	v_cmpx_gt_u32_e32 0x43f00000, v8
	s_xor_b32 s27, exec_lo, s27
	s_cbranch_execz .LBB251_2654
; %bb.2649:
	s_mov_b32 s28, exec_lo
                                        ; implicit-def: $vgpr3
	v_cmpx_lt_u32_e32 0x3c7fffff, v8
	s_xor_b32 s28, exec_lo, s28
; %bb.2650:
	v_bfe_u32 v3, v8, 20, 1
	s_delay_alu instid0(VALU_DEP_1) | instskip(NEXT) | instid1(VALU_DEP_1)
	v_add3_u32 v3, v8, v3, 0x407ffff
	v_and_b32_e32 v8, 0xff00000, v3
	v_lshrrev_b32_e32 v3, 20, v3
	s_delay_alu instid0(VALU_DEP_2) | instskip(NEXT) | instid1(VALU_DEP_2)
	v_cmp_ne_u32_e32 vcc_lo, 0x7f00000, v8
                                        ; implicit-def: $vgpr8
	v_cndmask_b32_e32 v3, 0x7e, v3, vcc_lo
; %bb.2651:
	s_and_not1_saveexec_b32 s28, s28
; %bb.2652:
	v_add_f32_e32 v3, 0x46800000, v8
; %bb.2653:
	s_or_b32 exec_lo, exec_lo, s28
                                        ; implicit-def: $vgpr8
.LBB251_2654:
	s_and_not1_saveexec_b32 s27, s27
; %bb.2655:
	v_mov_b32_e32 v3, 0x7f
	v_cmp_lt_u32_e32 vcc_lo, 0x7f800000, v8
	s_delay_alu instid0(VALU_DEP_2)
	v_cndmask_b32_e32 v3, 0x7e, v3, vcc_lo
; %bb.2656:
	s_or_b32 exec_lo, exec_lo, s27
	flat_store_b8 v[4:5], v3
.LBB251_2657:
	s_wait_xcnt 0x0
	s_or_b32 exec_lo, exec_lo, s26
.LBB251_2658:
	s_and_not1_saveexec_b32 s25, s25
	s_cbranch_execz .LBB251_2668
; %bb.2659:
	v_cndmask_b32_e64 v8, 0, 1.0, s11
	s_mov_b32 s26, exec_lo
                                        ; implicit-def: $vgpr3
	s_delay_alu instid0(VALU_DEP_1)
	v_cmpx_gt_u32_e32 0x47800000, v8
	s_xor_b32 s26, exec_lo, s26
	s_cbranch_execz .LBB251_2665
; %bb.2660:
	s_mov_b32 s27, exec_lo
                                        ; implicit-def: $vgpr3
	v_cmpx_lt_u32_e32 0x387fffff, v8
	s_xor_b32 s27, exec_lo, s27
; %bb.2661:
	v_bfe_u32 v3, v8, 21, 1
	s_delay_alu instid0(VALU_DEP_1) | instskip(NEXT) | instid1(VALU_DEP_1)
	v_add3_u32 v3, v8, v3, 0x80fffff
                                        ; implicit-def: $vgpr8
	v_lshrrev_b32_e32 v3, 21, v3
; %bb.2662:
	s_and_not1_saveexec_b32 s27, s27
; %bb.2663:
	v_add_f32_e32 v3, 0x43000000, v8
; %bb.2664:
	s_or_b32 exec_lo, exec_lo, s27
                                        ; implicit-def: $vgpr8
.LBB251_2665:
	s_and_not1_saveexec_b32 s26, s26
; %bb.2666:
	v_mov_b32_e32 v3, 0x7f
	v_cmp_lt_u32_e32 vcc_lo, 0x7f800000, v8
	s_delay_alu instid0(VALU_DEP_2)
	v_cndmask_b32_e32 v3, 0x7c, v3, vcc_lo
; %bb.2667:
	s_or_b32 exec_lo, exec_lo, s26
	flat_store_b8 v[4:5], v3
.LBB251_2668:
	s_wait_xcnt 0x0
	s_or_b32 exec_lo, exec_lo, s25
	s_delay_alu instid0(SALU_CYCLE_1)
	s_or_b32 s25, s0, exec_lo
.LBB251_2669:
	s_or_saveexec_b32 s23, s23
	s_mov_b32 s26, 0
	s_mov_b32 s27, s21
	s_xor_b32 exec_lo, exec_lo, s23
	s_cbranch_execz .LBB251_2677
; %bb.2670:
	s_mov_b32 s26, s21
	s_mov_b32 s28, s25
	s_mov_b32 s27, exec_lo
	v_cmpx_lt_i16_e32 14, v7
	s_xor_b32 s27, exec_lo, s27
	s_cbranch_execz .LBB251_2674
; %bb.2671:
	s_mov_b32 s26, -1
	s_mov_b32 s29, s25
	s_mov_b32 s28, exec_lo
	v_cmpx_eq_u16_e32 15, v7
	s_cbranch_execz .LBB251_2673
; %bb.2672:
	v_cndmask_b32_e64 v3, 0, 1.0, s11
	s_or_b32 s29, s25, exec_lo
	s_xor_b32 s26, exec_lo, -1
	s_delay_alu instid0(VALU_DEP_1) | instskip(NEXT) | instid1(VALU_DEP_1)
	v_bfe_u32 v8, v3, 16, 1
	v_add3_u32 v3, v3, v8, 0x7fff
	flat_store_d16_hi_b16 v[4:5], v3
.LBB251_2673:
	s_wait_xcnt 0x0
	s_or_b32 exec_lo, exec_lo, s28
	s_delay_alu instid0(SALU_CYCLE_1)
	s_and_not1_b32 s28, s25, exec_lo
	s_and_b32 s29, s29, exec_lo
	s_and_not1_b32 s30, s21, exec_lo
	s_and_b32 s26, s26, exec_lo
	s_or_b32 s28, s28, s29
	s_or_b32 s26, s30, s26
.LBB251_2674:
	s_or_saveexec_b32 s29, s27
	s_mov_b32 s27, 0
	s_xor_b32 exec_lo, exec_lo, s29
; %bb.2675:
	v_cmp_ne_u16_e32 vcc_lo, 11, v7
	s_and_not1_b32 s26, s26, exec_lo
	s_mov_b32 s27, exec_lo
	s_and_b32 s30, vcc_lo, exec_lo
	s_delay_alu instid0(SALU_CYCLE_1)
	s_or_b32 s26, s26, s30
; %bb.2676:
	s_or_b32 exec_lo, exec_lo, s29
	s_delay_alu instid0(SALU_CYCLE_1)
	s_and_not1_b32 s25, s25, exec_lo
	s_and_b32 s28, s28, exec_lo
	s_and_b32 s29, s26, exec_lo
	s_or_b32 s25, s25, s28
	s_and_not1_b32 s28, s21, exec_lo
	s_and_b32 s26, s27, exec_lo
	s_or_b32 s27, s28, s29
.LBB251_2677:
	s_or_b32 exec_lo, exec_lo, s23
	s_delay_alu instid0(SALU_CYCLE_1)
	s_and_not1_b32 s0, s0, exec_lo
	s_and_b32 s23, s25, exec_lo
	s_and_not1_b32 s21, s21, exec_lo
	s_and_b32 s25, s27, exec_lo
	s_or_b32 s0, s0, s23
	s_and_b32 s23, s26, exec_lo
	s_or_b32 s21, s21, s25
	s_or_b32 exec_lo, exec_lo, s24
	s_mov_b32 s24, s20
	s_and_saveexec_b32 s25, s21
	s_cbranch_execz .LBB251_1825
.LBB251_2678:
	s_or_b32 s24, s20, exec_lo
	s_and_not1_b32 s23, s23, exec_lo
	s_trap 2
	s_or_b32 exec_lo, exec_lo, s25
	s_and_saveexec_b32 s21, s23
	s_delay_alu instid0(SALU_CYCLE_1)
	s_xor_b32 s21, exec_lo, s21
	s_cbranch_execnz .LBB251_1826
	s_branch .LBB251_1827
.LBB251_2679:
	s_and_not1_saveexec_b32 s20, s1
	s_cbranch_execz .LBB251_2230
.LBB251_2680:
	v_add_f32_e64 v12, 0x42800000, |v7|
	s_and_not1_b32 s19, s19, exec_lo
	s_delay_alu instid0(VALU_DEP_1) | instskip(NEXT) | instid1(VALU_DEP_1)
	v_and_b32_e32 v12, 0xff, v12
	v_cmp_ne_u32_e64 s1, 0, v12
	s_and_b32 s1, s1, exec_lo
	s_delay_alu instid0(SALU_CYCLE_1)
	s_or_b32 s19, s19, s1
	s_or_b32 exec_lo, exec_lo, s20
	v_mov_b32_e32 v20, 0
	s_and_saveexec_b32 s1, s19
	s_cbranch_execnz .LBB251_2231
	s_branch .LBB251_2232
.LBB251_2681:
	s_and_not1_saveexec_b32 s21, s1
	s_cbranch_execz .LBB251_2250
.LBB251_2682:
	v_add_f32_e64 v12, 0x42800000, |v13|
	s_and_not1_b32 s20, s20, exec_lo
	s_delay_alu instid0(VALU_DEP_1) | instskip(NEXT) | instid1(VALU_DEP_1)
	v_and_b32_e32 v12, 0xff, v12
	v_cmp_ne_u32_e64 s1, 0, v12
	s_and_b32 s1, s1, exec_lo
	s_delay_alu instid0(SALU_CYCLE_1)
	s_or_b32 s20, s20, s1
	s_or_b32 exec_lo, exec_lo, s21
	v_mov_b32_e32 v20, 0
	s_and_saveexec_b32 s1, s20
	s_cbranch_execnz .LBB251_2251
	s_branch .LBB251_2252
.LBB251_2683:
	s_and_not1_saveexec_b32 s22, s1
	s_cbranch_execz .LBB251_2302
.LBB251_2684:
	v_add_f32_e64 v8, 0x42800000, |v7|
	s_and_not1_b32 s21, s21, exec_lo
	s_delay_alu instid0(VALU_DEP_1) | instskip(NEXT) | instid1(VALU_DEP_1)
	v_and_b32_e32 v9, 0xff, v8
	v_cmp_ne_u32_e64 s1, 0, v9
	s_and_b32 s1, s1, exec_lo
	s_delay_alu instid0(SALU_CYCLE_1)
	s_or_b32 s21, s21, s1
	s_or_b32 exec_lo, exec_lo, s22
	v_mov_b32_e32 v8, 0
	s_and_saveexec_b32 s1, s21
	s_cbranch_execnz .LBB251_2303
	s_branch .LBB251_2304
.LBB251_2685:
	s_and_not1_saveexec_b32 s9, s9
	s_cbranch_execz .LBB251_307
.LBB251_2686:
	v_add_f32_e32 v3, 0x42800000, v4
	s_and_not1_b32 s8, s8, exec_lo
	s_delay_alu instid0(VALU_DEP_1) | instskip(NEXT) | instid1(VALU_DEP_1)
	v_and_b32_e32 v3, 0xff, v3
	v_cmp_ne_u32_e32 vcc_lo, 0, v3
	s_and_b32 s10, vcc_lo, exec_lo
	s_delay_alu instid0(SALU_CYCLE_1)
	s_or_b32 s8, s8, s10
	s_or_b32 exec_lo, exec_lo, s9
	v_mov_b32_e32 v5, 0
	s_and_saveexec_b32 s9, s8
	s_cbranch_execnz .LBB251_308
	s_branch .LBB251_309
.LBB251_2687:
	s_and_not1_saveexec_b32 s20, s1
	s_cbranch_execz .LBB251_1002
.LBB251_2688:
	v_add_f32_e64 v12, 0x42800000, |v7|
	s_and_not1_b32 s19, s19, exec_lo
	s_delay_alu instid0(VALU_DEP_1) | instskip(NEXT) | instid1(VALU_DEP_1)
	v_and_b32_e32 v12, 0xff, v12
	v_cmp_ne_u32_e64 s1, 0, v12
	s_and_b32 s1, s1, exec_lo
	s_delay_alu instid0(SALU_CYCLE_1)
	s_or_b32 s19, s19, s1
	s_or_b32 exec_lo, exec_lo, s20
	v_mov_b32_e32 v20, 0
	s_and_saveexec_b32 s1, s19
	s_cbranch_execnz .LBB251_1003
	s_branch .LBB251_1004
.LBB251_2689:
	s_and_not1_saveexec_b32 s22, s1
	s_cbranch_execz .LBB251_1012
.LBB251_2690:
	v_add_f32_e32 v7, 0x42800000, v12
	s_and_not1_b32 s21, s21, exec_lo
	s_delay_alu instid0(VALU_DEP_1) | instskip(NEXT) | instid1(VALU_DEP_1)
	v_and_b32_e32 v7, 0xff, v7
	v_cmp_ne_u32_e64 s1, 0, v7
	s_and_b32 s1, s1, exec_lo
	s_delay_alu instid0(SALU_CYCLE_1)
	s_or_b32 s21, s21, s1
	s_or_b32 exec_lo, exec_lo, s22
	v_mov_b32_e32 v20, 0
	s_and_saveexec_b32 s1, s21
	s_cbranch_execnz .LBB251_1013
	s_branch .LBB251_1014
.LBB251_2691:
	s_and_not1_saveexec_b32 s24, s1
	s_cbranch_execz .LBB251_1241
.LBB251_2692:
	v_add_f32_e32 v7, 0x42800000, v9
	s_and_not1_b32 s23, s23, exec_lo
	s_delay_alu instid0(VALU_DEP_1) | instskip(NEXT) | instid1(VALU_DEP_1)
	v_and_b32_e32 v7, 0xff, v7
	v_cmp_ne_u32_e64 s1, 0, v7
	s_and_b32 s1, s1, exec_lo
	s_delay_alu instid0(SALU_CYCLE_1)
	s_or_b32 s23, s23, s1
	s_or_b32 exec_lo, exec_lo, s24
	v_mov_b32_e32 v8, 0
	s_and_saveexec_b32 s1, s23
	s_cbranch_execnz .LBB251_1242
	s_branch .LBB251_1243
.LBB251_2693:
	s_and_not1_saveexec_b32 s24, s1
	s_cbranch_execz .LBB251_1253
.LBB251_2694:
	v_add_f32_e32 v7, 0x42800000, v9
	s_and_not1_b32 s23, s23, exec_lo
	s_delay_alu instid0(VALU_DEP_1) | instskip(NEXT) | instid1(VALU_DEP_1)
	v_and_b32_e32 v7, 0xff, v7
	v_cmp_ne_u32_e64 s1, 0, v7
	s_and_b32 s1, s1, exec_lo
	s_delay_alu instid0(SALU_CYCLE_1)
	s_or_b32 s23, s23, s1
	s_or_b32 exec_lo, exec_lo, s24
	v_mov_b32_e32 v8, 0
	s_and_saveexec_b32 s1, s23
	s_cbranch_execnz .LBB251_1254
	s_branch .LBB251_1255
.LBB251_2695:
	s_and_not1_saveexec_b32 s24, s1
	s_cbranch_execz .LBB251_1261
.LBB251_2696:
	v_add_f32_e32 v7, 0x42800000, v9
	s_and_not1_b32 s23, s23, exec_lo
	s_delay_alu instid0(VALU_DEP_1) | instskip(NEXT) | instid1(VALU_DEP_1)
	v_and_b32_e32 v7, 0xff, v7
	v_cmp_ne_u32_e64 s1, 0, v7
	s_and_b32 s1, s1, exec_lo
	s_delay_alu instid0(SALU_CYCLE_1)
	s_or_b32 s23, s23, s1
	s_or_b32 exec_lo, exec_lo, s24
	v_mov_b32_e32 v8, 0
	s_and_saveexec_b32 s1, s23
	s_cbranch_execnz .LBB251_1262
	s_branch .LBB251_1263
.LBB251_2697:
	s_and_not1_saveexec_b32 s23, s1
	s_cbranch_execz .LBB251_1300
.LBB251_2698:
	v_add_f32_e64 v5, 0x42800000, |v4|
	s_and_not1_b32 s22, s22, exec_lo
	s_delay_alu instid0(VALU_DEP_1) | instskip(NEXT) | instid1(VALU_DEP_1)
	v_and_b32_e32 v5, 0xff, v5
	v_cmp_ne_u32_e64 s1, 0, v5
	s_and_b32 s1, s1, exec_lo
	s_delay_alu instid0(SALU_CYCLE_1)
	s_or_b32 s22, s22, s1
	s_or_b32 exec_lo, exec_lo, s23
	v_mov_b32_e32 v8, 0
	s_and_saveexec_b32 s1, s22
	s_cbranch_execnz .LBB251_1301
	s_branch .LBB251_1302
.LBB251_2699:
	s_and_not1_saveexec_b32 s23, s1
	s_cbranch_execz .LBB251_1308
.LBB251_2700:
	v_add_f32_e64 v5, 0x42800000, |v4|
	s_and_not1_b32 s22, s22, exec_lo
	s_delay_alu instid0(VALU_DEP_1) | instskip(NEXT) | instid1(VALU_DEP_1)
	v_and_b32_e32 v5, 0xff, v5
	v_cmp_ne_u32_e64 s1, 0, v5
	s_and_b32 s1, s1, exec_lo
	s_delay_alu instid0(SALU_CYCLE_1)
	s_or_b32 s22, s22, s1
	s_or_b32 exec_lo, exec_lo, s23
	v_mov_b32_e32 v8, 0
	s_and_saveexec_b32 s1, s22
	s_cbranch_execnz .LBB251_1309
	s_branch .LBB251_1310
.LBB251_2701:
	s_and_not1_saveexec_b32 s23, s1
	s_cbranch_execz .LBB251_1328
.LBB251_2702:
	v_add_f32_e64 v5, 0x42800000, |v4|
	s_and_not1_b32 s22, s22, exec_lo
	s_delay_alu instid0(VALU_DEP_1) | instskip(NEXT) | instid1(VALU_DEP_1)
	v_and_b32_e32 v5, 0xff, v5
	v_cmp_ne_u32_e64 s1, 0, v5
	s_and_b32 s1, s1, exec_lo
	s_delay_alu instid0(SALU_CYCLE_1)
	s_or_b32 s22, s22, s1
	s_or_b32 exec_lo, exec_lo, s23
	v_mov_b32_e32 v8, 0
	s_and_saveexec_b32 s1, s22
	s_cbranch_execnz .LBB251_1329
	s_branch .LBB251_1330
.LBB251_2703:
	s_and_not1_saveexec_b32 s23, s1
	s_cbranch_execz .LBB251_1336
.LBB251_2704:
	v_add_f32_e64 v5, 0x42800000, |v4|
	s_and_not1_b32 s22, s22, exec_lo
	s_delay_alu instid0(VALU_DEP_1) | instskip(NEXT) | instid1(VALU_DEP_1)
	v_and_b32_e32 v5, 0xff, v5
	v_cmp_ne_u32_e64 s1, 0, v5
	s_and_b32 s1, s1, exec_lo
	s_delay_alu instid0(SALU_CYCLE_1)
	s_or_b32 s22, s22, s1
	s_or_b32 exec_lo, exec_lo, s23
	v_mov_b32_e32 v8, 0
	s_and_saveexec_b32 s1, s22
	s_cbranch_execnz .LBB251_1337
	s_branch .LBB251_1338
.LBB251_2705:
	s_and_not1_saveexec_b32 s23, s1
	s_cbranch_execz .LBB251_1358
.LBB251_2706:
	v_add_f32_e64 v5, 0x42800000, |v4|
	s_and_not1_b32 s22, s22, exec_lo
	s_delay_alu instid0(VALU_DEP_1) | instskip(NEXT) | instid1(VALU_DEP_1)
	v_and_b32_e32 v5, 0xff, v5
	v_cmp_ne_u32_e64 s1, 0, v5
	s_and_b32 s1, s1, exec_lo
	s_delay_alu instid0(SALU_CYCLE_1)
	s_or_b32 s22, s22, s1
	s_or_b32 exec_lo, exec_lo, s23
	v_mov_b32_e32 v8, 0
	s_and_saveexec_b32 s1, s22
	s_cbranch_execnz .LBB251_1359
	s_branch .LBB251_1360
.LBB251_2707:
	s_and_not1_saveexec_b32 s23, s1
	s_cbranch_execz .LBB251_1366
.LBB251_2708:
	v_add_f32_e64 v5, 0x42800000, |v4|
	s_and_not1_b32 s22, s22, exec_lo
	s_delay_alu instid0(VALU_DEP_1) | instskip(NEXT) | instid1(VALU_DEP_1)
	v_and_b32_e32 v5, 0xff, v5
	v_cmp_ne_u32_e64 s1, 0, v5
	s_and_b32 s1, s1, exec_lo
	s_delay_alu instid0(SALU_CYCLE_1)
	s_or_b32 s22, s22, s1
	s_or_b32 exec_lo, exec_lo, s23
	v_mov_b32_e32 v8, 0
	s_and_saveexec_b32 s1, s22
	s_cbranch_execnz .LBB251_1367
	s_branch .LBB251_1368
.LBB251_2709:
	s_and_not1_saveexec_b32 s25, s1
	s_cbranch_execz .LBB251_1466
.LBB251_2710:
	v_add_f32_e64 v4, 0x42800000, |v5|
	s_and_not1_b32 s24, s24, exec_lo
	s_delay_alu instid0(VALU_DEP_1) | instskip(NEXT) | instid1(VALU_DEP_1)
	v_and_b32_e32 v6, 0xff, v4
	v_cmp_ne_u32_e64 s1, 0, v6
	s_and_b32 s1, s1, exec_lo
	s_delay_alu instid0(SALU_CYCLE_1)
	s_or_b32 s24, s24, s1
	s_or_b32 exec_lo, exec_lo, s25
	v_mov_b32_e32 v4, 0
	s_and_saveexec_b32 s1, s24
	s_cbranch_execnz .LBB251_1467
	s_branch .LBB251_1468
.LBB251_2711:
	s_and_not1_saveexec_b32 s24, s1
	s_cbranch_execz .LBB251_1507
.LBB251_2712:
	v_add_f32_e64 v3, 0x42800000, |v2|
	s_and_not1_b32 s23, s23, exec_lo
	s_delay_alu instid0(VALU_DEP_1) | instskip(NEXT) | instid1(VALU_DEP_1)
	v_and_b32_e32 v3, 0xff, v3
	v_cmp_ne_u32_e64 s1, 0, v3
	s_and_b32 s1, s1, exec_lo
	s_delay_alu instid0(SALU_CYCLE_1)
	s_or_b32 s23, s23, s1
	s_or_b32 exec_lo, exec_lo, s24
	v_mov_b32_e32 v4, 0
	s_and_saveexec_b32 s1, s23
	s_cbranch_execnz .LBB251_1508
	s_branch .LBB251_1509
.LBB251_2713:
	s_and_not1_saveexec_b32 s24, s1
	s_cbranch_execz .LBB251_1535
.LBB251_2714:
	v_add_f32_e64 v3, 0x42800000, |v2|
	s_and_not1_b32 s23, s23, exec_lo
	s_delay_alu instid0(VALU_DEP_1) | instskip(NEXT) | instid1(VALU_DEP_1)
	v_and_b32_e32 v3, 0xff, v3
	v_cmp_ne_u32_e64 s1, 0, v3
	s_and_b32 s1, s1, exec_lo
	s_delay_alu instid0(SALU_CYCLE_1)
	s_or_b32 s23, s23, s1
	s_or_b32 exec_lo, exec_lo, s24
	v_mov_b32_e32 v4, 0
	s_and_saveexec_b32 s1, s23
	s_cbranch_execnz .LBB251_1536
	s_branch .LBB251_1537
.LBB251_2715:
	s_and_not1_saveexec_b32 s24, s1
	s_cbranch_execz .LBB251_1565
.LBB251_2716:
	v_add_f32_e64 v3, 0x42800000, |v2|
	s_and_not1_b32 s23, s23, exec_lo
	s_delay_alu instid0(VALU_DEP_1) | instskip(NEXT) | instid1(VALU_DEP_1)
	v_and_b32_e32 v3, 0xff, v3
	v_cmp_ne_u32_e64 s1, 0, v3
	s_and_b32 s1, s1, exec_lo
	s_delay_alu instid0(SALU_CYCLE_1)
	s_or_b32 s23, s23, s1
	s_or_b32 exec_lo, exec_lo, s24
	v_mov_b32_e32 v4, 0
	s_and_saveexec_b32 s1, s23
	s_cbranch_execnz .LBB251_1566
	s_branch .LBB251_1567
.LBB251_2717:
	s_and_not1_saveexec_b32 s24, s1
	s_cbranch_execz .LBB251_1575
.LBB251_2718:
	v_add_f32_e64 v3, 0x42800000, |v2|
	s_and_not1_b32 s23, s23, exec_lo
	s_delay_alu instid0(VALU_DEP_1) | instskip(NEXT) | instid1(VALU_DEP_1)
	v_and_b32_e32 v3, 0xff, v3
	v_cmp_ne_u32_e64 s1, 0, v3
	s_and_b32 s1, s1, exec_lo
	s_delay_alu instid0(SALU_CYCLE_1)
	s_or_b32 s23, s23, s1
	s_or_b32 exec_lo, exec_lo, s24
	v_mov_b32_e32 v4, 0
	s_and_saveexec_b32 s1, s23
	s_cbranch_execnz .LBB251_1576
	s_branch .LBB251_1577
.LBB251_2719:
	s_and_not1_saveexec_b32 s24, s1
	s_cbranch_execz .LBB251_1583
.LBB251_2720:
	v_add_f32_e32 v2, 0x42800000, v3
	s_and_not1_b32 s23, s23, exec_lo
	s_delay_alu instid0(VALU_DEP_1) | instskip(NEXT) | instid1(VALU_DEP_1)
	v_and_b32_e32 v2, 0xff, v2
	v_cmp_ne_u32_e64 s1, 0, v2
	s_and_b32 s1, s1, exec_lo
	s_delay_alu instid0(SALU_CYCLE_1)
	s_or_b32 s23, s23, s1
	s_or_b32 exec_lo, exec_lo, s24
	v_mov_b32_e32 v4, 0
	s_and_saveexec_b32 s1, s23
	s_cbranch_execnz .LBB251_1584
	s_branch .LBB251_1585
.LBB251_2721:
	s_and_not1_saveexec_b32 s23, s23
	s_cbranch_execz .LBB251_1908
.LBB251_2722:
	s_mov_b32 s24, exec_lo
	v_cmpx_lt_i16_e32 22, v7
	s_xor_b32 s24, exec_lo, s24
	s_cbranch_execz .LBB251_2754
; %bb.2723:
	s_mov_b32 s25, exec_lo
	v_cmpx_lt_i16_e32 23, v7
	s_xor_b32 s25, exec_lo, s25
	s_cbranch_execz .LBB251_2743
; %bb.2724:
	;; [unrolled: 5-line block ×3, first 2 shown]
	v_cndmask_b32_e64 v1, 0, 1.0, s18
	v_mov_b32_e32 v2, 0x80
	s_mov_b32 s27, exec_lo
	s_delay_alu instid0(VALU_DEP_2)
	v_cmpx_gt_u32_e32 0x47800000, v1
	s_cbranch_execz .LBB251_2731
; %bb.2726:
	s_mov_b32 s28, 0
	s_mov_b32 s29, exec_lo
                                        ; implicit-def: $vgpr0
	v_cmpx_lt_u32_e32 0x37ffffff, v1
	s_xor_b32 s29, exec_lo, s29
	s_cbranch_execz .LBB251_2814
; %bb.2727:
	v_bfe_u32 v0, v1, 21, 1
	s_mov_b32 s28, exec_lo
	s_delay_alu instid0(VALU_DEP_1) | instskip(NEXT) | instid1(VALU_DEP_1)
	v_add3_u32 v0, v1, v0, 0x88fffff
                                        ; implicit-def: $vgpr1
	v_lshrrev_b32_e32 v0, 21, v0
	s_and_not1_saveexec_b32 s29, s29
	s_cbranch_execnz .LBB251_2815
.LBB251_2728:
	s_or_b32 exec_lo, exec_lo, s29
	v_mov_b32_e32 v2, 0
	s_and_saveexec_b32 s29, s28
.LBB251_2729:
	v_mov_b32_e32 v2, v0
.LBB251_2730:
	s_or_b32 exec_lo, exec_lo, s29
.LBB251_2731:
	s_delay_alu instid0(SALU_CYCLE_1)
	s_or_b32 exec_lo, exec_lo, s27
	flat_store_b8 v[12:13], v2
.LBB251_2732:
	s_wait_xcnt 0x0
	s_and_not1_saveexec_b32 s26, s26
	s_cbranch_execz .LBB251_2742
; %bb.2733:
	v_cndmask_b32_e64 v1, 0, 1.0, s18
	s_mov_b32 s27, exec_lo
                                        ; implicit-def: $vgpr0
	s_delay_alu instid0(VALU_DEP_1)
	v_cmpx_gt_u32_e32 0x43f00000, v1
	s_xor_b32 s27, exec_lo, s27
	s_cbranch_execz .LBB251_2739
; %bb.2734:
	s_mov_b32 s28, exec_lo
                                        ; implicit-def: $vgpr0
	v_cmpx_lt_u32_e32 0x3c7fffff, v1
	s_xor_b32 s28, exec_lo, s28
; %bb.2735:
	v_bfe_u32 v0, v1, 20, 1
	s_delay_alu instid0(VALU_DEP_1) | instskip(NEXT) | instid1(VALU_DEP_1)
	v_add3_u32 v0, v1, v0, 0x407ffff
	v_and_b32_e32 v1, 0xff00000, v0
	v_lshrrev_b32_e32 v0, 20, v0
	s_delay_alu instid0(VALU_DEP_2) | instskip(NEXT) | instid1(VALU_DEP_2)
	v_cmp_ne_u32_e32 vcc_lo, 0x7f00000, v1
                                        ; implicit-def: $vgpr1
	v_cndmask_b32_e32 v0, 0x7e, v0, vcc_lo
; %bb.2736:
	s_and_not1_saveexec_b32 s28, s28
; %bb.2737:
	v_add_f32_e32 v0, 0x46800000, v1
; %bb.2738:
	s_or_b32 exec_lo, exec_lo, s28
                                        ; implicit-def: $vgpr1
.LBB251_2739:
	s_and_not1_saveexec_b32 s27, s27
; %bb.2740:
	v_mov_b32_e32 v0, 0x7f
	v_cmp_lt_u32_e32 vcc_lo, 0x7f800000, v1
	s_delay_alu instid0(VALU_DEP_2)
	v_cndmask_b32_e32 v0, 0x7e, v0, vcc_lo
; %bb.2741:
	s_or_b32 exec_lo, exec_lo, s27
	flat_store_b8 v[12:13], v0
.LBB251_2742:
	s_wait_xcnt 0x0
	s_or_b32 exec_lo, exec_lo, s26
.LBB251_2743:
	s_and_not1_saveexec_b32 s25, s25
	s_cbranch_execz .LBB251_2753
; %bb.2744:
	v_cndmask_b32_e64 v1, 0, 1.0, s18
	s_mov_b32 s26, exec_lo
                                        ; implicit-def: $vgpr0
	s_delay_alu instid0(VALU_DEP_1)
	v_cmpx_gt_u32_e32 0x47800000, v1
	s_xor_b32 s26, exec_lo, s26
	s_cbranch_execz .LBB251_2750
; %bb.2745:
	s_mov_b32 s27, exec_lo
                                        ; implicit-def: $vgpr0
	v_cmpx_lt_u32_e32 0x387fffff, v1
	s_xor_b32 s27, exec_lo, s27
; %bb.2746:
	v_bfe_u32 v0, v1, 21, 1
	s_delay_alu instid0(VALU_DEP_1) | instskip(NEXT) | instid1(VALU_DEP_1)
	v_add3_u32 v0, v1, v0, 0x80fffff
                                        ; implicit-def: $vgpr1
	v_lshrrev_b32_e32 v0, 21, v0
; %bb.2747:
	s_and_not1_saveexec_b32 s27, s27
; %bb.2748:
	v_add_f32_e32 v0, 0x43000000, v1
; %bb.2749:
	s_or_b32 exec_lo, exec_lo, s27
                                        ; implicit-def: $vgpr1
.LBB251_2750:
	s_and_not1_saveexec_b32 s26, s26
; %bb.2751:
	v_mov_b32_e32 v0, 0x7f
	v_cmp_lt_u32_e32 vcc_lo, 0x7f800000, v1
	s_delay_alu instid0(VALU_DEP_2)
	v_cndmask_b32_e32 v0, 0x7c, v0, vcc_lo
; %bb.2752:
	s_or_b32 exec_lo, exec_lo, s26
	flat_store_b8 v[12:13], v0
.LBB251_2753:
	s_wait_xcnt 0x0
	s_or_b32 exec_lo, exec_lo, s25
.LBB251_2754:
	s_or_saveexec_b32 s24, s24
	s_mov_b32 s25, 0
	s_mov_b32 s26, s0
	s_xor_b32 exec_lo, exec_lo, s24
	s_cbranch_execz .LBB251_2762
; %bb.2755:
	s_mov_b32 s25, s0
	s_mov_b32 s26, exec_lo
	v_cmpx_lt_i16_e32 14, v7
	s_xor_b32 s26, exec_lo, s26
	s_cbranch_execz .LBB251_2759
; %bb.2756:
	s_mov_b32 s27, -1
	s_mov_b32 s25, exec_lo
	v_cmpx_eq_u16_e32 15, v7
	s_cbranch_execz .LBB251_2758
; %bb.2757:
	v_cndmask_b32_e64 v0, 0, 1.0, s18
	s_xor_b32 s27, exec_lo, -1
	s_delay_alu instid0(VALU_DEP_1) | instskip(NEXT) | instid1(VALU_DEP_1)
	v_bfe_u32 v1, v0, 16, 1
	v_add3_u32 v0, v0, v1, 0x7fff
	flat_store_d16_hi_b16 v[12:13], v0
.LBB251_2758:
	s_wait_xcnt 0x0
	s_or_b32 exec_lo, exec_lo, s25
	s_delay_alu instid0(SALU_CYCLE_1) | instskip(SKIP_1) | instid1(SALU_CYCLE_1)
	s_and_not1_b32 s25, s0, exec_lo
	s_and_b32 s27, s27, exec_lo
	s_or_b32 s25, s25, s27
.LBB251_2759:
	s_or_saveexec_b32 s26, s26
	s_mov_b32 s27, 0
	s_xor_b32 exec_lo, exec_lo, s26
; %bb.2760:
	v_cmp_ne_u16_e32 vcc_lo, 11, v7
	s_and_not1_b32 s25, s25, exec_lo
	s_mov_b32 s27, exec_lo
	s_and_b32 s28, vcc_lo, exec_lo
	s_delay_alu instid0(SALU_CYCLE_1)
	s_or_b32 s25, s25, s28
; %bb.2761:
	s_or_b32 exec_lo, exec_lo, s26
	s_delay_alu instid0(SALU_CYCLE_1)
	s_and_not1_b32 s26, s0, exec_lo
	s_and_b32 s28, s25, exec_lo
	s_and_b32 s25, s27, exec_lo
	s_or_b32 s26, s26, s28
.LBB251_2762:
	s_or_b32 exec_lo, exec_lo, s24
	s_delay_alu instid0(SALU_CYCLE_1)
	s_and_not1_b32 s0, s0, exec_lo
	s_and_b32 s26, s26, exec_lo
	s_and_b32 s24, s25, exec_lo
	s_or_b32 s0, s0, s26
	s_or_b32 exec_lo, exec_lo, s23
	s_mov_b32 s25, s21
	s_and_saveexec_b32 s23, s0
	s_cbranch_execz .LBB251_1909
.LBB251_2763:
	s_and_not1_b32 s24, s24, exec_lo
	s_or_b32 s25, s21, exec_lo
	s_trap 2
	s_branch .LBB251_1909
.LBB251_2764:
	s_and_not1_saveexec_b32 s23, s1
	s_cbranch_execz .LBB251_2293
.LBB251_2765:
	v_add_f32_e64 v8, 0x42800000, |v7|
	s_and_not1_b32 s22, s22, exec_lo
	s_delay_alu instid0(VALU_DEP_1) | instskip(NEXT) | instid1(VALU_DEP_1)
	v_and_b32_e32 v9, 0xff, v8
	v_cmp_ne_u32_e64 s1, 0, v9
	s_and_b32 s1, s1, exec_lo
	s_delay_alu instid0(SALU_CYCLE_1)
	s_or_b32 s22, s22, s1
	s_or_b32 exec_lo, exec_lo, s23
	v_mov_b32_e32 v8, 0
	s_and_saveexec_b32 s1, s22
	s_cbranch_execnz .LBB251_2294
	s_branch .LBB251_2295
.LBB251_2766:
	s_and_not1_saveexec_b32 s24, s1
	s_cbranch_execz .LBB251_2313
.LBB251_2767:
	v_add_f32_e64 v8, 0x42800000, |v10|
	s_and_not1_b32 s23, s23, exec_lo
	s_delay_alu instid0(VALU_DEP_1) | instskip(NEXT) | instid1(VALU_DEP_1)
	v_and_b32_e32 v9, 0xff, v8
	v_cmp_ne_u32_e64 s1, 0, v9
	s_and_b32 s1, s1, exec_lo
	s_delay_alu instid0(SALU_CYCLE_1)
	s_or_b32 s23, s23, s1
	s_or_b32 exec_lo, exec_lo, s24
	v_mov_b32_e32 v8, 0
	s_and_saveexec_b32 s1, s23
	s_cbranch_execnz .LBB251_2314
	s_branch .LBB251_2315
.LBB251_2768:
	s_and_not1_saveexec_b32 s24, s1
	s_cbranch_execz .LBB251_2379
.LBB251_2769:
	v_add_f32_e64 v4, 0x42800000, |v5|
	s_and_not1_b32 s23, s23, exec_lo
	s_delay_alu instid0(VALU_DEP_1) | instskip(NEXT) | instid1(VALU_DEP_1)
	v_and_b32_e32 v6, 0xff, v4
	v_cmp_ne_u32_e64 s1, 0, v6
	s_and_b32 s1, s1, exec_lo
	s_delay_alu instid0(SALU_CYCLE_1)
	s_or_b32 s23, s23, s1
	s_or_b32 exec_lo, exec_lo, s24
	v_mov_b32_e32 v4, 0
	s_and_saveexec_b32 s1, s23
	s_cbranch_execnz .LBB251_2380
	s_branch .LBB251_2381
.LBB251_2770:
	s_and_not1_saveexec_b32 s23, s1
	s_cbranch_execz .LBB251_1220
.LBB251_2771:
	v_add_f32_e64 v8, 0x42800000, |v7|
	s_and_not1_b32 s22, s22, exec_lo
	s_delay_alu instid0(VALU_DEP_1) | instskip(NEXT) | instid1(VALU_DEP_1)
	v_and_b32_e32 v9, 0xff, v8
	v_cmp_ne_u32_e64 s1, 0, v9
	s_and_b32 s1, s1, exec_lo
	s_delay_alu instid0(SALU_CYCLE_1)
	s_or_b32 s22, s22, s1
	s_or_b32 exec_lo, exec_lo, s23
	v_mov_b32_e32 v8, 0
	s_and_saveexec_b32 s1, s22
	s_cbranch_execnz .LBB251_1221
	s_branch .LBB251_1222
.LBB251_2772:
	s_and_not1_saveexec_b32 s25, s1
	s_cbranch_execz .LBB251_1230
.LBB251_2773:
	v_add_f32_e32 v7, 0x42800000, v9
	s_and_not1_b32 s24, s24, exec_lo
	s_delay_alu instid0(VALU_DEP_1) | instskip(NEXT) | instid1(VALU_DEP_1)
	v_and_b32_e32 v7, 0xff, v7
	v_cmp_ne_u32_e64 s1, 0, v7
	s_and_b32 s1, s1, exec_lo
	s_delay_alu instid0(SALU_CYCLE_1)
	s_or_b32 s24, s24, s1
	s_or_b32 exec_lo, exec_lo, s25
	v_mov_b32_e32 v8, 0
	s_and_saveexec_b32 s1, s24
	s_cbranch_execnz .LBB251_1231
	s_branch .LBB251_1232
.LBB251_2774:
	s_and_not1_saveexec_b32 s26, s1
	s_cbranch_execz .LBB251_1431
.LBB251_2775:
	v_add_f32_e32 v4, 0x42800000, v6
	s_and_not1_b32 s25, s25, exec_lo
	s_delay_alu instid0(VALU_DEP_1) | instskip(NEXT) | instid1(VALU_DEP_1)
	v_and_b32_e32 v5, 0xff, v4
	v_cmp_ne_u32_e64 s1, 0, v5
	s_and_b32 s1, s1, exec_lo
	s_delay_alu instid0(SALU_CYCLE_1)
	s_or_b32 s25, s25, s1
	s_or_b32 exec_lo, exec_lo, s26
	v_mov_b32_e32 v4, 0
	s_and_saveexec_b32 s1, s25
	s_cbranch_execnz .LBB251_1432
	s_branch .LBB251_1433
.LBB251_2776:
	s_and_not1_saveexec_b32 s26, s1
	s_cbranch_execz .LBB251_1443
.LBB251_2777:
	v_add_f32_e32 v4, 0x42800000, v6
	s_and_not1_b32 s25, s25, exec_lo
	s_delay_alu instid0(VALU_DEP_1) | instskip(NEXT) | instid1(VALU_DEP_1)
	v_and_b32_e32 v5, 0xff, v4
	v_cmp_ne_u32_e64 s1, 0, v5
	s_and_b32 s1, s1, exec_lo
	s_delay_alu instid0(SALU_CYCLE_1)
	s_or_b32 s25, s25, s1
	s_or_b32 exec_lo, exec_lo, s26
	v_mov_b32_e32 v4, 0
	s_and_saveexec_b32 s1, s25
	s_cbranch_execnz .LBB251_1444
	s_branch .LBB251_1445
.LBB251_2778:
	s_and_not1_saveexec_b32 s26, s1
	s_cbranch_execz .LBB251_1451
.LBB251_2779:
	v_add_f32_e32 v4, 0x42800000, v6
	s_and_not1_b32 s25, s25, exec_lo
	s_delay_alu instid0(VALU_DEP_1) | instskip(NEXT) | instid1(VALU_DEP_1)
	v_and_b32_e32 v5, 0xff, v4
	v_cmp_ne_u32_e64 s1, 0, v5
	s_and_b32 s1, s1, exec_lo
	s_delay_alu instid0(SALU_CYCLE_1)
	s_or_b32 s25, s25, s1
	s_or_b32 exec_lo, exec_lo, s26
	v_mov_b32_e32 v4, 0
	s_and_saveexec_b32 s1, s25
	s_cbranch_execnz .LBB251_1452
	s_branch .LBB251_1453
.LBB251_2780:
	s_and_not1_saveexec_b32 s25, s1
	s_cbranch_execz .LBB251_1490
.LBB251_2781:
	v_add_f32_e64 v3, 0x42800000, |v2|
	s_and_not1_b32 s24, s24, exec_lo
	s_delay_alu instid0(VALU_DEP_1) | instskip(NEXT) | instid1(VALU_DEP_1)
	v_and_b32_e32 v3, 0xff, v3
	v_cmp_ne_u32_e64 s1, 0, v3
	s_and_b32 s1, s1, exec_lo
	s_delay_alu instid0(SALU_CYCLE_1)
	s_or_b32 s24, s24, s1
	s_or_b32 exec_lo, exec_lo, s25
	v_mov_b32_e32 v4, 0
	s_and_saveexec_b32 s1, s24
	s_cbranch_execnz .LBB251_1491
	s_branch .LBB251_1492
.LBB251_2782:
	s_and_not1_saveexec_b32 s25, s1
	s_cbranch_execz .LBB251_1498
.LBB251_2783:
	v_add_f32_e64 v3, 0x42800000, |v2|
	s_and_not1_b32 s24, s24, exec_lo
	s_delay_alu instid0(VALU_DEP_1) | instskip(NEXT) | instid1(VALU_DEP_1)
	v_and_b32_e32 v3, 0xff, v3
	v_cmp_ne_u32_e64 s1, 0, v3
	s_and_b32 s1, s1, exec_lo
	s_delay_alu instid0(SALU_CYCLE_1)
	s_or_b32 s24, s24, s1
	s_or_b32 exec_lo, exec_lo, s25
	v_mov_b32_e32 v4, 0
	s_and_saveexec_b32 s1, s24
	s_cbranch_execnz .LBB251_1499
	s_branch .LBB251_1500
.LBB251_2784:
	s_and_not1_saveexec_b32 s25, s1
	s_cbranch_execz .LBB251_1518
.LBB251_2785:
	v_add_f32_e64 v3, 0x42800000, |v2|
	s_and_not1_b32 s24, s24, exec_lo
	s_delay_alu instid0(VALU_DEP_1) | instskip(NEXT) | instid1(VALU_DEP_1)
	v_and_b32_e32 v3, 0xff, v3
	v_cmp_ne_u32_e64 s1, 0, v3
	s_and_b32 s1, s1, exec_lo
	s_delay_alu instid0(SALU_CYCLE_1)
	s_or_b32 s24, s24, s1
	s_or_b32 exec_lo, exec_lo, s25
	v_mov_b32_e32 v4, 0
	s_and_saveexec_b32 s1, s24
	s_cbranch_execnz .LBB251_1519
	s_branch .LBB251_1520
.LBB251_2786:
	s_and_not1_saveexec_b32 s25, s1
	s_cbranch_execz .LBB251_1526
.LBB251_2787:
	v_add_f32_e64 v3, 0x42800000, |v2|
	s_and_not1_b32 s24, s24, exec_lo
	s_delay_alu instid0(VALU_DEP_1) | instskip(NEXT) | instid1(VALU_DEP_1)
	v_and_b32_e32 v3, 0xff, v3
	v_cmp_ne_u32_e64 s1, 0, v3
	s_and_b32 s1, s1, exec_lo
	s_delay_alu instid0(SALU_CYCLE_1)
	s_or_b32 s24, s24, s1
	s_or_b32 exec_lo, exec_lo, s25
	v_mov_b32_e32 v4, 0
	s_and_saveexec_b32 s1, s24
	s_cbranch_execnz .LBB251_1527
	s_branch .LBB251_1528
.LBB251_2788:
	s_and_not1_saveexec_b32 s25, s1
	s_cbranch_execz .LBB251_1548
.LBB251_2789:
	v_add_f32_e64 v3, 0x42800000, |v2|
	s_and_not1_b32 s24, s24, exec_lo
	s_delay_alu instid0(VALU_DEP_1) | instskip(NEXT) | instid1(VALU_DEP_1)
	v_and_b32_e32 v3, 0xff, v3
	v_cmp_ne_u32_e64 s1, 0, v3
	s_and_b32 s1, s1, exec_lo
	s_delay_alu instid0(SALU_CYCLE_1)
	s_or_b32 s24, s24, s1
	s_or_b32 exec_lo, exec_lo, s25
	v_mov_b32_e32 v4, 0
	s_and_saveexec_b32 s1, s24
	s_cbranch_execnz .LBB251_1549
	s_branch .LBB251_1550
.LBB251_2790:
	s_and_not1_saveexec_b32 s25, s1
	s_cbranch_execz .LBB251_1556
.LBB251_2791:
	v_add_f32_e64 v3, 0x42800000, |v2|
	s_and_not1_b32 s24, s24, exec_lo
	s_delay_alu instid0(VALU_DEP_1) | instskip(NEXT) | instid1(VALU_DEP_1)
	v_and_b32_e32 v3, 0xff, v3
	v_cmp_ne_u32_e64 s1, 0, v3
	s_and_b32 s1, s1, exec_lo
	s_delay_alu instid0(SALU_CYCLE_1)
	s_or_b32 s24, s24, s1
	s_or_b32 exec_lo, exec_lo, s25
	v_mov_b32_e32 v4, 0
	s_and_saveexec_b32 s1, s24
	s_cbranch_execnz .LBB251_1557
	s_branch .LBB251_1558
.LBB251_2792:
	s_and_not1_saveexec_b32 s27, s0
	s_cbranch_execz .LBB251_1650
.LBB251_2793:
	v_add_f32_e32 v3, 0x46000000, v6
	s_and_not1_b32 s26, s26, exec_lo
	s_delay_alu instid0(VALU_DEP_1) | instskip(NEXT) | instid1(VALU_DEP_1)
	v_and_b32_e32 v3, 0xff, v3
	v_cmp_ne_u32_e64 s0, 0, v3
	s_and_b32 s0, s0, exec_lo
	s_delay_alu instid0(SALU_CYCLE_1)
	s_or_b32 s26, s26, s0
	s_or_b32 exec_lo, exec_lo, s27
	v_mov_b32_e32 v8, 0
	s_and_saveexec_b32 s0, s26
	s_cbranch_execnz .LBB251_1651
	s_branch .LBB251_1652
.LBB251_2794:
	s_and_not1_saveexec_b32 s25, s1
	s_cbranch_execz .LBB251_2370
.LBB251_2795:
	v_add_f32_e64 v4, 0x42800000, |v5|
	s_and_not1_b32 s24, s24, exec_lo
	s_delay_alu instid0(VALU_DEP_1) | instskip(NEXT) | instid1(VALU_DEP_1)
	v_and_b32_e32 v6, 0xff, v4
	v_cmp_ne_u32_e64 s1, 0, v6
	s_and_b32 s1, s1, exec_lo
	s_delay_alu instid0(SALU_CYCLE_1)
	s_or_b32 s24, s24, s1
	s_or_b32 exec_lo, exec_lo, s25
	v_mov_b32_e32 v4, 0
	s_and_saveexec_b32 s1, s24
	s_cbranch_execnz .LBB251_2371
	s_branch .LBB251_2372
.LBB251_2796:
	s_and_not1_saveexec_b32 s26, s1
	s_cbranch_execz .LBB251_2390
.LBB251_2797:
	v_add_f32_e64 v4, 0x42800000, |v7|
	s_and_not1_b32 s25, s25, exec_lo
	s_delay_alu instid0(VALU_DEP_1) | instskip(NEXT) | instid1(VALU_DEP_1)
	v_and_b32_e32 v6, 0xff, v4
	v_cmp_ne_u32_e64 s1, 0, v6
	s_and_b32 s1, s1, exec_lo
	s_delay_alu instid0(SALU_CYCLE_1)
	s_or_b32 s25, s25, s1
	s_or_b32 exec_lo, exec_lo, s26
	v_mov_b32_e32 v4, 0
	s_and_saveexec_b32 s1, s25
	s_cbranch_execnz .LBB251_2391
	s_branch .LBB251_2392
.LBB251_2798:
	s_and_not1_saveexec_b32 s25, s1
	s_cbranch_execz .LBB251_1410
.LBB251_2799:
	v_add_f32_e64 v4, 0x42800000, |v5|
	s_and_not1_b32 s24, s24, exec_lo
	s_delay_alu instid0(VALU_DEP_1) | instskip(NEXT) | instid1(VALU_DEP_1)
	v_and_b32_e32 v6, 0xff, v4
	v_cmp_ne_u32_e64 s1, 0, v6
	s_and_b32 s1, s1, exec_lo
	s_delay_alu instid0(SALU_CYCLE_1)
	s_or_b32 s24, s24, s1
	s_or_b32 exec_lo, exec_lo, s25
	v_mov_b32_e32 v4, 0
	s_and_saveexec_b32 s1, s24
	s_cbranch_execnz .LBB251_1411
	s_branch .LBB251_1412
.LBB251_2800:
	s_and_not1_saveexec_b32 s27, s1
	s_cbranch_execz .LBB251_1420
.LBB251_2801:
	v_add_f32_e32 v4, 0x42800000, v6
	s_and_not1_b32 s26, s26, exec_lo
	s_delay_alu instid0(VALU_DEP_1) | instskip(NEXT) | instid1(VALU_DEP_1)
	v_and_b32_e32 v5, 0xff, v4
	v_cmp_ne_u32_e64 s1, 0, v5
	s_and_b32 s1, s1, exec_lo
	s_delay_alu instid0(SALU_CYCLE_1)
	s_or_b32 s26, s26, s1
	s_or_b32 exec_lo, exec_lo, s27
	v_mov_b32_e32 v4, 0
	s_and_saveexec_b32 s1, s26
	s_cbranch_execnz .LBB251_1421
	s_branch .LBB251_1422
.LBB251_2802:
	s_and_not1_saveexec_b32 s28, s28
	s_cbranch_execz .LBB251_1734
.LBB251_2803:
	v_add_f32_e32 v3, 0x46000000, v8
	s_and_not1_b32 s27, s27, exec_lo
	s_delay_alu instid0(VALU_DEP_1) | instskip(NEXT) | instid1(VALU_DEP_1)
	v_and_b32_e32 v3, 0xff, v3
	v_cmp_ne_u32_e32 vcc_lo, 0, v3
	s_and_b32 s29, vcc_lo, exec_lo
	s_delay_alu instid0(SALU_CYCLE_1)
	s_or_b32 s27, s27, s29
	s_or_b32 exec_lo, exec_lo, s28
	v_mov_b32_e32 v9, 0
	s_and_saveexec_b32 s28, s27
	s_cbranch_execnz .LBB251_1735
	s_branch .LBB251_1736
.LBB251_2804:
	s_and_not1_saveexec_b32 s27, s0
	s_cbranch_execz .LBB251_2463
.LBB251_2805:
	v_add_f32_e32 v3, 0x42800000, v6
	s_and_not1_b32 s26, s26, exec_lo
	s_delay_alu instid0(VALU_DEP_1) | instskip(NEXT) | instid1(VALU_DEP_1)
	v_and_b32_e32 v3, 0xff, v3
	v_cmp_ne_u32_e64 s0, 0, v3
	s_and_b32 s0, s0, exec_lo
	s_delay_alu instid0(SALU_CYCLE_1)
	s_or_b32 s26, s26, s0
	s_or_b32 exec_lo, exec_lo, s27
	v_mov_b32_e32 v8, 0
	s_and_saveexec_b32 s0, s26
	s_cbranch_execnz .LBB251_2464
	s_branch .LBB251_2465
.LBB251_2806:
	s_and_not1_saveexec_b32 s29, s29
	s_cbranch_execz .LBB251_1818
.LBB251_2807:
	v_add_f32_e32 v3, 0x46000000, v8
	s_and_not1_b32 s28, s28, exec_lo
	s_delay_alu instid0(VALU_DEP_1) | instskip(NEXT) | instid1(VALU_DEP_1)
	v_and_b32_e32 v3, 0xff, v3
	v_cmp_ne_u32_e32 vcc_lo, 0, v3
	s_and_b32 s30, vcc_lo, exec_lo
	s_delay_alu instid0(SALU_CYCLE_1)
	s_or_b32 s28, s28, s30
	s_or_b32 exec_lo, exec_lo, s29
	v_mov_b32_e32 v9, 0
	s_and_saveexec_b32 s29, s28
	s_cbranch_execnz .LBB251_1819
	s_branch .LBB251_1820
.LBB251_2808:
	s_and_not1_saveexec_b32 s28, s28
	s_cbranch_execz .LBB251_2554
.LBB251_2809:
	v_add_f32_e32 v3, 0x42800000, v8
	s_and_not1_b32 s27, s27, exec_lo
	s_delay_alu instid0(VALU_DEP_1) | instskip(NEXT) | instid1(VALU_DEP_1)
	v_and_b32_e32 v3, 0xff, v3
	v_cmp_ne_u32_e32 vcc_lo, 0, v3
	s_and_b32 s29, vcc_lo, exec_lo
	s_delay_alu instid0(SALU_CYCLE_1)
	s_or_b32 s27, s27, s29
	s_or_b32 exec_lo, exec_lo, s28
	v_mov_b32_e32 v9, 0
	s_and_saveexec_b32 s28, s27
	s_cbranch_execnz .LBB251_2555
	s_branch .LBB251_2556
.LBB251_2810:
	s_and_not1_saveexec_b32 s29, s29
	s_cbranch_execz .LBB251_1902
.LBB251_2811:
	v_add_f32_e32 v0, 0x46000000, v1
	s_and_not1_b32 s28, s28, exec_lo
	s_delay_alu instid0(VALU_DEP_1) | instskip(NEXT) | instid1(VALU_DEP_1)
	v_and_b32_e32 v0, 0xff, v0
	v_cmp_ne_u32_e32 vcc_lo, 0, v0
	s_and_b32 s30, vcc_lo, exec_lo
	s_delay_alu instid0(SALU_CYCLE_1)
	s_or_b32 s28, s28, s30
	s_or_b32 exec_lo, exec_lo, s29
	v_mov_b32_e32 v2, 0
	s_and_saveexec_b32 s29, s28
	s_cbranch_execnz .LBB251_1903
	s_branch .LBB251_1904
.LBB251_2812:
	s_and_not1_saveexec_b32 s29, s29
	s_cbranch_execz .LBB251_2643
.LBB251_2813:
	v_add_f32_e32 v3, 0x42800000, v8
	s_and_not1_b32 s28, s28, exec_lo
	s_delay_alu instid0(VALU_DEP_1) | instskip(NEXT) | instid1(VALU_DEP_1)
	v_and_b32_e32 v3, 0xff, v3
	v_cmp_ne_u32_e32 vcc_lo, 0, v3
	s_and_b32 s30, vcc_lo, exec_lo
	s_delay_alu instid0(SALU_CYCLE_1)
	s_or_b32 s28, s28, s30
	s_or_b32 exec_lo, exec_lo, s29
	v_mov_b32_e32 v9, 0
	s_and_saveexec_b32 s29, s28
	s_cbranch_execnz .LBB251_2644
	s_branch .LBB251_2645
.LBB251_2814:
	s_and_not1_saveexec_b32 s29, s29
	s_cbranch_execz .LBB251_2728
.LBB251_2815:
	v_add_f32_e32 v0, 0x42800000, v1
	s_and_not1_b32 s28, s28, exec_lo
	s_delay_alu instid0(VALU_DEP_1) | instskip(NEXT) | instid1(VALU_DEP_1)
	v_and_b32_e32 v0, 0xff, v0
	v_cmp_ne_u32_e32 vcc_lo, 0, v0
	s_and_b32 s30, vcc_lo, exec_lo
	s_delay_alu instid0(SALU_CYCLE_1)
	s_or_b32 s28, s28, s30
	s_or_b32 exec_lo, exec_lo, s29
	v_mov_b32_e32 v2, 0
	s_and_saveexec_b32 s29, s28
	s_cbranch_execnz .LBB251_2729
	s_branch .LBB251_2730
	.section	.rodata,"a",@progbits
	.p2align	6, 0x0
	.amdhsa_kernel _ZN2at6native32elementwise_kernel_manual_unrollILi128ELi4EZNS0_15gpu_kernel_implINS0_13BinaryFunctorIN3c1015Float8_e5m2fnuzES5_bNS0_12_GLOBAL__N_116CompareEqFunctorIS5_EEEEEEvRNS_18TensorIteratorBaseERKT_EUlibE_EEviT1_
		.amdhsa_group_segment_fixed_size 0
		.amdhsa_private_segment_fixed_size 64
		.amdhsa_kernarg_size 56
		.amdhsa_user_sgpr_count 2
		.amdhsa_user_sgpr_dispatch_ptr 0
		.amdhsa_user_sgpr_queue_ptr 0
		.amdhsa_user_sgpr_kernarg_segment_ptr 1
		.amdhsa_user_sgpr_dispatch_id 0
		.amdhsa_user_sgpr_kernarg_preload_length 0
		.amdhsa_user_sgpr_kernarg_preload_offset 0
		.amdhsa_user_sgpr_private_segment_size 0
		.amdhsa_wavefront_size32 1
		.amdhsa_uses_dynamic_stack 0
		.amdhsa_enable_private_segment 1
		.amdhsa_system_sgpr_workgroup_id_x 1
		.amdhsa_system_sgpr_workgroup_id_y 0
		.amdhsa_system_sgpr_workgroup_id_z 0
		.amdhsa_system_sgpr_workgroup_info 0
		.amdhsa_system_vgpr_workitem_id 0
		.amdhsa_next_free_vgpr 28
		.amdhsa_next_free_sgpr 33
		.amdhsa_named_barrier_count 0
		.amdhsa_reserve_vcc 1
		.amdhsa_float_round_mode_32 0
		.amdhsa_float_round_mode_16_64 0
		.amdhsa_float_denorm_mode_32 3
		.amdhsa_float_denorm_mode_16_64 3
		.amdhsa_fp16_overflow 0
		.amdhsa_memory_ordered 1
		.amdhsa_forward_progress 1
		.amdhsa_inst_pref_size 255
		.amdhsa_round_robin_scheduling 0
		.amdhsa_exception_fp_ieee_invalid_op 0
		.amdhsa_exception_fp_denorm_src 0
		.amdhsa_exception_fp_ieee_div_zero 0
		.amdhsa_exception_fp_ieee_overflow 0
		.amdhsa_exception_fp_ieee_underflow 0
		.amdhsa_exception_fp_ieee_inexact 0
		.amdhsa_exception_int_div_zero 0
	.end_amdhsa_kernel
	.section	.text._ZN2at6native32elementwise_kernel_manual_unrollILi128ELi4EZNS0_15gpu_kernel_implINS0_13BinaryFunctorIN3c1015Float8_e5m2fnuzES5_bNS0_12_GLOBAL__N_116CompareEqFunctorIS5_EEEEEEvRNS_18TensorIteratorBaseERKT_EUlibE_EEviT1_,"axG",@progbits,_ZN2at6native32elementwise_kernel_manual_unrollILi128ELi4EZNS0_15gpu_kernel_implINS0_13BinaryFunctorIN3c1015Float8_e5m2fnuzES5_bNS0_12_GLOBAL__N_116CompareEqFunctorIS5_EEEEEEvRNS_18TensorIteratorBaseERKT_EUlibE_EEviT1_,comdat
.Lfunc_end251:
	.size	_ZN2at6native32elementwise_kernel_manual_unrollILi128ELi4EZNS0_15gpu_kernel_implINS0_13BinaryFunctorIN3c1015Float8_e5m2fnuzES5_bNS0_12_GLOBAL__N_116CompareEqFunctorIS5_EEEEEEvRNS_18TensorIteratorBaseERKT_EUlibE_EEviT1_, .Lfunc_end251-_ZN2at6native32elementwise_kernel_manual_unrollILi128ELi4EZNS0_15gpu_kernel_implINS0_13BinaryFunctorIN3c1015Float8_e5m2fnuzES5_bNS0_12_GLOBAL__N_116CompareEqFunctorIS5_EEEEEEvRNS_18TensorIteratorBaseERKT_EUlibE_EEviT1_
                                        ; -- End function
	.set _ZN2at6native32elementwise_kernel_manual_unrollILi128ELi4EZNS0_15gpu_kernel_implINS0_13BinaryFunctorIN3c1015Float8_e5m2fnuzES5_bNS0_12_GLOBAL__N_116CompareEqFunctorIS5_EEEEEEvRNS_18TensorIteratorBaseERKT_EUlibE_EEviT1_.num_vgpr, max(28, .L_ZN2at6native6invokeINS0_13BinaryFunctorIN3c1015Float8_e5m2fnuzES4_bNS0_12_GLOBAL__N_116CompareEqFunctorIS4_EEEEi15function_traitsIS8_EEENT1_11result_typeERKT_PrKPcPKT0_PKNS3_10ScalarTypeEi.num_vgpr)
	.set _ZN2at6native32elementwise_kernel_manual_unrollILi128ELi4EZNS0_15gpu_kernel_implINS0_13BinaryFunctorIN3c1015Float8_e5m2fnuzES5_bNS0_12_GLOBAL__N_116CompareEqFunctorIS5_EEEEEEvRNS_18TensorIteratorBaseERKT_EUlibE_EEviT1_.num_agpr, max(0, .L_ZN2at6native6invokeINS0_13BinaryFunctorIN3c1015Float8_e5m2fnuzES4_bNS0_12_GLOBAL__N_116CompareEqFunctorIS4_EEEEi15function_traitsIS8_EEENT1_11result_typeERKT_PrKPcPKT0_PKNS3_10ScalarTypeEi.num_agpr)
	.set _ZN2at6native32elementwise_kernel_manual_unrollILi128ELi4EZNS0_15gpu_kernel_implINS0_13BinaryFunctorIN3c1015Float8_e5m2fnuzES5_bNS0_12_GLOBAL__N_116CompareEqFunctorIS5_EEEEEEvRNS_18TensorIteratorBaseERKT_EUlibE_EEviT1_.numbered_sgpr, max(33, .L_ZN2at6native6invokeINS0_13BinaryFunctorIN3c1015Float8_e5m2fnuzES4_bNS0_12_GLOBAL__N_116CompareEqFunctorIS4_EEEEi15function_traitsIS8_EEENT1_11result_typeERKT_PrKPcPKT0_PKNS3_10ScalarTypeEi.numbered_sgpr)
	.set _ZN2at6native32elementwise_kernel_manual_unrollILi128ELi4EZNS0_15gpu_kernel_implINS0_13BinaryFunctorIN3c1015Float8_e5m2fnuzES5_bNS0_12_GLOBAL__N_116CompareEqFunctorIS5_EEEEEEvRNS_18TensorIteratorBaseERKT_EUlibE_EEviT1_.num_named_barrier, max(0, .L_ZN2at6native6invokeINS0_13BinaryFunctorIN3c1015Float8_e5m2fnuzES4_bNS0_12_GLOBAL__N_116CompareEqFunctorIS4_EEEEi15function_traitsIS8_EEENT1_11result_typeERKT_PrKPcPKT0_PKNS3_10ScalarTypeEi.num_named_barrier)
	.set _ZN2at6native32elementwise_kernel_manual_unrollILi128ELi4EZNS0_15gpu_kernel_implINS0_13BinaryFunctorIN3c1015Float8_e5m2fnuzES5_bNS0_12_GLOBAL__N_116CompareEqFunctorIS5_EEEEEEvRNS_18TensorIteratorBaseERKT_EUlibE_EEviT1_.private_seg_size, 64+max(.L_ZN2at6native6invokeINS0_13BinaryFunctorIN3c1015Float8_e5m2fnuzES4_bNS0_12_GLOBAL__N_116CompareEqFunctorIS4_EEEEi15function_traitsIS8_EEENT1_11result_typeERKT_PrKPcPKT0_PKNS3_10ScalarTypeEi.private_seg_size)
	.set _ZN2at6native32elementwise_kernel_manual_unrollILi128ELi4EZNS0_15gpu_kernel_implINS0_13BinaryFunctorIN3c1015Float8_e5m2fnuzES5_bNS0_12_GLOBAL__N_116CompareEqFunctorIS5_EEEEEEvRNS_18TensorIteratorBaseERKT_EUlibE_EEviT1_.uses_vcc, or(1, .L_ZN2at6native6invokeINS0_13BinaryFunctorIN3c1015Float8_e5m2fnuzES4_bNS0_12_GLOBAL__N_116CompareEqFunctorIS4_EEEEi15function_traitsIS8_EEENT1_11result_typeERKT_PrKPcPKT0_PKNS3_10ScalarTypeEi.uses_vcc)
	.set _ZN2at6native32elementwise_kernel_manual_unrollILi128ELi4EZNS0_15gpu_kernel_implINS0_13BinaryFunctorIN3c1015Float8_e5m2fnuzES5_bNS0_12_GLOBAL__N_116CompareEqFunctorIS5_EEEEEEvRNS_18TensorIteratorBaseERKT_EUlibE_EEviT1_.uses_flat_scratch, or(1, .L_ZN2at6native6invokeINS0_13BinaryFunctorIN3c1015Float8_e5m2fnuzES4_bNS0_12_GLOBAL__N_116CompareEqFunctorIS4_EEEEi15function_traitsIS8_EEENT1_11result_typeERKT_PrKPcPKT0_PKNS3_10ScalarTypeEi.uses_flat_scratch)
	.set _ZN2at6native32elementwise_kernel_manual_unrollILi128ELi4EZNS0_15gpu_kernel_implINS0_13BinaryFunctorIN3c1015Float8_e5m2fnuzES5_bNS0_12_GLOBAL__N_116CompareEqFunctorIS5_EEEEEEvRNS_18TensorIteratorBaseERKT_EUlibE_EEviT1_.has_dyn_sized_stack, or(0, .L_ZN2at6native6invokeINS0_13BinaryFunctorIN3c1015Float8_e5m2fnuzES4_bNS0_12_GLOBAL__N_116CompareEqFunctorIS4_EEEEi15function_traitsIS8_EEENT1_11result_typeERKT_PrKPcPKT0_PKNS3_10ScalarTypeEi.has_dyn_sized_stack)
	.set _ZN2at6native32elementwise_kernel_manual_unrollILi128ELi4EZNS0_15gpu_kernel_implINS0_13BinaryFunctorIN3c1015Float8_e5m2fnuzES5_bNS0_12_GLOBAL__N_116CompareEqFunctorIS5_EEEEEEvRNS_18TensorIteratorBaseERKT_EUlibE_EEviT1_.has_recursion, or(0, .L_ZN2at6native6invokeINS0_13BinaryFunctorIN3c1015Float8_e5m2fnuzES4_bNS0_12_GLOBAL__N_116CompareEqFunctorIS4_EEEEi15function_traitsIS8_EEENT1_11result_typeERKT_PrKPcPKT0_PKNS3_10ScalarTypeEi.has_recursion)
	.set _ZN2at6native32elementwise_kernel_manual_unrollILi128ELi4EZNS0_15gpu_kernel_implINS0_13BinaryFunctorIN3c1015Float8_e5m2fnuzES5_bNS0_12_GLOBAL__N_116CompareEqFunctorIS5_EEEEEEvRNS_18TensorIteratorBaseERKT_EUlibE_EEviT1_.has_indirect_call, or(0, .L_ZN2at6native6invokeINS0_13BinaryFunctorIN3c1015Float8_e5m2fnuzES4_bNS0_12_GLOBAL__N_116CompareEqFunctorIS4_EEEEi15function_traitsIS8_EEENT1_11result_typeERKT_PrKPcPKT0_PKNS3_10ScalarTypeEi.has_indirect_call)
	.section	.AMDGPU.csdata,"",@progbits
; Kernel info:
; codeLenInByte = 68220
; TotalNumSgprs: 35
; NumVgprs: 28
; ScratchSize: 64
; MemoryBound: 0
; FloatMode: 240
; IeeeMode: 1
; LDSByteSize: 0 bytes/workgroup (compile time only)
; SGPRBlocks: 0
; VGPRBlocks: 1
; NumSGPRsForWavesPerEU: 35
; NumVGPRsForWavesPerEU: 28
; NamedBarCnt: 0
; Occupancy: 16
; WaveLimiterHint : 1
; COMPUTE_PGM_RSRC2:SCRATCH_EN: 1
; COMPUTE_PGM_RSRC2:USER_SGPR: 2
; COMPUTE_PGM_RSRC2:TRAP_HANDLER: 0
; COMPUTE_PGM_RSRC2:TGID_X_EN: 1
; COMPUTE_PGM_RSRC2:TGID_Y_EN: 0
; COMPUTE_PGM_RSRC2:TGID_Z_EN: 0
; COMPUTE_PGM_RSRC2:TIDIG_COMP_CNT: 0
	.text
	.p2align	2                               ; -- Begin function _ZNK16OffsetCalculatorILi3EjLb0EE3getEj
	.type	_ZNK16OffsetCalculatorILi3EjLb0EE3getEj,@function
_ZNK16OffsetCalculatorILi3EjLb0EE3getEj: ; @_ZNK16OffsetCalculatorILi3EjLb0EE3getEj
; %bb.0:
	s_wait_loadcnt_dscnt 0x0
	s_wait_kmcnt 0x0
	flat_load_b32 v6, v[0:1]
	v_mov_b32_e32 v5, v2
	s_mov_b32 s0, exec_lo
                                        ; implicit-def: $vgpr2
                                        ; implicit-def: $vgpr4
                                        ; implicit-def: $vgpr3
	s_wait_loadcnt_dscnt 0x0
	v_add_nc_u32_e32 v7, -1, v6
	s_wait_xcnt 0x0
	s_delay_alu instid0(VALU_DEP_1)
	v_cmpx_lt_u32_e32 1, v7
	s_xor_b32 s0, exec_lo, s0
	s_cbranch_execnz .LBB252_3
; %bb.1:
	s_and_not1_saveexec_b32 s0, s0
	s_cbranch_execnz .LBB252_10
.LBB252_2:
	s_or_b32 exec_lo, exec_lo, s0
	s_delay_alu instid0(VALU_DEP_2)
	v_dual_mov_b32 v0, v3 :: v_dual_mov_b32 v1, v4
	s_set_pc_i64 s[30:31]
.LBB252_3:
	v_dual_mov_b32 v2, 0 :: v_dual_mov_b32 v4, 0
	v_mov_b32_e32 v3, 0
	s_mov_b32 s1, exec_lo
	v_cmpx_ne_u32_e32 0, v6
	s_cbranch_execz .LBB252_9
; %bb.4:
	v_min_u32_e32 v6, 15, v7
	s_mov_b64 s[2:3], 0xffffffffffffffe8
	v_mov_b32_e32 v3, 0
	v_add_nc_u64_e32 v[0:1], s[2:3], v[0:1]
	s_mov_b32 s2, 0
	v_dual_add_nc_u32 v2, 1, v6 :: v_dual_mov_b32 v4, 0
	s_delay_alu instid0(VALU_DEP_1)
	v_dual_mov_b32 v2, 0 :: v_dual_bitop2_b32 v7, 30, v2 bitop3:0x40
.LBB252_5:                              ; =>This Inner Loop Header: Depth=1
	s_clause 0x3
	flat_load_b128 v[8:11], v[0:1] offset:28
	flat_load_b64 v[16:17], v[0:1] offset:44
	flat_load_b128 v[12:15], v[0:1] offset:220
	flat_load_b64 v[18:19], v[0:1] offset:236
	s_wait_xcnt 0x0
	v_add_nc_u64_e32 v[0:1], 24, v[0:1]
	v_add_nc_u32_e32 v7, -2, v7
	s_delay_alu instid0(VALU_DEP_1) | instskip(SKIP_3) | instid1(VALU_DEP_1)
	v_cmp_eq_u32_e32 vcc_lo, 0, v7
	s_or_b32 s2, vcc_lo, s2
	s_wait_loadcnt_dscnt 0x303
	v_mul_hi_u32 v9, v9, v5
	v_add_nc_u32_e32 v9, v5, v9
	s_delay_alu instid0(VALU_DEP_1) | instskip(SKIP_1) | instid1(VALU_DEP_1)
	v_lshrrev_b32_e32 v9, v10, v9
	s_wait_loadcnt_dscnt 0x202
	v_mul_hi_u32 v10, v16, v9
	v_mul_lo_u32 v8, v9, v8
	s_delay_alu instid0(VALU_DEP_2) | instskip(NEXT) | instid1(VALU_DEP_2)
	v_add_nc_u32_e32 v10, v9, v10
	v_sub_nc_u32_e32 v8, v5, v8
	s_delay_alu instid0(VALU_DEP_2) | instskip(SKIP_1) | instid1(VALU_DEP_2)
	v_lshrrev_b32_e32 v5, v17, v10
	s_wait_loadcnt_dscnt 0x101
	v_mad_u32 v3, v12, v8, v3
	v_mad_u32 v2, v14, v8, v2
	;; [unrolled: 1-line block ×3, first 2 shown]
	v_mul_lo_u32 v10, v5, v11
	s_delay_alu instid0(VALU_DEP_1) | instskip(NEXT) | instid1(VALU_DEP_1)
	v_sub_nc_u32_e32 v8, v9, v10
	v_mad_u32 v3, v15, v8, v3
	s_wait_loadcnt_dscnt 0x0
	v_mad_u32 v2, v19, v8, v2
	v_mad_u32 v4, v18, v8, v4
	s_and_not1_b32 exec_lo, exec_lo, s2
	s_cbranch_execnz .LBB252_5
; %bb.6:
	s_or_b32 exec_lo, exec_lo, s2
	v_and_b32_e32 v6, 1, v6
	s_mov_b32 s2, exec_lo
	s_delay_alu instid0(VALU_DEP_1)
	v_cmpx_eq_u32_e32 0, v6
	s_cbranch_execz .LBB252_8
; %bb.7:
	s_clause 0x1
	flat_load_b96 v[6:8], v[0:1] offset:28
	flat_load_b96 v[10:12], v[0:1] offset:220
	s_wait_loadcnt_dscnt 0x101
	s_wait_xcnt 0x0
	v_mul_hi_u32 v0, v7, v5
	s_delay_alu instid0(VALU_DEP_1) | instskip(NEXT) | instid1(VALU_DEP_1)
	v_add_nc_u32_e32 v0, v5, v0
	v_lshrrev_b32_e32 v0, v8, v0
	s_delay_alu instid0(VALU_DEP_1) | instskip(NEXT) | instid1(VALU_DEP_1)
	v_mul_lo_u32 v0, v0, v6
	v_sub_nc_u32_e32 v0, v5, v0
	s_wait_loadcnt_dscnt 0x0
	s_delay_alu instid0(VALU_DEP_1)
	v_mad_u32 v3, v10, v0, v3
	v_mad_u32 v4, v11, v0, v4
	;; [unrolled: 1-line block ×3, first 2 shown]
.LBB252_8:
	s_or_b32 exec_lo, exec_lo, s2
.LBB252_9:
	s_delay_alu instid0(SALU_CYCLE_1)
	s_or_b32 exec_lo, exec_lo, s1
                                        ; implicit-def: $vgpr0_vgpr1
                                        ; implicit-def: $vgpr5
                                        ; implicit-def: $vgpr6
	s_and_not1_saveexec_b32 s0, s0
	s_cbranch_execz .LBB252_2
.LBB252_10:
	s_clause 0x1
	flat_load_b96 v[2:4], v[0:1] offset:4
	flat_load_b96 v[8:10], v[0:1] offset:196
	s_mov_b32 s1, exec_lo
	s_wait_loadcnt_dscnt 0x101
	v_mul_hi_u32 v3, v3, v5
	s_delay_alu instid0(VALU_DEP_1) | instskip(NEXT) | instid1(VALU_DEP_1)
	v_add_nc_u32_e32 v3, v5, v3
	v_lshrrev_b32_e32 v7, v4, v3
	s_delay_alu instid0(VALU_DEP_1) | instskip(NEXT) | instid1(VALU_DEP_1)
	v_mul_lo_u32 v2, v7, v2
	v_sub_nc_u32_e32 v4, v5, v2
	s_wait_loadcnt_dscnt 0x0
	s_delay_alu instid0(VALU_DEP_1)
	v_mul_lo_u32 v3, v8, v4
	v_mul_lo_u32 v2, v10, v4
	;; [unrolled: 1-line block ×3, first 2 shown]
	s_wait_xcnt 0x0
	v_cmpx_lt_u32_e32 1, v6
	s_cbranch_execz .LBB252_12
; %bb.11:
	s_clause 0x1
	flat_load_b96 v[8:10], v[0:1] offset:16
	flat_load_b96 v[12:14], v[0:1] offset:208
	s_wait_loadcnt_dscnt 0x101
	s_wait_xcnt 0x0
	v_mul_hi_u32 v0, v9, v7
	s_delay_alu instid0(VALU_DEP_1) | instskip(NEXT) | instid1(VALU_DEP_1)
	v_add_nc_u32_e32 v0, v7, v0
	v_lshrrev_b32_e32 v0, v10, v0
	s_delay_alu instid0(VALU_DEP_1) | instskip(NEXT) | instid1(VALU_DEP_1)
	v_mul_lo_u32 v0, v0, v8
	v_sub_nc_u32_e32 v0, v7, v0
	s_wait_loadcnt_dscnt 0x0
	s_delay_alu instid0(VALU_DEP_1)
	v_mad_u32 v3, v12, v0, v3
	v_mad_u32 v4, v13, v0, v4
	;; [unrolled: 1-line block ×3, first 2 shown]
.LBB252_12:
	s_or_b32 exec_lo, exec_lo, s1
	s_delay_alu instid0(SALU_CYCLE_1) | instskip(NEXT) | instid1(VALU_DEP_2)
	s_or_b32 exec_lo, exec_lo, s0
	v_dual_mov_b32 v0, v3 :: v_dual_mov_b32 v1, v4
	s_set_pc_i64 s[30:31]
.Lfunc_end252:
	.size	_ZNK16OffsetCalculatorILi3EjLb0EE3getEj, .Lfunc_end252-_ZNK16OffsetCalculatorILi3EjLb0EE3getEj
                                        ; -- End function
	.set .L_ZNK16OffsetCalculatorILi3EjLb0EE3getEj.num_vgpr, 20
	.set .L_ZNK16OffsetCalculatorILi3EjLb0EE3getEj.num_agpr, 0
	.set .L_ZNK16OffsetCalculatorILi3EjLb0EE3getEj.numbered_sgpr, 32
	.set .L_ZNK16OffsetCalculatorILi3EjLb0EE3getEj.num_named_barrier, 0
	.set .L_ZNK16OffsetCalculatorILi3EjLb0EE3getEj.private_seg_size, 0
	.set .L_ZNK16OffsetCalculatorILi3EjLb0EE3getEj.uses_vcc, 1
	.set .L_ZNK16OffsetCalculatorILi3EjLb0EE3getEj.uses_flat_scratch, 1
	.set .L_ZNK16OffsetCalculatorILi3EjLb0EE3getEj.has_dyn_sized_stack, 0
	.set .L_ZNK16OffsetCalculatorILi3EjLb0EE3getEj.has_recursion, 0
	.set .L_ZNK16OffsetCalculatorILi3EjLb0EE3getEj.has_indirect_call, 0
	.section	.AMDGPU.csdata,"",@progbits
; Function info:
; codeLenInByte = 776
; TotalNumSgprs: 34
; NumVgprs: 20
; ScratchSize: 0
; MemoryBound: 0
	.text
	.p2align	2                               ; -- Begin function _ZN2at6native6invokeINS0_13BinaryFunctorIN3c1015Float8_e5m2fnuzES4_bNS0_12_GLOBAL__N_116CompareEqFunctorIS4_EEEEj15function_traitsIS8_EEENT1_11result_typeERKT_PrKPcPKT0_PKNS3_10ScalarTypeEi
	.type	_ZN2at6native6invokeINS0_13BinaryFunctorIN3c1015Float8_e5m2fnuzES4_bNS0_12_GLOBAL__N_116CompareEqFunctorIS4_EEEEj15function_traitsIS8_EEENT1_11result_typeERKT_PrKPcPKT0_PKNS3_10ScalarTypeEi,@function
_ZN2at6native6invokeINS0_13BinaryFunctorIN3c1015Float8_e5m2fnuzES4_bNS0_12_GLOBAL__N_116CompareEqFunctorIS4_EEEEj15function_traitsIS8_EEENT1_11result_typeERKT_PrKPcPKT0_PKNS3_10ScalarTypeEi: ; @_ZN2at6native6invokeINS0_13BinaryFunctorIN3c1015Float8_e5m2fnuzES4_bNS0_12_GLOBAL__N_116CompareEqFunctorIS4_EEEEj15function_traitsIS8_EEENT1_11result_typeERKT_PrKPcPKT0_PKNS3_10ScalarTypeEi
; %bb.0:
	s_wait_loadcnt_dscnt 0x0
	s_wait_kmcnt 0x0
	v_dual_mov_b32 v7, v6 :: v_dual_mov_b32 v6, v5
	v_dual_mov_b32 v5, v4 :: v_dual_mov_b32 v4, v3
	;; [unrolled: 1-line block ×3, first 2 shown]
	flat_load_b64 v[8:9], v[2:3]
	flat_load_b32 v12, v[4:5]
	flat_load_u8 v10, v[6:7]
	v_mov_b32_e32 v13, 0
	s_mov_b32 s3, 0
	s_mov_b32 s0, 0
	s_mov_b32 s1, exec_lo
                                        ; implicit-def: $vgpr1
	s_wait_loadcnt_dscnt 0x101
	v_add_nc_u64_e32 v[8:9], v[8:9], v[12:13]
	s_wait_loadcnt_dscnt 0x0
	v_cmpx_lt_i16_e32 10, v10
	s_xor_b32 s1, exec_lo, s1
	s_cbranch_execz .LBB253_13
; %bb.1:
	s_mov_b32 s4, 0
	s_mov_b32 s2, exec_lo
                                        ; implicit-def: $vgpr1
	v_cmpx_lt_i16_e32 25, v10
	s_xor_b32 s2, exec_lo, s2
	s_cbranch_execnz .LBB253_268
; %bb.2:
	s_and_not1_saveexec_b32 s2, s2
	s_cbranch_execnz .LBB253_335
.LBB253_3:
	s_or_b32 exec_lo, exec_lo, s2
	s_mov_b32 s2, 0
	s_and_saveexec_b32 s5, s4
	s_cbranch_execnz .LBB253_372
.LBB253_4:
	s_or_b32 exec_lo, exec_lo, s5
	s_and_saveexec_b32 s4, s0
	s_delay_alu instid0(SALU_CYCLE_1)
	s_xor_b32 s0, exec_lo, s4
	s_cbranch_execz .LBB253_12
.LBB253_5:
	s_wait_loadcnt_dscnt 0x0
	flat_load_u8 v1, v[8:9]
	s_mov_b32 s5, 0
	s_mov_b32 s4, exec_lo
	s_wait_loadcnt_dscnt 0x0
	v_cmp_ne_u16_e32 vcc_lo, 0, v1
	v_mov_b32_e32 v1, 0x80
	s_wait_xcnt 0x0
	v_cndmask_b32_e64 v9, 0, 1.0, vcc_lo
	s_delay_alu instid0(VALU_DEP_1)
	v_cmpx_gt_u32_e32 0x47800000, v9
	s_cbranch_execz .LBB253_11
; %bb.6:
	s_mov_b32 s6, exec_lo
                                        ; implicit-def: $vgpr8
	v_cmpx_lt_u32_e32 0x37ffffff, v9
	s_xor_b32 s6, exec_lo, s6
	s_cbranch_execnz .LBB253_496
; %bb.7:
	s_and_not1_saveexec_b32 s6, s6
	s_cbranch_execnz .LBB253_497
.LBB253_8:
	s_or_b32 exec_lo, exec_lo, s6
	v_mov_b32_e32 v1, 0
	s_and_saveexec_b32 s6, s5
.LBB253_9:
	v_mov_b32_e32 v1, v8
.LBB253_10:
	s_or_b32 exec_lo, exec_lo, s6
.LBB253_11:
	s_delay_alu instid0(SALU_CYCLE_1) | instskip(NEXT) | instid1(SALU_CYCLE_1)
	s_or_b32 exec_lo, exec_lo, s4
	s_or_b32 s3, s3, exec_lo
.LBB253_12:
	s_or_b32 exec_lo, exec_lo, s0
	s_delay_alu instid0(SALU_CYCLE_1)
	s_and_b32 s0, s2, exec_lo
	s_and_b32 s3, s3, exec_lo
                                        ; implicit-def: $vgpr10
                                        ; implicit-def: $vgpr8_vgpr9
.LBB253_13:
	s_and_not1_saveexec_b32 s1, s1
	s_cbranch_execz .LBB253_121
; %bb.14:
	s_mov_b32 s2, exec_lo
                                        ; implicit-def: $vgpr1
	v_cmpx_lt_i16_e32 4, v10
	s_xor_b32 s2, exec_lo, s2
	s_cbranch_execz .LBB253_72
; %bb.15:
	s_mov_b32 s4, exec_lo
                                        ; implicit-def: $vgpr1
	v_cmpx_lt_i16_e32 7, v10
	s_xor_b32 s4, exec_lo, s4
	;; [unrolled: 6-line block ×4, first 2 shown]
	s_cbranch_execz .LBB253_25
; %bb.18:
	flat_load_b64 v[8:9], v[8:9]
	s_wait_loadcnt_dscnt 0x101
	v_mov_b32_e32 v1, 0x80
	s_mov_b32 s7, exec_lo
	s_wait_loadcnt_dscnt 0x0
	v_cvt_f32_f64_e32 v8, v[8:9]
	s_delay_alu instid0(VALU_DEP_1) | instskip(NEXT) | instid1(VALU_DEP_1)
	v_and_b32_e32 v9, 0x7fffffff, v8
	v_cmpx_gt_u32_e32 0x47800000, v9
	s_cbranch_execz .LBB253_24
; %bb.19:
	v_cmp_lt_u32_e32 vcc_lo, 0x37ffffff, v9
	s_mov_b32 s8, 0
                                        ; implicit-def: $vgpr9
	s_and_saveexec_b32 s9, vcc_lo
	s_delay_alu instid0(SALU_CYCLE_1)
	s_xor_b32 s9, exec_lo, s9
	s_cbranch_execnz .LBB253_530
; %bb.20:
	s_and_not1_saveexec_b32 s9, s9
	s_cbranch_execnz .LBB253_531
.LBB253_21:
	s_or_b32 exec_lo, exec_lo, s9
	v_mov_b32_e32 v1, 0
	s_and_saveexec_b32 s9, s8
.LBB253_22:
	v_lshrrev_b32_e32 v1, 24, v8
	s_delay_alu instid0(VALU_DEP_1)
	v_and_or_b32 v1, 0x80, v1, v9
.LBB253_23:
	s_or_b32 exec_lo, exec_lo, s9
.LBB253_24:
	s_delay_alu instid0(SALU_CYCLE_1)
	s_or_b32 exec_lo, exec_lo, s7
                                        ; implicit-def: $vgpr8_vgpr9
.LBB253_25:
	s_and_not1_saveexec_b32 s6, s6
	s_cbranch_execz .LBB253_33
; %bb.26:
	flat_load_b32 v8, v[8:9]
	s_wait_loadcnt_dscnt 0x101
	v_mov_b32_e32 v1, 0x80
	s_mov_b32 s7, exec_lo
	s_wait_loadcnt_dscnt 0x0
	v_and_b32_e32 v9, 0x7fffffff, v8
	s_delay_alu instid0(VALU_DEP_1)
	v_cmpx_gt_u32_e32 0x47800000, v9
	s_cbranch_execz .LBB253_32
; %bb.27:
	v_cmp_lt_u32_e32 vcc_lo, 0x37ffffff, v9
	s_mov_b32 s8, 0
                                        ; implicit-def: $vgpr9
	s_and_saveexec_b32 s9, vcc_lo
	s_delay_alu instid0(SALU_CYCLE_1)
	s_xor_b32 s9, exec_lo, s9
	s_cbranch_execnz .LBB253_532
; %bb.28:
	s_and_not1_saveexec_b32 s9, s9
	s_cbranch_execnz .LBB253_533
.LBB253_29:
	s_or_b32 exec_lo, exec_lo, s9
	v_mov_b32_e32 v1, 0
	s_and_saveexec_b32 s9, s8
.LBB253_30:
	v_lshrrev_b32_e32 v1, 24, v8
	s_delay_alu instid0(VALU_DEP_1)
	v_and_or_b32 v1, 0x80, v1, v9
.LBB253_31:
	s_or_b32 exec_lo, exec_lo, s9
.LBB253_32:
	s_delay_alu instid0(SALU_CYCLE_1)
	s_or_b32 exec_lo, exec_lo, s7
.LBB253_33:
	s_delay_alu instid0(SALU_CYCLE_1)
	s_or_b32 exec_lo, exec_lo, s6
                                        ; implicit-def: $vgpr8_vgpr9
.LBB253_34:
	s_and_not1_saveexec_b32 s5, s5
	s_cbranch_execz .LBB253_42
; %bb.35:
	s_wait_loadcnt_dscnt 0x0
	flat_load_b32 v1, v[8:9]
	s_mov_b32 s6, exec_lo
	s_wait_loadcnt_dscnt 0x0
	v_cvt_f32_f16_e32 v8, v1
	v_mov_b32_e32 v1, 0x80
	s_delay_alu instid0(VALU_DEP_2) | instskip(NEXT) | instid1(VALU_DEP_1)
	v_and_b32_e32 v9, 0x7fffffff, v8
	v_cmpx_gt_u32_e32 0x47800000, v9
	s_cbranch_execz .LBB253_41
; %bb.36:
	v_cmp_lt_u32_e32 vcc_lo, 0x37ffffff, v9
	s_mov_b32 s7, 0
                                        ; implicit-def: $vgpr9
	s_and_saveexec_b32 s8, vcc_lo
	s_delay_alu instid0(SALU_CYCLE_1)
	s_xor_b32 s8, exec_lo, s8
	s_cbranch_execnz .LBB253_502
; %bb.37:
	s_and_not1_saveexec_b32 s8, s8
	s_cbranch_execnz .LBB253_503
.LBB253_38:
	s_or_b32 exec_lo, exec_lo, s8
	v_mov_b32_e32 v1, 0
	s_and_saveexec_b32 s8, s7
.LBB253_39:
	v_lshrrev_b32_e32 v1, 24, v8
	s_delay_alu instid0(VALU_DEP_1)
	v_and_or_b32 v1, 0x80, v1, v9
.LBB253_40:
	s_or_b32 exec_lo, exec_lo, s8
.LBB253_41:
	s_delay_alu instid0(SALU_CYCLE_1)
	s_or_b32 exec_lo, exec_lo, s6
.LBB253_42:
	s_delay_alu instid0(SALU_CYCLE_1)
	s_or_b32 exec_lo, exec_lo, s5
                                        ; implicit-def: $vgpr10
                                        ; implicit-def: $vgpr8_vgpr9
.LBB253_43:
	s_and_not1_saveexec_b32 s4, s4
	s_cbranch_execz .LBB253_71
; %bb.44:
	s_mov_b32 s5, exec_lo
                                        ; implicit-def: $vgpr1
	v_cmpx_lt_i16_e32 5, v10
	s_xor_b32 s5, exec_lo, s5
	s_cbranch_execz .LBB253_62
; %bb.45:
	s_mov_b32 s6, exec_lo
                                        ; implicit-def: $vgpr1
	v_cmpx_lt_i16_e32 6, v10
	s_xor_b32 s6, exec_lo, s6
	s_cbranch_execz .LBB253_53
; %bb.46:
	flat_load_b64 v[8:9], v[8:9]
	s_wait_loadcnt_dscnt 0x101
	v_mov_b32_e32 v1, 0x80
	s_mov_b32 s7, exec_lo
	s_wait_loadcnt_dscnt 0x0
	v_cvt_f32_f64_e32 v8, v[8:9]
	s_delay_alu instid0(VALU_DEP_1) | instskip(NEXT) | instid1(VALU_DEP_1)
	v_and_b32_e32 v9, 0x7fffffff, v8
	v_cmpx_gt_u32_e32 0x47800000, v9
	s_cbranch_execz .LBB253_52
; %bb.47:
	v_cmp_lt_u32_e32 vcc_lo, 0x37ffffff, v9
	s_mov_b32 s8, 0
                                        ; implicit-def: $vgpr9
	s_and_saveexec_b32 s9, vcc_lo
	s_delay_alu instid0(SALU_CYCLE_1)
	s_xor_b32 s9, exec_lo, s9
	s_cbranch_execnz .LBB253_534
; %bb.48:
	s_and_not1_saveexec_b32 s9, s9
	s_cbranch_execnz .LBB253_535
.LBB253_49:
	s_or_b32 exec_lo, exec_lo, s9
	v_mov_b32_e32 v1, 0
	s_and_saveexec_b32 s9, s8
.LBB253_50:
	v_lshrrev_b32_e32 v1, 24, v8
	s_delay_alu instid0(VALU_DEP_1)
	v_and_or_b32 v1, 0x80, v1, v9
.LBB253_51:
	s_or_b32 exec_lo, exec_lo, s9
.LBB253_52:
	s_delay_alu instid0(SALU_CYCLE_1)
	s_or_b32 exec_lo, exec_lo, s7
                                        ; implicit-def: $vgpr8_vgpr9
.LBB253_53:
	s_and_not1_saveexec_b32 s6, s6
	s_cbranch_execz .LBB253_61
; %bb.54:
	flat_load_b32 v8, v[8:9]
	s_wait_loadcnt_dscnt 0x101
	v_mov_b32_e32 v1, 0x80
	s_mov_b32 s7, exec_lo
	s_wait_loadcnt_dscnt 0x0
	v_and_b32_e32 v9, 0x7fffffff, v8
	s_delay_alu instid0(VALU_DEP_1)
	v_cmpx_gt_u32_e32 0x47800000, v9
	s_cbranch_execz .LBB253_60
; %bb.55:
	v_cmp_lt_u32_e32 vcc_lo, 0x37ffffff, v9
	s_mov_b32 s8, 0
                                        ; implicit-def: $vgpr9
	s_and_saveexec_b32 s9, vcc_lo
	s_delay_alu instid0(SALU_CYCLE_1)
	s_xor_b32 s9, exec_lo, s9
	s_cbranch_execnz .LBB253_536
; %bb.56:
	s_and_not1_saveexec_b32 s9, s9
	s_cbranch_execnz .LBB253_537
.LBB253_57:
	s_or_b32 exec_lo, exec_lo, s9
	v_mov_b32_e32 v1, 0
	s_and_saveexec_b32 s9, s8
.LBB253_58:
	v_lshrrev_b32_e32 v1, 24, v8
	s_delay_alu instid0(VALU_DEP_1)
	v_and_or_b32 v1, 0x80, v1, v9
.LBB253_59:
	s_or_b32 exec_lo, exec_lo, s9
.LBB253_60:
	s_delay_alu instid0(SALU_CYCLE_1)
	s_or_b32 exec_lo, exec_lo, s7
.LBB253_61:
	s_delay_alu instid0(SALU_CYCLE_1)
	s_or_b32 exec_lo, exec_lo, s6
                                        ; implicit-def: $vgpr8_vgpr9
.LBB253_62:
	s_and_not1_saveexec_b32 s5, s5
	s_cbranch_execz .LBB253_70
; %bb.63:
	s_wait_loadcnt_dscnt 0x0
	flat_load_u16 v1, v[8:9]
	s_mov_b32 s6, exec_lo
	s_wait_loadcnt_dscnt 0x0
	v_cvt_f32_f16_e32 v8, v1
	v_mov_b32_e32 v1, 0x80
	s_delay_alu instid0(VALU_DEP_2) | instskip(NEXT) | instid1(VALU_DEP_1)
	v_and_b32_e32 v9, 0x7fffffff, v8
	v_cmpx_gt_u32_e32 0x47800000, v9
	s_cbranch_execz .LBB253_69
; %bb.64:
	v_cmp_lt_u32_e32 vcc_lo, 0x37ffffff, v9
	s_mov_b32 s7, 0
                                        ; implicit-def: $vgpr9
	s_and_saveexec_b32 s8, vcc_lo
	s_delay_alu instid0(SALU_CYCLE_1)
	s_xor_b32 s8, exec_lo, s8
	s_cbranch_execnz .LBB253_504
; %bb.65:
	s_and_not1_saveexec_b32 s8, s8
	s_cbranch_execnz .LBB253_505
.LBB253_66:
	s_or_b32 exec_lo, exec_lo, s8
	v_mov_b32_e32 v1, 0
	s_and_saveexec_b32 s8, s7
.LBB253_67:
	v_lshrrev_b32_e32 v1, 24, v8
	s_delay_alu instid0(VALU_DEP_1)
	v_and_or_b32 v1, 0x80, v1, v9
.LBB253_68:
	s_or_b32 exec_lo, exec_lo, s8
.LBB253_69:
	s_delay_alu instid0(SALU_CYCLE_1)
	s_or_b32 exec_lo, exec_lo, s6
.LBB253_70:
	s_delay_alu instid0(SALU_CYCLE_1)
	s_or_b32 exec_lo, exec_lo, s5
.LBB253_71:
	s_delay_alu instid0(SALU_CYCLE_1)
	s_or_b32 exec_lo, exec_lo, s4
                                        ; implicit-def: $vgpr10
                                        ; implicit-def: $vgpr8_vgpr9
.LBB253_72:
	s_and_not1_saveexec_b32 s2, s2
	s_cbranch_execz .LBB253_120
; %bb.73:
	s_mov_b32 s4, exec_lo
                                        ; implicit-def: $vgpr1
	v_cmpx_lt_i16_e32 1, v10
	s_xor_b32 s4, exec_lo, s4
	s_cbranch_execz .LBB253_101
; %bb.74:
	s_mov_b32 s5, exec_lo
                                        ; implicit-def: $vgpr1
	v_cmpx_lt_i16_e32 2, v10
	s_xor_b32 s5, exec_lo, s5
	;; [unrolled: 6-line block ×3, first 2 shown]
	s_cbranch_execz .LBB253_83
; %bb.76:
	flat_load_b64 v[8:9], v[8:9]
	s_mov_b32 s7, exec_lo
	s_wait_loadcnt_dscnt 0x0
	v_xor_b32_e32 v1, v8, v9
	v_cls_i32_e32 v10, v9
	s_delay_alu instid0(VALU_DEP_2) | instskip(NEXT) | instid1(VALU_DEP_1)
	v_ashrrev_i32_e32 v1, 31, v1
	v_add_nc_u32_e32 v1, 32, v1
	s_delay_alu instid0(VALU_DEP_1) | instskip(SKIP_1) | instid1(VALU_DEP_1)
	v_add_min_u32_e64 v1, v10, -1, v1
	s_wait_xcnt 0x0
	v_lshlrev_b64_e32 v[8:9], v1, v[8:9]
	v_sub_nc_u32_e32 v1, 32, v1
	s_delay_alu instid0(VALU_DEP_2) | instskip(NEXT) | instid1(VALU_DEP_1)
	v_min_u32_e32 v8, 1, v8
	v_or_b32_e32 v8, v9, v8
	s_delay_alu instid0(VALU_DEP_1) | instskip(NEXT) | instid1(VALU_DEP_1)
	v_cvt_f32_i32_e32 v8, v8
	v_ldexp_f32 v8, v8, v1
	v_mov_b32_e32 v1, 0x80
	s_delay_alu instid0(VALU_DEP_2) | instskip(NEXT) | instid1(VALU_DEP_1)
	v_and_b32_e32 v9, 0x7fffffff, v8
	v_cmpx_gt_u32_e32 0x47800000, v9
	s_cbranch_execz .LBB253_82
; %bb.77:
	v_cmp_lt_u32_e32 vcc_lo, 0x37ffffff, v9
	s_mov_b32 s8, 0
                                        ; implicit-def: $vgpr9
	s_and_saveexec_b32 s9, vcc_lo
	s_delay_alu instid0(SALU_CYCLE_1)
	s_xor_b32 s9, exec_lo, s9
	s_cbranch_execnz .LBB253_538
; %bb.78:
	s_and_not1_saveexec_b32 s9, s9
	s_cbranch_execnz .LBB253_539
.LBB253_79:
	s_or_b32 exec_lo, exec_lo, s9
	v_mov_b32_e32 v1, 0
	s_and_saveexec_b32 s9, s8
.LBB253_80:
	v_lshrrev_b32_e32 v1, 24, v8
	s_delay_alu instid0(VALU_DEP_1)
	v_and_or_b32 v1, 0x80, v1, v9
.LBB253_81:
	s_or_b32 exec_lo, exec_lo, s9
.LBB253_82:
	s_delay_alu instid0(SALU_CYCLE_1)
	s_or_b32 exec_lo, exec_lo, s7
                                        ; implicit-def: $vgpr8_vgpr9
.LBB253_83:
	s_and_not1_saveexec_b32 s6, s6
	s_cbranch_execz .LBB253_91
; %bb.84:
	s_wait_loadcnt_dscnt 0x0
	flat_load_b32 v1, v[8:9]
	s_mov_b32 s7, exec_lo
	s_wait_loadcnt_dscnt 0x0
	v_cvt_f32_i32_e32 v8, v1
	v_mov_b32_e32 v1, 0x80
	s_delay_alu instid0(VALU_DEP_2) | instskip(NEXT) | instid1(VALU_DEP_1)
	v_and_b32_e32 v9, 0x7fffffff, v8
	v_cmpx_gt_u32_e32 0x47800000, v9
	s_cbranch_execz .LBB253_90
; %bb.85:
	v_cmp_lt_u32_e32 vcc_lo, 0x37ffffff, v9
	s_mov_b32 s8, 0
                                        ; implicit-def: $vgpr9
	s_and_saveexec_b32 s9, vcc_lo
	s_delay_alu instid0(SALU_CYCLE_1)
	s_xor_b32 s9, exec_lo, s9
	s_cbranch_execnz .LBB253_540
; %bb.86:
	s_and_not1_saveexec_b32 s9, s9
	s_cbranch_execnz .LBB253_541
.LBB253_87:
	s_or_b32 exec_lo, exec_lo, s9
	v_mov_b32_e32 v1, 0
	s_and_saveexec_b32 s9, s8
.LBB253_88:
	v_lshrrev_b32_e32 v1, 24, v8
	s_delay_alu instid0(VALU_DEP_1)
	v_and_or_b32 v1, 0x80, v1, v9
.LBB253_89:
	s_or_b32 exec_lo, exec_lo, s9
.LBB253_90:
	s_delay_alu instid0(SALU_CYCLE_1)
	s_or_b32 exec_lo, exec_lo, s7
.LBB253_91:
	s_delay_alu instid0(SALU_CYCLE_1)
	s_or_b32 exec_lo, exec_lo, s6
                                        ; implicit-def: $vgpr8_vgpr9
.LBB253_92:
	s_and_not1_saveexec_b32 s5, s5
	s_cbranch_execz .LBB253_100
; %bb.93:
	s_wait_loadcnt_dscnt 0x0
	flat_load_i16 v1, v[8:9]
	s_mov_b32 s6, exec_lo
	s_wait_loadcnt_dscnt 0x0
	v_cvt_f32_i32_e32 v8, v1
	v_mov_b32_e32 v1, 0x80
	s_delay_alu instid0(VALU_DEP_2) | instskip(NEXT) | instid1(VALU_DEP_1)
	v_and_b32_e32 v9, 0x7fffffff, v8
	v_cmpx_gt_u32_e32 0x47800000, v9
	s_cbranch_execz .LBB253_99
; %bb.94:
	v_cmp_lt_u32_e32 vcc_lo, 0x37ffffff, v9
	s_mov_b32 s7, 0
                                        ; implicit-def: $vgpr9
	s_and_saveexec_b32 s8, vcc_lo
	s_delay_alu instid0(SALU_CYCLE_1)
	s_xor_b32 s8, exec_lo, s8
	s_cbranch_execnz .LBB253_506
; %bb.95:
	s_and_not1_saveexec_b32 s8, s8
	s_cbranch_execnz .LBB253_507
.LBB253_96:
	s_or_b32 exec_lo, exec_lo, s8
	v_mov_b32_e32 v1, 0
	s_and_saveexec_b32 s8, s7
.LBB253_97:
	v_lshrrev_b32_e32 v1, 24, v8
	s_delay_alu instid0(VALU_DEP_1)
	v_and_or_b32 v1, 0x80, v1, v9
.LBB253_98:
	s_or_b32 exec_lo, exec_lo, s8
.LBB253_99:
	s_delay_alu instid0(SALU_CYCLE_1)
	s_or_b32 exec_lo, exec_lo, s6
.LBB253_100:
	s_delay_alu instid0(SALU_CYCLE_1)
	s_or_b32 exec_lo, exec_lo, s5
                                        ; implicit-def: $vgpr10
                                        ; implicit-def: $vgpr8_vgpr9
.LBB253_101:
	s_and_not1_saveexec_b32 s4, s4
	s_cbranch_execz .LBB253_119
; %bb.102:
	s_mov_b32 s5, exec_lo
                                        ; implicit-def: $vgpr1
	v_cmpx_lt_i16_e32 0, v10
	s_xor_b32 s5, exec_lo, s5
	s_cbranch_execz .LBB253_110
; %bb.103:
	s_wait_loadcnt_dscnt 0x0
	flat_load_i8 v1, v[8:9]
	s_mov_b32 s6, exec_lo
	s_wait_loadcnt_dscnt 0x0
	v_cvt_f32_i32_e32 v8, v1
	v_mov_b32_e32 v1, 0x80
	s_delay_alu instid0(VALU_DEP_2) | instskip(NEXT) | instid1(VALU_DEP_1)
	v_and_b32_e32 v9, 0x7fffffff, v8
	v_cmpx_gt_u32_e32 0x47800000, v9
	s_cbranch_execz .LBB253_109
; %bb.104:
	v_cmp_lt_u32_e32 vcc_lo, 0x37ffffff, v9
	s_mov_b32 s7, 0
                                        ; implicit-def: $vgpr9
	s_and_saveexec_b32 s8, vcc_lo
	s_delay_alu instid0(SALU_CYCLE_1)
	s_xor_b32 s8, exec_lo, s8
	s_cbranch_execnz .LBB253_508
; %bb.105:
	s_and_not1_saveexec_b32 s8, s8
	s_cbranch_execnz .LBB253_509
.LBB253_106:
	s_or_b32 exec_lo, exec_lo, s8
	v_mov_b32_e32 v1, 0
	s_and_saveexec_b32 s8, s7
.LBB253_107:
	v_lshrrev_b32_e32 v1, 24, v8
	s_delay_alu instid0(VALU_DEP_1)
	v_and_or_b32 v1, 0x80, v1, v9
.LBB253_108:
	s_or_b32 exec_lo, exec_lo, s8
.LBB253_109:
	s_delay_alu instid0(SALU_CYCLE_1)
	s_or_b32 exec_lo, exec_lo, s6
                                        ; implicit-def: $vgpr8_vgpr9
.LBB253_110:
	s_and_not1_saveexec_b32 s5, s5
	s_cbranch_execz .LBB253_118
; %bb.111:
	s_wait_loadcnt_dscnt 0x0
	flat_load_u8 v1, v[8:9]
	s_mov_b32 s6, exec_lo
	s_wait_loadcnt_dscnt 0x0
	v_cvt_f32_ubyte0_e32 v9, v1
	v_mov_b32_e32 v1, 0x80
	s_delay_alu instid0(VALU_DEP_2)
	v_cmpx_gt_u32_e32 0x47800000, v9
	s_cbranch_execz .LBB253_117
; %bb.112:
	s_mov_b32 s7, 0
	s_mov_b32 s8, exec_lo
                                        ; implicit-def: $vgpr8
	v_cmpx_lt_u32_e32 0x37ffffff, v9
	s_xor_b32 s8, exec_lo, s8
	s_cbranch_execnz .LBB253_510
; %bb.113:
	s_and_not1_saveexec_b32 s8, s8
	s_cbranch_execnz .LBB253_511
.LBB253_114:
	s_or_b32 exec_lo, exec_lo, s8
	v_mov_b32_e32 v1, 0
	s_and_saveexec_b32 s8, s7
.LBB253_115:
	v_mov_b32_e32 v1, v8
.LBB253_116:
	s_or_b32 exec_lo, exec_lo, s8
.LBB253_117:
	s_delay_alu instid0(SALU_CYCLE_1)
	s_or_b32 exec_lo, exec_lo, s6
.LBB253_118:
	s_delay_alu instid0(SALU_CYCLE_1)
	s_or_b32 exec_lo, exec_lo, s5
.LBB253_119:
	s_delay_alu instid0(SALU_CYCLE_1)
	s_or_b32 exec_lo, exec_lo, s4
.LBB253_120:
	s_delay_alu instid0(SALU_CYCLE_1) | instskip(NEXT) | instid1(SALU_CYCLE_1)
	s_or_b32 exec_lo, exec_lo, s2
	s_or_b32 s3, s3, exec_lo
.LBB253_121:
	s_or_b32 exec_lo, exec_lo, s1
	s_mov_b32 s5, 0
	s_mov_b32 s4, 0
	;; [unrolled: 1-line block ×3, first 2 shown]
                                        ; implicit-def: $vgpr10
                                        ; implicit-def: $vgpr8_vgpr9
                                        ; implicit-def: $vgpr11
	s_and_saveexec_b32 s1, s3
	s_cbranch_execnz .LBB253_127
; %bb.122:
	s_or_b32 exec_lo, exec_lo, s1
	s_and_saveexec_b32 s1, s0
	s_cbranch_execnz .LBB253_133
.LBB253_123:
	s_or_b32 exec_lo, exec_lo, s1
	s_and_saveexec_b32 s0, s5
	s_delay_alu instid0(SALU_CYCLE_1)
	s_xor_b32 s0, exec_lo, s0
	s_cbranch_execnz .LBB253_134
.LBB253_124:
	s_or_b32 exec_lo, exec_lo, s0
	s_and_saveexec_b32 s0, s4
	s_cbranch_execnz .LBB253_141
.LBB253_125:
	s_or_b32 exec_lo, exec_lo, s0
                                        ; implicit-def: $sgpr1
	s_and_saveexec_b32 s0, s2
	s_cbranch_execnz .LBB253_248
.LBB253_126:
	s_or_b32 exec_lo, exec_lo, s0
	s_delay_alu instid0(VALU_DEP_1)
	v_cndmask_b32_e64 v0, 0, 1, s1
	s_wait_loadcnt_dscnt 0x0
	s_set_pc_i64 s[30:31]
.LBB253_127:
	flat_load_b64 v[8:9], v[2:3] offset:8
	flat_load_b32 v12, v[4:5] offset:4
	flat_load_u8 v10, v[6:7] offset:1
	v_mov_b32_e32 v13, 0
	s_mov_b32 s4, -1
	s_mov_b32 s3, 0
	s_mov_b32 s5, s0
	;; [unrolled: 1-line block ×3, first 2 shown]
	s_mov_b32 s2, exec_lo
                                        ; implicit-def: $vgpr11
	s_wait_loadcnt_dscnt 0x101
	v_add_nc_u64_e32 v[8:9], v[8:9], v[12:13]
	s_wait_loadcnt_dscnt 0x0
	v_cmpx_lt_i16_e32 10, v10
	s_cbranch_execz .LBB253_132
; %bb.128:
	s_mov_b32 s5, 0
	s_mov_b32 s4, exec_lo
                                        ; implicit-def: $vgpr11
	v_cmpx_lt_i16_e32 25, v10
	s_xor_b32 s4, exec_lo, s4
	s_cbranch_execnz .LBB253_373
; %bb.129:
	s_and_not1_saveexec_b32 s4, s4
	s_cbranch_execnz .LBB253_440
.LBB253_130:
	s_or_b32 exec_lo, exec_lo, s4
	s_mov_b32 s7, s0
	s_and_saveexec_b32 s4, s6
	s_cbranch_execnz .LBB253_477
.LBB253_131:
	s_or_b32 exec_lo, exec_lo, s4
	s_delay_alu instid0(SALU_CYCLE_1)
	s_and_b32 s6, s5, exec_lo
	s_and_not1_b32 s5, s0, exec_lo
	s_and_b32 s7, s7, exec_lo
	s_xor_b32 s4, exec_lo, -1
	s_and_b32 s3, s3, exec_lo
	s_or_b32 s5, s5, s7
.LBB253_132:
	s_or_b32 exec_lo, exec_lo, s2
	s_delay_alu instid0(SALU_CYCLE_1)
	s_and_b32 s2, s6, exec_lo
	s_and_not1_b32 s0, s0, exec_lo
	s_and_b32 s6, s5, exec_lo
	s_and_b32 s4, s4, exec_lo
	;; [unrolled: 1-line block ×3, first 2 shown]
	s_or_b32 s0, s0, s6
	s_or_b32 exec_lo, exec_lo, s1
	s_and_saveexec_b32 s1, s0
	s_cbranch_execz .LBB253_123
.LBB253_133:
	; divergent unreachable
	s_or_b32 exec_lo, exec_lo, s1
	s_and_saveexec_b32 s0, s5
	s_delay_alu instid0(SALU_CYCLE_1)
	s_xor_b32 s0, exec_lo, s0
	s_cbranch_execz .LBB253_124
.LBB253_134:
	flat_load_u8 v2, v[8:9]
	s_wait_loadcnt_dscnt 0x101
	v_mov_b32_e32 v11, 0x80
	s_mov_b32 s3, 0
	s_mov_b32 s1, exec_lo
	s_wait_loadcnt_dscnt 0x0
	v_cmp_ne_u16_e32 vcc_lo, 0, v2
	v_cndmask_b32_e64 v3, 0, 1.0, vcc_lo
	s_wait_xcnt 0x0
	s_delay_alu instid0(VALU_DEP_1)
	v_cmpx_gt_u32_e32 0x47800000, v3
	s_cbranch_execz .LBB253_140
; %bb.135:
	s_mov_b32 s5, exec_lo
                                        ; implicit-def: $vgpr2
	v_cmpx_lt_u32_e32 0x37ffffff, v3
	s_xor_b32 s5, exec_lo, s5
	s_cbranch_execnz .LBB253_478
; %bb.136:
	s_and_not1_saveexec_b32 s5, s5
	s_cbranch_execnz .LBB253_479
.LBB253_137:
	s_or_b32 exec_lo, exec_lo, s5
	v_mov_b32_e32 v11, 0
	s_and_saveexec_b32 s5, s3
.LBB253_138:
	v_mov_b32_e32 v11, v2
.LBB253_139:
	s_or_b32 exec_lo, exec_lo, s5
.LBB253_140:
	s_delay_alu instid0(SALU_CYCLE_1) | instskip(NEXT) | instid1(SALU_CYCLE_1)
	s_or_b32 exec_lo, exec_lo, s1
	s_or_b32 s2, s2, exec_lo
	s_or_b32 exec_lo, exec_lo, s0
	s_and_saveexec_b32 s0, s4
	s_cbranch_execz .LBB253_125
.LBB253_141:
	s_mov_b32 s1, exec_lo
                                        ; implicit-def: $vgpr11
	v_cmpx_lt_i16_e32 4, v10
	s_xor_b32 s1, exec_lo, s1
	s_cbranch_execz .LBB253_199
; %bb.142:
	s_mov_b32 s3, exec_lo
                                        ; implicit-def: $vgpr11
	v_cmpx_lt_i16_e32 7, v10
	s_xor_b32 s3, exec_lo, s3
	s_cbranch_execz .LBB253_170
; %bb.143:
	s_mov_b32 s4, exec_lo
                                        ; implicit-def: $vgpr11
	v_cmpx_lt_i16_e32 8, v10
	s_xor_b32 s4, exec_lo, s4
	s_cbranch_execz .LBB253_161
; %bb.144:
	s_mov_b32 s5, exec_lo
                                        ; implicit-def: $vgpr11
	v_cmpx_lt_i16_e32 9, v10
	s_xor_b32 s5, exec_lo, s5
	s_cbranch_execz .LBB253_152
; %bb.145:
	flat_load_b64 v[2:3], v[8:9]
	s_wait_loadcnt_dscnt 0x101
	v_mov_b32_e32 v11, 0x80
	s_mov_b32 s6, exec_lo
	s_wait_loadcnt_dscnt 0x0
	v_cvt_f32_f64_e32 v2, v[2:3]
	s_delay_alu instid0(VALU_DEP_1) | instskip(SKIP_1) | instid1(VALU_DEP_1)
	v_and_b32_e32 v3, 0x7fffffff, v2
	s_wait_xcnt 0x0
	v_cmpx_gt_u32_e32 0x47800000, v3
	s_cbranch_execz .LBB253_151
; %bb.146:
	v_cmp_lt_u32_e32 vcc_lo, 0x37ffffff, v3
	s_mov_b32 s7, 0
                                        ; implicit-def: $vgpr3
	s_and_saveexec_b32 s8, vcc_lo
	s_delay_alu instid0(SALU_CYCLE_1)
	s_xor_b32 s8, exec_lo, s8
	s_cbranch_execnz .LBB253_542
; %bb.147:
	s_and_not1_saveexec_b32 s8, s8
	s_cbranch_execnz .LBB253_543
.LBB253_148:
	s_or_b32 exec_lo, exec_lo, s8
	v_mov_b32_e32 v11, 0
	s_and_saveexec_b32 s8, s7
.LBB253_149:
	v_lshrrev_b32_e32 v2, 24, v2
	s_delay_alu instid0(VALU_DEP_1)
	v_and_or_b32 v11, 0x80, v2, v3
.LBB253_150:
	s_or_b32 exec_lo, exec_lo, s8
.LBB253_151:
	s_delay_alu instid0(SALU_CYCLE_1)
	s_or_b32 exec_lo, exec_lo, s6
                                        ; implicit-def: $vgpr8_vgpr9
.LBB253_152:
	s_and_not1_saveexec_b32 s5, s5
	s_cbranch_execz .LBB253_160
; %bb.153:
	flat_load_b32 v2, v[8:9]
	s_wait_loadcnt_dscnt 0x101
	v_mov_b32_e32 v11, 0x80
	s_mov_b32 s6, exec_lo
	s_wait_loadcnt_dscnt 0x0
	v_and_b32_e32 v3, 0x7fffffff, v2
	s_wait_xcnt 0x0
	s_delay_alu instid0(VALU_DEP_1)
	v_cmpx_gt_u32_e32 0x47800000, v3
	s_cbranch_execz .LBB253_159
; %bb.154:
	v_cmp_lt_u32_e32 vcc_lo, 0x37ffffff, v3
	s_mov_b32 s7, 0
                                        ; implicit-def: $vgpr3
	s_and_saveexec_b32 s8, vcc_lo
	s_delay_alu instid0(SALU_CYCLE_1)
	s_xor_b32 s8, exec_lo, s8
	s_cbranch_execnz .LBB253_544
; %bb.155:
	s_and_not1_saveexec_b32 s8, s8
	s_cbranch_execnz .LBB253_545
.LBB253_156:
	s_or_b32 exec_lo, exec_lo, s8
	v_mov_b32_e32 v11, 0
	s_and_saveexec_b32 s8, s7
.LBB253_157:
	v_lshrrev_b32_e32 v2, 24, v2
	s_delay_alu instid0(VALU_DEP_1)
	v_and_or_b32 v11, 0x80, v2, v3
.LBB253_158:
	s_or_b32 exec_lo, exec_lo, s8
.LBB253_159:
	s_delay_alu instid0(SALU_CYCLE_1)
	s_or_b32 exec_lo, exec_lo, s6
.LBB253_160:
	s_delay_alu instid0(SALU_CYCLE_1)
	s_or_b32 exec_lo, exec_lo, s5
                                        ; implicit-def: $vgpr8_vgpr9
.LBB253_161:
	s_and_not1_saveexec_b32 s4, s4
	s_cbranch_execz .LBB253_169
; %bb.162:
	flat_load_b32 v2, v[8:9]
	s_wait_loadcnt_dscnt 0x101
	v_mov_b32_e32 v11, 0x80
	s_mov_b32 s5, exec_lo
	s_wait_loadcnt_dscnt 0x0
	v_cvt_f32_f16_e32 v2, v2
	s_delay_alu instid0(VALU_DEP_1) | instskip(SKIP_1) | instid1(VALU_DEP_1)
	v_and_b32_e32 v3, 0x7fffffff, v2
	s_wait_xcnt 0x0
	v_cmpx_gt_u32_e32 0x47800000, v3
	s_cbranch_execz .LBB253_168
; %bb.163:
	v_cmp_lt_u32_e32 vcc_lo, 0x37ffffff, v3
	s_mov_b32 s6, 0
                                        ; implicit-def: $vgpr3
	s_and_saveexec_b32 s7, vcc_lo
	s_delay_alu instid0(SALU_CYCLE_1)
	s_xor_b32 s7, exec_lo, s7
	s_cbranch_execnz .LBB253_512
; %bb.164:
	s_and_not1_saveexec_b32 s7, s7
	s_cbranch_execnz .LBB253_513
.LBB253_165:
	s_or_b32 exec_lo, exec_lo, s7
	v_mov_b32_e32 v11, 0
	s_and_saveexec_b32 s7, s6
.LBB253_166:
	v_lshrrev_b32_e32 v2, 24, v2
	s_delay_alu instid0(VALU_DEP_1)
	v_and_or_b32 v11, 0x80, v2, v3
.LBB253_167:
	s_or_b32 exec_lo, exec_lo, s7
.LBB253_168:
	s_delay_alu instid0(SALU_CYCLE_1)
	s_or_b32 exec_lo, exec_lo, s5
.LBB253_169:
	s_delay_alu instid0(SALU_CYCLE_1)
	s_or_b32 exec_lo, exec_lo, s4
                                        ; implicit-def: $vgpr8_vgpr9
.LBB253_170:
	s_and_not1_saveexec_b32 s3, s3
	s_cbranch_execz .LBB253_198
; %bb.171:
	s_mov_b32 s4, exec_lo
                                        ; implicit-def: $vgpr11
	v_cmpx_lt_i16_e32 5, v10
	s_xor_b32 s4, exec_lo, s4
	s_cbranch_execz .LBB253_189
; %bb.172:
	s_mov_b32 s5, exec_lo
                                        ; implicit-def: $vgpr11
	v_cmpx_lt_i16_e32 6, v10
	s_xor_b32 s5, exec_lo, s5
	s_cbranch_execz .LBB253_180
; %bb.173:
	flat_load_b64 v[2:3], v[8:9]
	s_wait_loadcnt_dscnt 0x101
	v_mov_b32_e32 v11, 0x80
	s_mov_b32 s6, exec_lo
	s_wait_loadcnt_dscnt 0x0
	v_cvt_f32_f64_e32 v2, v[2:3]
	s_delay_alu instid0(VALU_DEP_1) | instskip(SKIP_1) | instid1(VALU_DEP_1)
	v_and_b32_e32 v3, 0x7fffffff, v2
	s_wait_xcnt 0x0
	v_cmpx_gt_u32_e32 0x47800000, v3
	s_cbranch_execz .LBB253_179
; %bb.174:
	v_cmp_lt_u32_e32 vcc_lo, 0x37ffffff, v3
	s_mov_b32 s7, 0
                                        ; implicit-def: $vgpr3
	s_and_saveexec_b32 s8, vcc_lo
	s_delay_alu instid0(SALU_CYCLE_1)
	s_xor_b32 s8, exec_lo, s8
	s_cbranch_execnz .LBB253_546
; %bb.175:
	s_and_not1_saveexec_b32 s8, s8
	s_cbranch_execnz .LBB253_547
.LBB253_176:
	s_or_b32 exec_lo, exec_lo, s8
	v_mov_b32_e32 v11, 0
	s_and_saveexec_b32 s8, s7
.LBB253_177:
	v_lshrrev_b32_e32 v2, 24, v2
	s_delay_alu instid0(VALU_DEP_1)
	v_and_or_b32 v11, 0x80, v2, v3
.LBB253_178:
	s_or_b32 exec_lo, exec_lo, s8
.LBB253_179:
	s_delay_alu instid0(SALU_CYCLE_1)
	s_or_b32 exec_lo, exec_lo, s6
                                        ; implicit-def: $vgpr8_vgpr9
.LBB253_180:
	s_and_not1_saveexec_b32 s5, s5
	s_cbranch_execz .LBB253_188
; %bb.181:
	flat_load_b32 v2, v[8:9]
	s_wait_loadcnt_dscnt 0x101
	v_mov_b32_e32 v11, 0x80
	s_mov_b32 s6, exec_lo
	s_wait_loadcnt_dscnt 0x0
	v_and_b32_e32 v3, 0x7fffffff, v2
	s_wait_xcnt 0x0
	s_delay_alu instid0(VALU_DEP_1)
	v_cmpx_gt_u32_e32 0x47800000, v3
	s_cbranch_execz .LBB253_187
; %bb.182:
	v_cmp_lt_u32_e32 vcc_lo, 0x37ffffff, v3
	s_mov_b32 s7, 0
                                        ; implicit-def: $vgpr3
	s_and_saveexec_b32 s8, vcc_lo
	s_delay_alu instid0(SALU_CYCLE_1)
	s_xor_b32 s8, exec_lo, s8
	s_cbranch_execnz .LBB253_548
; %bb.183:
	s_and_not1_saveexec_b32 s8, s8
	s_cbranch_execnz .LBB253_549
.LBB253_184:
	s_or_b32 exec_lo, exec_lo, s8
	v_mov_b32_e32 v11, 0
	s_and_saveexec_b32 s8, s7
.LBB253_185:
	v_lshrrev_b32_e32 v2, 24, v2
	s_delay_alu instid0(VALU_DEP_1)
	v_and_or_b32 v11, 0x80, v2, v3
.LBB253_186:
	s_or_b32 exec_lo, exec_lo, s8
.LBB253_187:
	s_delay_alu instid0(SALU_CYCLE_1)
	s_or_b32 exec_lo, exec_lo, s6
.LBB253_188:
	s_delay_alu instid0(SALU_CYCLE_1)
	s_or_b32 exec_lo, exec_lo, s5
                                        ; implicit-def: $vgpr8_vgpr9
.LBB253_189:
	s_and_not1_saveexec_b32 s4, s4
	s_cbranch_execz .LBB253_197
; %bb.190:
	flat_load_u16 v2, v[8:9]
	s_wait_loadcnt_dscnt 0x101
	v_mov_b32_e32 v11, 0x80
	s_mov_b32 s5, exec_lo
	s_wait_loadcnt_dscnt 0x0
	v_cvt_f32_f16_e32 v2, v2
	s_delay_alu instid0(VALU_DEP_1) | instskip(SKIP_1) | instid1(VALU_DEP_1)
	v_and_b32_e32 v3, 0x7fffffff, v2
	s_wait_xcnt 0x0
	v_cmpx_gt_u32_e32 0x47800000, v3
	s_cbranch_execz .LBB253_196
; %bb.191:
	v_cmp_lt_u32_e32 vcc_lo, 0x37ffffff, v3
	s_mov_b32 s6, 0
                                        ; implicit-def: $vgpr3
	s_and_saveexec_b32 s7, vcc_lo
	s_delay_alu instid0(SALU_CYCLE_1)
	s_xor_b32 s7, exec_lo, s7
	s_cbranch_execnz .LBB253_514
; %bb.192:
	s_and_not1_saveexec_b32 s7, s7
	s_cbranch_execnz .LBB253_515
.LBB253_193:
	s_or_b32 exec_lo, exec_lo, s7
	v_mov_b32_e32 v11, 0
	s_and_saveexec_b32 s7, s6
.LBB253_194:
	v_lshrrev_b32_e32 v2, 24, v2
	s_delay_alu instid0(VALU_DEP_1)
	v_and_or_b32 v11, 0x80, v2, v3
.LBB253_195:
	s_or_b32 exec_lo, exec_lo, s7
.LBB253_196:
	s_delay_alu instid0(SALU_CYCLE_1)
	s_or_b32 exec_lo, exec_lo, s5
.LBB253_197:
	s_delay_alu instid0(SALU_CYCLE_1)
	s_or_b32 exec_lo, exec_lo, s4
.LBB253_198:
	s_delay_alu instid0(SALU_CYCLE_1)
	s_or_b32 exec_lo, exec_lo, s3
                                        ; implicit-def: $vgpr8_vgpr9
.LBB253_199:
	s_and_not1_saveexec_b32 s1, s1
	s_cbranch_execz .LBB253_247
; %bb.200:
	s_mov_b32 s3, exec_lo
                                        ; implicit-def: $vgpr11
	v_cmpx_lt_i16_e32 1, v10
	s_xor_b32 s3, exec_lo, s3
	s_cbranch_execz .LBB253_228
; %bb.201:
	s_mov_b32 s4, exec_lo
                                        ; implicit-def: $vgpr11
	v_cmpx_lt_i16_e32 2, v10
	s_xor_b32 s4, exec_lo, s4
	;; [unrolled: 6-line block ×3, first 2 shown]
	s_cbranch_execz .LBB253_210
; %bb.203:
	flat_load_b64 v[2:3], v[8:9]
	s_mov_b32 s6, exec_lo
	s_wait_loadcnt_dscnt 0x101
	v_mov_b32_e32 v11, 0x80
	s_wait_loadcnt_dscnt 0x0
	v_xor_b32_e32 v4, v2, v3
	v_cls_i32_e32 v5, v3
	s_delay_alu instid0(VALU_DEP_2) | instskip(NEXT) | instid1(VALU_DEP_1)
	v_ashrrev_i32_e32 v4, 31, v4
	v_add_nc_u32_e32 v4, 32, v4
	s_delay_alu instid0(VALU_DEP_1) | instskip(NEXT) | instid1(VALU_DEP_1)
	v_add_min_u32_e64 v4, v5, -1, v4
	v_lshlrev_b64_e32 v[2:3], v4, v[2:3]
	s_delay_alu instid0(VALU_DEP_1) | instskip(NEXT) | instid1(VALU_DEP_1)
	v_min_u32_e32 v2, 1, v2
	v_dual_sub_nc_u32 v3, 32, v4 :: v_dual_bitop2_b32 v2, v3, v2 bitop3:0x54
	s_delay_alu instid0(VALU_DEP_1) | instskip(NEXT) | instid1(VALU_DEP_1)
	v_cvt_f32_i32_e32 v2, v2
	v_ldexp_f32 v2, v2, v3
	s_delay_alu instid0(VALU_DEP_1) | instskip(SKIP_1) | instid1(VALU_DEP_1)
	v_and_b32_e32 v3, 0x7fffffff, v2
	s_wait_xcnt 0x0
	v_cmpx_gt_u32_e32 0x47800000, v3
	s_cbranch_execz .LBB253_209
; %bb.204:
	v_cmp_lt_u32_e32 vcc_lo, 0x37ffffff, v3
	s_mov_b32 s7, 0
                                        ; implicit-def: $vgpr3
	s_and_saveexec_b32 s8, vcc_lo
	s_delay_alu instid0(SALU_CYCLE_1)
	s_xor_b32 s8, exec_lo, s8
	s_cbranch_execnz .LBB253_550
; %bb.205:
	s_and_not1_saveexec_b32 s8, s8
	s_cbranch_execnz .LBB253_551
.LBB253_206:
	s_or_b32 exec_lo, exec_lo, s8
	v_mov_b32_e32 v11, 0
	s_and_saveexec_b32 s8, s7
.LBB253_207:
	v_lshrrev_b32_e32 v2, 24, v2
	s_delay_alu instid0(VALU_DEP_1)
	v_and_or_b32 v11, 0x80, v2, v3
.LBB253_208:
	s_or_b32 exec_lo, exec_lo, s8
.LBB253_209:
	s_delay_alu instid0(SALU_CYCLE_1)
	s_or_b32 exec_lo, exec_lo, s6
                                        ; implicit-def: $vgpr8_vgpr9
.LBB253_210:
	s_and_not1_saveexec_b32 s5, s5
	s_cbranch_execz .LBB253_218
; %bb.211:
	flat_load_b32 v2, v[8:9]
	s_wait_loadcnt_dscnt 0x101
	v_mov_b32_e32 v11, 0x80
	s_mov_b32 s6, exec_lo
	s_wait_loadcnt_dscnt 0x0
	v_cvt_f32_i32_e32 v2, v2
	s_delay_alu instid0(VALU_DEP_1) | instskip(SKIP_1) | instid1(VALU_DEP_1)
	v_and_b32_e32 v3, 0x7fffffff, v2
	s_wait_xcnt 0x0
	v_cmpx_gt_u32_e32 0x47800000, v3
	s_cbranch_execz .LBB253_217
; %bb.212:
	v_cmp_lt_u32_e32 vcc_lo, 0x37ffffff, v3
	s_mov_b32 s7, 0
                                        ; implicit-def: $vgpr3
	s_and_saveexec_b32 s8, vcc_lo
	s_delay_alu instid0(SALU_CYCLE_1)
	s_xor_b32 s8, exec_lo, s8
	s_cbranch_execnz .LBB253_552
; %bb.213:
	s_and_not1_saveexec_b32 s8, s8
	s_cbranch_execnz .LBB253_553
.LBB253_214:
	s_or_b32 exec_lo, exec_lo, s8
	v_mov_b32_e32 v11, 0
	s_and_saveexec_b32 s8, s7
.LBB253_215:
	v_lshrrev_b32_e32 v2, 24, v2
	s_delay_alu instid0(VALU_DEP_1)
	v_and_or_b32 v11, 0x80, v2, v3
.LBB253_216:
	s_or_b32 exec_lo, exec_lo, s8
.LBB253_217:
	s_delay_alu instid0(SALU_CYCLE_1)
	s_or_b32 exec_lo, exec_lo, s6
.LBB253_218:
	s_delay_alu instid0(SALU_CYCLE_1)
	s_or_b32 exec_lo, exec_lo, s5
                                        ; implicit-def: $vgpr8_vgpr9
.LBB253_219:
	s_and_not1_saveexec_b32 s4, s4
	s_cbranch_execz .LBB253_227
; %bb.220:
	flat_load_i16 v2, v[8:9]
	s_wait_loadcnt_dscnt 0x101
	v_mov_b32_e32 v11, 0x80
	s_mov_b32 s5, exec_lo
	s_wait_loadcnt_dscnt 0x0
	v_cvt_f32_i32_e32 v2, v2
	s_delay_alu instid0(VALU_DEP_1) | instskip(SKIP_1) | instid1(VALU_DEP_1)
	v_and_b32_e32 v3, 0x7fffffff, v2
	s_wait_xcnt 0x0
	v_cmpx_gt_u32_e32 0x47800000, v3
	s_cbranch_execz .LBB253_226
; %bb.221:
	v_cmp_lt_u32_e32 vcc_lo, 0x37ffffff, v3
	s_mov_b32 s6, 0
                                        ; implicit-def: $vgpr3
	s_and_saveexec_b32 s7, vcc_lo
	s_delay_alu instid0(SALU_CYCLE_1)
	s_xor_b32 s7, exec_lo, s7
	s_cbranch_execnz .LBB253_516
; %bb.222:
	s_and_not1_saveexec_b32 s7, s7
	s_cbranch_execnz .LBB253_517
.LBB253_223:
	s_or_b32 exec_lo, exec_lo, s7
	v_mov_b32_e32 v11, 0
	s_and_saveexec_b32 s7, s6
.LBB253_224:
	v_lshrrev_b32_e32 v2, 24, v2
	s_delay_alu instid0(VALU_DEP_1)
	v_and_or_b32 v11, 0x80, v2, v3
.LBB253_225:
	s_or_b32 exec_lo, exec_lo, s7
.LBB253_226:
	s_delay_alu instid0(SALU_CYCLE_1)
	s_or_b32 exec_lo, exec_lo, s5
.LBB253_227:
	s_delay_alu instid0(SALU_CYCLE_1)
	s_or_b32 exec_lo, exec_lo, s4
                                        ; implicit-def: $vgpr8_vgpr9
.LBB253_228:
	s_and_not1_saveexec_b32 s3, s3
	s_cbranch_execz .LBB253_246
; %bb.229:
	s_mov_b32 s4, exec_lo
                                        ; implicit-def: $vgpr11
	v_cmpx_lt_i16_e32 0, v10
	s_xor_b32 s4, exec_lo, s4
	s_cbranch_execz .LBB253_237
; %bb.230:
	flat_load_i8 v2, v[8:9]
	s_wait_loadcnt_dscnt 0x101
	v_mov_b32_e32 v11, 0x80
	s_mov_b32 s5, exec_lo
	s_wait_loadcnt_dscnt 0x0
	v_cvt_f32_i32_e32 v2, v2
	s_delay_alu instid0(VALU_DEP_1) | instskip(SKIP_1) | instid1(VALU_DEP_1)
	v_and_b32_e32 v3, 0x7fffffff, v2
	s_wait_xcnt 0x0
	v_cmpx_gt_u32_e32 0x47800000, v3
	s_cbranch_execz .LBB253_236
; %bb.231:
	v_cmp_lt_u32_e32 vcc_lo, 0x37ffffff, v3
	s_mov_b32 s6, 0
                                        ; implicit-def: $vgpr3
	s_and_saveexec_b32 s7, vcc_lo
	s_delay_alu instid0(SALU_CYCLE_1)
	s_xor_b32 s7, exec_lo, s7
	s_cbranch_execnz .LBB253_518
; %bb.232:
	s_and_not1_saveexec_b32 s7, s7
	s_cbranch_execnz .LBB253_519
.LBB253_233:
	s_or_b32 exec_lo, exec_lo, s7
	v_mov_b32_e32 v11, 0
	s_and_saveexec_b32 s7, s6
.LBB253_234:
	v_lshrrev_b32_e32 v2, 24, v2
	s_delay_alu instid0(VALU_DEP_1)
	v_and_or_b32 v11, 0x80, v2, v3
.LBB253_235:
	s_or_b32 exec_lo, exec_lo, s7
.LBB253_236:
	s_delay_alu instid0(SALU_CYCLE_1)
	s_or_b32 exec_lo, exec_lo, s5
                                        ; implicit-def: $vgpr8_vgpr9
.LBB253_237:
	s_and_not1_saveexec_b32 s4, s4
	s_cbranch_execz .LBB253_245
; %bb.238:
	flat_load_u8 v2, v[8:9]
	s_wait_loadcnt_dscnt 0x101
	v_mov_b32_e32 v11, 0x80
	s_mov_b32 s5, exec_lo
	s_wait_loadcnt_dscnt 0x0
	v_cvt_f32_ubyte0_e32 v3, v2
	s_wait_xcnt 0x0
	s_delay_alu instid0(VALU_DEP_1)
	v_cmpx_gt_u32_e32 0x47800000, v3
	s_cbranch_execz .LBB253_244
; %bb.239:
	s_mov_b32 s6, 0
	s_mov_b32 s7, exec_lo
                                        ; implicit-def: $vgpr2
	v_cmpx_lt_u32_e32 0x37ffffff, v3
	s_xor_b32 s7, exec_lo, s7
	s_cbranch_execnz .LBB253_520
; %bb.240:
	s_and_not1_saveexec_b32 s7, s7
	s_cbranch_execnz .LBB253_521
.LBB253_241:
	s_or_b32 exec_lo, exec_lo, s7
	v_mov_b32_e32 v11, 0
	s_and_saveexec_b32 s7, s6
.LBB253_242:
	v_mov_b32_e32 v11, v2
.LBB253_243:
	s_or_b32 exec_lo, exec_lo, s7
.LBB253_244:
	s_delay_alu instid0(SALU_CYCLE_1)
	s_or_b32 exec_lo, exec_lo, s5
.LBB253_245:
	s_delay_alu instid0(SALU_CYCLE_1)
	s_or_b32 exec_lo, exec_lo, s4
.LBB253_246:
	s_delay_alu instid0(SALU_CYCLE_1)
	s_or_b32 exec_lo, exec_lo, s3
.LBB253_247:
	s_delay_alu instid0(SALU_CYCLE_1) | instskip(NEXT) | instid1(SALU_CYCLE_1)
	s_or_b32 exec_lo, exec_lo, s1
	s_or_b32 s2, s2, exec_lo
	s_or_b32 exec_lo, exec_lo, s0
                                        ; implicit-def: $sgpr1
	s_and_saveexec_b32 s0, s2
	s_cbranch_execz .LBB253_126
.LBB253_248:
	s_mov_b32 s2, exec_lo
                                        ; implicit-def: $sgpr1
	v_cmpx_ne_u32_e32 0, v0
	s_xor_b32 s2, exec_lo, s2
	s_cbranch_execz .LBB253_258
; %bb.249:
	s_wait_loadcnt_dscnt 0x0
	v_and_b32_e32 v2, 0xff, v1
	s_mov_b32 s1, 0
	s_mov_b32 s3, exec_lo
	s_delay_alu instid0(VALU_DEP_1)
	v_cmpx_lt_i16_e32 0x7f, v2
	s_xor_b32 s3, exec_lo, s3
	s_cbranch_execnz .LBB253_480
; %bb.250:
	s_or_saveexec_b32 s3, s3
	v_mov_b32_e32 v0, 0x7f800001
	s_xor_b32 exec_lo, exec_lo, s3
	s_cbranch_execnz .LBB253_483
.LBB253_251:
	s_or_b32 exec_lo, exec_lo, s3
	s_and_saveexec_b32 s3, s1
	s_cbranch_execz .LBB253_253
.LBB253_252:
	v_and_b32_e32 v0, 3, v1
	v_lshrrev_b16 v3, 2, v1
	s_delay_alu instid0(VALU_DEP_2) | instskip(NEXT) | instid1(VALU_DEP_1)
	v_clz_i32_u32_e32 v2, v0
	v_min_u32_e32 v2, 32, v2
	s_delay_alu instid0(VALU_DEP_3) | instskip(NEXT) | instid1(VALU_DEP_2)
	v_and_b32_e32 v3, 31, v3
	v_subrev_nc_u32_e32 v4, 29, v2
	v_sub_nc_u32_e32 v2, 30, v2
	s_delay_alu instid0(VALU_DEP_3) | instskip(NEXT) | instid1(VALU_DEP_3)
	v_cmp_eq_u32_e32 vcc_lo, 0, v3
	v_dual_lshlrev_b32 v4, v4, v1 :: v_dual_lshlrev_b32 v1, 24, v1
	s_delay_alu instid0(VALU_DEP_1) | instskip(NEXT) | instid1(VALU_DEP_2)
	v_dual_cndmask_b32 v2, v3, v2, vcc_lo :: v_dual_bitop2_b32 v4, 3, v4 bitop3:0x40
	v_and_b32_e32 v1, 0x80000000, v1
	s_delay_alu instid0(VALU_DEP_2) | instskip(NEXT) | instid1(VALU_DEP_3)
	v_cndmask_b32_e32 v0, v0, v4, vcc_lo
	v_lshl_add_u32 v2, v2, 23, 0x37800000
	s_delay_alu instid0(VALU_DEP_2) | instskip(NEXT) | instid1(VALU_DEP_1)
	v_lshlrev_b32_e32 v0, 21, v0
	v_or3_b32 v0, v1, v2, v0
.LBB253_253:
	s_or_b32 exec_lo, exec_lo, s3
	v_and_b32_e32 v2, 0xff, v11
	s_mov_b32 s1, 0
	s_mov_b32 s3, exec_lo
	s_delay_alu instid0(VALU_DEP_1)
	v_cmpx_lt_i16_e32 0x7f, v2
	s_xor_b32 s3, exec_lo, s3
	s_cbranch_execnz .LBB253_484
; %bb.254:
	s_or_saveexec_b32 s3, s3
	v_mov_b32_e32 v1, 0x7f800001
	s_xor_b32 exec_lo, exec_lo, s3
	s_cbranch_execnz .LBB253_487
.LBB253_255:
	s_or_b32 exec_lo, exec_lo, s3
	s_and_saveexec_b32 s3, s1
	s_cbranch_execz .LBB253_257
.LBB253_256:
	v_and_b32_e32 v1, 3, v11
	v_lshrrev_b16 v3, 2, v11
	v_lshlrev_b32_e32 v5, 24, v11
	s_delay_alu instid0(VALU_DEP_3) | instskip(NEXT) | instid1(VALU_DEP_1)
	v_clz_i32_u32_e32 v2, v1
	v_min_u32_e32 v2, 32, v2
	s_delay_alu instid0(VALU_DEP_4) | instskip(NEXT) | instid1(VALU_DEP_2)
	v_and_b32_e32 v3, 31, v3
	v_subrev_nc_u32_e32 v4, 29, v2
	v_sub_nc_u32_e32 v2, 30, v2
	s_delay_alu instid0(VALU_DEP_3) | instskip(NEXT) | instid1(VALU_DEP_3)
	v_cmp_eq_u32_e32 vcc_lo, 0, v3
	v_lshlrev_b32_e32 v4, v4, v11
	s_delay_alu instid0(VALU_DEP_1) | instskip(SKIP_1) | instid1(VALU_DEP_2)
	v_dual_cndmask_b32 v2, v3, v2, vcc_lo :: v_dual_bitop2_b32 v4, 3, v4 bitop3:0x40
	v_and_b32_e32 v3, 0x80000000, v5
	v_cndmask_b32_e32 v1, v1, v4, vcc_lo
	s_delay_alu instid0(VALU_DEP_3) | instskip(NEXT) | instid1(VALU_DEP_2)
	v_lshl_add_u32 v2, v2, 23, 0x37800000
	v_lshlrev_b32_e32 v1, 21, v1
	s_delay_alu instid0(VALU_DEP_1)
	v_or3_b32 v1, v3, v2, v1
.LBB253_257:
	s_or_b32 exec_lo, exec_lo, s3
	s_delay_alu instid0(VALU_DEP_1)
	v_cmp_neq_f32_e64 s1, v0, v1
                                        ; implicit-def: $vgpr11
                                        ; implicit-def: $vgpr1
.LBB253_258:
	s_and_not1_saveexec_b32 s2, s2
	s_cbranch_execz .LBB253_126
; %bb.259:
	s_wait_loadcnt_dscnt 0x0
	v_and_b32_e32 v2, 0xff, v1
	s_mov_b32 s2, 0
	s_mov_b32 s3, exec_lo
	s_delay_alu instid0(VALU_DEP_1)
	v_cmpx_lt_i16_e32 0x7f, v2
	s_xor_b32 s3, exec_lo, s3
	s_cbranch_execnz .LBB253_488
; %bb.260:
	s_or_saveexec_b32 s3, s3
	v_mov_b32_e32 v0, 0x7f800001
	s_xor_b32 exec_lo, exec_lo, s3
	s_cbranch_execnz .LBB253_491
.LBB253_261:
	s_or_b32 exec_lo, exec_lo, s3
	s_and_saveexec_b32 s3, s2
	s_cbranch_execz .LBB253_263
.LBB253_262:
	v_and_b32_e32 v0, 3, v1
	v_lshrrev_b16 v3, 2, v1
	s_delay_alu instid0(VALU_DEP_2) | instskip(NEXT) | instid1(VALU_DEP_1)
	v_clz_i32_u32_e32 v2, v0
	v_min_u32_e32 v2, 32, v2
	s_delay_alu instid0(VALU_DEP_3) | instskip(NEXT) | instid1(VALU_DEP_2)
	v_and_b32_e32 v3, 31, v3
	v_subrev_nc_u32_e32 v4, 29, v2
	v_sub_nc_u32_e32 v2, 30, v2
	s_delay_alu instid0(VALU_DEP_3) | instskip(NEXT) | instid1(VALU_DEP_3)
	v_cmp_eq_u32_e32 vcc_lo, 0, v3
	v_dual_lshlrev_b32 v4, v4, v1 :: v_dual_lshlrev_b32 v1, 24, v1
	s_delay_alu instid0(VALU_DEP_1) | instskip(NEXT) | instid1(VALU_DEP_2)
	v_dual_cndmask_b32 v2, v3, v2, vcc_lo :: v_dual_bitop2_b32 v4, 3, v4 bitop3:0x40
	v_and_b32_e32 v1, 0x80000000, v1
	s_delay_alu instid0(VALU_DEP_2) | instskip(NEXT) | instid1(VALU_DEP_3)
	v_cndmask_b32_e32 v0, v0, v4, vcc_lo
	v_lshl_add_u32 v2, v2, 23, 0x37800000
	s_delay_alu instid0(VALU_DEP_2) | instskip(NEXT) | instid1(VALU_DEP_1)
	v_lshlrev_b32_e32 v0, 21, v0
	v_or3_b32 v0, v1, v2, v0
.LBB253_263:
	s_or_b32 exec_lo, exec_lo, s3
	v_and_b32_e32 v2, 0xff, v11
	s_mov_b32 s2, 0
	s_mov_b32 s3, exec_lo
	s_delay_alu instid0(VALU_DEP_1)
	v_cmpx_lt_i16_e32 0x7f, v2
	s_xor_b32 s3, exec_lo, s3
	s_cbranch_execnz .LBB253_492
; %bb.264:
	s_or_saveexec_b32 s3, s3
	v_mov_b32_e32 v1, 0x7f800001
	s_xor_b32 exec_lo, exec_lo, s3
	s_cbranch_execnz .LBB253_495
.LBB253_265:
	s_or_b32 exec_lo, exec_lo, s3
	s_and_saveexec_b32 s3, s2
	s_cbranch_execz .LBB253_267
.LBB253_266:
	v_and_b32_e32 v1, 3, v11
	v_lshrrev_b16 v3, 2, v11
	v_lshlrev_b32_e32 v5, 24, v11
	s_delay_alu instid0(VALU_DEP_3) | instskip(NEXT) | instid1(VALU_DEP_1)
	v_clz_i32_u32_e32 v2, v1
	v_min_u32_e32 v2, 32, v2
	s_delay_alu instid0(VALU_DEP_4) | instskip(NEXT) | instid1(VALU_DEP_2)
	v_and_b32_e32 v3, 31, v3
	v_subrev_nc_u32_e32 v4, 29, v2
	v_sub_nc_u32_e32 v2, 30, v2
	s_delay_alu instid0(VALU_DEP_3) | instskip(NEXT) | instid1(VALU_DEP_3)
	v_cmp_eq_u32_e32 vcc_lo, 0, v3
	v_lshlrev_b32_e32 v4, v4, v11
	s_delay_alu instid0(VALU_DEP_1) | instskip(SKIP_1) | instid1(VALU_DEP_2)
	v_dual_cndmask_b32 v2, v3, v2, vcc_lo :: v_dual_bitop2_b32 v4, 3, v4 bitop3:0x40
	v_and_b32_e32 v3, 0x80000000, v5
	v_cndmask_b32_e32 v1, v1, v4, vcc_lo
	s_delay_alu instid0(VALU_DEP_3) | instskip(NEXT) | instid1(VALU_DEP_2)
	v_lshl_add_u32 v2, v2, 23, 0x37800000
	v_lshlrev_b32_e32 v1, 21, v1
	s_delay_alu instid0(VALU_DEP_1)
	v_or3_b32 v1, v3, v2, v1
.LBB253_267:
	s_or_b32 exec_lo, exec_lo, s3
	s_delay_alu instid0(VALU_DEP_1) | instskip(SKIP_2) | instid1(SALU_CYCLE_1)
	v_cmp_eq_f32_e32 vcc_lo, v0, v1
	s_and_not1_b32 s1, s1, exec_lo
	s_and_b32 s2, vcc_lo, exec_lo
	s_or_b32 s1, s1, s2
	s_or_b32 exec_lo, exec_lo, s0
	v_cndmask_b32_e64 v0, 0, 1, s1
	s_set_pc_i64 s[30:31]
.LBB253_268:
	s_mov_b32 s5, 0
	s_mov_b32 s3, exec_lo
                                        ; implicit-def: $vgpr1
	v_cmpx_lt_i16_e32 28, v10
	s_xor_b32 s3, exec_lo, s3
	s_cbranch_execz .LBB253_302
; %bb.269:
	s_mov_b32 s6, 0
	s_mov_b32 s7, 0
	s_mov_b32 s4, exec_lo
                                        ; implicit-def: $vgpr1
	v_cmpx_lt_i16_e32 43, v10
	s_xor_b32 s4, exec_lo, s4
	s_cbranch_execz .LBB253_291
; %bb.270:
	s_mov_b32 s7, exec_lo
                                        ; implicit-def: $vgpr1
	v_cmpx_lt_i16_e32 45, v10
	s_xor_b32 s7, exec_lo, s7
	s_cbranch_execz .LBB253_280
; %bb.271:
	s_mov_b32 s8, -1
	s_mov_b32 s5, exec_lo
                                        ; implicit-def: $vgpr1
	v_cmpx_eq_u16_e32 46, v10
	s_cbranch_execz .LBB253_279
; %bb.272:
	flat_load_b32 v1, v[8:9]
	s_mov_b32 s6, exec_lo
	s_wait_loadcnt_dscnt 0x0
	v_dual_mov_b32 v1, 0x80 :: v_dual_lshlrev_b32 v10, 16, v1
	s_delay_alu instid0(VALU_DEP_1) | instskip(SKIP_1) | instid1(VALU_DEP_1)
	v_and_b32_e32 v11, 0x7fffffff, v10
	s_wait_xcnt 0x0
	v_cmpx_gt_u32_e32 0x47800000, v11
	s_cbranch_execz .LBB253_278
; %bb.273:
	v_cmp_lt_u32_e32 vcc_lo, 0x37ffffff, v11
	s_mov_b32 s8, 0
                                        ; implicit-def: $vgpr11
	s_and_saveexec_b32 s9, vcc_lo
	s_delay_alu instid0(SALU_CYCLE_1)
	s_xor_b32 s9, exec_lo, s9
	s_cbranch_execnz .LBB253_568
; %bb.274:
	s_and_not1_saveexec_b32 s9, s9
	s_cbranch_execnz .LBB253_569
.LBB253_275:
	s_or_b32 exec_lo, exec_lo, s9
	v_mov_b32_e32 v1, 0
	s_and_saveexec_b32 s9, s8
.LBB253_276:
	v_lshrrev_b32_e32 v1, 24, v10
	s_delay_alu instid0(VALU_DEP_1)
	v_and_or_b32 v1, 0x80, v1, v11
.LBB253_277:
	s_or_b32 exec_lo, exec_lo, s9
.LBB253_278:
	s_delay_alu instid0(SALU_CYCLE_1) | instskip(NEXT) | instid1(SALU_CYCLE_1)
	s_or_b32 exec_lo, exec_lo, s6
	s_mov_b32 s6, exec_lo
	s_xor_b32 s8, exec_lo, -1
.LBB253_279:
	s_or_b32 exec_lo, exec_lo, s5
	s_delay_alu instid0(SALU_CYCLE_1)
	s_and_b32 s6, s6, exec_lo
	s_and_b32 s5, s8, exec_lo
                                        ; implicit-def: $vgpr10
.LBB253_280:
	s_and_not1_saveexec_b32 s7, s7
	s_cbranch_execz .LBB253_290
; %bb.281:
	s_mov_b32 s9, -1
	s_mov_b32 s10, s6
	s_mov_b32 s8, exec_lo
                                        ; implicit-def: $vgpr1
	v_cmpx_eq_u16_e32 44, v10
	s_cbranch_execz .LBB253_289
; %bb.282:
	flat_load_u8 v1, v[8:9]
	s_mov_b32 s10, 0
	s_mov_b32 s9, exec_lo
	s_wait_loadcnt_dscnt 0x0
	v_lshlrev_b32_e32 v10, 23, v1
	v_cmp_ne_u32_e32 vcc_lo, 0xff, v1
	s_delay_alu instid0(VALU_DEP_2) | instskip(SKIP_2) | instid1(VALU_DEP_3)
	v_cndmask_b32_e32 v10, 0x7f800001, v10, vcc_lo
	v_cmp_ne_u32_e32 vcc_lo, 0, v1
	v_mov_b32_e32 v1, 0x80
	v_cndmask_b32_e32 v11, 0x400000, v10, vcc_lo
	s_wait_xcnt 0x0
	s_delay_alu instid0(VALU_DEP_1)
	v_cmpx_gt_u32_e32 0x47800000, v11
	s_cbranch_execz .LBB253_288
; %bb.283:
	s_mov_b32 s11, exec_lo
                                        ; implicit-def: $vgpr10
	v_cmpx_lt_u32_e32 0x37ffffff, v11
	s_xor_b32 s11, exec_lo, s11
	s_cbranch_execnz .LBB253_570
; %bb.284:
	s_and_not1_saveexec_b32 s11, s11
	s_cbranch_execnz .LBB253_571
.LBB253_285:
	s_or_b32 exec_lo, exec_lo, s11
	v_mov_b32_e32 v1, 0
	s_and_saveexec_b32 s11, s10
.LBB253_286:
	v_mov_b32_e32 v1, v10
.LBB253_287:
	s_or_b32 exec_lo, exec_lo, s11
.LBB253_288:
	s_delay_alu instid0(SALU_CYCLE_1) | instskip(NEXT) | instid1(SALU_CYCLE_1)
	s_or_b32 exec_lo, exec_lo, s9
	s_or_b32 s10, s6, exec_lo
	s_xor_b32 s9, exec_lo, -1
.LBB253_289:
	s_or_b32 exec_lo, exec_lo, s8
	s_delay_alu instid0(SALU_CYCLE_1)
	s_and_not1_b32 s6, s6, exec_lo
	s_and_b32 s8, s10, exec_lo
	s_and_not1_b32 s5, s5, exec_lo
	s_and_b32 s9, s9, exec_lo
	s_or_b32 s6, s6, s8
	s_or_b32 s5, s5, s9
.LBB253_290:
	s_or_b32 exec_lo, exec_lo, s7
	s_delay_alu instid0(SALU_CYCLE_1)
	s_and_b32 s7, s6, exec_lo
	s_and_b32 s6, s5, exec_lo
                                        ; implicit-def: $vgpr10
.LBB253_291:
	s_and_not1_saveexec_b32 s4, s4
	s_cbranch_execz .LBB253_301
; %bb.292:
	s_mov_b32 s8, -1
	s_mov_b32 s9, s7
	s_mov_b32 s5, exec_lo
                                        ; implicit-def: $vgpr1
	v_cmpx_eq_u16_e32 29, v10
	s_cbranch_execz .LBB253_300
; %bb.293:
	flat_load_b64 v[10:11], v[8:9]
	s_mov_b32 s8, exec_lo
	s_wait_loadcnt_dscnt 0x0
	v_clz_i32_u32_e32 v1, v11
	s_delay_alu instid0(VALU_DEP_1) | instskip(NEXT) | instid1(VALU_DEP_1)
	v_min_u32_e32 v1, 32, v1
	v_lshlrev_b64_e32 v[10:11], v1, v[10:11]
	v_sub_nc_u32_e32 v1, 32, v1
	s_delay_alu instid0(VALU_DEP_2) | instskip(NEXT) | instid1(VALU_DEP_1)
	v_min_u32_e32 v10, 1, v10
	v_or_b32_e32 v10, v11, v10
	s_delay_alu instid0(VALU_DEP_1) | instskip(NEXT) | instid1(VALU_DEP_1)
	v_cvt_f32_u32_e32 v10, v10
	v_ldexp_f32 v11, v10, v1
	v_mov_b32_e32 v1, 0x80
	s_wait_xcnt 0x0
	s_delay_alu instid0(VALU_DEP_2)
	v_cmpx_gt_u32_e32 0x47800000, v11
	s_cbranch_execz .LBB253_299
; %bb.294:
	s_mov_b32 s9, 0
	s_mov_b32 s10, exec_lo
                                        ; implicit-def: $vgpr10
	v_cmpx_lt_u32_e32 0x37ffffff, v11
	s_xor_b32 s10, exec_lo, s10
	s_cbranch_execnz .LBB253_554
; %bb.295:
	s_and_not1_saveexec_b32 s10, s10
	s_cbranch_execnz .LBB253_555
.LBB253_296:
	s_or_b32 exec_lo, exec_lo, s10
	v_mov_b32_e32 v1, 0
	s_and_saveexec_b32 s10, s9
.LBB253_297:
	v_mov_b32_e32 v1, v10
.LBB253_298:
	s_or_b32 exec_lo, exec_lo, s10
.LBB253_299:
	s_delay_alu instid0(SALU_CYCLE_1) | instskip(NEXT) | instid1(SALU_CYCLE_1)
	s_or_b32 exec_lo, exec_lo, s8
	s_or_b32 s9, s7, exec_lo
	s_xor_b32 s8, exec_lo, -1
.LBB253_300:
	s_or_b32 exec_lo, exec_lo, s5
	s_delay_alu instid0(SALU_CYCLE_1)
	s_and_not1_b32 s5, s7, exec_lo
	s_and_b32 s7, s9, exec_lo
	s_and_not1_b32 s6, s6, exec_lo
	s_and_b32 s8, s8, exec_lo
	s_or_b32 s7, s5, s7
	s_or_b32 s6, s6, s8
.LBB253_301:
	s_or_b32 exec_lo, exec_lo, s4
	s_delay_alu instid0(SALU_CYCLE_1)
	s_and_b32 s5, s7, exec_lo
	s_and_b32 s4, s6, exec_lo
                                        ; implicit-def: $vgpr10
.LBB253_302:
	s_and_not1_saveexec_b32 s3, s3
	s_cbranch_execz .LBB253_334
; %bb.303:
	s_mov_b32 s6, exec_lo
                                        ; implicit-def: $vgpr1
	v_cmpx_lt_i16_e32 26, v10
	s_xor_b32 s6, exec_lo, s6
	s_cbranch_execz .LBB253_321
; %bb.304:
	s_mov_b32 s7, exec_lo
                                        ; implicit-def: $vgpr1
	v_cmpx_lt_i16_e32 27, v10
	s_xor_b32 s7, exec_lo, s7
	s_cbranch_execz .LBB253_312
; %bb.305:
	flat_load_b32 v1, v[8:9]
	s_mov_b32 s8, exec_lo
	s_wait_loadcnt_dscnt 0x0
	v_cvt_f32_u32_e32 v11, v1
	v_mov_b32_e32 v1, 0x80
	s_wait_xcnt 0x0
	s_delay_alu instid0(VALU_DEP_2)
	v_cmpx_gt_u32_e32 0x47800000, v11
	s_cbranch_execz .LBB253_311
; %bb.306:
	s_mov_b32 s9, 0
	s_mov_b32 s10, exec_lo
                                        ; implicit-def: $vgpr10
	v_cmpx_lt_u32_e32 0x37ffffff, v11
	s_xor_b32 s10, exec_lo, s10
	s_cbranch_execnz .LBB253_556
; %bb.307:
	s_and_not1_saveexec_b32 s10, s10
	s_cbranch_execnz .LBB253_557
.LBB253_308:
	s_or_b32 exec_lo, exec_lo, s10
	v_mov_b32_e32 v1, 0
	s_and_saveexec_b32 s10, s9
.LBB253_309:
	v_mov_b32_e32 v1, v10
.LBB253_310:
	s_or_b32 exec_lo, exec_lo, s10
.LBB253_311:
	s_delay_alu instid0(SALU_CYCLE_1)
	s_or_b32 exec_lo, exec_lo, s8
.LBB253_312:
	s_and_not1_saveexec_b32 s7, s7
	s_cbranch_execz .LBB253_320
; %bb.313:
	flat_load_u16 v1, v[8:9]
	s_mov_b32 s8, exec_lo
	s_wait_loadcnt_dscnt 0x0
	v_cvt_f32_u32_e32 v11, v1
	v_mov_b32_e32 v1, 0x80
	s_wait_xcnt 0x0
	s_delay_alu instid0(VALU_DEP_2)
	v_cmpx_gt_u32_e32 0x47800000, v11
	s_cbranch_execz .LBB253_319
; %bb.314:
	s_mov_b32 s9, 0
	s_mov_b32 s10, exec_lo
                                        ; implicit-def: $vgpr10
	v_cmpx_lt_u32_e32 0x37ffffff, v11
	s_xor_b32 s10, exec_lo, s10
	s_cbranch_execnz .LBB253_558
; %bb.315:
	s_and_not1_saveexec_b32 s10, s10
	s_cbranch_execnz .LBB253_559
.LBB253_316:
	s_or_b32 exec_lo, exec_lo, s10
	v_mov_b32_e32 v1, 0
	s_and_saveexec_b32 s10, s9
.LBB253_317:
	v_mov_b32_e32 v1, v10
.LBB253_318:
	s_or_b32 exec_lo, exec_lo, s10
.LBB253_319:
	s_delay_alu instid0(SALU_CYCLE_1)
	s_or_b32 exec_lo, exec_lo, s8
.LBB253_320:
	s_delay_alu instid0(SALU_CYCLE_1)
	s_or_b32 exec_lo, exec_lo, s7
.LBB253_321:
	s_and_not1_saveexec_b32 s6, s6
	s_cbranch_execz .LBB253_333
; %bb.322:
	flat_load_u8 v1, v[8:9]
	s_mov_b32 s7, 0
	s_mov_b32 s8, exec_lo
	s_wait_loadcnt_dscnt 0x0
	v_cmpx_lt_i16_e32 0x7f, v1
	s_xor_b32 s8, exec_lo, s8
	s_cbranch_execnz .LBB253_498
; %bb.323:
	s_or_saveexec_b32 s8, s8
	v_mov_b32_e32 v10, 0x7f800001
	s_xor_b32 exec_lo, exec_lo, s8
	s_cbranch_execnz .LBB253_501
.LBB253_324:
	s_or_b32 exec_lo, exec_lo, s8
	s_and_saveexec_b32 s8, s7
	s_cbranch_execz .LBB253_326
.LBB253_325:
	v_and_b32_e32 v10, 0xffff, v1
	s_delay_alu instid0(VALU_DEP_1) | instskip(SKIP_1) | instid1(VALU_DEP_2)
	v_and_b32_e32 v11, 7, v10
	v_bfe_u32 v14, v10, 3, 4
	v_clz_i32_u32_e32 v12, v11
	s_delay_alu instid0(VALU_DEP_2) | instskip(NEXT) | instid1(VALU_DEP_2)
	v_cmp_eq_u32_e32 vcc_lo, 0, v14
	v_min_u32_e32 v12, 32, v12
	s_delay_alu instid0(VALU_DEP_1) | instskip(NEXT) | instid1(VALU_DEP_1)
	v_subrev_nc_u32_e32 v13, 28, v12
	v_dual_lshlrev_b32 v10, v13, v10 :: v_dual_sub_nc_u32 v12, 29, v12
	s_delay_alu instid0(VALU_DEP_1) | instskip(NEXT) | instid1(VALU_DEP_1)
	v_dual_lshlrev_b32 v1, 24, v1 :: v_dual_bitop2_b32 v10, 7, v10 bitop3:0x40
	v_dual_cndmask_b32 v12, v14, v12, vcc_lo :: v_dual_cndmask_b32 v10, v11, v10, vcc_lo
	s_delay_alu instid0(VALU_DEP_2) | instskip(NEXT) | instid1(VALU_DEP_2)
	v_and_b32_e32 v1, 0x80000000, v1
	v_lshl_add_u32 v11, v12, 23, 0x3b800000
	s_delay_alu instid0(VALU_DEP_3) | instskip(NEXT) | instid1(VALU_DEP_1)
	v_lshlrev_b32_e32 v10, 20, v10
	v_or3_b32 v10, v1, v11, v10
.LBB253_326:
	s_or_b32 exec_lo, exec_lo, s8
	s_delay_alu instid0(VALU_DEP_1) | instskip(SKIP_2) | instid1(VALU_DEP_2)
	v_and_b32_e32 v11, 0x7fffffff, v10
	v_mov_b32_e32 v1, 0x80
	s_mov_b32 s7, exec_lo
	v_cmpx_gt_u32_e32 0x47800000, v11
	s_cbranch_execz .LBB253_332
; %bb.327:
	v_cmp_lt_u32_e32 vcc_lo, 0x37ffffff, v11
	s_mov_b32 s8, 0
                                        ; implicit-def: $vgpr11
	s_and_saveexec_b32 s9, vcc_lo
	s_delay_alu instid0(SALU_CYCLE_1)
	s_xor_b32 s9, exec_lo, s9
	s_cbranch_execnz .LBB253_522
; %bb.328:
	s_and_not1_saveexec_b32 s9, s9
	s_cbranch_execnz .LBB253_523
.LBB253_329:
	s_or_b32 exec_lo, exec_lo, s9
	v_mov_b32_e32 v1, 0
	s_and_saveexec_b32 s9, s8
.LBB253_330:
	v_lshrrev_b32_e32 v1, 24, v10
	s_delay_alu instid0(VALU_DEP_1)
	v_and_or_b32 v1, 0x80, v1, v11
.LBB253_331:
	s_or_b32 exec_lo, exec_lo, s9
.LBB253_332:
	s_delay_alu instid0(SALU_CYCLE_1)
	s_or_b32 exec_lo, exec_lo, s7
.LBB253_333:
	s_delay_alu instid0(SALU_CYCLE_1) | instskip(NEXT) | instid1(SALU_CYCLE_1)
	s_or_b32 exec_lo, exec_lo, s6
	s_or_b32 s5, s5, exec_lo
.LBB253_334:
	s_or_b32 exec_lo, exec_lo, s3
	s_delay_alu instid0(SALU_CYCLE_1)
	s_and_b32 s3, s5, exec_lo
	s_and_b32 s4, s4, exec_lo
                                        ; implicit-def: $vgpr10
	s_and_not1_saveexec_b32 s2, s2
	s_cbranch_execz .LBB253_3
.LBB253_335:
	s_mov_b32 s5, s3
	s_mov_b32 s0, exec_lo
                                        ; implicit-def: $vgpr1
	v_cmpx_lt_i16_e32 22, v10
	s_xor_b32 s0, exec_lo, s0
	s_cbranch_execz .LBB253_357
; %bb.336:
	s_mov_b32 s5, exec_lo
                                        ; implicit-def: $vgpr1
	v_cmpx_lt_i16_e32 23, v10
	s_xor_b32 s5, exec_lo, s5
	s_cbranch_execz .LBB253_348
; %bb.337:
	;; [unrolled: 6-line block ×3, first 2 shown]
	flat_load_u8 v1, v[8:9]
.LBB253_339:
	s_wait_xcnt 0x0
	s_and_not1_saveexec_b32 s6, s6
	s_cbranch_execz .LBB253_347
; %bb.340:
	s_wait_loadcnt_dscnt 0x0
	flat_load_u8 v1, v[8:9]
	s_mov_b32 s8, 0
	s_mov_b32 s7, exec_lo
	s_wait_loadcnt_dscnt 0x0
	v_lshlrev_b32_e32 v1, 24, v1
	s_delay_alu instid0(VALU_DEP_1) | instskip(NEXT) | instid1(VALU_DEP_1)
	v_and_b32_e32 v10, 0x7f000000, v1
	v_clz_i32_u32_e32 v11, v10
	v_cmp_ne_u32_e32 vcc_lo, 0, v10
	v_add_nc_u32_e32 v13, 0x1000000, v10
	s_delay_alu instid0(VALU_DEP_3) | instskip(NEXT) | instid1(VALU_DEP_1)
	v_min_u32_e32 v11, 32, v11
	v_sub_nc_u32_e64 v11, v11, 4 clamp
	s_delay_alu instid0(VALU_DEP_1) | instskip(NEXT) | instid1(VALU_DEP_1)
	v_dual_lshlrev_b32 v12, v11, v10 :: v_dual_lshlrev_b32 v11, 23, v11
	v_lshrrev_b32_e32 v12, 4, v12
	s_delay_alu instid0(VALU_DEP_1) | instskip(NEXT) | instid1(VALU_DEP_1)
	v_dual_sub_nc_u32 v11, v12, v11 :: v_dual_ashrrev_i32 v12, 8, v13
	v_add_nc_u32_e32 v11, 0x3c000000, v11
	s_delay_alu instid0(VALU_DEP_1) | instskip(NEXT) | instid1(VALU_DEP_1)
	v_and_or_b32 v11, 0x7f800000, v12, v11
	v_cndmask_b32_e32 v12, 0, v11, vcc_lo
	s_delay_alu instid0(VALU_DEP_1) | instskip(SKIP_1) | instid1(VALU_DEP_2)
	v_and_or_b32 v10, 0x80000000, v1, v12
	v_mov_b32_e32 v1, 0x80
	v_and_b32_e32 v11, 0x7fffffff, v10
	s_wait_xcnt 0x0
	s_delay_alu instid0(VALU_DEP_1)
	v_cmpx_gt_u32_e32 0x47800000, v11
	s_cbranch_execz .LBB253_346
; %bb.341:
	v_cmp_lt_u32_e32 vcc_lo, 0x37ffffff, v11
                                        ; implicit-def: $vgpr11
	s_and_saveexec_b32 s9, vcc_lo
	s_delay_alu instid0(SALU_CYCLE_1)
	s_xor_b32 s9, exec_lo, s9
	s_cbranch_execnz .LBB253_560
; %bb.342:
	s_and_not1_saveexec_b32 s9, s9
	s_cbranch_execnz .LBB253_561
.LBB253_343:
	s_or_b32 exec_lo, exec_lo, s9
	v_mov_b32_e32 v1, 0
	s_and_saveexec_b32 s9, s8
.LBB253_344:
	v_lshrrev_b32_e32 v1, 24, v10
	s_delay_alu instid0(VALU_DEP_1)
	v_and_or_b32 v1, 0x80, v1, v11
.LBB253_345:
	s_or_b32 exec_lo, exec_lo, s9
.LBB253_346:
	s_delay_alu instid0(SALU_CYCLE_1)
	s_or_b32 exec_lo, exec_lo, s7
.LBB253_347:
	s_delay_alu instid0(SALU_CYCLE_1)
	s_or_b32 exec_lo, exec_lo, s6
.LBB253_348:
	s_and_not1_saveexec_b32 s5, s5
	s_cbranch_execz .LBB253_356
; %bb.349:
	s_wait_loadcnt_dscnt 0x0
	flat_load_u8 v1, v[8:9]
	s_mov_b32 s6, exec_lo
	s_wait_loadcnt_dscnt 0x0
	v_lshlrev_b32_e32 v10, 25, v1
	v_lshlrev_b16 v1, 8, v1
	s_delay_alu instid0(VALU_DEP_1) | instskip(SKIP_1) | instid1(VALU_DEP_2)
	v_and_or_b32 v12, 0x7f00, v1, 0.5
	v_bfe_i32 v1, v1, 0, 16
	v_dual_add_f32 v12, -0.5, v12 :: v_dual_lshrrev_b32 v11, 4, v10
	v_cmp_gt_u32_e32 vcc_lo, 0x8000000, v10
	s_delay_alu instid0(VALU_DEP_2) | instskip(NEXT) | instid1(VALU_DEP_1)
	v_or_b32_e32 v11, 0x70000000, v11
	v_mul_f32_e32 v11, 0x7800000, v11
	s_delay_alu instid0(VALU_DEP_1) | instskip(NEXT) | instid1(VALU_DEP_1)
	v_cndmask_b32_e32 v12, v11, v12, vcc_lo
	v_and_or_b32 v10, 0x80000000, v1, v12
	v_mov_b32_e32 v1, 0x80
	s_delay_alu instid0(VALU_DEP_2) | instskip(SKIP_1) | instid1(VALU_DEP_1)
	v_and_b32_e32 v11, 0x7fffffff, v10
	s_wait_xcnt 0x0
	v_cmpx_gt_u32_e32 0x47800000, v11
	s_cbranch_execz .LBB253_355
; %bb.350:
	v_cmp_lt_u32_e32 vcc_lo, 0x37ffffff, v11
	s_mov_b32 s7, 0
                                        ; implicit-def: $vgpr11
	s_and_saveexec_b32 s8, vcc_lo
	s_delay_alu instid0(SALU_CYCLE_1)
	s_xor_b32 s8, exec_lo, s8
	s_cbranch_execnz .LBB253_524
; %bb.351:
	s_and_not1_saveexec_b32 s8, s8
	s_cbranch_execnz .LBB253_525
.LBB253_352:
	s_or_b32 exec_lo, exec_lo, s8
	v_mov_b32_e32 v1, 0
	s_and_saveexec_b32 s8, s7
.LBB253_353:
	v_lshrrev_b32_e32 v1, 24, v10
	s_delay_alu instid0(VALU_DEP_1)
	v_and_or_b32 v1, 0x80, v1, v11
.LBB253_354:
	s_or_b32 exec_lo, exec_lo, s8
.LBB253_355:
	s_delay_alu instid0(SALU_CYCLE_1)
	s_or_b32 exec_lo, exec_lo, s6
.LBB253_356:
	s_delay_alu instid0(SALU_CYCLE_1) | instskip(NEXT) | instid1(SALU_CYCLE_1)
	s_or_b32 exec_lo, exec_lo, s5
	s_or_b32 s5, s3, exec_lo
                                        ; implicit-def: $vgpr10
.LBB253_357:
	s_or_saveexec_b32 s0, s0
	s_mov_b32 s6, 0
	s_mov_b32 s7, s4
	s_xor_b32 exec_lo, exec_lo, s0
	s_cbranch_execz .LBB253_371
; %bb.358:
	s_mov_b32 s7, s4
	s_mov_b32 s8, s5
	s_mov_b32 s6, exec_lo
                                        ; implicit-def: $vgpr1
	v_cmpx_lt_i16_e32 14, v10
	s_xor_b32 s6, exec_lo, s6
	s_cbranch_execz .LBB253_368
; %bb.359:
	s_mov_b32 s8, -1
	s_mov_b32 s9, s5
	s_mov_b32 s7, exec_lo
                                        ; implicit-def: $vgpr1
	v_cmpx_eq_u16_e32 15, v10
	s_cbranch_execz .LBB253_367
; %bb.360:
	flat_load_u16 v10, v[8:9]
	s_mov_b32 s8, exec_lo
	s_wait_loadcnt_dscnt 0x0
	v_dual_mov_b32 v1, 0x80 :: v_dual_lshlrev_b32 v12, 16, v10
	s_delay_alu instid0(VALU_DEP_1) | instskip(SKIP_1) | instid1(VALU_DEP_1)
	v_and_b32_e32 v11, 0x7fffffff, v12
	s_wait_xcnt 0x0
	v_cmpx_gt_u32_e32 0x47800000, v11
	s_cbranch_execz .LBB253_366
; %bb.361:
	v_cmp_lt_u32_e32 vcc_lo, 0x37ffffff, v11
	s_mov_b32 s9, 0
                                        ; implicit-def: $vgpr11
	s_and_saveexec_b32 s10, vcc_lo
	s_delay_alu instid0(SALU_CYCLE_1)
	s_xor_b32 s10, exec_lo, s10
	s_cbranch_execnz .LBB253_562
; %bb.362:
	s_and_not1_saveexec_b32 s10, s10
	s_cbranch_execnz .LBB253_563
.LBB253_363:
	s_or_b32 exec_lo, exec_lo, s10
	v_mov_b32_e32 v1, 0
	s_and_saveexec_b32 s10, s9
.LBB253_364:
	v_lshrrev_b32_e32 v1, 8, v10
	s_delay_alu instid0(VALU_DEP_1)
	v_and_or_b32 v1, 0x80, v1, v11
.LBB253_365:
	s_or_b32 exec_lo, exec_lo, s10
.LBB253_366:
	s_delay_alu instid0(SALU_CYCLE_1) | instskip(NEXT) | instid1(SALU_CYCLE_1)
	s_or_b32 exec_lo, exec_lo, s8
	s_or_b32 s9, s5, exec_lo
	s_xor_b32 s8, exec_lo, -1
.LBB253_367:
	s_or_b32 exec_lo, exec_lo, s7
	s_delay_alu instid0(SALU_CYCLE_1)
	s_and_not1_b32 s7, s5, exec_lo
	s_and_b32 s9, s9, exec_lo
	s_and_not1_b32 s10, s4, exec_lo
	s_and_b32 s11, s8, exec_lo
	s_or_b32 s8, s7, s9
	s_or_b32 s7, s10, s11
                                        ; implicit-def: $vgpr10
.LBB253_368:
	s_or_saveexec_b32 s6, s6
	s_mov_b32 s9, 0
	s_xor_b32 exec_lo, exec_lo, s6
; %bb.369:
	v_cmp_ne_u16_e32 vcc_lo, 11, v10
	s_and_not1_b32 s7, s7, exec_lo
	s_mov_b32 s9, exec_lo
	s_and_b32 s10, vcc_lo, exec_lo
	s_delay_alu instid0(SALU_CYCLE_1)
	s_or_b32 s7, s7, s10
; %bb.370:
	s_or_b32 exec_lo, exec_lo, s6
	s_delay_alu instid0(SALU_CYCLE_1)
	s_and_not1_b32 s5, s5, exec_lo
	s_and_b32 s6, s8, exec_lo
	s_and_not1_b32 s8, s4, exec_lo
	s_and_b32 s7, s7, exec_lo
	s_or_b32 s5, s5, s6
	s_and_b32 s6, s9, exec_lo
	s_or_b32 s7, s8, s7
.LBB253_371:
	s_or_b32 exec_lo, exec_lo, s0
	s_delay_alu instid0(SALU_CYCLE_1)
	s_and_not1_b32 s0, s3, exec_lo
	s_and_b32 s3, s5, exec_lo
	s_and_not1_b32 s4, s4, exec_lo
	s_and_b32 s5, s7, exec_lo
	s_or_b32 s3, s0, s3
	s_and_b32 s0, s6, exec_lo
	s_or_b32 s4, s4, s5
	s_or_b32 exec_lo, exec_lo, s2
	s_mov_b32 s2, 0
	s_and_saveexec_b32 s5, s4
	s_cbranch_execz .LBB253_4
.LBB253_372:
	s_mov_b32 s2, exec_lo
	s_and_not1_b32 s0, s0, exec_lo
	s_trap 2
	s_or_b32 exec_lo, exec_lo, s5
	s_and_saveexec_b32 s4, s0
	s_delay_alu instid0(SALU_CYCLE_1)
	s_xor_b32 s0, exec_lo, s4
	s_cbranch_execnz .LBB253_5
	s_branch .LBB253_12
.LBB253_373:
	s_mov_b32 s7, 0
	s_mov_b32 s5, exec_lo
                                        ; implicit-def: $vgpr11
	v_cmpx_lt_i16_e32 28, v10
	s_xor_b32 s5, exec_lo, s5
	s_cbranch_execz .LBB253_407
; %bb.374:
	s_mov_b32 s8, 0
	s_mov_b32 s9, 0
	s_mov_b32 s6, exec_lo
                                        ; implicit-def: $vgpr11
	v_cmpx_lt_i16_e32 43, v10
	s_xor_b32 s6, exec_lo, s6
	s_cbranch_execz .LBB253_396
; %bb.375:
	s_mov_b32 s9, exec_lo
                                        ; implicit-def: $vgpr11
	v_cmpx_lt_i16_e32 45, v10
	s_xor_b32 s9, exec_lo, s9
	s_cbranch_execz .LBB253_385
; %bb.376:
	s_mov_b32 s10, -1
	s_mov_b32 s7, exec_lo
                                        ; implicit-def: $vgpr11
	v_cmpx_eq_u16_e32 46, v10
	s_cbranch_execz .LBB253_384
; %bb.377:
	flat_load_b32 v2, v[8:9]
	s_mov_b32 s8, exec_lo
	s_wait_loadcnt_dscnt 0x0
	v_dual_mov_b32 v11, 0x80 :: v_dual_lshlrev_b32 v2, 16, v2
	s_delay_alu instid0(VALU_DEP_1) | instskip(SKIP_1) | instid1(VALU_DEP_1)
	v_and_b32_e32 v3, 0x7fffffff, v2
	s_wait_xcnt 0x0
	v_cmpx_gt_u32_e32 0x47800000, v3
	s_cbranch_execz .LBB253_383
; %bb.378:
	v_cmp_lt_u32_e32 vcc_lo, 0x37ffffff, v3
	s_mov_b32 s10, 0
                                        ; implicit-def: $vgpr3
	s_and_saveexec_b32 s11, vcc_lo
	s_delay_alu instid0(SALU_CYCLE_1)
	s_xor_b32 s11, exec_lo, s11
	s_cbranch_execnz .LBB253_582
; %bb.379:
	s_and_not1_saveexec_b32 s11, s11
	s_cbranch_execnz .LBB253_583
.LBB253_380:
	s_or_b32 exec_lo, exec_lo, s11
	v_mov_b32_e32 v11, 0
	s_and_saveexec_b32 s11, s10
.LBB253_381:
	v_lshrrev_b32_e32 v2, 24, v2
	s_delay_alu instid0(VALU_DEP_1)
	v_and_or_b32 v11, 0x80, v2, v3
.LBB253_382:
	s_or_b32 exec_lo, exec_lo, s11
.LBB253_383:
	s_delay_alu instid0(SALU_CYCLE_1) | instskip(NEXT) | instid1(SALU_CYCLE_1)
	s_or_b32 exec_lo, exec_lo, s8
	s_mov_b32 s8, exec_lo
	s_xor_b32 s10, exec_lo, -1
.LBB253_384:
	s_or_b32 exec_lo, exec_lo, s7
	s_delay_alu instid0(SALU_CYCLE_1)
	s_and_b32 s8, s8, exec_lo
	s_and_b32 s7, s10, exec_lo
.LBB253_385:
	s_and_not1_saveexec_b32 s9, s9
	s_cbranch_execz .LBB253_395
; %bb.386:
	s_mov_b32 s11, -1
	s_mov_b32 s12, s8
	s_mov_b32 s10, exec_lo
                                        ; implicit-def: $vgpr11
	v_cmpx_eq_u16_e32 44, v10
	s_cbranch_execz .LBB253_394
; %bb.387:
	flat_load_u8 v2, v[8:9]
	v_mov_b32_e32 v11, 0x80
	s_mov_b32 s12, 0
	s_mov_b32 s11, exec_lo
	s_wait_loadcnt_dscnt 0x0
	v_lshlrev_b32_e32 v3, 23, v2
	v_cmp_ne_u32_e32 vcc_lo, 0xff, v2
	s_delay_alu instid0(VALU_DEP_2) | instskip(SKIP_1) | instid1(VALU_DEP_2)
	v_cndmask_b32_e32 v3, 0x7f800001, v3, vcc_lo
	v_cmp_ne_u32_e32 vcc_lo, 0, v2
	v_cndmask_b32_e32 v3, 0x400000, v3, vcc_lo
	s_wait_xcnt 0x0
	s_delay_alu instid0(VALU_DEP_1)
	v_cmpx_gt_u32_e32 0x47800000, v3
	s_cbranch_execz .LBB253_393
; %bb.388:
	s_mov_b32 s13, exec_lo
                                        ; implicit-def: $vgpr2
	v_cmpx_lt_u32_e32 0x37ffffff, v3
	s_xor_b32 s13, exec_lo, s13
	s_cbranch_execnz .LBB253_584
; %bb.389:
	s_and_not1_saveexec_b32 s13, s13
	s_cbranch_execnz .LBB253_585
.LBB253_390:
	s_or_b32 exec_lo, exec_lo, s13
	v_mov_b32_e32 v11, 0
	s_and_saveexec_b32 s13, s12
.LBB253_391:
	v_mov_b32_e32 v11, v2
.LBB253_392:
	s_or_b32 exec_lo, exec_lo, s13
.LBB253_393:
	s_delay_alu instid0(SALU_CYCLE_1) | instskip(NEXT) | instid1(SALU_CYCLE_1)
	s_or_b32 exec_lo, exec_lo, s11
	s_or_b32 s12, s8, exec_lo
	s_xor_b32 s11, exec_lo, -1
.LBB253_394:
	s_or_b32 exec_lo, exec_lo, s10
	s_delay_alu instid0(SALU_CYCLE_1)
	s_and_not1_b32 s8, s8, exec_lo
	s_and_b32 s10, s12, exec_lo
	s_and_not1_b32 s7, s7, exec_lo
	s_and_b32 s11, s11, exec_lo
	s_or_b32 s8, s8, s10
	s_or_b32 s7, s7, s11
.LBB253_395:
	s_or_b32 exec_lo, exec_lo, s9
	s_delay_alu instid0(SALU_CYCLE_1)
	s_and_b32 s9, s8, exec_lo
	s_and_b32 s8, s7, exec_lo
.LBB253_396:
	s_and_not1_saveexec_b32 s6, s6
	s_cbranch_execz .LBB253_406
; %bb.397:
	s_mov_b32 s10, -1
	s_mov_b32 s11, s9
	s_mov_b32 s7, exec_lo
                                        ; implicit-def: $vgpr11
	v_cmpx_eq_u16_e32 29, v10
	s_cbranch_execz .LBB253_405
; %bb.398:
	flat_load_b64 v[2:3], v[8:9]
	v_mov_b32_e32 v11, 0x80
	s_mov_b32 s10, exec_lo
	s_wait_loadcnt_dscnt 0x0
	v_clz_i32_u32_e32 v4, v3
	s_delay_alu instid0(VALU_DEP_1) | instskip(NEXT) | instid1(VALU_DEP_1)
	v_min_u32_e32 v4, 32, v4
	v_lshlrev_b64_e32 v[2:3], v4, v[2:3]
	s_delay_alu instid0(VALU_DEP_1) | instskip(NEXT) | instid1(VALU_DEP_1)
	v_min_u32_e32 v2, 1, v2
	v_dual_sub_nc_u32 v3, 32, v4 :: v_dual_bitop2_b32 v2, v3, v2 bitop3:0x54
	s_delay_alu instid0(VALU_DEP_1) | instskip(NEXT) | instid1(VALU_DEP_1)
	v_cvt_f32_u32_e32 v2, v2
	v_ldexp_f32 v3, v2, v3
	s_wait_xcnt 0x0
	s_delay_alu instid0(VALU_DEP_1)
	v_cmpx_gt_u32_e32 0x47800000, v3
	s_cbranch_execz .LBB253_404
; %bb.399:
	s_mov_b32 s11, 0
	s_mov_b32 s12, exec_lo
                                        ; implicit-def: $vgpr2
	v_cmpx_lt_u32_e32 0x37ffffff, v3
	s_xor_b32 s12, exec_lo, s12
	s_cbranch_execnz .LBB253_572
; %bb.400:
	s_and_not1_saveexec_b32 s12, s12
	s_cbranch_execnz .LBB253_573
.LBB253_401:
	s_or_b32 exec_lo, exec_lo, s12
	v_mov_b32_e32 v11, 0
	s_and_saveexec_b32 s12, s11
.LBB253_402:
	v_mov_b32_e32 v11, v2
.LBB253_403:
	s_or_b32 exec_lo, exec_lo, s12
.LBB253_404:
	s_delay_alu instid0(SALU_CYCLE_1) | instskip(NEXT) | instid1(SALU_CYCLE_1)
	s_or_b32 exec_lo, exec_lo, s10
	s_or_b32 s11, s9, exec_lo
	s_xor_b32 s10, exec_lo, -1
.LBB253_405:
	s_or_b32 exec_lo, exec_lo, s7
	s_delay_alu instid0(SALU_CYCLE_1)
	s_and_not1_b32 s7, s9, exec_lo
	s_and_b32 s9, s11, exec_lo
	s_and_not1_b32 s8, s8, exec_lo
	s_and_b32 s10, s10, exec_lo
	s_or_b32 s9, s7, s9
	s_or_b32 s8, s8, s10
.LBB253_406:
	s_or_b32 exec_lo, exec_lo, s6
	s_delay_alu instid0(SALU_CYCLE_1)
	s_and_b32 s7, s9, exec_lo
	s_and_b32 s6, s8, exec_lo
.LBB253_407:
	s_and_not1_saveexec_b32 s5, s5
	s_cbranch_execz .LBB253_439
; %bb.408:
	s_mov_b32 s8, exec_lo
                                        ; implicit-def: $vgpr11
	v_cmpx_lt_i16_e32 26, v10
	s_xor_b32 s8, exec_lo, s8
	s_cbranch_execz .LBB253_426
; %bb.409:
	s_mov_b32 s9, exec_lo
                                        ; implicit-def: $vgpr11
	v_cmpx_lt_i16_e32 27, v10
	s_xor_b32 s9, exec_lo, s9
	s_cbranch_execz .LBB253_417
; %bb.410:
	flat_load_b32 v2, v[8:9]
	v_mov_b32_e32 v11, 0x80
	s_mov_b32 s10, exec_lo
	s_wait_loadcnt_dscnt 0x0
	v_cvt_f32_u32_e32 v3, v2
	s_wait_xcnt 0x0
	s_delay_alu instid0(VALU_DEP_1)
	v_cmpx_gt_u32_e32 0x47800000, v3
	s_cbranch_execz .LBB253_416
; %bb.411:
	s_mov_b32 s11, 0
	s_mov_b32 s12, exec_lo
                                        ; implicit-def: $vgpr2
	v_cmpx_lt_u32_e32 0x37ffffff, v3
	s_xor_b32 s12, exec_lo, s12
	s_cbranch_execnz .LBB253_574
; %bb.412:
	s_and_not1_saveexec_b32 s12, s12
	s_cbranch_execnz .LBB253_575
.LBB253_413:
	s_or_b32 exec_lo, exec_lo, s12
	v_mov_b32_e32 v11, 0
	s_and_saveexec_b32 s12, s11
.LBB253_414:
	v_mov_b32_e32 v11, v2
.LBB253_415:
	s_or_b32 exec_lo, exec_lo, s12
.LBB253_416:
	s_delay_alu instid0(SALU_CYCLE_1)
	s_or_b32 exec_lo, exec_lo, s10
.LBB253_417:
	s_and_not1_saveexec_b32 s9, s9
	s_cbranch_execz .LBB253_425
; %bb.418:
	flat_load_u16 v2, v[8:9]
	v_mov_b32_e32 v11, 0x80
	s_mov_b32 s10, exec_lo
	s_wait_loadcnt_dscnt 0x0
	v_cvt_f32_u32_e32 v3, v2
	s_wait_xcnt 0x0
	s_delay_alu instid0(VALU_DEP_1)
	v_cmpx_gt_u32_e32 0x47800000, v3
	s_cbranch_execz .LBB253_424
; %bb.419:
	s_mov_b32 s11, 0
	s_mov_b32 s12, exec_lo
                                        ; implicit-def: $vgpr2
	v_cmpx_lt_u32_e32 0x37ffffff, v3
	s_xor_b32 s12, exec_lo, s12
	s_cbranch_execnz .LBB253_576
; %bb.420:
	s_and_not1_saveexec_b32 s12, s12
	s_cbranch_execnz .LBB253_577
.LBB253_421:
	s_or_b32 exec_lo, exec_lo, s12
	v_mov_b32_e32 v11, 0
	s_and_saveexec_b32 s12, s11
.LBB253_422:
	v_mov_b32_e32 v11, v2
.LBB253_423:
	s_or_b32 exec_lo, exec_lo, s12
.LBB253_424:
	s_delay_alu instid0(SALU_CYCLE_1)
	s_or_b32 exec_lo, exec_lo, s10
.LBB253_425:
	s_delay_alu instid0(SALU_CYCLE_1)
	s_or_b32 exec_lo, exec_lo, s9
.LBB253_426:
	s_and_not1_saveexec_b32 s8, s8
	s_cbranch_execz .LBB253_438
; %bb.427:
	flat_load_u8 v3, v[8:9]
	s_mov_b32 s9, 0
	s_mov_b32 s10, exec_lo
	s_wait_loadcnt_dscnt 0x0
	v_cmpx_lt_i16_e32 0x7f, v3
	s_xor_b32 s10, exec_lo, s10
	s_cbranch_execnz .LBB253_526
; %bb.428:
	s_or_saveexec_b32 s10, s10
	v_mov_b32_e32 v2, 0x7f800001
	s_xor_b32 exec_lo, exec_lo, s10
	s_cbranch_execnz .LBB253_529
.LBB253_429:
	s_or_b32 exec_lo, exec_lo, s10
	s_and_saveexec_b32 s10, s9
	s_cbranch_execz .LBB253_431
.LBB253_430:
	v_and_b32_e32 v2, 0xffff, v3
	s_delay_alu instid0(VALU_DEP_1) | instskip(SKIP_1) | instid1(VALU_DEP_2)
	v_and_b32_e32 v4, 7, v2
	v_bfe_u32 v7, v2, 3, 4
	v_clz_i32_u32_e32 v5, v4
	s_delay_alu instid0(VALU_DEP_2) | instskip(NEXT) | instid1(VALU_DEP_2)
	v_cmp_eq_u32_e32 vcc_lo, 0, v7
	v_min_u32_e32 v5, 32, v5
	s_delay_alu instid0(VALU_DEP_1) | instskip(NEXT) | instid1(VALU_DEP_1)
	v_subrev_nc_u32_e32 v6, 28, v5
	v_dual_lshlrev_b32 v2, v6, v2 :: v_dual_sub_nc_u32 v5, 29, v5
	s_delay_alu instid0(VALU_DEP_1) | instskip(NEXT) | instid1(VALU_DEP_1)
	v_dual_lshlrev_b32 v3, 24, v3 :: v_dual_bitop2_b32 v2, 7, v2 bitop3:0x40
	v_dual_cndmask_b32 v5, v7, v5 :: v_dual_cndmask_b32 v2, v4, v2
	s_delay_alu instid0(VALU_DEP_2) | instskip(NEXT) | instid1(VALU_DEP_2)
	v_and_b32_e32 v3, 0x80000000, v3
	v_lshl_add_u32 v4, v5, 23, 0x3b800000
	s_delay_alu instid0(VALU_DEP_3) | instskip(NEXT) | instid1(VALU_DEP_1)
	v_lshlrev_b32_e32 v2, 20, v2
	v_or3_b32 v2, v3, v4, v2
.LBB253_431:
	s_or_b32 exec_lo, exec_lo, s10
	s_delay_alu instid0(VALU_DEP_1) | instskip(SKIP_2) | instid1(VALU_DEP_2)
	v_and_b32_e32 v3, 0x7fffffff, v2
	v_mov_b32_e32 v11, 0x80
	s_mov_b32 s9, exec_lo
	v_cmpx_gt_u32_e32 0x47800000, v3
	s_cbranch_execz .LBB253_437
; %bb.432:
	v_cmp_lt_u32_e32 vcc_lo, 0x37ffffff, v3
	s_mov_b32 s10, 0
                                        ; implicit-def: $vgpr3
	s_and_saveexec_b32 s11, vcc_lo
	s_delay_alu instid0(SALU_CYCLE_1)
	s_xor_b32 s11, exec_lo, s11
	s_cbranch_execnz .LBB253_564
; %bb.433:
	s_and_not1_saveexec_b32 s11, s11
	s_cbranch_execnz .LBB253_565
.LBB253_434:
	s_or_b32 exec_lo, exec_lo, s11
	v_mov_b32_e32 v11, 0
	s_and_saveexec_b32 s11, s10
.LBB253_435:
	v_lshrrev_b32_e32 v2, 24, v2
	s_delay_alu instid0(VALU_DEP_1)
	v_and_or_b32 v11, 0x80, v2, v3
.LBB253_436:
	s_or_b32 exec_lo, exec_lo, s11
.LBB253_437:
	s_delay_alu instid0(SALU_CYCLE_1)
	s_or_b32 exec_lo, exec_lo, s9
.LBB253_438:
	s_delay_alu instid0(SALU_CYCLE_1) | instskip(NEXT) | instid1(SALU_CYCLE_1)
	s_or_b32 exec_lo, exec_lo, s8
	s_or_b32 s7, s7, exec_lo
.LBB253_439:
	s_or_b32 exec_lo, exec_lo, s5
	s_delay_alu instid0(SALU_CYCLE_1)
	s_and_b32 s5, s7, exec_lo
	s_and_b32 s6, s6, exec_lo
	s_and_not1_saveexec_b32 s4, s4
	s_cbranch_execz .LBB253_130
.LBB253_440:
	s_mov_b32 s7, s5
	s_mov_b32 s3, exec_lo
                                        ; implicit-def: $vgpr11
	v_cmpx_lt_i16_e32 22, v10
	s_xor_b32 s3, exec_lo, s3
	s_cbranch_execz .LBB253_462
; %bb.441:
	s_mov_b32 s7, exec_lo
                                        ; implicit-def: $vgpr11
	v_cmpx_lt_i16_e32 23, v10
	s_xor_b32 s7, exec_lo, s7
	s_cbranch_execz .LBB253_453
; %bb.442:
	s_mov_b32 s8, exec_lo
                                        ; implicit-def: $vgpr11
	v_cmpx_lt_i16_e32 24, v10
	s_xor_b32 s8, exec_lo, s8
	s_cbranch_execz .LBB253_444
; %bb.443:
	flat_load_u8 v11, v[8:9]
.LBB253_444:
	s_wait_xcnt 0x0
	s_and_not1_saveexec_b32 s8, s8
	s_cbranch_execz .LBB253_452
; %bb.445:
	flat_load_u8 v2, v[8:9]
	s_mov_b32 s10, 0
	s_mov_b32 s9, exec_lo
	s_wait_loadcnt_dscnt 0x0
	v_dual_mov_b32 v11, 0x80 :: v_dual_lshlrev_b32 v2, 24, v2
	s_delay_alu instid0(VALU_DEP_1) | instskip(NEXT) | instid1(VALU_DEP_1)
	v_and_b32_e32 v3, 0x7f000000, v2
	v_clz_i32_u32_e32 v4, v3
	v_add_nc_u32_e32 v6, 0x1000000, v3
	v_cmp_ne_u32_e32 vcc_lo, 0, v3
	s_delay_alu instid0(VALU_DEP_3) | instskip(NEXT) | instid1(VALU_DEP_1)
	v_min_u32_e32 v4, 32, v4
	v_sub_nc_u32_e64 v4, v4, 4 clamp
	s_delay_alu instid0(VALU_DEP_1) | instskip(NEXT) | instid1(VALU_DEP_1)
	v_dual_lshlrev_b32 v5, v4, v3 :: v_dual_lshlrev_b32 v4, 23, v4
	v_lshrrev_b32_e32 v5, 4, v5
	s_delay_alu instid0(VALU_DEP_1) | instskip(NEXT) | instid1(VALU_DEP_1)
	v_dual_sub_nc_u32 v4, v5, v4 :: v_dual_ashrrev_i32 v5, 8, v6
	v_add_nc_u32_e32 v4, 0x3c000000, v4
	s_delay_alu instid0(VALU_DEP_1) | instskip(NEXT) | instid1(VALU_DEP_1)
	v_and_or_b32 v4, 0x7f800000, v5, v4
	v_cndmask_b32_e32 v4, 0, v4, vcc_lo
	s_delay_alu instid0(VALU_DEP_1) | instskip(NEXT) | instid1(VALU_DEP_1)
	v_and_or_b32 v2, 0x80000000, v2, v4
	v_and_b32_e32 v3, 0x7fffffff, v2
	s_wait_xcnt 0x0
	s_delay_alu instid0(VALU_DEP_1)
	v_cmpx_gt_u32_e32 0x47800000, v3
	s_cbranch_execz .LBB253_451
; %bb.446:
	v_cmp_lt_u32_e32 vcc_lo, 0x37ffffff, v3
                                        ; implicit-def: $vgpr3
	s_and_saveexec_b32 s11, vcc_lo
	s_delay_alu instid0(SALU_CYCLE_1)
	s_xor_b32 s11, exec_lo, s11
	s_cbranch_execnz .LBB253_578
; %bb.447:
	s_and_not1_saveexec_b32 s11, s11
	s_cbranch_execnz .LBB253_579
.LBB253_448:
	s_or_b32 exec_lo, exec_lo, s11
	v_mov_b32_e32 v11, 0
	s_and_saveexec_b32 s11, s10
.LBB253_449:
	v_lshrrev_b32_e32 v2, 24, v2
	s_delay_alu instid0(VALU_DEP_1)
	v_and_or_b32 v11, 0x80, v2, v3
.LBB253_450:
	s_or_b32 exec_lo, exec_lo, s11
.LBB253_451:
	s_delay_alu instid0(SALU_CYCLE_1)
	s_or_b32 exec_lo, exec_lo, s9
.LBB253_452:
	s_delay_alu instid0(SALU_CYCLE_1)
	s_or_b32 exec_lo, exec_lo, s8
.LBB253_453:
	s_and_not1_saveexec_b32 s7, s7
	s_cbranch_execz .LBB253_461
; %bb.454:
	flat_load_u8 v2, v[8:9]
	s_mov_b32 s8, exec_lo
	s_wait_loadcnt_dscnt 0x101
	v_mov_b32_e32 v11, 0x80
	s_wait_loadcnt_dscnt 0x0
	v_lshlrev_b32_e32 v3, 25, v2
	v_lshlrev_b16 v2, 8, v2
	s_delay_alu instid0(VALU_DEP_1) | instskip(SKIP_1) | instid1(VALU_DEP_2)
	v_and_or_b32 v5, 0x7f00, v2, 0.5
	v_bfe_i32 v2, v2, 0, 16
	v_dual_add_f32 v5, -0.5, v5 :: v_dual_lshrrev_b32 v4, 4, v3
	v_cmp_gt_u32_e32 vcc_lo, 0x8000000, v3
	s_delay_alu instid0(VALU_DEP_2) | instskip(NEXT) | instid1(VALU_DEP_1)
	v_or_b32_e32 v4, 0x70000000, v4
	v_mul_f32_e32 v4, 0x7800000, v4
	s_delay_alu instid0(VALU_DEP_1) | instskip(NEXT) | instid1(VALU_DEP_1)
	v_cndmask_b32_e32 v4, v4, v5, vcc_lo
	v_and_or_b32 v2, 0x80000000, v2, v4
	s_delay_alu instid0(VALU_DEP_1) | instskip(SKIP_1) | instid1(VALU_DEP_1)
	v_and_b32_e32 v3, 0x7fffffff, v2
	s_wait_xcnt 0x0
	v_cmpx_gt_u32_e32 0x47800000, v3
	s_cbranch_execz .LBB253_460
; %bb.455:
	v_cmp_lt_u32_e32 vcc_lo, 0x37ffffff, v3
	s_mov_b32 s9, 0
                                        ; implicit-def: $vgpr3
	s_and_saveexec_b32 s10, vcc_lo
	s_delay_alu instid0(SALU_CYCLE_1)
	s_xor_b32 s10, exec_lo, s10
	s_cbranch_execnz .LBB253_566
; %bb.456:
	s_and_not1_saveexec_b32 s10, s10
	s_cbranch_execnz .LBB253_567
.LBB253_457:
	s_or_b32 exec_lo, exec_lo, s10
	v_mov_b32_e32 v11, 0
	s_and_saveexec_b32 s10, s9
.LBB253_458:
	v_lshrrev_b32_e32 v2, 24, v2
	s_delay_alu instid0(VALU_DEP_1)
	v_and_or_b32 v11, 0x80, v2, v3
.LBB253_459:
	s_or_b32 exec_lo, exec_lo, s10
.LBB253_460:
	s_delay_alu instid0(SALU_CYCLE_1)
	s_or_b32 exec_lo, exec_lo, s8
.LBB253_461:
	s_delay_alu instid0(SALU_CYCLE_1) | instskip(NEXT) | instid1(SALU_CYCLE_1)
	s_or_b32 exec_lo, exec_lo, s7
	s_or_b32 s7, s5, exec_lo
.LBB253_462:
	s_or_saveexec_b32 s3, s3
	s_mov_b32 s8, 0
	s_mov_b32 s9, s6
	s_xor_b32 exec_lo, exec_lo, s3
	s_cbranch_execz .LBB253_476
; %bb.463:
	s_mov_b32 s9, s6
	s_mov_b32 s10, s7
	s_mov_b32 s8, exec_lo
                                        ; implicit-def: $vgpr11
	v_cmpx_lt_i16_e32 14, v10
	s_xor_b32 s8, exec_lo, s8
	s_cbranch_execz .LBB253_473
; %bb.464:
	s_mov_b32 s10, -1
	s_mov_b32 s11, s7
	s_mov_b32 s9, exec_lo
                                        ; implicit-def: $vgpr11
	v_cmpx_eq_u16_e32 15, v10
	s_cbranch_execz .LBB253_472
; %bb.465:
	flat_load_u16 v2, v[8:9]
	s_mov_b32 s10, exec_lo
	s_wait_loadcnt_dscnt 0x0
	v_dual_mov_b32 v11, 0x80 :: v_dual_lshlrev_b32 v4, 16, v2
	s_delay_alu instid0(VALU_DEP_1) | instskip(SKIP_1) | instid1(VALU_DEP_1)
	v_and_b32_e32 v3, 0x7fffffff, v4
	s_wait_xcnt 0x0
	v_cmpx_gt_u32_e32 0x47800000, v3
	s_cbranch_execz .LBB253_471
; %bb.466:
	v_cmp_lt_u32_e32 vcc_lo, 0x37ffffff, v3
	s_mov_b32 s11, 0
                                        ; implicit-def: $vgpr3
	s_and_saveexec_b32 s12, vcc_lo
	s_delay_alu instid0(SALU_CYCLE_1)
	s_xor_b32 s12, exec_lo, s12
	s_cbranch_execnz .LBB253_580
; %bb.467:
	s_and_not1_saveexec_b32 s12, s12
	s_cbranch_execnz .LBB253_581
.LBB253_468:
	s_or_b32 exec_lo, exec_lo, s12
	v_mov_b32_e32 v11, 0
	s_and_saveexec_b32 s12, s11
.LBB253_469:
	v_lshrrev_b32_e32 v2, 8, v2
	s_delay_alu instid0(VALU_DEP_1)
	v_and_or_b32 v11, 0x80, v2, v3
.LBB253_470:
	s_or_b32 exec_lo, exec_lo, s12
.LBB253_471:
	s_delay_alu instid0(SALU_CYCLE_1) | instskip(NEXT) | instid1(SALU_CYCLE_1)
	s_or_b32 exec_lo, exec_lo, s10
	s_or_b32 s11, s7, exec_lo
	s_xor_b32 s10, exec_lo, -1
.LBB253_472:
	s_or_b32 exec_lo, exec_lo, s9
	s_delay_alu instid0(SALU_CYCLE_1)
	s_and_not1_b32 s9, s7, exec_lo
	s_and_b32 s11, s11, exec_lo
	s_and_not1_b32 s12, s6, exec_lo
	s_and_b32 s13, s10, exec_lo
	s_or_b32 s10, s9, s11
	s_or_b32 s9, s12, s13
.LBB253_473:
	s_or_saveexec_b32 s11, s8
	s_mov_b32 s8, 0
	s_xor_b32 exec_lo, exec_lo, s11
; %bb.474:
	v_cmp_ne_u16_e32 vcc_lo, 11, v10
	s_and_not1_b32 s9, s9, exec_lo
	s_mov_b32 s8, exec_lo
	s_and_b32 s12, vcc_lo, exec_lo
	s_delay_alu instid0(SALU_CYCLE_1)
	s_or_b32 s9, s9, s12
; %bb.475:
	s_or_b32 exec_lo, exec_lo, s11
	s_delay_alu instid0(SALU_CYCLE_1)
	s_and_not1_b32 s7, s7, exec_lo
	s_and_b32 s10, s10, exec_lo
	s_and_b32 s9, s9, exec_lo
	s_or_b32 s7, s7, s10
	s_and_not1_b32 s10, s6, exec_lo
	s_and_b32 s8, s8, exec_lo
	s_or_b32 s9, s10, s9
.LBB253_476:
	s_or_b32 exec_lo, exec_lo, s3
	s_delay_alu instid0(SALU_CYCLE_1)
	s_and_not1_b32 s3, s5, exec_lo
	s_and_b32 s5, s7, exec_lo
	s_and_not1_b32 s6, s6, exec_lo
	s_and_b32 s7, s9, exec_lo
	s_or_b32 s5, s3, s5
	s_and_b32 s3, s8, exec_lo
	s_or_b32 s6, s6, s7
	s_or_b32 exec_lo, exec_lo, s4
	s_mov_b32 s7, s0
	s_and_saveexec_b32 s4, s6
	s_cbranch_execz .LBB253_131
.LBB253_477:
	s_and_not1_b32 s3, s3, exec_lo
	s_or_b32 s7, s0, exec_lo
	s_trap 2
	s_branch .LBB253_131
.LBB253_478:
	v_bfe_u32 v2, v3, 21, 1
	s_mov_b32 s3, exec_lo
	s_delay_alu instid0(VALU_DEP_1) | instskip(NEXT) | instid1(VALU_DEP_1)
	v_add3_u32 v2, v3, v2, 0x88fffff
                                        ; implicit-def: $vgpr3
	v_lshrrev_b32_e32 v2, 21, v2
	s_and_not1_saveexec_b32 s5, s5
	s_cbranch_execz .LBB253_137
.LBB253_479:
	v_add_f32_e32 v2, 0x42800000, v3
	s_and_not1_b32 s3, s3, exec_lo
	s_delay_alu instid0(VALU_DEP_1) | instskip(NEXT) | instid1(VALU_DEP_1)
	v_and_b32_e32 v2, 0xff, v2
	v_cmp_ne_u32_e32 vcc_lo, 0, v2
	s_and_b32 s6, vcc_lo, exec_lo
	s_delay_alu instid0(SALU_CYCLE_1)
	s_or_b32 s3, s3, s6
	s_or_b32 exec_lo, exec_lo, s5
	v_mov_b32_e32 v11, 0
	s_and_saveexec_b32 s5, s3
	s_cbranch_execnz .LBB253_138
	s_branch .LBB253_139
.LBB253_480:
	s_mov_b32 s1, -1
	s_mov_b32 s4, exec_lo
	v_cmpx_eq_u16_e32 0x80, v2
; %bb.481:
	s_xor_b32 s1, exec_lo, -1
; %bb.482:
	s_or_b32 exec_lo, exec_lo, s4
	s_delay_alu instid0(SALU_CYCLE_1)
	s_and_b32 s1, s1, exec_lo
                                        ; implicit-def: $vgpr2
	s_or_saveexec_b32 s3, s3
	v_mov_b32_e32 v0, 0x7f800001
	s_xor_b32 exec_lo, exec_lo, s3
	s_cbranch_execz .LBB253_251
.LBB253_483:
	v_cmp_ne_u16_e32 vcc_lo, 0, v2
	v_mov_b32_e32 v0, 0
	s_and_not1_b32 s1, s1, exec_lo
	s_and_b32 s4, vcc_lo, exec_lo
	s_delay_alu instid0(SALU_CYCLE_1)
	s_or_b32 s1, s1, s4
	s_or_b32 exec_lo, exec_lo, s3
	s_and_saveexec_b32 s3, s1
	s_cbranch_execnz .LBB253_252
	s_branch .LBB253_253
.LBB253_484:
	s_mov_b32 s1, -1
	s_mov_b32 s4, exec_lo
	v_cmpx_eq_u16_e32 0x80, v2
; %bb.485:
	s_xor_b32 s1, exec_lo, -1
; %bb.486:
	s_or_b32 exec_lo, exec_lo, s4
	s_delay_alu instid0(SALU_CYCLE_1)
	s_and_b32 s1, s1, exec_lo
                                        ; implicit-def: $vgpr2
	s_or_saveexec_b32 s3, s3
	v_mov_b32_e32 v1, 0x7f800001
	s_xor_b32 exec_lo, exec_lo, s3
	s_cbranch_execz .LBB253_255
.LBB253_487:
	v_cmp_ne_u16_e32 vcc_lo, 0, v2
	v_mov_b32_e32 v1, 0
	s_and_not1_b32 s1, s1, exec_lo
	s_and_b32 s4, vcc_lo, exec_lo
	s_delay_alu instid0(SALU_CYCLE_1)
	s_or_b32 s1, s1, s4
	s_or_b32 exec_lo, exec_lo, s3
	s_and_saveexec_b32 s3, s1
	s_cbranch_execnz .LBB253_256
	s_branch .LBB253_257
.LBB253_488:
	s_mov_b32 s2, -1
	s_mov_b32 s4, exec_lo
	v_cmpx_eq_u16_e32 0x80, v2
; %bb.489:
	s_xor_b32 s2, exec_lo, -1
; %bb.490:
	s_or_b32 exec_lo, exec_lo, s4
	s_delay_alu instid0(SALU_CYCLE_1)
	s_and_b32 s2, s2, exec_lo
                                        ; implicit-def: $vgpr2
	s_or_saveexec_b32 s3, s3
	v_mov_b32_e32 v0, 0x7f800001
	s_xor_b32 exec_lo, exec_lo, s3
	s_cbranch_execz .LBB253_261
.LBB253_491:
	v_cmp_ne_u16_e32 vcc_lo, 0, v2
	v_mov_b32_e32 v0, 0
	s_and_not1_b32 s2, s2, exec_lo
	s_and_b32 s4, vcc_lo, exec_lo
	s_delay_alu instid0(SALU_CYCLE_1)
	s_or_b32 s2, s2, s4
	s_or_b32 exec_lo, exec_lo, s3
	s_and_saveexec_b32 s3, s2
	s_cbranch_execnz .LBB253_262
	s_branch .LBB253_263
.LBB253_492:
	s_mov_b32 s2, -1
	s_mov_b32 s4, exec_lo
	v_cmpx_eq_u16_e32 0x80, v2
; %bb.493:
	s_xor_b32 s2, exec_lo, -1
; %bb.494:
	s_or_b32 exec_lo, exec_lo, s4
	s_delay_alu instid0(SALU_CYCLE_1)
	s_and_b32 s2, s2, exec_lo
                                        ; implicit-def: $vgpr2
	s_or_saveexec_b32 s3, s3
	v_mov_b32_e32 v1, 0x7f800001
	s_xor_b32 exec_lo, exec_lo, s3
	s_cbranch_execz .LBB253_265
.LBB253_495:
	v_cmp_ne_u16_e32 vcc_lo, 0, v2
	v_mov_b32_e32 v1, 0
	s_and_not1_b32 s2, s2, exec_lo
	s_and_b32 s4, vcc_lo, exec_lo
	s_delay_alu instid0(SALU_CYCLE_1)
	s_or_b32 s2, s2, s4
	s_or_b32 exec_lo, exec_lo, s3
	s_and_saveexec_b32 s3, s2
	s_cbranch_execnz .LBB253_266
	s_branch .LBB253_267
.LBB253_496:
	v_bfe_u32 v1, v9, 21, 1
	s_mov_b32 s5, exec_lo
	s_delay_alu instid0(VALU_DEP_1) | instskip(NEXT) | instid1(VALU_DEP_1)
	v_add3_u32 v1, v9, v1, 0x88fffff
                                        ; implicit-def: $vgpr9
	v_lshrrev_b32_e32 v8, 21, v1
	s_and_not1_saveexec_b32 s6, s6
	s_cbranch_execz .LBB253_8
.LBB253_497:
	v_add_f32_e32 v1, 0x42800000, v9
	s_and_not1_b32 s5, s5, exec_lo
	s_delay_alu instid0(VALU_DEP_1) | instskip(NEXT) | instid1(VALU_DEP_1)
	v_and_b32_e32 v8, 0xff, v1
	v_cmp_ne_u32_e32 vcc_lo, 0, v8
	s_and_b32 s7, vcc_lo, exec_lo
	s_delay_alu instid0(SALU_CYCLE_1)
	s_or_b32 s5, s5, s7
	s_or_b32 exec_lo, exec_lo, s6
	v_mov_b32_e32 v1, 0
	s_and_saveexec_b32 s6, s5
	s_cbranch_execnz .LBB253_9
	s_branch .LBB253_10
.LBB253_498:
	s_mov_b32 s7, -1
	s_mov_b32 s9, exec_lo
	v_cmpx_eq_u16_e32 0x80, v1
; %bb.499:
	s_xor_b32 s7, exec_lo, -1
; %bb.500:
	s_or_b32 exec_lo, exec_lo, s9
	s_delay_alu instid0(SALU_CYCLE_1)
	s_and_b32 s7, s7, exec_lo
	s_or_saveexec_b32 s8, s8
	v_mov_b32_e32 v10, 0x7f800001
	s_xor_b32 exec_lo, exec_lo, s8
	s_cbranch_execz .LBB253_324
.LBB253_501:
	v_cmp_ne_u16_e32 vcc_lo, 0, v1
	v_mov_b32_e32 v10, 0
	s_and_not1_b32 s7, s7, exec_lo
	s_and_b32 s9, vcc_lo, exec_lo
	s_delay_alu instid0(SALU_CYCLE_1)
	s_or_b32 s7, s7, s9
	s_or_b32 exec_lo, exec_lo, s8
	s_and_saveexec_b32 s8, s7
	s_cbranch_execnz .LBB253_325
	s_branch .LBB253_326
.LBB253_502:
	v_bfe_u32 v1, v8, 21, 1
	s_mov_b32 s7, exec_lo
	s_delay_alu instid0(VALU_DEP_1) | instskip(NEXT) | instid1(VALU_DEP_1)
	v_add3_u32 v1, v8, v1, 0x88fffff
	v_lshrrev_b32_e32 v9, 21, v1
	s_and_not1_saveexec_b32 s8, s8
	s_cbranch_execz .LBB253_38
.LBB253_503:
	v_add_f32_e64 v1, 0x42800000, |v8|
	s_and_not1_b32 s7, s7, exec_lo
	s_delay_alu instid0(VALU_DEP_1) | instskip(NEXT) | instid1(VALU_DEP_1)
	v_and_b32_e32 v9, 0xff, v1
	v_cmp_ne_u32_e32 vcc_lo, 0, v9
	s_and_b32 s9, vcc_lo, exec_lo
	s_delay_alu instid0(SALU_CYCLE_1)
	s_or_b32 s7, s7, s9
	s_or_b32 exec_lo, exec_lo, s8
	v_mov_b32_e32 v1, 0
	s_and_saveexec_b32 s8, s7
	s_cbranch_execnz .LBB253_39
	s_branch .LBB253_40
.LBB253_504:
	v_bfe_u32 v1, v8, 21, 1
	s_mov_b32 s7, exec_lo
	s_delay_alu instid0(VALU_DEP_1) | instskip(NEXT) | instid1(VALU_DEP_1)
	v_add3_u32 v1, v8, v1, 0x88fffff
	v_lshrrev_b32_e32 v9, 21, v1
	s_and_not1_saveexec_b32 s8, s8
	s_cbranch_execz .LBB253_66
.LBB253_505:
	v_add_f32_e64 v1, 0x42800000, |v8|
	s_and_not1_b32 s7, s7, exec_lo
	s_delay_alu instid0(VALU_DEP_1) | instskip(NEXT) | instid1(VALU_DEP_1)
	v_and_b32_e32 v9, 0xff, v1
	v_cmp_ne_u32_e32 vcc_lo, 0, v9
	s_and_b32 s9, vcc_lo, exec_lo
	s_delay_alu instid0(SALU_CYCLE_1)
	s_or_b32 s7, s7, s9
	s_or_b32 exec_lo, exec_lo, s8
	v_mov_b32_e32 v1, 0
	s_and_saveexec_b32 s8, s7
	s_cbranch_execnz .LBB253_67
	s_branch .LBB253_68
.LBB253_506:
	v_bfe_u32 v1, v8, 21, 1
	s_mov_b32 s7, exec_lo
	s_delay_alu instid0(VALU_DEP_1) | instskip(NEXT) | instid1(VALU_DEP_1)
	v_add3_u32 v1, v8, v1, 0x88fffff
	v_lshrrev_b32_e32 v9, 21, v1
	s_and_not1_saveexec_b32 s8, s8
	s_cbranch_execz .LBB253_96
.LBB253_507:
	v_add_f32_e64 v1, 0x42800000, |v8|
	s_and_not1_b32 s7, s7, exec_lo
	s_delay_alu instid0(VALU_DEP_1) | instskip(NEXT) | instid1(VALU_DEP_1)
	v_and_b32_e32 v9, 0xff, v1
	v_cmp_ne_u32_e32 vcc_lo, 0, v9
	s_and_b32 s9, vcc_lo, exec_lo
	s_delay_alu instid0(SALU_CYCLE_1)
	s_or_b32 s7, s7, s9
	s_or_b32 exec_lo, exec_lo, s8
	v_mov_b32_e32 v1, 0
	s_and_saveexec_b32 s8, s7
	s_cbranch_execnz .LBB253_97
	s_branch .LBB253_98
.LBB253_508:
	v_bfe_u32 v1, v8, 21, 1
	s_mov_b32 s7, exec_lo
	s_delay_alu instid0(VALU_DEP_1) | instskip(NEXT) | instid1(VALU_DEP_1)
	v_add3_u32 v1, v8, v1, 0x88fffff
	v_lshrrev_b32_e32 v9, 21, v1
	s_and_not1_saveexec_b32 s8, s8
	s_cbranch_execz .LBB253_106
.LBB253_509:
	v_add_f32_e64 v1, 0x42800000, |v8|
	s_and_not1_b32 s7, s7, exec_lo
	s_delay_alu instid0(VALU_DEP_1) | instskip(NEXT) | instid1(VALU_DEP_1)
	v_and_b32_e32 v9, 0xff, v1
	v_cmp_ne_u32_e32 vcc_lo, 0, v9
	s_and_b32 s9, vcc_lo, exec_lo
	s_delay_alu instid0(SALU_CYCLE_1)
	s_or_b32 s7, s7, s9
	s_or_b32 exec_lo, exec_lo, s8
	v_mov_b32_e32 v1, 0
	s_and_saveexec_b32 s8, s7
	s_cbranch_execnz .LBB253_107
	s_branch .LBB253_108
.LBB253_510:
	v_bfe_u32 v1, v9, 21, 1
	s_mov_b32 s7, exec_lo
	s_delay_alu instid0(VALU_DEP_1) | instskip(NEXT) | instid1(VALU_DEP_1)
	v_add3_u32 v1, v9, v1, 0x88fffff
                                        ; implicit-def: $vgpr9
	v_lshrrev_b32_e32 v8, 21, v1
	s_and_not1_saveexec_b32 s8, s8
	s_cbranch_execz .LBB253_114
.LBB253_511:
	v_add_f32_e32 v1, 0x42800000, v9
	s_and_not1_b32 s7, s7, exec_lo
	s_delay_alu instid0(VALU_DEP_1) | instskip(NEXT) | instid1(VALU_DEP_1)
	v_and_b32_e32 v8, 0xff, v1
	v_cmp_ne_u32_e32 vcc_lo, 0, v8
	s_and_b32 s9, vcc_lo, exec_lo
	s_delay_alu instid0(SALU_CYCLE_1)
	s_or_b32 s7, s7, s9
	s_or_b32 exec_lo, exec_lo, s8
	v_mov_b32_e32 v1, 0
	s_and_saveexec_b32 s8, s7
	s_cbranch_execnz .LBB253_115
	s_branch .LBB253_116
.LBB253_512:
	v_bfe_u32 v3, v2, 21, 1
	s_mov_b32 s6, exec_lo
	s_delay_alu instid0(VALU_DEP_1) | instskip(NEXT) | instid1(VALU_DEP_1)
	v_add3_u32 v3, v2, v3, 0x88fffff
	v_lshrrev_b32_e32 v3, 21, v3
	s_and_not1_saveexec_b32 s7, s7
	s_cbranch_execz .LBB253_165
.LBB253_513:
	v_add_f32_e64 v3, 0x42800000, |v2|
	s_and_not1_b32 s6, s6, exec_lo
	s_delay_alu instid0(VALU_DEP_1) | instskip(NEXT) | instid1(VALU_DEP_1)
	v_and_b32_e32 v3, 0xff, v3
	v_cmp_ne_u32_e32 vcc_lo, 0, v3
	s_and_b32 s8, vcc_lo, exec_lo
	s_delay_alu instid0(SALU_CYCLE_1)
	s_or_b32 s6, s6, s8
	s_or_b32 exec_lo, exec_lo, s7
	v_mov_b32_e32 v11, 0
	s_and_saveexec_b32 s7, s6
	s_cbranch_execnz .LBB253_166
	s_branch .LBB253_167
.LBB253_514:
	v_bfe_u32 v3, v2, 21, 1
	s_mov_b32 s6, exec_lo
	s_delay_alu instid0(VALU_DEP_1) | instskip(NEXT) | instid1(VALU_DEP_1)
	v_add3_u32 v3, v2, v3, 0x88fffff
	v_lshrrev_b32_e32 v3, 21, v3
	s_and_not1_saveexec_b32 s7, s7
	s_cbranch_execz .LBB253_193
.LBB253_515:
	v_add_f32_e64 v3, 0x42800000, |v2|
	s_and_not1_b32 s6, s6, exec_lo
	s_delay_alu instid0(VALU_DEP_1) | instskip(NEXT) | instid1(VALU_DEP_1)
	v_and_b32_e32 v3, 0xff, v3
	v_cmp_ne_u32_e32 vcc_lo, 0, v3
	s_and_b32 s8, vcc_lo, exec_lo
	s_delay_alu instid0(SALU_CYCLE_1)
	s_or_b32 s6, s6, s8
	s_or_b32 exec_lo, exec_lo, s7
	v_mov_b32_e32 v11, 0
	s_and_saveexec_b32 s7, s6
	s_cbranch_execnz .LBB253_194
	s_branch .LBB253_195
.LBB253_516:
	v_bfe_u32 v3, v2, 21, 1
	s_mov_b32 s6, exec_lo
	s_delay_alu instid0(VALU_DEP_1) | instskip(NEXT) | instid1(VALU_DEP_1)
	v_add3_u32 v3, v2, v3, 0x88fffff
	v_lshrrev_b32_e32 v3, 21, v3
	s_and_not1_saveexec_b32 s7, s7
	s_cbranch_execz .LBB253_223
.LBB253_517:
	v_add_f32_e64 v3, 0x42800000, |v2|
	s_and_not1_b32 s6, s6, exec_lo
	s_delay_alu instid0(VALU_DEP_1) | instskip(NEXT) | instid1(VALU_DEP_1)
	v_and_b32_e32 v3, 0xff, v3
	v_cmp_ne_u32_e32 vcc_lo, 0, v3
	s_and_b32 s8, vcc_lo, exec_lo
	s_delay_alu instid0(SALU_CYCLE_1)
	s_or_b32 s6, s6, s8
	s_or_b32 exec_lo, exec_lo, s7
	v_mov_b32_e32 v11, 0
	s_and_saveexec_b32 s7, s6
	s_cbranch_execnz .LBB253_224
	s_branch .LBB253_225
.LBB253_518:
	v_bfe_u32 v3, v2, 21, 1
	s_mov_b32 s6, exec_lo
	s_delay_alu instid0(VALU_DEP_1) | instskip(NEXT) | instid1(VALU_DEP_1)
	v_add3_u32 v3, v2, v3, 0x88fffff
	v_lshrrev_b32_e32 v3, 21, v3
	s_and_not1_saveexec_b32 s7, s7
	s_cbranch_execz .LBB253_233
.LBB253_519:
	v_add_f32_e64 v3, 0x42800000, |v2|
	s_and_not1_b32 s6, s6, exec_lo
	s_delay_alu instid0(VALU_DEP_1) | instskip(NEXT) | instid1(VALU_DEP_1)
	v_and_b32_e32 v3, 0xff, v3
	v_cmp_ne_u32_e32 vcc_lo, 0, v3
	s_and_b32 s8, vcc_lo, exec_lo
	s_delay_alu instid0(SALU_CYCLE_1)
	s_or_b32 s6, s6, s8
	s_or_b32 exec_lo, exec_lo, s7
	v_mov_b32_e32 v11, 0
	s_and_saveexec_b32 s7, s6
	s_cbranch_execnz .LBB253_234
	s_branch .LBB253_235
.LBB253_520:
	v_bfe_u32 v2, v3, 21, 1
	s_mov_b32 s6, exec_lo
	s_delay_alu instid0(VALU_DEP_1) | instskip(NEXT) | instid1(VALU_DEP_1)
	v_add3_u32 v2, v3, v2, 0x88fffff
                                        ; implicit-def: $vgpr3
	v_lshrrev_b32_e32 v2, 21, v2
	s_and_not1_saveexec_b32 s7, s7
	s_cbranch_execz .LBB253_241
.LBB253_521:
	v_add_f32_e32 v2, 0x42800000, v3
	s_and_not1_b32 s6, s6, exec_lo
	s_delay_alu instid0(VALU_DEP_1) | instskip(NEXT) | instid1(VALU_DEP_1)
	v_and_b32_e32 v2, 0xff, v2
	v_cmp_ne_u32_e32 vcc_lo, 0, v2
	s_and_b32 s8, vcc_lo, exec_lo
	s_delay_alu instid0(SALU_CYCLE_1)
	s_or_b32 s6, s6, s8
	s_or_b32 exec_lo, exec_lo, s7
	v_mov_b32_e32 v11, 0
	s_and_saveexec_b32 s7, s6
	s_cbranch_execnz .LBB253_242
	s_branch .LBB253_243
.LBB253_522:
	v_bfe_u32 v1, v10, 21, 1
	s_mov_b32 s8, exec_lo
	s_delay_alu instid0(VALU_DEP_1) | instskip(NEXT) | instid1(VALU_DEP_1)
	v_add3_u32 v1, v10, v1, 0x88fffff
	v_lshrrev_b32_e32 v11, 21, v1
	s_and_not1_saveexec_b32 s9, s9
	s_cbranch_execz .LBB253_329
.LBB253_523:
	v_add_f32_e64 v1, 0x42800000, |v10|
	s_and_not1_b32 s8, s8, exec_lo
	s_delay_alu instid0(VALU_DEP_1) | instskip(NEXT) | instid1(VALU_DEP_1)
	v_and_b32_e32 v11, 0xff, v1
	v_cmp_ne_u32_e32 vcc_lo, 0, v11
	s_and_b32 s10, vcc_lo, exec_lo
	s_delay_alu instid0(SALU_CYCLE_1)
	s_or_b32 s8, s8, s10
	s_or_b32 exec_lo, exec_lo, s9
	v_mov_b32_e32 v1, 0
	s_and_saveexec_b32 s9, s8
	s_cbranch_execnz .LBB253_330
	s_branch .LBB253_331
.LBB253_524:
	v_bfe_u32 v1, v12, 21, 1
	s_mov_b32 s7, exec_lo
	s_delay_alu instid0(VALU_DEP_1) | instskip(NEXT) | instid1(VALU_DEP_1)
	v_add3_u32 v1, v10, v1, 0x88fffff
	v_lshrrev_b32_e32 v11, 21, v1
	s_and_not1_saveexec_b32 s8, s8
	s_cbranch_execz .LBB253_352
.LBB253_525:
	v_add_f32_e64 v1, 0x42800000, |v10|
	s_and_not1_b32 s7, s7, exec_lo
	s_delay_alu instid0(VALU_DEP_1) | instskip(NEXT) | instid1(VALU_DEP_1)
	v_and_b32_e32 v11, 0xff, v1
	v_cmp_ne_u32_e32 vcc_lo, 0, v11
	s_and_b32 s9, vcc_lo, exec_lo
	s_delay_alu instid0(SALU_CYCLE_1)
	s_or_b32 s7, s7, s9
	s_or_b32 exec_lo, exec_lo, s8
	v_mov_b32_e32 v1, 0
	s_and_saveexec_b32 s8, s7
	s_cbranch_execnz .LBB253_353
	s_branch .LBB253_354
.LBB253_526:
	s_mov_b32 s9, -1
	s_mov_b32 s11, exec_lo
	v_cmpx_eq_u16_e32 0x80, v3
; %bb.527:
	s_xor_b32 s9, exec_lo, -1
; %bb.528:
	s_or_b32 exec_lo, exec_lo, s11
	s_delay_alu instid0(SALU_CYCLE_1)
	s_and_b32 s9, s9, exec_lo
	s_or_saveexec_b32 s10, s10
	v_mov_b32_e32 v2, 0x7f800001
	s_xor_b32 exec_lo, exec_lo, s10
	s_cbranch_execz .LBB253_429
.LBB253_529:
	v_cmp_ne_u16_e32 vcc_lo, 0, v3
	v_mov_b32_e32 v2, 0
	s_and_not1_b32 s9, s9, exec_lo
	s_and_b32 s11, vcc_lo, exec_lo
	s_delay_alu instid0(SALU_CYCLE_1)
	s_or_b32 s9, s9, s11
	s_or_b32 exec_lo, exec_lo, s10
	s_and_saveexec_b32 s10, s9
	s_cbranch_execnz .LBB253_430
	s_branch .LBB253_431
.LBB253_530:
	v_bfe_u32 v1, v8, 21, 1
	s_mov_b32 s8, exec_lo
	s_delay_alu instid0(VALU_DEP_1) | instskip(NEXT) | instid1(VALU_DEP_1)
	v_add3_u32 v1, v8, v1, 0x88fffff
	v_lshrrev_b32_e32 v9, 21, v1
	s_and_not1_saveexec_b32 s9, s9
	s_cbranch_execz .LBB253_21
.LBB253_531:
	v_add_f32_e64 v1, 0x42800000, |v8|
	s_and_not1_b32 s8, s8, exec_lo
	s_delay_alu instid0(VALU_DEP_1) | instskip(NEXT) | instid1(VALU_DEP_1)
	v_and_b32_e32 v9, 0xff, v1
	v_cmp_ne_u32_e32 vcc_lo, 0, v9
	s_and_b32 s10, vcc_lo, exec_lo
	s_delay_alu instid0(SALU_CYCLE_1)
	s_or_b32 s8, s8, s10
	s_or_b32 exec_lo, exec_lo, s9
	v_mov_b32_e32 v1, 0
	s_and_saveexec_b32 s9, s8
	s_cbranch_execnz .LBB253_22
	s_branch .LBB253_23
.LBB253_532:
	v_bfe_u32 v1, v8, 21, 1
	s_mov_b32 s8, exec_lo
	s_delay_alu instid0(VALU_DEP_1) | instskip(NEXT) | instid1(VALU_DEP_1)
	v_add3_u32 v1, v8, v1, 0x88fffff
	v_lshrrev_b32_e32 v9, 21, v1
	s_and_not1_saveexec_b32 s9, s9
	s_cbranch_execz .LBB253_29
.LBB253_533:
	v_add_f32_e64 v1, 0x42800000, |v8|
	s_and_not1_b32 s8, s8, exec_lo
	s_delay_alu instid0(VALU_DEP_1) | instskip(NEXT) | instid1(VALU_DEP_1)
	v_and_b32_e32 v9, 0xff, v1
	v_cmp_ne_u32_e32 vcc_lo, 0, v9
	s_and_b32 s10, vcc_lo, exec_lo
	s_delay_alu instid0(SALU_CYCLE_1)
	s_or_b32 s8, s8, s10
	s_or_b32 exec_lo, exec_lo, s9
	v_mov_b32_e32 v1, 0
	s_and_saveexec_b32 s9, s8
	s_cbranch_execnz .LBB253_30
	s_branch .LBB253_31
.LBB253_534:
	v_bfe_u32 v1, v8, 21, 1
	s_mov_b32 s8, exec_lo
	s_delay_alu instid0(VALU_DEP_1) | instskip(NEXT) | instid1(VALU_DEP_1)
	v_add3_u32 v1, v8, v1, 0x88fffff
	v_lshrrev_b32_e32 v9, 21, v1
	s_and_not1_saveexec_b32 s9, s9
	s_cbranch_execz .LBB253_49
.LBB253_535:
	v_add_f32_e64 v1, 0x42800000, |v8|
	s_and_not1_b32 s8, s8, exec_lo
	s_delay_alu instid0(VALU_DEP_1) | instskip(NEXT) | instid1(VALU_DEP_1)
	v_and_b32_e32 v9, 0xff, v1
	v_cmp_ne_u32_e32 vcc_lo, 0, v9
	s_and_b32 s10, vcc_lo, exec_lo
	s_delay_alu instid0(SALU_CYCLE_1)
	s_or_b32 s8, s8, s10
	s_or_b32 exec_lo, exec_lo, s9
	v_mov_b32_e32 v1, 0
	s_and_saveexec_b32 s9, s8
	s_cbranch_execnz .LBB253_50
	s_branch .LBB253_51
.LBB253_536:
	v_bfe_u32 v1, v8, 21, 1
	s_mov_b32 s8, exec_lo
	s_delay_alu instid0(VALU_DEP_1) | instskip(NEXT) | instid1(VALU_DEP_1)
	v_add3_u32 v1, v8, v1, 0x88fffff
	v_lshrrev_b32_e32 v9, 21, v1
	s_and_not1_saveexec_b32 s9, s9
	s_cbranch_execz .LBB253_57
.LBB253_537:
	v_add_f32_e64 v1, 0x42800000, |v8|
	s_and_not1_b32 s8, s8, exec_lo
	s_delay_alu instid0(VALU_DEP_1) | instskip(NEXT) | instid1(VALU_DEP_1)
	v_and_b32_e32 v9, 0xff, v1
	v_cmp_ne_u32_e32 vcc_lo, 0, v9
	s_and_b32 s10, vcc_lo, exec_lo
	s_delay_alu instid0(SALU_CYCLE_1)
	s_or_b32 s8, s8, s10
	s_or_b32 exec_lo, exec_lo, s9
	v_mov_b32_e32 v1, 0
	s_and_saveexec_b32 s9, s8
	s_cbranch_execnz .LBB253_58
	s_branch .LBB253_59
.LBB253_538:
	v_bfe_u32 v1, v8, 21, 1
	s_mov_b32 s8, exec_lo
	s_delay_alu instid0(VALU_DEP_1) | instskip(NEXT) | instid1(VALU_DEP_1)
	v_add3_u32 v1, v8, v1, 0x88fffff
	v_lshrrev_b32_e32 v9, 21, v1
	s_and_not1_saveexec_b32 s9, s9
	s_cbranch_execz .LBB253_79
.LBB253_539:
	v_add_f32_e64 v1, 0x42800000, |v8|
	s_and_not1_b32 s8, s8, exec_lo
	s_delay_alu instid0(VALU_DEP_1) | instskip(NEXT) | instid1(VALU_DEP_1)
	v_and_b32_e32 v9, 0xff, v1
	v_cmp_ne_u32_e32 vcc_lo, 0, v9
	s_and_b32 s10, vcc_lo, exec_lo
	s_delay_alu instid0(SALU_CYCLE_1)
	s_or_b32 s8, s8, s10
	s_or_b32 exec_lo, exec_lo, s9
	v_mov_b32_e32 v1, 0
	s_and_saveexec_b32 s9, s8
	s_cbranch_execnz .LBB253_80
	s_branch .LBB253_81
.LBB253_540:
	v_bfe_u32 v1, v8, 21, 1
	s_mov_b32 s8, exec_lo
	s_delay_alu instid0(VALU_DEP_1) | instskip(NEXT) | instid1(VALU_DEP_1)
	v_add3_u32 v1, v8, v1, 0x88fffff
	v_lshrrev_b32_e32 v9, 21, v1
	s_and_not1_saveexec_b32 s9, s9
	s_cbranch_execz .LBB253_87
.LBB253_541:
	v_add_f32_e64 v1, 0x42800000, |v8|
	s_and_not1_b32 s8, s8, exec_lo
	s_delay_alu instid0(VALU_DEP_1) | instskip(NEXT) | instid1(VALU_DEP_1)
	v_and_b32_e32 v9, 0xff, v1
	v_cmp_ne_u32_e32 vcc_lo, 0, v9
	s_and_b32 s10, vcc_lo, exec_lo
	s_delay_alu instid0(SALU_CYCLE_1)
	s_or_b32 s8, s8, s10
	s_or_b32 exec_lo, exec_lo, s9
	v_mov_b32_e32 v1, 0
	s_and_saveexec_b32 s9, s8
	s_cbranch_execnz .LBB253_88
	s_branch .LBB253_89
.LBB253_542:
	v_bfe_u32 v3, v2, 21, 1
	s_mov_b32 s7, exec_lo
	s_delay_alu instid0(VALU_DEP_1) | instskip(NEXT) | instid1(VALU_DEP_1)
	v_add3_u32 v3, v2, v3, 0x88fffff
	v_lshrrev_b32_e32 v3, 21, v3
	s_and_not1_saveexec_b32 s8, s8
	s_cbranch_execz .LBB253_148
.LBB253_543:
	v_add_f32_e64 v3, 0x42800000, |v2|
	s_and_not1_b32 s7, s7, exec_lo
	s_delay_alu instid0(VALU_DEP_1) | instskip(NEXT) | instid1(VALU_DEP_1)
	v_and_b32_e32 v3, 0xff, v3
	v_cmp_ne_u32_e32 vcc_lo, 0, v3
	s_and_b32 s9, vcc_lo, exec_lo
	s_delay_alu instid0(SALU_CYCLE_1)
	s_or_b32 s7, s7, s9
	s_or_b32 exec_lo, exec_lo, s8
	v_mov_b32_e32 v11, 0
	s_and_saveexec_b32 s8, s7
	s_cbranch_execnz .LBB253_149
	s_branch .LBB253_150
.LBB253_544:
	v_bfe_u32 v3, v2, 21, 1
	s_mov_b32 s7, exec_lo
	s_delay_alu instid0(VALU_DEP_1) | instskip(NEXT) | instid1(VALU_DEP_1)
	v_add3_u32 v3, v2, v3, 0x88fffff
	v_lshrrev_b32_e32 v3, 21, v3
	s_and_not1_saveexec_b32 s8, s8
	s_cbranch_execz .LBB253_156
.LBB253_545:
	v_add_f32_e64 v3, 0x42800000, |v2|
	s_and_not1_b32 s7, s7, exec_lo
	s_delay_alu instid0(VALU_DEP_1) | instskip(NEXT) | instid1(VALU_DEP_1)
	v_and_b32_e32 v3, 0xff, v3
	v_cmp_ne_u32_e32 vcc_lo, 0, v3
	s_and_b32 s9, vcc_lo, exec_lo
	s_delay_alu instid0(SALU_CYCLE_1)
	s_or_b32 s7, s7, s9
	s_or_b32 exec_lo, exec_lo, s8
	v_mov_b32_e32 v11, 0
	s_and_saveexec_b32 s8, s7
	s_cbranch_execnz .LBB253_157
	s_branch .LBB253_158
.LBB253_546:
	v_bfe_u32 v3, v2, 21, 1
	s_mov_b32 s7, exec_lo
	s_delay_alu instid0(VALU_DEP_1) | instskip(NEXT) | instid1(VALU_DEP_1)
	v_add3_u32 v3, v2, v3, 0x88fffff
	v_lshrrev_b32_e32 v3, 21, v3
	s_and_not1_saveexec_b32 s8, s8
	s_cbranch_execz .LBB253_176
.LBB253_547:
	v_add_f32_e64 v3, 0x42800000, |v2|
	s_and_not1_b32 s7, s7, exec_lo
	s_delay_alu instid0(VALU_DEP_1) | instskip(NEXT) | instid1(VALU_DEP_1)
	v_and_b32_e32 v3, 0xff, v3
	v_cmp_ne_u32_e32 vcc_lo, 0, v3
	s_and_b32 s9, vcc_lo, exec_lo
	s_delay_alu instid0(SALU_CYCLE_1)
	s_or_b32 s7, s7, s9
	s_or_b32 exec_lo, exec_lo, s8
	v_mov_b32_e32 v11, 0
	s_and_saveexec_b32 s8, s7
	s_cbranch_execnz .LBB253_177
	s_branch .LBB253_178
.LBB253_548:
	v_bfe_u32 v3, v2, 21, 1
	s_mov_b32 s7, exec_lo
	s_delay_alu instid0(VALU_DEP_1) | instskip(NEXT) | instid1(VALU_DEP_1)
	v_add3_u32 v3, v2, v3, 0x88fffff
	v_lshrrev_b32_e32 v3, 21, v3
	s_and_not1_saveexec_b32 s8, s8
	s_cbranch_execz .LBB253_184
.LBB253_549:
	v_add_f32_e64 v3, 0x42800000, |v2|
	s_and_not1_b32 s7, s7, exec_lo
	s_delay_alu instid0(VALU_DEP_1) | instskip(NEXT) | instid1(VALU_DEP_1)
	v_and_b32_e32 v3, 0xff, v3
	v_cmp_ne_u32_e32 vcc_lo, 0, v3
	s_and_b32 s9, vcc_lo, exec_lo
	s_delay_alu instid0(SALU_CYCLE_1)
	s_or_b32 s7, s7, s9
	s_or_b32 exec_lo, exec_lo, s8
	v_mov_b32_e32 v11, 0
	s_and_saveexec_b32 s8, s7
	s_cbranch_execnz .LBB253_185
	s_branch .LBB253_186
.LBB253_550:
	v_bfe_u32 v3, v2, 21, 1
	s_mov_b32 s7, exec_lo
	s_delay_alu instid0(VALU_DEP_1) | instskip(NEXT) | instid1(VALU_DEP_1)
	v_add3_u32 v3, v2, v3, 0x88fffff
	v_lshrrev_b32_e32 v3, 21, v3
	s_and_not1_saveexec_b32 s8, s8
	s_cbranch_execz .LBB253_206
.LBB253_551:
	v_add_f32_e64 v3, 0x42800000, |v2|
	s_and_not1_b32 s7, s7, exec_lo
	s_delay_alu instid0(VALU_DEP_1) | instskip(NEXT) | instid1(VALU_DEP_1)
	v_and_b32_e32 v3, 0xff, v3
	v_cmp_ne_u32_e32 vcc_lo, 0, v3
	s_and_b32 s9, vcc_lo, exec_lo
	s_delay_alu instid0(SALU_CYCLE_1)
	s_or_b32 s7, s7, s9
	s_or_b32 exec_lo, exec_lo, s8
	v_mov_b32_e32 v11, 0
	s_and_saveexec_b32 s8, s7
	s_cbranch_execnz .LBB253_207
	s_branch .LBB253_208
.LBB253_552:
	v_bfe_u32 v3, v2, 21, 1
	s_mov_b32 s7, exec_lo
	s_delay_alu instid0(VALU_DEP_1) | instskip(NEXT) | instid1(VALU_DEP_1)
	v_add3_u32 v3, v2, v3, 0x88fffff
	v_lshrrev_b32_e32 v3, 21, v3
	s_and_not1_saveexec_b32 s8, s8
	s_cbranch_execz .LBB253_214
.LBB253_553:
	v_add_f32_e64 v3, 0x42800000, |v2|
	s_and_not1_b32 s7, s7, exec_lo
	s_delay_alu instid0(VALU_DEP_1) | instskip(NEXT) | instid1(VALU_DEP_1)
	v_and_b32_e32 v3, 0xff, v3
	v_cmp_ne_u32_e32 vcc_lo, 0, v3
	s_and_b32 s9, vcc_lo, exec_lo
	s_delay_alu instid0(SALU_CYCLE_1)
	s_or_b32 s7, s7, s9
	s_or_b32 exec_lo, exec_lo, s8
	v_mov_b32_e32 v11, 0
	s_and_saveexec_b32 s8, s7
	s_cbranch_execnz .LBB253_215
	s_branch .LBB253_216
.LBB253_554:
	v_bfe_u32 v1, v11, 21, 1
	s_mov_b32 s9, exec_lo
	s_delay_alu instid0(VALU_DEP_1) | instskip(NEXT) | instid1(VALU_DEP_1)
	v_add3_u32 v1, v11, v1, 0x88fffff
                                        ; implicit-def: $vgpr11
	v_lshrrev_b32_e32 v10, 21, v1
	s_and_not1_saveexec_b32 s10, s10
	s_cbranch_execz .LBB253_296
.LBB253_555:
	v_add_f32_e32 v1, 0x42800000, v11
	s_and_not1_b32 s9, s9, exec_lo
	s_delay_alu instid0(VALU_DEP_1) | instskip(NEXT) | instid1(VALU_DEP_1)
	v_and_b32_e32 v10, 0xff, v1
	v_cmp_ne_u32_e32 vcc_lo, 0, v10
	s_and_b32 s11, vcc_lo, exec_lo
	s_delay_alu instid0(SALU_CYCLE_1)
	s_or_b32 s9, s9, s11
	s_or_b32 exec_lo, exec_lo, s10
	v_mov_b32_e32 v1, 0
	s_and_saveexec_b32 s10, s9
	s_cbranch_execnz .LBB253_297
	s_branch .LBB253_298
.LBB253_556:
	v_bfe_u32 v1, v11, 21, 1
	s_mov_b32 s9, exec_lo
	s_delay_alu instid0(VALU_DEP_1) | instskip(NEXT) | instid1(VALU_DEP_1)
	v_add3_u32 v1, v11, v1, 0x88fffff
                                        ; implicit-def: $vgpr11
	v_lshrrev_b32_e32 v10, 21, v1
	s_and_not1_saveexec_b32 s10, s10
	s_cbranch_execz .LBB253_308
.LBB253_557:
	v_add_f32_e32 v1, 0x42800000, v11
	s_and_not1_b32 s9, s9, exec_lo
	s_delay_alu instid0(VALU_DEP_1) | instskip(NEXT) | instid1(VALU_DEP_1)
	v_and_b32_e32 v10, 0xff, v1
	v_cmp_ne_u32_e32 vcc_lo, 0, v10
	s_and_b32 s11, vcc_lo, exec_lo
	s_delay_alu instid0(SALU_CYCLE_1)
	s_or_b32 s9, s9, s11
	s_or_b32 exec_lo, exec_lo, s10
	v_mov_b32_e32 v1, 0
	s_and_saveexec_b32 s10, s9
	s_cbranch_execnz .LBB253_309
	s_branch .LBB253_310
.LBB253_558:
	v_bfe_u32 v1, v11, 21, 1
	s_mov_b32 s9, exec_lo
	s_delay_alu instid0(VALU_DEP_1) | instskip(NEXT) | instid1(VALU_DEP_1)
	v_add3_u32 v1, v11, v1, 0x88fffff
                                        ; implicit-def: $vgpr11
	v_lshrrev_b32_e32 v10, 21, v1
	s_and_not1_saveexec_b32 s10, s10
	s_cbranch_execz .LBB253_316
.LBB253_559:
	v_add_f32_e32 v1, 0x42800000, v11
	s_and_not1_b32 s9, s9, exec_lo
	s_delay_alu instid0(VALU_DEP_1) | instskip(NEXT) | instid1(VALU_DEP_1)
	v_and_b32_e32 v10, 0xff, v1
	v_cmp_ne_u32_e32 vcc_lo, 0, v10
	s_and_b32 s11, vcc_lo, exec_lo
	s_delay_alu instid0(SALU_CYCLE_1)
	s_or_b32 s9, s9, s11
	s_or_b32 exec_lo, exec_lo, s10
	v_mov_b32_e32 v1, 0
	s_and_saveexec_b32 s10, s9
	s_cbranch_execnz .LBB253_317
	s_branch .LBB253_318
.LBB253_560:
	v_bfe_u32 v1, v12, 21, 1
	s_mov_b32 s8, exec_lo
	s_delay_alu instid0(VALU_DEP_1) | instskip(NEXT) | instid1(VALU_DEP_1)
	v_add3_u32 v1, v10, v1, 0x88fffff
	v_lshrrev_b32_e32 v11, 21, v1
	s_and_not1_saveexec_b32 s9, s9
	s_cbranch_execz .LBB253_343
.LBB253_561:
	v_add_f32_e64 v1, 0x42800000, |v10|
	s_and_not1_b32 s8, s8, exec_lo
	s_delay_alu instid0(VALU_DEP_1) | instskip(NEXT) | instid1(VALU_DEP_1)
	v_and_b32_e32 v11, 0xff, v1
	v_cmp_ne_u32_e32 vcc_lo, 0, v11
	s_and_b32 s10, vcc_lo, exec_lo
	s_delay_alu instid0(SALU_CYCLE_1)
	s_or_b32 s8, s8, s10
	s_or_b32 exec_lo, exec_lo, s9
	v_mov_b32_e32 v1, 0
	s_and_saveexec_b32 s9, s8
	s_cbranch_execnz .LBB253_344
	s_branch .LBB253_345
.LBB253_562:
	v_bfe_u32 v1, v10, 5, 1
	s_mov_b32 s9, exec_lo
	s_delay_alu instid0(VALU_DEP_1) | instskip(NEXT) | instid1(VALU_DEP_1)
	v_add3_u32 v1, v12, v1, 0x88fffff
                                        ; implicit-def: $vgpr12
	v_lshrrev_b32_e32 v11, 21, v1
	s_and_not1_saveexec_b32 s10, s10
	s_cbranch_execz .LBB253_363
.LBB253_563:
	v_add_f32_e64 v1, 0x42800000, |v12|
	s_and_not1_b32 s9, s9, exec_lo
	s_delay_alu instid0(VALU_DEP_1) | instskip(NEXT) | instid1(VALU_DEP_1)
	v_and_b32_e32 v11, 0xff, v1
	v_cmp_ne_u32_e32 vcc_lo, 0, v11
	s_and_b32 s11, vcc_lo, exec_lo
	s_delay_alu instid0(SALU_CYCLE_1)
	s_or_b32 s9, s9, s11
	s_or_b32 exec_lo, exec_lo, s10
	v_mov_b32_e32 v1, 0
	s_and_saveexec_b32 s10, s9
	s_cbranch_execnz .LBB253_364
	s_branch .LBB253_365
.LBB253_564:
	v_bfe_u32 v3, v2, 21, 1
	s_mov_b32 s10, exec_lo
	s_delay_alu instid0(VALU_DEP_1) | instskip(NEXT) | instid1(VALU_DEP_1)
	v_add3_u32 v3, v2, v3, 0x88fffff
	v_lshrrev_b32_e32 v3, 21, v3
	s_and_not1_saveexec_b32 s11, s11
	s_cbranch_execz .LBB253_434
.LBB253_565:
	v_add_f32_e64 v3, 0x42800000, |v2|
	s_and_not1_b32 s10, s10, exec_lo
	s_delay_alu instid0(VALU_DEP_1) | instskip(NEXT) | instid1(VALU_DEP_1)
	v_and_b32_e32 v3, 0xff, v3
	v_cmp_ne_u32_e32 vcc_lo, 0, v3
	s_and_b32 s12, vcc_lo, exec_lo
	s_delay_alu instid0(SALU_CYCLE_1)
	s_or_b32 s10, s10, s12
	s_or_b32 exec_lo, exec_lo, s11
	v_mov_b32_e32 v11, 0
	s_and_saveexec_b32 s11, s10
	s_cbranch_execnz .LBB253_435
	s_branch .LBB253_436
.LBB253_566:
	v_bfe_u32 v3, v4, 21, 1
	s_mov_b32 s9, exec_lo
	s_delay_alu instid0(VALU_DEP_1) | instskip(NEXT) | instid1(VALU_DEP_1)
	v_add3_u32 v3, v2, v3, 0x88fffff
	v_lshrrev_b32_e32 v3, 21, v3
	s_and_not1_saveexec_b32 s10, s10
	s_cbranch_execz .LBB253_457
.LBB253_567:
	v_add_f32_e64 v3, 0x42800000, |v2|
	s_and_not1_b32 s9, s9, exec_lo
	s_delay_alu instid0(VALU_DEP_1) | instskip(NEXT) | instid1(VALU_DEP_1)
	v_and_b32_e32 v3, 0xff, v3
	v_cmp_ne_u32_e32 vcc_lo, 0, v3
	s_and_b32 s11, vcc_lo, exec_lo
	s_delay_alu instid0(SALU_CYCLE_1)
	s_or_b32 s9, s9, s11
	s_or_b32 exec_lo, exec_lo, s10
	v_mov_b32_e32 v11, 0
	s_and_saveexec_b32 s10, s9
	s_cbranch_execnz .LBB253_458
	s_branch .LBB253_459
.LBB253_568:
	v_bfe_u32 v1, v10, 21, 1
	s_mov_b32 s8, exec_lo
	s_delay_alu instid0(VALU_DEP_1) | instskip(NEXT) | instid1(VALU_DEP_1)
	v_add3_u32 v1, v10, v1, 0x88fffff
	v_lshrrev_b32_e32 v11, 21, v1
	s_and_not1_saveexec_b32 s9, s9
	s_cbranch_execz .LBB253_275
.LBB253_569:
	v_add_f32_e64 v1, 0x42800000, |v10|
	s_and_not1_b32 s8, s8, exec_lo
	s_delay_alu instid0(VALU_DEP_1) | instskip(NEXT) | instid1(VALU_DEP_1)
	v_and_b32_e32 v11, 0xff, v1
	v_cmp_ne_u32_e32 vcc_lo, 0, v11
	s_and_b32 s10, vcc_lo, exec_lo
	s_delay_alu instid0(SALU_CYCLE_1)
	s_or_b32 s8, s8, s10
	s_or_b32 exec_lo, exec_lo, s9
	v_mov_b32_e32 v1, 0
	s_and_saveexec_b32 s9, s8
	s_cbranch_execnz .LBB253_276
	s_branch .LBB253_277
.LBB253_570:
	v_bfe_u32 v1, v11, 21, 1
	s_mov_b32 s10, exec_lo
	s_delay_alu instid0(VALU_DEP_1) | instskip(NEXT) | instid1(VALU_DEP_1)
	v_add3_u32 v1, v11, v1, 0x88fffff
                                        ; implicit-def: $vgpr11
	v_lshrrev_b32_e32 v10, 21, v1
	s_and_not1_saveexec_b32 s11, s11
	s_cbranch_execz .LBB253_285
.LBB253_571:
	v_add_f32_e32 v1, 0x42800000, v11
	s_and_not1_b32 s10, s10, exec_lo
	s_delay_alu instid0(VALU_DEP_1) | instskip(NEXT) | instid1(VALU_DEP_1)
	v_and_b32_e32 v10, 0xff, v1
	v_cmp_ne_u32_e32 vcc_lo, 0, v10
	s_and_b32 s12, vcc_lo, exec_lo
	s_delay_alu instid0(SALU_CYCLE_1)
	s_or_b32 s10, s10, s12
	s_or_b32 exec_lo, exec_lo, s11
	v_mov_b32_e32 v1, 0
	s_and_saveexec_b32 s11, s10
	s_cbranch_execnz .LBB253_286
	s_branch .LBB253_287
.LBB253_572:
	v_bfe_u32 v2, v3, 21, 1
	s_mov_b32 s11, exec_lo
	s_delay_alu instid0(VALU_DEP_1) | instskip(NEXT) | instid1(VALU_DEP_1)
	v_add3_u32 v2, v3, v2, 0x88fffff
                                        ; implicit-def: $vgpr3
	v_lshrrev_b32_e32 v2, 21, v2
	s_and_not1_saveexec_b32 s12, s12
	s_cbranch_execz .LBB253_401
.LBB253_573:
	v_add_f32_e32 v2, 0x42800000, v3
	s_and_not1_b32 s11, s11, exec_lo
	s_delay_alu instid0(VALU_DEP_1) | instskip(NEXT) | instid1(VALU_DEP_1)
	v_and_b32_e32 v2, 0xff, v2
	v_cmp_ne_u32_e32 vcc_lo, 0, v2
	s_and_b32 s13, vcc_lo, exec_lo
	s_delay_alu instid0(SALU_CYCLE_1)
	s_or_b32 s11, s11, s13
	s_or_b32 exec_lo, exec_lo, s12
	v_mov_b32_e32 v11, 0
	s_and_saveexec_b32 s12, s11
	s_cbranch_execnz .LBB253_402
	s_branch .LBB253_403
.LBB253_574:
	v_bfe_u32 v2, v3, 21, 1
	s_mov_b32 s11, exec_lo
	s_delay_alu instid0(VALU_DEP_1) | instskip(NEXT) | instid1(VALU_DEP_1)
	v_add3_u32 v2, v3, v2, 0x88fffff
                                        ; implicit-def: $vgpr3
	v_lshrrev_b32_e32 v2, 21, v2
	s_and_not1_saveexec_b32 s12, s12
	s_cbranch_execz .LBB253_413
.LBB253_575:
	v_add_f32_e32 v2, 0x42800000, v3
	s_and_not1_b32 s11, s11, exec_lo
	s_delay_alu instid0(VALU_DEP_1) | instskip(NEXT) | instid1(VALU_DEP_1)
	v_and_b32_e32 v2, 0xff, v2
	v_cmp_ne_u32_e32 vcc_lo, 0, v2
	s_and_b32 s13, vcc_lo, exec_lo
	s_delay_alu instid0(SALU_CYCLE_1)
	s_or_b32 s11, s11, s13
	s_or_b32 exec_lo, exec_lo, s12
	v_mov_b32_e32 v11, 0
	s_and_saveexec_b32 s12, s11
	s_cbranch_execnz .LBB253_414
	s_branch .LBB253_415
.LBB253_576:
	v_bfe_u32 v2, v3, 21, 1
	s_mov_b32 s11, exec_lo
	s_delay_alu instid0(VALU_DEP_1) | instskip(NEXT) | instid1(VALU_DEP_1)
	v_add3_u32 v2, v3, v2, 0x88fffff
                                        ; implicit-def: $vgpr3
	v_lshrrev_b32_e32 v2, 21, v2
	s_and_not1_saveexec_b32 s12, s12
	s_cbranch_execz .LBB253_421
.LBB253_577:
	v_add_f32_e32 v2, 0x42800000, v3
	s_and_not1_b32 s11, s11, exec_lo
	s_delay_alu instid0(VALU_DEP_1) | instskip(NEXT) | instid1(VALU_DEP_1)
	v_and_b32_e32 v2, 0xff, v2
	v_cmp_ne_u32_e32 vcc_lo, 0, v2
	s_and_b32 s13, vcc_lo, exec_lo
	s_delay_alu instid0(SALU_CYCLE_1)
	s_or_b32 s11, s11, s13
	s_or_b32 exec_lo, exec_lo, s12
	v_mov_b32_e32 v11, 0
	s_and_saveexec_b32 s12, s11
	s_cbranch_execnz .LBB253_422
	s_branch .LBB253_423
.LBB253_578:
	v_bfe_u32 v3, v4, 21, 1
	s_mov_b32 s10, exec_lo
	s_delay_alu instid0(VALU_DEP_1) | instskip(NEXT) | instid1(VALU_DEP_1)
	v_add3_u32 v3, v2, v3, 0x88fffff
	v_lshrrev_b32_e32 v3, 21, v3
	s_and_not1_saveexec_b32 s11, s11
	s_cbranch_execz .LBB253_448
.LBB253_579:
	v_add_f32_e64 v3, 0x42800000, |v2|
	s_and_not1_b32 s10, s10, exec_lo
	s_delay_alu instid0(VALU_DEP_1) | instskip(NEXT) | instid1(VALU_DEP_1)
	v_and_b32_e32 v3, 0xff, v3
	v_cmp_ne_u32_e32 vcc_lo, 0, v3
	s_and_b32 s12, vcc_lo, exec_lo
	s_delay_alu instid0(SALU_CYCLE_1)
	s_or_b32 s10, s10, s12
	s_or_b32 exec_lo, exec_lo, s11
	v_mov_b32_e32 v11, 0
	s_and_saveexec_b32 s11, s10
	s_cbranch_execnz .LBB253_449
	s_branch .LBB253_450
.LBB253_580:
	v_bfe_u32 v3, v2, 5, 1
	s_mov_b32 s11, exec_lo
	s_delay_alu instid0(VALU_DEP_1) | instskip(NEXT) | instid1(VALU_DEP_1)
	v_add3_u32 v3, v4, v3, 0x88fffff
                                        ; implicit-def: $vgpr4
	v_lshrrev_b32_e32 v3, 21, v3
	s_and_not1_saveexec_b32 s12, s12
	s_cbranch_execz .LBB253_468
.LBB253_581:
	v_add_f32_e64 v3, 0x42800000, |v4|
	s_and_not1_b32 s11, s11, exec_lo
	s_delay_alu instid0(VALU_DEP_1) | instskip(NEXT) | instid1(VALU_DEP_1)
	v_and_b32_e32 v3, 0xff, v3
	v_cmp_ne_u32_e32 vcc_lo, 0, v3
	s_and_b32 s13, vcc_lo, exec_lo
	s_delay_alu instid0(SALU_CYCLE_1)
	s_or_b32 s11, s11, s13
	s_or_b32 exec_lo, exec_lo, s12
	v_mov_b32_e32 v11, 0
	s_and_saveexec_b32 s12, s11
	s_cbranch_execnz .LBB253_469
	s_branch .LBB253_470
.LBB253_582:
	v_bfe_u32 v3, v2, 21, 1
	s_mov_b32 s10, exec_lo
	s_delay_alu instid0(VALU_DEP_1) | instskip(NEXT) | instid1(VALU_DEP_1)
	v_add3_u32 v3, v2, v3, 0x88fffff
	v_lshrrev_b32_e32 v3, 21, v3
	s_and_not1_saveexec_b32 s11, s11
	s_cbranch_execz .LBB253_380
.LBB253_583:
	v_add_f32_e64 v3, 0x42800000, |v2|
	s_and_not1_b32 s10, s10, exec_lo
	s_delay_alu instid0(VALU_DEP_1) | instskip(NEXT) | instid1(VALU_DEP_1)
	v_and_b32_e32 v3, 0xff, v3
	v_cmp_ne_u32_e32 vcc_lo, 0, v3
	s_and_b32 s12, vcc_lo, exec_lo
	s_delay_alu instid0(SALU_CYCLE_1)
	s_or_b32 s10, s10, s12
	s_or_b32 exec_lo, exec_lo, s11
	v_mov_b32_e32 v11, 0
	s_and_saveexec_b32 s11, s10
	s_cbranch_execnz .LBB253_381
	s_branch .LBB253_382
.LBB253_584:
	v_bfe_u32 v2, v3, 21, 1
	s_mov_b32 s12, exec_lo
	s_delay_alu instid0(VALU_DEP_1) | instskip(NEXT) | instid1(VALU_DEP_1)
	v_add3_u32 v2, v3, v2, 0x88fffff
                                        ; implicit-def: $vgpr3
	v_lshrrev_b32_e32 v2, 21, v2
	s_and_not1_saveexec_b32 s13, s13
	s_cbranch_execz .LBB253_390
.LBB253_585:
	v_add_f32_e32 v2, 0x42800000, v3
	s_and_not1_b32 s12, s12, exec_lo
	s_delay_alu instid0(VALU_DEP_1) | instskip(NEXT) | instid1(VALU_DEP_1)
	v_and_b32_e32 v2, 0xff, v2
	v_cmp_ne_u32_e32 vcc_lo, 0, v2
	s_and_b32 s14, vcc_lo, exec_lo
	s_delay_alu instid0(SALU_CYCLE_1)
	s_or_b32 s12, s12, s14
	s_or_b32 exec_lo, exec_lo, s13
	v_mov_b32_e32 v11, 0
	s_and_saveexec_b32 s13, s12
	s_cbranch_execnz .LBB253_391
	s_branch .LBB253_392
.Lfunc_end253:
	.size	_ZN2at6native6invokeINS0_13BinaryFunctorIN3c1015Float8_e5m2fnuzES4_bNS0_12_GLOBAL__N_116CompareEqFunctorIS4_EEEEj15function_traitsIS8_EEENT1_11result_typeERKT_PrKPcPKT0_PKNS3_10ScalarTypeEi, .Lfunc_end253-_ZN2at6native6invokeINS0_13BinaryFunctorIN3c1015Float8_e5m2fnuzES4_bNS0_12_GLOBAL__N_116CompareEqFunctorIS4_EEEEj15function_traitsIS8_EEENT1_11result_typeERKT_PrKPcPKT0_PKNS3_10ScalarTypeEi
                                        ; -- End function
	.set .L_ZN2at6native6invokeINS0_13BinaryFunctorIN3c1015Float8_e5m2fnuzES4_bNS0_12_GLOBAL__N_116CompareEqFunctorIS4_EEEEj15function_traitsIS8_EEENT1_11result_typeERKT_PrKPcPKT0_PKNS3_10ScalarTypeEi.num_vgpr, 15
	.set .L_ZN2at6native6invokeINS0_13BinaryFunctorIN3c1015Float8_e5m2fnuzES4_bNS0_12_GLOBAL__N_116CompareEqFunctorIS4_EEEEj15function_traitsIS8_EEENT1_11result_typeERKT_PrKPcPKT0_PKNS3_10ScalarTypeEi.num_agpr, 0
	.set .L_ZN2at6native6invokeINS0_13BinaryFunctorIN3c1015Float8_e5m2fnuzES4_bNS0_12_GLOBAL__N_116CompareEqFunctorIS4_EEEEj15function_traitsIS8_EEENT1_11result_typeERKT_PrKPcPKT0_PKNS3_10ScalarTypeEi.numbered_sgpr, 32
	.set .L_ZN2at6native6invokeINS0_13BinaryFunctorIN3c1015Float8_e5m2fnuzES4_bNS0_12_GLOBAL__N_116CompareEqFunctorIS4_EEEEj15function_traitsIS8_EEENT1_11result_typeERKT_PrKPcPKT0_PKNS3_10ScalarTypeEi.num_named_barrier, 0
	.set .L_ZN2at6native6invokeINS0_13BinaryFunctorIN3c1015Float8_e5m2fnuzES4_bNS0_12_GLOBAL__N_116CompareEqFunctorIS4_EEEEj15function_traitsIS8_EEENT1_11result_typeERKT_PrKPcPKT0_PKNS3_10ScalarTypeEi.private_seg_size, 0
	.set .L_ZN2at6native6invokeINS0_13BinaryFunctorIN3c1015Float8_e5m2fnuzES4_bNS0_12_GLOBAL__N_116CompareEqFunctorIS4_EEEEj15function_traitsIS8_EEENT1_11result_typeERKT_PrKPcPKT0_PKNS3_10ScalarTypeEi.uses_vcc, 1
	.set .L_ZN2at6native6invokeINS0_13BinaryFunctorIN3c1015Float8_e5m2fnuzES4_bNS0_12_GLOBAL__N_116CompareEqFunctorIS4_EEEEj15function_traitsIS8_EEENT1_11result_typeERKT_PrKPcPKT0_PKNS3_10ScalarTypeEi.uses_flat_scratch, 0
	.set .L_ZN2at6native6invokeINS0_13BinaryFunctorIN3c1015Float8_e5m2fnuzES4_bNS0_12_GLOBAL__N_116CompareEqFunctorIS4_EEEEj15function_traitsIS8_EEENT1_11result_typeERKT_PrKPcPKT0_PKNS3_10ScalarTypeEi.has_dyn_sized_stack, 0
	.set .L_ZN2at6native6invokeINS0_13BinaryFunctorIN3c1015Float8_e5m2fnuzES4_bNS0_12_GLOBAL__N_116CompareEqFunctorIS4_EEEEj15function_traitsIS8_EEENT1_11result_typeERKT_PrKPcPKT0_PKNS3_10ScalarTypeEi.has_recursion, 0
	.set .L_ZN2at6native6invokeINS0_13BinaryFunctorIN3c1015Float8_e5m2fnuzES4_bNS0_12_GLOBAL__N_116CompareEqFunctorIS4_EEEEj15function_traitsIS8_EEENT1_11result_typeERKT_PrKPcPKT0_PKNS3_10ScalarTypeEi.has_indirect_call, 0
	.section	.AMDGPU.csdata,"",@progbits
; Function info:
; codeLenInByte = 15040
; TotalNumSgprs: 34
; NumVgprs: 15
; ScratchSize: 0
; MemoryBound: 0
	.section	.text._ZN2at6native32elementwise_kernel_manual_unrollILi128ELi4EZNS0_15gpu_kernel_implINS0_13BinaryFunctorIN3c1015Float8_e5m2fnuzES5_bNS0_12_GLOBAL__N_116CompareEqFunctorIS5_EEEEEEvRNS_18TensorIteratorBaseERKT_EUlibE0_EEviT1_,"axG",@progbits,_ZN2at6native32elementwise_kernel_manual_unrollILi128ELi4EZNS0_15gpu_kernel_implINS0_13BinaryFunctorIN3c1015Float8_e5m2fnuzES5_bNS0_12_GLOBAL__N_116CompareEqFunctorIS5_EEEEEEvRNS_18TensorIteratorBaseERKT_EUlibE0_EEviT1_,comdat
	.globl	_ZN2at6native32elementwise_kernel_manual_unrollILi128ELi4EZNS0_15gpu_kernel_implINS0_13BinaryFunctorIN3c1015Float8_e5m2fnuzES5_bNS0_12_GLOBAL__N_116CompareEqFunctorIS5_EEEEEEvRNS_18TensorIteratorBaseERKT_EUlibE0_EEviT1_ ; -- Begin function _ZN2at6native32elementwise_kernel_manual_unrollILi128ELi4EZNS0_15gpu_kernel_implINS0_13BinaryFunctorIN3c1015Float8_e5m2fnuzES5_bNS0_12_GLOBAL__N_116CompareEqFunctorIS5_EEEEEEvRNS_18TensorIteratorBaseERKT_EUlibE0_EEviT1_
	.p2align	8
	.type	_ZN2at6native32elementwise_kernel_manual_unrollILi128ELi4EZNS0_15gpu_kernel_implINS0_13BinaryFunctorIN3c1015Float8_e5m2fnuzES5_bNS0_12_GLOBAL__N_116CompareEqFunctorIS5_EEEEEEvRNS_18TensorIteratorBaseERKT_EUlibE0_EEviT1_,@function
_ZN2at6native32elementwise_kernel_manual_unrollILi128ELi4EZNS0_15gpu_kernel_implINS0_13BinaryFunctorIN3c1015Float8_e5m2fnuzES5_bNS0_12_GLOBAL__N_116CompareEqFunctorIS5_EEEEEEvRNS_18TensorIteratorBaseERKT_EUlibE0_EEviT1_: ; @_ZN2at6native32elementwise_kernel_manual_unrollILi128ELi4EZNS0_15gpu_kernel_implINS0_13BinaryFunctorIN3c1015Float8_e5m2fnuzES5_bNS0_12_GLOBAL__N_116CompareEqFunctorIS5_EEEEEEvRNS_18TensorIteratorBaseERKT_EUlibE0_EEviT1_
; %bb.0:
	s_clause 0xb
	s_load_b256 s[4:11], s[0:1], 0xa8
	s_load_b256 s[36:43], s[0:1], 0xc8
	;; [unrolled: 1-line block ×5, first 2 shown]
	s_load_b32 s28, s[0:1], 0x0
	s_load_b256 s[20:27], s[0:1], 0x8
	s_load_b256 s[68:75], s[0:1], 0x148
	;; [unrolled: 1-line block ×5, first 2 shown]
	s_load_b128 s[92:95], s[0:1], 0x1a0
	s_getreg_b32 s2, hwreg(HW_REG_IB_STS2, 6, 4)
	s_movk_i32 s32, 0x1c0
	s_wait_kmcnt 0x0
	v_mov_b64_e32 v[2:3], s[8:9]
	v_mov_b64_e32 v[6:7], s[36:37]
	;; [unrolled: 1-line block ×15, first 2 shown]
	s_clause 0x5
	scratch_store_b128 off, v[6:9], off offset:208
	scratch_store_b128 off, v[10:13], off offset:224
	;; [unrolled: 1-line block ×6, first 2 shown]
	s_wait_xcnt 0x5
	v_mov_b64_e32 v[6:7], s[64:65]
	v_mov_b64_e32 v[8:9], s[66:67]
	s_wait_xcnt 0x4
	v_mov_b64_e32 v[10:11], s[68:69]
	v_mov_b64_e32 v[12:13], s[70:71]
	s_wait_xcnt 0x3
	v_mov_b64_e32 v[14:15], s[72:73]
	s_load_b256 s[36:43], s[0:1], 0x48
	v_mov_b64_e32 v[16:17], s[74:75]
	v_mov_b64_e32 v[18:19], s[76:77]
	;; [unrolled: 1-line block ×5, first 2 shown]
	s_clause 0x5
	scratch_store_b128 off, v[30:33], off offset:304
	scratch_store_b128 off, v[6:9], off offset:320
	;; [unrolled: 1-line block ×6, first 2 shown]
	s_wait_xcnt 0x1
	v_mov_b64_e32 v[18:19], s[20:21]
	s_wait_xcnt 0x0
	v_mov_b64_e32 v[22:23], s[24:25]
	v_mov_b64_e32 v[20:21], s[22:23]
	;; [unrolled: 1-line block ×3, first 2 shown]
	s_clause 0x1
	s_load_b256 s[20:27], s[0:1], 0x68
	s_load_b256 s[44:51], s[0:1], 0x88
	v_mov_b64_e32 v[6:7], s[84:85]
	v_mov_b64_e32 v[8:9], s[86:87]
	;; [unrolled: 1-line block ×6, first 2 shown]
	s_clause 0x2
	scratch_store_b128 off, v[6:9], off offset:400
	scratch_store_b128 off, v[10:13], off offset:416
	;; [unrolled: 1-line block ×3, first 2 shown]
	s_wait_xcnt 0x2
	v_mov_b64_e32 v[6:7], s[12:13]
	v_mov_b64_e32 v[8:9], s[14:15]
	s_wait_xcnt 0x1
	v_mov_b64_e32 v[10:11], s[16:17]
	v_mov_b64_e32 v[12:13], s[18:19]
	s_wait_kmcnt 0x0
	v_mov_b64_e32 v[14:15], s[36:37]
	s_bfe_u32 s0, ttmp6, 0x4000c
	s_clause 0x1
	scratch_store_b128 off, v[18:21], off offset:16
	scratch_store_b128 off, v[22:25], off offset:32
	v_mov_b64_e32 v[16:17], s[38:39]
	s_wait_xcnt 0x1
	v_mov_b64_e32 v[18:19], s[40:41]
	v_mov_b64_e32 v[20:21], s[42:43]
	s_add_co_i32 s0, s0, 1
	s_and_b32 s1, ttmp6, 15
	s_mul_i32 s0, ttmp9, s0
	s_clause 0x1
	scratch_store_b128 off, v[6:9], off offset:48
	scratch_store_b128 off, v[10:13], off offset:64
	s_add_co_i32 s1, s1, s0
	s_wait_xcnt 0x1
	v_mov_b64_e32 v[6:7], s[20:21]
	s_cmp_eq_u32 s2, 0
	v_mov_b64_e32 v[8:9], s[22:23]
	s_wait_xcnt 0x0
	v_mov_b64_e32 v[10:11], s[24:25]
	s_clause 0x1
	scratch_store_b128 off, v[14:17], off offset:80
	scratch_store_b128 off, v[18:21], off offset:96
	v_mov_b64_e32 v[12:13], s[26:27]
	s_wait_xcnt 0x1
	v_mov_b64_e32 v[14:15], s[44:45]
	s_cselect_b32 s0, ttmp9, s1
	v_mov_b64_e32 v[16:17], s[46:47]
	s_wait_xcnt 0x0
	v_mov_b64_e32 v[18:19], s[48:49]
	v_mov_b64_e32 v[20:21], s[50:51]
	v_lshl_or_b32 v22, s0, 9, v0
	v_mov_b64_e32 v[4:5], s[10:11]
	s_clause 0x3
	scratch_store_b128 off, v[6:9], off offset:112
	scratch_store_b128 off, v[10:13], off offset:128
	;; [unrolled: 1-line block ×4, first 2 shown]
	s_wait_xcnt 0x3
	v_mov_b64_e32 v[8:9], s[6:7]
	v_mov_b64_e32 v[6:7], s[4:5]
	v_or_b32_e32 v0, 0x180, v22
	s_mov_b32 s15, 0
	s_mov_b32 s1, 0
	s_clause 0x1
	scratch_store_b128 off, v[2:5], off offset:192
	scratch_store_b128 off, v[6:9], off offset:176
	s_mov_b32 s0, exec_lo
	s_wait_xcnt 0x0
	v_cmpx_le_i32_e64 s28, v0
	s_xor_b32 s20, exec_lo, s0
	s_cbranch_execz .LBB254_139
; %bb.1:
	v_mbcnt_lo_u32_b32 v1, -1, 0
	v_dual_mov_b32 v0, 16 :: v_dual_mov_b32 v23, 0x7f
	s_mov_b32 s21, 0
	s_mov_b32 s22, 4
	s_delay_alu instid0(VALU_DEP_2)
	v_lshlrev_b32_e32 v1, 20, v1
	s_mov_b32 s24, 0
	s_get_pc_i64 s[16:17]
	s_add_nc_u64 s[16:17], s[16:17], _ZNK16OffsetCalculatorILi3EjLb0EE3getEj@rel64+4
	s_get_pc_i64 s[18:19]
	s_add_nc_u64 s[18:19], s[18:19], _ZN2at6native6invokeINS0_13BinaryFunctorIN3c1015Float8_e5m2fnuzES4_bNS0_12_GLOBAL__N_116CompareEqFunctorIS4_EEEEj15function_traitsIS8_EEENT1_11result_typeERKT_PrKPcPKT0_PKNS3_10ScalarTypeEi@rel64+4
                                        ; implicit-def: $sgpr23
                                        ; implicit-def: $sgpr25
	v_mov_b32_e32 v27, 0
	v_add_nc_u64_e32 v[20:21], src_flat_scratch_base_lo, v[0:1]
	v_mov_b32_e32 v0, 0
	s_delay_alu instid0(VALU_DEP_1) | instskip(NEXT) | instid1(VALU_DEP_3)
	v_add_nc_u64_e32 v[0:1], src_flat_scratch_base_lo, v[0:1]
	v_add_nc_u64_e32 v[28:29], 0x190, v[20:21]
	v_add_nc_u64_e32 v[30:31], 0x1a5, v[20:21]
	s_delay_alu instid0(VALU_DEP_3)
	v_add_nc_u64_e32 v[32:33], 4, v[0:1]
	s_branch .LBB254_3
.LBB254_2:                              ;   in Loop: Header=BB254_3 Depth=1
	s_or_b32 exec_lo, exec_lo, s2
	s_delay_alu instid0(SALU_CYCLE_1) | instskip(NEXT) | instid1(SALU_CYCLE_1)
	s_and_b32 s0, exec_lo, s1
	s_or_b32 s24, s0, s24
	s_and_not1_b32 s0, s23, exec_lo
	s_and_b32 s1, s25, exec_lo
	s_delay_alu instid0(SALU_CYCLE_1)
	s_or_b32 s23, s0, s1
	s_and_not1_b32 exec_lo, exec_lo, s24
	s_cbranch_execz .LBB254_137
.LBB254_3:                              ; =>This Inner Loop Header: Depth=1
	s_mov_b32 s0, -1
	s_mov_b32 s26, exec_lo
	v_cmpx_gt_i32_e64 s28, v22
	s_cbranch_execz .LBB254_89
; %bb.4:                                ;   in Loop: Header=BB254_3 Depth=1
	v_dual_mov_b32 v0, v20 :: v_dual_mov_b32 v1, v21
	v_mov_b32_e32 v2, v22
	s_swap_pc_i64 s[30:31], s[16:17]
	scratch_load_b32 v6, off, off offset:432
	v_mov_b32_e32 v26, v0
	scratch_store_b96 off, v[0:2], off
	s_wait_xcnt 0x0
	v_dual_mov_b32 v1, v28 :: v_dual_mov_b32 v2, v29
	v_dual_mov_b32 v3, v32 :: v_dual_mov_b32 v4, v33
	s_wait_loadcnt 0x0
	v_dual_mov_b32 v5, v30 :: v_dual_mov_b32 v0, v6
	v_mov_b32_e32 v6, v31
	s_swap_pc_i64 s[30:31], s[18:19]
	s_delay_alu instid0(VALU_DEP_2) | instskip(SKIP_2) | instid1(VALU_DEP_1)
	v_and_b32_e32 v0, 1, v0
	s_mov_b32 s1, 0
	s_mov_b32 s2, exec_lo
	v_cmp_eq_u32_e32 vcc_lo, 1, v0
	s_clause 0x1
	scratch_load_b64 v[0:1], off, off offset:408
	scratch_load_u8 v2, off, off offset:436
	s_wait_loadcnt 0x1
	v_add_nc_u64_e32 v[0:1], v[0:1], v[26:27]
	s_wait_loadcnt 0x0
	s_wait_xcnt 0x0
	v_cmpx_lt_i16_e32 10, v2
	s_xor_b32 s2, exec_lo, s2
	s_cbranch_execz .LBB254_91
; %bb.5:                                ;   in Loop: Header=BB254_3 Depth=1
	s_mov_b32 s3, exec_lo
	v_cmpx_lt_i16_e32 25, v2
	s_xor_b32 s3, exec_lo, s3
	s_cbranch_execz .LBB254_41
; %bb.6:                                ;   in Loop: Header=BB254_3 Depth=1
	s_mov_b32 s4, exec_lo
	v_cmpx_lt_i16_e32 28, v2
	s_xor_b32 s4, exec_lo, s4
	s_cbranch_execz .LBB254_24
; %bb.7:                                ;   in Loop: Header=BB254_3 Depth=1
	s_mov_b32 s5, exec_lo
	v_cmpx_lt_i16_e32 43, v2
	s_xor_b32 s5, exec_lo, s5
	s_cbranch_execz .LBB254_19
; %bb.8:                                ;   in Loop: Header=BB254_3 Depth=1
	s_mov_b32 s6, 0
	s_mov_b32 s1, exec_lo
	v_cmpx_lt_i16_e32 45, v2
	s_xor_b32 s1, exec_lo, s1
	s_cbranch_execz .LBB254_12
; %bb.9:                                ;   in Loop: Header=BB254_3 Depth=1
	s_mov_b32 s7, exec_lo
	v_cmpx_eq_u16_e32 46, v2
	s_cbranch_execz .LBB254_11
; %bb.10:                               ;   in Loop: Header=BB254_3 Depth=1
	v_cndmask_b32_e64 v2, 0, 1.0, vcc_lo
	s_mov_b32 s6, exec_lo
	s_delay_alu instid0(VALU_DEP_1) | instskip(NEXT) | instid1(VALU_DEP_1)
	v_bfe_u32 v3, v2, 16, 1
	v_add3_u32 v2, v2, v3, 0x7fff
	s_delay_alu instid0(VALU_DEP_1)
	v_lshrrev_b32_e32 v2, 16, v2
	flat_store_b32 v[0:1], v2
.LBB254_11:                             ;   in Loop: Header=BB254_3 Depth=1
	s_wait_xcnt 0x0
	s_or_b32 exec_lo, exec_lo, s7
	s_delay_alu instid0(SALU_CYCLE_1)
	s_and_b32 s6, s6, exec_lo
                                        ; implicit-def: $vgpr2
                                        ; implicit-def: $vgpr0_vgpr1
.LBB254_12:                             ;   in Loop: Header=BB254_3 Depth=1
	s_and_not1_saveexec_b32 s7, s1
	s_cbranch_execz .LBB254_18
; %bb.13:                               ;   in Loop: Header=BB254_3 Depth=1
	s_mov_b32 s1, s6
	s_mov_b32 s8, exec_lo
	v_cmpx_eq_u16_e32 44, v2
	s_cbranch_execz .LBB254_17
; %bb.14:                               ;   in Loop: Header=BB254_3 Depth=1
	v_cndmask_b32_e64 v4, 0, 1.0, vcc_lo
	s_mov_b32 s9, exec_lo
	s_delay_alu instid0(VALU_DEP_1) | instskip(NEXT) | instid1(VALU_DEP_1)
	v_dual_mov_b32 v3, 0xff :: v_dual_lshrrev_b32 v2, 23, v4
	v_cmpx_ne_u32_e32 0xff, v2
; %bb.15:                               ;   in Loop: Header=BB254_3 Depth=1
	v_and_b32_e32 v3, 0x400000, v4
	v_and_or_b32 v4, 0x3fffff, v4, v2
	s_delay_alu instid0(VALU_DEP_2) | instskip(NEXT) | instid1(VALU_DEP_2)
	v_cmp_ne_u32_e64 s0, 0, v3
	v_cmp_ne_u32_e64 s1, 0, v4
	s_and_b32 s0, s0, s1
	s_delay_alu instid0(SALU_CYCLE_1) | instskip(NEXT) | instid1(VALU_DEP_1)
	v_cndmask_b32_e64 v3, 0, 1, s0
	v_add_nc_u32_e32 v3, v2, v3
; %bb.16:                               ;   in Loop: Header=BB254_3 Depth=1
	s_or_b32 exec_lo, exec_lo, s9
	s_delay_alu instid0(SALU_CYCLE_1)
	s_or_b32 s1, s6, exec_lo
	flat_store_b8 v[0:1], v3
.LBB254_17:                             ;   in Loop: Header=BB254_3 Depth=1
	s_wait_xcnt 0x0
	s_or_b32 exec_lo, exec_lo, s8
	s_delay_alu instid0(SALU_CYCLE_1) | instskip(SKIP_1) | instid1(SALU_CYCLE_1)
	s_and_not1_b32 s0, s6, exec_lo
	s_and_b32 s1, s1, exec_lo
	s_or_b32 s6, s0, s1
.LBB254_18:                             ;   in Loop: Header=BB254_3 Depth=1
	s_or_b32 exec_lo, exec_lo, s7
	s_delay_alu instid0(SALU_CYCLE_1)
	s_and_b32 s1, s6, exec_lo
                                        ; implicit-def: $vgpr2
                                        ; implicit-def: $vgpr0_vgpr1
.LBB254_19:                             ;   in Loop: Header=BB254_3 Depth=1
	s_and_not1_saveexec_b32 s5, s5
	s_cbranch_execz .LBB254_23
; %bb.20:                               ;   in Loop: Header=BB254_3 Depth=1
	s_mov_b32 s7, s1
	s_mov_b32 s6, exec_lo
	v_cmpx_eq_u16_e32 29, v2
	s_cbranch_execz .LBB254_22
; %bb.21:                               ;   in Loop: Header=BB254_3 Depth=1
	v_cndmask_b32_e64 v2, 0, 1, vcc_lo
	v_mov_b32_e32 v3, s21
	s_or_b32 s7, s1, exec_lo
	flat_store_b64 v[0:1], v[2:3]
.LBB254_22:                             ;   in Loop: Header=BB254_3 Depth=1
	s_wait_xcnt 0x0
	s_or_b32 exec_lo, exec_lo, s6
	s_delay_alu instid0(SALU_CYCLE_1) | instskip(SKIP_1) | instid1(SALU_CYCLE_1)
	s_and_not1_b32 s0, s1, exec_lo
	s_and_b32 s1, s7, exec_lo
	s_or_b32 s1, s0, s1
.LBB254_23:                             ;   in Loop: Header=BB254_3 Depth=1
	s_or_b32 exec_lo, exec_lo, s5
	s_delay_alu instid0(SALU_CYCLE_1)
	s_and_b32 s1, s1, exec_lo
                                        ; implicit-def: $vgpr0_vgpr1
                                        ; implicit-def: $vgpr2
.LBB254_24:                             ;   in Loop: Header=BB254_3 Depth=1
	s_and_not1_saveexec_b32 s4, s4
	s_cbranch_execz .LBB254_40
; %bb.25:                               ;   in Loop: Header=BB254_3 Depth=1
	s_mov_b32 s5, exec_lo
	v_cmpx_lt_i16_e32 26, v2
	s_xor_b32 s5, exec_lo, s5
	s_cbranch_execz .LBB254_31
; %bb.26:                               ;   in Loop: Header=BB254_3 Depth=1
	v_cmp_lt_i16_e64 s0, 27, v2
	s_and_saveexec_b32 s6, s0
	s_delay_alu instid0(SALU_CYCLE_1)
	s_xor_b32 s0, exec_lo, s6
	s_cbranch_execz .LBB254_28
; %bb.27:                               ;   in Loop: Header=BB254_3 Depth=1
	v_cndmask_b32_e64 v2, 0, 1, vcc_lo
	flat_store_b32 v[0:1], v2
                                        ; implicit-def: $vgpr0_vgpr1
.LBB254_28:                             ;   in Loop: Header=BB254_3 Depth=1
	s_wait_xcnt 0x0
	s_and_not1_saveexec_b32 s0, s0
	s_cbranch_execz .LBB254_30
; %bb.29:                               ;   in Loop: Header=BB254_3 Depth=1
	v_cndmask_b32_e64 v2, 0, 1, vcc_lo
	flat_store_b16 v[0:1], v2
.LBB254_30:                             ;   in Loop: Header=BB254_3 Depth=1
	s_wait_xcnt 0x0
	s_or_b32 exec_lo, exec_lo, s0
                                        ; implicit-def: $vgpr0_vgpr1
.LBB254_31:                             ;   in Loop: Header=BB254_3 Depth=1
	s_and_not1_saveexec_b32 s5, s5
	s_cbranch_execz .LBB254_39
; %bb.32:                               ;   in Loop: Header=BB254_3 Depth=1
	v_cndmask_b32_e64 v3, 0, 1.0, vcc_lo
	v_mov_b32_e32 v4, 0x80
	s_mov_b32 s6, exec_lo
	s_delay_alu instid0(VALU_DEP_2)
	v_cmpx_gt_u32_e32 0x43800000, v3
	s_cbranch_execz .LBB254_38
; %bb.33:                               ;   in Loop: Header=BB254_3 Depth=1
	v_cmp_lt_u32_e64 s0, 0x3bffffff, v3
	s_mov_b32 s7, 0
                                        ; implicit-def: $vgpr2
	s_and_saveexec_b32 s8, s0
	s_delay_alu instid0(SALU_CYCLE_1)
	s_xor_b32 s0, exec_lo, s8
	s_cbranch_execz .LBB254_133
; %bb.34:                               ;   in Loop: Header=BB254_3 Depth=1
	v_bfe_u32 v2, v3, 20, 1
	s_mov_b32 s7, exec_lo
	s_delay_alu instid0(VALU_DEP_1) | instskip(NEXT) | instid1(VALU_DEP_1)
	v_add3_u32 v2, v3, v2, 0x487ffff
                                        ; implicit-def: $vgpr3
	v_lshrrev_b32_e32 v2, 20, v2
	s_and_not1_saveexec_b32 s8, s0
	s_cbranch_execnz .LBB254_134
.LBB254_35:                             ;   in Loop: Header=BB254_3 Depth=1
	s_or_b32 exec_lo, exec_lo, s8
	v_mov_b32_e32 v4, 0
	s_and_saveexec_b32 s0, s7
.LBB254_36:                             ;   in Loop: Header=BB254_3 Depth=1
	v_mov_b32_e32 v4, v2
.LBB254_37:                             ;   in Loop: Header=BB254_3 Depth=1
	s_or_b32 exec_lo, exec_lo, s0
.LBB254_38:                             ;   in Loop: Header=BB254_3 Depth=1
	s_delay_alu instid0(SALU_CYCLE_1)
	s_or_b32 exec_lo, exec_lo, s6
	flat_store_b8 v[0:1], v4
.LBB254_39:                             ;   in Loop: Header=BB254_3 Depth=1
	s_wait_xcnt 0x0
	s_or_b32 exec_lo, exec_lo, s5
	s_delay_alu instid0(SALU_CYCLE_1)
	s_or_b32 s1, s1, exec_lo
.LBB254_40:                             ;   in Loop: Header=BB254_3 Depth=1
	s_or_b32 exec_lo, exec_lo, s4
	s_delay_alu instid0(SALU_CYCLE_1)
	s_and_b32 s1, s1, exec_lo
                                        ; implicit-def: $vgpr2
                                        ; implicit-def: $vgpr0_vgpr1
.LBB254_41:                             ;   in Loop: Header=BB254_3 Depth=1
	s_and_not1_saveexec_b32 s3, s3
	s_cbranch_execz .LBB254_85
; %bb.42:                               ;   in Loop: Header=BB254_3 Depth=1
	s_mov_b32 s5, s1
	s_mov_b32 s4, exec_lo
	v_cmpx_lt_i16_e32 22, v2
	s_xor_b32 s4, exec_lo, s4
	s_cbranch_execz .LBB254_74
; %bb.43:                               ;   in Loop: Header=BB254_3 Depth=1
	s_mov_b32 s5, exec_lo
	v_cmpx_lt_i16_e32 23, v2
	s_xor_b32 s5, exec_lo, s5
	s_cbranch_execz .LBB254_63
; %bb.44:                               ;   in Loop: Header=BB254_3 Depth=1
	;; [unrolled: 5-line block ×3, first 2 shown]
	v_cndmask_b32_e64 v3, 0, 1.0, vcc_lo
	v_mov_b32_e32 v4, 0x80
	s_mov_b32 s7, exec_lo
	s_delay_alu instid0(VALU_DEP_2)
	v_cmpx_gt_u32_e32 0x47800000, v3
	s_cbranch_execz .LBB254_51
; %bb.46:                               ;   in Loop: Header=BB254_3 Depth=1
	v_cmp_lt_u32_e64 s0, 0x37ffffff, v3
	s_mov_b32 s8, 0
                                        ; implicit-def: $vgpr2
	s_and_saveexec_b32 s9, s0
	s_delay_alu instid0(SALU_CYCLE_1)
	s_xor_b32 s0, exec_lo, s9
	s_cbranch_execz .LBB254_135
; %bb.47:                               ;   in Loop: Header=BB254_3 Depth=1
	v_bfe_u32 v2, v3, 21, 1
	s_mov_b32 s8, exec_lo
	s_delay_alu instid0(VALU_DEP_1) | instskip(NEXT) | instid1(VALU_DEP_1)
	v_add3_u32 v2, v3, v2, 0x88fffff
                                        ; implicit-def: $vgpr3
	v_lshrrev_b32_e32 v2, 21, v2
	s_and_not1_saveexec_b32 s9, s0
	s_cbranch_execnz .LBB254_136
.LBB254_48:                             ;   in Loop: Header=BB254_3 Depth=1
	s_or_b32 exec_lo, exec_lo, s9
	v_mov_b32_e32 v4, 0
	s_and_saveexec_b32 s0, s8
.LBB254_49:                             ;   in Loop: Header=BB254_3 Depth=1
	v_mov_b32_e32 v4, v2
.LBB254_50:                             ;   in Loop: Header=BB254_3 Depth=1
	s_or_b32 exec_lo, exec_lo, s0
.LBB254_51:                             ;   in Loop: Header=BB254_3 Depth=1
	s_delay_alu instid0(SALU_CYCLE_1)
	s_or_b32 exec_lo, exec_lo, s7
	flat_store_b8 v[0:1], v4
                                        ; implicit-def: $vgpr0_vgpr1
.LBB254_52:                             ;   in Loop: Header=BB254_3 Depth=1
	s_wait_xcnt 0x0
	s_and_not1_saveexec_b32 s6, s6
	s_cbranch_execz .LBB254_62
; %bb.53:                               ;   in Loop: Header=BB254_3 Depth=1
	v_cndmask_b32_e64 v3, 0, 1.0, vcc_lo
	s_mov_b32 s7, exec_lo
                                        ; implicit-def: $vgpr2
	s_delay_alu instid0(VALU_DEP_1)
	v_cmpx_gt_u32_e32 0x43f00000, v3
	s_xor_b32 s7, exec_lo, s7
	s_cbranch_execz .LBB254_59
; %bb.54:                               ;   in Loop: Header=BB254_3 Depth=1
	s_mov_b32 s8, exec_lo
                                        ; implicit-def: $vgpr2
	v_cmpx_lt_u32_e32 0x3c7fffff, v3
	s_xor_b32 s8, exec_lo, s8
; %bb.55:                               ;   in Loop: Header=BB254_3 Depth=1
	v_bfe_u32 v2, v3, 20, 1
	s_delay_alu instid0(VALU_DEP_1) | instskip(NEXT) | instid1(VALU_DEP_1)
	v_add3_u32 v2, v3, v2, 0x407ffff
	v_and_b32_e32 v3, 0xff00000, v2
	v_lshrrev_b32_e32 v2, 20, v2
	s_delay_alu instid0(VALU_DEP_2) | instskip(NEXT) | instid1(VALU_DEP_1)
	v_cmp_ne_u32_e64 s0, 0x7f00000, v3
                                        ; implicit-def: $vgpr3
	v_cndmask_b32_e64 v2, 0x7e, v2, s0
; %bb.56:                               ;   in Loop: Header=BB254_3 Depth=1
	s_and_not1_saveexec_b32 s0, s8
; %bb.57:                               ;   in Loop: Header=BB254_3 Depth=1
	v_add_f32_e32 v2, 0x46800000, v3
; %bb.58:                               ;   in Loop: Header=BB254_3 Depth=1
	s_or_b32 exec_lo, exec_lo, s0
                                        ; implicit-def: $vgpr3
.LBB254_59:                             ;   in Loop: Header=BB254_3 Depth=1
	s_and_not1_saveexec_b32 s7, s7
; %bb.60:                               ;   in Loop: Header=BB254_3 Depth=1
	v_cmp_lt_u32_e64 s0, 0x7f800000, v3
	s_delay_alu instid0(VALU_DEP_1)
	v_cndmask_b32_e64 v2, 0x7e, v23, s0
; %bb.61:                               ;   in Loop: Header=BB254_3 Depth=1
	s_or_b32 exec_lo, exec_lo, s7
	flat_store_b8 v[0:1], v2
.LBB254_62:                             ;   in Loop: Header=BB254_3 Depth=1
	s_wait_xcnt 0x0
	s_or_b32 exec_lo, exec_lo, s6
                                        ; implicit-def: $vgpr0_vgpr1
.LBB254_63:                             ;   in Loop: Header=BB254_3 Depth=1
	s_and_not1_saveexec_b32 s5, s5
	s_cbranch_execz .LBB254_73
; %bb.64:                               ;   in Loop: Header=BB254_3 Depth=1
	v_cndmask_b32_e64 v3, 0, 1.0, vcc_lo
	s_mov_b32 s6, exec_lo
                                        ; implicit-def: $vgpr2
	s_delay_alu instid0(VALU_DEP_1)
	v_cmpx_gt_u32_e32 0x47800000, v3
	s_xor_b32 s6, exec_lo, s6
	s_cbranch_execz .LBB254_70
; %bb.65:                               ;   in Loop: Header=BB254_3 Depth=1
	v_cmp_lt_u32_e64 s0, 0x387fffff, v3
                                        ; implicit-def: $vgpr2
	s_and_saveexec_b32 s7, s0
	s_delay_alu instid0(SALU_CYCLE_1)
	s_xor_b32 s0, exec_lo, s7
; %bb.66:                               ;   in Loop: Header=BB254_3 Depth=1
	v_bfe_u32 v2, v3, 21, 1
	s_delay_alu instid0(VALU_DEP_1) | instskip(NEXT) | instid1(VALU_DEP_1)
	v_add3_u32 v2, v3, v2, 0x80fffff
                                        ; implicit-def: $vgpr3
	v_lshrrev_b32_e32 v2, 21, v2
; %bb.67:                               ;   in Loop: Header=BB254_3 Depth=1
	s_and_not1_saveexec_b32 s0, s0
; %bb.68:                               ;   in Loop: Header=BB254_3 Depth=1
	v_add_f32_e32 v2, 0x43000000, v3
; %bb.69:                               ;   in Loop: Header=BB254_3 Depth=1
	s_or_b32 exec_lo, exec_lo, s0
                                        ; implicit-def: $vgpr3
.LBB254_70:                             ;   in Loop: Header=BB254_3 Depth=1
	s_and_not1_saveexec_b32 s6, s6
; %bb.71:                               ;   in Loop: Header=BB254_3 Depth=1
	v_cmp_lt_u32_e64 s0, 0x7f800000, v3
	s_delay_alu instid0(VALU_DEP_1)
	v_cndmask_b32_e64 v2, 0x7c, v23, s0
; %bb.72:                               ;   in Loop: Header=BB254_3 Depth=1
	s_or_b32 exec_lo, exec_lo, s6
	flat_store_b8 v[0:1], v2
.LBB254_73:                             ;   in Loop: Header=BB254_3 Depth=1
	s_wait_xcnt 0x0
	s_or_b32 exec_lo, exec_lo, s5
	s_delay_alu instid0(SALU_CYCLE_1)
	s_or_b32 s5, s1, exec_lo
                                        ; implicit-def: $vgpr2
                                        ; implicit-def: $vgpr0_vgpr1
.LBB254_74:                             ;   in Loop: Header=BB254_3 Depth=1
	s_and_not1_saveexec_b32 s4, s4
	s_cbranch_execz .LBB254_84
; %bb.75:                               ;   in Loop: Header=BB254_3 Depth=1
	s_mov_b32 s6, s5
	s_mov_b32 s7, exec_lo
	v_cmpx_lt_i16_e32 14, v2
	s_xor_b32 s7, exec_lo, s7
	s_cbranch_execz .LBB254_79
; %bb.76:                               ;   in Loop: Header=BB254_3 Depth=1
	s_mov_b32 s8, s5
	s_mov_b32 s6, exec_lo
	v_cmpx_eq_u16_e32 15, v2
	s_cbranch_execz .LBB254_78
; %bb.77:                               ;   in Loop: Header=BB254_3 Depth=1
	v_cndmask_b32_e64 v2, 0, 1.0, vcc_lo
	s_or_b32 s8, s5, exec_lo
	s_delay_alu instid0(VALU_DEP_1) | instskip(NEXT) | instid1(VALU_DEP_1)
	v_bfe_u32 v3, v2, 16, 1
	v_add3_u32 v2, v2, v3, 0x7fff
	flat_store_d16_hi_b16 v[0:1], v2
.LBB254_78:                             ;   in Loop: Header=BB254_3 Depth=1
	s_wait_xcnt 0x0
	s_or_b32 exec_lo, exec_lo, s6
	s_delay_alu instid0(SALU_CYCLE_1) | instskip(SKIP_1) | instid1(SALU_CYCLE_1)
	s_and_not1_b32 s0, s5, exec_lo
	s_and_b32 s6, s8, exec_lo
                                        ; implicit-def: $vgpr2
                                        ; implicit-def: $vgpr0_vgpr1
	s_or_b32 s6, s0, s6
.LBB254_79:                             ;   in Loop: Header=BB254_3 Depth=1
	s_and_not1_saveexec_b32 s7, s7
	s_cbranch_execz .LBB254_83
; %bb.80:                               ;   in Loop: Header=BB254_3 Depth=1
	s_mov_b32 s8, s6
	s_mov_b32 s9, exec_lo
	v_cmpx_eq_u16_e32 11, v2
	s_cbranch_execz .LBB254_82
; %bb.81:                               ;   in Loop: Header=BB254_3 Depth=1
	v_cndmask_b32_e64 v2, 0, 1, vcc_lo
	s_or_b32 s8, s6, exec_lo
	flat_store_b8 v[0:1], v2
.LBB254_82:                             ;   in Loop: Header=BB254_3 Depth=1
	s_wait_xcnt 0x0
	s_or_b32 exec_lo, exec_lo, s9
	s_delay_alu instid0(SALU_CYCLE_1) | instskip(SKIP_1) | instid1(SALU_CYCLE_1)
	s_and_not1_b32 s0, s6, exec_lo
	s_and_b32 s6, s8, exec_lo
	s_or_b32 s6, s0, s6
.LBB254_83:                             ;   in Loop: Header=BB254_3 Depth=1
	s_or_b32 exec_lo, exec_lo, s7
	s_delay_alu instid0(SALU_CYCLE_1) | instskip(SKIP_1) | instid1(SALU_CYCLE_1)
	s_and_not1_b32 s0, s5, exec_lo
	s_and_b32 s5, s6, exec_lo
	s_or_b32 s5, s0, s5
.LBB254_84:                             ;   in Loop: Header=BB254_3 Depth=1
	s_or_b32 exec_lo, exec_lo, s4
	s_delay_alu instid0(SALU_CYCLE_1) | instskip(SKIP_1) | instid1(SALU_CYCLE_1)
	s_and_not1_b32 s0, s1, exec_lo
	s_and_b32 s1, s5, exec_lo
	s_or_b32 s1, s0, s1
.LBB254_85:                             ;   in Loop: Header=BB254_3 Depth=1
	s_or_b32 exec_lo, exec_lo, s3
	s_delay_alu instid0(SALU_CYCLE_1)
	s_and_b32 s1, s1, exec_lo
                                        ; implicit-def: $vgpr2
                                        ; implicit-def: $vgpr0_vgpr1
	s_and_not1_saveexec_b32 s2, s2
	s_cbranch_execnz .LBB254_92
.LBB254_86:                             ;   in Loop: Header=BB254_3 Depth=1
	s_or_b32 exec_lo, exec_lo, s2
	s_mov_b32 s0, 0
	s_and_saveexec_b32 s2, s1
.LBB254_87:                             ;   in Loop: Header=BB254_3 Depth=1
	v_add_nc_u32_e32 v22, 0x80, v22
	s_mov_b32 s0, exec_lo
.LBB254_88:                             ;   in Loop: Header=BB254_3 Depth=1
	s_or_b32 exec_lo, exec_lo, s2
	s_delay_alu instid0(SALU_CYCLE_1)
	s_or_not1_b32 s0, s0, exec_lo
.LBB254_89:                             ;   in Loop: Header=BB254_3 Depth=1
	s_or_b32 exec_lo, exec_lo, s26
	s_mov_b32 s1, -1
	s_or_b32 s25, s25, exec_lo
	s_and_saveexec_b32 s2, s0
	s_cbranch_execz .LBB254_2
; %bb.90:                               ;   in Loop: Header=BB254_3 Depth=1
	s_add_co_i32 s22, s22, -1
	s_delay_alu instid0(SALU_CYCLE_1)
	s_cmp_eq_u32 s22, 0
	s_cselect_b32 s0, -1, 0
	s_and_not1_b32 s25, s25, exec_lo
	s_or_not1_b32 s1, s0, exec_lo
	s_branch .LBB254_2
.LBB254_91:                             ;   in Loop: Header=BB254_3 Depth=1
	s_and_not1_saveexec_b32 s2, s2
	s_cbranch_execz .LBB254_86
.LBB254_92:                             ;   in Loop: Header=BB254_3 Depth=1
	s_mov_b32 s3, exec_lo
	v_cmpx_lt_i16_e32 4, v2
	s_xor_b32 s3, exec_lo, s3
	s_cbranch_execz .LBB254_114
; %bb.93:                               ;   in Loop: Header=BB254_3 Depth=1
	s_mov_b32 s4, exec_lo
	v_cmpx_lt_i16_e32 7, v2
	s_xor_b32 s4, exec_lo, s4
	s_cbranch_execz .LBB254_103
; %bb.94:                               ;   in Loop: Header=BB254_3 Depth=1
	s_mov_b32 s5, exec_lo
	v_cmpx_lt_i16_e32 8, v2
	s_xor_b32 s5, exec_lo, s5
	s_cbranch_execz .LBB254_100
; %bb.95:                               ;   in Loop: Header=BB254_3 Depth=1
	v_cmp_lt_i16_e64 s0, 9, v2
	s_and_saveexec_b32 s6, s0
	s_delay_alu instid0(SALU_CYCLE_1)
	s_xor_b32 s0, exec_lo, s6
	s_cbranch_execz .LBB254_97
; %bb.96:                               ;   in Loop: Header=BB254_3 Depth=1
	v_cndmask_b32_e64 v2, 0, 1, vcc_lo
	v_mov_b32_e32 v26, v27
	s_delay_alu instid0(VALU_DEP_2)
	v_cvt_f64_u32_e32 v[24:25], v2
	flat_store_b128 v[0:1], v[24:27]
                                        ; implicit-def: $vgpr0_vgpr1
.LBB254_97:                             ;   in Loop: Header=BB254_3 Depth=1
	s_wait_xcnt 0x0
	s_and_not1_saveexec_b32 s0, s0
	s_cbranch_execz .LBB254_99
; %bb.98:                               ;   in Loop: Header=BB254_3 Depth=1
	v_cndmask_b32_e64 v26, 0, 1.0, vcc_lo
	flat_store_b64 v[0:1], v[26:27]
.LBB254_99:                             ;   in Loop: Header=BB254_3 Depth=1
	s_wait_xcnt 0x0
	s_or_b32 exec_lo, exec_lo, s0
                                        ; implicit-def: $vgpr0_vgpr1
.LBB254_100:                            ;   in Loop: Header=BB254_3 Depth=1
	s_and_not1_saveexec_b32 s0, s5
	s_cbranch_execz .LBB254_102
; %bb.101:                              ;   in Loop: Header=BB254_3 Depth=1
	v_cndmask_b32_e64 v2, 0, 1.0, vcc_lo
	s_delay_alu instid0(VALU_DEP_1) | instskip(NEXT) | instid1(VALU_DEP_1)
	v_cvt_f16_f32_e32 v2, v2
	v_and_b32_e32 v2, 0xffff, v2
	flat_store_b32 v[0:1], v2
.LBB254_102:                            ;   in Loop: Header=BB254_3 Depth=1
	s_wait_xcnt 0x0
	s_or_b32 exec_lo, exec_lo, s0
                                        ; implicit-def: $vgpr0_vgpr1
                                        ; implicit-def: $vgpr2
.LBB254_103:                            ;   in Loop: Header=BB254_3 Depth=1
	s_and_not1_saveexec_b32 s4, s4
	s_cbranch_execz .LBB254_113
; %bb.104:                              ;   in Loop: Header=BB254_3 Depth=1
	s_mov_b32 s5, exec_lo
	v_cmpx_lt_i16_e32 5, v2
	s_xor_b32 s5, exec_lo, s5
	s_cbranch_execz .LBB254_110
; %bb.105:                              ;   in Loop: Header=BB254_3 Depth=1
	v_cmp_lt_i16_e64 s0, 6, v2
	s_and_saveexec_b32 s6, s0
	s_delay_alu instid0(SALU_CYCLE_1)
	s_xor_b32 s0, exec_lo, s6
	s_cbranch_execz .LBB254_107
; %bb.106:                              ;   in Loop: Header=BB254_3 Depth=1
	v_cndmask_b32_e64 v2, 0, 1, vcc_lo
	s_delay_alu instid0(VALU_DEP_1)
	v_cvt_f64_u32_e32 v[2:3], v2
	flat_store_b64 v[0:1], v[2:3]
                                        ; implicit-def: $vgpr0_vgpr1
.LBB254_107:                            ;   in Loop: Header=BB254_3 Depth=1
	s_wait_xcnt 0x0
	s_and_not1_saveexec_b32 s0, s0
	s_cbranch_execz .LBB254_109
; %bb.108:                              ;   in Loop: Header=BB254_3 Depth=1
	v_cndmask_b32_e64 v2, 0, 1.0, vcc_lo
	flat_store_b32 v[0:1], v2
.LBB254_109:                            ;   in Loop: Header=BB254_3 Depth=1
	s_wait_xcnt 0x0
	s_or_b32 exec_lo, exec_lo, s0
                                        ; implicit-def: $vgpr0_vgpr1
.LBB254_110:                            ;   in Loop: Header=BB254_3 Depth=1
	s_and_not1_saveexec_b32 s0, s5
	s_cbranch_execz .LBB254_112
; %bb.111:                              ;   in Loop: Header=BB254_3 Depth=1
	v_cndmask_b32_e64 v2, 0, 1.0, vcc_lo
	s_delay_alu instid0(VALU_DEP_1)
	v_cvt_f16_f32_e32 v2, v2
	flat_store_b16 v[0:1], v2
.LBB254_112:                            ;   in Loop: Header=BB254_3 Depth=1
	s_wait_xcnt 0x0
	s_or_b32 exec_lo, exec_lo, s0
.LBB254_113:                            ;   in Loop: Header=BB254_3 Depth=1
	s_delay_alu instid0(SALU_CYCLE_1)
	s_or_b32 exec_lo, exec_lo, s4
                                        ; implicit-def: $vgpr2
                                        ; implicit-def: $vgpr0_vgpr1
.LBB254_114:                            ;   in Loop: Header=BB254_3 Depth=1
	s_and_not1_saveexec_b32 s3, s3
	s_cbranch_execz .LBB254_132
; %bb.115:                              ;   in Loop: Header=BB254_3 Depth=1
	s_mov_b32 s4, exec_lo
	v_cmpx_lt_i16_e32 1, v2
	s_xor_b32 s4, exec_lo, s4
	s_cbranch_execz .LBB254_125
; %bb.116:                              ;   in Loop: Header=BB254_3 Depth=1
	s_mov_b32 s5, exec_lo
	v_cmpx_lt_i16_e32 2, v2
	s_xor_b32 s5, exec_lo, s5
	s_cbranch_execz .LBB254_122
; %bb.117:                              ;   in Loop: Header=BB254_3 Depth=1
	v_cmp_lt_i16_e64 s0, 3, v2
	s_and_saveexec_b32 s6, s0
	s_delay_alu instid0(SALU_CYCLE_1)
	s_xor_b32 s0, exec_lo, s6
	s_cbranch_execz .LBB254_119
; %bb.118:                              ;   in Loop: Header=BB254_3 Depth=1
	v_cndmask_b32_e64 v2, 0, 1, vcc_lo
	v_mov_b32_e32 v3, s21
	flat_store_b64 v[0:1], v[2:3]
                                        ; implicit-def: $vgpr0_vgpr1
.LBB254_119:                            ;   in Loop: Header=BB254_3 Depth=1
	s_wait_xcnt 0x0
	s_and_not1_saveexec_b32 s0, s0
	s_cbranch_execz .LBB254_121
; %bb.120:                              ;   in Loop: Header=BB254_3 Depth=1
	v_cndmask_b32_e64 v2, 0, 1, vcc_lo
	flat_store_b32 v[0:1], v2
.LBB254_121:                            ;   in Loop: Header=BB254_3 Depth=1
	s_wait_xcnt 0x0
	s_or_b32 exec_lo, exec_lo, s0
                                        ; implicit-def: $vgpr0_vgpr1
.LBB254_122:                            ;   in Loop: Header=BB254_3 Depth=1
	s_and_not1_saveexec_b32 s0, s5
	s_cbranch_execz .LBB254_124
; %bb.123:                              ;   in Loop: Header=BB254_3 Depth=1
	v_cndmask_b32_e64 v2, 0, 1, vcc_lo
	flat_store_b16 v[0:1], v2
.LBB254_124:                            ;   in Loop: Header=BB254_3 Depth=1
	s_wait_xcnt 0x0
	s_or_b32 exec_lo, exec_lo, s0
                                        ; implicit-def: $vgpr0_vgpr1
                                        ; implicit-def: $vgpr2
.LBB254_125:                            ;   in Loop: Header=BB254_3 Depth=1
	s_and_not1_saveexec_b32 s4, s4
	s_cbranch_execz .LBB254_131
; %bb.126:                              ;   in Loop: Header=BB254_3 Depth=1
	v_cmp_lt_i16_e64 s0, 0, v2
	v_cndmask_b32_e64 v2, 0, 1, vcc_lo
	s_and_saveexec_b32 s5, s0
	s_delay_alu instid0(SALU_CYCLE_1)
	s_xor_b32 s0, exec_lo, s5
	s_cbranch_execz .LBB254_128
; %bb.127:                              ;   in Loop: Header=BB254_3 Depth=1
	flat_store_b8 v[0:1], v2
                                        ; implicit-def: $vgpr0_vgpr1
                                        ; implicit-def: $vgpr2
.LBB254_128:                            ;   in Loop: Header=BB254_3 Depth=1
	s_wait_xcnt 0x0
	s_and_not1_saveexec_b32 s0, s0
	s_cbranch_execz .LBB254_130
; %bb.129:                              ;   in Loop: Header=BB254_3 Depth=1
	flat_store_b8 v[0:1], v2
.LBB254_130:                            ;   in Loop: Header=BB254_3 Depth=1
	s_wait_xcnt 0x0
	s_or_b32 exec_lo, exec_lo, s0
.LBB254_131:                            ;   in Loop: Header=BB254_3 Depth=1
	s_delay_alu instid0(SALU_CYCLE_1)
	s_or_b32 exec_lo, exec_lo, s4
.LBB254_132:                            ;   in Loop: Header=BB254_3 Depth=1
	s_delay_alu instid0(SALU_CYCLE_1) | instskip(NEXT) | instid1(SALU_CYCLE_1)
	s_or_b32 exec_lo, exec_lo, s3
	s_or_b32 s1, s1, exec_lo
	s_or_b32 exec_lo, exec_lo, s2
	s_mov_b32 s0, 0
	s_and_saveexec_b32 s2, s1
	s_cbranch_execnz .LBB254_87
	s_branch .LBB254_88
.LBB254_133:                            ;   in Loop: Header=BB254_3 Depth=1
	s_and_not1_saveexec_b32 s8, s0
	s_cbranch_execz .LBB254_35
.LBB254_134:                            ;   in Loop: Header=BB254_3 Depth=1
	v_add_f32_e32 v2, 0x46000000, v3
	s_and_not1_b32 s7, s7, exec_lo
	s_delay_alu instid0(VALU_DEP_1) | instskip(NEXT) | instid1(VALU_DEP_1)
	v_and_b32_e32 v2, 0xff, v2
	v_cmp_ne_u32_e64 s0, 0, v2
	s_and_b32 s0, s0, exec_lo
	s_delay_alu instid0(SALU_CYCLE_1)
	s_or_b32 s7, s7, s0
	s_or_b32 exec_lo, exec_lo, s8
	v_mov_b32_e32 v4, 0
	s_and_saveexec_b32 s0, s7
	s_cbranch_execnz .LBB254_36
	s_branch .LBB254_37
.LBB254_135:                            ;   in Loop: Header=BB254_3 Depth=1
	s_and_not1_saveexec_b32 s9, s0
	s_cbranch_execz .LBB254_48
.LBB254_136:                            ;   in Loop: Header=BB254_3 Depth=1
	v_add_f32_e32 v2, 0x42800000, v3
	s_and_not1_b32 s8, s8, exec_lo
	s_delay_alu instid0(VALU_DEP_1) | instskip(NEXT) | instid1(VALU_DEP_1)
	v_and_b32_e32 v2, 0xff, v2
	v_cmp_ne_u32_e64 s0, 0, v2
	s_and_b32 s0, s0, exec_lo
	s_delay_alu instid0(SALU_CYCLE_1)
	s_or_b32 s8, s8, s0
	s_or_b32 exec_lo, exec_lo, s9
	v_mov_b32_e32 v4, 0
	s_and_saveexec_b32 s0, s8
	s_cbranch_execnz .LBB254_49
	s_branch .LBB254_50
.LBB254_137:
	s_or_b32 exec_lo, exec_lo, s24
	s_mov_b32 s0, 0
	s_and_saveexec_b32 s1, s23
	s_delay_alu instid0(SALU_CYCLE_1)
	s_xor_b32 s1, exec_lo, s1
	s_cbranch_execnz .LBB254_2337
.LBB254_138:
	s_or_b32 exec_lo, exec_lo, s1
	s_delay_alu instid0(SALU_CYCLE_1)
	s_and_b32 s1, s0, exec_lo
                                        ; implicit-def: $vgpr0
                                        ; implicit-def: $vgpr22
.LBB254_139:
	s_or_saveexec_b32 s2, s20
	s_mov_b32 s0, 0
                                        ; implicit-def: $sgpr21
                                        ; implicit-def: $vgpr30_vgpr31
                                        ; implicit-def: $vgpr15
	s_xor_b32 exec_lo, exec_lo, s2
	s_cbranch_execz .LBB254_180
; %bb.140:
	scratch_load_b32 v1, off, off offset:16
                                        ; implicit-def: $vgpr28
                                        ; implicit-def: $vgpr16
                                        ; implicit-def: $vgpr10
	s_wait_loadcnt 0x0
	v_add_nc_u32_e32 v2, -1, v1
	s_delay_alu instid0(VALU_DEP_1) | instskip(SKIP_2) | instid1(SALU_CYCLE_1)
	v_cmp_lt_u32_e32 vcc_lo, 1, v2
	s_wait_xcnt 0x0
	s_and_saveexec_b32 s0, vcc_lo
	s_xor_b32 s3, exec_lo, s0
	s_cbranch_execz .LBB254_148
; %bb.141:
	v_dual_mov_b32 v28, 0 :: v_dual_mov_b32 v16, 0
	v_mov_b32_e32 v10, 0
	s_mov_b32 s4, exec_lo
	v_cmpx_ne_u32_e32 0, v1
	s_cbranch_execz .LBB254_147
; %bb.142:
	v_min_u32_e32 v4, 15, v2
	v_dual_mov_b32 v16, 0 :: v_dual_mov_b32 v28, 0
	s_sub_co_i32 s6, 16, 24
	s_mov_b32 s5, 0
	s_delay_alu instid0(VALU_DEP_2) | instskip(NEXT) | instid1(VALU_DEP_1)
	v_dual_mov_b32 v10, 0 :: v_dual_add_nc_u32 v3, 1, v4
	v_dual_mov_b32 v3, v22 :: v_dual_bitop2_b32 v5, 30, v3 bitop3:0x40
.LBB254_143:                            ; =>This Inner Loop Header: Depth=1
	s_clause 0x3
	scratch_load_b128 v[6:9], off, s6 offset:28
	scratch_load_b64 v[18:19], off, s6 offset:44
	scratch_load_b128 v[12:15], off, s6 offset:220
	scratch_load_b64 v[20:21], off, s6 offset:236
	s_wait_xcnt 0x0
	s_add_co_i32 s6, s6, 24
	v_add_nc_u32_e32 v5, -2, v5
	s_delay_alu instid0(VALU_DEP_1) | instskip(SKIP_3) | instid1(VALU_DEP_1)
	v_cmp_eq_u32_e64 s0, 0, v5
	s_or_b32 s5, s0, s5
	s_wait_loadcnt 0x3
	v_mul_hi_u32 v7, v7, v3
	v_add_nc_u32_e32 v7, v3, v7
	s_delay_alu instid0(VALU_DEP_1) | instskip(SKIP_1) | instid1(VALU_DEP_1)
	v_lshrrev_b32_e32 v7, v8, v7
	s_wait_loadcnt 0x2
	v_mul_hi_u32 v8, v18, v7
	v_mul_lo_u32 v6, v7, v6
	s_delay_alu instid0(VALU_DEP_2) | instskip(NEXT) | instid1(VALU_DEP_2)
	v_add_nc_u32_e32 v8, v7, v8
	v_sub_nc_u32_e32 v6, v3, v6
	s_delay_alu instid0(VALU_DEP_2) | instskip(SKIP_1) | instid1(VALU_DEP_2)
	v_lshrrev_b32_e32 v3, v19, v8
	s_wait_loadcnt 0x1
	v_mad_u32 v11, v6, v14, v28
	s_delay_alu instid0(VALU_DEP_2) | instskip(SKIP_2) | instid1(VALU_DEP_3)
	v_mul_lo_u32 v8, v3, v9
	v_mad_u32 v9, v6, v12, v10
	v_mad_u32 v6, v6, v13, v16
	v_sub_nc_u32_e32 v7, v7, v8
	s_wait_loadcnt 0x0
	s_delay_alu instid0(VALU_DEP_1)
	v_mad_u32 v16, v7, v20, v6
	v_mov_b32_e32 v6, s6
	v_mad_u32 v10, v7, v15, v9
	v_mad_u32 v28, v7, v21, v11
	s_and_not1_b32 exec_lo, exec_lo, s5
	s_cbranch_execnz .LBB254_143
; %bb.144:
	s_or_b32 exec_lo, exec_lo, s5
	v_and_b32_e32 v4, 1, v4
	s_mov_b32 s5, exec_lo
	s_delay_alu instid0(VALU_DEP_1)
	v_cmpx_eq_u32_e32 0, v4
	s_cbranch_execz .LBB254_146
; %bb.145:
	s_clause 0x1
	scratch_load_b96 v[12:14], v6, off offset:28
	scratch_load_b96 v[18:20], v6, off offset:220
	s_wait_loadcnt 0x1
	v_mul_hi_u32 v4, v13, v3
	s_delay_alu instid0(VALU_DEP_1) | instskip(NEXT) | instid1(VALU_DEP_1)
	v_add_nc_u32_e32 v4, v3, v4
	v_lshrrev_b32_e32 v4, v14, v4
	s_delay_alu instid0(VALU_DEP_1) | instskip(NEXT) | instid1(VALU_DEP_1)
	v_mul_lo_u32 v4, v4, v12
	v_sub_nc_u32_e32 v3, v3, v4
	s_wait_loadcnt 0x0
	s_delay_alu instid0(VALU_DEP_1)
	v_mad_u32 v10, v3, v18, v10
	v_mad_u32 v16, v3, v19, v16
	;; [unrolled: 1-line block ×3, first 2 shown]
.LBB254_146:
	s_wait_xcnt 0x0
	s_or_b32 exec_lo, exec_lo, s5
.LBB254_147:
	s_delay_alu instid0(SALU_CYCLE_1)
	s_or_b32 exec_lo, exec_lo, s4
.LBB254_148:
	s_and_not1_saveexec_b32 s3, s3
	s_cbranch_execz .LBB254_152
; %bb.149:
	s_clause 0x1
	scratch_load_b96 v[4:6], off, off offset:20
	scratch_load_b96 v[10:12], off, off offset:212
	s_mov_b32 s4, exec_lo
	s_wait_loadcnt 0x1
	v_mul_hi_u32 v3, v5, v22
	s_delay_alu instid0(VALU_DEP_1) | instskip(NEXT) | instid1(VALU_DEP_1)
	v_add_nc_u32_e32 v3, v22, v3
	v_lshrrev_b32_e32 v3, v6, v3
	s_delay_alu instid0(VALU_DEP_1) | instskip(NEXT) | instid1(VALU_DEP_1)
	v_mul_lo_u32 v4, v3, v4
	v_sub_nc_u32_e32 v4, v22, v4
	s_wait_loadcnt 0x0
	s_delay_alu instid0(VALU_DEP_1)
	v_mul_lo_u32 v10, v4, v10
	v_mul_lo_u32 v28, v4, v12
	;; [unrolled: 1-line block ×3, first 2 shown]
	s_wait_xcnt 0x0
	v_cmpx_lt_u32_e32 1, v1
	s_cbranch_execz .LBB254_151
; %bb.150:
	s_clause 0x1
	scratch_load_b96 v[4:6], off, off offset:32
	scratch_load_b96 v[12:14], off, off offset:224
	s_wait_loadcnt 0x1
	v_mul_hi_u32 v5, v5, v3
	s_delay_alu instid0(VALU_DEP_1) | instskip(NEXT) | instid1(VALU_DEP_1)
	v_add_nc_u32_e32 v5, v3, v5
	v_lshrrev_b32_e32 v5, v6, v5
	s_delay_alu instid0(VALU_DEP_1) | instskip(NEXT) | instid1(VALU_DEP_1)
	v_mul_lo_u32 v4, v5, v4
	v_sub_nc_u32_e32 v3, v3, v4
	s_wait_loadcnt 0x0
	s_delay_alu instid0(VALU_DEP_1)
	v_mad_u32 v10, v3, v12, v10
	v_mad_u32 v16, v3, v13, v16
	;; [unrolled: 1-line block ×3, first 2 shown]
.LBB254_151:
	s_wait_xcnt 0x0
	s_or_b32 exec_lo, exec_lo, s4
.LBB254_152:
	s_delay_alu instid0(SALU_CYCLE_1) | instskip(SKIP_2) | instid1(SALU_CYCLE_1)
	s_or_b32 exec_lo, exec_lo, s3
	v_add_nc_u32_e32 v3, 0x80, v22
                                        ; implicit-def: $vgpr24
                                        ; implicit-def: $vgpr26
                                        ; implicit-def: $vgpr8
	s_and_saveexec_b32 s0, vcc_lo
	s_xor_b32 s3, exec_lo, s0
	s_cbranch_execz .LBB254_160
; %bb.153:
	v_dual_mov_b32 v24, 0 :: v_dual_mov_b32 v26, 0
	v_mov_b32_e32 v8, 0
	s_mov_b32 s4, exec_lo
	v_cmpx_ne_u32_e32 0, v1
	s_cbranch_execz .LBB254_159
; %bb.154:
	v_min_u32_e32 v4, 15, v2
	v_mov_b32_e32 v24, 0
	s_sub_co_i32 s6, 16, 24
	s_mov_b32 s5, 0
	s_delay_alu instid0(VALU_DEP_2) | instskip(NEXT) | instid1(VALU_DEP_1)
	v_dual_mov_b32 v8, 0 :: v_dual_add_nc_u32 v5, 1, v4
	v_dual_mov_b32 v26, 0 :: v_dual_bitop2_b32 v5, 30, v5 bitop3:0x40
.LBB254_155:                            ; =>This Inner Loop Header: Depth=1
	s_clause 0x3
	scratch_load_b128 v[12:15], off, s6 offset:28
	scratch_load_b64 v[6:7], off, s6 offset:44
	scratch_load_b128 v[18:21], off, s6 offset:220
	scratch_load_b64 v[30:31], off, s6 offset:236
	s_wait_xcnt 0x0
	s_add_co_i32 s6, s6, 24
	v_add_nc_u32_e32 v5, -2, v5
	s_delay_alu instid0(VALU_DEP_1) | instskip(SKIP_3) | instid1(VALU_DEP_1)
	v_cmp_eq_u32_e64 s0, 0, v5
	s_or_b32 s5, s0, s5
	s_wait_loadcnt 0x3
	v_mul_hi_u32 v9, v13, v3
	v_add_nc_u32_e32 v9, v3, v9
	s_delay_alu instid0(VALU_DEP_1) | instskip(SKIP_1) | instid1(VALU_DEP_1)
	v_lshrrev_b32_e32 v9, v14, v9
	s_wait_loadcnt 0x2
	v_mul_hi_u32 v6, v6, v9
	v_mul_lo_u32 v11, v9, v12
	s_delay_alu instid0(VALU_DEP_1) | instskip(NEXT) | instid1(VALU_DEP_1)
	v_dual_add_nc_u32 v6, v9, v6 :: v_dual_sub_nc_u32 v11, v3, v11
	v_lshrrev_b32_e32 v3, v7, v6
	s_wait_loadcnt 0x1
	s_delay_alu instid0(VALU_DEP_2) | instskip(SKIP_3) | instid1(VALU_DEP_1)
	v_mad_u32 v7, v11, v18, v8
	v_mad_u32 v12, v11, v20, v24
	;; [unrolled: 1-line block ×3, first 2 shown]
	v_mul_lo_u32 v6, v3, v15
	v_sub_nc_u32_e32 v6, v9, v6
	s_delay_alu instid0(VALU_DEP_1)
	v_mad_u32 v8, v6, v21, v7
	s_wait_loadcnt 0x0
	v_mad_u32 v24, v6, v31, v12
	v_mad_u32 v26, v6, v30, v11
	v_mov_b32_e32 v6, s6
	s_and_not1_b32 exec_lo, exec_lo, s5
	s_cbranch_execnz .LBB254_155
; %bb.156:
	s_or_b32 exec_lo, exec_lo, s5
	v_and_b32_e32 v4, 1, v4
	s_mov_b32 s5, exec_lo
	s_delay_alu instid0(VALU_DEP_1)
	v_cmpx_eq_u32_e32 0, v4
	s_cbranch_execz .LBB254_158
; %bb.157:
	s_clause 0x1
	scratch_load_b96 v[12:14], v6, off offset:28
	scratch_load_b96 v[18:20], v6, off offset:220
	s_wait_loadcnt 0x1
	v_mul_hi_u32 v4, v13, v3
	s_delay_alu instid0(VALU_DEP_1) | instskip(NEXT) | instid1(VALU_DEP_1)
	v_add_nc_u32_e32 v4, v3, v4
	v_lshrrev_b32_e32 v4, v14, v4
	s_delay_alu instid0(VALU_DEP_1) | instskip(NEXT) | instid1(VALU_DEP_1)
	v_mul_lo_u32 v4, v4, v12
	v_sub_nc_u32_e32 v3, v3, v4
	s_wait_loadcnt 0x0
	s_delay_alu instid0(VALU_DEP_1)
	v_mad_u32 v8, v3, v18, v8
	v_mad_u32 v26, v3, v19, v26
	;; [unrolled: 1-line block ×3, first 2 shown]
.LBB254_158:
	s_wait_xcnt 0x0
	s_or_b32 exec_lo, exec_lo, s5
.LBB254_159:
	s_delay_alu instid0(SALU_CYCLE_1)
	s_or_b32 exec_lo, exec_lo, s4
                                        ; implicit-def: $vgpr3
.LBB254_160:
	s_and_not1_saveexec_b32 s3, s3
	s_cbranch_execz .LBB254_164
; %bb.161:
	s_clause 0x1
	scratch_load_b96 v[6:8], off, off offset:20
	scratch_load_b96 v[12:14], off, off offset:212
	s_mov_b32 s4, exec_lo
	s_wait_loadcnt 0x1
	v_mul_hi_u32 v4, v7, v3
	s_delay_alu instid0(VALU_DEP_1) | instskip(NEXT) | instid1(VALU_DEP_1)
	v_add_nc_u32_e32 v4, v3, v4
	v_lshrrev_b32_e32 v4, v8, v4
	s_delay_alu instid0(VALU_DEP_1) | instskip(NEXT) | instid1(VALU_DEP_1)
	v_mul_lo_u32 v5, v4, v6
	v_sub_nc_u32_e32 v3, v3, v5
	s_wait_loadcnt 0x0
	s_delay_alu instid0(VALU_DEP_1)
	v_mul_lo_u32 v8, v3, v12
	v_mul_lo_u32 v24, v3, v14
	;; [unrolled: 1-line block ×3, first 2 shown]
	s_wait_xcnt 0x0
	v_cmpx_lt_u32_e32 1, v1
	s_cbranch_execz .LBB254_163
; %bb.162:
	s_clause 0x1
	scratch_load_b96 v[12:14], off, off offset:32
	scratch_load_b96 v[18:20], off, off offset:224
	s_wait_loadcnt 0x1
	v_mul_hi_u32 v3, v13, v4
	s_delay_alu instid0(VALU_DEP_1) | instskip(NEXT) | instid1(VALU_DEP_1)
	v_add_nc_u32_e32 v3, v4, v3
	v_lshrrev_b32_e32 v3, v14, v3
	s_delay_alu instid0(VALU_DEP_1) | instskip(NEXT) | instid1(VALU_DEP_1)
	v_mul_lo_u32 v3, v3, v12
	v_sub_nc_u32_e32 v3, v4, v3
	s_wait_loadcnt 0x0
	s_delay_alu instid0(VALU_DEP_1)
	v_mad_u32 v8, v3, v18, v8
	v_mad_u32 v26, v3, v19, v26
	;; [unrolled: 1-line block ×3, first 2 shown]
.LBB254_163:
	s_wait_xcnt 0x0
	s_or_b32 exec_lo, exec_lo, s4
.LBB254_164:
	s_delay_alu instid0(SALU_CYCLE_1) | instskip(SKIP_2) | instid1(SALU_CYCLE_1)
	s_or_b32 exec_lo, exec_lo, s3
	v_add_nc_u32_e32 v3, 0x100, v22
                                        ; implicit-def: $vgpr18
                                        ; implicit-def: $vgpr20
                                        ; implicit-def: $vgpr6
	s_and_saveexec_b32 s0, vcc_lo
	s_xor_b32 s3, exec_lo, s0
	s_cbranch_execz .LBB254_183
; %bb.165:
	v_dual_mov_b32 v18, 0 :: v_dual_mov_b32 v20, 0
	v_mov_b32_e32 v6, 0
	s_mov_b32 s4, exec_lo
	v_cmpx_ne_u32_e32 0, v1
	s_cbranch_execz .LBB254_171
; %bb.166:
	v_min_u32_e32 v4, 15, v2
	v_mov_b32_e32 v18, 0
	s_sub_co_i32 s6, 16, 24
	s_mov_b32 s5, 0
	s_delay_alu instid0(VALU_DEP_2) | instskip(NEXT) | instid1(VALU_DEP_1)
	v_dual_mov_b32 v6, 0 :: v_dual_add_nc_u32 v5, 1, v4
	v_dual_mov_b32 v20, 0 :: v_dual_bitop2_b32 v5, 30, v5 bitop3:0x40
.LBB254_167:                            ; =>This Inner Loop Header: Depth=1
	s_clause 0x3
	scratch_load_b128 v[12:15], off, s6 offset:28
	scratch_load_b64 v[22:23], off, s6 offset:44
	scratch_load_b128 v[30:33], off, s6 offset:220
	scratch_load_b64 v[34:35], off, s6 offset:236
	s_wait_xcnt 0x0
	s_add_co_i32 s6, s6, 24
	v_add_nc_u32_e32 v5, -2, v5
	s_delay_alu instid0(VALU_DEP_1) | instskip(SKIP_3) | instid1(VALU_DEP_1)
	v_cmp_eq_u32_e64 s0, 0, v5
	s_or_b32 s5, s0, s5
	s_wait_loadcnt 0x3
	v_mul_hi_u32 v7, v13, v3
	v_add_nc_u32_e32 v7, v3, v7
	s_delay_alu instid0(VALU_DEP_1) | instskip(SKIP_1) | instid1(VALU_DEP_1)
	v_lshrrev_b32_e32 v7, v14, v7
	s_wait_loadcnt 0x2
	v_mul_hi_u32 v9, v22, v7
	v_mul_lo_u32 v11, v7, v12
	s_delay_alu instid0(VALU_DEP_2) | instskip(NEXT) | instid1(VALU_DEP_2)
	v_add_nc_u32_e32 v9, v7, v9
	v_sub_nc_u32_e32 v11, v3, v11
	s_delay_alu instid0(VALU_DEP_2) | instskip(SKIP_1) | instid1(VALU_DEP_2)
	v_lshrrev_b32_e32 v3, v23, v9
	s_wait_loadcnt 0x1
	v_mad_u32 v6, v11, v30, v6
	v_mad_u32 v12, v11, v32, v18
	v_mad_u32 v11, v11, v31, v20
	v_mul_lo_u32 v9, v3, v15
	s_delay_alu instid0(VALU_DEP_1) | instskip(NEXT) | instid1(VALU_DEP_1)
	v_sub_nc_u32_e32 v7, v7, v9
	v_mad_u32 v6, v7, v33, v6
	s_wait_loadcnt 0x0
	v_mad_u32 v18, v7, v35, v12
	v_mad_u32 v20, v7, v34, v11
	v_mov_b32_e32 v7, s6
	s_and_not1_b32 exec_lo, exec_lo, s5
	s_cbranch_execnz .LBB254_167
; %bb.168:
	s_or_b32 exec_lo, exec_lo, s5
	v_and_b32_e32 v4, 1, v4
	s_mov_b32 s5, exec_lo
	s_delay_alu instid0(VALU_DEP_1)
	v_cmpx_eq_u32_e32 0, v4
	s_cbranch_execz .LBB254_170
; %bb.169:
	s_clause 0x1
	scratch_load_b96 v[12:14], v7, off offset:28
	scratch_load_b96 v[30:32], v7, off offset:220
	s_wait_loadcnt 0x1
	v_mul_hi_u32 v4, v13, v3
	s_delay_alu instid0(VALU_DEP_1) | instskip(NEXT) | instid1(VALU_DEP_1)
	v_add_nc_u32_e32 v4, v3, v4
	v_lshrrev_b32_e32 v4, v14, v4
	s_delay_alu instid0(VALU_DEP_1) | instskip(NEXT) | instid1(VALU_DEP_1)
	v_mul_lo_u32 v4, v4, v12
	v_sub_nc_u32_e32 v3, v3, v4
	s_wait_loadcnt 0x0
	s_delay_alu instid0(VALU_DEP_1)
	v_mad_u32 v6, v3, v30, v6
	v_mad_u32 v20, v3, v31, v20
	;; [unrolled: 1-line block ×3, first 2 shown]
.LBB254_170:
	s_wait_xcnt 0x0
	s_or_b32 exec_lo, exec_lo, s5
.LBB254_171:
	s_delay_alu instid0(SALU_CYCLE_1)
	s_or_b32 exec_lo, exec_lo, s4
                                        ; implicit-def: $vgpr3
	s_and_not1_saveexec_b32 s3, s3
	s_cbranch_execnz .LBB254_184
.LBB254_172:
	s_or_b32 exec_lo, exec_lo, s3
                                        ; implicit-def: $vgpr12
                                        ; implicit-def: $vgpr14
                                        ; implicit-def: $vgpr4
	s_and_saveexec_b32 s0, vcc_lo
	s_delay_alu instid0(SALU_CYCLE_1)
	s_xor_b32 s0, exec_lo, s0
	s_cbranch_execz .LBB254_187
.LBB254_173:
	v_dual_mov_b32 v12, 0 :: v_dual_mov_b32 v14, 0
	v_mov_b32_e32 v4, 0
	s_mov_b32 s3, exec_lo
	v_cmpx_ne_u32_e32 0, v1
	s_cbranch_execz .LBB254_179
; %bb.174:
	v_min_u32_e32 v1, 15, v2
	v_mov_b32_e32 v12, 0
	s_sub_co_i32 s5, 16, 24
	s_mov_b32 s4, 0
	s_delay_alu instid0(VALU_DEP_2) | instskip(NEXT) | instid1(VALU_DEP_1)
	v_dual_mov_b32 v4, 0 :: v_dual_add_nc_u32 v2, 1, v1
	v_dual_mov_b32 v14, 0 :: v_dual_bitop2_b32 v2, 30, v2 bitop3:0x40
.LBB254_175:                            ; =>This Inner Loop Header: Depth=1
	s_clause 0x3
	scratch_load_b128 v[30:33], off, s5 offset:28
	scratch_load_b64 v[22:23], off, s5 offset:44
	scratch_load_b128 v[34:37], off, s5 offset:220
	scratch_load_b64 v[38:39], off, s5 offset:236
	s_wait_xcnt 0x0
	s_add_co_i32 s5, s5, 24
	v_add_nc_u32_e32 v2, -2, v2
	s_delay_alu instid0(VALU_DEP_1) | instskip(SKIP_3) | instid1(VALU_DEP_1)
	v_cmp_eq_u32_e32 vcc_lo, 0, v2
	s_or_b32 s4, vcc_lo, s4
	s_wait_loadcnt 0x3
	v_mul_hi_u32 v3, v31, v0
	v_add_nc_u32_e32 v3, v0, v3
	s_delay_alu instid0(VALU_DEP_1) | instskip(SKIP_1) | instid1(VALU_DEP_1)
	v_lshrrev_b32_e32 v3, v32, v3
	s_wait_loadcnt 0x2
	v_mul_hi_u32 v5, v22, v3
	v_mul_lo_u32 v7, v3, v30
	s_delay_alu instid0(VALU_DEP_1) | instskip(NEXT) | instid1(VALU_DEP_1)
	v_dual_add_nc_u32 v5, v3, v5 :: v_dual_sub_nc_u32 v7, v0, v7
	v_lshrrev_b32_e32 v0, v23, v5
	s_wait_loadcnt 0x1
	s_delay_alu instid0(VALU_DEP_2) | instskip(SKIP_3) | instid1(VALU_DEP_1)
	v_mad_u32 v4, v7, v34, v4
	v_mad_u32 v9, v7, v36, v12
	v_mad_u32 v7, v7, v35, v14
	v_mul_lo_u32 v5, v0, v33
	v_sub_nc_u32_e32 v3, v3, v5
	s_delay_alu instid0(VALU_DEP_1)
	v_mad_u32 v4, v3, v37, v4
	s_wait_loadcnt 0x0
	v_mad_u32 v12, v3, v39, v9
	v_mad_u32 v14, v3, v38, v7
	v_mov_b32_e32 v3, s5
	s_and_not1_b32 exec_lo, exec_lo, s4
	s_cbranch_execnz .LBB254_175
; %bb.176:
	s_or_b32 exec_lo, exec_lo, s4
	v_and_b32_e32 v1, 1, v1
	s_mov_b32 s4, exec_lo
	s_delay_alu instid0(VALU_DEP_1)
	v_cmpx_eq_u32_e32 0, v1
	s_cbranch_execz .LBB254_178
; %bb.177:
	s_clause 0x1
	scratch_load_b96 v[30:32], v3, off offset:28
	scratch_load_b96 v[34:36], v3, off offset:220
	s_wait_loadcnt 0x1
	v_mul_hi_u32 v1, v31, v0
	s_delay_alu instid0(VALU_DEP_1) | instskip(NEXT) | instid1(VALU_DEP_1)
	v_add_nc_u32_e32 v1, v0, v1
	v_lshrrev_b32_e32 v1, v32, v1
	s_delay_alu instid0(VALU_DEP_1) | instskip(NEXT) | instid1(VALU_DEP_1)
	v_mul_lo_u32 v1, v1, v30
	v_sub_nc_u32_e32 v0, v0, v1
	s_wait_loadcnt 0x0
	s_delay_alu instid0(VALU_DEP_1)
	v_mad_u32 v4, v0, v34, v4
	v_mad_u32 v14, v0, v35, v14
	;; [unrolled: 1-line block ×3, first 2 shown]
.LBB254_178:
	s_wait_xcnt 0x0
	s_or_b32 exec_lo, exec_lo, s4
.LBB254_179:
	s_delay_alu instid0(SALU_CYCLE_1)
	s_or_b32 exec_lo, exec_lo, s3
                                        ; implicit-def: $vgpr0
                                        ; implicit-def: $vgpr1
	s_and_not1_saveexec_b32 s0, s0
	s_cbranch_execz .LBB254_191
	s_branch .LBB254_188
.LBB254_180:
	s_or_b32 exec_lo, exec_lo, s2
	s_and_saveexec_b32 s2, s1
	s_cbranch_execz .LBB254_2126
.LBB254_181:
	; divergent unreachable
	s_or_b32 exec_lo, exec_lo, s2
	s_and_saveexec_b32 s1, s15
	s_delay_alu instid0(SALU_CYCLE_1)
	s_xor_b32 s1, exec_lo, s1
	s_cbranch_execnz .LBB254_2127
.LBB254_182:
	s_or_b32 exec_lo, exec_lo, s1
	s_and_saveexec_b32 s1, s0
	s_cbranch_execnz .LBB254_2128
	s_branch .LBB254_2166
.LBB254_183:
	s_and_not1_saveexec_b32 s3, s3
	s_cbranch_execz .LBB254_172
.LBB254_184:
	s_clause 0x1
	scratch_load_b96 v[12:14], off, off offset:20
	scratch_load_b96 v[18:20], off, off offset:212
	s_mov_b32 s4, exec_lo
	s_wait_loadcnt 0x1
	v_mul_hi_u32 v4, v13, v3
	s_delay_alu instid0(VALU_DEP_1) | instskip(NEXT) | instid1(VALU_DEP_1)
	v_add_nc_u32_e32 v4, v3, v4
	v_lshrrev_b32_e32 v4, v14, v4
	s_delay_alu instid0(VALU_DEP_1) | instskip(NEXT) | instid1(VALU_DEP_1)
	v_mul_lo_u32 v5, v4, v12
	v_sub_nc_u32_e32 v3, v3, v5
	s_wait_loadcnt 0x0
	s_delay_alu instid0(VALU_DEP_1)
	v_mul_lo_u32 v6, v3, v18
	v_mul_lo_u32 v18, v3, v20
	;; [unrolled: 1-line block ×3, first 2 shown]
	s_wait_xcnt 0x0
	v_cmpx_lt_u32_e32 1, v1
	s_cbranch_execz .LBB254_186
; %bb.185:
	s_clause 0x1
	scratch_load_b96 v[12:14], off, off offset:32
	scratch_load_b96 v[30:32], off, off offset:224
	s_wait_loadcnt 0x1
	v_mul_hi_u32 v3, v13, v4
	s_delay_alu instid0(VALU_DEP_1) | instskip(NEXT) | instid1(VALU_DEP_1)
	v_add_nc_u32_e32 v3, v4, v3
	v_lshrrev_b32_e32 v3, v14, v3
	s_delay_alu instid0(VALU_DEP_1) | instskip(NEXT) | instid1(VALU_DEP_1)
	v_mul_lo_u32 v3, v3, v12
	v_sub_nc_u32_e32 v3, v4, v3
	s_wait_loadcnt 0x0
	s_delay_alu instid0(VALU_DEP_1)
	v_mad_u32 v6, v3, v30, v6
	v_mad_u32 v20, v3, v31, v20
	;; [unrolled: 1-line block ×3, first 2 shown]
.LBB254_186:
	s_wait_xcnt 0x0
	s_or_b32 exec_lo, exec_lo, s4
	s_delay_alu instid0(SALU_CYCLE_1) | instskip(SKIP_1) | instid1(SALU_CYCLE_1)
	s_or_b32 exec_lo, exec_lo, s3
                                        ; implicit-def: $vgpr12
                                        ; implicit-def: $vgpr14
                                        ; implicit-def: $vgpr4
	s_and_saveexec_b32 s0, vcc_lo
	s_xor_b32 s0, exec_lo, s0
	s_cbranch_execnz .LBB254_173
.LBB254_187:
	s_and_not1_saveexec_b32 s0, s0
	s_cbranch_execz .LBB254_191
.LBB254_188:
	s_clause 0x1
	scratch_load_b96 v[12:14], off, off offset:20
	scratch_load_b96 v[30:32], off, off offset:212
	s_mov_b32 s3, exec_lo
	s_wait_loadcnt 0x1
	v_mul_hi_u32 v2, v13, v0
	s_delay_alu instid0(VALU_DEP_1) | instskip(NEXT) | instid1(VALU_DEP_1)
	v_add_nc_u32_e32 v2, v0, v2
	v_lshrrev_b32_e32 v2, v14, v2
	s_delay_alu instid0(VALU_DEP_1) | instskip(NEXT) | instid1(VALU_DEP_1)
	v_mul_lo_u32 v3, v2, v12
	v_sub_nc_u32_e32 v0, v0, v3
	s_wait_loadcnt 0x0
	s_delay_alu instid0(VALU_DEP_1)
	v_mul_lo_u32 v4, v0, v30
	v_mul_lo_u32 v12, v0, v32
	;; [unrolled: 1-line block ×3, first 2 shown]
	s_wait_xcnt 0x0
	v_cmpx_lt_u32_e32 1, v1
	s_cbranch_execz .LBB254_190
; %bb.189:
	s_clause 0x1
	scratch_load_b96 v[30:32], off, off offset:32
	scratch_load_b96 v[34:36], off, off offset:224
	s_wait_loadcnt 0x1
	v_mul_hi_u32 v0, v31, v2
	s_delay_alu instid0(VALU_DEP_1) | instskip(NEXT) | instid1(VALU_DEP_1)
	v_add_nc_u32_e32 v0, v2, v0
	v_lshrrev_b32_e32 v0, v32, v0
	s_delay_alu instid0(VALU_DEP_1) | instskip(NEXT) | instid1(VALU_DEP_1)
	v_mul_lo_u32 v0, v0, v30
	v_sub_nc_u32_e32 v0, v2, v0
	s_wait_loadcnt 0x0
	s_delay_alu instid0(VALU_DEP_1)
	v_mad_u32 v4, v0, v34, v4
	v_mad_u32 v14, v0, v35, v14
	;; [unrolled: 1-line block ×3, first 2 shown]
.LBB254_190:
	s_wait_xcnt 0x0
	s_or_b32 exec_lo, exec_lo, s3
.LBB254_191:
	s_delay_alu instid0(SALU_CYCLE_1)
	s_or_b32 exec_lo, exec_lo, s0
	s_clause 0x2
	scratch_load_b128 v[0:3], off, off offset:408
	scratch_load_u8 v7, off, off offset:437
	scratch_load_b32 v9, off, off offset:432
	v_mov_b32_e32 v17, 0
	s_mov_b32 s5, 0
	s_mov_b32 s3, s1
	s_mov_b32 s0, exec_lo
                                        ; implicit-def: $vgpr11
	s_wait_loadcnt 0x2
	v_add_nc_u64_e32 v[16:17], v[2:3], v[16:17]
	s_wait_loadcnt 0x1
	s_wait_xcnt 0x0
	v_cmpx_lt_i16_e32 10, v7
	s_xor_b32 s0, exec_lo, s0
	s_cbranch_execz .LBB254_272
; %bb.192:
	s_mov_b32 s3, 0
	s_mov_b32 s6, 0
	s_mov_b32 s4, exec_lo
                                        ; implicit-def: $vgpr11
	v_cmpx_lt_i16_e32 25, v7
	s_xor_b32 s4, exec_lo, s4
	s_cbranch_execz .LBB254_2167
; %bb.193:
	s_mov_b32 s7, 0
	s_mov_b32 s5, exec_lo
                                        ; implicit-def: $vgpr11
	v_cmpx_lt_i16_e32 28, v7
	s_xor_b32 s5, exec_lo, s5
	s_cbranch_execz .LBB254_227
; %bb.194:
	s_mov_b32 s8, 0
	s_mov_b32 s9, 0
	s_mov_b32 s6, exec_lo
                                        ; implicit-def: $vgpr11
	v_cmpx_lt_i16_e32 43, v7
	s_xor_b32 s6, exec_lo, s6
	s_cbranch_execz .LBB254_216
; %bb.195:
	s_mov_b32 s9, exec_lo
                                        ; implicit-def: $vgpr11
	v_cmpx_lt_i16_e32 45, v7
	s_xor_b32 s9, exec_lo, s9
	s_cbranch_execz .LBB254_205
; %bb.196:
	s_mov_b32 s10, -1
	s_mov_b32 s7, exec_lo
                                        ; implicit-def: $vgpr11
	v_cmpx_eq_u16_e32 46, v7
	s_cbranch_execz .LBB254_204
; %bb.197:
	flat_load_b32 v5, v[16:17]
	v_mov_b32_e32 v11, 0x80
	s_mov_b32 s8, exec_lo
	s_wait_loadcnt_dscnt 0x0
	v_lshlrev_b32_e32 v5, 16, v5
	s_delay_alu instid0(VALU_DEP_1) | instskip(SKIP_1) | instid1(VALU_DEP_1)
	v_and_b32_e32 v13, 0x7fffffff, v5
	s_wait_xcnt 0x0
	v_cmpx_gt_u32_e32 0x47800000, v13
	s_cbranch_execz .LBB254_203
; %bb.198:
	v_cmp_lt_u32_e32 vcc_lo, 0x37ffffff, v13
	s_mov_b32 s10, 0
                                        ; implicit-def: $vgpr13
	s_and_saveexec_b32 s11, vcc_lo
	s_delay_alu instid0(SALU_CYCLE_1)
	s_xor_b32 s11, exec_lo, s11
	s_cbranch_execz .LBB254_2482
; %bb.199:
	v_bfe_u32 v11, v5, 21, 1
	s_mov_b32 s10, exec_lo
	s_delay_alu instid0(VALU_DEP_1) | instskip(NEXT) | instid1(VALU_DEP_1)
	v_add3_u32 v11, v5, v11, 0x88fffff
	v_lshrrev_b32_e32 v13, 21, v11
	s_and_not1_saveexec_b32 s11, s11
	s_cbranch_execnz .LBB254_2483
.LBB254_200:
	s_or_b32 exec_lo, exec_lo, s11
	v_mov_b32_e32 v11, 0
	s_and_saveexec_b32 s11, s10
.LBB254_201:
	v_lshrrev_b32_e32 v5, 24, v5
	s_delay_alu instid0(VALU_DEP_1)
	v_and_or_b32 v11, 0x80, v5, v13
.LBB254_202:
	s_or_b32 exec_lo, exec_lo, s11
.LBB254_203:
	s_delay_alu instid0(SALU_CYCLE_1) | instskip(NEXT) | instid1(SALU_CYCLE_1)
	s_or_b32 exec_lo, exec_lo, s8
	s_mov_b32 s8, exec_lo
	s_xor_b32 s10, exec_lo, -1
.LBB254_204:
	s_or_b32 exec_lo, exec_lo, s7
	s_delay_alu instid0(SALU_CYCLE_1)
	s_and_b32 s8, s8, exec_lo
	s_and_b32 s7, s10, exec_lo
.LBB254_205:
	s_and_not1_saveexec_b32 s9, s9
	s_cbranch_execz .LBB254_215
; %bb.206:
	s_mov_b32 s11, -1
	s_mov_b32 s12, s8
	s_mov_b32 s10, exec_lo
                                        ; implicit-def: $vgpr11
	v_cmpx_eq_u16_e32 44, v7
	s_cbranch_execz .LBB254_214
; %bb.207:
	flat_load_u8 v5, v[16:17]
	s_mov_b32 s12, 0
	s_mov_b32 s11, exec_lo
	s_wait_loadcnt_dscnt 0x0
	v_lshlrev_b32_e32 v11, 23, v5
	v_cmp_ne_u32_e32 vcc_lo, 0xff, v5
	s_delay_alu instid0(VALU_DEP_2) | instskip(SKIP_1) | instid1(VALU_DEP_2)
	v_cndmask_b32_e32 v11, 0x7f800001, v11, vcc_lo
	v_cmp_ne_u32_e32 vcc_lo, 0, v5
	v_cndmask_b32_e32 v13, 0x400000, v11, vcc_lo
	v_mov_b32_e32 v11, 0x80
	s_wait_xcnt 0x0
	s_delay_alu instid0(VALU_DEP_2)
	v_cmpx_gt_u32_e32 0x47800000, v13
	s_cbranch_execz .LBB254_213
; %bb.208:
	s_mov_b32 s13, exec_lo
                                        ; implicit-def: $vgpr5
	v_cmpx_lt_u32_e32 0x37ffffff, v13
	s_xor_b32 s13, exec_lo, s13
	s_cbranch_execz .LBB254_2484
; %bb.209:
	v_bfe_u32 v5, v13, 21, 1
	s_mov_b32 s12, exec_lo
	s_delay_alu instid0(VALU_DEP_1) | instskip(NEXT) | instid1(VALU_DEP_1)
	v_add3_u32 v5, v13, v5, 0x88fffff
                                        ; implicit-def: $vgpr13
	v_lshrrev_b32_e32 v5, 21, v5
	s_and_not1_saveexec_b32 s13, s13
	s_cbranch_execnz .LBB254_2485
.LBB254_210:
	s_or_b32 exec_lo, exec_lo, s13
	v_mov_b32_e32 v11, 0
	s_and_saveexec_b32 s13, s12
.LBB254_211:
	v_mov_b32_e32 v11, v5
.LBB254_212:
	s_or_b32 exec_lo, exec_lo, s13
.LBB254_213:
	s_delay_alu instid0(SALU_CYCLE_1) | instskip(NEXT) | instid1(SALU_CYCLE_1)
	s_or_b32 exec_lo, exec_lo, s11
	s_or_b32 s12, s8, exec_lo
	s_xor_b32 s11, exec_lo, -1
.LBB254_214:
	s_or_b32 exec_lo, exec_lo, s10
	s_delay_alu instid0(SALU_CYCLE_1)
	s_and_not1_b32 s8, s8, exec_lo
	s_and_b32 s10, s12, exec_lo
	s_and_not1_b32 s7, s7, exec_lo
	s_and_b32 s11, s11, exec_lo
	s_or_b32 s8, s8, s10
	s_or_b32 s7, s7, s11
.LBB254_215:
	s_or_b32 exec_lo, exec_lo, s9
	s_delay_alu instid0(SALU_CYCLE_1)
	s_and_b32 s9, s8, exec_lo
	s_and_b32 s8, s7, exec_lo
.LBB254_216:
	s_and_not1_saveexec_b32 s6, s6
	s_cbranch_execz .LBB254_226
; %bb.217:
	s_mov_b32 s10, -1
	s_mov_b32 s11, s9
	s_mov_b32 s7, exec_lo
                                        ; implicit-def: $vgpr11
	v_cmpx_eq_u16_e32 29, v7
	s_cbranch_execz .LBB254_225
; %bb.218:
	flat_load_b64 v[22:23], v[16:17]
	s_mov_b32 s10, exec_lo
	s_wait_loadcnt_dscnt 0x0
	v_clz_i32_u32_e32 v5, v23
	s_delay_alu instid0(VALU_DEP_1) | instskip(NEXT) | instid1(VALU_DEP_1)
	v_min_u32_e32 v5, 32, v5
	v_lshlrev_b64_e32 v[22:23], v5, v[22:23]
	v_sub_nc_u32_e32 v5, 32, v5
	s_delay_alu instid0(VALU_DEP_2) | instskip(NEXT) | instid1(VALU_DEP_1)
	v_min_u32_e32 v11, 1, v22
	v_or_b32_e32 v11, v23, v11
	s_delay_alu instid0(VALU_DEP_1) | instskip(NEXT) | instid1(VALU_DEP_1)
	v_cvt_f32_u32_e32 v11, v11
	v_ldexp_f32 v13, v11, v5
	v_mov_b32_e32 v11, 0x80
	s_wait_xcnt 0x0
	s_delay_alu instid0(VALU_DEP_2)
	v_cmpx_gt_u32_e32 0x47800000, v13
	s_cbranch_execz .LBB254_224
; %bb.219:
	s_mov_b32 s11, 0
	s_mov_b32 s12, exec_lo
                                        ; implicit-def: $vgpr5
	v_cmpx_lt_u32_e32 0x37ffffff, v13
	s_xor_b32 s12, exec_lo, s12
	s_cbranch_execz .LBB254_2403
; %bb.220:
	v_bfe_u32 v5, v13, 21, 1
	s_mov_b32 s11, exec_lo
	s_delay_alu instid0(VALU_DEP_1) | instskip(NEXT) | instid1(VALU_DEP_1)
	v_add3_u32 v5, v13, v5, 0x88fffff
                                        ; implicit-def: $vgpr13
	v_lshrrev_b32_e32 v5, 21, v5
	s_and_not1_saveexec_b32 s12, s12
	s_cbranch_execnz .LBB254_2404
.LBB254_221:
	s_or_b32 exec_lo, exec_lo, s12
	v_mov_b32_e32 v11, 0
	s_and_saveexec_b32 s12, s11
.LBB254_222:
	v_mov_b32_e32 v11, v5
.LBB254_223:
	s_or_b32 exec_lo, exec_lo, s12
.LBB254_224:
	s_delay_alu instid0(SALU_CYCLE_1) | instskip(NEXT) | instid1(SALU_CYCLE_1)
	s_or_b32 exec_lo, exec_lo, s10
	s_or_b32 s11, s9, exec_lo
	s_xor_b32 s10, exec_lo, -1
.LBB254_225:
	s_or_b32 exec_lo, exec_lo, s7
	s_delay_alu instid0(SALU_CYCLE_1)
	s_and_not1_b32 s7, s9, exec_lo
	s_and_b32 s9, s11, exec_lo
	s_and_not1_b32 s8, s8, exec_lo
	s_and_b32 s10, s10, exec_lo
	s_or_b32 s9, s7, s9
	s_or_b32 s8, s8, s10
.LBB254_226:
	s_or_b32 exec_lo, exec_lo, s6
	s_delay_alu instid0(SALU_CYCLE_1)
	s_and_b32 s7, s9, exec_lo
	s_and_b32 s6, s8, exec_lo
.LBB254_227:
	s_and_not1_saveexec_b32 s5, s5
	s_cbranch_execz .LBB254_261
; %bb.228:
	s_mov_b32 s8, exec_lo
                                        ; implicit-def: $vgpr11
	v_cmpx_lt_i16_e32 26, v7
	s_xor_b32 s8, exec_lo, s8
	s_cbranch_execz .LBB254_246
; %bb.229:
	s_mov_b32 s9, exec_lo
                                        ; implicit-def: $vgpr11
	v_cmpx_lt_i16_e32 27, v7
	s_xor_b32 s9, exec_lo, s9
	s_cbranch_execz .LBB254_237
; %bb.230:
	flat_load_b32 v5, v[16:17]
	v_mov_b32_e32 v11, 0x80
	s_mov_b32 s10, exec_lo
	s_wait_loadcnt_dscnt 0x0
	v_cvt_f32_u32_e32 v13, v5
	s_wait_xcnt 0x0
	s_delay_alu instid0(VALU_DEP_1)
	v_cmpx_gt_u32_e32 0x47800000, v13
	s_cbranch_execz .LBB254_236
; %bb.231:
	s_mov_b32 s11, 0
	s_mov_b32 s12, exec_lo
                                        ; implicit-def: $vgpr5
	v_cmpx_lt_u32_e32 0x37ffffff, v13
	s_xor_b32 s12, exec_lo, s12
	s_cbranch_execz .LBB254_2405
; %bb.232:
	v_bfe_u32 v5, v13, 21, 1
	s_mov_b32 s11, exec_lo
	s_delay_alu instid0(VALU_DEP_1) | instskip(NEXT) | instid1(VALU_DEP_1)
	v_add3_u32 v5, v13, v5, 0x88fffff
                                        ; implicit-def: $vgpr13
	v_lshrrev_b32_e32 v5, 21, v5
	s_and_not1_saveexec_b32 s12, s12
	s_cbranch_execnz .LBB254_2406
.LBB254_233:
	s_or_b32 exec_lo, exec_lo, s12
	v_mov_b32_e32 v11, 0
	s_and_saveexec_b32 s12, s11
.LBB254_234:
	v_mov_b32_e32 v11, v5
.LBB254_235:
	s_or_b32 exec_lo, exec_lo, s12
.LBB254_236:
	s_delay_alu instid0(SALU_CYCLE_1)
	s_or_b32 exec_lo, exec_lo, s10
.LBB254_237:
	s_and_not1_saveexec_b32 s9, s9
	s_cbranch_execz .LBB254_245
; %bb.238:
	flat_load_u16 v5, v[16:17]
	v_mov_b32_e32 v11, 0x80
	s_mov_b32 s10, exec_lo
	s_wait_loadcnt_dscnt 0x0
	v_cvt_f32_u32_e32 v13, v5
	s_wait_xcnt 0x0
	s_delay_alu instid0(VALU_DEP_1)
	v_cmpx_gt_u32_e32 0x47800000, v13
	s_cbranch_execz .LBB254_244
; %bb.239:
	s_mov_b32 s11, 0
	s_mov_b32 s12, exec_lo
                                        ; implicit-def: $vgpr5
	v_cmpx_lt_u32_e32 0x37ffffff, v13
	s_xor_b32 s12, exec_lo, s12
	s_cbranch_execz .LBB254_2407
; %bb.240:
	v_bfe_u32 v5, v13, 21, 1
	s_mov_b32 s11, exec_lo
	s_delay_alu instid0(VALU_DEP_1) | instskip(NEXT) | instid1(VALU_DEP_1)
	v_add3_u32 v5, v13, v5, 0x88fffff
                                        ; implicit-def: $vgpr13
	v_lshrrev_b32_e32 v5, 21, v5
	s_and_not1_saveexec_b32 s12, s12
	s_cbranch_execnz .LBB254_2408
.LBB254_241:
	s_or_b32 exec_lo, exec_lo, s12
	v_mov_b32_e32 v11, 0
	s_and_saveexec_b32 s12, s11
.LBB254_242:
	v_mov_b32_e32 v11, v5
.LBB254_243:
	s_or_b32 exec_lo, exec_lo, s12
.LBB254_244:
	s_delay_alu instid0(SALU_CYCLE_1)
	s_or_b32 exec_lo, exec_lo, s10
.LBB254_245:
	s_delay_alu instid0(SALU_CYCLE_1)
	s_or_b32 exec_lo, exec_lo, s9
.LBB254_246:
	s_and_not1_saveexec_b32 s8, s8
	s_cbranch_execz .LBB254_260
; %bb.247:
	flat_load_u8 v11, v[16:17]
	s_mov_b32 s9, 0
	s_mov_b32 s10, exec_lo
	s_wait_loadcnt_dscnt 0x0
	v_cmpx_lt_i16_e32 0x7f, v11
	s_xor_b32 s10, exec_lo, s10
	s_cbranch_execz .LBB254_2294
; %bb.248:
	s_mov_b32 s9, -1
	s_mov_b32 s11, exec_lo
	v_cmpx_eq_u16_e32 0x80, v11
; %bb.249:
	s_xor_b32 s9, exec_lo, -1
; %bb.250:
	s_or_b32 exec_lo, exec_lo, s11
	s_delay_alu instid0(SALU_CYCLE_1)
	s_and_b32 s9, s9, exec_lo
	s_or_saveexec_b32 s10, s10
	v_mov_b32_e32 v5, 0x7f800001
	s_xor_b32 exec_lo, exec_lo, s10
	s_cbranch_execnz .LBB254_2295
.LBB254_251:
	s_or_b32 exec_lo, exec_lo, s10
	s_and_saveexec_b32 s10, s9
	s_cbranch_execz .LBB254_253
.LBB254_252:
	v_and_b32_e32 v5, 0xffff, v11
	s_delay_alu instid0(VALU_DEP_1) | instskip(SKIP_1) | instid1(VALU_DEP_2)
	v_and_b32_e32 v13, 7, v5
	v_bfe_u32 v21, v5, 3, 4
	v_clz_i32_u32_e32 v15, v13
	s_delay_alu instid0(VALU_DEP_2) | instskip(NEXT) | instid1(VALU_DEP_2)
	v_cmp_eq_u32_e32 vcc_lo, 0, v21
	v_min_u32_e32 v15, 32, v15
	s_delay_alu instid0(VALU_DEP_1) | instskip(NEXT) | instid1(VALU_DEP_1)
	v_subrev_nc_u32_e32 v19, 28, v15
	v_dual_lshlrev_b32 v5, v19, v5 :: v_dual_sub_nc_u32 v15, 29, v15
	s_delay_alu instid0(VALU_DEP_1) | instskip(NEXT) | instid1(VALU_DEP_1)
	v_dual_lshlrev_b32 v11, 24, v11 :: v_dual_bitop2_b32 v5, 7, v5 bitop3:0x40
	v_cndmask_b32_e32 v5, v13, v5, vcc_lo
	s_delay_alu instid0(VALU_DEP_3) | instskip(NEXT) | instid1(VALU_DEP_3)
	v_cndmask_b32_e32 v15, v21, v15, vcc_lo
	v_and_b32_e32 v11, 0x80000000, v11
	s_delay_alu instid0(VALU_DEP_3) | instskip(NEXT) | instid1(VALU_DEP_3)
	v_lshlrev_b32_e32 v5, 20, v5
	v_lshl_add_u32 v13, v15, 23, 0x3b800000
	s_delay_alu instid0(VALU_DEP_1)
	v_or3_b32 v5, v11, v13, v5
.LBB254_253:
	s_or_b32 exec_lo, exec_lo, s10
	s_delay_alu instid0(VALU_DEP_1) | instskip(SKIP_2) | instid1(VALU_DEP_2)
	v_and_b32_e32 v13, 0x7fffffff, v5
	v_mov_b32_e32 v11, 0x80
	s_mov_b32 s9, exec_lo
	v_cmpx_gt_u32_e32 0x47800000, v13
	s_cbranch_execz .LBB254_259
; %bb.254:
	v_cmp_lt_u32_e32 vcc_lo, 0x37ffffff, v13
	s_mov_b32 s10, 0
                                        ; implicit-def: $vgpr13
	s_and_saveexec_b32 s11, vcc_lo
	s_delay_alu instid0(SALU_CYCLE_1)
	s_xor_b32 s11, exec_lo, s11
	s_cbranch_execz .LBB254_2338
; %bb.255:
	v_bfe_u32 v11, v5, 21, 1
	s_mov_b32 s10, exec_lo
	s_delay_alu instid0(VALU_DEP_1) | instskip(NEXT) | instid1(VALU_DEP_1)
	v_add3_u32 v11, v5, v11, 0x88fffff
	v_lshrrev_b32_e32 v13, 21, v11
	s_and_not1_saveexec_b32 s11, s11
	s_cbranch_execnz .LBB254_2339
.LBB254_256:
	s_or_b32 exec_lo, exec_lo, s11
	v_mov_b32_e32 v11, 0
	s_and_saveexec_b32 s11, s10
.LBB254_257:
	v_lshrrev_b32_e32 v5, 24, v5
	s_delay_alu instid0(VALU_DEP_1)
	v_and_or_b32 v11, 0x80, v5, v13
.LBB254_258:
	s_or_b32 exec_lo, exec_lo, s11
.LBB254_259:
	s_delay_alu instid0(SALU_CYCLE_1)
	s_or_b32 exec_lo, exec_lo, s9
.LBB254_260:
	s_delay_alu instid0(SALU_CYCLE_1) | instskip(NEXT) | instid1(SALU_CYCLE_1)
	s_or_b32 exec_lo, exec_lo, s8
	s_or_b32 s7, s7, exec_lo
.LBB254_261:
	s_or_b32 exec_lo, exec_lo, s5
	s_delay_alu instid0(SALU_CYCLE_1)
	s_and_b32 s5, s7, exec_lo
	s_and_b32 s6, s6, exec_lo
	s_and_not1_saveexec_b32 s4, s4
	s_cbranch_execnz .LBB254_2168
.LBB254_262:
	s_or_b32 exec_lo, exec_lo, s4
	s_mov_b32 s4, s1
	s_and_saveexec_b32 s7, s6
	s_cbranch_execnz .LBB254_2205
.LBB254_263:
	s_or_b32 exec_lo, exec_lo, s7
	s_and_saveexec_b32 s6, s3
	s_delay_alu instid0(SALU_CYCLE_1)
	s_xor_b32 s3, exec_lo, s6
	s_cbranch_execz .LBB254_271
.LBB254_264:
	flat_load_u8 v5, v[16:17]
	s_wait_loadcnt_dscnt 0x101
	v_mov_b32_e32 v11, 0x80
	s_mov_b32 s7, 0
	s_mov_b32 s6, exec_lo
	s_wait_loadcnt_dscnt 0x0
	v_cmp_ne_u16_e32 vcc_lo, 0, v5
	v_cndmask_b32_e64 v13, 0, 1.0, vcc_lo
	s_wait_xcnt 0x0
	s_delay_alu instid0(VALU_DEP_1)
	v_cmpx_gt_u32_e32 0x47800000, v13
	s_cbranch_execz .LBB254_270
; %bb.265:
	s_mov_b32 s8, exec_lo
                                        ; implicit-def: $vgpr5
	v_cmpx_lt_u32_e32 0x37ffffff, v13
	s_xor_b32 s8, exec_lo, s8
	s_cbranch_execz .LBB254_2245
; %bb.266:
	v_bfe_u32 v5, v13, 21, 1
	s_mov_b32 s7, exec_lo
	s_delay_alu instid0(VALU_DEP_1) | instskip(NEXT) | instid1(VALU_DEP_1)
	v_add3_u32 v5, v13, v5, 0x88fffff
                                        ; implicit-def: $vgpr13
	v_lshrrev_b32_e32 v5, 21, v5
	s_and_not1_saveexec_b32 s8, s8
	s_cbranch_execnz .LBB254_2246
.LBB254_267:
	s_or_b32 exec_lo, exec_lo, s8
	v_mov_b32_e32 v11, 0
	s_and_saveexec_b32 s8, s7
.LBB254_268:
	v_mov_b32_e32 v11, v5
.LBB254_269:
	s_or_b32 exec_lo, exec_lo, s8
.LBB254_270:
	s_delay_alu instid0(SALU_CYCLE_1) | instskip(NEXT) | instid1(SALU_CYCLE_1)
	s_or_b32 exec_lo, exec_lo, s6
	s_or_b32 s5, s5, exec_lo
.LBB254_271:
	s_or_b32 exec_lo, exec_lo, s3
	s_delay_alu instid0(SALU_CYCLE_1)
	s_and_not1_b32 s3, s1, exec_lo
	s_and_b32 s4, s4, exec_lo
	s_and_b32 s5, s5, exec_lo
	s_or_b32 s3, s3, s4
                                        ; implicit-def: $vgpr16_vgpr17
.LBB254_272:
	s_and_not1_saveexec_b32 s0, s0
	s_cbranch_execz .LBB254_380
; %bb.273:
	s_mov_b32 s4, exec_lo
                                        ; implicit-def: $vgpr11
	v_cmpx_lt_i16_e32 4, v7
	s_xor_b32 s4, exec_lo, s4
	s_cbranch_execz .LBB254_331
; %bb.274:
	s_mov_b32 s6, exec_lo
                                        ; implicit-def: $vgpr11
	v_cmpx_lt_i16_e32 7, v7
	s_xor_b32 s6, exec_lo, s6
	;; [unrolled: 6-line block ×4, first 2 shown]
	s_cbranch_execz .LBB254_284
; %bb.277:
	flat_load_b64 v[16:17], v[16:17]
	s_wait_loadcnt_dscnt 0x101
	v_mov_b32_e32 v11, 0x80
	s_mov_b32 s9, exec_lo
	s_wait_loadcnt_dscnt 0x0
	v_cvt_f32_f64_e32 v5, v[16:17]
	s_delay_alu instid0(VALU_DEP_1) | instskip(SKIP_1) | instid1(VALU_DEP_1)
	v_and_b32_e32 v13, 0x7fffffff, v5
	s_wait_xcnt 0x0
	v_cmpx_gt_u32_e32 0x47800000, v13
	s_cbranch_execz .LBB254_283
; %bb.278:
	v_cmp_lt_u32_e32 vcc_lo, 0x37ffffff, v13
	s_mov_b32 s10, 0
                                        ; implicit-def: $vgpr13
	s_and_saveexec_b32 s11, vcc_lo
	s_delay_alu instid0(SALU_CYCLE_1)
	s_xor_b32 s11, exec_lo, s11
	s_cbranch_execz .LBB254_2409
; %bb.279:
	v_bfe_u32 v11, v5, 21, 1
	s_mov_b32 s10, exec_lo
	s_delay_alu instid0(VALU_DEP_1) | instskip(NEXT) | instid1(VALU_DEP_1)
	v_add3_u32 v11, v5, v11, 0x88fffff
	v_lshrrev_b32_e32 v13, 21, v11
	s_and_not1_saveexec_b32 s11, s11
	s_cbranch_execnz .LBB254_2410
.LBB254_280:
	s_or_b32 exec_lo, exec_lo, s11
	v_mov_b32_e32 v11, 0
	s_and_saveexec_b32 s11, s10
.LBB254_281:
	v_lshrrev_b32_e32 v5, 24, v5
	s_delay_alu instid0(VALU_DEP_1)
	v_and_or_b32 v11, 0x80, v5, v13
.LBB254_282:
	s_or_b32 exec_lo, exec_lo, s11
.LBB254_283:
	s_delay_alu instid0(SALU_CYCLE_1)
	s_or_b32 exec_lo, exec_lo, s9
                                        ; implicit-def: $vgpr16_vgpr17
.LBB254_284:
	s_and_not1_saveexec_b32 s8, s8
	s_cbranch_execz .LBB254_292
; %bb.285:
	flat_load_b32 v5, v[16:17]
	s_wait_loadcnt_dscnt 0x101
	v_mov_b32_e32 v11, 0x80
	s_mov_b32 s9, exec_lo
	s_wait_loadcnt_dscnt 0x0
	v_and_b32_e32 v13, 0x7fffffff, v5
	s_wait_xcnt 0x0
	s_delay_alu instid0(VALU_DEP_1)
	v_cmpx_gt_u32_e32 0x47800000, v13
	s_cbranch_execz .LBB254_291
; %bb.286:
	v_cmp_lt_u32_e32 vcc_lo, 0x37ffffff, v13
	s_mov_b32 s10, 0
                                        ; implicit-def: $vgpr13
	s_and_saveexec_b32 s11, vcc_lo
	s_delay_alu instid0(SALU_CYCLE_1)
	s_xor_b32 s11, exec_lo, s11
	s_cbranch_execz .LBB254_2411
; %bb.287:
	v_bfe_u32 v11, v5, 21, 1
	s_mov_b32 s10, exec_lo
	s_delay_alu instid0(VALU_DEP_1) | instskip(NEXT) | instid1(VALU_DEP_1)
	v_add3_u32 v11, v5, v11, 0x88fffff
	v_lshrrev_b32_e32 v13, 21, v11
	s_and_not1_saveexec_b32 s11, s11
	s_cbranch_execnz .LBB254_2412
.LBB254_288:
	s_or_b32 exec_lo, exec_lo, s11
	v_mov_b32_e32 v11, 0
	s_and_saveexec_b32 s11, s10
.LBB254_289:
	v_lshrrev_b32_e32 v5, 24, v5
	s_delay_alu instid0(VALU_DEP_1)
	v_and_or_b32 v11, 0x80, v5, v13
.LBB254_290:
	s_or_b32 exec_lo, exec_lo, s11
.LBB254_291:
	s_delay_alu instid0(SALU_CYCLE_1)
	s_or_b32 exec_lo, exec_lo, s9
.LBB254_292:
	s_delay_alu instid0(SALU_CYCLE_1)
	s_or_b32 exec_lo, exec_lo, s8
                                        ; implicit-def: $vgpr16_vgpr17
.LBB254_293:
	s_and_not1_saveexec_b32 s7, s7
	s_cbranch_execz .LBB254_301
; %bb.294:
	flat_load_b32 v5, v[16:17]
	s_wait_loadcnt_dscnt 0x101
	v_mov_b32_e32 v11, 0x80
	s_mov_b32 s8, exec_lo
	s_wait_loadcnt_dscnt 0x0
	v_cvt_f32_f16_e32 v5, v5
	s_delay_alu instid0(VALU_DEP_1) | instskip(SKIP_1) | instid1(VALU_DEP_1)
	v_and_b32_e32 v13, 0x7fffffff, v5
	s_wait_xcnt 0x0
	v_cmpx_gt_u32_e32 0x47800000, v13
	s_cbranch_execz .LBB254_300
; %bb.295:
	v_cmp_lt_u32_e32 vcc_lo, 0x37ffffff, v13
	s_mov_b32 s9, 0
                                        ; implicit-def: $vgpr13
	s_and_saveexec_b32 s10, vcc_lo
	s_delay_alu instid0(SALU_CYCLE_1)
	s_xor_b32 s10, exec_lo, s10
	s_cbranch_execz .LBB254_2340
; %bb.296:
	v_bfe_u32 v11, v5, 21, 1
	s_mov_b32 s9, exec_lo
	s_delay_alu instid0(VALU_DEP_1) | instskip(NEXT) | instid1(VALU_DEP_1)
	v_add3_u32 v11, v5, v11, 0x88fffff
	v_lshrrev_b32_e32 v13, 21, v11
	s_and_not1_saveexec_b32 s10, s10
	s_cbranch_execnz .LBB254_2341
.LBB254_297:
	s_or_b32 exec_lo, exec_lo, s10
	v_mov_b32_e32 v11, 0
	s_and_saveexec_b32 s10, s9
.LBB254_298:
	v_lshrrev_b32_e32 v5, 24, v5
	s_delay_alu instid0(VALU_DEP_1)
	v_and_or_b32 v11, 0x80, v5, v13
.LBB254_299:
	s_or_b32 exec_lo, exec_lo, s10
.LBB254_300:
	s_delay_alu instid0(SALU_CYCLE_1)
	s_or_b32 exec_lo, exec_lo, s8
.LBB254_301:
	s_delay_alu instid0(SALU_CYCLE_1)
	s_or_b32 exec_lo, exec_lo, s7
                                        ; implicit-def: $vgpr16_vgpr17
.LBB254_302:
	s_and_not1_saveexec_b32 s6, s6
	s_cbranch_execz .LBB254_330
; %bb.303:
	s_mov_b32 s7, exec_lo
                                        ; implicit-def: $vgpr11
	v_cmpx_lt_i16_e32 5, v7
	s_xor_b32 s7, exec_lo, s7
	s_cbranch_execz .LBB254_321
; %bb.304:
	s_mov_b32 s8, exec_lo
                                        ; implicit-def: $vgpr11
	v_cmpx_lt_i16_e32 6, v7
	s_xor_b32 s8, exec_lo, s8
	s_cbranch_execz .LBB254_312
; %bb.305:
	flat_load_b64 v[16:17], v[16:17]
	s_wait_loadcnt_dscnt 0x101
	v_mov_b32_e32 v11, 0x80
	s_mov_b32 s9, exec_lo
	s_wait_loadcnt_dscnt 0x0
	v_cvt_f32_f64_e32 v5, v[16:17]
	s_delay_alu instid0(VALU_DEP_1) | instskip(SKIP_1) | instid1(VALU_DEP_1)
	v_and_b32_e32 v13, 0x7fffffff, v5
	s_wait_xcnt 0x0
	v_cmpx_gt_u32_e32 0x47800000, v13
	s_cbranch_execz .LBB254_311
; %bb.306:
	v_cmp_lt_u32_e32 vcc_lo, 0x37ffffff, v13
	s_mov_b32 s10, 0
                                        ; implicit-def: $vgpr13
	s_and_saveexec_b32 s11, vcc_lo
	s_delay_alu instid0(SALU_CYCLE_1)
	s_xor_b32 s11, exec_lo, s11
	s_cbranch_execz .LBB254_2413
; %bb.307:
	v_bfe_u32 v11, v5, 21, 1
	s_mov_b32 s10, exec_lo
	s_delay_alu instid0(VALU_DEP_1) | instskip(NEXT) | instid1(VALU_DEP_1)
	v_add3_u32 v11, v5, v11, 0x88fffff
	v_lshrrev_b32_e32 v13, 21, v11
	s_and_not1_saveexec_b32 s11, s11
	s_cbranch_execnz .LBB254_2414
.LBB254_308:
	s_or_b32 exec_lo, exec_lo, s11
	v_mov_b32_e32 v11, 0
	s_and_saveexec_b32 s11, s10
.LBB254_309:
	v_lshrrev_b32_e32 v5, 24, v5
	s_delay_alu instid0(VALU_DEP_1)
	v_and_or_b32 v11, 0x80, v5, v13
.LBB254_310:
	s_or_b32 exec_lo, exec_lo, s11
.LBB254_311:
	s_delay_alu instid0(SALU_CYCLE_1)
	s_or_b32 exec_lo, exec_lo, s9
                                        ; implicit-def: $vgpr16_vgpr17
.LBB254_312:
	s_and_not1_saveexec_b32 s8, s8
	s_cbranch_execz .LBB254_320
; %bb.313:
	flat_load_b32 v5, v[16:17]
	s_wait_loadcnt_dscnt 0x101
	v_mov_b32_e32 v11, 0x80
	s_mov_b32 s9, exec_lo
	s_wait_loadcnt_dscnt 0x0
	v_and_b32_e32 v13, 0x7fffffff, v5
	s_wait_xcnt 0x0
	s_delay_alu instid0(VALU_DEP_1)
	v_cmpx_gt_u32_e32 0x47800000, v13
	s_cbranch_execz .LBB254_319
; %bb.314:
	v_cmp_lt_u32_e32 vcc_lo, 0x37ffffff, v13
	s_mov_b32 s10, 0
                                        ; implicit-def: $vgpr13
	s_and_saveexec_b32 s11, vcc_lo
	s_delay_alu instid0(SALU_CYCLE_1)
	s_xor_b32 s11, exec_lo, s11
	s_cbranch_execz .LBB254_2415
; %bb.315:
	v_bfe_u32 v11, v5, 21, 1
	s_mov_b32 s10, exec_lo
	s_delay_alu instid0(VALU_DEP_1) | instskip(NEXT) | instid1(VALU_DEP_1)
	v_add3_u32 v11, v5, v11, 0x88fffff
	v_lshrrev_b32_e32 v13, 21, v11
	s_and_not1_saveexec_b32 s11, s11
	s_cbranch_execnz .LBB254_2416
.LBB254_316:
	s_or_b32 exec_lo, exec_lo, s11
	v_mov_b32_e32 v11, 0
	s_and_saveexec_b32 s11, s10
.LBB254_317:
	v_lshrrev_b32_e32 v5, 24, v5
	s_delay_alu instid0(VALU_DEP_1)
	v_and_or_b32 v11, 0x80, v5, v13
.LBB254_318:
	s_or_b32 exec_lo, exec_lo, s11
.LBB254_319:
	s_delay_alu instid0(SALU_CYCLE_1)
	s_or_b32 exec_lo, exec_lo, s9
.LBB254_320:
	s_delay_alu instid0(SALU_CYCLE_1)
	s_or_b32 exec_lo, exec_lo, s8
                                        ; implicit-def: $vgpr16_vgpr17
.LBB254_321:
	s_and_not1_saveexec_b32 s7, s7
	s_cbranch_execz .LBB254_329
; %bb.322:
	flat_load_u16 v5, v[16:17]
	s_wait_loadcnt_dscnt 0x101
	v_mov_b32_e32 v11, 0x80
	s_mov_b32 s8, exec_lo
	s_wait_loadcnt_dscnt 0x0
	v_cvt_f32_f16_e32 v5, v5
	s_delay_alu instid0(VALU_DEP_1) | instskip(SKIP_1) | instid1(VALU_DEP_1)
	v_and_b32_e32 v13, 0x7fffffff, v5
	s_wait_xcnt 0x0
	v_cmpx_gt_u32_e32 0x47800000, v13
	s_cbranch_execz .LBB254_328
; %bb.323:
	v_cmp_lt_u32_e32 vcc_lo, 0x37ffffff, v13
	s_mov_b32 s9, 0
                                        ; implicit-def: $vgpr13
	s_and_saveexec_b32 s10, vcc_lo
	s_delay_alu instid0(SALU_CYCLE_1)
	s_xor_b32 s10, exec_lo, s10
	s_cbranch_execz .LBB254_2342
; %bb.324:
	v_bfe_u32 v11, v5, 21, 1
	s_mov_b32 s9, exec_lo
	s_delay_alu instid0(VALU_DEP_1) | instskip(NEXT) | instid1(VALU_DEP_1)
	v_add3_u32 v11, v5, v11, 0x88fffff
	v_lshrrev_b32_e32 v13, 21, v11
	s_and_not1_saveexec_b32 s10, s10
	s_cbranch_execnz .LBB254_2343
.LBB254_325:
	s_or_b32 exec_lo, exec_lo, s10
	v_mov_b32_e32 v11, 0
	s_and_saveexec_b32 s10, s9
.LBB254_326:
	v_lshrrev_b32_e32 v5, 24, v5
	s_delay_alu instid0(VALU_DEP_1)
	v_and_or_b32 v11, 0x80, v5, v13
.LBB254_327:
	s_or_b32 exec_lo, exec_lo, s10
.LBB254_328:
	s_delay_alu instid0(SALU_CYCLE_1)
	s_or_b32 exec_lo, exec_lo, s8
.LBB254_329:
	s_delay_alu instid0(SALU_CYCLE_1)
	s_or_b32 exec_lo, exec_lo, s7
.LBB254_330:
	s_delay_alu instid0(SALU_CYCLE_1)
	s_or_b32 exec_lo, exec_lo, s6
                                        ; implicit-def: $vgpr16_vgpr17
.LBB254_331:
	s_and_not1_saveexec_b32 s4, s4
	s_cbranch_execz .LBB254_379
; %bb.332:
	s_mov_b32 s6, exec_lo
                                        ; implicit-def: $vgpr11
	v_cmpx_lt_i16_e32 1, v7
	s_xor_b32 s6, exec_lo, s6
	s_cbranch_execz .LBB254_360
; %bb.333:
	s_mov_b32 s7, exec_lo
                                        ; implicit-def: $vgpr11
	v_cmpx_lt_i16_e32 2, v7
	s_xor_b32 s7, exec_lo, s7
	;; [unrolled: 6-line block ×3, first 2 shown]
	s_cbranch_execz .LBB254_342
; %bb.335:
	flat_load_b64 v[16:17], v[16:17]
	s_mov_b32 s9, exec_lo
	s_wait_loadcnt_dscnt 0x0
	v_xor_b32_e32 v5, v16, v17
	v_cls_i32_e32 v11, v17
	s_delay_alu instid0(VALU_DEP_2) | instskip(NEXT) | instid1(VALU_DEP_1)
	v_ashrrev_i32_e32 v5, 31, v5
	v_add_nc_u32_e32 v5, 32, v5
	s_delay_alu instid0(VALU_DEP_1) | instskip(SKIP_1) | instid1(VALU_DEP_1)
	v_add_min_u32_e64 v5, v11, -1, v5
	s_wait_xcnt 0x0
	v_lshlrev_b64_e32 v[16:17], v5, v[16:17]
	v_sub_nc_u32_e32 v5, 32, v5
	s_delay_alu instid0(VALU_DEP_2) | instskip(NEXT) | instid1(VALU_DEP_1)
	v_min_u32_e32 v11, 1, v16
	v_or_b32_e32 v11, v17, v11
	s_delay_alu instid0(VALU_DEP_1) | instskip(NEXT) | instid1(VALU_DEP_1)
	v_cvt_f32_i32_e32 v11, v11
	v_ldexp_f32 v5, v11, v5
	v_mov_b32_e32 v11, 0x80
	s_delay_alu instid0(VALU_DEP_2) | instskip(NEXT) | instid1(VALU_DEP_1)
	v_and_b32_e32 v13, 0x7fffffff, v5
	v_cmpx_gt_u32_e32 0x47800000, v13
	s_cbranch_execz .LBB254_341
; %bb.336:
	v_cmp_lt_u32_e32 vcc_lo, 0x37ffffff, v13
	s_mov_b32 s10, 0
                                        ; implicit-def: $vgpr13
	s_and_saveexec_b32 s11, vcc_lo
	s_delay_alu instid0(SALU_CYCLE_1)
	s_xor_b32 s11, exec_lo, s11
	s_cbranch_execz .LBB254_2417
; %bb.337:
	v_bfe_u32 v11, v5, 21, 1
	s_mov_b32 s10, exec_lo
	s_delay_alu instid0(VALU_DEP_1) | instskip(NEXT) | instid1(VALU_DEP_1)
	v_add3_u32 v11, v5, v11, 0x88fffff
	v_lshrrev_b32_e32 v13, 21, v11
	s_and_not1_saveexec_b32 s11, s11
	s_cbranch_execnz .LBB254_2418
.LBB254_338:
	s_or_b32 exec_lo, exec_lo, s11
	v_mov_b32_e32 v11, 0
	s_and_saveexec_b32 s11, s10
.LBB254_339:
	v_lshrrev_b32_e32 v5, 24, v5
	s_delay_alu instid0(VALU_DEP_1)
	v_and_or_b32 v11, 0x80, v5, v13
.LBB254_340:
	s_or_b32 exec_lo, exec_lo, s11
.LBB254_341:
	s_delay_alu instid0(SALU_CYCLE_1)
	s_or_b32 exec_lo, exec_lo, s9
                                        ; implicit-def: $vgpr16_vgpr17
.LBB254_342:
	s_and_not1_saveexec_b32 s8, s8
	s_cbranch_execz .LBB254_350
; %bb.343:
	flat_load_b32 v5, v[16:17]
	s_wait_loadcnt_dscnt 0x101
	v_mov_b32_e32 v11, 0x80
	s_mov_b32 s9, exec_lo
	s_wait_loadcnt_dscnt 0x0
	v_cvt_f32_i32_e32 v5, v5
	s_delay_alu instid0(VALU_DEP_1) | instskip(SKIP_1) | instid1(VALU_DEP_1)
	v_and_b32_e32 v13, 0x7fffffff, v5
	s_wait_xcnt 0x0
	v_cmpx_gt_u32_e32 0x47800000, v13
	s_cbranch_execz .LBB254_349
; %bb.344:
	v_cmp_lt_u32_e32 vcc_lo, 0x37ffffff, v13
	s_mov_b32 s10, 0
                                        ; implicit-def: $vgpr13
	s_and_saveexec_b32 s11, vcc_lo
	s_delay_alu instid0(SALU_CYCLE_1)
	s_xor_b32 s11, exec_lo, s11
	s_cbranch_execz .LBB254_2419
; %bb.345:
	v_bfe_u32 v11, v5, 21, 1
	s_mov_b32 s10, exec_lo
	s_delay_alu instid0(VALU_DEP_1) | instskip(NEXT) | instid1(VALU_DEP_1)
	v_add3_u32 v11, v5, v11, 0x88fffff
	v_lshrrev_b32_e32 v13, 21, v11
	s_and_not1_saveexec_b32 s11, s11
	s_cbranch_execnz .LBB254_2420
.LBB254_346:
	s_or_b32 exec_lo, exec_lo, s11
	v_mov_b32_e32 v11, 0
	s_and_saveexec_b32 s11, s10
.LBB254_347:
	v_lshrrev_b32_e32 v5, 24, v5
	s_delay_alu instid0(VALU_DEP_1)
	v_and_or_b32 v11, 0x80, v5, v13
.LBB254_348:
	s_or_b32 exec_lo, exec_lo, s11
.LBB254_349:
	s_delay_alu instid0(SALU_CYCLE_1)
	s_or_b32 exec_lo, exec_lo, s9
.LBB254_350:
	s_delay_alu instid0(SALU_CYCLE_1)
	s_or_b32 exec_lo, exec_lo, s8
                                        ; implicit-def: $vgpr16_vgpr17
.LBB254_351:
	s_and_not1_saveexec_b32 s7, s7
	s_cbranch_execz .LBB254_359
; %bb.352:
	flat_load_i16 v5, v[16:17]
	s_wait_loadcnt_dscnt 0x101
	v_mov_b32_e32 v11, 0x80
	s_mov_b32 s8, exec_lo
	s_wait_loadcnt_dscnt 0x0
	v_cvt_f32_i32_e32 v5, v5
	s_delay_alu instid0(VALU_DEP_1) | instskip(SKIP_1) | instid1(VALU_DEP_1)
	v_and_b32_e32 v13, 0x7fffffff, v5
	s_wait_xcnt 0x0
	v_cmpx_gt_u32_e32 0x47800000, v13
	s_cbranch_execz .LBB254_358
; %bb.353:
	v_cmp_lt_u32_e32 vcc_lo, 0x37ffffff, v13
	s_mov_b32 s9, 0
                                        ; implicit-def: $vgpr13
	s_and_saveexec_b32 s10, vcc_lo
	s_delay_alu instid0(SALU_CYCLE_1)
	s_xor_b32 s10, exec_lo, s10
	s_cbranch_execz .LBB254_2344
; %bb.354:
	v_bfe_u32 v11, v5, 21, 1
	s_mov_b32 s9, exec_lo
	s_delay_alu instid0(VALU_DEP_1) | instskip(NEXT) | instid1(VALU_DEP_1)
	v_add3_u32 v11, v5, v11, 0x88fffff
	v_lshrrev_b32_e32 v13, 21, v11
	s_and_not1_saveexec_b32 s10, s10
	s_cbranch_execnz .LBB254_2345
.LBB254_355:
	s_or_b32 exec_lo, exec_lo, s10
	v_mov_b32_e32 v11, 0
	s_and_saveexec_b32 s10, s9
.LBB254_356:
	v_lshrrev_b32_e32 v5, 24, v5
	s_delay_alu instid0(VALU_DEP_1)
	v_and_or_b32 v11, 0x80, v5, v13
.LBB254_357:
	s_or_b32 exec_lo, exec_lo, s10
.LBB254_358:
	s_delay_alu instid0(SALU_CYCLE_1)
	s_or_b32 exec_lo, exec_lo, s8
.LBB254_359:
	s_delay_alu instid0(SALU_CYCLE_1)
	s_or_b32 exec_lo, exec_lo, s7
                                        ; implicit-def: $vgpr16_vgpr17
.LBB254_360:
	s_and_not1_saveexec_b32 s6, s6
	s_cbranch_execz .LBB254_378
; %bb.361:
	s_mov_b32 s7, exec_lo
                                        ; implicit-def: $vgpr11
	v_cmpx_lt_i16_e32 0, v7
	s_xor_b32 s7, exec_lo, s7
	s_cbranch_execz .LBB254_369
; %bb.362:
	flat_load_i8 v5, v[16:17]
	s_wait_loadcnt_dscnt 0x101
	v_mov_b32_e32 v11, 0x80
	s_mov_b32 s8, exec_lo
	s_wait_loadcnt_dscnt 0x0
	v_cvt_f32_i32_e32 v5, v5
	s_delay_alu instid0(VALU_DEP_1) | instskip(SKIP_1) | instid1(VALU_DEP_1)
	v_and_b32_e32 v13, 0x7fffffff, v5
	s_wait_xcnt 0x0
	v_cmpx_gt_u32_e32 0x47800000, v13
	s_cbranch_execz .LBB254_368
; %bb.363:
	v_cmp_lt_u32_e32 vcc_lo, 0x37ffffff, v13
	s_mov_b32 s9, 0
                                        ; implicit-def: $vgpr13
	s_and_saveexec_b32 s10, vcc_lo
	s_delay_alu instid0(SALU_CYCLE_1)
	s_xor_b32 s10, exec_lo, s10
	s_cbranch_execz .LBB254_2346
; %bb.364:
	v_bfe_u32 v11, v5, 21, 1
	s_mov_b32 s9, exec_lo
	s_delay_alu instid0(VALU_DEP_1) | instskip(NEXT) | instid1(VALU_DEP_1)
	v_add3_u32 v11, v5, v11, 0x88fffff
	v_lshrrev_b32_e32 v13, 21, v11
	s_and_not1_saveexec_b32 s10, s10
	s_cbranch_execnz .LBB254_2347
.LBB254_365:
	s_or_b32 exec_lo, exec_lo, s10
	v_mov_b32_e32 v11, 0
	s_and_saveexec_b32 s10, s9
.LBB254_366:
	v_lshrrev_b32_e32 v5, 24, v5
	s_delay_alu instid0(VALU_DEP_1)
	v_and_or_b32 v11, 0x80, v5, v13
.LBB254_367:
	s_or_b32 exec_lo, exec_lo, s10
.LBB254_368:
	s_delay_alu instid0(SALU_CYCLE_1)
	s_or_b32 exec_lo, exec_lo, s8
                                        ; implicit-def: $vgpr16_vgpr17
.LBB254_369:
	s_and_not1_saveexec_b32 s7, s7
	s_cbranch_execz .LBB254_377
; %bb.370:
	flat_load_u8 v5, v[16:17]
	s_wait_loadcnt_dscnt 0x101
	v_mov_b32_e32 v11, 0x80
	s_mov_b32 s8, exec_lo
	s_wait_loadcnt_dscnt 0x0
	v_cvt_f32_ubyte0_e32 v13, v5
	s_wait_xcnt 0x0
	s_delay_alu instid0(VALU_DEP_1)
	v_cmpx_gt_u32_e32 0x47800000, v13
	s_cbranch_execz .LBB254_376
; %bb.371:
	s_mov_b32 s9, 0
	s_mov_b32 s10, exec_lo
                                        ; implicit-def: $vgpr5
	v_cmpx_lt_u32_e32 0x37ffffff, v13
	s_xor_b32 s10, exec_lo, s10
	s_cbranch_execz .LBB254_2348
; %bb.372:
	v_bfe_u32 v5, v13, 21, 1
	s_mov_b32 s9, exec_lo
	s_delay_alu instid0(VALU_DEP_1) | instskip(NEXT) | instid1(VALU_DEP_1)
	v_add3_u32 v5, v13, v5, 0x88fffff
                                        ; implicit-def: $vgpr13
	v_lshrrev_b32_e32 v5, 21, v5
	s_and_not1_saveexec_b32 s10, s10
	s_cbranch_execnz .LBB254_2349
.LBB254_373:
	s_or_b32 exec_lo, exec_lo, s10
	v_mov_b32_e32 v11, 0
	s_and_saveexec_b32 s10, s9
.LBB254_374:
	v_mov_b32_e32 v11, v5
.LBB254_375:
	s_or_b32 exec_lo, exec_lo, s10
.LBB254_376:
	s_delay_alu instid0(SALU_CYCLE_1)
	s_or_b32 exec_lo, exec_lo, s8
.LBB254_377:
	s_delay_alu instid0(SALU_CYCLE_1)
	s_or_b32 exec_lo, exec_lo, s7
.LBB254_378:
	s_delay_alu instid0(SALU_CYCLE_1)
	s_or_b32 exec_lo, exec_lo, s6
.LBB254_379:
	s_delay_alu instid0(SALU_CYCLE_1) | instskip(NEXT) | instid1(SALU_CYCLE_1)
	s_or_b32 exec_lo, exec_lo, s4
	s_or_b32 s5, s5, exec_lo
.LBB254_380:
	s_or_b32 exec_lo, exec_lo, s0
	s_mov_b32 s6, 0
	s_mov_b32 s7, 0
                                        ; implicit-def: $sgpr21
                                        ; implicit-def: $vgpr30_vgpr31
                                        ; implicit-def: $vgpr15
	s_and_saveexec_b32 s4, s5
	s_cbranch_execz .LBB254_2125
; %bb.381:
	s_clause 0x1
	scratch_load_b64 v[16:17], off, off offset:424
	scratch_load_u8 v5, off, off offset:438
	v_mov_b32_e32 v29, 0
	s_mov_b32 s5, s3
	s_mov_b32 s0, exec_lo
                                        ; implicit-def: $vgpr13
	s_wait_loadcnt 0x1
	s_delay_alu instid0(VALU_DEP_1)
	v_add_nc_u64_e32 v[22:23], v[16:17], v[28:29]
	s_wait_loadcnt 0x0
	v_cmpx_lt_i16_e32 10, v5
	s_xor_b32 s0, exec_lo, s0
	s_cbranch_execz .LBB254_462
; %bb.382:
	s_mov_b32 s5, 0
	s_mov_b32 s8, 0
	s_mov_b32 s6, exec_lo
                                        ; implicit-def: $vgpr13
	v_cmpx_lt_i16_e32 25, v5
	s_xor_b32 s6, exec_lo, s6
	s_cbranch_execz .LBB254_2206
; %bb.383:
	s_mov_b32 s9, 0
	s_mov_b32 s7, exec_lo
                                        ; implicit-def: $vgpr13
	v_cmpx_lt_i16_e32 28, v5
	s_xor_b32 s7, exec_lo, s7
	s_cbranch_execz .LBB254_417
; %bb.384:
	s_mov_b32 s10, 0
	s_mov_b32 s11, 0
	s_mov_b32 s8, exec_lo
                                        ; implicit-def: $vgpr13
	v_cmpx_lt_i16_e32 43, v5
	s_xor_b32 s8, exec_lo, s8
	s_cbranch_execz .LBB254_406
; %bb.385:
	s_mov_b32 s11, exec_lo
                                        ; implicit-def: $vgpr13
	v_cmpx_lt_i16_e32 45, v5
	s_xor_b32 s11, exec_lo, s11
	s_cbranch_execz .LBB254_395
; %bb.386:
	s_mov_b32 s12, -1
	s_mov_b32 s9, exec_lo
                                        ; implicit-def: $vgpr13
	v_cmpx_eq_u16_e32 46, v5
	s_cbranch_execz .LBB254_394
; %bb.387:
	flat_load_b32 v13, v[22:23]
	s_mov_b32 s10, exec_lo
	s_wait_loadcnt_dscnt 0x0
	v_lshlrev_b32_e32 v15, 16, v13
	v_mov_b32_e32 v13, 0x80
	s_delay_alu instid0(VALU_DEP_2) | instskip(SKIP_1) | instid1(VALU_DEP_1)
	v_and_b32_e32 v19, 0x7fffffff, v15
	s_wait_xcnt 0x0
	v_cmpx_gt_u32_e32 0x47800000, v19
	s_cbranch_execz .LBB254_393
; %bb.388:
	v_cmp_lt_u32_e32 vcc_lo, 0x37ffffff, v19
	s_mov_b32 s12, 0
                                        ; implicit-def: $vgpr19
	s_and_saveexec_b32 s13, vcc_lo
	s_delay_alu instid0(SALU_CYCLE_1)
	s_xor_b32 s13, exec_lo, s13
	s_cbranch_execz .LBB254_2573
; %bb.389:
	v_bfe_u32 v13, v15, 21, 1
	s_mov_b32 s12, exec_lo
	s_delay_alu instid0(VALU_DEP_1) | instskip(NEXT) | instid1(VALU_DEP_1)
	v_add3_u32 v13, v15, v13, 0x88fffff
	v_lshrrev_b32_e32 v19, 21, v13
	s_and_not1_saveexec_b32 s13, s13
	s_cbranch_execnz .LBB254_2574
.LBB254_390:
	s_or_b32 exec_lo, exec_lo, s13
	v_mov_b32_e32 v13, 0
	s_and_saveexec_b32 s13, s12
.LBB254_391:
	v_lshrrev_b32_e32 v13, 24, v15
	s_delay_alu instid0(VALU_DEP_1)
	v_and_or_b32 v13, 0x80, v13, v19
.LBB254_392:
	s_or_b32 exec_lo, exec_lo, s13
.LBB254_393:
	s_delay_alu instid0(SALU_CYCLE_1) | instskip(NEXT) | instid1(SALU_CYCLE_1)
	s_or_b32 exec_lo, exec_lo, s10
	s_mov_b32 s10, exec_lo
	s_xor_b32 s12, exec_lo, -1
.LBB254_394:
	s_or_b32 exec_lo, exec_lo, s9
	s_delay_alu instid0(SALU_CYCLE_1)
	s_and_b32 s10, s10, exec_lo
	s_and_b32 s9, s12, exec_lo
.LBB254_395:
	s_and_not1_saveexec_b32 s11, s11
	s_cbranch_execz .LBB254_405
; %bb.396:
	s_mov_b32 s13, -1
	s_mov_b32 s14, s10
	s_mov_b32 s12, exec_lo
                                        ; implicit-def: $vgpr13
	v_cmpx_eq_u16_e32 44, v5
	s_cbranch_execz .LBB254_404
; %bb.397:
	flat_load_u8 v13, v[22:23]
	s_mov_b32 s14, 0
	s_mov_b32 s13, exec_lo
	s_wait_loadcnt_dscnt 0x0
	v_lshlrev_b32_e32 v15, 23, v13
	v_cmp_ne_u32_e32 vcc_lo, 0xff, v13
	s_delay_alu instid0(VALU_DEP_2) | instskip(SKIP_2) | instid1(VALU_DEP_3)
	v_cndmask_b32_e32 v15, 0x7f800001, v15, vcc_lo
	v_cmp_ne_u32_e32 vcc_lo, 0, v13
	v_mov_b32_e32 v13, 0x80
	v_cndmask_b32_e32 v19, 0x400000, v15, vcc_lo
	s_wait_xcnt 0x0
	s_delay_alu instid0(VALU_DEP_1)
	v_cmpx_gt_u32_e32 0x47800000, v19
	s_cbranch_execz .LBB254_403
; %bb.398:
	s_mov_b32 s15, exec_lo
                                        ; implicit-def: $vgpr15
	v_cmpx_lt_u32_e32 0x37ffffff, v19
	s_xor_b32 s15, exec_lo, s15
	s_cbranch_execz .LBB254_2575
; %bb.399:
	v_bfe_u32 v13, v19, 21, 1
	s_mov_b32 s14, exec_lo
	s_delay_alu instid0(VALU_DEP_1) | instskip(NEXT) | instid1(VALU_DEP_1)
	v_add3_u32 v13, v19, v13, 0x88fffff
                                        ; implicit-def: $vgpr19
	v_lshrrev_b32_e32 v15, 21, v13
	s_and_not1_saveexec_b32 s15, s15
	s_cbranch_execnz .LBB254_2576
.LBB254_400:
	s_or_b32 exec_lo, exec_lo, s15
	v_mov_b32_e32 v13, 0
	s_and_saveexec_b32 s15, s14
.LBB254_401:
	v_mov_b32_e32 v13, v15
.LBB254_402:
	s_or_b32 exec_lo, exec_lo, s15
.LBB254_403:
	s_delay_alu instid0(SALU_CYCLE_1) | instskip(NEXT) | instid1(SALU_CYCLE_1)
	s_or_b32 exec_lo, exec_lo, s13
	s_or_b32 s14, s10, exec_lo
	s_xor_b32 s13, exec_lo, -1
.LBB254_404:
	s_or_b32 exec_lo, exec_lo, s12
	s_delay_alu instid0(SALU_CYCLE_1)
	s_and_not1_b32 s10, s10, exec_lo
	s_and_b32 s12, s14, exec_lo
	s_and_not1_b32 s9, s9, exec_lo
	s_and_b32 s13, s13, exec_lo
	s_or_b32 s10, s10, s12
	s_or_b32 s9, s9, s13
.LBB254_405:
	s_or_b32 exec_lo, exec_lo, s11
	s_delay_alu instid0(SALU_CYCLE_1)
	s_and_b32 s11, s10, exec_lo
	s_and_b32 s10, s9, exec_lo
.LBB254_406:
	s_and_not1_saveexec_b32 s8, s8
	s_cbranch_execz .LBB254_416
; %bb.407:
	s_mov_b32 s12, -1
	s_mov_b32 s13, s11
	s_mov_b32 s9, exec_lo
                                        ; implicit-def: $vgpr13
	v_cmpx_eq_u16_e32 29, v5
	s_cbranch_execz .LBB254_415
; %bb.408:
	flat_load_b64 v[28:29], v[22:23]
	s_mov_b32 s12, exec_lo
	s_wait_loadcnt_dscnt 0x0
	v_clz_i32_u32_e32 v13, v29
	s_delay_alu instid0(VALU_DEP_1) | instskip(NEXT) | instid1(VALU_DEP_1)
	v_min_u32_e32 v13, 32, v13
	v_lshlrev_b64_e32 v[28:29], v13, v[28:29]
	v_sub_nc_u32_e32 v13, 32, v13
	s_delay_alu instid0(VALU_DEP_2) | instskip(NEXT) | instid1(VALU_DEP_1)
	v_min_u32_e32 v15, 1, v28
	v_or_b32_e32 v15, v29, v15
	s_delay_alu instid0(VALU_DEP_1) | instskip(NEXT) | instid1(VALU_DEP_1)
	v_cvt_f32_u32_e32 v15, v15
	v_ldexp_f32 v19, v15, v13
	v_mov_b32_e32 v13, 0x80
	s_wait_xcnt 0x0
	s_delay_alu instid0(VALU_DEP_2)
	v_cmpx_gt_u32_e32 0x47800000, v19
	s_cbranch_execz .LBB254_414
; %bb.409:
	s_mov_b32 s13, 0
	s_mov_b32 s14, exec_lo
                                        ; implicit-def: $vgpr15
	v_cmpx_lt_u32_e32 0x37ffffff, v19
	s_xor_b32 s14, exec_lo, s14
	s_cbranch_execz .LBB254_2486
; %bb.410:
	v_bfe_u32 v13, v19, 21, 1
	s_mov_b32 s13, exec_lo
	s_delay_alu instid0(VALU_DEP_1) | instskip(NEXT) | instid1(VALU_DEP_1)
	v_add3_u32 v13, v19, v13, 0x88fffff
                                        ; implicit-def: $vgpr19
	v_lshrrev_b32_e32 v15, 21, v13
	s_and_not1_saveexec_b32 s14, s14
	s_cbranch_execnz .LBB254_2487
.LBB254_411:
	s_or_b32 exec_lo, exec_lo, s14
	v_mov_b32_e32 v13, 0
	s_and_saveexec_b32 s14, s13
.LBB254_412:
	v_mov_b32_e32 v13, v15
.LBB254_413:
	s_or_b32 exec_lo, exec_lo, s14
.LBB254_414:
	s_delay_alu instid0(SALU_CYCLE_1) | instskip(NEXT) | instid1(SALU_CYCLE_1)
	s_or_b32 exec_lo, exec_lo, s12
	s_or_b32 s13, s11, exec_lo
	s_xor_b32 s12, exec_lo, -1
.LBB254_415:
	s_or_b32 exec_lo, exec_lo, s9
	s_delay_alu instid0(SALU_CYCLE_1)
	s_and_not1_b32 s9, s11, exec_lo
	s_and_b32 s11, s13, exec_lo
	s_and_not1_b32 s10, s10, exec_lo
	s_and_b32 s12, s12, exec_lo
	s_or_b32 s11, s9, s11
	s_or_b32 s10, s10, s12
.LBB254_416:
	s_or_b32 exec_lo, exec_lo, s8
	s_delay_alu instid0(SALU_CYCLE_1)
	s_and_b32 s9, s11, exec_lo
	s_and_b32 s8, s10, exec_lo
.LBB254_417:
	s_and_not1_saveexec_b32 s7, s7
	s_cbranch_execz .LBB254_451
; %bb.418:
	s_mov_b32 s10, exec_lo
                                        ; implicit-def: $vgpr13
	v_cmpx_lt_i16_e32 26, v5
	s_xor_b32 s10, exec_lo, s10
	s_cbranch_execz .LBB254_436
; %bb.419:
	s_mov_b32 s11, exec_lo
                                        ; implicit-def: $vgpr13
	v_cmpx_lt_i16_e32 27, v5
	s_xor_b32 s11, exec_lo, s11
	s_cbranch_execz .LBB254_427
; %bb.420:
	flat_load_b32 v13, v[22:23]
	s_mov_b32 s12, exec_lo
	s_wait_loadcnt_dscnt 0x0
	v_cvt_f32_u32_e32 v19, v13
	v_mov_b32_e32 v13, 0x80
	s_wait_xcnt 0x0
	s_delay_alu instid0(VALU_DEP_2)
	v_cmpx_gt_u32_e32 0x47800000, v19
	s_cbranch_execz .LBB254_426
; %bb.421:
	s_mov_b32 s13, 0
	s_mov_b32 s14, exec_lo
                                        ; implicit-def: $vgpr15
	v_cmpx_lt_u32_e32 0x37ffffff, v19
	s_xor_b32 s14, exec_lo, s14
	s_cbranch_execz .LBB254_2488
; %bb.422:
	v_bfe_u32 v13, v19, 21, 1
	s_mov_b32 s13, exec_lo
	s_delay_alu instid0(VALU_DEP_1) | instskip(NEXT) | instid1(VALU_DEP_1)
	v_add3_u32 v13, v19, v13, 0x88fffff
                                        ; implicit-def: $vgpr19
	v_lshrrev_b32_e32 v15, 21, v13
	s_and_not1_saveexec_b32 s14, s14
	s_cbranch_execnz .LBB254_2489
.LBB254_423:
	s_or_b32 exec_lo, exec_lo, s14
	v_mov_b32_e32 v13, 0
	s_and_saveexec_b32 s14, s13
.LBB254_424:
	v_mov_b32_e32 v13, v15
.LBB254_425:
	s_or_b32 exec_lo, exec_lo, s14
.LBB254_426:
	s_delay_alu instid0(SALU_CYCLE_1)
	s_or_b32 exec_lo, exec_lo, s12
.LBB254_427:
	s_and_not1_saveexec_b32 s11, s11
	s_cbranch_execz .LBB254_435
; %bb.428:
	flat_load_u16 v13, v[22:23]
	s_mov_b32 s12, exec_lo
	s_wait_loadcnt_dscnt 0x0
	v_cvt_f32_u32_e32 v19, v13
	v_mov_b32_e32 v13, 0x80
	s_wait_xcnt 0x0
	s_delay_alu instid0(VALU_DEP_2)
	v_cmpx_gt_u32_e32 0x47800000, v19
	s_cbranch_execz .LBB254_434
; %bb.429:
	s_mov_b32 s13, 0
	s_mov_b32 s14, exec_lo
                                        ; implicit-def: $vgpr15
	v_cmpx_lt_u32_e32 0x37ffffff, v19
	s_xor_b32 s14, exec_lo, s14
	s_cbranch_execz .LBB254_2490
; %bb.430:
	v_bfe_u32 v13, v19, 21, 1
	s_mov_b32 s13, exec_lo
	s_delay_alu instid0(VALU_DEP_1) | instskip(NEXT) | instid1(VALU_DEP_1)
	v_add3_u32 v13, v19, v13, 0x88fffff
                                        ; implicit-def: $vgpr19
	v_lshrrev_b32_e32 v15, 21, v13
	s_and_not1_saveexec_b32 s14, s14
	s_cbranch_execnz .LBB254_2491
.LBB254_431:
	s_or_b32 exec_lo, exec_lo, s14
	v_mov_b32_e32 v13, 0
	s_and_saveexec_b32 s14, s13
.LBB254_432:
	v_mov_b32_e32 v13, v15
.LBB254_433:
	s_or_b32 exec_lo, exec_lo, s14
.LBB254_434:
	s_delay_alu instid0(SALU_CYCLE_1)
	s_or_b32 exec_lo, exec_lo, s12
.LBB254_435:
	s_delay_alu instid0(SALU_CYCLE_1)
	s_or_b32 exec_lo, exec_lo, s11
.LBB254_436:
	s_and_not1_saveexec_b32 s10, s10
	s_cbranch_execz .LBB254_450
; %bb.437:
	flat_load_u8 v13, v[22:23]
	s_mov_b32 s11, 0
	s_mov_b32 s12, exec_lo
	s_wait_loadcnt_dscnt 0x0
	v_cmpx_lt_i16_e32 0x7f, v13
	s_xor_b32 s12, exec_lo, s12
	s_cbranch_execz .LBB254_2350
; %bb.438:
	s_mov_b32 s11, -1
	s_mov_b32 s13, exec_lo
	v_cmpx_eq_u16_e32 0x80, v13
; %bb.439:
	s_xor_b32 s11, exec_lo, -1
; %bb.440:
	s_or_b32 exec_lo, exec_lo, s13
	s_delay_alu instid0(SALU_CYCLE_1)
	s_and_b32 s11, s11, exec_lo
	s_or_saveexec_b32 s12, s12
	v_mov_b32_e32 v15, 0x7f800001
	s_xor_b32 exec_lo, exec_lo, s12
	s_cbranch_execnz .LBB254_2351
.LBB254_441:
	s_or_b32 exec_lo, exec_lo, s12
	s_and_saveexec_b32 s12, s11
	s_cbranch_execz .LBB254_443
.LBB254_442:
	v_and_b32_e32 v15, 0xffff, v13
	s_delay_alu instid0(VALU_DEP_1) | instskip(SKIP_1) | instid1(VALU_DEP_2)
	v_and_b32_e32 v19, 7, v15
	v_bfe_u32 v27, v15, 3, 4
	v_clz_i32_u32_e32 v21, v19
	s_delay_alu instid0(VALU_DEP_2) | instskip(NEXT) | instid1(VALU_DEP_2)
	v_cmp_eq_u32_e32 vcc_lo, 0, v27
	v_min_u32_e32 v21, 32, v21
	s_delay_alu instid0(VALU_DEP_1) | instskip(NEXT) | instid1(VALU_DEP_1)
	v_subrev_nc_u32_e32 v25, 28, v21
	v_dual_lshlrev_b32 v15, v25, v15 :: v_dual_sub_nc_u32 v21, 29, v21
	s_delay_alu instid0(VALU_DEP_1) | instskip(NEXT) | instid1(VALU_DEP_1)
	v_dual_lshlrev_b32 v13, 24, v13 :: v_dual_bitop2_b32 v15, 7, v15 bitop3:0x40
	v_cndmask_b32_e32 v15, v19, v15, vcc_lo
	s_delay_alu instid0(VALU_DEP_3) | instskip(NEXT) | instid1(VALU_DEP_3)
	v_cndmask_b32_e32 v21, v27, v21, vcc_lo
	v_and_b32_e32 v13, 0x80000000, v13
	s_delay_alu instid0(VALU_DEP_3) | instskip(NEXT) | instid1(VALU_DEP_3)
	v_lshlrev_b32_e32 v15, 20, v15
	v_lshl_add_u32 v19, v21, 23, 0x3b800000
	s_delay_alu instid0(VALU_DEP_1)
	v_or3_b32 v15, v13, v19, v15
.LBB254_443:
	s_or_b32 exec_lo, exec_lo, s12
	s_delay_alu instid0(VALU_DEP_1) | instskip(SKIP_2) | instid1(VALU_DEP_2)
	v_and_b32_e32 v19, 0x7fffffff, v15
	v_mov_b32_e32 v13, 0x80
	s_mov_b32 s11, exec_lo
	v_cmpx_gt_u32_e32 0x47800000, v19
	s_cbranch_execz .LBB254_449
; %bb.444:
	v_cmp_lt_u32_e32 vcc_lo, 0x37ffffff, v19
	s_mov_b32 s12, 0
                                        ; implicit-def: $vgpr19
	s_and_saveexec_b32 s13, vcc_lo
	s_delay_alu instid0(SALU_CYCLE_1)
	s_xor_b32 s13, exec_lo, s13
	s_cbranch_execz .LBB254_2421
; %bb.445:
	v_bfe_u32 v13, v15, 21, 1
	s_mov_b32 s12, exec_lo
	s_delay_alu instid0(VALU_DEP_1) | instskip(NEXT) | instid1(VALU_DEP_1)
	v_add3_u32 v13, v15, v13, 0x88fffff
	v_lshrrev_b32_e32 v19, 21, v13
	s_and_not1_saveexec_b32 s13, s13
	s_cbranch_execnz .LBB254_2422
.LBB254_446:
	s_or_b32 exec_lo, exec_lo, s13
	v_mov_b32_e32 v13, 0
	s_and_saveexec_b32 s13, s12
.LBB254_447:
	v_lshrrev_b32_e32 v13, 24, v15
	s_delay_alu instid0(VALU_DEP_1)
	v_and_or_b32 v13, 0x80, v13, v19
.LBB254_448:
	s_or_b32 exec_lo, exec_lo, s13
.LBB254_449:
	s_delay_alu instid0(SALU_CYCLE_1)
	s_or_b32 exec_lo, exec_lo, s11
.LBB254_450:
	s_delay_alu instid0(SALU_CYCLE_1) | instskip(NEXT) | instid1(SALU_CYCLE_1)
	s_or_b32 exec_lo, exec_lo, s10
	s_or_b32 s9, s9, exec_lo
.LBB254_451:
	s_or_b32 exec_lo, exec_lo, s7
	s_delay_alu instid0(SALU_CYCLE_1)
	s_and_b32 s7, s9, exec_lo
	s_and_b32 s8, s8, exec_lo
	s_and_not1_saveexec_b32 s6, s6
	s_cbranch_execnz .LBB254_2207
.LBB254_452:
	s_or_b32 exec_lo, exec_lo, s6
	s_mov_b32 s6, s3
	s_and_saveexec_b32 s9, s8
	s_cbranch_execnz .LBB254_2244
.LBB254_453:
	s_or_b32 exec_lo, exec_lo, s9
	s_and_saveexec_b32 s8, s5
	s_delay_alu instid0(SALU_CYCLE_1)
	s_xor_b32 s5, exec_lo, s8
	s_cbranch_execz .LBB254_461
.LBB254_454:
	s_wait_loadcnt_dscnt 0x0
	flat_load_u8 v13, v[22:23]
	s_mov_b32 s9, 0
	s_mov_b32 s8, exec_lo
	s_wait_loadcnt_dscnt 0x0
	v_cmp_ne_u16_e32 vcc_lo, 0, v13
	v_mov_b32_e32 v13, 0x80
	v_cndmask_b32_e64 v19, 0, 1.0, vcc_lo
	s_wait_xcnt 0x0
	s_delay_alu instid0(VALU_DEP_1)
	v_cmpx_gt_u32_e32 0x47800000, v19
	s_cbranch_execz .LBB254_460
; %bb.455:
	s_mov_b32 s10, exec_lo
                                        ; implicit-def: $vgpr15
	v_cmpx_lt_u32_e32 0x37ffffff, v19
	s_xor_b32 s10, exec_lo, s10
	s_cbranch_execz .LBB254_2296
; %bb.456:
	v_bfe_u32 v13, v19, 21, 1
	s_mov_b32 s9, exec_lo
	s_delay_alu instid0(VALU_DEP_1) | instskip(NEXT) | instid1(VALU_DEP_1)
	v_add3_u32 v13, v19, v13, 0x88fffff
                                        ; implicit-def: $vgpr19
	v_lshrrev_b32_e32 v15, 21, v13
	s_and_not1_saveexec_b32 s10, s10
	s_cbranch_execnz .LBB254_2297
.LBB254_457:
	s_or_b32 exec_lo, exec_lo, s10
	v_mov_b32_e32 v13, 0
	s_and_saveexec_b32 s10, s9
.LBB254_458:
	v_mov_b32_e32 v13, v15
.LBB254_459:
	s_or_b32 exec_lo, exec_lo, s10
.LBB254_460:
	s_delay_alu instid0(SALU_CYCLE_1) | instskip(NEXT) | instid1(SALU_CYCLE_1)
	s_or_b32 exec_lo, exec_lo, s8
	s_or_b32 s7, s7, exec_lo
.LBB254_461:
	s_or_b32 exec_lo, exec_lo, s5
	s_delay_alu instid0(SALU_CYCLE_1)
	s_and_not1_b32 s5, s3, exec_lo
	s_and_b32 s6, s6, exec_lo
	s_and_b32 s7, s7, exec_lo
	s_or_b32 s5, s5, s6
                                        ; implicit-def: $vgpr22_vgpr23
.LBB254_462:
	s_and_not1_saveexec_b32 s0, s0
	s_cbranch_execz .LBB254_570
; %bb.463:
	s_mov_b32 s6, exec_lo
                                        ; implicit-def: $vgpr13
	v_cmpx_lt_i16_e32 4, v5
	s_xor_b32 s6, exec_lo, s6
	s_cbranch_execz .LBB254_521
; %bb.464:
	s_mov_b32 s8, exec_lo
                                        ; implicit-def: $vgpr13
	v_cmpx_lt_i16_e32 7, v5
	s_xor_b32 s8, exec_lo, s8
	;; [unrolled: 6-line block ×4, first 2 shown]
	s_cbranch_execz .LBB254_474
; %bb.467:
	flat_load_b64 v[22:23], v[22:23]
	s_wait_loadcnt_dscnt 0x101
	v_mov_b32_e32 v13, 0x80
	s_mov_b32 s11, exec_lo
	s_wait_loadcnt_dscnt 0x0
	v_cvt_f32_f64_e32 v15, v[22:23]
	s_delay_alu instid0(VALU_DEP_1) | instskip(SKIP_1) | instid1(VALU_DEP_1)
	v_and_b32_e32 v19, 0x7fffffff, v15
	s_wait_xcnt 0x0
	v_cmpx_gt_u32_e32 0x47800000, v19
	s_cbranch_execz .LBB254_473
; %bb.468:
	v_cmp_lt_u32_e32 vcc_lo, 0x37ffffff, v19
	s_mov_b32 s12, 0
                                        ; implicit-def: $vgpr19
	s_and_saveexec_b32 s13, vcc_lo
	s_delay_alu instid0(SALU_CYCLE_1)
	s_xor_b32 s13, exec_lo, s13
	s_cbranch_execz .LBB254_2492
; %bb.469:
	v_bfe_u32 v13, v15, 21, 1
	s_mov_b32 s12, exec_lo
	s_delay_alu instid0(VALU_DEP_1) | instskip(NEXT) | instid1(VALU_DEP_1)
	v_add3_u32 v13, v15, v13, 0x88fffff
	v_lshrrev_b32_e32 v19, 21, v13
	s_and_not1_saveexec_b32 s13, s13
	s_cbranch_execnz .LBB254_2493
.LBB254_470:
	s_or_b32 exec_lo, exec_lo, s13
	v_mov_b32_e32 v13, 0
	s_and_saveexec_b32 s13, s12
.LBB254_471:
	v_lshrrev_b32_e32 v13, 24, v15
	s_delay_alu instid0(VALU_DEP_1)
	v_and_or_b32 v13, 0x80, v13, v19
.LBB254_472:
	s_or_b32 exec_lo, exec_lo, s13
.LBB254_473:
	s_delay_alu instid0(SALU_CYCLE_1)
	s_or_b32 exec_lo, exec_lo, s11
                                        ; implicit-def: $vgpr22_vgpr23
.LBB254_474:
	s_and_not1_saveexec_b32 s10, s10
	s_cbranch_execz .LBB254_482
; %bb.475:
	flat_load_b32 v15, v[22:23]
	s_wait_loadcnt_dscnt 0x101
	v_mov_b32_e32 v13, 0x80
	s_mov_b32 s11, exec_lo
	s_wait_loadcnt_dscnt 0x0
	v_and_b32_e32 v19, 0x7fffffff, v15
	s_wait_xcnt 0x0
	s_delay_alu instid0(VALU_DEP_1)
	v_cmpx_gt_u32_e32 0x47800000, v19
	s_cbranch_execz .LBB254_481
; %bb.476:
	v_cmp_lt_u32_e32 vcc_lo, 0x37ffffff, v19
	s_mov_b32 s12, 0
                                        ; implicit-def: $vgpr19
	s_and_saveexec_b32 s13, vcc_lo
	s_delay_alu instid0(SALU_CYCLE_1)
	s_xor_b32 s13, exec_lo, s13
	s_cbranch_execz .LBB254_2494
; %bb.477:
	v_bfe_u32 v13, v15, 21, 1
	s_mov_b32 s12, exec_lo
	s_delay_alu instid0(VALU_DEP_1) | instskip(NEXT) | instid1(VALU_DEP_1)
	v_add3_u32 v13, v15, v13, 0x88fffff
	v_lshrrev_b32_e32 v19, 21, v13
	s_and_not1_saveexec_b32 s13, s13
	s_cbranch_execnz .LBB254_2495
.LBB254_478:
	s_or_b32 exec_lo, exec_lo, s13
	v_mov_b32_e32 v13, 0
	s_and_saveexec_b32 s13, s12
.LBB254_479:
	v_lshrrev_b32_e32 v13, 24, v15
	s_delay_alu instid0(VALU_DEP_1)
	v_and_or_b32 v13, 0x80, v13, v19
.LBB254_480:
	s_or_b32 exec_lo, exec_lo, s13
.LBB254_481:
	s_delay_alu instid0(SALU_CYCLE_1)
	s_or_b32 exec_lo, exec_lo, s11
.LBB254_482:
	s_delay_alu instid0(SALU_CYCLE_1)
	s_or_b32 exec_lo, exec_lo, s10
                                        ; implicit-def: $vgpr22_vgpr23
.LBB254_483:
	s_and_not1_saveexec_b32 s9, s9
	s_cbranch_execz .LBB254_491
; %bb.484:
	s_wait_loadcnt_dscnt 0x0
	flat_load_b32 v13, v[22:23]
	s_mov_b32 s10, exec_lo
	s_wait_loadcnt_dscnt 0x0
	v_cvt_f32_f16_e32 v15, v13
	v_mov_b32_e32 v13, 0x80
	s_delay_alu instid0(VALU_DEP_2) | instskip(SKIP_1) | instid1(VALU_DEP_1)
	v_and_b32_e32 v19, 0x7fffffff, v15
	s_wait_xcnt 0x0
	v_cmpx_gt_u32_e32 0x47800000, v19
	s_cbranch_execz .LBB254_490
; %bb.485:
	v_cmp_lt_u32_e32 vcc_lo, 0x37ffffff, v19
	s_mov_b32 s11, 0
                                        ; implicit-def: $vgpr19
	s_and_saveexec_b32 s12, vcc_lo
	s_delay_alu instid0(SALU_CYCLE_1)
	s_xor_b32 s12, exec_lo, s12
	s_cbranch_execz .LBB254_2423
; %bb.486:
	v_bfe_u32 v13, v15, 21, 1
	s_mov_b32 s11, exec_lo
	s_delay_alu instid0(VALU_DEP_1) | instskip(NEXT) | instid1(VALU_DEP_1)
	v_add3_u32 v13, v15, v13, 0x88fffff
	v_lshrrev_b32_e32 v19, 21, v13
	s_and_not1_saveexec_b32 s12, s12
	s_cbranch_execnz .LBB254_2424
.LBB254_487:
	s_or_b32 exec_lo, exec_lo, s12
	v_mov_b32_e32 v13, 0
	s_and_saveexec_b32 s12, s11
.LBB254_488:
	v_lshrrev_b32_e32 v13, 24, v15
	s_delay_alu instid0(VALU_DEP_1)
	v_and_or_b32 v13, 0x80, v13, v19
.LBB254_489:
	s_or_b32 exec_lo, exec_lo, s12
.LBB254_490:
	s_delay_alu instid0(SALU_CYCLE_1)
	s_or_b32 exec_lo, exec_lo, s10
.LBB254_491:
	s_delay_alu instid0(SALU_CYCLE_1)
	s_or_b32 exec_lo, exec_lo, s9
                                        ; implicit-def: $vgpr22_vgpr23
.LBB254_492:
	s_and_not1_saveexec_b32 s8, s8
	s_cbranch_execz .LBB254_520
; %bb.493:
	s_mov_b32 s9, exec_lo
                                        ; implicit-def: $vgpr13
	v_cmpx_lt_i16_e32 5, v5
	s_xor_b32 s9, exec_lo, s9
	s_cbranch_execz .LBB254_511
; %bb.494:
	s_mov_b32 s10, exec_lo
                                        ; implicit-def: $vgpr13
	v_cmpx_lt_i16_e32 6, v5
	s_xor_b32 s10, exec_lo, s10
	s_cbranch_execz .LBB254_502
; %bb.495:
	flat_load_b64 v[22:23], v[22:23]
	s_wait_loadcnt_dscnt 0x101
	v_mov_b32_e32 v13, 0x80
	s_mov_b32 s11, exec_lo
	s_wait_loadcnt_dscnt 0x0
	v_cvt_f32_f64_e32 v15, v[22:23]
	s_delay_alu instid0(VALU_DEP_1) | instskip(SKIP_1) | instid1(VALU_DEP_1)
	v_and_b32_e32 v19, 0x7fffffff, v15
	s_wait_xcnt 0x0
	v_cmpx_gt_u32_e32 0x47800000, v19
	s_cbranch_execz .LBB254_501
; %bb.496:
	v_cmp_lt_u32_e32 vcc_lo, 0x37ffffff, v19
	s_mov_b32 s12, 0
                                        ; implicit-def: $vgpr19
	s_and_saveexec_b32 s13, vcc_lo
	s_delay_alu instid0(SALU_CYCLE_1)
	s_xor_b32 s13, exec_lo, s13
	s_cbranch_execz .LBB254_2496
; %bb.497:
	v_bfe_u32 v13, v15, 21, 1
	s_mov_b32 s12, exec_lo
	s_delay_alu instid0(VALU_DEP_1) | instskip(NEXT) | instid1(VALU_DEP_1)
	v_add3_u32 v13, v15, v13, 0x88fffff
	v_lshrrev_b32_e32 v19, 21, v13
	s_and_not1_saveexec_b32 s13, s13
	s_cbranch_execnz .LBB254_2497
.LBB254_498:
	s_or_b32 exec_lo, exec_lo, s13
	v_mov_b32_e32 v13, 0
	s_and_saveexec_b32 s13, s12
.LBB254_499:
	v_lshrrev_b32_e32 v13, 24, v15
	s_delay_alu instid0(VALU_DEP_1)
	v_and_or_b32 v13, 0x80, v13, v19
.LBB254_500:
	s_or_b32 exec_lo, exec_lo, s13
.LBB254_501:
	s_delay_alu instid0(SALU_CYCLE_1)
	s_or_b32 exec_lo, exec_lo, s11
                                        ; implicit-def: $vgpr22_vgpr23
.LBB254_502:
	s_and_not1_saveexec_b32 s10, s10
	s_cbranch_execz .LBB254_510
; %bb.503:
	flat_load_b32 v15, v[22:23]
	s_wait_loadcnt_dscnt 0x101
	v_mov_b32_e32 v13, 0x80
	s_mov_b32 s11, exec_lo
	s_wait_loadcnt_dscnt 0x0
	v_and_b32_e32 v19, 0x7fffffff, v15
	s_wait_xcnt 0x0
	s_delay_alu instid0(VALU_DEP_1)
	v_cmpx_gt_u32_e32 0x47800000, v19
	s_cbranch_execz .LBB254_509
; %bb.504:
	v_cmp_lt_u32_e32 vcc_lo, 0x37ffffff, v19
	s_mov_b32 s12, 0
                                        ; implicit-def: $vgpr19
	s_and_saveexec_b32 s13, vcc_lo
	s_delay_alu instid0(SALU_CYCLE_1)
	s_xor_b32 s13, exec_lo, s13
	s_cbranch_execz .LBB254_2498
; %bb.505:
	v_bfe_u32 v13, v15, 21, 1
	s_mov_b32 s12, exec_lo
	s_delay_alu instid0(VALU_DEP_1) | instskip(NEXT) | instid1(VALU_DEP_1)
	v_add3_u32 v13, v15, v13, 0x88fffff
	v_lshrrev_b32_e32 v19, 21, v13
	s_and_not1_saveexec_b32 s13, s13
	s_cbranch_execnz .LBB254_2499
.LBB254_506:
	s_or_b32 exec_lo, exec_lo, s13
	v_mov_b32_e32 v13, 0
	s_and_saveexec_b32 s13, s12
.LBB254_507:
	v_lshrrev_b32_e32 v13, 24, v15
	s_delay_alu instid0(VALU_DEP_1)
	v_and_or_b32 v13, 0x80, v13, v19
.LBB254_508:
	s_or_b32 exec_lo, exec_lo, s13
.LBB254_509:
	s_delay_alu instid0(SALU_CYCLE_1)
	s_or_b32 exec_lo, exec_lo, s11
.LBB254_510:
	s_delay_alu instid0(SALU_CYCLE_1)
	s_or_b32 exec_lo, exec_lo, s10
                                        ; implicit-def: $vgpr22_vgpr23
.LBB254_511:
	s_and_not1_saveexec_b32 s9, s9
	s_cbranch_execz .LBB254_519
; %bb.512:
	s_wait_loadcnt_dscnt 0x0
	flat_load_u16 v13, v[22:23]
	s_mov_b32 s10, exec_lo
	s_wait_loadcnt_dscnt 0x0
	v_cvt_f32_f16_e32 v15, v13
	v_mov_b32_e32 v13, 0x80
	s_delay_alu instid0(VALU_DEP_2) | instskip(SKIP_1) | instid1(VALU_DEP_1)
	v_and_b32_e32 v19, 0x7fffffff, v15
	s_wait_xcnt 0x0
	v_cmpx_gt_u32_e32 0x47800000, v19
	s_cbranch_execz .LBB254_518
; %bb.513:
	v_cmp_lt_u32_e32 vcc_lo, 0x37ffffff, v19
	s_mov_b32 s11, 0
                                        ; implicit-def: $vgpr19
	s_and_saveexec_b32 s12, vcc_lo
	s_delay_alu instid0(SALU_CYCLE_1)
	s_xor_b32 s12, exec_lo, s12
	s_cbranch_execz .LBB254_2425
; %bb.514:
	v_bfe_u32 v13, v15, 21, 1
	s_mov_b32 s11, exec_lo
	s_delay_alu instid0(VALU_DEP_1) | instskip(NEXT) | instid1(VALU_DEP_1)
	v_add3_u32 v13, v15, v13, 0x88fffff
	v_lshrrev_b32_e32 v19, 21, v13
	s_and_not1_saveexec_b32 s12, s12
	s_cbranch_execnz .LBB254_2426
.LBB254_515:
	s_or_b32 exec_lo, exec_lo, s12
	v_mov_b32_e32 v13, 0
	s_and_saveexec_b32 s12, s11
.LBB254_516:
	v_lshrrev_b32_e32 v13, 24, v15
	s_delay_alu instid0(VALU_DEP_1)
	v_and_or_b32 v13, 0x80, v13, v19
.LBB254_517:
	s_or_b32 exec_lo, exec_lo, s12
.LBB254_518:
	s_delay_alu instid0(SALU_CYCLE_1)
	s_or_b32 exec_lo, exec_lo, s10
.LBB254_519:
	s_delay_alu instid0(SALU_CYCLE_1)
	s_or_b32 exec_lo, exec_lo, s9
.LBB254_520:
	s_delay_alu instid0(SALU_CYCLE_1)
	s_or_b32 exec_lo, exec_lo, s8
                                        ; implicit-def: $vgpr22_vgpr23
.LBB254_521:
	s_and_not1_saveexec_b32 s6, s6
	s_cbranch_execz .LBB254_569
; %bb.522:
	s_mov_b32 s8, exec_lo
                                        ; implicit-def: $vgpr13
	v_cmpx_lt_i16_e32 1, v5
	s_xor_b32 s8, exec_lo, s8
	s_cbranch_execz .LBB254_550
; %bb.523:
	s_mov_b32 s9, exec_lo
                                        ; implicit-def: $vgpr13
	v_cmpx_lt_i16_e32 2, v5
	s_xor_b32 s9, exec_lo, s9
	;; [unrolled: 6-line block ×3, first 2 shown]
	s_cbranch_execz .LBB254_532
; %bb.525:
	flat_load_b64 v[22:23], v[22:23]
	s_mov_b32 s11, exec_lo
	s_wait_loadcnt_dscnt 0x0
	v_xor_b32_e32 v13, v22, v23
	v_cls_i32_e32 v15, v23
	s_delay_alu instid0(VALU_DEP_2) | instskip(NEXT) | instid1(VALU_DEP_1)
	v_ashrrev_i32_e32 v13, 31, v13
	v_add_nc_u32_e32 v13, 32, v13
	s_delay_alu instid0(VALU_DEP_1) | instskip(SKIP_1) | instid1(VALU_DEP_1)
	v_add_min_u32_e64 v13, v15, -1, v13
	s_wait_xcnt 0x0
	v_lshlrev_b64_e32 v[22:23], v13, v[22:23]
	v_sub_nc_u32_e32 v13, 32, v13
	s_delay_alu instid0(VALU_DEP_2) | instskip(NEXT) | instid1(VALU_DEP_1)
	v_min_u32_e32 v15, 1, v22
	v_or_b32_e32 v15, v23, v15
	s_delay_alu instid0(VALU_DEP_1) | instskip(NEXT) | instid1(VALU_DEP_1)
	v_cvt_f32_i32_e32 v15, v15
	v_ldexp_f32 v15, v15, v13
	v_mov_b32_e32 v13, 0x80
	s_delay_alu instid0(VALU_DEP_2) | instskip(NEXT) | instid1(VALU_DEP_1)
	v_and_b32_e32 v19, 0x7fffffff, v15
	v_cmpx_gt_u32_e32 0x47800000, v19
	s_cbranch_execz .LBB254_531
; %bb.526:
	v_cmp_lt_u32_e32 vcc_lo, 0x37ffffff, v19
	s_mov_b32 s12, 0
                                        ; implicit-def: $vgpr19
	s_and_saveexec_b32 s13, vcc_lo
	s_delay_alu instid0(SALU_CYCLE_1)
	s_xor_b32 s13, exec_lo, s13
	s_cbranch_execz .LBB254_2500
; %bb.527:
	v_bfe_u32 v13, v15, 21, 1
	s_mov_b32 s12, exec_lo
	s_delay_alu instid0(VALU_DEP_1) | instskip(NEXT) | instid1(VALU_DEP_1)
	v_add3_u32 v13, v15, v13, 0x88fffff
	v_lshrrev_b32_e32 v19, 21, v13
	s_and_not1_saveexec_b32 s13, s13
	s_cbranch_execnz .LBB254_2501
.LBB254_528:
	s_or_b32 exec_lo, exec_lo, s13
	v_mov_b32_e32 v13, 0
	s_and_saveexec_b32 s13, s12
.LBB254_529:
	v_lshrrev_b32_e32 v13, 24, v15
	s_delay_alu instid0(VALU_DEP_1)
	v_and_or_b32 v13, 0x80, v13, v19
.LBB254_530:
	s_or_b32 exec_lo, exec_lo, s13
.LBB254_531:
	s_delay_alu instid0(SALU_CYCLE_1)
	s_or_b32 exec_lo, exec_lo, s11
                                        ; implicit-def: $vgpr22_vgpr23
.LBB254_532:
	s_and_not1_saveexec_b32 s10, s10
	s_cbranch_execz .LBB254_540
; %bb.533:
	s_wait_loadcnt_dscnt 0x0
	flat_load_b32 v13, v[22:23]
	s_mov_b32 s11, exec_lo
	s_wait_loadcnt_dscnt 0x0
	v_cvt_f32_i32_e32 v15, v13
	v_mov_b32_e32 v13, 0x80
	s_delay_alu instid0(VALU_DEP_2) | instskip(SKIP_1) | instid1(VALU_DEP_1)
	v_and_b32_e32 v19, 0x7fffffff, v15
	s_wait_xcnt 0x0
	v_cmpx_gt_u32_e32 0x47800000, v19
	s_cbranch_execz .LBB254_539
; %bb.534:
	v_cmp_lt_u32_e32 vcc_lo, 0x37ffffff, v19
	s_mov_b32 s12, 0
                                        ; implicit-def: $vgpr19
	s_and_saveexec_b32 s13, vcc_lo
	s_delay_alu instid0(SALU_CYCLE_1)
	s_xor_b32 s13, exec_lo, s13
	s_cbranch_execz .LBB254_2502
; %bb.535:
	v_bfe_u32 v13, v15, 21, 1
	s_mov_b32 s12, exec_lo
	s_delay_alu instid0(VALU_DEP_1) | instskip(NEXT) | instid1(VALU_DEP_1)
	v_add3_u32 v13, v15, v13, 0x88fffff
	v_lshrrev_b32_e32 v19, 21, v13
	s_and_not1_saveexec_b32 s13, s13
	s_cbranch_execnz .LBB254_2503
.LBB254_536:
	s_or_b32 exec_lo, exec_lo, s13
	v_mov_b32_e32 v13, 0
	s_and_saveexec_b32 s13, s12
.LBB254_537:
	v_lshrrev_b32_e32 v13, 24, v15
	s_delay_alu instid0(VALU_DEP_1)
	v_and_or_b32 v13, 0x80, v13, v19
.LBB254_538:
	s_or_b32 exec_lo, exec_lo, s13
.LBB254_539:
	s_delay_alu instid0(SALU_CYCLE_1)
	s_or_b32 exec_lo, exec_lo, s11
.LBB254_540:
	s_delay_alu instid0(SALU_CYCLE_1)
	s_or_b32 exec_lo, exec_lo, s10
                                        ; implicit-def: $vgpr22_vgpr23
.LBB254_541:
	s_and_not1_saveexec_b32 s9, s9
	s_cbranch_execz .LBB254_549
; %bb.542:
	s_wait_loadcnt_dscnt 0x0
	flat_load_i16 v13, v[22:23]
	s_mov_b32 s10, exec_lo
	s_wait_loadcnt_dscnt 0x0
	v_cvt_f32_i32_e32 v15, v13
	v_mov_b32_e32 v13, 0x80
	s_delay_alu instid0(VALU_DEP_2) | instskip(SKIP_1) | instid1(VALU_DEP_1)
	v_and_b32_e32 v19, 0x7fffffff, v15
	s_wait_xcnt 0x0
	v_cmpx_gt_u32_e32 0x47800000, v19
	s_cbranch_execz .LBB254_548
; %bb.543:
	v_cmp_lt_u32_e32 vcc_lo, 0x37ffffff, v19
	s_mov_b32 s11, 0
                                        ; implicit-def: $vgpr19
	s_and_saveexec_b32 s12, vcc_lo
	s_delay_alu instid0(SALU_CYCLE_1)
	s_xor_b32 s12, exec_lo, s12
	s_cbranch_execz .LBB254_2427
; %bb.544:
	v_bfe_u32 v13, v15, 21, 1
	s_mov_b32 s11, exec_lo
	s_delay_alu instid0(VALU_DEP_1) | instskip(NEXT) | instid1(VALU_DEP_1)
	v_add3_u32 v13, v15, v13, 0x88fffff
	v_lshrrev_b32_e32 v19, 21, v13
	s_and_not1_saveexec_b32 s12, s12
	s_cbranch_execnz .LBB254_2428
.LBB254_545:
	s_or_b32 exec_lo, exec_lo, s12
	v_mov_b32_e32 v13, 0
	s_and_saveexec_b32 s12, s11
.LBB254_546:
	v_lshrrev_b32_e32 v13, 24, v15
	s_delay_alu instid0(VALU_DEP_1)
	v_and_or_b32 v13, 0x80, v13, v19
.LBB254_547:
	s_or_b32 exec_lo, exec_lo, s12
.LBB254_548:
	s_delay_alu instid0(SALU_CYCLE_1)
	s_or_b32 exec_lo, exec_lo, s10
.LBB254_549:
	s_delay_alu instid0(SALU_CYCLE_1)
	s_or_b32 exec_lo, exec_lo, s9
                                        ; implicit-def: $vgpr22_vgpr23
.LBB254_550:
	s_and_not1_saveexec_b32 s8, s8
	s_cbranch_execz .LBB254_568
; %bb.551:
	s_mov_b32 s9, exec_lo
                                        ; implicit-def: $vgpr13
	v_cmpx_lt_i16_e32 0, v5
	s_xor_b32 s9, exec_lo, s9
	s_cbranch_execz .LBB254_559
; %bb.552:
	s_wait_loadcnt_dscnt 0x0
	flat_load_i8 v13, v[22:23]
	s_mov_b32 s10, exec_lo
	s_wait_loadcnt_dscnt 0x0
	v_cvt_f32_i32_e32 v15, v13
	v_mov_b32_e32 v13, 0x80
	s_delay_alu instid0(VALU_DEP_2) | instskip(SKIP_1) | instid1(VALU_DEP_1)
	v_and_b32_e32 v19, 0x7fffffff, v15
	s_wait_xcnt 0x0
	v_cmpx_gt_u32_e32 0x47800000, v19
	s_cbranch_execz .LBB254_558
; %bb.553:
	v_cmp_lt_u32_e32 vcc_lo, 0x37ffffff, v19
	s_mov_b32 s11, 0
                                        ; implicit-def: $vgpr19
	s_and_saveexec_b32 s12, vcc_lo
	s_delay_alu instid0(SALU_CYCLE_1)
	s_xor_b32 s12, exec_lo, s12
	s_cbranch_execz .LBB254_2429
; %bb.554:
	v_bfe_u32 v13, v15, 21, 1
	s_mov_b32 s11, exec_lo
	s_delay_alu instid0(VALU_DEP_1) | instskip(NEXT) | instid1(VALU_DEP_1)
	v_add3_u32 v13, v15, v13, 0x88fffff
	v_lshrrev_b32_e32 v19, 21, v13
	s_and_not1_saveexec_b32 s12, s12
	s_cbranch_execnz .LBB254_2430
.LBB254_555:
	s_or_b32 exec_lo, exec_lo, s12
	v_mov_b32_e32 v13, 0
	s_and_saveexec_b32 s12, s11
.LBB254_556:
	v_lshrrev_b32_e32 v13, 24, v15
	s_delay_alu instid0(VALU_DEP_1)
	v_and_or_b32 v13, 0x80, v13, v19
.LBB254_557:
	s_or_b32 exec_lo, exec_lo, s12
.LBB254_558:
	s_delay_alu instid0(SALU_CYCLE_1)
	s_or_b32 exec_lo, exec_lo, s10
                                        ; implicit-def: $vgpr22_vgpr23
.LBB254_559:
	s_and_not1_saveexec_b32 s9, s9
	s_cbranch_execz .LBB254_567
; %bb.560:
	s_wait_loadcnt_dscnt 0x0
	flat_load_u8 v13, v[22:23]
	s_mov_b32 s10, exec_lo
	s_wait_loadcnt_dscnt 0x0
	v_cvt_f32_ubyte0_e32 v19, v13
	v_mov_b32_e32 v13, 0x80
	s_wait_xcnt 0x0
	s_delay_alu instid0(VALU_DEP_2)
	v_cmpx_gt_u32_e32 0x47800000, v19
	s_cbranch_execz .LBB254_566
; %bb.561:
	s_mov_b32 s11, 0
	s_mov_b32 s12, exec_lo
                                        ; implicit-def: $vgpr15
	v_cmpx_lt_u32_e32 0x37ffffff, v19
	s_xor_b32 s12, exec_lo, s12
	s_cbranch_execz .LBB254_2431
; %bb.562:
	v_bfe_u32 v13, v19, 21, 1
	s_mov_b32 s11, exec_lo
	s_delay_alu instid0(VALU_DEP_1) | instskip(NEXT) | instid1(VALU_DEP_1)
	v_add3_u32 v13, v19, v13, 0x88fffff
                                        ; implicit-def: $vgpr19
	v_lshrrev_b32_e32 v15, 21, v13
	s_and_not1_saveexec_b32 s12, s12
	s_cbranch_execnz .LBB254_2432
.LBB254_563:
	s_or_b32 exec_lo, exec_lo, s12
	v_mov_b32_e32 v13, 0
	s_and_saveexec_b32 s12, s11
.LBB254_564:
	v_mov_b32_e32 v13, v15
.LBB254_565:
	s_or_b32 exec_lo, exec_lo, s12
.LBB254_566:
	s_delay_alu instid0(SALU_CYCLE_1)
	s_or_b32 exec_lo, exec_lo, s10
.LBB254_567:
	s_delay_alu instid0(SALU_CYCLE_1)
	s_or_b32 exec_lo, exec_lo, s9
.LBB254_568:
	s_delay_alu instid0(SALU_CYCLE_1)
	s_or_b32 exec_lo, exec_lo, s8
.LBB254_569:
	s_delay_alu instid0(SALU_CYCLE_1) | instskip(NEXT) | instid1(SALU_CYCLE_1)
	s_or_b32 exec_lo, exec_lo, s6
	s_or_b32 s7, s7, exec_lo
.LBB254_570:
	s_or_b32 exec_lo, exec_lo, s0
	s_mov_b32 s0, 0
	s_mov_b32 s8, 0
                                        ; implicit-def: $sgpr21
                                        ; implicit-def: $vgpr30_vgpr31
                                        ; implicit-def: $vgpr15
	s_and_saveexec_b32 s6, s7
	s_cbranch_execz .LBB254_2124
; %bb.571:
	v_cmp_ne_u32_e32 vcc_lo, 0, v9
                                        ; implicit-def: $sgpr9
	s_and_saveexec_b32 s0, vcc_lo
	s_delay_alu instid0(SALU_CYCLE_1)
	s_xor_b32 s7, exec_lo, s0
	s_cbranch_execz .LBB254_585
; %bb.572:
	s_wait_dscnt 0x0
	v_and_b32_e32 v15, 0xff, v11
	s_mov_b32 s9, exec_lo
	s_delay_alu instid0(VALU_DEP_1)
	v_cmpx_lt_i16_e32 0x7f, v15
	s_xor_b32 s9, exec_lo, s9
	s_cbranch_execz .LBB254_2247
; %bb.573:
	s_mov_b32 s8, -1
	s_mov_b32 s10, exec_lo
	v_cmpx_eq_u16_e32 0x80, v15
; %bb.574:
	s_xor_b32 s8, exec_lo, -1
; %bb.575:
	s_or_b32 exec_lo, exec_lo, s10
	s_delay_alu instid0(SALU_CYCLE_1)
	s_and_b32 s8, s8, exec_lo
                                        ; implicit-def: $vgpr15
	s_or_saveexec_b32 s9, s9
	v_mov_b32_e32 v9, 0x7f800001
	s_xor_b32 exec_lo, exec_lo, s9
	s_cbranch_execnz .LBB254_2248
.LBB254_576:
	s_or_b32 exec_lo, exec_lo, s9
	s_and_saveexec_b32 s9, s8
	s_cbranch_execz .LBB254_578
.LBB254_577:
	v_and_b32_e32 v9, 3, v11
	v_lshrrev_b16 v19, 2, v11
	s_delay_alu instid0(VALU_DEP_2) | instskip(NEXT) | instid1(VALU_DEP_1)
	v_clz_i32_u32_e32 v15, v9
	v_min_u32_e32 v15, 32, v15
	s_delay_alu instid0(VALU_DEP_1) | instskip(NEXT) | instid1(VALU_DEP_1)
	v_subrev_nc_u32_e32 v21, 29, v15
	v_lshlrev_b32_e32 v21, v21, v11
	s_delay_alu instid0(VALU_DEP_1) | instskip(SKIP_1) | instid1(VALU_DEP_1)
	v_dual_sub_nc_u32 v15, 30, v15 :: v_dual_bitop2_b32 v21, 3, v21 bitop3:0x40
	v_and_b32_e32 v19, 31, v19
	v_cmp_eq_u32_e64 s0, 0, v19
	s_delay_alu instid0(VALU_DEP_1) | instskip(NEXT) | instid1(VALU_DEP_1)
	v_dual_cndmask_b32 v9, v9, v21, s0 :: v_dual_lshlrev_b32 v11, 24, v11
	v_dual_cndmask_b32 v15, v19, v15, s0 :: v_dual_lshlrev_b32 v9, 21, v9
	s_delay_alu instid0(VALU_DEP_2) | instskip(NEXT) | instid1(VALU_DEP_2)
	v_and_b32_e32 v11, 0x80000000, v11
	v_lshl_add_u32 v15, v15, 23, 0x37800000
	s_delay_alu instid0(VALU_DEP_1)
	v_or3_b32 v9, v11, v15, v9
.LBB254_578:
	s_or_b32 exec_lo, exec_lo, s9
	s_wait_loadcnt 0x0
	v_and_b32_e32 v15, 0xff, v13
	s_mov_b32 s8, 0
	s_mov_b32 s9, exec_lo
	s_delay_alu instid0(VALU_DEP_1)
	v_cmpx_lt_i16_e32 0x7f, v15
	s_xor_b32 s9, exec_lo, s9
	s_cbranch_execz .LBB254_2249
; %bb.579:
	s_mov_b32 s8, -1
	s_mov_b32 s10, exec_lo
	v_cmpx_eq_u16_e32 0x80, v15
; %bb.580:
	s_xor_b32 s8, exec_lo, -1
; %bb.581:
	s_or_b32 exec_lo, exec_lo, s10
	s_delay_alu instid0(SALU_CYCLE_1)
	s_and_b32 s8, s8, exec_lo
                                        ; implicit-def: $vgpr15
	s_or_saveexec_b32 s9, s9
	v_mov_b32_e32 v11, 0x7f800001
	s_xor_b32 exec_lo, exec_lo, s9
	s_cbranch_execnz .LBB254_2250
.LBB254_582:
	s_or_b32 exec_lo, exec_lo, s9
	s_and_saveexec_b32 s9, s8
	s_cbranch_execz .LBB254_584
.LBB254_583:
	v_and_b32_e32 v11, 3, v13
	v_lshrrev_b16 v19, 2, v13
	s_delay_alu instid0(VALU_DEP_2) | instskip(NEXT) | instid1(VALU_DEP_2)
	v_clz_i32_u32_e32 v15, v11
	v_and_b32_e32 v19, 31, v19
	s_delay_alu instid0(VALU_DEP_2) | instskip(NEXT) | instid1(VALU_DEP_1)
	v_min_u32_e32 v15, 32, v15
	v_subrev_nc_u32_e32 v21, 29, v15
	s_delay_alu instid0(VALU_DEP_1) | instskip(SKIP_2) | instid1(VALU_DEP_3)
	v_dual_lshlrev_b32 v21, v21, v13 :: v_dual_sub_nc_u32 v15, 30, v15
	v_lshlrev_b32_e32 v13, 24, v13
	v_cmp_eq_u32_e64 s0, 0, v19
	v_and_b32_e32 v21, 3, v21
	s_delay_alu instid0(VALU_DEP_3) | instskip(NEXT) | instid1(VALU_DEP_3)
	v_and_b32_e32 v13, 0x80000000, v13
	v_cndmask_b32_e64 v15, v19, v15, s0
	s_delay_alu instid0(VALU_DEP_3) | instskip(NEXT) | instid1(VALU_DEP_2)
	v_cndmask_b32_e64 v11, v11, v21, s0
	v_lshl_add_u32 v15, v15, 23, 0x37800000
	s_delay_alu instid0(VALU_DEP_2) | instskip(NEXT) | instid1(VALU_DEP_1)
	v_lshlrev_b32_e32 v11, 21, v11
	v_or3_b32 v11, v13, v15, v11
.LBB254_584:
	s_or_b32 exec_lo, exec_lo, s9
	s_delay_alu instid0(VALU_DEP_1)
	v_cmp_neq_f32_e64 s9, v9, v11
                                        ; implicit-def: $vgpr13
                                        ; implicit-def: $vgpr11
.LBB254_585:
	s_and_not1_saveexec_b32 s7, s7
	s_cbranch_execz .LBB254_599
; %bb.586:
	s_wait_dscnt 0x0
	v_and_b32_e32 v15, 0xff, v11
	s_mov_b32 s8, 0
	s_mov_b32 s10, exec_lo
	s_delay_alu instid0(VALU_DEP_1)
	v_cmpx_lt_i16_e32 0x7f, v15
	s_xor_b32 s10, exec_lo, s10
	s_cbranch_execz .LBB254_2251
; %bb.587:
	s_mov_b32 s8, -1
	s_mov_b32 s11, exec_lo
	v_cmpx_eq_u16_e32 0x80, v15
; %bb.588:
	s_xor_b32 s8, exec_lo, -1
; %bb.589:
	s_or_b32 exec_lo, exec_lo, s11
	s_delay_alu instid0(SALU_CYCLE_1)
	s_and_b32 s8, s8, exec_lo
                                        ; implicit-def: $vgpr15
	s_or_saveexec_b32 s10, s10
	v_mov_b32_e32 v9, 0x7f800001
	s_xor_b32 exec_lo, exec_lo, s10
	s_cbranch_execnz .LBB254_2252
.LBB254_590:
	s_or_b32 exec_lo, exec_lo, s10
	s_and_saveexec_b32 s10, s8
	s_cbranch_execz .LBB254_592
.LBB254_591:
	v_and_b32_e32 v9, 3, v11
	v_lshrrev_b16 v19, 2, v11
	s_delay_alu instid0(VALU_DEP_2) | instskip(NEXT) | instid1(VALU_DEP_1)
	v_clz_i32_u32_e32 v15, v9
	v_min_u32_e32 v15, 32, v15
	s_delay_alu instid0(VALU_DEP_1) | instskip(NEXT) | instid1(VALU_DEP_1)
	v_subrev_nc_u32_e32 v21, 29, v15
	v_lshlrev_b32_e32 v21, v21, v11
	s_delay_alu instid0(VALU_DEP_1) | instskip(SKIP_1) | instid1(VALU_DEP_1)
	v_dual_sub_nc_u32 v15, 30, v15 :: v_dual_bitop2_b32 v21, 3, v21 bitop3:0x40
	v_and_b32_e32 v19, 31, v19
	v_cmp_eq_u32_e64 s0, 0, v19
	s_delay_alu instid0(VALU_DEP_1) | instskip(NEXT) | instid1(VALU_DEP_1)
	v_dual_cndmask_b32 v9, v9, v21, s0 :: v_dual_lshlrev_b32 v11, 24, v11
	v_dual_cndmask_b32 v15, v19, v15, s0 :: v_dual_lshlrev_b32 v9, 21, v9
	s_delay_alu instid0(VALU_DEP_2) | instskip(NEXT) | instid1(VALU_DEP_2)
	v_and_b32_e32 v11, 0x80000000, v11
	v_lshl_add_u32 v15, v15, 23, 0x37800000
	s_delay_alu instid0(VALU_DEP_1)
	v_or3_b32 v9, v11, v15, v9
.LBB254_592:
	s_or_b32 exec_lo, exec_lo, s10
	s_wait_loadcnt 0x0
	v_and_b32_e32 v15, 0xff, v13
	s_mov_b32 s8, 0
	s_mov_b32 s10, exec_lo
	s_delay_alu instid0(VALU_DEP_1)
	v_cmpx_lt_i16_e32 0x7f, v15
	s_xor_b32 s10, exec_lo, s10
	s_cbranch_execz .LBB254_2253
; %bb.593:
	s_mov_b32 s8, -1
	s_mov_b32 s11, exec_lo
	v_cmpx_eq_u16_e32 0x80, v15
; %bb.594:
	s_xor_b32 s8, exec_lo, -1
; %bb.595:
	s_or_b32 exec_lo, exec_lo, s11
	s_delay_alu instid0(SALU_CYCLE_1)
	s_and_b32 s8, s8, exec_lo
                                        ; implicit-def: $vgpr15
	s_or_saveexec_b32 s10, s10
	v_mov_b32_e32 v11, 0x7f800001
	s_xor_b32 exec_lo, exec_lo, s10
	s_cbranch_execnz .LBB254_2254
.LBB254_596:
	s_or_b32 exec_lo, exec_lo, s10
	s_and_saveexec_b32 s10, s8
	s_cbranch_execz .LBB254_598
.LBB254_597:
	v_and_b32_e32 v11, 3, v13
	v_lshrrev_b16 v19, 2, v13
	s_delay_alu instid0(VALU_DEP_2) | instskip(NEXT) | instid1(VALU_DEP_2)
	v_clz_i32_u32_e32 v15, v11
	v_and_b32_e32 v19, 31, v19
	s_delay_alu instid0(VALU_DEP_2) | instskip(NEXT) | instid1(VALU_DEP_1)
	v_min_u32_e32 v15, 32, v15
	v_subrev_nc_u32_e32 v21, 29, v15
	s_delay_alu instid0(VALU_DEP_1) | instskip(SKIP_2) | instid1(VALU_DEP_3)
	v_dual_lshlrev_b32 v21, v21, v13 :: v_dual_sub_nc_u32 v15, 30, v15
	v_lshlrev_b32_e32 v13, 24, v13
	v_cmp_eq_u32_e64 s0, 0, v19
	v_and_b32_e32 v21, 3, v21
	s_delay_alu instid0(VALU_DEP_3) | instskip(NEXT) | instid1(VALU_DEP_3)
	v_and_b32_e32 v13, 0x80000000, v13
	v_cndmask_b32_e64 v15, v19, v15, s0
	s_delay_alu instid0(VALU_DEP_3) | instskip(NEXT) | instid1(VALU_DEP_2)
	v_cndmask_b32_e64 v11, v11, v21, s0
	v_lshl_add_u32 v15, v15, 23, 0x37800000
	s_delay_alu instid0(VALU_DEP_2) | instskip(NEXT) | instid1(VALU_DEP_1)
	v_lshlrev_b32_e32 v11, 21, v11
	v_or3_b32 v11, v13, v15, v11
.LBB254_598:
	s_or_b32 exec_lo, exec_lo, s10
	s_delay_alu instid0(VALU_DEP_1) | instskip(SKIP_2) | instid1(SALU_CYCLE_1)
	v_cmp_eq_f32_e64 s0, v9, v11
	s_and_not1_b32 s8, s9, exec_lo
	s_and_b32 s0, s0, exec_lo
	s_or_b32 s9, s8, s0
.LBB254_599:
	s_or_b32 exec_lo, exec_lo, s7
	v_mov_b32_e32 v27, 0
	s_mov_b32 s10, 0
	s_mov_b32 s7, s5
	s_mov_b32 s8, exec_lo
                                        ; implicit-def: $vgpr9
	s_delay_alu instid0(VALU_DEP_1)
	v_add_nc_u64_e32 v[22:23], v[2:3], v[26:27]
	v_cmpx_lt_i16_e32 10, v7
	s_xor_b32 s8, exec_lo, s8
	s_cbranch_execz .LBB254_680
; %bb.600:
	s_mov_b32 s7, 0
	s_mov_b32 s12, 0
	;; [unrolled: 1-line block ×3, first 2 shown]
	s_mov_b32 s10, exec_lo
                                        ; implicit-def: $vgpr9
	v_cmpx_lt_i16_e32 25, v7
	s_xor_b32 s10, exec_lo, s10
	s_cbranch_execz .LBB254_2255
; %bb.601:
	s_mov_b32 s13, 0
	s_mov_b32 s11, exec_lo
                                        ; implicit-def: $vgpr9
	v_cmpx_lt_i16_e32 28, v7
	s_xor_b32 s11, exec_lo, s11
	s_cbranch_execz .LBB254_635
; %bb.602:
	s_mov_b32 s14, 0
	s_mov_b32 s15, 0
	s_mov_b32 s12, exec_lo
                                        ; implicit-def: $vgpr9
	v_cmpx_lt_i16_e32 43, v7
	s_xor_b32 s12, exec_lo, s12
	s_cbranch_execz .LBB254_624
; %bb.603:
	s_mov_b32 s15, exec_lo
                                        ; implicit-def: $vgpr9
	v_cmpx_lt_i16_e32 45, v7
	s_xor_b32 s15, exec_lo, s15
	s_cbranch_execz .LBB254_613
; %bb.604:
	s_mov_b32 s16, -1
	s_mov_b32 s13, exec_lo
                                        ; implicit-def: $vgpr9
	v_cmpx_eq_u16_e32 46, v7
	s_cbranch_execz .LBB254_612
; %bb.605:
	flat_load_b32 v9, v[22:23]
	s_mov_b32 s14, exec_lo
	s_wait_loadcnt_dscnt 0x0
	v_lshlrev_b32_e32 v11, 16, v9
	v_mov_b32_e32 v9, 0x80
	s_delay_alu instid0(VALU_DEP_2) | instskip(SKIP_1) | instid1(VALU_DEP_1)
	v_and_b32_e32 v13, 0x7fffffff, v11
	s_wait_xcnt 0x0
	v_cmpx_gt_u32_e32 0x47800000, v13
	s_cbranch_execz .LBB254_611
; %bb.606:
	v_cmp_lt_u32_e64 s0, 0x37ffffff, v13
	s_mov_b32 s16, 0
                                        ; implicit-def: $vgpr13
	s_and_saveexec_b32 s17, s0
	s_delay_alu instid0(SALU_CYCLE_1)
	s_xor_b32 s0, exec_lo, s17
	s_cbranch_execz .LBB254_2656
; %bb.607:
	v_bfe_u32 v9, v11, 21, 1
	s_mov_b32 s16, exec_lo
	s_delay_alu instid0(VALU_DEP_1) | instskip(NEXT) | instid1(VALU_DEP_1)
	v_add3_u32 v9, v11, v9, 0x88fffff
	v_lshrrev_b32_e32 v13, 21, v9
	s_and_not1_saveexec_b32 s17, s0
	s_cbranch_execnz .LBB254_2657
.LBB254_608:
	s_or_b32 exec_lo, exec_lo, s17
	v_mov_b32_e32 v9, 0
	s_and_saveexec_b32 s0, s16
.LBB254_609:
	v_lshrrev_b32_e32 v9, 24, v11
	s_delay_alu instid0(VALU_DEP_1)
	v_and_or_b32 v9, 0x80, v9, v13
.LBB254_610:
	s_or_b32 exec_lo, exec_lo, s0
.LBB254_611:
	s_delay_alu instid0(SALU_CYCLE_1) | instskip(NEXT) | instid1(SALU_CYCLE_1)
	s_or_b32 exec_lo, exec_lo, s14
	s_mov_b32 s14, exec_lo
	s_xor_b32 s16, exec_lo, -1
.LBB254_612:
	s_or_b32 exec_lo, exec_lo, s13
	s_delay_alu instid0(SALU_CYCLE_1)
	s_and_b32 s14, s14, exec_lo
	s_and_b32 s13, s16, exec_lo
.LBB254_613:
	s_and_not1_saveexec_b32 s15, s15
	s_cbranch_execz .LBB254_623
; %bb.614:
	s_mov_b32 s17, -1
	s_mov_b32 s18, s14
	s_mov_b32 s16, exec_lo
                                        ; implicit-def: $vgpr9
	v_cmpx_eq_u16_e32 44, v7
	s_cbranch_execz .LBB254_622
; %bb.615:
	flat_load_u8 v9, v[22:23]
	s_mov_b32 s18, 0
	s_mov_b32 s17, exec_lo
	s_wait_loadcnt_dscnt 0x0
	v_lshlrev_b32_e32 v11, 23, v9
	v_cmp_ne_u32_e64 s0, 0xff, v9
	s_delay_alu instid0(VALU_DEP_1) | instskip(SKIP_2) | instid1(VALU_DEP_2)
	v_cndmask_b32_e64 v11, 0x7f800001, v11, s0
	v_cmp_ne_u32_e64 s0, 0, v9
	v_mov_b32_e32 v9, 0x80
	v_cndmask_b32_e64 v13, 0x400000, v11, s0
	s_wait_xcnt 0x0
	s_delay_alu instid0(VALU_DEP_1)
	v_cmpx_gt_u32_e32 0x47800000, v13
	s_cbranch_execz .LBB254_621
; %bb.616:
	v_cmp_lt_u32_e64 s0, 0x37ffffff, v13
                                        ; implicit-def: $vgpr11
	s_and_saveexec_b32 s19, s0
	s_delay_alu instid0(SALU_CYCLE_1)
	s_xor_b32 s0, exec_lo, s19
	s_cbranch_execz .LBB254_2658
; %bb.617:
	v_bfe_u32 v9, v13, 21, 1
	s_mov_b32 s18, exec_lo
	s_delay_alu instid0(VALU_DEP_1) | instskip(NEXT) | instid1(VALU_DEP_1)
	v_add3_u32 v9, v13, v9, 0x88fffff
                                        ; implicit-def: $vgpr13
	v_lshrrev_b32_e32 v11, 21, v9
	s_and_not1_saveexec_b32 s19, s0
	s_cbranch_execnz .LBB254_2659
.LBB254_618:
	s_or_b32 exec_lo, exec_lo, s19
	v_mov_b32_e32 v9, 0
	s_and_saveexec_b32 s0, s18
.LBB254_619:
	v_mov_b32_e32 v9, v11
.LBB254_620:
	s_or_b32 exec_lo, exec_lo, s0
.LBB254_621:
	s_delay_alu instid0(SALU_CYCLE_1) | instskip(NEXT) | instid1(SALU_CYCLE_1)
	s_or_b32 exec_lo, exec_lo, s17
	s_or_b32 s18, s14, exec_lo
	s_xor_b32 s17, exec_lo, -1
.LBB254_622:
	s_or_b32 exec_lo, exec_lo, s16
	s_delay_alu instid0(SALU_CYCLE_1)
	s_and_not1_b32 s0, s14, exec_lo
	s_and_b32 s14, s18, exec_lo
	s_and_not1_b32 s13, s13, exec_lo
	s_and_b32 s16, s17, exec_lo
	s_or_b32 s14, s0, s14
	s_or_b32 s13, s13, s16
.LBB254_623:
	s_or_b32 exec_lo, exec_lo, s15
	s_delay_alu instid0(SALU_CYCLE_1)
	s_and_b32 s15, s14, exec_lo
	s_and_b32 s14, s13, exec_lo
.LBB254_624:
	s_and_not1_saveexec_b32 s12, s12
	s_cbranch_execz .LBB254_634
; %bb.625:
	s_mov_b32 s16, -1
	s_mov_b32 s17, s15
	s_mov_b32 s13, exec_lo
                                        ; implicit-def: $vgpr9
	v_cmpx_eq_u16_e32 29, v7
	s_cbranch_execz .LBB254_633
; %bb.626:
	flat_load_b64 v[26:27], v[22:23]
	s_mov_b32 s16, exec_lo
	s_wait_loadcnt_dscnt 0x0
	v_clz_i32_u32_e32 v9, v27
	s_delay_alu instid0(VALU_DEP_1) | instskip(NEXT) | instid1(VALU_DEP_1)
	v_min_u32_e32 v9, 32, v9
	v_lshlrev_b64_e32 v[26:27], v9, v[26:27]
	v_sub_nc_u32_e32 v9, 32, v9
	s_delay_alu instid0(VALU_DEP_2) | instskip(NEXT) | instid1(VALU_DEP_1)
	v_min_u32_e32 v11, 1, v26
	v_or_b32_e32 v11, v27, v11
	s_delay_alu instid0(VALU_DEP_1) | instskip(NEXT) | instid1(VALU_DEP_1)
	v_cvt_f32_u32_e32 v11, v11
	v_ldexp_f32 v13, v11, v9
	v_mov_b32_e32 v9, 0x80
	s_wait_xcnt 0x0
	s_delay_alu instid0(VALU_DEP_2)
	v_cmpx_gt_u32_e32 0x47800000, v13
	s_cbranch_execz .LBB254_632
; %bb.627:
	v_cmp_lt_u32_e64 s0, 0x37ffffff, v13
	s_mov_b32 s17, 0
                                        ; implicit-def: $vgpr11
	s_and_saveexec_b32 s18, s0
	s_delay_alu instid0(SALU_CYCLE_1)
	s_xor_b32 s0, exec_lo, s18
	s_cbranch_execz .LBB254_2577
; %bb.628:
	v_bfe_u32 v9, v13, 21, 1
	s_mov_b32 s17, exec_lo
	s_delay_alu instid0(VALU_DEP_1) | instskip(NEXT) | instid1(VALU_DEP_1)
	v_add3_u32 v9, v13, v9, 0x88fffff
                                        ; implicit-def: $vgpr13
	v_lshrrev_b32_e32 v11, 21, v9
	s_and_not1_saveexec_b32 s18, s0
	s_cbranch_execnz .LBB254_2578
.LBB254_629:
	s_or_b32 exec_lo, exec_lo, s18
	v_mov_b32_e32 v9, 0
	s_and_saveexec_b32 s0, s17
.LBB254_630:
	v_mov_b32_e32 v9, v11
.LBB254_631:
	s_or_b32 exec_lo, exec_lo, s0
.LBB254_632:
	s_delay_alu instid0(SALU_CYCLE_1) | instskip(NEXT) | instid1(SALU_CYCLE_1)
	s_or_b32 exec_lo, exec_lo, s16
	s_or_b32 s17, s15, exec_lo
	s_xor_b32 s16, exec_lo, -1
.LBB254_633:
	s_or_b32 exec_lo, exec_lo, s13
	s_delay_alu instid0(SALU_CYCLE_1)
	s_and_not1_b32 s0, s15, exec_lo
	s_and_b32 s13, s17, exec_lo
	s_and_not1_b32 s14, s14, exec_lo
	s_and_b32 s16, s16, exec_lo
	s_or_b32 s15, s0, s13
	s_or_b32 s14, s14, s16
.LBB254_634:
	s_or_b32 exec_lo, exec_lo, s12
	s_delay_alu instid0(SALU_CYCLE_1)
	s_and_b32 s13, s15, exec_lo
	s_and_b32 s12, s14, exec_lo
.LBB254_635:
	s_and_not1_saveexec_b32 s11, s11
	s_cbranch_execz .LBB254_669
; %bb.636:
	s_mov_b32 s14, exec_lo
                                        ; implicit-def: $vgpr9
	v_cmpx_lt_i16_e32 26, v7
	s_xor_b32 s14, exec_lo, s14
	s_cbranch_execz .LBB254_654
; %bb.637:
	s_mov_b32 s15, exec_lo
                                        ; implicit-def: $vgpr9
	v_cmpx_lt_i16_e32 27, v7
	s_xor_b32 s15, exec_lo, s15
	s_cbranch_execz .LBB254_645
; %bb.638:
	flat_load_b32 v9, v[22:23]
	s_mov_b32 s16, exec_lo
	s_wait_loadcnt_dscnt 0x0
	v_cvt_f32_u32_e32 v13, v9
	v_mov_b32_e32 v9, 0x80
	s_wait_xcnt 0x0
	s_delay_alu instid0(VALU_DEP_2)
	v_cmpx_gt_u32_e32 0x47800000, v13
	s_cbranch_execz .LBB254_644
; %bb.639:
	v_cmp_lt_u32_e64 s0, 0x37ffffff, v13
	s_mov_b32 s17, 0
                                        ; implicit-def: $vgpr11
	s_and_saveexec_b32 s18, s0
	s_delay_alu instid0(SALU_CYCLE_1)
	s_xor_b32 s0, exec_lo, s18
	s_cbranch_execz .LBB254_2579
; %bb.640:
	v_bfe_u32 v9, v13, 21, 1
	s_mov_b32 s17, exec_lo
	s_delay_alu instid0(VALU_DEP_1) | instskip(NEXT) | instid1(VALU_DEP_1)
	v_add3_u32 v9, v13, v9, 0x88fffff
                                        ; implicit-def: $vgpr13
	v_lshrrev_b32_e32 v11, 21, v9
	s_and_not1_saveexec_b32 s18, s0
	s_cbranch_execnz .LBB254_2580
.LBB254_641:
	s_or_b32 exec_lo, exec_lo, s18
	v_mov_b32_e32 v9, 0
	s_and_saveexec_b32 s0, s17
.LBB254_642:
	v_mov_b32_e32 v9, v11
.LBB254_643:
	s_or_b32 exec_lo, exec_lo, s0
.LBB254_644:
	s_delay_alu instid0(SALU_CYCLE_1)
	s_or_b32 exec_lo, exec_lo, s16
.LBB254_645:
	s_and_not1_saveexec_b32 s15, s15
	s_cbranch_execz .LBB254_653
; %bb.646:
	flat_load_u16 v9, v[22:23]
	s_mov_b32 s16, exec_lo
	s_wait_loadcnt_dscnt 0x0
	v_cvt_f32_u32_e32 v13, v9
	v_mov_b32_e32 v9, 0x80
	s_wait_xcnt 0x0
	s_delay_alu instid0(VALU_DEP_2)
	v_cmpx_gt_u32_e32 0x47800000, v13
	s_cbranch_execz .LBB254_652
; %bb.647:
	v_cmp_lt_u32_e64 s0, 0x37ffffff, v13
	s_mov_b32 s17, 0
                                        ; implicit-def: $vgpr11
	s_and_saveexec_b32 s18, s0
	s_delay_alu instid0(SALU_CYCLE_1)
	s_xor_b32 s0, exec_lo, s18
	s_cbranch_execz .LBB254_2581
; %bb.648:
	v_bfe_u32 v9, v13, 21, 1
	s_mov_b32 s17, exec_lo
	s_delay_alu instid0(VALU_DEP_1) | instskip(NEXT) | instid1(VALU_DEP_1)
	v_add3_u32 v9, v13, v9, 0x88fffff
                                        ; implicit-def: $vgpr13
	v_lshrrev_b32_e32 v11, 21, v9
	s_and_not1_saveexec_b32 s18, s0
	s_cbranch_execnz .LBB254_2582
.LBB254_649:
	s_or_b32 exec_lo, exec_lo, s18
	v_mov_b32_e32 v9, 0
	s_and_saveexec_b32 s0, s17
.LBB254_650:
	v_mov_b32_e32 v9, v11
.LBB254_651:
	s_or_b32 exec_lo, exec_lo, s0
.LBB254_652:
	s_delay_alu instid0(SALU_CYCLE_1)
	s_or_b32 exec_lo, exec_lo, s16
.LBB254_653:
	s_delay_alu instid0(SALU_CYCLE_1)
	s_or_b32 exec_lo, exec_lo, s15
.LBB254_654:
	s_and_not1_saveexec_b32 s14, s14
	s_cbranch_execz .LBB254_668
; %bb.655:
	flat_load_u8 v9, v[22:23]
	s_mov_b32 s15, 0
	s_mov_b32 s16, exec_lo
	s_wait_loadcnt_dscnt 0x0
	v_cmpx_lt_i16_e32 0x7f, v9
	s_xor_b32 s16, exec_lo, s16
	s_cbranch_execz .LBB254_2433
; %bb.656:
	s_mov_b32 s15, -1
	s_mov_b32 s17, exec_lo
	v_cmpx_eq_u16_e32 0x80, v9
; %bb.657:
	s_xor_b32 s15, exec_lo, -1
; %bb.658:
	s_or_b32 exec_lo, exec_lo, s17
	s_delay_alu instid0(SALU_CYCLE_1)
	s_and_b32 s15, s15, exec_lo
	s_or_saveexec_b32 s16, s16
	v_mov_b32_e32 v11, 0x7f800001
	s_xor_b32 exec_lo, exec_lo, s16
	s_cbranch_execnz .LBB254_2434
.LBB254_659:
	s_or_b32 exec_lo, exec_lo, s16
	s_and_saveexec_b32 s16, s15
	s_cbranch_execz .LBB254_661
.LBB254_660:
	v_and_b32_e32 v11, 0xffff, v9
	s_delay_alu instid0(VALU_DEP_1) | instskip(SKIP_1) | instid1(VALU_DEP_2)
	v_dual_lshlrev_b32 v9, 24, v9 :: v_dual_bitop2_b32 v13, 7, v11 bitop3:0x40
	v_bfe_u32 v21, v11, 3, 4
	v_and_b32_e32 v9, 0x80000000, v9
	s_delay_alu instid0(VALU_DEP_3) | instskip(NEXT) | instid1(VALU_DEP_3)
	v_clz_i32_u32_e32 v15, v13
	v_cmp_eq_u32_e64 s0, 0, v21
	s_delay_alu instid0(VALU_DEP_2) | instskip(NEXT) | instid1(VALU_DEP_1)
	v_min_u32_e32 v15, 32, v15
	v_subrev_nc_u32_e32 v19, 28, v15
	v_sub_nc_u32_e32 v15, 29, v15
	s_delay_alu instid0(VALU_DEP_2) | instskip(NEXT) | instid1(VALU_DEP_2)
	v_lshlrev_b32_e32 v11, v19, v11
	v_cndmask_b32_e64 v15, v21, v15, s0
	s_delay_alu instid0(VALU_DEP_2) | instskip(NEXT) | instid1(VALU_DEP_1)
	v_and_b32_e32 v11, 7, v11
	v_cndmask_b32_e64 v11, v13, v11, s0
	s_delay_alu instid0(VALU_DEP_3) | instskip(NEXT) | instid1(VALU_DEP_2)
	v_lshl_add_u32 v13, v15, 23, 0x3b800000
	v_lshlrev_b32_e32 v11, 20, v11
	s_delay_alu instid0(VALU_DEP_1)
	v_or3_b32 v11, v9, v13, v11
.LBB254_661:
	s_or_b32 exec_lo, exec_lo, s16
	s_delay_alu instid0(VALU_DEP_1) | instskip(SKIP_2) | instid1(VALU_DEP_2)
	v_and_b32_e32 v13, 0x7fffffff, v11
	v_mov_b32_e32 v9, 0x80
	s_mov_b32 s15, exec_lo
	v_cmpx_gt_u32_e32 0x47800000, v13
	s_cbranch_execz .LBB254_667
; %bb.662:
	v_cmp_lt_u32_e64 s0, 0x37ffffff, v13
	s_mov_b32 s16, 0
                                        ; implicit-def: $vgpr13
	s_and_saveexec_b32 s17, s0
	s_delay_alu instid0(SALU_CYCLE_1)
	s_xor_b32 s0, exec_lo, s17
	s_cbranch_execz .LBB254_2504
; %bb.663:
	v_bfe_u32 v9, v11, 21, 1
	s_mov_b32 s16, exec_lo
	s_delay_alu instid0(VALU_DEP_1) | instskip(NEXT) | instid1(VALU_DEP_1)
	v_add3_u32 v9, v11, v9, 0x88fffff
	v_lshrrev_b32_e32 v13, 21, v9
	s_and_not1_saveexec_b32 s17, s0
	s_cbranch_execnz .LBB254_2505
.LBB254_664:
	s_or_b32 exec_lo, exec_lo, s17
	v_mov_b32_e32 v9, 0
	s_and_saveexec_b32 s0, s16
.LBB254_665:
	v_lshrrev_b32_e32 v9, 24, v11
	s_delay_alu instid0(VALU_DEP_1)
	v_and_or_b32 v9, 0x80, v9, v13
.LBB254_666:
	s_or_b32 exec_lo, exec_lo, s0
.LBB254_667:
	s_delay_alu instid0(SALU_CYCLE_1)
	s_or_b32 exec_lo, exec_lo, s15
.LBB254_668:
	s_delay_alu instid0(SALU_CYCLE_1) | instskip(NEXT) | instid1(SALU_CYCLE_1)
	s_or_b32 exec_lo, exec_lo, s14
	s_or_b32 s13, s13, exec_lo
.LBB254_669:
	s_or_b32 exec_lo, exec_lo, s11
	s_delay_alu instid0(SALU_CYCLE_1)
	s_and_b32 s11, s13, exec_lo
	s_and_b32 s12, s12, exec_lo
	s_and_not1_saveexec_b32 s10, s10
	s_cbranch_execnz .LBB254_2256
.LBB254_670:
	s_or_b32 exec_lo, exec_lo, s10
	s_mov_b32 s10, s5
	s_and_saveexec_b32 s0, s12
	s_cbranch_execnz .LBB254_2293
.LBB254_671:
	s_or_b32 exec_lo, exec_lo, s0
	s_and_saveexec_b32 s0, s7
	s_delay_alu instid0(SALU_CYCLE_1)
	s_xor_b32 s7, exec_lo, s0
	s_cbranch_execz .LBB254_679
.LBB254_672:
	s_wait_loadcnt_dscnt 0x0
	flat_load_u8 v9, v[22:23]
	s_mov_b32 s13, 0
	s_mov_b32 s12, exec_lo
	s_wait_loadcnt_dscnt 0x0
	v_cmp_ne_u16_e64 s0, 0, v9
	v_mov_b32_e32 v9, 0x80
	s_delay_alu instid0(VALU_DEP_2) | instskip(SKIP_1) | instid1(VALU_DEP_1)
	v_cndmask_b32_e64 v13, 0, 1.0, s0
	s_wait_xcnt 0x0
	v_cmpx_gt_u32_e32 0x47800000, v13
	s_cbranch_execz .LBB254_678
; %bb.673:
	v_cmp_lt_u32_e64 s0, 0x37ffffff, v13
                                        ; implicit-def: $vgpr11
	s_and_saveexec_b32 s14, s0
	s_delay_alu instid0(SALU_CYCLE_1)
	s_xor_b32 s0, exec_lo, s14
	s_cbranch_execz .LBB254_2352
; %bb.674:
	v_bfe_u32 v9, v13, 21, 1
	s_mov_b32 s13, exec_lo
	s_delay_alu instid0(VALU_DEP_1) | instskip(NEXT) | instid1(VALU_DEP_1)
	v_add3_u32 v9, v13, v9, 0x88fffff
                                        ; implicit-def: $vgpr13
	v_lshrrev_b32_e32 v11, 21, v9
	s_and_not1_saveexec_b32 s14, s0
	s_cbranch_execnz .LBB254_2353
.LBB254_675:
	s_or_b32 exec_lo, exec_lo, s14
	v_mov_b32_e32 v9, 0
	s_and_saveexec_b32 s0, s13
.LBB254_676:
	v_mov_b32_e32 v9, v11
.LBB254_677:
	s_or_b32 exec_lo, exec_lo, s0
.LBB254_678:
	s_delay_alu instid0(SALU_CYCLE_1) | instskip(NEXT) | instid1(SALU_CYCLE_1)
	s_or_b32 exec_lo, exec_lo, s12
	s_or_b32 s11, s11, exec_lo
.LBB254_679:
	s_or_b32 exec_lo, exec_lo, s7
	s_delay_alu instid0(SALU_CYCLE_1)
	s_and_not1_b32 s0, s5, exec_lo
	s_and_b32 s7, s10, exec_lo
	s_and_b32 s10, s11, exec_lo
	s_or_b32 s7, s0, s7
                                        ; implicit-def: $vgpr22_vgpr23
.LBB254_680:
	s_and_not1_saveexec_b32 s8, s8
	s_cbranch_execz .LBB254_788
; %bb.681:
	s_mov_b32 s11, exec_lo
                                        ; implicit-def: $vgpr9
	v_cmpx_lt_i16_e32 4, v7
	s_xor_b32 s11, exec_lo, s11
	s_cbranch_execz .LBB254_739
; %bb.682:
	s_mov_b32 s12, exec_lo
                                        ; implicit-def: $vgpr9
	v_cmpx_lt_i16_e32 7, v7
	s_xor_b32 s12, exec_lo, s12
	;; [unrolled: 6-line block ×4, first 2 shown]
	s_cbranch_execz .LBB254_692
; %bb.685:
	flat_load_b64 v[22:23], v[22:23]
	s_wait_loadcnt_dscnt 0x101
	v_mov_b32_e32 v9, 0x80
	s_mov_b32 s15, exec_lo
	s_wait_loadcnt_dscnt 0x0
	v_cvt_f32_f64_e32 v11, v[22:23]
	s_delay_alu instid0(VALU_DEP_1) | instskip(SKIP_1) | instid1(VALU_DEP_1)
	v_and_b32_e32 v13, 0x7fffffff, v11
	s_wait_xcnt 0x0
	v_cmpx_gt_u32_e32 0x47800000, v13
	s_cbranch_execz .LBB254_691
; %bb.686:
	v_cmp_lt_u32_e64 s0, 0x37ffffff, v13
	s_mov_b32 s16, 0
                                        ; implicit-def: $vgpr13
	s_and_saveexec_b32 s17, s0
	s_delay_alu instid0(SALU_CYCLE_1)
	s_xor_b32 s0, exec_lo, s17
	s_cbranch_execz .LBB254_2583
; %bb.687:
	v_bfe_u32 v9, v11, 21, 1
	s_mov_b32 s16, exec_lo
	s_delay_alu instid0(VALU_DEP_1) | instskip(NEXT) | instid1(VALU_DEP_1)
	v_add3_u32 v9, v11, v9, 0x88fffff
	v_lshrrev_b32_e32 v13, 21, v9
	s_and_not1_saveexec_b32 s17, s0
	s_cbranch_execnz .LBB254_2584
.LBB254_688:
	s_or_b32 exec_lo, exec_lo, s17
	v_mov_b32_e32 v9, 0
	s_and_saveexec_b32 s0, s16
.LBB254_689:
	v_lshrrev_b32_e32 v9, 24, v11
	s_delay_alu instid0(VALU_DEP_1)
	v_and_or_b32 v9, 0x80, v9, v13
.LBB254_690:
	s_or_b32 exec_lo, exec_lo, s0
.LBB254_691:
	s_delay_alu instid0(SALU_CYCLE_1)
	s_or_b32 exec_lo, exec_lo, s15
                                        ; implicit-def: $vgpr22_vgpr23
.LBB254_692:
	s_and_not1_saveexec_b32 s14, s14
	s_cbranch_execz .LBB254_700
; %bb.693:
	s_wait_dscnt 0x0
	flat_load_b32 v11, v[22:23]
	s_wait_loadcnt 0x1
	v_mov_b32_e32 v9, 0x80
	s_mov_b32 s15, exec_lo
	s_wait_loadcnt_dscnt 0x0
	v_and_b32_e32 v13, 0x7fffffff, v11
	s_wait_xcnt 0x0
	s_delay_alu instid0(VALU_DEP_1)
	v_cmpx_gt_u32_e32 0x47800000, v13
	s_cbranch_execz .LBB254_699
; %bb.694:
	v_cmp_lt_u32_e64 s0, 0x37ffffff, v13
	s_mov_b32 s16, 0
                                        ; implicit-def: $vgpr13
	s_and_saveexec_b32 s17, s0
	s_delay_alu instid0(SALU_CYCLE_1)
	s_xor_b32 s0, exec_lo, s17
	s_cbranch_execz .LBB254_2585
; %bb.695:
	v_bfe_u32 v9, v11, 21, 1
	s_mov_b32 s16, exec_lo
	s_delay_alu instid0(VALU_DEP_1) | instskip(NEXT) | instid1(VALU_DEP_1)
	v_add3_u32 v9, v11, v9, 0x88fffff
	v_lshrrev_b32_e32 v13, 21, v9
	s_and_not1_saveexec_b32 s17, s0
	s_cbranch_execnz .LBB254_2586
.LBB254_696:
	s_or_b32 exec_lo, exec_lo, s17
	v_mov_b32_e32 v9, 0
	s_and_saveexec_b32 s0, s16
.LBB254_697:
	v_lshrrev_b32_e32 v9, 24, v11
	s_delay_alu instid0(VALU_DEP_1)
	v_and_or_b32 v9, 0x80, v9, v13
.LBB254_698:
	s_or_b32 exec_lo, exec_lo, s0
.LBB254_699:
	s_delay_alu instid0(SALU_CYCLE_1)
	s_or_b32 exec_lo, exec_lo, s15
.LBB254_700:
	s_delay_alu instid0(SALU_CYCLE_1)
	s_or_b32 exec_lo, exec_lo, s14
                                        ; implicit-def: $vgpr22_vgpr23
.LBB254_701:
	s_and_not1_saveexec_b32 s13, s13
	s_cbranch_execz .LBB254_709
; %bb.702:
	s_wait_loadcnt_dscnt 0x0
	flat_load_b32 v9, v[22:23]
	s_mov_b32 s14, exec_lo
	s_wait_loadcnt_dscnt 0x0
	v_cvt_f32_f16_e32 v11, v9
	v_mov_b32_e32 v9, 0x80
	s_delay_alu instid0(VALU_DEP_2) | instskip(SKIP_1) | instid1(VALU_DEP_1)
	v_and_b32_e32 v13, 0x7fffffff, v11
	s_wait_xcnt 0x0
	v_cmpx_gt_u32_e32 0x47800000, v13
	s_cbranch_execz .LBB254_708
; %bb.703:
	v_cmp_lt_u32_e64 s0, 0x37ffffff, v13
	s_mov_b32 s15, 0
                                        ; implicit-def: $vgpr13
	s_and_saveexec_b32 s16, s0
	s_delay_alu instid0(SALU_CYCLE_1)
	s_xor_b32 s0, exec_lo, s16
	s_cbranch_execz .LBB254_2506
; %bb.704:
	v_bfe_u32 v9, v11, 21, 1
	s_mov_b32 s15, exec_lo
	s_delay_alu instid0(VALU_DEP_1) | instskip(NEXT) | instid1(VALU_DEP_1)
	v_add3_u32 v9, v11, v9, 0x88fffff
	v_lshrrev_b32_e32 v13, 21, v9
	s_and_not1_saveexec_b32 s16, s0
	s_cbranch_execnz .LBB254_2507
.LBB254_705:
	s_or_b32 exec_lo, exec_lo, s16
	v_mov_b32_e32 v9, 0
	s_and_saveexec_b32 s0, s15
.LBB254_706:
	v_lshrrev_b32_e32 v9, 24, v11
	s_delay_alu instid0(VALU_DEP_1)
	v_and_or_b32 v9, 0x80, v9, v13
.LBB254_707:
	s_or_b32 exec_lo, exec_lo, s0
.LBB254_708:
	s_delay_alu instid0(SALU_CYCLE_1)
	s_or_b32 exec_lo, exec_lo, s14
.LBB254_709:
	s_delay_alu instid0(SALU_CYCLE_1)
	s_or_b32 exec_lo, exec_lo, s13
                                        ; implicit-def: $vgpr22_vgpr23
.LBB254_710:
	s_and_not1_saveexec_b32 s12, s12
	s_cbranch_execz .LBB254_738
; %bb.711:
	s_mov_b32 s13, exec_lo
                                        ; implicit-def: $vgpr9
	v_cmpx_lt_i16_e32 5, v7
	s_xor_b32 s13, exec_lo, s13
	s_cbranch_execz .LBB254_729
; %bb.712:
	s_mov_b32 s14, exec_lo
                                        ; implicit-def: $vgpr9
	v_cmpx_lt_i16_e32 6, v7
	s_xor_b32 s14, exec_lo, s14
	s_cbranch_execz .LBB254_720
; %bb.713:
	flat_load_b64 v[22:23], v[22:23]
	s_wait_loadcnt_dscnt 0x101
	v_mov_b32_e32 v9, 0x80
	s_mov_b32 s15, exec_lo
	s_wait_loadcnt_dscnt 0x0
	v_cvt_f32_f64_e32 v11, v[22:23]
	s_delay_alu instid0(VALU_DEP_1) | instskip(SKIP_1) | instid1(VALU_DEP_1)
	v_and_b32_e32 v13, 0x7fffffff, v11
	s_wait_xcnt 0x0
	v_cmpx_gt_u32_e32 0x47800000, v13
	s_cbranch_execz .LBB254_719
; %bb.714:
	v_cmp_lt_u32_e64 s0, 0x37ffffff, v13
	s_mov_b32 s16, 0
                                        ; implicit-def: $vgpr13
	s_and_saveexec_b32 s17, s0
	s_delay_alu instid0(SALU_CYCLE_1)
	s_xor_b32 s0, exec_lo, s17
	s_cbranch_execz .LBB254_2587
; %bb.715:
	v_bfe_u32 v9, v11, 21, 1
	s_mov_b32 s16, exec_lo
	s_delay_alu instid0(VALU_DEP_1) | instskip(NEXT) | instid1(VALU_DEP_1)
	v_add3_u32 v9, v11, v9, 0x88fffff
	v_lshrrev_b32_e32 v13, 21, v9
	s_and_not1_saveexec_b32 s17, s0
	s_cbranch_execnz .LBB254_2588
.LBB254_716:
	s_or_b32 exec_lo, exec_lo, s17
	v_mov_b32_e32 v9, 0
	s_and_saveexec_b32 s0, s16
.LBB254_717:
	v_lshrrev_b32_e32 v9, 24, v11
	s_delay_alu instid0(VALU_DEP_1)
	v_and_or_b32 v9, 0x80, v9, v13
.LBB254_718:
	s_or_b32 exec_lo, exec_lo, s0
.LBB254_719:
	s_delay_alu instid0(SALU_CYCLE_1)
	s_or_b32 exec_lo, exec_lo, s15
                                        ; implicit-def: $vgpr22_vgpr23
.LBB254_720:
	s_and_not1_saveexec_b32 s14, s14
	s_cbranch_execz .LBB254_728
; %bb.721:
	s_wait_dscnt 0x0
	flat_load_b32 v11, v[22:23]
	s_wait_loadcnt 0x1
	v_mov_b32_e32 v9, 0x80
	s_mov_b32 s15, exec_lo
	s_wait_loadcnt_dscnt 0x0
	v_and_b32_e32 v13, 0x7fffffff, v11
	s_wait_xcnt 0x0
	s_delay_alu instid0(VALU_DEP_1)
	v_cmpx_gt_u32_e32 0x47800000, v13
	s_cbranch_execz .LBB254_727
; %bb.722:
	v_cmp_lt_u32_e64 s0, 0x37ffffff, v13
	s_mov_b32 s16, 0
                                        ; implicit-def: $vgpr13
	s_and_saveexec_b32 s17, s0
	s_delay_alu instid0(SALU_CYCLE_1)
	s_xor_b32 s0, exec_lo, s17
	s_cbranch_execz .LBB254_2589
; %bb.723:
	v_bfe_u32 v9, v11, 21, 1
	s_mov_b32 s16, exec_lo
	s_delay_alu instid0(VALU_DEP_1) | instskip(NEXT) | instid1(VALU_DEP_1)
	v_add3_u32 v9, v11, v9, 0x88fffff
	v_lshrrev_b32_e32 v13, 21, v9
	s_and_not1_saveexec_b32 s17, s0
	s_cbranch_execnz .LBB254_2590
.LBB254_724:
	s_or_b32 exec_lo, exec_lo, s17
	v_mov_b32_e32 v9, 0
	s_and_saveexec_b32 s0, s16
.LBB254_725:
	v_lshrrev_b32_e32 v9, 24, v11
	s_delay_alu instid0(VALU_DEP_1)
	v_and_or_b32 v9, 0x80, v9, v13
.LBB254_726:
	s_or_b32 exec_lo, exec_lo, s0
.LBB254_727:
	s_delay_alu instid0(SALU_CYCLE_1)
	s_or_b32 exec_lo, exec_lo, s15
.LBB254_728:
	s_delay_alu instid0(SALU_CYCLE_1)
	s_or_b32 exec_lo, exec_lo, s14
                                        ; implicit-def: $vgpr22_vgpr23
.LBB254_729:
	s_and_not1_saveexec_b32 s13, s13
	s_cbranch_execz .LBB254_737
; %bb.730:
	s_wait_loadcnt_dscnt 0x0
	flat_load_u16 v9, v[22:23]
	s_mov_b32 s14, exec_lo
	s_wait_loadcnt_dscnt 0x0
	v_cvt_f32_f16_e32 v11, v9
	v_mov_b32_e32 v9, 0x80
	s_delay_alu instid0(VALU_DEP_2) | instskip(SKIP_1) | instid1(VALU_DEP_1)
	v_and_b32_e32 v13, 0x7fffffff, v11
	s_wait_xcnt 0x0
	v_cmpx_gt_u32_e32 0x47800000, v13
	s_cbranch_execz .LBB254_736
; %bb.731:
	v_cmp_lt_u32_e64 s0, 0x37ffffff, v13
	s_mov_b32 s15, 0
                                        ; implicit-def: $vgpr13
	s_and_saveexec_b32 s16, s0
	s_delay_alu instid0(SALU_CYCLE_1)
	s_xor_b32 s0, exec_lo, s16
	s_cbranch_execz .LBB254_2508
; %bb.732:
	v_bfe_u32 v9, v11, 21, 1
	s_mov_b32 s15, exec_lo
	s_delay_alu instid0(VALU_DEP_1) | instskip(NEXT) | instid1(VALU_DEP_1)
	v_add3_u32 v9, v11, v9, 0x88fffff
	v_lshrrev_b32_e32 v13, 21, v9
	s_and_not1_saveexec_b32 s16, s0
	s_cbranch_execnz .LBB254_2509
.LBB254_733:
	s_or_b32 exec_lo, exec_lo, s16
	v_mov_b32_e32 v9, 0
	s_and_saveexec_b32 s0, s15
.LBB254_734:
	v_lshrrev_b32_e32 v9, 24, v11
	s_delay_alu instid0(VALU_DEP_1)
	v_and_or_b32 v9, 0x80, v9, v13
.LBB254_735:
	s_or_b32 exec_lo, exec_lo, s0
.LBB254_736:
	s_delay_alu instid0(SALU_CYCLE_1)
	s_or_b32 exec_lo, exec_lo, s14
.LBB254_737:
	s_delay_alu instid0(SALU_CYCLE_1)
	s_or_b32 exec_lo, exec_lo, s13
.LBB254_738:
	s_delay_alu instid0(SALU_CYCLE_1)
	s_or_b32 exec_lo, exec_lo, s12
                                        ; implicit-def: $vgpr22_vgpr23
.LBB254_739:
	s_and_not1_saveexec_b32 s11, s11
	s_cbranch_execz .LBB254_787
; %bb.740:
	s_mov_b32 s12, exec_lo
                                        ; implicit-def: $vgpr9
	v_cmpx_lt_i16_e32 1, v7
	s_xor_b32 s12, exec_lo, s12
	s_cbranch_execz .LBB254_768
; %bb.741:
	s_mov_b32 s13, exec_lo
                                        ; implicit-def: $vgpr9
	v_cmpx_lt_i16_e32 2, v7
	s_xor_b32 s13, exec_lo, s13
	;; [unrolled: 6-line block ×3, first 2 shown]
	s_cbranch_execz .LBB254_750
; %bb.743:
	flat_load_b64 v[22:23], v[22:23]
	s_mov_b32 s15, exec_lo
	s_wait_loadcnt_dscnt 0x0
	v_xor_b32_e32 v9, v22, v23
	v_cls_i32_e32 v11, v23
	s_delay_alu instid0(VALU_DEP_2) | instskip(NEXT) | instid1(VALU_DEP_1)
	v_ashrrev_i32_e32 v9, 31, v9
	v_add_nc_u32_e32 v9, 32, v9
	s_delay_alu instid0(VALU_DEP_1) | instskip(SKIP_1) | instid1(VALU_DEP_1)
	v_add_min_u32_e64 v9, v11, -1, v9
	s_wait_xcnt 0x0
	v_lshlrev_b64_e32 v[22:23], v9, v[22:23]
	v_sub_nc_u32_e32 v9, 32, v9
	s_delay_alu instid0(VALU_DEP_2) | instskip(NEXT) | instid1(VALU_DEP_1)
	v_min_u32_e32 v11, 1, v22
	v_or_b32_e32 v11, v23, v11
	s_delay_alu instid0(VALU_DEP_1) | instskip(NEXT) | instid1(VALU_DEP_1)
	v_cvt_f32_i32_e32 v11, v11
	v_ldexp_f32 v11, v11, v9
	v_mov_b32_e32 v9, 0x80
	s_delay_alu instid0(VALU_DEP_2) | instskip(NEXT) | instid1(VALU_DEP_1)
	v_and_b32_e32 v13, 0x7fffffff, v11
	v_cmpx_gt_u32_e32 0x47800000, v13
	s_cbranch_execz .LBB254_749
; %bb.744:
	v_cmp_lt_u32_e64 s0, 0x37ffffff, v13
	s_mov_b32 s16, 0
                                        ; implicit-def: $vgpr13
	s_and_saveexec_b32 s17, s0
	s_delay_alu instid0(SALU_CYCLE_1)
	s_xor_b32 s0, exec_lo, s17
	s_cbranch_execz .LBB254_2591
; %bb.745:
	v_bfe_u32 v9, v11, 21, 1
	s_mov_b32 s16, exec_lo
	s_delay_alu instid0(VALU_DEP_1) | instskip(NEXT) | instid1(VALU_DEP_1)
	v_add3_u32 v9, v11, v9, 0x88fffff
	v_lshrrev_b32_e32 v13, 21, v9
	s_and_not1_saveexec_b32 s17, s0
	s_cbranch_execnz .LBB254_2592
.LBB254_746:
	s_or_b32 exec_lo, exec_lo, s17
	v_mov_b32_e32 v9, 0
	s_and_saveexec_b32 s0, s16
.LBB254_747:
	v_lshrrev_b32_e32 v9, 24, v11
	s_delay_alu instid0(VALU_DEP_1)
	v_and_or_b32 v9, 0x80, v9, v13
.LBB254_748:
	s_or_b32 exec_lo, exec_lo, s0
.LBB254_749:
	s_delay_alu instid0(SALU_CYCLE_1)
	s_or_b32 exec_lo, exec_lo, s15
                                        ; implicit-def: $vgpr22_vgpr23
.LBB254_750:
	s_and_not1_saveexec_b32 s14, s14
	s_cbranch_execz .LBB254_758
; %bb.751:
	s_wait_loadcnt_dscnt 0x0
	flat_load_b32 v9, v[22:23]
	s_mov_b32 s15, exec_lo
	s_wait_loadcnt_dscnt 0x0
	v_cvt_f32_i32_e32 v11, v9
	v_mov_b32_e32 v9, 0x80
	s_delay_alu instid0(VALU_DEP_2) | instskip(SKIP_1) | instid1(VALU_DEP_1)
	v_and_b32_e32 v13, 0x7fffffff, v11
	s_wait_xcnt 0x0
	v_cmpx_gt_u32_e32 0x47800000, v13
	s_cbranch_execz .LBB254_757
; %bb.752:
	v_cmp_lt_u32_e64 s0, 0x37ffffff, v13
	s_mov_b32 s16, 0
                                        ; implicit-def: $vgpr13
	s_and_saveexec_b32 s17, s0
	s_delay_alu instid0(SALU_CYCLE_1)
	s_xor_b32 s0, exec_lo, s17
	s_cbranch_execz .LBB254_2593
; %bb.753:
	v_bfe_u32 v9, v11, 21, 1
	s_mov_b32 s16, exec_lo
	s_delay_alu instid0(VALU_DEP_1) | instskip(NEXT) | instid1(VALU_DEP_1)
	v_add3_u32 v9, v11, v9, 0x88fffff
	v_lshrrev_b32_e32 v13, 21, v9
	s_and_not1_saveexec_b32 s17, s0
	s_cbranch_execnz .LBB254_2594
.LBB254_754:
	s_or_b32 exec_lo, exec_lo, s17
	v_mov_b32_e32 v9, 0
	s_and_saveexec_b32 s0, s16
.LBB254_755:
	v_lshrrev_b32_e32 v9, 24, v11
	s_delay_alu instid0(VALU_DEP_1)
	v_and_or_b32 v9, 0x80, v9, v13
.LBB254_756:
	s_or_b32 exec_lo, exec_lo, s0
.LBB254_757:
	s_delay_alu instid0(SALU_CYCLE_1)
	s_or_b32 exec_lo, exec_lo, s15
.LBB254_758:
	s_delay_alu instid0(SALU_CYCLE_1)
	s_or_b32 exec_lo, exec_lo, s14
                                        ; implicit-def: $vgpr22_vgpr23
.LBB254_759:
	s_and_not1_saveexec_b32 s13, s13
	s_cbranch_execz .LBB254_767
; %bb.760:
	s_wait_loadcnt_dscnt 0x0
	flat_load_i16 v9, v[22:23]
	s_mov_b32 s14, exec_lo
	s_wait_loadcnt_dscnt 0x0
	v_cvt_f32_i32_e32 v11, v9
	v_mov_b32_e32 v9, 0x80
	s_delay_alu instid0(VALU_DEP_2) | instskip(SKIP_1) | instid1(VALU_DEP_1)
	v_and_b32_e32 v13, 0x7fffffff, v11
	s_wait_xcnt 0x0
	v_cmpx_gt_u32_e32 0x47800000, v13
	s_cbranch_execz .LBB254_766
; %bb.761:
	v_cmp_lt_u32_e64 s0, 0x37ffffff, v13
	s_mov_b32 s15, 0
                                        ; implicit-def: $vgpr13
	s_and_saveexec_b32 s16, s0
	s_delay_alu instid0(SALU_CYCLE_1)
	s_xor_b32 s0, exec_lo, s16
	s_cbranch_execz .LBB254_2510
; %bb.762:
	v_bfe_u32 v9, v11, 21, 1
	s_mov_b32 s15, exec_lo
	s_delay_alu instid0(VALU_DEP_1) | instskip(NEXT) | instid1(VALU_DEP_1)
	v_add3_u32 v9, v11, v9, 0x88fffff
	v_lshrrev_b32_e32 v13, 21, v9
	s_and_not1_saveexec_b32 s16, s0
	s_cbranch_execnz .LBB254_2511
.LBB254_763:
	s_or_b32 exec_lo, exec_lo, s16
	v_mov_b32_e32 v9, 0
	s_and_saveexec_b32 s0, s15
.LBB254_764:
	v_lshrrev_b32_e32 v9, 24, v11
	s_delay_alu instid0(VALU_DEP_1)
	v_and_or_b32 v9, 0x80, v9, v13
.LBB254_765:
	s_or_b32 exec_lo, exec_lo, s0
.LBB254_766:
	s_delay_alu instid0(SALU_CYCLE_1)
	s_or_b32 exec_lo, exec_lo, s14
.LBB254_767:
	s_delay_alu instid0(SALU_CYCLE_1)
	s_or_b32 exec_lo, exec_lo, s13
                                        ; implicit-def: $vgpr22_vgpr23
.LBB254_768:
	s_and_not1_saveexec_b32 s12, s12
	s_cbranch_execz .LBB254_786
; %bb.769:
	s_mov_b32 s13, exec_lo
                                        ; implicit-def: $vgpr9
	v_cmpx_lt_i16_e32 0, v7
	s_xor_b32 s13, exec_lo, s13
	s_cbranch_execz .LBB254_777
; %bb.770:
	s_wait_loadcnt_dscnt 0x0
	flat_load_i8 v9, v[22:23]
	s_mov_b32 s14, exec_lo
	s_wait_loadcnt_dscnt 0x0
	v_cvt_f32_i32_e32 v11, v9
	v_mov_b32_e32 v9, 0x80
	s_delay_alu instid0(VALU_DEP_2) | instskip(SKIP_1) | instid1(VALU_DEP_1)
	v_and_b32_e32 v13, 0x7fffffff, v11
	s_wait_xcnt 0x0
	v_cmpx_gt_u32_e32 0x47800000, v13
	s_cbranch_execz .LBB254_776
; %bb.771:
	v_cmp_lt_u32_e64 s0, 0x37ffffff, v13
	s_mov_b32 s15, 0
                                        ; implicit-def: $vgpr13
	s_and_saveexec_b32 s16, s0
	s_delay_alu instid0(SALU_CYCLE_1)
	s_xor_b32 s0, exec_lo, s16
	s_cbranch_execz .LBB254_2512
; %bb.772:
	v_bfe_u32 v9, v11, 21, 1
	s_mov_b32 s15, exec_lo
	s_delay_alu instid0(VALU_DEP_1) | instskip(NEXT) | instid1(VALU_DEP_1)
	v_add3_u32 v9, v11, v9, 0x88fffff
	v_lshrrev_b32_e32 v13, 21, v9
	s_and_not1_saveexec_b32 s16, s0
	s_cbranch_execnz .LBB254_2513
.LBB254_773:
	s_or_b32 exec_lo, exec_lo, s16
	v_mov_b32_e32 v9, 0
	s_and_saveexec_b32 s0, s15
.LBB254_774:
	v_lshrrev_b32_e32 v9, 24, v11
	s_delay_alu instid0(VALU_DEP_1)
	v_and_or_b32 v9, 0x80, v9, v13
.LBB254_775:
	s_or_b32 exec_lo, exec_lo, s0
.LBB254_776:
	s_delay_alu instid0(SALU_CYCLE_1)
	s_or_b32 exec_lo, exec_lo, s14
                                        ; implicit-def: $vgpr22_vgpr23
.LBB254_777:
	s_and_not1_saveexec_b32 s13, s13
	s_cbranch_execz .LBB254_785
; %bb.778:
	s_wait_loadcnt_dscnt 0x0
	flat_load_u8 v9, v[22:23]
	s_mov_b32 s14, exec_lo
	s_wait_loadcnt_dscnt 0x0
	v_cvt_f32_ubyte0_e32 v13, v9
	v_mov_b32_e32 v9, 0x80
	s_wait_xcnt 0x0
	s_delay_alu instid0(VALU_DEP_2)
	v_cmpx_gt_u32_e32 0x47800000, v13
	s_cbranch_execz .LBB254_784
; %bb.779:
	v_cmp_lt_u32_e64 s0, 0x37ffffff, v13
	s_mov_b32 s15, 0
                                        ; implicit-def: $vgpr11
	s_and_saveexec_b32 s16, s0
	s_delay_alu instid0(SALU_CYCLE_1)
	s_xor_b32 s0, exec_lo, s16
	s_cbranch_execz .LBB254_2514
; %bb.780:
	v_bfe_u32 v9, v13, 21, 1
	s_mov_b32 s15, exec_lo
	s_delay_alu instid0(VALU_DEP_1) | instskip(NEXT) | instid1(VALU_DEP_1)
	v_add3_u32 v9, v13, v9, 0x88fffff
                                        ; implicit-def: $vgpr13
	v_lshrrev_b32_e32 v11, 21, v9
	s_and_not1_saveexec_b32 s16, s0
	s_cbranch_execnz .LBB254_2515
.LBB254_781:
	s_or_b32 exec_lo, exec_lo, s16
	v_mov_b32_e32 v9, 0
	s_and_saveexec_b32 s0, s15
.LBB254_782:
	v_mov_b32_e32 v9, v11
.LBB254_783:
	s_or_b32 exec_lo, exec_lo, s0
.LBB254_784:
	s_delay_alu instid0(SALU_CYCLE_1)
	s_or_b32 exec_lo, exec_lo, s14
.LBB254_785:
	s_delay_alu instid0(SALU_CYCLE_1)
	s_or_b32 exec_lo, exec_lo, s13
.LBB254_786:
	s_delay_alu instid0(SALU_CYCLE_1)
	s_or_b32 exec_lo, exec_lo, s12
.LBB254_787:
	s_delay_alu instid0(SALU_CYCLE_1) | instskip(NEXT) | instid1(SALU_CYCLE_1)
	s_or_b32 exec_lo, exec_lo, s11
	s_or_b32 s10, s10, exec_lo
.LBB254_788:
	s_or_b32 exec_lo, exec_lo, s8
	s_mov_b32 s0, 0
	s_mov_b32 s11, 0
                                        ; implicit-def: $sgpr21
                                        ; implicit-def: $vgpr30_vgpr31
                                        ; implicit-def: $vgpr15
	s_and_saveexec_b32 s8, s10
	s_cbranch_execz .LBB254_2123
; %bb.789:
	v_mov_b32_e32 v25, 0
	s_mov_b32 s12, 0
	s_mov_b32 s10, s7
	s_mov_b32 s11, exec_lo
                                        ; implicit-def: $vgpr11
	s_delay_alu instid0(VALU_DEP_1)
	v_add_nc_u64_e32 v[22:23], v[16:17], v[24:25]
	v_cmpx_lt_i16_e32 10, v5
	s_xor_b32 s11, exec_lo, s11
	s_cbranch_execz .LBB254_870
; %bb.790:
	s_mov_b32 s10, 0
	s_mov_b32 s14, 0
	s_mov_b32 s13, 0
	s_mov_b32 s12, exec_lo
                                        ; implicit-def: $vgpr11
	v_cmpx_lt_i16_e32 25, v5
	s_xor_b32 s12, exec_lo, s12
	s_cbranch_execz .LBB254_2298
; %bb.791:
	s_mov_b32 s15, 0
	s_mov_b32 s13, exec_lo
                                        ; implicit-def: $vgpr11
	v_cmpx_lt_i16_e32 28, v5
	s_xor_b32 s13, exec_lo, s13
	s_cbranch_execz .LBB254_825
; %bb.792:
	s_mov_b32 s16, 0
	s_mov_b32 s17, 0
	s_mov_b32 s14, exec_lo
                                        ; implicit-def: $vgpr11
	v_cmpx_lt_i16_e32 43, v5
	s_xor_b32 s14, exec_lo, s14
	s_cbranch_execz .LBB254_814
; %bb.793:
	s_mov_b32 s17, exec_lo
                                        ; implicit-def: $vgpr11
	v_cmpx_lt_i16_e32 45, v5
	s_xor_b32 s17, exec_lo, s17
	s_cbranch_execz .LBB254_803
; %bb.794:
	s_mov_b32 s18, -1
	s_mov_b32 s15, exec_lo
                                        ; implicit-def: $vgpr11
	v_cmpx_eq_u16_e32 46, v5
	s_cbranch_execz .LBB254_802
; %bb.795:
	s_wait_dscnt 0x0
	flat_load_b32 v11, v[22:23]
	s_mov_b32 s16, exec_lo
	s_wait_loadcnt_dscnt 0x0
	v_lshlrev_b32_e32 v13, 16, v11
	v_mov_b32_e32 v11, 0x80
	s_delay_alu instid0(VALU_DEP_2) | instskip(SKIP_1) | instid1(VALU_DEP_1)
	v_and_b32_e32 v15, 0x7fffffff, v13
	s_wait_xcnt 0x0
	v_cmpx_gt_u32_e32 0x47800000, v15
	s_cbranch_execz .LBB254_801
; %bb.796:
	v_cmp_lt_u32_e64 s0, 0x37ffffff, v15
	s_mov_b32 s18, 0
                                        ; implicit-def: $vgpr15
	s_and_saveexec_b32 s19, s0
	s_delay_alu instid0(SALU_CYCLE_1)
	s_xor_b32 s0, exec_lo, s19
	s_cbranch_execz .LBB254_2751
; %bb.797:
	v_bfe_u32 v11, v13, 21, 1
	s_mov_b32 s18, exec_lo
	s_delay_alu instid0(VALU_DEP_1) | instskip(NEXT) | instid1(VALU_DEP_1)
	v_add3_u32 v11, v13, v11, 0x88fffff
	v_lshrrev_b32_e32 v15, 21, v11
	s_and_not1_saveexec_b32 s19, s0
	s_cbranch_execnz .LBB254_2752
.LBB254_798:
	s_or_b32 exec_lo, exec_lo, s19
	v_mov_b32_e32 v11, 0
	s_and_saveexec_b32 s0, s18
.LBB254_799:
	v_lshrrev_b32_e32 v11, 24, v13
	s_delay_alu instid0(VALU_DEP_1)
	v_and_or_b32 v11, 0x80, v11, v15
.LBB254_800:
	s_or_b32 exec_lo, exec_lo, s0
.LBB254_801:
	s_delay_alu instid0(SALU_CYCLE_1) | instskip(NEXT) | instid1(SALU_CYCLE_1)
	s_or_b32 exec_lo, exec_lo, s16
	s_mov_b32 s16, exec_lo
	s_xor_b32 s18, exec_lo, -1
.LBB254_802:
	s_or_b32 exec_lo, exec_lo, s15
	s_delay_alu instid0(SALU_CYCLE_1)
	s_and_b32 s16, s16, exec_lo
	s_and_b32 s15, s18, exec_lo
.LBB254_803:
	s_and_not1_saveexec_b32 s17, s17
	s_cbranch_execz .LBB254_813
; %bb.804:
	s_mov_b32 s19, -1
	s_mov_b32 s20, s16
	s_mov_b32 s18, exec_lo
                                        ; implicit-def: $vgpr11
	v_cmpx_eq_u16_e32 44, v5
	s_cbranch_execz .LBB254_812
; %bb.805:
	s_wait_dscnt 0x0
	flat_load_u8 v11, v[22:23]
	s_mov_b32 s20, 0
	s_mov_b32 s19, exec_lo
	s_wait_loadcnt_dscnt 0x0
	v_lshlrev_b32_e32 v13, 23, v11
	v_cmp_ne_u32_e64 s0, 0xff, v11
	s_delay_alu instid0(VALU_DEP_1) | instskip(SKIP_2) | instid1(VALU_DEP_2)
	v_cndmask_b32_e64 v13, 0x7f800001, v13, s0
	v_cmp_ne_u32_e64 s0, 0, v11
	v_mov_b32_e32 v11, 0x80
	v_cndmask_b32_e64 v15, 0x400000, v13, s0
	s_wait_xcnt 0x0
	s_delay_alu instid0(VALU_DEP_1)
	v_cmpx_gt_u32_e32 0x47800000, v15
	s_cbranch_execz .LBB254_811
; %bb.806:
	v_cmp_lt_u32_e64 s0, 0x37ffffff, v15
                                        ; implicit-def: $vgpr13
	s_and_saveexec_b32 s21, s0
	s_delay_alu instid0(SALU_CYCLE_1)
	s_xor_b32 s0, exec_lo, s21
	s_cbranch_execz .LBB254_2753
; %bb.807:
	v_bfe_u32 v11, v15, 21, 1
	s_mov_b32 s20, exec_lo
	s_delay_alu instid0(VALU_DEP_1) | instskip(NEXT) | instid1(VALU_DEP_1)
	v_add3_u32 v11, v15, v11, 0x88fffff
                                        ; implicit-def: $vgpr15
	v_lshrrev_b32_e32 v13, 21, v11
	s_and_not1_saveexec_b32 s21, s0
	s_cbranch_execnz .LBB254_2754
.LBB254_808:
	s_or_b32 exec_lo, exec_lo, s21
	v_mov_b32_e32 v11, 0
	s_and_saveexec_b32 s0, s20
.LBB254_809:
	v_mov_b32_e32 v11, v13
.LBB254_810:
	s_or_b32 exec_lo, exec_lo, s0
.LBB254_811:
	s_delay_alu instid0(SALU_CYCLE_1) | instskip(NEXT) | instid1(SALU_CYCLE_1)
	s_or_b32 exec_lo, exec_lo, s19
	s_or_b32 s20, s16, exec_lo
	s_xor_b32 s19, exec_lo, -1
.LBB254_812:
	s_or_b32 exec_lo, exec_lo, s18
	s_delay_alu instid0(SALU_CYCLE_1)
	s_and_not1_b32 s0, s16, exec_lo
	s_and_b32 s16, s20, exec_lo
	s_and_not1_b32 s15, s15, exec_lo
	s_and_b32 s18, s19, exec_lo
	s_or_b32 s16, s0, s16
	s_or_b32 s15, s15, s18
.LBB254_813:
	s_or_b32 exec_lo, exec_lo, s17
	s_delay_alu instid0(SALU_CYCLE_1)
	s_and_b32 s17, s16, exec_lo
	s_and_b32 s16, s15, exec_lo
.LBB254_814:
	s_and_not1_saveexec_b32 s14, s14
	s_cbranch_execz .LBB254_824
; %bb.815:
	s_mov_b32 s18, -1
	s_mov_b32 s19, s17
	s_mov_b32 s15, exec_lo
                                        ; implicit-def: $vgpr11
	v_cmpx_eq_u16_e32 29, v5
	s_cbranch_execz .LBB254_823
; %bb.816:
	flat_load_b64 v[24:25], v[22:23]
	s_mov_b32 s18, exec_lo
	s_wait_loadcnt_dscnt 0x0
	v_clz_i32_u32_e32 v11, v25
	s_delay_alu instid0(VALU_DEP_1) | instskip(NEXT) | instid1(VALU_DEP_1)
	v_min_u32_e32 v11, 32, v11
	v_lshlrev_b64_e32 v[24:25], v11, v[24:25]
	v_sub_nc_u32_e32 v11, 32, v11
	s_delay_alu instid0(VALU_DEP_2) | instskip(NEXT) | instid1(VALU_DEP_1)
	v_min_u32_e32 v13, 1, v24
	v_or_b32_e32 v13, v25, v13
	s_delay_alu instid0(VALU_DEP_1) | instskip(NEXT) | instid1(VALU_DEP_1)
	v_cvt_f32_u32_e32 v13, v13
	v_ldexp_f32 v15, v13, v11
	v_mov_b32_e32 v11, 0x80
	s_wait_xcnt 0x0
	s_delay_alu instid0(VALU_DEP_2)
	v_cmpx_gt_u32_e32 0x47800000, v15
	s_cbranch_execz .LBB254_822
; %bb.817:
	v_cmp_lt_u32_e64 s0, 0x37ffffff, v15
	s_mov_b32 s19, 0
                                        ; implicit-def: $vgpr13
	s_and_saveexec_b32 s20, s0
	s_delay_alu instid0(SALU_CYCLE_1)
	s_xor_b32 s0, exec_lo, s20
	s_cbranch_execz .LBB254_2660
; %bb.818:
	v_bfe_u32 v11, v15, 21, 1
	s_mov_b32 s19, exec_lo
	s_delay_alu instid0(VALU_DEP_1) | instskip(NEXT) | instid1(VALU_DEP_1)
	v_add3_u32 v11, v15, v11, 0x88fffff
                                        ; implicit-def: $vgpr15
	v_lshrrev_b32_e32 v13, 21, v11
	s_and_not1_saveexec_b32 s20, s0
	s_cbranch_execnz .LBB254_2661
.LBB254_819:
	s_or_b32 exec_lo, exec_lo, s20
	v_mov_b32_e32 v11, 0
	s_and_saveexec_b32 s0, s19
.LBB254_820:
	v_mov_b32_e32 v11, v13
.LBB254_821:
	s_or_b32 exec_lo, exec_lo, s0
.LBB254_822:
	s_delay_alu instid0(SALU_CYCLE_1) | instskip(NEXT) | instid1(SALU_CYCLE_1)
	s_or_b32 exec_lo, exec_lo, s18
	s_or_b32 s19, s17, exec_lo
	s_xor_b32 s18, exec_lo, -1
.LBB254_823:
	s_or_b32 exec_lo, exec_lo, s15
	s_delay_alu instid0(SALU_CYCLE_1)
	s_and_not1_b32 s0, s17, exec_lo
	s_and_b32 s15, s19, exec_lo
	s_and_not1_b32 s16, s16, exec_lo
	s_and_b32 s18, s18, exec_lo
	s_or_b32 s17, s0, s15
	s_or_b32 s16, s16, s18
.LBB254_824:
	s_or_b32 exec_lo, exec_lo, s14
	s_delay_alu instid0(SALU_CYCLE_1)
	s_and_b32 s15, s17, exec_lo
	s_and_b32 s14, s16, exec_lo
.LBB254_825:
	s_and_not1_saveexec_b32 s13, s13
	s_cbranch_execz .LBB254_859
; %bb.826:
	s_mov_b32 s16, exec_lo
                                        ; implicit-def: $vgpr11
	v_cmpx_lt_i16_e32 26, v5
	s_xor_b32 s16, exec_lo, s16
	s_cbranch_execz .LBB254_844
; %bb.827:
	s_mov_b32 s17, exec_lo
                                        ; implicit-def: $vgpr11
	v_cmpx_lt_i16_e32 27, v5
	s_xor_b32 s17, exec_lo, s17
	s_cbranch_execz .LBB254_835
; %bb.828:
	s_wait_dscnt 0x0
	flat_load_b32 v11, v[22:23]
	s_mov_b32 s18, exec_lo
	s_wait_loadcnt_dscnt 0x0
	v_cvt_f32_u32_e32 v15, v11
	v_mov_b32_e32 v11, 0x80
	s_wait_xcnt 0x0
	s_delay_alu instid0(VALU_DEP_2)
	v_cmpx_gt_u32_e32 0x47800000, v15
	s_cbranch_execz .LBB254_834
; %bb.829:
	v_cmp_lt_u32_e64 s0, 0x37ffffff, v15
	s_mov_b32 s19, 0
                                        ; implicit-def: $vgpr13
	s_and_saveexec_b32 s20, s0
	s_delay_alu instid0(SALU_CYCLE_1)
	s_xor_b32 s0, exec_lo, s20
	s_cbranch_execz .LBB254_2662
; %bb.830:
	v_bfe_u32 v11, v15, 21, 1
	s_mov_b32 s19, exec_lo
	s_delay_alu instid0(VALU_DEP_1) | instskip(NEXT) | instid1(VALU_DEP_1)
	v_add3_u32 v11, v15, v11, 0x88fffff
                                        ; implicit-def: $vgpr15
	v_lshrrev_b32_e32 v13, 21, v11
	s_and_not1_saveexec_b32 s20, s0
	s_cbranch_execnz .LBB254_2663
.LBB254_831:
	s_or_b32 exec_lo, exec_lo, s20
	v_mov_b32_e32 v11, 0
	s_and_saveexec_b32 s0, s19
.LBB254_832:
	v_mov_b32_e32 v11, v13
.LBB254_833:
	s_or_b32 exec_lo, exec_lo, s0
.LBB254_834:
	s_delay_alu instid0(SALU_CYCLE_1)
	s_or_b32 exec_lo, exec_lo, s18
.LBB254_835:
	s_and_not1_saveexec_b32 s17, s17
	s_cbranch_execz .LBB254_843
; %bb.836:
	s_wait_dscnt 0x0
	flat_load_u16 v11, v[22:23]
	s_mov_b32 s18, exec_lo
	s_wait_loadcnt_dscnt 0x0
	v_cvt_f32_u32_e32 v15, v11
	v_mov_b32_e32 v11, 0x80
	s_wait_xcnt 0x0
	s_delay_alu instid0(VALU_DEP_2)
	v_cmpx_gt_u32_e32 0x47800000, v15
	s_cbranch_execz .LBB254_842
; %bb.837:
	v_cmp_lt_u32_e64 s0, 0x37ffffff, v15
	s_mov_b32 s19, 0
                                        ; implicit-def: $vgpr13
	s_and_saveexec_b32 s20, s0
	s_delay_alu instid0(SALU_CYCLE_1)
	s_xor_b32 s0, exec_lo, s20
	s_cbranch_execz .LBB254_2664
; %bb.838:
	v_bfe_u32 v11, v15, 21, 1
	s_mov_b32 s19, exec_lo
	s_delay_alu instid0(VALU_DEP_1) | instskip(NEXT) | instid1(VALU_DEP_1)
	v_add3_u32 v11, v15, v11, 0x88fffff
                                        ; implicit-def: $vgpr15
	v_lshrrev_b32_e32 v13, 21, v11
	s_and_not1_saveexec_b32 s20, s0
	s_cbranch_execnz .LBB254_2665
.LBB254_839:
	s_or_b32 exec_lo, exec_lo, s20
	v_mov_b32_e32 v11, 0
	s_and_saveexec_b32 s0, s19
.LBB254_840:
	v_mov_b32_e32 v11, v13
.LBB254_841:
	s_or_b32 exec_lo, exec_lo, s0
.LBB254_842:
	s_delay_alu instid0(SALU_CYCLE_1)
	s_or_b32 exec_lo, exec_lo, s18
.LBB254_843:
	s_delay_alu instid0(SALU_CYCLE_1)
	s_or_b32 exec_lo, exec_lo, s17
.LBB254_844:
	s_and_not1_saveexec_b32 s16, s16
	s_cbranch_execz .LBB254_858
; %bb.845:
	s_wait_dscnt 0x0
	flat_load_u8 v11, v[22:23]
	s_mov_b32 s17, 0
	s_mov_b32 s18, exec_lo
	s_wait_loadcnt_dscnt 0x0
	v_cmpx_lt_i16_e32 0x7f, v11
	s_xor_b32 s18, exec_lo, s18
	s_cbranch_execz .LBB254_2516
; %bb.846:
	s_mov_b32 s17, -1
	s_mov_b32 s19, exec_lo
	v_cmpx_eq_u16_e32 0x80, v11
; %bb.847:
	s_xor_b32 s17, exec_lo, -1
; %bb.848:
	s_or_b32 exec_lo, exec_lo, s19
	s_delay_alu instid0(SALU_CYCLE_1)
	s_and_b32 s17, s17, exec_lo
	s_or_saveexec_b32 s18, s18
	v_mov_b32_e32 v13, 0x7f800001
	s_xor_b32 exec_lo, exec_lo, s18
	s_cbranch_execnz .LBB254_2517
.LBB254_849:
	s_or_b32 exec_lo, exec_lo, s18
	s_and_saveexec_b32 s18, s17
	s_cbranch_execz .LBB254_851
.LBB254_850:
	v_and_b32_e32 v13, 0xffff, v11
	s_delay_alu instid0(VALU_DEP_1) | instskip(SKIP_1) | instid1(VALU_DEP_2)
	v_and_b32_e32 v15, 7, v13
	v_bfe_u32 v24, v13, 3, 4
	v_clz_i32_u32_e32 v19, v15
	s_delay_alu instid0(VALU_DEP_2) | instskip(NEXT) | instid1(VALU_DEP_2)
	v_cmp_eq_u32_e64 s0, 0, v24
	v_min_u32_e32 v19, 32, v19
	s_delay_alu instid0(VALU_DEP_1) | instskip(NEXT) | instid1(VALU_DEP_1)
	v_subrev_nc_u32_e32 v21, 28, v19
	v_dual_lshlrev_b32 v13, v21, v13 :: v_dual_sub_nc_u32 v19, 29, v19
	s_delay_alu instid0(VALU_DEP_1) | instskip(NEXT) | instid1(VALU_DEP_1)
	v_dual_lshlrev_b32 v11, 24, v11 :: v_dual_bitop2_b32 v13, 7, v13 bitop3:0x40
	v_dual_cndmask_b32 v13, v15, v13, s0 :: v_dual_cndmask_b32 v19, v24, v19, s0
	s_delay_alu instid0(VALU_DEP_2) | instskip(NEXT) | instid1(VALU_DEP_2)
	v_and_b32_e32 v11, 0x80000000, v11
	v_lshlrev_b32_e32 v13, 20, v13
	s_delay_alu instid0(VALU_DEP_3) | instskip(NEXT) | instid1(VALU_DEP_1)
	v_lshl_add_u32 v15, v19, 23, 0x3b800000
	v_or3_b32 v13, v11, v15, v13
.LBB254_851:
	s_or_b32 exec_lo, exec_lo, s18
	s_delay_alu instid0(VALU_DEP_1) | instskip(SKIP_2) | instid1(VALU_DEP_2)
	v_and_b32_e32 v15, 0x7fffffff, v13
	v_mov_b32_e32 v11, 0x80
	s_mov_b32 s17, exec_lo
	v_cmpx_gt_u32_e32 0x47800000, v15
	s_cbranch_execz .LBB254_857
; %bb.852:
	v_cmp_lt_u32_e64 s0, 0x37ffffff, v15
	s_mov_b32 s18, 0
                                        ; implicit-def: $vgpr15
	s_and_saveexec_b32 s19, s0
	s_delay_alu instid0(SALU_CYCLE_1)
	s_xor_b32 s0, exec_lo, s19
	s_cbranch_execz .LBB254_2595
; %bb.853:
	v_bfe_u32 v11, v13, 21, 1
	s_mov_b32 s18, exec_lo
	s_delay_alu instid0(VALU_DEP_1) | instskip(NEXT) | instid1(VALU_DEP_1)
	v_add3_u32 v11, v13, v11, 0x88fffff
	v_lshrrev_b32_e32 v15, 21, v11
	s_and_not1_saveexec_b32 s19, s0
	s_cbranch_execnz .LBB254_2596
.LBB254_854:
	s_or_b32 exec_lo, exec_lo, s19
	v_mov_b32_e32 v11, 0
	s_and_saveexec_b32 s0, s18
.LBB254_855:
	v_lshrrev_b32_e32 v11, 24, v13
	s_delay_alu instid0(VALU_DEP_1)
	v_and_or_b32 v11, 0x80, v11, v15
.LBB254_856:
	s_or_b32 exec_lo, exec_lo, s0
.LBB254_857:
	s_delay_alu instid0(SALU_CYCLE_1)
	s_or_b32 exec_lo, exec_lo, s17
.LBB254_858:
	s_delay_alu instid0(SALU_CYCLE_1) | instskip(NEXT) | instid1(SALU_CYCLE_1)
	s_or_b32 exec_lo, exec_lo, s16
	s_or_b32 s15, s15, exec_lo
.LBB254_859:
	s_or_b32 exec_lo, exec_lo, s13
	s_delay_alu instid0(SALU_CYCLE_1)
	s_and_b32 s13, s15, exec_lo
	s_and_b32 s14, s14, exec_lo
	s_and_not1_saveexec_b32 s12, s12
	s_cbranch_execnz .LBB254_2299
.LBB254_860:
	s_or_b32 exec_lo, exec_lo, s12
	s_mov_b32 s12, s7
	s_and_saveexec_b32 s0, s14
	s_cbranch_execnz .LBB254_2336
.LBB254_861:
	s_or_b32 exec_lo, exec_lo, s0
	s_and_saveexec_b32 s0, s10
	s_delay_alu instid0(SALU_CYCLE_1)
	s_xor_b32 s10, exec_lo, s0
	s_cbranch_execz .LBB254_869
.LBB254_862:
	s_wait_loadcnt_dscnt 0x0
	flat_load_u8 v11, v[22:23]
	s_mov_b32 s15, 0
	s_mov_b32 s14, exec_lo
	s_wait_loadcnt_dscnt 0x0
	v_cmp_ne_u16_e64 s0, 0, v11
	v_mov_b32_e32 v11, 0x80
	s_delay_alu instid0(VALU_DEP_2) | instskip(SKIP_1) | instid1(VALU_DEP_1)
	v_cndmask_b32_e64 v15, 0, 1.0, s0
	s_wait_xcnt 0x0
	v_cmpx_gt_u32_e32 0x47800000, v15
	s_cbranch_execz .LBB254_868
; %bb.863:
	v_cmp_lt_u32_e64 s0, 0x37ffffff, v15
                                        ; implicit-def: $vgpr13
	s_and_saveexec_b32 s16, s0
	s_delay_alu instid0(SALU_CYCLE_1)
	s_xor_b32 s0, exec_lo, s16
	s_cbranch_execz .LBB254_2435
; %bb.864:
	v_bfe_u32 v11, v15, 21, 1
	s_mov_b32 s15, exec_lo
	s_delay_alu instid0(VALU_DEP_1) | instskip(NEXT) | instid1(VALU_DEP_1)
	v_add3_u32 v11, v15, v11, 0x88fffff
                                        ; implicit-def: $vgpr15
	v_lshrrev_b32_e32 v13, 21, v11
	s_and_not1_saveexec_b32 s16, s0
	s_cbranch_execnz .LBB254_2436
.LBB254_865:
	s_or_b32 exec_lo, exec_lo, s16
	v_mov_b32_e32 v11, 0
	s_and_saveexec_b32 s0, s15
.LBB254_866:
	v_mov_b32_e32 v11, v13
.LBB254_867:
	s_or_b32 exec_lo, exec_lo, s0
.LBB254_868:
	s_delay_alu instid0(SALU_CYCLE_1) | instskip(NEXT) | instid1(SALU_CYCLE_1)
	s_or_b32 exec_lo, exec_lo, s14
	s_or_b32 s13, s13, exec_lo
.LBB254_869:
	s_or_b32 exec_lo, exec_lo, s10
	s_delay_alu instid0(SALU_CYCLE_1)
	s_and_not1_b32 s0, s7, exec_lo
	s_and_b32 s10, s12, exec_lo
	s_and_b32 s12, s13, exec_lo
	s_or_b32 s10, s0, s10
                                        ; implicit-def: $vgpr22_vgpr23
.LBB254_870:
	s_and_not1_saveexec_b32 s11, s11
	s_cbranch_execz .LBB254_978
; %bb.871:
	s_mov_b32 s13, exec_lo
                                        ; implicit-def: $vgpr11
	v_cmpx_lt_i16_e32 4, v5
	s_xor_b32 s13, exec_lo, s13
	s_cbranch_execz .LBB254_929
; %bb.872:
	s_mov_b32 s14, exec_lo
                                        ; implicit-def: $vgpr11
	v_cmpx_lt_i16_e32 7, v5
	s_xor_b32 s14, exec_lo, s14
	;; [unrolled: 6-line block ×4, first 2 shown]
	s_cbranch_execz .LBB254_882
; %bb.875:
	flat_load_b64 v[22:23], v[22:23]
	s_wait_loadcnt_dscnt 0x101
	v_mov_b32_e32 v11, 0x80
	s_mov_b32 s17, exec_lo
	s_wait_loadcnt_dscnt 0x0
	v_cvt_f32_f64_e32 v13, v[22:23]
	s_delay_alu instid0(VALU_DEP_1) | instskip(SKIP_1) | instid1(VALU_DEP_1)
	v_and_b32_e32 v15, 0x7fffffff, v13
	s_wait_xcnt 0x0
	v_cmpx_gt_u32_e32 0x47800000, v15
	s_cbranch_execz .LBB254_881
; %bb.876:
	v_cmp_lt_u32_e64 s0, 0x37ffffff, v15
	s_mov_b32 s18, 0
                                        ; implicit-def: $vgpr15
	s_and_saveexec_b32 s19, s0
	s_delay_alu instid0(SALU_CYCLE_1)
	s_xor_b32 s0, exec_lo, s19
	s_cbranch_execz .LBB254_2666
; %bb.877:
	v_bfe_u32 v11, v13, 21, 1
	s_mov_b32 s18, exec_lo
	s_delay_alu instid0(VALU_DEP_1) | instskip(NEXT) | instid1(VALU_DEP_1)
	v_add3_u32 v11, v13, v11, 0x88fffff
	v_lshrrev_b32_e32 v15, 21, v11
	s_and_not1_saveexec_b32 s19, s0
	s_cbranch_execnz .LBB254_2667
.LBB254_878:
	s_or_b32 exec_lo, exec_lo, s19
	v_mov_b32_e32 v11, 0
	s_and_saveexec_b32 s0, s18
.LBB254_879:
	v_lshrrev_b32_e32 v11, 24, v13
	s_delay_alu instid0(VALU_DEP_1)
	v_and_or_b32 v11, 0x80, v11, v15
.LBB254_880:
	s_or_b32 exec_lo, exec_lo, s0
.LBB254_881:
	s_delay_alu instid0(SALU_CYCLE_1)
	s_or_b32 exec_lo, exec_lo, s17
                                        ; implicit-def: $vgpr22_vgpr23
.LBB254_882:
	s_and_not1_saveexec_b32 s16, s16
	s_cbranch_execz .LBB254_890
; %bb.883:
	s_wait_loadcnt_dscnt 0x0
	flat_load_b32 v13, v[22:23]
	v_mov_b32_e32 v11, 0x80
	s_mov_b32 s17, exec_lo
	s_wait_loadcnt_dscnt 0x0
	v_and_b32_e32 v15, 0x7fffffff, v13
	s_wait_xcnt 0x0
	s_delay_alu instid0(VALU_DEP_1)
	v_cmpx_gt_u32_e32 0x47800000, v15
	s_cbranch_execz .LBB254_889
; %bb.884:
	v_cmp_lt_u32_e64 s0, 0x37ffffff, v15
	s_mov_b32 s18, 0
                                        ; implicit-def: $vgpr15
	s_and_saveexec_b32 s19, s0
	s_delay_alu instid0(SALU_CYCLE_1)
	s_xor_b32 s0, exec_lo, s19
	s_cbranch_execz .LBB254_2668
; %bb.885:
	v_bfe_u32 v11, v13, 21, 1
	s_mov_b32 s18, exec_lo
	s_delay_alu instid0(VALU_DEP_1) | instskip(NEXT) | instid1(VALU_DEP_1)
	v_add3_u32 v11, v13, v11, 0x88fffff
	v_lshrrev_b32_e32 v15, 21, v11
	s_and_not1_saveexec_b32 s19, s0
	s_cbranch_execnz .LBB254_2669
.LBB254_886:
	s_or_b32 exec_lo, exec_lo, s19
	v_mov_b32_e32 v11, 0
	s_and_saveexec_b32 s0, s18
.LBB254_887:
	v_lshrrev_b32_e32 v11, 24, v13
	s_delay_alu instid0(VALU_DEP_1)
	v_and_or_b32 v11, 0x80, v11, v15
.LBB254_888:
	s_or_b32 exec_lo, exec_lo, s0
.LBB254_889:
	s_delay_alu instid0(SALU_CYCLE_1)
	s_or_b32 exec_lo, exec_lo, s17
.LBB254_890:
	s_delay_alu instid0(SALU_CYCLE_1)
	s_or_b32 exec_lo, exec_lo, s16
                                        ; implicit-def: $vgpr22_vgpr23
.LBB254_891:
	s_and_not1_saveexec_b32 s15, s15
	s_cbranch_execz .LBB254_899
; %bb.892:
	s_wait_loadcnt_dscnt 0x0
	flat_load_b32 v11, v[22:23]
	s_mov_b32 s16, exec_lo
	s_wait_loadcnt_dscnt 0x0
	v_cvt_f32_f16_e32 v13, v11
	v_mov_b32_e32 v11, 0x80
	s_delay_alu instid0(VALU_DEP_2) | instskip(SKIP_1) | instid1(VALU_DEP_1)
	v_and_b32_e32 v15, 0x7fffffff, v13
	s_wait_xcnt 0x0
	v_cmpx_gt_u32_e32 0x47800000, v15
	s_cbranch_execz .LBB254_898
; %bb.893:
	v_cmp_lt_u32_e64 s0, 0x37ffffff, v15
	s_mov_b32 s17, 0
                                        ; implicit-def: $vgpr15
	s_and_saveexec_b32 s18, s0
	s_delay_alu instid0(SALU_CYCLE_1)
	s_xor_b32 s0, exec_lo, s18
	s_cbranch_execz .LBB254_2597
; %bb.894:
	v_bfe_u32 v11, v13, 21, 1
	s_mov_b32 s17, exec_lo
	s_delay_alu instid0(VALU_DEP_1) | instskip(NEXT) | instid1(VALU_DEP_1)
	v_add3_u32 v11, v13, v11, 0x88fffff
	v_lshrrev_b32_e32 v15, 21, v11
	s_and_not1_saveexec_b32 s18, s0
	s_cbranch_execnz .LBB254_2598
.LBB254_895:
	s_or_b32 exec_lo, exec_lo, s18
	v_mov_b32_e32 v11, 0
	s_and_saveexec_b32 s0, s17
.LBB254_896:
	v_lshrrev_b32_e32 v11, 24, v13
	s_delay_alu instid0(VALU_DEP_1)
	v_and_or_b32 v11, 0x80, v11, v15
.LBB254_897:
	s_or_b32 exec_lo, exec_lo, s0
.LBB254_898:
	s_delay_alu instid0(SALU_CYCLE_1)
	s_or_b32 exec_lo, exec_lo, s16
.LBB254_899:
	s_delay_alu instid0(SALU_CYCLE_1)
	s_or_b32 exec_lo, exec_lo, s15
                                        ; implicit-def: $vgpr22_vgpr23
.LBB254_900:
	s_and_not1_saveexec_b32 s14, s14
	s_cbranch_execz .LBB254_928
; %bb.901:
	s_mov_b32 s15, exec_lo
                                        ; implicit-def: $vgpr11
	v_cmpx_lt_i16_e32 5, v5
	s_xor_b32 s15, exec_lo, s15
	s_cbranch_execz .LBB254_919
; %bb.902:
	s_mov_b32 s16, exec_lo
                                        ; implicit-def: $vgpr11
	v_cmpx_lt_i16_e32 6, v5
	s_xor_b32 s16, exec_lo, s16
	s_cbranch_execz .LBB254_910
; %bb.903:
	flat_load_b64 v[22:23], v[22:23]
	s_wait_loadcnt_dscnt 0x101
	v_mov_b32_e32 v11, 0x80
	s_mov_b32 s17, exec_lo
	s_wait_loadcnt_dscnt 0x0
	v_cvt_f32_f64_e32 v13, v[22:23]
	s_delay_alu instid0(VALU_DEP_1) | instskip(SKIP_1) | instid1(VALU_DEP_1)
	v_and_b32_e32 v15, 0x7fffffff, v13
	s_wait_xcnt 0x0
	v_cmpx_gt_u32_e32 0x47800000, v15
	s_cbranch_execz .LBB254_909
; %bb.904:
	v_cmp_lt_u32_e64 s0, 0x37ffffff, v15
	s_mov_b32 s18, 0
                                        ; implicit-def: $vgpr15
	s_and_saveexec_b32 s19, s0
	s_delay_alu instid0(SALU_CYCLE_1)
	s_xor_b32 s0, exec_lo, s19
	s_cbranch_execz .LBB254_2670
; %bb.905:
	v_bfe_u32 v11, v13, 21, 1
	s_mov_b32 s18, exec_lo
	s_delay_alu instid0(VALU_DEP_1) | instskip(NEXT) | instid1(VALU_DEP_1)
	v_add3_u32 v11, v13, v11, 0x88fffff
	v_lshrrev_b32_e32 v15, 21, v11
	s_and_not1_saveexec_b32 s19, s0
	s_cbranch_execnz .LBB254_2671
.LBB254_906:
	s_or_b32 exec_lo, exec_lo, s19
	v_mov_b32_e32 v11, 0
	s_and_saveexec_b32 s0, s18
.LBB254_907:
	v_lshrrev_b32_e32 v11, 24, v13
	s_delay_alu instid0(VALU_DEP_1)
	v_and_or_b32 v11, 0x80, v11, v15
.LBB254_908:
	s_or_b32 exec_lo, exec_lo, s0
.LBB254_909:
	s_delay_alu instid0(SALU_CYCLE_1)
	s_or_b32 exec_lo, exec_lo, s17
                                        ; implicit-def: $vgpr22_vgpr23
.LBB254_910:
	s_and_not1_saveexec_b32 s16, s16
	s_cbranch_execz .LBB254_918
; %bb.911:
	s_wait_loadcnt_dscnt 0x0
	flat_load_b32 v13, v[22:23]
	v_mov_b32_e32 v11, 0x80
	s_mov_b32 s17, exec_lo
	s_wait_loadcnt_dscnt 0x0
	v_and_b32_e32 v15, 0x7fffffff, v13
	s_wait_xcnt 0x0
	s_delay_alu instid0(VALU_DEP_1)
	v_cmpx_gt_u32_e32 0x47800000, v15
	s_cbranch_execz .LBB254_917
; %bb.912:
	v_cmp_lt_u32_e64 s0, 0x37ffffff, v15
	s_mov_b32 s18, 0
                                        ; implicit-def: $vgpr15
	s_and_saveexec_b32 s19, s0
	s_delay_alu instid0(SALU_CYCLE_1)
	s_xor_b32 s0, exec_lo, s19
	s_cbranch_execz .LBB254_2672
; %bb.913:
	v_bfe_u32 v11, v13, 21, 1
	s_mov_b32 s18, exec_lo
	s_delay_alu instid0(VALU_DEP_1) | instskip(NEXT) | instid1(VALU_DEP_1)
	v_add3_u32 v11, v13, v11, 0x88fffff
	v_lshrrev_b32_e32 v15, 21, v11
	s_and_not1_saveexec_b32 s19, s0
	s_cbranch_execnz .LBB254_2673
.LBB254_914:
	s_or_b32 exec_lo, exec_lo, s19
	v_mov_b32_e32 v11, 0
	s_and_saveexec_b32 s0, s18
.LBB254_915:
	v_lshrrev_b32_e32 v11, 24, v13
	s_delay_alu instid0(VALU_DEP_1)
	v_and_or_b32 v11, 0x80, v11, v15
.LBB254_916:
	s_or_b32 exec_lo, exec_lo, s0
.LBB254_917:
	s_delay_alu instid0(SALU_CYCLE_1)
	s_or_b32 exec_lo, exec_lo, s17
.LBB254_918:
	s_delay_alu instid0(SALU_CYCLE_1)
	s_or_b32 exec_lo, exec_lo, s16
                                        ; implicit-def: $vgpr22_vgpr23
.LBB254_919:
	s_and_not1_saveexec_b32 s15, s15
	s_cbranch_execz .LBB254_927
; %bb.920:
	s_wait_loadcnt_dscnt 0x0
	flat_load_u16 v11, v[22:23]
	s_mov_b32 s16, exec_lo
	s_wait_loadcnt_dscnt 0x0
	v_cvt_f32_f16_e32 v13, v11
	v_mov_b32_e32 v11, 0x80
	s_delay_alu instid0(VALU_DEP_2) | instskip(SKIP_1) | instid1(VALU_DEP_1)
	v_and_b32_e32 v15, 0x7fffffff, v13
	s_wait_xcnt 0x0
	v_cmpx_gt_u32_e32 0x47800000, v15
	s_cbranch_execz .LBB254_926
; %bb.921:
	v_cmp_lt_u32_e64 s0, 0x37ffffff, v15
	s_mov_b32 s17, 0
                                        ; implicit-def: $vgpr15
	s_and_saveexec_b32 s18, s0
	s_delay_alu instid0(SALU_CYCLE_1)
	s_xor_b32 s0, exec_lo, s18
	s_cbranch_execz .LBB254_2599
; %bb.922:
	v_bfe_u32 v11, v13, 21, 1
	s_mov_b32 s17, exec_lo
	s_delay_alu instid0(VALU_DEP_1) | instskip(NEXT) | instid1(VALU_DEP_1)
	v_add3_u32 v11, v13, v11, 0x88fffff
	v_lshrrev_b32_e32 v15, 21, v11
	s_and_not1_saveexec_b32 s18, s0
	s_cbranch_execnz .LBB254_2600
.LBB254_923:
	s_or_b32 exec_lo, exec_lo, s18
	v_mov_b32_e32 v11, 0
	s_and_saveexec_b32 s0, s17
.LBB254_924:
	v_lshrrev_b32_e32 v11, 24, v13
	s_delay_alu instid0(VALU_DEP_1)
	v_and_or_b32 v11, 0x80, v11, v15
.LBB254_925:
	s_or_b32 exec_lo, exec_lo, s0
.LBB254_926:
	s_delay_alu instid0(SALU_CYCLE_1)
	s_or_b32 exec_lo, exec_lo, s16
.LBB254_927:
	s_delay_alu instid0(SALU_CYCLE_1)
	s_or_b32 exec_lo, exec_lo, s15
.LBB254_928:
	s_delay_alu instid0(SALU_CYCLE_1)
	s_or_b32 exec_lo, exec_lo, s14
                                        ; implicit-def: $vgpr22_vgpr23
.LBB254_929:
	s_and_not1_saveexec_b32 s13, s13
	s_cbranch_execz .LBB254_977
; %bb.930:
	s_mov_b32 s14, exec_lo
                                        ; implicit-def: $vgpr11
	v_cmpx_lt_i16_e32 1, v5
	s_xor_b32 s14, exec_lo, s14
	s_cbranch_execz .LBB254_958
; %bb.931:
	s_mov_b32 s15, exec_lo
                                        ; implicit-def: $vgpr11
	v_cmpx_lt_i16_e32 2, v5
	s_xor_b32 s15, exec_lo, s15
	;; [unrolled: 6-line block ×3, first 2 shown]
	s_cbranch_execz .LBB254_940
; %bb.933:
	flat_load_b64 v[22:23], v[22:23]
	s_mov_b32 s17, exec_lo
	s_wait_loadcnt_dscnt 0x0
	v_xor_b32_e32 v11, v22, v23
	v_cls_i32_e32 v13, v23
	s_delay_alu instid0(VALU_DEP_2) | instskip(NEXT) | instid1(VALU_DEP_1)
	v_ashrrev_i32_e32 v11, 31, v11
	v_add_nc_u32_e32 v11, 32, v11
	s_delay_alu instid0(VALU_DEP_1) | instskip(SKIP_1) | instid1(VALU_DEP_1)
	v_add_min_u32_e64 v11, v13, -1, v11
	s_wait_xcnt 0x0
	v_lshlrev_b64_e32 v[22:23], v11, v[22:23]
	v_sub_nc_u32_e32 v11, 32, v11
	s_delay_alu instid0(VALU_DEP_2) | instskip(NEXT) | instid1(VALU_DEP_1)
	v_min_u32_e32 v13, 1, v22
	v_or_b32_e32 v13, v23, v13
	s_delay_alu instid0(VALU_DEP_1) | instskip(NEXT) | instid1(VALU_DEP_1)
	v_cvt_f32_i32_e32 v13, v13
	v_ldexp_f32 v13, v13, v11
	v_mov_b32_e32 v11, 0x80
	s_delay_alu instid0(VALU_DEP_2) | instskip(NEXT) | instid1(VALU_DEP_1)
	v_and_b32_e32 v15, 0x7fffffff, v13
	v_cmpx_gt_u32_e32 0x47800000, v15
	s_cbranch_execz .LBB254_939
; %bb.934:
	v_cmp_lt_u32_e64 s0, 0x37ffffff, v15
	s_mov_b32 s18, 0
                                        ; implicit-def: $vgpr15
	s_and_saveexec_b32 s19, s0
	s_delay_alu instid0(SALU_CYCLE_1)
	s_xor_b32 s0, exec_lo, s19
	s_cbranch_execz .LBB254_2674
; %bb.935:
	v_bfe_u32 v11, v13, 21, 1
	s_mov_b32 s18, exec_lo
	s_delay_alu instid0(VALU_DEP_1) | instskip(NEXT) | instid1(VALU_DEP_1)
	v_add3_u32 v11, v13, v11, 0x88fffff
	v_lshrrev_b32_e32 v15, 21, v11
	s_and_not1_saveexec_b32 s19, s0
	s_cbranch_execnz .LBB254_2675
.LBB254_936:
	s_or_b32 exec_lo, exec_lo, s19
	v_mov_b32_e32 v11, 0
	s_and_saveexec_b32 s0, s18
.LBB254_937:
	v_lshrrev_b32_e32 v11, 24, v13
	s_delay_alu instid0(VALU_DEP_1)
	v_and_or_b32 v11, 0x80, v11, v15
.LBB254_938:
	s_or_b32 exec_lo, exec_lo, s0
.LBB254_939:
	s_delay_alu instid0(SALU_CYCLE_1)
	s_or_b32 exec_lo, exec_lo, s17
                                        ; implicit-def: $vgpr22_vgpr23
.LBB254_940:
	s_and_not1_saveexec_b32 s16, s16
	s_cbranch_execz .LBB254_948
; %bb.941:
	s_wait_loadcnt_dscnt 0x0
	flat_load_b32 v11, v[22:23]
	s_mov_b32 s17, exec_lo
	s_wait_loadcnt_dscnt 0x0
	v_cvt_f32_i32_e32 v13, v11
	v_mov_b32_e32 v11, 0x80
	s_delay_alu instid0(VALU_DEP_2) | instskip(SKIP_1) | instid1(VALU_DEP_1)
	v_and_b32_e32 v15, 0x7fffffff, v13
	s_wait_xcnt 0x0
	v_cmpx_gt_u32_e32 0x47800000, v15
	s_cbranch_execz .LBB254_947
; %bb.942:
	v_cmp_lt_u32_e64 s0, 0x37ffffff, v15
	s_mov_b32 s18, 0
                                        ; implicit-def: $vgpr15
	s_and_saveexec_b32 s19, s0
	s_delay_alu instid0(SALU_CYCLE_1)
	s_xor_b32 s0, exec_lo, s19
	s_cbranch_execz .LBB254_2676
; %bb.943:
	v_bfe_u32 v11, v13, 21, 1
	s_mov_b32 s18, exec_lo
	s_delay_alu instid0(VALU_DEP_1) | instskip(NEXT) | instid1(VALU_DEP_1)
	v_add3_u32 v11, v13, v11, 0x88fffff
	v_lshrrev_b32_e32 v15, 21, v11
	s_and_not1_saveexec_b32 s19, s0
	s_cbranch_execnz .LBB254_2677
.LBB254_944:
	s_or_b32 exec_lo, exec_lo, s19
	v_mov_b32_e32 v11, 0
	s_and_saveexec_b32 s0, s18
.LBB254_945:
	v_lshrrev_b32_e32 v11, 24, v13
	s_delay_alu instid0(VALU_DEP_1)
	v_and_or_b32 v11, 0x80, v11, v15
.LBB254_946:
	s_or_b32 exec_lo, exec_lo, s0
.LBB254_947:
	s_delay_alu instid0(SALU_CYCLE_1)
	s_or_b32 exec_lo, exec_lo, s17
.LBB254_948:
	s_delay_alu instid0(SALU_CYCLE_1)
	s_or_b32 exec_lo, exec_lo, s16
                                        ; implicit-def: $vgpr22_vgpr23
.LBB254_949:
	s_and_not1_saveexec_b32 s15, s15
	s_cbranch_execz .LBB254_957
; %bb.950:
	s_wait_loadcnt_dscnt 0x0
	flat_load_i16 v11, v[22:23]
	s_mov_b32 s16, exec_lo
	s_wait_loadcnt_dscnt 0x0
	v_cvt_f32_i32_e32 v13, v11
	v_mov_b32_e32 v11, 0x80
	s_delay_alu instid0(VALU_DEP_2) | instskip(SKIP_1) | instid1(VALU_DEP_1)
	v_and_b32_e32 v15, 0x7fffffff, v13
	s_wait_xcnt 0x0
	v_cmpx_gt_u32_e32 0x47800000, v15
	s_cbranch_execz .LBB254_956
; %bb.951:
	v_cmp_lt_u32_e64 s0, 0x37ffffff, v15
	s_mov_b32 s17, 0
                                        ; implicit-def: $vgpr15
	s_and_saveexec_b32 s18, s0
	s_delay_alu instid0(SALU_CYCLE_1)
	s_xor_b32 s0, exec_lo, s18
	s_cbranch_execz .LBB254_2601
; %bb.952:
	v_bfe_u32 v11, v13, 21, 1
	s_mov_b32 s17, exec_lo
	s_delay_alu instid0(VALU_DEP_1) | instskip(NEXT) | instid1(VALU_DEP_1)
	v_add3_u32 v11, v13, v11, 0x88fffff
	v_lshrrev_b32_e32 v15, 21, v11
	s_and_not1_saveexec_b32 s18, s0
	s_cbranch_execnz .LBB254_2602
.LBB254_953:
	s_or_b32 exec_lo, exec_lo, s18
	v_mov_b32_e32 v11, 0
	s_and_saveexec_b32 s0, s17
.LBB254_954:
	v_lshrrev_b32_e32 v11, 24, v13
	s_delay_alu instid0(VALU_DEP_1)
	v_and_or_b32 v11, 0x80, v11, v15
.LBB254_955:
	s_or_b32 exec_lo, exec_lo, s0
.LBB254_956:
	s_delay_alu instid0(SALU_CYCLE_1)
	s_or_b32 exec_lo, exec_lo, s16
.LBB254_957:
	s_delay_alu instid0(SALU_CYCLE_1)
	s_or_b32 exec_lo, exec_lo, s15
                                        ; implicit-def: $vgpr22_vgpr23
.LBB254_958:
	s_and_not1_saveexec_b32 s14, s14
	s_cbranch_execz .LBB254_976
; %bb.959:
	s_mov_b32 s15, exec_lo
                                        ; implicit-def: $vgpr11
	v_cmpx_lt_i16_e32 0, v5
	s_xor_b32 s15, exec_lo, s15
	s_cbranch_execz .LBB254_967
; %bb.960:
	s_wait_loadcnt_dscnt 0x0
	flat_load_i8 v11, v[22:23]
	s_mov_b32 s16, exec_lo
	s_wait_loadcnt_dscnt 0x0
	v_cvt_f32_i32_e32 v13, v11
	v_mov_b32_e32 v11, 0x80
	s_delay_alu instid0(VALU_DEP_2) | instskip(SKIP_1) | instid1(VALU_DEP_1)
	v_and_b32_e32 v15, 0x7fffffff, v13
	s_wait_xcnt 0x0
	v_cmpx_gt_u32_e32 0x47800000, v15
	s_cbranch_execz .LBB254_966
; %bb.961:
	v_cmp_lt_u32_e64 s0, 0x37ffffff, v15
	s_mov_b32 s17, 0
                                        ; implicit-def: $vgpr15
	s_and_saveexec_b32 s18, s0
	s_delay_alu instid0(SALU_CYCLE_1)
	s_xor_b32 s0, exec_lo, s18
	s_cbranch_execz .LBB254_2603
; %bb.962:
	v_bfe_u32 v11, v13, 21, 1
	s_mov_b32 s17, exec_lo
	s_delay_alu instid0(VALU_DEP_1) | instskip(NEXT) | instid1(VALU_DEP_1)
	v_add3_u32 v11, v13, v11, 0x88fffff
	v_lshrrev_b32_e32 v15, 21, v11
	s_and_not1_saveexec_b32 s18, s0
	s_cbranch_execnz .LBB254_2604
.LBB254_963:
	s_or_b32 exec_lo, exec_lo, s18
	v_mov_b32_e32 v11, 0
	s_and_saveexec_b32 s0, s17
.LBB254_964:
	v_lshrrev_b32_e32 v11, 24, v13
	s_delay_alu instid0(VALU_DEP_1)
	v_and_or_b32 v11, 0x80, v11, v15
.LBB254_965:
	s_or_b32 exec_lo, exec_lo, s0
.LBB254_966:
	s_delay_alu instid0(SALU_CYCLE_1)
	s_or_b32 exec_lo, exec_lo, s16
                                        ; implicit-def: $vgpr22_vgpr23
.LBB254_967:
	s_and_not1_saveexec_b32 s15, s15
	s_cbranch_execz .LBB254_975
; %bb.968:
	s_wait_loadcnt_dscnt 0x0
	flat_load_u8 v11, v[22:23]
	s_mov_b32 s16, exec_lo
	s_wait_loadcnt_dscnt 0x0
	v_cvt_f32_ubyte0_e32 v15, v11
	v_mov_b32_e32 v11, 0x80
	s_wait_xcnt 0x0
	s_delay_alu instid0(VALU_DEP_2)
	v_cmpx_gt_u32_e32 0x47800000, v15
	s_cbranch_execz .LBB254_974
; %bb.969:
	v_cmp_lt_u32_e64 s0, 0x37ffffff, v15
	s_mov_b32 s17, 0
                                        ; implicit-def: $vgpr13
	s_and_saveexec_b32 s18, s0
	s_delay_alu instid0(SALU_CYCLE_1)
	s_xor_b32 s0, exec_lo, s18
	s_cbranch_execz .LBB254_2605
; %bb.970:
	v_bfe_u32 v11, v15, 21, 1
	s_mov_b32 s17, exec_lo
	s_delay_alu instid0(VALU_DEP_1) | instskip(NEXT) | instid1(VALU_DEP_1)
	v_add3_u32 v11, v15, v11, 0x88fffff
                                        ; implicit-def: $vgpr15
	v_lshrrev_b32_e32 v13, 21, v11
	s_and_not1_saveexec_b32 s18, s0
	s_cbranch_execnz .LBB254_2606
.LBB254_971:
	s_or_b32 exec_lo, exec_lo, s18
	v_mov_b32_e32 v11, 0
	s_and_saveexec_b32 s0, s17
.LBB254_972:
	v_mov_b32_e32 v11, v13
.LBB254_973:
	s_or_b32 exec_lo, exec_lo, s0
.LBB254_974:
	s_delay_alu instid0(SALU_CYCLE_1)
	s_or_b32 exec_lo, exec_lo, s16
.LBB254_975:
	s_delay_alu instid0(SALU_CYCLE_1)
	s_or_b32 exec_lo, exec_lo, s15
.LBB254_976:
	s_delay_alu instid0(SALU_CYCLE_1)
	s_or_b32 exec_lo, exec_lo, s14
.LBB254_977:
	s_delay_alu instid0(SALU_CYCLE_1) | instskip(NEXT) | instid1(SALU_CYCLE_1)
	s_or_b32 exec_lo, exec_lo, s13
	s_or_b32 s12, s12, exec_lo
.LBB254_978:
	s_or_b32 exec_lo, exec_lo, s11
	s_mov_b32 s0, 0
	s_mov_b32 s13, 0
                                        ; implicit-def: $sgpr21
                                        ; implicit-def: $vgpr30_vgpr31
                                        ; implicit-def: $vgpr15
	s_and_saveexec_b32 s11, s12
	s_cbranch_execz .LBB254_2122
; %bb.979:
                                        ; implicit-def: $sgpr13
	s_and_saveexec_b32 s0, vcc_lo
	s_delay_alu instid0(SALU_CYCLE_1)
	s_xor_b32 s12, exec_lo, s0
	s_cbranch_execz .LBB254_993
; %bb.980:
	s_wait_loadcnt_dscnt 0x0
	v_and_b32_e32 v15, 0xff, v9
	s_mov_b32 s13, 0
	s_mov_b32 s14, exec_lo
	s_delay_alu instid0(VALU_DEP_1)
	v_cmpx_lt_i16_e32 0x7f, v15
	s_xor_b32 s14, exec_lo, s14
	s_cbranch_execz .LBB254_2354
; %bb.981:
	s_mov_b32 s13, -1
	s_mov_b32 s15, exec_lo
	v_cmpx_eq_u16_e32 0x80, v15
; %bb.982:
	s_xor_b32 s13, exec_lo, -1
; %bb.983:
	s_or_b32 exec_lo, exec_lo, s15
	s_delay_alu instid0(SALU_CYCLE_1)
	s_and_b32 s13, s13, exec_lo
                                        ; implicit-def: $vgpr15
	s_or_saveexec_b32 s14, s14
	v_mov_b32_e32 v13, 0x7f800001
	s_xor_b32 exec_lo, exec_lo, s14
	s_cbranch_execnz .LBB254_2355
.LBB254_984:
	s_or_b32 exec_lo, exec_lo, s14
	s_and_saveexec_b32 s14, s13
	s_cbranch_execz .LBB254_986
.LBB254_985:
	v_and_b32_e32 v13, 3, v9
	v_lshrrev_b16 v19, 2, v9
	s_delay_alu instid0(VALU_DEP_2) | instskip(NEXT) | instid1(VALU_DEP_2)
	v_clz_i32_u32_e32 v15, v13
	v_and_b32_e32 v19, 31, v19
	s_delay_alu instid0(VALU_DEP_2) | instskip(NEXT) | instid1(VALU_DEP_1)
	v_min_u32_e32 v15, 32, v15
	v_subrev_nc_u32_e32 v21, 29, v15
	s_delay_alu instid0(VALU_DEP_1) | instskip(SKIP_2) | instid1(VALU_DEP_3)
	v_dual_lshlrev_b32 v21, v21, v9 :: v_dual_sub_nc_u32 v15, 30, v15
	v_lshlrev_b32_e32 v9, 24, v9
	v_cmp_eq_u32_e64 s0, 0, v19
	v_and_b32_e32 v21, 3, v21
	s_delay_alu instid0(VALU_DEP_3) | instskip(NEXT) | instid1(VALU_DEP_2)
	v_and_b32_e32 v9, 0x80000000, v9
	v_dual_cndmask_b32 v15, v19, v15, s0 :: v_dual_cndmask_b32 v13, v13, v21, s0
	s_delay_alu instid0(VALU_DEP_1) | instskip(NEXT) | instid1(VALU_DEP_2)
	v_lshl_add_u32 v15, v15, 23, 0x37800000
	v_lshlrev_b32_e32 v13, 21, v13
	s_delay_alu instid0(VALU_DEP_1)
	v_or3_b32 v13, v9, v15, v13
.LBB254_986:
	s_or_b32 exec_lo, exec_lo, s14
	v_and_b32_e32 v15, 0xff, v11
	s_mov_b32 s13, 0
	s_mov_b32 s14, exec_lo
	s_delay_alu instid0(VALU_DEP_1)
	v_cmpx_lt_i16_e32 0x7f, v15
	s_xor_b32 s14, exec_lo, s14
	s_cbranch_execz .LBB254_2356
; %bb.987:
	s_mov_b32 s13, -1
	s_mov_b32 s15, exec_lo
	v_cmpx_eq_u16_e32 0x80, v15
; %bb.988:
	s_xor_b32 s13, exec_lo, -1
; %bb.989:
	s_or_b32 exec_lo, exec_lo, s15
	s_delay_alu instid0(SALU_CYCLE_1)
	s_and_b32 s13, s13, exec_lo
                                        ; implicit-def: $vgpr15
	s_or_saveexec_b32 s14, s14
	v_mov_b32_e32 v9, 0x7f800001
	s_xor_b32 exec_lo, exec_lo, s14
	s_cbranch_execnz .LBB254_2357
.LBB254_990:
	s_or_b32 exec_lo, exec_lo, s14
	s_and_saveexec_b32 s14, s13
	s_cbranch_execz .LBB254_992
.LBB254_991:
	v_and_b32_e32 v9, 3, v11
	v_lshrrev_b16 v19, 2, v11
	s_delay_alu instid0(VALU_DEP_2) | instskip(NEXT) | instid1(VALU_DEP_1)
	v_clz_i32_u32_e32 v15, v9
	v_min_u32_e32 v15, 32, v15
	s_delay_alu instid0(VALU_DEP_1) | instskip(NEXT) | instid1(VALU_DEP_1)
	v_subrev_nc_u32_e32 v21, 29, v15
	v_lshlrev_b32_e32 v21, v21, v11
	s_delay_alu instid0(VALU_DEP_1) | instskip(SKIP_1) | instid1(VALU_DEP_1)
	v_dual_sub_nc_u32 v15, 30, v15 :: v_dual_bitop2_b32 v21, 3, v21 bitop3:0x40
	v_and_b32_e32 v19, 31, v19
	v_cmp_eq_u32_e64 s0, 0, v19
	s_delay_alu instid0(VALU_DEP_1) | instskip(NEXT) | instid1(VALU_DEP_1)
	v_dual_cndmask_b32 v9, v9, v21, s0 :: v_dual_lshlrev_b32 v11, 24, v11
	v_dual_cndmask_b32 v15, v19, v15, s0 :: v_dual_lshlrev_b32 v9, 21, v9
	s_delay_alu instid0(VALU_DEP_2) | instskip(NEXT) | instid1(VALU_DEP_2)
	v_and_b32_e32 v11, 0x80000000, v11
	v_lshl_add_u32 v15, v15, 23, 0x37800000
	s_delay_alu instid0(VALU_DEP_1)
	v_or3_b32 v9, v11, v15, v9
.LBB254_992:
	s_or_b32 exec_lo, exec_lo, s14
	s_delay_alu instid0(VALU_DEP_1)
	v_cmp_neq_f32_e64 s13, v13, v9
                                        ; implicit-def: $vgpr11
                                        ; implicit-def: $vgpr9
.LBB254_993:
	s_and_not1_saveexec_b32 s12, s12
	s_cbranch_execz .LBB254_1007
; %bb.994:
	s_wait_loadcnt_dscnt 0x0
	v_and_b32_e32 v15, 0xff, v9
	s_mov_b32 s14, 0
	s_mov_b32 s15, exec_lo
	s_delay_alu instid0(VALU_DEP_1)
	v_cmpx_lt_i16_e32 0x7f, v15
	s_xor_b32 s15, exec_lo, s15
	s_cbranch_execz .LBB254_2358
; %bb.995:
	s_mov_b32 s14, -1
	s_mov_b32 s16, exec_lo
	v_cmpx_eq_u16_e32 0x80, v15
; %bb.996:
	s_xor_b32 s14, exec_lo, -1
; %bb.997:
	s_or_b32 exec_lo, exec_lo, s16
	s_delay_alu instid0(SALU_CYCLE_1)
	s_and_b32 s14, s14, exec_lo
                                        ; implicit-def: $vgpr15
	s_or_saveexec_b32 s15, s15
	v_mov_b32_e32 v13, 0x7f800001
	s_xor_b32 exec_lo, exec_lo, s15
	s_cbranch_execnz .LBB254_2359
.LBB254_998:
	s_or_b32 exec_lo, exec_lo, s15
	s_and_saveexec_b32 s15, s14
	s_cbranch_execz .LBB254_1000
.LBB254_999:
	v_and_b32_e32 v13, 3, v9
	v_lshrrev_b16 v19, 2, v9
	s_delay_alu instid0(VALU_DEP_2) | instskip(NEXT) | instid1(VALU_DEP_2)
	v_clz_i32_u32_e32 v15, v13
	v_and_b32_e32 v19, 31, v19
	s_delay_alu instid0(VALU_DEP_2) | instskip(NEXT) | instid1(VALU_DEP_1)
	v_min_u32_e32 v15, 32, v15
	v_subrev_nc_u32_e32 v21, 29, v15
	s_delay_alu instid0(VALU_DEP_1) | instskip(SKIP_2) | instid1(VALU_DEP_3)
	v_dual_lshlrev_b32 v21, v21, v9 :: v_dual_sub_nc_u32 v15, 30, v15
	v_lshlrev_b32_e32 v9, 24, v9
	v_cmp_eq_u32_e64 s0, 0, v19
	v_and_b32_e32 v21, 3, v21
	s_delay_alu instid0(VALU_DEP_3) | instskip(NEXT) | instid1(VALU_DEP_2)
	v_and_b32_e32 v9, 0x80000000, v9
	v_dual_cndmask_b32 v15, v19, v15, s0 :: v_dual_cndmask_b32 v13, v13, v21, s0
	s_delay_alu instid0(VALU_DEP_1) | instskip(NEXT) | instid1(VALU_DEP_2)
	v_lshl_add_u32 v15, v15, 23, 0x37800000
	v_lshlrev_b32_e32 v13, 21, v13
	s_delay_alu instid0(VALU_DEP_1)
	v_or3_b32 v13, v9, v15, v13
.LBB254_1000:
	s_or_b32 exec_lo, exec_lo, s15
	v_and_b32_e32 v15, 0xff, v11
	s_mov_b32 s14, 0
	s_mov_b32 s15, exec_lo
	s_delay_alu instid0(VALU_DEP_1)
	v_cmpx_lt_i16_e32 0x7f, v15
	s_xor_b32 s15, exec_lo, s15
	s_cbranch_execz .LBB254_2360
; %bb.1001:
	s_mov_b32 s14, -1
	s_mov_b32 s16, exec_lo
	v_cmpx_eq_u16_e32 0x80, v15
; %bb.1002:
	s_xor_b32 s14, exec_lo, -1
; %bb.1003:
	s_or_b32 exec_lo, exec_lo, s16
	s_delay_alu instid0(SALU_CYCLE_1)
	s_and_b32 s14, s14, exec_lo
                                        ; implicit-def: $vgpr15
	s_or_saveexec_b32 s15, s15
	v_mov_b32_e32 v9, 0x7f800001
	s_xor_b32 exec_lo, exec_lo, s15
	s_cbranch_execnz .LBB254_2361
.LBB254_1004:
	s_or_b32 exec_lo, exec_lo, s15
	s_and_saveexec_b32 s15, s14
	s_cbranch_execz .LBB254_1006
.LBB254_1005:
	v_and_b32_e32 v9, 3, v11
	v_lshrrev_b16 v19, 2, v11
	s_delay_alu instid0(VALU_DEP_2) | instskip(NEXT) | instid1(VALU_DEP_1)
	v_clz_i32_u32_e32 v15, v9
	v_min_u32_e32 v15, 32, v15
	s_delay_alu instid0(VALU_DEP_1) | instskip(NEXT) | instid1(VALU_DEP_1)
	v_subrev_nc_u32_e32 v21, 29, v15
	v_lshlrev_b32_e32 v21, v21, v11
	s_delay_alu instid0(VALU_DEP_1) | instskip(SKIP_1) | instid1(VALU_DEP_1)
	v_dual_sub_nc_u32 v15, 30, v15 :: v_dual_bitop2_b32 v21, 3, v21 bitop3:0x40
	v_and_b32_e32 v19, 31, v19
	v_cmp_eq_u32_e64 s0, 0, v19
	s_delay_alu instid0(VALU_DEP_1) | instskip(NEXT) | instid1(VALU_DEP_1)
	v_dual_cndmask_b32 v9, v9, v21, s0 :: v_dual_lshlrev_b32 v11, 24, v11
	v_dual_cndmask_b32 v15, v19, v15, s0 :: v_dual_lshlrev_b32 v9, 21, v9
	s_delay_alu instid0(VALU_DEP_2) | instskip(NEXT) | instid1(VALU_DEP_2)
	v_and_b32_e32 v11, 0x80000000, v11
	v_lshl_add_u32 v15, v15, 23, 0x37800000
	s_delay_alu instid0(VALU_DEP_1)
	v_or3_b32 v9, v11, v15, v9
.LBB254_1006:
	s_or_b32 exec_lo, exec_lo, s15
	s_delay_alu instid0(VALU_DEP_1) | instskip(SKIP_2) | instid1(SALU_CYCLE_1)
	v_cmp_eq_f32_e64 s0, v13, v9
	s_and_not1_b32 s13, s13, exec_lo
	s_and_b32 s0, s0, exec_lo
	s_or_b32 s13, s13, s0
.LBB254_1007:
	s_or_b32 exec_lo, exec_lo, s12
	v_mov_b32_e32 v21, 0
	s_mov_b32 s15, 0
	s_mov_b32 s12, s10
	s_mov_b32 s14, exec_lo
                                        ; implicit-def: $vgpr9
	s_delay_alu instid0(VALU_DEP_1)
	v_add_nc_u64_e32 v[20:21], v[2:3], v[20:21]
	v_cmpx_lt_i16_e32 10, v7
	s_xor_b32 s14, exec_lo, s14
	s_cbranch_execz .LBB254_1088
; %bb.1008:
	s_mov_b32 s12, 0
	s_mov_b32 s17, 0
	s_mov_b32 s16, 0
	s_mov_b32 s15, exec_lo
                                        ; implicit-def: $vgpr9
	v_cmpx_lt_i16_e32 25, v7
	s_xor_b32 s15, exec_lo, s15
	s_cbranch_execz .LBB254_2362
; %bb.1009:
	s_mov_b32 s18, 0
	s_mov_b32 s16, exec_lo
                                        ; implicit-def: $vgpr9
	v_cmpx_lt_i16_e32 28, v7
	s_xor_b32 s16, exec_lo, s16
	s_cbranch_execz .LBB254_1043
; %bb.1010:
	s_mov_b32 s19, 0
	s_mov_b32 s20, 0
	s_mov_b32 s17, exec_lo
                                        ; implicit-def: $vgpr9
	v_cmpx_lt_i16_e32 43, v7
	s_xor_b32 s17, exec_lo, s17
	s_cbranch_execz .LBB254_1032
; %bb.1011:
	s_mov_b32 s20, exec_lo
                                        ; implicit-def: $vgpr9
	v_cmpx_lt_i16_e32 45, v7
	s_xor_b32 s20, exec_lo, s20
	s_cbranch_execz .LBB254_1021
; %bb.1012:
	s_mov_b32 s21, -1
	s_mov_b32 s18, exec_lo
                                        ; implicit-def: $vgpr9
	v_cmpx_eq_u16_e32 46, v7
	s_cbranch_execz .LBB254_1020
; %bb.1013:
	s_wait_loadcnt_dscnt 0x0
	flat_load_b32 v9, v[20:21]
	s_mov_b32 s19, exec_lo
	s_wait_loadcnt_dscnt 0x0
	v_lshlrev_b32_e32 v11, 16, v9
	v_mov_b32_e32 v9, 0x80
	s_delay_alu instid0(VALU_DEP_2) | instskip(SKIP_1) | instid1(VALU_DEP_1)
	v_and_b32_e32 v13, 0x7fffffff, v11
	s_wait_xcnt 0x0
	v_cmpx_gt_u32_e32 0x47800000, v13
	s_cbranch_execz .LBB254_1019
; %bb.1014:
	v_cmp_lt_u32_e64 s0, 0x37ffffff, v13
	s_mov_b32 s21, 0
                                        ; implicit-def: $vgpr13
	s_and_saveexec_b32 s22, s0
	s_delay_alu instid0(SALU_CYCLE_1)
	s_xor_b32 s0, exec_lo, s22
	s_cbranch_execz .LBB254_2838
; %bb.1015:
	v_bfe_u32 v9, v11, 21, 1
	s_mov_b32 s21, exec_lo
	s_delay_alu instid0(VALU_DEP_1) | instskip(NEXT) | instid1(VALU_DEP_1)
	v_add3_u32 v9, v11, v9, 0x88fffff
	v_lshrrev_b32_e32 v13, 21, v9
	s_and_not1_saveexec_b32 s22, s0
	s_cbranch_execnz .LBB254_2839
.LBB254_1016:
	s_or_b32 exec_lo, exec_lo, s22
	v_mov_b32_e32 v9, 0
	s_and_saveexec_b32 s0, s21
.LBB254_1017:
	v_lshrrev_b32_e32 v9, 24, v11
	s_delay_alu instid0(VALU_DEP_1)
	v_and_or_b32 v9, 0x80, v9, v13
.LBB254_1018:
	s_or_b32 exec_lo, exec_lo, s0
.LBB254_1019:
	s_delay_alu instid0(SALU_CYCLE_1) | instskip(NEXT) | instid1(SALU_CYCLE_1)
	s_or_b32 exec_lo, exec_lo, s19
	s_mov_b32 s19, exec_lo
	s_xor_b32 s21, exec_lo, -1
.LBB254_1020:
	s_or_b32 exec_lo, exec_lo, s18
	s_delay_alu instid0(SALU_CYCLE_1)
	s_and_b32 s19, s19, exec_lo
	s_and_b32 s18, s21, exec_lo
.LBB254_1021:
	s_and_not1_saveexec_b32 s20, s20
	s_cbranch_execz .LBB254_1031
; %bb.1022:
	s_mov_b32 s22, -1
	s_mov_b32 s23, s19
	s_mov_b32 s21, exec_lo
                                        ; implicit-def: $vgpr9
	v_cmpx_eq_u16_e32 44, v7
	s_cbranch_execz .LBB254_1030
; %bb.1023:
	s_wait_loadcnt_dscnt 0x0
	flat_load_u8 v9, v[20:21]
	s_mov_b32 s23, 0
	s_mov_b32 s22, exec_lo
	s_wait_loadcnt_dscnt 0x0
	v_lshlrev_b32_e32 v11, 23, v9
	v_cmp_ne_u32_e64 s0, 0xff, v9
	s_delay_alu instid0(VALU_DEP_1) | instskip(SKIP_2) | instid1(VALU_DEP_2)
	v_cndmask_b32_e64 v11, 0x7f800001, v11, s0
	v_cmp_ne_u32_e64 s0, 0, v9
	v_mov_b32_e32 v9, 0x80
	v_cndmask_b32_e64 v13, 0x400000, v11, s0
	s_wait_xcnt 0x0
	s_delay_alu instid0(VALU_DEP_1)
	v_cmpx_gt_u32_e32 0x47800000, v13
	s_cbranch_execz .LBB254_1029
; %bb.1024:
	v_cmp_lt_u32_e64 s0, 0x37ffffff, v13
                                        ; implicit-def: $vgpr11
	s_and_saveexec_b32 s24, s0
	s_delay_alu instid0(SALU_CYCLE_1)
	s_xor_b32 s0, exec_lo, s24
	s_cbranch_execz .LBB254_2840
; %bb.1025:
	v_bfe_u32 v9, v13, 21, 1
	s_mov_b32 s23, exec_lo
	s_delay_alu instid0(VALU_DEP_1) | instskip(NEXT) | instid1(VALU_DEP_1)
	v_add3_u32 v9, v13, v9, 0x88fffff
                                        ; implicit-def: $vgpr13
	v_lshrrev_b32_e32 v11, 21, v9
	s_and_not1_saveexec_b32 s24, s0
	s_cbranch_execnz .LBB254_2841
.LBB254_1026:
	s_or_b32 exec_lo, exec_lo, s24
	v_mov_b32_e32 v9, 0
	s_and_saveexec_b32 s0, s23
.LBB254_1027:
	v_mov_b32_e32 v9, v11
.LBB254_1028:
	s_or_b32 exec_lo, exec_lo, s0
.LBB254_1029:
	s_delay_alu instid0(SALU_CYCLE_1) | instskip(NEXT) | instid1(SALU_CYCLE_1)
	s_or_b32 exec_lo, exec_lo, s22
	s_or_b32 s23, s19, exec_lo
	s_xor_b32 s22, exec_lo, -1
.LBB254_1030:
	s_or_b32 exec_lo, exec_lo, s21
	s_delay_alu instid0(SALU_CYCLE_1)
	s_and_not1_b32 s0, s19, exec_lo
	s_and_b32 s19, s23, exec_lo
	s_and_not1_b32 s18, s18, exec_lo
	s_and_b32 s21, s22, exec_lo
	s_or_b32 s19, s0, s19
	s_or_b32 s18, s18, s21
.LBB254_1031:
	s_or_b32 exec_lo, exec_lo, s20
	s_delay_alu instid0(SALU_CYCLE_1)
	s_and_b32 s20, s19, exec_lo
	s_and_b32 s19, s18, exec_lo
.LBB254_1032:
	s_and_not1_saveexec_b32 s17, s17
	s_cbranch_execz .LBB254_1042
; %bb.1033:
	s_mov_b32 s21, -1
	s_mov_b32 s22, s20
	s_mov_b32 s18, exec_lo
                                        ; implicit-def: $vgpr9
	v_cmpx_eq_u16_e32 29, v7
	s_cbranch_execz .LBB254_1041
; %bb.1034:
	flat_load_b64 v[22:23], v[20:21]
	s_mov_b32 s21, exec_lo
	s_wait_loadcnt_dscnt 0x0
	v_clz_i32_u32_e32 v9, v23
	s_delay_alu instid0(VALU_DEP_1) | instskip(NEXT) | instid1(VALU_DEP_1)
	v_min_u32_e32 v9, 32, v9
	v_lshlrev_b64_e32 v[22:23], v9, v[22:23]
	v_sub_nc_u32_e32 v9, 32, v9
	s_delay_alu instid0(VALU_DEP_2) | instskip(NEXT) | instid1(VALU_DEP_1)
	v_min_u32_e32 v11, 1, v22
	v_or_b32_e32 v11, v23, v11
	s_delay_alu instid0(VALU_DEP_1) | instskip(NEXT) | instid1(VALU_DEP_1)
	v_cvt_f32_u32_e32 v11, v11
	v_ldexp_f32 v13, v11, v9
	v_mov_b32_e32 v9, 0x80
	s_wait_xcnt 0x0
	s_delay_alu instid0(VALU_DEP_2)
	v_cmpx_gt_u32_e32 0x47800000, v13
	s_cbranch_execz .LBB254_1040
; %bb.1035:
	v_cmp_lt_u32_e64 s0, 0x37ffffff, v13
	s_mov_b32 s22, 0
                                        ; implicit-def: $vgpr11
	s_and_saveexec_b32 s23, s0
	s_delay_alu instid0(SALU_CYCLE_1)
	s_xor_b32 s0, exec_lo, s23
	s_cbranch_execz .LBB254_2755
; %bb.1036:
	v_bfe_u32 v9, v13, 21, 1
	s_mov_b32 s22, exec_lo
	s_delay_alu instid0(VALU_DEP_1) | instskip(NEXT) | instid1(VALU_DEP_1)
	v_add3_u32 v9, v13, v9, 0x88fffff
                                        ; implicit-def: $vgpr13
	v_lshrrev_b32_e32 v11, 21, v9
	s_and_not1_saveexec_b32 s23, s0
	s_cbranch_execnz .LBB254_2756
.LBB254_1037:
	s_or_b32 exec_lo, exec_lo, s23
	v_mov_b32_e32 v9, 0
	s_and_saveexec_b32 s0, s22
.LBB254_1038:
	v_mov_b32_e32 v9, v11
.LBB254_1039:
	s_or_b32 exec_lo, exec_lo, s0
.LBB254_1040:
	s_delay_alu instid0(SALU_CYCLE_1) | instskip(NEXT) | instid1(SALU_CYCLE_1)
	s_or_b32 exec_lo, exec_lo, s21
	s_or_b32 s22, s20, exec_lo
	s_xor_b32 s21, exec_lo, -1
.LBB254_1041:
	s_or_b32 exec_lo, exec_lo, s18
	s_delay_alu instid0(SALU_CYCLE_1)
	s_and_not1_b32 s0, s20, exec_lo
	s_and_b32 s18, s22, exec_lo
	s_and_not1_b32 s19, s19, exec_lo
	s_and_b32 s21, s21, exec_lo
	s_or_b32 s20, s0, s18
	s_or_b32 s19, s19, s21
.LBB254_1042:
	s_or_b32 exec_lo, exec_lo, s17
	s_delay_alu instid0(SALU_CYCLE_1)
	s_and_b32 s18, s20, exec_lo
	s_and_b32 s17, s19, exec_lo
.LBB254_1043:
	s_and_not1_saveexec_b32 s16, s16
	s_cbranch_execz .LBB254_1077
; %bb.1044:
	s_mov_b32 s19, exec_lo
                                        ; implicit-def: $vgpr9
	v_cmpx_lt_i16_e32 26, v7
	s_xor_b32 s19, exec_lo, s19
	s_cbranch_execz .LBB254_1062
; %bb.1045:
	s_mov_b32 s20, exec_lo
                                        ; implicit-def: $vgpr9
	v_cmpx_lt_i16_e32 27, v7
	s_xor_b32 s20, exec_lo, s20
	s_cbranch_execz .LBB254_1053
; %bb.1046:
	s_wait_loadcnt_dscnt 0x0
	flat_load_b32 v9, v[20:21]
	s_mov_b32 s21, exec_lo
	s_wait_loadcnt_dscnt 0x0
	v_cvt_f32_u32_e32 v13, v9
	v_mov_b32_e32 v9, 0x80
	s_wait_xcnt 0x0
	s_delay_alu instid0(VALU_DEP_2)
	v_cmpx_gt_u32_e32 0x47800000, v13
	s_cbranch_execz .LBB254_1052
; %bb.1047:
	v_cmp_lt_u32_e64 s0, 0x37ffffff, v13
	s_mov_b32 s22, 0
                                        ; implicit-def: $vgpr11
	s_and_saveexec_b32 s23, s0
	s_delay_alu instid0(SALU_CYCLE_1)
	s_xor_b32 s0, exec_lo, s23
	s_cbranch_execz .LBB254_2757
; %bb.1048:
	v_bfe_u32 v9, v13, 21, 1
	s_mov_b32 s22, exec_lo
	s_delay_alu instid0(VALU_DEP_1) | instskip(NEXT) | instid1(VALU_DEP_1)
	v_add3_u32 v9, v13, v9, 0x88fffff
                                        ; implicit-def: $vgpr13
	v_lshrrev_b32_e32 v11, 21, v9
	s_and_not1_saveexec_b32 s23, s0
	s_cbranch_execnz .LBB254_2758
.LBB254_1049:
	s_or_b32 exec_lo, exec_lo, s23
	v_mov_b32_e32 v9, 0
	s_and_saveexec_b32 s0, s22
.LBB254_1050:
	v_mov_b32_e32 v9, v11
.LBB254_1051:
	s_or_b32 exec_lo, exec_lo, s0
.LBB254_1052:
	s_delay_alu instid0(SALU_CYCLE_1)
	s_or_b32 exec_lo, exec_lo, s21
.LBB254_1053:
	s_and_not1_saveexec_b32 s20, s20
	s_cbranch_execz .LBB254_1061
; %bb.1054:
	s_wait_loadcnt_dscnt 0x0
	flat_load_u16 v9, v[20:21]
	s_mov_b32 s21, exec_lo
	s_wait_loadcnt_dscnt 0x0
	v_cvt_f32_u32_e32 v13, v9
	v_mov_b32_e32 v9, 0x80
	s_wait_xcnt 0x0
	s_delay_alu instid0(VALU_DEP_2)
	v_cmpx_gt_u32_e32 0x47800000, v13
	s_cbranch_execz .LBB254_1060
; %bb.1055:
	v_cmp_lt_u32_e64 s0, 0x37ffffff, v13
	s_mov_b32 s22, 0
                                        ; implicit-def: $vgpr11
	s_and_saveexec_b32 s23, s0
	s_delay_alu instid0(SALU_CYCLE_1)
	s_xor_b32 s0, exec_lo, s23
	s_cbranch_execz .LBB254_2759
; %bb.1056:
	v_bfe_u32 v9, v13, 21, 1
	s_mov_b32 s22, exec_lo
	s_delay_alu instid0(VALU_DEP_1) | instskip(NEXT) | instid1(VALU_DEP_1)
	v_add3_u32 v9, v13, v9, 0x88fffff
                                        ; implicit-def: $vgpr13
	v_lshrrev_b32_e32 v11, 21, v9
	s_and_not1_saveexec_b32 s23, s0
	s_cbranch_execnz .LBB254_2760
.LBB254_1057:
	s_or_b32 exec_lo, exec_lo, s23
	v_mov_b32_e32 v9, 0
	s_and_saveexec_b32 s0, s22
.LBB254_1058:
	v_mov_b32_e32 v9, v11
.LBB254_1059:
	s_or_b32 exec_lo, exec_lo, s0
.LBB254_1060:
	s_delay_alu instid0(SALU_CYCLE_1)
	s_or_b32 exec_lo, exec_lo, s21
.LBB254_1061:
	s_delay_alu instid0(SALU_CYCLE_1)
	s_or_b32 exec_lo, exec_lo, s20
.LBB254_1062:
	s_and_not1_saveexec_b32 s19, s19
	s_cbranch_execz .LBB254_1076
; %bb.1063:
	s_wait_loadcnt_dscnt 0x0
	flat_load_u8 v9, v[20:21]
	s_mov_b32 s20, 0
	s_mov_b32 s21, exec_lo
	s_wait_loadcnt_dscnt 0x0
	v_cmpx_lt_i16_e32 0x7f, v9
	s_xor_b32 s21, exec_lo, s21
	s_cbranch_execz .LBB254_2607
; %bb.1064:
	s_mov_b32 s20, -1
	s_mov_b32 s22, exec_lo
	v_cmpx_eq_u16_e32 0x80, v9
; %bb.1065:
	s_xor_b32 s20, exec_lo, -1
; %bb.1066:
	s_or_b32 exec_lo, exec_lo, s22
	s_delay_alu instid0(SALU_CYCLE_1)
	s_and_b32 s20, s20, exec_lo
	s_or_saveexec_b32 s21, s21
	v_mov_b32_e32 v11, 0x7f800001
	s_xor_b32 exec_lo, exec_lo, s21
	s_cbranch_execnz .LBB254_2608
.LBB254_1067:
	s_or_b32 exec_lo, exec_lo, s21
	s_and_saveexec_b32 s21, s20
	s_cbranch_execz .LBB254_1069
.LBB254_1068:
	v_and_b32_e32 v11, 0xffff, v9
	s_delay_alu instid0(VALU_DEP_1) | instskip(SKIP_1) | instid1(VALU_DEP_2)
	v_dual_lshlrev_b32 v9, 24, v9 :: v_dual_bitop2_b32 v13, 7, v11 bitop3:0x40
	v_bfe_u32 v22, v11, 3, 4
	v_and_b32_e32 v9, 0x80000000, v9
	s_delay_alu instid0(VALU_DEP_3) | instskip(NEXT) | instid1(VALU_DEP_3)
	v_clz_i32_u32_e32 v15, v13
	v_cmp_eq_u32_e64 s0, 0, v22
	s_delay_alu instid0(VALU_DEP_2) | instskip(NEXT) | instid1(VALU_DEP_1)
	v_min_u32_e32 v15, 32, v15
	v_subrev_nc_u32_e32 v19, 28, v15
	v_sub_nc_u32_e32 v15, 29, v15
	s_delay_alu instid0(VALU_DEP_2) | instskip(NEXT) | instid1(VALU_DEP_2)
	v_lshlrev_b32_e32 v11, v19, v11
	v_cndmask_b32_e64 v15, v22, v15, s0
	s_delay_alu instid0(VALU_DEP_2) | instskip(NEXT) | instid1(VALU_DEP_1)
	v_and_b32_e32 v11, 7, v11
	v_cndmask_b32_e64 v11, v13, v11, s0
	s_delay_alu instid0(VALU_DEP_3) | instskip(NEXT) | instid1(VALU_DEP_2)
	v_lshl_add_u32 v13, v15, 23, 0x3b800000
	v_lshlrev_b32_e32 v11, 20, v11
	s_delay_alu instid0(VALU_DEP_1)
	v_or3_b32 v11, v9, v13, v11
.LBB254_1069:
	s_or_b32 exec_lo, exec_lo, s21
	s_delay_alu instid0(VALU_DEP_1) | instskip(SKIP_2) | instid1(VALU_DEP_2)
	v_and_b32_e32 v13, 0x7fffffff, v11
	v_mov_b32_e32 v9, 0x80
	s_mov_b32 s20, exec_lo
	v_cmpx_gt_u32_e32 0x47800000, v13
	s_cbranch_execz .LBB254_1075
; %bb.1070:
	v_cmp_lt_u32_e64 s0, 0x37ffffff, v13
	s_mov_b32 s21, 0
                                        ; implicit-def: $vgpr13
	s_and_saveexec_b32 s22, s0
	s_delay_alu instid0(SALU_CYCLE_1)
	s_xor_b32 s0, exec_lo, s22
	s_cbranch_execz .LBB254_2678
; %bb.1071:
	v_bfe_u32 v9, v11, 21, 1
	s_mov_b32 s21, exec_lo
	s_delay_alu instid0(VALU_DEP_1) | instskip(NEXT) | instid1(VALU_DEP_1)
	v_add3_u32 v9, v11, v9, 0x88fffff
	v_lshrrev_b32_e32 v13, 21, v9
	s_and_not1_saveexec_b32 s22, s0
	s_cbranch_execnz .LBB254_2679
.LBB254_1072:
	s_or_b32 exec_lo, exec_lo, s22
	v_mov_b32_e32 v9, 0
	s_and_saveexec_b32 s0, s21
.LBB254_1073:
	v_lshrrev_b32_e32 v9, 24, v11
	s_delay_alu instid0(VALU_DEP_1)
	v_and_or_b32 v9, 0x80, v9, v13
.LBB254_1074:
	s_or_b32 exec_lo, exec_lo, s0
.LBB254_1075:
	s_delay_alu instid0(SALU_CYCLE_1)
	s_or_b32 exec_lo, exec_lo, s20
.LBB254_1076:
	s_delay_alu instid0(SALU_CYCLE_1) | instskip(NEXT) | instid1(SALU_CYCLE_1)
	s_or_b32 exec_lo, exec_lo, s19
	s_or_b32 s18, s18, exec_lo
.LBB254_1077:
	s_or_b32 exec_lo, exec_lo, s16
	s_delay_alu instid0(SALU_CYCLE_1)
	s_and_b32 s16, s18, exec_lo
	s_and_b32 s17, s17, exec_lo
	s_and_not1_saveexec_b32 s15, s15
	s_cbranch_execnz .LBB254_2363
.LBB254_1078:
	s_or_b32 exec_lo, exec_lo, s15
	s_mov_b32 s15, s10
	s_and_saveexec_b32 s0, s17
	s_cbranch_execnz .LBB254_2400
.LBB254_1079:
	s_or_b32 exec_lo, exec_lo, s0
	s_and_saveexec_b32 s0, s12
	s_delay_alu instid0(SALU_CYCLE_1)
	s_xor_b32 s12, exec_lo, s0
	s_cbranch_execz .LBB254_1087
.LBB254_1080:
	s_wait_loadcnt_dscnt 0x0
	flat_load_u8 v9, v[20:21]
	s_mov_b32 s18, 0
	s_mov_b32 s17, exec_lo
	s_wait_loadcnt_dscnt 0x0
	v_cmp_ne_u16_e64 s0, 0, v9
	v_mov_b32_e32 v9, 0x80
	s_delay_alu instid0(VALU_DEP_2) | instskip(SKIP_1) | instid1(VALU_DEP_1)
	v_cndmask_b32_e64 v13, 0, 1.0, s0
	s_wait_xcnt 0x0
	v_cmpx_gt_u32_e32 0x47800000, v13
	s_cbranch_execz .LBB254_1086
; %bb.1081:
	v_cmp_lt_u32_e64 s0, 0x37ffffff, v13
                                        ; implicit-def: $vgpr11
	s_and_saveexec_b32 s19, s0
	s_delay_alu instid0(SALU_CYCLE_1)
	s_xor_b32 s0, exec_lo, s19
	s_cbranch_execz .LBB254_2518
; %bb.1082:
	v_bfe_u32 v9, v13, 21, 1
	s_mov_b32 s18, exec_lo
	s_delay_alu instid0(VALU_DEP_1) | instskip(NEXT) | instid1(VALU_DEP_1)
	v_add3_u32 v9, v13, v9, 0x88fffff
                                        ; implicit-def: $vgpr13
	v_lshrrev_b32_e32 v11, 21, v9
	s_and_not1_saveexec_b32 s19, s0
	s_cbranch_execnz .LBB254_2519
.LBB254_1083:
	s_or_b32 exec_lo, exec_lo, s19
	v_mov_b32_e32 v9, 0
	s_and_saveexec_b32 s0, s18
.LBB254_1084:
	v_mov_b32_e32 v9, v11
.LBB254_1085:
	s_or_b32 exec_lo, exec_lo, s0
.LBB254_1086:
	s_delay_alu instid0(SALU_CYCLE_1) | instskip(NEXT) | instid1(SALU_CYCLE_1)
	s_or_b32 exec_lo, exec_lo, s17
	s_or_b32 s16, s16, exec_lo
.LBB254_1087:
	s_or_b32 exec_lo, exec_lo, s12
	s_delay_alu instid0(SALU_CYCLE_1)
	s_and_not1_b32 s0, s10, exec_lo
	s_and_b32 s12, s15, exec_lo
	s_and_b32 s15, s16, exec_lo
	s_or_b32 s12, s0, s12
                                        ; implicit-def: $vgpr20_vgpr21
.LBB254_1088:
	s_and_not1_saveexec_b32 s14, s14
	s_cbranch_execz .LBB254_1196
; %bb.1089:
	s_mov_b32 s16, exec_lo
                                        ; implicit-def: $vgpr9
	v_cmpx_lt_i16_e32 4, v7
	s_xor_b32 s16, exec_lo, s16
	s_cbranch_execz .LBB254_1147
; %bb.1090:
	s_mov_b32 s17, exec_lo
                                        ; implicit-def: $vgpr9
	v_cmpx_lt_i16_e32 7, v7
	s_xor_b32 s17, exec_lo, s17
	;; [unrolled: 6-line block ×4, first 2 shown]
	s_cbranch_execz .LBB254_1100
; %bb.1093:
	flat_load_b64 v[20:21], v[20:21]
	s_wait_loadcnt_dscnt 0x101
	v_mov_b32_e32 v9, 0x80
	s_mov_b32 s20, exec_lo
	s_wait_loadcnt_dscnt 0x0
	v_cvt_f32_f64_e32 v11, v[20:21]
	s_delay_alu instid0(VALU_DEP_1) | instskip(SKIP_1) | instid1(VALU_DEP_1)
	v_and_b32_e32 v13, 0x7fffffff, v11
	s_wait_xcnt 0x0
	v_cmpx_gt_u32_e32 0x47800000, v13
	s_cbranch_execz .LBB254_1099
; %bb.1094:
	v_cmp_lt_u32_e64 s0, 0x37ffffff, v13
	s_mov_b32 s21, 0
                                        ; implicit-def: $vgpr13
	s_and_saveexec_b32 s22, s0
	s_delay_alu instid0(SALU_CYCLE_1)
	s_xor_b32 s0, exec_lo, s22
	s_cbranch_execz .LBB254_2761
; %bb.1095:
	v_bfe_u32 v9, v11, 21, 1
	s_mov_b32 s21, exec_lo
	s_delay_alu instid0(VALU_DEP_1) | instskip(NEXT) | instid1(VALU_DEP_1)
	v_add3_u32 v9, v11, v9, 0x88fffff
	v_lshrrev_b32_e32 v13, 21, v9
	s_and_not1_saveexec_b32 s22, s0
	s_cbranch_execnz .LBB254_2762
.LBB254_1096:
	s_or_b32 exec_lo, exec_lo, s22
	v_mov_b32_e32 v9, 0
	s_and_saveexec_b32 s0, s21
.LBB254_1097:
	v_lshrrev_b32_e32 v9, 24, v11
	s_delay_alu instid0(VALU_DEP_1)
	v_and_or_b32 v9, 0x80, v9, v13
.LBB254_1098:
	s_or_b32 exec_lo, exec_lo, s0
.LBB254_1099:
	s_delay_alu instid0(SALU_CYCLE_1)
	s_or_b32 exec_lo, exec_lo, s20
                                        ; implicit-def: $vgpr20_vgpr21
.LBB254_1100:
	s_and_not1_saveexec_b32 s19, s19
	s_cbranch_execz .LBB254_1108
; %bb.1101:
	s_wait_loadcnt_dscnt 0x0
	flat_load_b32 v11, v[20:21]
	v_mov_b32_e32 v9, 0x80
	s_mov_b32 s20, exec_lo
	s_wait_loadcnt_dscnt 0x0
	v_and_b32_e32 v13, 0x7fffffff, v11
	s_wait_xcnt 0x0
	s_delay_alu instid0(VALU_DEP_1)
	v_cmpx_gt_u32_e32 0x47800000, v13
	s_cbranch_execz .LBB254_1107
; %bb.1102:
	v_cmp_lt_u32_e64 s0, 0x37ffffff, v13
	s_mov_b32 s21, 0
                                        ; implicit-def: $vgpr13
	s_and_saveexec_b32 s22, s0
	s_delay_alu instid0(SALU_CYCLE_1)
	s_xor_b32 s0, exec_lo, s22
	s_cbranch_execz .LBB254_2763
; %bb.1103:
	v_bfe_u32 v9, v11, 21, 1
	s_mov_b32 s21, exec_lo
	s_delay_alu instid0(VALU_DEP_1) | instskip(NEXT) | instid1(VALU_DEP_1)
	v_add3_u32 v9, v11, v9, 0x88fffff
	v_lshrrev_b32_e32 v13, 21, v9
	s_and_not1_saveexec_b32 s22, s0
	s_cbranch_execnz .LBB254_2764
.LBB254_1104:
	s_or_b32 exec_lo, exec_lo, s22
	v_mov_b32_e32 v9, 0
	s_and_saveexec_b32 s0, s21
.LBB254_1105:
	v_lshrrev_b32_e32 v9, 24, v11
	s_delay_alu instid0(VALU_DEP_1)
	v_and_or_b32 v9, 0x80, v9, v13
.LBB254_1106:
	s_or_b32 exec_lo, exec_lo, s0
.LBB254_1107:
	s_delay_alu instid0(SALU_CYCLE_1)
	s_or_b32 exec_lo, exec_lo, s20
.LBB254_1108:
	s_delay_alu instid0(SALU_CYCLE_1)
	s_or_b32 exec_lo, exec_lo, s19
                                        ; implicit-def: $vgpr20_vgpr21
.LBB254_1109:
	s_and_not1_saveexec_b32 s18, s18
	s_cbranch_execz .LBB254_1117
; %bb.1110:
	s_wait_loadcnt_dscnt 0x0
	flat_load_b32 v9, v[20:21]
	s_mov_b32 s19, exec_lo
	s_wait_loadcnt_dscnt 0x0
	v_cvt_f32_f16_e32 v11, v9
	v_mov_b32_e32 v9, 0x80
	s_delay_alu instid0(VALU_DEP_2) | instskip(SKIP_1) | instid1(VALU_DEP_1)
	v_and_b32_e32 v13, 0x7fffffff, v11
	s_wait_xcnt 0x0
	v_cmpx_gt_u32_e32 0x47800000, v13
	s_cbranch_execz .LBB254_1116
; %bb.1111:
	v_cmp_lt_u32_e64 s0, 0x37ffffff, v13
	s_mov_b32 s20, 0
                                        ; implicit-def: $vgpr13
	s_and_saveexec_b32 s21, s0
	s_delay_alu instid0(SALU_CYCLE_1)
	s_xor_b32 s0, exec_lo, s21
	s_cbranch_execz .LBB254_2680
; %bb.1112:
	v_bfe_u32 v9, v11, 21, 1
	s_mov_b32 s20, exec_lo
	s_delay_alu instid0(VALU_DEP_1) | instskip(NEXT) | instid1(VALU_DEP_1)
	v_add3_u32 v9, v11, v9, 0x88fffff
	v_lshrrev_b32_e32 v13, 21, v9
	s_and_not1_saveexec_b32 s21, s0
	s_cbranch_execnz .LBB254_2681
.LBB254_1113:
	s_or_b32 exec_lo, exec_lo, s21
	v_mov_b32_e32 v9, 0
	s_and_saveexec_b32 s0, s20
.LBB254_1114:
	v_lshrrev_b32_e32 v9, 24, v11
	s_delay_alu instid0(VALU_DEP_1)
	v_and_or_b32 v9, 0x80, v9, v13
.LBB254_1115:
	s_or_b32 exec_lo, exec_lo, s0
.LBB254_1116:
	s_delay_alu instid0(SALU_CYCLE_1)
	s_or_b32 exec_lo, exec_lo, s19
.LBB254_1117:
	s_delay_alu instid0(SALU_CYCLE_1)
	s_or_b32 exec_lo, exec_lo, s18
                                        ; implicit-def: $vgpr20_vgpr21
.LBB254_1118:
	s_and_not1_saveexec_b32 s17, s17
	s_cbranch_execz .LBB254_1146
; %bb.1119:
	s_mov_b32 s18, exec_lo
                                        ; implicit-def: $vgpr9
	v_cmpx_lt_i16_e32 5, v7
	s_xor_b32 s18, exec_lo, s18
	s_cbranch_execz .LBB254_1137
; %bb.1120:
	s_mov_b32 s19, exec_lo
                                        ; implicit-def: $vgpr9
	v_cmpx_lt_i16_e32 6, v7
	s_xor_b32 s19, exec_lo, s19
	s_cbranch_execz .LBB254_1128
; %bb.1121:
	flat_load_b64 v[20:21], v[20:21]
	s_wait_loadcnt_dscnt 0x101
	v_mov_b32_e32 v9, 0x80
	s_mov_b32 s20, exec_lo
	s_wait_loadcnt_dscnt 0x0
	v_cvt_f32_f64_e32 v11, v[20:21]
	s_delay_alu instid0(VALU_DEP_1) | instskip(SKIP_1) | instid1(VALU_DEP_1)
	v_and_b32_e32 v13, 0x7fffffff, v11
	s_wait_xcnt 0x0
	v_cmpx_gt_u32_e32 0x47800000, v13
	s_cbranch_execz .LBB254_1127
; %bb.1122:
	v_cmp_lt_u32_e64 s0, 0x37ffffff, v13
	s_mov_b32 s21, 0
                                        ; implicit-def: $vgpr13
	s_and_saveexec_b32 s22, s0
	s_delay_alu instid0(SALU_CYCLE_1)
	s_xor_b32 s0, exec_lo, s22
	s_cbranch_execz .LBB254_2765
; %bb.1123:
	v_bfe_u32 v9, v11, 21, 1
	s_mov_b32 s21, exec_lo
	s_delay_alu instid0(VALU_DEP_1) | instskip(NEXT) | instid1(VALU_DEP_1)
	v_add3_u32 v9, v11, v9, 0x88fffff
	v_lshrrev_b32_e32 v13, 21, v9
	s_and_not1_saveexec_b32 s22, s0
	s_cbranch_execnz .LBB254_2766
.LBB254_1124:
	s_or_b32 exec_lo, exec_lo, s22
	v_mov_b32_e32 v9, 0
	s_and_saveexec_b32 s0, s21
.LBB254_1125:
	v_lshrrev_b32_e32 v9, 24, v11
	s_delay_alu instid0(VALU_DEP_1)
	v_and_or_b32 v9, 0x80, v9, v13
.LBB254_1126:
	s_or_b32 exec_lo, exec_lo, s0
.LBB254_1127:
	s_delay_alu instid0(SALU_CYCLE_1)
	s_or_b32 exec_lo, exec_lo, s20
                                        ; implicit-def: $vgpr20_vgpr21
.LBB254_1128:
	s_and_not1_saveexec_b32 s19, s19
	s_cbranch_execz .LBB254_1136
; %bb.1129:
	s_wait_loadcnt_dscnt 0x0
	flat_load_b32 v11, v[20:21]
	v_mov_b32_e32 v9, 0x80
	s_mov_b32 s20, exec_lo
	s_wait_loadcnt_dscnt 0x0
	v_and_b32_e32 v13, 0x7fffffff, v11
	s_wait_xcnt 0x0
	s_delay_alu instid0(VALU_DEP_1)
	v_cmpx_gt_u32_e32 0x47800000, v13
	s_cbranch_execz .LBB254_1135
; %bb.1130:
	v_cmp_lt_u32_e64 s0, 0x37ffffff, v13
	s_mov_b32 s21, 0
                                        ; implicit-def: $vgpr13
	s_and_saveexec_b32 s22, s0
	s_delay_alu instid0(SALU_CYCLE_1)
	s_xor_b32 s0, exec_lo, s22
	s_cbranch_execz .LBB254_2767
; %bb.1131:
	v_bfe_u32 v9, v11, 21, 1
	s_mov_b32 s21, exec_lo
	s_delay_alu instid0(VALU_DEP_1) | instskip(NEXT) | instid1(VALU_DEP_1)
	v_add3_u32 v9, v11, v9, 0x88fffff
	v_lshrrev_b32_e32 v13, 21, v9
	s_and_not1_saveexec_b32 s22, s0
	s_cbranch_execnz .LBB254_2768
.LBB254_1132:
	s_or_b32 exec_lo, exec_lo, s22
	v_mov_b32_e32 v9, 0
	s_and_saveexec_b32 s0, s21
.LBB254_1133:
	v_lshrrev_b32_e32 v9, 24, v11
	s_delay_alu instid0(VALU_DEP_1)
	v_and_or_b32 v9, 0x80, v9, v13
.LBB254_1134:
	s_or_b32 exec_lo, exec_lo, s0
.LBB254_1135:
	s_delay_alu instid0(SALU_CYCLE_1)
	s_or_b32 exec_lo, exec_lo, s20
.LBB254_1136:
	s_delay_alu instid0(SALU_CYCLE_1)
	s_or_b32 exec_lo, exec_lo, s19
                                        ; implicit-def: $vgpr20_vgpr21
.LBB254_1137:
	s_and_not1_saveexec_b32 s18, s18
	s_cbranch_execz .LBB254_1145
; %bb.1138:
	s_wait_loadcnt_dscnt 0x0
	flat_load_u16 v9, v[20:21]
	s_mov_b32 s19, exec_lo
	s_wait_loadcnt_dscnt 0x0
	v_cvt_f32_f16_e32 v11, v9
	v_mov_b32_e32 v9, 0x80
	s_delay_alu instid0(VALU_DEP_2) | instskip(SKIP_1) | instid1(VALU_DEP_1)
	v_and_b32_e32 v13, 0x7fffffff, v11
	s_wait_xcnt 0x0
	v_cmpx_gt_u32_e32 0x47800000, v13
	s_cbranch_execz .LBB254_1144
; %bb.1139:
	v_cmp_lt_u32_e64 s0, 0x37ffffff, v13
	s_mov_b32 s20, 0
                                        ; implicit-def: $vgpr13
	s_and_saveexec_b32 s21, s0
	s_delay_alu instid0(SALU_CYCLE_1)
	s_xor_b32 s0, exec_lo, s21
	s_cbranch_execz .LBB254_2682
; %bb.1140:
	v_bfe_u32 v9, v11, 21, 1
	s_mov_b32 s20, exec_lo
	s_delay_alu instid0(VALU_DEP_1) | instskip(NEXT) | instid1(VALU_DEP_1)
	v_add3_u32 v9, v11, v9, 0x88fffff
	v_lshrrev_b32_e32 v13, 21, v9
	s_and_not1_saveexec_b32 s21, s0
	s_cbranch_execnz .LBB254_2683
.LBB254_1141:
	s_or_b32 exec_lo, exec_lo, s21
	v_mov_b32_e32 v9, 0
	s_and_saveexec_b32 s0, s20
.LBB254_1142:
	v_lshrrev_b32_e32 v9, 24, v11
	s_delay_alu instid0(VALU_DEP_1)
	v_and_or_b32 v9, 0x80, v9, v13
.LBB254_1143:
	s_or_b32 exec_lo, exec_lo, s0
.LBB254_1144:
	s_delay_alu instid0(SALU_CYCLE_1)
	s_or_b32 exec_lo, exec_lo, s19
.LBB254_1145:
	s_delay_alu instid0(SALU_CYCLE_1)
	s_or_b32 exec_lo, exec_lo, s18
.LBB254_1146:
	s_delay_alu instid0(SALU_CYCLE_1)
	s_or_b32 exec_lo, exec_lo, s17
                                        ; implicit-def: $vgpr20_vgpr21
.LBB254_1147:
	s_and_not1_saveexec_b32 s16, s16
	s_cbranch_execz .LBB254_1195
; %bb.1148:
	s_mov_b32 s17, exec_lo
                                        ; implicit-def: $vgpr9
	v_cmpx_lt_i16_e32 1, v7
	s_xor_b32 s17, exec_lo, s17
	s_cbranch_execz .LBB254_1176
; %bb.1149:
	s_mov_b32 s18, exec_lo
                                        ; implicit-def: $vgpr9
	v_cmpx_lt_i16_e32 2, v7
	s_xor_b32 s18, exec_lo, s18
	;; [unrolled: 6-line block ×3, first 2 shown]
	s_cbranch_execz .LBB254_1158
; %bb.1151:
	flat_load_b64 v[20:21], v[20:21]
	s_mov_b32 s20, exec_lo
	s_wait_loadcnt_dscnt 0x0
	v_xor_b32_e32 v9, v20, v21
	v_cls_i32_e32 v11, v21
	s_delay_alu instid0(VALU_DEP_2) | instskip(NEXT) | instid1(VALU_DEP_1)
	v_ashrrev_i32_e32 v9, 31, v9
	v_add_nc_u32_e32 v9, 32, v9
	s_delay_alu instid0(VALU_DEP_1) | instskip(SKIP_1) | instid1(VALU_DEP_1)
	v_add_min_u32_e64 v9, v11, -1, v9
	s_wait_xcnt 0x0
	v_lshlrev_b64_e32 v[20:21], v9, v[20:21]
	v_sub_nc_u32_e32 v9, 32, v9
	s_delay_alu instid0(VALU_DEP_2) | instskip(NEXT) | instid1(VALU_DEP_1)
	v_min_u32_e32 v11, 1, v20
	v_or_b32_e32 v11, v21, v11
	s_delay_alu instid0(VALU_DEP_1) | instskip(NEXT) | instid1(VALU_DEP_1)
	v_cvt_f32_i32_e32 v11, v11
	v_ldexp_f32 v11, v11, v9
	v_mov_b32_e32 v9, 0x80
	s_delay_alu instid0(VALU_DEP_2) | instskip(NEXT) | instid1(VALU_DEP_1)
	v_and_b32_e32 v13, 0x7fffffff, v11
	v_cmpx_gt_u32_e32 0x47800000, v13
	s_cbranch_execz .LBB254_1157
; %bb.1152:
	v_cmp_lt_u32_e64 s0, 0x37ffffff, v13
	s_mov_b32 s21, 0
                                        ; implicit-def: $vgpr13
	s_and_saveexec_b32 s22, s0
	s_delay_alu instid0(SALU_CYCLE_1)
	s_xor_b32 s0, exec_lo, s22
	s_cbranch_execz .LBB254_2769
; %bb.1153:
	v_bfe_u32 v9, v11, 21, 1
	s_mov_b32 s21, exec_lo
	s_delay_alu instid0(VALU_DEP_1) | instskip(NEXT) | instid1(VALU_DEP_1)
	v_add3_u32 v9, v11, v9, 0x88fffff
	v_lshrrev_b32_e32 v13, 21, v9
	s_and_not1_saveexec_b32 s22, s0
	s_cbranch_execnz .LBB254_2770
.LBB254_1154:
	s_or_b32 exec_lo, exec_lo, s22
	v_mov_b32_e32 v9, 0
	s_and_saveexec_b32 s0, s21
.LBB254_1155:
	v_lshrrev_b32_e32 v9, 24, v11
	s_delay_alu instid0(VALU_DEP_1)
	v_and_or_b32 v9, 0x80, v9, v13
.LBB254_1156:
	s_or_b32 exec_lo, exec_lo, s0
.LBB254_1157:
	s_delay_alu instid0(SALU_CYCLE_1)
	s_or_b32 exec_lo, exec_lo, s20
                                        ; implicit-def: $vgpr20_vgpr21
.LBB254_1158:
	s_and_not1_saveexec_b32 s19, s19
	s_cbranch_execz .LBB254_1166
; %bb.1159:
	s_wait_loadcnt_dscnt 0x0
	flat_load_b32 v9, v[20:21]
	s_mov_b32 s20, exec_lo
	s_wait_loadcnt_dscnt 0x0
	v_cvt_f32_i32_e32 v11, v9
	v_mov_b32_e32 v9, 0x80
	s_delay_alu instid0(VALU_DEP_2) | instskip(SKIP_1) | instid1(VALU_DEP_1)
	v_and_b32_e32 v13, 0x7fffffff, v11
	s_wait_xcnt 0x0
	v_cmpx_gt_u32_e32 0x47800000, v13
	s_cbranch_execz .LBB254_1165
; %bb.1160:
	v_cmp_lt_u32_e64 s0, 0x37ffffff, v13
	s_mov_b32 s21, 0
                                        ; implicit-def: $vgpr13
	s_and_saveexec_b32 s22, s0
	s_delay_alu instid0(SALU_CYCLE_1)
	s_xor_b32 s0, exec_lo, s22
	s_cbranch_execz .LBB254_2771
; %bb.1161:
	v_bfe_u32 v9, v11, 21, 1
	s_mov_b32 s21, exec_lo
	s_delay_alu instid0(VALU_DEP_1) | instskip(NEXT) | instid1(VALU_DEP_1)
	v_add3_u32 v9, v11, v9, 0x88fffff
	v_lshrrev_b32_e32 v13, 21, v9
	s_and_not1_saveexec_b32 s22, s0
	s_cbranch_execnz .LBB254_2772
.LBB254_1162:
	s_or_b32 exec_lo, exec_lo, s22
	v_mov_b32_e32 v9, 0
	s_and_saveexec_b32 s0, s21
.LBB254_1163:
	v_lshrrev_b32_e32 v9, 24, v11
	s_delay_alu instid0(VALU_DEP_1)
	v_and_or_b32 v9, 0x80, v9, v13
.LBB254_1164:
	s_or_b32 exec_lo, exec_lo, s0
.LBB254_1165:
	s_delay_alu instid0(SALU_CYCLE_1)
	s_or_b32 exec_lo, exec_lo, s20
.LBB254_1166:
	s_delay_alu instid0(SALU_CYCLE_1)
	s_or_b32 exec_lo, exec_lo, s19
                                        ; implicit-def: $vgpr20_vgpr21
.LBB254_1167:
	s_and_not1_saveexec_b32 s18, s18
	s_cbranch_execz .LBB254_1175
; %bb.1168:
	s_wait_loadcnt_dscnt 0x0
	flat_load_i16 v9, v[20:21]
	s_mov_b32 s19, exec_lo
	s_wait_loadcnt_dscnt 0x0
	v_cvt_f32_i32_e32 v11, v9
	v_mov_b32_e32 v9, 0x80
	s_delay_alu instid0(VALU_DEP_2) | instskip(SKIP_1) | instid1(VALU_DEP_1)
	v_and_b32_e32 v13, 0x7fffffff, v11
	s_wait_xcnt 0x0
	v_cmpx_gt_u32_e32 0x47800000, v13
	s_cbranch_execz .LBB254_1174
; %bb.1169:
	v_cmp_lt_u32_e64 s0, 0x37ffffff, v13
	s_mov_b32 s20, 0
                                        ; implicit-def: $vgpr13
	s_and_saveexec_b32 s21, s0
	s_delay_alu instid0(SALU_CYCLE_1)
	s_xor_b32 s0, exec_lo, s21
	s_cbranch_execz .LBB254_2684
; %bb.1170:
	v_bfe_u32 v9, v11, 21, 1
	s_mov_b32 s20, exec_lo
	s_delay_alu instid0(VALU_DEP_1) | instskip(NEXT) | instid1(VALU_DEP_1)
	v_add3_u32 v9, v11, v9, 0x88fffff
	v_lshrrev_b32_e32 v13, 21, v9
	s_and_not1_saveexec_b32 s21, s0
	s_cbranch_execnz .LBB254_2685
.LBB254_1171:
	s_or_b32 exec_lo, exec_lo, s21
	v_mov_b32_e32 v9, 0
	s_and_saveexec_b32 s0, s20
.LBB254_1172:
	v_lshrrev_b32_e32 v9, 24, v11
	s_delay_alu instid0(VALU_DEP_1)
	v_and_or_b32 v9, 0x80, v9, v13
.LBB254_1173:
	s_or_b32 exec_lo, exec_lo, s0
.LBB254_1174:
	s_delay_alu instid0(SALU_CYCLE_1)
	s_or_b32 exec_lo, exec_lo, s19
.LBB254_1175:
	s_delay_alu instid0(SALU_CYCLE_1)
	s_or_b32 exec_lo, exec_lo, s18
                                        ; implicit-def: $vgpr20_vgpr21
.LBB254_1176:
	s_and_not1_saveexec_b32 s17, s17
	s_cbranch_execz .LBB254_1194
; %bb.1177:
	s_mov_b32 s18, exec_lo
                                        ; implicit-def: $vgpr9
	v_cmpx_lt_i16_e32 0, v7
	s_xor_b32 s18, exec_lo, s18
	s_cbranch_execz .LBB254_1185
; %bb.1178:
	s_wait_loadcnt_dscnt 0x0
	flat_load_i8 v9, v[20:21]
	s_mov_b32 s19, exec_lo
	s_wait_loadcnt_dscnt 0x0
	v_cvt_f32_i32_e32 v11, v9
	v_mov_b32_e32 v9, 0x80
	s_delay_alu instid0(VALU_DEP_2) | instskip(SKIP_1) | instid1(VALU_DEP_1)
	v_and_b32_e32 v13, 0x7fffffff, v11
	s_wait_xcnt 0x0
	v_cmpx_gt_u32_e32 0x47800000, v13
	s_cbranch_execz .LBB254_1184
; %bb.1179:
	v_cmp_lt_u32_e64 s0, 0x37ffffff, v13
	s_mov_b32 s20, 0
                                        ; implicit-def: $vgpr13
	s_and_saveexec_b32 s21, s0
	s_delay_alu instid0(SALU_CYCLE_1)
	s_xor_b32 s0, exec_lo, s21
	s_cbranch_execz .LBB254_2686
; %bb.1180:
	v_bfe_u32 v9, v11, 21, 1
	s_mov_b32 s20, exec_lo
	s_delay_alu instid0(VALU_DEP_1) | instskip(NEXT) | instid1(VALU_DEP_1)
	v_add3_u32 v9, v11, v9, 0x88fffff
	v_lshrrev_b32_e32 v13, 21, v9
	s_and_not1_saveexec_b32 s21, s0
	s_cbranch_execnz .LBB254_2687
.LBB254_1181:
	s_or_b32 exec_lo, exec_lo, s21
	v_mov_b32_e32 v9, 0
	s_and_saveexec_b32 s0, s20
.LBB254_1182:
	v_lshrrev_b32_e32 v9, 24, v11
	s_delay_alu instid0(VALU_DEP_1)
	v_and_or_b32 v9, 0x80, v9, v13
.LBB254_1183:
	s_or_b32 exec_lo, exec_lo, s0
.LBB254_1184:
	s_delay_alu instid0(SALU_CYCLE_1)
	s_or_b32 exec_lo, exec_lo, s19
                                        ; implicit-def: $vgpr20_vgpr21
.LBB254_1185:
	s_and_not1_saveexec_b32 s18, s18
	s_cbranch_execz .LBB254_1193
; %bb.1186:
	s_wait_loadcnt_dscnt 0x0
	flat_load_u8 v9, v[20:21]
	s_mov_b32 s19, exec_lo
	s_wait_loadcnt_dscnt 0x0
	v_cvt_f32_ubyte0_e32 v13, v9
	v_mov_b32_e32 v9, 0x80
	s_wait_xcnt 0x0
	s_delay_alu instid0(VALU_DEP_2)
	v_cmpx_gt_u32_e32 0x47800000, v13
	s_cbranch_execz .LBB254_1192
; %bb.1187:
	v_cmp_lt_u32_e64 s0, 0x37ffffff, v13
	s_mov_b32 s20, 0
                                        ; implicit-def: $vgpr11
	s_and_saveexec_b32 s21, s0
	s_delay_alu instid0(SALU_CYCLE_1)
	s_xor_b32 s0, exec_lo, s21
	s_cbranch_execz .LBB254_2688
; %bb.1188:
	v_bfe_u32 v9, v13, 21, 1
	s_mov_b32 s20, exec_lo
	s_delay_alu instid0(VALU_DEP_1) | instskip(NEXT) | instid1(VALU_DEP_1)
	v_add3_u32 v9, v13, v9, 0x88fffff
                                        ; implicit-def: $vgpr13
	v_lshrrev_b32_e32 v11, 21, v9
	s_and_not1_saveexec_b32 s21, s0
	s_cbranch_execnz .LBB254_2689
.LBB254_1189:
	s_or_b32 exec_lo, exec_lo, s21
	v_mov_b32_e32 v9, 0
	s_and_saveexec_b32 s0, s20
.LBB254_1190:
	v_mov_b32_e32 v9, v11
.LBB254_1191:
	s_or_b32 exec_lo, exec_lo, s0
.LBB254_1192:
	s_delay_alu instid0(SALU_CYCLE_1)
	s_or_b32 exec_lo, exec_lo, s19
.LBB254_1193:
	s_delay_alu instid0(SALU_CYCLE_1)
	s_or_b32 exec_lo, exec_lo, s18
.LBB254_1194:
	s_delay_alu instid0(SALU_CYCLE_1)
	s_or_b32 exec_lo, exec_lo, s17
.LBB254_1195:
	s_delay_alu instid0(SALU_CYCLE_1) | instskip(NEXT) | instid1(SALU_CYCLE_1)
	s_or_b32 exec_lo, exec_lo, s16
	s_or_b32 s15, s15, exec_lo
.LBB254_1196:
	s_or_b32 exec_lo, exec_lo, s14
	s_mov_b32 s0, 0
	s_mov_b32 s16, 0
                                        ; implicit-def: $sgpr21
                                        ; implicit-def: $vgpr30_vgpr31
                                        ; implicit-def: $vgpr15
	s_and_saveexec_b32 s14, s15
	s_cbranch_execz .LBB254_2121
; %bb.1197:
	v_mov_b32_e32 v19, 0
	s_mov_b32 s17, 0
	s_mov_b32 s15, s12
	s_mov_b32 s16, exec_lo
                                        ; implicit-def: $vgpr11
	s_delay_alu instid0(VALU_DEP_1)
	v_add_nc_u64_e32 v[18:19], v[16:17], v[18:19]
	v_cmpx_lt_i16_e32 10, v5
	s_xor_b32 s16, exec_lo, s16
	s_cbranch_execz .LBB254_1278
; %bb.1198:
	s_mov_b32 s15, 0
	s_mov_b32 s19, 0
	;; [unrolled: 1-line block ×3, first 2 shown]
	s_mov_b32 s17, exec_lo
                                        ; implicit-def: $vgpr11
	v_cmpx_lt_i16_e32 25, v5
	s_xor_b32 s17, exec_lo, s17
	s_cbranch_execz .LBB254_2437
; %bb.1199:
	s_mov_b32 s20, 0
	s_mov_b32 s18, exec_lo
                                        ; implicit-def: $vgpr11
	v_cmpx_lt_i16_e32 28, v5
	s_xor_b32 s18, exec_lo, s18
	s_cbranch_execz .LBB254_1233
; %bb.1200:
	s_mov_b32 s21, 0
	s_mov_b32 s22, 0
	s_mov_b32 s19, exec_lo
                                        ; implicit-def: $vgpr11
	v_cmpx_lt_i16_e32 43, v5
	s_xor_b32 s19, exec_lo, s19
	s_cbranch_execz .LBB254_1222
; %bb.1201:
	s_mov_b32 s22, exec_lo
                                        ; implicit-def: $vgpr11
	v_cmpx_lt_i16_e32 45, v5
	s_xor_b32 s22, exec_lo, s22
	s_cbranch_execz .LBB254_1211
; %bb.1202:
	s_mov_b32 s23, -1
	s_mov_b32 s20, exec_lo
                                        ; implicit-def: $vgpr11
	v_cmpx_eq_u16_e32 46, v5
	s_cbranch_execz .LBB254_1210
; %bb.1203:
	s_wait_loadcnt_dscnt 0x0
	flat_load_b32 v11, v[18:19]
	s_mov_b32 s21, exec_lo
	s_wait_loadcnt_dscnt 0x0
	v_lshlrev_b32_e32 v13, 16, v11
	v_mov_b32_e32 v11, 0x80
	s_delay_alu instid0(VALU_DEP_2) | instskip(SKIP_1) | instid1(VALU_DEP_1)
	v_and_b32_e32 v15, 0x7fffffff, v13
	s_wait_xcnt 0x0
	v_cmpx_gt_u32_e32 0x47800000, v15
	s_cbranch_execz .LBB254_1209
; %bb.1204:
	v_cmp_lt_u32_e64 s0, 0x37ffffff, v15
	s_mov_b32 s23, 0
                                        ; implicit-def: $vgpr15
	s_and_saveexec_b32 s24, s0
	s_delay_alu instid0(SALU_CYCLE_1)
	s_xor_b32 s0, exec_lo, s24
	s_cbranch_execz .LBB254_2923
; %bb.1205:
	v_bfe_u32 v11, v13, 21, 1
	s_mov_b32 s23, exec_lo
	s_delay_alu instid0(VALU_DEP_1) | instskip(NEXT) | instid1(VALU_DEP_1)
	v_add3_u32 v11, v13, v11, 0x88fffff
	v_lshrrev_b32_e32 v15, 21, v11
	s_and_not1_saveexec_b32 s24, s0
	s_cbranch_execnz .LBB254_2924
.LBB254_1206:
	s_or_b32 exec_lo, exec_lo, s24
	v_mov_b32_e32 v11, 0
	s_and_saveexec_b32 s0, s23
.LBB254_1207:
	v_lshrrev_b32_e32 v11, 24, v13
	s_delay_alu instid0(VALU_DEP_1)
	v_and_or_b32 v11, 0x80, v11, v15
.LBB254_1208:
	s_or_b32 exec_lo, exec_lo, s0
.LBB254_1209:
	s_delay_alu instid0(SALU_CYCLE_1) | instskip(NEXT) | instid1(SALU_CYCLE_1)
	s_or_b32 exec_lo, exec_lo, s21
	s_mov_b32 s21, exec_lo
	s_xor_b32 s23, exec_lo, -1
.LBB254_1210:
	s_or_b32 exec_lo, exec_lo, s20
	s_delay_alu instid0(SALU_CYCLE_1)
	s_and_b32 s21, s21, exec_lo
	s_and_b32 s20, s23, exec_lo
.LBB254_1211:
	s_and_not1_saveexec_b32 s22, s22
	s_cbranch_execz .LBB254_1221
; %bb.1212:
	s_mov_b32 s24, -1
	s_mov_b32 s25, s21
	s_mov_b32 s23, exec_lo
                                        ; implicit-def: $vgpr11
	v_cmpx_eq_u16_e32 44, v5
	s_cbranch_execz .LBB254_1220
; %bb.1213:
	s_wait_loadcnt_dscnt 0x0
	flat_load_u8 v11, v[18:19]
	s_mov_b32 s25, 0
	s_mov_b32 s24, exec_lo
	s_wait_loadcnt_dscnt 0x0
	v_lshlrev_b32_e32 v13, 23, v11
	v_cmp_ne_u32_e64 s0, 0xff, v11
	s_delay_alu instid0(VALU_DEP_1) | instskip(SKIP_2) | instid1(VALU_DEP_2)
	v_cndmask_b32_e64 v13, 0x7f800001, v13, s0
	v_cmp_ne_u32_e64 s0, 0, v11
	v_mov_b32_e32 v11, 0x80
	v_cndmask_b32_e64 v15, 0x400000, v13, s0
	s_wait_xcnt 0x0
	s_delay_alu instid0(VALU_DEP_1)
	v_cmpx_gt_u32_e32 0x47800000, v15
	s_cbranch_execz .LBB254_1219
; %bb.1214:
	v_cmp_lt_u32_e64 s0, 0x37ffffff, v15
                                        ; implicit-def: $vgpr13
	s_and_saveexec_b32 s26, s0
	s_delay_alu instid0(SALU_CYCLE_1)
	s_xor_b32 s0, exec_lo, s26
	s_cbranch_execz .LBB254_2925
; %bb.1215:
	v_bfe_u32 v11, v15, 21, 1
	s_mov_b32 s25, exec_lo
	s_delay_alu instid0(VALU_DEP_1) | instskip(NEXT) | instid1(VALU_DEP_1)
	v_add3_u32 v11, v15, v11, 0x88fffff
                                        ; implicit-def: $vgpr15
	v_lshrrev_b32_e32 v13, 21, v11
	s_and_not1_saveexec_b32 s26, s0
	s_cbranch_execnz .LBB254_2926
.LBB254_1216:
	s_or_b32 exec_lo, exec_lo, s26
	v_mov_b32_e32 v11, 0
	s_and_saveexec_b32 s0, s25
.LBB254_1217:
	v_mov_b32_e32 v11, v13
.LBB254_1218:
	s_or_b32 exec_lo, exec_lo, s0
.LBB254_1219:
	s_delay_alu instid0(SALU_CYCLE_1) | instskip(NEXT) | instid1(SALU_CYCLE_1)
	s_or_b32 exec_lo, exec_lo, s24
	s_or_b32 s25, s21, exec_lo
	s_xor_b32 s24, exec_lo, -1
.LBB254_1220:
	s_or_b32 exec_lo, exec_lo, s23
	s_delay_alu instid0(SALU_CYCLE_1)
	s_and_not1_b32 s0, s21, exec_lo
	s_and_b32 s21, s25, exec_lo
	s_and_not1_b32 s20, s20, exec_lo
	s_and_b32 s23, s24, exec_lo
	s_or_b32 s21, s0, s21
	s_or_b32 s20, s20, s23
.LBB254_1221:
	s_or_b32 exec_lo, exec_lo, s22
	s_delay_alu instid0(SALU_CYCLE_1)
	s_and_b32 s22, s21, exec_lo
	s_and_b32 s21, s20, exec_lo
.LBB254_1222:
	s_and_not1_saveexec_b32 s19, s19
	s_cbranch_execz .LBB254_1232
; %bb.1223:
	s_mov_b32 s23, -1
	s_mov_b32 s24, s22
	s_mov_b32 s20, exec_lo
                                        ; implicit-def: $vgpr11
	v_cmpx_eq_u16_e32 29, v5
	s_cbranch_execz .LBB254_1231
; %bb.1224:
	flat_load_b64 v[20:21], v[18:19]
	s_mov_b32 s23, exec_lo
	s_wait_loadcnt_dscnt 0x0
	v_clz_i32_u32_e32 v11, v21
	s_delay_alu instid0(VALU_DEP_1) | instskip(NEXT) | instid1(VALU_DEP_1)
	v_min_u32_e32 v11, 32, v11
	v_lshlrev_b64_e32 v[20:21], v11, v[20:21]
	v_sub_nc_u32_e32 v11, 32, v11
	s_delay_alu instid0(VALU_DEP_2) | instskip(NEXT) | instid1(VALU_DEP_1)
	v_min_u32_e32 v13, 1, v20
	v_or_b32_e32 v13, v21, v13
	s_delay_alu instid0(VALU_DEP_1) | instskip(NEXT) | instid1(VALU_DEP_1)
	v_cvt_f32_u32_e32 v13, v13
	v_ldexp_f32 v15, v13, v11
	v_mov_b32_e32 v11, 0x80
	s_wait_xcnt 0x0
	s_delay_alu instid0(VALU_DEP_2)
	v_cmpx_gt_u32_e32 0x47800000, v15
	s_cbranch_execz .LBB254_1230
; %bb.1225:
	v_cmp_lt_u32_e64 s0, 0x37ffffff, v15
	s_mov_b32 s24, 0
                                        ; implicit-def: $vgpr13
	s_and_saveexec_b32 s25, s0
	s_delay_alu instid0(SALU_CYCLE_1)
	s_xor_b32 s0, exec_lo, s25
	s_cbranch_execz .LBB254_2842
; %bb.1226:
	v_bfe_u32 v11, v15, 21, 1
	s_mov_b32 s24, exec_lo
	s_delay_alu instid0(VALU_DEP_1) | instskip(NEXT) | instid1(VALU_DEP_1)
	v_add3_u32 v11, v15, v11, 0x88fffff
                                        ; implicit-def: $vgpr15
	v_lshrrev_b32_e32 v13, 21, v11
	s_and_not1_saveexec_b32 s25, s0
	s_cbranch_execnz .LBB254_2843
.LBB254_1227:
	s_or_b32 exec_lo, exec_lo, s25
	v_mov_b32_e32 v11, 0
	s_and_saveexec_b32 s0, s24
.LBB254_1228:
	v_mov_b32_e32 v11, v13
.LBB254_1229:
	s_or_b32 exec_lo, exec_lo, s0
.LBB254_1230:
	s_delay_alu instid0(SALU_CYCLE_1) | instskip(NEXT) | instid1(SALU_CYCLE_1)
	s_or_b32 exec_lo, exec_lo, s23
	s_or_b32 s24, s22, exec_lo
	s_xor_b32 s23, exec_lo, -1
.LBB254_1231:
	s_or_b32 exec_lo, exec_lo, s20
	s_delay_alu instid0(SALU_CYCLE_1)
	s_and_not1_b32 s0, s22, exec_lo
	s_and_b32 s20, s24, exec_lo
	s_and_not1_b32 s21, s21, exec_lo
	s_and_b32 s23, s23, exec_lo
	s_or_b32 s22, s0, s20
	s_or_b32 s21, s21, s23
.LBB254_1232:
	s_or_b32 exec_lo, exec_lo, s19
	s_delay_alu instid0(SALU_CYCLE_1)
	s_and_b32 s20, s22, exec_lo
	s_and_b32 s19, s21, exec_lo
.LBB254_1233:
	s_and_not1_saveexec_b32 s18, s18
	s_cbranch_execz .LBB254_1267
; %bb.1234:
	s_mov_b32 s21, exec_lo
                                        ; implicit-def: $vgpr11
	v_cmpx_lt_i16_e32 26, v5
	s_xor_b32 s21, exec_lo, s21
	s_cbranch_execz .LBB254_1252
; %bb.1235:
	s_mov_b32 s22, exec_lo
                                        ; implicit-def: $vgpr11
	v_cmpx_lt_i16_e32 27, v5
	s_xor_b32 s22, exec_lo, s22
	s_cbranch_execz .LBB254_1243
; %bb.1236:
	s_wait_loadcnt_dscnt 0x0
	flat_load_b32 v11, v[18:19]
	s_mov_b32 s23, exec_lo
	s_wait_loadcnt_dscnt 0x0
	v_cvt_f32_u32_e32 v15, v11
	v_mov_b32_e32 v11, 0x80
	s_wait_xcnt 0x0
	s_delay_alu instid0(VALU_DEP_2)
	v_cmpx_gt_u32_e32 0x47800000, v15
	s_cbranch_execz .LBB254_1242
; %bb.1237:
	v_cmp_lt_u32_e64 s0, 0x37ffffff, v15
	s_mov_b32 s24, 0
                                        ; implicit-def: $vgpr13
	s_and_saveexec_b32 s25, s0
	s_delay_alu instid0(SALU_CYCLE_1)
	s_xor_b32 s0, exec_lo, s25
	s_cbranch_execz .LBB254_2844
; %bb.1238:
	v_bfe_u32 v11, v15, 21, 1
	s_mov_b32 s24, exec_lo
	s_delay_alu instid0(VALU_DEP_1) | instskip(NEXT) | instid1(VALU_DEP_1)
	v_add3_u32 v11, v15, v11, 0x88fffff
                                        ; implicit-def: $vgpr15
	v_lshrrev_b32_e32 v13, 21, v11
	s_and_not1_saveexec_b32 s25, s0
	s_cbranch_execnz .LBB254_2845
.LBB254_1239:
	s_or_b32 exec_lo, exec_lo, s25
	v_mov_b32_e32 v11, 0
	s_and_saveexec_b32 s0, s24
.LBB254_1240:
	v_mov_b32_e32 v11, v13
.LBB254_1241:
	s_or_b32 exec_lo, exec_lo, s0
.LBB254_1242:
	s_delay_alu instid0(SALU_CYCLE_1)
	s_or_b32 exec_lo, exec_lo, s23
.LBB254_1243:
	s_and_not1_saveexec_b32 s22, s22
	s_cbranch_execz .LBB254_1251
; %bb.1244:
	s_wait_loadcnt_dscnt 0x0
	flat_load_u16 v11, v[18:19]
	s_mov_b32 s23, exec_lo
	s_wait_loadcnt_dscnt 0x0
	v_cvt_f32_u32_e32 v15, v11
	v_mov_b32_e32 v11, 0x80
	s_wait_xcnt 0x0
	s_delay_alu instid0(VALU_DEP_2)
	v_cmpx_gt_u32_e32 0x47800000, v15
	s_cbranch_execz .LBB254_1250
; %bb.1245:
	v_cmp_lt_u32_e64 s0, 0x37ffffff, v15
	s_mov_b32 s24, 0
                                        ; implicit-def: $vgpr13
	s_and_saveexec_b32 s25, s0
	s_delay_alu instid0(SALU_CYCLE_1)
	s_xor_b32 s0, exec_lo, s25
	s_cbranch_execz .LBB254_2846
; %bb.1246:
	v_bfe_u32 v11, v15, 21, 1
	s_mov_b32 s24, exec_lo
	s_delay_alu instid0(VALU_DEP_1) | instskip(NEXT) | instid1(VALU_DEP_1)
	v_add3_u32 v11, v15, v11, 0x88fffff
                                        ; implicit-def: $vgpr15
	v_lshrrev_b32_e32 v13, 21, v11
	s_and_not1_saveexec_b32 s25, s0
	s_cbranch_execnz .LBB254_2847
.LBB254_1247:
	s_or_b32 exec_lo, exec_lo, s25
	v_mov_b32_e32 v11, 0
	s_and_saveexec_b32 s0, s24
.LBB254_1248:
	v_mov_b32_e32 v11, v13
.LBB254_1249:
	s_or_b32 exec_lo, exec_lo, s0
.LBB254_1250:
	s_delay_alu instid0(SALU_CYCLE_1)
	s_or_b32 exec_lo, exec_lo, s23
.LBB254_1251:
	s_delay_alu instid0(SALU_CYCLE_1)
	s_or_b32 exec_lo, exec_lo, s22
.LBB254_1252:
	s_and_not1_saveexec_b32 s21, s21
	s_cbranch_execz .LBB254_1266
; %bb.1253:
	s_wait_loadcnt_dscnt 0x0
	flat_load_u8 v11, v[18:19]
	s_mov_b32 s22, 0
	s_mov_b32 s23, exec_lo
	s_wait_loadcnt_dscnt 0x0
	v_cmpx_lt_i16_e32 0x7f, v11
	s_xor_b32 s23, exec_lo, s23
	s_cbranch_execz .LBB254_2690
; %bb.1254:
	s_mov_b32 s22, -1
	s_mov_b32 s24, exec_lo
	v_cmpx_eq_u16_e32 0x80, v11
; %bb.1255:
	s_xor_b32 s22, exec_lo, -1
; %bb.1256:
	s_or_b32 exec_lo, exec_lo, s24
	s_delay_alu instid0(SALU_CYCLE_1)
	s_and_b32 s22, s22, exec_lo
	s_or_saveexec_b32 s23, s23
	v_mov_b32_e32 v13, 0x7f800001
	s_xor_b32 exec_lo, exec_lo, s23
	s_cbranch_execnz .LBB254_2691
.LBB254_1257:
	s_or_b32 exec_lo, exec_lo, s23
	s_and_saveexec_b32 s23, s22
	s_cbranch_execz .LBB254_1259
.LBB254_1258:
	v_and_b32_e32 v13, 0xffff, v11
	s_delay_alu instid0(VALU_DEP_1) | instskip(SKIP_1) | instid1(VALU_DEP_2)
	v_and_b32_e32 v15, 7, v13
	v_bfe_u32 v22, v13, 3, 4
	v_clz_i32_u32_e32 v20, v15
	s_delay_alu instid0(VALU_DEP_2) | instskip(NEXT) | instid1(VALU_DEP_2)
	v_cmp_eq_u32_e64 s0, 0, v22
	v_min_u32_e32 v20, 32, v20
	s_delay_alu instid0(VALU_DEP_1) | instskip(NEXT) | instid1(VALU_DEP_1)
	v_subrev_nc_u32_e32 v21, 28, v20
	v_dual_lshlrev_b32 v13, v21, v13 :: v_dual_sub_nc_u32 v20, 29, v20
	s_delay_alu instid0(VALU_DEP_1) | instskip(NEXT) | instid1(VALU_DEP_1)
	v_dual_lshlrev_b32 v11, 24, v11 :: v_dual_bitop2_b32 v13, 7, v13 bitop3:0x40
	v_dual_cndmask_b32 v20, v22, v20, s0 :: v_dual_cndmask_b32 v13, v15, v13, s0
	s_delay_alu instid0(VALU_DEP_2) | instskip(NEXT) | instid1(VALU_DEP_2)
	v_and_b32_e32 v11, 0x80000000, v11
	v_lshl_add_u32 v15, v20, 23, 0x3b800000
	s_delay_alu instid0(VALU_DEP_3) | instskip(NEXT) | instid1(VALU_DEP_1)
	v_lshlrev_b32_e32 v13, 20, v13
	v_or3_b32 v13, v11, v15, v13
.LBB254_1259:
	s_or_b32 exec_lo, exec_lo, s23
	s_delay_alu instid0(VALU_DEP_1) | instskip(SKIP_2) | instid1(VALU_DEP_2)
	v_and_b32_e32 v15, 0x7fffffff, v13
	v_mov_b32_e32 v11, 0x80
	s_mov_b32 s22, exec_lo
	v_cmpx_gt_u32_e32 0x47800000, v15
	s_cbranch_execz .LBB254_1265
; %bb.1260:
	v_cmp_lt_u32_e64 s0, 0x37ffffff, v15
	s_mov_b32 s23, 0
                                        ; implicit-def: $vgpr15
	s_and_saveexec_b32 s24, s0
	s_delay_alu instid0(SALU_CYCLE_1)
	s_xor_b32 s0, exec_lo, s24
	s_cbranch_execz .LBB254_2773
; %bb.1261:
	v_bfe_u32 v11, v13, 21, 1
	s_mov_b32 s23, exec_lo
	s_delay_alu instid0(VALU_DEP_1) | instskip(NEXT) | instid1(VALU_DEP_1)
	v_add3_u32 v11, v13, v11, 0x88fffff
	v_lshrrev_b32_e32 v15, 21, v11
	s_and_not1_saveexec_b32 s24, s0
	s_cbranch_execnz .LBB254_2774
.LBB254_1262:
	s_or_b32 exec_lo, exec_lo, s24
	v_mov_b32_e32 v11, 0
	s_and_saveexec_b32 s0, s23
.LBB254_1263:
	v_lshrrev_b32_e32 v11, 24, v13
	s_delay_alu instid0(VALU_DEP_1)
	v_and_or_b32 v11, 0x80, v11, v15
.LBB254_1264:
	s_or_b32 exec_lo, exec_lo, s0
.LBB254_1265:
	s_delay_alu instid0(SALU_CYCLE_1)
	s_or_b32 exec_lo, exec_lo, s22
.LBB254_1266:
	s_delay_alu instid0(SALU_CYCLE_1) | instskip(NEXT) | instid1(SALU_CYCLE_1)
	s_or_b32 exec_lo, exec_lo, s21
	s_or_b32 s20, s20, exec_lo
.LBB254_1267:
	s_or_b32 exec_lo, exec_lo, s18
	s_delay_alu instid0(SALU_CYCLE_1)
	s_and_b32 s18, s20, exec_lo
	s_and_b32 s19, s19, exec_lo
	s_and_not1_saveexec_b32 s17, s17
	s_cbranch_execnz .LBB254_2438
.LBB254_1268:
	s_or_b32 exec_lo, exec_lo, s17
	s_mov_b32 s17, s12
	s_and_saveexec_b32 s0, s19
	s_cbranch_execnz .LBB254_2475
.LBB254_1269:
	s_or_b32 exec_lo, exec_lo, s0
	s_and_saveexec_b32 s0, s15
	s_delay_alu instid0(SALU_CYCLE_1)
	s_xor_b32 s15, exec_lo, s0
	s_cbranch_execz .LBB254_1277
.LBB254_1270:
	s_wait_loadcnt_dscnt 0x0
	flat_load_u8 v11, v[18:19]
	s_mov_b32 s20, 0
	s_mov_b32 s19, exec_lo
	s_wait_loadcnt_dscnt 0x0
	v_cmp_ne_u16_e64 s0, 0, v11
	v_mov_b32_e32 v11, 0x80
	s_delay_alu instid0(VALU_DEP_2) | instskip(SKIP_1) | instid1(VALU_DEP_1)
	v_cndmask_b32_e64 v15, 0, 1.0, s0
	s_wait_xcnt 0x0
	v_cmpx_gt_u32_e32 0x47800000, v15
	s_cbranch_execz .LBB254_1276
; %bb.1271:
	v_cmp_lt_u32_e64 s0, 0x37ffffff, v15
                                        ; implicit-def: $vgpr13
	s_and_saveexec_b32 s21, s0
	s_delay_alu instid0(SALU_CYCLE_1)
	s_xor_b32 s0, exec_lo, s21
	s_cbranch_execz .LBB254_2609
; %bb.1272:
	v_bfe_u32 v11, v15, 21, 1
	s_mov_b32 s20, exec_lo
	s_delay_alu instid0(VALU_DEP_1) | instskip(NEXT) | instid1(VALU_DEP_1)
	v_add3_u32 v11, v15, v11, 0x88fffff
                                        ; implicit-def: $vgpr15
	v_lshrrev_b32_e32 v13, 21, v11
	s_and_not1_saveexec_b32 s21, s0
	s_cbranch_execnz .LBB254_2610
.LBB254_1273:
	s_or_b32 exec_lo, exec_lo, s21
	v_mov_b32_e32 v11, 0
	s_and_saveexec_b32 s0, s20
.LBB254_1274:
	v_mov_b32_e32 v11, v13
.LBB254_1275:
	s_or_b32 exec_lo, exec_lo, s0
.LBB254_1276:
	s_delay_alu instid0(SALU_CYCLE_1) | instskip(NEXT) | instid1(SALU_CYCLE_1)
	s_or_b32 exec_lo, exec_lo, s19
	s_or_b32 s18, s18, exec_lo
.LBB254_1277:
	s_or_b32 exec_lo, exec_lo, s15
	s_delay_alu instid0(SALU_CYCLE_1)
	s_and_not1_b32 s0, s12, exec_lo
	s_and_b32 s15, s17, exec_lo
	s_and_b32 s17, s18, exec_lo
	s_or_b32 s15, s0, s15
                                        ; implicit-def: $vgpr18_vgpr19
.LBB254_1278:
	s_and_not1_saveexec_b32 s16, s16
	s_cbranch_execz .LBB254_1386
; %bb.1279:
	s_mov_b32 s18, exec_lo
                                        ; implicit-def: $vgpr11
	v_cmpx_lt_i16_e32 4, v5
	s_xor_b32 s18, exec_lo, s18
	s_cbranch_execz .LBB254_1337
; %bb.1280:
	s_mov_b32 s19, exec_lo
                                        ; implicit-def: $vgpr11
	v_cmpx_lt_i16_e32 7, v5
	s_xor_b32 s19, exec_lo, s19
	;; [unrolled: 6-line block ×4, first 2 shown]
	s_cbranch_execz .LBB254_1290
; %bb.1283:
	flat_load_b64 v[18:19], v[18:19]
	s_wait_loadcnt_dscnt 0x101
	v_mov_b32_e32 v11, 0x80
	s_mov_b32 s22, exec_lo
	s_wait_loadcnt_dscnt 0x0
	v_cvt_f32_f64_e32 v13, v[18:19]
	s_delay_alu instid0(VALU_DEP_1) | instskip(SKIP_1) | instid1(VALU_DEP_1)
	v_and_b32_e32 v15, 0x7fffffff, v13
	s_wait_xcnt 0x0
	v_cmpx_gt_u32_e32 0x47800000, v15
	s_cbranch_execz .LBB254_1289
; %bb.1284:
	v_cmp_lt_u32_e64 s0, 0x37ffffff, v15
	s_mov_b32 s23, 0
                                        ; implicit-def: $vgpr15
	s_and_saveexec_b32 s24, s0
	s_delay_alu instid0(SALU_CYCLE_1)
	s_xor_b32 s0, exec_lo, s24
	s_cbranch_execz .LBB254_2848
; %bb.1285:
	v_bfe_u32 v11, v13, 21, 1
	s_mov_b32 s23, exec_lo
	s_delay_alu instid0(VALU_DEP_1) | instskip(NEXT) | instid1(VALU_DEP_1)
	v_add3_u32 v11, v13, v11, 0x88fffff
	v_lshrrev_b32_e32 v15, 21, v11
	s_and_not1_saveexec_b32 s24, s0
	s_cbranch_execnz .LBB254_2849
.LBB254_1286:
	s_or_b32 exec_lo, exec_lo, s24
	v_mov_b32_e32 v11, 0
	s_and_saveexec_b32 s0, s23
.LBB254_1287:
	v_lshrrev_b32_e32 v11, 24, v13
	s_delay_alu instid0(VALU_DEP_1)
	v_and_or_b32 v11, 0x80, v11, v15
.LBB254_1288:
	s_or_b32 exec_lo, exec_lo, s0
.LBB254_1289:
	s_delay_alu instid0(SALU_CYCLE_1)
	s_or_b32 exec_lo, exec_lo, s22
                                        ; implicit-def: $vgpr18_vgpr19
.LBB254_1290:
	s_and_not1_saveexec_b32 s21, s21
	s_cbranch_execz .LBB254_1298
; %bb.1291:
	s_wait_loadcnt_dscnt 0x0
	flat_load_b32 v13, v[18:19]
	v_mov_b32_e32 v11, 0x80
	s_mov_b32 s22, exec_lo
	s_wait_loadcnt_dscnt 0x0
	v_and_b32_e32 v15, 0x7fffffff, v13
	s_wait_xcnt 0x0
	s_delay_alu instid0(VALU_DEP_1)
	v_cmpx_gt_u32_e32 0x47800000, v15
	s_cbranch_execz .LBB254_1297
; %bb.1292:
	v_cmp_lt_u32_e64 s0, 0x37ffffff, v15
	s_mov_b32 s23, 0
                                        ; implicit-def: $vgpr15
	s_and_saveexec_b32 s24, s0
	s_delay_alu instid0(SALU_CYCLE_1)
	s_xor_b32 s0, exec_lo, s24
	s_cbranch_execz .LBB254_2850
; %bb.1293:
	v_bfe_u32 v11, v13, 21, 1
	s_mov_b32 s23, exec_lo
	s_delay_alu instid0(VALU_DEP_1) | instskip(NEXT) | instid1(VALU_DEP_1)
	v_add3_u32 v11, v13, v11, 0x88fffff
	v_lshrrev_b32_e32 v15, 21, v11
	s_and_not1_saveexec_b32 s24, s0
	s_cbranch_execnz .LBB254_2851
.LBB254_1294:
	s_or_b32 exec_lo, exec_lo, s24
	v_mov_b32_e32 v11, 0
	s_and_saveexec_b32 s0, s23
.LBB254_1295:
	v_lshrrev_b32_e32 v11, 24, v13
	s_delay_alu instid0(VALU_DEP_1)
	v_and_or_b32 v11, 0x80, v11, v15
.LBB254_1296:
	s_or_b32 exec_lo, exec_lo, s0
.LBB254_1297:
	s_delay_alu instid0(SALU_CYCLE_1)
	s_or_b32 exec_lo, exec_lo, s22
.LBB254_1298:
	s_delay_alu instid0(SALU_CYCLE_1)
	s_or_b32 exec_lo, exec_lo, s21
                                        ; implicit-def: $vgpr18_vgpr19
.LBB254_1299:
	s_and_not1_saveexec_b32 s20, s20
	s_cbranch_execz .LBB254_1307
; %bb.1300:
	s_wait_loadcnt_dscnt 0x0
	flat_load_b32 v11, v[18:19]
	s_mov_b32 s21, exec_lo
	s_wait_loadcnt_dscnt 0x0
	v_cvt_f32_f16_e32 v13, v11
	v_mov_b32_e32 v11, 0x80
	s_delay_alu instid0(VALU_DEP_2) | instskip(SKIP_1) | instid1(VALU_DEP_1)
	v_and_b32_e32 v15, 0x7fffffff, v13
	s_wait_xcnt 0x0
	v_cmpx_gt_u32_e32 0x47800000, v15
	s_cbranch_execz .LBB254_1306
; %bb.1301:
	v_cmp_lt_u32_e64 s0, 0x37ffffff, v15
	s_mov_b32 s22, 0
                                        ; implicit-def: $vgpr15
	s_and_saveexec_b32 s23, s0
	s_delay_alu instid0(SALU_CYCLE_1)
	s_xor_b32 s0, exec_lo, s23
	s_cbranch_execz .LBB254_2775
; %bb.1302:
	v_bfe_u32 v11, v13, 21, 1
	s_mov_b32 s22, exec_lo
	s_delay_alu instid0(VALU_DEP_1) | instskip(NEXT) | instid1(VALU_DEP_1)
	v_add3_u32 v11, v13, v11, 0x88fffff
	v_lshrrev_b32_e32 v15, 21, v11
	s_and_not1_saveexec_b32 s23, s0
	s_cbranch_execnz .LBB254_2776
.LBB254_1303:
	s_or_b32 exec_lo, exec_lo, s23
	v_mov_b32_e32 v11, 0
	s_and_saveexec_b32 s0, s22
.LBB254_1304:
	v_lshrrev_b32_e32 v11, 24, v13
	s_delay_alu instid0(VALU_DEP_1)
	v_and_or_b32 v11, 0x80, v11, v15
.LBB254_1305:
	s_or_b32 exec_lo, exec_lo, s0
.LBB254_1306:
	s_delay_alu instid0(SALU_CYCLE_1)
	s_or_b32 exec_lo, exec_lo, s21
.LBB254_1307:
	s_delay_alu instid0(SALU_CYCLE_1)
	s_or_b32 exec_lo, exec_lo, s20
                                        ; implicit-def: $vgpr18_vgpr19
.LBB254_1308:
	s_and_not1_saveexec_b32 s19, s19
	s_cbranch_execz .LBB254_1336
; %bb.1309:
	s_mov_b32 s20, exec_lo
                                        ; implicit-def: $vgpr11
	v_cmpx_lt_i16_e32 5, v5
	s_xor_b32 s20, exec_lo, s20
	s_cbranch_execz .LBB254_1327
; %bb.1310:
	s_mov_b32 s21, exec_lo
                                        ; implicit-def: $vgpr11
	v_cmpx_lt_i16_e32 6, v5
	s_xor_b32 s21, exec_lo, s21
	s_cbranch_execz .LBB254_1318
; %bb.1311:
	flat_load_b64 v[18:19], v[18:19]
	s_wait_loadcnt_dscnt 0x101
	v_mov_b32_e32 v11, 0x80
	s_mov_b32 s22, exec_lo
	s_wait_loadcnt_dscnt 0x0
	v_cvt_f32_f64_e32 v13, v[18:19]
	s_delay_alu instid0(VALU_DEP_1) | instskip(SKIP_1) | instid1(VALU_DEP_1)
	v_and_b32_e32 v15, 0x7fffffff, v13
	s_wait_xcnt 0x0
	v_cmpx_gt_u32_e32 0x47800000, v15
	s_cbranch_execz .LBB254_1317
; %bb.1312:
	v_cmp_lt_u32_e64 s0, 0x37ffffff, v15
	s_mov_b32 s23, 0
                                        ; implicit-def: $vgpr15
	s_and_saveexec_b32 s24, s0
	s_delay_alu instid0(SALU_CYCLE_1)
	s_xor_b32 s0, exec_lo, s24
	s_cbranch_execz .LBB254_2852
; %bb.1313:
	v_bfe_u32 v11, v13, 21, 1
	s_mov_b32 s23, exec_lo
	s_delay_alu instid0(VALU_DEP_1) | instskip(NEXT) | instid1(VALU_DEP_1)
	v_add3_u32 v11, v13, v11, 0x88fffff
	v_lshrrev_b32_e32 v15, 21, v11
	s_and_not1_saveexec_b32 s24, s0
	s_cbranch_execnz .LBB254_2853
.LBB254_1314:
	s_or_b32 exec_lo, exec_lo, s24
	v_mov_b32_e32 v11, 0
	s_and_saveexec_b32 s0, s23
.LBB254_1315:
	v_lshrrev_b32_e32 v11, 24, v13
	s_delay_alu instid0(VALU_DEP_1)
	v_and_or_b32 v11, 0x80, v11, v15
.LBB254_1316:
	s_or_b32 exec_lo, exec_lo, s0
.LBB254_1317:
	s_delay_alu instid0(SALU_CYCLE_1)
	s_or_b32 exec_lo, exec_lo, s22
                                        ; implicit-def: $vgpr18_vgpr19
.LBB254_1318:
	s_and_not1_saveexec_b32 s21, s21
	s_cbranch_execz .LBB254_1326
; %bb.1319:
	s_wait_loadcnt_dscnt 0x0
	flat_load_b32 v13, v[18:19]
	v_mov_b32_e32 v11, 0x80
	s_mov_b32 s22, exec_lo
	s_wait_loadcnt_dscnt 0x0
	v_and_b32_e32 v15, 0x7fffffff, v13
	s_wait_xcnt 0x0
	s_delay_alu instid0(VALU_DEP_1)
	v_cmpx_gt_u32_e32 0x47800000, v15
	s_cbranch_execz .LBB254_1325
; %bb.1320:
	v_cmp_lt_u32_e64 s0, 0x37ffffff, v15
	s_mov_b32 s23, 0
                                        ; implicit-def: $vgpr15
	s_and_saveexec_b32 s24, s0
	s_delay_alu instid0(SALU_CYCLE_1)
	s_xor_b32 s0, exec_lo, s24
	s_cbranch_execz .LBB254_2854
; %bb.1321:
	v_bfe_u32 v11, v13, 21, 1
	s_mov_b32 s23, exec_lo
	s_delay_alu instid0(VALU_DEP_1) | instskip(NEXT) | instid1(VALU_DEP_1)
	v_add3_u32 v11, v13, v11, 0x88fffff
	v_lshrrev_b32_e32 v15, 21, v11
	s_and_not1_saveexec_b32 s24, s0
	s_cbranch_execnz .LBB254_2855
.LBB254_1322:
	s_or_b32 exec_lo, exec_lo, s24
	v_mov_b32_e32 v11, 0
	s_and_saveexec_b32 s0, s23
.LBB254_1323:
	v_lshrrev_b32_e32 v11, 24, v13
	s_delay_alu instid0(VALU_DEP_1)
	v_and_or_b32 v11, 0x80, v11, v15
.LBB254_1324:
	s_or_b32 exec_lo, exec_lo, s0
.LBB254_1325:
	s_delay_alu instid0(SALU_CYCLE_1)
	s_or_b32 exec_lo, exec_lo, s22
.LBB254_1326:
	s_delay_alu instid0(SALU_CYCLE_1)
	s_or_b32 exec_lo, exec_lo, s21
                                        ; implicit-def: $vgpr18_vgpr19
.LBB254_1327:
	s_and_not1_saveexec_b32 s20, s20
	s_cbranch_execz .LBB254_1335
; %bb.1328:
	s_wait_loadcnt_dscnt 0x0
	flat_load_u16 v11, v[18:19]
	s_mov_b32 s21, exec_lo
	s_wait_loadcnt_dscnt 0x0
	v_cvt_f32_f16_e32 v13, v11
	v_mov_b32_e32 v11, 0x80
	s_delay_alu instid0(VALU_DEP_2) | instskip(SKIP_1) | instid1(VALU_DEP_1)
	v_and_b32_e32 v15, 0x7fffffff, v13
	s_wait_xcnt 0x0
	v_cmpx_gt_u32_e32 0x47800000, v15
	s_cbranch_execz .LBB254_1334
; %bb.1329:
	v_cmp_lt_u32_e64 s0, 0x37ffffff, v15
	s_mov_b32 s22, 0
                                        ; implicit-def: $vgpr15
	s_and_saveexec_b32 s23, s0
	s_delay_alu instid0(SALU_CYCLE_1)
	s_xor_b32 s0, exec_lo, s23
	s_cbranch_execz .LBB254_2777
; %bb.1330:
	v_bfe_u32 v11, v13, 21, 1
	s_mov_b32 s22, exec_lo
	s_delay_alu instid0(VALU_DEP_1) | instskip(NEXT) | instid1(VALU_DEP_1)
	v_add3_u32 v11, v13, v11, 0x88fffff
	v_lshrrev_b32_e32 v15, 21, v11
	s_and_not1_saveexec_b32 s23, s0
	s_cbranch_execnz .LBB254_2778
.LBB254_1331:
	s_or_b32 exec_lo, exec_lo, s23
	v_mov_b32_e32 v11, 0
	s_and_saveexec_b32 s0, s22
.LBB254_1332:
	v_lshrrev_b32_e32 v11, 24, v13
	s_delay_alu instid0(VALU_DEP_1)
	v_and_or_b32 v11, 0x80, v11, v15
.LBB254_1333:
	s_or_b32 exec_lo, exec_lo, s0
.LBB254_1334:
	s_delay_alu instid0(SALU_CYCLE_1)
	s_or_b32 exec_lo, exec_lo, s21
.LBB254_1335:
	s_delay_alu instid0(SALU_CYCLE_1)
	s_or_b32 exec_lo, exec_lo, s20
.LBB254_1336:
	s_delay_alu instid0(SALU_CYCLE_1)
	s_or_b32 exec_lo, exec_lo, s19
                                        ; implicit-def: $vgpr18_vgpr19
.LBB254_1337:
	s_and_not1_saveexec_b32 s18, s18
	s_cbranch_execz .LBB254_1385
; %bb.1338:
	s_mov_b32 s19, exec_lo
                                        ; implicit-def: $vgpr11
	v_cmpx_lt_i16_e32 1, v5
	s_xor_b32 s19, exec_lo, s19
	s_cbranch_execz .LBB254_1366
; %bb.1339:
	s_mov_b32 s20, exec_lo
                                        ; implicit-def: $vgpr11
	v_cmpx_lt_i16_e32 2, v5
	s_xor_b32 s20, exec_lo, s20
	s_cbranch_execz .LBB254_1357
; %bb.1340:
	s_mov_b32 s21, exec_lo
                                        ; implicit-def: $vgpr11
	v_cmpx_lt_i16_e32 3, v5
	s_xor_b32 s21, exec_lo, s21
	s_cbranch_execz .LBB254_1348
; %bb.1341:
	flat_load_b64 v[18:19], v[18:19]
	s_mov_b32 s22, exec_lo
	s_wait_loadcnt_dscnt 0x0
	v_xor_b32_e32 v11, v18, v19
	v_cls_i32_e32 v13, v19
	s_delay_alu instid0(VALU_DEP_2) | instskip(NEXT) | instid1(VALU_DEP_1)
	v_ashrrev_i32_e32 v11, 31, v11
	v_add_nc_u32_e32 v11, 32, v11
	s_delay_alu instid0(VALU_DEP_1) | instskip(SKIP_1) | instid1(VALU_DEP_1)
	v_add_min_u32_e64 v11, v13, -1, v11
	s_wait_xcnt 0x0
	v_lshlrev_b64_e32 v[18:19], v11, v[18:19]
	v_sub_nc_u32_e32 v11, 32, v11
	s_delay_alu instid0(VALU_DEP_2) | instskip(NEXT) | instid1(VALU_DEP_1)
	v_min_u32_e32 v13, 1, v18
	v_or_b32_e32 v13, v19, v13
	s_delay_alu instid0(VALU_DEP_1) | instskip(NEXT) | instid1(VALU_DEP_1)
	v_cvt_f32_i32_e32 v13, v13
	v_ldexp_f32 v13, v13, v11
	v_mov_b32_e32 v11, 0x80
	s_delay_alu instid0(VALU_DEP_2) | instskip(NEXT) | instid1(VALU_DEP_1)
	v_and_b32_e32 v15, 0x7fffffff, v13
	v_cmpx_gt_u32_e32 0x47800000, v15
	s_cbranch_execz .LBB254_1347
; %bb.1342:
	v_cmp_lt_u32_e64 s0, 0x37ffffff, v15
	s_mov_b32 s23, 0
                                        ; implicit-def: $vgpr15
	s_and_saveexec_b32 s24, s0
	s_delay_alu instid0(SALU_CYCLE_1)
	s_xor_b32 s0, exec_lo, s24
	s_cbranch_execz .LBB254_2856
; %bb.1343:
	v_bfe_u32 v11, v13, 21, 1
	s_mov_b32 s23, exec_lo
	s_delay_alu instid0(VALU_DEP_1) | instskip(NEXT) | instid1(VALU_DEP_1)
	v_add3_u32 v11, v13, v11, 0x88fffff
	v_lshrrev_b32_e32 v15, 21, v11
	s_and_not1_saveexec_b32 s24, s0
	s_cbranch_execnz .LBB254_2857
.LBB254_1344:
	s_or_b32 exec_lo, exec_lo, s24
	v_mov_b32_e32 v11, 0
	s_and_saveexec_b32 s0, s23
.LBB254_1345:
	v_lshrrev_b32_e32 v11, 24, v13
	s_delay_alu instid0(VALU_DEP_1)
	v_and_or_b32 v11, 0x80, v11, v15
.LBB254_1346:
	s_or_b32 exec_lo, exec_lo, s0
.LBB254_1347:
	s_delay_alu instid0(SALU_CYCLE_1)
	s_or_b32 exec_lo, exec_lo, s22
                                        ; implicit-def: $vgpr18_vgpr19
.LBB254_1348:
	s_and_not1_saveexec_b32 s21, s21
	s_cbranch_execz .LBB254_1356
; %bb.1349:
	s_wait_loadcnt_dscnt 0x0
	flat_load_b32 v11, v[18:19]
	s_mov_b32 s22, exec_lo
	s_wait_loadcnt_dscnt 0x0
	v_cvt_f32_i32_e32 v13, v11
	v_mov_b32_e32 v11, 0x80
	s_delay_alu instid0(VALU_DEP_2) | instskip(SKIP_1) | instid1(VALU_DEP_1)
	v_and_b32_e32 v15, 0x7fffffff, v13
	s_wait_xcnt 0x0
	v_cmpx_gt_u32_e32 0x47800000, v15
	s_cbranch_execz .LBB254_1355
; %bb.1350:
	v_cmp_lt_u32_e64 s0, 0x37ffffff, v15
	s_mov_b32 s23, 0
                                        ; implicit-def: $vgpr15
	s_and_saveexec_b32 s24, s0
	s_delay_alu instid0(SALU_CYCLE_1)
	s_xor_b32 s0, exec_lo, s24
	s_cbranch_execz .LBB254_2858
; %bb.1351:
	v_bfe_u32 v11, v13, 21, 1
	s_mov_b32 s23, exec_lo
	s_delay_alu instid0(VALU_DEP_1) | instskip(NEXT) | instid1(VALU_DEP_1)
	v_add3_u32 v11, v13, v11, 0x88fffff
	v_lshrrev_b32_e32 v15, 21, v11
	s_and_not1_saveexec_b32 s24, s0
	s_cbranch_execnz .LBB254_2859
.LBB254_1352:
	s_or_b32 exec_lo, exec_lo, s24
	v_mov_b32_e32 v11, 0
	s_and_saveexec_b32 s0, s23
.LBB254_1353:
	v_lshrrev_b32_e32 v11, 24, v13
	s_delay_alu instid0(VALU_DEP_1)
	v_and_or_b32 v11, 0x80, v11, v15
.LBB254_1354:
	s_or_b32 exec_lo, exec_lo, s0
.LBB254_1355:
	s_delay_alu instid0(SALU_CYCLE_1)
	s_or_b32 exec_lo, exec_lo, s22
.LBB254_1356:
	s_delay_alu instid0(SALU_CYCLE_1)
	s_or_b32 exec_lo, exec_lo, s21
                                        ; implicit-def: $vgpr18_vgpr19
.LBB254_1357:
	s_and_not1_saveexec_b32 s20, s20
	s_cbranch_execz .LBB254_1365
; %bb.1358:
	s_wait_loadcnt_dscnt 0x0
	flat_load_i16 v11, v[18:19]
	s_mov_b32 s21, exec_lo
	s_wait_loadcnt_dscnt 0x0
	v_cvt_f32_i32_e32 v13, v11
	v_mov_b32_e32 v11, 0x80
	s_delay_alu instid0(VALU_DEP_2) | instskip(SKIP_1) | instid1(VALU_DEP_1)
	v_and_b32_e32 v15, 0x7fffffff, v13
	s_wait_xcnt 0x0
	v_cmpx_gt_u32_e32 0x47800000, v15
	s_cbranch_execz .LBB254_1364
; %bb.1359:
	v_cmp_lt_u32_e64 s0, 0x37ffffff, v15
	s_mov_b32 s22, 0
                                        ; implicit-def: $vgpr15
	s_and_saveexec_b32 s23, s0
	s_delay_alu instid0(SALU_CYCLE_1)
	s_xor_b32 s0, exec_lo, s23
	s_cbranch_execz .LBB254_2779
; %bb.1360:
	v_bfe_u32 v11, v13, 21, 1
	s_mov_b32 s22, exec_lo
	s_delay_alu instid0(VALU_DEP_1) | instskip(NEXT) | instid1(VALU_DEP_1)
	v_add3_u32 v11, v13, v11, 0x88fffff
	v_lshrrev_b32_e32 v15, 21, v11
	s_and_not1_saveexec_b32 s23, s0
	s_cbranch_execnz .LBB254_2780
.LBB254_1361:
	s_or_b32 exec_lo, exec_lo, s23
	v_mov_b32_e32 v11, 0
	s_and_saveexec_b32 s0, s22
.LBB254_1362:
	v_lshrrev_b32_e32 v11, 24, v13
	s_delay_alu instid0(VALU_DEP_1)
	v_and_or_b32 v11, 0x80, v11, v15
.LBB254_1363:
	s_or_b32 exec_lo, exec_lo, s0
.LBB254_1364:
	s_delay_alu instid0(SALU_CYCLE_1)
	s_or_b32 exec_lo, exec_lo, s21
.LBB254_1365:
	s_delay_alu instid0(SALU_CYCLE_1)
	s_or_b32 exec_lo, exec_lo, s20
                                        ; implicit-def: $vgpr18_vgpr19
.LBB254_1366:
	s_and_not1_saveexec_b32 s19, s19
	s_cbranch_execz .LBB254_1384
; %bb.1367:
	s_mov_b32 s20, exec_lo
                                        ; implicit-def: $vgpr11
	v_cmpx_lt_i16_e32 0, v5
	s_xor_b32 s20, exec_lo, s20
	s_cbranch_execz .LBB254_1375
; %bb.1368:
	s_wait_loadcnt_dscnt 0x0
	flat_load_i8 v11, v[18:19]
	s_mov_b32 s21, exec_lo
	s_wait_loadcnt_dscnt 0x0
	v_cvt_f32_i32_e32 v13, v11
	v_mov_b32_e32 v11, 0x80
	s_delay_alu instid0(VALU_DEP_2) | instskip(SKIP_1) | instid1(VALU_DEP_1)
	v_and_b32_e32 v15, 0x7fffffff, v13
	s_wait_xcnt 0x0
	v_cmpx_gt_u32_e32 0x47800000, v15
	s_cbranch_execz .LBB254_1374
; %bb.1369:
	v_cmp_lt_u32_e64 s0, 0x37ffffff, v15
	s_mov_b32 s22, 0
                                        ; implicit-def: $vgpr15
	s_and_saveexec_b32 s23, s0
	s_delay_alu instid0(SALU_CYCLE_1)
	s_xor_b32 s0, exec_lo, s23
	s_cbranch_execz .LBB254_2781
; %bb.1370:
	v_bfe_u32 v11, v13, 21, 1
	s_mov_b32 s22, exec_lo
	s_delay_alu instid0(VALU_DEP_1) | instskip(NEXT) | instid1(VALU_DEP_1)
	v_add3_u32 v11, v13, v11, 0x88fffff
	v_lshrrev_b32_e32 v15, 21, v11
	s_and_not1_saveexec_b32 s23, s0
	s_cbranch_execnz .LBB254_2782
.LBB254_1371:
	s_or_b32 exec_lo, exec_lo, s23
	v_mov_b32_e32 v11, 0
	s_and_saveexec_b32 s0, s22
.LBB254_1372:
	v_lshrrev_b32_e32 v11, 24, v13
	s_delay_alu instid0(VALU_DEP_1)
	v_and_or_b32 v11, 0x80, v11, v15
.LBB254_1373:
	s_or_b32 exec_lo, exec_lo, s0
.LBB254_1374:
	s_delay_alu instid0(SALU_CYCLE_1)
	s_or_b32 exec_lo, exec_lo, s21
                                        ; implicit-def: $vgpr18_vgpr19
.LBB254_1375:
	s_and_not1_saveexec_b32 s20, s20
	s_cbranch_execz .LBB254_1383
; %bb.1376:
	s_wait_loadcnt_dscnt 0x0
	flat_load_u8 v11, v[18:19]
	s_mov_b32 s21, exec_lo
	s_wait_loadcnt_dscnt 0x0
	v_cvt_f32_ubyte0_e32 v15, v11
	v_mov_b32_e32 v11, 0x80
	s_wait_xcnt 0x0
	s_delay_alu instid0(VALU_DEP_2)
	v_cmpx_gt_u32_e32 0x47800000, v15
	s_cbranch_execz .LBB254_1382
; %bb.1377:
	v_cmp_lt_u32_e64 s0, 0x37ffffff, v15
	s_mov_b32 s22, 0
                                        ; implicit-def: $vgpr13
	s_and_saveexec_b32 s23, s0
	s_delay_alu instid0(SALU_CYCLE_1)
	s_xor_b32 s0, exec_lo, s23
	s_cbranch_execz .LBB254_2783
; %bb.1378:
	v_bfe_u32 v11, v15, 21, 1
	s_mov_b32 s22, exec_lo
	s_delay_alu instid0(VALU_DEP_1) | instskip(NEXT) | instid1(VALU_DEP_1)
	v_add3_u32 v11, v15, v11, 0x88fffff
                                        ; implicit-def: $vgpr15
	v_lshrrev_b32_e32 v13, 21, v11
	s_and_not1_saveexec_b32 s23, s0
	s_cbranch_execnz .LBB254_2784
.LBB254_1379:
	s_or_b32 exec_lo, exec_lo, s23
	v_mov_b32_e32 v11, 0
	s_and_saveexec_b32 s0, s22
.LBB254_1380:
	v_mov_b32_e32 v11, v13
.LBB254_1381:
	s_or_b32 exec_lo, exec_lo, s0
.LBB254_1382:
	s_delay_alu instid0(SALU_CYCLE_1)
	s_or_b32 exec_lo, exec_lo, s21
.LBB254_1383:
	s_delay_alu instid0(SALU_CYCLE_1)
	s_or_b32 exec_lo, exec_lo, s20
.LBB254_1384:
	s_delay_alu instid0(SALU_CYCLE_1)
	s_or_b32 exec_lo, exec_lo, s19
.LBB254_1385:
	s_delay_alu instid0(SALU_CYCLE_1) | instskip(NEXT) | instid1(SALU_CYCLE_1)
	s_or_b32 exec_lo, exec_lo, s18
	s_or_b32 s17, s17, exec_lo
.LBB254_1386:
	s_or_b32 exec_lo, exec_lo, s16
	s_mov_b32 s0, 0
	s_mov_b32 s19, 0
                                        ; implicit-def: $sgpr21
                                        ; implicit-def: $vgpr30_vgpr31
                                        ; implicit-def: $vgpr15
	s_and_saveexec_b32 s16, s17
	s_cbranch_execz .LBB254_2120
; %bb.1387:
                                        ; implicit-def: $sgpr17
	s_and_saveexec_b32 s0, vcc_lo
	s_delay_alu instid0(SALU_CYCLE_1)
	s_xor_b32 s18, exec_lo, s0
	s_cbranch_execz .LBB254_1401
; %bb.1388:
	s_wait_loadcnt_dscnt 0x0
	v_and_b32_e32 v15, 0xff, v9
	s_mov_b32 s17, 0
	s_mov_b32 s19, exec_lo
	s_delay_alu instid0(VALU_DEP_1)
	v_cmpx_lt_i16_e32 0x7f, v15
	s_xor_b32 s19, exec_lo, s19
	s_cbranch_execz .LBB254_2520
; %bb.1389:
	s_mov_b32 s17, -1
	s_mov_b32 s20, exec_lo
	v_cmpx_eq_u16_e32 0x80, v15
; %bb.1390:
	s_xor_b32 s17, exec_lo, -1
; %bb.1391:
	s_or_b32 exec_lo, exec_lo, s20
	s_delay_alu instid0(SALU_CYCLE_1)
	s_and_b32 s17, s17, exec_lo
                                        ; implicit-def: $vgpr15
	s_or_saveexec_b32 s19, s19
	v_mov_b32_e32 v13, 0x7f800001
	s_xor_b32 exec_lo, exec_lo, s19
	s_cbranch_execnz .LBB254_2521
.LBB254_1392:
	s_or_b32 exec_lo, exec_lo, s19
	s_and_saveexec_b32 s19, s17
	s_cbranch_execz .LBB254_1394
.LBB254_1393:
	v_and_b32_e32 v13, 3, v9
	v_lshrrev_b16 v18, 2, v9
	s_delay_alu instid0(VALU_DEP_2) | instskip(NEXT) | instid1(VALU_DEP_1)
	v_clz_i32_u32_e32 v15, v13
	v_min_u32_e32 v15, 32, v15
	s_delay_alu instid0(VALU_DEP_3) | instskip(NEXT) | instid1(VALU_DEP_2)
	v_and_b32_e32 v18, 31, v18
	v_subrev_nc_u32_e32 v19, 29, v15
	v_sub_nc_u32_e32 v15, 30, v15
	s_delay_alu instid0(VALU_DEP_3) | instskip(NEXT) | instid1(VALU_DEP_3)
	v_cmp_eq_u32_e64 s0, 0, v18
	v_dual_lshlrev_b32 v19, v19, v9 :: v_dual_lshlrev_b32 v9, 24, v9
	s_delay_alu instid0(VALU_DEP_1) | instskip(NEXT) | instid1(VALU_DEP_2)
	v_and_b32_e32 v19, 3, v19
	v_and_b32_e32 v9, 0x80000000, v9
	s_delay_alu instid0(VALU_DEP_2) | instskip(NEXT) | instid1(VALU_DEP_1)
	v_cndmask_b32_e64 v13, v13, v19, s0
	v_dual_cndmask_b32 v15, v18, v15, s0 :: v_dual_lshlrev_b32 v13, 21, v13
	s_delay_alu instid0(VALU_DEP_1) | instskip(NEXT) | instid1(VALU_DEP_1)
	v_lshl_add_u32 v15, v15, 23, 0x37800000
	v_or3_b32 v13, v9, v15, v13
.LBB254_1394:
	s_or_b32 exec_lo, exec_lo, s19
	v_and_b32_e32 v15, 0xff, v11
	s_mov_b32 s17, 0
	s_mov_b32 s19, exec_lo
	s_delay_alu instid0(VALU_DEP_1)
	v_cmpx_lt_i16_e32 0x7f, v15
	s_xor_b32 s19, exec_lo, s19
	s_cbranch_execz .LBB254_2522
; %bb.1395:
	s_mov_b32 s17, -1
	s_mov_b32 s20, exec_lo
	v_cmpx_eq_u16_e32 0x80, v15
; %bb.1396:
	s_xor_b32 s17, exec_lo, -1
; %bb.1397:
	s_or_b32 exec_lo, exec_lo, s20
	s_delay_alu instid0(SALU_CYCLE_1)
	s_and_b32 s17, s17, exec_lo
                                        ; implicit-def: $vgpr15
	s_or_saveexec_b32 s19, s19
	v_mov_b32_e32 v9, 0x7f800001
	s_xor_b32 exec_lo, exec_lo, s19
	s_cbranch_execnz .LBB254_2523
.LBB254_1398:
	s_or_b32 exec_lo, exec_lo, s19
	s_and_saveexec_b32 s19, s17
	s_cbranch_execz .LBB254_1400
.LBB254_1399:
	v_and_b32_e32 v9, 3, v11
	v_lshrrev_b16 v18, 2, v11
	s_delay_alu instid0(VALU_DEP_2) | instskip(NEXT) | instid1(VALU_DEP_1)
	v_clz_i32_u32_e32 v15, v9
	v_min_u32_e32 v15, 32, v15
	s_delay_alu instid0(VALU_DEP_3) | instskip(NEXT) | instid1(VALU_DEP_2)
	v_and_b32_e32 v18, 31, v18
	v_subrev_nc_u32_e32 v19, 29, v15
	v_sub_nc_u32_e32 v15, 30, v15
	s_delay_alu instid0(VALU_DEP_3) | instskip(NEXT) | instid1(VALU_DEP_3)
	v_cmp_eq_u32_e64 s0, 0, v18
	v_dual_lshlrev_b32 v19, v19, v11 :: v_dual_lshlrev_b32 v11, 24, v11
	s_delay_alu instid0(VALU_DEP_2) | instskip(NEXT) | instid1(VALU_DEP_2)
	v_cndmask_b32_e64 v15, v18, v15, s0
	v_and_b32_e32 v19, 3, v19
	s_delay_alu instid0(VALU_DEP_3) | instskip(NEXT) | instid1(VALU_DEP_3)
	v_and_b32_e32 v11, 0x80000000, v11
	v_lshl_add_u32 v15, v15, 23, 0x37800000
	s_delay_alu instid0(VALU_DEP_3) | instskip(NEXT) | instid1(VALU_DEP_1)
	v_cndmask_b32_e64 v9, v9, v19, s0
	v_lshlrev_b32_e32 v9, 21, v9
	s_delay_alu instid0(VALU_DEP_1)
	v_or3_b32 v9, v11, v15, v9
.LBB254_1400:
	s_or_b32 exec_lo, exec_lo, s19
	s_delay_alu instid0(VALU_DEP_1)
	v_cmp_neq_f32_e64 s17, v13, v9
                                        ; implicit-def: $vgpr11
                                        ; implicit-def: $vgpr9
.LBB254_1401:
	s_and_not1_saveexec_b32 s18, s18
	s_cbranch_execz .LBB254_1415
; %bb.1402:
	s_wait_loadcnt_dscnt 0x0
	v_and_b32_e32 v15, 0xff, v9
	s_mov_b32 s19, 0
	s_mov_b32 s20, exec_lo
	s_delay_alu instid0(VALU_DEP_1)
	v_cmpx_lt_i16_e32 0x7f, v15
	s_xor_b32 s20, exec_lo, s20
	s_cbranch_execz .LBB254_2524
; %bb.1403:
	s_mov_b32 s19, -1
	s_mov_b32 s21, exec_lo
	v_cmpx_eq_u16_e32 0x80, v15
; %bb.1404:
	s_xor_b32 s19, exec_lo, -1
; %bb.1405:
	s_or_b32 exec_lo, exec_lo, s21
	s_delay_alu instid0(SALU_CYCLE_1)
	s_and_b32 s19, s19, exec_lo
                                        ; implicit-def: $vgpr15
	s_or_saveexec_b32 s20, s20
	v_mov_b32_e32 v13, 0x7f800001
	s_xor_b32 exec_lo, exec_lo, s20
	s_cbranch_execnz .LBB254_2525
.LBB254_1406:
	s_or_b32 exec_lo, exec_lo, s20
	s_and_saveexec_b32 s20, s19
	s_cbranch_execz .LBB254_1408
.LBB254_1407:
	v_and_b32_e32 v13, 3, v9
	v_lshrrev_b16 v18, 2, v9
	s_delay_alu instid0(VALU_DEP_2) | instskip(NEXT) | instid1(VALU_DEP_1)
	v_clz_i32_u32_e32 v15, v13
	v_min_u32_e32 v15, 32, v15
	s_delay_alu instid0(VALU_DEP_3) | instskip(NEXT) | instid1(VALU_DEP_2)
	v_and_b32_e32 v18, 31, v18
	v_subrev_nc_u32_e32 v19, 29, v15
	v_sub_nc_u32_e32 v15, 30, v15
	s_delay_alu instid0(VALU_DEP_3) | instskip(NEXT) | instid1(VALU_DEP_3)
	v_cmp_eq_u32_e64 s0, 0, v18
	v_dual_lshlrev_b32 v19, v19, v9 :: v_dual_lshlrev_b32 v9, 24, v9
	s_delay_alu instid0(VALU_DEP_1) | instskip(NEXT) | instid1(VALU_DEP_2)
	v_and_b32_e32 v19, 3, v19
	v_and_b32_e32 v9, 0x80000000, v9
	s_delay_alu instid0(VALU_DEP_2) | instskip(NEXT) | instid1(VALU_DEP_1)
	v_cndmask_b32_e64 v13, v13, v19, s0
	v_dual_cndmask_b32 v15, v18, v15, s0 :: v_dual_lshlrev_b32 v13, 21, v13
	s_delay_alu instid0(VALU_DEP_1) | instskip(NEXT) | instid1(VALU_DEP_1)
	v_lshl_add_u32 v15, v15, 23, 0x37800000
	v_or3_b32 v13, v9, v15, v13
.LBB254_1408:
	s_or_b32 exec_lo, exec_lo, s20
	v_and_b32_e32 v15, 0xff, v11
	s_mov_b32 s19, 0
	s_mov_b32 s20, exec_lo
	s_delay_alu instid0(VALU_DEP_1)
	v_cmpx_lt_i16_e32 0x7f, v15
	s_xor_b32 s20, exec_lo, s20
	s_cbranch_execz .LBB254_2526
; %bb.1409:
	s_mov_b32 s19, -1
	s_mov_b32 s21, exec_lo
	v_cmpx_eq_u16_e32 0x80, v15
; %bb.1410:
	s_xor_b32 s19, exec_lo, -1
; %bb.1411:
	s_or_b32 exec_lo, exec_lo, s21
	s_delay_alu instid0(SALU_CYCLE_1)
	s_and_b32 s19, s19, exec_lo
                                        ; implicit-def: $vgpr15
	s_or_saveexec_b32 s20, s20
	v_mov_b32_e32 v9, 0x7f800001
	s_xor_b32 exec_lo, exec_lo, s20
	s_cbranch_execnz .LBB254_2527
.LBB254_1412:
	s_or_b32 exec_lo, exec_lo, s20
	s_and_saveexec_b32 s20, s19
	s_cbranch_execz .LBB254_1414
.LBB254_1413:
	v_and_b32_e32 v9, 3, v11
	v_lshrrev_b16 v18, 2, v11
	s_delay_alu instid0(VALU_DEP_2) | instskip(NEXT) | instid1(VALU_DEP_1)
	v_clz_i32_u32_e32 v15, v9
	v_min_u32_e32 v15, 32, v15
	s_delay_alu instid0(VALU_DEP_3) | instskip(NEXT) | instid1(VALU_DEP_2)
	v_and_b32_e32 v18, 31, v18
	v_subrev_nc_u32_e32 v19, 29, v15
	v_sub_nc_u32_e32 v15, 30, v15
	s_delay_alu instid0(VALU_DEP_3) | instskip(NEXT) | instid1(VALU_DEP_3)
	v_cmp_eq_u32_e64 s0, 0, v18
	v_dual_lshlrev_b32 v19, v19, v11 :: v_dual_lshlrev_b32 v11, 24, v11
	s_delay_alu instid0(VALU_DEP_2) | instskip(NEXT) | instid1(VALU_DEP_2)
	v_cndmask_b32_e64 v15, v18, v15, s0
	v_and_b32_e32 v19, 3, v19
	s_delay_alu instid0(VALU_DEP_3) | instskip(NEXT) | instid1(VALU_DEP_3)
	v_and_b32_e32 v11, 0x80000000, v11
	v_lshl_add_u32 v15, v15, 23, 0x37800000
	s_delay_alu instid0(VALU_DEP_3) | instskip(NEXT) | instid1(VALU_DEP_1)
	v_cndmask_b32_e64 v9, v9, v19, s0
	v_lshlrev_b32_e32 v9, 21, v9
	s_delay_alu instid0(VALU_DEP_1)
	v_or3_b32 v9, v11, v15, v9
.LBB254_1414:
	s_or_b32 exec_lo, exec_lo, s20
	s_delay_alu instid0(VALU_DEP_1) | instskip(SKIP_2) | instid1(SALU_CYCLE_1)
	v_cmp_eq_f32_e64 s0, v13, v9
	s_and_not1_b32 s17, s17, exec_lo
	s_and_b32 s0, s0, exec_lo
	s_or_b32 s17, s17, s0
.LBB254_1415:
	s_or_b32 exec_lo, exec_lo, s18
	v_mov_b32_e32 v15, 0
	s_mov_b32 s20, 0
	s_mov_b32 s18, s15
	s_mov_b32 s19, exec_lo
                                        ; implicit-def: $vgpr9
	s_delay_alu instid0(VALU_DEP_1)
	v_add_nc_u64_e32 v[2:3], v[2:3], v[14:15]
	v_cmpx_lt_i16_e32 10, v7
	s_xor_b32 s19, exec_lo, s19
	s_cbranch_execz .LBB254_1496
; %bb.1416:
	s_mov_b32 s18, 0
	s_mov_b32 s22, 0
	;; [unrolled: 1-line block ×3, first 2 shown]
	s_mov_b32 s20, exec_lo
                                        ; implicit-def: $vgpr9
	v_cmpx_lt_i16_e32 25, v7
	s_xor_b32 s20, exec_lo, s20
	s_cbranch_execz .LBB254_2528
; %bb.1417:
	s_mov_b32 s23, 0
	s_mov_b32 s21, exec_lo
                                        ; implicit-def: $vgpr9
	v_cmpx_lt_i16_e32 28, v7
	s_xor_b32 s21, exec_lo, s21
	s_cbranch_execz .LBB254_1451
; %bb.1418:
	s_mov_b32 s24, 0
	s_mov_b32 s25, 0
	s_mov_b32 s22, exec_lo
                                        ; implicit-def: $vgpr9
	v_cmpx_lt_i16_e32 43, v7
	s_xor_b32 s22, exec_lo, s22
	s_cbranch_execz .LBB254_1440
; %bb.1419:
	s_mov_b32 s25, exec_lo
                                        ; implicit-def: $vgpr9
	v_cmpx_lt_i16_e32 45, v7
	s_xor_b32 s25, exec_lo, s25
	s_cbranch_execz .LBB254_1429
; %bb.1420:
	s_mov_b32 s26, -1
	s_mov_b32 s23, exec_lo
                                        ; implicit-def: $vgpr9
	v_cmpx_eq_u16_e32 46, v7
	s_cbranch_execz .LBB254_1428
; %bb.1421:
	flat_load_b32 v7, v[2:3]
	s_wait_loadcnt_dscnt 0x101
	v_mov_b32_e32 v9, 0x80
	s_mov_b32 s24, exec_lo
	s_wait_loadcnt_dscnt 0x0
	v_lshlrev_b32_e32 v7, 16, v7
	s_delay_alu instid0(VALU_DEP_1) | instskip(SKIP_1) | instid1(VALU_DEP_1)
	v_and_b32_e32 v11, 0x7fffffff, v7
	s_wait_xcnt 0x0
	v_cmpx_gt_u32_e32 0x47800000, v11
	s_cbranch_execz .LBB254_1427
; %bb.1422:
	v_cmp_lt_u32_e64 s0, 0x37ffffff, v11
	s_mov_b32 s26, 0
                                        ; implicit-def: $vgpr11
	s_and_saveexec_b32 s27, s0
	s_delay_alu instid0(SALU_CYCLE_1)
	s_xor_b32 s0, exec_lo, s27
	s_cbranch_execz .LBB254_3006
; %bb.1423:
	v_bfe_u32 v9, v7, 21, 1
	s_mov_b32 s26, exec_lo
	s_delay_alu instid0(VALU_DEP_1) | instskip(NEXT) | instid1(VALU_DEP_1)
	v_add3_u32 v9, v7, v9, 0x88fffff
	v_lshrrev_b32_e32 v11, 21, v9
	s_and_not1_saveexec_b32 s27, s0
	s_cbranch_execnz .LBB254_3007
.LBB254_1424:
	s_or_b32 exec_lo, exec_lo, s27
	v_mov_b32_e32 v9, 0
	s_and_saveexec_b32 s0, s26
.LBB254_1425:
	v_lshrrev_b32_e32 v7, 24, v7
	s_delay_alu instid0(VALU_DEP_1)
	v_and_or_b32 v9, 0x80, v7, v11
.LBB254_1426:
	s_or_b32 exec_lo, exec_lo, s0
.LBB254_1427:
	s_delay_alu instid0(SALU_CYCLE_1) | instskip(NEXT) | instid1(SALU_CYCLE_1)
	s_or_b32 exec_lo, exec_lo, s24
	s_mov_b32 s24, exec_lo
	s_xor_b32 s26, exec_lo, -1
.LBB254_1428:
	s_or_b32 exec_lo, exec_lo, s23
	s_delay_alu instid0(SALU_CYCLE_1)
	s_and_b32 s24, s24, exec_lo
	s_and_b32 s23, s26, exec_lo
                                        ; implicit-def: $vgpr7
.LBB254_1429:
	s_and_not1_saveexec_b32 s25, s25
	s_cbranch_execz .LBB254_1439
; %bb.1430:
	s_mov_b32 s27, -1
	s_mov_b32 s28, s24
	s_mov_b32 s26, exec_lo
                                        ; implicit-def: $vgpr9
	v_cmpx_eq_u16_e32 44, v7
	s_cbranch_execz .LBB254_1438
; %bb.1431:
	flat_load_u8 v7, v[2:3]
	s_mov_b32 s28, 0
	s_mov_b32 s27, exec_lo
	s_wait_loadcnt_dscnt 0x0
	v_lshlrev_b32_e32 v9, 23, v7
	v_cmp_ne_u32_e64 s0, 0xff, v7
	s_delay_alu instid0(VALU_DEP_1) | instskip(SKIP_1) | instid1(VALU_DEP_1)
	v_cndmask_b32_e64 v9, 0x7f800001, v9, s0
	v_cmp_ne_u32_e64 s0, 0, v7
	v_cndmask_b32_e64 v11, 0x400000, v9, s0
	v_mov_b32_e32 v9, 0x80
	s_wait_xcnt 0x0
	s_delay_alu instid0(VALU_DEP_2)
	v_cmpx_gt_u32_e32 0x47800000, v11
	s_cbranch_execz .LBB254_1437
; %bb.1432:
	v_cmp_lt_u32_e64 s0, 0x37ffffff, v11
                                        ; implicit-def: $vgpr7
	s_and_saveexec_b32 s29, s0
	s_delay_alu instid0(SALU_CYCLE_1)
	s_xor_b32 s0, exec_lo, s29
	s_cbranch_execz .LBB254_3008
; %bb.1433:
	v_bfe_u32 v7, v11, 21, 1
	s_mov_b32 s28, exec_lo
	s_delay_alu instid0(VALU_DEP_1) | instskip(NEXT) | instid1(VALU_DEP_1)
	v_add3_u32 v7, v11, v7, 0x88fffff
                                        ; implicit-def: $vgpr11
	v_lshrrev_b32_e32 v7, 21, v7
	s_and_not1_saveexec_b32 s29, s0
	s_cbranch_execnz .LBB254_3009
.LBB254_1434:
	s_or_b32 exec_lo, exec_lo, s29
	v_mov_b32_e32 v9, 0
	s_and_saveexec_b32 s0, s28
.LBB254_1435:
	v_mov_b32_e32 v9, v7
.LBB254_1436:
	s_or_b32 exec_lo, exec_lo, s0
.LBB254_1437:
	s_delay_alu instid0(SALU_CYCLE_1) | instskip(NEXT) | instid1(SALU_CYCLE_1)
	s_or_b32 exec_lo, exec_lo, s27
	s_or_b32 s28, s24, exec_lo
	s_xor_b32 s27, exec_lo, -1
.LBB254_1438:
	s_or_b32 exec_lo, exec_lo, s26
	s_delay_alu instid0(SALU_CYCLE_1)
	s_and_not1_b32 s0, s24, exec_lo
	s_and_b32 s24, s28, exec_lo
	s_and_not1_b32 s23, s23, exec_lo
	s_and_b32 s26, s27, exec_lo
	s_or_b32 s24, s0, s24
	s_or_b32 s23, s23, s26
.LBB254_1439:
	s_or_b32 exec_lo, exec_lo, s25
	s_delay_alu instid0(SALU_CYCLE_1)
	s_and_b32 s25, s24, exec_lo
	s_and_b32 s24, s23, exec_lo
                                        ; implicit-def: $vgpr7
.LBB254_1440:
	s_and_not1_saveexec_b32 s22, s22
	s_cbranch_execz .LBB254_1450
; %bb.1441:
	s_mov_b32 s26, -1
	s_mov_b32 s27, s25
	s_mov_b32 s23, exec_lo
                                        ; implicit-def: $vgpr9
	v_cmpx_eq_u16_e32 29, v7
	s_cbranch_execz .LBB254_1449
; %bb.1442:
	flat_load_b64 v[14:15], v[2:3]
	s_mov_b32 s26, exec_lo
	s_wait_loadcnt_dscnt 0x0
	v_clz_i32_u32_e32 v7, v15
	s_delay_alu instid0(VALU_DEP_1) | instskip(NEXT) | instid1(VALU_DEP_1)
	v_min_u32_e32 v7, 32, v7
	v_lshlrev_b64_e32 v[14:15], v7, v[14:15]
	v_sub_nc_u32_e32 v7, 32, v7
	s_delay_alu instid0(VALU_DEP_2) | instskip(NEXT) | instid1(VALU_DEP_1)
	v_min_u32_e32 v9, 1, v14
	v_or_b32_e32 v9, v15, v9
	s_delay_alu instid0(VALU_DEP_1) | instskip(NEXT) | instid1(VALU_DEP_1)
	v_cvt_f32_u32_e32 v9, v9
	v_ldexp_f32 v11, v9, v7
	v_mov_b32_e32 v9, 0x80
	s_wait_xcnt 0x0
	s_delay_alu instid0(VALU_DEP_2)
	v_cmpx_gt_u32_e32 0x47800000, v11
	s_cbranch_execz .LBB254_1448
; %bb.1443:
	v_cmp_lt_u32_e64 s0, 0x37ffffff, v11
	s_mov_b32 s27, 0
                                        ; implicit-def: $vgpr7
	s_and_saveexec_b32 s28, s0
	s_delay_alu instid0(SALU_CYCLE_1)
	s_xor_b32 s0, exec_lo, s28
	s_cbranch_execz .LBB254_2927
; %bb.1444:
	v_bfe_u32 v7, v11, 21, 1
	s_mov_b32 s27, exec_lo
	s_delay_alu instid0(VALU_DEP_1) | instskip(NEXT) | instid1(VALU_DEP_1)
	v_add3_u32 v7, v11, v7, 0x88fffff
                                        ; implicit-def: $vgpr11
	v_lshrrev_b32_e32 v7, 21, v7
	s_and_not1_saveexec_b32 s28, s0
	s_cbranch_execnz .LBB254_2928
.LBB254_1445:
	s_or_b32 exec_lo, exec_lo, s28
	v_mov_b32_e32 v9, 0
	s_and_saveexec_b32 s0, s27
.LBB254_1446:
	v_mov_b32_e32 v9, v7
.LBB254_1447:
	s_or_b32 exec_lo, exec_lo, s0
.LBB254_1448:
	s_delay_alu instid0(SALU_CYCLE_1) | instskip(NEXT) | instid1(SALU_CYCLE_1)
	s_or_b32 exec_lo, exec_lo, s26
	s_or_b32 s27, s25, exec_lo
	s_xor_b32 s26, exec_lo, -1
.LBB254_1449:
	s_or_b32 exec_lo, exec_lo, s23
	s_delay_alu instid0(SALU_CYCLE_1)
	s_and_not1_b32 s0, s25, exec_lo
	s_and_b32 s23, s27, exec_lo
	s_and_not1_b32 s24, s24, exec_lo
	s_and_b32 s26, s26, exec_lo
	s_or_b32 s25, s0, s23
	s_or_b32 s24, s24, s26
.LBB254_1450:
	s_or_b32 exec_lo, exec_lo, s22
	s_delay_alu instid0(SALU_CYCLE_1)
	s_and_b32 s23, s25, exec_lo
	s_and_b32 s22, s24, exec_lo
                                        ; implicit-def: $vgpr7
.LBB254_1451:
	s_and_not1_saveexec_b32 s21, s21
	s_cbranch_execz .LBB254_1485
; %bb.1452:
	s_mov_b32 s24, exec_lo
                                        ; implicit-def: $vgpr9
	v_cmpx_lt_i16_e32 26, v7
	s_xor_b32 s24, exec_lo, s24
	s_cbranch_execz .LBB254_1470
; %bb.1453:
	s_mov_b32 s25, exec_lo
                                        ; implicit-def: $vgpr9
	v_cmpx_lt_i16_e32 27, v7
	s_xor_b32 s25, exec_lo, s25
	s_cbranch_execz .LBB254_1461
; %bb.1454:
	flat_load_b32 v7, v[2:3]
	s_wait_loadcnt_dscnt 0x101
	v_mov_b32_e32 v9, 0x80
	s_mov_b32 s26, exec_lo
	s_wait_loadcnt_dscnt 0x0
	v_cvt_f32_u32_e32 v11, v7
	s_wait_xcnt 0x0
	s_delay_alu instid0(VALU_DEP_1)
	v_cmpx_gt_u32_e32 0x47800000, v11
	s_cbranch_execz .LBB254_1460
; %bb.1455:
	v_cmp_lt_u32_e64 s0, 0x37ffffff, v11
	s_mov_b32 s27, 0
                                        ; implicit-def: $vgpr7
	s_and_saveexec_b32 s28, s0
	s_delay_alu instid0(SALU_CYCLE_1)
	s_xor_b32 s0, exec_lo, s28
	s_cbranch_execz .LBB254_2929
; %bb.1456:
	v_bfe_u32 v7, v11, 21, 1
	s_mov_b32 s27, exec_lo
	s_delay_alu instid0(VALU_DEP_1) | instskip(NEXT) | instid1(VALU_DEP_1)
	v_add3_u32 v7, v11, v7, 0x88fffff
                                        ; implicit-def: $vgpr11
	v_lshrrev_b32_e32 v7, 21, v7
	s_and_not1_saveexec_b32 s28, s0
	s_cbranch_execnz .LBB254_2930
.LBB254_1457:
	s_or_b32 exec_lo, exec_lo, s28
	v_mov_b32_e32 v9, 0
	s_and_saveexec_b32 s0, s27
.LBB254_1458:
	v_mov_b32_e32 v9, v7
.LBB254_1459:
	s_or_b32 exec_lo, exec_lo, s0
.LBB254_1460:
	s_delay_alu instid0(SALU_CYCLE_1)
	s_or_b32 exec_lo, exec_lo, s26
.LBB254_1461:
	s_and_not1_saveexec_b32 s25, s25
	s_cbranch_execz .LBB254_1469
; %bb.1462:
	flat_load_u16 v7, v[2:3]
	s_wait_loadcnt_dscnt 0x101
	v_mov_b32_e32 v9, 0x80
	s_mov_b32 s26, exec_lo
	s_wait_loadcnt_dscnt 0x0
	v_cvt_f32_u32_e32 v11, v7
	s_wait_xcnt 0x0
	s_delay_alu instid0(VALU_DEP_1)
	v_cmpx_gt_u32_e32 0x47800000, v11
	s_cbranch_execz .LBB254_1468
; %bb.1463:
	v_cmp_lt_u32_e64 s0, 0x37ffffff, v11
	s_mov_b32 s27, 0
                                        ; implicit-def: $vgpr7
	s_and_saveexec_b32 s28, s0
	s_delay_alu instid0(SALU_CYCLE_1)
	s_xor_b32 s0, exec_lo, s28
	s_cbranch_execz .LBB254_2931
; %bb.1464:
	v_bfe_u32 v7, v11, 21, 1
	s_mov_b32 s27, exec_lo
	s_delay_alu instid0(VALU_DEP_1) | instskip(NEXT) | instid1(VALU_DEP_1)
	v_add3_u32 v7, v11, v7, 0x88fffff
                                        ; implicit-def: $vgpr11
	v_lshrrev_b32_e32 v7, 21, v7
	s_and_not1_saveexec_b32 s28, s0
	s_cbranch_execnz .LBB254_2932
.LBB254_1465:
	s_or_b32 exec_lo, exec_lo, s28
	v_mov_b32_e32 v9, 0
	s_and_saveexec_b32 s0, s27
.LBB254_1466:
	v_mov_b32_e32 v9, v7
.LBB254_1467:
	s_or_b32 exec_lo, exec_lo, s0
.LBB254_1468:
	s_delay_alu instid0(SALU_CYCLE_1)
	s_or_b32 exec_lo, exec_lo, s26
.LBB254_1469:
	s_delay_alu instid0(SALU_CYCLE_1)
	s_or_b32 exec_lo, exec_lo, s25
.LBB254_1470:
	s_and_not1_saveexec_b32 s24, s24
	s_cbranch_execz .LBB254_1484
; %bb.1471:
	s_wait_loadcnt_dscnt 0x0
	flat_load_u8 v9, v[2:3]
	s_mov_b32 s25, 0
	s_mov_b32 s26, exec_lo
	s_wait_loadcnt_dscnt 0x0
	v_cmpx_lt_i16_e32 0x7f, v9
	s_xor_b32 s26, exec_lo, s26
	s_cbranch_execz .LBB254_2785
; %bb.1472:
	s_mov_b32 s25, -1
	s_mov_b32 s27, exec_lo
	v_cmpx_eq_u16_e32 0x80, v9
; %bb.1473:
	s_xor_b32 s25, exec_lo, -1
; %bb.1474:
	s_or_b32 exec_lo, exec_lo, s27
	s_delay_alu instid0(SALU_CYCLE_1)
	s_and_b32 s25, s25, exec_lo
	s_or_saveexec_b32 s26, s26
	v_mov_b32_e32 v7, 0x7f800001
	s_xor_b32 exec_lo, exec_lo, s26
	s_cbranch_execnz .LBB254_2786
.LBB254_1475:
	s_or_b32 exec_lo, exec_lo, s26
	s_and_saveexec_b32 s26, s25
	s_cbranch_execz .LBB254_1477
.LBB254_1476:
	v_and_b32_e32 v7, 0xffff, v9
	s_delay_alu instid0(VALU_DEP_1) | instskip(SKIP_1) | instid1(VALU_DEP_2)
	v_and_b32_e32 v11, 7, v7
	v_bfe_u32 v15, v7, 3, 4
	v_clz_i32_u32_e32 v13, v11
	s_delay_alu instid0(VALU_DEP_2) | instskip(NEXT) | instid1(VALU_DEP_2)
	v_cmp_eq_u32_e64 s0, 0, v15
	v_min_u32_e32 v13, 32, v13
	s_delay_alu instid0(VALU_DEP_1) | instskip(NEXT) | instid1(VALU_DEP_1)
	v_subrev_nc_u32_e32 v14, 28, v13
	v_dual_lshlrev_b32 v7, v14, v7 :: v_dual_sub_nc_u32 v13, 29, v13
	s_delay_alu instid0(VALU_DEP_1) | instskip(NEXT) | instid1(VALU_DEP_1)
	v_dual_lshlrev_b32 v9, 24, v9 :: v_dual_bitop2_b32 v7, 7, v7 bitop3:0x40
	v_cndmask_b32_e64 v7, v11, v7, s0
	s_delay_alu instid0(VALU_DEP_3) | instskip(NEXT) | instid1(VALU_DEP_3)
	v_cndmask_b32_e64 v13, v15, v13, s0
	v_and_b32_e32 v9, 0x80000000, v9
	s_delay_alu instid0(VALU_DEP_3) | instskip(NEXT) | instid1(VALU_DEP_3)
	v_lshlrev_b32_e32 v7, 20, v7
	v_lshl_add_u32 v11, v13, 23, 0x3b800000
	s_delay_alu instid0(VALU_DEP_1)
	v_or3_b32 v7, v9, v11, v7
.LBB254_1477:
	s_or_b32 exec_lo, exec_lo, s26
	s_delay_alu instid0(VALU_DEP_1) | instskip(SKIP_2) | instid1(VALU_DEP_2)
	v_and_b32_e32 v11, 0x7fffffff, v7
	v_mov_b32_e32 v9, 0x80
	s_mov_b32 s25, exec_lo
	v_cmpx_gt_u32_e32 0x47800000, v11
	s_cbranch_execz .LBB254_1483
; %bb.1478:
	v_cmp_lt_u32_e64 s0, 0x37ffffff, v11
	s_mov_b32 s26, 0
                                        ; implicit-def: $vgpr11
	s_and_saveexec_b32 s27, s0
	s_delay_alu instid0(SALU_CYCLE_1)
	s_xor_b32 s0, exec_lo, s27
	s_cbranch_execz .LBB254_2860
; %bb.1479:
	v_bfe_u32 v9, v7, 21, 1
	s_mov_b32 s26, exec_lo
	s_delay_alu instid0(VALU_DEP_1) | instskip(NEXT) | instid1(VALU_DEP_1)
	v_add3_u32 v9, v7, v9, 0x88fffff
	v_lshrrev_b32_e32 v11, 21, v9
	s_and_not1_saveexec_b32 s27, s0
	s_cbranch_execnz .LBB254_2861
.LBB254_1480:
	s_or_b32 exec_lo, exec_lo, s27
	v_mov_b32_e32 v9, 0
	s_and_saveexec_b32 s0, s26
.LBB254_1481:
	v_lshrrev_b32_e32 v7, 24, v7
	s_delay_alu instid0(VALU_DEP_1)
	v_and_or_b32 v9, 0x80, v7, v11
.LBB254_1482:
	s_or_b32 exec_lo, exec_lo, s0
.LBB254_1483:
	s_delay_alu instid0(SALU_CYCLE_1)
	s_or_b32 exec_lo, exec_lo, s25
.LBB254_1484:
	s_delay_alu instid0(SALU_CYCLE_1) | instskip(NEXT) | instid1(SALU_CYCLE_1)
	s_or_b32 exec_lo, exec_lo, s24
	s_or_b32 s23, s23, exec_lo
.LBB254_1485:
	s_or_b32 exec_lo, exec_lo, s21
	s_delay_alu instid0(SALU_CYCLE_1)
	s_and_b32 s21, s23, exec_lo
	s_and_b32 s22, s22, exec_lo
                                        ; implicit-def: $vgpr7
	s_and_not1_saveexec_b32 s20, s20
	s_cbranch_execnz .LBB254_2529
.LBB254_1486:
	s_or_b32 exec_lo, exec_lo, s20
	s_mov_b32 s20, s15
	s_and_saveexec_b32 s0, s22
	s_cbranch_execnz .LBB254_2566
.LBB254_1487:
	s_or_b32 exec_lo, exec_lo, s0
	s_and_saveexec_b32 s0, s18
	s_delay_alu instid0(SALU_CYCLE_1)
	s_xor_b32 s18, exec_lo, s0
	s_cbranch_execz .LBB254_1495
.LBB254_1488:
	flat_load_u8 v2, v[2:3]
	s_wait_loadcnt_dscnt 0x101
	v_mov_b32_e32 v9, 0x80
	s_mov_b32 s23, 0
	s_mov_b32 s22, exec_lo
	s_wait_loadcnt_dscnt 0x0
	v_cmp_ne_u16_e64 s0, 0, v2
	s_wait_xcnt 0x0
	s_delay_alu instid0(VALU_DEP_1) | instskip(NEXT) | instid1(VALU_DEP_1)
	v_cndmask_b32_e64 v3, 0, 1.0, s0
	v_cmpx_gt_u32_e32 0x47800000, v3
	s_cbranch_execz .LBB254_1494
; %bb.1489:
	v_cmp_lt_u32_e64 s0, 0x37ffffff, v3
                                        ; implicit-def: $vgpr2
	s_and_saveexec_b32 s24, s0
	s_delay_alu instid0(SALU_CYCLE_1)
	s_xor_b32 s0, exec_lo, s24
	s_cbranch_execz .LBB254_2692
; %bb.1490:
	v_bfe_u32 v2, v3, 21, 1
	s_mov_b32 s23, exec_lo
	s_delay_alu instid0(VALU_DEP_1) | instskip(NEXT) | instid1(VALU_DEP_1)
	v_add3_u32 v2, v3, v2, 0x88fffff
                                        ; implicit-def: $vgpr3
	v_lshrrev_b32_e32 v2, 21, v2
	s_and_not1_saveexec_b32 s24, s0
	s_cbranch_execnz .LBB254_2693
.LBB254_1491:
	s_or_b32 exec_lo, exec_lo, s24
	v_mov_b32_e32 v9, 0
	s_and_saveexec_b32 s0, s23
.LBB254_1492:
	v_mov_b32_e32 v9, v2
.LBB254_1493:
	s_or_b32 exec_lo, exec_lo, s0
.LBB254_1494:
	s_delay_alu instid0(SALU_CYCLE_1) | instskip(NEXT) | instid1(SALU_CYCLE_1)
	s_or_b32 exec_lo, exec_lo, s22
	s_or_b32 s21, s21, exec_lo
.LBB254_1495:
	s_or_b32 exec_lo, exec_lo, s18
	s_delay_alu instid0(SALU_CYCLE_1)
	s_and_not1_b32 s0, s15, exec_lo
	s_and_b32 s18, s20, exec_lo
	s_and_b32 s20, s21, exec_lo
	s_or_b32 s18, s0, s18
                                        ; implicit-def: $vgpr7
                                        ; implicit-def: $vgpr2_vgpr3
.LBB254_1496:
	s_and_not1_saveexec_b32 s19, s19
	s_cbranch_execz .LBB254_1604
; %bb.1497:
	s_mov_b32 s21, exec_lo
                                        ; implicit-def: $vgpr9
	v_cmpx_lt_i16_e32 4, v7
	s_xor_b32 s21, exec_lo, s21
	s_cbranch_execz .LBB254_1555
; %bb.1498:
	s_mov_b32 s22, exec_lo
                                        ; implicit-def: $vgpr9
	v_cmpx_lt_i16_e32 7, v7
	s_xor_b32 s22, exec_lo, s22
	s_cbranch_execz .LBB254_1526
; %bb.1499:
	s_mov_b32 s23, exec_lo
                                        ; implicit-def: $vgpr9
	v_cmpx_lt_i16_e32 8, v7
	s_xor_b32 s23, exec_lo, s23
	s_cbranch_execz .LBB254_1517
; %bb.1500:
	s_mov_b32 s24, exec_lo
                                        ; implicit-def: $vgpr9
	v_cmpx_lt_i16_e32 9, v7
	s_xor_b32 s24, exec_lo, s24
	s_cbranch_execz .LBB254_1508
; %bb.1501:
	flat_load_b64 v[2:3], v[2:3]
	s_wait_loadcnt_dscnt 0x101
	v_mov_b32_e32 v9, 0x80
	s_mov_b32 s25, exec_lo
	s_wait_loadcnt_dscnt 0x0
	v_cvt_f32_f64_e32 v2, v[2:3]
	s_delay_alu instid0(VALU_DEP_1) | instskip(NEXT) | instid1(VALU_DEP_1)
	v_and_b32_e32 v3, 0x7fffffff, v2
	v_cmpx_gt_u32_e32 0x47800000, v3
	s_cbranch_execz .LBB254_1507
; %bb.1502:
	v_cmp_lt_u32_e64 s0, 0x37ffffff, v3
	s_mov_b32 s26, 0
                                        ; implicit-def: $vgpr3
	s_and_saveexec_b32 s27, s0
	s_delay_alu instid0(SALU_CYCLE_1)
	s_xor_b32 s0, exec_lo, s27
	s_cbranch_execz .LBB254_2933
; %bb.1503:
	v_bfe_u32 v3, v2, 21, 1
	s_mov_b32 s26, exec_lo
	s_delay_alu instid0(VALU_DEP_1) | instskip(NEXT) | instid1(VALU_DEP_1)
	v_add3_u32 v3, v2, v3, 0x88fffff
	v_lshrrev_b32_e32 v3, 21, v3
	s_and_not1_saveexec_b32 s27, s0
	s_cbranch_execnz .LBB254_2934
.LBB254_1504:
	s_or_b32 exec_lo, exec_lo, s27
	v_mov_b32_e32 v9, 0
	s_and_saveexec_b32 s0, s26
.LBB254_1505:
	v_lshrrev_b32_e32 v2, 24, v2
	s_delay_alu instid0(VALU_DEP_1)
	v_and_or_b32 v9, 0x80, v2, v3
.LBB254_1506:
	s_or_b32 exec_lo, exec_lo, s0
.LBB254_1507:
	s_delay_alu instid0(SALU_CYCLE_1)
	s_or_b32 exec_lo, exec_lo, s25
                                        ; implicit-def: $vgpr2_vgpr3
.LBB254_1508:
	s_and_not1_saveexec_b32 s24, s24
	s_cbranch_execz .LBB254_1516
; %bb.1509:
	flat_load_b32 v2, v[2:3]
	s_wait_loadcnt_dscnt 0x101
	v_mov_b32_e32 v9, 0x80
	s_mov_b32 s25, exec_lo
	s_wait_loadcnt_dscnt 0x0
	v_and_b32_e32 v3, 0x7fffffff, v2
	s_delay_alu instid0(VALU_DEP_1)
	v_cmpx_gt_u32_e32 0x47800000, v3
	s_cbranch_execz .LBB254_1515
; %bb.1510:
	v_cmp_lt_u32_e64 s0, 0x37ffffff, v3
	s_mov_b32 s26, 0
                                        ; implicit-def: $vgpr3
	s_and_saveexec_b32 s27, s0
	s_delay_alu instid0(SALU_CYCLE_1)
	s_xor_b32 s0, exec_lo, s27
	s_cbranch_execz .LBB254_2935
; %bb.1511:
	v_bfe_u32 v3, v2, 21, 1
	s_mov_b32 s26, exec_lo
	s_delay_alu instid0(VALU_DEP_1) | instskip(NEXT) | instid1(VALU_DEP_1)
	v_add3_u32 v3, v2, v3, 0x88fffff
	v_lshrrev_b32_e32 v3, 21, v3
	s_and_not1_saveexec_b32 s27, s0
	s_cbranch_execnz .LBB254_2936
.LBB254_1512:
	s_or_b32 exec_lo, exec_lo, s27
	v_mov_b32_e32 v9, 0
	s_and_saveexec_b32 s0, s26
.LBB254_1513:
	v_lshrrev_b32_e32 v2, 24, v2
	s_delay_alu instid0(VALU_DEP_1)
	v_and_or_b32 v9, 0x80, v2, v3
.LBB254_1514:
	s_or_b32 exec_lo, exec_lo, s0
.LBB254_1515:
	s_delay_alu instid0(SALU_CYCLE_1)
	s_or_b32 exec_lo, exec_lo, s25
.LBB254_1516:
	s_delay_alu instid0(SALU_CYCLE_1)
	s_or_b32 exec_lo, exec_lo, s24
                                        ; implicit-def: $vgpr2_vgpr3
.LBB254_1517:
	s_and_not1_saveexec_b32 s23, s23
	s_cbranch_execz .LBB254_1525
; %bb.1518:
	flat_load_b32 v2, v[2:3]
	s_wait_loadcnt_dscnt 0x101
	v_mov_b32_e32 v9, 0x80
	s_mov_b32 s24, exec_lo
	s_wait_loadcnt_dscnt 0x0
	v_cvt_f32_f16_e32 v2, v2
	s_delay_alu instid0(VALU_DEP_1) | instskip(NEXT) | instid1(VALU_DEP_1)
	v_and_b32_e32 v3, 0x7fffffff, v2
	v_cmpx_gt_u32_e32 0x47800000, v3
	s_cbranch_execz .LBB254_1524
; %bb.1519:
	v_cmp_lt_u32_e64 s0, 0x37ffffff, v3
	s_mov_b32 s25, 0
                                        ; implicit-def: $vgpr3
	s_and_saveexec_b32 s26, s0
	s_delay_alu instid0(SALU_CYCLE_1)
	s_xor_b32 s0, exec_lo, s26
	s_cbranch_execz .LBB254_2862
; %bb.1520:
	v_bfe_u32 v3, v2, 21, 1
	s_mov_b32 s25, exec_lo
	s_delay_alu instid0(VALU_DEP_1) | instskip(NEXT) | instid1(VALU_DEP_1)
	v_add3_u32 v3, v2, v3, 0x88fffff
	v_lshrrev_b32_e32 v3, 21, v3
	s_and_not1_saveexec_b32 s26, s0
	s_cbranch_execnz .LBB254_2863
.LBB254_1521:
	s_or_b32 exec_lo, exec_lo, s26
	v_mov_b32_e32 v9, 0
	s_and_saveexec_b32 s0, s25
.LBB254_1522:
	v_lshrrev_b32_e32 v2, 24, v2
	s_delay_alu instid0(VALU_DEP_1)
	v_and_or_b32 v9, 0x80, v2, v3
.LBB254_1523:
	s_or_b32 exec_lo, exec_lo, s0
.LBB254_1524:
	s_delay_alu instid0(SALU_CYCLE_1)
	s_or_b32 exec_lo, exec_lo, s24
.LBB254_1525:
	s_delay_alu instid0(SALU_CYCLE_1)
	s_or_b32 exec_lo, exec_lo, s23
                                        ; implicit-def: $vgpr7
                                        ; implicit-def: $vgpr2_vgpr3
.LBB254_1526:
	s_and_not1_saveexec_b32 s22, s22
	s_cbranch_execz .LBB254_1554
; %bb.1527:
	s_mov_b32 s23, exec_lo
                                        ; implicit-def: $vgpr9
	v_cmpx_lt_i16_e32 5, v7
	s_xor_b32 s23, exec_lo, s23
	s_cbranch_execz .LBB254_1545
; %bb.1528:
	s_mov_b32 s24, exec_lo
                                        ; implicit-def: $vgpr9
	v_cmpx_lt_i16_e32 6, v7
	s_xor_b32 s24, exec_lo, s24
	s_cbranch_execz .LBB254_1536
; %bb.1529:
	flat_load_b64 v[2:3], v[2:3]
	s_wait_loadcnt_dscnt 0x101
	v_mov_b32_e32 v9, 0x80
	s_mov_b32 s25, exec_lo
	s_wait_loadcnt_dscnt 0x0
	v_cvt_f32_f64_e32 v2, v[2:3]
	s_delay_alu instid0(VALU_DEP_1) | instskip(NEXT) | instid1(VALU_DEP_1)
	v_and_b32_e32 v3, 0x7fffffff, v2
	v_cmpx_gt_u32_e32 0x47800000, v3
	s_cbranch_execz .LBB254_1535
; %bb.1530:
	v_cmp_lt_u32_e64 s0, 0x37ffffff, v3
	s_mov_b32 s26, 0
                                        ; implicit-def: $vgpr3
	s_and_saveexec_b32 s27, s0
	s_delay_alu instid0(SALU_CYCLE_1)
	s_xor_b32 s0, exec_lo, s27
	s_cbranch_execz .LBB254_2937
; %bb.1531:
	v_bfe_u32 v3, v2, 21, 1
	s_mov_b32 s26, exec_lo
	s_delay_alu instid0(VALU_DEP_1) | instskip(NEXT) | instid1(VALU_DEP_1)
	v_add3_u32 v3, v2, v3, 0x88fffff
	v_lshrrev_b32_e32 v3, 21, v3
	s_and_not1_saveexec_b32 s27, s0
	s_cbranch_execnz .LBB254_2938
.LBB254_1532:
	s_or_b32 exec_lo, exec_lo, s27
	v_mov_b32_e32 v9, 0
	s_and_saveexec_b32 s0, s26
.LBB254_1533:
	v_lshrrev_b32_e32 v2, 24, v2
	s_delay_alu instid0(VALU_DEP_1)
	v_and_or_b32 v9, 0x80, v2, v3
.LBB254_1534:
	s_or_b32 exec_lo, exec_lo, s0
.LBB254_1535:
	s_delay_alu instid0(SALU_CYCLE_1)
	s_or_b32 exec_lo, exec_lo, s25
                                        ; implicit-def: $vgpr2_vgpr3
.LBB254_1536:
	s_and_not1_saveexec_b32 s24, s24
	s_cbranch_execz .LBB254_1544
; %bb.1537:
	flat_load_b32 v2, v[2:3]
	s_wait_loadcnt_dscnt 0x101
	v_mov_b32_e32 v9, 0x80
	s_mov_b32 s25, exec_lo
	s_wait_loadcnt_dscnt 0x0
	v_and_b32_e32 v3, 0x7fffffff, v2
	s_delay_alu instid0(VALU_DEP_1)
	v_cmpx_gt_u32_e32 0x47800000, v3
	s_cbranch_execz .LBB254_1543
; %bb.1538:
	v_cmp_lt_u32_e64 s0, 0x37ffffff, v3
	s_mov_b32 s26, 0
                                        ; implicit-def: $vgpr3
	s_and_saveexec_b32 s27, s0
	s_delay_alu instid0(SALU_CYCLE_1)
	s_xor_b32 s0, exec_lo, s27
	s_cbranch_execz .LBB254_2939
; %bb.1539:
	v_bfe_u32 v3, v2, 21, 1
	s_mov_b32 s26, exec_lo
	s_delay_alu instid0(VALU_DEP_1) | instskip(NEXT) | instid1(VALU_DEP_1)
	v_add3_u32 v3, v2, v3, 0x88fffff
	v_lshrrev_b32_e32 v3, 21, v3
	s_and_not1_saveexec_b32 s27, s0
	s_cbranch_execnz .LBB254_2940
.LBB254_1540:
	s_or_b32 exec_lo, exec_lo, s27
	v_mov_b32_e32 v9, 0
	s_and_saveexec_b32 s0, s26
.LBB254_1541:
	v_lshrrev_b32_e32 v2, 24, v2
	s_delay_alu instid0(VALU_DEP_1)
	v_and_or_b32 v9, 0x80, v2, v3
.LBB254_1542:
	s_or_b32 exec_lo, exec_lo, s0
.LBB254_1543:
	s_delay_alu instid0(SALU_CYCLE_1)
	s_or_b32 exec_lo, exec_lo, s25
.LBB254_1544:
	s_delay_alu instid0(SALU_CYCLE_1)
	s_or_b32 exec_lo, exec_lo, s24
                                        ; implicit-def: $vgpr2_vgpr3
.LBB254_1545:
	s_and_not1_saveexec_b32 s23, s23
	s_cbranch_execz .LBB254_1553
; %bb.1546:
	flat_load_u16 v2, v[2:3]
	s_wait_loadcnt_dscnt 0x101
	v_mov_b32_e32 v9, 0x80
	s_mov_b32 s24, exec_lo
	s_wait_loadcnt_dscnt 0x0
	v_cvt_f32_f16_e32 v2, v2
	s_delay_alu instid0(VALU_DEP_1) | instskip(NEXT) | instid1(VALU_DEP_1)
	v_and_b32_e32 v3, 0x7fffffff, v2
	v_cmpx_gt_u32_e32 0x47800000, v3
	s_cbranch_execz .LBB254_1552
; %bb.1547:
	v_cmp_lt_u32_e64 s0, 0x37ffffff, v3
	s_mov_b32 s25, 0
                                        ; implicit-def: $vgpr3
	s_and_saveexec_b32 s26, s0
	s_delay_alu instid0(SALU_CYCLE_1)
	s_xor_b32 s0, exec_lo, s26
	s_cbranch_execz .LBB254_2864
; %bb.1548:
	v_bfe_u32 v3, v2, 21, 1
	s_mov_b32 s25, exec_lo
	s_delay_alu instid0(VALU_DEP_1) | instskip(NEXT) | instid1(VALU_DEP_1)
	v_add3_u32 v3, v2, v3, 0x88fffff
	v_lshrrev_b32_e32 v3, 21, v3
	s_and_not1_saveexec_b32 s26, s0
	s_cbranch_execnz .LBB254_2865
.LBB254_1549:
	s_or_b32 exec_lo, exec_lo, s26
	v_mov_b32_e32 v9, 0
	s_and_saveexec_b32 s0, s25
.LBB254_1550:
	v_lshrrev_b32_e32 v2, 24, v2
	s_delay_alu instid0(VALU_DEP_1)
	v_and_or_b32 v9, 0x80, v2, v3
.LBB254_1551:
	s_or_b32 exec_lo, exec_lo, s0
.LBB254_1552:
	s_delay_alu instid0(SALU_CYCLE_1)
	s_or_b32 exec_lo, exec_lo, s24
.LBB254_1553:
	s_delay_alu instid0(SALU_CYCLE_1)
	s_or_b32 exec_lo, exec_lo, s23
.LBB254_1554:
	s_delay_alu instid0(SALU_CYCLE_1)
	s_or_b32 exec_lo, exec_lo, s22
                                        ; implicit-def: $vgpr7
                                        ; implicit-def: $vgpr2_vgpr3
.LBB254_1555:
	s_and_not1_saveexec_b32 s21, s21
	s_cbranch_execz .LBB254_1603
; %bb.1556:
	s_mov_b32 s22, exec_lo
                                        ; implicit-def: $vgpr9
	v_cmpx_lt_i16_e32 1, v7
	s_xor_b32 s22, exec_lo, s22
	s_cbranch_execz .LBB254_1584
; %bb.1557:
	s_mov_b32 s23, exec_lo
                                        ; implicit-def: $vgpr9
	v_cmpx_lt_i16_e32 2, v7
	s_xor_b32 s23, exec_lo, s23
	;; [unrolled: 6-line block ×3, first 2 shown]
	s_cbranch_execz .LBB254_1566
; %bb.1559:
	flat_load_b64 v[2:3], v[2:3]
	s_mov_b32 s25, exec_lo
	s_wait_loadcnt_dscnt 0x0
	v_xor_b32_e32 v7, v2, v3
	v_cls_i32_e32 v9, v3
	s_delay_alu instid0(VALU_DEP_2) | instskip(NEXT) | instid1(VALU_DEP_1)
	v_ashrrev_i32_e32 v7, 31, v7
	v_add_nc_u32_e32 v7, 32, v7
	s_delay_alu instid0(VALU_DEP_1) | instskip(SKIP_2) | instid1(VALU_DEP_2)
	v_add_min_u32_e64 v7, v9, -1, v7
	v_mov_b32_e32 v9, 0x80
	s_wait_xcnt 0x0
	v_lshlrev_b64_e32 v[2:3], v7, v[2:3]
	s_delay_alu instid0(VALU_DEP_1) | instskip(NEXT) | instid1(VALU_DEP_1)
	v_min_u32_e32 v2, 1, v2
	v_dual_sub_nc_u32 v3, 32, v7 :: v_dual_bitop2_b32 v2, v3, v2 bitop3:0x54
	s_delay_alu instid0(VALU_DEP_1) | instskip(NEXT) | instid1(VALU_DEP_1)
	v_cvt_f32_i32_e32 v2, v2
	v_ldexp_f32 v2, v2, v3
	s_delay_alu instid0(VALU_DEP_1) | instskip(NEXT) | instid1(VALU_DEP_1)
	v_and_b32_e32 v3, 0x7fffffff, v2
	v_cmpx_gt_u32_e32 0x47800000, v3
	s_cbranch_execz .LBB254_1565
; %bb.1560:
	v_cmp_lt_u32_e64 s0, 0x37ffffff, v3
	s_mov_b32 s26, 0
                                        ; implicit-def: $vgpr3
	s_and_saveexec_b32 s27, s0
	s_delay_alu instid0(SALU_CYCLE_1)
	s_xor_b32 s0, exec_lo, s27
	s_cbranch_execz .LBB254_2941
; %bb.1561:
	v_bfe_u32 v3, v2, 21, 1
	s_mov_b32 s26, exec_lo
	s_delay_alu instid0(VALU_DEP_1) | instskip(NEXT) | instid1(VALU_DEP_1)
	v_add3_u32 v3, v2, v3, 0x88fffff
	v_lshrrev_b32_e32 v3, 21, v3
	s_and_not1_saveexec_b32 s27, s0
	s_cbranch_execnz .LBB254_2942
.LBB254_1562:
	s_or_b32 exec_lo, exec_lo, s27
	v_mov_b32_e32 v9, 0
	s_and_saveexec_b32 s0, s26
.LBB254_1563:
	v_lshrrev_b32_e32 v2, 24, v2
	s_delay_alu instid0(VALU_DEP_1)
	v_and_or_b32 v9, 0x80, v2, v3
.LBB254_1564:
	s_or_b32 exec_lo, exec_lo, s0
.LBB254_1565:
	s_delay_alu instid0(SALU_CYCLE_1)
	s_or_b32 exec_lo, exec_lo, s25
                                        ; implicit-def: $vgpr2_vgpr3
.LBB254_1566:
	s_and_not1_saveexec_b32 s24, s24
	s_cbranch_execz .LBB254_1574
; %bb.1567:
	flat_load_b32 v2, v[2:3]
	s_wait_loadcnt_dscnt 0x101
	v_mov_b32_e32 v9, 0x80
	s_mov_b32 s25, exec_lo
	s_wait_loadcnt_dscnt 0x0
	v_cvt_f32_i32_e32 v2, v2
	s_delay_alu instid0(VALU_DEP_1) | instskip(NEXT) | instid1(VALU_DEP_1)
	v_and_b32_e32 v3, 0x7fffffff, v2
	v_cmpx_gt_u32_e32 0x47800000, v3
	s_cbranch_execz .LBB254_1573
; %bb.1568:
	v_cmp_lt_u32_e64 s0, 0x37ffffff, v3
	s_mov_b32 s26, 0
                                        ; implicit-def: $vgpr3
	s_and_saveexec_b32 s27, s0
	s_delay_alu instid0(SALU_CYCLE_1)
	s_xor_b32 s0, exec_lo, s27
	s_cbranch_execz .LBB254_2943
; %bb.1569:
	v_bfe_u32 v3, v2, 21, 1
	s_mov_b32 s26, exec_lo
	s_delay_alu instid0(VALU_DEP_1) | instskip(NEXT) | instid1(VALU_DEP_1)
	v_add3_u32 v3, v2, v3, 0x88fffff
	v_lshrrev_b32_e32 v3, 21, v3
	s_and_not1_saveexec_b32 s27, s0
	s_cbranch_execnz .LBB254_2944
.LBB254_1570:
	s_or_b32 exec_lo, exec_lo, s27
	v_mov_b32_e32 v9, 0
	s_and_saveexec_b32 s0, s26
.LBB254_1571:
	v_lshrrev_b32_e32 v2, 24, v2
	s_delay_alu instid0(VALU_DEP_1)
	v_and_or_b32 v9, 0x80, v2, v3
.LBB254_1572:
	s_or_b32 exec_lo, exec_lo, s0
.LBB254_1573:
	s_delay_alu instid0(SALU_CYCLE_1)
	s_or_b32 exec_lo, exec_lo, s25
.LBB254_1574:
	s_delay_alu instid0(SALU_CYCLE_1)
	s_or_b32 exec_lo, exec_lo, s24
                                        ; implicit-def: $vgpr2_vgpr3
.LBB254_1575:
	s_and_not1_saveexec_b32 s23, s23
	s_cbranch_execz .LBB254_1583
; %bb.1576:
	flat_load_i16 v2, v[2:3]
	s_wait_loadcnt_dscnt 0x101
	v_mov_b32_e32 v9, 0x80
	s_mov_b32 s24, exec_lo
	s_wait_loadcnt_dscnt 0x0
	v_cvt_f32_i32_e32 v2, v2
	s_delay_alu instid0(VALU_DEP_1) | instskip(NEXT) | instid1(VALU_DEP_1)
	v_and_b32_e32 v3, 0x7fffffff, v2
	v_cmpx_gt_u32_e32 0x47800000, v3
	s_cbranch_execz .LBB254_1582
; %bb.1577:
	v_cmp_lt_u32_e64 s0, 0x37ffffff, v3
	s_mov_b32 s25, 0
                                        ; implicit-def: $vgpr3
	s_and_saveexec_b32 s26, s0
	s_delay_alu instid0(SALU_CYCLE_1)
	s_xor_b32 s0, exec_lo, s26
	s_cbranch_execz .LBB254_2866
; %bb.1578:
	v_bfe_u32 v3, v2, 21, 1
	s_mov_b32 s25, exec_lo
	s_delay_alu instid0(VALU_DEP_1) | instskip(NEXT) | instid1(VALU_DEP_1)
	v_add3_u32 v3, v2, v3, 0x88fffff
	v_lshrrev_b32_e32 v3, 21, v3
	s_and_not1_saveexec_b32 s26, s0
	s_cbranch_execnz .LBB254_2867
.LBB254_1579:
	s_or_b32 exec_lo, exec_lo, s26
	v_mov_b32_e32 v9, 0
	s_and_saveexec_b32 s0, s25
.LBB254_1580:
	v_lshrrev_b32_e32 v2, 24, v2
	s_delay_alu instid0(VALU_DEP_1)
	v_and_or_b32 v9, 0x80, v2, v3
.LBB254_1581:
	s_or_b32 exec_lo, exec_lo, s0
.LBB254_1582:
	s_delay_alu instid0(SALU_CYCLE_1)
	s_or_b32 exec_lo, exec_lo, s24
.LBB254_1583:
	s_delay_alu instid0(SALU_CYCLE_1)
	s_or_b32 exec_lo, exec_lo, s23
                                        ; implicit-def: $vgpr7
                                        ; implicit-def: $vgpr2_vgpr3
.LBB254_1584:
	s_and_not1_saveexec_b32 s22, s22
	s_cbranch_execz .LBB254_1602
; %bb.1585:
	s_mov_b32 s23, exec_lo
                                        ; implicit-def: $vgpr9
	v_cmpx_lt_i16_e32 0, v7
	s_xor_b32 s23, exec_lo, s23
	s_cbranch_execz .LBB254_1593
; %bb.1586:
	flat_load_i8 v2, v[2:3]
	s_wait_loadcnt_dscnt 0x101
	v_mov_b32_e32 v9, 0x80
	s_mov_b32 s24, exec_lo
	s_wait_loadcnt_dscnt 0x0
	v_cvt_f32_i32_e32 v2, v2
	s_delay_alu instid0(VALU_DEP_1) | instskip(NEXT) | instid1(VALU_DEP_1)
	v_and_b32_e32 v3, 0x7fffffff, v2
	v_cmpx_gt_u32_e32 0x47800000, v3
	s_cbranch_execz .LBB254_1592
; %bb.1587:
	v_cmp_lt_u32_e64 s0, 0x37ffffff, v3
	s_mov_b32 s25, 0
                                        ; implicit-def: $vgpr3
	s_and_saveexec_b32 s26, s0
	s_delay_alu instid0(SALU_CYCLE_1)
	s_xor_b32 s0, exec_lo, s26
	s_cbranch_execz .LBB254_2868
; %bb.1588:
	v_bfe_u32 v3, v2, 21, 1
	s_mov_b32 s25, exec_lo
	s_delay_alu instid0(VALU_DEP_1) | instskip(NEXT) | instid1(VALU_DEP_1)
	v_add3_u32 v3, v2, v3, 0x88fffff
	v_lshrrev_b32_e32 v3, 21, v3
	s_and_not1_saveexec_b32 s26, s0
	s_cbranch_execnz .LBB254_2869
.LBB254_1589:
	s_or_b32 exec_lo, exec_lo, s26
	v_mov_b32_e32 v9, 0
	s_and_saveexec_b32 s0, s25
.LBB254_1590:
	v_lshrrev_b32_e32 v2, 24, v2
	s_delay_alu instid0(VALU_DEP_1)
	v_and_or_b32 v9, 0x80, v2, v3
.LBB254_1591:
	s_or_b32 exec_lo, exec_lo, s0
.LBB254_1592:
	s_delay_alu instid0(SALU_CYCLE_1)
	s_or_b32 exec_lo, exec_lo, s24
                                        ; implicit-def: $vgpr2_vgpr3
.LBB254_1593:
	s_and_not1_saveexec_b32 s23, s23
	s_cbranch_execz .LBB254_1601
; %bb.1594:
	flat_load_u8 v2, v[2:3]
	s_wait_loadcnt_dscnt 0x101
	v_mov_b32_e32 v9, 0x80
	s_mov_b32 s24, exec_lo
	s_wait_loadcnt_dscnt 0x0
	v_cvt_f32_ubyte0_e32 v3, v2
	s_delay_alu instid0(VALU_DEP_1)
	v_cmpx_gt_u32_e32 0x47800000, v3
	s_cbranch_execz .LBB254_1600
; %bb.1595:
	v_cmp_lt_u32_e64 s0, 0x37ffffff, v3
	s_mov_b32 s25, 0
                                        ; implicit-def: $vgpr2
	s_and_saveexec_b32 s26, s0
	s_delay_alu instid0(SALU_CYCLE_1)
	s_xor_b32 s0, exec_lo, s26
	s_cbranch_execz .LBB254_2870
; %bb.1596:
	v_bfe_u32 v2, v3, 21, 1
	s_mov_b32 s25, exec_lo
	s_delay_alu instid0(VALU_DEP_1) | instskip(NEXT) | instid1(VALU_DEP_1)
	v_add3_u32 v2, v3, v2, 0x88fffff
                                        ; implicit-def: $vgpr3
	v_lshrrev_b32_e32 v2, 21, v2
	s_and_not1_saveexec_b32 s26, s0
	s_cbranch_execnz .LBB254_2871
.LBB254_1597:
	s_or_b32 exec_lo, exec_lo, s26
	v_mov_b32_e32 v9, 0
	s_and_saveexec_b32 s0, s25
.LBB254_1598:
	v_mov_b32_e32 v9, v2
.LBB254_1599:
	s_or_b32 exec_lo, exec_lo, s0
.LBB254_1600:
	s_delay_alu instid0(SALU_CYCLE_1)
	s_or_b32 exec_lo, exec_lo, s24
.LBB254_1601:
	s_delay_alu instid0(SALU_CYCLE_1)
	s_or_b32 exec_lo, exec_lo, s23
.LBB254_1602:
	s_delay_alu instid0(SALU_CYCLE_1)
	s_or_b32 exec_lo, exec_lo, s22
.LBB254_1603:
	s_delay_alu instid0(SALU_CYCLE_1) | instskip(NEXT) | instid1(SALU_CYCLE_1)
	s_or_b32 exec_lo, exec_lo, s21
	s_or_b32 s20, s20, exec_lo
.LBB254_1604:
	s_or_b32 exec_lo, exec_lo, s19
	s_mov_b32 s0, 0
	s_mov_b32 s22, 0
                                        ; implicit-def: $sgpr21
                                        ; implicit-def: $vgpr30_vgpr31
                                        ; implicit-def: $vgpr15
	s_and_saveexec_b32 s19, s20
	s_cbranch_execz .LBB254_2119
; %bb.1605:
	s_wait_loadcnt_dscnt 0x0
	v_mov_b32_e32 v13, 0
	s_mov_b32 s23, 0
	s_mov_b32 s20, s18
	s_mov_b32 s21, exec_lo
                                        ; implicit-def: $vgpr7
	s_delay_alu instid0(VALU_DEP_1)
	v_add_nc_u64_e32 v[2:3], v[16:17], v[12:13]
	v_cmpx_lt_i16_e32 10, v5
	s_xor_b32 s21, exec_lo, s21
	s_cbranch_execz .LBB254_1686
; %bb.1606:
	s_mov_b32 s20, 0
	s_mov_b32 s24, 0
	s_mov_b32 s22, exec_lo
                                        ; implicit-def: $vgpr7
	v_cmpx_lt_i16_e32 25, v5
	s_xor_b32 s22, exec_lo, s22
	s_cbranch_execz .LBB254_2611
; %bb.1607:
	s_mov_b32 s25, 0
	s_mov_b32 s23, exec_lo
                                        ; implicit-def: $vgpr7
	v_cmpx_lt_i16_e32 28, v5
	s_xor_b32 s23, exec_lo, s23
	s_cbranch_execz .LBB254_1641
; %bb.1608:
	s_mov_b32 s26, 0
	s_mov_b32 s27, 0
	s_mov_b32 s24, exec_lo
                                        ; implicit-def: $vgpr7
	v_cmpx_lt_i16_e32 43, v5
	s_xor_b32 s24, exec_lo, s24
	s_cbranch_execz .LBB254_1630
; %bb.1609:
	s_mov_b32 s27, exec_lo
                                        ; implicit-def: $vgpr7
	v_cmpx_lt_i16_e32 45, v5
	s_xor_b32 s27, exec_lo, s27
	s_cbranch_execz .LBB254_1619
; %bb.1610:
	s_mov_b32 s28, -1
	s_mov_b32 s25, exec_lo
                                        ; implicit-def: $vgpr7
	v_cmpx_eq_u16_e32 46, v5
	s_cbranch_execz .LBB254_1618
; %bb.1611:
	flat_load_b32 v5, v[2:3]
	v_mov_b32_e32 v7, 0x80
	s_mov_b32 s26, exec_lo
	s_wait_loadcnt_dscnt 0x0
	v_lshlrev_b32_e32 v5, 16, v5
	s_delay_alu instid0(VALU_DEP_1) | instskip(SKIP_1) | instid1(VALU_DEP_1)
	v_and_b32_e32 v11, 0x7fffffff, v5
	s_wait_xcnt 0x0
	v_cmpx_gt_u32_e32 0x47800000, v11
	s_cbranch_execz .LBB254_1617
; %bb.1612:
	v_cmp_lt_u32_e64 s0, 0x37ffffff, v11
	s_mov_b32 s28, 0
                                        ; implicit-def: $vgpr11
	s_and_saveexec_b32 s29, s0
	s_delay_alu instid0(SALU_CYCLE_1)
	s_xor_b32 s0, exec_lo, s29
	s_cbranch_execz .LBB254_3034
; %bb.1613:
	v_bfe_u32 v7, v5, 21, 1
	s_mov_b32 s28, exec_lo
	s_delay_alu instid0(VALU_DEP_1) | instskip(NEXT) | instid1(VALU_DEP_1)
	v_add3_u32 v7, v5, v7, 0x88fffff
	v_lshrrev_b32_e32 v11, 21, v7
	s_and_not1_saveexec_b32 s29, s0
	s_cbranch_execnz .LBB254_3035
.LBB254_1614:
	s_or_b32 exec_lo, exec_lo, s29
	v_mov_b32_e32 v7, 0
	s_and_saveexec_b32 s0, s28
.LBB254_1615:
	v_lshrrev_b32_e32 v5, 24, v5
	s_delay_alu instid0(VALU_DEP_1)
	v_and_or_b32 v7, 0x80, v5, v11
.LBB254_1616:
	s_or_b32 exec_lo, exec_lo, s0
.LBB254_1617:
	s_delay_alu instid0(SALU_CYCLE_1) | instskip(NEXT) | instid1(SALU_CYCLE_1)
	s_or_b32 exec_lo, exec_lo, s26
	s_mov_b32 s26, exec_lo
	s_xor_b32 s28, exec_lo, -1
.LBB254_1618:
	s_or_b32 exec_lo, exec_lo, s25
	s_delay_alu instid0(SALU_CYCLE_1)
	s_and_b32 s26, s26, exec_lo
	s_and_b32 s25, s28, exec_lo
                                        ; implicit-def: $vgpr5
.LBB254_1619:
	s_and_not1_saveexec_b32 s27, s27
	s_cbranch_execz .LBB254_1629
; %bb.1620:
	s_mov_b32 s29, -1
	s_mov_b32 s30, s26
	s_mov_b32 s28, exec_lo
                                        ; implicit-def: $vgpr7
	v_cmpx_eq_u16_e32 44, v5
	s_cbranch_execz .LBB254_1628
; %bb.1621:
	flat_load_u8 v5, v[2:3]
	s_mov_b32 s30, 0
	s_mov_b32 s29, exec_lo
	s_wait_loadcnt_dscnt 0x0
	v_lshlrev_b32_e32 v7, 23, v5
	v_cmp_ne_u32_e64 s0, 0xff, v5
	s_delay_alu instid0(VALU_DEP_1) | instskip(SKIP_1) | instid1(VALU_DEP_1)
	v_cndmask_b32_e64 v7, 0x7f800001, v7, s0
	v_cmp_ne_u32_e64 s0, 0, v5
	v_cndmask_b32_e64 v11, 0x400000, v7, s0
	v_mov_b32_e32 v7, 0x80
	s_wait_xcnt 0x0
	s_delay_alu instid0(VALU_DEP_2)
	v_cmpx_gt_u32_e32 0x47800000, v11
	s_cbranch_execz .LBB254_1627
; %bb.1622:
	v_cmp_lt_u32_e64 s0, 0x37ffffff, v11
                                        ; implicit-def: $vgpr5
	s_and_saveexec_b32 s31, s0
	s_delay_alu instid0(SALU_CYCLE_1)
	s_xor_b32 s0, exec_lo, s31
	s_cbranch_execz .LBB254_3036
; %bb.1623:
	v_bfe_u32 v5, v11, 21, 1
	s_mov_b32 s30, exec_lo
	s_delay_alu instid0(VALU_DEP_1) | instskip(NEXT) | instid1(VALU_DEP_1)
	v_add3_u32 v5, v11, v5, 0x88fffff
                                        ; implicit-def: $vgpr11
	v_lshrrev_b32_e32 v5, 21, v5
	s_and_not1_saveexec_b32 s31, s0
	s_cbranch_execnz .LBB254_3037
.LBB254_1624:
	s_or_b32 exec_lo, exec_lo, s31
	v_mov_b32_e32 v7, 0
	s_and_saveexec_b32 s0, s30
.LBB254_1625:
	v_mov_b32_e32 v7, v5
.LBB254_1626:
	s_or_b32 exec_lo, exec_lo, s0
.LBB254_1627:
	s_delay_alu instid0(SALU_CYCLE_1) | instskip(NEXT) | instid1(SALU_CYCLE_1)
	s_or_b32 exec_lo, exec_lo, s29
	s_or_b32 s30, s26, exec_lo
	s_xor_b32 s29, exec_lo, -1
.LBB254_1628:
	s_or_b32 exec_lo, exec_lo, s28
	s_delay_alu instid0(SALU_CYCLE_1)
	s_and_not1_b32 s0, s26, exec_lo
	s_and_b32 s26, s30, exec_lo
	s_and_not1_b32 s25, s25, exec_lo
	s_and_b32 s28, s29, exec_lo
	s_or_b32 s26, s0, s26
	s_or_b32 s25, s25, s28
.LBB254_1629:
	s_or_b32 exec_lo, exec_lo, s27
	s_delay_alu instid0(SALU_CYCLE_1)
	s_and_b32 s27, s26, exec_lo
	s_and_b32 s26, s25, exec_lo
                                        ; implicit-def: $vgpr5
.LBB254_1630:
	s_and_not1_saveexec_b32 s24, s24
	s_cbranch_execz .LBB254_1640
; %bb.1631:
	s_mov_b32 s28, -1
	s_mov_b32 s29, s27
	s_mov_b32 s25, exec_lo
                                        ; implicit-def: $vgpr7
	v_cmpx_eq_u16_e32 29, v5
	s_cbranch_execz .LBB254_1639
; %bb.1632:
	flat_load_b64 v[12:13], v[2:3]
	s_mov_b32 s28, exec_lo
	s_wait_loadcnt_dscnt 0x0
	v_clz_i32_u32_e32 v5, v13
	s_delay_alu instid0(VALU_DEP_1) | instskip(NEXT) | instid1(VALU_DEP_1)
	v_min_u32_e32 v5, 32, v5
	v_lshlrev_b64_e32 v[12:13], v5, v[12:13]
	v_sub_nc_u32_e32 v5, 32, v5
	s_delay_alu instid0(VALU_DEP_2) | instskip(NEXT) | instid1(VALU_DEP_1)
	v_min_u32_e32 v7, 1, v12
	v_or_b32_e32 v7, v13, v7
	s_delay_alu instid0(VALU_DEP_1) | instskip(NEXT) | instid1(VALU_DEP_1)
	v_cvt_f32_u32_e32 v7, v7
	v_ldexp_f32 v11, v7, v5
	v_mov_b32_e32 v7, 0x80
	s_wait_xcnt 0x0
	s_delay_alu instid0(VALU_DEP_2)
	v_cmpx_gt_u32_e32 0x47800000, v11
	s_cbranch_execz .LBB254_1638
; %bb.1633:
	v_cmp_lt_u32_e64 s0, 0x37ffffff, v11
	s_mov_b32 s29, 0
                                        ; implicit-def: $vgpr5
	s_and_saveexec_b32 s30, s0
	s_delay_alu instid0(SALU_CYCLE_1)
	s_xor_b32 s0, exec_lo, s30
	s_cbranch_execz .LBB254_3010
; %bb.1634:
	v_bfe_u32 v5, v11, 21, 1
	s_mov_b32 s29, exec_lo
	s_delay_alu instid0(VALU_DEP_1) | instskip(NEXT) | instid1(VALU_DEP_1)
	v_add3_u32 v5, v11, v5, 0x88fffff
                                        ; implicit-def: $vgpr11
	v_lshrrev_b32_e32 v5, 21, v5
	s_and_not1_saveexec_b32 s30, s0
	s_cbranch_execnz .LBB254_3011
.LBB254_1635:
	s_or_b32 exec_lo, exec_lo, s30
	v_mov_b32_e32 v7, 0
	s_and_saveexec_b32 s0, s29
.LBB254_1636:
	v_mov_b32_e32 v7, v5
.LBB254_1637:
	s_or_b32 exec_lo, exec_lo, s0
.LBB254_1638:
	s_delay_alu instid0(SALU_CYCLE_1) | instskip(NEXT) | instid1(SALU_CYCLE_1)
	s_or_b32 exec_lo, exec_lo, s28
	s_or_b32 s29, s27, exec_lo
	s_xor_b32 s28, exec_lo, -1
.LBB254_1639:
	s_or_b32 exec_lo, exec_lo, s25
	s_delay_alu instid0(SALU_CYCLE_1)
	s_and_not1_b32 s0, s27, exec_lo
	s_and_b32 s25, s29, exec_lo
	s_and_not1_b32 s26, s26, exec_lo
	s_and_b32 s28, s28, exec_lo
	s_or_b32 s27, s0, s25
	s_or_b32 s26, s26, s28
.LBB254_1640:
	s_or_b32 exec_lo, exec_lo, s24
	s_delay_alu instid0(SALU_CYCLE_1)
	s_and_b32 s25, s27, exec_lo
	s_and_b32 s24, s26, exec_lo
                                        ; implicit-def: $vgpr5
.LBB254_1641:
	s_and_not1_saveexec_b32 s23, s23
	s_cbranch_execz .LBB254_1675
; %bb.1642:
	s_mov_b32 s26, exec_lo
                                        ; implicit-def: $vgpr7
	v_cmpx_lt_i16_e32 26, v5
	s_xor_b32 s26, exec_lo, s26
	s_cbranch_execz .LBB254_1660
; %bb.1643:
	s_mov_b32 s27, exec_lo
                                        ; implicit-def: $vgpr7
	v_cmpx_lt_i16_e32 27, v5
	s_xor_b32 s27, exec_lo, s27
	s_cbranch_execz .LBB254_1651
; %bb.1644:
	flat_load_b32 v5, v[2:3]
	v_mov_b32_e32 v7, 0x80
	s_mov_b32 s28, exec_lo
	s_wait_loadcnt_dscnt 0x0
	v_cvt_f32_u32_e32 v11, v5
	s_wait_xcnt 0x0
	s_delay_alu instid0(VALU_DEP_1)
	v_cmpx_gt_u32_e32 0x47800000, v11
	s_cbranch_execz .LBB254_1650
; %bb.1645:
	v_cmp_lt_u32_e64 s0, 0x37ffffff, v11
	s_mov_b32 s29, 0
                                        ; implicit-def: $vgpr5
	s_and_saveexec_b32 s30, s0
	s_delay_alu instid0(SALU_CYCLE_1)
	s_xor_b32 s0, exec_lo, s30
	s_cbranch_execz .LBB254_3012
; %bb.1646:
	v_bfe_u32 v5, v11, 21, 1
	s_mov_b32 s29, exec_lo
	s_delay_alu instid0(VALU_DEP_1) | instskip(NEXT) | instid1(VALU_DEP_1)
	v_add3_u32 v5, v11, v5, 0x88fffff
                                        ; implicit-def: $vgpr11
	v_lshrrev_b32_e32 v5, 21, v5
	s_and_not1_saveexec_b32 s30, s0
	s_cbranch_execnz .LBB254_3013
.LBB254_1647:
	s_or_b32 exec_lo, exec_lo, s30
	v_mov_b32_e32 v7, 0
	s_and_saveexec_b32 s0, s29
.LBB254_1648:
	v_mov_b32_e32 v7, v5
.LBB254_1649:
	s_or_b32 exec_lo, exec_lo, s0
.LBB254_1650:
	s_delay_alu instid0(SALU_CYCLE_1)
	s_or_b32 exec_lo, exec_lo, s28
.LBB254_1651:
	s_and_not1_saveexec_b32 s27, s27
	s_cbranch_execz .LBB254_1659
; %bb.1652:
	flat_load_u16 v5, v[2:3]
	v_mov_b32_e32 v7, 0x80
	s_mov_b32 s28, exec_lo
	s_wait_loadcnt_dscnt 0x0
	v_cvt_f32_u32_e32 v11, v5
	s_wait_xcnt 0x0
	s_delay_alu instid0(VALU_DEP_1)
	v_cmpx_gt_u32_e32 0x47800000, v11
	s_cbranch_execz .LBB254_1658
; %bb.1653:
	v_cmp_lt_u32_e64 s0, 0x37ffffff, v11
	s_mov_b32 s29, 0
                                        ; implicit-def: $vgpr5
	s_and_saveexec_b32 s30, s0
	s_delay_alu instid0(SALU_CYCLE_1)
	s_xor_b32 s0, exec_lo, s30
	s_cbranch_execz .LBB254_3014
; %bb.1654:
	v_bfe_u32 v5, v11, 21, 1
	s_mov_b32 s29, exec_lo
	s_delay_alu instid0(VALU_DEP_1) | instskip(NEXT) | instid1(VALU_DEP_1)
	v_add3_u32 v5, v11, v5, 0x88fffff
                                        ; implicit-def: $vgpr11
	v_lshrrev_b32_e32 v5, 21, v5
	s_and_not1_saveexec_b32 s30, s0
	s_cbranch_execnz .LBB254_3015
.LBB254_1655:
	s_or_b32 exec_lo, exec_lo, s30
	v_mov_b32_e32 v7, 0
	s_and_saveexec_b32 s0, s29
.LBB254_1656:
	v_mov_b32_e32 v7, v5
.LBB254_1657:
	s_or_b32 exec_lo, exec_lo, s0
.LBB254_1658:
	s_delay_alu instid0(SALU_CYCLE_1)
	s_or_b32 exec_lo, exec_lo, s28
.LBB254_1659:
	s_delay_alu instid0(SALU_CYCLE_1)
	s_or_b32 exec_lo, exec_lo, s27
.LBB254_1660:
	s_and_not1_saveexec_b32 s26, s26
	s_cbranch_execz .LBB254_1674
; %bb.1661:
	flat_load_u8 v7, v[2:3]
	s_mov_b32 s27, 0
	s_mov_b32 s28, exec_lo
	s_wait_loadcnt_dscnt 0x0
	v_cmpx_lt_i16_e32 0x7f, v7
	s_xor_b32 s28, exec_lo, s28
	s_cbranch_execz .LBB254_2872
; %bb.1662:
	s_mov_b32 s27, -1
	s_mov_b32 s29, exec_lo
	v_cmpx_eq_u16_e32 0x80, v7
; %bb.1663:
	s_xor_b32 s27, exec_lo, -1
; %bb.1664:
	s_or_b32 exec_lo, exec_lo, s29
	s_delay_alu instid0(SALU_CYCLE_1)
	s_and_b32 s27, s27, exec_lo
	s_or_saveexec_b32 s28, s28
	v_mov_b32_e32 v5, 0x7f800001
	s_xor_b32 exec_lo, exec_lo, s28
	s_cbranch_execnz .LBB254_2873
.LBB254_1665:
	s_or_b32 exec_lo, exec_lo, s28
	s_and_saveexec_b32 s28, s27
	s_cbranch_execz .LBB254_1667
.LBB254_1666:
	v_and_b32_e32 v5, 0xffff, v7
	s_delay_alu instid0(VALU_DEP_1) | instskip(SKIP_1) | instid1(VALU_DEP_2)
	v_and_b32_e32 v11, 7, v5
	v_bfe_u32 v14, v5, 3, 4
	v_clz_i32_u32_e32 v12, v11
	s_delay_alu instid0(VALU_DEP_2) | instskip(NEXT) | instid1(VALU_DEP_2)
	v_cmp_eq_u32_e64 s0, 0, v14
	v_min_u32_e32 v12, 32, v12
	s_delay_alu instid0(VALU_DEP_1) | instskip(NEXT) | instid1(VALU_DEP_1)
	v_subrev_nc_u32_e32 v13, 28, v12
	v_dual_lshlrev_b32 v5, v13, v5 :: v_dual_sub_nc_u32 v12, 29, v12
	s_delay_alu instid0(VALU_DEP_1) | instskip(NEXT) | instid1(VALU_DEP_1)
	v_dual_lshlrev_b32 v7, 24, v7 :: v_dual_bitop2_b32 v5, 7, v5 bitop3:0x40
	v_dual_cndmask_b32 v12, v14, v12, s0 :: v_dual_cndmask_b32 v5, v11, v5, s0
	s_delay_alu instid0(VALU_DEP_2) | instskip(NEXT) | instid1(VALU_DEP_2)
	v_and_b32_e32 v7, 0x80000000, v7
	v_lshl_add_u32 v11, v12, 23, 0x3b800000
	s_delay_alu instid0(VALU_DEP_3) | instskip(NEXT) | instid1(VALU_DEP_1)
	v_lshlrev_b32_e32 v5, 20, v5
	v_or3_b32 v5, v7, v11, v5
.LBB254_1667:
	s_or_b32 exec_lo, exec_lo, s28
	s_delay_alu instid0(VALU_DEP_1) | instskip(SKIP_2) | instid1(VALU_DEP_2)
	v_and_b32_e32 v11, 0x7fffffff, v5
	v_mov_b32_e32 v7, 0x80
	s_mov_b32 s27, exec_lo
	v_cmpx_gt_u32_e32 0x47800000, v11
	s_cbranch_execz .LBB254_1673
; %bb.1668:
	v_cmp_lt_u32_e64 s0, 0x37ffffff, v11
	s_mov_b32 s28, 0
                                        ; implicit-def: $vgpr11
	s_and_saveexec_b32 s29, s0
	s_delay_alu instid0(SALU_CYCLE_1)
	s_xor_b32 s0, exec_lo, s29
	s_cbranch_execz .LBB254_2945
; %bb.1669:
	v_bfe_u32 v7, v5, 21, 1
	s_mov_b32 s28, exec_lo
	s_delay_alu instid0(VALU_DEP_1) | instskip(NEXT) | instid1(VALU_DEP_1)
	v_add3_u32 v7, v5, v7, 0x88fffff
	v_lshrrev_b32_e32 v11, 21, v7
	s_and_not1_saveexec_b32 s29, s0
	s_cbranch_execnz .LBB254_2946
.LBB254_1670:
	s_or_b32 exec_lo, exec_lo, s29
	v_mov_b32_e32 v7, 0
	s_and_saveexec_b32 s0, s28
.LBB254_1671:
	v_lshrrev_b32_e32 v5, 24, v5
	s_delay_alu instid0(VALU_DEP_1)
	v_and_or_b32 v7, 0x80, v5, v11
.LBB254_1672:
	s_or_b32 exec_lo, exec_lo, s0
.LBB254_1673:
	s_delay_alu instid0(SALU_CYCLE_1)
	s_or_b32 exec_lo, exec_lo, s27
.LBB254_1674:
	s_delay_alu instid0(SALU_CYCLE_1) | instskip(NEXT) | instid1(SALU_CYCLE_1)
	s_or_b32 exec_lo, exec_lo, s26
	s_or_b32 s25, s25, exec_lo
.LBB254_1675:
	s_or_b32 exec_lo, exec_lo, s23
	s_delay_alu instid0(SALU_CYCLE_1)
	s_and_b32 s23, s25, exec_lo
	s_and_b32 s24, s24, exec_lo
                                        ; implicit-def: $vgpr5
	s_and_not1_saveexec_b32 s22, s22
	s_cbranch_execnz .LBB254_2612
.LBB254_1676:
	s_or_b32 exec_lo, exec_lo, s22
	s_mov_b32 s22, s18
	s_and_saveexec_b32 s0, s24
	s_cbranch_execnz .LBB254_2649
.LBB254_1677:
	s_or_b32 exec_lo, exec_lo, s0
	s_and_saveexec_b32 s0, s20
	s_delay_alu instid0(SALU_CYCLE_1)
	s_xor_b32 s20, exec_lo, s0
	s_cbranch_execz .LBB254_1685
.LBB254_1678:
	flat_load_u8 v2, v[2:3]
	s_wait_loadcnt_dscnt 0x101
	v_mov_b32_e32 v7, 0x80
	s_mov_b32 s25, 0
	s_mov_b32 s24, exec_lo
	s_wait_loadcnt_dscnt 0x0
	v_cmp_ne_u16_e64 s0, 0, v2
	s_wait_xcnt 0x0
	s_delay_alu instid0(VALU_DEP_1) | instskip(NEXT) | instid1(VALU_DEP_1)
	v_cndmask_b32_e64 v3, 0, 1.0, s0
	v_cmpx_gt_u32_e32 0x47800000, v3
	s_cbranch_execz .LBB254_1684
; %bb.1679:
	v_cmp_lt_u32_e64 s0, 0x37ffffff, v3
                                        ; implicit-def: $vgpr2
	s_and_saveexec_b32 s26, s0
	s_delay_alu instid0(SALU_CYCLE_1)
	s_xor_b32 s0, exec_lo, s26
	s_cbranch_execz .LBB254_2787
; %bb.1680:
	v_bfe_u32 v2, v3, 21, 1
	s_mov_b32 s25, exec_lo
	s_delay_alu instid0(VALU_DEP_1) | instskip(NEXT) | instid1(VALU_DEP_1)
	v_add3_u32 v2, v3, v2, 0x88fffff
                                        ; implicit-def: $vgpr3
	v_lshrrev_b32_e32 v2, 21, v2
	s_and_not1_saveexec_b32 s26, s0
	s_cbranch_execnz .LBB254_2788
.LBB254_1681:
	s_or_b32 exec_lo, exec_lo, s26
	v_mov_b32_e32 v7, 0
	s_and_saveexec_b32 s0, s25
.LBB254_1682:
	v_mov_b32_e32 v7, v2
.LBB254_1683:
	s_or_b32 exec_lo, exec_lo, s0
.LBB254_1684:
	s_delay_alu instid0(SALU_CYCLE_1) | instskip(NEXT) | instid1(SALU_CYCLE_1)
	s_or_b32 exec_lo, exec_lo, s24
	s_or_b32 s23, s23, exec_lo
.LBB254_1685:
	s_or_b32 exec_lo, exec_lo, s20
	s_delay_alu instid0(SALU_CYCLE_1)
	s_and_not1_b32 s0, s18, exec_lo
	s_and_b32 s20, s22, exec_lo
	s_and_b32 s23, s23, exec_lo
	s_or_b32 s20, s0, s20
                                        ; implicit-def: $vgpr5
                                        ; implicit-def: $vgpr2_vgpr3
.LBB254_1686:
	s_and_not1_saveexec_b32 s21, s21
	s_cbranch_execz .LBB254_1794
; %bb.1687:
	s_mov_b32 s22, exec_lo
                                        ; implicit-def: $vgpr7
	v_cmpx_lt_i16_e32 4, v5
	s_xor_b32 s22, exec_lo, s22
	s_cbranch_execz .LBB254_1745
; %bb.1688:
	s_mov_b32 s24, exec_lo
                                        ; implicit-def: $vgpr7
	v_cmpx_lt_i16_e32 7, v5
	s_xor_b32 s24, exec_lo, s24
	;; [unrolled: 6-line block ×4, first 2 shown]
	s_cbranch_execz .LBB254_1698
; %bb.1691:
	flat_load_b64 v[2:3], v[2:3]
	s_wait_loadcnt_dscnt 0x101
	v_mov_b32_e32 v7, 0x80
	s_mov_b32 s27, exec_lo
	s_wait_loadcnt_dscnt 0x0
	v_cvt_f32_f64_e32 v2, v[2:3]
	s_delay_alu instid0(VALU_DEP_1) | instskip(NEXT) | instid1(VALU_DEP_1)
	v_and_b32_e32 v3, 0x7fffffff, v2
	v_cmpx_gt_u32_e32 0x47800000, v3
	s_cbranch_execz .LBB254_1697
; %bb.1692:
	v_cmp_lt_u32_e64 s0, 0x37ffffff, v3
	s_mov_b32 s28, 0
                                        ; implicit-def: $vgpr3
	s_and_saveexec_b32 s29, s0
	s_delay_alu instid0(SALU_CYCLE_1)
	s_xor_b32 s0, exec_lo, s29
	s_cbranch_execz .LBB254_3016
; %bb.1693:
	v_bfe_u32 v3, v2, 21, 1
	s_mov_b32 s28, exec_lo
	s_delay_alu instid0(VALU_DEP_1) | instskip(NEXT) | instid1(VALU_DEP_1)
	v_add3_u32 v3, v2, v3, 0x88fffff
	v_lshrrev_b32_e32 v3, 21, v3
	s_and_not1_saveexec_b32 s29, s0
	s_cbranch_execnz .LBB254_3017
.LBB254_1694:
	s_or_b32 exec_lo, exec_lo, s29
	v_mov_b32_e32 v7, 0
	s_and_saveexec_b32 s0, s28
.LBB254_1695:
	v_lshrrev_b32_e32 v2, 24, v2
	s_delay_alu instid0(VALU_DEP_1)
	v_and_or_b32 v7, 0x80, v2, v3
.LBB254_1696:
	s_or_b32 exec_lo, exec_lo, s0
.LBB254_1697:
	s_delay_alu instid0(SALU_CYCLE_1)
	s_or_b32 exec_lo, exec_lo, s27
                                        ; implicit-def: $vgpr2_vgpr3
.LBB254_1698:
	s_and_not1_saveexec_b32 s26, s26
	s_cbranch_execz .LBB254_1706
; %bb.1699:
	flat_load_b32 v2, v[2:3]
	s_wait_loadcnt_dscnt 0x101
	v_mov_b32_e32 v7, 0x80
	s_mov_b32 s27, exec_lo
	s_wait_loadcnt_dscnt 0x0
	v_and_b32_e32 v3, 0x7fffffff, v2
	s_delay_alu instid0(VALU_DEP_1)
	v_cmpx_gt_u32_e32 0x47800000, v3
	s_cbranch_execz .LBB254_1705
; %bb.1700:
	v_cmp_lt_u32_e64 s0, 0x37ffffff, v3
	s_mov_b32 s28, 0
                                        ; implicit-def: $vgpr3
	s_and_saveexec_b32 s29, s0
	s_delay_alu instid0(SALU_CYCLE_1)
	s_xor_b32 s0, exec_lo, s29
	s_cbranch_execz .LBB254_3018
; %bb.1701:
	v_bfe_u32 v3, v2, 21, 1
	s_mov_b32 s28, exec_lo
	s_delay_alu instid0(VALU_DEP_1) | instskip(NEXT) | instid1(VALU_DEP_1)
	v_add3_u32 v3, v2, v3, 0x88fffff
	v_lshrrev_b32_e32 v3, 21, v3
	s_and_not1_saveexec_b32 s29, s0
	s_cbranch_execnz .LBB254_3019
.LBB254_1702:
	s_or_b32 exec_lo, exec_lo, s29
	v_mov_b32_e32 v7, 0
	s_and_saveexec_b32 s0, s28
.LBB254_1703:
	v_lshrrev_b32_e32 v2, 24, v2
	s_delay_alu instid0(VALU_DEP_1)
	v_and_or_b32 v7, 0x80, v2, v3
.LBB254_1704:
	s_or_b32 exec_lo, exec_lo, s0
.LBB254_1705:
	s_delay_alu instid0(SALU_CYCLE_1)
	s_or_b32 exec_lo, exec_lo, s27
.LBB254_1706:
	s_delay_alu instid0(SALU_CYCLE_1)
	s_or_b32 exec_lo, exec_lo, s26
                                        ; implicit-def: $vgpr2_vgpr3
.LBB254_1707:
	s_and_not1_saveexec_b32 s25, s25
	s_cbranch_execz .LBB254_1715
; %bb.1708:
	flat_load_b32 v2, v[2:3]
	s_wait_loadcnt_dscnt 0x101
	v_mov_b32_e32 v7, 0x80
	s_mov_b32 s26, exec_lo
	s_wait_loadcnt_dscnt 0x0
	v_cvt_f32_f16_e32 v2, v2
	s_delay_alu instid0(VALU_DEP_1) | instskip(NEXT) | instid1(VALU_DEP_1)
	v_and_b32_e32 v3, 0x7fffffff, v2
	v_cmpx_gt_u32_e32 0x47800000, v3
	s_cbranch_execz .LBB254_1714
; %bb.1709:
	v_cmp_lt_u32_e64 s0, 0x37ffffff, v3
	s_mov_b32 s27, 0
                                        ; implicit-def: $vgpr3
	s_and_saveexec_b32 s28, s0
	s_delay_alu instid0(SALU_CYCLE_1)
	s_xor_b32 s0, exec_lo, s28
	s_cbranch_execz .LBB254_2947
; %bb.1710:
	v_bfe_u32 v3, v2, 21, 1
	s_mov_b32 s27, exec_lo
	s_delay_alu instid0(VALU_DEP_1) | instskip(NEXT) | instid1(VALU_DEP_1)
	v_add3_u32 v3, v2, v3, 0x88fffff
	v_lshrrev_b32_e32 v3, 21, v3
	s_and_not1_saveexec_b32 s28, s0
	s_cbranch_execnz .LBB254_2948
.LBB254_1711:
	s_or_b32 exec_lo, exec_lo, s28
	v_mov_b32_e32 v7, 0
	s_and_saveexec_b32 s0, s27
.LBB254_1712:
	v_lshrrev_b32_e32 v2, 24, v2
	s_delay_alu instid0(VALU_DEP_1)
	v_and_or_b32 v7, 0x80, v2, v3
.LBB254_1713:
	s_or_b32 exec_lo, exec_lo, s0
.LBB254_1714:
	s_delay_alu instid0(SALU_CYCLE_1)
	s_or_b32 exec_lo, exec_lo, s26
.LBB254_1715:
	s_delay_alu instid0(SALU_CYCLE_1)
	s_or_b32 exec_lo, exec_lo, s25
                                        ; implicit-def: $vgpr5
                                        ; implicit-def: $vgpr2_vgpr3
.LBB254_1716:
	s_and_not1_saveexec_b32 s24, s24
	s_cbranch_execz .LBB254_1744
; %bb.1717:
	s_mov_b32 s25, exec_lo
                                        ; implicit-def: $vgpr7
	v_cmpx_lt_i16_e32 5, v5
	s_xor_b32 s25, exec_lo, s25
	s_cbranch_execz .LBB254_1735
; %bb.1718:
	s_mov_b32 s26, exec_lo
                                        ; implicit-def: $vgpr7
	v_cmpx_lt_i16_e32 6, v5
	s_xor_b32 s26, exec_lo, s26
	s_cbranch_execz .LBB254_1726
; %bb.1719:
	flat_load_b64 v[2:3], v[2:3]
	s_wait_loadcnt_dscnt 0x101
	v_mov_b32_e32 v7, 0x80
	s_mov_b32 s27, exec_lo
	s_wait_loadcnt_dscnt 0x0
	v_cvt_f32_f64_e32 v2, v[2:3]
	s_delay_alu instid0(VALU_DEP_1) | instskip(NEXT) | instid1(VALU_DEP_1)
	v_and_b32_e32 v3, 0x7fffffff, v2
	v_cmpx_gt_u32_e32 0x47800000, v3
	s_cbranch_execz .LBB254_1725
; %bb.1720:
	v_cmp_lt_u32_e64 s0, 0x37ffffff, v3
	s_mov_b32 s28, 0
                                        ; implicit-def: $vgpr3
	s_and_saveexec_b32 s29, s0
	s_delay_alu instid0(SALU_CYCLE_1)
	s_xor_b32 s0, exec_lo, s29
	s_cbranch_execz .LBB254_3020
; %bb.1721:
	v_bfe_u32 v3, v2, 21, 1
	s_mov_b32 s28, exec_lo
	s_delay_alu instid0(VALU_DEP_1) | instskip(NEXT) | instid1(VALU_DEP_1)
	v_add3_u32 v3, v2, v3, 0x88fffff
	v_lshrrev_b32_e32 v3, 21, v3
	s_and_not1_saveexec_b32 s29, s0
	s_cbranch_execnz .LBB254_3021
.LBB254_1722:
	s_or_b32 exec_lo, exec_lo, s29
	v_mov_b32_e32 v7, 0
	s_and_saveexec_b32 s0, s28
.LBB254_1723:
	v_lshrrev_b32_e32 v2, 24, v2
	s_delay_alu instid0(VALU_DEP_1)
	v_and_or_b32 v7, 0x80, v2, v3
.LBB254_1724:
	s_or_b32 exec_lo, exec_lo, s0
.LBB254_1725:
	s_delay_alu instid0(SALU_CYCLE_1)
	s_or_b32 exec_lo, exec_lo, s27
                                        ; implicit-def: $vgpr2_vgpr3
.LBB254_1726:
	s_and_not1_saveexec_b32 s26, s26
	s_cbranch_execz .LBB254_1734
; %bb.1727:
	flat_load_b32 v2, v[2:3]
	s_wait_loadcnt_dscnt 0x101
	v_mov_b32_e32 v7, 0x80
	s_mov_b32 s27, exec_lo
	s_wait_loadcnt_dscnt 0x0
	v_and_b32_e32 v3, 0x7fffffff, v2
	s_delay_alu instid0(VALU_DEP_1)
	v_cmpx_gt_u32_e32 0x47800000, v3
	s_cbranch_execz .LBB254_1733
; %bb.1728:
	v_cmp_lt_u32_e64 s0, 0x37ffffff, v3
	s_mov_b32 s28, 0
                                        ; implicit-def: $vgpr3
	s_and_saveexec_b32 s29, s0
	s_delay_alu instid0(SALU_CYCLE_1)
	s_xor_b32 s0, exec_lo, s29
	s_cbranch_execz .LBB254_3022
; %bb.1729:
	v_bfe_u32 v3, v2, 21, 1
	s_mov_b32 s28, exec_lo
	s_delay_alu instid0(VALU_DEP_1) | instskip(NEXT) | instid1(VALU_DEP_1)
	v_add3_u32 v3, v2, v3, 0x88fffff
	v_lshrrev_b32_e32 v3, 21, v3
	s_and_not1_saveexec_b32 s29, s0
	s_cbranch_execnz .LBB254_3023
.LBB254_1730:
	s_or_b32 exec_lo, exec_lo, s29
	v_mov_b32_e32 v7, 0
	s_and_saveexec_b32 s0, s28
.LBB254_1731:
	v_lshrrev_b32_e32 v2, 24, v2
	s_delay_alu instid0(VALU_DEP_1)
	v_and_or_b32 v7, 0x80, v2, v3
.LBB254_1732:
	s_or_b32 exec_lo, exec_lo, s0
.LBB254_1733:
	s_delay_alu instid0(SALU_CYCLE_1)
	s_or_b32 exec_lo, exec_lo, s27
.LBB254_1734:
	s_delay_alu instid0(SALU_CYCLE_1)
	s_or_b32 exec_lo, exec_lo, s26
                                        ; implicit-def: $vgpr2_vgpr3
.LBB254_1735:
	s_and_not1_saveexec_b32 s25, s25
	s_cbranch_execz .LBB254_1743
; %bb.1736:
	flat_load_u16 v2, v[2:3]
	s_wait_loadcnt_dscnt 0x101
	v_mov_b32_e32 v7, 0x80
	s_mov_b32 s26, exec_lo
	s_wait_loadcnt_dscnt 0x0
	v_cvt_f32_f16_e32 v2, v2
	s_delay_alu instid0(VALU_DEP_1) | instskip(NEXT) | instid1(VALU_DEP_1)
	v_and_b32_e32 v3, 0x7fffffff, v2
	v_cmpx_gt_u32_e32 0x47800000, v3
	s_cbranch_execz .LBB254_1742
; %bb.1737:
	v_cmp_lt_u32_e64 s0, 0x37ffffff, v3
	s_mov_b32 s27, 0
                                        ; implicit-def: $vgpr3
	s_and_saveexec_b32 s28, s0
	s_delay_alu instid0(SALU_CYCLE_1)
	s_xor_b32 s0, exec_lo, s28
	s_cbranch_execz .LBB254_2949
; %bb.1738:
	v_bfe_u32 v3, v2, 21, 1
	s_mov_b32 s27, exec_lo
	s_delay_alu instid0(VALU_DEP_1) | instskip(NEXT) | instid1(VALU_DEP_1)
	v_add3_u32 v3, v2, v3, 0x88fffff
	v_lshrrev_b32_e32 v3, 21, v3
	s_and_not1_saveexec_b32 s28, s0
	s_cbranch_execnz .LBB254_2950
.LBB254_1739:
	s_or_b32 exec_lo, exec_lo, s28
	v_mov_b32_e32 v7, 0
	s_and_saveexec_b32 s0, s27
.LBB254_1740:
	v_lshrrev_b32_e32 v2, 24, v2
	s_delay_alu instid0(VALU_DEP_1)
	v_and_or_b32 v7, 0x80, v2, v3
.LBB254_1741:
	s_or_b32 exec_lo, exec_lo, s0
.LBB254_1742:
	s_delay_alu instid0(SALU_CYCLE_1)
	s_or_b32 exec_lo, exec_lo, s26
.LBB254_1743:
	s_delay_alu instid0(SALU_CYCLE_1)
	s_or_b32 exec_lo, exec_lo, s25
.LBB254_1744:
	s_delay_alu instid0(SALU_CYCLE_1)
	s_or_b32 exec_lo, exec_lo, s24
                                        ; implicit-def: $vgpr5
                                        ; implicit-def: $vgpr2_vgpr3
.LBB254_1745:
	s_and_not1_saveexec_b32 s22, s22
	s_cbranch_execz .LBB254_1793
; %bb.1746:
	s_mov_b32 s24, exec_lo
                                        ; implicit-def: $vgpr7
	v_cmpx_lt_i16_e32 1, v5
	s_xor_b32 s24, exec_lo, s24
	s_cbranch_execz .LBB254_1774
; %bb.1747:
	s_mov_b32 s25, exec_lo
                                        ; implicit-def: $vgpr7
	v_cmpx_lt_i16_e32 2, v5
	s_xor_b32 s25, exec_lo, s25
	;; [unrolled: 6-line block ×3, first 2 shown]
	s_cbranch_execz .LBB254_1756
; %bb.1749:
	flat_load_b64 v[2:3], v[2:3]
	s_mov_b32 s27, exec_lo
	s_wait_loadcnt_dscnt 0x0
	v_xor_b32_e32 v5, v2, v3
	v_cls_i32_e32 v7, v3
	s_delay_alu instid0(VALU_DEP_2) | instskip(NEXT) | instid1(VALU_DEP_1)
	v_ashrrev_i32_e32 v5, 31, v5
	v_add_nc_u32_e32 v5, 32, v5
	s_delay_alu instid0(VALU_DEP_1) | instskip(SKIP_2) | instid1(VALU_DEP_2)
	v_add_min_u32_e64 v5, v7, -1, v5
	v_mov_b32_e32 v7, 0x80
	s_wait_xcnt 0x0
	v_lshlrev_b64_e32 v[2:3], v5, v[2:3]
	s_delay_alu instid0(VALU_DEP_1) | instskip(NEXT) | instid1(VALU_DEP_1)
	v_min_u32_e32 v2, 1, v2
	v_dual_sub_nc_u32 v3, 32, v5 :: v_dual_bitop2_b32 v2, v3, v2 bitop3:0x54
	s_delay_alu instid0(VALU_DEP_1) | instskip(NEXT) | instid1(VALU_DEP_1)
	v_cvt_f32_i32_e32 v2, v2
	v_ldexp_f32 v2, v2, v3
	s_delay_alu instid0(VALU_DEP_1) | instskip(NEXT) | instid1(VALU_DEP_1)
	v_and_b32_e32 v3, 0x7fffffff, v2
	v_cmpx_gt_u32_e32 0x47800000, v3
	s_cbranch_execz .LBB254_1755
; %bb.1750:
	v_cmp_lt_u32_e64 s0, 0x37ffffff, v3
	s_mov_b32 s28, 0
                                        ; implicit-def: $vgpr3
	s_and_saveexec_b32 s29, s0
	s_delay_alu instid0(SALU_CYCLE_1)
	s_xor_b32 s0, exec_lo, s29
	s_cbranch_execz .LBB254_3024
; %bb.1751:
	v_bfe_u32 v3, v2, 21, 1
	s_mov_b32 s28, exec_lo
	s_delay_alu instid0(VALU_DEP_1) | instskip(NEXT) | instid1(VALU_DEP_1)
	v_add3_u32 v3, v2, v3, 0x88fffff
	v_lshrrev_b32_e32 v3, 21, v3
	s_and_not1_saveexec_b32 s29, s0
	s_cbranch_execnz .LBB254_3025
.LBB254_1752:
	s_or_b32 exec_lo, exec_lo, s29
	v_mov_b32_e32 v7, 0
	s_and_saveexec_b32 s0, s28
.LBB254_1753:
	v_lshrrev_b32_e32 v2, 24, v2
	s_delay_alu instid0(VALU_DEP_1)
	v_and_or_b32 v7, 0x80, v2, v3
.LBB254_1754:
	s_or_b32 exec_lo, exec_lo, s0
.LBB254_1755:
	s_delay_alu instid0(SALU_CYCLE_1)
	s_or_b32 exec_lo, exec_lo, s27
                                        ; implicit-def: $vgpr2_vgpr3
.LBB254_1756:
	s_and_not1_saveexec_b32 s26, s26
	s_cbranch_execz .LBB254_1764
; %bb.1757:
	flat_load_b32 v2, v[2:3]
	s_wait_loadcnt_dscnt 0x101
	v_mov_b32_e32 v7, 0x80
	s_mov_b32 s27, exec_lo
	s_wait_loadcnt_dscnt 0x0
	v_cvt_f32_i32_e32 v2, v2
	s_delay_alu instid0(VALU_DEP_1) | instskip(NEXT) | instid1(VALU_DEP_1)
	v_and_b32_e32 v3, 0x7fffffff, v2
	v_cmpx_gt_u32_e32 0x47800000, v3
	s_cbranch_execz .LBB254_1763
; %bb.1758:
	v_cmp_lt_u32_e64 s0, 0x37ffffff, v3
	s_mov_b32 s28, 0
                                        ; implicit-def: $vgpr3
	s_and_saveexec_b32 s29, s0
	s_delay_alu instid0(SALU_CYCLE_1)
	s_xor_b32 s0, exec_lo, s29
	s_cbranch_execz .LBB254_3026
; %bb.1759:
	v_bfe_u32 v3, v2, 21, 1
	s_mov_b32 s28, exec_lo
	s_delay_alu instid0(VALU_DEP_1) | instskip(NEXT) | instid1(VALU_DEP_1)
	v_add3_u32 v3, v2, v3, 0x88fffff
	v_lshrrev_b32_e32 v3, 21, v3
	s_and_not1_saveexec_b32 s29, s0
	s_cbranch_execnz .LBB254_3027
.LBB254_1760:
	s_or_b32 exec_lo, exec_lo, s29
	v_mov_b32_e32 v7, 0
	s_and_saveexec_b32 s0, s28
.LBB254_1761:
	v_lshrrev_b32_e32 v2, 24, v2
	s_delay_alu instid0(VALU_DEP_1)
	v_and_or_b32 v7, 0x80, v2, v3
.LBB254_1762:
	s_or_b32 exec_lo, exec_lo, s0
.LBB254_1763:
	s_delay_alu instid0(SALU_CYCLE_1)
	s_or_b32 exec_lo, exec_lo, s27
.LBB254_1764:
	s_delay_alu instid0(SALU_CYCLE_1)
	s_or_b32 exec_lo, exec_lo, s26
                                        ; implicit-def: $vgpr2_vgpr3
.LBB254_1765:
	s_and_not1_saveexec_b32 s25, s25
	s_cbranch_execz .LBB254_1773
; %bb.1766:
	flat_load_i16 v2, v[2:3]
	s_wait_loadcnt_dscnt 0x101
	v_mov_b32_e32 v7, 0x80
	s_mov_b32 s26, exec_lo
	s_wait_loadcnt_dscnt 0x0
	v_cvt_f32_i32_e32 v2, v2
	s_delay_alu instid0(VALU_DEP_1) | instskip(NEXT) | instid1(VALU_DEP_1)
	v_and_b32_e32 v3, 0x7fffffff, v2
	v_cmpx_gt_u32_e32 0x47800000, v3
	s_cbranch_execz .LBB254_1772
; %bb.1767:
	v_cmp_lt_u32_e64 s0, 0x37ffffff, v3
	s_mov_b32 s27, 0
                                        ; implicit-def: $vgpr3
	s_and_saveexec_b32 s28, s0
	s_delay_alu instid0(SALU_CYCLE_1)
	s_xor_b32 s0, exec_lo, s28
	s_cbranch_execz .LBB254_2951
; %bb.1768:
	v_bfe_u32 v3, v2, 21, 1
	s_mov_b32 s27, exec_lo
	s_delay_alu instid0(VALU_DEP_1) | instskip(NEXT) | instid1(VALU_DEP_1)
	v_add3_u32 v3, v2, v3, 0x88fffff
	v_lshrrev_b32_e32 v3, 21, v3
	s_and_not1_saveexec_b32 s28, s0
	s_cbranch_execnz .LBB254_2952
.LBB254_1769:
	s_or_b32 exec_lo, exec_lo, s28
	v_mov_b32_e32 v7, 0
	s_and_saveexec_b32 s0, s27
.LBB254_1770:
	v_lshrrev_b32_e32 v2, 24, v2
	s_delay_alu instid0(VALU_DEP_1)
	v_and_or_b32 v7, 0x80, v2, v3
.LBB254_1771:
	s_or_b32 exec_lo, exec_lo, s0
.LBB254_1772:
	s_delay_alu instid0(SALU_CYCLE_1)
	s_or_b32 exec_lo, exec_lo, s26
.LBB254_1773:
	s_delay_alu instid0(SALU_CYCLE_1)
	s_or_b32 exec_lo, exec_lo, s25
                                        ; implicit-def: $vgpr5
                                        ; implicit-def: $vgpr2_vgpr3
.LBB254_1774:
	s_and_not1_saveexec_b32 s24, s24
	s_cbranch_execz .LBB254_1792
; %bb.1775:
	s_mov_b32 s25, exec_lo
                                        ; implicit-def: $vgpr7
	v_cmpx_lt_i16_e32 0, v5
	s_xor_b32 s25, exec_lo, s25
	s_cbranch_execz .LBB254_1783
; %bb.1776:
	flat_load_i8 v2, v[2:3]
	s_wait_loadcnt_dscnt 0x101
	v_mov_b32_e32 v7, 0x80
	s_mov_b32 s26, exec_lo
	s_wait_loadcnt_dscnt 0x0
	v_cvt_f32_i32_e32 v2, v2
	s_delay_alu instid0(VALU_DEP_1) | instskip(NEXT) | instid1(VALU_DEP_1)
	v_and_b32_e32 v3, 0x7fffffff, v2
	v_cmpx_gt_u32_e32 0x47800000, v3
	s_cbranch_execz .LBB254_1782
; %bb.1777:
	v_cmp_lt_u32_e64 s0, 0x37ffffff, v3
	s_mov_b32 s27, 0
                                        ; implicit-def: $vgpr3
	s_and_saveexec_b32 s28, s0
	s_delay_alu instid0(SALU_CYCLE_1)
	s_xor_b32 s0, exec_lo, s28
	s_cbranch_execz .LBB254_2953
; %bb.1778:
	v_bfe_u32 v3, v2, 21, 1
	s_mov_b32 s27, exec_lo
	s_delay_alu instid0(VALU_DEP_1) | instskip(NEXT) | instid1(VALU_DEP_1)
	v_add3_u32 v3, v2, v3, 0x88fffff
	v_lshrrev_b32_e32 v3, 21, v3
	s_and_not1_saveexec_b32 s28, s0
	s_cbranch_execnz .LBB254_2954
.LBB254_1779:
	s_or_b32 exec_lo, exec_lo, s28
	v_mov_b32_e32 v7, 0
	s_and_saveexec_b32 s0, s27
.LBB254_1780:
	v_lshrrev_b32_e32 v2, 24, v2
	s_delay_alu instid0(VALU_DEP_1)
	v_and_or_b32 v7, 0x80, v2, v3
.LBB254_1781:
	s_or_b32 exec_lo, exec_lo, s0
.LBB254_1782:
	s_delay_alu instid0(SALU_CYCLE_1)
	s_or_b32 exec_lo, exec_lo, s26
                                        ; implicit-def: $vgpr2_vgpr3
.LBB254_1783:
	s_and_not1_saveexec_b32 s25, s25
	s_cbranch_execz .LBB254_1791
; %bb.1784:
	flat_load_u8 v2, v[2:3]
	s_wait_loadcnt_dscnt 0x101
	v_mov_b32_e32 v7, 0x80
	s_mov_b32 s26, exec_lo
	s_wait_loadcnt_dscnt 0x0
	v_cvt_f32_ubyte0_e32 v3, v2
	s_delay_alu instid0(VALU_DEP_1)
	v_cmpx_gt_u32_e32 0x47800000, v3
	s_cbranch_execz .LBB254_1790
; %bb.1785:
	v_cmp_lt_u32_e64 s0, 0x37ffffff, v3
	s_mov_b32 s27, 0
                                        ; implicit-def: $vgpr2
	s_and_saveexec_b32 s28, s0
	s_delay_alu instid0(SALU_CYCLE_1)
	s_xor_b32 s0, exec_lo, s28
	s_cbranch_execz .LBB254_2955
; %bb.1786:
	v_bfe_u32 v2, v3, 21, 1
	s_mov_b32 s27, exec_lo
	s_delay_alu instid0(VALU_DEP_1) | instskip(NEXT) | instid1(VALU_DEP_1)
	v_add3_u32 v2, v3, v2, 0x88fffff
                                        ; implicit-def: $vgpr3
	v_lshrrev_b32_e32 v2, 21, v2
	s_and_not1_saveexec_b32 s28, s0
	s_cbranch_execnz .LBB254_2956
.LBB254_1787:
	s_or_b32 exec_lo, exec_lo, s28
	v_mov_b32_e32 v7, 0
	s_and_saveexec_b32 s0, s27
.LBB254_1788:
	v_mov_b32_e32 v7, v2
.LBB254_1789:
	s_or_b32 exec_lo, exec_lo, s0
.LBB254_1790:
	s_delay_alu instid0(SALU_CYCLE_1)
	s_or_b32 exec_lo, exec_lo, s26
.LBB254_1791:
	s_delay_alu instid0(SALU_CYCLE_1)
	s_or_b32 exec_lo, exec_lo, s25
.LBB254_1792:
	s_delay_alu instid0(SALU_CYCLE_1)
	s_or_b32 exec_lo, exec_lo, s24
.LBB254_1793:
	s_delay_alu instid0(SALU_CYCLE_1) | instskip(NEXT) | instid1(SALU_CYCLE_1)
	s_or_b32 exec_lo, exec_lo, s22
	s_or_b32 s23, s23, exec_lo
.LBB254_1794:
	s_or_b32 exec_lo, exec_lo, s21
	s_mov_b32 s0, 0
	s_mov_b32 s24, 0
                                        ; implicit-def: $sgpr21
                                        ; implicit-def: $vgpr30_vgpr31
                                        ; implicit-def: $vgpr15
	s_and_saveexec_b32 s22, s23
	s_cbranch_execz .LBB254_2118
; %bb.1795:
                                        ; implicit-def: $sgpr21
	s_and_saveexec_b32 s0, vcc_lo
	s_delay_alu instid0(SALU_CYCLE_1)
	s_xor_b32 s0, exec_lo, s0
	s_cbranch_execz .LBB254_1809
; %bb.1796:
	v_and_b32_e32 v3, 0xff, v9
	s_mov_b32 s21, 0
	s_mov_b32 s23, exec_lo
	s_delay_alu instid0(VALU_DEP_1)
	v_cmpx_lt_i16_e32 0x7f, v3
	s_xor_b32 s23, exec_lo, s23
	s_cbranch_execz .LBB254_2694
; %bb.1797:
	s_mov_b32 s21, -1
	s_mov_b32 s24, exec_lo
	v_cmpx_eq_u16_e32 0x80, v3
; %bb.1798:
	s_xor_b32 s21, exec_lo, -1
; %bb.1799:
	s_or_b32 exec_lo, exec_lo, s24
	s_delay_alu instid0(SALU_CYCLE_1)
	s_and_b32 s21, s21, exec_lo
                                        ; implicit-def: $vgpr3
	s_or_saveexec_b32 s23, s23
	v_mov_b32_e32 v2, 0x7f800001
	s_xor_b32 exec_lo, exec_lo, s23
	s_cbranch_execnz .LBB254_2695
.LBB254_1800:
	s_or_b32 exec_lo, exec_lo, s23
	s_and_saveexec_b32 s23, s21
	s_cbranch_execz .LBB254_1802
.LBB254_1801:
	v_and_b32_e32 v2, 3, v9
	v_lshrrev_b16 v5, 2, v9
	s_delay_alu instid0(VALU_DEP_2) | instskip(NEXT) | instid1(VALU_DEP_1)
	v_clz_i32_u32_e32 v3, v2
	v_min_u32_e32 v3, 32, v3
	s_delay_alu instid0(VALU_DEP_3) | instskip(NEXT) | instid1(VALU_DEP_2)
	v_and_b32_e32 v5, 31, v5
	v_subrev_nc_u32_e32 v11, 29, v3
	v_sub_nc_u32_e32 v3, 30, v3
	s_delay_alu instid0(VALU_DEP_3) | instskip(NEXT) | instid1(VALU_DEP_3)
	v_cmp_eq_u32_e32 vcc_lo, 0, v5
	v_dual_lshlrev_b32 v11, v11, v9 :: v_dual_lshlrev_b32 v9, 24, v9
	s_delay_alu instid0(VALU_DEP_1) | instskip(NEXT) | instid1(VALU_DEP_1)
	v_and_b32_e32 v11, 3, v11
	v_cndmask_b32_e32 v2, v2, v11, vcc_lo
	v_cndmask_b32_e32 v3, v5, v3, vcc_lo
	s_delay_alu instid0(VALU_DEP_4) | instskip(NEXT) | instid1(VALU_DEP_3)
	v_and_b32_e32 v5, 0x80000000, v9
	v_lshlrev_b32_e32 v2, 21, v2
	s_delay_alu instid0(VALU_DEP_3) | instskip(NEXT) | instid1(VALU_DEP_1)
	v_lshl_add_u32 v3, v3, 23, 0x37800000
	v_or3_b32 v2, v5, v3, v2
.LBB254_1802:
	s_or_b32 exec_lo, exec_lo, s23
	s_wait_loadcnt_dscnt 0x0
	v_and_b32_e32 v5, 0xff, v7
	s_mov_b32 s21, 0
	s_mov_b32 s23, exec_lo
	s_delay_alu instid0(VALU_DEP_1)
	v_cmpx_lt_i16_e32 0x7f, v5
	s_xor_b32 s23, exec_lo, s23
	s_cbranch_execz .LBB254_2696
; %bb.1803:
	s_mov_b32 s21, -1
	s_mov_b32 s24, exec_lo
	v_cmpx_eq_u16_e32 0x80, v5
; %bb.1804:
	s_xor_b32 s21, exec_lo, -1
; %bb.1805:
	s_or_b32 exec_lo, exec_lo, s24
	s_delay_alu instid0(SALU_CYCLE_1)
	s_and_b32 s21, s21, exec_lo
                                        ; implicit-def: $vgpr5
	s_or_saveexec_b32 s23, s23
	v_mov_b32_e32 v3, 0x7f800001
	s_xor_b32 exec_lo, exec_lo, s23
	s_cbranch_execnz .LBB254_2697
.LBB254_1806:
	s_or_b32 exec_lo, exec_lo, s23
	s_and_saveexec_b32 s23, s21
	s_cbranch_execz .LBB254_1808
.LBB254_1807:
	v_and_b32_e32 v3, 3, v7
	v_lshrrev_b16 v9, 2, v7
	s_delay_alu instid0(VALU_DEP_2) | instskip(NEXT) | instid1(VALU_DEP_2)
	v_clz_i32_u32_e32 v5, v3
	v_and_b32_e32 v9, 31, v9
	s_delay_alu instid0(VALU_DEP_2) | instskip(NEXT) | instid1(VALU_DEP_1)
	v_min_u32_e32 v5, 32, v5
	v_subrev_nc_u32_e32 v11, 29, v5
	s_delay_alu instid0(VALU_DEP_1) | instskip(SKIP_2) | instid1(VALU_DEP_3)
	v_dual_lshlrev_b32 v11, v11, v7 :: v_dual_sub_nc_u32 v5, 30, v5
	v_lshlrev_b32_e32 v7, 24, v7
	v_cmp_eq_u32_e32 vcc_lo, 0, v9
	v_and_b32_e32 v11, 3, v11
	s_delay_alu instid0(VALU_DEP_3) | instskip(NEXT) | instid1(VALU_DEP_2)
	v_and_b32_e32 v7, 0x80000000, v7
	v_dual_cndmask_b32 v5, v9, v5, vcc_lo :: v_dual_cndmask_b32 v3, v3, v11, vcc_lo
	s_delay_alu instid0(VALU_DEP_1) | instskip(NEXT) | instid1(VALU_DEP_2)
	v_lshl_add_u32 v5, v5, 23, 0x37800000
	v_lshlrev_b32_e32 v3, 21, v3
	s_delay_alu instid0(VALU_DEP_1)
	v_or3_b32 v3, v7, v5, v3
.LBB254_1808:
	s_or_b32 exec_lo, exec_lo, s23
	s_delay_alu instid0(VALU_DEP_1)
	v_cmp_neq_f32_e64 s21, v2, v3
                                        ; implicit-def: $vgpr7
                                        ; implicit-def: $vgpr9
.LBB254_1809:
	s_and_not1_saveexec_b32 s0, s0
	s_cbranch_execz .LBB254_1823
; %bb.1810:
	v_and_b32_e32 v3, 0xff, v9
	s_mov_b32 s23, 0
	s_mov_b32 s24, exec_lo
	s_delay_alu instid0(VALU_DEP_1)
	v_cmpx_lt_i16_e32 0x7f, v3
	s_xor_b32 s24, exec_lo, s24
	s_cbranch_execz .LBB254_2698
; %bb.1811:
	s_mov_b32 s23, -1
	s_mov_b32 s25, exec_lo
	v_cmpx_eq_u16_e32 0x80, v3
; %bb.1812:
	s_xor_b32 s23, exec_lo, -1
; %bb.1813:
	s_or_b32 exec_lo, exec_lo, s25
	s_delay_alu instid0(SALU_CYCLE_1)
	s_and_b32 s23, s23, exec_lo
                                        ; implicit-def: $vgpr3
	s_or_saveexec_b32 s24, s24
	v_mov_b32_e32 v2, 0x7f800001
	s_xor_b32 exec_lo, exec_lo, s24
	s_cbranch_execnz .LBB254_2699
.LBB254_1814:
	s_or_b32 exec_lo, exec_lo, s24
	s_and_saveexec_b32 s24, s23
	s_cbranch_execz .LBB254_1816
.LBB254_1815:
	v_and_b32_e32 v2, 3, v9
	v_lshrrev_b16 v5, 2, v9
	s_delay_alu instid0(VALU_DEP_2) | instskip(NEXT) | instid1(VALU_DEP_1)
	v_clz_i32_u32_e32 v3, v2
	v_min_u32_e32 v3, 32, v3
	s_delay_alu instid0(VALU_DEP_3) | instskip(NEXT) | instid1(VALU_DEP_2)
	v_and_b32_e32 v5, 31, v5
	v_subrev_nc_u32_e32 v11, 29, v3
	v_sub_nc_u32_e32 v3, 30, v3
	s_delay_alu instid0(VALU_DEP_3) | instskip(NEXT) | instid1(VALU_DEP_3)
	v_cmp_eq_u32_e32 vcc_lo, 0, v5
	v_dual_lshlrev_b32 v11, v11, v9 :: v_dual_lshlrev_b32 v9, 24, v9
	s_delay_alu instid0(VALU_DEP_1) | instskip(NEXT) | instid1(VALU_DEP_1)
	v_and_b32_e32 v11, 3, v11
	v_cndmask_b32_e32 v2, v2, v11, vcc_lo
	v_cndmask_b32_e32 v3, v5, v3, vcc_lo
	s_delay_alu instid0(VALU_DEP_4) | instskip(NEXT) | instid1(VALU_DEP_3)
	v_and_b32_e32 v5, 0x80000000, v9
	v_lshlrev_b32_e32 v2, 21, v2
	s_delay_alu instid0(VALU_DEP_3) | instskip(NEXT) | instid1(VALU_DEP_1)
	v_lshl_add_u32 v3, v3, 23, 0x37800000
	v_or3_b32 v2, v5, v3, v2
.LBB254_1816:
	s_or_b32 exec_lo, exec_lo, s24
	s_wait_loadcnt_dscnt 0x0
	v_and_b32_e32 v5, 0xff, v7
	s_mov_b32 s23, 0
	s_mov_b32 s24, exec_lo
	s_delay_alu instid0(VALU_DEP_1)
	v_cmpx_lt_i16_e32 0x7f, v5
	s_xor_b32 s24, exec_lo, s24
	s_cbranch_execz .LBB254_2700
; %bb.1817:
	s_mov_b32 s23, -1
	s_mov_b32 s25, exec_lo
	v_cmpx_eq_u16_e32 0x80, v5
; %bb.1818:
	s_xor_b32 s23, exec_lo, -1
; %bb.1819:
	s_or_b32 exec_lo, exec_lo, s25
	s_delay_alu instid0(SALU_CYCLE_1)
	s_and_b32 s23, s23, exec_lo
                                        ; implicit-def: $vgpr5
	s_or_saveexec_b32 s24, s24
	v_mov_b32_e32 v3, 0x7f800001
	s_xor_b32 exec_lo, exec_lo, s24
	s_cbranch_execnz .LBB254_2701
.LBB254_1820:
	s_or_b32 exec_lo, exec_lo, s24
	s_and_saveexec_b32 s24, s23
	s_cbranch_execz .LBB254_1822
.LBB254_1821:
	v_and_b32_e32 v3, 3, v7
	v_lshrrev_b16 v9, 2, v7
	s_delay_alu instid0(VALU_DEP_2) | instskip(NEXT) | instid1(VALU_DEP_2)
	v_clz_i32_u32_e32 v5, v3
	v_and_b32_e32 v9, 31, v9
	s_delay_alu instid0(VALU_DEP_2) | instskip(NEXT) | instid1(VALU_DEP_1)
	v_min_u32_e32 v5, 32, v5
	v_subrev_nc_u32_e32 v11, 29, v5
	s_delay_alu instid0(VALU_DEP_1) | instskip(SKIP_2) | instid1(VALU_DEP_3)
	v_dual_lshlrev_b32 v11, v11, v7 :: v_dual_sub_nc_u32 v5, 30, v5
	v_lshlrev_b32_e32 v7, 24, v7
	v_cmp_eq_u32_e32 vcc_lo, 0, v9
	v_and_b32_e32 v11, 3, v11
	s_delay_alu instid0(VALU_DEP_3) | instskip(NEXT) | instid1(VALU_DEP_2)
	v_and_b32_e32 v7, 0x80000000, v7
	v_dual_cndmask_b32 v5, v9, v5, vcc_lo :: v_dual_cndmask_b32 v3, v3, v11, vcc_lo
	s_delay_alu instid0(VALU_DEP_1) | instskip(NEXT) | instid1(VALU_DEP_2)
	v_lshl_add_u32 v5, v5, 23, 0x37800000
	v_lshlrev_b32_e32 v3, 21, v3
	s_delay_alu instid0(VALU_DEP_1)
	v_or3_b32 v3, v7, v5, v3
.LBB254_1822:
	s_or_b32 exec_lo, exec_lo, s24
	s_delay_alu instid0(VALU_DEP_1) | instskip(SKIP_2) | instid1(SALU_CYCLE_1)
	v_cmp_eq_f32_e32 vcc_lo, v2, v3
	s_and_not1_b32 s21, s21, exec_lo
	s_and_b32 s23, vcc_lo, exec_lo
	s_or_b32 s21, s21, s23
.LBB254_1823:
	s_or_b32 exec_lo, exec_lo, s0
	scratch_load_u8 v5, off, off offset:436
	v_mov_b32_e32 v11, 0
	s_mov_b32 s0, 0
	s_mov_b32 s23, s20
	s_mov_b32 s24, exec_lo
	s_delay_alu instid0(VALU_DEP_1)
	v_add_nc_u64_e32 v[2:3], v[0:1], v[10:11]
	s_wait_loadcnt 0x0
	v_cmpx_lt_i16_e32 10, v5
	s_xor_b32 s24, exec_lo, s24
	s_cbranch_execz .LBB254_1864
; %bb.1824:
	s_mov_b32 s25, 0
	s_mov_b32 s23, 0
	s_mov_b32 s26, exec_lo
	v_cmpx_lt_i16_e32 25, v5
	s_xor_b32 s26, exec_lo, s26
	s_cbranch_execz .LBB254_2702
; %bb.1825:
	s_mov_b32 s27, 0
	s_mov_b32 s23, exec_lo
	v_cmpx_lt_i16_e32 28, v5
	s_xor_b32 s23, exec_lo, s23
	s_cbranch_execz .LBB254_1843
; %bb.1826:
	;; [unrolled: 6-line block ×4, first 2 shown]
	s_mov_b32 s30, -1
	s_mov_b32 s29, exec_lo
	v_cmpx_eq_u16_e32 46, v5
	s_cbranch_execz .LBB254_1830
; %bb.1829:
	v_cndmask_b32_e64 v5, 0, 1.0, s9
	s_mov_b32 s28, exec_lo
	s_xor_b32 s30, exec_lo, -1
	s_wait_dscnt 0x0
	s_delay_alu instid0(VALU_DEP_1) | instskip(NEXT) | instid1(VALU_DEP_1)
	v_bfe_u32 v7, v5, 16, 1
	v_add3_u32 v5, v5, v7, 0x7fff
	s_delay_alu instid0(VALU_DEP_1)
	v_lshrrev_b32_e32 v5, 16, v5
	flat_store_b32 v[2:3], v5
.LBB254_1830:
	s_wait_xcnt 0x0
	s_or_b32 exec_lo, exec_lo, s29
	s_delay_alu instid0(SALU_CYCLE_1)
	s_and_b32 s29, s28, exec_lo
	s_and_b32 s28, s30, exec_lo
                                        ; implicit-def: $vgpr5
.LBB254_1831:
	s_and_not1_saveexec_b32 s30, s0
	s_cbranch_execz .LBB254_1837
; %bb.1832:
	s_mov_b32 s0, -1
	s_mov_b32 s33, s29
	s_mov_b32 s31, exec_lo
	v_cmpx_eq_u16_e32 44, v5
	s_cbranch_execz .LBB254_1836
; %bb.1833:
	v_cndmask_b32_e64 v9, 0, 1.0, s9
	s_wait_dscnt 0x0
	v_mov_b32_e32 v7, 0xff
	s_mov_b32 s33, exec_lo
	s_delay_alu instid0(VALU_DEP_2) | instskip(NEXT) | instid1(VALU_DEP_1)
	v_lshrrev_b32_e32 v5, 23, v9
	v_cmpx_ne_u32_e32 0xff, v5
; %bb.1834:
	v_and_b32_e32 v7, 0x400000, v9
	v_and_or_b32 v9, 0x3fffff, v9, v5
	s_delay_alu instid0(VALU_DEP_2) | instskip(NEXT) | instid1(VALU_DEP_2)
	v_cmp_ne_u32_e32 vcc_lo, 0, v7
	v_cmp_ne_u32_e64 s0, 0, v9
	s_and_b32 s0, vcc_lo, s0
	s_delay_alu instid0(SALU_CYCLE_1) | instskip(NEXT) | instid1(VALU_DEP_1)
	v_cndmask_b32_e64 v7, 0, 1, s0
	v_add_nc_u32_e32 v7, v5, v7
; %bb.1835:
	s_or_b32 exec_lo, exec_lo, s33
	s_delay_alu instid0(SALU_CYCLE_1)
	s_or_b32 s33, s29, exec_lo
	s_xor_b32 s0, exec_lo, -1
	flat_store_b8 v[2:3], v7
.LBB254_1836:
	s_wait_xcnt 0x0
	s_or_b32 exec_lo, exec_lo, s31
	s_delay_alu instid0(SALU_CYCLE_1)
	s_and_not1_b32 s29, s29, exec_lo
	s_and_b32 s31, s33, exec_lo
	s_and_not1_b32 s28, s28, exec_lo
	s_and_b32 s0, s0, exec_lo
	s_or_b32 s29, s29, s31
	s_or_b32 s28, s28, s0
.LBB254_1837:
	s_or_b32 exec_lo, exec_lo, s30
	s_delay_alu instid0(SALU_CYCLE_1)
	s_and_b32 s0, s29, exec_lo
	s_and_b32 s28, s28, exec_lo
                                        ; implicit-def: $vgpr5
.LBB254_1838:
	s_and_not1_saveexec_b32 s27, s27
	s_cbranch_execz .LBB254_1842
; %bb.1839:
	s_mov_b32 s29, -1
	s_mov_b32 s31, s0
	s_mov_b32 s30, exec_lo
	v_cmpx_eq_u16_e32 29, v5
	s_cbranch_execz .LBB254_1841
; %bb.1840:
	s_mov_b32 s29, 0
	v_cndmask_b32_e64 v10, 0, 1, s9
	v_mov_b32_e32 v11, s29
	s_or_b32 s31, s0, exec_lo
	s_xor_b32 s29, exec_lo, -1
	flat_store_b64 v[2:3], v[10:11]
.LBB254_1841:
	s_wait_xcnt 0x0
	s_or_b32 exec_lo, exec_lo, s30
	s_delay_alu instid0(SALU_CYCLE_1)
	s_and_not1_b32 s0, s0, exec_lo
	s_and_b32 s30, s31, exec_lo
	s_and_not1_b32 s28, s28, exec_lo
	s_and_b32 s29, s29, exec_lo
	s_or_b32 s0, s0, s30
	s_or_b32 s28, s28, s29
.LBB254_1842:
	s_or_b32 exec_lo, exec_lo, s27
	s_delay_alu instid0(SALU_CYCLE_1)
	s_and_b32 s0, s0, exec_lo
	s_and_b32 s27, s28, exec_lo
                                        ; implicit-def: $vgpr5
.LBB254_1843:
	s_and_not1_saveexec_b32 s23, s23
	s_cbranch_execz .LBB254_1859
; %bb.1844:
	s_mov_b32 s28, exec_lo
	v_cmpx_lt_i16_e32 26, v5
	s_xor_b32 s28, exec_lo, s28
	s_cbranch_execz .LBB254_1850
; %bb.1845:
	s_mov_b32 s29, exec_lo
	v_cmpx_lt_i16_e32 27, v5
	s_xor_b32 s29, exec_lo, s29
	s_cbranch_execz .LBB254_1847
; %bb.1846:
	v_cndmask_b32_e64 v5, 0, 1, s9
	flat_store_b32 v[2:3], v5
.LBB254_1847:
	s_wait_xcnt 0x0
	s_and_not1_saveexec_b32 s29, s29
	s_cbranch_execz .LBB254_1849
; %bb.1848:
	v_cndmask_b32_e64 v5, 0, 1, s9
	flat_store_b16 v[2:3], v5
.LBB254_1849:
	s_wait_xcnt 0x0
	s_or_b32 exec_lo, exec_lo, s29
.LBB254_1850:
	s_and_not1_saveexec_b32 s28, s28
	s_cbranch_execz .LBB254_1858
; %bb.1851:
	s_wait_dscnt 0x0
	v_cndmask_b32_e64 v7, 0, 1.0, s9
	v_mov_b32_e32 v9, 0x80
	s_mov_b32 s29, exec_lo
	s_delay_alu instid0(VALU_DEP_2)
	v_cmpx_gt_u32_e32 0x43800000, v7
	s_cbranch_execz .LBB254_1857
; %bb.1852:
	s_mov_b32 s30, 0
	s_mov_b32 s31, exec_lo
                                        ; implicit-def: $vgpr5
	v_cmpx_lt_u32_e32 0x3bffffff, v7
	s_xor_b32 s31, exec_lo, s31
	s_cbranch_execz .LBB254_3028
; %bb.1853:
	v_bfe_u32 v5, v7, 20, 1
	s_mov_b32 s30, exec_lo
	s_delay_alu instid0(VALU_DEP_1) | instskip(NEXT) | instid1(VALU_DEP_1)
	v_add3_u32 v5, v7, v5, 0x487ffff
                                        ; implicit-def: $vgpr7
	v_lshrrev_b32_e32 v5, 20, v5
	s_and_not1_saveexec_b32 s31, s31
	s_cbranch_execnz .LBB254_3029
.LBB254_1854:
	s_or_b32 exec_lo, exec_lo, s31
	v_mov_b32_e32 v9, 0
	s_and_saveexec_b32 s31, s30
.LBB254_1855:
	v_mov_b32_e32 v9, v5
.LBB254_1856:
	s_or_b32 exec_lo, exec_lo, s31
.LBB254_1857:
	s_delay_alu instid0(SALU_CYCLE_1)
	s_or_b32 exec_lo, exec_lo, s29
	flat_store_b8 v[2:3], v9
.LBB254_1858:
	s_wait_xcnt 0x0
	s_or_b32 exec_lo, exec_lo, s28
	s_delay_alu instid0(SALU_CYCLE_1)
	s_or_b32 s0, s0, exec_lo
.LBB254_1859:
	s_or_b32 exec_lo, exec_lo, s23
	s_delay_alu instid0(SALU_CYCLE_1)
	s_and_b32 s0, s0, exec_lo
	s_and_b32 s23, s27, exec_lo
                                        ; implicit-def: $vgpr5
	s_and_not1_saveexec_b32 s26, s26
	s_cbranch_execnz .LBB254_2703
.LBB254_1860:
	s_or_b32 exec_lo, exec_lo, s26
	s_mov_b32 s26, s20
	s_and_saveexec_b32 s27, s23
	s_cbranch_execnz .LBB254_2744
.LBB254_1861:
	s_or_b32 exec_lo, exec_lo, s27
	s_and_saveexec_b32 s23, s25
	s_delay_alu instid0(SALU_CYCLE_1)
	s_xor_b32 s23, exec_lo, s23
	s_cbranch_execz .LBB254_1863
.LBB254_1862:
	v_cndmask_b32_e64 v5, 0, 1, s9
	s_or_b32 s0, s0, exec_lo
	flat_store_b8 v[2:3], v5
.LBB254_1863:
	s_wait_xcnt 0x0
	s_or_b32 exec_lo, exec_lo, s23
	s_delay_alu instid0(SALU_CYCLE_1)
	s_and_not1_b32 s23, s20, exec_lo
	s_and_b32 s25, s26, exec_lo
	s_and_b32 s0, s0, exec_lo
	s_or_b32 s23, s23, s25
                                        ; implicit-def: $vgpr5
                                        ; implicit-def: $vgpr2_vgpr3
.LBB254_1864:
	s_and_not1_saveexec_b32 s24, s24
	s_cbranch_execz .LBB254_1906
; %bb.1865:
	s_mov_b32 s25, exec_lo
	v_cmpx_lt_i16_e32 4, v5
	s_xor_b32 s25, exec_lo, s25
	s_cbranch_execz .LBB254_1887
; %bb.1866:
	s_mov_b32 s26, exec_lo
	v_cmpx_lt_i16_e32 7, v5
	s_xor_b32 s26, exec_lo, s26
	;; [unrolled: 5-line block ×4, first 2 shown]
	s_cbranch_execz .LBB254_1870
; %bb.1869:
	v_cndmask_b32_e64 v5, 0, 1, s9
	v_mov_b32_e32 v12, 0
	s_delay_alu instid0(VALU_DEP_2) | instskip(NEXT) | instid1(VALU_DEP_2)
	v_cvt_f64_u32_e32 v[10:11], v5
	v_mov_b32_e32 v13, v12
	flat_store_b128 v[2:3], v[10:13]
                                        ; implicit-def: $vgpr2_vgpr3
.LBB254_1870:
	s_wait_xcnt 0x0
	s_and_not1_saveexec_b32 s28, s28
	s_cbranch_execz .LBB254_1872
; %bb.1871:
	v_cndmask_b32_e64 v10, 0, 1.0, s9
	v_mov_b32_e32 v11, 0
	flat_store_b64 v[2:3], v[10:11]
.LBB254_1872:
	s_wait_xcnt 0x0
	s_or_b32 exec_lo, exec_lo, s28
                                        ; implicit-def: $vgpr2_vgpr3
.LBB254_1873:
	s_and_not1_saveexec_b32 s27, s27
	s_cbranch_execz .LBB254_1875
; %bb.1874:
	v_cndmask_b32_e64 v5, 0, 1.0, s9
	s_delay_alu instid0(VALU_DEP_1) | instskip(NEXT) | instid1(VALU_DEP_1)
	v_cvt_f16_f32_e32 v5, v5
	v_and_b32_e32 v5, 0xffff, v5
	flat_store_b32 v[2:3], v5
.LBB254_1875:
	s_wait_xcnt 0x0
	s_or_b32 exec_lo, exec_lo, s27
                                        ; implicit-def: $vgpr2_vgpr3
                                        ; implicit-def: $vgpr5
.LBB254_1876:
	s_and_not1_saveexec_b32 s26, s26
	s_cbranch_execz .LBB254_1886
; %bb.1877:
	s_mov_b32 s27, exec_lo
	v_cmpx_lt_i16_e32 5, v5
	s_xor_b32 s27, exec_lo, s27
	s_cbranch_execz .LBB254_1883
; %bb.1878:
	s_mov_b32 s28, exec_lo
	v_cmpx_lt_i16_e32 6, v5
	s_xor_b32 s28, exec_lo, s28
	s_cbranch_execz .LBB254_1880
; %bb.1879:
	v_cndmask_b32_e64 v5, 0, 1, s9
	s_delay_alu instid0(VALU_DEP_1)
	v_cvt_f64_u32_e32 v[10:11], v5
	flat_store_b64 v[2:3], v[10:11]
                                        ; implicit-def: $vgpr2_vgpr3
.LBB254_1880:
	s_wait_xcnt 0x0
	s_and_not1_saveexec_b32 s28, s28
	s_cbranch_execz .LBB254_1882
; %bb.1881:
	v_cndmask_b32_e64 v5, 0, 1.0, s9
	flat_store_b32 v[2:3], v5
.LBB254_1882:
	s_wait_xcnt 0x0
	s_or_b32 exec_lo, exec_lo, s28
                                        ; implicit-def: $vgpr2_vgpr3
.LBB254_1883:
	s_and_not1_saveexec_b32 s27, s27
	s_cbranch_execz .LBB254_1885
; %bb.1884:
	v_cndmask_b32_e64 v5, 0, 1.0, s9
	s_delay_alu instid0(VALU_DEP_1)
	v_cvt_f16_f32_e32 v5, v5
	flat_store_b16 v[2:3], v5
.LBB254_1885:
	s_wait_xcnt 0x0
	s_or_b32 exec_lo, exec_lo, s27
.LBB254_1886:
	s_delay_alu instid0(SALU_CYCLE_1)
	s_or_b32 exec_lo, exec_lo, s26
                                        ; implicit-def: $vgpr5
                                        ; implicit-def: $vgpr2_vgpr3
.LBB254_1887:
	s_and_not1_saveexec_b32 s25, s25
	s_cbranch_execz .LBB254_1905
; %bb.1888:
	s_mov_b32 s26, exec_lo
	v_cmpx_lt_i16_e32 1, v5
	s_xor_b32 s26, exec_lo, s26
	s_cbranch_execz .LBB254_1898
; %bb.1889:
	s_mov_b32 s27, exec_lo
	v_cmpx_lt_i16_e32 2, v5
	s_xor_b32 s27, exec_lo, s27
	;; [unrolled: 5-line block ×3, first 2 shown]
	s_cbranch_execz .LBB254_1892
; %bb.1891:
	s_mov_b32 s29, 0
	v_cndmask_b32_e64 v10, 0, 1, s9
	v_mov_b32_e32 v11, s29
	flat_store_b64 v[2:3], v[10:11]
                                        ; implicit-def: $vgpr2_vgpr3
.LBB254_1892:
	s_wait_xcnt 0x0
	s_and_not1_saveexec_b32 s28, s28
	s_cbranch_execz .LBB254_1894
; %bb.1893:
	v_cndmask_b32_e64 v5, 0, 1, s9
	flat_store_b32 v[2:3], v5
.LBB254_1894:
	s_wait_xcnt 0x0
	s_or_b32 exec_lo, exec_lo, s28
                                        ; implicit-def: $vgpr2_vgpr3
.LBB254_1895:
	s_and_not1_saveexec_b32 s27, s27
	s_cbranch_execz .LBB254_1897
; %bb.1896:
	v_cndmask_b32_e64 v5, 0, 1, s9
	flat_store_b16 v[2:3], v5
.LBB254_1897:
	s_wait_xcnt 0x0
	s_or_b32 exec_lo, exec_lo, s27
                                        ; implicit-def: $vgpr2_vgpr3
                                        ; implicit-def: $vgpr5
.LBB254_1898:
	s_and_not1_saveexec_b32 s26, s26
	s_cbranch_execz .LBB254_1904
; %bb.1899:
	v_cmp_lt_i16_e32 vcc_lo, 0, v5
	v_cndmask_b32_e64 v5, 0, 1, s9
	s_and_saveexec_b32 s9, vcc_lo
	s_delay_alu instid0(SALU_CYCLE_1)
	s_xor_b32 s9, exec_lo, s9
	s_cbranch_execz .LBB254_1901
; %bb.1900:
	flat_store_b8 v[2:3], v5
                                        ; implicit-def: $vgpr2_vgpr3
                                        ; implicit-def: $vgpr5
.LBB254_1901:
	s_wait_xcnt 0x0
	s_and_not1_saveexec_b32 s9, s9
	s_cbranch_execz .LBB254_1903
; %bb.1902:
	flat_store_b8 v[2:3], v5
.LBB254_1903:
	s_wait_xcnt 0x0
	s_or_b32 exec_lo, exec_lo, s9
.LBB254_1904:
	s_delay_alu instid0(SALU_CYCLE_1)
	s_or_b32 exec_lo, exec_lo, s26
.LBB254_1905:
	s_delay_alu instid0(SALU_CYCLE_1) | instskip(NEXT) | instid1(SALU_CYCLE_1)
	s_or_b32 exec_lo, exec_lo, s25
	s_or_b32 s0, s0, exec_lo
.LBB254_1906:
	s_or_b32 exec_lo, exec_lo, s24
	s_mov_b32 s25, 0
	s_mov_b32 s26, 0
                                        ; implicit-def: $vgpr30_vgpr31
                                        ; implicit-def: $vgpr15
	s_and_saveexec_b32 s9, s0
	s_cbranch_execz .LBB254_2117
; %bb.1907:
	scratch_load_u8 v5, off, off offset:436
	v_mov_b32_e32 v9, 0
	s_mov_b32 s0, 0
	s_mov_b32 s24, s23
	s_mov_b32 s25, exec_lo
	s_delay_alu instid0(VALU_DEP_1)
	v_add_nc_u64_e32 v[2:3], v[0:1], v[8:9]
	s_wait_loadcnt 0x0
	v_cmpx_lt_i16_e32 10, v5
	s_xor_b32 s25, exec_lo, s25
	s_cbranch_execz .LBB254_1948
; %bb.1908:
	s_mov_b32 s24, 0
	s_mov_b32 s27, exec_lo
	v_cmpx_lt_i16_e32 25, v5
	s_xor_b32 s27, exec_lo, s27
	s_cbranch_execz .LBB254_2789
; %bb.1909:
	s_mov_b32 s28, 0
	s_mov_b32 s24, exec_lo
	;; [unrolled: 6-line block ×4, first 2 shown]
	v_cmpx_lt_i16_e32 45, v5
	s_xor_b32 s0, exec_lo, s0
	s_cbranch_execz .LBB254_1915
; %bb.1912:
	s_mov_b32 s31, -1
	s_mov_b32 s30, exec_lo
	v_cmpx_eq_u16_e32 46, v5
	s_cbranch_execz .LBB254_1914
; %bb.1913:
	v_cndmask_b32_e64 v5, 0, 1.0, s13
	s_mov_b32 s29, exec_lo
	s_xor_b32 s31, exec_lo, -1
	s_wait_dscnt 0x0
	s_delay_alu instid0(VALU_DEP_1) | instskip(NEXT) | instid1(VALU_DEP_1)
	v_bfe_u32 v7, v5, 16, 1
	v_add3_u32 v5, v5, v7, 0x7fff
	s_delay_alu instid0(VALU_DEP_1)
	v_lshrrev_b32_e32 v5, 16, v5
	flat_store_b32 v[2:3], v5
.LBB254_1914:
	s_wait_xcnt 0x0
	s_or_b32 exec_lo, exec_lo, s30
	s_delay_alu instid0(SALU_CYCLE_1)
	s_and_b32 s30, s29, exec_lo
	s_and_b32 s29, s31, exec_lo
                                        ; implicit-def: $vgpr5
.LBB254_1915:
	s_and_not1_saveexec_b32 s31, s0
	s_cbranch_execz .LBB254_1921
; %bb.1916:
	s_mov_b32 s0, -1
	s_mov_b32 s34, s30
	s_mov_b32 s33, exec_lo
	v_cmpx_eq_u16_e32 44, v5
	s_cbranch_execz .LBB254_1920
; %bb.1917:
	v_cndmask_b32_e64 v8, 0, 1.0, s13
	s_wait_dscnt 0x0
	v_mov_b32_e32 v7, 0xff
	s_mov_b32 s34, exec_lo
	s_delay_alu instid0(VALU_DEP_2) | instskip(NEXT) | instid1(VALU_DEP_1)
	v_lshrrev_b32_e32 v5, 23, v8
	v_cmpx_ne_u32_e32 0xff, v5
; %bb.1918:
	v_and_b32_e32 v7, 0x400000, v8
	v_and_or_b32 v8, 0x3fffff, v8, v5
	s_delay_alu instid0(VALU_DEP_2) | instskip(NEXT) | instid1(VALU_DEP_2)
	v_cmp_ne_u32_e32 vcc_lo, 0, v7
	v_cmp_ne_u32_e64 s0, 0, v8
	s_and_b32 s0, vcc_lo, s0
	s_delay_alu instid0(SALU_CYCLE_1) | instskip(NEXT) | instid1(VALU_DEP_1)
	v_cndmask_b32_e64 v7, 0, 1, s0
	v_add_nc_u32_e32 v7, v5, v7
; %bb.1919:
	s_or_b32 exec_lo, exec_lo, s34
	s_delay_alu instid0(SALU_CYCLE_1)
	s_or_b32 s34, s30, exec_lo
	s_xor_b32 s0, exec_lo, -1
	flat_store_b8 v[2:3], v7
.LBB254_1920:
	s_wait_xcnt 0x0
	s_or_b32 exec_lo, exec_lo, s33
	s_delay_alu instid0(SALU_CYCLE_1)
	s_and_not1_b32 s30, s30, exec_lo
	s_and_b32 s33, s34, exec_lo
	s_and_not1_b32 s29, s29, exec_lo
	s_and_b32 s0, s0, exec_lo
	s_or_b32 s30, s30, s33
	s_or_b32 s29, s29, s0
.LBB254_1921:
	s_or_b32 exec_lo, exec_lo, s31
	s_delay_alu instid0(SALU_CYCLE_1)
	s_and_b32 s0, s30, exec_lo
	s_and_b32 s29, s29, exec_lo
                                        ; implicit-def: $vgpr5
.LBB254_1922:
	s_and_not1_saveexec_b32 s28, s28
	s_cbranch_execz .LBB254_1926
; %bb.1923:
	s_mov_b32 s30, -1
	s_mov_b32 s33, s0
	s_mov_b32 s31, exec_lo
	v_cmpx_eq_u16_e32 29, v5
	s_cbranch_execz .LBB254_1925
; %bb.1924:
	s_mov_b32 s30, 0
	v_cndmask_b32_e64 v8, 0, 1, s13
	v_mov_b32_e32 v9, s30
	s_or_b32 s33, s0, exec_lo
	s_xor_b32 s30, exec_lo, -1
	flat_store_b64 v[2:3], v[8:9]
.LBB254_1925:
	s_wait_xcnt 0x0
	s_or_b32 exec_lo, exec_lo, s31
	s_delay_alu instid0(SALU_CYCLE_1)
	s_and_not1_b32 s0, s0, exec_lo
	s_and_b32 s31, s33, exec_lo
	s_and_not1_b32 s29, s29, exec_lo
	s_and_b32 s30, s30, exec_lo
	s_or_b32 s0, s0, s31
	s_or_b32 s29, s29, s30
.LBB254_1926:
	s_or_b32 exec_lo, exec_lo, s28
	s_delay_alu instid0(SALU_CYCLE_1)
	s_and_b32 s0, s0, exec_lo
	s_and_b32 s28, s29, exec_lo
                                        ; implicit-def: $vgpr5
.LBB254_1927:
	s_and_not1_saveexec_b32 s24, s24
	s_cbranch_execz .LBB254_1943
; %bb.1928:
	s_mov_b32 s29, exec_lo
	v_cmpx_lt_i16_e32 26, v5
	s_xor_b32 s29, exec_lo, s29
	s_cbranch_execz .LBB254_1934
; %bb.1929:
	s_mov_b32 s30, exec_lo
	v_cmpx_lt_i16_e32 27, v5
	s_xor_b32 s30, exec_lo, s30
	s_cbranch_execz .LBB254_1931
; %bb.1930:
	v_cndmask_b32_e64 v5, 0, 1, s13
	flat_store_b32 v[2:3], v5
.LBB254_1931:
	s_wait_xcnt 0x0
	s_and_not1_saveexec_b32 s30, s30
	s_cbranch_execz .LBB254_1933
; %bb.1932:
	v_cndmask_b32_e64 v5, 0, 1, s13
	flat_store_b16 v[2:3], v5
.LBB254_1933:
	s_wait_xcnt 0x0
	s_or_b32 exec_lo, exec_lo, s30
.LBB254_1934:
	s_and_not1_saveexec_b32 s29, s29
	s_cbranch_execz .LBB254_1942
; %bb.1935:
	s_wait_dscnt 0x0
	v_cndmask_b32_e64 v7, 0, 1.0, s13
	v_mov_b32_e32 v8, 0x80
	s_mov_b32 s30, exec_lo
	s_delay_alu instid0(VALU_DEP_2)
	v_cmpx_gt_u32_e32 0x43800000, v7
	s_cbranch_execz .LBB254_1941
; %bb.1936:
	s_mov_b32 s31, 0
	s_mov_b32 s33, exec_lo
                                        ; implicit-def: $vgpr5
	v_cmpx_lt_u32_e32 0x3bffffff, v7
	s_xor_b32 s33, exec_lo, s33
	s_cbranch_execz .LBB254_3038
; %bb.1937:
	v_bfe_u32 v5, v7, 20, 1
	s_mov_b32 s31, exec_lo
	s_delay_alu instid0(VALU_DEP_1) | instskip(NEXT) | instid1(VALU_DEP_1)
	v_add3_u32 v5, v7, v5, 0x487ffff
                                        ; implicit-def: $vgpr7
	v_lshrrev_b32_e32 v5, 20, v5
	s_and_not1_saveexec_b32 s33, s33
	s_cbranch_execnz .LBB254_3039
.LBB254_1938:
	s_or_b32 exec_lo, exec_lo, s33
	v_mov_b32_e32 v8, 0
	s_and_saveexec_b32 s33, s31
.LBB254_1939:
	v_mov_b32_e32 v8, v5
.LBB254_1940:
	s_or_b32 exec_lo, exec_lo, s33
.LBB254_1941:
	s_delay_alu instid0(SALU_CYCLE_1)
	s_or_b32 exec_lo, exec_lo, s30
	flat_store_b8 v[2:3], v8
.LBB254_1942:
	s_wait_xcnt 0x0
	s_or_b32 exec_lo, exec_lo, s29
	s_delay_alu instid0(SALU_CYCLE_1)
	s_or_b32 s0, s0, exec_lo
.LBB254_1943:
	s_or_b32 exec_lo, exec_lo, s24
	s_delay_alu instid0(SALU_CYCLE_1)
	s_and_b32 s0, s0, exec_lo
	s_and_b32 s24, s28, exec_lo
                                        ; implicit-def: $vgpr5
	s_and_not1_saveexec_b32 s27, s27
	s_cbranch_execnz .LBB254_2790
.LBB254_1944:
	s_or_b32 exec_lo, exec_lo, s27
	s_mov_b32 s27, s23
	s_and_saveexec_b32 s28, s24
	s_cbranch_execnz .LBB254_2831
.LBB254_1945:
	s_or_b32 exec_lo, exec_lo, s28
	s_and_saveexec_b32 s24, s26
	s_delay_alu instid0(SALU_CYCLE_1)
	s_xor_b32 s24, exec_lo, s24
	s_cbranch_execz .LBB254_1947
.LBB254_1946:
	v_cndmask_b32_e64 v5, 0, 1, s13
	s_or_b32 s0, s0, exec_lo
	flat_store_b8 v[2:3], v5
.LBB254_1947:
	s_wait_xcnt 0x0
	s_or_b32 exec_lo, exec_lo, s24
	s_delay_alu instid0(SALU_CYCLE_1)
	s_and_not1_b32 s24, s23, exec_lo
	s_and_b32 s26, s27, exec_lo
	s_and_b32 s0, s0, exec_lo
	s_or_b32 s24, s24, s26
                                        ; implicit-def: $vgpr5
                                        ; implicit-def: $vgpr2_vgpr3
.LBB254_1948:
	s_and_not1_saveexec_b32 s25, s25
	s_cbranch_execz .LBB254_1990
; %bb.1949:
	s_mov_b32 s26, exec_lo
	v_cmpx_lt_i16_e32 4, v5
	s_xor_b32 s26, exec_lo, s26
	s_cbranch_execz .LBB254_1971
; %bb.1950:
	s_mov_b32 s27, exec_lo
	v_cmpx_lt_i16_e32 7, v5
	s_xor_b32 s27, exec_lo, s27
	;; [unrolled: 5-line block ×4, first 2 shown]
	s_cbranch_execz .LBB254_1954
; %bb.1953:
	v_cndmask_b32_e64 v5, 0, 1, s13
	v_mov_b32_e32 v10, 0
	s_delay_alu instid0(VALU_DEP_2) | instskip(NEXT) | instid1(VALU_DEP_2)
	v_cvt_f64_u32_e32 v[8:9], v5
	v_mov_b32_e32 v11, v10
	flat_store_b128 v[2:3], v[8:11]
                                        ; implicit-def: $vgpr2_vgpr3
.LBB254_1954:
	s_wait_xcnt 0x0
	s_and_not1_saveexec_b32 s29, s29
	s_cbranch_execz .LBB254_1956
; %bb.1955:
	v_cndmask_b32_e64 v8, 0, 1.0, s13
	v_mov_b32_e32 v9, 0
	flat_store_b64 v[2:3], v[8:9]
.LBB254_1956:
	s_wait_xcnt 0x0
	s_or_b32 exec_lo, exec_lo, s29
                                        ; implicit-def: $vgpr2_vgpr3
.LBB254_1957:
	s_and_not1_saveexec_b32 s28, s28
	s_cbranch_execz .LBB254_1959
; %bb.1958:
	v_cndmask_b32_e64 v5, 0, 1.0, s13
	s_delay_alu instid0(VALU_DEP_1) | instskip(NEXT) | instid1(VALU_DEP_1)
	v_cvt_f16_f32_e32 v5, v5
	v_and_b32_e32 v5, 0xffff, v5
	flat_store_b32 v[2:3], v5
.LBB254_1959:
	s_wait_xcnt 0x0
	s_or_b32 exec_lo, exec_lo, s28
                                        ; implicit-def: $vgpr2_vgpr3
                                        ; implicit-def: $vgpr5
.LBB254_1960:
	s_and_not1_saveexec_b32 s27, s27
	s_cbranch_execz .LBB254_1970
; %bb.1961:
	s_mov_b32 s28, exec_lo
	v_cmpx_lt_i16_e32 5, v5
	s_xor_b32 s28, exec_lo, s28
	s_cbranch_execz .LBB254_1967
; %bb.1962:
	s_mov_b32 s29, exec_lo
	v_cmpx_lt_i16_e32 6, v5
	s_xor_b32 s29, exec_lo, s29
	s_cbranch_execz .LBB254_1964
; %bb.1963:
	v_cndmask_b32_e64 v5, 0, 1, s13
	s_delay_alu instid0(VALU_DEP_1)
	v_cvt_f64_u32_e32 v[8:9], v5
	flat_store_b64 v[2:3], v[8:9]
                                        ; implicit-def: $vgpr2_vgpr3
.LBB254_1964:
	s_wait_xcnt 0x0
	s_and_not1_saveexec_b32 s29, s29
	s_cbranch_execz .LBB254_1966
; %bb.1965:
	v_cndmask_b32_e64 v5, 0, 1.0, s13
	flat_store_b32 v[2:3], v5
.LBB254_1966:
	s_wait_xcnt 0x0
	s_or_b32 exec_lo, exec_lo, s29
                                        ; implicit-def: $vgpr2_vgpr3
.LBB254_1967:
	s_and_not1_saveexec_b32 s28, s28
	s_cbranch_execz .LBB254_1969
; %bb.1968:
	v_cndmask_b32_e64 v5, 0, 1.0, s13
	s_delay_alu instid0(VALU_DEP_1)
	v_cvt_f16_f32_e32 v5, v5
	flat_store_b16 v[2:3], v5
.LBB254_1969:
	s_wait_xcnt 0x0
	s_or_b32 exec_lo, exec_lo, s28
.LBB254_1970:
	s_delay_alu instid0(SALU_CYCLE_1)
	s_or_b32 exec_lo, exec_lo, s27
                                        ; implicit-def: $vgpr5
                                        ; implicit-def: $vgpr2_vgpr3
.LBB254_1971:
	s_and_not1_saveexec_b32 s26, s26
	s_cbranch_execz .LBB254_1989
; %bb.1972:
	s_mov_b32 s27, exec_lo
	v_cmpx_lt_i16_e32 1, v5
	s_xor_b32 s27, exec_lo, s27
	s_cbranch_execz .LBB254_1982
; %bb.1973:
	s_mov_b32 s28, exec_lo
	v_cmpx_lt_i16_e32 2, v5
	s_xor_b32 s28, exec_lo, s28
	;; [unrolled: 5-line block ×3, first 2 shown]
	s_cbranch_execz .LBB254_1976
; %bb.1975:
	s_mov_b32 s30, 0
	v_cndmask_b32_e64 v8, 0, 1, s13
	v_mov_b32_e32 v9, s30
	flat_store_b64 v[2:3], v[8:9]
                                        ; implicit-def: $vgpr2_vgpr3
.LBB254_1976:
	s_wait_xcnt 0x0
	s_and_not1_saveexec_b32 s29, s29
	s_cbranch_execz .LBB254_1978
; %bb.1977:
	v_cndmask_b32_e64 v5, 0, 1, s13
	flat_store_b32 v[2:3], v5
.LBB254_1978:
	s_wait_xcnt 0x0
	s_or_b32 exec_lo, exec_lo, s29
                                        ; implicit-def: $vgpr2_vgpr3
.LBB254_1979:
	s_and_not1_saveexec_b32 s28, s28
	s_cbranch_execz .LBB254_1981
; %bb.1980:
	v_cndmask_b32_e64 v5, 0, 1, s13
	flat_store_b16 v[2:3], v5
.LBB254_1981:
	s_wait_xcnt 0x0
	s_or_b32 exec_lo, exec_lo, s28
                                        ; implicit-def: $vgpr2_vgpr3
                                        ; implicit-def: $vgpr5
.LBB254_1982:
	s_and_not1_saveexec_b32 s27, s27
	s_cbranch_execz .LBB254_1988
; %bb.1983:
	v_cmp_lt_i16_e32 vcc_lo, 0, v5
	v_cndmask_b32_e64 v5, 0, 1, s13
	s_and_saveexec_b32 s13, vcc_lo
	s_delay_alu instid0(SALU_CYCLE_1)
	s_xor_b32 s13, exec_lo, s13
	s_cbranch_execz .LBB254_1985
; %bb.1984:
	flat_store_b8 v[2:3], v5
                                        ; implicit-def: $vgpr2_vgpr3
                                        ; implicit-def: $vgpr5
.LBB254_1985:
	s_wait_xcnt 0x0
	s_and_not1_saveexec_b32 s13, s13
	s_cbranch_execz .LBB254_1987
; %bb.1986:
	flat_store_b8 v[2:3], v5
.LBB254_1987:
	s_wait_xcnt 0x0
	s_or_b32 exec_lo, exec_lo, s13
.LBB254_1988:
	s_delay_alu instid0(SALU_CYCLE_1)
	s_or_b32 exec_lo, exec_lo, s27
.LBB254_1989:
	s_delay_alu instid0(SALU_CYCLE_1) | instskip(NEXT) | instid1(SALU_CYCLE_1)
	s_or_b32 exec_lo, exec_lo, s26
	s_or_b32 s0, s0, exec_lo
.LBB254_1990:
	s_or_b32 exec_lo, exec_lo, s25
	s_mov_b32 s25, 0
	s_mov_b32 s27, 0
                                        ; implicit-def: $vgpr30_vgpr31
                                        ; implicit-def: $vgpr15
	s_and_saveexec_b32 s13, s0
	s_cbranch_execz .LBB254_2116
; %bb.1991:
	scratch_load_u8 v5, off, off offset:436
	s_wait_dscnt 0x0
	v_mov_b32_e32 v7, 0
	s_mov_b32 s0, 0
	s_mov_b32 s25, s24
	s_mov_b32 s26, exec_lo
	s_delay_alu instid0(VALU_DEP_1)
	v_add_nc_u64_e32 v[2:3], v[0:1], v[6:7]
	s_wait_loadcnt 0x0
	v_cmpx_lt_i16_e32 10, v5
	s_xor_b32 s26, exec_lo, s26
	s_cbranch_execz .LBB254_2032
; %bb.1992:
	s_mov_b32 s25, 0
	s_mov_b32 s28, exec_lo
	v_cmpx_lt_i16_e32 25, v5
	s_xor_b32 s28, exec_lo, s28
	s_cbranch_execz .LBB254_2874
; %bb.1993:
	s_mov_b32 s29, 0
	s_mov_b32 s25, exec_lo
	;; [unrolled: 6-line block ×4, first 2 shown]
	v_cmpx_lt_i16_e32 45, v5
	s_xor_b32 s0, exec_lo, s0
	s_cbranch_execz .LBB254_1999
; %bb.1996:
	s_mov_b32 s33, -1
	s_mov_b32 s31, exec_lo
	v_cmpx_eq_u16_e32 46, v5
	s_cbranch_execz .LBB254_1998
; %bb.1997:
	v_cndmask_b32_e64 v5, 0, 1.0, s17
	s_mov_b32 s30, exec_lo
	s_xor_b32 s33, exec_lo, -1
	s_delay_alu instid0(VALU_DEP_1) | instskip(NEXT) | instid1(VALU_DEP_1)
	v_bfe_u32 v6, v5, 16, 1
	v_add3_u32 v5, v5, v6, 0x7fff
	s_delay_alu instid0(VALU_DEP_1)
	v_lshrrev_b32_e32 v5, 16, v5
	flat_store_b32 v[2:3], v5
.LBB254_1998:
	s_wait_xcnt 0x0
	s_or_b32 exec_lo, exec_lo, s31
	s_delay_alu instid0(SALU_CYCLE_1)
	s_and_b32 s31, s30, exec_lo
	s_and_b32 s30, s33, exec_lo
                                        ; implicit-def: $vgpr5
.LBB254_1999:
	s_and_not1_saveexec_b32 s33, s0
	s_cbranch_execz .LBB254_2005
; %bb.2000:
	s_mov_b32 s0, -1
	s_mov_b32 s35, s31
	s_mov_b32 s34, exec_lo
	v_cmpx_eq_u16_e32 44, v5
	s_cbranch_execz .LBB254_2004
; %bb.2001:
	v_cndmask_b32_e64 v7, 0, 1.0, s17
	s_mov_b32 s35, exec_lo
	s_delay_alu instid0(VALU_DEP_1) | instskip(NEXT) | instid1(VALU_DEP_1)
	v_dual_mov_b32 v6, 0xff :: v_dual_lshrrev_b32 v5, 23, v7
	v_cmpx_ne_u32_e32 0xff, v5
; %bb.2002:
	v_and_b32_e32 v6, 0x400000, v7
	v_and_or_b32 v7, 0x3fffff, v7, v5
	s_delay_alu instid0(VALU_DEP_2) | instskip(NEXT) | instid1(VALU_DEP_2)
	v_cmp_ne_u32_e32 vcc_lo, 0, v6
	v_cmp_ne_u32_e64 s0, 0, v7
	s_and_b32 s0, vcc_lo, s0
	s_delay_alu instid0(SALU_CYCLE_1) | instskip(NEXT) | instid1(VALU_DEP_1)
	v_cndmask_b32_e64 v6, 0, 1, s0
	v_add_nc_u32_e32 v6, v5, v6
; %bb.2003:
	s_or_b32 exec_lo, exec_lo, s35
	s_delay_alu instid0(SALU_CYCLE_1)
	s_or_b32 s35, s31, exec_lo
	s_xor_b32 s0, exec_lo, -1
	flat_store_b8 v[2:3], v6
.LBB254_2004:
	s_wait_xcnt 0x0
	s_or_b32 exec_lo, exec_lo, s34
	s_delay_alu instid0(SALU_CYCLE_1)
	s_and_not1_b32 s31, s31, exec_lo
	s_and_b32 s34, s35, exec_lo
	s_and_not1_b32 s30, s30, exec_lo
	s_and_b32 s0, s0, exec_lo
	s_or_b32 s31, s31, s34
	s_or_b32 s30, s30, s0
.LBB254_2005:
	s_or_b32 exec_lo, exec_lo, s33
	s_delay_alu instid0(SALU_CYCLE_1)
	s_and_b32 s0, s31, exec_lo
	s_and_b32 s30, s30, exec_lo
                                        ; implicit-def: $vgpr5
.LBB254_2006:
	s_and_not1_saveexec_b32 s29, s29
	s_cbranch_execz .LBB254_2010
; %bb.2007:
	s_mov_b32 s31, -1
	s_mov_b32 s34, s0
	s_mov_b32 s33, exec_lo
	v_cmpx_eq_u16_e32 29, v5
	s_cbranch_execz .LBB254_2009
; %bb.2008:
	s_mov_b32 s31, 0
	v_cndmask_b32_e64 v6, 0, 1, s17
	v_mov_b32_e32 v7, s31
	s_or_b32 s34, s0, exec_lo
	s_xor_b32 s31, exec_lo, -1
	flat_store_b64 v[2:3], v[6:7]
.LBB254_2009:
	s_wait_xcnt 0x0
	s_or_b32 exec_lo, exec_lo, s33
	s_delay_alu instid0(SALU_CYCLE_1)
	s_and_not1_b32 s0, s0, exec_lo
	s_and_b32 s33, s34, exec_lo
	s_and_not1_b32 s30, s30, exec_lo
	s_and_b32 s31, s31, exec_lo
	s_or_b32 s0, s0, s33
	s_or_b32 s30, s30, s31
.LBB254_2010:
	s_or_b32 exec_lo, exec_lo, s29
	s_delay_alu instid0(SALU_CYCLE_1)
	s_and_b32 s0, s0, exec_lo
	s_and_b32 s29, s30, exec_lo
                                        ; implicit-def: $vgpr5
.LBB254_2011:
	s_and_not1_saveexec_b32 s25, s25
	s_cbranch_execz .LBB254_2027
; %bb.2012:
	s_mov_b32 s30, exec_lo
	v_cmpx_lt_i16_e32 26, v5
	s_xor_b32 s30, exec_lo, s30
	s_cbranch_execz .LBB254_2018
; %bb.2013:
	s_mov_b32 s31, exec_lo
	v_cmpx_lt_i16_e32 27, v5
	s_xor_b32 s31, exec_lo, s31
	s_cbranch_execz .LBB254_2015
; %bb.2014:
	v_cndmask_b32_e64 v5, 0, 1, s17
	flat_store_b32 v[2:3], v5
.LBB254_2015:
	s_wait_xcnt 0x0
	s_and_not1_saveexec_b32 s31, s31
	s_cbranch_execz .LBB254_2017
; %bb.2016:
	v_cndmask_b32_e64 v5, 0, 1, s17
	flat_store_b16 v[2:3], v5
.LBB254_2017:
	s_wait_xcnt 0x0
	s_or_b32 exec_lo, exec_lo, s31
.LBB254_2018:
	s_and_not1_saveexec_b32 s30, s30
	s_cbranch_execz .LBB254_2026
; %bb.2019:
	v_cndmask_b32_e64 v6, 0, 1.0, s17
	v_mov_b32_e32 v7, 0x80
	s_mov_b32 s31, exec_lo
	s_delay_alu instid0(VALU_DEP_2)
	v_cmpx_gt_u32_e32 0x43800000, v6
	s_cbranch_execz .LBB254_2025
; %bb.2020:
	s_mov_b32 s33, 0
	s_mov_b32 s34, exec_lo
                                        ; implicit-def: $vgpr5
	v_cmpx_lt_u32_e32 0x3bffffff, v6
	s_xor_b32 s34, exec_lo, s34
	s_cbranch_execz .LBB254_3042
; %bb.2021:
	v_bfe_u32 v5, v6, 20, 1
	s_mov_b32 s33, exec_lo
	s_delay_alu instid0(VALU_DEP_1) | instskip(NEXT) | instid1(VALU_DEP_1)
	v_add3_u32 v5, v6, v5, 0x487ffff
                                        ; implicit-def: $vgpr6
	v_lshrrev_b32_e32 v5, 20, v5
	s_and_not1_saveexec_b32 s34, s34
	s_cbranch_execnz .LBB254_3043
.LBB254_2022:
	s_or_b32 exec_lo, exec_lo, s34
	v_mov_b32_e32 v7, 0
	s_and_saveexec_b32 s34, s33
.LBB254_2023:
	v_mov_b32_e32 v7, v5
.LBB254_2024:
	s_or_b32 exec_lo, exec_lo, s34
.LBB254_2025:
	s_delay_alu instid0(SALU_CYCLE_1)
	s_or_b32 exec_lo, exec_lo, s31
	flat_store_b8 v[2:3], v7
.LBB254_2026:
	s_wait_xcnt 0x0
	s_or_b32 exec_lo, exec_lo, s30
	s_delay_alu instid0(SALU_CYCLE_1)
	s_or_b32 s0, s0, exec_lo
.LBB254_2027:
	s_or_b32 exec_lo, exec_lo, s25
	s_delay_alu instid0(SALU_CYCLE_1)
	s_and_b32 s0, s0, exec_lo
	s_and_b32 s25, s29, exec_lo
                                        ; implicit-def: $vgpr5
	s_and_not1_saveexec_b32 s28, s28
	s_cbranch_execnz .LBB254_2875
.LBB254_2028:
	s_or_b32 exec_lo, exec_lo, s28
	s_mov_b32 s28, s24
	s_and_saveexec_b32 s29, s25
	s_cbranch_execnz .LBB254_2916
.LBB254_2029:
	s_or_b32 exec_lo, exec_lo, s29
	s_and_saveexec_b32 s25, s27
	s_delay_alu instid0(SALU_CYCLE_1)
	s_xor_b32 s25, exec_lo, s25
	s_cbranch_execz .LBB254_2031
.LBB254_2030:
	v_cndmask_b32_e64 v5, 0, 1, s17
	s_or_b32 s0, s0, exec_lo
	flat_store_b8 v[2:3], v5
.LBB254_2031:
	s_wait_xcnt 0x0
	s_or_b32 exec_lo, exec_lo, s25
	s_delay_alu instid0(SALU_CYCLE_1)
	s_and_not1_b32 s25, s24, exec_lo
	s_and_b32 s27, s28, exec_lo
	s_and_b32 s0, s0, exec_lo
	s_or_b32 s25, s25, s27
                                        ; implicit-def: $vgpr5
                                        ; implicit-def: $vgpr2_vgpr3
.LBB254_2032:
	s_and_not1_saveexec_b32 s26, s26
	s_cbranch_execz .LBB254_2074
; %bb.2033:
	s_mov_b32 s27, exec_lo
	v_cmpx_lt_i16_e32 4, v5
	s_xor_b32 s27, exec_lo, s27
	s_cbranch_execz .LBB254_2055
; %bb.2034:
	s_mov_b32 s28, exec_lo
	v_cmpx_lt_i16_e32 7, v5
	s_xor_b32 s28, exec_lo, s28
	s_cbranch_execz .LBB254_2044
; %bb.2035:
	s_mov_b32 s29, exec_lo
	v_cmpx_lt_i16_e32 8, v5
	s_xor_b32 s29, exec_lo, s29
	s_cbranch_execz .LBB254_2041
; %bb.2036:
	s_mov_b32 s30, exec_lo
	v_cmpx_lt_i16_e32 9, v5
	s_xor_b32 s30, exec_lo, s30
	s_cbranch_execz .LBB254_2038
; %bb.2037:
	v_cndmask_b32_e64 v5, 0, 1, s17
	v_mov_b32_e32 v8, 0
	s_delay_alu instid0(VALU_DEP_2) | instskip(NEXT) | instid1(VALU_DEP_2)
	v_cvt_f64_u32_e32 v[6:7], v5
	v_mov_b32_e32 v9, v8
	flat_store_b128 v[2:3], v[6:9]
                                        ; implicit-def: $vgpr2_vgpr3
.LBB254_2038:
	s_wait_xcnt 0x0
	s_and_not1_saveexec_b32 s30, s30
	s_cbranch_execz .LBB254_2040
; %bb.2039:
	v_cndmask_b32_e64 v6, 0, 1.0, s17
	v_mov_b32_e32 v7, 0
	flat_store_b64 v[2:3], v[6:7]
.LBB254_2040:
	s_wait_xcnt 0x0
	s_or_b32 exec_lo, exec_lo, s30
                                        ; implicit-def: $vgpr2_vgpr3
.LBB254_2041:
	s_and_not1_saveexec_b32 s29, s29
	s_cbranch_execz .LBB254_2043
; %bb.2042:
	v_cndmask_b32_e64 v5, 0, 1.0, s17
	s_delay_alu instid0(VALU_DEP_1) | instskip(NEXT) | instid1(VALU_DEP_1)
	v_cvt_f16_f32_e32 v5, v5
	v_and_b32_e32 v5, 0xffff, v5
	flat_store_b32 v[2:3], v5
.LBB254_2043:
	s_wait_xcnt 0x0
	s_or_b32 exec_lo, exec_lo, s29
                                        ; implicit-def: $vgpr2_vgpr3
                                        ; implicit-def: $vgpr5
.LBB254_2044:
	s_and_not1_saveexec_b32 s28, s28
	s_cbranch_execz .LBB254_2054
; %bb.2045:
	s_mov_b32 s29, exec_lo
	v_cmpx_lt_i16_e32 5, v5
	s_xor_b32 s29, exec_lo, s29
	s_cbranch_execz .LBB254_2051
; %bb.2046:
	s_mov_b32 s30, exec_lo
	v_cmpx_lt_i16_e32 6, v5
	s_xor_b32 s30, exec_lo, s30
	s_cbranch_execz .LBB254_2048
; %bb.2047:
	v_cndmask_b32_e64 v5, 0, 1, s17
	s_delay_alu instid0(VALU_DEP_1)
	v_cvt_f64_u32_e32 v[6:7], v5
	flat_store_b64 v[2:3], v[6:7]
                                        ; implicit-def: $vgpr2_vgpr3
.LBB254_2048:
	s_wait_xcnt 0x0
	s_and_not1_saveexec_b32 s30, s30
	s_cbranch_execz .LBB254_2050
; %bb.2049:
	v_cndmask_b32_e64 v5, 0, 1.0, s17
	flat_store_b32 v[2:3], v5
.LBB254_2050:
	s_wait_xcnt 0x0
	s_or_b32 exec_lo, exec_lo, s30
                                        ; implicit-def: $vgpr2_vgpr3
.LBB254_2051:
	s_and_not1_saveexec_b32 s29, s29
	s_cbranch_execz .LBB254_2053
; %bb.2052:
	v_cndmask_b32_e64 v5, 0, 1.0, s17
	s_delay_alu instid0(VALU_DEP_1)
	v_cvt_f16_f32_e32 v5, v5
	flat_store_b16 v[2:3], v5
.LBB254_2053:
	s_wait_xcnt 0x0
	s_or_b32 exec_lo, exec_lo, s29
.LBB254_2054:
	s_delay_alu instid0(SALU_CYCLE_1)
	s_or_b32 exec_lo, exec_lo, s28
                                        ; implicit-def: $vgpr5
                                        ; implicit-def: $vgpr2_vgpr3
.LBB254_2055:
	s_and_not1_saveexec_b32 s27, s27
	s_cbranch_execz .LBB254_2073
; %bb.2056:
	s_mov_b32 s28, exec_lo
	v_cmpx_lt_i16_e32 1, v5
	s_xor_b32 s28, exec_lo, s28
	s_cbranch_execz .LBB254_2066
; %bb.2057:
	s_mov_b32 s29, exec_lo
	v_cmpx_lt_i16_e32 2, v5
	s_xor_b32 s29, exec_lo, s29
	;; [unrolled: 5-line block ×3, first 2 shown]
	s_cbranch_execz .LBB254_2060
; %bb.2059:
	s_mov_b32 s31, 0
	v_cndmask_b32_e64 v6, 0, 1, s17
	v_mov_b32_e32 v7, s31
	flat_store_b64 v[2:3], v[6:7]
                                        ; implicit-def: $vgpr2_vgpr3
.LBB254_2060:
	s_wait_xcnt 0x0
	s_and_not1_saveexec_b32 s30, s30
	s_cbranch_execz .LBB254_2062
; %bb.2061:
	v_cndmask_b32_e64 v5, 0, 1, s17
	flat_store_b32 v[2:3], v5
.LBB254_2062:
	s_wait_xcnt 0x0
	s_or_b32 exec_lo, exec_lo, s30
                                        ; implicit-def: $vgpr2_vgpr3
.LBB254_2063:
	s_and_not1_saveexec_b32 s29, s29
	s_cbranch_execz .LBB254_2065
; %bb.2064:
	v_cndmask_b32_e64 v5, 0, 1, s17
	flat_store_b16 v[2:3], v5
.LBB254_2065:
	s_wait_xcnt 0x0
	s_or_b32 exec_lo, exec_lo, s29
                                        ; implicit-def: $vgpr2_vgpr3
                                        ; implicit-def: $vgpr5
.LBB254_2066:
	s_and_not1_saveexec_b32 s28, s28
	s_cbranch_execz .LBB254_2072
; %bb.2067:
	v_cmp_lt_i16_e32 vcc_lo, 0, v5
	v_cndmask_b32_e64 v5, 0, 1, s17
	s_and_saveexec_b32 s17, vcc_lo
	s_delay_alu instid0(SALU_CYCLE_1)
	s_xor_b32 s17, exec_lo, s17
	s_cbranch_execz .LBB254_2069
; %bb.2068:
	flat_store_b8 v[2:3], v5
                                        ; implicit-def: $vgpr2_vgpr3
                                        ; implicit-def: $vgpr5
.LBB254_2069:
	s_wait_xcnt 0x0
	s_and_not1_saveexec_b32 s17, s17
	s_cbranch_execz .LBB254_2071
; %bb.2070:
	flat_store_b8 v[2:3], v5
.LBB254_2071:
	s_wait_xcnt 0x0
	s_or_b32 exec_lo, exec_lo, s17
.LBB254_2072:
	s_delay_alu instid0(SALU_CYCLE_1)
	s_or_b32 exec_lo, exec_lo, s28
.LBB254_2073:
	s_delay_alu instid0(SALU_CYCLE_1) | instskip(NEXT) | instid1(SALU_CYCLE_1)
	s_or_b32 exec_lo, exec_lo, s27
	s_or_b32 s0, s0, exec_lo
.LBB254_2074:
	s_or_b32 exec_lo, exec_lo, s26
	s_mov_b32 s26, 0
	s_mov_b32 s27, 0
                                        ; implicit-def: $vgpr30_vgpr31
                                        ; implicit-def: $vgpr15
	s_and_saveexec_b32 s17, s0
	s_cbranch_execz .LBB254_2115
; %bb.2075:
	scratch_load_u8 v15, off, off offset:436
	v_mov_b32_e32 v5, 0
	s_mov_b32 s0, 0
	s_mov_b32 s27, -1
	s_mov_b32 s28, s25
	s_mov_b32 s26, exec_lo
	v_add_nc_u64_e32 v[30:31], v[0:1], v[4:5]
	s_wait_loadcnt 0x0
	v_cmpx_lt_i16_e32 10, v15
	s_cbranch_execz .LBB254_2114
; %bb.2076:
	s_mov_b32 s28, 0
	s_mov_b32 s27, exec_lo
	v_cmpx_lt_i16_e32 25, v15
	s_xor_b32 s27, exec_lo, s27
	s_cbranch_execz .LBB254_2957
; %bb.2077:
	s_mov_b32 s29, exec_lo
	v_cmpx_lt_i16_e32 28, v15
	s_xor_b32 s29, exec_lo, s29
	s_cbranch_execz .LBB254_2095
; %bb.2078:
	;; [unrolled: 5-line block ×3, first 2 shown]
	s_mov_b32 s31, 0
	s_mov_b32 s0, exec_lo
	v_cmpx_lt_i16_e32 45, v15
	s_xor_b32 s0, exec_lo, s0
	s_cbranch_execz .LBB254_2083
; %bb.2080:
	s_mov_b32 s33, -1
	s_mov_b32 s31, exec_lo
	v_cmpx_eq_u16_e32 46, v15
	s_cbranch_execz .LBB254_2082
; %bb.2081:
	v_cndmask_b32_e64 v0, 0, 1.0, s21
	s_xor_b32 s33, exec_lo, -1
	s_delay_alu instid0(VALU_DEP_1) | instskip(NEXT) | instid1(VALU_DEP_1)
	v_bfe_u32 v1, v0, 16, 1
	v_add3_u32 v0, v0, v1, 0x7fff
	s_delay_alu instid0(VALU_DEP_1)
	v_lshrrev_b32_e32 v0, 16, v0
	flat_store_b32 v[30:31], v0
.LBB254_2082:
	s_wait_xcnt 0x0
	s_or_b32 exec_lo, exec_lo, s31
	s_delay_alu instid0(SALU_CYCLE_1)
	s_and_b32 s31, s33, exec_lo
.LBB254_2083:
	s_and_not1_saveexec_b32 s33, s0
	s_cbranch_execz .LBB254_2089
; %bb.2084:
	s_mov_b32 s0, -1
	s_mov_b32 s34, exec_lo
	v_cmpx_eq_u16_e32 44, v15
	s_cbranch_execz .LBB254_2088
; %bb.2085:
	v_cndmask_b32_e64 v2, 0, 1.0, s21
	s_mov_b32 s35, exec_lo
	s_delay_alu instid0(VALU_DEP_1) | instskip(NEXT) | instid1(VALU_DEP_1)
	v_dual_mov_b32 v1, 0xff :: v_dual_lshrrev_b32 v0, 23, v2
	v_cmpx_ne_u32_e32 0xff, v0
; %bb.2086:
	v_and_b32_e32 v1, 0x400000, v2
	v_and_or_b32 v2, 0x3fffff, v2, v0
	s_delay_alu instid0(VALU_DEP_2) | instskip(NEXT) | instid1(VALU_DEP_2)
	v_cmp_ne_u32_e32 vcc_lo, 0, v1
	v_cmp_ne_u32_e64 s0, 0, v2
	s_and_b32 s0, vcc_lo, s0
	s_delay_alu instid0(SALU_CYCLE_1) | instskip(NEXT) | instid1(VALU_DEP_1)
	v_cndmask_b32_e64 v1, 0, 1, s0
	v_add_nc_u32_e32 v1, v0, v1
; %bb.2087:
	s_or_b32 exec_lo, exec_lo, s35
	s_delay_alu instid0(SALU_CYCLE_1)
	s_xor_b32 s0, exec_lo, -1
	flat_store_b8 v[30:31], v1
.LBB254_2088:
	s_wait_xcnt 0x0
	s_or_b32 exec_lo, exec_lo, s34
	s_delay_alu instid0(SALU_CYCLE_1) | instskip(SKIP_1) | instid1(SALU_CYCLE_1)
	s_and_not1_b32 s31, s31, exec_lo
	s_and_b32 s0, s0, exec_lo
	s_or_b32 s31, s31, s0
.LBB254_2089:
	s_or_b32 exec_lo, exec_lo, s33
	s_delay_alu instid0(SALU_CYCLE_1)
	s_and_b32 s0, s31, exec_lo
.LBB254_2090:
	s_and_not1_saveexec_b32 s30, s30
	s_cbranch_execz .LBB254_2094
; %bb.2091:
	s_mov_b32 s33, -1
	s_mov_b32 s31, exec_lo
	v_cmpx_eq_u16_e32 29, v15
	s_cbranch_execz .LBB254_2093
; %bb.2092:
	s_mov_b32 s33, 0
	v_cndmask_b32_e64 v0, 0, 1, s21
	v_mov_b32_e32 v1, s33
	s_xor_b32 s33, exec_lo, -1
	flat_store_b64 v[30:31], v[0:1]
.LBB254_2093:
	s_wait_xcnt 0x0
	s_or_b32 exec_lo, exec_lo, s31
	s_delay_alu instid0(SALU_CYCLE_1) | instskip(SKIP_1) | instid1(SALU_CYCLE_1)
	s_and_not1_b32 s0, s0, exec_lo
	s_and_b32 s31, s33, exec_lo
	s_or_b32 s0, s0, s31
.LBB254_2094:
	s_or_b32 exec_lo, exec_lo, s30
	s_delay_alu instid0(SALU_CYCLE_1)
	s_and_b32 s0, s0, exec_lo
.LBB254_2095:
	s_and_not1_saveexec_b32 s29, s29
	s_cbranch_execz .LBB254_2111
; %bb.2096:
	s_mov_b32 s30, exec_lo
	v_cmpx_lt_i16_e32 26, v15
	s_xor_b32 s30, exec_lo, s30
	s_cbranch_execz .LBB254_2102
; %bb.2097:
	v_cndmask_b32_e64 v0, 0, 1, s21
	s_mov_b32 s31, exec_lo
	v_cmpx_lt_i16_e32 27, v15
	s_xor_b32 s31, exec_lo, s31
	s_cbranch_execz .LBB254_2099
; %bb.2098:
	flat_store_b32 v[30:31], v0
                                        ; implicit-def: $vgpr0
.LBB254_2099:
	s_wait_xcnt 0x0
	s_and_not1_saveexec_b32 s31, s31
	s_cbranch_execz .LBB254_2101
; %bb.2100:
	flat_store_b16 v[30:31], v0
.LBB254_2101:
	s_wait_xcnt 0x0
	s_or_b32 exec_lo, exec_lo, s31
.LBB254_2102:
	s_and_not1_saveexec_b32 s30, s30
	s_cbranch_execz .LBB254_2110
; %bb.2103:
	v_cndmask_b32_e64 v1, 0, 1.0, s21
	v_mov_b32_e32 v2, 0x80
	s_mov_b32 s31, exec_lo
	s_delay_alu instid0(VALU_DEP_2)
	v_cmpx_gt_u32_e32 0x43800000, v1
	s_cbranch_execz .LBB254_2109
; %bb.2104:
	s_mov_b32 s33, 0
	s_mov_b32 s34, exec_lo
                                        ; implicit-def: $vgpr0
	v_cmpx_lt_u32_e32 0x3bffffff, v1
	s_xor_b32 s34, exec_lo, s34
	s_cbranch_execz .LBB254_3046
; %bb.2105:
	v_bfe_u32 v0, v1, 20, 1
	s_mov_b32 s33, exec_lo
	s_delay_alu instid0(VALU_DEP_1) | instskip(NEXT) | instid1(VALU_DEP_1)
	v_add3_u32 v0, v1, v0, 0x487ffff
                                        ; implicit-def: $vgpr1
	v_lshrrev_b32_e32 v0, 20, v0
	s_and_not1_saveexec_b32 s34, s34
	s_cbranch_execnz .LBB254_3047
.LBB254_2106:
	s_or_b32 exec_lo, exec_lo, s34
	v_mov_b32_e32 v2, 0
	s_and_saveexec_b32 s34, s33
.LBB254_2107:
	v_mov_b32_e32 v2, v0
.LBB254_2108:
	s_or_b32 exec_lo, exec_lo, s34
.LBB254_2109:
	s_delay_alu instid0(SALU_CYCLE_1)
	s_or_b32 exec_lo, exec_lo, s31
	flat_store_b8 v[30:31], v2
.LBB254_2110:
	s_wait_xcnt 0x0
	s_or_b32 exec_lo, exec_lo, s30
.LBB254_2111:
	s_delay_alu instid0(SALU_CYCLE_1) | instskip(NEXT) | instid1(SALU_CYCLE_1)
	s_or_b32 exec_lo, exec_lo, s29
	s_and_b32 s0, s0, exec_lo
	s_and_not1_saveexec_b32 s27, s27
	s_cbranch_execnz .LBB254_2958
.LBB254_2112:
	s_or_b32 exec_lo, exec_lo, s27
	s_mov_b32 s29, s25
	s_and_saveexec_b32 s27, s0
	s_cbranch_execnz .LBB254_2999
.LBB254_2113:
	s_or_b32 exec_lo, exec_lo, s27
	s_delay_alu instid0(SALU_CYCLE_1)
	s_and_not1_b32 s30, s25, exec_lo
	s_and_b32 s29, s29, exec_lo
	s_xor_b32 s27, exec_lo, -1
	s_and_b32 s0, s28, exec_lo
	s_or_b32 s28, s30, s29
.LBB254_2114:
	s_or_b32 exec_lo, exec_lo, s26
	s_delay_alu instid0(SALU_CYCLE_1)
	s_and_not1_b32 s25, s25, exec_lo
	s_and_b32 s28, s28, exec_lo
	s_and_b32 s27, s27, exec_lo
	;; [unrolled: 1-line block ×3, first 2 shown]
	s_or_b32 s25, s25, s28
.LBB254_2115:
	s_or_b32 exec_lo, exec_lo, s17
	s_delay_alu instid0(SALU_CYCLE_1)
	s_and_not1_b32 s0, s24, exec_lo
	s_and_b32 s17, s25, exec_lo
	s_and_b32 s27, s27, exec_lo
	;; [unrolled: 1-line block ×3, first 2 shown]
	s_or_b32 s24, s0, s17
.LBB254_2116:
	s_or_b32 exec_lo, exec_lo, s13
	s_delay_alu instid0(SALU_CYCLE_1)
	s_and_not1_b32 s0, s23, exec_lo
	s_and_b32 s13, s24, exec_lo
	s_and_b32 s26, s27, exec_lo
	;; [unrolled: 1-line block ×3, first 2 shown]
	s_or_b32 s23, s0, s13
.LBB254_2117:
	s_or_b32 exec_lo, exec_lo, s9
	s_delay_alu instid0(SALU_CYCLE_1)
	s_and_not1_b32 s9, s20, exec_lo
	s_and_b32 s13, s23, exec_lo
	s_and_b32 s24, s26, exec_lo
	;; [unrolled: 1-line block ×3, first 2 shown]
	s_or_b32 s20, s9, s13
.LBB254_2118:
	s_or_b32 exec_lo, exec_lo, s22
	s_delay_alu instid0(SALU_CYCLE_1)
	s_and_not1_b32 s9, s18, exec_lo
	s_and_b32 s13, s20, exec_lo
	s_and_b32 s22, s24, exec_lo
	;; [unrolled: 1-line block ×3, first 2 shown]
	s_or_b32 s18, s9, s13
.LBB254_2119:
	s_or_b32 exec_lo, exec_lo, s19
	s_delay_alu instid0(SALU_CYCLE_1)
	s_and_not1_b32 s9, s15, exec_lo
	s_and_b32 s13, s18, exec_lo
	s_and_b32 s19, s22, exec_lo
	;; [unrolled: 1-line block ×3, first 2 shown]
	s_or_b32 s15, s9, s13
.LBB254_2120:
	s_or_b32 exec_lo, exec_lo, s16
	s_delay_alu instid0(SALU_CYCLE_1)
	s_and_not1_b32 s9, s12, exec_lo
	s_and_b32 s12, s15, exec_lo
	s_and_b32 s16, s19, exec_lo
	;; [unrolled: 1-line block ×3, first 2 shown]
	s_or_b32 s12, s9, s12
.LBB254_2121:
	s_or_b32 exec_lo, exec_lo, s14
	s_delay_alu instid0(SALU_CYCLE_1)
	s_and_not1_b32 s9, s10, exec_lo
	s_and_b32 s10, s12, exec_lo
	s_and_b32 s13, s16, exec_lo
	;; [unrolled: 1-line block ×3, first 2 shown]
	s_or_b32 s10, s9, s10
.LBB254_2122:
	s_or_b32 exec_lo, exec_lo, s11
	s_delay_alu instid0(SALU_CYCLE_1)
	s_and_not1_b32 s7, s7, exec_lo
	s_and_b32 s9, s10, exec_lo
	s_and_b32 s11, s13, exec_lo
	;; [unrolled: 1-line block ×3, first 2 shown]
	s_or_b32 s7, s7, s9
.LBB254_2123:
	s_or_b32 exec_lo, exec_lo, s8
	s_delay_alu instid0(SALU_CYCLE_1)
	s_and_not1_b32 s5, s5, exec_lo
	s_and_b32 s7, s7, exec_lo
	s_and_b32 s8, s11, exec_lo
	;; [unrolled: 1-line block ×3, first 2 shown]
	s_or_b32 s5, s5, s7
.LBB254_2124:
	s_or_b32 exec_lo, exec_lo, s6
	s_delay_alu instid0(SALU_CYCLE_1)
	s_and_not1_b32 s3, s3, exec_lo
	s_and_b32 s5, s5, exec_lo
	s_and_b32 s7, s8, exec_lo
	;; [unrolled: 1-line block ×3, first 2 shown]
	s_or_b32 s3, s3, s5
.LBB254_2125:
	s_or_b32 exec_lo, exec_lo, s4
	s_delay_alu instid0(SALU_CYCLE_1)
	s_and_not1_b32 s1, s1, exec_lo
	s_and_b32 s3, s3, exec_lo
	s_and_b32 s0, s7, exec_lo
	;; [unrolled: 1-line block ×3, first 2 shown]
	s_or_b32 s1, s1, s3
	s_or_b32 exec_lo, exec_lo, s2
	s_and_saveexec_b32 s2, s1
	s_cbranch_execnz .LBB254_181
.LBB254_2126:
	s_or_b32 exec_lo, exec_lo, s2
	s_and_saveexec_b32 s1, s15
	s_delay_alu instid0(SALU_CYCLE_1)
	s_xor_b32 s1, exec_lo, s1
	s_cbranch_execz .LBB254_182
.LBB254_2127:
	v_cndmask_b32_e64 v0, 0, 1, s21
	flat_store_b8 v[30:31], v0
	s_wait_xcnt 0x0
	s_or_b32 exec_lo, exec_lo, s1
	s_and_saveexec_b32 s1, s0
	s_cbranch_execz .LBB254_2166
.LBB254_2128:
	s_mov_b32 s0, exec_lo
	v_cmpx_lt_i16_e32 4, v15
	s_xor_b32 s0, exec_lo, s0
	s_cbranch_execz .LBB254_2150
; %bb.2129:
	s_mov_b32 s1, s21
	s_mov_b32 s2, exec_lo
	v_cmpx_lt_i16_e32 7, v15
	s_xor_b32 s2, exec_lo, s2
	s_cbranch_execz .LBB254_2139
; %bb.2130:
	s_mov_b32 s3, s21
	s_mov_b32 s1, exec_lo
	v_cmpx_lt_i16_e32 8, v15
	s_xor_b32 s1, exec_lo, s1
	s_cbranch_execz .LBB254_2136
; %bb.2131:
	s_mov_b32 s3, exec_lo
	v_cmpx_lt_i16_e32 9, v15
	s_xor_b32 s3, exec_lo, s3
	s_cbranch_execz .LBB254_2133
; %bb.2132:
	v_cndmask_b32_e64 v0, 0, 1, s21
	v_mov_b32_e32 v2, 0
	s_delay_alu instid0(VALU_DEP_2) | instskip(NEXT) | instid1(VALU_DEP_2)
	v_cvt_f64_u32_e32 v[0:1], v0
	v_mov_b32_e32 v3, v2
	flat_store_b128 v[30:31], v[0:3]
.LBB254_2133:
	s_wait_xcnt 0x0
	s_and_not1_saveexec_b32 s3, s3
	s_cbranch_execz .LBB254_2135
; %bb.2134:
	v_cndmask_b32_e64 v0, 0, 1.0, s21
	v_mov_b32_e32 v1, 0
	flat_store_b64 v[30:31], v[0:1]
.LBB254_2135:
	s_wait_xcnt 0x0
	s_or_b32 exec_lo, exec_lo, s3
	s_delay_alu instid0(SALU_CYCLE_1) | instskip(SKIP_1) | instid1(SALU_CYCLE_1)
	s_and_not1_b32 s3, s21, exec_lo
	s_and_b32 s4, s21, exec_lo
	s_or_b32 s3, s3, s4
.LBB254_2136:
	s_and_not1_saveexec_b32 s1, s1
	s_cbranch_execz .LBB254_2138
; %bb.2137:
	v_cndmask_b32_e64 v0, 0, 1.0, s3
	s_delay_alu instid0(VALU_DEP_1) | instskip(NEXT) | instid1(VALU_DEP_1)
	v_cvt_f16_f32_e32 v0, v0
	v_and_b32_e32 v0, 0xffff, v0
	flat_store_b32 v[30:31], v0
.LBB254_2138:
	s_wait_xcnt 0x0
	s_or_b32 exec_lo, exec_lo, s1
	s_delay_alu instid0(SALU_CYCLE_1) | instskip(SKIP_1) | instid1(SALU_CYCLE_1)
	s_and_not1_b32 s1, s21, exec_lo
	s_and_b32 s3, s3, exec_lo
	s_or_b32 s1, s1, s3
.LBB254_2139:
	s_and_not1_saveexec_b32 s2, s2
	s_cbranch_execz .LBB254_2149
; %bb.2140:
	s_mov_b32 s4, s1
	s_mov_b32 s3, exec_lo
	v_cmpx_lt_i16_e32 5, v15
	s_xor_b32 s3, exec_lo, s3
	s_cbranch_execz .LBB254_2146
; %bb.2141:
	s_mov_b32 s4, exec_lo
	v_cmpx_lt_i16_e32 6, v15
	s_xor_b32 s4, exec_lo, s4
	s_cbranch_execz .LBB254_2143
; %bb.2142:
	v_cndmask_b32_e64 v0, 0, 1, s1
	s_delay_alu instid0(VALU_DEP_1)
	v_cvt_f64_u32_e32 v[0:1], v0
	flat_store_b64 v[30:31], v[0:1]
.LBB254_2143:
	s_wait_xcnt 0x0
	s_and_not1_saveexec_b32 s4, s4
	s_cbranch_execz .LBB254_2145
; %bb.2144:
	v_cndmask_b32_e64 v0, 0, 1.0, s1
	flat_store_b32 v[30:31], v0
.LBB254_2145:
	s_wait_xcnt 0x0
	s_or_b32 exec_lo, exec_lo, s4
	s_delay_alu instid0(SALU_CYCLE_1) | instskip(SKIP_1) | instid1(SALU_CYCLE_1)
	s_and_not1_b32 s4, s1, exec_lo
	s_and_b32 s5, s1, exec_lo
	s_or_b32 s4, s4, s5
.LBB254_2146:
	s_and_not1_saveexec_b32 s3, s3
	s_cbranch_execz .LBB254_2148
; %bb.2147:
	v_cndmask_b32_e64 v0, 0, 1.0, s4
	s_delay_alu instid0(VALU_DEP_1)
	v_cvt_f16_f32_e32 v0, v0
	flat_store_b16 v[30:31], v0
.LBB254_2148:
	s_wait_xcnt 0x0
	s_or_b32 exec_lo, exec_lo, s3
	s_delay_alu instid0(SALU_CYCLE_1) | instskip(SKIP_1) | instid1(SALU_CYCLE_1)
	s_and_not1_b32 s1, s1, exec_lo
	s_and_b32 s3, s4, exec_lo
	s_or_b32 s1, s1, s3
.LBB254_2149:
	s_or_b32 exec_lo, exec_lo, s2
	s_delay_alu instid0(SALU_CYCLE_1) | instskip(SKIP_1) | instid1(SALU_CYCLE_1)
	s_and_not1_b32 s2, s21, exec_lo
	s_and_b32 s1, s1, exec_lo
	s_or_b32 s21, s2, s1
.LBB254_2150:
	s_and_not1_saveexec_b32 s0, s0
	s_cbranch_execz .LBB254_2166
; %bb.2151:
	s_mov_b32 s0, exec_lo
	v_cmpx_lt_i16_e32 1, v15
	s_xor_b32 s0, exec_lo, s0
	s_cbranch_execz .LBB254_2161
; %bb.2152:
	s_mov_b32 s2, s21
	s_mov_b32 s1, exec_lo
	v_cmpx_lt_i16_e32 2, v15
	s_xor_b32 s1, exec_lo, s1
	s_cbranch_execz .LBB254_2158
; %bb.2153:
	v_cndmask_b32_e64 v0, 0, 1, s21
	s_mov_b32 s2, exec_lo
	v_cmpx_lt_i16_e32 3, v15
	s_xor_b32 s2, exec_lo, s2
	s_cbranch_execz .LBB254_2155
; %bb.2154:
	s_mov_b32 s3, 0
	s_delay_alu instid0(SALU_CYCLE_1)
	v_mov_b32_e32 v1, s3
	flat_store_b64 v[30:31], v[0:1]
                                        ; implicit-def: $vgpr30_vgpr31
                                        ; implicit-def: $vgpr0
.LBB254_2155:
	s_wait_xcnt 0x0
	s_and_not1_saveexec_b32 s2, s2
	s_cbranch_execz .LBB254_2157
; %bb.2156:
	flat_store_b32 v[30:31], v0
.LBB254_2157:
	s_wait_xcnt 0x0
	s_or_b32 exec_lo, exec_lo, s2
	s_delay_alu instid0(SALU_CYCLE_1) | instskip(SKIP_1) | instid1(SALU_CYCLE_1)
	s_and_not1_b32 s2, s21, exec_lo
	s_and_b32 s3, s21, exec_lo
                                        ; implicit-def: $vgpr30_vgpr31
	s_or_b32 s2, s2, s3
.LBB254_2158:
	s_and_not1_saveexec_b32 s1, s1
	s_cbranch_execz .LBB254_2160
; %bb.2159:
	v_cndmask_b32_e64 v0, 0, 1, s2
	flat_store_b16 v[30:31], v0
.LBB254_2160:
	s_wait_xcnt 0x0
	s_or_b32 exec_lo, exec_lo, s1
	s_delay_alu instid0(SALU_CYCLE_1) | instskip(SKIP_1) | instid1(SALU_CYCLE_1)
	s_and_not1_b32 s1, s21, exec_lo
	s_and_b32 s2, s2, exec_lo
                                        ; implicit-def: $vgpr30_vgpr31
	s_or_b32 s21, s1, s2
.LBB254_2161:
	s_and_not1_saveexec_b32 s0, s0
	s_cbranch_execz .LBB254_2166
; %bb.2162:
	v_cndmask_b32_e64 v0, 0, 1, s21
	s_mov_b32 s0, exec_lo
	v_cmpx_lt_i16_e32 0, v15
	s_xor_b32 s0, exec_lo, s0
	s_cbranch_execz .LBB254_2164
; %bb.2163:
	flat_store_b8 v[30:31], v0
                                        ; implicit-def: $vgpr30_vgpr31
                                        ; implicit-def: $vgpr0
.LBB254_2164:
	s_wait_xcnt 0x0
	s_and_not1_saveexec_b32 s0, s0
	s_cbranch_execz .LBB254_2166
; %bb.2165:
	flat_store_b8 v[30:31], v0
	s_endpgm
.LBB254_2166:
	s_endpgm
.LBB254_2167:
	s_and_not1_saveexec_b32 s4, s4
	s_cbranch_execz .LBB254_262
.LBB254_2168:
	s_mov_b32 s7, s5
	s_mov_b32 s3, exec_lo
                                        ; implicit-def: $vgpr11
	v_cmpx_lt_i16_e32 22, v7
	s_xor_b32 s3, exec_lo, s3
	s_cbranch_execz .LBB254_2190
; %bb.2169:
	s_mov_b32 s7, exec_lo
                                        ; implicit-def: $vgpr11
	v_cmpx_lt_i16_e32 23, v7
	s_xor_b32 s7, exec_lo, s7
	s_cbranch_execz .LBB254_2181
; %bb.2170:
	;; [unrolled: 6-line block ×3, first 2 shown]
	flat_load_u8 v11, v[16:17]
.LBB254_2172:
	s_wait_xcnt 0x0
	s_and_not1_saveexec_b32 s8, s8
	s_cbranch_execz .LBB254_2180
; %bb.2173:
	flat_load_u8 v5, v[16:17]
	s_mov_b32 s10, 0
	s_mov_b32 s9, exec_lo
	s_wait_loadcnt_dscnt 0x0
	v_lshlrev_b32_e32 v5, 24, v5
	s_delay_alu instid0(VALU_DEP_1) | instskip(NEXT) | instid1(VALU_DEP_1)
	v_and_b32_e32 v11, 0x7f000000, v5
	v_clz_i32_u32_e32 v13, v11
	v_add_nc_u32_e32 v19, 0x1000000, v11
	v_cmp_ne_u32_e32 vcc_lo, 0, v11
	s_delay_alu instid0(VALU_DEP_3) | instskip(NEXT) | instid1(VALU_DEP_1)
	v_min_u32_e32 v13, 32, v13
	v_sub_nc_u32_e64 v13, v13, 4 clamp
	s_delay_alu instid0(VALU_DEP_1) | instskip(SKIP_1) | instid1(VALU_DEP_2)
	v_dual_lshlrev_b32 v15, v13, v11 :: v_dual_lshlrev_b32 v13, 23, v13
	v_mov_b32_e32 v11, 0x80
	v_lshrrev_b32_e32 v15, 4, v15
	s_delay_alu instid0(VALU_DEP_1) | instskip(NEXT) | instid1(VALU_DEP_1)
	v_dual_sub_nc_u32 v13, v15, v13 :: v_dual_ashrrev_i32 v15, 8, v19
	v_add_nc_u32_e32 v13, 0x3c000000, v13
	s_delay_alu instid0(VALU_DEP_1) | instskip(NEXT) | instid1(VALU_DEP_1)
	v_and_or_b32 v13, 0x7f800000, v15, v13
	v_cndmask_b32_e32 v15, 0, v13, vcc_lo
	s_delay_alu instid0(VALU_DEP_1) | instskip(NEXT) | instid1(VALU_DEP_1)
	v_and_or_b32 v5, 0x80000000, v5, v15
	v_and_b32_e32 v13, 0x7fffffff, v5
	s_wait_xcnt 0x0
	s_delay_alu instid0(VALU_DEP_1)
	v_cmpx_gt_u32_e32 0x47800000, v13
	s_cbranch_execz .LBB254_2179
; %bb.2174:
	v_cmp_lt_u32_e32 vcc_lo, 0x37ffffff, v13
                                        ; implicit-def: $vgpr13
	s_and_saveexec_b32 s11, vcc_lo
	s_delay_alu instid0(SALU_CYCLE_1)
	s_xor_b32 s11, exec_lo, s11
	s_cbranch_execz .LBB254_2476
; %bb.2175:
	v_bfe_u32 v11, v15, 21, 1
	s_mov_b32 s10, exec_lo
	s_delay_alu instid0(VALU_DEP_1) | instskip(NEXT) | instid1(VALU_DEP_1)
	v_add3_u32 v11, v5, v11, 0x88fffff
	v_lshrrev_b32_e32 v13, 21, v11
	s_and_not1_saveexec_b32 s11, s11
	s_cbranch_execnz .LBB254_2477
.LBB254_2176:
	s_or_b32 exec_lo, exec_lo, s11
	v_mov_b32_e32 v11, 0
	s_and_saveexec_b32 s11, s10
.LBB254_2177:
	v_lshrrev_b32_e32 v5, 24, v5
	s_delay_alu instid0(VALU_DEP_1)
	v_and_or_b32 v11, 0x80, v5, v13
.LBB254_2178:
	s_or_b32 exec_lo, exec_lo, s11
.LBB254_2179:
	s_delay_alu instid0(SALU_CYCLE_1)
	s_or_b32 exec_lo, exec_lo, s9
.LBB254_2180:
	s_delay_alu instid0(SALU_CYCLE_1)
	s_or_b32 exec_lo, exec_lo, s8
.LBB254_2181:
	s_and_not1_saveexec_b32 s7, s7
	s_cbranch_execz .LBB254_2189
; %bb.2182:
	flat_load_u8 v5, v[16:17]
	s_mov_b32 s8, exec_lo
	s_wait_loadcnt_dscnt 0x0
	v_lshlrev_b32_e32 v11, 25, v5
	v_lshlrev_b16 v5, 8, v5
	s_delay_alu instid0(VALU_DEP_1) | instskip(SKIP_1) | instid1(VALU_DEP_2)
	v_and_or_b32 v15, 0x7f00, v5, 0.5
	v_bfe_i32 v5, v5, 0, 16
	v_add_f32_e32 v15, -0.5, v15
	v_lshrrev_b32_e32 v13, 4, v11
	v_cmp_gt_u32_e32 vcc_lo, 0x8000000, v11
	v_mov_b32_e32 v11, 0x80
	s_delay_alu instid0(VALU_DEP_3) | instskip(NEXT) | instid1(VALU_DEP_1)
	v_or_b32_e32 v13, 0x70000000, v13
	v_mul_f32_e32 v13, 0x7800000, v13
	s_delay_alu instid0(VALU_DEP_1) | instskip(NEXT) | instid1(VALU_DEP_1)
	v_cndmask_b32_e32 v15, v13, v15, vcc_lo
	v_and_or_b32 v5, 0x80000000, v5, v15
	s_delay_alu instid0(VALU_DEP_1) | instskip(SKIP_1) | instid1(VALU_DEP_1)
	v_and_b32_e32 v13, 0x7fffffff, v5
	s_wait_xcnt 0x0
	v_cmpx_gt_u32_e32 0x47800000, v13
	s_cbranch_execz .LBB254_2188
; %bb.2183:
	v_cmp_lt_u32_e32 vcc_lo, 0x37ffffff, v13
	s_mov_b32 s9, 0
                                        ; implicit-def: $vgpr13
	s_and_saveexec_b32 s10, vcc_lo
	s_delay_alu instid0(SALU_CYCLE_1)
	s_xor_b32 s10, exec_lo, s10
	s_cbranch_execz .LBB254_2401
; %bb.2184:
	v_bfe_u32 v11, v15, 21, 1
	s_mov_b32 s9, exec_lo
	s_delay_alu instid0(VALU_DEP_1) | instskip(NEXT) | instid1(VALU_DEP_1)
	v_add3_u32 v11, v5, v11, 0x88fffff
	v_lshrrev_b32_e32 v13, 21, v11
	s_and_not1_saveexec_b32 s10, s10
	s_cbranch_execnz .LBB254_2402
.LBB254_2185:
	s_or_b32 exec_lo, exec_lo, s10
	v_mov_b32_e32 v11, 0
	s_and_saveexec_b32 s10, s9
.LBB254_2186:
	v_lshrrev_b32_e32 v5, 24, v5
	s_delay_alu instid0(VALU_DEP_1)
	v_and_or_b32 v11, 0x80, v5, v13
.LBB254_2187:
	s_or_b32 exec_lo, exec_lo, s10
.LBB254_2188:
	s_delay_alu instid0(SALU_CYCLE_1)
	s_or_b32 exec_lo, exec_lo, s8
.LBB254_2189:
	s_delay_alu instid0(SALU_CYCLE_1) | instskip(NEXT) | instid1(SALU_CYCLE_1)
	s_or_b32 exec_lo, exec_lo, s7
	s_or_b32 s7, s5, exec_lo
.LBB254_2190:
	s_or_saveexec_b32 s3, s3
	s_mov_b32 s8, 0
	s_mov_b32 s9, s6
	s_xor_b32 exec_lo, exec_lo, s3
	s_cbranch_execz .LBB254_2204
; %bb.2191:
	s_mov_b32 s9, s6
	s_mov_b32 s10, s7
	s_mov_b32 s8, exec_lo
                                        ; implicit-def: $vgpr11
	v_cmpx_lt_i16_e32 14, v7
	s_xor_b32 s8, exec_lo, s8
	s_cbranch_execz .LBB254_2201
; %bb.2192:
	s_mov_b32 s10, -1
	s_mov_b32 s11, s7
	s_mov_b32 s9, exec_lo
                                        ; implicit-def: $vgpr11
	v_cmpx_eq_u16_e32 15, v7
	s_cbranch_execz .LBB254_2200
; %bb.2193:
	flat_load_u16 v5, v[16:17]
	s_wait_loadcnt_dscnt 0x101
	v_mov_b32_e32 v11, 0x80
	s_mov_b32 s10, exec_lo
	s_wait_loadcnt_dscnt 0x0
	v_lshlrev_b32_e32 v15, 16, v5
	s_delay_alu instid0(VALU_DEP_1) | instskip(SKIP_1) | instid1(VALU_DEP_1)
	v_and_b32_e32 v13, 0x7fffffff, v15
	s_wait_xcnt 0x0
	v_cmpx_gt_u32_e32 0x47800000, v13
	s_cbranch_execz .LBB254_2199
; %bb.2194:
	v_cmp_lt_u32_e32 vcc_lo, 0x37ffffff, v13
	s_mov_b32 s11, 0
                                        ; implicit-def: $vgpr13
	s_and_saveexec_b32 s12, vcc_lo
	s_delay_alu instid0(SALU_CYCLE_1)
	s_xor_b32 s12, exec_lo, s12
	s_cbranch_execz .LBB254_2478
; %bb.2195:
	v_bfe_u32 v11, v5, 5, 1
	s_mov_b32 s11, exec_lo
	s_delay_alu instid0(VALU_DEP_1) | instskip(NEXT) | instid1(VALU_DEP_1)
	v_add3_u32 v11, v15, v11, 0x88fffff
                                        ; implicit-def: $vgpr15
	v_lshrrev_b32_e32 v13, 21, v11
	s_and_not1_saveexec_b32 s12, s12
	s_cbranch_execnz .LBB254_2479
.LBB254_2196:
	s_or_b32 exec_lo, exec_lo, s12
	v_mov_b32_e32 v11, 0
	s_and_saveexec_b32 s12, s11
.LBB254_2197:
	v_lshrrev_b32_e32 v5, 8, v5
	s_delay_alu instid0(VALU_DEP_1)
	v_and_or_b32 v11, 0x80, v5, v13
.LBB254_2198:
	s_or_b32 exec_lo, exec_lo, s12
.LBB254_2199:
	s_delay_alu instid0(SALU_CYCLE_1) | instskip(NEXT) | instid1(SALU_CYCLE_1)
	s_or_b32 exec_lo, exec_lo, s10
	s_or_b32 s11, s7, exec_lo
	s_xor_b32 s10, exec_lo, -1
.LBB254_2200:
	s_or_b32 exec_lo, exec_lo, s9
	s_delay_alu instid0(SALU_CYCLE_1)
	s_and_not1_b32 s9, s7, exec_lo
	s_and_b32 s11, s11, exec_lo
	s_and_not1_b32 s12, s6, exec_lo
	s_and_b32 s13, s10, exec_lo
	s_or_b32 s10, s9, s11
	s_or_b32 s9, s12, s13
.LBB254_2201:
	s_or_saveexec_b32 s11, s8
	s_mov_b32 s8, 0
	s_xor_b32 exec_lo, exec_lo, s11
; %bb.2202:
	v_cmp_ne_u16_e32 vcc_lo, 11, v7
	s_and_not1_b32 s9, s9, exec_lo
	s_mov_b32 s8, exec_lo
	s_and_b32 s12, vcc_lo, exec_lo
	s_delay_alu instid0(SALU_CYCLE_1)
	s_or_b32 s9, s9, s12
; %bb.2203:
	s_or_b32 exec_lo, exec_lo, s11
	s_delay_alu instid0(SALU_CYCLE_1)
	s_and_not1_b32 s7, s7, exec_lo
	s_and_b32 s10, s10, exec_lo
	s_and_b32 s9, s9, exec_lo
	s_or_b32 s7, s7, s10
	s_and_not1_b32 s10, s6, exec_lo
	s_and_b32 s8, s8, exec_lo
	s_or_b32 s9, s10, s9
.LBB254_2204:
	s_or_b32 exec_lo, exec_lo, s3
	s_delay_alu instid0(SALU_CYCLE_1)
	s_and_not1_b32 s3, s5, exec_lo
	s_and_b32 s5, s7, exec_lo
	s_and_not1_b32 s6, s6, exec_lo
	s_and_b32 s7, s9, exec_lo
	s_or_b32 s5, s3, s5
	s_and_b32 s3, s8, exec_lo
	s_or_b32 s6, s6, s7
	s_or_b32 exec_lo, exec_lo, s4
	s_mov_b32 s4, s1
	s_and_saveexec_b32 s7, s6
	s_cbranch_execz .LBB254_263
.LBB254_2205:
	s_or_b32 s4, s1, exec_lo
	s_and_not1_b32 s3, s3, exec_lo
	s_trap 2
	s_or_b32 exec_lo, exec_lo, s7
	s_and_saveexec_b32 s6, s3
	s_delay_alu instid0(SALU_CYCLE_1)
	s_xor_b32 s3, exec_lo, s6
	s_cbranch_execnz .LBB254_264
	s_branch .LBB254_271
.LBB254_2206:
	s_and_not1_saveexec_b32 s6, s6
	s_cbranch_execz .LBB254_452
.LBB254_2207:
	s_mov_b32 s9, s7
	s_mov_b32 s5, exec_lo
                                        ; implicit-def: $vgpr13
	v_cmpx_lt_i16_e32 22, v5
	s_xor_b32 s5, exec_lo, s5
	s_cbranch_execz .LBB254_2229
; %bb.2208:
	s_mov_b32 s9, exec_lo
                                        ; implicit-def: $vgpr13
	v_cmpx_lt_i16_e32 23, v5
	s_xor_b32 s9, exec_lo, s9
	s_cbranch_execz .LBB254_2220
; %bb.2209:
	;; [unrolled: 6-line block ×3, first 2 shown]
	flat_load_u8 v13, v[22:23]
.LBB254_2211:
	s_wait_xcnt 0x0
	s_and_not1_saveexec_b32 s10, s10
	s_cbranch_execz .LBB254_2219
; %bb.2212:
	s_wait_loadcnt_dscnt 0x0
	flat_load_u8 v13, v[22:23]
	s_mov_b32 s12, 0
	s_mov_b32 s11, exec_lo
	s_wait_loadcnt_dscnt 0x0
	v_lshlrev_b32_e32 v13, 24, v13
	s_delay_alu instid0(VALU_DEP_1) | instskip(NEXT) | instid1(VALU_DEP_1)
	v_and_b32_e32 v15, 0x7f000000, v13
	v_clz_i32_u32_e32 v19, v15
	v_add_nc_u32_e32 v25, 0x1000000, v15
	v_cmp_ne_u32_e32 vcc_lo, 0, v15
	s_delay_alu instid0(VALU_DEP_3) | instskip(NEXT) | instid1(VALU_DEP_1)
	v_min_u32_e32 v19, 32, v19
	v_sub_nc_u32_e64 v19, v19, 4 clamp
	s_delay_alu instid0(VALU_DEP_1) | instskip(NEXT) | instid1(VALU_DEP_1)
	v_lshlrev_b32_e32 v21, v19, v15
	v_dual_lshlrev_b32 v19, 23, v19 :: v_dual_lshrrev_b32 v21, 4, v21
	s_delay_alu instid0(VALU_DEP_1) | instskip(NEXT) | instid1(VALU_DEP_1)
	v_dual_sub_nc_u32 v19, v21, v19 :: v_dual_ashrrev_i32 v21, 8, v25
	v_add_nc_u32_e32 v19, 0x3c000000, v19
	s_delay_alu instid0(VALU_DEP_1) | instskip(NEXT) | instid1(VALU_DEP_1)
	v_and_or_b32 v19, 0x7f800000, v21, v19
	v_cndmask_b32_e32 v21, 0, v19, vcc_lo
	s_delay_alu instid0(VALU_DEP_1) | instskip(SKIP_1) | instid1(VALU_DEP_2)
	v_and_or_b32 v15, 0x80000000, v13, v21
	v_mov_b32_e32 v13, 0x80
	v_and_b32_e32 v19, 0x7fffffff, v15
	s_wait_xcnt 0x0
	s_delay_alu instid0(VALU_DEP_1)
	v_cmpx_gt_u32_e32 0x47800000, v19
	s_cbranch_execz .LBB254_2218
; %bb.2213:
	v_cmp_lt_u32_e32 vcc_lo, 0x37ffffff, v19
                                        ; implicit-def: $vgpr19
	s_and_saveexec_b32 s13, vcc_lo
	s_delay_alu instid0(SALU_CYCLE_1)
	s_xor_b32 s13, exec_lo, s13
	s_cbranch_execz .LBB254_2567
; %bb.2214:
	v_bfe_u32 v13, v21, 21, 1
	s_mov_b32 s12, exec_lo
	s_delay_alu instid0(VALU_DEP_1) | instskip(NEXT) | instid1(VALU_DEP_1)
	v_add3_u32 v13, v15, v13, 0x88fffff
	v_lshrrev_b32_e32 v19, 21, v13
	s_and_not1_saveexec_b32 s13, s13
	s_cbranch_execnz .LBB254_2568
.LBB254_2215:
	s_or_b32 exec_lo, exec_lo, s13
	v_mov_b32_e32 v13, 0
	s_and_saveexec_b32 s13, s12
.LBB254_2216:
	v_lshrrev_b32_e32 v13, 24, v15
	s_delay_alu instid0(VALU_DEP_1)
	v_and_or_b32 v13, 0x80, v13, v19
.LBB254_2217:
	s_or_b32 exec_lo, exec_lo, s13
.LBB254_2218:
	s_delay_alu instid0(SALU_CYCLE_1)
	s_or_b32 exec_lo, exec_lo, s11
.LBB254_2219:
	s_delay_alu instid0(SALU_CYCLE_1)
	s_or_b32 exec_lo, exec_lo, s10
.LBB254_2220:
	s_and_not1_saveexec_b32 s9, s9
	s_cbranch_execz .LBB254_2228
; %bb.2221:
	s_wait_loadcnt_dscnt 0x0
	flat_load_u8 v13, v[22:23]
	s_mov_b32 s10, exec_lo
	s_wait_loadcnt_dscnt 0x0
	v_lshlrev_b32_e32 v15, 25, v13
	v_lshlrev_b16 v13, 8, v13
	s_delay_alu instid0(VALU_DEP_2) | instskip(NEXT) | instid1(VALU_DEP_2)
	v_cmp_gt_u32_e32 vcc_lo, 0x8000000, v15
	v_and_or_b32 v21, 0x7f00, v13, 0.5
	v_lshrrev_b32_e32 v19, 4, v15
	v_bfe_i32 v13, v13, 0, 16
	s_delay_alu instid0(VALU_DEP_3) | instskip(NEXT) | instid1(VALU_DEP_3)
	v_add_f32_e32 v21, -0.5, v21
	v_or_b32_e32 v19, 0x70000000, v19
	s_delay_alu instid0(VALU_DEP_1) | instskip(NEXT) | instid1(VALU_DEP_1)
	v_mul_f32_e32 v19, 0x7800000, v19
	v_cndmask_b32_e32 v21, v19, v21, vcc_lo
	s_delay_alu instid0(VALU_DEP_1) | instskip(SKIP_1) | instid1(VALU_DEP_2)
	v_and_or_b32 v15, 0x80000000, v13, v21
	v_mov_b32_e32 v13, 0x80
	v_and_b32_e32 v19, 0x7fffffff, v15
	s_wait_xcnt 0x0
	s_delay_alu instid0(VALU_DEP_1)
	v_cmpx_gt_u32_e32 0x47800000, v19
	s_cbranch_execz .LBB254_2227
; %bb.2222:
	v_cmp_lt_u32_e32 vcc_lo, 0x37ffffff, v19
	s_mov_b32 s11, 0
                                        ; implicit-def: $vgpr19
	s_and_saveexec_b32 s12, vcc_lo
	s_delay_alu instid0(SALU_CYCLE_1)
	s_xor_b32 s12, exec_lo, s12
	s_cbranch_execz .LBB254_2480
; %bb.2223:
	v_bfe_u32 v13, v21, 21, 1
	s_mov_b32 s11, exec_lo
	s_delay_alu instid0(VALU_DEP_1) | instskip(NEXT) | instid1(VALU_DEP_1)
	v_add3_u32 v13, v15, v13, 0x88fffff
	v_lshrrev_b32_e32 v19, 21, v13
	s_and_not1_saveexec_b32 s12, s12
	s_cbranch_execnz .LBB254_2481
.LBB254_2224:
	s_or_b32 exec_lo, exec_lo, s12
	v_mov_b32_e32 v13, 0
	s_and_saveexec_b32 s12, s11
.LBB254_2225:
	v_lshrrev_b32_e32 v13, 24, v15
	s_delay_alu instid0(VALU_DEP_1)
	v_and_or_b32 v13, 0x80, v13, v19
.LBB254_2226:
	s_or_b32 exec_lo, exec_lo, s12
.LBB254_2227:
	s_delay_alu instid0(SALU_CYCLE_1)
	s_or_b32 exec_lo, exec_lo, s10
.LBB254_2228:
	s_delay_alu instid0(SALU_CYCLE_1) | instskip(NEXT) | instid1(SALU_CYCLE_1)
	s_or_b32 exec_lo, exec_lo, s9
	s_or_b32 s9, s7, exec_lo
.LBB254_2229:
	s_or_saveexec_b32 s5, s5
	s_mov_b32 s10, 0
	s_mov_b32 s11, s8
	s_xor_b32 exec_lo, exec_lo, s5
	s_cbranch_execz .LBB254_2243
; %bb.2230:
	s_mov_b32 s11, s8
	s_mov_b32 s12, s9
	s_mov_b32 s10, exec_lo
                                        ; implicit-def: $vgpr13
	v_cmpx_lt_i16_e32 14, v5
	s_xor_b32 s10, exec_lo, s10
	s_cbranch_execz .LBB254_2240
; %bb.2231:
	s_mov_b32 s12, -1
	s_mov_b32 s13, s9
	s_mov_b32 s11, exec_lo
                                        ; implicit-def: $vgpr13
	v_cmpx_eq_u16_e32 15, v5
	s_cbranch_execz .LBB254_2239
; %bb.2232:
	flat_load_u16 v15, v[22:23]
	s_wait_loadcnt_dscnt 0x101
	v_mov_b32_e32 v13, 0x80
	s_mov_b32 s12, exec_lo
	s_wait_loadcnt_dscnt 0x0
	v_lshlrev_b32_e32 v21, 16, v15
	s_delay_alu instid0(VALU_DEP_1) | instskip(SKIP_1) | instid1(VALU_DEP_1)
	v_and_b32_e32 v19, 0x7fffffff, v21
	s_wait_xcnt 0x0
	v_cmpx_gt_u32_e32 0x47800000, v19
	s_cbranch_execz .LBB254_2238
; %bb.2233:
	v_cmp_lt_u32_e32 vcc_lo, 0x37ffffff, v19
	s_mov_b32 s13, 0
                                        ; implicit-def: $vgpr19
	s_and_saveexec_b32 s14, vcc_lo
	s_delay_alu instid0(SALU_CYCLE_1)
	s_xor_b32 s14, exec_lo, s14
	s_cbranch_execz .LBB254_2569
; %bb.2234:
	v_bfe_u32 v13, v15, 5, 1
	s_mov_b32 s13, exec_lo
	s_delay_alu instid0(VALU_DEP_1) | instskip(NEXT) | instid1(VALU_DEP_1)
	v_add3_u32 v13, v21, v13, 0x88fffff
                                        ; implicit-def: $vgpr21
	v_lshrrev_b32_e32 v19, 21, v13
	s_and_not1_saveexec_b32 s14, s14
	s_cbranch_execnz .LBB254_2570
.LBB254_2235:
	s_or_b32 exec_lo, exec_lo, s14
	v_mov_b32_e32 v13, 0
	s_and_saveexec_b32 s14, s13
.LBB254_2236:
	v_lshrrev_b32_e32 v13, 8, v15
	s_delay_alu instid0(VALU_DEP_1)
	v_and_or_b32 v13, 0x80, v13, v19
.LBB254_2237:
	s_or_b32 exec_lo, exec_lo, s14
.LBB254_2238:
	s_delay_alu instid0(SALU_CYCLE_1) | instskip(NEXT) | instid1(SALU_CYCLE_1)
	s_or_b32 exec_lo, exec_lo, s12
	s_or_b32 s13, s9, exec_lo
	s_xor_b32 s12, exec_lo, -1
.LBB254_2239:
	s_or_b32 exec_lo, exec_lo, s11
	s_delay_alu instid0(SALU_CYCLE_1)
	s_and_not1_b32 s11, s9, exec_lo
	s_and_b32 s13, s13, exec_lo
	s_and_not1_b32 s14, s8, exec_lo
	s_and_b32 s15, s12, exec_lo
	s_or_b32 s12, s11, s13
	s_or_b32 s11, s14, s15
.LBB254_2240:
	s_or_saveexec_b32 s13, s10
	s_mov_b32 s10, 0
	s_xor_b32 exec_lo, exec_lo, s13
; %bb.2241:
	v_cmp_ne_u16_e32 vcc_lo, 11, v5
	s_and_not1_b32 s11, s11, exec_lo
	s_mov_b32 s10, exec_lo
	s_and_b32 s14, vcc_lo, exec_lo
	s_delay_alu instid0(SALU_CYCLE_1)
	s_or_b32 s11, s11, s14
; %bb.2242:
	s_or_b32 exec_lo, exec_lo, s13
	s_delay_alu instid0(SALU_CYCLE_1)
	s_and_not1_b32 s9, s9, exec_lo
	s_and_b32 s12, s12, exec_lo
	s_and_b32 s11, s11, exec_lo
	s_or_b32 s9, s9, s12
	s_and_not1_b32 s12, s8, exec_lo
	s_and_b32 s10, s10, exec_lo
	s_or_b32 s11, s12, s11
.LBB254_2243:
	s_or_b32 exec_lo, exec_lo, s5
	s_delay_alu instid0(SALU_CYCLE_1)
	s_and_not1_b32 s5, s7, exec_lo
	s_and_b32 s7, s9, exec_lo
	s_and_not1_b32 s8, s8, exec_lo
	s_and_b32 s9, s11, exec_lo
	s_or_b32 s7, s5, s7
	s_and_b32 s5, s10, exec_lo
	s_or_b32 s8, s8, s9
	s_or_b32 exec_lo, exec_lo, s6
	s_mov_b32 s6, s3
	s_and_saveexec_b32 s9, s8
	s_cbranch_execz .LBB254_453
.LBB254_2244:
	s_or_b32 s6, s3, exec_lo
	s_and_not1_b32 s5, s5, exec_lo
	s_trap 2
	s_or_b32 exec_lo, exec_lo, s9
	s_and_saveexec_b32 s8, s5
	s_delay_alu instid0(SALU_CYCLE_1)
	s_xor_b32 s5, exec_lo, s8
	s_cbranch_execnz .LBB254_454
	s_branch .LBB254_461
.LBB254_2245:
	s_and_not1_saveexec_b32 s8, s8
	s_cbranch_execz .LBB254_267
.LBB254_2246:
	v_add_f32_e32 v5, 0x42800000, v13
	s_and_not1_b32 s7, s7, exec_lo
	s_delay_alu instid0(VALU_DEP_1) | instskip(NEXT) | instid1(VALU_DEP_1)
	v_and_b32_e32 v5, 0xff, v5
	v_cmp_ne_u32_e32 vcc_lo, 0, v5
	s_and_b32 s9, vcc_lo, exec_lo
	s_delay_alu instid0(SALU_CYCLE_1)
	s_or_b32 s7, s7, s9
	s_or_b32 exec_lo, exec_lo, s8
	v_mov_b32_e32 v11, 0
	s_and_saveexec_b32 s8, s7
	s_cbranch_execnz .LBB254_268
	s_branch .LBB254_269
.LBB254_2247:
	s_or_saveexec_b32 s9, s9
	v_mov_b32_e32 v9, 0x7f800001
	s_xor_b32 exec_lo, exec_lo, s9
	s_cbranch_execz .LBB254_576
.LBB254_2248:
	v_cmp_ne_u16_e64 s0, 0, v15
	v_mov_b32_e32 v9, 0
	s_and_not1_b32 s8, s8, exec_lo
	s_and_b32 s0, s0, exec_lo
	s_delay_alu instid0(SALU_CYCLE_1)
	s_or_b32 s8, s8, s0
	s_or_b32 exec_lo, exec_lo, s9
	s_and_saveexec_b32 s9, s8
	s_cbranch_execnz .LBB254_577
	s_branch .LBB254_578
.LBB254_2249:
	s_or_saveexec_b32 s9, s9
	v_mov_b32_e32 v11, 0x7f800001
	s_xor_b32 exec_lo, exec_lo, s9
	s_cbranch_execz .LBB254_582
.LBB254_2250:
	v_cmp_ne_u16_e64 s0, 0, v15
	v_mov_b32_e32 v11, 0
	s_and_not1_b32 s8, s8, exec_lo
	s_and_b32 s0, s0, exec_lo
	s_delay_alu instid0(SALU_CYCLE_1)
	s_or_b32 s8, s8, s0
	s_or_b32 exec_lo, exec_lo, s9
	s_and_saveexec_b32 s9, s8
	s_cbranch_execnz .LBB254_583
	s_branch .LBB254_584
.LBB254_2251:
	s_or_saveexec_b32 s10, s10
	v_mov_b32_e32 v9, 0x7f800001
	s_xor_b32 exec_lo, exec_lo, s10
	s_cbranch_execz .LBB254_590
.LBB254_2252:
	v_cmp_ne_u16_e64 s0, 0, v15
	v_mov_b32_e32 v9, 0
	s_and_not1_b32 s8, s8, exec_lo
	s_and_b32 s0, s0, exec_lo
	s_delay_alu instid0(SALU_CYCLE_1)
	s_or_b32 s8, s8, s0
	s_or_b32 exec_lo, exec_lo, s10
	s_and_saveexec_b32 s10, s8
	s_cbranch_execnz .LBB254_591
	s_branch .LBB254_592
.LBB254_2253:
	s_or_saveexec_b32 s10, s10
	v_mov_b32_e32 v11, 0x7f800001
	s_xor_b32 exec_lo, exec_lo, s10
	s_cbranch_execz .LBB254_596
.LBB254_2254:
	v_cmp_ne_u16_e64 s0, 0, v15
	v_mov_b32_e32 v11, 0
	s_and_not1_b32 s8, s8, exec_lo
	s_and_b32 s0, s0, exec_lo
	s_delay_alu instid0(SALU_CYCLE_1)
	s_or_b32 s8, s8, s0
	s_or_b32 exec_lo, exec_lo, s10
	s_and_saveexec_b32 s10, s8
	s_cbranch_execnz .LBB254_597
	s_branch .LBB254_598
.LBB254_2255:
	s_and_not1_saveexec_b32 s10, s10
	s_cbranch_execz .LBB254_670
.LBB254_2256:
	s_mov_b32 s13, s11
	s_mov_b32 s7, exec_lo
                                        ; implicit-def: $vgpr9
	v_cmpx_lt_i16_e32 22, v7
	s_xor_b32 s7, exec_lo, s7
	s_cbranch_execz .LBB254_2278
; %bb.2257:
	s_mov_b32 s13, exec_lo
                                        ; implicit-def: $vgpr9
	v_cmpx_lt_i16_e32 23, v7
	s_xor_b32 s13, exec_lo, s13
	s_cbranch_execz .LBB254_2269
; %bb.2258:
	v_cmp_lt_i16_e64 s0, 24, v7
                                        ; implicit-def: $vgpr9
	s_and_saveexec_b32 s14, s0
	s_delay_alu instid0(SALU_CYCLE_1)
	s_xor_b32 s0, exec_lo, s14
	s_cbranch_execz .LBB254_2260
; %bb.2259:
	flat_load_u8 v9, v[22:23]
.LBB254_2260:
	s_wait_xcnt 0x0
	s_and_not1_saveexec_b32 s14, s0
	s_cbranch_execz .LBB254_2268
; %bb.2261:
	s_wait_loadcnt_dscnt 0x0
	flat_load_u8 v9, v[22:23]
	s_mov_b32 s16, 0
	s_mov_b32 s15, exec_lo
	s_wait_loadcnt_dscnt 0x0
	v_lshlrev_b32_e32 v9, 24, v9
	s_delay_alu instid0(VALU_DEP_1) | instskip(NEXT) | instid1(VALU_DEP_1)
	v_and_b32_e32 v11, 0x7f000000, v9
	v_clz_i32_u32_e32 v13, v11
	v_add_nc_u32_e32 v19, 0x1000000, v11
	v_cmp_ne_u32_e64 s0, 0, v11
	s_delay_alu instid0(VALU_DEP_3) | instskip(NEXT) | instid1(VALU_DEP_1)
	v_min_u32_e32 v13, 32, v13
	v_sub_nc_u32_e64 v13, v13, 4 clamp
	s_delay_alu instid0(VALU_DEP_1) | instskip(NEXT) | instid1(VALU_DEP_1)
	v_dual_lshlrev_b32 v15, v13, v11 :: v_dual_lshlrev_b32 v13, 23, v13
	v_lshrrev_b32_e32 v15, 4, v15
	s_delay_alu instid0(VALU_DEP_1) | instskip(NEXT) | instid1(VALU_DEP_1)
	v_dual_sub_nc_u32 v13, v15, v13 :: v_dual_ashrrev_i32 v15, 8, v19
	v_add_nc_u32_e32 v13, 0x3c000000, v13
	s_delay_alu instid0(VALU_DEP_1) | instskip(NEXT) | instid1(VALU_DEP_1)
	v_and_or_b32 v13, 0x7f800000, v15, v13
	v_cndmask_b32_e64 v15, 0, v13, s0
	s_delay_alu instid0(VALU_DEP_1) | instskip(SKIP_1) | instid1(VALU_DEP_2)
	v_and_or_b32 v11, 0x80000000, v9, v15
	v_mov_b32_e32 v9, 0x80
	v_and_b32_e32 v13, 0x7fffffff, v11
	s_wait_xcnt 0x0
	s_delay_alu instid0(VALU_DEP_1)
	v_cmpx_gt_u32_e32 0x47800000, v13
	s_cbranch_execz .LBB254_2267
; %bb.2262:
	v_cmp_lt_u32_e64 s0, 0x37ffffff, v13
                                        ; implicit-def: $vgpr13
	s_and_saveexec_b32 s17, s0
	s_delay_alu instid0(SALU_CYCLE_1)
	s_xor_b32 s0, exec_lo, s17
	s_cbranch_execz .LBB254_2650
; %bb.2263:
	v_bfe_u32 v9, v15, 21, 1
	s_mov_b32 s16, exec_lo
	s_delay_alu instid0(VALU_DEP_1) | instskip(NEXT) | instid1(VALU_DEP_1)
	v_add3_u32 v9, v11, v9, 0x88fffff
	v_lshrrev_b32_e32 v13, 21, v9
	s_and_not1_saveexec_b32 s17, s0
	s_cbranch_execnz .LBB254_2651
.LBB254_2264:
	s_or_b32 exec_lo, exec_lo, s17
	v_mov_b32_e32 v9, 0
	s_and_saveexec_b32 s0, s16
.LBB254_2265:
	v_lshrrev_b32_e32 v9, 24, v11
	s_delay_alu instid0(VALU_DEP_1)
	v_and_or_b32 v9, 0x80, v9, v13
.LBB254_2266:
	s_or_b32 exec_lo, exec_lo, s0
.LBB254_2267:
	s_delay_alu instid0(SALU_CYCLE_1)
	s_or_b32 exec_lo, exec_lo, s15
.LBB254_2268:
	s_delay_alu instid0(SALU_CYCLE_1)
	s_or_b32 exec_lo, exec_lo, s14
.LBB254_2269:
	s_and_not1_saveexec_b32 s13, s13
	s_cbranch_execz .LBB254_2277
; %bb.2270:
	s_wait_loadcnt_dscnt 0x0
	flat_load_u8 v9, v[22:23]
	s_mov_b32 s14, exec_lo
	s_wait_loadcnt_dscnt 0x0
	v_lshlrev_b32_e32 v11, 25, v9
	v_lshlrev_b16 v9, 8, v9
	s_delay_alu instid0(VALU_DEP_1) | instskip(SKIP_1) | instid1(VALU_DEP_2)
	v_and_or_b32 v15, 0x7f00, v9, 0.5
	v_bfe_i32 v9, v9, 0, 16
	v_add_f32_e32 v15, -0.5, v15
	v_lshrrev_b32_e32 v13, 4, v11
	v_cmp_gt_u32_e64 s0, 0x8000000, v11
	s_delay_alu instid0(VALU_DEP_2) | instskip(NEXT) | instid1(VALU_DEP_1)
	v_or_b32_e32 v13, 0x70000000, v13
	v_mul_f32_e32 v13, 0x7800000, v13
	s_delay_alu instid0(VALU_DEP_1) | instskip(NEXT) | instid1(VALU_DEP_1)
	v_cndmask_b32_e64 v15, v13, v15, s0
	v_and_or_b32 v11, 0x80000000, v9, v15
	v_mov_b32_e32 v9, 0x80
	s_delay_alu instid0(VALU_DEP_2) | instskip(SKIP_1) | instid1(VALU_DEP_1)
	v_and_b32_e32 v13, 0x7fffffff, v11
	s_wait_xcnt 0x0
	v_cmpx_gt_u32_e32 0x47800000, v13
	s_cbranch_execz .LBB254_2276
; %bb.2271:
	v_cmp_lt_u32_e64 s0, 0x37ffffff, v13
	s_mov_b32 s15, 0
                                        ; implicit-def: $vgpr13
	s_and_saveexec_b32 s16, s0
	s_delay_alu instid0(SALU_CYCLE_1)
	s_xor_b32 s0, exec_lo, s16
	s_cbranch_execz .LBB254_2571
; %bb.2272:
	v_bfe_u32 v9, v15, 21, 1
	s_mov_b32 s15, exec_lo
	s_delay_alu instid0(VALU_DEP_1) | instskip(NEXT) | instid1(VALU_DEP_1)
	v_add3_u32 v9, v11, v9, 0x88fffff
	v_lshrrev_b32_e32 v13, 21, v9
	s_and_not1_saveexec_b32 s16, s0
	s_cbranch_execnz .LBB254_2572
.LBB254_2273:
	s_or_b32 exec_lo, exec_lo, s16
	v_mov_b32_e32 v9, 0
	s_and_saveexec_b32 s0, s15
.LBB254_2274:
	v_lshrrev_b32_e32 v9, 24, v11
	s_delay_alu instid0(VALU_DEP_1)
	v_and_or_b32 v9, 0x80, v9, v13
.LBB254_2275:
	s_or_b32 exec_lo, exec_lo, s0
.LBB254_2276:
	s_delay_alu instid0(SALU_CYCLE_1)
	s_or_b32 exec_lo, exec_lo, s14
.LBB254_2277:
	s_delay_alu instid0(SALU_CYCLE_1) | instskip(NEXT) | instid1(SALU_CYCLE_1)
	s_or_b32 exec_lo, exec_lo, s13
	s_or_b32 s13, s11, exec_lo
.LBB254_2278:
	s_or_saveexec_b32 s7, s7
	s_mov_b32 s0, 0
	s_mov_b32 s14, s12
	s_xor_b32 exec_lo, exec_lo, s7
	s_cbranch_execz .LBB254_2292
; %bb.2279:
	s_mov_b32 s15, s12
	s_mov_b32 s16, s13
	s_mov_b32 s14, exec_lo
                                        ; implicit-def: $vgpr9
	v_cmpx_lt_i16_e32 14, v7
	s_xor_b32 s14, exec_lo, s14
	s_cbranch_execz .LBB254_2289
; %bb.2280:
	s_mov_b32 s16, -1
	s_mov_b32 s17, s13
	s_mov_b32 s15, exec_lo
                                        ; implicit-def: $vgpr9
	v_cmpx_eq_u16_e32 15, v7
	s_cbranch_execz .LBB254_2288
; %bb.2281:
	s_wait_dscnt 0x0
	flat_load_u16 v11, v[22:23]
	s_wait_loadcnt 0x1
	v_mov_b32_e32 v9, 0x80
	s_mov_b32 s16, exec_lo
	s_wait_loadcnt_dscnt 0x0
	v_lshlrev_b32_e32 v15, 16, v11
	s_delay_alu instid0(VALU_DEP_1) | instskip(SKIP_1) | instid1(VALU_DEP_1)
	v_and_b32_e32 v13, 0x7fffffff, v15
	s_wait_xcnt 0x0
	v_cmpx_gt_u32_e32 0x47800000, v13
	s_cbranch_execz .LBB254_2287
; %bb.2282:
	v_cmp_lt_u32_e64 s0, 0x37ffffff, v13
	s_mov_b32 s17, 0
                                        ; implicit-def: $vgpr13
	s_and_saveexec_b32 s18, s0
	s_delay_alu instid0(SALU_CYCLE_1)
	s_xor_b32 s0, exec_lo, s18
	s_cbranch_execz .LBB254_2652
; %bb.2283:
	v_bfe_u32 v9, v11, 5, 1
	s_mov_b32 s17, exec_lo
	s_delay_alu instid0(VALU_DEP_1) | instskip(NEXT) | instid1(VALU_DEP_1)
	v_add3_u32 v9, v15, v9, 0x88fffff
                                        ; implicit-def: $vgpr15
	v_lshrrev_b32_e32 v13, 21, v9
	s_and_not1_saveexec_b32 s18, s0
	s_cbranch_execnz .LBB254_2653
.LBB254_2284:
	s_or_b32 exec_lo, exec_lo, s18
	v_mov_b32_e32 v9, 0
	s_and_saveexec_b32 s0, s17
.LBB254_2285:
	v_lshrrev_b32_e32 v9, 8, v11
	s_delay_alu instid0(VALU_DEP_1)
	v_and_or_b32 v9, 0x80, v9, v13
.LBB254_2286:
	s_or_b32 exec_lo, exec_lo, s0
.LBB254_2287:
	s_delay_alu instid0(SALU_CYCLE_1) | instskip(NEXT) | instid1(SALU_CYCLE_1)
	s_or_b32 exec_lo, exec_lo, s16
	s_or_b32 s17, s13, exec_lo
	s_xor_b32 s16, exec_lo, -1
.LBB254_2288:
	s_or_b32 exec_lo, exec_lo, s15
	s_delay_alu instid0(SALU_CYCLE_1)
	s_and_not1_b32 s0, s13, exec_lo
	s_and_b32 s15, s17, exec_lo
	s_and_not1_b32 s17, s12, exec_lo
	s_and_b32 s18, s16, exec_lo
	s_or_b32 s16, s0, s15
	s_or_b32 s15, s17, s18
.LBB254_2289:
	s_or_saveexec_b32 s17, s14
	s_mov_b32 s14, 0
	s_xor_b32 exec_lo, exec_lo, s17
; %bb.2290:
	v_cmp_ne_u16_e64 s0, 11, v7
	s_and_not1_b32 s15, s15, exec_lo
	s_mov_b32 s14, exec_lo
	s_and_b32 s0, s0, exec_lo
	s_delay_alu instid0(SALU_CYCLE_1)
	s_or_b32 s15, s15, s0
; %bb.2291:
	s_or_b32 exec_lo, exec_lo, s17
	s_delay_alu instid0(SALU_CYCLE_1)
	s_and_not1_b32 s0, s13, exec_lo
	s_and_b32 s13, s16, exec_lo
	s_and_not1_b32 s16, s12, exec_lo
	s_and_b32 s15, s15, exec_lo
	s_or_b32 s13, s0, s13
	s_and_b32 s0, s14, exec_lo
	s_or_b32 s14, s16, s15
.LBB254_2292:
	s_or_b32 exec_lo, exec_lo, s7
	s_delay_alu instid0(SALU_CYCLE_1)
	s_and_not1_b32 s7, s11, exec_lo
	s_and_b32 s11, s13, exec_lo
	s_and_not1_b32 s12, s12, exec_lo
	s_and_b32 s13, s14, exec_lo
	s_or_b32 s11, s7, s11
	s_and_b32 s7, s0, exec_lo
	s_or_b32 s12, s12, s13
	s_or_b32 exec_lo, exec_lo, s10
	s_mov_b32 s10, s5
	s_and_saveexec_b32 s0, s12
	s_cbranch_execz .LBB254_671
.LBB254_2293:
	s_or_b32 s10, s5, exec_lo
	s_and_not1_b32 s7, s7, exec_lo
	s_trap 2
	s_or_b32 exec_lo, exec_lo, s0
	s_and_saveexec_b32 s0, s7
	s_delay_alu instid0(SALU_CYCLE_1)
	s_xor_b32 s7, exec_lo, s0
	s_cbranch_execnz .LBB254_672
	s_branch .LBB254_679
.LBB254_2294:
	s_or_saveexec_b32 s10, s10
	v_mov_b32_e32 v5, 0x7f800001
	s_xor_b32 exec_lo, exec_lo, s10
	s_cbranch_execz .LBB254_251
.LBB254_2295:
	v_cmp_ne_u16_e32 vcc_lo, 0, v11
	v_mov_b32_e32 v5, 0
	s_and_not1_b32 s9, s9, exec_lo
	s_and_b32 s11, vcc_lo, exec_lo
	s_delay_alu instid0(SALU_CYCLE_1)
	s_or_b32 s9, s9, s11
	s_or_b32 exec_lo, exec_lo, s10
	s_and_saveexec_b32 s10, s9
	s_cbranch_execnz .LBB254_252
	s_branch .LBB254_253
.LBB254_2296:
	s_and_not1_saveexec_b32 s10, s10
	s_cbranch_execz .LBB254_457
.LBB254_2297:
	v_add_f32_e32 v13, 0x42800000, v19
	s_and_not1_b32 s9, s9, exec_lo
	s_delay_alu instid0(VALU_DEP_1) | instskip(NEXT) | instid1(VALU_DEP_1)
	v_and_b32_e32 v15, 0xff, v13
	v_cmp_ne_u32_e32 vcc_lo, 0, v15
	s_and_b32 s11, vcc_lo, exec_lo
	s_delay_alu instid0(SALU_CYCLE_1)
	s_or_b32 s9, s9, s11
	s_or_b32 exec_lo, exec_lo, s10
	v_mov_b32_e32 v13, 0
	s_and_saveexec_b32 s10, s9
	s_cbranch_execnz .LBB254_458
	s_branch .LBB254_459
.LBB254_2298:
	s_and_not1_saveexec_b32 s12, s12
	s_cbranch_execz .LBB254_860
.LBB254_2299:
	s_mov_b32 s15, s13
	s_mov_b32 s10, exec_lo
                                        ; implicit-def: $vgpr11
	v_cmpx_lt_i16_e32 22, v5
	s_xor_b32 s10, exec_lo, s10
	s_cbranch_execz .LBB254_2321
; %bb.2300:
	s_mov_b32 s15, exec_lo
                                        ; implicit-def: $vgpr11
	v_cmpx_lt_i16_e32 23, v5
	s_xor_b32 s15, exec_lo, s15
	s_cbranch_execz .LBB254_2312
; %bb.2301:
	v_cmp_lt_i16_e64 s0, 24, v5
                                        ; implicit-def: $vgpr11
	s_and_saveexec_b32 s16, s0
	s_delay_alu instid0(SALU_CYCLE_1)
	s_xor_b32 s0, exec_lo, s16
	s_cbranch_execz .LBB254_2303
; %bb.2302:
	s_wait_dscnt 0x0
	flat_load_u8 v11, v[22:23]
.LBB254_2303:
	s_wait_xcnt 0x0
	s_and_not1_saveexec_b32 s16, s0
	s_cbranch_execz .LBB254_2311
; %bb.2304:
	s_wait_loadcnt_dscnt 0x0
	flat_load_u8 v11, v[22:23]
	s_mov_b32 s18, 0
	s_mov_b32 s17, exec_lo
	s_wait_loadcnt_dscnt 0x0
	v_lshlrev_b32_e32 v11, 24, v11
	s_delay_alu instid0(VALU_DEP_1) | instskip(NEXT) | instid1(VALU_DEP_1)
	v_and_b32_e32 v13, 0x7f000000, v11
	v_clz_i32_u32_e32 v15, v13
	v_add_nc_u32_e32 v21, 0x1000000, v13
	v_cmp_ne_u32_e64 s0, 0, v13
	s_delay_alu instid0(VALU_DEP_3) | instskip(NEXT) | instid1(VALU_DEP_1)
	v_min_u32_e32 v15, 32, v15
	v_sub_nc_u32_e64 v15, v15, 4 clamp
	s_delay_alu instid0(VALU_DEP_1) | instskip(NEXT) | instid1(VALU_DEP_1)
	v_dual_lshlrev_b32 v19, v15, v13 :: v_dual_lshlrev_b32 v15, 23, v15
	v_lshrrev_b32_e32 v19, 4, v19
	s_delay_alu instid0(VALU_DEP_1) | instskip(NEXT) | instid1(VALU_DEP_1)
	v_dual_sub_nc_u32 v15, v19, v15 :: v_dual_ashrrev_i32 v19, 8, v21
	v_add_nc_u32_e32 v15, 0x3c000000, v15
	s_delay_alu instid0(VALU_DEP_1) | instskip(NEXT) | instid1(VALU_DEP_1)
	v_and_or_b32 v15, 0x7f800000, v19, v15
	v_cndmask_b32_e64 v19, 0, v15, s0
	s_delay_alu instid0(VALU_DEP_1) | instskip(SKIP_1) | instid1(VALU_DEP_2)
	v_and_or_b32 v13, 0x80000000, v11, v19
	v_mov_b32_e32 v11, 0x80
	v_and_b32_e32 v15, 0x7fffffff, v13
	s_wait_xcnt 0x0
	s_delay_alu instid0(VALU_DEP_1)
	v_cmpx_gt_u32_e32 0x47800000, v15
	s_cbranch_execz .LBB254_2310
; %bb.2305:
	v_cmp_lt_u32_e64 s0, 0x37ffffff, v15
                                        ; implicit-def: $vgpr15
	s_and_saveexec_b32 s19, s0
	s_delay_alu instid0(SALU_CYCLE_1)
	s_xor_b32 s0, exec_lo, s19
	s_cbranch_execz .LBB254_2745
; %bb.2306:
	v_bfe_u32 v11, v19, 21, 1
	s_mov_b32 s18, exec_lo
	s_delay_alu instid0(VALU_DEP_1) | instskip(NEXT) | instid1(VALU_DEP_1)
	v_add3_u32 v11, v13, v11, 0x88fffff
	v_lshrrev_b32_e32 v15, 21, v11
	s_and_not1_saveexec_b32 s19, s0
	s_cbranch_execnz .LBB254_2746
.LBB254_2307:
	s_or_b32 exec_lo, exec_lo, s19
	v_mov_b32_e32 v11, 0
	s_and_saveexec_b32 s0, s18
.LBB254_2308:
	v_lshrrev_b32_e32 v11, 24, v13
	s_delay_alu instid0(VALU_DEP_1)
	v_and_or_b32 v11, 0x80, v11, v15
.LBB254_2309:
	s_or_b32 exec_lo, exec_lo, s0
.LBB254_2310:
	s_delay_alu instid0(SALU_CYCLE_1)
	s_or_b32 exec_lo, exec_lo, s17
.LBB254_2311:
	s_delay_alu instid0(SALU_CYCLE_1)
	s_or_b32 exec_lo, exec_lo, s16
.LBB254_2312:
	s_and_not1_saveexec_b32 s15, s15
	s_cbranch_execz .LBB254_2320
; %bb.2313:
	s_wait_loadcnt_dscnt 0x0
	flat_load_u8 v11, v[22:23]
	s_mov_b32 s16, exec_lo
	s_wait_loadcnt_dscnt 0x0
	v_lshlrev_b32_e32 v13, 25, v11
	v_lshlrev_b16 v11, 8, v11
	s_delay_alu instid0(VALU_DEP_2) | instskip(NEXT) | instid1(VALU_DEP_2)
	v_cmp_gt_u32_e64 s0, 0x8000000, v13
	v_and_or_b32 v19, 0x7f00, v11, 0.5
	v_lshrrev_b32_e32 v15, 4, v13
	v_bfe_i32 v11, v11, 0, 16
	s_delay_alu instid0(VALU_DEP_3) | instskip(NEXT) | instid1(VALU_DEP_3)
	v_add_f32_e32 v19, -0.5, v19
	v_or_b32_e32 v15, 0x70000000, v15
	s_delay_alu instid0(VALU_DEP_1) | instskip(NEXT) | instid1(VALU_DEP_1)
	v_mul_f32_e32 v15, 0x7800000, v15
	v_cndmask_b32_e64 v19, v15, v19, s0
	s_delay_alu instid0(VALU_DEP_1) | instskip(SKIP_1) | instid1(VALU_DEP_2)
	v_and_or_b32 v13, 0x80000000, v11, v19
	v_mov_b32_e32 v11, 0x80
	v_and_b32_e32 v15, 0x7fffffff, v13
	s_wait_xcnt 0x0
	s_delay_alu instid0(VALU_DEP_1)
	v_cmpx_gt_u32_e32 0x47800000, v15
	s_cbranch_execz .LBB254_2319
; %bb.2314:
	v_cmp_lt_u32_e64 s0, 0x37ffffff, v15
	s_mov_b32 s17, 0
                                        ; implicit-def: $vgpr15
	s_and_saveexec_b32 s18, s0
	s_delay_alu instid0(SALU_CYCLE_1)
	s_xor_b32 s0, exec_lo, s18
	s_cbranch_execz .LBB254_2654
; %bb.2315:
	v_bfe_u32 v11, v19, 21, 1
	s_mov_b32 s17, exec_lo
	s_delay_alu instid0(VALU_DEP_1) | instskip(NEXT) | instid1(VALU_DEP_1)
	v_add3_u32 v11, v13, v11, 0x88fffff
	v_lshrrev_b32_e32 v15, 21, v11
	s_and_not1_saveexec_b32 s18, s0
	s_cbranch_execnz .LBB254_2655
.LBB254_2316:
	s_or_b32 exec_lo, exec_lo, s18
	v_mov_b32_e32 v11, 0
	s_and_saveexec_b32 s0, s17
.LBB254_2317:
	v_lshrrev_b32_e32 v11, 24, v13
	s_delay_alu instid0(VALU_DEP_1)
	v_and_or_b32 v11, 0x80, v11, v15
.LBB254_2318:
	s_or_b32 exec_lo, exec_lo, s0
.LBB254_2319:
	s_delay_alu instid0(SALU_CYCLE_1)
	s_or_b32 exec_lo, exec_lo, s16
.LBB254_2320:
	s_delay_alu instid0(SALU_CYCLE_1) | instskip(NEXT) | instid1(SALU_CYCLE_1)
	s_or_b32 exec_lo, exec_lo, s15
	s_or_b32 s15, s13, exec_lo
.LBB254_2321:
	s_or_saveexec_b32 s10, s10
	s_mov_b32 s0, 0
	s_mov_b32 s16, s14
	s_xor_b32 exec_lo, exec_lo, s10
	s_cbranch_execz .LBB254_2335
; %bb.2322:
	s_mov_b32 s17, s14
	s_mov_b32 s18, s15
	s_mov_b32 s16, exec_lo
                                        ; implicit-def: $vgpr11
	v_cmpx_lt_i16_e32 14, v5
	s_xor_b32 s16, exec_lo, s16
	s_cbranch_execz .LBB254_2332
; %bb.2323:
	s_mov_b32 s18, -1
	s_mov_b32 s19, s15
	s_mov_b32 s17, exec_lo
                                        ; implicit-def: $vgpr11
	v_cmpx_eq_u16_e32 15, v5
	s_cbranch_execz .LBB254_2331
; %bb.2324:
	s_wait_loadcnt_dscnt 0x0
	flat_load_u16 v13, v[22:23]
	v_mov_b32_e32 v11, 0x80
	s_mov_b32 s18, exec_lo
	s_wait_loadcnt_dscnt 0x0
	v_lshlrev_b32_e32 v19, 16, v13
	s_delay_alu instid0(VALU_DEP_1) | instskip(SKIP_1) | instid1(VALU_DEP_1)
	v_and_b32_e32 v15, 0x7fffffff, v19
	s_wait_xcnt 0x0
	v_cmpx_gt_u32_e32 0x47800000, v15
	s_cbranch_execz .LBB254_2330
; %bb.2325:
	v_cmp_lt_u32_e64 s0, 0x37ffffff, v15
	s_mov_b32 s19, 0
                                        ; implicit-def: $vgpr15
	s_and_saveexec_b32 s20, s0
	s_delay_alu instid0(SALU_CYCLE_1)
	s_xor_b32 s0, exec_lo, s20
	s_cbranch_execz .LBB254_2747
; %bb.2326:
	v_bfe_u32 v11, v13, 5, 1
	s_mov_b32 s19, exec_lo
	s_delay_alu instid0(VALU_DEP_1) | instskip(NEXT) | instid1(VALU_DEP_1)
	v_add3_u32 v11, v19, v11, 0x88fffff
                                        ; implicit-def: $vgpr19
	v_lshrrev_b32_e32 v15, 21, v11
	s_and_not1_saveexec_b32 s20, s0
	s_cbranch_execnz .LBB254_2748
.LBB254_2327:
	s_or_b32 exec_lo, exec_lo, s20
	v_mov_b32_e32 v11, 0
	s_and_saveexec_b32 s0, s19
.LBB254_2328:
	v_lshrrev_b32_e32 v11, 8, v13
	s_delay_alu instid0(VALU_DEP_1)
	v_and_or_b32 v11, 0x80, v11, v15
.LBB254_2329:
	s_or_b32 exec_lo, exec_lo, s0
.LBB254_2330:
	s_delay_alu instid0(SALU_CYCLE_1) | instskip(NEXT) | instid1(SALU_CYCLE_1)
	s_or_b32 exec_lo, exec_lo, s18
	s_or_b32 s19, s15, exec_lo
	s_xor_b32 s18, exec_lo, -1
.LBB254_2331:
	s_or_b32 exec_lo, exec_lo, s17
	s_delay_alu instid0(SALU_CYCLE_1)
	s_and_not1_b32 s0, s15, exec_lo
	s_and_b32 s17, s19, exec_lo
	s_and_not1_b32 s19, s14, exec_lo
	s_and_b32 s20, s18, exec_lo
	s_or_b32 s18, s0, s17
	s_or_b32 s17, s19, s20
.LBB254_2332:
	s_or_saveexec_b32 s19, s16
	s_mov_b32 s16, 0
	s_xor_b32 exec_lo, exec_lo, s19
; %bb.2333:
	v_cmp_ne_u16_e64 s0, 11, v5
	s_and_not1_b32 s17, s17, exec_lo
	s_mov_b32 s16, exec_lo
	s_and_b32 s0, s0, exec_lo
	s_delay_alu instid0(SALU_CYCLE_1)
	s_or_b32 s17, s17, s0
; %bb.2334:
	s_or_b32 exec_lo, exec_lo, s19
	s_delay_alu instid0(SALU_CYCLE_1)
	s_and_not1_b32 s0, s15, exec_lo
	s_and_b32 s15, s18, exec_lo
	s_and_not1_b32 s18, s14, exec_lo
	s_and_b32 s17, s17, exec_lo
	s_or_b32 s15, s0, s15
	s_and_b32 s0, s16, exec_lo
	s_or_b32 s16, s18, s17
.LBB254_2335:
	s_or_b32 exec_lo, exec_lo, s10
	s_delay_alu instid0(SALU_CYCLE_1)
	s_and_not1_b32 s10, s13, exec_lo
	s_and_b32 s13, s15, exec_lo
	s_and_not1_b32 s14, s14, exec_lo
	s_and_b32 s15, s16, exec_lo
	s_or_b32 s13, s10, s13
	s_and_b32 s10, s0, exec_lo
	s_or_b32 s14, s14, s15
	s_or_b32 exec_lo, exec_lo, s12
	s_mov_b32 s12, s7
	s_and_saveexec_b32 s0, s14
	s_cbranch_execz .LBB254_861
.LBB254_2336:
	s_or_b32 s12, s7, exec_lo
	s_and_not1_b32 s10, s10, exec_lo
	s_trap 2
	s_or_b32 exec_lo, exec_lo, s0
	s_and_saveexec_b32 s0, s10
	s_delay_alu instid0(SALU_CYCLE_1)
	s_xor_b32 s10, exec_lo, s0
	s_cbranch_execnz .LBB254_862
	s_branch .LBB254_869
.LBB254_2337:
	s_mov_b32 s0, exec_lo
	s_trap 2
	s_branch .LBB254_138
.LBB254_2338:
	s_and_not1_saveexec_b32 s11, s11
	s_cbranch_execz .LBB254_256
.LBB254_2339:
	v_add_f32_e64 v11, 0x42800000, |v5|
	s_and_not1_b32 s10, s10, exec_lo
	s_delay_alu instid0(VALU_DEP_1) | instskip(NEXT) | instid1(VALU_DEP_1)
	v_and_b32_e32 v13, 0xff, v11
	v_cmp_ne_u32_e32 vcc_lo, 0, v13
	s_and_b32 s12, vcc_lo, exec_lo
	s_delay_alu instid0(SALU_CYCLE_1)
	s_or_b32 s10, s10, s12
	s_or_b32 exec_lo, exec_lo, s11
	v_mov_b32_e32 v11, 0
	s_and_saveexec_b32 s11, s10
	s_cbranch_execnz .LBB254_257
	s_branch .LBB254_258
.LBB254_2340:
	s_and_not1_saveexec_b32 s10, s10
	s_cbranch_execz .LBB254_297
.LBB254_2341:
	v_add_f32_e64 v11, 0x42800000, |v5|
	s_and_not1_b32 s9, s9, exec_lo
	s_delay_alu instid0(VALU_DEP_1) | instskip(NEXT) | instid1(VALU_DEP_1)
	v_and_b32_e32 v13, 0xff, v11
	v_cmp_ne_u32_e32 vcc_lo, 0, v13
	s_and_b32 s11, vcc_lo, exec_lo
	s_delay_alu instid0(SALU_CYCLE_1)
	s_or_b32 s9, s9, s11
	s_or_b32 exec_lo, exec_lo, s10
	v_mov_b32_e32 v11, 0
	s_and_saveexec_b32 s10, s9
	s_cbranch_execnz .LBB254_298
	s_branch .LBB254_299
.LBB254_2342:
	s_and_not1_saveexec_b32 s10, s10
	s_cbranch_execz .LBB254_325
.LBB254_2343:
	v_add_f32_e64 v11, 0x42800000, |v5|
	s_and_not1_b32 s9, s9, exec_lo
	s_delay_alu instid0(VALU_DEP_1) | instskip(NEXT) | instid1(VALU_DEP_1)
	v_and_b32_e32 v13, 0xff, v11
	v_cmp_ne_u32_e32 vcc_lo, 0, v13
	s_and_b32 s11, vcc_lo, exec_lo
	s_delay_alu instid0(SALU_CYCLE_1)
	s_or_b32 s9, s9, s11
	s_or_b32 exec_lo, exec_lo, s10
	v_mov_b32_e32 v11, 0
	s_and_saveexec_b32 s10, s9
	s_cbranch_execnz .LBB254_326
	s_branch .LBB254_327
.LBB254_2344:
	s_and_not1_saveexec_b32 s10, s10
	s_cbranch_execz .LBB254_355
.LBB254_2345:
	v_add_f32_e64 v11, 0x42800000, |v5|
	s_and_not1_b32 s9, s9, exec_lo
	s_delay_alu instid0(VALU_DEP_1) | instskip(NEXT) | instid1(VALU_DEP_1)
	v_and_b32_e32 v13, 0xff, v11
	v_cmp_ne_u32_e32 vcc_lo, 0, v13
	s_and_b32 s11, vcc_lo, exec_lo
	s_delay_alu instid0(SALU_CYCLE_1)
	s_or_b32 s9, s9, s11
	s_or_b32 exec_lo, exec_lo, s10
	v_mov_b32_e32 v11, 0
	s_and_saveexec_b32 s10, s9
	s_cbranch_execnz .LBB254_356
	s_branch .LBB254_357
.LBB254_2346:
	s_and_not1_saveexec_b32 s10, s10
	s_cbranch_execz .LBB254_365
.LBB254_2347:
	v_add_f32_e64 v11, 0x42800000, |v5|
	s_and_not1_b32 s9, s9, exec_lo
	s_delay_alu instid0(VALU_DEP_1) | instskip(NEXT) | instid1(VALU_DEP_1)
	v_and_b32_e32 v13, 0xff, v11
	v_cmp_ne_u32_e32 vcc_lo, 0, v13
	s_and_b32 s11, vcc_lo, exec_lo
	s_delay_alu instid0(SALU_CYCLE_1)
	s_or_b32 s9, s9, s11
	s_or_b32 exec_lo, exec_lo, s10
	v_mov_b32_e32 v11, 0
	s_and_saveexec_b32 s10, s9
	s_cbranch_execnz .LBB254_366
	s_branch .LBB254_367
.LBB254_2348:
	s_and_not1_saveexec_b32 s10, s10
	s_cbranch_execz .LBB254_373
.LBB254_2349:
	v_add_f32_e32 v5, 0x42800000, v13
	s_and_not1_b32 s9, s9, exec_lo
	s_delay_alu instid0(VALU_DEP_1) | instskip(NEXT) | instid1(VALU_DEP_1)
	v_and_b32_e32 v5, 0xff, v5
	v_cmp_ne_u32_e32 vcc_lo, 0, v5
	s_and_b32 s11, vcc_lo, exec_lo
	s_delay_alu instid0(SALU_CYCLE_1)
	s_or_b32 s9, s9, s11
	s_or_b32 exec_lo, exec_lo, s10
	v_mov_b32_e32 v11, 0
	s_and_saveexec_b32 s10, s9
	s_cbranch_execnz .LBB254_374
	s_branch .LBB254_375
.LBB254_2350:
	s_or_saveexec_b32 s12, s12
	v_mov_b32_e32 v15, 0x7f800001
	s_xor_b32 exec_lo, exec_lo, s12
	s_cbranch_execz .LBB254_441
.LBB254_2351:
	v_cmp_ne_u16_e32 vcc_lo, 0, v13
	v_mov_b32_e32 v15, 0
	s_and_not1_b32 s11, s11, exec_lo
	s_and_b32 s13, vcc_lo, exec_lo
	s_delay_alu instid0(SALU_CYCLE_1)
	s_or_b32 s11, s11, s13
	s_or_b32 exec_lo, exec_lo, s12
	s_and_saveexec_b32 s12, s11
	s_cbranch_execnz .LBB254_442
	s_branch .LBB254_443
.LBB254_2352:
	s_and_not1_saveexec_b32 s14, s0
	s_cbranch_execz .LBB254_675
.LBB254_2353:
	v_add_f32_e32 v9, 0x42800000, v13
	s_and_not1_b32 s13, s13, exec_lo
	s_delay_alu instid0(VALU_DEP_1) | instskip(NEXT) | instid1(VALU_DEP_1)
	v_and_b32_e32 v11, 0xff, v9
	v_cmp_ne_u32_e64 s0, 0, v11
	s_and_b32 s0, s0, exec_lo
	s_delay_alu instid0(SALU_CYCLE_1)
	s_or_b32 s13, s13, s0
	s_or_b32 exec_lo, exec_lo, s14
	v_mov_b32_e32 v9, 0
	s_and_saveexec_b32 s0, s13
	s_cbranch_execnz .LBB254_676
	s_branch .LBB254_677
.LBB254_2354:
	s_or_saveexec_b32 s14, s14
	v_mov_b32_e32 v13, 0x7f800001
	s_xor_b32 exec_lo, exec_lo, s14
	s_cbranch_execz .LBB254_984
.LBB254_2355:
	v_cmp_ne_u16_e64 s0, 0, v15
	v_mov_b32_e32 v13, 0
	s_and_not1_b32 s13, s13, exec_lo
	s_and_b32 s0, s0, exec_lo
	s_delay_alu instid0(SALU_CYCLE_1)
	s_or_b32 s13, s13, s0
	s_or_b32 exec_lo, exec_lo, s14
	s_and_saveexec_b32 s14, s13
	s_cbranch_execnz .LBB254_985
	s_branch .LBB254_986
.LBB254_2356:
	s_or_saveexec_b32 s14, s14
	v_mov_b32_e32 v9, 0x7f800001
	s_xor_b32 exec_lo, exec_lo, s14
	s_cbranch_execz .LBB254_990
.LBB254_2357:
	v_cmp_ne_u16_e64 s0, 0, v15
	v_mov_b32_e32 v9, 0
	s_and_not1_b32 s13, s13, exec_lo
	s_and_b32 s0, s0, exec_lo
	s_delay_alu instid0(SALU_CYCLE_1)
	s_or_b32 s13, s13, s0
	s_or_b32 exec_lo, exec_lo, s14
	s_and_saveexec_b32 s14, s13
	s_cbranch_execnz .LBB254_991
	s_branch .LBB254_992
.LBB254_2358:
	s_or_saveexec_b32 s15, s15
	v_mov_b32_e32 v13, 0x7f800001
	s_xor_b32 exec_lo, exec_lo, s15
	s_cbranch_execz .LBB254_998
.LBB254_2359:
	v_cmp_ne_u16_e64 s0, 0, v15
	v_mov_b32_e32 v13, 0
	s_and_not1_b32 s14, s14, exec_lo
	s_and_b32 s0, s0, exec_lo
	s_delay_alu instid0(SALU_CYCLE_1)
	s_or_b32 s14, s14, s0
	s_or_b32 exec_lo, exec_lo, s15
	s_and_saveexec_b32 s15, s14
	s_cbranch_execnz .LBB254_999
	s_branch .LBB254_1000
.LBB254_2360:
	s_or_saveexec_b32 s15, s15
	v_mov_b32_e32 v9, 0x7f800001
	s_xor_b32 exec_lo, exec_lo, s15
	s_cbranch_execz .LBB254_1004
.LBB254_2361:
	v_cmp_ne_u16_e64 s0, 0, v15
	v_mov_b32_e32 v9, 0
	s_and_not1_b32 s14, s14, exec_lo
	s_and_b32 s0, s0, exec_lo
	s_delay_alu instid0(SALU_CYCLE_1)
	s_or_b32 s14, s14, s0
	s_or_b32 exec_lo, exec_lo, s15
	s_and_saveexec_b32 s15, s14
	s_cbranch_execnz .LBB254_1005
	s_branch .LBB254_1006
.LBB254_2362:
	s_and_not1_saveexec_b32 s15, s15
	s_cbranch_execz .LBB254_1078
.LBB254_2363:
	s_mov_b32 s18, s16
	s_mov_b32 s12, exec_lo
                                        ; implicit-def: $vgpr9
	v_cmpx_lt_i16_e32 22, v7
	s_xor_b32 s12, exec_lo, s12
	s_cbranch_execz .LBB254_2385
; %bb.2364:
	s_mov_b32 s18, exec_lo
                                        ; implicit-def: $vgpr9
	v_cmpx_lt_i16_e32 23, v7
	s_xor_b32 s18, exec_lo, s18
	s_cbranch_execz .LBB254_2376
; %bb.2365:
	v_cmp_lt_i16_e64 s0, 24, v7
                                        ; implicit-def: $vgpr9
	s_and_saveexec_b32 s19, s0
	s_delay_alu instid0(SALU_CYCLE_1)
	s_xor_b32 s0, exec_lo, s19
	s_cbranch_execz .LBB254_2367
; %bb.2366:
	s_wait_loadcnt_dscnt 0x0
	flat_load_u8 v9, v[20:21]
.LBB254_2367:
	s_wait_xcnt 0x0
	s_and_not1_saveexec_b32 s19, s0
	s_cbranch_execz .LBB254_2375
; %bb.2368:
	s_wait_loadcnt_dscnt 0x0
	flat_load_u8 v9, v[20:21]
	s_mov_b32 s21, 0
	s_mov_b32 s20, exec_lo
	s_wait_loadcnt_dscnt 0x0
	v_lshlrev_b32_e32 v9, 24, v9
	s_delay_alu instid0(VALU_DEP_1) | instskip(NEXT) | instid1(VALU_DEP_1)
	v_and_b32_e32 v11, 0x7f000000, v9
	v_clz_i32_u32_e32 v13, v11
	v_add_nc_u32_e32 v19, 0x1000000, v11
	v_cmp_ne_u32_e64 s0, 0, v11
	s_delay_alu instid0(VALU_DEP_3) | instskip(NEXT) | instid1(VALU_DEP_1)
	v_min_u32_e32 v13, 32, v13
	v_sub_nc_u32_e64 v13, v13, 4 clamp
	s_delay_alu instid0(VALU_DEP_1) | instskip(NEXT) | instid1(VALU_DEP_1)
	v_dual_lshlrev_b32 v15, v13, v11 :: v_dual_lshlrev_b32 v13, 23, v13
	v_lshrrev_b32_e32 v15, 4, v15
	s_delay_alu instid0(VALU_DEP_1) | instskip(NEXT) | instid1(VALU_DEP_1)
	v_dual_sub_nc_u32 v13, v15, v13 :: v_dual_ashrrev_i32 v15, 8, v19
	v_add_nc_u32_e32 v13, 0x3c000000, v13
	s_delay_alu instid0(VALU_DEP_1) | instskip(NEXT) | instid1(VALU_DEP_1)
	v_and_or_b32 v13, 0x7f800000, v15, v13
	v_cndmask_b32_e64 v15, 0, v13, s0
	s_delay_alu instid0(VALU_DEP_1) | instskip(SKIP_1) | instid1(VALU_DEP_2)
	v_and_or_b32 v11, 0x80000000, v9, v15
	v_mov_b32_e32 v9, 0x80
	v_and_b32_e32 v13, 0x7fffffff, v11
	s_wait_xcnt 0x0
	s_delay_alu instid0(VALU_DEP_1)
	v_cmpx_gt_u32_e32 0x47800000, v13
	s_cbranch_execz .LBB254_2374
; %bb.2369:
	v_cmp_lt_u32_e64 s0, 0x37ffffff, v13
                                        ; implicit-def: $vgpr13
	s_and_saveexec_b32 s22, s0
	s_delay_alu instid0(SALU_CYCLE_1)
	s_xor_b32 s0, exec_lo, s22
	s_cbranch_execz .LBB254_2832
; %bb.2370:
	v_bfe_u32 v9, v15, 21, 1
	s_mov_b32 s21, exec_lo
	s_delay_alu instid0(VALU_DEP_1) | instskip(NEXT) | instid1(VALU_DEP_1)
	v_add3_u32 v9, v11, v9, 0x88fffff
	v_lshrrev_b32_e32 v13, 21, v9
	s_and_not1_saveexec_b32 s22, s0
	s_cbranch_execnz .LBB254_2833
.LBB254_2371:
	s_or_b32 exec_lo, exec_lo, s22
	v_mov_b32_e32 v9, 0
	s_and_saveexec_b32 s0, s21
.LBB254_2372:
	v_lshrrev_b32_e32 v9, 24, v11
	s_delay_alu instid0(VALU_DEP_1)
	v_and_or_b32 v9, 0x80, v9, v13
.LBB254_2373:
	s_or_b32 exec_lo, exec_lo, s0
.LBB254_2374:
	s_delay_alu instid0(SALU_CYCLE_1)
	s_or_b32 exec_lo, exec_lo, s20
.LBB254_2375:
	s_delay_alu instid0(SALU_CYCLE_1)
	s_or_b32 exec_lo, exec_lo, s19
.LBB254_2376:
	s_and_not1_saveexec_b32 s18, s18
	s_cbranch_execz .LBB254_2384
; %bb.2377:
	s_wait_loadcnt_dscnt 0x0
	flat_load_u8 v9, v[20:21]
	s_mov_b32 s19, exec_lo
	s_wait_loadcnt_dscnt 0x0
	v_lshlrev_b32_e32 v11, 25, v9
	v_lshlrev_b16 v9, 8, v9
	s_delay_alu instid0(VALU_DEP_1) | instskip(SKIP_1) | instid1(VALU_DEP_2)
	v_and_or_b32 v15, 0x7f00, v9, 0.5
	v_bfe_i32 v9, v9, 0, 16
	v_add_f32_e32 v15, -0.5, v15
	v_lshrrev_b32_e32 v13, 4, v11
	v_cmp_gt_u32_e64 s0, 0x8000000, v11
	s_delay_alu instid0(VALU_DEP_2) | instskip(NEXT) | instid1(VALU_DEP_1)
	v_or_b32_e32 v13, 0x70000000, v13
	v_mul_f32_e32 v13, 0x7800000, v13
	s_delay_alu instid0(VALU_DEP_1) | instskip(NEXT) | instid1(VALU_DEP_1)
	v_cndmask_b32_e64 v15, v13, v15, s0
	v_and_or_b32 v11, 0x80000000, v9, v15
	v_mov_b32_e32 v9, 0x80
	s_delay_alu instid0(VALU_DEP_2) | instskip(SKIP_1) | instid1(VALU_DEP_1)
	v_and_b32_e32 v13, 0x7fffffff, v11
	s_wait_xcnt 0x0
	v_cmpx_gt_u32_e32 0x47800000, v13
	s_cbranch_execz .LBB254_2383
; %bb.2378:
	v_cmp_lt_u32_e64 s0, 0x37ffffff, v13
	s_mov_b32 s20, 0
                                        ; implicit-def: $vgpr13
	s_and_saveexec_b32 s21, s0
	s_delay_alu instid0(SALU_CYCLE_1)
	s_xor_b32 s0, exec_lo, s21
	s_cbranch_execz .LBB254_2749
; %bb.2379:
	v_bfe_u32 v9, v15, 21, 1
	s_mov_b32 s20, exec_lo
	s_delay_alu instid0(VALU_DEP_1) | instskip(NEXT) | instid1(VALU_DEP_1)
	v_add3_u32 v9, v11, v9, 0x88fffff
	v_lshrrev_b32_e32 v13, 21, v9
	s_and_not1_saveexec_b32 s21, s0
	s_cbranch_execnz .LBB254_2750
.LBB254_2380:
	s_or_b32 exec_lo, exec_lo, s21
	v_mov_b32_e32 v9, 0
	s_and_saveexec_b32 s0, s20
.LBB254_2381:
	v_lshrrev_b32_e32 v9, 24, v11
	s_delay_alu instid0(VALU_DEP_1)
	v_and_or_b32 v9, 0x80, v9, v13
.LBB254_2382:
	s_or_b32 exec_lo, exec_lo, s0
.LBB254_2383:
	s_delay_alu instid0(SALU_CYCLE_1)
	s_or_b32 exec_lo, exec_lo, s19
.LBB254_2384:
	s_delay_alu instid0(SALU_CYCLE_1) | instskip(NEXT) | instid1(SALU_CYCLE_1)
	s_or_b32 exec_lo, exec_lo, s18
	s_or_b32 s18, s16, exec_lo
.LBB254_2385:
	s_or_saveexec_b32 s12, s12
	s_mov_b32 s0, 0
	s_mov_b32 s19, s17
	s_xor_b32 exec_lo, exec_lo, s12
	s_cbranch_execz .LBB254_2399
; %bb.2386:
	s_mov_b32 s20, s17
	s_mov_b32 s21, s18
	s_mov_b32 s19, exec_lo
                                        ; implicit-def: $vgpr9
	v_cmpx_lt_i16_e32 14, v7
	s_xor_b32 s19, exec_lo, s19
	s_cbranch_execz .LBB254_2396
; %bb.2387:
	s_mov_b32 s21, -1
	s_mov_b32 s22, s18
	s_mov_b32 s20, exec_lo
                                        ; implicit-def: $vgpr9
	v_cmpx_eq_u16_e32 15, v7
	s_cbranch_execz .LBB254_2395
; %bb.2388:
	s_wait_loadcnt_dscnt 0x0
	flat_load_u16 v11, v[20:21]
	v_mov_b32_e32 v9, 0x80
	s_mov_b32 s21, exec_lo
	s_wait_loadcnt_dscnt 0x0
	v_lshlrev_b32_e32 v15, 16, v11
	s_delay_alu instid0(VALU_DEP_1) | instskip(SKIP_1) | instid1(VALU_DEP_1)
	v_and_b32_e32 v13, 0x7fffffff, v15
	s_wait_xcnt 0x0
	v_cmpx_gt_u32_e32 0x47800000, v13
	s_cbranch_execz .LBB254_2394
; %bb.2389:
	v_cmp_lt_u32_e64 s0, 0x37ffffff, v13
	s_mov_b32 s22, 0
                                        ; implicit-def: $vgpr13
	s_and_saveexec_b32 s23, s0
	s_delay_alu instid0(SALU_CYCLE_1)
	s_xor_b32 s0, exec_lo, s23
	s_cbranch_execz .LBB254_2834
; %bb.2390:
	v_bfe_u32 v9, v11, 5, 1
	s_mov_b32 s22, exec_lo
	s_delay_alu instid0(VALU_DEP_1) | instskip(NEXT) | instid1(VALU_DEP_1)
	v_add3_u32 v9, v15, v9, 0x88fffff
                                        ; implicit-def: $vgpr15
	v_lshrrev_b32_e32 v13, 21, v9
	s_and_not1_saveexec_b32 s23, s0
	s_cbranch_execnz .LBB254_2835
.LBB254_2391:
	s_or_b32 exec_lo, exec_lo, s23
	v_mov_b32_e32 v9, 0
	s_and_saveexec_b32 s0, s22
.LBB254_2392:
	v_lshrrev_b32_e32 v9, 8, v11
	s_delay_alu instid0(VALU_DEP_1)
	v_and_or_b32 v9, 0x80, v9, v13
.LBB254_2393:
	s_or_b32 exec_lo, exec_lo, s0
.LBB254_2394:
	s_delay_alu instid0(SALU_CYCLE_1) | instskip(NEXT) | instid1(SALU_CYCLE_1)
	s_or_b32 exec_lo, exec_lo, s21
	s_or_b32 s22, s18, exec_lo
	s_xor_b32 s21, exec_lo, -1
.LBB254_2395:
	s_or_b32 exec_lo, exec_lo, s20
	s_delay_alu instid0(SALU_CYCLE_1)
	s_and_not1_b32 s0, s18, exec_lo
	s_and_b32 s20, s22, exec_lo
	s_and_not1_b32 s22, s17, exec_lo
	s_and_b32 s23, s21, exec_lo
	s_or_b32 s21, s0, s20
	s_or_b32 s20, s22, s23
.LBB254_2396:
	s_or_saveexec_b32 s22, s19
	s_mov_b32 s19, 0
	s_xor_b32 exec_lo, exec_lo, s22
; %bb.2397:
	v_cmp_ne_u16_e64 s0, 11, v7
	s_and_not1_b32 s20, s20, exec_lo
	s_mov_b32 s19, exec_lo
	s_and_b32 s0, s0, exec_lo
	s_delay_alu instid0(SALU_CYCLE_1)
	s_or_b32 s20, s20, s0
; %bb.2398:
	s_or_b32 exec_lo, exec_lo, s22
	s_delay_alu instid0(SALU_CYCLE_1)
	s_and_not1_b32 s0, s18, exec_lo
	s_and_b32 s18, s21, exec_lo
	s_and_not1_b32 s21, s17, exec_lo
	s_and_b32 s20, s20, exec_lo
	s_or_b32 s18, s0, s18
	s_and_b32 s0, s19, exec_lo
	s_or_b32 s19, s21, s20
.LBB254_2399:
	s_or_b32 exec_lo, exec_lo, s12
	s_delay_alu instid0(SALU_CYCLE_1)
	s_and_not1_b32 s12, s16, exec_lo
	s_and_b32 s16, s18, exec_lo
	s_and_not1_b32 s17, s17, exec_lo
	s_and_b32 s18, s19, exec_lo
	s_or_b32 s16, s12, s16
	s_and_b32 s12, s0, exec_lo
	s_or_b32 s17, s17, s18
	s_or_b32 exec_lo, exec_lo, s15
	s_mov_b32 s15, s10
	s_and_saveexec_b32 s0, s17
	s_cbranch_execz .LBB254_1079
.LBB254_2400:
	s_or_b32 s15, s10, exec_lo
	s_and_not1_b32 s12, s12, exec_lo
	s_trap 2
	s_or_b32 exec_lo, exec_lo, s0
	s_and_saveexec_b32 s0, s12
	s_delay_alu instid0(SALU_CYCLE_1)
	s_xor_b32 s12, exec_lo, s0
	s_cbranch_execnz .LBB254_1080
	s_branch .LBB254_1087
.LBB254_2401:
	s_and_not1_saveexec_b32 s10, s10
	s_cbranch_execz .LBB254_2185
.LBB254_2402:
	v_add_f32_e64 v11, 0x42800000, |v5|
	s_and_not1_b32 s9, s9, exec_lo
	s_delay_alu instid0(VALU_DEP_1) | instskip(NEXT) | instid1(VALU_DEP_1)
	v_and_b32_e32 v13, 0xff, v11
	v_cmp_ne_u32_e32 vcc_lo, 0, v13
	s_and_b32 s11, vcc_lo, exec_lo
	s_delay_alu instid0(SALU_CYCLE_1)
	s_or_b32 s9, s9, s11
	s_or_b32 exec_lo, exec_lo, s10
	v_mov_b32_e32 v11, 0
	s_and_saveexec_b32 s10, s9
	s_cbranch_execnz .LBB254_2186
	s_branch .LBB254_2187
.LBB254_2403:
	s_and_not1_saveexec_b32 s12, s12
	s_cbranch_execz .LBB254_221
.LBB254_2404:
	v_add_f32_e32 v5, 0x42800000, v13
	s_and_not1_b32 s11, s11, exec_lo
	s_delay_alu instid0(VALU_DEP_1) | instskip(NEXT) | instid1(VALU_DEP_1)
	v_and_b32_e32 v5, 0xff, v5
	v_cmp_ne_u32_e32 vcc_lo, 0, v5
	s_and_b32 s13, vcc_lo, exec_lo
	s_delay_alu instid0(SALU_CYCLE_1)
	s_or_b32 s11, s11, s13
	s_or_b32 exec_lo, exec_lo, s12
	v_mov_b32_e32 v11, 0
	s_and_saveexec_b32 s12, s11
	s_cbranch_execnz .LBB254_222
	s_branch .LBB254_223
.LBB254_2405:
	s_and_not1_saveexec_b32 s12, s12
	s_cbranch_execz .LBB254_233
.LBB254_2406:
	v_add_f32_e32 v5, 0x42800000, v13
	s_and_not1_b32 s11, s11, exec_lo
	s_delay_alu instid0(VALU_DEP_1) | instskip(NEXT) | instid1(VALU_DEP_1)
	v_and_b32_e32 v5, 0xff, v5
	v_cmp_ne_u32_e32 vcc_lo, 0, v5
	s_and_b32 s13, vcc_lo, exec_lo
	s_delay_alu instid0(SALU_CYCLE_1)
	s_or_b32 s11, s11, s13
	s_or_b32 exec_lo, exec_lo, s12
	v_mov_b32_e32 v11, 0
	s_and_saveexec_b32 s12, s11
	s_cbranch_execnz .LBB254_234
	s_branch .LBB254_235
.LBB254_2407:
	s_and_not1_saveexec_b32 s12, s12
	s_cbranch_execz .LBB254_241
.LBB254_2408:
	v_add_f32_e32 v5, 0x42800000, v13
	s_and_not1_b32 s11, s11, exec_lo
	s_delay_alu instid0(VALU_DEP_1) | instskip(NEXT) | instid1(VALU_DEP_1)
	v_and_b32_e32 v5, 0xff, v5
	v_cmp_ne_u32_e32 vcc_lo, 0, v5
	s_and_b32 s13, vcc_lo, exec_lo
	s_delay_alu instid0(SALU_CYCLE_1)
	s_or_b32 s11, s11, s13
	s_or_b32 exec_lo, exec_lo, s12
	v_mov_b32_e32 v11, 0
	s_and_saveexec_b32 s12, s11
	s_cbranch_execnz .LBB254_242
	s_branch .LBB254_243
.LBB254_2409:
	s_and_not1_saveexec_b32 s11, s11
	s_cbranch_execz .LBB254_280
.LBB254_2410:
	v_add_f32_e64 v11, 0x42800000, |v5|
	s_and_not1_b32 s10, s10, exec_lo
	s_delay_alu instid0(VALU_DEP_1) | instskip(NEXT) | instid1(VALU_DEP_1)
	v_and_b32_e32 v13, 0xff, v11
	v_cmp_ne_u32_e32 vcc_lo, 0, v13
	s_and_b32 s12, vcc_lo, exec_lo
	s_delay_alu instid0(SALU_CYCLE_1)
	s_or_b32 s10, s10, s12
	s_or_b32 exec_lo, exec_lo, s11
	v_mov_b32_e32 v11, 0
	s_and_saveexec_b32 s11, s10
	s_cbranch_execnz .LBB254_281
	s_branch .LBB254_282
.LBB254_2411:
	s_and_not1_saveexec_b32 s11, s11
	s_cbranch_execz .LBB254_288
.LBB254_2412:
	v_add_f32_e64 v11, 0x42800000, |v5|
	s_and_not1_b32 s10, s10, exec_lo
	s_delay_alu instid0(VALU_DEP_1) | instskip(NEXT) | instid1(VALU_DEP_1)
	v_and_b32_e32 v13, 0xff, v11
	v_cmp_ne_u32_e32 vcc_lo, 0, v13
	s_and_b32 s12, vcc_lo, exec_lo
	s_delay_alu instid0(SALU_CYCLE_1)
	s_or_b32 s10, s10, s12
	s_or_b32 exec_lo, exec_lo, s11
	v_mov_b32_e32 v11, 0
	s_and_saveexec_b32 s11, s10
	s_cbranch_execnz .LBB254_289
	s_branch .LBB254_290
.LBB254_2413:
	s_and_not1_saveexec_b32 s11, s11
	s_cbranch_execz .LBB254_308
.LBB254_2414:
	v_add_f32_e64 v11, 0x42800000, |v5|
	s_and_not1_b32 s10, s10, exec_lo
	s_delay_alu instid0(VALU_DEP_1) | instskip(NEXT) | instid1(VALU_DEP_1)
	v_and_b32_e32 v13, 0xff, v11
	v_cmp_ne_u32_e32 vcc_lo, 0, v13
	s_and_b32 s12, vcc_lo, exec_lo
	s_delay_alu instid0(SALU_CYCLE_1)
	s_or_b32 s10, s10, s12
	s_or_b32 exec_lo, exec_lo, s11
	v_mov_b32_e32 v11, 0
	s_and_saveexec_b32 s11, s10
	s_cbranch_execnz .LBB254_309
	s_branch .LBB254_310
.LBB254_2415:
	s_and_not1_saveexec_b32 s11, s11
	s_cbranch_execz .LBB254_316
.LBB254_2416:
	v_add_f32_e64 v11, 0x42800000, |v5|
	s_and_not1_b32 s10, s10, exec_lo
	s_delay_alu instid0(VALU_DEP_1) | instskip(NEXT) | instid1(VALU_DEP_1)
	v_and_b32_e32 v13, 0xff, v11
	v_cmp_ne_u32_e32 vcc_lo, 0, v13
	s_and_b32 s12, vcc_lo, exec_lo
	s_delay_alu instid0(SALU_CYCLE_1)
	s_or_b32 s10, s10, s12
	s_or_b32 exec_lo, exec_lo, s11
	v_mov_b32_e32 v11, 0
	s_and_saveexec_b32 s11, s10
	s_cbranch_execnz .LBB254_317
	s_branch .LBB254_318
.LBB254_2417:
	s_and_not1_saveexec_b32 s11, s11
	s_cbranch_execz .LBB254_338
.LBB254_2418:
	v_add_f32_e64 v11, 0x42800000, |v5|
	s_and_not1_b32 s10, s10, exec_lo
	s_delay_alu instid0(VALU_DEP_1) | instskip(NEXT) | instid1(VALU_DEP_1)
	v_and_b32_e32 v13, 0xff, v11
	v_cmp_ne_u32_e32 vcc_lo, 0, v13
	s_and_b32 s12, vcc_lo, exec_lo
	s_delay_alu instid0(SALU_CYCLE_1)
	s_or_b32 s10, s10, s12
	s_or_b32 exec_lo, exec_lo, s11
	v_mov_b32_e32 v11, 0
	s_and_saveexec_b32 s11, s10
	s_cbranch_execnz .LBB254_339
	s_branch .LBB254_340
.LBB254_2419:
	s_and_not1_saveexec_b32 s11, s11
	s_cbranch_execz .LBB254_346
.LBB254_2420:
	v_add_f32_e64 v11, 0x42800000, |v5|
	s_and_not1_b32 s10, s10, exec_lo
	s_delay_alu instid0(VALU_DEP_1) | instskip(NEXT) | instid1(VALU_DEP_1)
	v_and_b32_e32 v13, 0xff, v11
	v_cmp_ne_u32_e32 vcc_lo, 0, v13
	s_and_b32 s12, vcc_lo, exec_lo
	s_delay_alu instid0(SALU_CYCLE_1)
	s_or_b32 s10, s10, s12
	s_or_b32 exec_lo, exec_lo, s11
	v_mov_b32_e32 v11, 0
	s_and_saveexec_b32 s11, s10
	s_cbranch_execnz .LBB254_347
	s_branch .LBB254_348
.LBB254_2421:
	s_and_not1_saveexec_b32 s13, s13
	s_cbranch_execz .LBB254_446
.LBB254_2422:
	v_add_f32_e64 v13, 0x42800000, |v15|
	s_and_not1_b32 s12, s12, exec_lo
	s_delay_alu instid0(VALU_DEP_1) | instskip(NEXT) | instid1(VALU_DEP_1)
	v_and_b32_e32 v19, 0xff, v13
	v_cmp_ne_u32_e32 vcc_lo, 0, v19
	s_and_b32 s14, vcc_lo, exec_lo
	s_delay_alu instid0(SALU_CYCLE_1)
	s_or_b32 s12, s12, s14
	s_or_b32 exec_lo, exec_lo, s13
	v_mov_b32_e32 v13, 0
	s_and_saveexec_b32 s13, s12
	s_cbranch_execnz .LBB254_447
	s_branch .LBB254_448
.LBB254_2423:
	s_and_not1_saveexec_b32 s12, s12
	s_cbranch_execz .LBB254_487
.LBB254_2424:
	v_add_f32_e64 v13, 0x42800000, |v15|
	s_and_not1_b32 s11, s11, exec_lo
	s_delay_alu instid0(VALU_DEP_1) | instskip(NEXT) | instid1(VALU_DEP_1)
	v_and_b32_e32 v19, 0xff, v13
	v_cmp_ne_u32_e32 vcc_lo, 0, v19
	s_and_b32 s13, vcc_lo, exec_lo
	s_delay_alu instid0(SALU_CYCLE_1)
	s_or_b32 s11, s11, s13
	s_or_b32 exec_lo, exec_lo, s12
	v_mov_b32_e32 v13, 0
	s_and_saveexec_b32 s12, s11
	s_cbranch_execnz .LBB254_488
	s_branch .LBB254_489
.LBB254_2425:
	s_and_not1_saveexec_b32 s12, s12
	s_cbranch_execz .LBB254_515
.LBB254_2426:
	v_add_f32_e64 v13, 0x42800000, |v15|
	s_and_not1_b32 s11, s11, exec_lo
	s_delay_alu instid0(VALU_DEP_1) | instskip(NEXT) | instid1(VALU_DEP_1)
	v_and_b32_e32 v19, 0xff, v13
	v_cmp_ne_u32_e32 vcc_lo, 0, v19
	s_and_b32 s13, vcc_lo, exec_lo
	s_delay_alu instid0(SALU_CYCLE_1)
	s_or_b32 s11, s11, s13
	s_or_b32 exec_lo, exec_lo, s12
	v_mov_b32_e32 v13, 0
	s_and_saveexec_b32 s12, s11
	s_cbranch_execnz .LBB254_516
	s_branch .LBB254_517
.LBB254_2427:
	s_and_not1_saveexec_b32 s12, s12
	s_cbranch_execz .LBB254_545
.LBB254_2428:
	v_add_f32_e64 v13, 0x42800000, |v15|
	s_and_not1_b32 s11, s11, exec_lo
	s_delay_alu instid0(VALU_DEP_1) | instskip(NEXT) | instid1(VALU_DEP_1)
	v_and_b32_e32 v19, 0xff, v13
	v_cmp_ne_u32_e32 vcc_lo, 0, v19
	s_and_b32 s13, vcc_lo, exec_lo
	s_delay_alu instid0(SALU_CYCLE_1)
	s_or_b32 s11, s11, s13
	s_or_b32 exec_lo, exec_lo, s12
	v_mov_b32_e32 v13, 0
	s_and_saveexec_b32 s12, s11
	s_cbranch_execnz .LBB254_546
	s_branch .LBB254_547
.LBB254_2429:
	s_and_not1_saveexec_b32 s12, s12
	s_cbranch_execz .LBB254_555
.LBB254_2430:
	v_add_f32_e64 v13, 0x42800000, |v15|
	s_and_not1_b32 s11, s11, exec_lo
	s_delay_alu instid0(VALU_DEP_1) | instskip(NEXT) | instid1(VALU_DEP_1)
	v_and_b32_e32 v19, 0xff, v13
	v_cmp_ne_u32_e32 vcc_lo, 0, v19
	s_and_b32 s13, vcc_lo, exec_lo
	s_delay_alu instid0(SALU_CYCLE_1)
	s_or_b32 s11, s11, s13
	s_or_b32 exec_lo, exec_lo, s12
	v_mov_b32_e32 v13, 0
	s_and_saveexec_b32 s12, s11
	s_cbranch_execnz .LBB254_556
	s_branch .LBB254_557
.LBB254_2431:
	s_and_not1_saveexec_b32 s12, s12
	s_cbranch_execz .LBB254_563
.LBB254_2432:
	v_add_f32_e32 v13, 0x42800000, v19
	s_and_not1_b32 s11, s11, exec_lo
	s_delay_alu instid0(VALU_DEP_1) | instskip(NEXT) | instid1(VALU_DEP_1)
	v_and_b32_e32 v15, 0xff, v13
	v_cmp_ne_u32_e32 vcc_lo, 0, v15
	s_and_b32 s13, vcc_lo, exec_lo
	s_delay_alu instid0(SALU_CYCLE_1)
	s_or_b32 s11, s11, s13
	s_or_b32 exec_lo, exec_lo, s12
	v_mov_b32_e32 v13, 0
	s_and_saveexec_b32 s12, s11
	s_cbranch_execnz .LBB254_564
	s_branch .LBB254_565
.LBB254_2433:
	s_or_saveexec_b32 s16, s16
	v_mov_b32_e32 v11, 0x7f800001
	s_xor_b32 exec_lo, exec_lo, s16
	s_cbranch_execz .LBB254_659
.LBB254_2434:
	v_cmp_ne_u16_e64 s0, 0, v9
	v_mov_b32_e32 v11, 0
	s_and_not1_b32 s15, s15, exec_lo
	s_and_b32 s0, s0, exec_lo
	s_delay_alu instid0(SALU_CYCLE_1)
	s_or_b32 s15, s15, s0
	s_or_b32 exec_lo, exec_lo, s16
	s_and_saveexec_b32 s16, s15
	s_cbranch_execnz .LBB254_660
	s_branch .LBB254_661
.LBB254_2435:
	s_and_not1_saveexec_b32 s16, s0
	s_cbranch_execz .LBB254_865
.LBB254_2436:
	v_add_f32_e32 v11, 0x42800000, v15
	s_and_not1_b32 s15, s15, exec_lo
	s_delay_alu instid0(VALU_DEP_1) | instskip(NEXT) | instid1(VALU_DEP_1)
	v_and_b32_e32 v13, 0xff, v11
	v_cmp_ne_u32_e64 s0, 0, v13
	s_and_b32 s0, s0, exec_lo
	s_delay_alu instid0(SALU_CYCLE_1)
	s_or_b32 s15, s15, s0
	s_or_b32 exec_lo, exec_lo, s16
	v_mov_b32_e32 v11, 0
	s_and_saveexec_b32 s0, s15
	s_cbranch_execnz .LBB254_866
	s_branch .LBB254_867
.LBB254_2437:
	s_and_not1_saveexec_b32 s17, s17
	s_cbranch_execz .LBB254_1268
.LBB254_2438:
	s_mov_b32 s20, s18
	s_mov_b32 s15, exec_lo
                                        ; implicit-def: $vgpr11
	v_cmpx_lt_i16_e32 22, v5
	s_xor_b32 s15, exec_lo, s15
	s_cbranch_execz .LBB254_2460
; %bb.2439:
	s_mov_b32 s20, exec_lo
                                        ; implicit-def: $vgpr11
	v_cmpx_lt_i16_e32 23, v5
	s_xor_b32 s20, exec_lo, s20
	s_cbranch_execz .LBB254_2451
; %bb.2440:
	v_cmp_lt_i16_e64 s0, 24, v5
                                        ; implicit-def: $vgpr11
	s_and_saveexec_b32 s21, s0
	s_delay_alu instid0(SALU_CYCLE_1)
	s_xor_b32 s0, exec_lo, s21
	s_cbranch_execz .LBB254_2442
; %bb.2441:
	s_wait_loadcnt_dscnt 0x0
	flat_load_u8 v11, v[18:19]
.LBB254_2442:
	s_wait_xcnt 0x0
	s_and_not1_saveexec_b32 s21, s0
	s_cbranch_execz .LBB254_2450
; %bb.2443:
	s_wait_loadcnt_dscnt 0x0
	flat_load_u8 v11, v[18:19]
	s_mov_b32 s23, 0
	s_mov_b32 s22, exec_lo
	s_wait_loadcnt_dscnt 0x0
	v_lshlrev_b32_e32 v11, 24, v11
	s_delay_alu instid0(VALU_DEP_1) | instskip(NEXT) | instid1(VALU_DEP_1)
	v_and_b32_e32 v13, 0x7f000000, v11
	v_clz_i32_u32_e32 v15, v13
	v_add_nc_u32_e32 v21, 0x1000000, v13
	v_cmp_ne_u32_e64 s0, 0, v13
	s_delay_alu instid0(VALU_DEP_3) | instskip(NEXT) | instid1(VALU_DEP_1)
	v_min_u32_e32 v15, 32, v15
	v_sub_nc_u32_e64 v15, v15, 4 clamp
	s_delay_alu instid0(VALU_DEP_1) | instskip(NEXT) | instid1(VALU_DEP_1)
	v_dual_lshlrev_b32 v20, v15, v13 :: v_dual_lshlrev_b32 v15, 23, v15
	v_lshrrev_b32_e32 v20, 4, v20
	s_delay_alu instid0(VALU_DEP_1) | instskip(NEXT) | instid1(VALU_DEP_1)
	v_dual_sub_nc_u32 v15, v20, v15 :: v_dual_ashrrev_i32 v20, 8, v21
	v_add_nc_u32_e32 v15, 0x3c000000, v15
	s_delay_alu instid0(VALU_DEP_1) | instskip(NEXT) | instid1(VALU_DEP_1)
	v_and_or_b32 v15, 0x7f800000, v20, v15
	v_cndmask_b32_e64 v20, 0, v15, s0
	s_delay_alu instid0(VALU_DEP_1) | instskip(SKIP_1) | instid1(VALU_DEP_2)
	v_and_or_b32 v13, 0x80000000, v11, v20
	v_mov_b32_e32 v11, 0x80
	v_and_b32_e32 v15, 0x7fffffff, v13
	s_wait_xcnt 0x0
	s_delay_alu instid0(VALU_DEP_1)
	v_cmpx_gt_u32_e32 0x47800000, v15
	s_cbranch_execz .LBB254_2449
; %bb.2444:
	v_cmp_lt_u32_e64 s0, 0x37ffffff, v15
                                        ; implicit-def: $vgpr15
	s_and_saveexec_b32 s24, s0
	s_delay_alu instid0(SALU_CYCLE_1)
	s_xor_b32 s0, exec_lo, s24
	s_cbranch_execz .LBB254_2917
; %bb.2445:
	v_bfe_u32 v11, v20, 21, 1
	s_mov_b32 s23, exec_lo
	s_delay_alu instid0(VALU_DEP_1) | instskip(NEXT) | instid1(VALU_DEP_1)
	v_add3_u32 v11, v13, v11, 0x88fffff
	v_lshrrev_b32_e32 v15, 21, v11
	s_and_not1_saveexec_b32 s24, s0
	s_cbranch_execnz .LBB254_2918
.LBB254_2446:
	s_or_b32 exec_lo, exec_lo, s24
	v_mov_b32_e32 v11, 0
	s_and_saveexec_b32 s0, s23
.LBB254_2447:
	v_lshrrev_b32_e32 v11, 24, v13
	s_delay_alu instid0(VALU_DEP_1)
	v_and_or_b32 v11, 0x80, v11, v15
.LBB254_2448:
	s_or_b32 exec_lo, exec_lo, s0
.LBB254_2449:
	s_delay_alu instid0(SALU_CYCLE_1)
	s_or_b32 exec_lo, exec_lo, s22
.LBB254_2450:
	s_delay_alu instid0(SALU_CYCLE_1)
	s_or_b32 exec_lo, exec_lo, s21
.LBB254_2451:
	s_and_not1_saveexec_b32 s20, s20
	s_cbranch_execz .LBB254_2459
; %bb.2452:
	s_wait_loadcnt_dscnt 0x0
	flat_load_u8 v11, v[18:19]
	s_mov_b32 s21, exec_lo
	s_wait_loadcnt_dscnt 0x0
	v_lshlrev_b32_e32 v13, 25, v11
	v_lshlrev_b16 v11, 8, v11
	s_delay_alu instid0(VALU_DEP_1) | instskip(SKIP_1) | instid1(VALU_DEP_2)
	v_and_or_b32 v20, 0x7f00, v11, 0.5
	v_bfe_i32 v11, v11, 0, 16
	v_dual_add_f32 v20, -0.5, v20 :: v_dual_lshrrev_b32 v15, 4, v13
	v_cmp_gt_u32_e64 s0, 0x8000000, v13
	s_delay_alu instid0(VALU_DEP_2) | instskip(NEXT) | instid1(VALU_DEP_1)
	v_or_b32_e32 v15, 0x70000000, v15
	v_mul_f32_e32 v15, 0x7800000, v15
	s_delay_alu instid0(VALU_DEP_1) | instskip(NEXT) | instid1(VALU_DEP_1)
	v_cndmask_b32_e64 v20, v15, v20, s0
	v_and_or_b32 v13, 0x80000000, v11, v20
	v_mov_b32_e32 v11, 0x80
	s_delay_alu instid0(VALU_DEP_2) | instskip(SKIP_1) | instid1(VALU_DEP_1)
	v_and_b32_e32 v15, 0x7fffffff, v13
	s_wait_xcnt 0x0
	v_cmpx_gt_u32_e32 0x47800000, v15
	s_cbranch_execz .LBB254_2458
; %bb.2453:
	v_cmp_lt_u32_e64 s0, 0x37ffffff, v15
	s_mov_b32 s22, 0
                                        ; implicit-def: $vgpr15
	s_and_saveexec_b32 s23, s0
	s_delay_alu instid0(SALU_CYCLE_1)
	s_xor_b32 s0, exec_lo, s23
	s_cbranch_execz .LBB254_2836
; %bb.2454:
	v_bfe_u32 v11, v20, 21, 1
	s_mov_b32 s22, exec_lo
	s_delay_alu instid0(VALU_DEP_1) | instskip(NEXT) | instid1(VALU_DEP_1)
	v_add3_u32 v11, v13, v11, 0x88fffff
	v_lshrrev_b32_e32 v15, 21, v11
	s_and_not1_saveexec_b32 s23, s0
	s_cbranch_execnz .LBB254_2837
.LBB254_2455:
	s_or_b32 exec_lo, exec_lo, s23
	v_mov_b32_e32 v11, 0
	s_and_saveexec_b32 s0, s22
.LBB254_2456:
	v_lshrrev_b32_e32 v11, 24, v13
	s_delay_alu instid0(VALU_DEP_1)
	v_and_or_b32 v11, 0x80, v11, v15
.LBB254_2457:
	s_or_b32 exec_lo, exec_lo, s0
.LBB254_2458:
	s_delay_alu instid0(SALU_CYCLE_1)
	s_or_b32 exec_lo, exec_lo, s21
.LBB254_2459:
	s_delay_alu instid0(SALU_CYCLE_1) | instskip(NEXT) | instid1(SALU_CYCLE_1)
	s_or_b32 exec_lo, exec_lo, s20
	s_or_b32 s20, s18, exec_lo
.LBB254_2460:
	s_or_saveexec_b32 s15, s15
	s_mov_b32 s0, 0
	s_mov_b32 s21, s19
	s_xor_b32 exec_lo, exec_lo, s15
	s_cbranch_execz .LBB254_2474
; %bb.2461:
	s_mov_b32 s22, s19
	s_mov_b32 s23, s20
	s_mov_b32 s21, exec_lo
                                        ; implicit-def: $vgpr11
	v_cmpx_lt_i16_e32 14, v5
	s_xor_b32 s21, exec_lo, s21
	s_cbranch_execz .LBB254_2471
; %bb.2462:
	s_mov_b32 s23, -1
	s_mov_b32 s24, s20
	s_mov_b32 s22, exec_lo
                                        ; implicit-def: $vgpr11
	v_cmpx_eq_u16_e32 15, v5
	s_cbranch_execz .LBB254_2470
; %bb.2463:
	s_wait_loadcnt_dscnt 0x0
	flat_load_u16 v13, v[18:19]
	s_mov_b32 s23, exec_lo
	s_wait_loadcnt_dscnt 0x0
	v_dual_mov_b32 v11, 0x80 :: v_dual_lshlrev_b32 v20, 16, v13
	s_delay_alu instid0(VALU_DEP_1) | instskip(SKIP_1) | instid1(VALU_DEP_1)
	v_and_b32_e32 v15, 0x7fffffff, v20
	s_wait_xcnt 0x0
	v_cmpx_gt_u32_e32 0x47800000, v15
	s_cbranch_execz .LBB254_2469
; %bb.2464:
	v_cmp_lt_u32_e64 s0, 0x37ffffff, v15
	s_mov_b32 s24, 0
                                        ; implicit-def: $vgpr15
	s_and_saveexec_b32 s25, s0
	s_delay_alu instid0(SALU_CYCLE_1)
	s_xor_b32 s0, exec_lo, s25
	s_cbranch_execz .LBB254_2919
; %bb.2465:
	v_bfe_u32 v11, v13, 5, 1
	s_mov_b32 s24, exec_lo
	s_delay_alu instid0(VALU_DEP_1) | instskip(NEXT) | instid1(VALU_DEP_1)
	v_add3_u32 v11, v20, v11, 0x88fffff
                                        ; implicit-def: $vgpr20
	v_lshrrev_b32_e32 v15, 21, v11
	s_and_not1_saveexec_b32 s25, s0
	s_cbranch_execnz .LBB254_2920
.LBB254_2466:
	s_or_b32 exec_lo, exec_lo, s25
	v_mov_b32_e32 v11, 0
	s_and_saveexec_b32 s0, s24
.LBB254_2467:
	v_lshrrev_b32_e32 v11, 8, v13
	s_delay_alu instid0(VALU_DEP_1)
	v_and_or_b32 v11, 0x80, v11, v15
.LBB254_2468:
	s_or_b32 exec_lo, exec_lo, s0
.LBB254_2469:
	s_delay_alu instid0(SALU_CYCLE_1) | instskip(NEXT) | instid1(SALU_CYCLE_1)
	s_or_b32 exec_lo, exec_lo, s23
	s_or_b32 s24, s20, exec_lo
	s_xor_b32 s23, exec_lo, -1
.LBB254_2470:
	s_or_b32 exec_lo, exec_lo, s22
	s_delay_alu instid0(SALU_CYCLE_1)
	s_and_not1_b32 s0, s20, exec_lo
	s_and_b32 s22, s24, exec_lo
	s_and_not1_b32 s24, s19, exec_lo
	s_and_b32 s25, s23, exec_lo
	s_or_b32 s23, s0, s22
	s_or_b32 s22, s24, s25
.LBB254_2471:
	s_or_saveexec_b32 s24, s21
	s_mov_b32 s21, 0
	s_xor_b32 exec_lo, exec_lo, s24
; %bb.2472:
	v_cmp_ne_u16_e64 s0, 11, v5
	s_and_not1_b32 s22, s22, exec_lo
	s_mov_b32 s21, exec_lo
	s_and_b32 s0, s0, exec_lo
	s_delay_alu instid0(SALU_CYCLE_1)
	s_or_b32 s22, s22, s0
; %bb.2473:
	s_or_b32 exec_lo, exec_lo, s24
	s_delay_alu instid0(SALU_CYCLE_1)
	s_and_not1_b32 s0, s20, exec_lo
	s_and_b32 s20, s23, exec_lo
	s_and_not1_b32 s23, s19, exec_lo
	s_and_b32 s22, s22, exec_lo
	s_or_b32 s20, s0, s20
	s_and_b32 s0, s21, exec_lo
	s_or_b32 s21, s23, s22
.LBB254_2474:
	s_or_b32 exec_lo, exec_lo, s15
	s_delay_alu instid0(SALU_CYCLE_1)
	s_and_not1_b32 s15, s18, exec_lo
	s_and_b32 s18, s20, exec_lo
	s_and_not1_b32 s19, s19, exec_lo
	s_and_b32 s20, s21, exec_lo
	s_or_b32 s18, s15, s18
	s_and_b32 s15, s0, exec_lo
	s_or_b32 s19, s19, s20
	s_or_b32 exec_lo, exec_lo, s17
	s_mov_b32 s17, s12
	s_and_saveexec_b32 s0, s19
	s_cbranch_execz .LBB254_1269
.LBB254_2475:
	s_or_b32 s17, s12, exec_lo
	s_and_not1_b32 s15, s15, exec_lo
	s_trap 2
	s_or_b32 exec_lo, exec_lo, s0
	s_and_saveexec_b32 s0, s15
	s_delay_alu instid0(SALU_CYCLE_1)
	s_xor_b32 s15, exec_lo, s0
	s_cbranch_execnz .LBB254_1270
	s_branch .LBB254_1277
.LBB254_2476:
	s_and_not1_saveexec_b32 s11, s11
	s_cbranch_execz .LBB254_2176
.LBB254_2477:
	v_add_f32_e64 v11, 0x42800000, |v5|
	s_and_not1_b32 s10, s10, exec_lo
	s_delay_alu instid0(VALU_DEP_1) | instskip(NEXT) | instid1(VALU_DEP_1)
	v_and_b32_e32 v13, 0xff, v11
	v_cmp_ne_u32_e32 vcc_lo, 0, v13
	s_and_b32 s12, vcc_lo, exec_lo
	s_delay_alu instid0(SALU_CYCLE_1)
	s_or_b32 s10, s10, s12
	s_or_b32 exec_lo, exec_lo, s11
	v_mov_b32_e32 v11, 0
	s_and_saveexec_b32 s11, s10
	s_cbranch_execnz .LBB254_2177
	s_branch .LBB254_2178
.LBB254_2478:
	s_and_not1_saveexec_b32 s12, s12
	s_cbranch_execz .LBB254_2196
.LBB254_2479:
	v_add_f32_e64 v11, 0x42800000, |v15|
	s_and_not1_b32 s11, s11, exec_lo
	s_delay_alu instid0(VALU_DEP_1) | instskip(NEXT) | instid1(VALU_DEP_1)
	v_and_b32_e32 v13, 0xff, v11
	v_cmp_ne_u32_e32 vcc_lo, 0, v13
	s_and_b32 s13, vcc_lo, exec_lo
	s_delay_alu instid0(SALU_CYCLE_1)
	s_or_b32 s11, s11, s13
	s_or_b32 exec_lo, exec_lo, s12
	v_mov_b32_e32 v11, 0
	s_and_saveexec_b32 s12, s11
	s_cbranch_execnz .LBB254_2197
	s_branch .LBB254_2198
.LBB254_2480:
	s_and_not1_saveexec_b32 s12, s12
	s_cbranch_execz .LBB254_2224
.LBB254_2481:
	v_add_f32_e64 v13, 0x42800000, |v15|
	s_and_not1_b32 s11, s11, exec_lo
	s_delay_alu instid0(VALU_DEP_1) | instskip(NEXT) | instid1(VALU_DEP_1)
	v_and_b32_e32 v19, 0xff, v13
	v_cmp_ne_u32_e32 vcc_lo, 0, v19
	s_and_b32 s13, vcc_lo, exec_lo
	s_delay_alu instid0(SALU_CYCLE_1)
	s_or_b32 s11, s11, s13
	s_or_b32 exec_lo, exec_lo, s12
	v_mov_b32_e32 v13, 0
	s_and_saveexec_b32 s12, s11
	s_cbranch_execnz .LBB254_2225
	s_branch .LBB254_2226
.LBB254_2482:
	s_and_not1_saveexec_b32 s11, s11
	s_cbranch_execz .LBB254_200
.LBB254_2483:
	v_add_f32_e64 v11, 0x42800000, |v5|
	s_and_not1_b32 s10, s10, exec_lo
	s_delay_alu instid0(VALU_DEP_1) | instskip(NEXT) | instid1(VALU_DEP_1)
	v_and_b32_e32 v13, 0xff, v11
	v_cmp_ne_u32_e32 vcc_lo, 0, v13
	s_and_b32 s12, vcc_lo, exec_lo
	s_delay_alu instid0(SALU_CYCLE_1)
	s_or_b32 s10, s10, s12
	s_or_b32 exec_lo, exec_lo, s11
	v_mov_b32_e32 v11, 0
	s_and_saveexec_b32 s11, s10
	s_cbranch_execnz .LBB254_201
	s_branch .LBB254_202
.LBB254_2484:
	s_and_not1_saveexec_b32 s13, s13
	s_cbranch_execz .LBB254_210
.LBB254_2485:
	v_add_f32_e32 v5, 0x42800000, v13
	s_and_not1_b32 s12, s12, exec_lo
	s_delay_alu instid0(VALU_DEP_1) | instskip(NEXT) | instid1(VALU_DEP_1)
	v_and_b32_e32 v5, 0xff, v5
	v_cmp_ne_u32_e32 vcc_lo, 0, v5
	s_and_b32 s14, vcc_lo, exec_lo
	s_delay_alu instid0(SALU_CYCLE_1)
	s_or_b32 s12, s12, s14
	s_or_b32 exec_lo, exec_lo, s13
	v_mov_b32_e32 v11, 0
	s_and_saveexec_b32 s13, s12
	s_cbranch_execnz .LBB254_211
	s_branch .LBB254_212
.LBB254_2486:
	s_and_not1_saveexec_b32 s14, s14
	s_cbranch_execz .LBB254_411
.LBB254_2487:
	v_add_f32_e32 v13, 0x42800000, v19
	s_and_not1_b32 s13, s13, exec_lo
	s_delay_alu instid0(VALU_DEP_1) | instskip(NEXT) | instid1(VALU_DEP_1)
	v_and_b32_e32 v15, 0xff, v13
	v_cmp_ne_u32_e32 vcc_lo, 0, v15
	s_and_b32 s15, vcc_lo, exec_lo
	s_delay_alu instid0(SALU_CYCLE_1)
	s_or_b32 s13, s13, s15
	s_or_b32 exec_lo, exec_lo, s14
	v_mov_b32_e32 v13, 0
	s_and_saveexec_b32 s14, s13
	s_cbranch_execnz .LBB254_412
	s_branch .LBB254_413
.LBB254_2488:
	s_and_not1_saveexec_b32 s14, s14
	s_cbranch_execz .LBB254_423
.LBB254_2489:
	v_add_f32_e32 v13, 0x42800000, v19
	s_and_not1_b32 s13, s13, exec_lo
	s_delay_alu instid0(VALU_DEP_1) | instskip(NEXT) | instid1(VALU_DEP_1)
	v_and_b32_e32 v15, 0xff, v13
	v_cmp_ne_u32_e32 vcc_lo, 0, v15
	s_and_b32 s15, vcc_lo, exec_lo
	s_delay_alu instid0(SALU_CYCLE_1)
	s_or_b32 s13, s13, s15
	s_or_b32 exec_lo, exec_lo, s14
	v_mov_b32_e32 v13, 0
	s_and_saveexec_b32 s14, s13
	s_cbranch_execnz .LBB254_424
	s_branch .LBB254_425
.LBB254_2490:
	s_and_not1_saveexec_b32 s14, s14
	s_cbranch_execz .LBB254_431
.LBB254_2491:
	v_add_f32_e32 v13, 0x42800000, v19
	s_and_not1_b32 s13, s13, exec_lo
	s_delay_alu instid0(VALU_DEP_1) | instskip(NEXT) | instid1(VALU_DEP_1)
	v_and_b32_e32 v15, 0xff, v13
	v_cmp_ne_u32_e32 vcc_lo, 0, v15
	s_and_b32 s15, vcc_lo, exec_lo
	s_delay_alu instid0(SALU_CYCLE_1)
	s_or_b32 s13, s13, s15
	s_or_b32 exec_lo, exec_lo, s14
	v_mov_b32_e32 v13, 0
	s_and_saveexec_b32 s14, s13
	s_cbranch_execnz .LBB254_432
	s_branch .LBB254_433
.LBB254_2492:
	s_and_not1_saveexec_b32 s13, s13
	s_cbranch_execz .LBB254_470
.LBB254_2493:
	v_add_f32_e64 v13, 0x42800000, |v15|
	s_and_not1_b32 s12, s12, exec_lo
	s_delay_alu instid0(VALU_DEP_1) | instskip(NEXT) | instid1(VALU_DEP_1)
	v_and_b32_e32 v19, 0xff, v13
	v_cmp_ne_u32_e32 vcc_lo, 0, v19
	s_and_b32 s14, vcc_lo, exec_lo
	s_delay_alu instid0(SALU_CYCLE_1)
	s_or_b32 s12, s12, s14
	s_or_b32 exec_lo, exec_lo, s13
	v_mov_b32_e32 v13, 0
	s_and_saveexec_b32 s13, s12
	s_cbranch_execnz .LBB254_471
	s_branch .LBB254_472
.LBB254_2494:
	s_and_not1_saveexec_b32 s13, s13
	s_cbranch_execz .LBB254_478
.LBB254_2495:
	v_add_f32_e64 v13, 0x42800000, |v15|
	s_and_not1_b32 s12, s12, exec_lo
	s_delay_alu instid0(VALU_DEP_1) | instskip(NEXT) | instid1(VALU_DEP_1)
	v_and_b32_e32 v19, 0xff, v13
	v_cmp_ne_u32_e32 vcc_lo, 0, v19
	s_and_b32 s14, vcc_lo, exec_lo
	s_delay_alu instid0(SALU_CYCLE_1)
	s_or_b32 s12, s12, s14
	s_or_b32 exec_lo, exec_lo, s13
	v_mov_b32_e32 v13, 0
	s_and_saveexec_b32 s13, s12
	s_cbranch_execnz .LBB254_479
	s_branch .LBB254_480
.LBB254_2496:
	s_and_not1_saveexec_b32 s13, s13
	s_cbranch_execz .LBB254_498
.LBB254_2497:
	v_add_f32_e64 v13, 0x42800000, |v15|
	s_and_not1_b32 s12, s12, exec_lo
	s_delay_alu instid0(VALU_DEP_1) | instskip(NEXT) | instid1(VALU_DEP_1)
	v_and_b32_e32 v19, 0xff, v13
	v_cmp_ne_u32_e32 vcc_lo, 0, v19
	s_and_b32 s14, vcc_lo, exec_lo
	s_delay_alu instid0(SALU_CYCLE_1)
	s_or_b32 s12, s12, s14
	s_or_b32 exec_lo, exec_lo, s13
	v_mov_b32_e32 v13, 0
	s_and_saveexec_b32 s13, s12
	s_cbranch_execnz .LBB254_499
	s_branch .LBB254_500
.LBB254_2498:
	s_and_not1_saveexec_b32 s13, s13
	s_cbranch_execz .LBB254_506
.LBB254_2499:
	v_add_f32_e64 v13, 0x42800000, |v15|
	s_and_not1_b32 s12, s12, exec_lo
	s_delay_alu instid0(VALU_DEP_1) | instskip(NEXT) | instid1(VALU_DEP_1)
	v_and_b32_e32 v19, 0xff, v13
	v_cmp_ne_u32_e32 vcc_lo, 0, v19
	s_and_b32 s14, vcc_lo, exec_lo
	s_delay_alu instid0(SALU_CYCLE_1)
	s_or_b32 s12, s12, s14
	s_or_b32 exec_lo, exec_lo, s13
	v_mov_b32_e32 v13, 0
	s_and_saveexec_b32 s13, s12
	s_cbranch_execnz .LBB254_507
	s_branch .LBB254_508
.LBB254_2500:
	s_and_not1_saveexec_b32 s13, s13
	s_cbranch_execz .LBB254_528
.LBB254_2501:
	v_add_f32_e64 v13, 0x42800000, |v15|
	s_and_not1_b32 s12, s12, exec_lo
	s_delay_alu instid0(VALU_DEP_1) | instskip(NEXT) | instid1(VALU_DEP_1)
	v_and_b32_e32 v19, 0xff, v13
	v_cmp_ne_u32_e32 vcc_lo, 0, v19
	s_and_b32 s14, vcc_lo, exec_lo
	s_delay_alu instid0(SALU_CYCLE_1)
	s_or_b32 s12, s12, s14
	s_or_b32 exec_lo, exec_lo, s13
	v_mov_b32_e32 v13, 0
	s_and_saveexec_b32 s13, s12
	s_cbranch_execnz .LBB254_529
	s_branch .LBB254_530
.LBB254_2502:
	s_and_not1_saveexec_b32 s13, s13
	s_cbranch_execz .LBB254_536
.LBB254_2503:
	v_add_f32_e64 v13, 0x42800000, |v15|
	s_and_not1_b32 s12, s12, exec_lo
	s_delay_alu instid0(VALU_DEP_1) | instskip(NEXT) | instid1(VALU_DEP_1)
	v_and_b32_e32 v19, 0xff, v13
	v_cmp_ne_u32_e32 vcc_lo, 0, v19
	s_and_b32 s14, vcc_lo, exec_lo
	s_delay_alu instid0(SALU_CYCLE_1)
	s_or_b32 s12, s12, s14
	s_or_b32 exec_lo, exec_lo, s13
	v_mov_b32_e32 v13, 0
	s_and_saveexec_b32 s13, s12
	s_cbranch_execnz .LBB254_537
	s_branch .LBB254_538
.LBB254_2504:
	s_and_not1_saveexec_b32 s17, s0
	s_cbranch_execz .LBB254_664
.LBB254_2505:
	v_add_f32_e64 v9, 0x42800000, |v11|
	s_and_not1_b32 s16, s16, exec_lo
	s_delay_alu instid0(VALU_DEP_1) | instskip(NEXT) | instid1(VALU_DEP_1)
	v_and_b32_e32 v13, 0xff, v9
	v_cmp_ne_u32_e64 s0, 0, v13
	s_and_b32 s0, s0, exec_lo
	s_delay_alu instid0(SALU_CYCLE_1)
	s_or_b32 s16, s16, s0
	s_or_b32 exec_lo, exec_lo, s17
	v_mov_b32_e32 v9, 0
	s_and_saveexec_b32 s0, s16
	s_cbranch_execnz .LBB254_665
	s_branch .LBB254_666
.LBB254_2506:
	s_and_not1_saveexec_b32 s16, s0
	s_cbranch_execz .LBB254_705
.LBB254_2507:
	v_add_f32_e64 v9, 0x42800000, |v11|
	s_and_not1_b32 s15, s15, exec_lo
	s_delay_alu instid0(VALU_DEP_1) | instskip(NEXT) | instid1(VALU_DEP_1)
	v_and_b32_e32 v13, 0xff, v9
	v_cmp_ne_u32_e64 s0, 0, v13
	s_and_b32 s0, s0, exec_lo
	s_delay_alu instid0(SALU_CYCLE_1)
	s_or_b32 s15, s15, s0
	s_or_b32 exec_lo, exec_lo, s16
	v_mov_b32_e32 v9, 0
	s_and_saveexec_b32 s0, s15
	s_cbranch_execnz .LBB254_706
	s_branch .LBB254_707
.LBB254_2508:
	s_and_not1_saveexec_b32 s16, s0
	s_cbranch_execz .LBB254_733
.LBB254_2509:
	v_add_f32_e64 v9, 0x42800000, |v11|
	s_and_not1_b32 s15, s15, exec_lo
	s_delay_alu instid0(VALU_DEP_1) | instskip(NEXT) | instid1(VALU_DEP_1)
	v_and_b32_e32 v13, 0xff, v9
	v_cmp_ne_u32_e64 s0, 0, v13
	s_and_b32 s0, s0, exec_lo
	s_delay_alu instid0(SALU_CYCLE_1)
	s_or_b32 s15, s15, s0
	s_or_b32 exec_lo, exec_lo, s16
	v_mov_b32_e32 v9, 0
	s_and_saveexec_b32 s0, s15
	s_cbranch_execnz .LBB254_734
	s_branch .LBB254_735
.LBB254_2510:
	s_and_not1_saveexec_b32 s16, s0
	s_cbranch_execz .LBB254_763
.LBB254_2511:
	v_add_f32_e64 v9, 0x42800000, |v11|
	s_and_not1_b32 s15, s15, exec_lo
	s_delay_alu instid0(VALU_DEP_1) | instskip(NEXT) | instid1(VALU_DEP_1)
	v_and_b32_e32 v13, 0xff, v9
	v_cmp_ne_u32_e64 s0, 0, v13
	s_and_b32 s0, s0, exec_lo
	s_delay_alu instid0(SALU_CYCLE_1)
	s_or_b32 s15, s15, s0
	s_or_b32 exec_lo, exec_lo, s16
	v_mov_b32_e32 v9, 0
	s_and_saveexec_b32 s0, s15
	s_cbranch_execnz .LBB254_764
	s_branch .LBB254_765
.LBB254_2512:
	s_and_not1_saveexec_b32 s16, s0
	s_cbranch_execz .LBB254_773
.LBB254_2513:
	v_add_f32_e64 v9, 0x42800000, |v11|
	s_and_not1_b32 s15, s15, exec_lo
	s_delay_alu instid0(VALU_DEP_1) | instskip(NEXT) | instid1(VALU_DEP_1)
	v_and_b32_e32 v13, 0xff, v9
	v_cmp_ne_u32_e64 s0, 0, v13
	s_and_b32 s0, s0, exec_lo
	s_delay_alu instid0(SALU_CYCLE_1)
	s_or_b32 s15, s15, s0
	s_or_b32 exec_lo, exec_lo, s16
	v_mov_b32_e32 v9, 0
	s_and_saveexec_b32 s0, s15
	s_cbranch_execnz .LBB254_774
	s_branch .LBB254_775
.LBB254_2514:
	s_and_not1_saveexec_b32 s16, s0
	s_cbranch_execz .LBB254_781
.LBB254_2515:
	v_add_f32_e32 v9, 0x42800000, v13
	s_and_not1_b32 s15, s15, exec_lo
	s_delay_alu instid0(VALU_DEP_1) | instskip(NEXT) | instid1(VALU_DEP_1)
	v_and_b32_e32 v11, 0xff, v9
	v_cmp_ne_u32_e64 s0, 0, v11
	s_and_b32 s0, s0, exec_lo
	s_delay_alu instid0(SALU_CYCLE_1)
	s_or_b32 s15, s15, s0
	s_or_b32 exec_lo, exec_lo, s16
	v_mov_b32_e32 v9, 0
	s_and_saveexec_b32 s0, s15
	s_cbranch_execnz .LBB254_782
	s_branch .LBB254_783
.LBB254_2516:
	s_or_saveexec_b32 s18, s18
	v_mov_b32_e32 v13, 0x7f800001
	s_xor_b32 exec_lo, exec_lo, s18
	s_cbranch_execz .LBB254_849
.LBB254_2517:
	v_cmp_ne_u16_e64 s0, 0, v11
	v_mov_b32_e32 v13, 0
	s_and_not1_b32 s17, s17, exec_lo
	s_and_b32 s0, s0, exec_lo
	s_delay_alu instid0(SALU_CYCLE_1)
	s_or_b32 s17, s17, s0
	s_or_b32 exec_lo, exec_lo, s18
	s_and_saveexec_b32 s18, s17
	s_cbranch_execnz .LBB254_850
	s_branch .LBB254_851
.LBB254_2518:
	s_and_not1_saveexec_b32 s19, s0
	s_cbranch_execz .LBB254_1083
.LBB254_2519:
	v_add_f32_e32 v9, 0x42800000, v13
	s_and_not1_b32 s18, s18, exec_lo
	s_delay_alu instid0(VALU_DEP_1) | instskip(NEXT) | instid1(VALU_DEP_1)
	v_and_b32_e32 v11, 0xff, v9
	v_cmp_ne_u32_e64 s0, 0, v11
	s_and_b32 s0, s0, exec_lo
	s_delay_alu instid0(SALU_CYCLE_1)
	s_or_b32 s18, s18, s0
	s_or_b32 exec_lo, exec_lo, s19
	v_mov_b32_e32 v9, 0
	s_and_saveexec_b32 s0, s18
	s_cbranch_execnz .LBB254_1084
	s_branch .LBB254_1085
.LBB254_2520:
	s_or_saveexec_b32 s19, s19
	v_mov_b32_e32 v13, 0x7f800001
	s_xor_b32 exec_lo, exec_lo, s19
	s_cbranch_execz .LBB254_1392
.LBB254_2521:
	v_cmp_ne_u16_e64 s0, 0, v15
	v_mov_b32_e32 v13, 0
	s_and_not1_b32 s17, s17, exec_lo
	s_and_b32 s0, s0, exec_lo
	s_delay_alu instid0(SALU_CYCLE_1)
	s_or_b32 s17, s17, s0
	s_or_b32 exec_lo, exec_lo, s19
	s_and_saveexec_b32 s19, s17
	s_cbranch_execnz .LBB254_1393
	s_branch .LBB254_1394
.LBB254_2522:
	s_or_saveexec_b32 s19, s19
	v_mov_b32_e32 v9, 0x7f800001
	s_xor_b32 exec_lo, exec_lo, s19
	s_cbranch_execz .LBB254_1398
.LBB254_2523:
	v_cmp_ne_u16_e64 s0, 0, v15
	v_mov_b32_e32 v9, 0
	s_and_not1_b32 s17, s17, exec_lo
	s_and_b32 s0, s0, exec_lo
	s_delay_alu instid0(SALU_CYCLE_1)
	s_or_b32 s17, s17, s0
	s_or_b32 exec_lo, exec_lo, s19
	s_and_saveexec_b32 s19, s17
	s_cbranch_execnz .LBB254_1399
	s_branch .LBB254_1400
.LBB254_2524:
	s_or_saveexec_b32 s20, s20
	v_mov_b32_e32 v13, 0x7f800001
	s_xor_b32 exec_lo, exec_lo, s20
	s_cbranch_execz .LBB254_1406
.LBB254_2525:
	v_cmp_ne_u16_e64 s0, 0, v15
	v_mov_b32_e32 v13, 0
	s_and_not1_b32 s19, s19, exec_lo
	s_and_b32 s0, s0, exec_lo
	s_delay_alu instid0(SALU_CYCLE_1)
	s_or_b32 s19, s19, s0
	s_or_b32 exec_lo, exec_lo, s20
	s_and_saveexec_b32 s20, s19
	s_cbranch_execnz .LBB254_1407
	s_branch .LBB254_1408
.LBB254_2526:
	s_or_saveexec_b32 s20, s20
	v_mov_b32_e32 v9, 0x7f800001
	s_xor_b32 exec_lo, exec_lo, s20
	s_cbranch_execz .LBB254_1412
.LBB254_2527:
	v_cmp_ne_u16_e64 s0, 0, v15
	v_mov_b32_e32 v9, 0
	s_and_not1_b32 s19, s19, exec_lo
	s_and_b32 s0, s0, exec_lo
	s_delay_alu instid0(SALU_CYCLE_1)
	s_or_b32 s19, s19, s0
	s_or_b32 exec_lo, exec_lo, s20
	s_and_saveexec_b32 s20, s19
	s_cbranch_execnz .LBB254_1413
	s_branch .LBB254_1414
.LBB254_2528:
	s_and_not1_saveexec_b32 s20, s20
	s_cbranch_execz .LBB254_1486
.LBB254_2529:
	s_mov_b32 s23, s21
	s_mov_b32 s18, exec_lo
                                        ; implicit-def: $vgpr9
	v_cmpx_lt_i16_e32 22, v7
	s_xor_b32 s18, exec_lo, s18
	s_cbranch_execz .LBB254_2551
; %bb.2530:
	s_mov_b32 s23, exec_lo
                                        ; implicit-def: $vgpr9
	v_cmpx_lt_i16_e32 23, v7
	s_xor_b32 s23, exec_lo, s23
	s_cbranch_execz .LBB254_2542
; %bb.2531:
	v_cmp_lt_i16_e64 s0, 24, v7
                                        ; implicit-def: $vgpr9
	s_and_saveexec_b32 s24, s0
	s_delay_alu instid0(SALU_CYCLE_1)
	s_xor_b32 s0, exec_lo, s24
	s_cbranch_execz .LBB254_2533
; %bb.2532:
	s_wait_loadcnt_dscnt 0x0
	flat_load_u8 v9, v[2:3]
.LBB254_2533:
	s_wait_xcnt 0x0
	s_and_not1_saveexec_b32 s24, s0
	s_cbranch_execz .LBB254_2541
; %bb.2534:
	flat_load_u8 v7, v[2:3]
	s_mov_b32 s26, 0
	s_mov_b32 s25, exec_lo
	s_wait_loadcnt_dscnt 0x0
	v_lshlrev_b32_e32 v7, 24, v7
	s_delay_alu instid0(VALU_DEP_1) | instskip(NEXT) | instid1(VALU_DEP_1)
	v_and_b32_e32 v9, 0x7f000000, v7
	v_clz_i32_u32_e32 v11, v9
	v_add_nc_u32_e32 v14, 0x1000000, v9
	v_cmp_ne_u32_e64 s0, 0, v9
	s_delay_alu instid0(VALU_DEP_3) | instskip(NEXT) | instid1(VALU_DEP_1)
	v_min_u32_e32 v11, 32, v11
	v_sub_nc_u32_e64 v11, v11, 4 clamp
	s_delay_alu instid0(VALU_DEP_1) | instskip(SKIP_1) | instid1(VALU_DEP_2)
	v_dual_lshlrev_b32 v13, v11, v9 :: v_dual_lshlrev_b32 v11, 23, v11
	v_mov_b32_e32 v9, 0x80
	v_lshrrev_b32_e32 v13, 4, v13
	s_delay_alu instid0(VALU_DEP_1) | instskip(NEXT) | instid1(VALU_DEP_1)
	v_dual_sub_nc_u32 v11, v13, v11 :: v_dual_ashrrev_i32 v13, 8, v14
	v_add_nc_u32_e32 v11, 0x3c000000, v11
	s_delay_alu instid0(VALU_DEP_1) | instskip(NEXT) | instid1(VALU_DEP_1)
	v_and_or_b32 v11, 0x7f800000, v13, v11
	v_cndmask_b32_e64 v13, 0, v11, s0
	s_delay_alu instid0(VALU_DEP_1) | instskip(NEXT) | instid1(VALU_DEP_1)
	v_and_or_b32 v7, 0x80000000, v7, v13
	v_and_b32_e32 v11, 0x7fffffff, v7
	s_wait_xcnt 0x0
	s_delay_alu instid0(VALU_DEP_1)
	v_cmpx_gt_u32_e32 0x47800000, v11
	s_cbranch_execz .LBB254_2540
; %bb.2535:
	v_cmp_lt_u32_e64 s0, 0x37ffffff, v11
                                        ; implicit-def: $vgpr11
	s_and_saveexec_b32 s27, s0
	s_delay_alu instid0(SALU_CYCLE_1)
	s_xor_b32 s0, exec_lo, s27
	s_cbranch_execz .LBB254_3000
; %bb.2536:
	v_bfe_u32 v9, v13, 21, 1
	s_mov_b32 s26, exec_lo
	s_delay_alu instid0(VALU_DEP_1) | instskip(NEXT) | instid1(VALU_DEP_1)
	v_add3_u32 v9, v7, v9, 0x88fffff
	v_lshrrev_b32_e32 v11, 21, v9
	s_and_not1_saveexec_b32 s27, s0
	s_cbranch_execnz .LBB254_3001
.LBB254_2537:
	s_or_b32 exec_lo, exec_lo, s27
	v_mov_b32_e32 v9, 0
	s_and_saveexec_b32 s0, s26
.LBB254_2538:
	v_lshrrev_b32_e32 v7, 24, v7
	s_delay_alu instid0(VALU_DEP_1)
	v_and_or_b32 v9, 0x80, v7, v11
.LBB254_2539:
	s_or_b32 exec_lo, exec_lo, s0
.LBB254_2540:
	s_delay_alu instid0(SALU_CYCLE_1)
	s_or_b32 exec_lo, exec_lo, s25
.LBB254_2541:
	s_delay_alu instid0(SALU_CYCLE_1)
	s_or_b32 exec_lo, exec_lo, s24
.LBB254_2542:
	s_and_not1_saveexec_b32 s23, s23
	s_cbranch_execz .LBB254_2550
; %bb.2543:
	flat_load_u8 v7, v[2:3]
	s_mov_b32 s24, exec_lo
	s_wait_loadcnt_dscnt 0x0
	v_lshlrev_b32_e32 v9, 25, v7
	v_lshlrev_b16 v7, 8, v7
	s_delay_alu instid0(VALU_DEP_1) | instskip(SKIP_1) | instid1(VALU_DEP_2)
	v_and_or_b32 v13, 0x7f00, v7, 0.5
	v_bfe_i32 v7, v7, 0, 16
	v_add_f32_e32 v13, -0.5, v13
	v_lshrrev_b32_e32 v11, 4, v9
	v_cmp_gt_u32_e64 s0, 0x8000000, v9
	v_mov_b32_e32 v9, 0x80
	s_delay_alu instid0(VALU_DEP_3) | instskip(NEXT) | instid1(VALU_DEP_1)
	v_or_b32_e32 v11, 0x70000000, v11
	v_mul_f32_e32 v11, 0x7800000, v11
	s_delay_alu instid0(VALU_DEP_1) | instskip(NEXT) | instid1(VALU_DEP_1)
	v_cndmask_b32_e64 v13, v11, v13, s0
	v_and_or_b32 v7, 0x80000000, v7, v13
	s_delay_alu instid0(VALU_DEP_1) | instskip(SKIP_1) | instid1(VALU_DEP_1)
	v_and_b32_e32 v11, 0x7fffffff, v7
	s_wait_xcnt 0x0
	v_cmpx_gt_u32_e32 0x47800000, v11
	s_cbranch_execz .LBB254_2549
; %bb.2544:
	v_cmp_lt_u32_e64 s0, 0x37ffffff, v11
	s_mov_b32 s25, 0
                                        ; implicit-def: $vgpr11
	s_and_saveexec_b32 s26, s0
	s_delay_alu instid0(SALU_CYCLE_1)
	s_xor_b32 s0, exec_lo, s26
	s_cbranch_execz .LBB254_2921
; %bb.2545:
	v_bfe_u32 v9, v13, 21, 1
	s_mov_b32 s25, exec_lo
	s_delay_alu instid0(VALU_DEP_1) | instskip(NEXT) | instid1(VALU_DEP_1)
	v_add3_u32 v9, v7, v9, 0x88fffff
	v_lshrrev_b32_e32 v11, 21, v9
	s_and_not1_saveexec_b32 s26, s0
	s_cbranch_execnz .LBB254_2922
.LBB254_2546:
	s_or_b32 exec_lo, exec_lo, s26
	v_mov_b32_e32 v9, 0
	s_and_saveexec_b32 s0, s25
.LBB254_2547:
	v_lshrrev_b32_e32 v7, 24, v7
	s_delay_alu instid0(VALU_DEP_1)
	v_and_or_b32 v9, 0x80, v7, v11
.LBB254_2548:
	s_or_b32 exec_lo, exec_lo, s0
.LBB254_2549:
	s_delay_alu instid0(SALU_CYCLE_1)
	s_or_b32 exec_lo, exec_lo, s24
.LBB254_2550:
	s_delay_alu instid0(SALU_CYCLE_1) | instskip(NEXT) | instid1(SALU_CYCLE_1)
	s_or_b32 exec_lo, exec_lo, s23
	s_or_b32 s23, s21, exec_lo
                                        ; implicit-def: $vgpr7
.LBB254_2551:
	s_or_saveexec_b32 s18, s18
	s_mov_b32 s0, 0
	s_mov_b32 s24, s22
	s_xor_b32 exec_lo, exec_lo, s18
	s_cbranch_execz .LBB254_2565
; %bb.2552:
	s_mov_b32 s25, s22
	s_mov_b32 s26, s23
	s_mov_b32 s24, exec_lo
                                        ; implicit-def: $vgpr9
	v_cmpx_lt_i16_e32 14, v7
	s_xor_b32 s24, exec_lo, s24
	s_cbranch_execz .LBB254_2562
; %bb.2553:
	s_mov_b32 s26, -1
	s_mov_b32 s27, s23
	s_mov_b32 s25, exec_lo
                                        ; implicit-def: $vgpr9
	v_cmpx_eq_u16_e32 15, v7
	s_cbranch_execz .LBB254_2561
; %bb.2554:
	flat_load_u16 v7, v[2:3]
	s_wait_loadcnt_dscnt 0x101
	v_mov_b32_e32 v9, 0x80
	s_mov_b32 s26, exec_lo
	s_wait_loadcnt_dscnt 0x0
	v_lshlrev_b32_e32 v13, 16, v7
	s_delay_alu instid0(VALU_DEP_1) | instskip(SKIP_1) | instid1(VALU_DEP_1)
	v_and_b32_e32 v11, 0x7fffffff, v13
	s_wait_xcnt 0x0
	v_cmpx_gt_u32_e32 0x47800000, v11
	s_cbranch_execz .LBB254_2560
; %bb.2555:
	v_cmp_lt_u32_e64 s0, 0x37ffffff, v11
	s_mov_b32 s27, 0
                                        ; implicit-def: $vgpr11
	s_and_saveexec_b32 s28, s0
	s_delay_alu instid0(SALU_CYCLE_1)
	s_xor_b32 s0, exec_lo, s28
	s_cbranch_execz .LBB254_3002
; %bb.2556:
	v_bfe_u32 v9, v7, 5, 1
	s_mov_b32 s27, exec_lo
	s_delay_alu instid0(VALU_DEP_1) | instskip(NEXT) | instid1(VALU_DEP_1)
	v_add3_u32 v9, v13, v9, 0x88fffff
                                        ; implicit-def: $vgpr13
	v_lshrrev_b32_e32 v11, 21, v9
	s_and_not1_saveexec_b32 s28, s0
	s_cbranch_execnz .LBB254_3003
.LBB254_2557:
	s_or_b32 exec_lo, exec_lo, s28
	v_mov_b32_e32 v9, 0
	s_and_saveexec_b32 s0, s27
.LBB254_2558:
	v_lshrrev_b32_e32 v7, 8, v7
	s_delay_alu instid0(VALU_DEP_1)
	v_and_or_b32 v9, 0x80, v7, v11
.LBB254_2559:
	s_or_b32 exec_lo, exec_lo, s0
.LBB254_2560:
	s_delay_alu instid0(SALU_CYCLE_1) | instskip(NEXT) | instid1(SALU_CYCLE_1)
	s_or_b32 exec_lo, exec_lo, s26
	s_or_b32 s27, s23, exec_lo
	s_xor_b32 s26, exec_lo, -1
.LBB254_2561:
	s_or_b32 exec_lo, exec_lo, s25
	s_delay_alu instid0(SALU_CYCLE_1)
	s_and_not1_b32 s0, s23, exec_lo
	s_and_b32 s25, s27, exec_lo
	s_and_not1_b32 s27, s22, exec_lo
	s_and_b32 s28, s26, exec_lo
	s_or_b32 s26, s0, s25
	s_or_b32 s25, s27, s28
                                        ; implicit-def: $vgpr7
.LBB254_2562:
	s_or_saveexec_b32 s24, s24
	s_mov_b32 s27, 0
	s_xor_b32 exec_lo, exec_lo, s24
; %bb.2563:
	v_cmp_ne_u16_e64 s0, 11, v7
	s_and_not1_b32 s25, s25, exec_lo
	s_mov_b32 s27, exec_lo
	s_and_b32 s0, s0, exec_lo
	s_delay_alu instid0(SALU_CYCLE_1)
	s_or_b32 s25, s25, s0
; %bb.2564:
	s_or_b32 exec_lo, exec_lo, s24
	s_delay_alu instid0(SALU_CYCLE_1)
	s_and_not1_b32 s0, s23, exec_lo
	s_and_b32 s23, s26, exec_lo
	s_and_not1_b32 s24, s22, exec_lo
	s_and_b32 s25, s25, exec_lo
	s_or_b32 s23, s0, s23
	s_and_b32 s0, s27, exec_lo
	s_or_b32 s24, s24, s25
.LBB254_2565:
	s_or_b32 exec_lo, exec_lo, s18
	s_delay_alu instid0(SALU_CYCLE_1)
	s_and_not1_b32 s18, s21, exec_lo
	s_and_b32 s21, s23, exec_lo
	s_and_not1_b32 s22, s22, exec_lo
	s_and_b32 s23, s24, exec_lo
	s_or_b32 s21, s18, s21
	s_and_b32 s18, s0, exec_lo
	s_or_b32 s22, s22, s23
	s_or_b32 exec_lo, exec_lo, s20
	s_mov_b32 s20, s15
	s_and_saveexec_b32 s0, s22
	s_cbranch_execz .LBB254_1487
.LBB254_2566:
	s_or_b32 s20, s15, exec_lo
	s_and_not1_b32 s18, s18, exec_lo
	s_trap 2
	s_or_b32 exec_lo, exec_lo, s0
	s_and_saveexec_b32 s0, s18
	s_delay_alu instid0(SALU_CYCLE_1)
	s_xor_b32 s18, exec_lo, s0
	s_cbranch_execnz .LBB254_1488
	s_branch .LBB254_1495
.LBB254_2567:
	s_and_not1_saveexec_b32 s13, s13
	s_cbranch_execz .LBB254_2215
.LBB254_2568:
	v_add_f32_e64 v13, 0x42800000, |v15|
	s_and_not1_b32 s12, s12, exec_lo
	s_delay_alu instid0(VALU_DEP_1) | instskip(NEXT) | instid1(VALU_DEP_1)
	v_and_b32_e32 v19, 0xff, v13
	v_cmp_ne_u32_e32 vcc_lo, 0, v19
	s_and_b32 s14, vcc_lo, exec_lo
	s_delay_alu instid0(SALU_CYCLE_1)
	s_or_b32 s12, s12, s14
	s_or_b32 exec_lo, exec_lo, s13
	v_mov_b32_e32 v13, 0
	s_and_saveexec_b32 s13, s12
	s_cbranch_execnz .LBB254_2216
	s_branch .LBB254_2217
.LBB254_2569:
	s_and_not1_saveexec_b32 s14, s14
	s_cbranch_execz .LBB254_2235
.LBB254_2570:
	v_add_f32_e64 v13, 0x42800000, |v21|
	s_and_not1_b32 s13, s13, exec_lo
	s_delay_alu instid0(VALU_DEP_1) | instskip(NEXT) | instid1(VALU_DEP_1)
	v_and_b32_e32 v19, 0xff, v13
	v_cmp_ne_u32_e32 vcc_lo, 0, v19
	s_and_b32 s15, vcc_lo, exec_lo
	s_delay_alu instid0(SALU_CYCLE_1)
	s_or_b32 s13, s13, s15
	s_or_b32 exec_lo, exec_lo, s14
	v_mov_b32_e32 v13, 0
	s_and_saveexec_b32 s14, s13
	s_cbranch_execnz .LBB254_2236
	s_branch .LBB254_2237
.LBB254_2571:
	s_and_not1_saveexec_b32 s16, s0
	s_cbranch_execz .LBB254_2273
.LBB254_2572:
	v_add_f32_e64 v9, 0x42800000, |v11|
	s_and_not1_b32 s15, s15, exec_lo
	s_delay_alu instid0(VALU_DEP_1) | instskip(NEXT) | instid1(VALU_DEP_1)
	v_and_b32_e32 v13, 0xff, v9
	v_cmp_ne_u32_e64 s0, 0, v13
	s_and_b32 s0, s0, exec_lo
	s_delay_alu instid0(SALU_CYCLE_1)
	s_or_b32 s15, s15, s0
	s_or_b32 exec_lo, exec_lo, s16
	v_mov_b32_e32 v9, 0
	s_and_saveexec_b32 s0, s15
	s_cbranch_execnz .LBB254_2274
	s_branch .LBB254_2275
.LBB254_2573:
	s_and_not1_saveexec_b32 s13, s13
	s_cbranch_execz .LBB254_390
.LBB254_2574:
	v_add_f32_e64 v13, 0x42800000, |v15|
	s_and_not1_b32 s12, s12, exec_lo
	s_delay_alu instid0(VALU_DEP_1) | instskip(NEXT) | instid1(VALU_DEP_1)
	v_and_b32_e32 v19, 0xff, v13
	v_cmp_ne_u32_e32 vcc_lo, 0, v19
	s_and_b32 s14, vcc_lo, exec_lo
	s_delay_alu instid0(SALU_CYCLE_1)
	s_or_b32 s12, s12, s14
	s_or_b32 exec_lo, exec_lo, s13
	v_mov_b32_e32 v13, 0
	s_and_saveexec_b32 s13, s12
	s_cbranch_execnz .LBB254_391
	s_branch .LBB254_392
.LBB254_2575:
	s_and_not1_saveexec_b32 s15, s15
	s_cbranch_execz .LBB254_400
.LBB254_2576:
	v_add_f32_e32 v13, 0x42800000, v19
	s_and_not1_b32 s14, s14, exec_lo
	s_delay_alu instid0(VALU_DEP_1) | instskip(NEXT) | instid1(VALU_DEP_1)
	v_and_b32_e32 v15, 0xff, v13
	v_cmp_ne_u32_e32 vcc_lo, 0, v15
	s_and_b32 s16, vcc_lo, exec_lo
	s_delay_alu instid0(SALU_CYCLE_1)
	s_or_b32 s14, s14, s16
	s_or_b32 exec_lo, exec_lo, s15
	v_mov_b32_e32 v13, 0
	s_and_saveexec_b32 s15, s14
	s_cbranch_execnz .LBB254_401
	s_branch .LBB254_402
.LBB254_2577:
	s_and_not1_saveexec_b32 s18, s0
	s_cbranch_execz .LBB254_629
.LBB254_2578:
	v_add_f32_e32 v9, 0x42800000, v13
	s_and_not1_b32 s17, s17, exec_lo
	s_delay_alu instid0(VALU_DEP_1) | instskip(NEXT) | instid1(VALU_DEP_1)
	v_and_b32_e32 v11, 0xff, v9
	v_cmp_ne_u32_e64 s0, 0, v11
	s_and_b32 s0, s0, exec_lo
	s_delay_alu instid0(SALU_CYCLE_1)
	s_or_b32 s17, s17, s0
	s_or_b32 exec_lo, exec_lo, s18
	v_mov_b32_e32 v9, 0
	s_and_saveexec_b32 s0, s17
	s_cbranch_execnz .LBB254_630
	s_branch .LBB254_631
.LBB254_2579:
	s_and_not1_saveexec_b32 s18, s0
	s_cbranch_execz .LBB254_641
.LBB254_2580:
	v_add_f32_e32 v9, 0x42800000, v13
	s_and_not1_b32 s17, s17, exec_lo
	s_delay_alu instid0(VALU_DEP_1) | instskip(NEXT) | instid1(VALU_DEP_1)
	v_and_b32_e32 v11, 0xff, v9
	v_cmp_ne_u32_e64 s0, 0, v11
	s_and_b32 s0, s0, exec_lo
	s_delay_alu instid0(SALU_CYCLE_1)
	s_or_b32 s17, s17, s0
	s_or_b32 exec_lo, exec_lo, s18
	v_mov_b32_e32 v9, 0
	s_and_saveexec_b32 s0, s17
	s_cbranch_execnz .LBB254_642
	s_branch .LBB254_643
.LBB254_2581:
	s_and_not1_saveexec_b32 s18, s0
	s_cbranch_execz .LBB254_649
.LBB254_2582:
	v_add_f32_e32 v9, 0x42800000, v13
	s_and_not1_b32 s17, s17, exec_lo
	s_delay_alu instid0(VALU_DEP_1) | instskip(NEXT) | instid1(VALU_DEP_1)
	v_and_b32_e32 v11, 0xff, v9
	v_cmp_ne_u32_e64 s0, 0, v11
	s_and_b32 s0, s0, exec_lo
	s_delay_alu instid0(SALU_CYCLE_1)
	s_or_b32 s17, s17, s0
	s_or_b32 exec_lo, exec_lo, s18
	v_mov_b32_e32 v9, 0
	s_and_saveexec_b32 s0, s17
	s_cbranch_execnz .LBB254_650
	s_branch .LBB254_651
.LBB254_2583:
	s_and_not1_saveexec_b32 s17, s0
	s_cbranch_execz .LBB254_688
.LBB254_2584:
	v_add_f32_e64 v9, 0x42800000, |v11|
	s_and_not1_b32 s16, s16, exec_lo
	s_delay_alu instid0(VALU_DEP_1) | instskip(NEXT) | instid1(VALU_DEP_1)
	v_and_b32_e32 v13, 0xff, v9
	v_cmp_ne_u32_e64 s0, 0, v13
	s_and_b32 s0, s0, exec_lo
	s_delay_alu instid0(SALU_CYCLE_1)
	s_or_b32 s16, s16, s0
	s_or_b32 exec_lo, exec_lo, s17
	v_mov_b32_e32 v9, 0
	s_and_saveexec_b32 s0, s16
	s_cbranch_execnz .LBB254_689
	s_branch .LBB254_690
.LBB254_2585:
	s_and_not1_saveexec_b32 s17, s0
	s_cbranch_execz .LBB254_696
.LBB254_2586:
	v_add_f32_e64 v9, 0x42800000, |v11|
	s_and_not1_b32 s16, s16, exec_lo
	s_delay_alu instid0(VALU_DEP_1) | instskip(NEXT) | instid1(VALU_DEP_1)
	v_and_b32_e32 v13, 0xff, v9
	v_cmp_ne_u32_e64 s0, 0, v13
	s_and_b32 s0, s0, exec_lo
	s_delay_alu instid0(SALU_CYCLE_1)
	s_or_b32 s16, s16, s0
	s_or_b32 exec_lo, exec_lo, s17
	v_mov_b32_e32 v9, 0
	s_and_saveexec_b32 s0, s16
	s_cbranch_execnz .LBB254_697
	s_branch .LBB254_698
.LBB254_2587:
	s_and_not1_saveexec_b32 s17, s0
	s_cbranch_execz .LBB254_716
.LBB254_2588:
	v_add_f32_e64 v9, 0x42800000, |v11|
	s_and_not1_b32 s16, s16, exec_lo
	s_delay_alu instid0(VALU_DEP_1) | instskip(NEXT) | instid1(VALU_DEP_1)
	v_and_b32_e32 v13, 0xff, v9
	v_cmp_ne_u32_e64 s0, 0, v13
	s_and_b32 s0, s0, exec_lo
	s_delay_alu instid0(SALU_CYCLE_1)
	s_or_b32 s16, s16, s0
	s_or_b32 exec_lo, exec_lo, s17
	v_mov_b32_e32 v9, 0
	s_and_saveexec_b32 s0, s16
	s_cbranch_execnz .LBB254_717
	s_branch .LBB254_718
.LBB254_2589:
	s_and_not1_saveexec_b32 s17, s0
	s_cbranch_execz .LBB254_724
.LBB254_2590:
	v_add_f32_e64 v9, 0x42800000, |v11|
	s_and_not1_b32 s16, s16, exec_lo
	s_delay_alu instid0(VALU_DEP_1) | instskip(NEXT) | instid1(VALU_DEP_1)
	v_and_b32_e32 v13, 0xff, v9
	v_cmp_ne_u32_e64 s0, 0, v13
	s_and_b32 s0, s0, exec_lo
	s_delay_alu instid0(SALU_CYCLE_1)
	s_or_b32 s16, s16, s0
	s_or_b32 exec_lo, exec_lo, s17
	v_mov_b32_e32 v9, 0
	s_and_saveexec_b32 s0, s16
	s_cbranch_execnz .LBB254_725
	s_branch .LBB254_726
.LBB254_2591:
	s_and_not1_saveexec_b32 s17, s0
	s_cbranch_execz .LBB254_746
.LBB254_2592:
	v_add_f32_e64 v9, 0x42800000, |v11|
	s_and_not1_b32 s16, s16, exec_lo
	s_delay_alu instid0(VALU_DEP_1) | instskip(NEXT) | instid1(VALU_DEP_1)
	v_and_b32_e32 v13, 0xff, v9
	v_cmp_ne_u32_e64 s0, 0, v13
	s_and_b32 s0, s0, exec_lo
	s_delay_alu instid0(SALU_CYCLE_1)
	s_or_b32 s16, s16, s0
	s_or_b32 exec_lo, exec_lo, s17
	v_mov_b32_e32 v9, 0
	s_and_saveexec_b32 s0, s16
	s_cbranch_execnz .LBB254_747
	s_branch .LBB254_748
.LBB254_2593:
	s_and_not1_saveexec_b32 s17, s0
	s_cbranch_execz .LBB254_754
.LBB254_2594:
	v_add_f32_e64 v9, 0x42800000, |v11|
	s_and_not1_b32 s16, s16, exec_lo
	s_delay_alu instid0(VALU_DEP_1) | instskip(NEXT) | instid1(VALU_DEP_1)
	v_and_b32_e32 v13, 0xff, v9
	v_cmp_ne_u32_e64 s0, 0, v13
	s_and_b32 s0, s0, exec_lo
	s_delay_alu instid0(SALU_CYCLE_1)
	s_or_b32 s16, s16, s0
	s_or_b32 exec_lo, exec_lo, s17
	v_mov_b32_e32 v9, 0
	s_and_saveexec_b32 s0, s16
	s_cbranch_execnz .LBB254_755
	s_branch .LBB254_756
.LBB254_2595:
	s_and_not1_saveexec_b32 s19, s0
	s_cbranch_execz .LBB254_854
.LBB254_2596:
	v_add_f32_e64 v11, 0x42800000, |v13|
	s_and_not1_b32 s18, s18, exec_lo
	s_delay_alu instid0(VALU_DEP_1) | instskip(NEXT) | instid1(VALU_DEP_1)
	v_and_b32_e32 v15, 0xff, v11
	v_cmp_ne_u32_e64 s0, 0, v15
	s_and_b32 s0, s0, exec_lo
	s_delay_alu instid0(SALU_CYCLE_1)
	s_or_b32 s18, s18, s0
	s_or_b32 exec_lo, exec_lo, s19
	v_mov_b32_e32 v11, 0
	s_and_saveexec_b32 s0, s18
	s_cbranch_execnz .LBB254_855
	s_branch .LBB254_856
.LBB254_2597:
	s_and_not1_saveexec_b32 s18, s0
	s_cbranch_execz .LBB254_895
.LBB254_2598:
	v_add_f32_e64 v11, 0x42800000, |v13|
	s_and_not1_b32 s17, s17, exec_lo
	s_delay_alu instid0(VALU_DEP_1) | instskip(NEXT) | instid1(VALU_DEP_1)
	v_and_b32_e32 v15, 0xff, v11
	v_cmp_ne_u32_e64 s0, 0, v15
	s_and_b32 s0, s0, exec_lo
	s_delay_alu instid0(SALU_CYCLE_1)
	s_or_b32 s17, s17, s0
	s_or_b32 exec_lo, exec_lo, s18
	v_mov_b32_e32 v11, 0
	s_and_saveexec_b32 s0, s17
	s_cbranch_execnz .LBB254_896
	s_branch .LBB254_897
.LBB254_2599:
	s_and_not1_saveexec_b32 s18, s0
	s_cbranch_execz .LBB254_923
.LBB254_2600:
	v_add_f32_e64 v11, 0x42800000, |v13|
	s_and_not1_b32 s17, s17, exec_lo
	s_delay_alu instid0(VALU_DEP_1) | instskip(NEXT) | instid1(VALU_DEP_1)
	v_and_b32_e32 v15, 0xff, v11
	v_cmp_ne_u32_e64 s0, 0, v15
	s_and_b32 s0, s0, exec_lo
	s_delay_alu instid0(SALU_CYCLE_1)
	s_or_b32 s17, s17, s0
	s_or_b32 exec_lo, exec_lo, s18
	v_mov_b32_e32 v11, 0
	s_and_saveexec_b32 s0, s17
	s_cbranch_execnz .LBB254_924
	s_branch .LBB254_925
.LBB254_2601:
	s_and_not1_saveexec_b32 s18, s0
	s_cbranch_execz .LBB254_953
.LBB254_2602:
	v_add_f32_e64 v11, 0x42800000, |v13|
	s_and_not1_b32 s17, s17, exec_lo
	s_delay_alu instid0(VALU_DEP_1) | instskip(NEXT) | instid1(VALU_DEP_1)
	v_and_b32_e32 v15, 0xff, v11
	v_cmp_ne_u32_e64 s0, 0, v15
	s_and_b32 s0, s0, exec_lo
	s_delay_alu instid0(SALU_CYCLE_1)
	s_or_b32 s17, s17, s0
	s_or_b32 exec_lo, exec_lo, s18
	v_mov_b32_e32 v11, 0
	s_and_saveexec_b32 s0, s17
	s_cbranch_execnz .LBB254_954
	s_branch .LBB254_955
.LBB254_2603:
	s_and_not1_saveexec_b32 s18, s0
	s_cbranch_execz .LBB254_963
.LBB254_2604:
	v_add_f32_e64 v11, 0x42800000, |v13|
	s_and_not1_b32 s17, s17, exec_lo
	s_delay_alu instid0(VALU_DEP_1) | instskip(NEXT) | instid1(VALU_DEP_1)
	v_and_b32_e32 v15, 0xff, v11
	v_cmp_ne_u32_e64 s0, 0, v15
	s_and_b32 s0, s0, exec_lo
	s_delay_alu instid0(SALU_CYCLE_1)
	s_or_b32 s17, s17, s0
	s_or_b32 exec_lo, exec_lo, s18
	v_mov_b32_e32 v11, 0
	s_and_saveexec_b32 s0, s17
	s_cbranch_execnz .LBB254_964
	s_branch .LBB254_965
.LBB254_2605:
	s_and_not1_saveexec_b32 s18, s0
	s_cbranch_execz .LBB254_971
.LBB254_2606:
	v_add_f32_e32 v11, 0x42800000, v15
	s_and_not1_b32 s17, s17, exec_lo
	s_delay_alu instid0(VALU_DEP_1) | instskip(NEXT) | instid1(VALU_DEP_1)
	v_and_b32_e32 v13, 0xff, v11
	v_cmp_ne_u32_e64 s0, 0, v13
	s_and_b32 s0, s0, exec_lo
	s_delay_alu instid0(SALU_CYCLE_1)
	s_or_b32 s17, s17, s0
	s_or_b32 exec_lo, exec_lo, s18
	v_mov_b32_e32 v11, 0
	s_and_saveexec_b32 s0, s17
	s_cbranch_execnz .LBB254_972
	s_branch .LBB254_973
.LBB254_2607:
	s_or_saveexec_b32 s21, s21
	v_mov_b32_e32 v11, 0x7f800001
	s_xor_b32 exec_lo, exec_lo, s21
	s_cbranch_execz .LBB254_1067
.LBB254_2608:
	v_cmp_ne_u16_e64 s0, 0, v9
	v_mov_b32_e32 v11, 0
	s_and_not1_b32 s20, s20, exec_lo
	s_and_b32 s0, s0, exec_lo
	s_delay_alu instid0(SALU_CYCLE_1)
	s_or_b32 s20, s20, s0
	s_or_b32 exec_lo, exec_lo, s21
	s_and_saveexec_b32 s21, s20
	s_cbranch_execnz .LBB254_1068
	s_branch .LBB254_1069
.LBB254_2609:
	s_and_not1_saveexec_b32 s21, s0
	s_cbranch_execz .LBB254_1273
.LBB254_2610:
	v_add_f32_e32 v11, 0x42800000, v15
	s_and_not1_b32 s20, s20, exec_lo
	s_delay_alu instid0(VALU_DEP_1) | instskip(NEXT) | instid1(VALU_DEP_1)
	v_and_b32_e32 v13, 0xff, v11
	v_cmp_ne_u32_e64 s0, 0, v13
	s_and_b32 s0, s0, exec_lo
	s_delay_alu instid0(SALU_CYCLE_1)
	s_or_b32 s20, s20, s0
	s_or_b32 exec_lo, exec_lo, s21
	v_mov_b32_e32 v11, 0
	s_and_saveexec_b32 s0, s20
	s_cbranch_execnz .LBB254_1274
	s_branch .LBB254_1275
.LBB254_2611:
	s_and_not1_saveexec_b32 s22, s22
	s_cbranch_execz .LBB254_1676
.LBB254_2612:
	s_mov_b32 s25, s23
	s_mov_b32 s20, exec_lo
                                        ; implicit-def: $vgpr7
	v_cmpx_lt_i16_e32 22, v5
	s_xor_b32 s20, exec_lo, s20
	s_cbranch_execz .LBB254_2634
; %bb.2613:
	s_mov_b32 s25, exec_lo
                                        ; implicit-def: $vgpr7
	v_cmpx_lt_i16_e32 23, v5
	s_xor_b32 s25, exec_lo, s25
	s_cbranch_execz .LBB254_2625
; %bb.2614:
	v_cmp_lt_i16_e64 s0, 24, v5
                                        ; implicit-def: $vgpr7
	s_and_saveexec_b32 s26, s0
	s_delay_alu instid0(SALU_CYCLE_1)
	s_xor_b32 s0, exec_lo, s26
	s_cbranch_execz .LBB254_2616
; %bb.2615:
	flat_load_u8 v7, v[2:3]
.LBB254_2616:
	s_wait_xcnt 0x0
	s_and_not1_saveexec_b32 s26, s0
	s_cbranch_execz .LBB254_2624
; %bb.2617:
	flat_load_u8 v5, v[2:3]
	s_mov_b32 s28, 0
	s_mov_b32 s27, exec_lo
	s_wait_loadcnt_dscnt 0x0
	v_lshlrev_b32_e32 v5, 24, v5
	s_delay_alu instid0(VALU_DEP_1) | instskip(NEXT) | instid1(VALU_DEP_1)
	v_and_b32_e32 v7, 0x7f000000, v5
	v_clz_i32_u32_e32 v11, v7
	v_add_nc_u32_e32 v13, 0x1000000, v7
	v_cmp_ne_u32_e64 s0, 0, v7
	s_delay_alu instid0(VALU_DEP_3) | instskip(NEXT) | instid1(VALU_DEP_1)
	v_min_u32_e32 v11, 32, v11
	v_sub_nc_u32_e64 v11, v11, 4 clamp
	s_delay_alu instid0(VALU_DEP_1) | instskip(SKIP_1) | instid1(VALU_DEP_2)
	v_lshlrev_b32_e32 v12, v11, v7
	v_lshlrev_b32_e32 v11, 23, v11
	v_dual_mov_b32 v7, 0x80 :: v_dual_lshrrev_b32 v12, 4, v12
	s_delay_alu instid0(VALU_DEP_1) | instskip(NEXT) | instid1(VALU_DEP_1)
	v_dual_sub_nc_u32 v11, v12, v11 :: v_dual_ashrrev_i32 v12, 8, v13
	v_add_nc_u32_e32 v11, 0x3c000000, v11
	s_delay_alu instid0(VALU_DEP_1) | instskip(NEXT) | instid1(VALU_DEP_1)
	v_and_or_b32 v11, 0x7f800000, v12, v11
	v_cndmask_b32_e64 v12, 0, v11, s0
	s_delay_alu instid0(VALU_DEP_1) | instskip(NEXT) | instid1(VALU_DEP_1)
	v_and_or_b32 v5, 0x80000000, v5, v12
	v_and_b32_e32 v11, 0x7fffffff, v5
	s_wait_xcnt 0x0
	s_delay_alu instid0(VALU_DEP_1)
	v_cmpx_gt_u32_e32 0x47800000, v11
	s_cbranch_execz .LBB254_2623
; %bb.2618:
	v_cmp_lt_u32_e64 s0, 0x37ffffff, v11
                                        ; implicit-def: $vgpr11
	s_and_saveexec_b32 s29, s0
	s_delay_alu instid0(SALU_CYCLE_1)
	s_xor_b32 s0, exec_lo, s29
	s_cbranch_execz .LBB254_3030
; %bb.2619:
	v_bfe_u32 v7, v12, 21, 1
	s_mov_b32 s28, exec_lo
	s_delay_alu instid0(VALU_DEP_1) | instskip(NEXT) | instid1(VALU_DEP_1)
	v_add3_u32 v7, v5, v7, 0x88fffff
	v_lshrrev_b32_e32 v11, 21, v7
	s_and_not1_saveexec_b32 s29, s0
	s_cbranch_execnz .LBB254_3031
.LBB254_2620:
	s_or_b32 exec_lo, exec_lo, s29
	v_mov_b32_e32 v7, 0
	s_and_saveexec_b32 s0, s28
.LBB254_2621:
	v_lshrrev_b32_e32 v5, 24, v5
	s_delay_alu instid0(VALU_DEP_1)
	v_and_or_b32 v7, 0x80, v5, v11
.LBB254_2622:
	s_or_b32 exec_lo, exec_lo, s0
.LBB254_2623:
	s_delay_alu instid0(SALU_CYCLE_1)
	s_or_b32 exec_lo, exec_lo, s27
.LBB254_2624:
	s_delay_alu instid0(SALU_CYCLE_1)
	s_or_b32 exec_lo, exec_lo, s26
.LBB254_2625:
	s_and_not1_saveexec_b32 s25, s25
	s_cbranch_execz .LBB254_2633
; %bb.2626:
	flat_load_u8 v5, v[2:3]
	s_mov_b32 s26, exec_lo
	s_wait_loadcnt_dscnt 0x0
	v_lshlrev_b32_e32 v7, 25, v5
	v_lshlrev_b16 v5, 8, v5
	s_delay_alu instid0(VALU_DEP_1) | instskip(SKIP_1) | instid1(VALU_DEP_2)
	v_and_or_b32 v12, 0x7f00, v5, 0.5
	v_bfe_i32 v5, v5, 0, 16
	v_dual_add_f32 v12, -0.5, v12 :: v_dual_lshrrev_b32 v11, 4, v7
	v_cmp_gt_u32_e64 s0, 0x8000000, v7
	v_mov_b32_e32 v7, 0x80
	s_delay_alu instid0(VALU_DEP_3) | instskip(NEXT) | instid1(VALU_DEP_1)
	v_or_b32_e32 v11, 0x70000000, v11
	v_mul_f32_e32 v11, 0x7800000, v11
	s_delay_alu instid0(VALU_DEP_1) | instskip(NEXT) | instid1(VALU_DEP_1)
	v_cndmask_b32_e64 v12, v11, v12, s0
	v_and_or_b32 v5, 0x80000000, v5, v12
	s_delay_alu instid0(VALU_DEP_1) | instskip(SKIP_1) | instid1(VALU_DEP_1)
	v_and_b32_e32 v11, 0x7fffffff, v5
	s_wait_xcnt 0x0
	v_cmpx_gt_u32_e32 0x47800000, v11
	s_cbranch_execz .LBB254_2632
; %bb.2627:
	v_cmp_lt_u32_e64 s0, 0x37ffffff, v11
	s_mov_b32 s27, 0
                                        ; implicit-def: $vgpr11
	s_and_saveexec_b32 s28, s0
	s_delay_alu instid0(SALU_CYCLE_1)
	s_xor_b32 s0, exec_lo, s28
	s_cbranch_execz .LBB254_3004
; %bb.2628:
	v_bfe_u32 v7, v12, 21, 1
	s_mov_b32 s27, exec_lo
	s_delay_alu instid0(VALU_DEP_1) | instskip(NEXT) | instid1(VALU_DEP_1)
	v_add3_u32 v7, v5, v7, 0x88fffff
	v_lshrrev_b32_e32 v11, 21, v7
	s_and_not1_saveexec_b32 s28, s0
	s_cbranch_execnz .LBB254_3005
.LBB254_2629:
	s_or_b32 exec_lo, exec_lo, s28
	v_mov_b32_e32 v7, 0
	s_and_saveexec_b32 s0, s27
.LBB254_2630:
	v_lshrrev_b32_e32 v5, 24, v5
	s_delay_alu instid0(VALU_DEP_1)
	v_and_or_b32 v7, 0x80, v5, v11
.LBB254_2631:
	s_or_b32 exec_lo, exec_lo, s0
.LBB254_2632:
	s_delay_alu instid0(SALU_CYCLE_1)
	s_or_b32 exec_lo, exec_lo, s26
.LBB254_2633:
	s_delay_alu instid0(SALU_CYCLE_1) | instskip(NEXT) | instid1(SALU_CYCLE_1)
	s_or_b32 exec_lo, exec_lo, s25
	s_or_b32 s25, s23, exec_lo
                                        ; implicit-def: $vgpr5
.LBB254_2634:
	s_or_saveexec_b32 s20, s20
	s_mov_b32 s0, 0
	s_mov_b32 s26, s24
	s_xor_b32 exec_lo, exec_lo, s20
	s_cbranch_execz .LBB254_2648
; %bb.2635:
	s_mov_b32 s27, s24
	s_mov_b32 s28, s25
	s_mov_b32 s26, exec_lo
                                        ; implicit-def: $vgpr7
	v_cmpx_lt_i16_e32 14, v5
	s_xor_b32 s26, exec_lo, s26
	s_cbranch_execz .LBB254_2645
; %bb.2636:
	s_mov_b32 s28, -1
	s_mov_b32 s29, s25
	s_mov_b32 s27, exec_lo
                                        ; implicit-def: $vgpr7
	v_cmpx_eq_u16_e32 15, v5
	s_cbranch_execz .LBB254_2644
; %bb.2637:
	flat_load_u16 v5, v[2:3]
	s_mov_b32 s28, exec_lo
	s_wait_loadcnt_dscnt 0x0
	v_dual_mov_b32 v7, 0x80 :: v_dual_lshlrev_b32 v12, 16, v5
	s_delay_alu instid0(VALU_DEP_1) | instskip(SKIP_1) | instid1(VALU_DEP_1)
	v_and_b32_e32 v11, 0x7fffffff, v12
	s_wait_xcnt 0x0
	v_cmpx_gt_u32_e32 0x47800000, v11
	s_cbranch_execz .LBB254_2643
; %bb.2638:
	v_cmp_lt_u32_e64 s0, 0x37ffffff, v11
	s_mov_b32 s29, 0
                                        ; implicit-def: $vgpr11
	s_and_saveexec_b32 s30, s0
	s_delay_alu instid0(SALU_CYCLE_1)
	s_xor_b32 s0, exec_lo, s30
	s_cbranch_execz .LBB254_3032
; %bb.2639:
	v_bfe_u32 v7, v5, 5, 1
	s_mov_b32 s29, exec_lo
	s_delay_alu instid0(VALU_DEP_1) | instskip(NEXT) | instid1(VALU_DEP_1)
	v_add3_u32 v7, v12, v7, 0x88fffff
                                        ; implicit-def: $vgpr12
	v_lshrrev_b32_e32 v11, 21, v7
	s_and_not1_saveexec_b32 s30, s0
	s_cbranch_execnz .LBB254_3033
.LBB254_2640:
	s_or_b32 exec_lo, exec_lo, s30
	v_mov_b32_e32 v7, 0
	s_and_saveexec_b32 s0, s29
.LBB254_2641:
	v_lshrrev_b32_e32 v5, 8, v5
	s_delay_alu instid0(VALU_DEP_1)
	v_and_or_b32 v7, 0x80, v5, v11
.LBB254_2642:
	s_or_b32 exec_lo, exec_lo, s0
.LBB254_2643:
	s_delay_alu instid0(SALU_CYCLE_1) | instskip(NEXT) | instid1(SALU_CYCLE_1)
	s_or_b32 exec_lo, exec_lo, s28
	s_or_b32 s29, s25, exec_lo
	s_xor_b32 s28, exec_lo, -1
.LBB254_2644:
	s_or_b32 exec_lo, exec_lo, s27
	s_delay_alu instid0(SALU_CYCLE_1)
	s_and_not1_b32 s0, s25, exec_lo
	s_and_b32 s27, s29, exec_lo
	s_and_not1_b32 s29, s24, exec_lo
	s_and_b32 s30, s28, exec_lo
	s_or_b32 s28, s0, s27
	s_or_b32 s27, s29, s30
                                        ; implicit-def: $vgpr5
.LBB254_2645:
	s_or_saveexec_b32 s26, s26
	s_mov_b32 s29, 0
	s_xor_b32 exec_lo, exec_lo, s26
; %bb.2646:
	v_cmp_ne_u16_e64 s0, 11, v5
	s_and_not1_b32 s27, s27, exec_lo
	s_mov_b32 s29, exec_lo
	s_and_b32 s0, s0, exec_lo
	s_delay_alu instid0(SALU_CYCLE_1)
	s_or_b32 s27, s27, s0
; %bb.2647:
	s_or_b32 exec_lo, exec_lo, s26
	s_delay_alu instid0(SALU_CYCLE_1)
	s_and_not1_b32 s0, s25, exec_lo
	s_and_b32 s25, s28, exec_lo
	s_and_not1_b32 s26, s24, exec_lo
	s_and_b32 s27, s27, exec_lo
	s_or_b32 s25, s0, s25
	s_and_b32 s0, s29, exec_lo
	s_or_b32 s26, s26, s27
.LBB254_2648:
	s_or_b32 exec_lo, exec_lo, s20
	s_delay_alu instid0(SALU_CYCLE_1)
	s_and_not1_b32 s20, s23, exec_lo
	s_and_b32 s23, s25, exec_lo
	s_and_not1_b32 s24, s24, exec_lo
	s_and_b32 s25, s26, exec_lo
	s_or_b32 s23, s20, s23
	s_and_b32 s20, s0, exec_lo
	s_or_b32 s24, s24, s25
	s_or_b32 exec_lo, exec_lo, s22
	s_mov_b32 s22, s18
	s_and_saveexec_b32 s0, s24
	s_cbranch_execz .LBB254_1677
.LBB254_2649:
	s_or_b32 s22, s18, exec_lo
	s_and_not1_b32 s20, s20, exec_lo
	s_trap 2
	s_or_b32 exec_lo, exec_lo, s0
	s_and_saveexec_b32 s0, s20
	s_delay_alu instid0(SALU_CYCLE_1)
	s_xor_b32 s20, exec_lo, s0
	s_cbranch_execnz .LBB254_1678
	s_branch .LBB254_1685
.LBB254_2650:
	s_and_not1_saveexec_b32 s17, s0
	s_cbranch_execz .LBB254_2264
.LBB254_2651:
	v_add_f32_e64 v9, 0x42800000, |v11|
	s_and_not1_b32 s16, s16, exec_lo
	s_delay_alu instid0(VALU_DEP_1) | instskip(NEXT) | instid1(VALU_DEP_1)
	v_and_b32_e32 v13, 0xff, v9
	v_cmp_ne_u32_e64 s0, 0, v13
	s_and_b32 s0, s0, exec_lo
	s_delay_alu instid0(SALU_CYCLE_1)
	s_or_b32 s16, s16, s0
	s_or_b32 exec_lo, exec_lo, s17
	v_mov_b32_e32 v9, 0
	s_and_saveexec_b32 s0, s16
	s_cbranch_execnz .LBB254_2265
	s_branch .LBB254_2266
.LBB254_2652:
	s_and_not1_saveexec_b32 s18, s0
	s_cbranch_execz .LBB254_2284
.LBB254_2653:
	v_add_f32_e64 v9, 0x42800000, |v15|
	s_and_not1_b32 s17, s17, exec_lo
	s_delay_alu instid0(VALU_DEP_1) | instskip(NEXT) | instid1(VALU_DEP_1)
	v_and_b32_e32 v13, 0xff, v9
	v_cmp_ne_u32_e64 s0, 0, v13
	s_and_b32 s0, s0, exec_lo
	s_delay_alu instid0(SALU_CYCLE_1)
	s_or_b32 s17, s17, s0
	s_or_b32 exec_lo, exec_lo, s18
	v_mov_b32_e32 v9, 0
	s_and_saveexec_b32 s0, s17
	s_cbranch_execnz .LBB254_2285
	s_branch .LBB254_2286
.LBB254_2654:
	s_and_not1_saveexec_b32 s18, s0
	s_cbranch_execz .LBB254_2316
.LBB254_2655:
	v_add_f32_e64 v11, 0x42800000, |v13|
	s_and_not1_b32 s17, s17, exec_lo
	s_delay_alu instid0(VALU_DEP_1) | instskip(NEXT) | instid1(VALU_DEP_1)
	v_and_b32_e32 v15, 0xff, v11
	v_cmp_ne_u32_e64 s0, 0, v15
	s_and_b32 s0, s0, exec_lo
	s_delay_alu instid0(SALU_CYCLE_1)
	s_or_b32 s17, s17, s0
	s_or_b32 exec_lo, exec_lo, s18
	v_mov_b32_e32 v11, 0
	s_and_saveexec_b32 s0, s17
	s_cbranch_execnz .LBB254_2317
	s_branch .LBB254_2318
.LBB254_2656:
	s_and_not1_saveexec_b32 s17, s0
	s_cbranch_execz .LBB254_608
.LBB254_2657:
	v_add_f32_e64 v9, 0x42800000, |v11|
	s_and_not1_b32 s16, s16, exec_lo
	s_delay_alu instid0(VALU_DEP_1) | instskip(NEXT) | instid1(VALU_DEP_1)
	v_and_b32_e32 v13, 0xff, v9
	v_cmp_ne_u32_e64 s0, 0, v13
	s_and_b32 s0, s0, exec_lo
	s_delay_alu instid0(SALU_CYCLE_1)
	s_or_b32 s16, s16, s0
	s_or_b32 exec_lo, exec_lo, s17
	v_mov_b32_e32 v9, 0
	s_and_saveexec_b32 s0, s16
	s_cbranch_execnz .LBB254_609
	s_branch .LBB254_610
.LBB254_2658:
	s_and_not1_saveexec_b32 s19, s0
	s_cbranch_execz .LBB254_618
.LBB254_2659:
	v_add_f32_e32 v9, 0x42800000, v13
	s_and_not1_b32 s18, s18, exec_lo
	s_delay_alu instid0(VALU_DEP_1) | instskip(NEXT) | instid1(VALU_DEP_1)
	v_and_b32_e32 v11, 0xff, v9
	v_cmp_ne_u32_e64 s0, 0, v11
	s_and_b32 s0, s0, exec_lo
	s_delay_alu instid0(SALU_CYCLE_1)
	s_or_b32 s18, s18, s0
	s_or_b32 exec_lo, exec_lo, s19
	v_mov_b32_e32 v9, 0
	s_and_saveexec_b32 s0, s18
	s_cbranch_execnz .LBB254_619
	s_branch .LBB254_620
.LBB254_2660:
	s_and_not1_saveexec_b32 s20, s0
	s_cbranch_execz .LBB254_819
.LBB254_2661:
	v_add_f32_e32 v11, 0x42800000, v15
	s_and_not1_b32 s19, s19, exec_lo
	s_delay_alu instid0(VALU_DEP_1) | instskip(NEXT) | instid1(VALU_DEP_1)
	v_and_b32_e32 v13, 0xff, v11
	v_cmp_ne_u32_e64 s0, 0, v13
	s_and_b32 s0, s0, exec_lo
	s_delay_alu instid0(SALU_CYCLE_1)
	s_or_b32 s19, s19, s0
	s_or_b32 exec_lo, exec_lo, s20
	v_mov_b32_e32 v11, 0
	s_and_saveexec_b32 s0, s19
	s_cbranch_execnz .LBB254_820
	s_branch .LBB254_821
.LBB254_2662:
	s_and_not1_saveexec_b32 s20, s0
	s_cbranch_execz .LBB254_831
.LBB254_2663:
	v_add_f32_e32 v11, 0x42800000, v15
	s_and_not1_b32 s19, s19, exec_lo
	s_delay_alu instid0(VALU_DEP_1) | instskip(NEXT) | instid1(VALU_DEP_1)
	v_and_b32_e32 v13, 0xff, v11
	v_cmp_ne_u32_e64 s0, 0, v13
	s_and_b32 s0, s0, exec_lo
	s_delay_alu instid0(SALU_CYCLE_1)
	s_or_b32 s19, s19, s0
	s_or_b32 exec_lo, exec_lo, s20
	v_mov_b32_e32 v11, 0
	s_and_saveexec_b32 s0, s19
	s_cbranch_execnz .LBB254_832
	s_branch .LBB254_833
.LBB254_2664:
	s_and_not1_saveexec_b32 s20, s0
	s_cbranch_execz .LBB254_839
.LBB254_2665:
	v_add_f32_e32 v11, 0x42800000, v15
	s_and_not1_b32 s19, s19, exec_lo
	s_delay_alu instid0(VALU_DEP_1) | instskip(NEXT) | instid1(VALU_DEP_1)
	v_and_b32_e32 v13, 0xff, v11
	v_cmp_ne_u32_e64 s0, 0, v13
	s_and_b32 s0, s0, exec_lo
	s_delay_alu instid0(SALU_CYCLE_1)
	s_or_b32 s19, s19, s0
	s_or_b32 exec_lo, exec_lo, s20
	v_mov_b32_e32 v11, 0
	s_and_saveexec_b32 s0, s19
	s_cbranch_execnz .LBB254_840
	s_branch .LBB254_841
.LBB254_2666:
	s_and_not1_saveexec_b32 s19, s0
	s_cbranch_execz .LBB254_878
.LBB254_2667:
	v_add_f32_e64 v11, 0x42800000, |v13|
	s_and_not1_b32 s18, s18, exec_lo
	s_delay_alu instid0(VALU_DEP_1) | instskip(NEXT) | instid1(VALU_DEP_1)
	v_and_b32_e32 v15, 0xff, v11
	v_cmp_ne_u32_e64 s0, 0, v15
	s_and_b32 s0, s0, exec_lo
	s_delay_alu instid0(SALU_CYCLE_1)
	s_or_b32 s18, s18, s0
	s_or_b32 exec_lo, exec_lo, s19
	v_mov_b32_e32 v11, 0
	s_and_saveexec_b32 s0, s18
	s_cbranch_execnz .LBB254_879
	s_branch .LBB254_880
.LBB254_2668:
	s_and_not1_saveexec_b32 s19, s0
	s_cbranch_execz .LBB254_886
.LBB254_2669:
	v_add_f32_e64 v11, 0x42800000, |v13|
	s_and_not1_b32 s18, s18, exec_lo
	s_delay_alu instid0(VALU_DEP_1) | instskip(NEXT) | instid1(VALU_DEP_1)
	v_and_b32_e32 v15, 0xff, v11
	v_cmp_ne_u32_e64 s0, 0, v15
	s_and_b32 s0, s0, exec_lo
	s_delay_alu instid0(SALU_CYCLE_1)
	s_or_b32 s18, s18, s0
	s_or_b32 exec_lo, exec_lo, s19
	v_mov_b32_e32 v11, 0
	s_and_saveexec_b32 s0, s18
	s_cbranch_execnz .LBB254_887
	s_branch .LBB254_888
.LBB254_2670:
	s_and_not1_saveexec_b32 s19, s0
	s_cbranch_execz .LBB254_906
.LBB254_2671:
	v_add_f32_e64 v11, 0x42800000, |v13|
	s_and_not1_b32 s18, s18, exec_lo
	s_delay_alu instid0(VALU_DEP_1) | instskip(NEXT) | instid1(VALU_DEP_1)
	v_and_b32_e32 v15, 0xff, v11
	v_cmp_ne_u32_e64 s0, 0, v15
	s_and_b32 s0, s0, exec_lo
	s_delay_alu instid0(SALU_CYCLE_1)
	s_or_b32 s18, s18, s0
	s_or_b32 exec_lo, exec_lo, s19
	v_mov_b32_e32 v11, 0
	s_and_saveexec_b32 s0, s18
	s_cbranch_execnz .LBB254_907
	s_branch .LBB254_908
.LBB254_2672:
	s_and_not1_saveexec_b32 s19, s0
	s_cbranch_execz .LBB254_914
.LBB254_2673:
	v_add_f32_e64 v11, 0x42800000, |v13|
	s_and_not1_b32 s18, s18, exec_lo
	s_delay_alu instid0(VALU_DEP_1) | instskip(NEXT) | instid1(VALU_DEP_1)
	v_and_b32_e32 v15, 0xff, v11
	v_cmp_ne_u32_e64 s0, 0, v15
	s_and_b32 s0, s0, exec_lo
	s_delay_alu instid0(SALU_CYCLE_1)
	s_or_b32 s18, s18, s0
	s_or_b32 exec_lo, exec_lo, s19
	v_mov_b32_e32 v11, 0
	s_and_saveexec_b32 s0, s18
	s_cbranch_execnz .LBB254_915
	s_branch .LBB254_916
.LBB254_2674:
	s_and_not1_saveexec_b32 s19, s0
	s_cbranch_execz .LBB254_936
.LBB254_2675:
	v_add_f32_e64 v11, 0x42800000, |v13|
	s_and_not1_b32 s18, s18, exec_lo
	s_delay_alu instid0(VALU_DEP_1) | instskip(NEXT) | instid1(VALU_DEP_1)
	v_and_b32_e32 v15, 0xff, v11
	v_cmp_ne_u32_e64 s0, 0, v15
	s_and_b32 s0, s0, exec_lo
	s_delay_alu instid0(SALU_CYCLE_1)
	s_or_b32 s18, s18, s0
	s_or_b32 exec_lo, exec_lo, s19
	v_mov_b32_e32 v11, 0
	s_and_saveexec_b32 s0, s18
	s_cbranch_execnz .LBB254_937
	s_branch .LBB254_938
.LBB254_2676:
	s_and_not1_saveexec_b32 s19, s0
	s_cbranch_execz .LBB254_944
.LBB254_2677:
	v_add_f32_e64 v11, 0x42800000, |v13|
	s_and_not1_b32 s18, s18, exec_lo
	s_delay_alu instid0(VALU_DEP_1) | instskip(NEXT) | instid1(VALU_DEP_1)
	v_and_b32_e32 v15, 0xff, v11
	v_cmp_ne_u32_e64 s0, 0, v15
	s_and_b32 s0, s0, exec_lo
	s_delay_alu instid0(SALU_CYCLE_1)
	s_or_b32 s18, s18, s0
	s_or_b32 exec_lo, exec_lo, s19
	v_mov_b32_e32 v11, 0
	s_and_saveexec_b32 s0, s18
	s_cbranch_execnz .LBB254_945
	s_branch .LBB254_946
.LBB254_2678:
	s_and_not1_saveexec_b32 s22, s0
	s_cbranch_execz .LBB254_1072
.LBB254_2679:
	v_add_f32_e64 v9, 0x42800000, |v11|
	s_and_not1_b32 s21, s21, exec_lo
	s_delay_alu instid0(VALU_DEP_1) | instskip(NEXT) | instid1(VALU_DEP_1)
	v_and_b32_e32 v13, 0xff, v9
	v_cmp_ne_u32_e64 s0, 0, v13
	s_and_b32 s0, s0, exec_lo
	s_delay_alu instid0(SALU_CYCLE_1)
	s_or_b32 s21, s21, s0
	s_or_b32 exec_lo, exec_lo, s22
	v_mov_b32_e32 v9, 0
	s_and_saveexec_b32 s0, s21
	s_cbranch_execnz .LBB254_1073
	s_branch .LBB254_1074
.LBB254_2680:
	s_and_not1_saveexec_b32 s21, s0
	s_cbranch_execz .LBB254_1113
.LBB254_2681:
	v_add_f32_e64 v9, 0x42800000, |v11|
	s_and_not1_b32 s20, s20, exec_lo
	s_delay_alu instid0(VALU_DEP_1) | instskip(NEXT) | instid1(VALU_DEP_1)
	v_and_b32_e32 v13, 0xff, v9
	v_cmp_ne_u32_e64 s0, 0, v13
	s_and_b32 s0, s0, exec_lo
	s_delay_alu instid0(SALU_CYCLE_1)
	s_or_b32 s20, s20, s0
	s_or_b32 exec_lo, exec_lo, s21
	v_mov_b32_e32 v9, 0
	s_and_saveexec_b32 s0, s20
	s_cbranch_execnz .LBB254_1114
	s_branch .LBB254_1115
.LBB254_2682:
	s_and_not1_saveexec_b32 s21, s0
	s_cbranch_execz .LBB254_1141
.LBB254_2683:
	v_add_f32_e64 v9, 0x42800000, |v11|
	s_and_not1_b32 s20, s20, exec_lo
	s_delay_alu instid0(VALU_DEP_1) | instskip(NEXT) | instid1(VALU_DEP_1)
	v_and_b32_e32 v13, 0xff, v9
	v_cmp_ne_u32_e64 s0, 0, v13
	s_and_b32 s0, s0, exec_lo
	s_delay_alu instid0(SALU_CYCLE_1)
	s_or_b32 s20, s20, s0
	s_or_b32 exec_lo, exec_lo, s21
	v_mov_b32_e32 v9, 0
	s_and_saveexec_b32 s0, s20
	s_cbranch_execnz .LBB254_1142
	s_branch .LBB254_1143
.LBB254_2684:
	s_and_not1_saveexec_b32 s21, s0
	s_cbranch_execz .LBB254_1171
.LBB254_2685:
	v_add_f32_e64 v9, 0x42800000, |v11|
	s_and_not1_b32 s20, s20, exec_lo
	s_delay_alu instid0(VALU_DEP_1) | instskip(NEXT) | instid1(VALU_DEP_1)
	v_and_b32_e32 v13, 0xff, v9
	v_cmp_ne_u32_e64 s0, 0, v13
	s_and_b32 s0, s0, exec_lo
	s_delay_alu instid0(SALU_CYCLE_1)
	s_or_b32 s20, s20, s0
	s_or_b32 exec_lo, exec_lo, s21
	v_mov_b32_e32 v9, 0
	s_and_saveexec_b32 s0, s20
	s_cbranch_execnz .LBB254_1172
	s_branch .LBB254_1173
.LBB254_2686:
	s_and_not1_saveexec_b32 s21, s0
	s_cbranch_execz .LBB254_1181
.LBB254_2687:
	v_add_f32_e64 v9, 0x42800000, |v11|
	s_and_not1_b32 s20, s20, exec_lo
	s_delay_alu instid0(VALU_DEP_1) | instskip(NEXT) | instid1(VALU_DEP_1)
	v_and_b32_e32 v13, 0xff, v9
	v_cmp_ne_u32_e64 s0, 0, v13
	s_and_b32 s0, s0, exec_lo
	s_delay_alu instid0(SALU_CYCLE_1)
	s_or_b32 s20, s20, s0
	s_or_b32 exec_lo, exec_lo, s21
	v_mov_b32_e32 v9, 0
	s_and_saveexec_b32 s0, s20
	s_cbranch_execnz .LBB254_1182
	s_branch .LBB254_1183
.LBB254_2688:
	s_and_not1_saveexec_b32 s21, s0
	s_cbranch_execz .LBB254_1189
.LBB254_2689:
	v_add_f32_e32 v9, 0x42800000, v13
	s_and_not1_b32 s20, s20, exec_lo
	s_delay_alu instid0(VALU_DEP_1) | instskip(NEXT) | instid1(VALU_DEP_1)
	v_and_b32_e32 v11, 0xff, v9
	v_cmp_ne_u32_e64 s0, 0, v11
	s_and_b32 s0, s0, exec_lo
	s_delay_alu instid0(SALU_CYCLE_1)
	s_or_b32 s20, s20, s0
	s_or_b32 exec_lo, exec_lo, s21
	v_mov_b32_e32 v9, 0
	s_and_saveexec_b32 s0, s20
	s_cbranch_execnz .LBB254_1190
	s_branch .LBB254_1191
.LBB254_2690:
	s_or_saveexec_b32 s23, s23
	v_mov_b32_e32 v13, 0x7f800001
	s_xor_b32 exec_lo, exec_lo, s23
	s_cbranch_execz .LBB254_1257
.LBB254_2691:
	v_cmp_ne_u16_e64 s0, 0, v11
	v_mov_b32_e32 v13, 0
	s_and_not1_b32 s22, s22, exec_lo
	s_and_b32 s0, s0, exec_lo
	s_delay_alu instid0(SALU_CYCLE_1)
	s_or_b32 s22, s22, s0
	s_or_b32 exec_lo, exec_lo, s23
	s_and_saveexec_b32 s23, s22
	s_cbranch_execnz .LBB254_1258
	s_branch .LBB254_1259
.LBB254_2692:
	s_and_not1_saveexec_b32 s24, s0
	s_cbranch_execz .LBB254_1491
.LBB254_2693:
	v_add_f32_e32 v2, 0x42800000, v3
	s_and_not1_b32 s23, s23, exec_lo
	s_delay_alu instid0(VALU_DEP_1) | instskip(NEXT) | instid1(VALU_DEP_1)
	v_and_b32_e32 v2, 0xff, v2
	v_cmp_ne_u32_e64 s0, 0, v2
	s_and_b32 s0, s0, exec_lo
	s_delay_alu instid0(SALU_CYCLE_1)
	s_or_b32 s23, s23, s0
	s_or_b32 exec_lo, exec_lo, s24
	v_mov_b32_e32 v9, 0
	s_and_saveexec_b32 s0, s23
	s_cbranch_execnz .LBB254_1492
	s_branch .LBB254_1493
.LBB254_2694:
	s_or_saveexec_b32 s23, s23
	v_mov_b32_e32 v2, 0x7f800001
	s_xor_b32 exec_lo, exec_lo, s23
	s_cbranch_execz .LBB254_1800
.LBB254_2695:
	v_cmp_ne_u16_e32 vcc_lo, 0, v3
	v_mov_b32_e32 v2, 0
	s_and_not1_b32 s21, s21, exec_lo
	s_and_b32 s24, vcc_lo, exec_lo
	s_delay_alu instid0(SALU_CYCLE_1)
	s_or_b32 s21, s21, s24
	s_or_b32 exec_lo, exec_lo, s23
	s_and_saveexec_b32 s23, s21
	s_cbranch_execnz .LBB254_1801
	s_branch .LBB254_1802
.LBB254_2696:
	s_or_saveexec_b32 s23, s23
	v_mov_b32_e32 v3, 0x7f800001
	s_xor_b32 exec_lo, exec_lo, s23
	s_cbranch_execz .LBB254_1806
.LBB254_2697:
	v_cmp_ne_u16_e32 vcc_lo, 0, v5
	v_mov_b32_e32 v3, 0
	s_and_not1_b32 s21, s21, exec_lo
	s_and_b32 s24, vcc_lo, exec_lo
	s_delay_alu instid0(SALU_CYCLE_1)
	s_or_b32 s21, s21, s24
	s_or_b32 exec_lo, exec_lo, s23
	s_and_saveexec_b32 s23, s21
	s_cbranch_execnz .LBB254_1807
	s_branch .LBB254_1808
.LBB254_2698:
	s_or_saveexec_b32 s24, s24
	v_mov_b32_e32 v2, 0x7f800001
	s_xor_b32 exec_lo, exec_lo, s24
	s_cbranch_execz .LBB254_1814
.LBB254_2699:
	v_cmp_ne_u16_e32 vcc_lo, 0, v3
	v_mov_b32_e32 v2, 0
	s_and_not1_b32 s23, s23, exec_lo
	s_and_b32 s25, vcc_lo, exec_lo
	s_delay_alu instid0(SALU_CYCLE_1)
	s_or_b32 s23, s23, s25
	s_or_b32 exec_lo, exec_lo, s24
	s_and_saveexec_b32 s24, s23
	s_cbranch_execnz .LBB254_1815
	s_branch .LBB254_1816
.LBB254_2700:
	s_or_saveexec_b32 s24, s24
	v_mov_b32_e32 v3, 0x7f800001
	s_xor_b32 exec_lo, exec_lo, s24
	s_cbranch_execz .LBB254_1820
.LBB254_2701:
	v_cmp_ne_u16_e32 vcc_lo, 0, v5
	v_mov_b32_e32 v3, 0
	s_and_not1_b32 s23, s23, exec_lo
	s_and_b32 s25, vcc_lo, exec_lo
	s_delay_alu instid0(SALU_CYCLE_1)
	s_or_b32 s23, s23, s25
	s_or_b32 exec_lo, exec_lo, s24
	s_and_saveexec_b32 s24, s23
	s_cbranch_execnz .LBB254_1821
	s_branch .LBB254_1822
.LBB254_2702:
	s_and_not1_saveexec_b32 s26, s26
	s_cbranch_execz .LBB254_1860
.LBB254_2703:
	s_mov_b32 s27, s0
	s_mov_b32 s25, exec_lo
	v_cmpx_lt_i16_e32 22, v5
	s_xor_b32 s25, exec_lo, s25
	s_cbranch_execz .LBB254_2735
; %bb.2704:
	s_mov_b32 s27, exec_lo
	v_cmpx_lt_i16_e32 23, v5
	s_xor_b32 s27, exec_lo, s27
	s_cbranch_execz .LBB254_2724
; %bb.2705:
	;; [unrolled: 5-line block ×3, first 2 shown]
	s_wait_dscnt 0x0
	v_cndmask_b32_e64 v7, 0, 1.0, s9
	v_mov_b32_e32 v9, 0x80
	s_mov_b32 s29, exec_lo
	s_delay_alu instid0(VALU_DEP_2)
	v_cmpx_gt_u32_e32 0x47800000, v7
	s_cbranch_execz .LBB254_2712
; %bb.2707:
	s_mov_b32 s30, 0
	s_mov_b32 s31, exec_lo
                                        ; implicit-def: $vgpr5
	v_cmpx_lt_u32_e32 0x37ffffff, v7
	s_xor_b32 s31, exec_lo, s31
	s_cbranch_execz .LBB254_3040
; %bb.2708:
	v_bfe_u32 v5, v7, 21, 1
	s_mov_b32 s30, exec_lo
	s_delay_alu instid0(VALU_DEP_1) | instskip(NEXT) | instid1(VALU_DEP_1)
	v_add3_u32 v5, v7, v5, 0x88fffff
                                        ; implicit-def: $vgpr7
	v_lshrrev_b32_e32 v5, 21, v5
	s_and_not1_saveexec_b32 s31, s31
	s_cbranch_execnz .LBB254_3041
.LBB254_2709:
	s_or_b32 exec_lo, exec_lo, s31
	v_mov_b32_e32 v9, 0
	s_and_saveexec_b32 s31, s30
.LBB254_2710:
	v_mov_b32_e32 v9, v5
.LBB254_2711:
	s_or_b32 exec_lo, exec_lo, s31
.LBB254_2712:
	s_delay_alu instid0(SALU_CYCLE_1)
	s_or_b32 exec_lo, exec_lo, s29
	flat_store_b8 v[2:3], v9
.LBB254_2713:
	s_wait_xcnt 0x0
	s_and_not1_saveexec_b32 s28, s28
	s_cbranch_execz .LBB254_2723
; %bb.2714:
	s_wait_dscnt 0x0
	v_cndmask_b32_e64 v7, 0, 1.0, s9
	s_mov_b32 s29, exec_lo
                                        ; implicit-def: $vgpr5
	s_delay_alu instid0(VALU_DEP_1)
	v_cmpx_gt_u32_e32 0x43f00000, v7
	s_xor_b32 s29, exec_lo, s29
	s_cbranch_execz .LBB254_2720
; %bb.2715:
	s_mov_b32 s30, exec_lo
                                        ; implicit-def: $vgpr5
	v_cmpx_lt_u32_e32 0x3c7fffff, v7
	s_xor_b32 s30, exec_lo, s30
; %bb.2716:
	v_bfe_u32 v5, v7, 20, 1
	s_delay_alu instid0(VALU_DEP_1) | instskip(NEXT) | instid1(VALU_DEP_1)
	v_add3_u32 v5, v7, v5, 0x407ffff
	v_and_b32_e32 v7, 0xff00000, v5
	v_lshrrev_b32_e32 v5, 20, v5
	s_delay_alu instid0(VALU_DEP_2) | instskip(NEXT) | instid1(VALU_DEP_2)
	v_cmp_ne_u32_e32 vcc_lo, 0x7f00000, v7
                                        ; implicit-def: $vgpr7
	v_cndmask_b32_e32 v5, 0x7e, v5, vcc_lo
; %bb.2717:
	s_and_not1_saveexec_b32 s30, s30
; %bb.2718:
	v_add_f32_e32 v5, 0x46800000, v7
; %bb.2719:
	s_or_b32 exec_lo, exec_lo, s30
                                        ; implicit-def: $vgpr7
.LBB254_2720:
	s_and_not1_saveexec_b32 s29, s29
; %bb.2721:
	v_mov_b32_e32 v5, 0x7f
	v_cmp_lt_u32_e32 vcc_lo, 0x7f800000, v7
	s_delay_alu instid0(VALU_DEP_2)
	v_cndmask_b32_e32 v5, 0x7e, v5, vcc_lo
; %bb.2722:
	s_or_b32 exec_lo, exec_lo, s29
	flat_store_b8 v[2:3], v5
.LBB254_2723:
	s_wait_xcnt 0x0
	s_or_b32 exec_lo, exec_lo, s28
.LBB254_2724:
	s_and_not1_saveexec_b32 s27, s27
	s_cbranch_execz .LBB254_2734
; %bb.2725:
	s_wait_dscnt 0x0
	v_cndmask_b32_e64 v7, 0, 1.0, s9
	s_mov_b32 s28, exec_lo
                                        ; implicit-def: $vgpr5
	s_delay_alu instid0(VALU_DEP_1)
	v_cmpx_gt_u32_e32 0x47800000, v7
	s_xor_b32 s28, exec_lo, s28
	s_cbranch_execz .LBB254_2731
; %bb.2726:
	s_mov_b32 s29, exec_lo
                                        ; implicit-def: $vgpr5
	v_cmpx_lt_u32_e32 0x387fffff, v7
	s_xor_b32 s29, exec_lo, s29
; %bb.2727:
	v_bfe_u32 v5, v7, 21, 1
	s_delay_alu instid0(VALU_DEP_1) | instskip(NEXT) | instid1(VALU_DEP_1)
	v_add3_u32 v5, v7, v5, 0x80fffff
                                        ; implicit-def: $vgpr7
	v_lshrrev_b32_e32 v5, 21, v5
; %bb.2728:
	s_and_not1_saveexec_b32 s29, s29
; %bb.2729:
	v_add_f32_e32 v5, 0x43000000, v7
; %bb.2730:
	s_or_b32 exec_lo, exec_lo, s29
                                        ; implicit-def: $vgpr7
.LBB254_2731:
	s_and_not1_saveexec_b32 s28, s28
; %bb.2732:
	v_mov_b32_e32 v5, 0x7f
	v_cmp_lt_u32_e32 vcc_lo, 0x7f800000, v7
	s_delay_alu instid0(VALU_DEP_2)
	v_cndmask_b32_e32 v5, 0x7c, v5, vcc_lo
; %bb.2733:
	s_or_b32 exec_lo, exec_lo, s28
	flat_store_b8 v[2:3], v5
.LBB254_2734:
	s_wait_xcnt 0x0
	s_or_b32 exec_lo, exec_lo, s27
	s_delay_alu instid0(SALU_CYCLE_1)
	s_or_b32 s27, s0, exec_lo
                                        ; implicit-def: $vgpr5
.LBB254_2735:
	s_or_saveexec_b32 s25, s25
	s_mov_b32 s28, 0
	s_mov_b32 s29, s23
	s_xor_b32 exec_lo, exec_lo, s25
	s_cbranch_execz .LBB254_2743
; %bb.2736:
	s_mov_b32 s28, s23
	s_mov_b32 s29, s27
	s_mov_b32 s30, exec_lo
	v_cmpx_lt_i16_e32 14, v5
	s_xor_b32 s30, exec_lo, s30
	s_cbranch_execz .LBB254_2740
; %bb.2737:
	s_mov_b32 s28, -1
	s_mov_b32 s31, s27
	s_mov_b32 s29, exec_lo
	v_cmpx_eq_u16_e32 15, v5
	s_cbranch_execz .LBB254_2739
; %bb.2738:
	v_cndmask_b32_e64 v5, 0, 1.0, s9
	s_or_b32 s31, s27, exec_lo
	s_xor_b32 s28, exec_lo, -1
	s_wait_dscnt 0x0
	s_delay_alu instid0(VALU_DEP_1) | instskip(NEXT) | instid1(VALU_DEP_1)
	v_bfe_u32 v7, v5, 16, 1
	v_add3_u32 v5, v5, v7, 0x7fff
	flat_store_d16_hi_b16 v[2:3], v5
.LBB254_2739:
	s_wait_xcnt 0x0
	s_or_b32 exec_lo, exec_lo, s29
	s_delay_alu instid0(SALU_CYCLE_1)
	s_and_not1_b32 s29, s27, exec_lo
	s_and_b32 s31, s31, exec_lo
	s_and_not1_b32 s33, s23, exec_lo
	s_and_b32 s28, s28, exec_lo
	s_or_b32 s29, s29, s31
	s_or_b32 s28, s33, s28
                                        ; implicit-def: $vgpr5
.LBB254_2740:
	s_or_saveexec_b32 s31, s30
	s_mov_b32 s30, 0
	s_xor_b32 exec_lo, exec_lo, s31
; %bb.2741:
	v_cmp_ne_u16_e32 vcc_lo, 11, v5
	s_and_not1_b32 s28, s28, exec_lo
	s_mov_b32 s30, exec_lo
	s_and_b32 s33, vcc_lo, exec_lo
	s_delay_alu instid0(SALU_CYCLE_1)
	s_or_b32 s28, s28, s33
; %bb.2742:
	s_or_b32 exec_lo, exec_lo, s31
	s_delay_alu instid0(SALU_CYCLE_1)
	s_and_not1_b32 s27, s27, exec_lo
	s_and_b32 s29, s29, exec_lo
	s_and_b32 s31, s28, exec_lo
	s_or_b32 s27, s27, s29
	s_and_not1_b32 s29, s23, exec_lo
	s_and_b32 s28, s30, exec_lo
	s_or_b32 s29, s29, s31
.LBB254_2743:
	s_or_b32 exec_lo, exec_lo, s25
	s_delay_alu instid0(SALU_CYCLE_1)
	s_and_not1_b32 s0, s0, exec_lo
	s_and_b32 s25, s27, exec_lo
	s_and_not1_b32 s23, s23, exec_lo
	s_and_b32 s27, s29, exec_lo
	s_or_b32 s0, s0, s25
	s_and_b32 s25, s28, exec_lo
	s_or_b32 s23, s23, s27
	s_or_b32 exec_lo, exec_lo, s26
	s_mov_b32 s26, s20
	s_and_saveexec_b32 s27, s23
	s_cbranch_execz .LBB254_1861
.LBB254_2744:
	s_or_b32 s26, s20, exec_lo
	s_and_not1_b32 s25, s25, exec_lo
	s_trap 2
	s_or_b32 exec_lo, exec_lo, s27
	s_and_saveexec_b32 s23, s25
	s_delay_alu instid0(SALU_CYCLE_1)
	s_xor_b32 s23, exec_lo, s23
	s_cbranch_execnz .LBB254_1862
	s_branch .LBB254_1863
.LBB254_2745:
	s_and_not1_saveexec_b32 s19, s0
	s_cbranch_execz .LBB254_2307
.LBB254_2746:
	v_add_f32_e64 v11, 0x42800000, |v13|
	s_and_not1_b32 s18, s18, exec_lo
	s_delay_alu instid0(VALU_DEP_1) | instskip(NEXT) | instid1(VALU_DEP_1)
	v_and_b32_e32 v15, 0xff, v11
	v_cmp_ne_u32_e64 s0, 0, v15
	s_and_b32 s0, s0, exec_lo
	s_delay_alu instid0(SALU_CYCLE_1)
	s_or_b32 s18, s18, s0
	s_or_b32 exec_lo, exec_lo, s19
	v_mov_b32_e32 v11, 0
	s_and_saveexec_b32 s0, s18
	s_cbranch_execnz .LBB254_2308
	s_branch .LBB254_2309
.LBB254_2747:
	s_and_not1_saveexec_b32 s20, s0
	s_cbranch_execz .LBB254_2327
.LBB254_2748:
	v_add_f32_e64 v11, 0x42800000, |v19|
	s_and_not1_b32 s19, s19, exec_lo
	s_delay_alu instid0(VALU_DEP_1) | instskip(NEXT) | instid1(VALU_DEP_1)
	v_and_b32_e32 v15, 0xff, v11
	v_cmp_ne_u32_e64 s0, 0, v15
	s_and_b32 s0, s0, exec_lo
	s_delay_alu instid0(SALU_CYCLE_1)
	s_or_b32 s19, s19, s0
	s_or_b32 exec_lo, exec_lo, s20
	v_mov_b32_e32 v11, 0
	s_and_saveexec_b32 s0, s19
	s_cbranch_execnz .LBB254_2328
	s_branch .LBB254_2329
.LBB254_2749:
	s_and_not1_saveexec_b32 s21, s0
	s_cbranch_execz .LBB254_2380
.LBB254_2750:
	v_add_f32_e64 v9, 0x42800000, |v11|
	s_and_not1_b32 s20, s20, exec_lo
	s_delay_alu instid0(VALU_DEP_1) | instskip(NEXT) | instid1(VALU_DEP_1)
	v_and_b32_e32 v13, 0xff, v9
	v_cmp_ne_u32_e64 s0, 0, v13
	s_and_b32 s0, s0, exec_lo
	s_delay_alu instid0(SALU_CYCLE_1)
	s_or_b32 s20, s20, s0
	s_or_b32 exec_lo, exec_lo, s21
	v_mov_b32_e32 v9, 0
	s_and_saveexec_b32 s0, s20
	s_cbranch_execnz .LBB254_2381
	s_branch .LBB254_2382
.LBB254_2751:
	s_and_not1_saveexec_b32 s19, s0
	s_cbranch_execz .LBB254_798
.LBB254_2752:
	v_add_f32_e64 v11, 0x42800000, |v13|
	s_and_not1_b32 s18, s18, exec_lo
	s_delay_alu instid0(VALU_DEP_1) | instskip(NEXT) | instid1(VALU_DEP_1)
	v_and_b32_e32 v15, 0xff, v11
	v_cmp_ne_u32_e64 s0, 0, v15
	s_and_b32 s0, s0, exec_lo
	s_delay_alu instid0(SALU_CYCLE_1)
	s_or_b32 s18, s18, s0
	s_or_b32 exec_lo, exec_lo, s19
	v_mov_b32_e32 v11, 0
	s_and_saveexec_b32 s0, s18
	s_cbranch_execnz .LBB254_799
	s_branch .LBB254_800
.LBB254_2753:
	s_and_not1_saveexec_b32 s21, s0
	s_cbranch_execz .LBB254_808
.LBB254_2754:
	v_add_f32_e32 v11, 0x42800000, v15
	s_and_not1_b32 s20, s20, exec_lo
	s_delay_alu instid0(VALU_DEP_1) | instskip(NEXT) | instid1(VALU_DEP_1)
	v_and_b32_e32 v13, 0xff, v11
	v_cmp_ne_u32_e64 s0, 0, v13
	s_and_b32 s0, s0, exec_lo
	s_delay_alu instid0(SALU_CYCLE_1)
	s_or_b32 s20, s20, s0
	s_or_b32 exec_lo, exec_lo, s21
	v_mov_b32_e32 v11, 0
	s_and_saveexec_b32 s0, s20
	s_cbranch_execnz .LBB254_809
	s_branch .LBB254_810
.LBB254_2755:
	s_and_not1_saveexec_b32 s23, s0
	s_cbranch_execz .LBB254_1037
.LBB254_2756:
	v_add_f32_e32 v9, 0x42800000, v13
	s_and_not1_b32 s22, s22, exec_lo
	s_delay_alu instid0(VALU_DEP_1) | instskip(NEXT) | instid1(VALU_DEP_1)
	v_and_b32_e32 v11, 0xff, v9
	v_cmp_ne_u32_e64 s0, 0, v11
	s_and_b32 s0, s0, exec_lo
	s_delay_alu instid0(SALU_CYCLE_1)
	s_or_b32 s22, s22, s0
	s_or_b32 exec_lo, exec_lo, s23
	v_mov_b32_e32 v9, 0
	s_and_saveexec_b32 s0, s22
	s_cbranch_execnz .LBB254_1038
	s_branch .LBB254_1039
.LBB254_2757:
	s_and_not1_saveexec_b32 s23, s0
	s_cbranch_execz .LBB254_1049
.LBB254_2758:
	v_add_f32_e32 v9, 0x42800000, v13
	s_and_not1_b32 s22, s22, exec_lo
	s_delay_alu instid0(VALU_DEP_1) | instskip(NEXT) | instid1(VALU_DEP_1)
	v_and_b32_e32 v11, 0xff, v9
	v_cmp_ne_u32_e64 s0, 0, v11
	s_and_b32 s0, s0, exec_lo
	s_delay_alu instid0(SALU_CYCLE_1)
	s_or_b32 s22, s22, s0
	s_or_b32 exec_lo, exec_lo, s23
	v_mov_b32_e32 v9, 0
	s_and_saveexec_b32 s0, s22
	s_cbranch_execnz .LBB254_1050
	s_branch .LBB254_1051
.LBB254_2759:
	s_and_not1_saveexec_b32 s23, s0
	s_cbranch_execz .LBB254_1057
.LBB254_2760:
	v_add_f32_e32 v9, 0x42800000, v13
	s_and_not1_b32 s22, s22, exec_lo
	s_delay_alu instid0(VALU_DEP_1) | instskip(NEXT) | instid1(VALU_DEP_1)
	v_and_b32_e32 v11, 0xff, v9
	v_cmp_ne_u32_e64 s0, 0, v11
	s_and_b32 s0, s0, exec_lo
	s_delay_alu instid0(SALU_CYCLE_1)
	s_or_b32 s22, s22, s0
	s_or_b32 exec_lo, exec_lo, s23
	v_mov_b32_e32 v9, 0
	s_and_saveexec_b32 s0, s22
	s_cbranch_execnz .LBB254_1058
	s_branch .LBB254_1059
.LBB254_2761:
	s_and_not1_saveexec_b32 s22, s0
	s_cbranch_execz .LBB254_1096
.LBB254_2762:
	v_add_f32_e64 v9, 0x42800000, |v11|
	s_and_not1_b32 s21, s21, exec_lo
	s_delay_alu instid0(VALU_DEP_1) | instskip(NEXT) | instid1(VALU_DEP_1)
	v_and_b32_e32 v13, 0xff, v9
	v_cmp_ne_u32_e64 s0, 0, v13
	s_and_b32 s0, s0, exec_lo
	s_delay_alu instid0(SALU_CYCLE_1)
	s_or_b32 s21, s21, s0
	s_or_b32 exec_lo, exec_lo, s22
	v_mov_b32_e32 v9, 0
	s_and_saveexec_b32 s0, s21
	s_cbranch_execnz .LBB254_1097
	s_branch .LBB254_1098
.LBB254_2763:
	s_and_not1_saveexec_b32 s22, s0
	s_cbranch_execz .LBB254_1104
.LBB254_2764:
	v_add_f32_e64 v9, 0x42800000, |v11|
	s_and_not1_b32 s21, s21, exec_lo
	s_delay_alu instid0(VALU_DEP_1) | instskip(NEXT) | instid1(VALU_DEP_1)
	v_and_b32_e32 v13, 0xff, v9
	v_cmp_ne_u32_e64 s0, 0, v13
	s_and_b32 s0, s0, exec_lo
	s_delay_alu instid0(SALU_CYCLE_1)
	s_or_b32 s21, s21, s0
	s_or_b32 exec_lo, exec_lo, s22
	v_mov_b32_e32 v9, 0
	s_and_saveexec_b32 s0, s21
	s_cbranch_execnz .LBB254_1105
	s_branch .LBB254_1106
.LBB254_2765:
	s_and_not1_saveexec_b32 s22, s0
	s_cbranch_execz .LBB254_1124
.LBB254_2766:
	v_add_f32_e64 v9, 0x42800000, |v11|
	s_and_not1_b32 s21, s21, exec_lo
	s_delay_alu instid0(VALU_DEP_1) | instskip(NEXT) | instid1(VALU_DEP_1)
	v_and_b32_e32 v13, 0xff, v9
	v_cmp_ne_u32_e64 s0, 0, v13
	s_and_b32 s0, s0, exec_lo
	s_delay_alu instid0(SALU_CYCLE_1)
	s_or_b32 s21, s21, s0
	s_or_b32 exec_lo, exec_lo, s22
	v_mov_b32_e32 v9, 0
	s_and_saveexec_b32 s0, s21
	s_cbranch_execnz .LBB254_1125
	s_branch .LBB254_1126
.LBB254_2767:
	s_and_not1_saveexec_b32 s22, s0
	s_cbranch_execz .LBB254_1132
.LBB254_2768:
	v_add_f32_e64 v9, 0x42800000, |v11|
	s_and_not1_b32 s21, s21, exec_lo
	s_delay_alu instid0(VALU_DEP_1) | instskip(NEXT) | instid1(VALU_DEP_1)
	v_and_b32_e32 v13, 0xff, v9
	v_cmp_ne_u32_e64 s0, 0, v13
	s_and_b32 s0, s0, exec_lo
	s_delay_alu instid0(SALU_CYCLE_1)
	s_or_b32 s21, s21, s0
	s_or_b32 exec_lo, exec_lo, s22
	v_mov_b32_e32 v9, 0
	s_and_saveexec_b32 s0, s21
	s_cbranch_execnz .LBB254_1133
	s_branch .LBB254_1134
.LBB254_2769:
	s_and_not1_saveexec_b32 s22, s0
	s_cbranch_execz .LBB254_1154
.LBB254_2770:
	v_add_f32_e64 v9, 0x42800000, |v11|
	s_and_not1_b32 s21, s21, exec_lo
	s_delay_alu instid0(VALU_DEP_1) | instskip(NEXT) | instid1(VALU_DEP_1)
	v_and_b32_e32 v13, 0xff, v9
	v_cmp_ne_u32_e64 s0, 0, v13
	s_and_b32 s0, s0, exec_lo
	s_delay_alu instid0(SALU_CYCLE_1)
	s_or_b32 s21, s21, s0
	s_or_b32 exec_lo, exec_lo, s22
	v_mov_b32_e32 v9, 0
	s_and_saveexec_b32 s0, s21
	s_cbranch_execnz .LBB254_1155
	s_branch .LBB254_1156
.LBB254_2771:
	s_and_not1_saveexec_b32 s22, s0
	s_cbranch_execz .LBB254_1162
.LBB254_2772:
	v_add_f32_e64 v9, 0x42800000, |v11|
	s_and_not1_b32 s21, s21, exec_lo
	s_delay_alu instid0(VALU_DEP_1) | instskip(NEXT) | instid1(VALU_DEP_1)
	v_and_b32_e32 v13, 0xff, v9
	v_cmp_ne_u32_e64 s0, 0, v13
	s_and_b32 s0, s0, exec_lo
	s_delay_alu instid0(SALU_CYCLE_1)
	s_or_b32 s21, s21, s0
	s_or_b32 exec_lo, exec_lo, s22
	v_mov_b32_e32 v9, 0
	s_and_saveexec_b32 s0, s21
	s_cbranch_execnz .LBB254_1163
	s_branch .LBB254_1164
.LBB254_2773:
	s_and_not1_saveexec_b32 s24, s0
	s_cbranch_execz .LBB254_1262
.LBB254_2774:
	v_add_f32_e64 v11, 0x42800000, |v13|
	s_and_not1_b32 s23, s23, exec_lo
	s_delay_alu instid0(VALU_DEP_1) | instskip(NEXT) | instid1(VALU_DEP_1)
	v_and_b32_e32 v15, 0xff, v11
	v_cmp_ne_u32_e64 s0, 0, v15
	s_and_b32 s0, s0, exec_lo
	s_delay_alu instid0(SALU_CYCLE_1)
	s_or_b32 s23, s23, s0
	s_or_b32 exec_lo, exec_lo, s24
	v_mov_b32_e32 v11, 0
	s_and_saveexec_b32 s0, s23
	s_cbranch_execnz .LBB254_1263
	s_branch .LBB254_1264
.LBB254_2775:
	s_and_not1_saveexec_b32 s23, s0
	s_cbranch_execz .LBB254_1303
.LBB254_2776:
	v_add_f32_e64 v11, 0x42800000, |v13|
	s_and_not1_b32 s22, s22, exec_lo
	s_delay_alu instid0(VALU_DEP_1) | instskip(NEXT) | instid1(VALU_DEP_1)
	v_and_b32_e32 v15, 0xff, v11
	v_cmp_ne_u32_e64 s0, 0, v15
	s_and_b32 s0, s0, exec_lo
	s_delay_alu instid0(SALU_CYCLE_1)
	s_or_b32 s22, s22, s0
	s_or_b32 exec_lo, exec_lo, s23
	v_mov_b32_e32 v11, 0
	s_and_saveexec_b32 s0, s22
	s_cbranch_execnz .LBB254_1304
	s_branch .LBB254_1305
.LBB254_2777:
	s_and_not1_saveexec_b32 s23, s0
	s_cbranch_execz .LBB254_1331
.LBB254_2778:
	v_add_f32_e64 v11, 0x42800000, |v13|
	s_and_not1_b32 s22, s22, exec_lo
	s_delay_alu instid0(VALU_DEP_1) | instskip(NEXT) | instid1(VALU_DEP_1)
	v_and_b32_e32 v15, 0xff, v11
	v_cmp_ne_u32_e64 s0, 0, v15
	s_and_b32 s0, s0, exec_lo
	s_delay_alu instid0(SALU_CYCLE_1)
	s_or_b32 s22, s22, s0
	s_or_b32 exec_lo, exec_lo, s23
	v_mov_b32_e32 v11, 0
	s_and_saveexec_b32 s0, s22
	s_cbranch_execnz .LBB254_1332
	s_branch .LBB254_1333
.LBB254_2779:
	s_and_not1_saveexec_b32 s23, s0
	s_cbranch_execz .LBB254_1361
.LBB254_2780:
	v_add_f32_e64 v11, 0x42800000, |v13|
	s_and_not1_b32 s22, s22, exec_lo
	s_delay_alu instid0(VALU_DEP_1) | instskip(NEXT) | instid1(VALU_DEP_1)
	v_and_b32_e32 v15, 0xff, v11
	v_cmp_ne_u32_e64 s0, 0, v15
	s_and_b32 s0, s0, exec_lo
	s_delay_alu instid0(SALU_CYCLE_1)
	s_or_b32 s22, s22, s0
	s_or_b32 exec_lo, exec_lo, s23
	v_mov_b32_e32 v11, 0
	s_and_saveexec_b32 s0, s22
	s_cbranch_execnz .LBB254_1362
	s_branch .LBB254_1363
.LBB254_2781:
	s_and_not1_saveexec_b32 s23, s0
	s_cbranch_execz .LBB254_1371
.LBB254_2782:
	v_add_f32_e64 v11, 0x42800000, |v13|
	s_and_not1_b32 s22, s22, exec_lo
	s_delay_alu instid0(VALU_DEP_1) | instskip(NEXT) | instid1(VALU_DEP_1)
	v_and_b32_e32 v15, 0xff, v11
	v_cmp_ne_u32_e64 s0, 0, v15
	s_and_b32 s0, s0, exec_lo
	s_delay_alu instid0(SALU_CYCLE_1)
	s_or_b32 s22, s22, s0
	s_or_b32 exec_lo, exec_lo, s23
	v_mov_b32_e32 v11, 0
	s_and_saveexec_b32 s0, s22
	s_cbranch_execnz .LBB254_1372
	s_branch .LBB254_1373
.LBB254_2783:
	s_and_not1_saveexec_b32 s23, s0
	s_cbranch_execz .LBB254_1379
.LBB254_2784:
	v_add_f32_e32 v11, 0x42800000, v15
	s_and_not1_b32 s22, s22, exec_lo
	s_delay_alu instid0(VALU_DEP_1) | instskip(NEXT) | instid1(VALU_DEP_1)
	v_and_b32_e32 v13, 0xff, v11
	v_cmp_ne_u32_e64 s0, 0, v13
	s_and_b32 s0, s0, exec_lo
	s_delay_alu instid0(SALU_CYCLE_1)
	s_or_b32 s22, s22, s0
	s_or_b32 exec_lo, exec_lo, s23
	v_mov_b32_e32 v11, 0
	s_and_saveexec_b32 s0, s22
	s_cbranch_execnz .LBB254_1380
	s_branch .LBB254_1381
.LBB254_2785:
	s_or_saveexec_b32 s26, s26
	v_mov_b32_e32 v7, 0x7f800001
	s_xor_b32 exec_lo, exec_lo, s26
	s_cbranch_execz .LBB254_1475
.LBB254_2786:
	v_cmp_ne_u16_e64 s0, 0, v9
	v_mov_b32_e32 v7, 0
	s_and_not1_b32 s25, s25, exec_lo
	s_and_b32 s0, s0, exec_lo
	s_delay_alu instid0(SALU_CYCLE_1)
	s_or_b32 s25, s25, s0
	s_or_b32 exec_lo, exec_lo, s26
	s_and_saveexec_b32 s26, s25
	s_cbranch_execnz .LBB254_1476
	s_branch .LBB254_1477
.LBB254_2787:
	s_and_not1_saveexec_b32 s26, s0
	s_cbranch_execz .LBB254_1681
.LBB254_2788:
	v_add_f32_e32 v2, 0x42800000, v3
	s_and_not1_b32 s25, s25, exec_lo
	s_delay_alu instid0(VALU_DEP_1) | instskip(NEXT) | instid1(VALU_DEP_1)
	v_and_b32_e32 v2, 0xff, v2
	v_cmp_ne_u32_e64 s0, 0, v2
	s_and_b32 s0, s0, exec_lo
	s_delay_alu instid0(SALU_CYCLE_1)
	s_or_b32 s25, s25, s0
	s_or_b32 exec_lo, exec_lo, s26
	v_mov_b32_e32 v7, 0
	s_and_saveexec_b32 s0, s25
	s_cbranch_execnz .LBB254_1682
	s_branch .LBB254_1683
.LBB254_2789:
	s_and_not1_saveexec_b32 s27, s27
	s_cbranch_execz .LBB254_1944
.LBB254_2790:
	s_mov_b32 s28, s0
	s_mov_b32 s26, exec_lo
	v_cmpx_lt_i16_e32 22, v5
	s_xor_b32 s26, exec_lo, s26
	s_cbranch_execz .LBB254_2822
; %bb.2791:
	s_mov_b32 s28, exec_lo
	v_cmpx_lt_i16_e32 23, v5
	s_xor_b32 s28, exec_lo, s28
	s_cbranch_execz .LBB254_2811
; %bb.2792:
	;; [unrolled: 5-line block ×3, first 2 shown]
	s_wait_dscnt 0x0
	v_cndmask_b32_e64 v7, 0, 1.0, s13
	v_mov_b32_e32 v8, 0x80
	s_mov_b32 s30, exec_lo
	s_delay_alu instid0(VALU_DEP_2)
	v_cmpx_gt_u32_e32 0x47800000, v7
	s_cbranch_execz .LBB254_2799
; %bb.2794:
	s_mov_b32 s31, 0
	s_mov_b32 s33, exec_lo
                                        ; implicit-def: $vgpr5
	v_cmpx_lt_u32_e32 0x37ffffff, v7
	s_xor_b32 s33, exec_lo, s33
	s_cbranch_execz .LBB254_3044
; %bb.2795:
	v_bfe_u32 v5, v7, 21, 1
	s_mov_b32 s31, exec_lo
	s_delay_alu instid0(VALU_DEP_1) | instskip(NEXT) | instid1(VALU_DEP_1)
	v_add3_u32 v5, v7, v5, 0x88fffff
                                        ; implicit-def: $vgpr7
	v_lshrrev_b32_e32 v5, 21, v5
	s_and_not1_saveexec_b32 s33, s33
	s_cbranch_execnz .LBB254_3045
.LBB254_2796:
	s_or_b32 exec_lo, exec_lo, s33
	v_mov_b32_e32 v8, 0
	s_and_saveexec_b32 s33, s31
.LBB254_2797:
	v_mov_b32_e32 v8, v5
.LBB254_2798:
	s_or_b32 exec_lo, exec_lo, s33
.LBB254_2799:
	s_delay_alu instid0(SALU_CYCLE_1)
	s_or_b32 exec_lo, exec_lo, s30
	flat_store_b8 v[2:3], v8
.LBB254_2800:
	s_wait_xcnt 0x0
	s_and_not1_saveexec_b32 s29, s29
	s_cbranch_execz .LBB254_2810
; %bb.2801:
	s_wait_dscnt 0x0
	v_cndmask_b32_e64 v7, 0, 1.0, s13
	s_mov_b32 s30, exec_lo
                                        ; implicit-def: $vgpr5
	s_delay_alu instid0(VALU_DEP_1)
	v_cmpx_gt_u32_e32 0x43f00000, v7
	s_xor_b32 s30, exec_lo, s30
	s_cbranch_execz .LBB254_2807
; %bb.2802:
	s_mov_b32 s31, exec_lo
                                        ; implicit-def: $vgpr5
	v_cmpx_lt_u32_e32 0x3c7fffff, v7
	s_xor_b32 s31, exec_lo, s31
; %bb.2803:
	v_bfe_u32 v5, v7, 20, 1
	s_delay_alu instid0(VALU_DEP_1) | instskip(NEXT) | instid1(VALU_DEP_1)
	v_add3_u32 v5, v7, v5, 0x407ffff
	v_and_b32_e32 v7, 0xff00000, v5
	v_lshrrev_b32_e32 v5, 20, v5
	s_delay_alu instid0(VALU_DEP_2) | instskip(NEXT) | instid1(VALU_DEP_2)
	v_cmp_ne_u32_e32 vcc_lo, 0x7f00000, v7
                                        ; implicit-def: $vgpr7
	v_cndmask_b32_e32 v5, 0x7e, v5, vcc_lo
; %bb.2804:
	s_and_not1_saveexec_b32 s31, s31
; %bb.2805:
	v_add_f32_e32 v5, 0x46800000, v7
; %bb.2806:
	s_or_b32 exec_lo, exec_lo, s31
                                        ; implicit-def: $vgpr7
.LBB254_2807:
	s_and_not1_saveexec_b32 s30, s30
; %bb.2808:
	v_mov_b32_e32 v5, 0x7f
	v_cmp_lt_u32_e32 vcc_lo, 0x7f800000, v7
	s_delay_alu instid0(VALU_DEP_2)
	v_cndmask_b32_e32 v5, 0x7e, v5, vcc_lo
; %bb.2809:
	s_or_b32 exec_lo, exec_lo, s30
	flat_store_b8 v[2:3], v5
.LBB254_2810:
	s_wait_xcnt 0x0
	s_or_b32 exec_lo, exec_lo, s29
.LBB254_2811:
	s_and_not1_saveexec_b32 s28, s28
	s_cbranch_execz .LBB254_2821
; %bb.2812:
	s_wait_dscnt 0x0
	v_cndmask_b32_e64 v7, 0, 1.0, s13
	s_mov_b32 s29, exec_lo
                                        ; implicit-def: $vgpr5
	s_delay_alu instid0(VALU_DEP_1)
	v_cmpx_gt_u32_e32 0x47800000, v7
	s_xor_b32 s29, exec_lo, s29
	s_cbranch_execz .LBB254_2818
; %bb.2813:
	s_mov_b32 s30, exec_lo
                                        ; implicit-def: $vgpr5
	v_cmpx_lt_u32_e32 0x387fffff, v7
	s_xor_b32 s30, exec_lo, s30
; %bb.2814:
	v_bfe_u32 v5, v7, 21, 1
	s_delay_alu instid0(VALU_DEP_1) | instskip(NEXT) | instid1(VALU_DEP_1)
	v_add3_u32 v5, v7, v5, 0x80fffff
                                        ; implicit-def: $vgpr7
	v_lshrrev_b32_e32 v5, 21, v5
; %bb.2815:
	s_and_not1_saveexec_b32 s30, s30
; %bb.2816:
	v_add_f32_e32 v5, 0x43000000, v7
; %bb.2817:
	s_or_b32 exec_lo, exec_lo, s30
                                        ; implicit-def: $vgpr7
.LBB254_2818:
	s_and_not1_saveexec_b32 s29, s29
; %bb.2819:
	v_mov_b32_e32 v5, 0x7f
	v_cmp_lt_u32_e32 vcc_lo, 0x7f800000, v7
	s_delay_alu instid0(VALU_DEP_2)
	v_cndmask_b32_e32 v5, 0x7c, v5, vcc_lo
; %bb.2820:
	s_or_b32 exec_lo, exec_lo, s29
	flat_store_b8 v[2:3], v5
.LBB254_2821:
	s_wait_xcnt 0x0
	s_or_b32 exec_lo, exec_lo, s28
	s_delay_alu instid0(SALU_CYCLE_1)
	s_or_b32 s28, s0, exec_lo
                                        ; implicit-def: $vgpr5
.LBB254_2822:
	s_or_saveexec_b32 s26, s26
	s_mov_b32 s29, 0
	s_mov_b32 s30, s24
	s_xor_b32 exec_lo, exec_lo, s26
	s_cbranch_execz .LBB254_2830
; %bb.2823:
	s_mov_b32 s29, s24
	s_mov_b32 s30, s28
	s_mov_b32 s31, exec_lo
	v_cmpx_lt_i16_e32 14, v5
	s_xor_b32 s31, exec_lo, s31
	s_cbranch_execz .LBB254_2827
; %bb.2824:
	s_mov_b32 s29, -1
	s_mov_b32 s33, s28
	s_mov_b32 s30, exec_lo
	v_cmpx_eq_u16_e32 15, v5
	s_cbranch_execz .LBB254_2826
; %bb.2825:
	v_cndmask_b32_e64 v5, 0, 1.0, s13
	s_or_b32 s33, s28, exec_lo
	s_xor_b32 s29, exec_lo, -1
	s_wait_dscnt 0x0
	s_delay_alu instid0(VALU_DEP_1) | instskip(NEXT) | instid1(VALU_DEP_1)
	v_bfe_u32 v7, v5, 16, 1
	v_add3_u32 v5, v5, v7, 0x7fff
	flat_store_d16_hi_b16 v[2:3], v5
.LBB254_2826:
	s_wait_xcnt 0x0
	s_or_b32 exec_lo, exec_lo, s30
	s_delay_alu instid0(SALU_CYCLE_1)
	s_and_not1_b32 s30, s28, exec_lo
	s_and_b32 s33, s33, exec_lo
	s_and_not1_b32 s34, s24, exec_lo
	s_and_b32 s29, s29, exec_lo
	s_or_b32 s30, s30, s33
	s_or_b32 s29, s34, s29
                                        ; implicit-def: $vgpr5
.LBB254_2827:
	s_or_saveexec_b32 s33, s31
	s_mov_b32 s31, 0
	s_xor_b32 exec_lo, exec_lo, s33
; %bb.2828:
	v_cmp_ne_u16_e32 vcc_lo, 11, v5
	s_and_not1_b32 s29, s29, exec_lo
	s_mov_b32 s31, exec_lo
	s_and_b32 s34, vcc_lo, exec_lo
	s_delay_alu instid0(SALU_CYCLE_1)
	s_or_b32 s29, s29, s34
; %bb.2829:
	s_or_b32 exec_lo, exec_lo, s33
	s_delay_alu instid0(SALU_CYCLE_1)
	s_and_not1_b32 s28, s28, exec_lo
	s_and_b32 s30, s30, exec_lo
	s_and_b32 s33, s29, exec_lo
	s_or_b32 s28, s28, s30
	s_and_not1_b32 s30, s24, exec_lo
	s_and_b32 s29, s31, exec_lo
	s_or_b32 s30, s30, s33
.LBB254_2830:
	s_or_b32 exec_lo, exec_lo, s26
	s_delay_alu instid0(SALU_CYCLE_1)
	s_and_not1_b32 s0, s0, exec_lo
	s_and_b32 s26, s28, exec_lo
	s_and_not1_b32 s24, s24, exec_lo
	s_and_b32 s28, s30, exec_lo
	s_or_b32 s0, s0, s26
	s_and_b32 s26, s29, exec_lo
	s_or_b32 s24, s24, s28
	s_or_b32 exec_lo, exec_lo, s27
	s_mov_b32 s27, s23
	s_and_saveexec_b32 s28, s24
	s_cbranch_execz .LBB254_1945
.LBB254_2831:
	s_or_b32 s27, s23, exec_lo
	s_and_not1_b32 s26, s26, exec_lo
	s_trap 2
	s_or_b32 exec_lo, exec_lo, s28
	s_and_saveexec_b32 s24, s26
	s_delay_alu instid0(SALU_CYCLE_1)
	s_xor_b32 s24, exec_lo, s24
	s_cbranch_execnz .LBB254_1946
	s_branch .LBB254_1947
.LBB254_2832:
	s_and_not1_saveexec_b32 s22, s0
	s_cbranch_execz .LBB254_2371
.LBB254_2833:
	v_add_f32_e64 v9, 0x42800000, |v11|
	s_and_not1_b32 s21, s21, exec_lo
	s_delay_alu instid0(VALU_DEP_1) | instskip(NEXT) | instid1(VALU_DEP_1)
	v_and_b32_e32 v13, 0xff, v9
	v_cmp_ne_u32_e64 s0, 0, v13
	s_and_b32 s0, s0, exec_lo
	s_delay_alu instid0(SALU_CYCLE_1)
	s_or_b32 s21, s21, s0
	s_or_b32 exec_lo, exec_lo, s22
	v_mov_b32_e32 v9, 0
	s_and_saveexec_b32 s0, s21
	s_cbranch_execnz .LBB254_2372
	s_branch .LBB254_2373
.LBB254_2834:
	s_and_not1_saveexec_b32 s23, s0
	s_cbranch_execz .LBB254_2391
.LBB254_2835:
	v_add_f32_e64 v9, 0x42800000, |v15|
	s_and_not1_b32 s22, s22, exec_lo
	s_delay_alu instid0(VALU_DEP_1) | instskip(NEXT) | instid1(VALU_DEP_1)
	v_and_b32_e32 v13, 0xff, v9
	v_cmp_ne_u32_e64 s0, 0, v13
	s_and_b32 s0, s0, exec_lo
	s_delay_alu instid0(SALU_CYCLE_1)
	s_or_b32 s22, s22, s0
	s_or_b32 exec_lo, exec_lo, s23
	v_mov_b32_e32 v9, 0
	s_and_saveexec_b32 s0, s22
	s_cbranch_execnz .LBB254_2392
	s_branch .LBB254_2393
.LBB254_2836:
	s_and_not1_saveexec_b32 s23, s0
	s_cbranch_execz .LBB254_2455
.LBB254_2837:
	v_add_f32_e64 v11, 0x42800000, |v13|
	s_and_not1_b32 s22, s22, exec_lo
	s_delay_alu instid0(VALU_DEP_1) | instskip(NEXT) | instid1(VALU_DEP_1)
	v_and_b32_e32 v15, 0xff, v11
	v_cmp_ne_u32_e64 s0, 0, v15
	s_and_b32 s0, s0, exec_lo
	s_delay_alu instid0(SALU_CYCLE_1)
	s_or_b32 s22, s22, s0
	s_or_b32 exec_lo, exec_lo, s23
	v_mov_b32_e32 v11, 0
	s_and_saveexec_b32 s0, s22
	s_cbranch_execnz .LBB254_2456
	s_branch .LBB254_2457
.LBB254_2838:
	s_and_not1_saveexec_b32 s22, s0
	s_cbranch_execz .LBB254_1016
.LBB254_2839:
	v_add_f32_e64 v9, 0x42800000, |v11|
	s_and_not1_b32 s21, s21, exec_lo
	s_delay_alu instid0(VALU_DEP_1) | instskip(NEXT) | instid1(VALU_DEP_1)
	v_and_b32_e32 v13, 0xff, v9
	v_cmp_ne_u32_e64 s0, 0, v13
	s_and_b32 s0, s0, exec_lo
	s_delay_alu instid0(SALU_CYCLE_1)
	s_or_b32 s21, s21, s0
	s_or_b32 exec_lo, exec_lo, s22
	v_mov_b32_e32 v9, 0
	s_and_saveexec_b32 s0, s21
	s_cbranch_execnz .LBB254_1017
	s_branch .LBB254_1018
.LBB254_2840:
	s_and_not1_saveexec_b32 s24, s0
	s_cbranch_execz .LBB254_1026
.LBB254_2841:
	v_add_f32_e32 v9, 0x42800000, v13
	s_and_not1_b32 s23, s23, exec_lo
	s_delay_alu instid0(VALU_DEP_1) | instskip(NEXT) | instid1(VALU_DEP_1)
	v_and_b32_e32 v11, 0xff, v9
	v_cmp_ne_u32_e64 s0, 0, v11
	s_and_b32 s0, s0, exec_lo
	s_delay_alu instid0(SALU_CYCLE_1)
	s_or_b32 s23, s23, s0
	s_or_b32 exec_lo, exec_lo, s24
	v_mov_b32_e32 v9, 0
	s_and_saveexec_b32 s0, s23
	s_cbranch_execnz .LBB254_1027
	s_branch .LBB254_1028
.LBB254_2842:
	s_and_not1_saveexec_b32 s25, s0
	s_cbranch_execz .LBB254_1227
.LBB254_2843:
	v_add_f32_e32 v11, 0x42800000, v15
	s_and_not1_b32 s24, s24, exec_lo
	s_delay_alu instid0(VALU_DEP_1) | instskip(NEXT) | instid1(VALU_DEP_1)
	v_and_b32_e32 v13, 0xff, v11
	v_cmp_ne_u32_e64 s0, 0, v13
	s_and_b32 s0, s0, exec_lo
	s_delay_alu instid0(SALU_CYCLE_1)
	s_or_b32 s24, s24, s0
	s_or_b32 exec_lo, exec_lo, s25
	v_mov_b32_e32 v11, 0
	s_and_saveexec_b32 s0, s24
	s_cbranch_execnz .LBB254_1228
	s_branch .LBB254_1229
.LBB254_2844:
	s_and_not1_saveexec_b32 s25, s0
	s_cbranch_execz .LBB254_1239
.LBB254_2845:
	v_add_f32_e32 v11, 0x42800000, v15
	s_and_not1_b32 s24, s24, exec_lo
	s_delay_alu instid0(VALU_DEP_1) | instskip(NEXT) | instid1(VALU_DEP_1)
	v_and_b32_e32 v13, 0xff, v11
	v_cmp_ne_u32_e64 s0, 0, v13
	s_and_b32 s0, s0, exec_lo
	s_delay_alu instid0(SALU_CYCLE_1)
	s_or_b32 s24, s24, s0
	s_or_b32 exec_lo, exec_lo, s25
	v_mov_b32_e32 v11, 0
	s_and_saveexec_b32 s0, s24
	s_cbranch_execnz .LBB254_1240
	s_branch .LBB254_1241
.LBB254_2846:
	s_and_not1_saveexec_b32 s25, s0
	s_cbranch_execz .LBB254_1247
.LBB254_2847:
	v_add_f32_e32 v11, 0x42800000, v15
	s_and_not1_b32 s24, s24, exec_lo
	s_delay_alu instid0(VALU_DEP_1) | instskip(NEXT) | instid1(VALU_DEP_1)
	v_and_b32_e32 v13, 0xff, v11
	v_cmp_ne_u32_e64 s0, 0, v13
	s_and_b32 s0, s0, exec_lo
	s_delay_alu instid0(SALU_CYCLE_1)
	s_or_b32 s24, s24, s0
	s_or_b32 exec_lo, exec_lo, s25
	v_mov_b32_e32 v11, 0
	s_and_saveexec_b32 s0, s24
	s_cbranch_execnz .LBB254_1248
	s_branch .LBB254_1249
.LBB254_2848:
	s_and_not1_saveexec_b32 s24, s0
	s_cbranch_execz .LBB254_1286
.LBB254_2849:
	v_add_f32_e64 v11, 0x42800000, |v13|
	s_and_not1_b32 s23, s23, exec_lo
	s_delay_alu instid0(VALU_DEP_1) | instskip(NEXT) | instid1(VALU_DEP_1)
	v_and_b32_e32 v15, 0xff, v11
	v_cmp_ne_u32_e64 s0, 0, v15
	s_and_b32 s0, s0, exec_lo
	s_delay_alu instid0(SALU_CYCLE_1)
	s_or_b32 s23, s23, s0
	s_or_b32 exec_lo, exec_lo, s24
	v_mov_b32_e32 v11, 0
	s_and_saveexec_b32 s0, s23
	s_cbranch_execnz .LBB254_1287
	s_branch .LBB254_1288
.LBB254_2850:
	s_and_not1_saveexec_b32 s24, s0
	s_cbranch_execz .LBB254_1294
.LBB254_2851:
	v_add_f32_e64 v11, 0x42800000, |v13|
	s_and_not1_b32 s23, s23, exec_lo
	s_delay_alu instid0(VALU_DEP_1) | instskip(NEXT) | instid1(VALU_DEP_1)
	v_and_b32_e32 v15, 0xff, v11
	v_cmp_ne_u32_e64 s0, 0, v15
	s_and_b32 s0, s0, exec_lo
	s_delay_alu instid0(SALU_CYCLE_1)
	s_or_b32 s23, s23, s0
	s_or_b32 exec_lo, exec_lo, s24
	v_mov_b32_e32 v11, 0
	s_and_saveexec_b32 s0, s23
	s_cbranch_execnz .LBB254_1295
	s_branch .LBB254_1296
.LBB254_2852:
	s_and_not1_saveexec_b32 s24, s0
	s_cbranch_execz .LBB254_1314
.LBB254_2853:
	v_add_f32_e64 v11, 0x42800000, |v13|
	s_and_not1_b32 s23, s23, exec_lo
	s_delay_alu instid0(VALU_DEP_1) | instskip(NEXT) | instid1(VALU_DEP_1)
	v_and_b32_e32 v15, 0xff, v11
	v_cmp_ne_u32_e64 s0, 0, v15
	s_and_b32 s0, s0, exec_lo
	s_delay_alu instid0(SALU_CYCLE_1)
	s_or_b32 s23, s23, s0
	s_or_b32 exec_lo, exec_lo, s24
	v_mov_b32_e32 v11, 0
	s_and_saveexec_b32 s0, s23
	s_cbranch_execnz .LBB254_1315
	s_branch .LBB254_1316
.LBB254_2854:
	s_and_not1_saveexec_b32 s24, s0
	s_cbranch_execz .LBB254_1322
.LBB254_2855:
	v_add_f32_e64 v11, 0x42800000, |v13|
	s_and_not1_b32 s23, s23, exec_lo
	s_delay_alu instid0(VALU_DEP_1) | instskip(NEXT) | instid1(VALU_DEP_1)
	v_and_b32_e32 v15, 0xff, v11
	v_cmp_ne_u32_e64 s0, 0, v15
	s_and_b32 s0, s0, exec_lo
	s_delay_alu instid0(SALU_CYCLE_1)
	s_or_b32 s23, s23, s0
	s_or_b32 exec_lo, exec_lo, s24
	v_mov_b32_e32 v11, 0
	s_and_saveexec_b32 s0, s23
	s_cbranch_execnz .LBB254_1323
	s_branch .LBB254_1324
.LBB254_2856:
	s_and_not1_saveexec_b32 s24, s0
	s_cbranch_execz .LBB254_1344
.LBB254_2857:
	v_add_f32_e64 v11, 0x42800000, |v13|
	s_and_not1_b32 s23, s23, exec_lo
	s_delay_alu instid0(VALU_DEP_1) | instskip(NEXT) | instid1(VALU_DEP_1)
	v_and_b32_e32 v15, 0xff, v11
	v_cmp_ne_u32_e64 s0, 0, v15
	s_and_b32 s0, s0, exec_lo
	s_delay_alu instid0(SALU_CYCLE_1)
	s_or_b32 s23, s23, s0
	s_or_b32 exec_lo, exec_lo, s24
	v_mov_b32_e32 v11, 0
	s_and_saveexec_b32 s0, s23
	s_cbranch_execnz .LBB254_1345
	s_branch .LBB254_1346
.LBB254_2858:
	s_and_not1_saveexec_b32 s24, s0
	s_cbranch_execz .LBB254_1352
.LBB254_2859:
	v_add_f32_e64 v11, 0x42800000, |v13|
	s_and_not1_b32 s23, s23, exec_lo
	s_delay_alu instid0(VALU_DEP_1) | instskip(NEXT) | instid1(VALU_DEP_1)
	v_and_b32_e32 v15, 0xff, v11
	v_cmp_ne_u32_e64 s0, 0, v15
	s_and_b32 s0, s0, exec_lo
	s_delay_alu instid0(SALU_CYCLE_1)
	s_or_b32 s23, s23, s0
	s_or_b32 exec_lo, exec_lo, s24
	v_mov_b32_e32 v11, 0
	s_and_saveexec_b32 s0, s23
	s_cbranch_execnz .LBB254_1353
	s_branch .LBB254_1354
.LBB254_2860:
	s_and_not1_saveexec_b32 s27, s0
	s_cbranch_execz .LBB254_1480
.LBB254_2861:
	v_add_f32_e64 v9, 0x42800000, |v7|
	s_and_not1_b32 s26, s26, exec_lo
	s_delay_alu instid0(VALU_DEP_1) | instskip(NEXT) | instid1(VALU_DEP_1)
	v_and_b32_e32 v11, 0xff, v9
	v_cmp_ne_u32_e64 s0, 0, v11
	s_and_b32 s0, s0, exec_lo
	s_delay_alu instid0(SALU_CYCLE_1)
	s_or_b32 s26, s26, s0
	s_or_b32 exec_lo, exec_lo, s27
	v_mov_b32_e32 v9, 0
	s_and_saveexec_b32 s0, s26
	s_cbranch_execnz .LBB254_1481
	s_branch .LBB254_1482
.LBB254_2862:
	s_and_not1_saveexec_b32 s26, s0
	s_cbranch_execz .LBB254_1521
.LBB254_2863:
	v_add_f32_e64 v3, 0x42800000, |v2|
	s_and_not1_b32 s25, s25, exec_lo
	s_delay_alu instid0(VALU_DEP_1) | instskip(NEXT) | instid1(VALU_DEP_1)
	v_and_b32_e32 v3, 0xff, v3
	v_cmp_ne_u32_e64 s0, 0, v3
	s_and_b32 s0, s0, exec_lo
	s_delay_alu instid0(SALU_CYCLE_1)
	s_or_b32 s25, s25, s0
	s_or_b32 exec_lo, exec_lo, s26
	v_mov_b32_e32 v9, 0
	s_and_saveexec_b32 s0, s25
	s_cbranch_execnz .LBB254_1522
	s_branch .LBB254_1523
.LBB254_2864:
	s_and_not1_saveexec_b32 s26, s0
	s_cbranch_execz .LBB254_1549
.LBB254_2865:
	v_add_f32_e64 v3, 0x42800000, |v2|
	s_and_not1_b32 s25, s25, exec_lo
	s_delay_alu instid0(VALU_DEP_1) | instskip(NEXT) | instid1(VALU_DEP_1)
	v_and_b32_e32 v3, 0xff, v3
	v_cmp_ne_u32_e64 s0, 0, v3
	s_and_b32 s0, s0, exec_lo
	s_delay_alu instid0(SALU_CYCLE_1)
	s_or_b32 s25, s25, s0
	s_or_b32 exec_lo, exec_lo, s26
	v_mov_b32_e32 v9, 0
	s_and_saveexec_b32 s0, s25
	s_cbranch_execnz .LBB254_1550
	s_branch .LBB254_1551
.LBB254_2866:
	s_and_not1_saveexec_b32 s26, s0
	s_cbranch_execz .LBB254_1579
.LBB254_2867:
	v_add_f32_e64 v3, 0x42800000, |v2|
	s_and_not1_b32 s25, s25, exec_lo
	s_delay_alu instid0(VALU_DEP_1) | instskip(NEXT) | instid1(VALU_DEP_1)
	v_and_b32_e32 v3, 0xff, v3
	v_cmp_ne_u32_e64 s0, 0, v3
	s_and_b32 s0, s0, exec_lo
	s_delay_alu instid0(SALU_CYCLE_1)
	s_or_b32 s25, s25, s0
	s_or_b32 exec_lo, exec_lo, s26
	v_mov_b32_e32 v9, 0
	s_and_saveexec_b32 s0, s25
	s_cbranch_execnz .LBB254_1580
	s_branch .LBB254_1581
.LBB254_2868:
	s_and_not1_saveexec_b32 s26, s0
	s_cbranch_execz .LBB254_1589
.LBB254_2869:
	v_add_f32_e64 v3, 0x42800000, |v2|
	s_and_not1_b32 s25, s25, exec_lo
	s_delay_alu instid0(VALU_DEP_1) | instskip(NEXT) | instid1(VALU_DEP_1)
	v_and_b32_e32 v3, 0xff, v3
	v_cmp_ne_u32_e64 s0, 0, v3
	s_and_b32 s0, s0, exec_lo
	s_delay_alu instid0(SALU_CYCLE_1)
	s_or_b32 s25, s25, s0
	s_or_b32 exec_lo, exec_lo, s26
	v_mov_b32_e32 v9, 0
	s_and_saveexec_b32 s0, s25
	s_cbranch_execnz .LBB254_1590
	s_branch .LBB254_1591
.LBB254_2870:
	s_and_not1_saveexec_b32 s26, s0
	s_cbranch_execz .LBB254_1597
.LBB254_2871:
	v_add_f32_e32 v2, 0x42800000, v3
	s_and_not1_b32 s25, s25, exec_lo
	s_delay_alu instid0(VALU_DEP_1) | instskip(NEXT) | instid1(VALU_DEP_1)
	v_and_b32_e32 v2, 0xff, v2
	v_cmp_ne_u32_e64 s0, 0, v2
	s_and_b32 s0, s0, exec_lo
	s_delay_alu instid0(SALU_CYCLE_1)
	s_or_b32 s25, s25, s0
	s_or_b32 exec_lo, exec_lo, s26
	v_mov_b32_e32 v9, 0
	s_and_saveexec_b32 s0, s25
	s_cbranch_execnz .LBB254_1598
	s_branch .LBB254_1599
.LBB254_2872:
	s_or_saveexec_b32 s28, s28
	v_mov_b32_e32 v5, 0x7f800001
	s_xor_b32 exec_lo, exec_lo, s28
	s_cbranch_execz .LBB254_1665
.LBB254_2873:
	v_cmp_ne_u16_e64 s0, 0, v7
	v_mov_b32_e32 v5, 0
	s_and_not1_b32 s27, s27, exec_lo
	s_and_b32 s0, s0, exec_lo
	s_delay_alu instid0(SALU_CYCLE_1)
	s_or_b32 s27, s27, s0
	s_or_b32 exec_lo, exec_lo, s28
	s_and_saveexec_b32 s28, s27
	s_cbranch_execnz .LBB254_1666
	s_branch .LBB254_1667
.LBB254_2874:
	s_and_not1_saveexec_b32 s28, s28
	s_cbranch_execz .LBB254_2028
.LBB254_2875:
	s_mov_b32 s29, s0
	s_mov_b32 s27, exec_lo
	v_cmpx_lt_i16_e32 22, v5
	s_xor_b32 s27, exec_lo, s27
	s_cbranch_execz .LBB254_2907
; %bb.2876:
	s_mov_b32 s29, exec_lo
	v_cmpx_lt_i16_e32 23, v5
	s_xor_b32 s29, exec_lo, s29
	s_cbranch_execz .LBB254_2896
; %bb.2877:
	;; [unrolled: 5-line block ×3, first 2 shown]
	v_cndmask_b32_e64 v6, 0, 1.0, s17
	v_mov_b32_e32 v7, 0x80
	s_mov_b32 s31, exec_lo
	s_delay_alu instid0(VALU_DEP_2)
	v_cmpx_gt_u32_e32 0x47800000, v6
	s_cbranch_execz .LBB254_2884
; %bb.2879:
	s_mov_b32 s33, 0
	s_mov_b32 s34, exec_lo
                                        ; implicit-def: $vgpr5
	v_cmpx_lt_u32_e32 0x37ffffff, v6
	s_xor_b32 s34, exec_lo, s34
	s_cbranch_execz .LBB254_3048
; %bb.2880:
	v_bfe_u32 v5, v6, 21, 1
	s_mov_b32 s33, exec_lo
	s_delay_alu instid0(VALU_DEP_1) | instskip(NEXT) | instid1(VALU_DEP_1)
	v_add3_u32 v5, v6, v5, 0x88fffff
                                        ; implicit-def: $vgpr6
	v_lshrrev_b32_e32 v5, 21, v5
	s_and_not1_saveexec_b32 s34, s34
	s_cbranch_execnz .LBB254_3049
.LBB254_2881:
	s_or_b32 exec_lo, exec_lo, s34
	v_mov_b32_e32 v7, 0
	s_and_saveexec_b32 s34, s33
.LBB254_2882:
	v_mov_b32_e32 v7, v5
.LBB254_2883:
	s_or_b32 exec_lo, exec_lo, s34
.LBB254_2884:
	s_delay_alu instid0(SALU_CYCLE_1)
	s_or_b32 exec_lo, exec_lo, s31
	flat_store_b8 v[2:3], v7
.LBB254_2885:
	s_wait_xcnt 0x0
	s_and_not1_saveexec_b32 s30, s30
	s_cbranch_execz .LBB254_2895
; %bb.2886:
	v_cndmask_b32_e64 v6, 0, 1.0, s17
	s_mov_b32 s31, exec_lo
                                        ; implicit-def: $vgpr5
	s_delay_alu instid0(VALU_DEP_1)
	v_cmpx_gt_u32_e32 0x43f00000, v6
	s_xor_b32 s31, exec_lo, s31
	s_cbranch_execz .LBB254_2892
; %bb.2887:
	s_mov_b32 s33, exec_lo
                                        ; implicit-def: $vgpr5
	v_cmpx_lt_u32_e32 0x3c7fffff, v6
	s_xor_b32 s33, exec_lo, s33
; %bb.2888:
	v_bfe_u32 v5, v6, 20, 1
	s_delay_alu instid0(VALU_DEP_1) | instskip(NEXT) | instid1(VALU_DEP_1)
	v_add3_u32 v5, v6, v5, 0x407ffff
	v_and_b32_e32 v6, 0xff00000, v5
	v_lshrrev_b32_e32 v5, 20, v5
	s_delay_alu instid0(VALU_DEP_2) | instskip(NEXT) | instid1(VALU_DEP_2)
	v_cmp_ne_u32_e32 vcc_lo, 0x7f00000, v6
                                        ; implicit-def: $vgpr6
	v_cndmask_b32_e32 v5, 0x7e, v5, vcc_lo
; %bb.2889:
	s_and_not1_saveexec_b32 s33, s33
; %bb.2890:
	v_add_f32_e32 v5, 0x46800000, v6
; %bb.2891:
	s_or_b32 exec_lo, exec_lo, s33
                                        ; implicit-def: $vgpr6
.LBB254_2892:
	s_and_not1_saveexec_b32 s31, s31
; %bb.2893:
	v_mov_b32_e32 v5, 0x7f
	v_cmp_lt_u32_e32 vcc_lo, 0x7f800000, v6
	s_delay_alu instid0(VALU_DEP_2)
	v_cndmask_b32_e32 v5, 0x7e, v5, vcc_lo
; %bb.2894:
	s_or_b32 exec_lo, exec_lo, s31
	flat_store_b8 v[2:3], v5
.LBB254_2895:
	s_wait_xcnt 0x0
	s_or_b32 exec_lo, exec_lo, s30
.LBB254_2896:
	s_and_not1_saveexec_b32 s29, s29
	s_cbranch_execz .LBB254_2906
; %bb.2897:
	v_cndmask_b32_e64 v6, 0, 1.0, s17
	s_mov_b32 s30, exec_lo
                                        ; implicit-def: $vgpr5
	s_delay_alu instid0(VALU_DEP_1)
	v_cmpx_gt_u32_e32 0x47800000, v6
	s_xor_b32 s30, exec_lo, s30
	s_cbranch_execz .LBB254_2903
; %bb.2898:
	s_mov_b32 s31, exec_lo
                                        ; implicit-def: $vgpr5
	v_cmpx_lt_u32_e32 0x387fffff, v6
	s_xor_b32 s31, exec_lo, s31
; %bb.2899:
	v_bfe_u32 v5, v6, 21, 1
	s_delay_alu instid0(VALU_DEP_1) | instskip(NEXT) | instid1(VALU_DEP_1)
	v_add3_u32 v5, v6, v5, 0x80fffff
                                        ; implicit-def: $vgpr6
	v_lshrrev_b32_e32 v5, 21, v5
; %bb.2900:
	s_and_not1_saveexec_b32 s31, s31
; %bb.2901:
	v_add_f32_e32 v5, 0x43000000, v6
; %bb.2902:
	s_or_b32 exec_lo, exec_lo, s31
                                        ; implicit-def: $vgpr6
.LBB254_2903:
	s_and_not1_saveexec_b32 s30, s30
; %bb.2904:
	v_mov_b32_e32 v5, 0x7f
	v_cmp_lt_u32_e32 vcc_lo, 0x7f800000, v6
	s_delay_alu instid0(VALU_DEP_2)
	v_cndmask_b32_e32 v5, 0x7c, v5, vcc_lo
; %bb.2905:
	s_or_b32 exec_lo, exec_lo, s30
	flat_store_b8 v[2:3], v5
.LBB254_2906:
	s_wait_xcnt 0x0
	s_or_b32 exec_lo, exec_lo, s29
	s_delay_alu instid0(SALU_CYCLE_1)
	s_or_b32 s29, s0, exec_lo
                                        ; implicit-def: $vgpr5
.LBB254_2907:
	s_or_saveexec_b32 s27, s27
	s_mov_b32 s30, 0
	s_mov_b32 s31, s25
	s_xor_b32 exec_lo, exec_lo, s27
	s_cbranch_execz .LBB254_2915
; %bb.2908:
	s_mov_b32 s30, s25
	s_mov_b32 s31, s29
	s_mov_b32 s33, exec_lo
	v_cmpx_lt_i16_e32 14, v5
	s_xor_b32 s33, exec_lo, s33
	s_cbranch_execz .LBB254_2912
; %bb.2909:
	s_mov_b32 s30, -1
	s_mov_b32 s34, s29
	s_mov_b32 s31, exec_lo
	v_cmpx_eq_u16_e32 15, v5
	s_cbranch_execz .LBB254_2911
; %bb.2910:
	v_cndmask_b32_e64 v5, 0, 1.0, s17
	s_or_b32 s34, s29, exec_lo
	s_xor_b32 s30, exec_lo, -1
	s_delay_alu instid0(VALU_DEP_1) | instskip(NEXT) | instid1(VALU_DEP_1)
	v_bfe_u32 v6, v5, 16, 1
	v_add3_u32 v5, v5, v6, 0x7fff
	flat_store_d16_hi_b16 v[2:3], v5
.LBB254_2911:
	s_wait_xcnt 0x0
	s_or_b32 exec_lo, exec_lo, s31
	s_delay_alu instid0(SALU_CYCLE_1)
	s_and_not1_b32 s31, s29, exec_lo
	s_and_b32 s34, s34, exec_lo
	s_and_not1_b32 s35, s25, exec_lo
	s_and_b32 s30, s30, exec_lo
	s_or_b32 s31, s31, s34
	s_or_b32 s30, s35, s30
                                        ; implicit-def: $vgpr5
.LBB254_2912:
	s_or_saveexec_b32 s34, s33
	s_mov_b32 s33, 0
	s_xor_b32 exec_lo, exec_lo, s34
; %bb.2913:
	v_cmp_ne_u16_e32 vcc_lo, 11, v5
	s_and_not1_b32 s30, s30, exec_lo
	s_mov_b32 s33, exec_lo
	s_and_b32 s35, vcc_lo, exec_lo
	s_delay_alu instid0(SALU_CYCLE_1)
	s_or_b32 s30, s30, s35
; %bb.2914:
	s_or_b32 exec_lo, exec_lo, s34
	s_delay_alu instid0(SALU_CYCLE_1)
	s_and_not1_b32 s29, s29, exec_lo
	s_and_b32 s31, s31, exec_lo
	s_and_b32 s34, s30, exec_lo
	s_or_b32 s29, s29, s31
	s_and_not1_b32 s31, s25, exec_lo
	s_and_b32 s30, s33, exec_lo
	s_or_b32 s31, s31, s34
.LBB254_2915:
	s_or_b32 exec_lo, exec_lo, s27
	s_delay_alu instid0(SALU_CYCLE_1)
	s_and_not1_b32 s0, s0, exec_lo
	s_and_b32 s27, s29, exec_lo
	s_and_not1_b32 s25, s25, exec_lo
	s_and_b32 s29, s31, exec_lo
	s_or_b32 s0, s0, s27
	s_and_b32 s27, s30, exec_lo
	s_or_b32 s25, s25, s29
	s_or_b32 exec_lo, exec_lo, s28
	s_mov_b32 s28, s24
	s_and_saveexec_b32 s29, s25
	s_cbranch_execz .LBB254_2029
.LBB254_2916:
	s_or_b32 s28, s24, exec_lo
	s_and_not1_b32 s27, s27, exec_lo
	s_trap 2
	s_or_b32 exec_lo, exec_lo, s29
	s_and_saveexec_b32 s25, s27
	s_delay_alu instid0(SALU_CYCLE_1)
	s_xor_b32 s25, exec_lo, s25
	s_cbranch_execnz .LBB254_2030
	s_branch .LBB254_2031
.LBB254_2917:
	s_and_not1_saveexec_b32 s24, s0
	s_cbranch_execz .LBB254_2446
.LBB254_2918:
	v_add_f32_e64 v11, 0x42800000, |v13|
	s_and_not1_b32 s23, s23, exec_lo
	s_delay_alu instid0(VALU_DEP_1) | instskip(NEXT) | instid1(VALU_DEP_1)
	v_and_b32_e32 v15, 0xff, v11
	v_cmp_ne_u32_e64 s0, 0, v15
	s_and_b32 s0, s0, exec_lo
	s_delay_alu instid0(SALU_CYCLE_1)
	s_or_b32 s23, s23, s0
	s_or_b32 exec_lo, exec_lo, s24
	v_mov_b32_e32 v11, 0
	s_and_saveexec_b32 s0, s23
	s_cbranch_execnz .LBB254_2447
	s_branch .LBB254_2448
.LBB254_2919:
	s_and_not1_saveexec_b32 s25, s0
	s_cbranch_execz .LBB254_2466
.LBB254_2920:
	v_add_f32_e64 v11, 0x42800000, |v20|
	s_and_not1_b32 s24, s24, exec_lo
	s_delay_alu instid0(VALU_DEP_1) | instskip(NEXT) | instid1(VALU_DEP_1)
	v_and_b32_e32 v15, 0xff, v11
	v_cmp_ne_u32_e64 s0, 0, v15
	s_and_b32 s0, s0, exec_lo
	s_delay_alu instid0(SALU_CYCLE_1)
	s_or_b32 s24, s24, s0
	s_or_b32 exec_lo, exec_lo, s25
	v_mov_b32_e32 v11, 0
	s_and_saveexec_b32 s0, s24
	s_cbranch_execnz .LBB254_2467
	s_branch .LBB254_2468
.LBB254_2921:
	s_and_not1_saveexec_b32 s26, s0
	s_cbranch_execz .LBB254_2546
.LBB254_2922:
	v_add_f32_e64 v9, 0x42800000, |v7|
	s_and_not1_b32 s25, s25, exec_lo
	s_delay_alu instid0(VALU_DEP_1) | instskip(NEXT) | instid1(VALU_DEP_1)
	v_and_b32_e32 v11, 0xff, v9
	v_cmp_ne_u32_e64 s0, 0, v11
	s_and_b32 s0, s0, exec_lo
	s_delay_alu instid0(SALU_CYCLE_1)
	s_or_b32 s25, s25, s0
	s_or_b32 exec_lo, exec_lo, s26
	v_mov_b32_e32 v9, 0
	s_and_saveexec_b32 s0, s25
	s_cbranch_execnz .LBB254_2547
	s_branch .LBB254_2548
.LBB254_2923:
	s_and_not1_saveexec_b32 s24, s0
	s_cbranch_execz .LBB254_1206
.LBB254_2924:
	v_add_f32_e64 v11, 0x42800000, |v13|
	s_and_not1_b32 s23, s23, exec_lo
	s_delay_alu instid0(VALU_DEP_1) | instskip(NEXT) | instid1(VALU_DEP_1)
	v_and_b32_e32 v15, 0xff, v11
	v_cmp_ne_u32_e64 s0, 0, v15
	s_and_b32 s0, s0, exec_lo
	s_delay_alu instid0(SALU_CYCLE_1)
	s_or_b32 s23, s23, s0
	s_or_b32 exec_lo, exec_lo, s24
	v_mov_b32_e32 v11, 0
	s_and_saveexec_b32 s0, s23
	s_cbranch_execnz .LBB254_1207
	s_branch .LBB254_1208
.LBB254_2925:
	s_and_not1_saveexec_b32 s26, s0
	s_cbranch_execz .LBB254_1216
.LBB254_2926:
	v_add_f32_e32 v11, 0x42800000, v15
	s_and_not1_b32 s25, s25, exec_lo
	s_delay_alu instid0(VALU_DEP_1) | instskip(NEXT) | instid1(VALU_DEP_1)
	v_and_b32_e32 v13, 0xff, v11
	v_cmp_ne_u32_e64 s0, 0, v13
	s_and_b32 s0, s0, exec_lo
	s_delay_alu instid0(SALU_CYCLE_1)
	s_or_b32 s25, s25, s0
	s_or_b32 exec_lo, exec_lo, s26
	v_mov_b32_e32 v11, 0
	s_and_saveexec_b32 s0, s25
	s_cbranch_execnz .LBB254_1217
	s_branch .LBB254_1218
.LBB254_2927:
	s_and_not1_saveexec_b32 s28, s0
	s_cbranch_execz .LBB254_1445
.LBB254_2928:
	v_add_f32_e32 v7, 0x42800000, v11
	s_and_not1_b32 s27, s27, exec_lo
	s_delay_alu instid0(VALU_DEP_1) | instskip(NEXT) | instid1(VALU_DEP_1)
	v_and_b32_e32 v7, 0xff, v7
	v_cmp_ne_u32_e64 s0, 0, v7
	s_and_b32 s0, s0, exec_lo
	s_delay_alu instid0(SALU_CYCLE_1)
	s_or_b32 s27, s27, s0
	s_or_b32 exec_lo, exec_lo, s28
	v_mov_b32_e32 v9, 0
	s_and_saveexec_b32 s0, s27
	s_cbranch_execnz .LBB254_1446
	s_branch .LBB254_1447
.LBB254_2929:
	s_and_not1_saveexec_b32 s28, s0
	s_cbranch_execz .LBB254_1457
.LBB254_2930:
	v_add_f32_e32 v7, 0x42800000, v11
	s_and_not1_b32 s27, s27, exec_lo
	s_delay_alu instid0(VALU_DEP_1) | instskip(NEXT) | instid1(VALU_DEP_1)
	v_and_b32_e32 v7, 0xff, v7
	v_cmp_ne_u32_e64 s0, 0, v7
	s_and_b32 s0, s0, exec_lo
	s_delay_alu instid0(SALU_CYCLE_1)
	s_or_b32 s27, s27, s0
	s_or_b32 exec_lo, exec_lo, s28
	v_mov_b32_e32 v9, 0
	s_and_saveexec_b32 s0, s27
	s_cbranch_execnz .LBB254_1458
	s_branch .LBB254_1459
.LBB254_2931:
	s_and_not1_saveexec_b32 s28, s0
	s_cbranch_execz .LBB254_1465
.LBB254_2932:
	v_add_f32_e32 v7, 0x42800000, v11
	s_and_not1_b32 s27, s27, exec_lo
	s_delay_alu instid0(VALU_DEP_1) | instskip(NEXT) | instid1(VALU_DEP_1)
	v_and_b32_e32 v7, 0xff, v7
	v_cmp_ne_u32_e64 s0, 0, v7
	s_and_b32 s0, s0, exec_lo
	s_delay_alu instid0(SALU_CYCLE_1)
	s_or_b32 s27, s27, s0
	s_or_b32 exec_lo, exec_lo, s28
	v_mov_b32_e32 v9, 0
	s_and_saveexec_b32 s0, s27
	s_cbranch_execnz .LBB254_1466
	s_branch .LBB254_1467
.LBB254_2933:
	s_and_not1_saveexec_b32 s27, s0
	s_cbranch_execz .LBB254_1504
.LBB254_2934:
	v_add_f32_e64 v3, 0x42800000, |v2|
	s_and_not1_b32 s26, s26, exec_lo
	s_delay_alu instid0(VALU_DEP_1) | instskip(NEXT) | instid1(VALU_DEP_1)
	v_and_b32_e32 v3, 0xff, v3
	v_cmp_ne_u32_e64 s0, 0, v3
	s_and_b32 s0, s0, exec_lo
	s_delay_alu instid0(SALU_CYCLE_1)
	s_or_b32 s26, s26, s0
	s_or_b32 exec_lo, exec_lo, s27
	v_mov_b32_e32 v9, 0
	s_and_saveexec_b32 s0, s26
	s_cbranch_execnz .LBB254_1505
	s_branch .LBB254_1506
.LBB254_2935:
	s_and_not1_saveexec_b32 s27, s0
	s_cbranch_execz .LBB254_1512
.LBB254_2936:
	v_add_f32_e64 v3, 0x42800000, |v2|
	s_and_not1_b32 s26, s26, exec_lo
	s_delay_alu instid0(VALU_DEP_1) | instskip(NEXT) | instid1(VALU_DEP_1)
	v_and_b32_e32 v3, 0xff, v3
	v_cmp_ne_u32_e64 s0, 0, v3
	s_and_b32 s0, s0, exec_lo
	s_delay_alu instid0(SALU_CYCLE_1)
	s_or_b32 s26, s26, s0
	s_or_b32 exec_lo, exec_lo, s27
	v_mov_b32_e32 v9, 0
	s_and_saveexec_b32 s0, s26
	s_cbranch_execnz .LBB254_1513
	s_branch .LBB254_1514
.LBB254_2937:
	s_and_not1_saveexec_b32 s27, s0
	s_cbranch_execz .LBB254_1532
.LBB254_2938:
	v_add_f32_e64 v3, 0x42800000, |v2|
	s_and_not1_b32 s26, s26, exec_lo
	s_delay_alu instid0(VALU_DEP_1) | instskip(NEXT) | instid1(VALU_DEP_1)
	v_and_b32_e32 v3, 0xff, v3
	v_cmp_ne_u32_e64 s0, 0, v3
	s_and_b32 s0, s0, exec_lo
	s_delay_alu instid0(SALU_CYCLE_1)
	s_or_b32 s26, s26, s0
	s_or_b32 exec_lo, exec_lo, s27
	v_mov_b32_e32 v9, 0
	s_and_saveexec_b32 s0, s26
	s_cbranch_execnz .LBB254_1533
	s_branch .LBB254_1534
.LBB254_2939:
	s_and_not1_saveexec_b32 s27, s0
	s_cbranch_execz .LBB254_1540
.LBB254_2940:
	v_add_f32_e64 v3, 0x42800000, |v2|
	s_and_not1_b32 s26, s26, exec_lo
	s_delay_alu instid0(VALU_DEP_1) | instskip(NEXT) | instid1(VALU_DEP_1)
	v_and_b32_e32 v3, 0xff, v3
	v_cmp_ne_u32_e64 s0, 0, v3
	s_and_b32 s0, s0, exec_lo
	s_delay_alu instid0(SALU_CYCLE_1)
	s_or_b32 s26, s26, s0
	s_or_b32 exec_lo, exec_lo, s27
	v_mov_b32_e32 v9, 0
	s_and_saveexec_b32 s0, s26
	s_cbranch_execnz .LBB254_1541
	s_branch .LBB254_1542
.LBB254_2941:
	s_and_not1_saveexec_b32 s27, s0
	s_cbranch_execz .LBB254_1562
.LBB254_2942:
	v_add_f32_e64 v3, 0x42800000, |v2|
	s_and_not1_b32 s26, s26, exec_lo
	s_delay_alu instid0(VALU_DEP_1) | instskip(NEXT) | instid1(VALU_DEP_1)
	v_and_b32_e32 v3, 0xff, v3
	v_cmp_ne_u32_e64 s0, 0, v3
	s_and_b32 s0, s0, exec_lo
	s_delay_alu instid0(SALU_CYCLE_1)
	s_or_b32 s26, s26, s0
	s_or_b32 exec_lo, exec_lo, s27
	v_mov_b32_e32 v9, 0
	s_and_saveexec_b32 s0, s26
	s_cbranch_execnz .LBB254_1563
	s_branch .LBB254_1564
.LBB254_2943:
	s_and_not1_saveexec_b32 s27, s0
	s_cbranch_execz .LBB254_1570
.LBB254_2944:
	v_add_f32_e64 v3, 0x42800000, |v2|
	s_and_not1_b32 s26, s26, exec_lo
	s_delay_alu instid0(VALU_DEP_1) | instskip(NEXT) | instid1(VALU_DEP_1)
	v_and_b32_e32 v3, 0xff, v3
	v_cmp_ne_u32_e64 s0, 0, v3
	s_and_b32 s0, s0, exec_lo
	s_delay_alu instid0(SALU_CYCLE_1)
	s_or_b32 s26, s26, s0
	s_or_b32 exec_lo, exec_lo, s27
	v_mov_b32_e32 v9, 0
	s_and_saveexec_b32 s0, s26
	s_cbranch_execnz .LBB254_1571
	s_branch .LBB254_1572
.LBB254_2945:
	s_and_not1_saveexec_b32 s29, s0
	s_cbranch_execz .LBB254_1670
.LBB254_2946:
	v_add_f32_e64 v7, 0x42800000, |v5|
	s_and_not1_b32 s28, s28, exec_lo
	s_delay_alu instid0(VALU_DEP_1) | instskip(NEXT) | instid1(VALU_DEP_1)
	v_and_b32_e32 v11, 0xff, v7
	v_cmp_ne_u32_e64 s0, 0, v11
	s_and_b32 s0, s0, exec_lo
	s_delay_alu instid0(SALU_CYCLE_1)
	s_or_b32 s28, s28, s0
	s_or_b32 exec_lo, exec_lo, s29
	v_mov_b32_e32 v7, 0
	s_and_saveexec_b32 s0, s28
	s_cbranch_execnz .LBB254_1671
	s_branch .LBB254_1672
.LBB254_2947:
	s_and_not1_saveexec_b32 s28, s0
	s_cbranch_execz .LBB254_1711
.LBB254_2948:
	v_add_f32_e64 v3, 0x42800000, |v2|
	s_and_not1_b32 s27, s27, exec_lo
	s_delay_alu instid0(VALU_DEP_1) | instskip(NEXT) | instid1(VALU_DEP_1)
	v_and_b32_e32 v3, 0xff, v3
	v_cmp_ne_u32_e64 s0, 0, v3
	s_and_b32 s0, s0, exec_lo
	s_delay_alu instid0(SALU_CYCLE_1)
	s_or_b32 s27, s27, s0
	s_or_b32 exec_lo, exec_lo, s28
	v_mov_b32_e32 v7, 0
	s_and_saveexec_b32 s0, s27
	s_cbranch_execnz .LBB254_1712
	s_branch .LBB254_1713
.LBB254_2949:
	s_and_not1_saveexec_b32 s28, s0
	s_cbranch_execz .LBB254_1739
.LBB254_2950:
	v_add_f32_e64 v3, 0x42800000, |v2|
	s_and_not1_b32 s27, s27, exec_lo
	s_delay_alu instid0(VALU_DEP_1) | instskip(NEXT) | instid1(VALU_DEP_1)
	v_and_b32_e32 v3, 0xff, v3
	v_cmp_ne_u32_e64 s0, 0, v3
	s_and_b32 s0, s0, exec_lo
	s_delay_alu instid0(SALU_CYCLE_1)
	s_or_b32 s27, s27, s0
	s_or_b32 exec_lo, exec_lo, s28
	v_mov_b32_e32 v7, 0
	s_and_saveexec_b32 s0, s27
	s_cbranch_execnz .LBB254_1740
	s_branch .LBB254_1741
.LBB254_2951:
	s_and_not1_saveexec_b32 s28, s0
	s_cbranch_execz .LBB254_1769
.LBB254_2952:
	v_add_f32_e64 v3, 0x42800000, |v2|
	s_and_not1_b32 s27, s27, exec_lo
	s_delay_alu instid0(VALU_DEP_1) | instskip(NEXT) | instid1(VALU_DEP_1)
	v_and_b32_e32 v3, 0xff, v3
	v_cmp_ne_u32_e64 s0, 0, v3
	s_and_b32 s0, s0, exec_lo
	s_delay_alu instid0(SALU_CYCLE_1)
	s_or_b32 s27, s27, s0
	s_or_b32 exec_lo, exec_lo, s28
	v_mov_b32_e32 v7, 0
	s_and_saveexec_b32 s0, s27
	s_cbranch_execnz .LBB254_1770
	s_branch .LBB254_1771
.LBB254_2953:
	s_and_not1_saveexec_b32 s28, s0
	s_cbranch_execz .LBB254_1779
.LBB254_2954:
	v_add_f32_e64 v3, 0x42800000, |v2|
	s_and_not1_b32 s27, s27, exec_lo
	s_delay_alu instid0(VALU_DEP_1) | instskip(NEXT) | instid1(VALU_DEP_1)
	v_and_b32_e32 v3, 0xff, v3
	v_cmp_ne_u32_e64 s0, 0, v3
	s_and_b32 s0, s0, exec_lo
	s_delay_alu instid0(SALU_CYCLE_1)
	s_or_b32 s27, s27, s0
	s_or_b32 exec_lo, exec_lo, s28
	v_mov_b32_e32 v7, 0
	s_and_saveexec_b32 s0, s27
	s_cbranch_execnz .LBB254_1780
	s_branch .LBB254_1781
.LBB254_2955:
	s_and_not1_saveexec_b32 s28, s0
	s_cbranch_execz .LBB254_1787
.LBB254_2956:
	v_add_f32_e32 v2, 0x42800000, v3
	s_and_not1_b32 s27, s27, exec_lo
	s_delay_alu instid0(VALU_DEP_1) | instskip(NEXT) | instid1(VALU_DEP_1)
	v_and_b32_e32 v2, 0xff, v2
	v_cmp_ne_u32_e64 s0, 0, v2
	s_and_b32 s0, s0, exec_lo
	s_delay_alu instid0(SALU_CYCLE_1)
	s_or_b32 s27, s27, s0
	s_or_b32 exec_lo, exec_lo, s28
	v_mov_b32_e32 v7, 0
	s_and_saveexec_b32 s0, s27
	s_cbranch_execnz .LBB254_1788
	s_branch .LBB254_1789
.LBB254_2957:
	s_and_not1_saveexec_b32 s27, s27
	s_cbranch_execz .LBB254_2112
.LBB254_2958:
	s_mov_b32 s28, exec_lo
	v_cmpx_lt_i16_e32 22, v15
	s_xor_b32 s28, exec_lo, s28
	s_cbranch_execz .LBB254_2990
; %bb.2959:
	s_mov_b32 s29, exec_lo
	v_cmpx_lt_i16_e32 23, v15
	s_xor_b32 s29, exec_lo, s29
	s_cbranch_execz .LBB254_2979
; %bb.2960:
	;; [unrolled: 5-line block ×3, first 2 shown]
	v_cndmask_b32_e64 v1, 0, 1.0, s21
	v_mov_b32_e32 v2, 0x80
	s_mov_b32 s31, exec_lo
	s_delay_alu instid0(VALU_DEP_2)
	v_cmpx_gt_u32_e32 0x47800000, v1
	s_cbranch_execz .LBB254_2967
; %bb.2962:
	s_mov_b32 s33, 0
	s_mov_b32 s34, exec_lo
                                        ; implicit-def: $vgpr0
	v_cmpx_lt_u32_e32 0x37ffffff, v1
	s_xor_b32 s34, exec_lo, s34
	s_cbranch_execz .LBB254_3050
; %bb.2963:
	v_bfe_u32 v0, v1, 21, 1
	s_mov_b32 s33, exec_lo
	s_delay_alu instid0(VALU_DEP_1) | instskip(NEXT) | instid1(VALU_DEP_1)
	v_add3_u32 v0, v1, v0, 0x88fffff
                                        ; implicit-def: $vgpr1
	v_lshrrev_b32_e32 v0, 21, v0
	s_and_not1_saveexec_b32 s34, s34
	s_cbranch_execnz .LBB254_3051
.LBB254_2964:
	s_or_b32 exec_lo, exec_lo, s34
	v_mov_b32_e32 v2, 0
	s_and_saveexec_b32 s34, s33
.LBB254_2965:
	v_mov_b32_e32 v2, v0
.LBB254_2966:
	s_or_b32 exec_lo, exec_lo, s34
.LBB254_2967:
	s_delay_alu instid0(SALU_CYCLE_1)
	s_or_b32 exec_lo, exec_lo, s31
	flat_store_b8 v[30:31], v2
.LBB254_2968:
	s_wait_xcnt 0x0
	s_and_not1_saveexec_b32 s30, s30
	s_cbranch_execz .LBB254_2978
; %bb.2969:
	v_cndmask_b32_e64 v1, 0, 1.0, s21
	s_mov_b32 s31, exec_lo
                                        ; implicit-def: $vgpr0
	s_delay_alu instid0(VALU_DEP_1)
	v_cmpx_gt_u32_e32 0x43f00000, v1
	s_xor_b32 s31, exec_lo, s31
	s_cbranch_execz .LBB254_2975
; %bb.2970:
	s_mov_b32 s33, exec_lo
                                        ; implicit-def: $vgpr0
	v_cmpx_lt_u32_e32 0x3c7fffff, v1
	s_xor_b32 s33, exec_lo, s33
; %bb.2971:
	v_bfe_u32 v0, v1, 20, 1
	s_delay_alu instid0(VALU_DEP_1) | instskip(NEXT) | instid1(VALU_DEP_1)
	v_add3_u32 v0, v1, v0, 0x407ffff
	v_and_b32_e32 v1, 0xff00000, v0
	v_lshrrev_b32_e32 v0, 20, v0
	s_delay_alu instid0(VALU_DEP_2) | instskip(NEXT) | instid1(VALU_DEP_2)
	v_cmp_ne_u32_e32 vcc_lo, 0x7f00000, v1
                                        ; implicit-def: $vgpr1
	v_cndmask_b32_e32 v0, 0x7e, v0, vcc_lo
; %bb.2972:
	s_and_not1_saveexec_b32 s33, s33
; %bb.2973:
	v_add_f32_e32 v0, 0x46800000, v1
; %bb.2974:
	s_or_b32 exec_lo, exec_lo, s33
                                        ; implicit-def: $vgpr1
.LBB254_2975:
	s_and_not1_saveexec_b32 s31, s31
; %bb.2976:
	v_mov_b32_e32 v0, 0x7f
	v_cmp_lt_u32_e32 vcc_lo, 0x7f800000, v1
	s_delay_alu instid0(VALU_DEP_2)
	v_cndmask_b32_e32 v0, 0x7e, v0, vcc_lo
; %bb.2977:
	s_or_b32 exec_lo, exec_lo, s31
	flat_store_b8 v[30:31], v0
.LBB254_2978:
	s_wait_xcnt 0x0
	s_or_b32 exec_lo, exec_lo, s30
.LBB254_2979:
	s_and_not1_saveexec_b32 s29, s29
	s_cbranch_execz .LBB254_2989
; %bb.2980:
	v_cndmask_b32_e64 v1, 0, 1.0, s21
	s_mov_b32 s30, exec_lo
                                        ; implicit-def: $vgpr0
	s_delay_alu instid0(VALU_DEP_1)
	v_cmpx_gt_u32_e32 0x47800000, v1
	s_xor_b32 s30, exec_lo, s30
	s_cbranch_execz .LBB254_2986
; %bb.2981:
	s_mov_b32 s31, exec_lo
                                        ; implicit-def: $vgpr0
	v_cmpx_lt_u32_e32 0x387fffff, v1
	s_xor_b32 s31, exec_lo, s31
; %bb.2982:
	v_bfe_u32 v0, v1, 21, 1
	s_delay_alu instid0(VALU_DEP_1) | instskip(NEXT) | instid1(VALU_DEP_1)
	v_add3_u32 v0, v1, v0, 0x80fffff
                                        ; implicit-def: $vgpr1
	v_lshrrev_b32_e32 v0, 21, v0
; %bb.2983:
	s_and_not1_saveexec_b32 s31, s31
; %bb.2984:
	v_add_f32_e32 v0, 0x43000000, v1
; %bb.2985:
	s_or_b32 exec_lo, exec_lo, s31
                                        ; implicit-def: $vgpr1
.LBB254_2986:
	s_and_not1_saveexec_b32 s30, s30
; %bb.2987:
	v_mov_b32_e32 v0, 0x7f
	v_cmp_lt_u32_e32 vcc_lo, 0x7f800000, v1
	s_delay_alu instid0(VALU_DEP_2)
	v_cndmask_b32_e32 v0, 0x7c, v0, vcc_lo
; %bb.2988:
	s_or_b32 exec_lo, exec_lo, s30
	flat_store_b8 v[30:31], v0
.LBB254_2989:
	s_wait_xcnt 0x0
	s_or_b32 exec_lo, exec_lo, s29
.LBB254_2990:
	s_or_saveexec_b32 s28, s28
	s_mov_b32 s29, 0
	s_mov_b32 s30, s0
	s_xor_b32 exec_lo, exec_lo, s28
	s_cbranch_execz .LBB254_2998
; %bb.2991:
	s_mov_b32 s29, s0
	s_mov_b32 s30, exec_lo
	v_cmpx_lt_i16_e32 14, v15
	s_xor_b32 s30, exec_lo, s30
	s_cbranch_execz .LBB254_2995
; %bb.2992:
	s_mov_b32 s31, -1
	s_mov_b32 s29, exec_lo
	v_cmpx_eq_u16_e32 15, v15
	s_cbranch_execz .LBB254_2994
; %bb.2993:
	v_cndmask_b32_e64 v0, 0, 1.0, s21
	s_xor_b32 s31, exec_lo, -1
	s_delay_alu instid0(VALU_DEP_1) | instskip(NEXT) | instid1(VALU_DEP_1)
	v_bfe_u32 v1, v0, 16, 1
	v_add3_u32 v0, v0, v1, 0x7fff
	flat_store_d16_hi_b16 v[30:31], v0
.LBB254_2994:
	s_wait_xcnt 0x0
	s_or_b32 exec_lo, exec_lo, s29
	s_delay_alu instid0(SALU_CYCLE_1) | instskip(SKIP_1) | instid1(SALU_CYCLE_1)
	s_and_not1_b32 s29, s0, exec_lo
	s_and_b32 s31, s31, exec_lo
	s_or_b32 s29, s29, s31
.LBB254_2995:
	s_or_saveexec_b32 s30, s30
	s_mov_b32 s31, 0
	s_xor_b32 exec_lo, exec_lo, s30
; %bb.2996:
	v_cmp_ne_u16_e32 vcc_lo, 11, v15
	s_and_not1_b32 s29, s29, exec_lo
	s_mov_b32 s31, exec_lo
	s_and_b32 s33, vcc_lo, exec_lo
	s_delay_alu instid0(SALU_CYCLE_1)
	s_or_b32 s29, s29, s33
; %bb.2997:
	s_or_b32 exec_lo, exec_lo, s30
	s_delay_alu instid0(SALU_CYCLE_1)
	s_and_not1_b32 s30, s0, exec_lo
	s_and_b32 s33, s29, exec_lo
	s_and_b32 s29, s31, exec_lo
	s_or_b32 s30, s30, s33
.LBB254_2998:
	s_or_b32 exec_lo, exec_lo, s28
	s_delay_alu instid0(SALU_CYCLE_1)
	s_and_not1_b32 s0, s0, exec_lo
	s_and_b32 s30, s30, exec_lo
	s_and_b32 s28, s29, exec_lo
	s_or_b32 s0, s0, s30
	s_or_b32 exec_lo, exec_lo, s27
	s_mov_b32 s29, s25
	s_and_saveexec_b32 s27, s0
	s_cbranch_execz .LBB254_2113
.LBB254_2999:
	s_and_not1_b32 s28, s28, exec_lo
	s_or_b32 s29, s25, exec_lo
	s_trap 2
	s_branch .LBB254_2113
.LBB254_3000:
	s_and_not1_saveexec_b32 s27, s0
	s_cbranch_execz .LBB254_2537
.LBB254_3001:
	v_add_f32_e64 v9, 0x42800000, |v7|
	s_and_not1_b32 s26, s26, exec_lo
	s_delay_alu instid0(VALU_DEP_1) | instskip(NEXT) | instid1(VALU_DEP_1)
	v_and_b32_e32 v11, 0xff, v9
	v_cmp_ne_u32_e64 s0, 0, v11
	s_and_b32 s0, s0, exec_lo
	s_delay_alu instid0(SALU_CYCLE_1)
	s_or_b32 s26, s26, s0
	s_or_b32 exec_lo, exec_lo, s27
	v_mov_b32_e32 v9, 0
	s_and_saveexec_b32 s0, s26
	s_cbranch_execnz .LBB254_2538
	s_branch .LBB254_2539
.LBB254_3002:
	s_and_not1_saveexec_b32 s28, s0
	s_cbranch_execz .LBB254_2557
.LBB254_3003:
	v_add_f32_e64 v9, 0x42800000, |v13|
	s_and_not1_b32 s27, s27, exec_lo
	s_delay_alu instid0(VALU_DEP_1) | instskip(NEXT) | instid1(VALU_DEP_1)
	v_and_b32_e32 v11, 0xff, v9
	v_cmp_ne_u32_e64 s0, 0, v11
	s_and_b32 s0, s0, exec_lo
	s_delay_alu instid0(SALU_CYCLE_1)
	s_or_b32 s27, s27, s0
	s_or_b32 exec_lo, exec_lo, s28
	v_mov_b32_e32 v9, 0
	s_and_saveexec_b32 s0, s27
	s_cbranch_execnz .LBB254_2558
	s_branch .LBB254_2559
.LBB254_3004:
	s_and_not1_saveexec_b32 s28, s0
	s_cbranch_execz .LBB254_2629
.LBB254_3005:
	v_add_f32_e64 v7, 0x42800000, |v5|
	s_and_not1_b32 s27, s27, exec_lo
	s_delay_alu instid0(VALU_DEP_1) | instskip(NEXT) | instid1(VALU_DEP_1)
	v_and_b32_e32 v11, 0xff, v7
	v_cmp_ne_u32_e64 s0, 0, v11
	s_and_b32 s0, s0, exec_lo
	s_delay_alu instid0(SALU_CYCLE_1)
	s_or_b32 s27, s27, s0
	s_or_b32 exec_lo, exec_lo, s28
	v_mov_b32_e32 v7, 0
	s_and_saveexec_b32 s0, s27
	s_cbranch_execnz .LBB254_2630
	s_branch .LBB254_2631
.LBB254_3006:
	s_and_not1_saveexec_b32 s27, s0
	s_cbranch_execz .LBB254_1424
.LBB254_3007:
	v_add_f32_e64 v9, 0x42800000, |v7|
	s_and_not1_b32 s26, s26, exec_lo
	s_delay_alu instid0(VALU_DEP_1) | instskip(NEXT) | instid1(VALU_DEP_1)
	v_and_b32_e32 v11, 0xff, v9
	v_cmp_ne_u32_e64 s0, 0, v11
	s_and_b32 s0, s0, exec_lo
	s_delay_alu instid0(SALU_CYCLE_1)
	s_or_b32 s26, s26, s0
	s_or_b32 exec_lo, exec_lo, s27
	v_mov_b32_e32 v9, 0
	s_and_saveexec_b32 s0, s26
	s_cbranch_execnz .LBB254_1425
	s_branch .LBB254_1426
.LBB254_3008:
	s_and_not1_saveexec_b32 s29, s0
	s_cbranch_execz .LBB254_1434
.LBB254_3009:
	v_add_f32_e32 v7, 0x42800000, v11
	s_and_not1_b32 s28, s28, exec_lo
	s_delay_alu instid0(VALU_DEP_1) | instskip(NEXT) | instid1(VALU_DEP_1)
	v_and_b32_e32 v7, 0xff, v7
	v_cmp_ne_u32_e64 s0, 0, v7
	s_and_b32 s0, s0, exec_lo
	s_delay_alu instid0(SALU_CYCLE_1)
	s_or_b32 s28, s28, s0
	s_or_b32 exec_lo, exec_lo, s29
	v_mov_b32_e32 v9, 0
	s_and_saveexec_b32 s0, s28
	s_cbranch_execnz .LBB254_1435
	s_branch .LBB254_1436
.LBB254_3010:
	s_and_not1_saveexec_b32 s30, s0
	s_cbranch_execz .LBB254_1635
.LBB254_3011:
	v_add_f32_e32 v5, 0x42800000, v11
	s_and_not1_b32 s29, s29, exec_lo
	s_delay_alu instid0(VALU_DEP_1) | instskip(NEXT) | instid1(VALU_DEP_1)
	v_and_b32_e32 v5, 0xff, v5
	v_cmp_ne_u32_e64 s0, 0, v5
	s_and_b32 s0, s0, exec_lo
	s_delay_alu instid0(SALU_CYCLE_1)
	s_or_b32 s29, s29, s0
	s_or_b32 exec_lo, exec_lo, s30
	v_mov_b32_e32 v7, 0
	s_and_saveexec_b32 s0, s29
	s_cbranch_execnz .LBB254_1636
	s_branch .LBB254_1637
.LBB254_3012:
	s_and_not1_saveexec_b32 s30, s0
	s_cbranch_execz .LBB254_1647
.LBB254_3013:
	v_add_f32_e32 v5, 0x42800000, v11
	s_and_not1_b32 s29, s29, exec_lo
	s_delay_alu instid0(VALU_DEP_1) | instskip(NEXT) | instid1(VALU_DEP_1)
	v_and_b32_e32 v5, 0xff, v5
	v_cmp_ne_u32_e64 s0, 0, v5
	s_and_b32 s0, s0, exec_lo
	s_delay_alu instid0(SALU_CYCLE_1)
	s_or_b32 s29, s29, s0
	s_or_b32 exec_lo, exec_lo, s30
	v_mov_b32_e32 v7, 0
	s_and_saveexec_b32 s0, s29
	s_cbranch_execnz .LBB254_1648
	s_branch .LBB254_1649
.LBB254_3014:
	s_and_not1_saveexec_b32 s30, s0
	s_cbranch_execz .LBB254_1655
.LBB254_3015:
	v_add_f32_e32 v5, 0x42800000, v11
	s_and_not1_b32 s29, s29, exec_lo
	s_delay_alu instid0(VALU_DEP_1) | instskip(NEXT) | instid1(VALU_DEP_1)
	v_and_b32_e32 v5, 0xff, v5
	v_cmp_ne_u32_e64 s0, 0, v5
	s_and_b32 s0, s0, exec_lo
	s_delay_alu instid0(SALU_CYCLE_1)
	s_or_b32 s29, s29, s0
	s_or_b32 exec_lo, exec_lo, s30
	v_mov_b32_e32 v7, 0
	s_and_saveexec_b32 s0, s29
	s_cbranch_execnz .LBB254_1656
	s_branch .LBB254_1657
.LBB254_3016:
	s_and_not1_saveexec_b32 s29, s0
	s_cbranch_execz .LBB254_1694
.LBB254_3017:
	v_add_f32_e64 v3, 0x42800000, |v2|
	s_and_not1_b32 s28, s28, exec_lo
	s_delay_alu instid0(VALU_DEP_1) | instskip(NEXT) | instid1(VALU_DEP_1)
	v_and_b32_e32 v3, 0xff, v3
	v_cmp_ne_u32_e64 s0, 0, v3
	s_and_b32 s0, s0, exec_lo
	s_delay_alu instid0(SALU_CYCLE_1)
	s_or_b32 s28, s28, s0
	s_or_b32 exec_lo, exec_lo, s29
	v_mov_b32_e32 v7, 0
	s_and_saveexec_b32 s0, s28
	s_cbranch_execnz .LBB254_1695
	s_branch .LBB254_1696
.LBB254_3018:
	s_and_not1_saveexec_b32 s29, s0
	s_cbranch_execz .LBB254_1702
.LBB254_3019:
	v_add_f32_e64 v3, 0x42800000, |v2|
	s_and_not1_b32 s28, s28, exec_lo
	s_delay_alu instid0(VALU_DEP_1) | instskip(NEXT) | instid1(VALU_DEP_1)
	v_and_b32_e32 v3, 0xff, v3
	v_cmp_ne_u32_e64 s0, 0, v3
	s_and_b32 s0, s0, exec_lo
	s_delay_alu instid0(SALU_CYCLE_1)
	s_or_b32 s28, s28, s0
	s_or_b32 exec_lo, exec_lo, s29
	v_mov_b32_e32 v7, 0
	s_and_saveexec_b32 s0, s28
	s_cbranch_execnz .LBB254_1703
	s_branch .LBB254_1704
.LBB254_3020:
	s_and_not1_saveexec_b32 s29, s0
	s_cbranch_execz .LBB254_1722
.LBB254_3021:
	v_add_f32_e64 v3, 0x42800000, |v2|
	s_and_not1_b32 s28, s28, exec_lo
	s_delay_alu instid0(VALU_DEP_1) | instskip(NEXT) | instid1(VALU_DEP_1)
	v_and_b32_e32 v3, 0xff, v3
	v_cmp_ne_u32_e64 s0, 0, v3
	s_and_b32 s0, s0, exec_lo
	s_delay_alu instid0(SALU_CYCLE_1)
	s_or_b32 s28, s28, s0
	s_or_b32 exec_lo, exec_lo, s29
	v_mov_b32_e32 v7, 0
	s_and_saveexec_b32 s0, s28
	s_cbranch_execnz .LBB254_1723
	s_branch .LBB254_1724
.LBB254_3022:
	s_and_not1_saveexec_b32 s29, s0
	s_cbranch_execz .LBB254_1730
.LBB254_3023:
	v_add_f32_e64 v3, 0x42800000, |v2|
	s_and_not1_b32 s28, s28, exec_lo
	s_delay_alu instid0(VALU_DEP_1) | instskip(NEXT) | instid1(VALU_DEP_1)
	v_and_b32_e32 v3, 0xff, v3
	v_cmp_ne_u32_e64 s0, 0, v3
	s_and_b32 s0, s0, exec_lo
	s_delay_alu instid0(SALU_CYCLE_1)
	s_or_b32 s28, s28, s0
	s_or_b32 exec_lo, exec_lo, s29
	v_mov_b32_e32 v7, 0
	s_and_saveexec_b32 s0, s28
	s_cbranch_execnz .LBB254_1731
	s_branch .LBB254_1732
.LBB254_3024:
	s_and_not1_saveexec_b32 s29, s0
	s_cbranch_execz .LBB254_1752
.LBB254_3025:
	v_add_f32_e64 v3, 0x42800000, |v2|
	s_and_not1_b32 s28, s28, exec_lo
	s_delay_alu instid0(VALU_DEP_1) | instskip(NEXT) | instid1(VALU_DEP_1)
	v_and_b32_e32 v3, 0xff, v3
	v_cmp_ne_u32_e64 s0, 0, v3
	s_and_b32 s0, s0, exec_lo
	s_delay_alu instid0(SALU_CYCLE_1)
	s_or_b32 s28, s28, s0
	s_or_b32 exec_lo, exec_lo, s29
	v_mov_b32_e32 v7, 0
	s_and_saveexec_b32 s0, s28
	s_cbranch_execnz .LBB254_1753
	s_branch .LBB254_1754
.LBB254_3026:
	s_and_not1_saveexec_b32 s29, s0
	s_cbranch_execz .LBB254_1760
.LBB254_3027:
	v_add_f32_e64 v3, 0x42800000, |v2|
	s_and_not1_b32 s28, s28, exec_lo
	s_delay_alu instid0(VALU_DEP_1) | instskip(NEXT) | instid1(VALU_DEP_1)
	v_and_b32_e32 v3, 0xff, v3
	v_cmp_ne_u32_e64 s0, 0, v3
	s_and_b32 s0, s0, exec_lo
	s_delay_alu instid0(SALU_CYCLE_1)
	s_or_b32 s28, s28, s0
	s_or_b32 exec_lo, exec_lo, s29
	v_mov_b32_e32 v7, 0
	s_and_saveexec_b32 s0, s28
	s_cbranch_execnz .LBB254_1761
	s_branch .LBB254_1762
.LBB254_3028:
	s_and_not1_saveexec_b32 s31, s31
	s_cbranch_execz .LBB254_1854
.LBB254_3029:
	v_add_f32_e32 v5, 0x46000000, v7
	s_and_not1_b32 s30, s30, exec_lo
	s_delay_alu instid0(VALU_DEP_1) | instskip(NEXT) | instid1(VALU_DEP_1)
	v_and_b32_e32 v5, 0xff, v5
	v_cmp_ne_u32_e32 vcc_lo, 0, v5
	s_and_b32 s33, vcc_lo, exec_lo
	s_delay_alu instid0(SALU_CYCLE_1)
	s_or_b32 s30, s30, s33
	s_or_b32 exec_lo, exec_lo, s31
	v_mov_b32_e32 v9, 0
	s_and_saveexec_b32 s31, s30
	s_cbranch_execnz .LBB254_1855
	s_branch .LBB254_1856
.LBB254_3030:
	s_and_not1_saveexec_b32 s29, s0
	s_cbranch_execz .LBB254_2620
.LBB254_3031:
	v_add_f32_e64 v7, 0x42800000, |v5|
	s_and_not1_b32 s28, s28, exec_lo
	s_delay_alu instid0(VALU_DEP_1) | instskip(NEXT) | instid1(VALU_DEP_1)
	v_and_b32_e32 v11, 0xff, v7
	v_cmp_ne_u32_e64 s0, 0, v11
	s_and_b32 s0, s0, exec_lo
	s_delay_alu instid0(SALU_CYCLE_1)
	s_or_b32 s28, s28, s0
	s_or_b32 exec_lo, exec_lo, s29
	v_mov_b32_e32 v7, 0
	s_and_saveexec_b32 s0, s28
	s_cbranch_execnz .LBB254_2621
	s_branch .LBB254_2622
.LBB254_3032:
	s_and_not1_saveexec_b32 s30, s0
	s_cbranch_execz .LBB254_2640
.LBB254_3033:
	v_add_f32_e64 v7, 0x42800000, |v12|
	s_and_not1_b32 s29, s29, exec_lo
	s_delay_alu instid0(VALU_DEP_1) | instskip(NEXT) | instid1(VALU_DEP_1)
	v_and_b32_e32 v11, 0xff, v7
	v_cmp_ne_u32_e64 s0, 0, v11
	s_and_b32 s0, s0, exec_lo
	s_delay_alu instid0(SALU_CYCLE_1)
	s_or_b32 s29, s29, s0
	s_or_b32 exec_lo, exec_lo, s30
	v_mov_b32_e32 v7, 0
	s_and_saveexec_b32 s0, s29
	s_cbranch_execnz .LBB254_2641
	s_branch .LBB254_2642
.LBB254_3034:
	s_and_not1_saveexec_b32 s29, s0
	s_cbranch_execz .LBB254_1614
.LBB254_3035:
	v_add_f32_e64 v7, 0x42800000, |v5|
	s_and_not1_b32 s28, s28, exec_lo
	s_delay_alu instid0(VALU_DEP_1) | instskip(NEXT) | instid1(VALU_DEP_1)
	v_and_b32_e32 v11, 0xff, v7
	v_cmp_ne_u32_e64 s0, 0, v11
	s_and_b32 s0, s0, exec_lo
	s_delay_alu instid0(SALU_CYCLE_1)
	s_or_b32 s28, s28, s0
	s_or_b32 exec_lo, exec_lo, s29
	v_mov_b32_e32 v7, 0
	s_and_saveexec_b32 s0, s28
	s_cbranch_execnz .LBB254_1615
	s_branch .LBB254_1616
.LBB254_3036:
	s_and_not1_saveexec_b32 s31, s0
	s_cbranch_execz .LBB254_1624
.LBB254_3037:
	v_add_f32_e32 v5, 0x42800000, v11
	s_and_not1_b32 s30, s30, exec_lo
	s_delay_alu instid0(VALU_DEP_1) | instskip(NEXT) | instid1(VALU_DEP_1)
	v_and_b32_e32 v5, 0xff, v5
	v_cmp_ne_u32_e64 s0, 0, v5
	s_and_b32 s0, s0, exec_lo
	s_delay_alu instid0(SALU_CYCLE_1)
	s_or_b32 s30, s30, s0
	s_or_b32 exec_lo, exec_lo, s31
	v_mov_b32_e32 v7, 0
	s_and_saveexec_b32 s0, s30
	s_cbranch_execnz .LBB254_1625
	s_branch .LBB254_1626
.LBB254_3038:
	s_and_not1_saveexec_b32 s33, s33
	s_cbranch_execz .LBB254_1938
.LBB254_3039:
	v_add_f32_e32 v5, 0x46000000, v7
	s_and_not1_b32 s31, s31, exec_lo
	s_delay_alu instid0(VALU_DEP_1) | instskip(NEXT) | instid1(VALU_DEP_1)
	v_and_b32_e32 v5, 0xff, v5
	v_cmp_ne_u32_e32 vcc_lo, 0, v5
	s_and_b32 s34, vcc_lo, exec_lo
	s_delay_alu instid0(SALU_CYCLE_1)
	s_or_b32 s31, s31, s34
	s_or_b32 exec_lo, exec_lo, s33
	v_mov_b32_e32 v8, 0
	s_and_saveexec_b32 s33, s31
	s_cbranch_execnz .LBB254_1939
	s_branch .LBB254_1940
.LBB254_3040:
	s_and_not1_saveexec_b32 s31, s31
	s_cbranch_execz .LBB254_2709
.LBB254_3041:
	v_add_f32_e32 v5, 0x42800000, v7
	s_and_not1_b32 s30, s30, exec_lo
	s_delay_alu instid0(VALU_DEP_1) | instskip(NEXT) | instid1(VALU_DEP_1)
	v_and_b32_e32 v5, 0xff, v5
	v_cmp_ne_u32_e32 vcc_lo, 0, v5
	s_and_b32 s33, vcc_lo, exec_lo
	s_delay_alu instid0(SALU_CYCLE_1)
	s_or_b32 s30, s30, s33
	s_or_b32 exec_lo, exec_lo, s31
	v_mov_b32_e32 v9, 0
	s_and_saveexec_b32 s31, s30
	s_cbranch_execnz .LBB254_2710
	s_branch .LBB254_2711
.LBB254_3042:
	s_and_not1_saveexec_b32 s34, s34
	s_cbranch_execz .LBB254_2022
.LBB254_3043:
	v_add_f32_e32 v5, 0x46000000, v6
	s_and_not1_b32 s33, s33, exec_lo
	s_delay_alu instid0(VALU_DEP_1) | instskip(NEXT) | instid1(VALU_DEP_1)
	v_and_b32_e32 v5, 0xff, v5
	v_cmp_ne_u32_e32 vcc_lo, 0, v5
	s_and_b32 s35, vcc_lo, exec_lo
	s_delay_alu instid0(SALU_CYCLE_1)
	s_or_b32 s33, s33, s35
	s_or_b32 exec_lo, exec_lo, s34
	v_mov_b32_e32 v7, 0
	s_and_saveexec_b32 s34, s33
	s_cbranch_execnz .LBB254_2023
	s_branch .LBB254_2024
.LBB254_3044:
	s_and_not1_saveexec_b32 s33, s33
	s_cbranch_execz .LBB254_2796
.LBB254_3045:
	v_add_f32_e32 v5, 0x42800000, v7
	s_and_not1_b32 s31, s31, exec_lo
	s_delay_alu instid0(VALU_DEP_1) | instskip(NEXT) | instid1(VALU_DEP_1)
	v_and_b32_e32 v5, 0xff, v5
	v_cmp_ne_u32_e32 vcc_lo, 0, v5
	s_and_b32 s34, vcc_lo, exec_lo
	s_delay_alu instid0(SALU_CYCLE_1)
	s_or_b32 s31, s31, s34
	s_or_b32 exec_lo, exec_lo, s33
	v_mov_b32_e32 v8, 0
	s_and_saveexec_b32 s33, s31
	s_cbranch_execnz .LBB254_2797
	s_branch .LBB254_2798
.LBB254_3046:
	s_and_not1_saveexec_b32 s34, s34
	s_cbranch_execz .LBB254_2106
.LBB254_3047:
	v_add_f32_e32 v0, 0x46000000, v1
	s_and_not1_b32 s33, s33, exec_lo
	s_delay_alu instid0(VALU_DEP_1) | instskip(NEXT) | instid1(VALU_DEP_1)
	v_and_b32_e32 v0, 0xff, v0
	v_cmp_ne_u32_e32 vcc_lo, 0, v0
	s_and_b32 s35, vcc_lo, exec_lo
	s_delay_alu instid0(SALU_CYCLE_1)
	s_or_b32 s33, s33, s35
	s_or_b32 exec_lo, exec_lo, s34
	v_mov_b32_e32 v2, 0
	s_and_saveexec_b32 s34, s33
	s_cbranch_execnz .LBB254_2107
	s_branch .LBB254_2108
.LBB254_3048:
	s_and_not1_saveexec_b32 s34, s34
	s_cbranch_execz .LBB254_2881
.LBB254_3049:
	v_add_f32_e32 v5, 0x42800000, v6
	s_and_not1_b32 s33, s33, exec_lo
	s_delay_alu instid0(VALU_DEP_1) | instskip(NEXT) | instid1(VALU_DEP_1)
	v_and_b32_e32 v5, 0xff, v5
	v_cmp_ne_u32_e32 vcc_lo, 0, v5
	s_and_b32 s35, vcc_lo, exec_lo
	s_delay_alu instid0(SALU_CYCLE_1)
	s_or_b32 s33, s33, s35
	s_or_b32 exec_lo, exec_lo, s34
	v_mov_b32_e32 v7, 0
	s_and_saveexec_b32 s34, s33
	s_cbranch_execnz .LBB254_2882
	s_branch .LBB254_2883
.LBB254_3050:
	s_and_not1_saveexec_b32 s34, s34
	s_cbranch_execz .LBB254_2964
.LBB254_3051:
	v_add_f32_e32 v0, 0x42800000, v1
	s_and_not1_b32 s33, s33, exec_lo
	s_delay_alu instid0(VALU_DEP_1) | instskip(NEXT) | instid1(VALU_DEP_1)
	v_and_b32_e32 v0, 0xff, v0
	v_cmp_ne_u32_e32 vcc_lo, 0, v0
	s_and_b32 s35, vcc_lo, exec_lo
	s_delay_alu instid0(SALU_CYCLE_1)
	s_or_b32 s33, s33, s35
	s_or_b32 exec_lo, exec_lo, s34
	v_mov_b32_e32 v2, 0
	s_and_saveexec_b32 s34, s33
	s_cbranch_execnz .LBB254_2965
	s_branch .LBB254_2966
	.section	.rodata,"a",@progbits
	.p2align	6, 0x0
	.amdhsa_kernel _ZN2at6native32elementwise_kernel_manual_unrollILi128ELi4EZNS0_15gpu_kernel_implINS0_13BinaryFunctorIN3c1015Float8_e5m2fnuzES5_bNS0_12_GLOBAL__N_116CompareEqFunctorIS5_EEEEEEvRNS_18TensorIteratorBaseERKT_EUlibE0_EEviT1_
		.amdhsa_group_segment_fixed_size 0
		.amdhsa_private_segment_fixed_size 448
		.amdhsa_kernarg_size 432
		.amdhsa_user_sgpr_count 2
		.amdhsa_user_sgpr_dispatch_ptr 0
		.amdhsa_user_sgpr_queue_ptr 0
		.amdhsa_user_sgpr_kernarg_segment_ptr 1
		.amdhsa_user_sgpr_dispatch_id 0
		.amdhsa_user_sgpr_kernarg_preload_length 0
		.amdhsa_user_sgpr_kernarg_preload_offset 0
		.amdhsa_user_sgpr_private_segment_size 0
		.amdhsa_wavefront_size32 1
		.amdhsa_uses_dynamic_stack 0
		.amdhsa_enable_private_segment 1
		.amdhsa_system_sgpr_workgroup_id_x 1
		.amdhsa_system_sgpr_workgroup_id_y 0
		.amdhsa_system_sgpr_workgroup_id_z 0
		.amdhsa_system_sgpr_workgroup_info 0
		.amdhsa_system_vgpr_workitem_id 0
		.amdhsa_next_free_vgpr 40
		.amdhsa_next_free_sgpr 96
		.amdhsa_named_barrier_count 0
		.amdhsa_reserve_vcc 1
		.amdhsa_float_round_mode_32 0
		.amdhsa_float_round_mode_16_64 0
		.amdhsa_float_denorm_mode_32 3
		.amdhsa_float_denorm_mode_16_64 3
		.amdhsa_fp16_overflow 0
		.amdhsa_memory_ordered 1
		.amdhsa_forward_progress 1
		.amdhsa_inst_pref_size 255
		.amdhsa_round_robin_scheduling 0
		.amdhsa_exception_fp_ieee_invalid_op 0
		.amdhsa_exception_fp_denorm_src 0
		.amdhsa_exception_fp_ieee_div_zero 0
		.amdhsa_exception_fp_ieee_overflow 0
		.amdhsa_exception_fp_ieee_underflow 0
		.amdhsa_exception_fp_ieee_inexact 0
		.amdhsa_exception_int_div_zero 0
	.end_amdhsa_kernel
	.section	.text._ZN2at6native32elementwise_kernel_manual_unrollILi128ELi4EZNS0_15gpu_kernel_implINS0_13BinaryFunctorIN3c1015Float8_e5m2fnuzES5_bNS0_12_GLOBAL__N_116CompareEqFunctorIS5_EEEEEEvRNS_18TensorIteratorBaseERKT_EUlibE0_EEviT1_,"axG",@progbits,_ZN2at6native32elementwise_kernel_manual_unrollILi128ELi4EZNS0_15gpu_kernel_implINS0_13BinaryFunctorIN3c1015Float8_e5m2fnuzES5_bNS0_12_GLOBAL__N_116CompareEqFunctorIS5_EEEEEEvRNS_18TensorIteratorBaseERKT_EUlibE0_EEviT1_,comdat
.Lfunc_end254:
	.size	_ZN2at6native32elementwise_kernel_manual_unrollILi128ELi4EZNS0_15gpu_kernel_implINS0_13BinaryFunctorIN3c1015Float8_e5m2fnuzES5_bNS0_12_GLOBAL__N_116CompareEqFunctorIS5_EEEEEEvRNS_18TensorIteratorBaseERKT_EUlibE0_EEviT1_, .Lfunc_end254-_ZN2at6native32elementwise_kernel_manual_unrollILi128ELi4EZNS0_15gpu_kernel_implINS0_13BinaryFunctorIN3c1015Float8_e5m2fnuzES5_bNS0_12_GLOBAL__N_116CompareEqFunctorIS5_EEEEEEvRNS_18TensorIteratorBaseERKT_EUlibE0_EEviT1_
                                        ; -- End function
	.set _ZN2at6native32elementwise_kernel_manual_unrollILi128ELi4EZNS0_15gpu_kernel_implINS0_13BinaryFunctorIN3c1015Float8_e5m2fnuzES5_bNS0_12_GLOBAL__N_116CompareEqFunctorIS5_EEEEEEvRNS_18TensorIteratorBaseERKT_EUlibE0_EEviT1_.num_vgpr, max(40, .L_ZNK16OffsetCalculatorILi3EjLb0EE3getEj.num_vgpr, .L_ZN2at6native6invokeINS0_13BinaryFunctorIN3c1015Float8_e5m2fnuzES4_bNS0_12_GLOBAL__N_116CompareEqFunctorIS4_EEEEj15function_traitsIS8_EEENT1_11result_typeERKT_PrKPcPKT0_PKNS3_10ScalarTypeEi.num_vgpr)
	.set _ZN2at6native32elementwise_kernel_manual_unrollILi128ELi4EZNS0_15gpu_kernel_implINS0_13BinaryFunctorIN3c1015Float8_e5m2fnuzES5_bNS0_12_GLOBAL__N_116CompareEqFunctorIS5_EEEEEEvRNS_18TensorIteratorBaseERKT_EUlibE0_EEviT1_.num_agpr, max(0, .L_ZNK16OffsetCalculatorILi3EjLb0EE3getEj.num_agpr, .L_ZN2at6native6invokeINS0_13BinaryFunctorIN3c1015Float8_e5m2fnuzES4_bNS0_12_GLOBAL__N_116CompareEqFunctorIS4_EEEEj15function_traitsIS8_EEENT1_11result_typeERKT_PrKPcPKT0_PKNS3_10ScalarTypeEi.num_agpr)
	.set _ZN2at6native32elementwise_kernel_manual_unrollILi128ELi4EZNS0_15gpu_kernel_implINS0_13BinaryFunctorIN3c1015Float8_e5m2fnuzES5_bNS0_12_GLOBAL__N_116CompareEqFunctorIS5_EEEEEEvRNS_18TensorIteratorBaseERKT_EUlibE0_EEviT1_.numbered_sgpr, max(96, .L_ZNK16OffsetCalculatorILi3EjLb0EE3getEj.numbered_sgpr, .L_ZN2at6native6invokeINS0_13BinaryFunctorIN3c1015Float8_e5m2fnuzES4_bNS0_12_GLOBAL__N_116CompareEqFunctorIS4_EEEEj15function_traitsIS8_EEENT1_11result_typeERKT_PrKPcPKT0_PKNS3_10ScalarTypeEi.numbered_sgpr)
	.set _ZN2at6native32elementwise_kernel_manual_unrollILi128ELi4EZNS0_15gpu_kernel_implINS0_13BinaryFunctorIN3c1015Float8_e5m2fnuzES5_bNS0_12_GLOBAL__N_116CompareEqFunctorIS5_EEEEEEvRNS_18TensorIteratorBaseERKT_EUlibE0_EEviT1_.num_named_barrier, max(0, .L_ZNK16OffsetCalculatorILi3EjLb0EE3getEj.num_named_barrier, .L_ZN2at6native6invokeINS0_13BinaryFunctorIN3c1015Float8_e5m2fnuzES4_bNS0_12_GLOBAL__N_116CompareEqFunctorIS4_EEEEj15function_traitsIS8_EEENT1_11result_typeERKT_PrKPcPKT0_PKNS3_10ScalarTypeEi.num_named_barrier)
	.set _ZN2at6native32elementwise_kernel_manual_unrollILi128ELi4EZNS0_15gpu_kernel_implINS0_13BinaryFunctorIN3c1015Float8_e5m2fnuzES5_bNS0_12_GLOBAL__N_116CompareEqFunctorIS5_EEEEEEvRNS_18TensorIteratorBaseERKT_EUlibE0_EEviT1_.private_seg_size, 448+max(.L_ZNK16OffsetCalculatorILi3EjLb0EE3getEj.private_seg_size, .L_ZN2at6native6invokeINS0_13BinaryFunctorIN3c1015Float8_e5m2fnuzES4_bNS0_12_GLOBAL__N_116CompareEqFunctorIS4_EEEEj15function_traitsIS8_EEENT1_11result_typeERKT_PrKPcPKT0_PKNS3_10ScalarTypeEi.private_seg_size)
	.set _ZN2at6native32elementwise_kernel_manual_unrollILi128ELi4EZNS0_15gpu_kernel_implINS0_13BinaryFunctorIN3c1015Float8_e5m2fnuzES5_bNS0_12_GLOBAL__N_116CompareEqFunctorIS5_EEEEEEvRNS_18TensorIteratorBaseERKT_EUlibE0_EEviT1_.uses_vcc, or(1, .L_ZNK16OffsetCalculatorILi3EjLb0EE3getEj.uses_vcc, .L_ZN2at6native6invokeINS0_13BinaryFunctorIN3c1015Float8_e5m2fnuzES4_bNS0_12_GLOBAL__N_116CompareEqFunctorIS4_EEEEj15function_traitsIS8_EEENT1_11result_typeERKT_PrKPcPKT0_PKNS3_10ScalarTypeEi.uses_vcc)
	.set _ZN2at6native32elementwise_kernel_manual_unrollILi128ELi4EZNS0_15gpu_kernel_implINS0_13BinaryFunctorIN3c1015Float8_e5m2fnuzES5_bNS0_12_GLOBAL__N_116CompareEqFunctorIS5_EEEEEEvRNS_18TensorIteratorBaseERKT_EUlibE0_EEviT1_.uses_flat_scratch, or(1, .L_ZNK16OffsetCalculatorILi3EjLb0EE3getEj.uses_flat_scratch, .L_ZN2at6native6invokeINS0_13BinaryFunctorIN3c1015Float8_e5m2fnuzES4_bNS0_12_GLOBAL__N_116CompareEqFunctorIS4_EEEEj15function_traitsIS8_EEENT1_11result_typeERKT_PrKPcPKT0_PKNS3_10ScalarTypeEi.uses_flat_scratch)
	.set _ZN2at6native32elementwise_kernel_manual_unrollILi128ELi4EZNS0_15gpu_kernel_implINS0_13BinaryFunctorIN3c1015Float8_e5m2fnuzES5_bNS0_12_GLOBAL__N_116CompareEqFunctorIS5_EEEEEEvRNS_18TensorIteratorBaseERKT_EUlibE0_EEviT1_.has_dyn_sized_stack, or(0, .L_ZNK16OffsetCalculatorILi3EjLb0EE3getEj.has_dyn_sized_stack, .L_ZN2at6native6invokeINS0_13BinaryFunctorIN3c1015Float8_e5m2fnuzES4_bNS0_12_GLOBAL__N_116CompareEqFunctorIS4_EEEEj15function_traitsIS8_EEENT1_11result_typeERKT_PrKPcPKT0_PKNS3_10ScalarTypeEi.has_dyn_sized_stack)
	.set _ZN2at6native32elementwise_kernel_manual_unrollILi128ELi4EZNS0_15gpu_kernel_implINS0_13BinaryFunctorIN3c1015Float8_e5m2fnuzES5_bNS0_12_GLOBAL__N_116CompareEqFunctorIS5_EEEEEEvRNS_18TensorIteratorBaseERKT_EUlibE0_EEviT1_.has_recursion, or(0, .L_ZNK16OffsetCalculatorILi3EjLb0EE3getEj.has_recursion, .L_ZN2at6native6invokeINS0_13BinaryFunctorIN3c1015Float8_e5m2fnuzES4_bNS0_12_GLOBAL__N_116CompareEqFunctorIS4_EEEEj15function_traitsIS8_EEENT1_11result_typeERKT_PrKPcPKT0_PKNS3_10ScalarTypeEi.has_recursion)
	.set _ZN2at6native32elementwise_kernel_manual_unrollILi128ELi4EZNS0_15gpu_kernel_implINS0_13BinaryFunctorIN3c1015Float8_e5m2fnuzES5_bNS0_12_GLOBAL__N_116CompareEqFunctorIS5_EEEEEEvRNS_18TensorIteratorBaseERKT_EUlibE0_EEviT1_.has_indirect_call, or(0, .L_ZNK16OffsetCalculatorILi3EjLb0EE3getEj.has_indirect_call, .L_ZN2at6native6invokeINS0_13BinaryFunctorIN3c1015Float8_e5m2fnuzES4_bNS0_12_GLOBAL__N_116CompareEqFunctorIS4_EEEEj15function_traitsIS8_EEENT1_11result_typeERKT_PrKPcPKT0_PKNS3_10ScalarTypeEi.has_indirect_call)
	.section	.AMDGPU.csdata,"",@progbits
; Kernel info:
; codeLenInByte = 78408
; TotalNumSgprs: 98
; NumVgprs: 40
; ScratchSize: 448
; MemoryBound: 0
; FloatMode: 240
; IeeeMode: 1
; LDSByteSize: 0 bytes/workgroup (compile time only)
; SGPRBlocks: 0
; VGPRBlocks: 2
; NumSGPRsForWavesPerEU: 98
; NumVGPRsForWavesPerEU: 40
; NamedBarCnt: 0
; Occupancy: 16
; WaveLimiterHint : 1
; COMPUTE_PGM_RSRC2:SCRATCH_EN: 1
; COMPUTE_PGM_RSRC2:USER_SGPR: 2
; COMPUTE_PGM_RSRC2:TRAP_HANDLER: 0
; COMPUTE_PGM_RSRC2:TGID_X_EN: 1
; COMPUTE_PGM_RSRC2:TGID_Y_EN: 0
; COMPUTE_PGM_RSRC2:TGID_Z_EN: 0
; COMPUTE_PGM_RSRC2:TIDIG_COMP_CNT: 0
	.text
	.p2align	2                               ; -- Begin function _ZN2at6native25elementwise_kernel_helperILb0ENS0_13AUnaryFunctorIN3c1015Float8_e5m2fnuzES4_bNS0_12_GLOBAL__N_116CompareEqFunctorIS4_EEEENS0_6memory8policies11unroll_baseILi256ESt5arrayIPcLm2EE23TrivialOffsetCalculatorILi1EjESG_NS9_15LoadWithoutCastENS9_16StoreWithoutCastELi16ELi1EEEEEvT0_T1_
	.type	_ZN2at6native25elementwise_kernel_helperILb0ENS0_13AUnaryFunctorIN3c1015Float8_e5m2fnuzES4_bNS0_12_GLOBAL__N_116CompareEqFunctorIS4_EEEENS0_6memory8policies11unroll_baseILi256ESt5arrayIPcLm2EE23TrivialOffsetCalculatorILi1EjESG_NS9_15LoadWithoutCastENS9_16StoreWithoutCastELi16ELi1EEEEEvT0_T1_,@function
_ZN2at6native25elementwise_kernel_helperILb0ENS0_13AUnaryFunctorIN3c1015Float8_e5m2fnuzES4_bNS0_12_GLOBAL__N_116CompareEqFunctorIS4_EEEENS0_6memory8policies11unroll_baseILi256ESt5arrayIPcLm2EE23TrivialOffsetCalculatorILi1EjESG_NS9_15LoadWithoutCastENS9_16StoreWithoutCastELi16ELi1EEEEEvT0_T1_: ; @_ZN2at6native25elementwise_kernel_helperILb0ENS0_13AUnaryFunctorIN3c1015Float8_e5m2fnuzES4_bNS0_12_GLOBAL__N_116CompareEqFunctorIS4_EEEENS0_6memory8policies11unroll_baseILi256ESt5arrayIPcLm2EE23TrivialOffsetCalculatorILi1EjESG_NS9_15LoadWithoutCastENS9_16StoreWithoutCastELi16ELi1EEEEEvT0_T1_
; %bb.0:
	s_wait_loadcnt_dscnt 0x0
	s_wait_kmcnt 0x0
	s_bfe_u32 s0, ttmp6, 0x4000c
	s_and_b32 s1, ttmp6, 15
	s_add_co_i32 s0, s0, 1
	s_getreg_b32 s2, hwreg(HW_REG_IB_STS2, 6, 4)
	s_mul_i32 s0, ttmp9, s0
	v_and_b32_e32 v9, 0x3ff, v31
	s_add_co_i32 s1, s1, s0
	s_cmp_eq_u32 s2, 0
	v_mov_b32_e32 v13, 0
	s_cselect_b32 s0, ttmp9, s1
	v_cmp_lt_i32_e32 vcc_lo, v9, v6
	s_lshl_b32 s2, s0, 12
	s_delay_alu instid0(SALU_CYCLE_1)
	v_dual_mov_b32 v8, 0 :: v_dual_bitop2_b32 v10, s2, v9 bitop3:0x54
	v_dual_mov_b32 v15, 0 :: v_dual_add_nc_u32 v20, 0x100, v9
	v_dual_mov_b32 v14, 0 :: v_dual_mov_b32 v16, 0
	v_dual_mov_b32 v21, 0 :: v_dual_mov_b32 v22, 0
	;; [unrolled: 1-line block ×7, first 2 shown]
	s_and_saveexec_b32 s1, vcc_lo
	s_cbranch_execz .LBB255_32
; %bb.1:
	v_mov_b32_e32 v11, 0
	v_add_nc_u32_e32 v7, 0x100, v9
	s_mov_b32 s3, exec_lo
	s_delay_alu instid0(VALU_DEP_2)
	v_add_nc_u64_e32 v[12:13], v[4:5], v[10:11]
	v_dual_mov_b32 v17, v11 :: v_dual_mov_b32 v29, v11
	v_dual_mov_b32 v28, v11 :: v_dual_mov_b32 v27, v11
	v_dual_mov_b32 v26, v11 :: v_dual_mov_b32 v25, v11
	v_mov_b32_e32 v24, v11
	flat_load_u8 v30, v[12:13]
	v_dual_mov_b32 v23, v11 :: v_dual_mov_b32 v22, v11
	v_dual_mov_b32 v21, v11 :: v_dual_mov_b32 v16, v11
	;; [unrolled: 1-line block ×3, first 2 shown]
	s_wait_xcnt 0x0
	v_mov_b32_e32 v13, v11
	v_cmpx_lt_u32_e64 v7, v6
	s_cbranch_execz .LBB255_31
; %bb.2:
	v_dual_mov_b32 v17, 0 :: v_dual_add_nc_u32 v16, s2, v9
	v_add_nc_u32_e32 v7, 0x200, v9
	s_mov_b32 s4, exec_lo
	s_delay_alu instid0(VALU_DEP_2)
	v_add_nc_u64_e32 v[18:19], v[4:5], v[16:17]
	v_dual_mov_b32 v29, v17 :: v_dual_mov_b32 v27, v17
	v_dual_mov_b32 v28, v17 :: v_dual_mov_b32 v26, v17
	;; [unrolled: 1-line block ×3, first 2 shown]
	v_mov_b32_e32 v23, v17
	flat_load_u8 v11, v[18:19] offset:256
	v_dual_mov_b32 v22, v17 :: v_dual_mov_b32 v21, v17
	v_dual_mov_b32 v16, v17 :: v_dual_mov_b32 v14, v17
	v_dual_mov_b32 v15, v17 :: v_dual_mov_b32 v13, v17
	s_wait_xcnt 0x0
	v_cmpx_lt_u32_e64 v7, v6
	s_cbranch_execz .LBB255_30
; %bb.3:
	flat_load_u8 v17, v[18:19] offset:512
	v_dual_mov_b32 v28, 0 :: v_dual_add_nc_u32 v7, 0x300, v9
	v_dual_mov_b32 v29, 0 :: v_dual_mov_b32 v27, 0
	v_dual_mov_b32 v26, 0 :: v_dual_mov_b32 v25, 0
	;; [unrolled: 1-line block ×6, first 2 shown]
	s_mov_b32 s5, exec_lo
	s_wait_xcnt 0x0
	v_cmpx_lt_u32_e64 v7, v6
	s_cbranch_execz .LBB255_29
; %bb.4:
	flat_load_u8 v29, v[18:19] offset:768
	v_or_b32_e32 v7, 0x400, v9
	v_dual_mov_b32 v28, 0 :: v_dual_mov_b32 v27, 0
	v_dual_mov_b32 v26, 0 :: v_dual_mov_b32 v25, 0
	;; [unrolled: 1-line block ×6, first 2 shown]
	s_mov_b32 s6, exec_lo
	s_wait_xcnt 0x0
	v_cmpx_lt_u32_e64 v7, v6
	s_cbranch_execz .LBB255_28
; %bb.5:
	flat_load_u8 v28, v[18:19] offset:1024
	v_dual_mov_b32 v26, 0 :: v_dual_add_nc_u32 v7, 0x500, v9
	v_dual_mov_b32 v27, 0 :: v_dual_mov_b32 v25, 0
	v_dual_mov_b32 v24, 0 :: v_dual_mov_b32 v23, 0
	;; [unrolled: 1-line block ×5, first 2 shown]
	s_mov_b32 s7, exec_lo
	s_wait_xcnt 0x0
	v_cmpx_lt_u32_e64 v7, v6
	s_cbranch_execz .LBB255_27
; %bb.6:
	flat_load_u8 v27, v[18:19] offset:1280
	v_dual_mov_b32 v26, 0 :: v_dual_add_nc_u32 v7, 0x600, v9
	v_dual_mov_b32 v25, 0 :: v_dual_mov_b32 v24, 0
	v_dual_mov_b32 v23, 0 :: v_dual_mov_b32 v22, 0
	;; [unrolled: 1-line block ×4, first 2 shown]
	v_mov_b32_e32 v13, 0
	s_mov_b32 s8, exec_lo
	s_wait_xcnt 0x0
	v_cmpx_lt_u32_e64 v7, v6
	s_cbranch_execz .LBB255_26
; %bb.7:
	flat_load_u8 v26, v[18:19] offset:1536
	v_dual_mov_b32 v24, 0 :: v_dual_add_nc_u32 v7, 0x700, v9
	v_dual_mov_b32 v25, 0 :: v_dual_mov_b32 v23, 0
	v_dual_mov_b32 v22, 0 :: v_dual_mov_b32 v21, 0
	;; [unrolled: 1-line block ×4, first 2 shown]
	s_mov_b32 s9, exec_lo
	s_wait_xcnt 0x0
	v_cmpx_lt_u32_e64 v7, v6
	s_cbranch_execz .LBB255_25
; %bb.8:
	flat_load_u8 v25, v[18:19] offset:1792
	v_or_b32_e32 v7, 0x800, v9
	v_dual_mov_b32 v24, 0 :: v_dual_mov_b32 v23, 0
	v_dual_mov_b32 v22, 0 :: v_dual_mov_b32 v21, 0
	;; [unrolled: 1-line block ×4, first 2 shown]
	s_mov_b32 s10, exec_lo
	s_wait_xcnt 0x0
	v_cmpx_lt_u32_e64 v7, v6
	s_cbranch_execz .LBB255_24
; %bb.9:
	flat_load_u8 v24, v[18:19] offset:2048
	v_dual_mov_b32 v22, 0 :: v_dual_add_nc_u32 v7, 0x900, v9
	v_dual_mov_b32 v23, 0 :: v_dual_mov_b32 v21, 0
	v_dual_mov_b32 v16, 0 :: v_dual_mov_b32 v14, 0
	v_dual_mov_b32 v15, 0 :: v_dual_mov_b32 v13, 0
	s_mov_b32 s11, exec_lo
	s_wait_xcnt 0x0
	v_cmpx_lt_u32_e64 v7, v6
	s_cbranch_execz .LBB255_23
; %bb.10:
	flat_load_u8 v23, v[18:19] offset:2304
	v_dual_mov_b32 v22, 0 :: v_dual_add_nc_u32 v7, 0xa00, v9
	v_dual_mov_b32 v21, 0 :: v_dual_mov_b32 v16, 0
	v_dual_mov_b32 v14, 0 :: v_dual_mov_b32 v15, 0
	v_mov_b32_e32 v13, 0
	s_mov_b32 s12, exec_lo
	s_wait_xcnt 0x0
	v_cmpx_lt_u32_e64 v7, v6
	s_cbranch_execz .LBB255_22
; %bb.11:
	flat_load_u8 v22, v[18:19] offset:2560
	v_dual_mov_b32 v16, 0 :: v_dual_add_nc_u32 v7, 0xb00, v9
	v_dual_mov_b32 v21, 0 :: v_dual_mov_b32 v14, 0
	v_dual_mov_b32 v15, 0 :: v_dual_mov_b32 v13, 0
	s_mov_b32 s13, exec_lo
	s_wait_xcnt 0x0
	v_cmpx_lt_u32_e64 v7, v6
	s_cbranch_execz .LBB255_21
; %bb.12:
	flat_load_u8 v21, v[18:19] offset:2816
	v_or_b32_e32 v7, 0xc00, v9
	v_dual_mov_b32 v16, 0 :: v_dual_mov_b32 v14, 0
	v_dual_mov_b32 v15, 0 :: v_dual_mov_b32 v13, 0
	s_mov_b32 s14, exec_lo
	s_wait_xcnt 0x0
	v_cmpx_lt_u32_e64 v7, v6
	s_cbranch_execz .LBB255_20
; %bb.13:
	flat_load_u8 v16, v[18:19] offset:3072
	v_dual_mov_b32 v14, 0 :: v_dual_add_nc_u32 v7, 0xd00, v9
	v_dual_mov_b32 v15, 0 :: v_dual_mov_b32 v13, 0
	s_mov_b32 s15, exec_lo
	s_wait_xcnt 0x0
	s_delay_alu instid0(VALU_DEP_2)
	v_cmpx_lt_u32_e64 v7, v6
	s_cbranch_execz .LBB255_19
; %bb.14:
	v_dual_mov_b32 v15, 0 :: v_dual_add_nc_u32 v14, s2, v7
	v_add_nc_u32_e32 v7, 0xe00, v9
	s_mov_b32 s16, exec_lo
	s_delay_alu instid0(VALU_DEP_2)
	v_add_nc_u64_e32 v[12:13], v[4:5], v[14:15]
	flat_load_u8 v14, v[12:13]
	s_wait_xcnt 0x0
	v_mov_b32_e32 v13, v15
	v_cmpx_lt_u32_e64 v7, v6
	s_cbranch_execz .LBB255_18
; %bb.15:
	v_dual_mov_b32 v13, 0 :: v_dual_add_nc_u32 v12, s2, v7
	v_add_nc_u32_e32 v7, 0xf00, v9
	s_mov_b32 s17, exec_lo
	s_delay_alu instid0(VALU_DEP_2)
	v_add_nc_u64_e32 v[18:19], v[4:5], v[12:13]
	flat_load_u8 v15, v[18:19]
	s_wait_xcnt 0x0
	v_cmpx_lt_u32_e64 v7, v6
	s_cbranch_execz .LBB255_17
; %bb.16:
	v_dual_mov_b32 v13, 0 :: v_dual_add_nc_u32 v12, s2, v7
	s_delay_alu instid0(VALU_DEP_1)
	v_add_nc_u64_e32 v[4:5], v[4:5], v[12:13]
	flat_load_u8 v13, v[4:5]
.LBB255_17:
	s_wait_xcnt 0x0
	s_or_b32 exec_lo, exec_lo, s17
.LBB255_18:
	s_delay_alu instid0(SALU_CYCLE_1)
	s_or_b32 exec_lo, exec_lo, s16
.LBB255_19:
	s_delay_alu instid0(SALU_CYCLE_1)
	s_or_b32 exec_lo, exec_lo, s15
.LBB255_20:
	s_delay_alu instid0(SALU_CYCLE_1)
	s_or_b32 exec_lo, exec_lo, s14
.LBB255_21:
	s_delay_alu instid0(SALU_CYCLE_1)
	s_or_b32 exec_lo, exec_lo, s13
.LBB255_22:
	s_delay_alu instid0(SALU_CYCLE_1)
	s_or_b32 exec_lo, exec_lo, s12
.LBB255_23:
	s_delay_alu instid0(SALU_CYCLE_1)
	s_or_b32 exec_lo, exec_lo, s11
.LBB255_24:
	s_delay_alu instid0(SALU_CYCLE_1)
	s_or_b32 exec_lo, exec_lo, s10
.LBB255_25:
	s_delay_alu instid0(SALU_CYCLE_1)
	s_or_b32 exec_lo, exec_lo, s9
.LBB255_26:
	s_delay_alu instid0(SALU_CYCLE_1)
	s_or_b32 exec_lo, exec_lo, s8
.LBB255_27:
	s_delay_alu instid0(SALU_CYCLE_1)
	s_or_b32 exec_lo, exec_lo, s7
.LBB255_28:
	s_delay_alu instid0(SALU_CYCLE_1)
	s_or_b32 exec_lo, exec_lo, s6
.LBB255_29:
	s_delay_alu instid0(SALU_CYCLE_1)
	s_or_b32 exec_lo, exec_lo, s5
.LBB255_30:
	s_delay_alu instid0(SALU_CYCLE_1)
	s_or_b32 exec_lo, exec_lo, s4
.LBB255_31:
	s_delay_alu instid0(SALU_CYCLE_1)
	s_or_b32 exec_lo, exec_lo, s3
.LBB255_32:
	s_delay_alu instid0(SALU_CYCLE_1) | instskip(SKIP_2) | instid1(VALU_DEP_2)
	s_or_b32 exec_lo, exec_lo, s1
	v_and_b32_e32 v4, 3, v1
	v_bfe_u32 v12, v1, 2, 5
	v_clz_i32_u32_e32 v5, v4
	s_delay_alu instid0(VALU_DEP_2) | instskip(NEXT) | instid1(VALU_DEP_2)
	v_cmp_eq_u32_e64 s0, 0, v12
	v_min_u32_e32 v5, 32, v5
	s_delay_alu instid0(VALU_DEP_1) | instskip(NEXT) | instid1(VALU_DEP_1)
	v_subrev_nc_u32_e32 v7, 29, v5
	v_lshlrev_b32_e32 v7, v7, v1
	s_delay_alu instid0(VALU_DEP_1) | instskip(NEXT) | instid1(VALU_DEP_1)
	v_dual_sub_nc_u32 v5, 30, v5 :: v_dual_bitop2_b32 v7, 3, v7 bitop3:0x40
	v_dual_lshlrev_b32 v18, 24, v1 :: v_dual_cndmask_b32 v4, v4, v7, s0
	s_delay_alu instid0(VALU_DEP_2) | instskip(NEXT) | instid1(VALU_DEP_2)
	v_cndmask_b32_e64 v5, v12, v5, s0
	v_and_b32_e32 v12, 0x80000000, v18
	v_cmp_ne_u32_e64 s0, 0, v0
	s_delay_alu instid0(VALU_DEP_4) | instskip(NEXT) | instid1(VALU_DEP_4)
	v_dual_mov_b32 v7, v8 :: v_dual_lshlrev_b32 v18, 21, v4
	v_lshl_add_u32 v5, v5, 23, 0x37800000
	v_mov_b32_e32 v4, v8
	s_delay_alu instid0(VALU_DEP_2)
	v_or3_b32 v0, v12, v5, v18
	v_mov_b32_e32 v5, v8
	s_and_saveexec_b32 s3, vcc_lo
	s_cbranch_execz .LBB255_54
; %bb.33:
                                        ; implicit-def: $sgpr4
	s_and_saveexec_b32 s1, s0
	s_delay_alu instid0(SALU_CYCLE_1)
	s_xor_b32 s5, exec_lo, s1
	s_cbranch_execz .LBB255_43
; %bb.34:
	v_and_b32_e32 v5, 0xff, v1
	s_mov_b32 s4, 0
	s_mov_b32 s6, exec_lo
	s_delay_alu instid0(VALU_DEP_1)
	v_cmpx_lt_i16_e32 0x7f, v5
	s_xor_b32 s6, exec_lo, s6
	s_cbranch_execnz .LBB255_417
; %bb.35:
	s_or_saveexec_b32 s6, s6
	v_mov_b32_e32 v4, 0x7f800001
	s_xor_b32 exec_lo, exec_lo, s6
	s_cbranch_execnz .LBB255_420
.LBB255_36:
	s_or_b32 exec_lo, exec_lo, s6
	s_and_saveexec_b32 s1, s4
.LBB255_37:
	v_mov_b32_e32 v4, v0
.LBB255_38:
	s_or_b32 exec_lo, exec_lo, s1
	s_wait_loadcnt_dscnt 0x0
	v_and_b32_e32 v7, 0xff, v30
	s_mov_b32 s4, 0
	s_mov_b32 s6, exec_lo
	s_delay_alu instid0(VALU_DEP_1)
	v_cmpx_lt_i16_e32 0x7f, v7
	s_xor_b32 s6, exec_lo, s6
	s_cbranch_execnz .LBB255_421
; %bb.39:
	s_or_saveexec_b32 s6, s6
	v_mov_b32_e32 v5, 0x7f800001
	s_xor_b32 exec_lo, exec_lo, s6
	s_cbranch_execnz .LBB255_424
.LBB255_40:
	s_or_b32 exec_lo, exec_lo, s6
	s_and_saveexec_b32 s6, s4
	s_cbranch_execz .LBB255_42
.LBB255_41:
	v_and_b32_e32 v5, 3, v30
	v_lshrrev_b16 v8, 2, v30
	v_lshlrev_b32_e32 v18, 24, v30
	s_delay_alu instid0(VALU_DEP_3) | instskip(NEXT) | instid1(VALU_DEP_1)
	v_clz_i32_u32_e32 v7, v5
	v_min_u32_e32 v7, 32, v7
	s_delay_alu instid0(VALU_DEP_4) | instskip(NEXT) | instid1(VALU_DEP_2)
	v_and_b32_e32 v8, 31, v8
	v_subrev_nc_u32_e32 v12, 29, v7
	v_sub_nc_u32_e32 v7, 30, v7
	s_delay_alu instid0(VALU_DEP_3) | instskip(NEXT) | instid1(VALU_DEP_3)
	v_cmp_eq_u32_e64 s1, 0, v8
	v_lshlrev_b32_e32 v12, v12, v30
	s_delay_alu instid0(VALU_DEP_1) | instskip(SKIP_1) | instid1(VALU_DEP_2)
	v_dual_cndmask_b32 v7, v8, v7, s1 :: v_dual_bitop2_b32 v12, 3, v12 bitop3:0x40
	v_and_b32_e32 v8, 0x80000000, v18
	v_cndmask_b32_e64 v5, v5, v12, s1
	s_delay_alu instid0(VALU_DEP_3) | instskip(NEXT) | instid1(VALU_DEP_2)
	v_lshl_add_u32 v7, v7, 23, 0x37800000
	v_lshlrev_b32_e32 v5, 21, v5
	s_delay_alu instid0(VALU_DEP_1)
	v_or3_b32 v5, v8, v7, v5
.LBB255_42:
	s_or_b32 exec_lo, exec_lo, s6
	s_delay_alu instid0(VALU_DEP_1)
	v_cmp_neq_f32_e64 s4, v4, v5
                                        ; implicit-def: $vgpr30
.LBB255_43:
	s_and_not1_saveexec_b32 s5, s5
	s_cbranch_execz .LBB255_53
; %bb.44:
	v_and_b32_e32 v5, 0xff, v1
	s_mov_b32 s6, 0
	s_mov_b32 s7, exec_lo
	s_delay_alu instid0(VALU_DEP_1)
	v_cmpx_lt_i16_e32 0x7f, v5
	s_xor_b32 s7, exec_lo, s7
	s_cbranch_execnz .LBB255_425
; %bb.45:
	s_or_saveexec_b32 s7, s7
	v_mov_b32_e32 v4, 0x7f800001
	s_xor_b32 exec_lo, exec_lo, s7
	s_cbranch_execnz .LBB255_428
.LBB255_46:
	s_or_b32 exec_lo, exec_lo, s7
	s_and_saveexec_b32 s1, s6
.LBB255_47:
	v_mov_b32_e32 v4, v0
.LBB255_48:
	s_or_b32 exec_lo, exec_lo, s1
	s_wait_loadcnt_dscnt 0x0
	v_and_b32_e32 v7, 0xff, v30
	s_mov_b32 s6, 0
	s_mov_b32 s7, exec_lo
	s_delay_alu instid0(VALU_DEP_1)
	v_cmpx_lt_i16_e32 0x7f, v7
	s_xor_b32 s7, exec_lo, s7
	s_cbranch_execnz .LBB255_429
; %bb.49:
	s_or_saveexec_b32 s7, s7
	v_mov_b32_e32 v5, 0x7f800001
	s_xor_b32 exec_lo, exec_lo, s7
	s_cbranch_execnz .LBB255_432
.LBB255_50:
	s_or_b32 exec_lo, exec_lo, s7
	s_and_saveexec_b32 s7, s6
	s_cbranch_execz .LBB255_52
.LBB255_51:
	v_and_b32_e32 v5, 3, v30
	v_lshrrev_b16 v8, 2, v30
	v_lshlrev_b32_e32 v18, 24, v30
	s_delay_alu instid0(VALU_DEP_3) | instskip(NEXT) | instid1(VALU_DEP_1)
	v_clz_i32_u32_e32 v7, v5
	v_min_u32_e32 v7, 32, v7
	s_delay_alu instid0(VALU_DEP_4) | instskip(NEXT) | instid1(VALU_DEP_2)
	v_and_b32_e32 v8, 31, v8
	v_subrev_nc_u32_e32 v12, 29, v7
	v_sub_nc_u32_e32 v7, 30, v7
	s_delay_alu instid0(VALU_DEP_3) | instskip(NEXT) | instid1(VALU_DEP_3)
	v_cmp_eq_u32_e64 s1, 0, v8
	v_lshlrev_b32_e32 v12, v12, v30
	s_delay_alu instid0(VALU_DEP_1) | instskip(SKIP_1) | instid1(VALU_DEP_2)
	v_dual_cndmask_b32 v7, v8, v7, s1 :: v_dual_bitop2_b32 v12, 3, v12 bitop3:0x40
	v_and_b32_e32 v8, 0x80000000, v18
	v_cndmask_b32_e64 v5, v5, v12, s1
	s_delay_alu instid0(VALU_DEP_3) | instskip(NEXT) | instid1(VALU_DEP_2)
	v_lshl_add_u32 v7, v7, 23, 0x37800000
	v_lshlrev_b32_e32 v5, 21, v5
	s_delay_alu instid0(VALU_DEP_1)
	v_or3_b32 v5, v8, v7, v5
.LBB255_52:
	s_or_b32 exec_lo, exec_lo, s7
	s_delay_alu instid0(VALU_DEP_1) | instskip(SKIP_2) | instid1(SALU_CYCLE_1)
	v_cmp_eq_f32_e64 s1, v4, v5
	s_and_not1_b32 s4, s4, exec_lo
	s_and_b32 s1, s1, exec_lo
	s_or_b32 s4, s4, s1
.LBB255_53:
	s_or_b32 exec_lo, exec_lo, s5
	s_delay_alu instid0(VALU_DEP_1) | instskip(SKIP_1) | instid1(VALU_DEP_2)
	v_cndmask_b32_e64 v4, 0, 1, s4
	v_mov_b32_e32 v7, 0
	v_and_b32_e32 v8, 0xffff, v4
	s_delay_alu instid0(VALU_DEP_2)
	v_dual_mov_b32 v4, v7 :: v_dual_mov_b32 v5, v7
.LBB255_54:
	s_or_b32 exec_lo, exec_lo, s3
	s_delay_alu instid0(SALU_CYCLE_1)
	s_mov_b32 s3, exec_lo
	v_cmpx_lt_i32_e64 v20, v6
	s_cbranch_execz .LBB255_76
; %bb.55:
                                        ; implicit-def: $sgpr4
	s_and_saveexec_b32 s1, s0
	s_delay_alu instid0(SALU_CYCLE_1)
	s_xor_b32 s5, exec_lo, s1
	s_cbranch_execz .LBB255_65
; %bb.56:
	v_and_b32_e32 v18, 0xff, v1
	s_mov_b32 s4, 0
	s_mov_b32 s6, exec_lo
	s_delay_alu instid0(VALU_DEP_1)
	v_cmpx_lt_i16_e32 0x7f, v18
	s_xor_b32 s6, exec_lo, s6
	s_cbranch_execnz .LBB255_433
; %bb.57:
	s_or_saveexec_b32 s6, s6
	v_mov_b32_e32 v12, 0x7f800001
	s_xor_b32 exec_lo, exec_lo, s6
	s_cbranch_execnz .LBB255_436
.LBB255_58:
	s_or_b32 exec_lo, exec_lo, s6
	s_and_saveexec_b32 s1, s4
.LBB255_59:
	v_mov_b32_e32 v12, v0
.LBB255_60:
	s_or_b32 exec_lo, exec_lo, s1
	s_wait_loadcnt_dscnt 0x0
	v_and_b32_e32 v19, 0xff, v11
	s_mov_b32 s4, 0
	s_mov_b32 s6, exec_lo
	s_delay_alu instid0(VALU_DEP_1)
	v_cmpx_lt_i16_e32 0x7f, v19
	s_xor_b32 s6, exec_lo, s6
	s_cbranch_execnz .LBB255_437
; %bb.61:
	s_or_saveexec_b32 s6, s6
	v_mov_b32_e32 v18, 0x7f800001
	s_xor_b32 exec_lo, exec_lo, s6
	s_cbranch_execnz .LBB255_440
.LBB255_62:
	s_or_b32 exec_lo, exec_lo, s6
	s_and_saveexec_b32 s6, s4
	s_cbranch_execz .LBB255_64
.LBB255_63:
	v_and_b32_e32 v18, 3, v11
	v_lshrrev_b16 v30, 2, v11
	s_delay_alu instid0(VALU_DEP_2) | instskip(NEXT) | instid1(VALU_DEP_1)
	v_clz_i32_u32_e32 v19, v18
	v_min_u32_e32 v19, 32, v19
	s_delay_alu instid0(VALU_DEP_3) | instskip(NEXT) | instid1(VALU_DEP_2)
	v_and_b32_e32 v30, 31, v30
	v_subrev_nc_u32_e32 v31, 29, v19
	v_sub_nc_u32_e32 v19, 30, v19
	s_delay_alu instid0(VALU_DEP_3) | instskip(NEXT) | instid1(VALU_DEP_3)
	v_cmp_eq_u32_e64 s1, 0, v30
	v_dual_lshlrev_b32 v31, v31, v11 :: v_dual_lshlrev_b32 v11, 24, v11
	s_delay_alu instid0(VALU_DEP_2) | instskip(NEXT) | instid1(VALU_DEP_2)
	v_cndmask_b32_e64 v19, v30, v19, s1
	v_and_b32_e32 v31, 3, v31
	s_delay_alu instid0(VALU_DEP_3) | instskip(NEXT) | instid1(VALU_DEP_3)
	v_and_b32_e32 v11, 0x80000000, v11
	v_lshl_add_u32 v19, v19, 23, 0x37800000
	s_delay_alu instid0(VALU_DEP_3) | instskip(NEXT) | instid1(VALU_DEP_1)
	v_cndmask_b32_e64 v18, v18, v31, s1
	v_lshlrev_b32_e32 v18, 21, v18
	s_delay_alu instid0(VALU_DEP_1)
	v_or3_b32 v18, v11, v19, v18
.LBB255_64:
	s_or_b32 exec_lo, exec_lo, s6
	s_delay_alu instid0(VALU_DEP_1)
	v_cmp_neq_f32_e64 s4, v12, v18
.LBB255_65:
	s_and_not1_saveexec_b32 s5, s5
	s_cbranch_execz .LBB255_75
; %bb.66:
	v_and_b32_e32 v18, 0xff, v1
	s_mov_b32 s6, 0
	s_mov_b32 s7, exec_lo
	s_delay_alu instid0(VALU_DEP_1)
	v_cmpx_lt_i16_e32 0x7f, v18
	s_xor_b32 s7, exec_lo, s7
	s_cbranch_execnz .LBB255_441
; %bb.67:
	s_or_saveexec_b32 s7, s7
	v_mov_b32_e32 v12, 0x7f800001
	s_xor_b32 exec_lo, exec_lo, s7
	s_cbranch_execnz .LBB255_444
.LBB255_68:
	s_or_b32 exec_lo, exec_lo, s7
	s_and_saveexec_b32 s1, s6
.LBB255_69:
	v_mov_b32_e32 v12, v0
.LBB255_70:
	s_or_b32 exec_lo, exec_lo, s1
	s_wait_loadcnt_dscnt 0x0
	v_and_b32_e32 v19, 0xff, v11
	s_mov_b32 s6, 0
	s_mov_b32 s7, exec_lo
	s_delay_alu instid0(VALU_DEP_1)
	v_cmpx_lt_i16_e32 0x7f, v19
	s_xor_b32 s7, exec_lo, s7
	s_cbranch_execnz .LBB255_445
; %bb.71:
	s_or_saveexec_b32 s7, s7
	v_mov_b32_e32 v18, 0x7f800001
	s_xor_b32 exec_lo, exec_lo, s7
	s_cbranch_execnz .LBB255_448
.LBB255_72:
	s_or_b32 exec_lo, exec_lo, s7
	s_and_saveexec_b32 s7, s6
	s_cbranch_execz .LBB255_74
.LBB255_73:
	v_and_b32_e32 v18, 3, v11
	v_lshrrev_b16 v30, 2, v11
	s_delay_alu instid0(VALU_DEP_2) | instskip(NEXT) | instid1(VALU_DEP_1)
	v_clz_i32_u32_e32 v19, v18
	v_min_u32_e32 v19, 32, v19
	s_delay_alu instid0(VALU_DEP_3) | instskip(NEXT) | instid1(VALU_DEP_2)
	v_and_b32_e32 v30, 31, v30
	v_subrev_nc_u32_e32 v31, 29, v19
	v_sub_nc_u32_e32 v19, 30, v19
	s_delay_alu instid0(VALU_DEP_3) | instskip(NEXT) | instid1(VALU_DEP_3)
	v_cmp_eq_u32_e64 s1, 0, v30
	v_dual_lshlrev_b32 v31, v31, v11 :: v_dual_lshlrev_b32 v11, 24, v11
	s_delay_alu instid0(VALU_DEP_2) | instskip(NEXT) | instid1(VALU_DEP_2)
	v_cndmask_b32_e64 v19, v30, v19, s1
	v_and_b32_e32 v31, 3, v31
	s_delay_alu instid0(VALU_DEP_3) | instskip(NEXT) | instid1(VALU_DEP_3)
	v_and_b32_e32 v11, 0x80000000, v11
	v_lshl_add_u32 v19, v19, 23, 0x37800000
	s_delay_alu instid0(VALU_DEP_3) | instskip(NEXT) | instid1(VALU_DEP_1)
	v_cndmask_b32_e64 v18, v18, v31, s1
	v_lshlrev_b32_e32 v18, 21, v18
	s_delay_alu instid0(VALU_DEP_1)
	v_or3_b32 v18, v11, v19, v18
.LBB255_74:
	s_or_b32 exec_lo, exec_lo, s7
	s_delay_alu instid0(VALU_DEP_1) | instskip(SKIP_2) | instid1(SALU_CYCLE_1)
	v_cmp_eq_f32_e64 s1, v12, v18
	s_and_not1_b32 s4, s4, exec_lo
	s_and_b32 s1, s1, exec_lo
	s_or_b32 s4, s4, s1
.LBB255_75:
	s_or_b32 exec_lo, exec_lo, s5
	s_wait_loadcnt_dscnt 0x0
	v_cndmask_b32_e64 v11, 0, 1, s4
	s_delay_alu instid0(VALU_DEP_1) | instskip(NEXT) | instid1(VALU_DEP_1)
	v_lshlrev_b16 v11, 8, v11
	v_bitop3_b16 v11, v8, v11, 0xff bitop3:0xec
	s_delay_alu instid0(VALU_DEP_1) | instskip(NEXT) | instid1(VALU_DEP_1)
	v_and_b32_e32 v11, 0xffff, v11
	v_and_or_b32 v8, 0xffff0000, v8, v11
.LBB255_76:
	s_or_b32 exec_lo, exec_lo, s3
	s_wait_loadcnt_dscnt 0x0
	v_add_nc_u32_e32 v11, 0x200, v9
	s_mov_b32 s3, exec_lo
	s_delay_alu instid0(VALU_DEP_1)
	v_cmpx_lt_i32_e64 v11, v6
	s_cbranch_execz .LBB255_98
; %bb.77:
                                        ; implicit-def: $sgpr4
	s_and_saveexec_b32 s1, s0
	s_delay_alu instid0(SALU_CYCLE_1)
	s_xor_b32 s5, exec_lo, s1
	s_cbranch_execz .LBB255_87
; %bb.78:
	v_and_b32_e32 v12, 0xff, v1
	s_mov_b32 s4, 0
	s_mov_b32 s6, exec_lo
	s_delay_alu instid0(VALU_DEP_1)
	v_cmpx_lt_i16_e32 0x7f, v12
	s_xor_b32 s6, exec_lo, s6
	s_cbranch_execnz .LBB255_449
; %bb.79:
	s_or_saveexec_b32 s6, s6
	v_mov_b32_e32 v11, 0x7f800001
	s_xor_b32 exec_lo, exec_lo, s6
	s_cbranch_execnz .LBB255_452
.LBB255_80:
	s_or_b32 exec_lo, exec_lo, s6
	s_and_saveexec_b32 s1, s4
.LBB255_81:
	v_mov_b32_e32 v11, v0
.LBB255_82:
	s_or_b32 exec_lo, exec_lo, s1
	v_and_b32_e32 v18, 0xff, v17
	s_mov_b32 s4, 0
	s_mov_b32 s6, exec_lo
	s_delay_alu instid0(VALU_DEP_1)
	v_cmpx_lt_i16_e32 0x7f, v18
	s_xor_b32 s6, exec_lo, s6
	s_cbranch_execnz .LBB255_453
; %bb.83:
	s_or_saveexec_b32 s6, s6
	v_mov_b32_e32 v12, 0x7f800001
	s_xor_b32 exec_lo, exec_lo, s6
	s_cbranch_execnz .LBB255_456
.LBB255_84:
	s_or_b32 exec_lo, exec_lo, s6
	s_and_saveexec_b32 s6, s4
	s_cbranch_execz .LBB255_86
.LBB255_85:
	v_and_b32_e32 v12, 3, v17
	v_lshrrev_b16 v19, 2, v17
	s_delay_alu instid0(VALU_DEP_2) | instskip(NEXT) | instid1(VALU_DEP_1)
	v_clz_i32_u32_e32 v18, v12
	v_min_u32_e32 v18, 32, v18
	s_delay_alu instid0(VALU_DEP_3) | instskip(NEXT) | instid1(VALU_DEP_2)
	v_and_b32_e32 v19, 31, v19
	v_subrev_nc_u32_e32 v30, 29, v18
	v_sub_nc_u32_e32 v18, 30, v18
	s_delay_alu instid0(VALU_DEP_3) | instskip(NEXT) | instid1(VALU_DEP_3)
	v_cmp_eq_u32_e64 s1, 0, v19
	v_dual_lshlrev_b32 v30, v30, v17 :: v_dual_lshlrev_b32 v17, 24, v17
	s_delay_alu instid0(VALU_DEP_1) | instskip(NEXT) | instid1(VALU_DEP_2)
	v_and_b32_e32 v30, 3, v30
	v_and_b32_e32 v17, 0x80000000, v17
	s_delay_alu instid0(VALU_DEP_2) | instskip(NEXT) | instid1(VALU_DEP_1)
	v_cndmask_b32_e64 v12, v12, v30, s1
	v_dual_cndmask_b32 v18, v19, v18, s1 :: v_dual_lshlrev_b32 v12, 21, v12
	s_delay_alu instid0(VALU_DEP_1) | instskip(NEXT) | instid1(VALU_DEP_1)
	v_lshl_add_u32 v18, v18, 23, 0x37800000
	v_or3_b32 v12, v17, v18, v12
.LBB255_86:
	s_or_b32 exec_lo, exec_lo, s6
	s_delay_alu instid0(VALU_DEP_1)
	v_cmp_neq_f32_e64 s4, v11, v12
                                        ; implicit-def: $vgpr17
.LBB255_87:
	s_and_not1_saveexec_b32 s5, s5
	s_cbranch_execz .LBB255_97
; %bb.88:
	v_and_b32_e32 v12, 0xff, v1
	s_mov_b32 s6, 0
	s_mov_b32 s7, exec_lo
	s_delay_alu instid0(VALU_DEP_1)
	v_cmpx_lt_i16_e32 0x7f, v12
	s_xor_b32 s7, exec_lo, s7
	s_cbranch_execnz .LBB255_457
; %bb.89:
	s_or_saveexec_b32 s7, s7
	v_mov_b32_e32 v11, 0x7f800001
	s_xor_b32 exec_lo, exec_lo, s7
	s_cbranch_execnz .LBB255_460
.LBB255_90:
	s_or_b32 exec_lo, exec_lo, s7
	s_and_saveexec_b32 s1, s6
.LBB255_91:
	v_mov_b32_e32 v11, v0
.LBB255_92:
	s_or_b32 exec_lo, exec_lo, s1
	v_and_b32_e32 v18, 0xff, v17
	s_mov_b32 s6, 0
	s_mov_b32 s7, exec_lo
	s_delay_alu instid0(VALU_DEP_1)
	v_cmpx_lt_i16_e32 0x7f, v18
	s_xor_b32 s7, exec_lo, s7
	s_cbranch_execnz .LBB255_461
; %bb.93:
	s_or_saveexec_b32 s7, s7
	v_mov_b32_e32 v12, 0x7f800001
	s_xor_b32 exec_lo, exec_lo, s7
	s_cbranch_execnz .LBB255_464
.LBB255_94:
	s_or_b32 exec_lo, exec_lo, s7
	s_and_saveexec_b32 s7, s6
	s_cbranch_execz .LBB255_96
.LBB255_95:
	v_and_b32_e32 v12, 3, v17
	v_lshrrev_b16 v19, 2, v17
	s_delay_alu instid0(VALU_DEP_2) | instskip(NEXT) | instid1(VALU_DEP_1)
	v_clz_i32_u32_e32 v18, v12
	v_min_u32_e32 v18, 32, v18
	s_delay_alu instid0(VALU_DEP_3) | instskip(NEXT) | instid1(VALU_DEP_2)
	v_and_b32_e32 v19, 31, v19
	v_subrev_nc_u32_e32 v30, 29, v18
	v_sub_nc_u32_e32 v18, 30, v18
	s_delay_alu instid0(VALU_DEP_3) | instskip(NEXT) | instid1(VALU_DEP_3)
	v_cmp_eq_u32_e64 s1, 0, v19
	v_dual_lshlrev_b32 v30, v30, v17 :: v_dual_lshlrev_b32 v17, 24, v17
	s_delay_alu instid0(VALU_DEP_1) | instskip(NEXT) | instid1(VALU_DEP_2)
	v_and_b32_e32 v30, 3, v30
	v_and_b32_e32 v17, 0x80000000, v17
	s_delay_alu instid0(VALU_DEP_2) | instskip(NEXT) | instid1(VALU_DEP_1)
	v_cndmask_b32_e64 v12, v12, v30, s1
	v_dual_cndmask_b32 v18, v19, v18, s1 :: v_dual_lshlrev_b32 v12, 21, v12
	s_delay_alu instid0(VALU_DEP_1) | instskip(NEXT) | instid1(VALU_DEP_1)
	v_lshl_add_u32 v18, v18, 23, 0x37800000
	v_or3_b32 v12, v17, v18, v12
.LBB255_96:
	s_or_b32 exec_lo, exec_lo, s7
	s_delay_alu instid0(VALU_DEP_1) | instskip(SKIP_2) | instid1(SALU_CYCLE_1)
	v_cmp_eq_f32_e64 s1, v11, v12
	s_and_not1_b32 s4, s4, exec_lo
	s_and_b32 s1, s1, exec_lo
	s_or_b32 s4, s4, s1
.LBB255_97:
	s_or_b32 exec_lo, exec_lo, s5
	v_lshrrev_b32_e32 v11, 16, v8
	v_cndmask_b32_e64 v12, 0, 1, s4
	s_delay_alu instid0(VALU_DEP_1) | instskip(NEXT) | instid1(VALU_DEP_1)
	v_bitop3_b16 v11, v12, v11, 0xff00 bitop3:0xf8
	v_lshlrev_b32_e32 v11, 16, v11
	s_delay_alu instid0(VALU_DEP_1)
	v_and_or_b32 v8, 0xffff, v8, v11
.LBB255_98:
	s_or_b32 exec_lo, exec_lo, s3
	v_add_nc_u32_e32 v11, 0x300, v9
	s_mov_b32 s3, exec_lo
	s_delay_alu instid0(VALU_DEP_1)
	v_cmpx_lt_i32_e64 v11, v6
	s_cbranch_execz .LBB255_120
; %bb.99:
                                        ; implicit-def: $sgpr4
	s_and_saveexec_b32 s1, s0
	s_delay_alu instid0(SALU_CYCLE_1)
	s_xor_b32 s5, exec_lo, s1
	s_cbranch_execz .LBB255_109
; %bb.100:
	v_and_b32_e32 v12, 0xff, v1
	s_mov_b32 s4, 0
	s_mov_b32 s6, exec_lo
	s_delay_alu instid0(VALU_DEP_1)
	v_cmpx_lt_i16_e32 0x7f, v12
	s_xor_b32 s6, exec_lo, s6
	s_cbranch_execnz .LBB255_465
; %bb.101:
	s_or_saveexec_b32 s6, s6
	v_mov_b32_e32 v11, 0x7f800001
	s_xor_b32 exec_lo, exec_lo, s6
	s_cbranch_execnz .LBB255_468
.LBB255_102:
	s_or_b32 exec_lo, exec_lo, s6
	s_and_saveexec_b32 s1, s4
.LBB255_103:
	v_mov_b32_e32 v11, v0
.LBB255_104:
	s_or_b32 exec_lo, exec_lo, s1
	v_and_b32_e32 v17, 0xff, v29
	s_mov_b32 s4, 0
	s_mov_b32 s6, exec_lo
	s_delay_alu instid0(VALU_DEP_1)
	v_cmpx_lt_i16_e32 0x7f, v17
	s_xor_b32 s6, exec_lo, s6
	s_cbranch_execnz .LBB255_469
; %bb.105:
	s_or_saveexec_b32 s6, s6
	v_mov_b32_e32 v12, 0x7f800001
	s_xor_b32 exec_lo, exec_lo, s6
	s_cbranch_execnz .LBB255_472
.LBB255_106:
	s_or_b32 exec_lo, exec_lo, s6
	s_and_saveexec_b32 s6, s4
	s_cbranch_execz .LBB255_108
.LBB255_107:
	v_and_b32_e32 v12, 3, v29
	v_lshrrev_b16 v18, 2, v29
	s_delay_alu instid0(VALU_DEP_2) | instskip(NEXT) | instid1(VALU_DEP_1)
	v_clz_i32_u32_e32 v17, v12
	v_min_u32_e32 v17, 32, v17
	s_delay_alu instid0(VALU_DEP_3) | instskip(NEXT) | instid1(VALU_DEP_2)
	v_and_b32_e32 v18, 31, v18
	v_subrev_nc_u32_e32 v19, 29, v17
	v_sub_nc_u32_e32 v17, 30, v17
	s_delay_alu instid0(VALU_DEP_3) | instskip(NEXT) | instid1(VALU_DEP_3)
	v_cmp_eq_u32_e64 s1, 0, v18
	v_dual_lshlrev_b32 v19, v19, v29 :: v_dual_lshlrev_b32 v29, 24, v29
	s_delay_alu instid0(VALU_DEP_1) | instskip(NEXT) | instid1(VALU_DEP_2)
	v_dual_cndmask_b32 v17, v18, v17, s1 :: v_dual_bitop2_b32 v19, 3, v19 bitop3:0x40
	v_and_b32_e32 v18, 0x80000000, v29
	s_delay_alu instid0(VALU_DEP_2) | instskip(NEXT) | instid1(VALU_DEP_3)
	v_cndmask_b32_e64 v12, v12, v19, s1
	v_lshl_add_u32 v17, v17, 23, 0x37800000
	s_delay_alu instid0(VALU_DEP_2) | instskip(NEXT) | instid1(VALU_DEP_1)
	v_lshlrev_b32_e32 v12, 21, v12
	v_or3_b32 v12, v18, v17, v12
.LBB255_108:
	s_or_b32 exec_lo, exec_lo, s6
	s_delay_alu instid0(VALU_DEP_1)
	v_cmp_neq_f32_e64 s4, v11, v12
                                        ; implicit-def: $vgpr29
.LBB255_109:
	s_and_not1_saveexec_b32 s5, s5
	s_cbranch_execz .LBB255_119
; %bb.110:
	v_and_b32_e32 v12, 0xff, v1
	s_mov_b32 s6, 0
	s_mov_b32 s7, exec_lo
	s_delay_alu instid0(VALU_DEP_1)
	v_cmpx_lt_i16_e32 0x7f, v12
	s_xor_b32 s7, exec_lo, s7
	s_cbranch_execnz .LBB255_473
; %bb.111:
	s_or_saveexec_b32 s7, s7
	v_mov_b32_e32 v11, 0x7f800001
	s_xor_b32 exec_lo, exec_lo, s7
	s_cbranch_execnz .LBB255_476
.LBB255_112:
	s_or_b32 exec_lo, exec_lo, s7
	s_and_saveexec_b32 s1, s6
.LBB255_113:
	v_mov_b32_e32 v11, v0
.LBB255_114:
	s_or_b32 exec_lo, exec_lo, s1
	v_and_b32_e32 v17, 0xff, v29
	s_mov_b32 s6, 0
	s_mov_b32 s7, exec_lo
	s_delay_alu instid0(VALU_DEP_1)
	v_cmpx_lt_i16_e32 0x7f, v17
	s_xor_b32 s7, exec_lo, s7
	s_cbranch_execnz .LBB255_477
; %bb.115:
	s_or_saveexec_b32 s7, s7
	v_mov_b32_e32 v12, 0x7f800001
	s_xor_b32 exec_lo, exec_lo, s7
	s_cbranch_execnz .LBB255_480
.LBB255_116:
	s_or_b32 exec_lo, exec_lo, s7
	s_and_saveexec_b32 s7, s6
	s_cbranch_execz .LBB255_118
.LBB255_117:
	v_and_b32_e32 v12, 3, v29
	v_lshrrev_b16 v18, 2, v29
	s_delay_alu instid0(VALU_DEP_2) | instskip(NEXT) | instid1(VALU_DEP_1)
	v_clz_i32_u32_e32 v17, v12
	v_min_u32_e32 v17, 32, v17
	s_delay_alu instid0(VALU_DEP_3) | instskip(NEXT) | instid1(VALU_DEP_2)
	v_and_b32_e32 v18, 31, v18
	v_subrev_nc_u32_e32 v19, 29, v17
	v_sub_nc_u32_e32 v17, 30, v17
	s_delay_alu instid0(VALU_DEP_3) | instskip(NEXT) | instid1(VALU_DEP_3)
	v_cmp_eq_u32_e64 s1, 0, v18
	v_dual_lshlrev_b32 v19, v19, v29 :: v_dual_lshlrev_b32 v29, 24, v29
	s_delay_alu instid0(VALU_DEP_1) | instskip(NEXT) | instid1(VALU_DEP_2)
	v_dual_cndmask_b32 v17, v18, v17, s1 :: v_dual_bitop2_b32 v19, 3, v19 bitop3:0x40
	v_and_b32_e32 v18, 0x80000000, v29
	s_delay_alu instid0(VALU_DEP_2) | instskip(NEXT) | instid1(VALU_DEP_3)
	v_cndmask_b32_e64 v12, v12, v19, s1
	v_lshl_add_u32 v17, v17, 23, 0x37800000
	s_delay_alu instid0(VALU_DEP_2) | instskip(NEXT) | instid1(VALU_DEP_1)
	v_lshlrev_b32_e32 v12, 21, v12
	v_or3_b32 v12, v18, v17, v12
.LBB255_118:
	s_or_b32 exec_lo, exec_lo, s7
	s_delay_alu instid0(VALU_DEP_1) | instskip(SKIP_2) | instid1(SALU_CYCLE_1)
	v_cmp_eq_f32_e64 s1, v11, v12
	s_and_not1_b32 s4, s4, exec_lo
	s_and_b32 s1, s1, exec_lo
	s_or_b32 s4, s4, s1
.LBB255_119:
	s_or_b32 exec_lo, exec_lo, s5
	s_delay_alu instid0(VALU_DEP_1) | instskip(SKIP_1) | instid1(VALU_DEP_2)
	v_cndmask_b32_e64 v11, 0, 1, s4
	v_lshrrev_b32_e32 v12, 16, v8
	v_lshlrev_b16 v11, 8, v11
	s_delay_alu instid0(VALU_DEP_1) | instskip(NEXT) | instid1(VALU_DEP_1)
	v_bitop3_b16 v11, v12, v11, 0xff bitop3:0xec
	v_lshlrev_b32_e32 v11, 16, v11
	s_delay_alu instid0(VALU_DEP_1)
	v_and_or_b32 v8, 0xffff, v8, v11
.LBB255_120:
	s_or_b32 exec_lo, exec_lo, s3
	v_or_b32_e32 v11, 0x400, v9
	s_mov_b32 s3, exec_lo
	s_delay_alu instid0(VALU_DEP_1)
	v_cmpx_lt_i32_e64 v11, v6
	s_cbranch_execz .LBB255_142
; %bb.121:
                                        ; implicit-def: $sgpr4
	s_and_saveexec_b32 s1, s0
	s_delay_alu instid0(SALU_CYCLE_1)
	s_xor_b32 s5, exec_lo, s1
	s_cbranch_execz .LBB255_131
; %bb.122:
	v_and_b32_e32 v12, 0xff, v1
	s_mov_b32 s4, 0
	s_mov_b32 s6, exec_lo
	s_delay_alu instid0(VALU_DEP_1)
	v_cmpx_lt_i16_e32 0x7f, v12
	s_xor_b32 s6, exec_lo, s6
	s_cbranch_execnz .LBB255_481
; %bb.123:
	s_or_saveexec_b32 s6, s6
	v_mov_b32_e32 v11, 0x7f800001
	s_xor_b32 exec_lo, exec_lo, s6
	s_cbranch_execnz .LBB255_484
.LBB255_124:
	s_or_b32 exec_lo, exec_lo, s6
	s_and_saveexec_b32 s1, s4
.LBB255_125:
	v_mov_b32_e32 v11, v0
.LBB255_126:
	s_or_b32 exec_lo, exec_lo, s1
	v_and_b32_e32 v17, 0xff, v28
	s_mov_b32 s4, 0
	s_mov_b32 s6, exec_lo
	s_delay_alu instid0(VALU_DEP_1)
	v_cmpx_lt_i16_e32 0x7f, v17
	s_xor_b32 s6, exec_lo, s6
	s_cbranch_execnz .LBB255_485
; %bb.127:
	s_or_saveexec_b32 s6, s6
	v_mov_b32_e32 v12, 0x7f800001
	s_xor_b32 exec_lo, exec_lo, s6
	s_cbranch_execnz .LBB255_488
.LBB255_128:
	s_or_b32 exec_lo, exec_lo, s6
	s_and_saveexec_b32 s6, s4
	s_cbranch_execz .LBB255_130
.LBB255_129:
	v_and_b32_e32 v12, 3, v28
	v_lshrrev_b16 v18, 2, v28
	s_delay_alu instid0(VALU_DEP_2) | instskip(NEXT) | instid1(VALU_DEP_1)
	v_clz_i32_u32_e32 v17, v12
	v_min_u32_e32 v17, 32, v17
	s_delay_alu instid0(VALU_DEP_3) | instskip(NEXT) | instid1(VALU_DEP_2)
	v_and_b32_e32 v18, 31, v18
	v_subrev_nc_u32_e32 v19, 29, v17
	v_sub_nc_u32_e32 v17, 30, v17
	s_delay_alu instid0(VALU_DEP_3) | instskip(NEXT) | instid1(VALU_DEP_3)
	v_cmp_eq_u32_e64 s1, 0, v18
	v_dual_lshlrev_b32 v19, v19, v28 :: v_dual_lshlrev_b32 v28, 24, v28
	s_delay_alu instid0(VALU_DEP_1) | instskip(NEXT) | instid1(VALU_DEP_2)
	v_dual_cndmask_b32 v17, v18, v17, s1 :: v_dual_bitop2_b32 v19, 3, v19 bitop3:0x40
	v_and_b32_e32 v18, 0x80000000, v28
	s_delay_alu instid0(VALU_DEP_2) | instskip(NEXT) | instid1(VALU_DEP_3)
	v_cndmask_b32_e64 v12, v12, v19, s1
	v_lshl_add_u32 v17, v17, 23, 0x37800000
	s_delay_alu instid0(VALU_DEP_2) | instskip(NEXT) | instid1(VALU_DEP_1)
	v_lshlrev_b32_e32 v12, 21, v12
	v_or3_b32 v12, v18, v17, v12
.LBB255_130:
	s_or_b32 exec_lo, exec_lo, s6
	s_delay_alu instid0(VALU_DEP_1)
	v_cmp_neq_f32_e64 s4, v11, v12
                                        ; implicit-def: $vgpr28
.LBB255_131:
	s_and_not1_saveexec_b32 s5, s5
	s_cbranch_execz .LBB255_141
; %bb.132:
	v_and_b32_e32 v12, 0xff, v1
	s_mov_b32 s6, 0
	s_mov_b32 s7, exec_lo
	s_delay_alu instid0(VALU_DEP_1)
	v_cmpx_lt_i16_e32 0x7f, v12
	s_xor_b32 s7, exec_lo, s7
	s_cbranch_execnz .LBB255_489
; %bb.133:
	s_or_saveexec_b32 s7, s7
	v_mov_b32_e32 v11, 0x7f800001
	s_xor_b32 exec_lo, exec_lo, s7
	s_cbranch_execnz .LBB255_492
.LBB255_134:
	s_or_b32 exec_lo, exec_lo, s7
	s_and_saveexec_b32 s1, s6
.LBB255_135:
	v_mov_b32_e32 v11, v0
.LBB255_136:
	s_or_b32 exec_lo, exec_lo, s1
	v_and_b32_e32 v17, 0xff, v28
	s_mov_b32 s6, 0
	s_mov_b32 s7, exec_lo
	s_delay_alu instid0(VALU_DEP_1)
	v_cmpx_lt_i16_e32 0x7f, v17
	s_xor_b32 s7, exec_lo, s7
	s_cbranch_execnz .LBB255_493
; %bb.137:
	s_or_saveexec_b32 s7, s7
	v_mov_b32_e32 v12, 0x7f800001
	s_xor_b32 exec_lo, exec_lo, s7
	s_cbranch_execnz .LBB255_496
.LBB255_138:
	s_or_b32 exec_lo, exec_lo, s7
	s_and_saveexec_b32 s7, s6
	s_cbranch_execz .LBB255_140
.LBB255_139:
	v_and_b32_e32 v12, 3, v28
	v_lshrrev_b16 v18, 2, v28
	s_delay_alu instid0(VALU_DEP_2) | instskip(NEXT) | instid1(VALU_DEP_1)
	v_clz_i32_u32_e32 v17, v12
	v_min_u32_e32 v17, 32, v17
	s_delay_alu instid0(VALU_DEP_3) | instskip(NEXT) | instid1(VALU_DEP_2)
	v_and_b32_e32 v18, 31, v18
	v_subrev_nc_u32_e32 v19, 29, v17
	v_sub_nc_u32_e32 v17, 30, v17
	s_delay_alu instid0(VALU_DEP_3) | instskip(NEXT) | instid1(VALU_DEP_3)
	v_cmp_eq_u32_e64 s1, 0, v18
	v_dual_lshlrev_b32 v19, v19, v28 :: v_dual_lshlrev_b32 v28, 24, v28
	s_delay_alu instid0(VALU_DEP_1) | instskip(NEXT) | instid1(VALU_DEP_2)
	v_dual_cndmask_b32 v17, v18, v17, s1 :: v_dual_bitop2_b32 v19, 3, v19 bitop3:0x40
	v_and_b32_e32 v18, 0x80000000, v28
	s_delay_alu instid0(VALU_DEP_2) | instskip(NEXT) | instid1(VALU_DEP_3)
	v_cndmask_b32_e64 v12, v12, v19, s1
	v_lshl_add_u32 v17, v17, 23, 0x37800000
	s_delay_alu instid0(VALU_DEP_2) | instskip(NEXT) | instid1(VALU_DEP_1)
	v_lshlrev_b32_e32 v12, 21, v12
	v_or3_b32 v12, v18, v17, v12
.LBB255_140:
	s_or_b32 exec_lo, exec_lo, s7
	s_delay_alu instid0(VALU_DEP_1) | instskip(SKIP_2) | instid1(SALU_CYCLE_1)
	v_cmp_eq_f32_e64 s1, v11, v12
	s_and_not1_b32 s4, s4, exec_lo
	s_and_b32 s1, s1, exec_lo
	s_or_b32 s4, s4, s1
.LBB255_141:
	s_or_b32 exec_lo, exec_lo, s5
	s_delay_alu instid0(VALU_DEP_1) | instskip(NEXT) | instid1(VALU_DEP_1)
	v_cndmask_b32_e64 v11, 0, 1, s4
	v_bitop3_b16 v11, v11, v7, 0xff00 bitop3:0xf8
	s_delay_alu instid0(VALU_DEP_1) | instskip(NEXT) | instid1(VALU_DEP_1)
	v_and_b32_e32 v11, 0xffff, v11
	v_and_or_b32 v7, 0xffff0000, v7, v11
.LBB255_142:
	s_or_b32 exec_lo, exec_lo, s3
	v_add_nc_u32_e32 v11, 0x500, v9
	s_mov_b32 s3, exec_lo
	s_delay_alu instid0(VALU_DEP_1)
	v_cmpx_lt_i32_e64 v11, v6
	s_cbranch_execz .LBB255_164
; %bb.143:
                                        ; implicit-def: $sgpr4
	s_and_saveexec_b32 s1, s0
	s_delay_alu instid0(SALU_CYCLE_1)
	s_xor_b32 s5, exec_lo, s1
	s_cbranch_execz .LBB255_153
; %bb.144:
	v_and_b32_e32 v12, 0xff, v1
	s_mov_b32 s4, 0
	s_mov_b32 s6, exec_lo
	s_delay_alu instid0(VALU_DEP_1)
	v_cmpx_lt_i16_e32 0x7f, v12
	s_xor_b32 s6, exec_lo, s6
	s_cbranch_execnz .LBB255_497
; %bb.145:
	s_or_saveexec_b32 s6, s6
	v_mov_b32_e32 v11, 0x7f800001
	s_xor_b32 exec_lo, exec_lo, s6
	s_cbranch_execnz .LBB255_500
.LBB255_146:
	s_or_b32 exec_lo, exec_lo, s6
	s_and_saveexec_b32 s1, s4
.LBB255_147:
	v_mov_b32_e32 v11, v0
.LBB255_148:
	s_or_b32 exec_lo, exec_lo, s1
	v_and_b32_e32 v17, 0xff, v27
	s_mov_b32 s4, 0
	s_mov_b32 s6, exec_lo
	s_delay_alu instid0(VALU_DEP_1)
	v_cmpx_lt_i16_e32 0x7f, v17
	s_xor_b32 s6, exec_lo, s6
	s_cbranch_execnz .LBB255_501
; %bb.149:
	s_or_saveexec_b32 s6, s6
	v_mov_b32_e32 v12, 0x7f800001
	s_xor_b32 exec_lo, exec_lo, s6
	s_cbranch_execnz .LBB255_504
.LBB255_150:
	s_or_b32 exec_lo, exec_lo, s6
	s_and_saveexec_b32 s6, s4
	s_cbranch_execz .LBB255_152
.LBB255_151:
	v_and_b32_e32 v12, 3, v27
	v_lshrrev_b16 v18, 2, v27
	s_delay_alu instid0(VALU_DEP_2) | instskip(NEXT) | instid1(VALU_DEP_1)
	v_clz_i32_u32_e32 v17, v12
	v_min_u32_e32 v17, 32, v17
	s_delay_alu instid0(VALU_DEP_3) | instskip(NEXT) | instid1(VALU_DEP_2)
	v_and_b32_e32 v18, 31, v18
	v_subrev_nc_u32_e32 v19, 29, v17
	v_sub_nc_u32_e32 v17, 30, v17
	s_delay_alu instid0(VALU_DEP_3) | instskip(NEXT) | instid1(VALU_DEP_1)
	v_cmp_eq_u32_e64 s1, 0, v18
	v_dual_lshlrev_b32 v19, v19, v27 :: v_dual_cndmask_b32 v17, v18, v17, s1
	s_delay_alu instid0(VALU_DEP_1) | instskip(NEXT) | instid1(VALU_DEP_2)
	v_and_b32_e32 v19, 3, v19
	v_lshl_add_u32 v17, v17, 23, 0x37800000
	s_delay_alu instid0(VALU_DEP_2) | instskip(NEXT) | instid1(VALU_DEP_1)
	v_cndmask_b32_e64 v12, v12, v19, s1
	v_dual_lshlrev_b32 v27, 24, v27 :: v_dual_lshlrev_b32 v12, 21, v12
	s_delay_alu instid0(VALU_DEP_1) | instskip(NEXT) | instid1(VALU_DEP_1)
	v_and_b32_e32 v18, 0x80000000, v27
	v_or3_b32 v12, v18, v17, v12
.LBB255_152:
	s_or_b32 exec_lo, exec_lo, s6
	s_delay_alu instid0(VALU_DEP_1)
	v_cmp_neq_f32_e64 s4, v11, v12
                                        ; implicit-def: $vgpr27
.LBB255_153:
	s_and_not1_saveexec_b32 s5, s5
	s_cbranch_execz .LBB255_163
; %bb.154:
	v_and_b32_e32 v12, 0xff, v1
	s_mov_b32 s6, 0
	s_mov_b32 s7, exec_lo
	s_delay_alu instid0(VALU_DEP_1)
	v_cmpx_lt_i16_e32 0x7f, v12
	s_xor_b32 s7, exec_lo, s7
	s_cbranch_execnz .LBB255_505
; %bb.155:
	s_or_saveexec_b32 s7, s7
	v_mov_b32_e32 v11, 0x7f800001
	s_xor_b32 exec_lo, exec_lo, s7
	s_cbranch_execnz .LBB255_508
.LBB255_156:
	s_or_b32 exec_lo, exec_lo, s7
	s_and_saveexec_b32 s1, s6
.LBB255_157:
	v_mov_b32_e32 v11, v0
.LBB255_158:
	s_or_b32 exec_lo, exec_lo, s1
	v_and_b32_e32 v17, 0xff, v27
	s_mov_b32 s6, 0
	s_mov_b32 s7, exec_lo
	s_delay_alu instid0(VALU_DEP_1)
	v_cmpx_lt_i16_e32 0x7f, v17
	s_xor_b32 s7, exec_lo, s7
	s_cbranch_execnz .LBB255_509
; %bb.159:
	s_or_saveexec_b32 s7, s7
	v_mov_b32_e32 v12, 0x7f800001
	s_xor_b32 exec_lo, exec_lo, s7
	s_cbranch_execnz .LBB255_512
.LBB255_160:
	s_or_b32 exec_lo, exec_lo, s7
	s_and_saveexec_b32 s7, s6
	s_cbranch_execz .LBB255_162
.LBB255_161:
	v_and_b32_e32 v12, 3, v27
	v_lshrrev_b16 v18, 2, v27
	s_delay_alu instid0(VALU_DEP_2) | instskip(NEXT) | instid1(VALU_DEP_1)
	v_clz_i32_u32_e32 v17, v12
	v_min_u32_e32 v17, 32, v17
	s_delay_alu instid0(VALU_DEP_3) | instskip(NEXT) | instid1(VALU_DEP_2)
	v_and_b32_e32 v18, 31, v18
	v_subrev_nc_u32_e32 v19, 29, v17
	v_sub_nc_u32_e32 v17, 30, v17
	s_delay_alu instid0(VALU_DEP_3) | instskip(NEXT) | instid1(VALU_DEP_1)
	v_cmp_eq_u32_e64 s1, 0, v18
	v_dual_lshlrev_b32 v19, v19, v27 :: v_dual_cndmask_b32 v17, v18, v17, s1
	s_delay_alu instid0(VALU_DEP_1) | instskip(NEXT) | instid1(VALU_DEP_2)
	v_and_b32_e32 v19, 3, v19
	v_lshl_add_u32 v17, v17, 23, 0x37800000
	s_delay_alu instid0(VALU_DEP_2) | instskip(NEXT) | instid1(VALU_DEP_1)
	v_cndmask_b32_e64 v12, v12, v19, s1
	v_dual_lshlrev_b32 v27, 24, v27 :: v_dual_lshlrev_b32 v12, 21, v12
	s_delay_alu instid0(VALU_DEP_1) | instskip(NEXT) | instid1(VALU_DEP_1)
	v_and_b32_e32 v18, 0x80000000, v27
	v_or3_b32 v12, v18, v17, v12
.LBB255_162:
	s_or_b32 exec_lo, exec_lo, s7
	s_delay_alu instid0(VALU_DEP_1) | instskip(SKIP_2) | instid1(SALU_CYCLE_1)
	v_cmp_eq_f32_e64 s1, v11, v12
	s_and_not1_b32 s4, s4, exec_lo
	s_and_b32 s1, s1, exec_lo
	s_or_b32 s4, s4, s1
.LBB255_163:
	s_or_b32 exec_lo, exec_lo, s5
	s_delay_alu instid0(VALU_DEP_1) | instskip(NEXT) | instid1(VALU_DEP_1)
	v_cndmask_b32_e64 v11, 0, 1, s4
	v_lshlrev_b16 v11, 8, v11
	s_delay_alu instid0(VALU_DEP_1) | instskip(NEXT) | instid1(VALU_DEP_1)
	v_bitop3_b16 v11, v7, v11, 0xff bitop3:0xec
	v_and_b32_e32 v11, 0xffff, v11
	s_delay_alu instid0(VALU_DEP_1)
	v_and_or_b32 v7, 0xffff0000, v7, v11
.LBB255_164:
	s_or_b32 exec_lo, exec_lo, s3
	v_add_nc_u32_e32 v11, 0x600, v9
	s_mov_b32 s3, exec_lo
	s_delay_alu instid0(VALU_DEP_1)
	v_cmpx_lt_i32_e64 v11, v6
	s_cbranch_execz .LBB255_186
; %bb.165:
                                        ; implicit-def: $sgpr4
	s_and_saveexec_b32 s1, s0
	s_delay_alu instid0(SALU_CYCLE_1)
	s_xor_b32 s5, exec_lo, s1
	s_cbranch_execz .LBB255_175
; %bb.166:
	v_and_b32_e32 v12, 0xff, v1
	s_mov_b32 s4, 0
	s_mov_b32 s6, exec_lo
	s_delay_alu instid0(VALU_DEP_1)
	v_cmpx_lt_i16_e32 0x7f, v12
	s_xor_b32 s6, exec_lo, s6
	s_cbranch_execnz .LBB255_513
; %bb.167:
	s_or_saveexec_b32 s6, s6
	v_mov_b32_e32 v11, 0x7f800001
	s_xor_b32 exec_lo, exec_lo, s6
	s_cbranch_execnz .LBB255_516
.LBB255_168:
	s_or_b32 exec_lo, exec_lo, s6
	s_and_saveexec_b32 s1, s4
.LBB255_169:
	v_mov_b32_e32 v11, v0
.LBB255_170:
	s_or_b32 exec_lo, exec_lo, s1
	v_and_b32_e32 v17, 0xff, v26
	s_mov_b32 s4, 0
	s_mov_b32 s6, exec_lo
	s_delay_alu instid0(VALU_DEP_1)
	v_cmpx_lt_i16_e32 0x7f, v17
	s_xor_b32 s6, exec_lo, s6
	s_cbranch_execnz .LBB255_517
; %bb.171:
	s_or_saveexec_b32 s6, s6
	v_mov_b32_e32 v12, 0x7f800001
	s_xor_b32 exec_lo, exec_lo, s6
	s_cbranch_execnz .LBB255_520
.LBB255_172:
	s_or_b32 exec_lo, exec_lo, s6
	s_and_saveexec_b32 s6, s4
	s_cbranch_execz .LBB255_174
.LBB255_173:
	v_and_b32_e32 v12, 3, v26
	v_lshrrev_b16 v18, 2, v26
	s_delay_alu instid0(VALU_DEP_2) | instskip(NEXT) | instid1(VALU_DEP_1)
	v_clz_i32_u32_e32 v17, v12
	v_min_u32_e32 v17, 32, v17
	s_delay_alu instid0(VALU_DEP_3) | instskip(NEXT) | instid1(VALU_DEP_2)
	v_and_b32_e32 v18, 31, v18
	v_subrev_nc_u32_e32 v19, 29, v17
	v_sub_nc_u32_e32 v17, 30, v17
	s_delay_alu instid0(VALU_DEP_3) | instskip(NEXT) | instid1(VALU_DEP_3)
	v_cmp_eq_u32_e64 s1, 0, v18
	v_dual_lshlrev_b32 v19, v19, v26 :: v_dual_lshlrev_b32 v26, 24, v26
	s_delay_alu instid0(VALU_DEP_1) | instskip(NEXT) | instid1(VALU_DEP_2)
	v_dual_cndmask_b32 v17, v18, v17, s1 :: v_dual_bitop2_b32 v19, 3, v19 bitop3:0x40
	v_and_b32_e32 v18, 0x80000000, v26
	s_delay_alu instid0(VALU_DEP_2) | instskip(NEXT) | instid1(VALU_DEP_3)
	v_cndmask_b32_e64 v12, v12, v19, s1
	v_lshl_add_u32 v17, v17, 23, 0x37800000
	s_delay_alu instid0(VALU_DEP_2) | instskip(NEXT) | instid1(VALU_DEP_1)
	v_lshlrev_b32_e32 v12, 21, v12
	v_or3_b32 v12, v18, v17, v12
.LBB255_174:
	s_or_b32 exec_lo, exec_lo, s6
	s_delay_alu instid0(VALU_DEP_1)
	v_cmp_neq_f32_e64 s4, v11, v12
                                        ; implicit-def: $vgpr26
.LBB255_175:
	s_and_not1_saveexec_b32 s5, s5
	s_cbranch_execz .LBB255_185
; %bb.176:
	v_and_b32_e32 v12, 0xff, v1
	s_mov_b32 s6, 0
	s_mov_b32 s7, exec_lo
	s_delay_alu instid0(VALU_DEP_1)
	v_cmpx_lt_i16_e32 0x7f, v12
	s_xor_b32 s7, exec_lo, s7
	s_cbranch_execnz .LBB255_521
; %bb.177:
	s_or_saveexec_b32 s7, s7
	v_mov_b32_e32 v11, 0x7f800001
	s_xor_b32 exec_lo, exec_lo, s7
	s_cbranch_execnz .LBB255_524
.LBB255_178:
	s_or_b32 exec_lo, exec_lo, s7
	s_and_saveexec_b32 s1, s6
.LBB255_179:
	v_mov_b32_e32 v11, v0
.LBB255_180:
	s_or_b32 exec_lo, exec_lo, s1
	v_and_b32_e32 v17, 0xff, v26
	s_mov_b32 s6, 0
	s_mov_b32 s7, exec_lo
	s_delay_alu instid0(VALU_DEP_1)
	v_cmpx_lt_i16_e32 0x7f, v17
	s_xor_b32 s7, exec_lo, s7
	s_cbranch_execnz .LBB255_525
; %bb.181:
	s_or_saveexec_b32 s7, s7
	v_mov_b32_e32 v12, 0x7f800001
	s_xor_b32 exec_lo, exec_lo, s7
	s_cbranch_execnz .LBB255_528
.LBB255_182:
	s_or_b32 exec_lo, exec_lo, s7
	s_and_saveexec_b32 s7, s6
	s_cbranch_execz .LBB255_184
.LBB255_183:
	v_and_b32_e32 v12, 3, v26
	v_lshrrev_b16 v18, 2, v26
	s_delay_alu instid0(VALU_DEP_2) | instskip(NEXT) | instid1(VALU_DEP_1)
	v_clz_i32_u32_e32 v17, v12
	v_min_u32_e32 v17, 32, v17
	s_delay_alu instid0(VALU_DEP_3) | instskip(NEXT) | instid1(VALU_DEP_2)
	v_and_b32_e32 v18, 31, v18
	v_subrev_nc_u32_e32 v19, 29, v17
	v_sub_nc_u32_e32 v17, 30, v17
	s_delay_alu instid0(VALU_DEP_3) | instskip(NEXT) | instid1(VALU_DEP_3)
	v_cmp_eq_u32_e64 s1, 0, v18
	v_dual_lshlrev_b32 v19, v19, v26 :: v_dual_lshlrev_b32 v26, 24, v26
	s_delay_alu instid0(VALU_DEP_1) | instskip(NEXT) | instid1(VALU_DEP_2)
	v_dual_cndmask_b32 v17, v18, v17, s1 :: v_dual_bitop2_b32 v19, 3, v19 bitop3:0x40
	v_and_b32_e32 v18, 0x80000000, v26
	s_delay_alu instid0(VALU_DEP_2) | instskip(NEXT) | instid1(VALU_DEP_3)
	v_cndmask_b32_e64 v12, v12, v19, s1
	v_lshl_add_u32 v17, v17, 23, 0x37800000
	s_delay_alu instid0(VALU_DEP_2) | instskip(NEXT) | instid1(VALU_DEP_1)
	v_lshlrev_b32_e32 v12, 21, v12
	v_or3_b32 v12, v18, v17, v12
.LBB255_184:
	s_or_b32 exec_lo, exec_lo, s7
	s_delay_alu instid0(VALU_DEP_1) | instskip(SKIP_2) | instid1(SALU_CYCLE_1)
	v_cmp_eq_f32_e64 s1, v11, v12
	s_and_not1_b32 s4, s4, exec_lo
	s_and_b32 s1, s1, exec_lo
	s_or_b32 s4, s4, s1
.LBB255_185:
	s_or_b32 exec_lo, exec_lo, s5
	v_lshrrev_b32_e32 v11, 16, v7
	v_cndmask_b32_e64 v12, 0, 1, s4
	s_delay_alu instid0(VALU_DEP_1) | instskip(NEXT) | instid1(VALU_DEP_1)
	v_bitop3_b16 v11, v12, v11, 0xff00 bitop3:0xf8
	v_lshlrev_b32_e32 v11, 16, v11
	s_delay_alu instid0(VALU_DEP_1)
	v_and_or_b32 v7, 0xffff, v7, v11
.LBB255_186:
	s_or_b32 exec_lo, exec_lo, s3
	v_add_nc_u32_e32 v11, 0x700, v9
	s_mov_b32 s3, exec_lo
	s_delay_alu instid0(VALU_DEP_1)
	v_cmpx_lt_i32_e64 v11, v6
	s_cbranch_execz .LBB255_208
; %bb.187:
                                        ; implicit-def: $sgpr4
	s_and_saveexec_b32 s1, s0
	s_delay_alu instid0(SALU_CYCLE_1)
	s_xor_b32 s5, exec_lo, s1
	s_cbranch_execz .LBB255_197
; %bb.188:
	v_and_b32_e32 v12, 0xff, v1
	s_mov_b32 s4, 0
	s_mov_b32 s6, exec_lo
	s_delay_alu instid0(VALU_DEP_1)
	v_cmpx_lt_i16_e32 0x7f, v12
	s_xor_b32 s6, exec_lo, s6
	s_cbranch_execnz .LBB255_529
; %bb.189:
	s_or_saveexec_b32 s6, s6
	v_mov_b32_e32 v11, 0x7f800001
	s_xor_b32 exec_lo, exec_lo, s6
	s_cbranch_execnz .LBB255_532
.LBB255_190:
	s_or_b32 exec_lo, exec_lo, s6
	s_and_saveexec_b32 s1, s4
.LBB255_191:
	v_mov_b32_e32 v11, v0
.LBB255_192:
	s_or_b32 exec_lo, exec_lo, s1
	v_and_b32_e32 v17, 0xff, v25
	s_mov_b32 s4, 0
	s_mov_b32 s6, exec_lo
	s_delay_alu instid0(VALU_DEP_1)
	v_cmpx_lt_i16_e32 0x7f, v17
	s_xor_b32 s6, exec_lo, s6
	s_cbranch_execnz .LBB255_533
; %bb.193:
	s_or_saveexec_b32 s6, s6
	v_mov_b32_e32 v12, 0x7f800001
	s_xor_b32 exec_lo, exec_lo, s6
	s_cbranch_execnz .LBB255_536
.LBB255_194:
	s_or_b32 exec_lo, exec_lo, s6
	s_and_saveexec_b32 s6, s4
	s_cbranch_execz .LBB255_196
.LBB255_195:
	v_and_b32_e32 v12, 3, v25
	v_lshrrev_b16 v18, 2, v25
	s_delay_alu instid0(VALU_DEP_2) | instskip(NEXT) | instid1(VALU_DEP_1)
	v_clz_i32_u32_e32 v17, v12
	v_min_u32_e32 v17, 32, v17
	s_delay_alu instid0(VALU_DEP_3) | instskip(NEXT) | instid1(VALU_DEP_2)
	v_and_b32_e32 v18, 31, v18
	v_subrev_nc_u32_e32 v19, 29, v17
	v_sub_nc_u32_e32 v17, 30, v17
	s_delay_alu instid0(VALU_DEP_3) | instskip(NEXT) | instid1(VALU_DEP_3)
	v_cmp_eq_u32_e64 s1, 0, v18
	v_dual_lshlrev_b32 v19, v19, v25 :: v_dual_lshlrev_b32 v25, 24, v25
	s_delay_alu instid0(VALU_DEP_1) | instskip(NEXT) | instid1(VALU_DEP_2)
	v_dual_cndmask_b32 v17, v18, v17, s1 :: v_dual_bitop2_b32 v19, 3, v19 bitop3:0x40
	v_and_b32_e32 v18, 0x80000000, v25
	s_delay_alu instid0(VALU_DEP_2) | instskip(NEXT) | instid1(VALU_DEP_3)
	v_cndmask_b32_e64 v12, v12, v19, s1
	v_lshl_add_u32 v17, v17, 23, 0x37800000
	s_delay_alu instid0(VALU_DEP_2) | instskip(NEXT) | instid1(VALU_DEP_1)
	v_lshlrev_b32_e32 v12, 21, v12
	v_or3_b32 v12, v18, v17, v12
.LBB255_196:
	s_or_b32 exec_lo, exec_lo, s6
	s_delay_alu instid0(VALU_DEP_1)
	v_cmp_neq_f32_e64 s4, v11, v12
                                        ; implicit-def: $vgpr25
.LBB255_197:
	s_and_not1_saveexec_b32 s5, s5
	s_cbranch_execz .LBB255_207
; %bb.198:
	v_and_b32_e32 v12, 0xff, v1
	s_mov_b32 s6, 0
	s_mov_b32 s7, exec_lo
	s_delay_alu instid0(VALU_DEP_1)
	v_cmpx_lt_i16_e32 0x7f, v12
	s_xor_b32 s7, exec_lo, s7
	s_cbranch_execnz .LBB255_537
; %bb.199:
	s_or_saveexec_b32 s7, s7
	v_mov_b32_e32 v11, 0x7f800001
	s_xor_b32 exec_lo, exec_lo, s7
	s_cbranch_execnz .LBB255_540
.LBB255_200:
	s_or_b32 exec_lo, exec_lo, s7
	s_and_saveexec_b32 s1, s6
.LBB255_201:
	v_mov_b32_e32 v11, v0
.LBB255_202:
	s_or_b32 exec_lo, exec_lo, s1
	v_and_b32_e32 v17, 0xff, v25
	s_mov_b32 s6, 0
	s_mov_b32 s7, exec_lo
	s_delay_alu instid0(VALU_DEP_1)
	v_cmpx_lt_i16_e32 0x7f, v17
	s_xor_b32 s7, exec_lo, s7
	s_cbranch_execnz .LBB255_541
; %bb.203:
	s_or_saveexec_b32 s7, s7
	v_mov_b32_e32 v12, 0x7f800001
	s_xor_b32 exec_lo, exec_lo, s7
	s_cbranch_execnz .LBB255_544
.LBB255_204:
	s_or_b32 exec_lo, exec_lo, s7
	s_and_saveexec_b32 s7, s6
	s_cbranch_execz .LBB255_206
.LBB255_205:
	v_and_b32_e32 v12, 3, v25
	v_lshrrev_b16 v18, 2, v25
	s_delay_alu instid0(VALU_DEP_2) | instskip(NEXT) | instid1(VALU_DEP_1)
	v_clz_i32_u32_e32 v17, v12
	v_min_u32_e32 v17, 32, v17
	s_delay_alu instid0(VALU_DEP_3) | instskip(NEXT) | instid1(VALU_DEP_2)
	v_and_b32_e32 v18, 31, v18
	v_subrev_nc_u32_e32 v19, 29, v17
	v_sub_nc_u32_e32 v17, 30, v17
	s_delay_alu instid0(VALU_DEP_3) | instskip(NEXT) | instid1(VALU_DEP_3)
	v_cmp_eq_u32_e64 s1, 0, v18
	v_dual_lshlrev_b32 v19, v19, v25 :: v_dual_lshlrev_b32 v25, 24, v25
	s_delay_alu instid0(VALU_DEP_1) | instskip(NEXT) | instid1(VALU_DEP_2)
	v_dual_cndmask_b32 v17, v18, v17, s1 :: v_dual_bitop2_b32 v19, 3, v19 bitop3:0x40
	v_and_b32_e32 v18, 0x80000000, v25
	s_delay_alu instid0(VALU_DEP_2) | instskip(NEXT) | instid1(VALU_DEP_3)
	v_cndmask_b32_e64 v12, v12, v19, s1
	v_lshl_add_u32 v17, v17, 23, 0x37800000
	s_delay_alu instid0(VALU_DEP_2) | instskip(NEXT) | instid1(VALU_DEP_1)
	v_lshlrev_b32_e32 v12, 21, v12
	v_or3_b32 v12, v18, v17, v12
.LBB255_206:
	s_or_b32 exec_lo, exec_lo, s7
	s_delay_alu instid0(VALU_DEP_1) | instskip(SKIP_2) | instid1(SALU_CYCLE_1)
	v_cmp_eq_f32_e64 s1, v11, v12
	s_and_not1_b32 s4, s4, exec_lo
	s_and_b32 s1, s1, exec_lo
	s_or_b32 s4, s4, s1
.LBB255_207:
	s_or_b32 exec_lo, exec_lo, s5
	s_delay_alu instid0(VALU_DEP_1) | instskip(SKIP_1) | instid1(VALU_DEP_2)
	v_cndmask_b32_e64 v11, 0, 1, s4
	v_lshrrev_b32_e32 v12, 16, v7
	v_lshlrev_b16 v11, 8, v11
	s_delay_alu instid0(VALU_DEP_1) | instskip(NEXT) | instid1(VALU_DEP_1)
	v_bitop3_b16 v11, v12, v11, 0xff bitop3:0xec
	v_lshlrev_b32_e32 v11, 16, v11
	s_delay_alu instid0(VALU_DEP_1)
	v_and_or_b32 v7, 0xffff, v7, v11
.LBB255_208:
	s_or_b32 exec_lo, exec_lo, s3
	v_or_b32_e32 v11, 0x800, v9
	s_mov_b32 s3, exec_lo
	s_delay_alu instid0(VALU_DEP_1)
	v_cmpx_lt_i32_e64 v11, v6
	s_cbranch_execz .LBB255_230
; %bb.209:
                                        ; implicit-def: $sgpr4
	s_and_saveexec_b32 s1, s0
	s_delay_alu instid0(SALU_CYCLE_1)
	s_xor_b32 s5, exec_lo, s1
	s_cbranch_execz .LBB255_219
; %bb.210:
	v_and_b32_e32 v12, 0xff, v1
	s_mov_b32 s4, 0
	s_mov_b32 s6, exec_lo
	s_delay_alu instid0(VALU_DEP_1)
	v_cmpx_lt_i16_e32 0x7f, v12
	s_xor_b32 s6, exec_lo, s6
	s_cbranch_execnz .LBB255_545
; %bb.211:
	s_or_saveexec_b32 s6, s6
	v_mov_b32_e32 v11, 0x7f800001
	s_xor_b32 exec_lo, exec_lo, s6
	s_cbranch_execnz .LBB255_548
.LBB255_212:
	s_or_b32 exec_lo, exec_lo, s6
	s_and_saveexec_b32 s1, s4
.LBB255_213:
	v_mov_b32_e32 v11, v0
.LBB255_214:
	s_or_b32 exec_lo, exec_lo, s1
	v_and_b32_e32 v17, 0xff, v24
	s_mov_b32 s4, 0
	s_mov_b32 s6, exec_lo
	s_delay_alu instid0(VALU_DEP_1)
	v_cmpx_lt_i16_e32 0x7f, v17
	s_xor_b32 s6, exec_lo, s6
	s_cbranch_execnz .LBB255_549
; %bb.215:
	s_or_saveexec_b32 s6, s6
	v_mov_b32_e32 v12, 0x7f800001
	s_xor_b32 exec_lo, exec_lo, s6
	s_cbranch_execnz .LBB255_552
.LBB255_216:
	s_or_b32 exec_lo, exec_lo, s6
	s_and_saveexec_b32 s6, s4
	s_cbranch_execz .LBB255_218
.LBB255_217:
	v_and_b32_e32 v12, 3, v24
	v_lshrrev_b16 v18, 2, v24
	s_delay_alu instid0(VALU_DEP_2) | instskip(NEXT) | instid1(VALU_DEP_1)
	v_clz_i32_u32_e32 v17, v12
	v_min_u32_e32 v17, 32, v17
	s_delay_alu instid0(VALU_DEP_3) | instskip(NEXT) | instid1(VALU_DEP_2)
	v_and_b32_e32 v18, 31, v18
	v_subrev_nc_u32_e32 v19, 29, v17
	v_sub_nc_u32_e32 v17, 30, v17
	s_delay_alu instid0(VALU_DEP_3) | instskip(NEXT) | instid1(VALU_DEP_3)
	v_cmp_eq_u32_e64 s1, 0, v18
	v_dual_lshlrev_b32 v19, v19, v24 :: v_dual_lshlrev_b32 v24, 24, v24
	s_delay_alu instid0(VALU_DEP_1) | instskip(NEXT) | instid1(VALU_DEP_2)
	v_dual_cndmask_b32 v17, v18, v17, s1 :: v_dual_bitop2_b32 v19, 3, v19 bitop3:0x40
	v_and_b32_e32 v18, 0x80000000, v24
	s_delay_alu instid0(VALU_DEP_2) | instskip(NEXT) | instid1(VALU_DEP_3)
	v_cndmask_b32_e64 v12, v12, v19, s1
	v_lshl_add_u32 v17, v17, 23, 0x37800000
	s_delay_alu instid0(VALU_DEP_2) | instskip(NEXT) | instid1(VALU_DEP_1)
	v_lshlrev_b32_e32 v12, 21, v12
	v_or3_b32 v12, v18, v17, v12
.LBB255_218:
	s_or_b32 exec_lo, exec_lo, s6
	s_delay_alu instid0(VALU_DEP_1)
	v_cmp_neq_f32_e64 s4, v11, v12
                                        ; implicit-def: $vgpr24
.LBB255_219:
	s_and_not1_saveexec_b32 s5, s5
	s_cbranch_execz .LBB255_229
; %bb.220:
	v_and_b32_e32 v12, 0xff, v1
	s_mov_b32 s6, 0
	s_mov_b32 s7, exec_lo
	s_delay_alu instid0(VALU_DEP_1)
	v_cmpx_lt_i16_e32 0x7f, v12
	s_xor_b32 s7, exec_lo, s7
	s_cbranch_execnz .LBB255_553
; %bb.221:
	s_or_saveexec_b32 s7, s7
	v_mov_b32_e32 v11, 0x7f800001
	s_xor_b32 exec_lo, exec_lo, s7
	s_cbranch_execnz .LBB255_556
.LBB255_222:
	s_or_b32 exec_lo, exec_lo, s7
	s_and_saveexec_b32 s1, s6
.LBB255_223:
	v_mov_b32_e32 v11, v0
.LBB255_224:
	s_or_b32 exec_lo, exec_lo, s1
	v_and_b32_e32 v17, 0xff, v24
	s_mov_b32 s6, 0
	s_mov_b32 s7, exec_lo
	s_delay_alu instid0(VALU_DEP_1)
	v_cmpx_lt_i16_e32 0x7f, v17
	s_xor_b32 s7, exec_lo, s7
	s_cbranch_execnz .LBB255_557
; %bb.225:
	s_or_saveexec_b32 s7, s7
	v_mov_b32_e32 v12, 0x7f800001
	s_xor_b32 exec_lo, exec_lo, s7
	s_cbranch_execnz .LBB255_560
.LBB255_226:
	s_or_b32 exec_lo, exec_lo, s7
	s_and_saveexec_b32 s7, s6
	s_cbranch_execz .LBB255_228
.LBB255_227:
	v_and_b32_e32 v12, 3, v24
	v_lshrrev_b16 v18, 2, v24
	s_delay_alu instid0(VALU_DEP_2) | instskip(NEXT) | instid1(VALU_DEP_1)
	v_clz_i32_u32_e32 v17, v12
	v_min_u32_e32 v17, 32, v17
	s_delay_alu instid0(VALU_DEP_3) | instskip(NEXT) | instid1(VALU_DEP_2)
	v_and_b32_e32 v18, 31, v18
	v_subrev_nc_u32_e32 v19, 29, v17
	v_sub_nc_u32_e32 v17, 30, v17
	s_delay_alu instid0(VALU_DEP_3) | instskip(NEXT) | instid1(VALU_DEP_3)
	v_cmp_eq_u32_e64 s1, 0, v18
	v_dual_lshlrev_b32 v19, v19, v24 :: v_dual_lshlrev_b32 v24, 24, v24
	s_delay_alu instid0(VALU_DEP_1) | instskip(NEXT) | instid1(VALU_DEP_2)
	v_dual_cndmask_b32 v17, v18, v17, s1 :: v_dual_bitop2_b32 v19, 3, v19 bitop3:0x40
	v_and_b32_e32 v18, 0x80000000, v24
	s_delay_alu instid0(VALU_DEP_2) | instskip(NEXT) | instid1(VALU_DEP_3)
	v_cndmask_b32_e64 v12, v12, v19, s1
	v_lshl_add_u32 v17, v17, 23, 0x37800000
	s_delay_alu instid0(VALU_DEP_2) | instskip(NEXT) | instid1(VALU_DEP_1)
	v_lshlrev_b32_e32 v12, 21, v12
	v_or3_b32 v12, v18, v17, v12
.LBB255_228:
	s_or_b32 exec_lo, exec_lo, s7
	s_delay_alu instid0(VALU_DEP_1) | instskip(SKIP_2) | instid1(SALU_CYCLE_1)
	v_cmp_eq_f32_e64 s1, v11, v12
	s_and_not1_b32 s4, s4, exec_lo
	s_and_b32 s1, s1, exec_lo
	s_or_b32 s4, s4, s1
.LBB255_229:
	s_or_b32 exec_lo, exec_lo, s5
	s_delay_alu instid0(VALU_DEP_1) | instskip(NEXT) | instid1(VALU_DEP_1)
	v_cndmask_b32_e64 v11, 0, 1, s4
	v_bitop3_b16 v11, v11, v4, 0xff00 bitop3:0xf8
	s_delay_alu instid0(VALU_DEP_1) | instskip(NEXT) | instid1(VALU_DEP_1)
	v_and_b32_e32 v11, 0xffff, v11
	v_and_or_b32 v4, 0xffff0000, v4, v11
.LBB255_230:
	s_or_b32 exec_lo, exec_lo, s3
	v_add_nc_u32_e32 v11, 0x900, v9
	s_mov_b32 s3, exec_lo
	s_delay_alu instid0(VALU_DEP_1)
	v_cmpx_lt_i32_e64 v11, v6
	s_cbranch_execz .LBB255_252
; %bb.231:
                                        ; implicit-def: $sgpr4
	s_and_saveexec_b32 s1, s0
	s_delay_alu instid0(SALU_CYCLE_1)
	s_xor_b32 s5, exec_lo, s1
	s_cbranch_execz .LBB255_241
; %bb.232:
	v_and_b32_e32 v12, 0xff, v1
	s_mov_b32 s4, 0
	s_mov_b32 s6, exec_lo
	s_delay_alu instid0(VALU_DEP_1)
	v_cmpx_lt_i16_e32 0x7f, v12
	s_xor_b32 s6, exec_lo, s6
	s_cbranch_execnz .LBB255_561
; %bb.233:
	s_or_saveexec_b32 s6, s6
	v_mov_b32_e32 v11, 0x7f800001
	s_xor_b32 exec_lo, exec_lo, s6
	s_cbranch_execnz .LBB255_564
.LBB255_234:
	s_or_b32 exec_lo, exec_lo, s6
	s_and_saveexec_b32 s1, s4
.LBB255_235:
	v_mov_b32_e32 v11, v0
.LBB255_236:
	s_or_b32 exec_lo, exec_lo, s1
	v_and_b32_e32 v17, 0xff, v23
	s_mov_b32 s4, 0
	s_mov_b32 s6, exec_lo
	s_delay_alu instid0(VALU_DEP_1)
	v_cmpx_lt_i16_e32 0x7f, v17
	s_xor_b32 s6, exec_lo, s6
	s_cbranch_execnz .LBB255_565
; %bb.237:
	s_or_saveexec_b32 s6, s6
	v_mov_b32_e32 v12, 0x7f800001
	s_xor_b32 exec_lo, exec_lo, s6
	s_cbranch_execnz .LBB255_568
.LBB255_238:
	s_or_b32 exec_lo, exec_lo, s6
	s_and_saveexec_b32 s6, s4
	s_cbranch_execz .LBB255_240
.LBB255_239:
	v_and_b32_e32 v12, 3, v23
	v_lshrrev_b16 v18, 2, v23
	s_delay_alu instid0(VALU_DEP_2) | instskip(NEXT) | instid1(VALU_DEP_1)
	v_clz_i32_u32_e32 v17, v12
	v_min_u32_e32 v17, 32, v17
	s_delay_alu instid0(VALU_DEP_3) | instskip(NEXT) | instid1(VALU_DEP_2)
	v_and_b32_e32 v18, 31, v18
	v_subrev_nc_u32_e32 v19, 29, v17
	v_sub_nc_u32_e32 v17, 30, v17
	s_delay_alu instid0(VALU_DEP_3) | instskip(NEXT) | instid1(VALU_DEP_1)
	v_cmp_eq_u32_e64 s1, 0, v18
	v_dual_lshlrev_b32 v19, v19, v23 :: v_dual_cndmask_b32 v17, v18, v17, s1
	s_delay_alu instid0(VALU_DEP_1) | instskip(NEXT) | instid1(VALU_DEP_2)
	v_and_b32_e32 v19, 3, v19
	v_lshl_add_u32 v17, v17, 23, 0x37800000
	s_delay_alu instid0(VALU_DEP_2) | instskip(NEXT) | instid1(VALU_DEP_1)
	v_cndmask_b32_e64 v12, v12, v19, s1
	v_dual_lshlrev_b32 v23, 24, v23 :: v_dual_lshlrev_b32 v12, 21, v12
	s_delay_alu instid0(VALU_DEP_1) | instskip(NEXT) | instid1(VALU_DEP_1)
	v_and_b32_e32 v18, 0x80000000, v23
	v_or3_b32 v12, v18, v17, v12
.LBB255_240:
	s_or_b32 exec_lo, exec_lo, s6
	s_delay_alu instid0(VALU_DEP_1)
	v_cmp_neq_f32_e64 s4, v11, v12
                                        ; implicit-def: $vgpr23
.LBB255_241:
	s_and_not1_saveexec_b32 s5, s5
	s_cbranch_execz .LBB255_251
; %bb.242:
	v_and_b32_e32 v12, 0xff, v1
	s_mov_b32 s6, 0
	s_mov_b32 s7, exec_lo
	s_delay_alu instid0(VALU_DEP_1)
	v_cmpx_lt_i16_e32 0x7f, v12
	s_xor_b32 s7, exec_lo, s7
	s_cbranch_execnz .LBB255_569
; %bb.243:
	s_or_saveexec_b32 s7, s7
	v_mov_b32_e32 v11, 0x7f800001
	s_xor_b32 exec_lo, exec_lo, s7
	s_cbranch_execnz .LBB255_572
.LBB255_244:
	s_or_b32 exec_lo, exec_lo, s7
	s_and_saveexec_b32 s1, s6
.LBB255_245:
	v_mov_b32_e32 v11, v0
.LBB255_246:
	s_or_b32 exec_lo, exec_lo, s1
	v_and_b32_e32 v17, 0xff, v23
	s_mov_b32 s6, 0
	s_mov_b32 s7, exec_lo
	s_delay_alu instid0(VALU_DEP_1)
	v_cmpx_lt_i16_e32 0x7f, v17
	s_xor_b32 s7, exec_lo, s7
	s_cbranch_execnz .LBB255_573
; %bb.247:
	s_or_saveexec_b32 s7, s7
	v_mov_b32_e32 v12, 0x7f800001
	s_xor_b32 exec_lo, exec_lo, s7
	s_cbranch_execnz .LBB255_576
.LBB255_248:
	s_or_b32 exec_lo, exec_lo, s7
	s_and_saveexec_b32 s7, s6
	s_cbranch_execz .LBB255_250
.LBB255_249:
	v_and_b32_e32 v12, 3, v23
	v_lshrrev_b16 v18, 2, v23
	s_delay_alu instid0(VALU_DEP_2) | instskip(NEXT) | instid1(VALU_DEP_1)
	v_clz_i32_u32_e32 v17, v12
	v_min_u32_e32 v17, 32, v17
	s_delay_alu instid0(VALU_DEP_3) | instskip(NEXT) | instid1(VALU_DEP_2)
	v_and_b32_e32 v18, 31, v18
	v_subrev_nc_u32_e32 v19, 29, v17
	v_sub_nc_u32_e32 v17, 30, v17
	s_delay_alu instid0(VALU_DEP_3) | instskip(NEXT) | instid1(VALU_DEP_1)
	v_cmp_eq_u32_e64 s1, 0, v18
	v_dual_lshlrev_b32 v19, v19, v23 :: v_dual_cndmask_b32 v17, v18, v17, s1
	s_delay_alu instid0(VALU_DEP_1) | instskip(NEXT) | instid1(VALU_DEP_2)
	v_and_b32_e32 v19, 3, v19
	v_lshl_add_u32 v17, v17, 23, 0x37800000
	s_delay_alu instid0(VALU_DEP_2) | instskip(NEXT) | instid1(VALU_DEP_1)
	v_cndmask_b32_e64 v12, v12, v19, s1
	v_dual_lshlrev_b32 v23, 24, v23 :: v_dual_lshlrev_b32 v12, 21, v12
	s_delay_alu instid0(VALU_DEP_1) | instskip(NEXT) | instid1(VALU_DEP_1)
	v_and_b32_e32 v18, 0x80000000, v23
	v_or3_b32 v12, v18, v17, v12
.LBB255_250:
	s_or_b32 exec_lo, exec_lo, s7
	s_delay_alu instid0(VALU_DEP_1) | instskip(SKIP_2) | instid1(SALU_CYCLE_1)
	v_cmp_eq_f32_e64 s1, v11, v12
	s_and_not1_b32 s4, s4, exec_lo
	s_and_b32 s1, s1, exec_lo
	s_or_b32 s4, s4, s1
.LBB255_251:
	s_or_b32 exec_lo, exec_lo, s5
	s_delay_alu instid0(VALU_DEP_1) | instskip(NEXT) | instid1(VALU_DEP_1)
	v_cndmask_b32_e64 v11, 0, 1, s4
	v_lshlrev_b16 v11, 8, v11
	s_delay_alu instid0(VALU_DEP_1) | instskip(NEXT) | instid1(VALU_DEP_1)
	v_bitop3_b16 v11, v4, v11, 0xff bitop3:0xec
	v_and_b32_e32 v11, 0xffff, v11
	s_delay_alu instid0(VALU_DEP_1)
	v_and_or_b32 v4, 0xffff0000, v4, v11
.LBB255_252:
	s_or_b32 exec_lo, exec_lo, s3
	v_add_nc_u32_e32 v11, 0xa00, v9
	s_mov_b32 s3, exec_lo
	s_delay_alu instid0(VALU_DEP_1)
	v_cmpx_lt_i32_e64 v11, v6
	s_cbranch_execz .LBB255_274
; %bb.253:
                                        ; implicit-def: $sgpr4
	s_and_saveexec_b32 s1, s0
	s_delay_alu instid0(SALU_CYCLE_1)
	s_xor_b32 s5, exec_lo, s1
	s_cbranch_execz .LBB255_263
; %bb.254:
	v_and_b32_e32 v12, 0xff, v1
	s_mov_b32 s4, 0
	s_mov_b32 s6, exec_lo
	s_delay_alu instid0(VALU_DEP_1)
	v_cmpx_lt_i16_e32 0x7f, v12
	s_xor_b32 s6, exec_lo, s6
	s_cbranch_execnz .LBB255_577
; %bb.255:
	s_or_saveexec_b32 s6, s6
	v_mov_b32_e32 v11, 0x7f800001
	s_xor_b32 exec_lo, exec_lo, s6
	s_cbranch_execnz .LBB255_580
.LBB255_256:
	s_or_b32 exec_lo, exec_lo, s6
	s_and_saveexec_b32 s1, s4
.LBB255_257:
	v_mov_b32_e32 v11, v0
.LBB255_258:
	s_or_b32 exec_lo, exec_lo, s1
	v_and_b32_e32 v17, 0xff, v22
	s_mov_b32 s4, 0
	s_mov_b32 s6, exec_lo
	s_delay_alu instid0(VALU_DEP_1)
	v_cmpx_lt_i16_e32 0x7f, v17
	s_xor_b32 s6, exec_lo, s6
	s_cbranch_execnz .LBB255_581
; %bb.259:
	s_or_saveexec_b32 s6, s6
	v_mov_b32_e32 v12, 0x7f800001
	s_xor_b32 exec_lo, exec_lo, s6
	s_cbranch_execnz .LBB255_584
.LBB255_260:
	s_or_b32 exec_lo, exec_lo, s6
	s_and_saveexec_b32 s6, s4
	s_cbranch_execz .LBB255_262
.LBB255_261:
	v_and_b32_e32 v12, 3, v22
	v_lshrrev_b16 v18, 2, v22
	s_delay_alu instid0(VALU_DEP_2) | instskip(NEXT) | instid1(VALU_DEP_1)
	v_clz_i32_u32_e32 v17, v12
	v_min_u32_e32 v17, 32, v17
	s_delay_alu instid0(VALU_DEP_3) | instskip(NEXT) | instid1(VALU_DEP_2)
	v_and_b32_e32 v18, 31, v18
	v_subrev_nc_u32_e32 v19, 29, v17
	v_sub_nc_u32_e32 v17, 30, v17
	s_delay_alu instid0(VALU_DEP_3) | instskip(NEXT) | instid1(VALU_DEP_3)
	v_cmp_eq_u32_e64 s1, 0, v18
	v_dual_lshlrev_b32 v19, v19, v22 :: v_dual_lshlrev_b32 v22, 24, v22
	s_delay_alu instid0(VALU_DEP_1) | instskip(NEXT) | instid1(VALU_DEP_2)
	v_dual_cndmask_b32 v17, v18, v17, s1 :: v_dual_bitop2_b32 v19, 3, v19 bitop3:0x40
	v_and_b32_e32 v18, 0x80000000, v22
	s_delay_alu instid0(VALU_DEP_2) | instskip(NEXT) | instid1(VALU_DEP_3)
	v_cndmask_b32_e64 v12, v12, v19, s1
	v_lshl_add_u32 v17, v17, 23, 0x37800000
	s_delay_alu instid0(VALU_DEP_2) | instskip(NEXT) | instid1(VALU_DEP_1)
	v_lshlrev_b32_e32 v12, 21, v12
	v_or3_b32 v12, v18, v17, v12
.LBB255_262:
	s_or_b32 exec_lo, exec_lo, s6
	s_delay_alu instid0(VALU_DEP_1)
	v_cmp_neq_f32_e64 s4, v11, v12
                                        ; implicit-def: $vgpr22
.LBB255_263:
	s_and_not1_saveexec_b32 s5, s5
	s_cbranch_execz .LBB255_273
; %bb.264:
	v_and_b32_e32 v12, 0xff, v1
	s_mov_b32 s6, 0
	s_mov_b32 s7, exec_lo
	s_delay_alu instid0(VALU_DEP_1)
	v_cmpx_lt_i16_e32 0x7f, v12
	s_xor_b32 s7, exec_lo, s7
	s_cbranch_execnz .LBB255_585
; %bb.265:
	s_or_saveexec_b32 s7, s7
	v_mov_b32_e32 v11, 0x7f800001
	s_xor_b32 exec_lo, exec_lo, s7
	s_cbranch_execnz .LBB255_588
.LBB255_266:
	s_or_b32 exec_lo, exec_lo, s7
	s_and_saveexec_b32 s1, s6
.LBB255_267:
	v_mov_b32_e32 v11, v0
.LBB255_268:
	s_or_b32 exec_lo, exec_lo, s1
	v_and_b32_e32 v17, 0xff, v22
	s_mov_b32 s6, 0
	s_mov_b32 s7, exec_lo
	s_delay_alu instid0(VALU_DEP_1)
	v_cmpx_lt_i16_e32 0x7f, v17
	s_xor_b32 s7, exec_lo, s7
	s_cbranch_execnz .LBB255_589
; %bb.269:
	s_or_saveexec_b32 s7, s7
	v_mov_b32_e32 v12, 0x7f800001
	s_xor_b32 exec_lo, exec_lo, s7
	s_cbranch_execnz .LBB255_592
.LBB255_270:
	s_or_b32 exec_lo, exec_lo, s7
	s_and_saveexec_b32 s7, s6
	s_cbranch_execz .LBB255_272
.LBB255_271:
	v_and_b32_e32 v12, 3, v22
	v_lshrrev_b16 v18, 2, v22
	s_delay_alu instid0(VALU_DEP_2) | instskip(NEXT) | instid1(VALU_DEP_1)
	v_clz_i32_u32_e32 v17, v12
	v_min_u32_e32 v17, 32, v17
	s_delay_alu instid0(VALU_DEP_3) | instskip(NEXT) | instid1(VALU_DEP_2)
	v_and_b32_e32 v18, 31, v18
	v_subrev_nc_u32_e32 v19, 29, v17
	v_sub_nc_u32_e32 v17, 30, v17
	s_delay_alu instid0(VALU_DEP_3) | instskip(NEXT) | instid1(VALU_DEP_3)
	v_cmp_eq_u32_e64 s1, 0, v18
	v_dual_lshlrev_b32 v19, v19, v22 :: v_dual_lshlrev_b32 v22, 24, v22
	s_delay_alu instid0(VALU_DEP_1) | instskip(NEXT) | instid1(VALU_DEP_2)
	v_dual_cndmask_b32 v17, v18, v17, s1 :: v_dual_bitop2_b32 v19, 3, v19 bitop3:0x40
	v_and_b32_e32 v18, 0x80000000, v22
	s_delay_alu instid0(VALU_DEP_2) | instskip(NEXT) | instid1(VALU_DEP_3)
	v_cndmask_b32_e64 v12, v12, v19, s1
	v_lshl_add_u32 v17, v17, 23, 0x37800000
	s_delay_alu instid0(VALU_DEP_2) | instskip(NEXT) | instid1(VALU_DEP_1)
	v_lshlrev_b32_e32 v12, 21, v12
	v_or3_b32 v12, v18, v17, v12
.LBB255_272:
	s_or_b32 exec_lo, exec_lo, s7
	s_delay_alu instid0(VALU_DEP_1) | instskip(SKIP_2) | instid1(SALU_CYCLE_1)
	v_cmp_eq_f32_e64 s1, v11, v12
	s_and_not1_b32 s4, s4, exec_lo
	s_and_b32 s1, s1, exec_lo
	s_or_b32 s4, s4, s1
.LBB255_273:
	s_or_b32 exec_lo, exec_lo, s5
	v_lshrrev_b32_e32 v11, 16, v4
	v_cndmask_b32_e64 v12, 0, 1, s4
	s_delay_alu instid0(VALU_DEP_1) | instskip(NEXT) | instid1(VALU_DEP_1)
	v_bitop3_b16 v11, v12, v11, 0xff00 bitop3:0xf8
	v_lshlrev_b32_e32 v11, 16, v11
	s_delay_alu instid0(VALU_DEP_1)
	v_and_or_b32 v4, 0xffff, v4, v11
.LBB255_274:
	s_or_b32 exec_lo, exec_lo, s3
	v_add_nc_u32_e32 v11, 0xb00, v9
	s_mov_b32 s3, exec_lo
	s_delay_alu instid0(VALU_DEP_1)
	v_cmpx_lt_i32_e64 v11, v6
	s_cbranch_execz .LBB255_296
; %bb.275:
                                        ; implicit-def: $sgpr4
	s_and_saveexec_b32 s1, s0
	s_delay_alu instid0(SALU_CYCLE_1)
	s_xor_b32 s5, exec_lo, s1
	s_cbranch_execz .LBB255_285
; %bb.276:
	v_and_b32_e32 v12, 0xff, v1
	s_mov_b32 s4, 0
	s_mov_b32 s6, exec_lo
	s_delay_alu instid0(VALU_DEP_1)
	v_cmpx_lt_i16_e32 0x7f, v12
	s_xor_b32 s6, exec_lo, s6
	s_cbranch_execnz .LBB255_593
; %bb.277:
	s_or_saveexec_b32 s6, s6
	v_mov_b32_e32 v11, 0x7f800001
	s_xor_b32 exec_lo, exec_lo, s6
	s_cbranch_execnz .LBB255_596
.LBB255_278:
	s_or_b32 exec_lo, exec_lo, s6
	s_and_saveexec_b32 s1, s4
.LBB255_279:
	v_mov_b32_e32 v11, v0
.LBB255_280:
	s_or_b32 exec_lo, exec_lo, s1
	v_and_b32_e32 v17, 0xff, v21
	s_mov_b32 s4, 0
	s_mov_b32 s6, exec_lo
	s_delay_alu instid0(VALU_DEP_1)
	v_cmpx_lt_i16_e32 0x7f, v17
	s_xor_b32 s6, exec_lo, s6
	s_cbranch_execnz .LBB255_597
; %bb.281:
	s_or_saveexec_b32 s6, s6
	v_mov_b32_e32 v12, 0x7f800001
	s_xor_b32 exec_lo, exec_lo, s6
	s_cbranch_execnz .LBB255_600
.LBB255_282:
	s_or_b32 exec_lo, exec_lo, s6
	s_and_saveexec_b32 s6, s4
	s_cbranch_execz .LBB255_284
.LBB255_283:
	v_and_b32_e32 v12, 3, v21
	v_lshrrev_b16 v18, 2, v21
	s_delay_alu instid0(VALU_DEP_2) | instskip(NEXT) | instid1(VALU_DEP_1)
	v_clz_i32_u32_e32 v17, v12
	v_min_u32_e32 v17, 32, v17
	s_delay_alu instid0(VALU_DEP_3) | instskip(NEXT) | instid1(VALU_DEP_2)
	v_and_b32_e32 v18, 31, v18
	v_subrev_nc_u32_e32 v19, 29, v17
	v_sub_nc_u32_e32 v17, 30, v17
	s_delay_alu instid0(VALU_DEP_3) | instskip(NEXT) | instid1(VALU_DEP_3)
	v_cmp_eq_u32_e64 s1, 0, v18
	v_dual_lshlrev_b32 v19, v19, v21 :: v_dual_lshlrev_b32 v21, 24, v21
	s_delay_alu instid0(VALU_DEP_1) | instskip(NEXT) | instid1(VALU_DEP_2)
	v_dual_cndmask_b32 v17, v18, v17, s1 :: v_dual_bitop2_b32 v19, 3, v19 bitop3:0x40
	v_and_b32_e32 v18, 0x80000000, v21
	s_delay_alu instid0(VALU_DEP_2) | instskip(NEXT) | instid1(VALU_DEP_3)
	v_cndmask_b32_e64 v12, v12, v19, s1
	v_lshl_add_u32 v17, v17, 23, 0x37800000
	s_delay_alu instid0(VALU_DEP_2) | instskip(NEXT) | instid1(VALU_DEP_1)
	v_lshlrev_b32_e32 v12, 21, v12
	v_or3_b32 v12, v18, v17, v12
.LBB255_284:
	s_or_b32 exec_lo, exec_lo, s6
	s_delay_alu instid0(VALU_DEP_1)
	v_cmp_neq_f32_e64 s4, v11, v12
                                        ; implicit-def: $vgpr21
.LBB255_285:
	s_and_not1_saveexec_b32 s5, s5
	s_cbranch_execz .LBB255_295
; %bb.286:
	v_and_b32_e32 v12, 0xff, v1
	s_mov_b32 s6, 0
	s_mov_b32 s7, exec_lo
	s_delay_alu instid0(VALU_DEP_1)
	v_cmpx_lt_i16_e32 0x7f, v12
	s_xor_b32 s7, exec_lo, s7
	s_cbranch_execnz .LBB255_601
; %bb.287:
	s_or_saveexec_b32 s7, s7
	v_mov_b32_e32 v11, 0x7f800001
	s_xor_b32 exec_lo, exec_lo, s7
	s_cbranch_execnz .LBB255_604
.LBB255_288:
	s_or_b32 exec_lo, exec_lo, s7
	s_and_saveexec_b32 s1, s6
.LBB255_289:
	v_mov_b32_e32 v11, v0
.LBB255_290:
	s_or_b32 exec_lo, exec_lo, s1
	v_and_b32_e32 v17, 0xff, v21
	s_mov_b32 s6, 0
	s_mov_b32 s7, exec_lo
	s_delay_alu instid0(VALU_DEP_1)
	v_cmpx_lt_i16_e32 0x7f, v17
	s_xor_b32 s7, exec_lo, s7
	s_cbranch_execnz .LBB255_605
; %bb.291:
	s_or_saveexec_b32 s7, s7
	v_mov_b32_e32 v12, 0x7f800001
	s_xor_b32 exec_lo, exec_lo, s7
	s_cbranch_execnz .LBB255_608
.LBB255_292:
	s_or_b32 exec_lo, exec_lo, s7
	s_and_saveexec_b32 s7, s6
	s_cbranch_execz .LBB255_294
.LBB255_293:
	v_and_b32_e32 v12, 3, v21
	v_lshrrev_b16 v18, 2, v21
	s_delay_alu instid0(VALU_DEP_2) | instskip(NEXT) | instid1(VALU_DEP_1)
	v_clz_i32_u32_e32 v17, v12
	v_min_u32_e32 v17, 32, v17
	s_delay_alu instid0(VALU_DEP_3) | instskip(NEXT) | instid1(VALU_DEP_2)
	v_and_b32_e32 v18, 31, v18
	v_subrev_nc_u32_e32 v19, 29, v17
	v_sub_nc_u32_e32 v17, 30, v17
	s_delay_alu instid0(VALU_DEP_3) | instskip(NEXT) | instid1(VALU_DEP_3)
	v_cmp_eq_u32_e64 s1, 0, v18
	v_dual_lshlrev_b32 v19, v19, v21 :: v_dual_lshlrev_b32 v21, 24, v21
	s_delay_alu instid0(VALU_DEP_1) | instskip(NEXT) | instid1(VALU_DEP_2)
	v_dual_cndmask_b32 v17, v18, v17, s1 :: v_dual_bitop2_b32 v19, 3, v19 bitop3:0x40
	v_and_b32_e32 v18, 0x80000000, v21
	s_delay_alu instid0(VALU_DEP_2) | instskip(NEXT) | instid1(VALU_DEP_3)
	v_cndmask_b32_e64 v12, v12, v19, s1
	v_lshl_add_u32 v17, v17, 23, 0x37800000
	s_delay_alu instid0(VALU_DEP_2) | instskip(NEXT) | instid1(VALU_DEP_1)
	v_lshlrev_b32_e32 v12, 21, v12
	v_or3_b32 v12, v18, v17, v12
.LBB255_294:
	s_or_b32 exec_lo, exec_lo, s7
	s_delay_alu instid0(VALU_DEP_1) | instskip(SKIP_2) | instid1(SALU_CYCLE_1)
	v_cmp_eq_f32_e64 s1, v11, v12
	s_and_not1_b32 s4, s4, exec_lo
	s_and_b32 s1, s1, exec_lo
	s_or_b32 s4, s4, s1
.LBB255_295:
	s_or_b32 exec_lo, exec_lo, s5
	s_delay_alu instid0(VALU_DEP_1) | instskip(SKIP_1) | instid1(VALU_DEP_2)
	v_cndmask_b32_e64 v11, 0, 1, s4
	v_lshrrev_b32_e32 v12, 16, v4
	v_lshlrev_b16 v11, 8, v11
	s_delay_alu instid0(VALU_DEP_1) | instskip(NEXT) | instid1(VALU_DEP_1)
	v_bitop3_b16 v11, v12, v11, 0xff bitop3:0xec
	v_lshlrev_b32_e32 v11, 16, v11
	s_delay_alu instid0(VALU_DEP_1)
	v_and_or_b32 v4, 0xffff, v4, v11
.LBB255_296:
	s_or_b32 exec_lo, exec_lo, s3
	v_or_b32_e32 v11, 0xc00, v9
	s_mov_b32 s3, exec_lo
	s_delay_alu instid0(VALU_DEP_1)
	v_cmpx_lt_i32_e64 v11, v6
	s_cbranch_execz .LBB255_318
; %bb.297:
                                        ; implicit-def: $sgpr4
	s_and_saveexec_b32 s1, s0
	s_delay_alu instid0(SALU_CYCLE_1)
	s_xor_b32 s5, exec_lo, s1
	s_cbranch_execz .LBB255_307
; %bb.298:
	v_and_b32_e32 v12, 0xff, v1
	s_mov_b32 s4, 0
	s_mov_b32 s6, exec_lo
	s_delay_alu instid0(VALU_DEP_1)
	v_cmpx_lt_i16_e32 0x7f, v12
	s_xor_b32 s6, exec_lo, s6
	s_cbranch_execnz .LBB255_609
; %bb.299:
	s_or_saveexec_b32 s6, s6
	v_mov_b32_e32 v11, 0x7f800001
	s_xor_b32 exec_lo, exec_lo, s6
	s_cbranch_execnz .LBB255_612
.LBB255_300:
	s_or_b32 exec_lo, exec_lo, s6
	s_and_saveexec_b32 s1, s4
.LBB255_301:
	v_mov_b32_e32 v11, v0
.LBB255_302:
	s_or_b32 exec_lo, exec_lo, s1
	v_and_b32_e32 v17, 0xff, v16
	s_mov_b32 s4, 0
	s_mov_b32 s6, exec_lo
	s_delay_alu instid0(VALU_DEP_1)
	v_cmpx_lt_i16_e32 0x7f, v17
	s_xor_b32 s6, exec_lo, s6
	s_cbranch_execnz .LBB255_613
; %bb.303:
	s_or_saveexec_b32 s6, s6
	v_mov_b32_e32 v12, 0x7f800001
	s_xor_b32 exec_lo, exec_lo, s6
	s_cbranch_execnz .LBB255_616
.LBB255_304:
	s_or_b32 exec_lo, exec_lo, s6
	s_and_saveexec_b32 s6, s4
	s_cbranch_execz .LBB255_306
.LBB255_305:
	v_and_b32_e32 v12, 3, v16
	v_lshrrev_b16 v18, 2, v16
	s_delay_alu instid0(VALU_DEP_2) | instskip(NEXT) | instid1(VALU_DEP_1)
	v_clz_i32_u32_e32 v17, v12
	v_min_u32_e32 v17, 32, v17
	s_delay_alu instid0(VALU_DEP_3) | instskip(NEXT) | instid1(VALU_DEP_2)
	v_and_b32_e32 v18, 31, v18
	v_subrev_nc_u32_e32 v19, 29, v17
	v_sub_nc_u32_e32 v17, 30, v17
	s_delay_alu instid0(VALU_DEP_3) | instskip(NEXT) | instid1(VALU_DEP_3)
	v_cmp_eq_u32_e64 s1, 0, v18
	v_dual_lshlrev_b32 v19, v19, v16 :: v_dual_lshlrev_b32 v16, 24, v16
	s_delay_alu instid0(VALU_DEP_1) | instskip(NEXT) | instid1(VALU_DEP_2)
	v_dual_cndmask_b32 v17, v18, v17, s1 :: v_dual_bitop2_b32 v19, 3, v19 bitop3:0x40
	v_and_b32_e32 v16, 0x80000000, v16
	s_delay_alu instid0(VALU_DEP_2) | instskip(NEXT) | instid1(VALU_DEP_3)
	v_cndmask_b32_e64 v12, v12, v19, s1
	v_lshl_add_u32 v17, v17, 23, 0x37800000
	s_delay_alu instid0(VALU_DEP_2) | instskip(NEXT) | instid1(VALU_DEP_1)
	v_lshlrev_b32_e32 v12, 21, v12
	v_or3_b32 v12, v16, v17, v12
.LBB255_306:
	s_or_b32 exec_lo, exec_lo, s6
	s_delay_alu instid0(VALU_DEP_1)
	v_cmp_neq_f32_e64 s4, v11, v12
                                        ; implicit-def: $vgpr16
.LBB255_307:
	s_and_not1_saveexec_b32 s5, s5
	s_cbranch_execz .LBB255_317
; %bb.308:
	v_and_b32_e32 v12, 0xff, v1
	s_mov_b32 s6, 0
	s_mov_b32 s7, exec_lo
	s_delay_alu instid0(VALU_DEP_1)
	v_cmpx_lt_i16_e32 0x7f, v12
	s_xor_b32 s7, exec_lo, s7
	s_cbranch_execnz .LBB255_617
; %bb.309:
	s_or_saveexec_b32 s7, s7
	v_mov_b32_e32 v11, 0x7f800001
	s_xor_b32 exec_lo, exec_lo, s7
	s_cbranch_execnz .LBB255_620
.LBB255_310:
	s_or_b32 exec_lo, exec_lo, s7
	s_and_saveexec_b32 s1, s6
.LBB255_311:
	v_mov_b32_e32 v11, v0
.LBB255_312:
	s_or_b32 exec_lo, exec_lo, s1
	v_and_b32_e32 v17, 0xff, v16
	s_mov_b32 s6, 0
	s_mov_b32 s7, exec_lo
	s_delay_alu instid0(VALU_DEP_1)
	v_cmpx_lt_i16_e32 0x7f, v17
	s_xor_b32 s7, exec_lo, s7
	s_cbranch_execnz .LBB255_621
; %bb.313:
	s_or_saveexec_b32 s7, s7
	v_mov_b32_e32 v12, 0x7f800001
	s_xor_b32 exec_lo, exec_lo, s7
	s_cbranch_execnz .LBB255_624
.LBB255_314:
	s_or_b32 exec_lo, exec_lo, s7
	s_and_saveexec_b32 s7, s6
	s_cbranch_execz .LBB255_316
.LBB255_315:
	v_and_b32_e32 v12, 3, v16
	v_lshrrev_b16 v18, 2, v16
	s_delay_alu instid0(VALU_DEP_2) | instskip(NEXT) | instid1(VALU_DEP_1)
	v_clz_i32_u32_e32 v17, v12
	v_min_u32_e32 v17, 32, v17
	s_delay_alu instid0(VALU_DEP_3) | instskip(NEXT) | instid1(VALU_DEP_2)
	v_and_b32_e32 v18, 31, v18
	v_subrev_nc_u32_e32 v19, 29, v17
	v_sub_nc_u32_e32 v17, 30, v17
	s_delay_alu instid0(VALU_DEP_3) | instskip(NEXT) | instid1(VALU_DEP_3)
	v_cmp_eq_u32_e64 s1, 0, v18
	v_dual_lshlrev_b32 v19, v19, v16 :: v_dual_lshlrev_b32 v16, 24, v16
	s_delay_alu instid0(VALU_DEP_1) | instskip(NEXT) | instid1(VALU_DEP_2)
	v_dual_cndmask_b32 v17, v18, v17, s1 :: v_dual_bitop2_b32 v19, 3, v19 bitop3:0x40
	v_and_b32_e32 v16, 0x80000000, v16
	s_delay_alu instid0(VALU_DEP_2) | instskip(NEXT) | instid1(VALU_DEP_3)
	v_cndmask_b32_e64 v12, v12, v19, s1
	v_lshl_add_u32 v17, v17, 23, 0x37800000
	s_delay_alu instid0(VALU_DEP_2) | instskip(NEXT) | instid1(VALU_DEP_1)
	v_lshlrev_b32_e32 v12, 21, v12
	v_or3_b32 v12, v16, v17, v12
.LBB255_316:
	s_or_b32 exec_lo, exec_lo, s7
	s_delay_alu instid0(VALU_DEP_1) | instskip(SKIP_2) | instid1(SALU_CYCLE_1)
	v_cmp_eq_f32_e64 s1, v11, v12
	s_and_not1_b32 s4, s4, exec_lo
	s_and_b32 s1, s1, exec_lo
	s_or_b32 s4, s4, s1
.LBB255_317:
	s_or_b32 exec_lo, exec_lo, s5
	s_delay_alu instid0(VALU_DEP_1) | instskip(NEXT) | instid1(VALU_DEP_1)
	v_cndmask_b32_e64 v11, 0, 1, s4
	v_bitop3_b16 v11, v11, v5, 0xff00 bitop3:0xf8
	s_delay_alu instid0(VALU_DEP_1) | instskip(NEXT) | instid1(VALU_DEP_1)
	v_and_b32_e32 v11, 0xffff, v11
	v_and_or_b32 v5, 0xffff0000, v5, v11
.LBB255_318:
	s_or_b32 exec_lo, exec_lo, s3
	v_add_nc_u32_e32 v11, 0xd00, v9
	s_mov_b32 s3, exec_lo
	s_delay_alu instid0(VALU_DEP_1)
	v_cmpx_lt_i32_e64 v11, v6
	s_cbranch_execz .LBB255_340
; %bb.319:
                                        ; implicit-def: $sgpr4
	s_and_saveexec_b32 s1, s0
	s_delay_alu instid0(SALU_CYCLE_1)
	s_xor_b32 s5, exec_lo, s1
	s_cbranch_execz .LBB255_329
; %bb.320:
	v_and_b32_e32 v12, 0xff, v1
	s_mov_b32 s4, 0
	s_mov_b32 s6, exec_lo
	s_delay_alu instid0(VALU_DEP_1)
	v_cmpx_lt_i16_e32 0x7f, v12
	s_xor_b32 s6, exec_lo, s6
	s_cbranch_execnz .LBB255_625
; %bb.321:
	s_or_saveexec_b32 s6, s6
	v_mov_b32_e32 v11, 0x7f800001
	s_xor_b32 exec_lo, exec_lo, s6
	s_cbranch_execnz .LBB255_628
.LBB255_322:
	s_or_b32 exec_lo, exec_lo, s6
	s_and_saveexec_b32 s1, s4
.LBB255_323:
	v_mov_b32_e32 v11, v0
.LBB255_324:
	s_or_b32 exec_lo, exec_lo, s1
	v_and_b32_e32 v16, 0xff, v14
	s_mov_b32 s4, 0
	s_mov_b32 s6, exec_lo
	s_delay_alu instid0(VALU_DEP_1)
	v_cmpx_lt_i16_e32 0x7f, v16
	s_xor_b32 s6, exec_lo, s6
	s_cbranch_execnz .LBB255_629
; %bb.325:
	s_or_saveexec_b32 s6, s6
	v_mov_b32_e32 v12, 0x7f800001
	s_xor_b32 exec_lo, exec_lo, s6
	s_cbranch_execnz .LBB255_632
.LBB255_326:
	s_or_b32 exec_lo, exec_lo, s6
	s_and_saveexec_b32 s6, s4
	s_cbranch_execz .LBB255_328
.LBB255_327:
	v_and_b32_e32 v12, 3, v14
	v_lshrrev_b16 v17, 2, v14
	s_delay_alu instid0(VALU_DEP_2) | instskip(NEXT) | instid1(VALU_DEP_1)
	v_clz_i32_u32_e32 v16, v12
	v_min_u32_e32 v16, 32, v16
	s_delay_alu instid0(VALU_DEP_3) | instskip(NEXT) | instid1(VALU_DEP_2)
	v_and_b32_e32 v17, 31, v17
	v_subrev_nc_u32_e32 v18, 29, v16
	v_sub_nc_u32_e32 v16, 30, v16
	s_delay_alu instid0(VALU_DEP_3) | instskip(NEXT) | instid1(VALU_DEP_1)
	v_cmp_eq_u32_e64 s1, 0, v17
	v_dual_lshlrev_b32 v18, v18, v14 :: v_dual_cndmask_b32 v16, v17, v16, s1
	s_delay_alu instid0(VALU_DEP_1) | instskip(NEXT) | instid1(VALU_DEP_2)
	v_and_b32_e32 v18, 3, v18
	v_lshl_add_u32 v16, v16, 23, 0x37800000
	s_delay_alu instid0(VALU_DEP_2) | instskip(NEXT) | instid1(VALU_DEP_1)
	v_cndmask_b32_e64 v12, v12, v18, s1
	v_dual_lshlrev_b32 v14, 24, v14 :: v_dual_lshlrev_b32 v12, 21, v12
	s_delay_alu instid0(VALU_DEP_1) | instskip(NEXT) | instid1(VALU_DEP_1)
	v_and_b32_e32 v14, 0x80000000, v14
	v_or3_b32 v12, v14, v16, v12
.LBB255_328:
	s_or_b32 exec_lo, exec_lo, s6
	s_delay_alu instid0(VALU_DEP_1)
	v_cmp_neq_f32_e64 s4, v11, v12
                                        ; implicit-def: $vgpr14
.LBB255_329:
	s_and_not1_saveexec_b32 s5, s5
	s_cbranch_execz .LBB255_339
; %bb.330:
	v_and_b32_e32 v12, 0xff, v1
	s_mov_b32 s6, 0
	s_mov_b32 s7, exec_lo
	s_delay_alu instid0(VALU_DEP_1)
	v_cmpx_lt_i16_e32 0x7f, v12
	s_xor_b32 s7, exec_lo, s7
	s_cbranch_execnz .LBB255_633
; %bb.331:
	s_or_saveexec_b32 s7, s7
	v_mov_b32_e32 v11, 0x7f800001
	s_xor_b32 exec_lo, exec_lo, s7
	s_cbranch_execnz .LBB255_636
.LBB255_332:
	s_or_b32 exec_lo, exec_lo, s7
	s_and_saveexec_b32 s1, s6
.LBB255_333:
	v_mov_b32_e32 v11, v0
.LBB255_334:
	s_or_b32 exec_lo, exec_lo, s1
	v_and_b32_e32 v16, 0xff, v14
	s_mov_b32 s6, 0
	s_mov_b32 s7, exec_lo
	s_delay_alu instid0(VALU_DEP_1)
	v_cmpx_lt_i16_e32 0x7f, v16
	s_xor_b32 s7, exec_lo, s7
	s_cbranch_execnz .LBB255_637
; %bb.335:
	s_or_saveexec_b32 s7, s7
	v_mov_b32_e32 v12, 0x7f800001
	s_xor_b32 exec_lo, exec_lo, s7
	s_cbranch_execnz .LBB255_640
.LBB255_336:
	s_or_b32 exec_lo, exec_lo, s7
	s_and_saveexec_b32 s7, s6
	s_cbranch_execz .LBB255_338
.LBB255_337:
	v_and_b32_e32 v12, 3, v14
	v_lshrrev_b16 v17, 2, v14
	s_delay_alu instid0(VALU_DEP_2) | instskip(NEXT) | instid1(VALU_DEP_1)
	v_clz_i32_u32_e32 v16, v12
	v_min_u32_e32 v16, 32, v16
	s_delay_alu instid0(VALU_DEP_3) | instskip(NEXT) | instid1(VALU_DEP_2)
	v_and_b32_e32 v17, 31, v17
	v_subrev_nc_u32_e32 v18, 29, v16
	v_sub_nc_u32_e32 v16, 30, v16
	s_delay_alu instid0(VALU_DEP_3) | instskip(NEXT) | instid1(VALU_DEP_1)
	v_cmp_eq_u32_e64 s1, 0, v17
	v_dual_lshlrev_b32 v18, v18, v14 :: v_dual_cndmask_b32 v16, v17, v16, s1
	s_delay_alu instid0(VALU_DEP_1) | instskip(NEXT) | instid1(VALU_DEP_2)
	v_and_b32_e32 v18, 3, v18
	v_lshl_add_u32 v16, v16, 23, 0x37800000
	s_delay_alu instid0(VALU_DEP_2) | instskip(NEXT) | instid1(VALU_DEP_1)
	v_cndmask_b32_e64 v12, v12, v18, s1
	v_dual_lshlrev_b32 v14, 24, v14 :: v_dual_lshlrev_b32 v12, 21, v12
	s_delay_alu instid0(VALU_DEP_1) | instskip(NEXT) | instid1(VALU_DEP_1)
	v_and_b32_e32 v14, 0x80000000, v14
	v_or3_b32 v12, v14, v16, v12
.LBB255_338:
	s_or_b32 exec_lo, exec_lo, s7
	s_delay_alu instid0(VALU_DEP_1) | instskip(SKIP_2) | instid1(SALU_CYCLE_1)
	v_cmp_eq_f32_e64 s1, v11, v12
	s_and_not1_b32 s4, s4, exec_lo
	s_and_b32 s1, s1, exec_lo
	s_or_b32 s4, s4, s1
.LBB255_339:
	s_or_b32 exec_lo, exec_lo, s5
	s_delay_alu instid0(VALU_DEP_1) | instskip(NEXT) | instid1(VALU_DEP_1)
	v_cndmask_b32_e64 v11, 0, 1, s4
	v_lshlrev_b16 v11, 8, v11
	s_delay_alu instid0(VALU_DEP_1) | instskip(NEXT) | instid1(VALU_DEP_1)
	v_bitop3_b16 v11, v5, v11, 0xff bitop3:0xec
	v_and_b32_e32 v11, 0xffff, v11
	s_delay_alu instid0(VALU_DEP_1)
	v_and_or_b32 v5, 0xffff0000, v5, v11
.LBB255_340:
	s_or_b32 exec_lo, exec_lo, s3
	v_add_nc_u32_e32 v11, 0xe00, v9
	s_mov_b32 s3, exec_lo
	s_delay_alu instid0(VALU_DEP_1)
	v_cmpx_lt_i32_e64 v11, v6
	s_cbranch_execz .LBB255_362
; %bb.341:
                                        ; implicit-def: $sgpr4
	s_and_saveexec_b32 s1, s0
	s_delay_alu instid0(SALU_CYCLE_1)
	s_xor_b32 s5, exec_lo, s1
	s_cbranch_execz .LBB255_351
; %bb.342:
	v_and_b32_e32 v12, 0xff, v1
	s_mov_b32 s4, 0
	s_mov_b32 s6, exec_lo
	s_delay_alu instid0(VALU_DEP_1)
	v_cmpx_lt_i16_e32 0x7f, v12
	s_xor_b32 s6, exec_lo, s6
	s_cbranch_execnz .LBB255_641
; %bb.343:
	s_or_saveexec_b32 s6, s6
	v_mov_b32_e32 v11, 0x7f800001
	s_xor_b32 exec_lo, exec_lo, s6
	s_cbranch_execnz .LBB255_644
.LBB255_344:
	s_or_b32 exec_lo, exec_lo, s6
	s_and_saveexec_b32 s1, s4
.LBB255_345:
	v_mov_b32_e32 v11, v0
.LBB255_346:
	s_or_b32 exec_lo, exec_lo, s1
	v_and_b32_e32 v14, 0xff, v15
	s_mov_b32 s4, 0
	s_mov_b32 s6, exec_lo
	s_delay_alu instid0(VALU_DEP_1)
	v_cmpx_lt_i16_e32 0x7f, v14
	s_xor_b32 s6, exec_lo, s6
	s_cbranch_execnz .LBB255_645
; %bb.347:
	s_or_saveexec_b32 s6, s6
	v_mov_b32_e32 v12, 0x7f800001
	s_xor_b32 exec_lo, exec_lo, s6
	s_cbranch_execnz .LBB255_648
.LBB255_348:
	s_or_b32 exec_lo, exec_lo, s6
	s_and_saveexec_b32 s6, s4
	s_cbranch_execz .LBB255_350
.LBB255_349:
	v_and_b32_e32 v12, 3, v15
	v_lshrrev_b16 v16, 2, v15
	s_delay_alu instid0(VALU_DEP_2) | instskip(NEXT) | instid1(VALU_DEP_1)
	v_clz_i32_u32_e32 v14, v12
	v_min_u32_e32 v14, 32, v14
	s_delay_alu instid0(VALU_DEP_3) | instskip(NEXT) | instid1(VALU_DEP_2)
	v_and_b32_e32 v16, 31, v16
	v_subrev_nc_u32_e32 v17, 29, v14
	v_sub_nc_u32_e32 v14, 30, v14
	s_delay_alu instid0(VALU_DEP_3) | instskip(NEXT) | instid1(VALU_DEP_3)
	v_cmp_eq_u32_e64 s1, 0, v16
	v_dual_lshlrev_b32 v17, v17, v15 :: v_dual_lshlrev_b32 v15, 24, v15
	s_delay_alu instid0(VALU_DEP_1) | instskip(NEXT) | instid1(VALU_DEP_2)
	v_and_b32_e32 v17, 3, v17
	v_and_b32_e32 v15, 0x80000000, v15
	s_delay_alu instid0(VALU_DEP_2) | instskip(NEXT) | instid1(VALU_DEP_1)
	v_cndmask_b32_e64 v12, v12, v17, s1
	v_dual_cndmask_b32 v14, v16, v14, s1 :: v_dual_lshlrev_b32 v12, 21, v12
	s_delay_alu instid0(VALU_DEP_1) | instskip(NEXT) | instid1(VALU_DEP_1)
	v_lshl_add_u32 v14, v14, 23, 0x37800000
	v_or3_b32 v12, v15, v14, v12
.LBB255_350:
	s_or_b32 exec_lo, exec_lo, s6
	s_delay_alu instid0(VALU_DEP_1)
	v_cmp_neq_f32_e64 s4, v11, v12
                                        ; implicit-def: $vgpr15
.LBB255_351:
	s_and_not1_saveexec_b32 s5, s5
	s_cbranch_execz .LBB255_361
; %bb.352:
	v_and_b32_e32 v12, 0xff, v1
	s_mov_b32 s6, 0
	s_mov_b32 s7, exec_lo
	s_delay_alu instid0(VALU_DEP_1)
	v_cmpx_lt_i16_e32 0x7f, v12
	s_xor_b32 s7, exec_lo, s7
	s_cbranch_execnz .LBB255_649
; %bb.353:
	s_or_saveexec_b32 s7, s7
	v_mov_b32_e32 v11, 0x7f800001
	s_xor_b32 exec_lo, exec_lo, s7
	s_cbranch_execnz .LBB255_652
.LBB255_354:
	s_or_b32 exec_lo, exec_lo, s7
	s_and_saveexec_b32 s1, s6
.LBB255_355:
	v_mov_b32_e32 v11, v0
.LBB255_356:
	s_or_b32 exec_lo, exec_lo, s1
	v_and_b32_e32 v14, 0xff, v15
	s_mov_b32 s6, 0
	s_mov_b32 s7, exec_lo
	s_delay_alu instid0(VALU_DEP_1)
	v_cmpx_lt_i16_e32 0x7f, v14
	s_xor_b32 s7, exec_lo, s7
	s_cbranch_execnz .LBB255_653
; %bb.357:
	s_or_saveexec_b32 s7, s7
	v_mov_b32_e32 v12, 0x7f800001
	s_xor_b32 exec_lo, exec_lo, s7
	s_cbranch_execnz .LBB255_656
.LBB255_358:
	s_or_b32 exec_lo, exec_lo, s7
	s_and_saveexec_b32 s7, s6
	s_cbranch_execz .LBB255_360
.LBB255_359:
	v_and_b32_e32 v12, 3, v15
	v_lshrrev_b16 v16, 2, v15
	s_delay_alu instid0(VALU_DEP_2) | instskip(NEXT) | instid1(VALU_DEP_1)
	v_clz_i32_u32_e32 v14, v12
	v_min_u32_e32 v14, 32, v14
	s_delay_alu instid0(VALU_DEP_3) | instskip(NEXT) | instid1(VALU_DEP_2)
	v_and_b32_e32 v16, 31, v16
	v_subrev_nc_u32_e32 v17, 29, v14
	v_sub_nc_u32_e32 v14, 30, v14
	s_delay_alu instid0(VALU_DEP_3) | instskip(NEXT) | instid1(VALU_DEP_3)
	v_cmp_eq_u32_e64 s1, 0, v16
	v_dual_lshlrev_b32 v17, v17, v15 :: v_dual_lshlrev_b32 v15, 24, v15
	s_delay_alu instid0(VALU_DEP_1) | instskip(NEXT) | instid1(VALU_DEP_2)
	v_and_b32_e32 v17, 3, v17
	v_and_b32_e32 v15, 0x80000000, v15
	s_delay_alu instid0(VALU_DEP_2) | instskip(NEXT) | instid1(VALU_DEP_1)
	v_cndmask_b32_e64 v12, v12, v17, s1
	v_dual_cndmask_b32 v14, v16, v14, s1 :: v_dual_lshlrev_b32 v12, 21, v12
	s_delay_alu instid0(VALU_DEP_1) | instskip(NEXT) | instid1(VALU_DEP_1)
	v_lshl_add_u32 v14, v14, 23, 0x37800000
	v_or3_b32 v12, v15, v14, v12
.LBB255_360:
	s_or_b32 exec_lo, exec_lo, s7
	s_delay_alu instid0(VALU_DEP_1) | instskip(SKIP_2) | instid1(SALU_CYCLE_1)
	v_cmp_eq_f32_e64 s1, v11, v12
	s_and_not1_b32 s4, s4, exec_lo
	s_and_b32 s1, s1, exec_lo
	s_or_b32 s4, s4, s1
.LBB255_361:
	s_or_b32 exec_lo, exec_lo, s5
	v_lshrrev_b32_e32 v11, 16, v5
	v_cndmask_b32_e64 v12, 0, 1, s4
	s_delay_alu instid0(VALU_DEP_1) | instskip(NEXT) | instid1(VALU_DEP_1)
	v_bitop3_b16 v11, v12, v11, 0xff00 bitop3:0xf8
	v_lshlrev_b32_e32 v11, 16, v11
	s_delay_alu instid0(VALU_DEP_1)
	v_and_or_b32 v5, 0xffff, v5, v11
.LBB255_362:
	s_or_b32 exec_lo, exec_lo, s3
	v_add_nc_u32_e32 v11, 0xf00, v9
	s_mov_b32 s3, exec_lo
	s_delay_alu instid0(VALU_DEP_1)
	v_cmpx_lt_i32_e64 v11, v6
	s_cbranch_execnz .LBB255_380
; %bb.363:
	s_or_b32 exec_lo, exec_lo, s3
	s_and_saveexec_b32 s0, vcc_lo
	s_delay_alu instid0(SALU_CYCLE_1)
	s_xor_b32 s0, exec_lo, s0
	s_cbranch_execnz .LBB255_401
.LBB255_364:
	s_or_b32 exec_lo, exec_lo, s0
	s_delay_alu instid0(SALU_CYCLE_1)
	s_mov_b32 s0, exec_lo
	v_cmpx_lt_i32_e64 v9, v6
	s_cbranch_execnz .LBB255_402
.LBB255_365:
	s_or_b32 exec_lo, exec_lo, s0
	s_delay_alu instid0(SALU_CYCLE_1)
	s_mov_b32 s0, exec_lo
	v_cmpx_lt_i32_e64 v9, v6
	s_cbranch_execnz .LBB255_403
.LBB255_366:
	s_or_b32 exec_lo, exec_lo, s0
	s_delay_alu instid0(SALU_CYCLE_1)
	s_mov_b32 s0, exec_lo
	v_cmpx_lt_i32_e64 v9, v6
	s_cbranch_execnz .LBB255_404
.LBB255_367:
	s_or_b32 exec_lo, exec_lo, s0
	s_delay_alu instid0(SALU_CYCLE_1)
	s_mov_b32 s0, exec_lo
	v_cmpx_lt_i32_e64 v9, v6
	s_cbranch_execnz .LBB255_405
.LBB255_368:
	s_or_b32 exec_lo, exec_lo, s0
	s_delay_alu instid0(SALU_CYCLE_1)
	s_mov_b32 s0, exec_lo
	v_cmpx_lt_i32_e64 v9, v6
	s_cbranch_execnz .LBB255_406
.LBB255_369:
	s_or_b32 exec_lo, exec_lo, s0
	s_delay_alu instid0(SALU_CYCLE_1)
	s_mov_b32 s0, exec_lo
	v_cmpx_lt_i32_e64 v9, v6
	s_cbranch_execnz .LBB255_407
.LBB255_370:
	s_or_b32 exec_lo, exec_lo, s0
	s_delay_alu instid0(SALU_CYCLE_1)
	s_mov_b32 s0, exec_lo
	v_cmpx_lt_i32_e64 v9, v6
	s_cbranch_execnz .LBB255_408
.LBB255_371:
	s_or_b32 exec_lo, exec_lo, s0
	s_delay_alu instid0(SALU_CYCLE_1)
	s_mov_b32 s0, exec_lo
	v_cmpx_lt_i32_e64 v9, v6
	s_cbranch_execnz .LBB255_409
.LBB255_372:
	s_or_b32 exec_lo, exec_lo, s0
	s_delay_alu instid0(SALU_CYCLE_1)
	s_mov_b32 s0, exec_lo
	v_cmpx_lt_i32_e64 v9, v6
	s_cbranch_execnz .LBB255_410
.LBB255_373:
	s_or_b32 exec_lo, exec_lo, s0
	s_delay_alu instid0(SALU_CYCLE_1)
	s_mov_b32 s0, exec_lo
	v_cmpx_lt_i32_e64 v9, v6
	s_cbranch_execnz .LBB255_411
.LBB255_374:
	s_or_b32 exec_lo, exec_lo, s0
	s_delay_alu instid0(SALU_CYCLE_1)
	s_mov_b32 s0, exec_lo
	v_cmpx_lt_i32_e64 v9, v6
	s_cbranch_execnz .LBB255_412
.LBB255_375:
	s_or_b32 exec_lo, exec_lo, s0
	s_delay_alu instid0(SALU_CYCLE_1)
	s_mov_b32 s0, exec_lo
	v_cmpx_lt_i32_e64 v9, v6
	s_cbranch_execnz .LBB255_413
.LBB255_376:
	s_or_b32 exec_lo, exec_lo, s0
	s_delay_alu instid0(SALU_CYCLE_1)
	s_mov_b32 s0, exec_lo
	v_cmpx_lt_i32_e64 v9, v6
	s_cbranch_execnz .LBB255_414
.LBB255_377:
	s_or_b32 exec_lo, exec_lo, s0
	s_delay_alu instid0(SALU_CYCLE_1)
	s_mov_b32 s0, exec_lo
	v_cmpx_lt_i32_e64 v9, v6
	s_cbranch_execnz .LBB255_415
.LBB255_378:
	s_or_b32 exec_lo, exec_lo, s0
	s_delay_alu instid0(SALU_CYCLE_1)
	s_mov_b32 s0, exec_lo
	v_cmpx_lt_i32_e64 v9, v6
	s_cbranch_execnz .LBB255_416
.LBB255_379:
	s_or_b32 exec_lo, exec_lo, s0
	s_wait_dscnt 0x0
	s_set_pc_i64 s[30:31]
.LBB255_380:
                                        ; implicit-def: $sgpr1
	s_and_saveexec_b32 s4, s0
	s_delay_alu instid0(SALU_CYCLE_1)
	s_xor_b32 s4, exec_lo, s4
	s_cbranch_execz .LBB255_390
; %bb.381:
	v_and_b32_e32 v11, 0xff, v1
	s_mov_b32 s1, 0
	s_mov_b32 s5, exec_lo
	s_delay_alu instid0(VALU_DEP_1)
	v_cmpx_lt_i16_e32 0x7f, v11
	s_xor_b32 s5, exec_lo, s5
	s_cbranch_execnz .LBB255_657
; %bb.382:
	s_or_saveexec_b32 s5, s5
	v_mov_b32_e32 v1, 0x7f800001
	s_xor_b32 exec_lo, exec_lo, s5
	s_cbranch_execnz .LBB255_660
.LBB255_383:
	s_or_b32 exec_lo, exec_lo, s5
	s_and_saveexec_b32 s0, s1
.LBB255_384:
	v_mov_b32_e32 v1, v0
.LBB255_385:
	s_or_b32 exec_lo, exec_lo, s0
	v_and_b32_e32 v11, 0xff, v13
	s_mov_b32 s1, 0
	s_mov_b32 s5, exec_lo
	s_delay_alu instid0(VALU_DEP_1)
	v_cmpx_lt_i16_e32 0x7f, v11
	s_xor_b32 s5, exec_lo, s5
	s_cbranch_execnz .LBB255_661
; %bb.386:
	s_or_saveexec_b32 s5, s5
	v_mov_b32_e32 v0, 0x7f800001
	s_xor_b32 exec_lo, exec_lo, s5
	s_cbranch_execnz .LBB255_664
.LBB255_387:
	s_or_b32 exec_lo, exec_lo, s5
	s_and_saveexec_b32 s5, s1
	s_cbranch_execz .LBB255_389
.LBB255_388:
	v_and_b32_e32 v0, 3, v13
	v_lshrrev_b16 v12, 2, v13
	s_delay_alu instid0(VALU_DEP_2) | instskip(NEXT) | instid1(VALU_DEP_1)
	v_clz_i32_u32_e32 v11, v0
	v_min_u32_e32 v11, 32, v11
	s_delay_alu instid0(VALU_DEP_3) | instskip(NEXT) | instid1(VALU_DEP_2)
	v_and_b32_e32 v12, 31, v12
	v_subrev_nc_u32_e32 v14, 29, v11
	v_sub_nc_u32_e32 v11, 30, v11
	s_delay_alu instid0(VALU_DEP_3) | instskip(NEXT) | instid1(VALU_DEP_3)
	v_cmp_eq_u32_e64 s0, 0, v12
	v_dual_lshlrev_b32 v14, v14, v13 :: v_dual_lshlrev_b32 v13, 24, v13
	s_delay_alu instid0(VALU_DEP_1) | instskip(NEXT) | instid1(VALU_DEP_1)
	v_and_b32_e32 v14, 3, v14
	v_cndmask_b32_e64 v0, v0, v14, s0
	v_cndmask_b32_e64 v11, v12, v11, s0
	s_delay_alu instid0(VALU_DEP_4) | instskip(NEXT) | instid1(VALU_DEP_3)
	v_and_b32_e32 v12, 0x80000000, v13
	v_lshlrev_b32_e32 v0, 21, v0
	s_delay_alu instid0(VALU_DEP_3) | instskip(NEXT) | instid1(VALU_DEP_1)
	v_lshl_add_u32 v11, v11, 23, 0x37800000
	v_or3_b32 v0, v12, v11, v0
.LBB255_389:
	s_or_b32 exec_lo, exec_lo, s5
	s_delay_alu instid0(VALU_DEP_1)
	v_cmp_neq_f32_e64 s1, v1, v0
                                        ; implicit-def: $vgpr13
                                        ; implicit-def: $vgpr0
                                        ; implicit-def: $vgpr1
.LBB255_390:
	s_and_not1_saveexec_b32 s4, s4
	s_cbranch_execz .LBB255_400
; %bb.391:
	v_and_b32_e32 v11, 0xff, v1
	s_mov_b32 s5, 0
	s_mov_b32 s6, exec_lo
	s_delay_alu instid0(VALU_DEP_1)
	v_cmpx_lt_i16_e32 0x7f, v11
	s_xor_b32 s6, exec_lo, s6
	s_cbranch_execnz .LBB255_665
; %bb.392:
	s_or_saveexec_b32 s6, s6
	v_mov_b32_e32 v1, 0x7f800001
	s_xor_b32 exec_lo, exec_lo, s6
	s_cbranch_execnz .LBB255_668
.LBB255_393:
	s_or_b32 exec_lo, exec_lo, s6
	s_and_saveexec_b32 s0, s5
.LBB255_394:
	v_mov_b32_e32 v1, v0
.LBB255_395:
	s_or_b32 exec_lo, exec_lo, s0
	v_and_b32_e32 v11, 0xff, v13
	s_mov_b32 s5, 0
	s_mov_b32 s6, exec_lo
	s_delay_alu instid0(VALU_DEP_1)
	v_cmpx_lt_i16_e32 0x7f, v11
	s_xor_b32 s6, exec_lo, s6
	s_cbranch_execnz .LBB255_669
; %bb.396:
	s_or_saveexec_b32 s6, s6
	v_mov_b32_e32 v0, 0x7f800001
	s_xor_b32 exec_lo, exec_lo, s6
	s_cbranch_execnz .LBB255_672
.LBB255_397:
	s_or_b32 exec_lo, exec_lo, s6
	s_and_saveexec_b32 s6, s5
	s_cbranch_execz .LBB255_399
.LBB255_398:
	v_and_b32_e32 v0, 3, v13
	v_lshrrev_b16 v12, 2, v13
	s_delay_alu instid0(VALU_DEP_2) | instskip(NEXT) | instid1(VALU_DEP_1)
	v_clz_i32_u32_e32 v11, v0
	v_min_u32_e32 v11, 32, v11
	s_delay_alu instid0(VALU_DEP_3) | instskip(NEXT) | instid1(VALU_DEP_2)
	v_and_b32_e32 v12, 31, v12
	v_subrev_nc_u32_e32 v14, 29, v11
	v_sub_nc_u32_e32 v11, 30, v11
	s_delay_alu instid0(VALU_DEP_3) | instskip(NEXT) | instid1(VALU_DEP_3)
	v_cmp_eq_u32_e64 s0, 0, v12
	v_dual_lshlrev_b32 v14, v14, v13 :: v_dual_lshlrev_b32 v13, 24, v13
	s_delay_alu instid0(VALU_DEP_1) | instskip(NEXT) | instid1(VALU_DEP_1)
	v_and_b32_e32 v14, 3, v14
	v_cndmask_b32_e64 v0, v0, v14, s0
	v_cndmask_b32_e64 v11, v12, v11, s0
	s_delay_alu instid0(VALU_DEP_4) | instskip(NEXT) | instid1(VALU_DEP_3)
	v_and_b32_e32 v12, 0x80000000, v13
	v_lshlrev_b32_e32 v0, 21, v0
	s_delay_alu instid0(VALU_DEP_3) | instskip(NEXT) | instid1(VALU_DEP_1)
	v_lshl_add_u32 v11, v11, 23, 0x37800000
	v_or3_b32 v0, v12, v11, v0
.LBB255_399:
	s_or_b32 exec_lo, exec_lo, s6
	s_delay_alu instid0(VALU_DEP_1) | instskip(SKIP_2) | instid1(SALU_CYCLE_1)
	v_cmp_eq_f32_e64 s0, v1, v0
	s_and_not1_b32 s1, s1, exec_lo
	s_and_b32 s0, s0, exec_lo
	s_or_b32 s1, s1, s0
.LBB255_400:
	s_or_b32 exec_lo, exec_lo, s4
	s_delay_alu instid0(VALU_DEP_1) | instskip(SKIP_1) | instid1(VALU_DEP_2)
	v_cndmask_b32_e64 v0, 0, 1, s1
	v_lshrrev_b32_e32 v1, 16, v5
	v_lshlrev_b16 v0, 8, v0
	s_delay_alu instid0(VALU_DEP_1) | instskip(NEXT) | instid1(VALU_DEP_1)
	v_bitop3_b16 v0, v1, v0, 0xff bitop3:0xec
	v_lshlrev_b32_e32 v0, 16, v0
	s_delay_alu instid0(VALU_DEP_1) | instskip(SKIP_2) | instid1(SALU_CYCLE_1)
	v_and_or_b32 v5, 0xffff, v5, v0
	s_or_b32 exec_lo, exec_lo, s3
	s_and_saveexec_b32 s0, vcc_lo
	s_xor_b32 s0, exec_lo, s0
	s_cbranch_execz .LBB255_364
.LBB255_401:
	v_dual_mov_b32 v11, 0 :: v_dual_mov_b32 v9, v20
	s_delay_alu instid0(VALU_DEP_1) | instskip(SKIP_3) | instid1(SALU_CYCLE_1)
	v_add_nc_u64_e32 v[0:1], v[2:3], v[10:11]
	flat_store_b8 v[0:1], v8
	s_wait_xcnt 0x0
	s_or_b32 exec_lo, exec_lo, s0
	s_mov_b32 s0, exec_lo
	v_cmpx_lt_i32_e64 v9, v6
	s_cbranch_execz .LBB255_365
.LBB255_402:
	v_dual_mov_b32 v1, 0 :: v_dual_add_nc_u32 v0, s2, v9
	v_lshrrev_b32_e32 v10, 8, v8
	v_add_nc_u32_e32 v9, 0x100, v9
	s_delay_alu instid0(VALU_DEP_3) | instskip(SKIP_3) | instid1(SALU_CYCLE_1)
	v_add_nc_u64_e32 v[0:1], v[2:3], v[0:1]
	flat_store_b8 v[0:1], v10
	s_wait_xcnt 0x0
	s_or_b32 exec_lo, exec_lo, s0
	s_mov_b32 s0, exec_lo
	v_cmpx_lt_i32_e64 v9, v6
	s_cbranch_execz .LBB255_366
.LBB255_403:
	v_dual_mov_b32 v1, 0 :: v_dual_add_nc_u32 v0, s2, v9
	v_add_nc_u32_e32 v9, 0x100, v9
	s_delay_alu instid0(VALU_DEP_2) | instskip(SKIP_3) | instid1(SALU_CYCLE_1)
	v_add_nc_u64_e32 v[0:1], v[2:3], v[0:1]
	flat_store_d16_hi_b8 v[0:1], v8
	s_wait_xcnt 0x0
	s_or_b32 exec_lo, exec_lo, s0
	s_mov_b32 s0, exec_lo
	v_cmpx_lt_i32_e64 v9, v6
	s_cbranch_execz .LBB255_367
.LBB255_404:
	v_dual_mov_b32 v1, 0 :: v_dual_add_nc_u32 v0, s2, v9
	v_lshrrev_b32_e32 v8, 24, v8
	v_add_nc_u32_e32 v9, 0x100, v9
	s_delay_alu instid0(VALU_DEP_3) | instskip(SKIP_3) | instid1(SALU_CYCLE_1)
	v_add_nc_u64_e32 v[0:1], v[2:3], v[0:1]
	flat_store_b8 v[0:1], v8
	s_wait_xcnt 0x0
	s_or_b32 exec_lo, exec_lo, s0
	s_mov_b32 s0, exec_lo
	v_cmpx_lt_i32_e64 v9, v6
	s_cbranch_execz .LBB255_368
.LBB255_405:
	v_dual_mov_b32 v1, 0 :: v_dual_add_nc_u32 v0, s2, v9
	v_add_nc_u32_e32 v9, 0x100, v9
	s_delay_alu instid0(VALU_DEP_2) | instskip(SKIP_3) | instid1(SALU_CYCLE_1)
	v_add_nc_u64_e32 v[0:1], v[2:3], v[0:1]
	flat_store_b8 v[0:1], v7
	s_wait_xcnt 0x0
	s_or_b32 exec_lo, exec_lo, s0
	s_mov_b32 s0, exec_lo
	v_cmpx_lt_i32_e64 v9, v6
	s_cbranch_execz .LBB255_369
.LBB255_406:
	v_dual_mov_b32 v1, 0 :: v_dual_add_nc_u32 v0, s2, v9
	v_lshrrev_b32_e32 v8, 8, v7
	v_add_nc_u32_e32 v9, 0x100, v9
	s_delay_alu instid0(VALU_DEP_3) | instskip(SKIP_3) | instid1(SALU_CYCLE_1)
	v_add_nc_u64_e32 v[0:1], v[2:3], v[0:1]
	flat_store_b8 v[0:1], v8
	s_wait_xcnt 0x0
	s_or_b32 exec_lo, exec_lo, s0
	s_mov_b32 s0, exec_lo
	v_cmpx_lt_i32_e64 v9, v6
	s_cbranch_execz .LBB255_370
.LBB255_407:
	v_dual_mov_b32 v1, 0 :: v_dual_add_nc_u32 v0, s2, v9
	v_add_nc_u32_e32 v9, 0x100, v9
	s_delay_alu instid0(VALU_DEP_2) | instskip(SKIP_3) | instid1(SALU_CYCLE_1)
	v_add_nc_u64_e32 v[0:1], v[2:3], v[0:1]
	flat_store_d16_hi_b8 v[0:1], v7
	s_wait_xcnt 0x0
	s_or_b32 exec_lo, exec_lo, s0
	s_mov_b32 s0, exec_lo
	v_cmpx_lt_i32_e64 v9, v6
	s_cbranch_execz .LBB255_371
.LBB255_408:
	v_dual_mov_b32 v1, 0 :: v_dual_add_nc_u32 v0, s2, v9
	v_lshrrev_b32_e32 v7, 24, v7
	v_add_nc_u32_e32 v9, 0x100, v9
	s_delay_alu instid0(VALU_DEP_3) | instskip(SKIP_3) | instid1(SALU_CYCLE_1)
	v_add_nc_u64_e32 v[0:1], v[2:3], v[0:1]
	flat_store_b8 v[0:1], v7
	s_wait_xcnt 0x0
	s_or_b32 exec_lo, exec_lo, s0
	s_mov_b32 s0, exec_lo
	v_cmpx_lt_i32_e64 v9, v6
	s_cbranch_execz .LBB255_372
.LBB255_409:
	v_dual_mov_b32 v1, 0 :: v_dual_add_nc_u32 v0, s2, v9
	v_add_nc_u32_e32 v9, 0x100, v9
	s_delay_alu instid0(VALU_DEP_2) | instskip(SKIP_3) | instid1(SALU_CYCLE_1)
	v_add_nc_u64_e32 v[0:1], v[2:3], v[0:1]
	flat_store_b8 v[0:1], v4
	s_wait_xcnt 0x0
	s_or_b32 exec_lo, exec_lo, s0
	s_mov_b32 s0, exec_lo
	v_cmpx_lt_i32_e64 v9, v6
	s_cbranch_execz .LBB255_373
.LBB255_410:
	v_dual_mov_b32 v1, 0 :: v_dual_add_nc_u32 v0, s2, v9
	v_lshrrev_b32_e32 v7, 8, v4
	v_add_nc_u32_e32 v9, 0x100, v9
	s_delay_alu instid0(VALU_DEP_3) | instskip(SKIP_3) | instid1(SALU_CYCLE_1)
	v_add_nc_u64_e32 v[0:1], v[2:3], v[0:1]
	flat_store_b8 v[0:1], v7
	s_wait_xcnt 0x0
	s_or_b32 exec_lo, exec_lo, s0
	s_mov_b32 s0, exec_lo
	v_cmpx_lt_i32_e64 v9, v6
	s_cbranch_execz .LBB255_374
.LBB255_411:
	v_dual_mov_b32 v1, 0 :: v_dual_add_nc_u32 v0, s2, v9
	v_add_nc_u32_e32 v9, 0x100, v9
	s_delay_alu instid0(VALU_DEP_2) | instskip(SKIP_3) | instid1(SALU_CYCLE_1)
	v_add_nc_u64_e32 v[0:1], v[2:3], v[0:1]
	flat_store_d16_hi_b8 v[0:1], v4
	s_wait_xcnt 0x0
	s_or_b32 exec_lo, exec_lo, s0
	s_mov_b32 s0, exec_lo
	v_cmpx_lt_i32_e64 v9, v6
	s_cbranch_execz .LBB255_375
.LBB255_412:
	v_dual_mov_b32 v1, 0 :: v_dual_add_nc_u32 v0, s2, v9
	v_lshrrev_b32_e32 v4, 24, v4
	v_add_nc_u32_e32 v9, 0x100, v9
	s_delay_alu instid0(VALU_DEP_3) | instskip(SKIP_3) | instid1(SALU_CYCLE_1)
	v_add_nc_u64_e32 v[0:1], v[2:3], v[0:1]
	flat_store_b8 v[0:1], v4
	s_wait_xcnt 0x0
	s_or_b32 exec_lo, exec_lo, s0
	s_mov_b32 s0, exec_lo
	v_cmpx_lt_i32_e64 v9, v6
	s_cbranch_execz .LBB255_376
.LBB255_413:
	v_dual_mov_b32 v1, 0 :: v_dual_add_nc_u32 v0, s2, v9
	v_add_nc_u32_e32 v9, 0x100, v9
	s_delay_alu instid0(VALU_DEP_2) | instskip(SKIP_3) | instid1(SALU_CYCLE_1)
	v_add_nc_u64_e32 v[0:1], v[2:3], v[0:1]
	flat_store_b8 v[0:1], v5
	s_wait_xcnt 0x0
	s_or_b32 exec_lo, exec_lo, s0
	s_mov_b32 s0, exec_lo
	v_cmpx_lt_i32_e64 v9, v6
	s_cbranch_execz .LBB255_377
.LBB255_414:
	v_dual_mov_b32 v1, 0 :: v_dual_add_nc_u32 v0, s2, v9
	v_lshrrev_b32_e32 v4, 8, v5
	v_add_nc_u32_e32 v9, 0x100, v9
	s_delay_alu instid0(VALU_DEP_3) | instskip(SKIP_3) | instid1(SALU_CYCLE_1)
	v_add_nc_u64_e32 v[0:1], v[2:3], v[0:1]
	flat_store_b8 v[0:1], v4
	s_wait_xcnt 0x0
	s_or_b32 exec_lo, exec_lo, s0
	s_mov_b32 s0, exec_lo
	v_cmpx_lt_i32_e64 v9, v6
	s_cbranch_execz .LBB255_378
.LBB255_415:
	v_dual_mov_b32 v1, 0 :: v_dual_add_nc_u32 v0, s2, v9
	v_add_nc_u32_e32 v9, 0x100, v9
	s_delay_alu instid0(VALU_DEP_2) | instskip(SKIP_3) | instid1(SALU_CYCLE_1)
	v_add_nc_u64_e32 v[0:1], v[2:3], v[0:1]
	flat_store_d16_hi_b8 v[0:1], v5
	s_wait_xcnt 0x0
	s_or_b32 exec_lo, exec_lo, s0
	s_mov_b32 s0, exec_lo
	v_cmpx_lt_i32_e64 v9, v6
	s_cbranch_execz .LBB255_379
.LBB255_416:
	v_dual_mov_b32 v1, 0 :: v_dual_add_nc_u32 v0, s2, v9
	s_delay_alu instid0(VALU_DEP_1)
	v_add_nc_u64_e32 v[0:1], v[2:3], v[0:1]
	v_lshrrev_b32_e32 v2, 24, v5
	flat_store_b8 v[0:1], v2
	s_wait_xcnt 0x0
	s_or_b32 exec_lo, exec_lo, s0
	s_wait_dscnt 0x0
	s_set_pc_i64 s[30:31]
.LBB255_417:
	s_mov_b32 s4, -1
	s_mov_b32 s7, exec_lo
	v_cmpx_eq_u16_e32 0x80, v5
; %bb.418:
	s_xor_b32 s4, exec_lo, -1
; %bb.419:
	s_or_b32 exec_lo, exec_lo, s7
	s_delay_alu instid0(SALU_CYCLE_1)
	s_and_b32 s4, s4, exec_lo
                                        ; implicit-def: $vgpr5
	s_or_saveexec_b32 s6, s6
	v_mov_b32_e32 v4, 0x7f800001
	s_xor_b32 exec_lo, exec_lo, s6
	s_cbranch_execz .LBB255_36
.LBB255_420:
	v_cmp_ne_u16_e64 s1, 0, v5
	v_mov_b32_e32 v4, 0
	s_and_not1_b32 s4, s4, exec_lo
	s_and_b32 s1, s1, exec_lo
	s_delay_alu instid0(SALU_CYCLE_1)
	s_or_b32 s4, s4, s1
	s_or_b32 exec_lo, exec_lo, s6
	s_and_saveexec_b32 s1, s4
	s_cbranch_execnz .LBB255_37
	s_branch .LBB255_38
.LBB255_421:
	s_mov_b32 s4, -1
	s_mov_b32 s7, exec_lo
	v_cmpx_eq_u16_e32 0x80, v7
; %bb.422:
	s_xor_b32 s4, exec_lo, -1
; %bb.423:
	s_or_b32 exec_lo, exec_lo, s7
	s_delay_alu instid0(SALU_CYCLE_1)
	s_and_b32 s4, s4, exec_lo
                                        ; implicit-def: $vgpr7
	s_or_saveexec_b32 s6, s6
	v_mov_b32_e32 v5, 0x7f800001
	s_xor_b32 exec_lo, exec_lo, s6
	s_cbranch_execz .LBB255_40
.LBB255_424:
	v_cmp_ne_u16_e64 s1, 0, v7
	v_mov_b32_e32 v5, 0
	s_and_not1_b32 s4, s4, exec_lo
	s_and_b32 s1, s1, exec_lo
	s_delay_alu instid0(SALU_CYCLE_1)
	s_or_b32 s4, s4, s1
	s_or_b32 exec_lo, exec_lo, s6
	s_and_saveexec_b32 s6, s4
	s_cbranch_execnz .LBB255_41
	s_branch .LBB255_42
.LBB255_425:
	s_mov_b32 s6, -1
	s_mov_b32 s8, exec_lo
	v_cmpx_eq_u16_e32 0x80, v5
; %bb.426:
	s_xor_b32 s6, exec_lo, -1
; %bb.427:
	s_or_b32 exec_lo, exec_lo, s8
	s_delay_alu instid0(SALU_CYCLE_1)
	s_and_b32 s6, s6, exec_lo
                                        ; implicit-def: $vgpr5
	s_or_saveexec_b32 s7, s7
	v_mov_b32_e32 v4, 0x7f800001
	s_xor_b32 exec_lo, exec_lo, s7
	s_cbranch_execz .LBB255_46
.LBB255_428:
	v_cmp_ne_u16_e64 s1, 0, v5
	v_mov_b32_e32 v4, 0
	s_and_not1_b32 s6, s6, exec_lo
	s_and_b32 s1, s1, exec_lo
	s_delay_alu instid0(SALU_CYCLE_1)
	s_or_b32 s6, s6, s1
	s_or_b32 exec_lo, exec_lo, s7
	s_and_saveexec_b32 s1, s6
	s_cbranch_execnz .LBB255_47
	s_branch .LBB255_48
.LBB255_429:
	s_mov_b32 s6, -1
	s_mov_b32 s8, exec_lo
	v_cmpx_eq_u16_e32 0x80, v7
; %bb.430:
	s_xor_b32 s6, exec_lo, -1
; %bb.431:
	s_or_b32 exec_lo, exec_lo, s8
	s_delay_alu instid0(SALU_CYCLE_1)
	s_and_b32 s6, s6, exec_lo
                                        ; implicit-def: $vgpr7
	s_or_saveexec_b32 s7, s7
	v_mov_b32_e32 v5, 0x7f800001
	s_xor_b32 exec_lo, exec_lo, s7
	s_cbranch_execz .LBB255_50
.LBB255_432:
	v_cmp_ne_u16_e64 s1, 0, v7
	v_mov_b32_e32 v5, 0
	s_and_not1_b32 s6, s6, exec_lo
	s_and_b32 s1, s1, exec_lo
	s_delay_alu instid0(SALU_CYCLE_1)
	s_or_b32 s6, s6, s1
	s_or_b32 exec_lo, exec_lo, s7
	s_and_saveexec_b32 s7, s6
	s_cbranch_execnz .LBB255_51
	s_branch .LBB255_52
.LBB255_433:
	s_mov_b32 s4, -1
	s_mov_b32 s7, exec_lo
	v_cmpx_eq_u16_e32 0x80, v18
; %bb.434:
	s_xor_b32 s4, exec_lo, -1
; %bb.435:
	s_or_b32 exec_lo, exec_lo, s7
	s_delay_alu instid0(SALU_CYCLE_1)
	s_and_b32 s4, s4, exec_lo
                                        ; implicit-def: $vgpr18
	s_or_saveexec_b32 s6, s6
	v_mov_b32_e32 v12, 0x7f800001
	s_xor_b32 exec_lo, exec_lo, s6
	s_cbranch_execz .LBB255_58
.LBB255_436:
	v_cmp_ne_u16_e64 s1, 0, v18
	v_mov_b32_e32 v12, 0
	s_and_not1_b32 s4, s4, exec_lo
	s_and_b32 s1, s1, exec_lo
	s_delay_alu instid0(SALU_CYCLE_1)
	s_or_b32 s4, s4, s1
	s_or_b32 exec_lo, exec_lo, s6
	s_and_saveexec_b32 s1, s4
	s_cbranch_execnz .LBB255_59
	s_branch .LBB255_60
.LBB255_437:
	s_mov_b32 s4, -1
	s_mov_b32 s7, exec_lo
	v_cmpx_eq_u16_e32 0x80, v19
; %bb.438:
	s_xor_b32 s4, exec_lo, -1
; %bb.439:
	s_or_b32 exec_lo, exec_lo, s7
	s_delay_alu instid0(SALU_CYCLE_1)
	s_and_b32 s4, s4, exec_lo
                                        ; implicit-def: $vgpr19
	s_or_saveexec_b32 s6, s6
	v_mov_b32_e32 v18, 0x7f800001
	s_xor_b32 exec_lo, exec_lo, s6
	s_cbranch_execz .LBB255_62
.LBB255_440:
	v_cmp_ne_u16_e64 s1, 0, v19
	v_mov_b32_e32 v18, 0
	s_and_not1_b32 s4, s4, exec_lo
	s_and_b32 s1, s1, exec_lo
	s_delay_alu instid0(SALU_CYCLE_1)
	s_or_b32 s4, s4, s1
	s_or_b32 exec_lo, exec_lo, s6
	s_and_saveexec_b32 s6, s4
	s_cbranch_execnz .LBB255_63
	s_branch .LBB255_64
.LBB255_441:
	s_mov_b32 s6, -1
	s_mov_b32 s8, exec_lo
	v_cmpx_eq_u16_e32 0x80, v18
; %bb.442:
	s_xor_b32 s6, exec_lo, -1
; %bb.443:
	s_or_b32 exec_lo, exec_lo, s8
	s_delay_alu instid0(SALU_CYCLE_1)
	s_and_b32 s6, s6, exec_lo
                                        ; implicit-def: $vgpr18
	s_or_saveexec_b32 s7, s7
	v_mov_b32_e32 v12, 0x7f800001
	s_xor_b32 exec_lo, exec_lo, s7
	s_cbranch_execz .LBB255_68
.LBB255_444:
	v_cmp_ne_u16_e64 s1, 0, v18
	v_mov_b32_e32 v12, 0
	s_and_not1_b32 s6, s6, exec_lo
	s_and_b32 s1, s1, exec_lo
	s_delay_alu instid0(SALU_CYCLE_1)
	s_or_b32 s6, s6, s1
	s_or_b32 exec_lo, exec_lo, s7
	s_and_saveexec_b32 s1, s6
	s_cbranch_execnz .LBB255_69
	s_branch .LBB255_70
.LBB255_445:
	s_mov_b32 s6, -1
	s_mov_b32 s8, exec_lo
	v_cmpx_eq_u16_e32 0x80, v19
; %bb.446:
	s_xor_b32 s6, exec_lo, -1
; %bb.447:
	s_or_b32 exec_lo, exec_lo, s8
	s_delay_alu instid0(SALU_CYCLE_1)
	s_and_b32 s6, s6, exec_lo
                                        ; implicit-def: $vgpr19
	s_or_saveexec_b32 s7, s7
	v_mov_b32_e32 v18, 0x7f800001
	s_xor_b32 exec_lo, exec_lo, s7
	s_cbranch_execz .LBB255_72
.LBB255_448:
	v_cmp_ne_u16_e64 s1, 0, v19
	v_mov_b32_e32 v18, 0
	s_and_not1_b32 s6, s6, exec_lo
	s_and_b32 s1, s1, exec_lo
	s_delay_alu instid0(SALU_CYCLE_1)
	s_or_b32 s6, s6, s1
	s_or_b32 exec_lo, exec_lo, s7
	s_and_saveexec_b32 s7, s6
	s_cbranch_execnz .LBB255_73
	s_branch .LBB255_74
.LBB255_449:
	s_mov_b32 s4, -1
	s_mov_b32 s7, exec_lo
	v_cmpx_eq_u16_e32 0x80, v12
; %bb.450:
	s_xor_b32 s4, exec_lo, -1
; %bb.451:
	s_or_b32 exec_lo, exec_lo, s7
	s_delay_alu instid0(SALU_CYCLE_1)
	s_and_b32 s4, s4, exec_lo
                                        ; implicit-def: $vgpr12
	s_or_saveexec_b32 s6, s6
	v_mov_b32_e32 v11, 0x7f800001
	s_xor_b32 exec_lo, exec_lo, s6
	s_cbranch_execz .LBB255_80
.LBB255_452:
	v_cmp_ne_u16_e64 s1, 0, v12
	v_mov_b32_e32 v11, 0
	s_and_not1_b32 s4, s4, exec_lo
	s_and_b32 s1, s1, exec_lo
	s_delay_alu instid0(SALU_CYCLE_1)
	s_or_b32 s4, s4, s1
	s_or_b32 exec_lo, exec_lo, s6
	s_and_saveexec_b32 s1, s4
	s_cbranch_execnz .LBB255_81
	s_branch .LBB255_82
.LBB255_453:
	s_mov_b32 s4, -1
	s_mov_b32 s7, exec_lo
	v_cmpx_eq_u16_e32 0x80, v18
; %bb.454:
	s_xor_b32 s4, exec_lo, -1
; %bb.455:
	s_or_b32 exec_lo, exec_lo, s7
	s_delay_alu instid0(SALU_CYCLE_1)
	s_and_b32 s4, s4, exec_lo
                                        ; implicit-def: $vgpr18
	s_or_saveexec_b32 s6, s6
	v_mov_b32_e32 v12, 0x7f800001
	s_xor_b32 exec_lo, exec_lo, s6
	s_cbranch_execz .LBB255_84
.LBB255_456:
	v_cmp_ne_u16_e64 s1, 0, v18
	v_mov_b32_e32 v12, 0
	s_and_not1_b32 s4, s4, exec_lo
	s_and_b32 s1, s1, exec_lo
	s_delay_alu instid0(SALU_CYCLE_1)
	s_or_b32 s4, s4, s1
	s_or_b32 exec_lo, exec_lo, s6
	s_and_saveexec_b32 s6, s4
	s_cbranch_execnz .LBB255_85
	s_branch .LBB255_86
.LBB255_457:
	s_mov_b32 s6, -1
	s_mov_b32 s8, exec_lo
	v_cmpx_eq_u16_e32 0x80, v12
; %bb.458:
	s_xor_b32 s6, exec_lo, -1
; %bb.459:
	s_or_b32 exec_lo, exec_lo, s8
	s_delay_alu instid0(SALU_CYCLE_1)
	s_and_b32 s6, s6, exec_lo
                                        ; implicit-def: $vgpr12
	s_or_saveexec_b32 s7, s7
	v_mov_b32_e32 v11, 0x7f800001
	s_xor_b32 exec_lo, exec_lo, s7
	s_cbranch_execz .LBB255_90
.LBB255_460:
	v_cmp_ne_u16_e64 s1, 0, v12
	v_mov_b32_e32 v11, 0
	s_and_not1_b32 s6, s6, exec_lo
	s_and_b32 s1, s1, exec_lo
	s_delay_alu instid0(SALU_CYCLE_1)
	s_or_b32 s6, s6, s1
	s_or_b32 exec_lo, exec_lo, s7
	s_and_saveexec_b32 s1, s6
	s_cbranch_execnz .LBB255_91
	s_branch .LBB255_92
.LBB255_461:
	s_mov_b32 s6, -1
	s_mov_b32 s8, exec_lo
	v_cmpx_eq_u16_e32 0x80, v18
; %bb.462:
	s_xor_b32 s6, exec_lo, -1
; %bb.463:
	s_or_b32 exec_lo, exec_lo, s8
	s_delay_alu instid0(SALU_CYCLE_1)
	s_and_b32 s6, s6, exec_lo
                                        ; implicit-def: $vgpr18
	s_or_saveexec_b32 s7, s7
	v_mov_b32_e32 v12, 0x7f800001
	s_xor_b32 exec_lo, exec_lo, s7
	s_cbranch_execz .LBB255_94
.LBB255_464:
	v_cmp_ne_u16_e64 s1, 0, v18
	v_mov_b32_e32 v12, 0
	s_and_not1_b32 s6, s6, exec_lo
	s_and_b32 s1, s1, exec_lo
	s_delay_alu instid0(SALU_CYCLE_1)
	s_or_b32 s6, s6, s1
	s_or_b32 exec_lo, exec_lo, s7
	s_and_saveexec_b32 s7, s6
	s_cbranch_execnz .LBB255_95
	s_branch .LBB255_96
.LBB255_465:
	s_mov_b32 s4, -1
	s_mov_b32 s7, exec_lo
	v_cmpx_eq_u16_e32 0x80, v12
; %bb.466:
	s_xor_b32 s4, exec_lo, -1
; %bb.467:
	s_or_b32 exec_lo, exec_lo, s7
	s_delay_alu instid0(SALU_CYCLE_1)
	s_and_b32 s4, s4, exec_lo
                                        ; implicit-def: $vgpr12
	s_or_saveexec_b32 s6, s6
	v_mov_b32_e32 v11, 0x7f800001
	s_xor_b32 exec_lo, exec_lo, s6
	s_cbranch_execz .LBB255_102
.LBB255_468:
	v_cmp_ne_u16_e64 s1, 0, v12
	v_mov_b32_e32 v11, 0
	s_and_not1_b32 s4, s4, exec_lo
	s_and_b32 s1, s1, exec_lo
	s_delay_alu instid0(SALU_CYCLE_1)
	s_or_b32 s4, s4, s1
	s_or_b32 exec_lo, exec_lo, s6
	s_and_saveexec_b32 s1, s4
	s_cbranch_execnz .LBB255_103
	s_branch .LBB255_104
.LBB255_469:
	s_mov_b32 s4, -1
	s_mov_b32 s7, exec_lo
	v_cmpx_eq_u16_e32 0x80, v17
; %bb.470:
	s_xor_b32 s4, exec_lo, -1
; %bb.471:
	s_or_b32 exec_lo, exec_lo, s7
	s_delay_alu instid0(SALU_CYCLE_1)
	s_and_b32 s4, s4, exec_lo
                                        ; implicit-def: $vgpr17
	s_or_saveexec_b32 s6, s6
	v_mov_b32_e32 v12, 0x7f800001
	s_xor_b32 exec_lo, exec_lo, s6
	s_cbranch_execz .LBB255_106
.LBB255_472:
	v_cmp_ne_u16_e64 s1, 0, v17
	v_mov_b32_e32 v12, 0
	s_and_not1_b32 s4, s4, exec_lo
	s_and_b32 s1, s1, exec_lo
	s_delay_alu instid0(SALU_CYCLE_1)
	s_or_b32 s4, s4, s1
	s_or_b32 exec_lo, exec_lo, s6
	s_and_saveexec_b32 s6, s4
	s_cbranch_execnz .LBB255_107
	s_branch .LBB255_108
.LBB255_473:
	s_mov_b32 s6, -1
	s_mov_b32 s8, exec_lo
	v_cmpx_eq_u16_e32 0x80, v12
; %bb.474:
	s_xor_b32 s6, exec_lo, -1
; %bb.475:
	s_or_b32 exec_lo, exec_lo, s8
	s_delay_alu instid0(SALU_CYCLE_1)
	s_and_b32 s6, s6, exec_lo
                                        ; implicit-def: $vgpr12
	s_or_saveexec_b32 s7, s7
	v_mov_b32_e32 v11, 0x7f800001
	s_xor_b32 exec_lo, exec_lo, s7
	s_cbranch_execz .LBB255_112
.LBB255_476:
	v_cmp_ne_u16_e64 s1, 0, v12
	v_mov_b32_e32 v11, 0
	s_and_not1_b32 s6, s6, exec_lo
	s_and_b32 s1, s1, exec_lo
	s_delay_alu instid0(SALU_CYCLE_1)
	s_or_b32 s6, s6, s1
	s_or_b32 exec_lo, exec_lo, s7
	s_and_saveexec_b32 s1, s6
	s_cbranch_execnz .LBB255_113
	s_branch .LBB255_114
.LBB255_477:
	s_mov_b32 s6, -1
	s_mov_b32 s8, exec_lo
	v_cmpx_eq_u16_e32 0x80, v17
; %bb.478:
	s_xor_b32 s6, exec_lo, -1
; %bb.479:
	s_or_b32 exec_lo, exec_lo, s8
	s_delay_alu instid0(SALU_CYCLE_1)
	s_and_b32 s6, s6, exec_lo
                                        ; implicit-def: $vgpr17
	s_or_saveexec_b32 s7, s7
	v_mov_b32_e32 v12, 0x7f800001
	s_xor_b32 exec_lo, exec_lo, s7
	s_cbranch_execz .LBB255_116
.LBB255_480:
	v_cmp_ne_u16_e64 s1, 0, v17
	v_mov_b32_e32 v12, 0
	s_and_not1_b32 s6, s6, exec_lo
	s_and_b32 s1, s1, exec_lo
	s_delay_alu instid0(SALU_CYCLE_1)
	s_or_b32 s6, s6, s1
	s_or_b32 exec_lo, exec_lo, s7
	s_and_saveexec_b32 s7, s6
	s_cbranch_execnz .LBB255_117
	s_branch .LBB255_118
.LBB255_481:
	s_mov_b32 s4, -1
	s_mov_b32 s7, exec_lo
	v_cmpx_eq_u16_e32 0x80, v12
; %bb.482:
	s_xor_b32 s4, exec_lo, -1
; %bb.483:
	s_or_b32 exec_lo, exec_lo, s7
	s_delay_alu instid0(SALU_CYCLE_1)
	s_and_b32 s4, s4, exec_lo
                                        ; implicit-def: $vgpr12
	s_or_saveexec_b32 s6, s6
	v_mov_b32_e32 v11, 0x7f800001
	s_xor_b32 exec_lo, exec_lo, s6
	s_cbranch_execz .LBB255_124
.LBB255_484:
	v_cmp_ne_u16_e64 s1, 0, v12
	v_mov_b32_e32 v11, 0
	s_and_not1_b32 s4, s4, exec_lo
	s_and_b32 s1, s1, exec_lo
	s_delay_alu instid0(SALU_CYCLE_1)
	s_or_b32 s4, s4, s1
	s_or_b32 exec_lo, exec_lo, s6
	s_and_saveexec_b32 s1, s4
	s_cbranch_execnz .LBB255_125
	s_branch .LBB255_126
.LBB255_485:
	s_mov_b32 s4, -1
	s_mov_b32 s7, exec_lo
	v_cmpx_eq_u16_e32 0x80, v17
; %bb.486:
	s_xor_b32 s4, exec_lo, -1
; %bb.487:
	s_or_b32 exec_lo, exec_lo, s7
	s_delay_alu instid0(SALU_CYCLE_1)
	s_and_b32 s4, s4, exec_lo
                                        ; implicit-def: $vgpr17
	s_or_saveexec_b32 s6, s6
	v_mov_b32_e32 v12, 0x7f800001
	s_xor_b32 exec_lo, exec_lo, s6
	s_cbranch_execz .LBB255_128
.LBB255_488:
	v_cmp_ne_u16_e64 s1, 0, v17
	v_mov_b32_e32 v12, 0
	s_and_not1_b32 s4, s4, exec_lo
	s_and_b32 s1, s1, exec_lo
	s_delay_alu instid0(SALU_CYCLE_1)
	s_or_b32 s4, s4, s1
	s_or_b32 exec_lo, exec_lo, s6
	s_and_saveexec_b32 s6, s4
	s_cbranch_execnz .LBB255_129
	s_branch .LBB255_130
.LBB255_489:
	s_mov_b32 s6, -1
	s_mov_b32 s8, exec_lo
	v_cmpx_eq_u16_e32 0x80, v12
; %bb.490:
	s_xor_b32 s6, exec_lo, -1
; %bb.491:
	s_or_b32 exec_lo, exec_lo, s8
	s_delay_alu instid0(SALU_CYCLE_1)
	s_and_b32 s6, s6, exec_lo
                                        ; implicit-def: $vgpr12
	s_or_saveexec_b32 s7, s7
	v_mov_b32_e32 v11, 0x7f800001
	s_xor_b32 exec_lo, exec_lo, s7
	s_cbranch_execz .LBB255_134
.LBB255_492:
	v_cmp_ne_u16_e64 s1, 0, v12
	v_mov_b32_e32 v11, 0
	s_and_not1_b32 s6, s6, exec_lo
	s_and_b32 s1, s1, exec_lo
	s_delay_alu instid0(SALU_CYCLE_1)
	s_or_b32 s6, s6, s1
	s_or_b32 exec_lo, exec_lo, s7
	s_and_saveexec_b32 s1, s6
	s_cbranch_execnz .LBB255_135
	s_branch .LBB255_136
.LBB255_493:
	s_mov_b32 s6, -1
	s_mov_b32 s8, exec_lo
	v_cmpx_eq_u16_e32 0x80, v17
; %bb.494:
	s_xor_b32 s6, exec_lo, -1
; %bb.495:
	s_or_b32 exec_lo, exec_lo, s8
	s_delay_alu instid0(SALU_CYCLE_1)
	s_and_b32 s6, s6, exec_lo
                                        ; implicit-def: $vgpr17
	s_or_saveexec_b32 s7, s7
	v_mov_b32_e32 v12, 0x7f800001
	s_xor_b32 exec_lo, exec_lo, s7
	s_cbranch_execz .LBB255_138
.LBB255_496:
	v_cmp_ne_u16_e64 s1, 0, v17
	v_mov_b32_e32 v12, 0
	s_and_not1_b32 s6, s6, exec_lo
	s_and_b32 s1, s1, exec_lo
	s_delay_alu instid0(SALU_CYCLE_1)
	s_or_b32 s6, s6, s1
	s_or_b32 exec_lo, exec_lo, s7
	s_and_saveexec_b32 s7, s6
	s_cbranch_execnz .LBB255_139
	s_branch .LBB255_140
.LBB255_497:
	s_mov_b32 s4, -1
	s_mov_b32 s7, exec_lo
	v_cmpx_eq_u16_e32 0x80, v12
; %bb.498:
	s_xor_b32 s4, exec_lo, -1
; %bb.499:
	s_or_b32 exec_lo, exec_lo, s7
	s_delay_alu instid0(SALU_CYCLE_1)
	s_and_b32 s4, s4, exec_lo
                                        ; implicit-def: $vgpr12
	s_or_saveexec_b32 s6, s6
	v_mov_b32_e32 v11, 0x7f800001
	s_xor_b32 exec_lo, exec_lo, s6
	s_cbranch_execz .LBB255_146
.LBB255_500:
	v_cmp_ne_u16_e64 s1, 0, v12
	v_mov_b32_e32 v11, 0
	s_and_not1_b32 s4, s4, exec_lo
	s_and_b32 s1, s1, exec_lo
	s_delay_alu instid0(SALU_CYCLE_1)
	s_or_b32 s4, s4, s1
	s_or_b32 exec_lo, exec_lo, s6
	s_and_saveexec_b32 s1, s4
	s_cbranch_execnz .LBB255_147
	s_branch .LBB255_148
.LBB255_501:
	s_mov_b32 s4, -1
	s_mov_b32 s7, exec_lo
	v_cmpx_eq_u16_e32 0x80, v17
; %bb.502:
	s_xor_b32 s4, exec_lo, -1
; %bb.503:
	s_or_b32 exec_lo, exec_lo, s7
	s_delay_alu instid0(SALU_CYCLE_1)
	s_and_b32 s4, s4, exec_lo
                                        ; implicit-def: $vgpr17
	s_or_saveexec_b32 s6, s6
	v_mov_b32_e32 v12, 0x7f800001
	s_xor_b32 exec_lo, exec_lo, s6
	s_cbranch_execz .LBB255_150
.LBB255_504:
	v_cmp_ne_u16_e64 s1, 0, v17
	v_mov_b32_e32 v12, 0
	s_and_not1_b32 s4, s4, exec_lo
	s_and_b32 s1, s1, exec_lo
	s_delay_alu instid0(SALU_CYCLE_1)
	s_or_b32 s4, s4, s1
	s_or_b32 exec_lo, exec_lo, s6
	s_and_saveexec_b32 s6, s4
	s_cbranch_execnz .LBB255_151
	s_branch .LBB255_152
.LBB255_505:
	s_mov_b32 s6, -1
	s_mov_b32 s8, exec_lo
	v_cmpx_eq_u16_e32 0x80, v12
; %bb.506:
	s_xor_b32 s6, exec_lo, -1
; %bb.507:
	s_or_b32 exec_lo, exec_lo, s8
	s_delay_alu instid0(SALU_CYCLE_1)
	s_and_b32 s6, s6, exec_lo
                                        ; implicit-def: $vgpr12
	s_or_saveexec_b32 s7, s7
	v_mov_b32_e32 v11, 0x7f800001
	s_xor_b32 exec_lo, exec_lo, s7
	s_cbranch_execz .LBB255_156
.LBB255_508:
	v_cmp_ne_u16_e64 s1, 0, v12
	v_mov_b32_e32 v11, 0
	s_and_not1_b32 s6, s6, exec_lo
	s_and_b32 s1, s1, exec_lo
	s_delay_alu instid0(SALU_CYCLE_1)
	s_or_b32 s6, s6, s1
	s_or_b32 exec_lo, exec_lo, s7
	s_and_saveexec_b32 s1, s6
	s_cbranch_execnz .LBB255_157
	s_branch .LBB255_158
.LBB255_509:
	s_mov_b32 s6, -1
	s_mov_b32 s8, exec_lo
	v_cmpx_eq_u16_e32 0x80, v17
; %bb.510:
	s_xor_b32 s6, exec_lo, -1
; %bb.511:
	s_or_b32 exec_lo, exec_lo, s8
	s_delay_alu instid0(SALU_CYCLE_1)
	s_and_b32 s6, s6, exec_lo
                                        ; implicit-def: $vgpr17
	s_or_saveexec_b32 s7, s7
	v_mov_b32_e32 v12, 0x7f800001
	s_xor_b32 exec_lo, exec_lo, s7
	s_cbranch_execz .LBB255_160
.LBB255_512:
	v_cmp_ne_u16_e64 s1, 0, v17
	v_mov_b32_e32 v12, 0
	s_and_not1_b32 s6, s6, exec_lo
	s_and_b32 s1, s1, exec_lo
	s_delay_alu instid0(SALU_CYCLE_1)
	s_or_b32 s6, s6, s1
	s_or_b32 exec_lo, exec_lo, s7
	s_and_saveexec_b32 s7, s6
	s_cbranch_execnz .LBB255_161
	s_branch .LBB255_162
.LBB255_513:
	s_mov_b32 s4, -1
	s_mov_b32 s7, exec_lo
	v_cmpx_eq_u16_e32 0x80, v12
; %bb.514:
	s_xor_b32 s4, exec_lo, -1
; %bb.515:
	s_or_b32 exec_lo, exec_lo, s7
	s_delay_alu instid0(SALU_CYCLE_1)
	s_and_b32 s4, s4, exec_lo
                                        ; implicit-def: $vgpr12
	s_or_saveexec_b32 s6, s6
	v_mov_b32_e32 v11, 0x7f800001
	s_xor_b32 exec_lo, exec_lo, s6
	s_cbranch_execz .LBB255_168
.LBB255_516:
	v_cmp_ne_u16_e64 s1, 0, v12
	v_mov_b32_e32 v11, 0
	s_and_not1_b32 s4, s4, exec_lo
	s_and_b32 s1, s1, exec_lo
	s_delay_alu instid0(SALU_CYCLE_1)
	s_or_b32 s4, s4, s1
	s_or_b32 exec_lo, exec_lo, s6
	s_and_saveexec_b32 s1, s4
	s_cbranch_execnz .LBB255_169
	s_branch .LBB255_170
.LBB255_517:
	s_mov_b32 s4, -1
	s_mov_b32 s7, exec_lo
	v_cmpx_eq_u16_e32 0x80, v17
; %bb.518:
	s_xor_b32 s4, exec_lo, -1
; %bb.519:
	s_or_b32 exec_lo, exec_lo, s7
	s_delay_alu instid0(SALU_CYCLE_1)
	s_and_b32 s4, s4, exec_lo
                                        ; implicit-def: $vgpr17
	s_or_saveexec_b32 s6, s6
	v_mov_b32_e32 v12, 0x7f800001
	s_xor_b32 exec_lo, exec_lo, s6
	s_cbranch_execz .LBB255_172
.LBB255_520:
	v_cmp_ne_u16_e64 s1, 0, v17
	v_mov_b32_e32 v12, 0
	s_and_not1_b32 s4, s4, exec_lo
	s_and_b32 s1, s1, exec_lo
	s_delay_alu instid0(SALU_CYCLE_1)
	s_or_b32 s4, s4, s1
	s_or_b32 exec_lo, exec_lo, s6
	s_and_saveexec_b32 s6, s4
	s_cbranch_execnz .LBB255_173
	s_branch .LBB255_174
.LBB255_521:
	s_mov_b32 s6, -1
	s_mov_b32 s8, exec_lo
	v_cmpx_eq_u16_e32 0x80, v12
; %bb.522:
	s_xor_b32 s6, exec_lo, -1
; %bb.523:
	s_or_b32 exec_lo, exec_lo, s8
	s_delay_alu instid0(SALU_CYCLE_1)
	s_and_b32 s6, s6, exec_lo
                                        ; implicit-def: $vgpr12
	s_or_saveexec_b32 s7, s7
	v_mov_b32_e32 v11, 0x7f800001
	s_xor_b32 exec_lo, exec_lo, s7
	s_cbranch_execz .LBB255_178
.LBB255_524:
	v_cmp_ne_u16_e64 s1, 0, v12
	v_mov_b32_e32 v11, 0
	s_and_not1_b32 s6, s6, exec_lo
	s_and_b32 s1, s1, exec_lo
	s_delay_alu instid0(SALU_CYCLE_1)
	s_or_b32 s6, s6, s1
	s_or_b32 exec_lo, exec_lo, s7
	s_and_saveexec_b32 s1, s6
	s_cbranch_execnz .LBB255_179
	s_branch .LBB255_180
.LBB255_525:
	s_mov_b32 s6, -1
	s_mov_b32 s8, exec_lo
	v_cmpx_eq_u16_e32 0x80, v17
; %bb.526:
	s_xor_b32 s6, exec_lo, -1
; %bb.527:
	s_or_b32 exec_lo, exec_lo, s8
	s_delay_alu instid0(SALU_CYCLE_1)
	s_and_b32 s6, s6, exec_lo
                                        ; implicit-def: $vgpr17
	s_or_saveexec_b32 s7, s7
	v_mov_b32_e32 v12, 0x7f800001
	s_xor_b32 exec_lo, exec_lo, s7
	s_cbranch_execz .LBB255_182
.LBB255_528:
	v_cmp_ne_u16_e64 s1, 0, v17
	v_mov_b32_e32 v12, 0
	s_and_not1_b32 s6, s6, exec_lo
	s_and_b32 s1, s1, exec_lo
	s_delay_alu instid0(SALU_CYCLE_1)
	s_or_b32 s6, s6, s1
	s_or_b32 exec_lo, exec_lo, s7
	s_and_saveexec_b32 s7, s6
	s_cbranch_execnz .LBB255_183
	s_branch .LBB255_184
.LBB255_529:
	s_mov_b32 s4, -1
	s_mov_b32 s7, exec_lo
	v_cmpx_eq_u16_e32 0x80, v12
; %bb.530:
	s_xor_b32 s4, exec_lo, -1
; %bb.531:
	s_or_b32 exec_lo, exec_lo, s7
	s_delay_alu instid0(SALU_CYCLE_1)
	s_and_b32 s4, s4, exec_lo
                                        ; implicit-def: $vgpr12
	s_or_saveexec_b32 s6, s6
	v_mov_b32_e32 v11, 0x7f800001
	s_xor_b32 exec_lo, exec_lo, s6
	s_cbranch_execz .LBB255_190
.LBB255_532:
	v_cmp_ne_u16_e64 s1, 0, v12
	v_mov_b32_e32 v11, 0
	s_and_not1_b32 s4, s4, exec_lo
	s_and_b32 s1, s1, exec_lo
	s_delay_alu instid0(SALU_CYCLE_1)
	s_or_b32 s4, s4, s1
	s_or_b32 exec_lo, exec_lo, s6
	s_and_saveexec_b32 s1, s4
	s_cbranch_execnz .LBB255_191
	s_branch .LBB255_192
.LBB255_533:
	s_mov_b32 s4, -1
	s_mov_b32 s7, exec_lo
	v_cmpx_eq_u16_e32 0x80, v17
; %bb.534:
	s_xor_b32 s4, exec_lo, -1
; %bb.535:
	s_or_b32 exec_lo, exec_lo, s7
	s_delay_alu instid0(SALU_CYCLE_1)
	s_and_b32 s4, s4, exec_lo
                                        ; implicit-def: $vgpr17
	s_or_saveexec_b32 s6, s6
	v_mov_b32_e32 v12, 0x7f800001
	s_xor_b32 exec_lo, exec_lo, s6
	s_cbranch_execz .LBB255_194
.LBB255_536:
	v_cmp_ne_u16_e64 s1, 0, v17
	v_mov_b32_e32 v12, 0
	s_and_not1_b32 s4, s4, exec_lo
	s_and_b32 s1, s1, exec_lo
	s_delay_alu instid0(SALU_CYCLE_1)
	s_or_b32 s4, s4, s1
	s_or_b32 exec_lo, exec_lo, s6
	s_and_saveexec_b32 s6, s4
	s_cbranch_execnz .LBB255_195
	s_branch .LBB255_196
.LBB255_537:
	s_mov_b32 s6, -1
	s_mov_b32 s8, exec_lo
	v_cmpx_eq_u16_e32 0x80, v12
; %bb.538:
	s_xor_b32 s6, exec_lo, -1
; %bb.539:
	s_or_b32 exec_lo, exec_lo, s8
	s_delay_alu instid0(SALU_CYCLE_1)
	s_and_b32 s6, s6, exec_lo
                                        ; implicit-def: $vgpr12
	s_or_saveexec_b32 s7, s7
	v_mov_b32_e32 v11, 0x7f800001
	s_xor_b32 exec_lo, exec_lo, s7
	s_cbranch_execz .LBB255_200
.LBB255_540:
	v_cmp_ne_u16_e64 s1, 0, v12
	v_mov_b32_e32 v11, 0
	s_and_not1_b32 s6, s6, exec_lo
	s_and_b32 s1, s1, exec_lo
	s_delay_alu instid0(SALU_CYCLE_1)
	s_or_b32 s6, s6, s1
	s_or_b32 exec_lo, exec_lo, s7
	s_and_saveexec_b32 s1, s6
	s_cbranch_execnz .LBB255_201
	s_branch .LBB255_202
.LBB255_541:
	s_mov_b32 s6, -1
	s_mov_b32 s8, exec_lo
	v_cmpx_eq_u16_e32 0x80, v17
; %bb.542:
	s_xor_b32 s6, exec_lo, -1
; %bb.543:
	s_or_b32 exec_lo, exec_lo, s8
	s_delay_alu instid0(SALU_CYCLE_1)
	s_and_b32 s6, s6, exec_lo
                                        ; implicit-def: $vgpr17
	s_or_saveexec_b32 s7, s7
	v_mov_b32_e32 v12, 0x7f800001
	s_xor_b32 exec_lo, exec_lo, s7
	s_cbranch_execz .LBB255_204
.LBB255_544:
	v_cmp_ne_u16_e64 s1, 0, v17
	v_mov_b32_e32 v12, 0
	s_and_not1_b32 s6, s6, exec_lo
	s_and_b32 s1, s1, exec_lo
	s_delay_alu instid0(SALU_CYCLE_1)
	s_or_b32 s6, s6, s1
	s_or_b32 exec_lo, exec_lo, s7
	s_and_saveexec_b32 s7, s6
	s_cbranch_execnz .LBB255_205
	s_branch .LBB255_206
.LBB255_545:
	s_mov_b32 s4, -1
	s_mov_b32 s7, exec_lo
	v_cmpx_eq_u16_e32 0x80, v12
; %bb.546:
	s_xor_b32 s4, exec_lo, -1
; %bb.547:
	s_or_b32 exec_lo, exec_lo, s7
	s_delay_alu instid0(SALU_CYCLE_1)
	s_and_b32 s4, s4, exec_lo
                                        ; implicit-def: $vgpr12
	s_or_saveexec_b32 s6, s6
	v_mov_b32_e32 v11, 0x7f800001
	s_xor_b32 exec_lo, exec_lo, s6
	s_cbranch_execz .LBB255_212
.LBB255_548:
	v_cmp_ne_u16_e64 s1, 0, v12
	v_mov_b32_e32 v11, 0
	s_and_not1_b32 s4, s4, exec_lo
	s_and_b32 s1, s1, exec_lo
	s_delay_alu instid0(SALU_CYCLE_1)
	s_or_b32 s4, s4, s1
	s_or_b32 exec_lo, exec_lo, s6
	s_and_saveexec_b32 s1, s4
	s_cbranch_execnz .LBB255_213
	s_branch .LBB255_214
.LBB255_549:
	s_mov_b32 s4, -1
	s_mov_b32 s7, exec_lo
	v_cmpx_eq_u16_e32 0x80, v17
; %bb.550:
	s_xor_b32 s4, exec_lo, -1
; %bb.551:
	s_or_b32 exec_lo, exec_lo, s7
	s_delay_alu instid0(SALU_CYCLE_1)
	s_and_b32 s4, s4, exec_lo
                                        ; implicit-def: $vgpr17
	s_or_saveexec_b32 s6, s6
	v_mov_b32_e32 v12, 0x7f800001
	s_xor_b32 exec_lo, exec_lo, s6
	s_cbranch_execz .LBB255_216
.LBB255_552:
	v_cmp_ne_u16_e64 s1, 0, v17
	v_mov_b32_e32 v12, 0
	s_and_not1_b32 s4, s4, exec_lo
	s_and_b32 s1, s1, exec_lo
	s_delay_alu instid0(SALU_CYCLE_1)
	s_or_b32 s4, s4, s1
	s_or_b32 exec_lo, exec_lo, s6
	s_and_saveexec_b32 s6, s4
	s_cbranch_execnz .LBB255_217
	s_branch .LBB255_218
.LBB255_553:
	s_mov_b32 s6, -1
	s_mov_b32 s8, exec_lo
	v_cmpx_eq_u16_e32 0x80, v12
; %bb.554:
	s_xor_b32 s6, exec_lo, -1
; %bb.555:
	s_or_b32 exec_lo, exec_lo, s8
	s_delay_alu instid0(SALU_CYCLE_1)
	s_and_b32 s6, s6, exec_lo
                                        ; implicit-def: $vgpr12
	s_or_saveexec_b32 s7, s7
	v_mov_b32_e32 v11, 0x7f800001
	s_xor_b32 exec_lo, exec_lo, s7
	s_cbranch_execz .LBB255_222
.LBB255_556:
	v_cmp_ne_u16_e64 s1, 0, v12
	v_mov_b32_e32 v11, 0
	s_and_not1_b32 s6, s6, exec_lo
	s_and_b32 s1, s1, exec_lo
	s_delay_alu instid0(SALU_CYCLE_1)
	s_or_b32 s6, s6, s1
	s_or_b32 exec_lo, exec_lo, s7
	s_and_saveexec_b32 s1, s6
	s_cbranch_execnz .LBB255_223
	s_branch .LBB255_224
.LBB255_557:
	s_mov_b32 s6, -1
	s_mov_b32 s8, exec_lo
	v_cmpx_eq_u16_e32 0x80, v17
; %bb.558:
	s_xor_b32 s6, exec_lo, -1
; %bb.559:
	s_or_b32 exec_lo, exec_lo, s8
	s_delay_alu instid0(SALU_CYCLE_1)
	s_and_b32 s6, s6, exec_lo
                                        ; implicit-def: $vgpr17
	s_or_saveexec_b32 s7, s7
	v_mov_b32_e32 v12, 0x7f800001
	s_xor_b32 exec_lo, exec_lo, s7
	s_cbranch_execz .LBB255_226
.LBB255_560:
	v_cmp_ne_u16_e64 s1, 0, v17
	v_mov_b32_e32 v12, 0
	s_and_not1_b32 s6, s6, exec_lo
	s_and_b32 s1, s1, exec_lo
	s_delay_alu instid0(SALU_CYCLE_1)
	s_or_b32 s6, s6, s1
	s_or_b32 exec_lo, exec_lo, s7
	s_and_saveexec_b32 s7, s6
	s_cbranch_execnz .LBB255_227
	s_branch .LBB255_228
.LBB255_561:
	s_mov_b32 s4, -1
	s_mov_b32 s7, exec_lo
	v_cmpx_eq_u16_e32 0x80, v12
; %bb.562:
	s_xor_b32 s4, exec_lo, -1
; %bb.563:
	s_or_b32 exec_lo, exec_lo, s7
	s_delay_alu instid0(SALU_CYCLE_1)
	s_and_b32 s4, s4, exec_lo
                                        ; implicit-def: $vgpr12
	s_or_saveexec_b32 s6, s6
	v_mov_b32_e32 v11, 0x7f800001
	s_xor_b32 exec_lo, exec_lo, s6
	s_cbranch_execz .LBB255_234
.LBB255_564:
	v_cmp_ne_u16_e64 s1, 0, v12
	v_mov_b32_e32 v11, 0
	s_and_not1_b32 s4, s4, exec_lo
	s_and_b32 s1, s1, exec_lo
	s_delay_alu instid0(SALU_CYCLE_1)
	s_or_b32 s4, s4, s1
	s_or_b32 exec_lo, exec_lo, s6
	s_and_saveexec_b32 s1, s4
	s_cbranch_execnz .LBB255_235
	s_branch .LBB255_236
.LBB255_565:
	s_mov_b32 s4, -1
	s_mov_b32 s7, exec_lo
	v_cmpx_eq_u16_e32 0x80, v17
; %bb.566:
	s_xor_b32 s4, exec_lo, -1
; %bb.567:
	s_or_b32 exec_lo, exec_lo, s7
	s_delay_alu instid0(SALU_CYCLE_1)
	s_and_b32 s4, s4, exec_lo
                                        ; implicit-def: $vgpr17
	s_or_saveexec_b32 s6, s6
	v_mov_b32_e32 v12, 0x7f800001
	s_xor_b32 exec_lo, exec_lo, s6
	s_cbranch_execz .LBB255_238
.LBB255_568:
	v_cmp_ne_u16_e64 s1, 0, v17
	v_mov_b32_e32 v12, 0
	s_and_not1_b32 s4, s4, exec_lo
	s_and_b32 s1, s1, exec_lo
	s_delay_alu instid0(SALU_CYCLE_1)
	s_or_b32 s4, s4, s1
	s_or_b32 exec_lo, exec_lo, s6
	s_and_saveexec_b32 s6, s4
	s_cbranch_execnz .LBB255_239
	s_branch .LBB255_240
.LBB255_569:
	s_mov_b32 s6, -1
	s_mov_b32 s8, exec_lo
	v_cmpx_eq_u16_e32 0x80, v12
; %bb.570:
	s_xor_b32 s6, exec_lo, -1
; %bb.571:
	s_or_b32 exec_lo, exec_lo, s8
	s_delay_alu instid0(SALU_CYCLE_1)
	s_and_b32 s6, s6, exec_lo
                                        ; implicit-def: $vgpr12
	s_or_saveexec_b32 s7, s7
	v_mov_b32_e32 v11, 0x7f800001
	s_xor_b32 exec_lo, exec_lo, s7
	s_cbranch_execz .LBB255_244
.LBB255_572:
	v_cmp_ne_u16_e64 s1, 0, v12
	v_mov_b32_e32 v11, 0
	s_and_not1_b32 s6, s6, exec_lo
	s_and_b32 s1, s1, exec_lo
	s_delay_alu instid0(SALU_CYCLE_1)
	s_or_b32 s6, s6, s1
	s_or_b32 exec_lo, exec_lo, s7
	s_and_saveexec_b32 s1, s6
	s_cbranch_execnz .LBB255_245
	s_branch .LBB255_246
.LBB255_573:
	s_mov_b32 s6, -1
	s_mov_b32 s8, exec_lo
	v_cmpx_eq_u16_e32 0x80, v17
; %bb.574:
	s_xor_b32 s6, exec_lo, -1
; %bb.575:
	s_or_b32 exec_lo, exec_lo, s8
	s_delay_alu instid0(SALU_CYCLE_1)
	s_and_b32 s6, s6, exec_lo
                                        ; implicit-def: $vgpr17
	s_or_saveexec_b32 s7, s7
	v_mov_b32_e32 v12, 0x7f800001
	s_xor_b32 exec_lo, exec_lo, s7
	s_cbranch_execz .LBB255_248
.LBB255_576:
	v_cmp_ne_u16_e64 s1, 0, v17
	v_mov_b32_e32 v12, 0
	s_and_not1_b32 s6, s6, exec_lo
	s_and_b32 s1, s1, exec_lo
	s_delay_alu instid0(SALU_CYCLE_1)
	s_or_b32 s6, s6, s1
	s_or_b32 exec_lo, exec_lo, s7
	s_and_saveexec_b32 s7, s6
	s_cbranch_execnz .LBB255_249
	s_branch .LBB255_250
.LBB255_577:
	s_mov_b32 s4, -1
	s_mov_b32 s7, exec_lo
	v_cmpx_eq_u16_e32 0x80, v12
; %bb.578:
	s_xor_b32 s4, exec_lo, -1
; %bb.579:
	s_or_b32 exec_lo, exec_lo, s7
	s_delay_alu instid0(SALU_CYCLE_1)
	s_and_b32 s4, s4, exec_lo
                                        ; implicit-def: $vgpr12
	s_or_saveexec_b32 s6, s6
	v_mov_b32_e32 v11, 0x7f800001
	s_xor_b32 exec_lo, exec_lo, s6
	s_cbranch_execz .LBB255_256
.LBB255_580:
	v_cmp_ne_u16_e64 s1, 0, v12
	v_mov_b32_e32 v11, 0
	s_and_not1_b32 s4, s4, exec_lo
	s_and_b32 s1, s1, exec_lo
	s_delay_alu instid0(SALU_CYCLE_1)
	s_or_b32 s4, s4, s1
	s_or_b32 exec_lo, exec_lo, s6
	s_and_saveexec_b32 s1, s4
	s_cbranch_execnz .LBB255_257
	s_branch .LBB255_258
.LBB255_581:
	s_mov_b32 s4, -1
	s_mov_b32 s7, exec_lo
	v_cmpx_eq_u16_e32 0x80, v17
; %bb.582:
	s_xor_b32 s4, exec_lo, -1
; %bb.583:
	s_or_b32 exec_lo, exec_lo, s7
	s_delay_alu instid0(SALU_CYCLE_1)
	s_and_b32 s4, s4, exec_lo
                                        ; implicit-def: $vgpr17
	s_or_saveexec_b32 s6, s6
	v_mov_b32_e32 v12, 0x7f800001
	s_xor_b32 exec_lo, exec_lo, s6
	s_cbranch_execz .LBB255_260
.LBB255_584:
	v_cmp_ne_u16_e64 s1, 0, v17
	v_mov_b32_e32 v12, 0
	s_and_not1_b32 s4, s4, exec_lo
	s_and_b32 s1, s1, exec_lo
	s_delay_alu instid0(SALU_CYCLE_1)
	s_or_b32 s4, s4, s1
	s_or_b32 exec_lo, exec_lo, s6
	s_and_saveexec_b32 s6, s4
	s_cbranch_execnz .LBB255_261
	s_branch .LBB255_262
.LBB255_585:
	s_mov_b32 s6, -1
	s_mov_b32 s8, exec_lo
	v_cmpx_eq_u16_e32 0x80, v12
; %bb.586:
	s_xor_b32 s6, exec_lo, -1
; %bb.587:
	s_or_b32 exec_lo, exec_lo, s8
	s_delay_alu instid0(SALU_CYCLE_1)
	s_and_b32 s6, s6, exec_lo
                                        ; implicit-def: $vgpr12
	s_or_saveexec_b32 s7, s7
	v_mov_b32_e32 v11, 0x7f800001
	s_xor_b32 exec_lo, exec_lo, s7
	s_cbranch_execz .LBB255_266
.LBB255_588:
	v_cmp_ne_u16_e64 s1, 0, v12
	v_mov_b32_e32 v11, 0
	s_and_not1_b32 s6, s6, exec_lo
	s_and_b32 s1, s1, exec_lo
	s_delay_alu instid0(SALU_CYCLE_1)
	s_or_b32 s6, s6, s1
	s_or_b32 exec_lo, exec_lo, s7
	s_and_saveexec_b32 s1, s6
	s_cbranch_execnz .LBB255_267
	s_branch .LBB255_268
.LBB255_589:
	s_mov_b32 s6, -1
	s_mov_b32 s8, exec_lo
	v_cmpx_eq_u16_e32 0x80, v17
; %bb.590:
	s_xor_b32 s6, exec_lo, -1
; %bb.591:
	s_or_b32 exec_lo, exec_lo, s8
	s_delay_alu instid0(SALU_CYCLE_1)
	s_and_b32 s6, s6, exec_lo
                                        ; implicit-def: $vgpr17
	s_or_saveexec_b32 s7, s7
	v_mov_b32_e32 v12, 0x7f800001
	s_xor_b32 exec_lo, exec_lo, s7
	s_cbranch_execz .LBB255_270
.LBB255_592:
	v_cmp_ne_u16_e64 s1, 0, v17
	v_mov_b32_e32 v12, 0
	s_and_not1_b32 s6, s6, exec_lo
	s_and_b32 s1, s1, exec_lo
	s_delay_alu instid0(SALU_CYCLE_1)
	s_or_b32 s6, s6, s1
	s_or_b32 exec_lo, exec_lo, s7
	s_and_saveexec_b32 s7, s6
	s_cbranch_execnz .LBB255_271
	s_branch .LBB255_272
.LBB255_593:
	s_mov_b32 s4, -1
	s_mov_b32 s7, exec_lo
	v_cmpx_eq_u16_e32 0x80, v12
; %bb.594:
	s_xor_b32 s4, exec_lo, -1
; %bb.595:
	s_or_b32 exec_lo, exec_lo, s7
	s_delay_alu instid0(SALU_CYCLE_1)
	s_and_b32 s4, s4, exec_lo
                                        ; implicit-def: $vgpr12
	s_or_saveexec_b32 s6, s6
	v_mov_b32_e32 v11, 0x7f800001
	s_xor_b32 exec_lo, exec_lo, s6
	s_cbranch_execz .LBB255_278
.LBB255_596:
	v_cmp_ne_u16_e64 s1, 0, v12
	v_mov_b32_e32 v11, 0
	s_and_not1_b32 s4, s4, exec_lo
	s_and_b32 s1, s1, exec_lo
	s_delay_alu instid0(SALU_CYCLE_1)
	s_or_b32 s4, s4, s1
	s_or_b32 exec_lo, exec_lo, s6
	s_and_saveexec_b32 s1, s4
	s_cbranch_execnz .LBB255_279
	s_branch .LBB255_280
.LBB255_597:
	s_mov_b32 s4, -1
	s_mov_b32 s7, exec_lo
	v_cmpx_eq_u16_e32 0x80, v17
; %bb.598:
	s_xor_b32 s4, exec_lo, -1
; %bb.599:
	s_or_b32 exec_lo, exec_lo, s7
	s_delay_alu instid0(SALU_CYCLE_1)
	s_and_b32 s4, s4, exec_lo
                                        ; implicit-def: $vgpr17
	s_or_saveexec_b32 s6, s6
	v_mov_b32_e32 v12, 0x7f800001
	s_xor_b32 exec_lo, exec_lo, s6
	s_cbranch_execz .LBB255_282
.LBB255_600:
	v_cmp_ne_u16_e64 s1, 0, v17
	v_mov_b32_e32 v12, 0
	s_and_not1_b32 s4, s4, exec_lo
	s_and_b32 s1, s1, exec_lo
	s_delay_alu instid0(SALU_CYCLE_1)
	s_or_b32 s4, s4, s1
	s_or_b32 exec_lo, exec_lo, s6
	s_and_saveexec_b32 s6, s4
	s_cbranch_execnz .LBB255_283
	s_branch .LBB255_284
.LBB255_601:
	s_mov_b32 s6, -1
	s_mov_b32 s8, exec_lo
	v_cmpx_eq_u16_e32 0x80, v12
; %bb.602:
	s_xor_b32 s6, exec_lo, -1
; %bb.603:
	s_or_b32 exec_lo, exec_lo, s8
	s_delay_alu instid0(SALU_CYCLE_1)
	s_and_b32 s6, s6, exec_lo
                                        ; implicit-def: $vgpr12
	s_or_saveexec_b32 s7, s7
	v_mov_b32_e32 v11, 0x7f800001
	s_xor_b32 exec_lo, exec_lo, s7
	s_cbranch_execz .LBB255_288
.LBB255_604:
	v_cmp_ne_u16_e64 s1, 0, v12
	v_mov_b32_e32 v11, 0
	s_and_not1_b32 s6, s6, exec_lo
	s_and_b32 s1, s1, exec_lo
	s_delay_alu instid0(SALU_CYCLE_1)
	s_or_b32 s6, s6, s1
	s_or_b32 exec_lo, exec_lo, s7
	s_and_saveexec_b32 s1, s6
	s_cbranch_execnz .LBB255_289
	s_branch .LBB255_290
.LBB255_605:
	s_mov_b32 s6, -1
	s_mov_b32 s8, exec_lo
	v_cmpx_eq_u16_e32 0x80, v17
; %bb.606:
	s_xor_b32 s6, exec_lo, -1
; %bb.607:
	s_or_b32 exec_lo, exec_lo, s8
	s_delay_alu instid0(SALU_CYCLE_1)
	s_and_b32 s6, s6, exec_lo
                                        ; implicit-def: $vgpr17
	s_or_saveexec_b32 s7, s7
	v_mov_b32_e32 v12, 0x7f800001
	s_xor_b32 exec_lo, exec_lo, s7
	s_cbranch_execz .LBB255_292
.LBB255_608:
	v_cmp_ne_u16_e64 s1, 0, v17
	v_mov_b32_e32 v12, 0
	s_and_not1_b32 s6, s6, exec_lo
	s_and_b32 s1, s1, exec_lo
	s_delay_alu instid0(SALU_CYCLE_1)
	s_or_b32 s6, s6, s1
	s_or_b32 exec_lo, exec_lo, s7
	s_and_saveexec_b32 s7, s6
	s_cbranch_execnz .LBB255_293
	s_branch .LBB255_294
.LBB255_609:
	s_mov_b32 s4, -1
	s_mov_b32 s7, exec_lo
	v_cmpx_eq_u16_e32 0x80, v12
; %bb.610:
	s_xor_b32 s4, exec_lo, -1
; %bb.611:
	s_or_b32 exec_lo, exec_lo, s7
	s_delay_alu instid0(SALU_CYCLE_1)
	s_and_b32 s4, s4, exec_lo
                                        ; implicit-def: $vgpr12
	s_or_saveexec_b32 s6, s6
	v_mov_b32_e32 v11, 0x7f800001
	s_xor_b32 exec_lo, exec_lo, s6
	s_cbranch_execz .LBB255_300
.LBB255_612:
	v_cmp_ne_u16_e64 s1, 0, v12
	v_mov_b32_e32 v11, 0
	s_and_not1_b32 s4, s4, exec_lo
	s_and_b32 s1, s1, exec_lo
	s_delay_alu instid0(SALU_CYCLE_1)
	s_or_b32 s4, s4, s1
	s_or_b32 exec_lo, exec_lo, s6
	s_and_saveexec_b32 s1, s4
	s_cbranch_execnz .LBB255_301
	s_branch .LBB255_302
.LBB255_613:
	s_mov_b32 s4, -1
	s_mov_b32 s7, exec_lo
	v_cmpx_eq_u16_e32 0x80, v17
; %bb.614:
	s_xor_b32 s4, exec_lo, -1
; %bb.615:
	s_or_b32 exec_lo, exec_lo, s7
	s_delay_alu instid0(SALU_CYCLE_1)
	s_and_b32 s4, s4, exec_lo
                                        ; implicit-def: $vgpr17
	s_or_saveexec_b32 s6, s6
	v_mov_b32_e32 v12, 0x7f800001
	s_xor_b32 exec_lo, exec_lo, s6
	s_cbranch_execz .LBB255_304
.LBB255_616:
	v_cmp_ne_u16_e64 s1, 0, v17
	v_mov_b32_e32 v12, 0
	s_and_not1_b32 s4, s4, exec_lo
	s_and_b32 s1, s1, exec_lo
	s_delay_alu instid0(SALU_CYCLE_1)
	s_or_b32 s4, s4, s1
	s_or_b32 exec_lo, exec_lo, s6
	s_and_saveexec_b32 s6, s4
	s_cbranch_execnz .LBB255_305
	s_branch .LBB255_306
.LBB255_617:
	s_mov_b32 s6, -1
	s_mov_b32 s8, exec_lo
	v_cmpx_eq_u16_e32 0x80, v12
; %bb.618:
	s_xor_b32 s6, exec_lo, -1
; %bb.619:
	s_or_b32 exec_lo, exec_lo, s8
	s_delay_alu instid0(SALU_CYCLE_1)
	s_and_b32 s6, s6, exec_lo
                                        ; implicit-def: $vgpr12
	s_or_saveexec_b32 s7, s7
	v_mov_b32_e32 v11, 0x7f800001
	s_xor_b32 exec_lo, exec_lo, s7
	s_cbranch_execz .LBB255_310
.LBB255_620:
	v_cmp_ne_u16_e64 s1, 0, v12
	v_mov_b32_e32 v11, 0
	s_and_not1_b32 s6, s6, exec_lo
	s_and_b32 s1, s1, exec_lo
	s_delay_alu instid0(SALU_CYCLE_1)
	s_or_b32 s6, s6, s1
	s_or_b32 exec_lo, exec_lo, s7
	s_and_saveexec_b32 s1, s6
	s_cbranch_execnz .LBB255_311
	s_branch .LBB255_312
.LBB255_621:
	s_mov_b32 s6, -1
	s_mov_b32 s8, exec_lo
	v_cmpx_eq_u16_e32 0x80, v17
; %bb.622:
	s_xor_b32 s6, exec_lo, -1
; %bb.623:
	s_or_b32 exec_lo, exec_lo, s8
	s_delay_alu instid0(SALU_CYCLE_1)
	s_and_b32 s6, s6, exec_lo
                                        ; implicit-def: $vgpr17
	s_or_saveexec_b32 s7, s7
	v_mov_b32_e32 v12, 0x7f800001
	s_xor_b32 exec_lo, exec_lo, s7
	s_cbranch_execz .LBB255_314
.LBB255_624:
	v_cmp_ne_u16_e64 s1, 0, v17
	v_mov_b32_e32 v12, 0
	s_and_not1_b32 s6, s6, exec_lo
	s_and_b32 s1, s1, exec_lo
	s_delay_alu instid0(SALU_CYCLE_1)
	s_or_b32 s6, s6, s1
	s_or_b32 exec_lo, exec_lo, s7
	s_and_saveexec_b32 s7, s6
	s_cbranch_execnz .LBB255_315
	s_branch .LBB255_316
.LBB255_625:
	s_mov_b32 s4, -1
	s_mov_b32 s7, exec_lo
	v_cmpx_eq_u16_e32 0x80, v12
; %bb.626:
	s_xor_b32 s4, exec_lo, -1
; %bb.627:
	s_or_b32 exec_lo, exec_lo, s7
	s_delay_alu instid0(SALU_CYCLE_1)
	s_and_b32 s4, s4, exec_lo
                                        ; implicit-def: $vgpr12
	s_or_saveexec_b32 s6, s6
	v_mov_b32_e32 v11, 0x7f800001
	s_xor_b32 exec_lo, exec_lo, s6
	s_cbranch_execz .LBB255_322
.LBB255_628:
	v_cmp_ne_u16_e64 s1, 0, v12
	v_mov_b32_e32 v11, 0
	s_and_not1_b32 s4, s4, exec_lo
	s_and_b32 s1, s1, exec_lo
	s_delay_alu instid0(SALU_CYCLE_1)
	s_or_b32 s4, s4, s1
	s_or_b32 exec_lo, exec_lo, s6
	s_and_saveexec_b32 s1, s4
	s_cbranch_execnz .LBB255_323
	s_branch .LBB255_324
.LBB255_629:
	s_mov_b32 s4, -1
	s_mov_b32 s7, exec_lo
	v_cmpx_eq_u16_e32 0x80, v16
; %bb.630:
	s_xor_b32 s4, exec_lo, -1
; %bb.631:
	s_or_b32 exec_lo, exec_lo, s7
	s_delay_alu instid0(SALU_CYCLE_1)
	s_and_b32 s4, s4, exec_lo
                                        ; implicit-def: $vgpr16
	s_or_saveexec_b32 s6, s6
	v_mov_b32_e32 v12, 0x7f800001
	s_xor_b32 exec_lo, exec_lo, s6
	s_cbranch_execz .LBB255_326
.LBB255_632:
	v_cmp_ne_u16_e64 s1, 0, v16
	v_mov_b32_e32 v12, 0
	s_and_not1_b32 s4, s4, exec_lo
	s_and_b32 s1, s1, exec_lo
	s_delay_alu instid0(SALU_CYCLE_1)
	s_or_b32 s4, s4, s1
	s_or_b32 exec_lo, exec_lo, s6
	s_and_saveexec_b32 s6, s4
	s_cbranch_execnz .LBB255_327
	s_branch .LBB255_328
.LBB255_633:
	s_mov_b32 s6, -1
	s_mov_b32 s8, exec_lo
	v_cmpx_eq_u16_e32 0x80, v12
; %bb.634:
	s_xor_b32 s6, exec_lo, -1
; %bb.635:
	s_or_b32 exec_lo, exec_lo, s8
	s_delay_alu instid0(SALU_CYCLE_1)
	s_and_b32 s6, s6, exec_lo
                                        ; implicit-def: $vgpr12
	s_or_saveexec_b32 s7, s7
	v_mov_b32_e32 v11, 0x7f800001
	s_xor_b32 exec_lo, exec_lo, s7
	s_cbranch_execz .LBB255_332
.LBB255_636:
	v_cmp_ne_u16_e64 s1, 0, v12
	v_mov_b32_e32 v11, 0
	s_and_not1_b32 s6, s6, exec_lo
	s_and_b32 s1, s1, exec_lo
	s_delay_alu instid0(SALU_CYCLE_1)
	s_or_b32 s6, s6, s1
	s_or_b32 exec_lo, exec_lo, s7
	s_and_saveexec_b32 s1, s6
	s_cbranch_execnz .LBB255_333
	s_branch .LBB255_334
.LBB255_637:
	s_mov_b32 s6, -1
	s_mov_b32 s8, exec_lo
	v_cmpx_eq_u16_e32 0x80, v16
; %bb.638:
	s_xor_b32 s6, exec_lo, -1
; %bb.639:
	s_or_b32 exec_lo, exec_lo, s8
	s_delay_alu instid0(SALU_CYCLE_1)
	s_and_b32 s6, s6, exec_lo
                                        ; implicit-def: $vgpr16
	s_or_saveexec_b32 s7, s7
	v_mov_b32_e32 v12, 0x7f800001
	s_xor_b32 exec_lo, exec_lo, s7
	s_cbranch_execz .LBB255_336
.LBB255_640:
	v_cmp_ne_u16_e64 s1, 0, v16
	v_mov_b32_e32 v12, 0
	s_and_not1_b32 s6, s6, exec_lo
	s_and_b32 s1, s1, exec_lo
	s_delay_alu instid0(SALU_CYCLE_1)
	s_or_b32 s6, s6, s1
	s_or_b32 exec_lo, exec_lo, s7
	s_and_saveexec_b32 s7, s6
	s_cbranch_execnz .LBB255_337
	s_branch .LBB255_338
.LBB255_641:
	s_mov_b32 s4, -1
	s_mov_b32 s7, exec_lo
	v_cmpx_eq_u16_e32 0x80, v12
; %bb.642:
	s_xor_b32 s4, exec_lo, -1
; %bb.643:
	s_or_b32 exec_lo, exec_lo, s7
	s_delay_alu instid0(SALU_CYCLE_1)
	s_and_b32 s4, s4, exec_lo
                                        ; implicit-def: $vgpr12
	s_or_saveexec_b32 s6, s6
	v_mov_b32_e32 v11, 0x7f800001
	s_xor_b32 exec_lo, exec_lo, s6
	s_cbranch_execz .LBB255_344
.LBB255_644:
	v_cmp_ne_u16_e64 s1, 0, v12
	v_mov_b32_e32 v11, 0
	s_and_not1_b32 s4, s4, exec_lo
	s_and_b32 s1, s1, exec_lo
	s_delay_alu instid0(SALU_CYCLE_1)
	s_or_b32 s4, s4, s1
	s_or_b32 exec_lo, exec_lo, s6
	s_and_saveexec_b32 s1, s4
	s_cbranch_execnz .LBB255_345
	s_branch .LBB255_346
.LBB255_645:
	s_mov_b32 s4, -1
	s_mov_b32 s7, exec_lo
	v_cmpx_eq_u16_e32 0x80, v14
; %bb.646:
	s_xor_b32 s4, exec_lo, -1
; %bb.647:
	s_or_b32 exec_lo, exec_lo, s7
	s_delay_alu instid0(SALU_CYCLE_1)
	s_and_b32 s4, s4, exec_lo
                                        ; implicit-def: $vgpr14
	s_or_saveexec_b32 s6, s6
	v_mov_b32_e32 v12, 0x7f800001
	s_xor_b32 exec_lo, exec_lo, s6
	s_cbranch_execz .LBB255_348
.LBB255_648:
	v_cmp_ne_u16_e64 s1, 0, v14
	v_mov_b32_e32 v12, 0
	s_and_not1_b32 s4, s4, exec_lo
	s_and_b32 s1, s1, exec_lo
	s_delay_alu instid0(SALU_CYCLE_1)
	s_or_b32 s4, s4, s1
	s_or_b32 exec_lo, exec_lo, s6
	s_and_saveexec_b32 s6, s4
	s_cbranch_execnz .LBB255_349
	s_branch .LBB255_350
.LBB255_649:
	s_mov_b32 s6, -1
	s_mov_b32 s8, exec_lo
	v_cmpx_eq_u16_e32 0x80, v12
; %bb.650:
	s_xor_b32 s6, exec_lo, -1
; %bb.651:
	s_or_b32 exec_lo, exec_lo, s8
	s_delay_alu instid0(SALU_CYCLE_1)
	s_and_b32 s6, s6, exec_lo
                                        ; implicit-def: $vgpr12
	s_or_saveexec_b32 s7, s7
	v_mov_b32_e32 v11, 0x7f800001
	s_xor_b32 exec_lo, exec_lo, s7
	s_cbranch_execz .LBB255_354
.LBB255_652:
	v_cmp_ne_u16_e64 s1, 0, v12
	v_mov_b32_e32 v11, 0
	s_and_not1_b32 s6, s6, exec_lo
	s_and_b32 s1, s1, exec_lo
	s_delay_alu instid0(SALU_CYCLE_1)
	s_or_b32 s6, s6, s1
	s_or_b32 exec_lo, exec_lo, s7
	s_and_saveexec_b32 s1, s6
	s_cbranch_execnz .LBB255_355
	s_branch .LBB255_356
.LBB255_653:
	s_mov_b32 s6, -1
	s_mov_b32 s8, exec_lo
	v_cmpx_eq_u16_e32 0x80, v14
; %bb.654:
	s_xor_b32 s6, exec_lo, -1
; %bb.655:
	s_or_b32 exec_lo, exec_lo, s8
	s_delay_alu instid0(SALU_CYCLE_1)
	s_and_b32 s6, s6, exec_lo
                                        ; implicit-def: $vgpr14
	s_or_saveexec_b32 s7, s7
	v_mov_b32_e32 v12, 0x7f800001
	s_xor_b32 exec_lo, exec_lo, s7
	s_cbranch_execz .LBB255_358
.LBB255_656:
	v_cmp_ne_u16_e64 s1, 0, v14
	v_mov_b32_e32 v12, 0
	s_and_not1_b32 s6, s6, exec_lo
	s_and_b32 s1, s1, exec_lo
	s_delay_alu instid0(SALU_CYCLE_1)
	s_or_b32 s6, s6, s1
	s_or_b32 exec_lo, exec_lo, s7
	s_and_saveexec_b32 s7, s6
	s_cbranch_execnz .LBB255_359
	s_branch .LBB255_360
.LBB255_657:
	s_mov_b32 s1, -1
	s_mov_b32 s6, exec_lo
	v_cmpx_eq_u16_e32 0x80, v11
; %bb.658:
	s_xor_b32 s1, exec_lo, -1
; %bb.659:
	s_or_b32 exec_lo, exec_lo, s6
	s_delay_alu instid0(SALU_CYCLE_1)
	s_and_b32 s1, s1, exec_lo
                                        ; implicit-def: $vgpr11
	s_or_saveexec_b32 s5, s5
	v_mov_b32_e32 v1, 0x7f800001
	s_xor_b32 exec_lo, exec_lo, s5
	s_cbranch_execz .LBB255_383
.LBB255_660:
	v_cmp_ne_u16_e64 s0, 0, v11
	v_mov_b32_e32 v1, 0
	s_and_not1_b32 s1, s1, exec_lo
	s_and_b32 s0, s0, exec_lo
	s_delay_alu instid0(SALU_CYCLE_1)
	s_or_b32 s1, s1, s0
	s_or_b32 exec_lo, exec_lo, s5
	s_and_saveexec_b32 s0, s1
	s_cbranch_execnz .LBB255_384
	s_branch .LBB255_385
.LBB255_661:
	s_mov_b32 s1, -1
	s_mov_b32 s6, exec_lo
	v_cmpx_eq_u16_e32 0x80, v11
; %bb.662:
	s_xor_b32 s1, exec_lo, -1
; %bb.663:
	s_or_b32 exec_lo, exec_lo, s6
	s_delay_alu instid0(SALU_CYCLE_1)
	s_and_b32 s1, s1, exec_lo
                                        ; implicit-def: $vgpr11
	s_or_saveexec_b32 s5, s5
	v_mov_b32_e32 v0, 0x7f800001
	s_xor_b32 exec_lo, exec_lo, s5
	s_cbranch_execz .LBB255_387
.LBB255_664:
	v_cmp_ne_u16_e64 s0, 0, v11
	v_mov_b32_e32 v0, 0
	s_and_not1_b32 s1, s1, exec_lo
	s_and_b32 s0, s0, exec_lo
	s_delay_alu instid0(SALU_CYCLE_1)
	s_or_b32 s1, s1, s0
	s_or_b32 exec_lo, exec_lo, s5
	s_and_saveexec_b32 s5, s1
	s_cbranch_execnz .LBB255_388
	s_branch .LBB255_389
.LBB255_665:
	s_mov_b32 s5, -1
	s_mov_b32 s7, exec_lo
	v_cmpx_eq_u16_e32 0x80, v11
; %bb.666:
	s_xor_b32 s5, exec_lo, -1
; %bb.667:
	s_or_b32 exec_lo, exec_lo, s7
	s_delay_alu instid0(SALU_CYCLE_1)
	s_and_b32 s5, s5, exec_lo
                                        ; implicit-def: $vgpr11
	s_or_saveexec_b32 s6, s6
	v_mov_b32_e32 v1, 0x7f800001
	s_xor_b32 exec_lo, exec_lo, s6
	s_cbranch_execz .LBB255_393
.LBB255_668:
	v_cmp_ne_u16_e64 s0, 0, v11
	v_mov_b32_e32 v1, 0
	s_and_not1_b32 s5, s5, exec_lo
	s_and_b32 s0, s0, exec_lo
	s_delay_alu instid0(SALU_CYCLE_1)
	s_or_b32 s5, s5, s0
	s_or_b32 exec_lo, exec_lo, s6
	s_and_saveexec_b32 s0, s5
	s_cbranch_execnz .LBB255_394
	s_branch .LBB255_395
.LBB255_669:
	s_mov_b32 s5, -1
	s_mov_b32 s7, exec_lo
	v_cmpx_eq_u16_e32 0x80, v11
; %bb.670:
	s_xor_b32 s5, exec_lo, -1
; %bb.671:
	s_or_b32 exec_lo, exec_lo, s7
	s_delay_alu instid0(SALU_CYCLE_1)
	s_and_b32 s5, s5, exec_lo
                                        ; implicit-def: $vgpr11
	s_or_saveexec_b32 s6, s6
	v_mov_b32_e32 v0, 0x7f800001
	s_xor_b32 exec_lo, exec_lo, s6
	s_cbranch_execz .LBB255_397
.LBB255_672:
	v_cmp_ne_u16_e64 s0, 0, v11
	v_mov_b32_e32 v0, 0
	s_and_not1_b32 s5, s5, exec_lo
	s_and_b32 s0, s0, exec_lo
	s_delay_alu instid0(SALU_CYCLE_1)
	s_or_b32 s5, s5, s0
	s_or_b32 exec_lo, exec_lo, s6
	s_and_saveexec_b32 s6, s5
	s_cbranch_execnz .LBB255_398
	s_branch .LBB255_399
.Lfunc_end255:
	.size	_ZN2at6native25elementwise_kernel_helperILb0ENS0_13AUnaryFunctorIN3c1015Float8_e5m2fnuzES4_bNS0_12_GLOBAL__N_116CompareEqFunctorIS4_EEEENS0_6memory8policies11unroll_baseILi256ESt5arrayIPcLm2EE23TrivialOffsetCalculatorILi1EjESG_NS9_15LoadWithoutCastENS9_16StoreWithoutCastELi16ELi1EEEEEvT0_T1_, .Lfunc_end255-_ZN2at6native25elementwise_kernel_helperILb0ENS0_13AUnaryFunctorIN3c1015Float8_e5m2fnuzES4_bNS0_12_GLOBAL__N_116CompareEqFunctorIS4_EEEENS0_6memory8policies11unroll_baseILi256ESt5arrayIPcLm2EE23TrivialOffsetCalculatorILi1EjESG_NS9_15LoadWithoutCastENS9_16StoreWithoutCastELi16ELi1EEEEEvT0_T1_
                                        ; -- End function
	.set .L_ZN2at6native25elementwise_kernel_helperILb0ENS0_13AUnaryFunctorIN3c1015Float8_e5m2fnuzES4_bNS0_12_GLOBAL__N_116CompareEqFunctorIS4_EEEENS0_6memory8policies11unroll_baseILi256ESt5arrayIPcLm2EE23TrivialOffsetCalculatorILi1EjESG_NS9_15LoadWithoutCastENS9_16StoreWithoutCastELi16ELi1EEEEEvT0_T1_.num_vgpr, 32
	.set .L_ZN2at6native25elementwise_kernel_helperILb0ENS0_13AUnaryFunctorIN3c1015Float8_e5m2fnuzES4_bNS0_12_GLOBAL__N_116CompareEqFunctorIS4_EEEENS0_6memory8policies11unroll_baseILi256ESt5arrayIPcLm2EE23TrivialOffsetCalculatorILi1EjESG_NS9_15LoadWithoutCastENS9_16StoreWithoutCastELi16ELi1EEEEEvT0_T1_.num_agpr, 0
	.set .L_ZN2at6native25elementwise_kernel_helperILb0ENS0_13AUnaryFunctorIN3c1015Float8_e5m2fnuzES4_bNS0_12_GLOBAL__N_116CompareEqFunctorIS4_EEEENS0_6memory8policies11unroll_baseILi256ESt5arrayIPcLm2EE23TrivialOffsetCalculatorILi1EjESG_NS9_15LoadWithoutCastENS9_16StoreWithoutCastELi16ELi1EEEEEvT0_T1_.numbered_sgpr, 32
	.set .L_ZN2at6native25elementwise_kernel_helperILb0ENS0_13AUnaryFunctorIN3c1015Float8_e5m2fnuzES4_bNS0_12_GLOBAL__N_116CompareEqFunctorIS4_EEEENS0_6memory8policies11unroll_baseILi256ESt5arrayIPcLm2EE23TrivialOffsetCalculatorILi1EjESG_NS9_15LoadWithoutCastENS9_16StoreWithoutCastELi16ELi1EEEEEvT0_T1_.num_named_barrier, 0
	.set .L_ZN2at6native25elementwise_kernel_helperILb0ENS0_13AUnaryFunctorIN3c1015Float8_e5m2fnuzES4_bNS0_12_GLOBAL__N_116CompareEqFunctorIS4_EEEENS0_6memory8policies11unroll_baseILi256ESt5arrayIPcLm2EE23TrivialOffsetCalculatorILi1EjESG_NS9_15LoadWithoutCastENS9_16StoreWithoutCastELi16ELi1EEEEEvT0_T1_.private_seg_size, 0
	.set .L_ZN2at6native25elementwise_kernel_helperILb0ENS0_13AUnaryFunctorIN3c1015Float8_e5m2fnuzES4_bNS0_12_GLOBAL__N_116CompareEqFunctorIS4_EEEENS0_6memory8policies11unroll_baseILi256ESt5arrayIPcLm2EE23TrivialOffsetCalculatorILi1EjESG_NS9_15LoadWithoutCastENS9_16StoreWithoutCastELi16ELi1EEEEEvT0_T1_.uses_vcc, 1
	.set .L_ZN2at6native25elementwise_kernel_helperILb0ENS0_13AUnaryFunctorIN3c1015Float8_e5m2fnuzES4_bNS0_12_GLOBAL__N_116CompareEqFunctorIS4_EEEENS0_6memory8policies11unroll_baseILi256ESt5arrayIPcLm2EE23TrivialOffsetCalculatorILi1EjESG_NS9_15LoadWithoutCastENS9_16StoreWithoutCastELi16ELi1EEEEEvT0_T1_.uses_flat_scratch, 0
	.set .L_ZN2at6native25elementwise_kernel_helperILb0ENS0_13AUnaryFunctorIN3c1015Float8_e5m2fnuzES4_bNS0_12_GLOBAL__N_116CompareEqFunctorIS4_EEEENS0_6memory8policies11unroll_baseILi256ESt5arrayIPcLm2EE23TrivialOffsetCalculatorILi1EjESG_NS9_15LoadWithoutCastENS9_16StoreWithoutCastELi16ELi1EEEEEvT0_T1_.has_dyn_sized_stack, 0
	.set .L_ZN2at6native25elementwise_kernel_helperILb0ENS0_13AUnaryFunctorIN3c1015Float8_e5m2fnuzES4_bNS0_12_GLOBAL__N_116CompareEqFunctorIS4_EEEENS0_6memory8policies11unroll_baseILi256ESt5arrayIPcLm2EE23TrivialOffsetCalculatorILi1EjESG_NS9_15LoadWithoutCastENS9_16StoreWithoutCastELi16ELi1EEEEEvT0_T1_.has_recursion, 0
	.set .L_ZN2at6native25elementwise_kernel_helperILb0ENS0_13AUnaryFunctorIN3c1015Float8_e5m2fnuzES4_bNS0_12_GLOBAL__N_116CompareEqFunctorIS4_EEEENS0_6memory8policies11unroll_baseILi256ESt5arrayIPcLm2EE23TrivialOffsetCalculatorILi1EjESG_NS9_15LoadWithoutCastENS9_16StoreWithoutCastELi16ELi1EEEEEvT0_T1_.has_indirect_call, 0
	.section	.AMDGPU.csdata,"",@progbits
; Function info:
; codeLenInByte = 20296
; TotalNumSgprs: 34
; NumVgprs: 32
; ScratchSize: 0
; MemoryBound: 0
	.section	.text._ZN2at6native29vectorized_elementwise_kernelILi16ENS0_13AUnaryFunctorIN3c1015Float8_e5m2fnuzES4_bNS0_12_GLOBAL__N_116CompareEqFunctorIS4_EEEESt5arrayIPcLm2EEEEviT0_T1_,"axG",@progbits,_ZN2at6native29vectorized_elementwise_kernelILi16ENS0_13AUnaryFunctorIN3c1015Float8_e5m2fnuzES4_bNS0_12_GLOBAL__N_116CompareEqFunctorIS4_EEEESt5arrayIPcLm2EEEEviT0_T1_,comdat
	.globl	_ZN2at6native29vectorized_elementwise_kernelILi16ENS0_13AUnaryFunctorIN3c1015Float8_e5m2fnuzES4_bNS0_12_GLOBAL__N_116CompareEqFunctorIS4_EEEESt5arrayIPcLm2EEEEviT0_T1_ ; -- Begin function _ZN2at6native29vectorized_elementwise_kernelILi16ENS0_13AUnaryFunctorIN3c1015Float8_e5m2fnuzES4_bNS0_12_GLOBAL__N_116CompareEqFunctorIS4_EEEESt5arrayIPcLm2EEEEviT0_T1_
	.p2align	8
	.type	_ZN2at6native29vectorized_elementwise_kernelILi16ENS0_13AUnaryFunctorIN3c1015Float8_e5m2fnuzES4_bNS0_12_GLOBAL__N_116CompareEqFunctorIS4_EEEESt5arrayIPcLm2EEEEviT0_T1_,@function
_ZN2at6native29vectorized_elementwise_kernelILi16ENS0_13AUnaryFunctorIN3c1015Float8_e5m2fnuzES4_bNS0_12_GLOBAL__N_116CompareEqFunctorIS4_EEEESt5arrayIPcLm2EEEEviT0_T1_: ; @_ZN2at6native29vectorized_elementwise_kernelILi16ENS0_13AUnaryFunctorIN3c1015Float8_e5m2fnuzES4_bNS0_12_GLOBAL__N_116CompareEqFunctorIS4_EEEESt5arrayIPcLm2EEEEviT0_T1_
; %bb.0:
	s_clause 0x1
	s_load_b96 s[8:10], s[0:1], 0x0
	s_load_b128 s[4:7], s[0:1], 0x10
	s_wait_xcnt 0x0
	s_bfe_u32 s0, ttmp6, 0x4000c
	s_and_b32 s1, ttmp6, 15
	s_add_co_i32 s0, s0, 1
	s_getreg_b32 s2, hwreg(HW_REG_IB_STS2, 6, 4)
	s_mul_i32 s0, ttmp9, s0
	s_mov_b32 s32, 0
	s_add_co_i32 s1, s1, s0
	s_cmp_eq_u32 s2, 0
	s_cselect_b32 s0, ttmp9, s1
	s_mov_b32 s1, -1
	s_lshl_b32 s0, s0, 12
	s_wait_kmcnt 0x0
	s_sub_co_i32 s2, s8, s0
	s_delay_alu instid0(SALU_CYCLE_1)
	s_cmp_gt_i32 s2, 0xfff
	s_cbranch_scc1 .LBB256_3
; %bb.1:
	s_and_b32 vcc_lo, exec_lo, s1
	s_cbranch_vccnz .LBB256_576
.LBB256_2:
	s_sendmsg sendmsg(MSG_DEALLOC_VGPRS)
	s_endpgm
.LBB256_3:
	s_ashr_i32 s1, s0, 31
	s_cmp_lg_u32 s9, 0
	s_add_nc_u64 s[12:13], s[6:7], s[0:1]
	s_cselect_b32 s11, -1, 0
	global_load_b128 v[2:5], v0, s[12:13] scale_offset
	s_and_b32 s3, s10, 3
	s_wait_xcnt 0x0
	s_bfe_u32 s13, s10, 0x50002
	s_clz_i32_u32 s8, s3
	s_delay_alu instid0(SALU_CYCLE_1) | instskip(NEXT) | instid1(SALU_CYCLE_1)
	s_min_u32 s8, s8, 32
	s_sub_co_i32 s12, s8, 29
	s_sub_co_i32 s8, 30, s8
	s_lshl_b32 s12, s10, s12
	s_delay_alu instid0(SALU_CYCLE_1)
	s_and_b32 s12, s12, 3
	s_cmp_eq_u32 s13, 0
	s_cselect_b32 s8, s8, s13
	s_cselect_b32 s3, s12, s3
	s_lshl_b32 s12, s10, 24
	s_lshl_b32 s8, s8, 23
	s_and_b32 s12, s12, 0x80000000
	s_add_co_i32 s8, s8, 0x37800000
	s_lshl_b32 s3, s3, 21
	s_or_b32 s8, s12, s8
	s_and_b32 vcc_lo, exec_lo, s11
	s_or_b32 s3, s8, s3
	s_cbranch_vccz .LBB256_8
; %bb.4:
	s_and_b32 s12, s10, 0xff
	s_delay_alu instid0(SALU_CYCLE_1)
	s_cmp_lt_i32 s12, 0x80
	s_cbranch_scc1 .LBB256_9
; %bb.5:
	s_and_b32 s8, 0xffff, s12
	s_mov_b32 s13, -1
	s_cmp_eq_u32 s8, 0x80
	s_cbranch_scc0 .LBB256_7
; %bb.6:
	s_mov_b32 s13, 0
.LBB256_7:
	s_mov_b32 s8, 0x7f800001
	s_branch .LBB256_11
.LBB256_8:
                                        ; implicit-def: $sgpr8
	s_cbranch_execnz .LBB256_18
	s_branch .LBB256_35
.LBB256_9:
	s_mov_b32 s13, 0
	s_mov_b32 s8, 0x7f800001
	s_cbranch_execz .LBB256_11
; %bb.10:
	s_and_b32 s8, 0xffff, s12
	s_delay_alu instid0(SALU_CYCLE_1)
	s_cmp_lg_u32 s8, 0
	s_mov_b32 s8, 0
	s_cselect_b32 s13, -1, 0
.LBB256_11:
	s_delay_alu instid0(SALU_CYCLE_1)
	s_and_not1_b32 vcc_lo, exec_lo, s13
	s_cbranch_vccnz .LBB256_13
; %bb.12:
	s_mov_b32 s8, s3
.LBB256_13:
	s_wait_loadcnt 0x0
	v_and_b32_e32 v6, 0xff, v2
	s_mov_b32 s12, 0
	s_mov_b32 s13, exec_lo
	s_delay_alu instid0(VALU_DEP_1)
	v_cmpx_lt_i16_e32 0x7f, v6
	s_xor_b32 s13, exec_lo, s13
	s_cbranch_execnz .LBB256_22
; %bb.14:
	s_or_saveexec_b32 s13, s13
	v_mov_b32_e32 v1, 0x7f800001
	s_xor_b32 exec_lo, exec_lo, s13
	s_cbranch_execnz .LBB256_25
.LBB256_15:
	s_or_b32 exec_lo, exec_lo, s13
	s_and_saveexec_b32 s13, s12
	s_cbranch_execz .LBB256_17
.LBB256_16:
	v_and_b32_e32 v1, 3, v2
	v_lshrrev_b16 v7, 2, v2
	v_lshlrev_b32_e32 v9, 24, v2
	s_delay_alu instid0(VALU_DEP_3) | instskip(NEXT) | instid1(VALU_DEP_1)
	v_clz_i32_u32_e32 v6, v1
	v_min_u32_e32 v6, 32, v6
	s_delay_alu instid0(VALU_DEP_4) | instskip(NEXT) | instid1(VALU_DEP_2)
	v_and_b32_e32 v7, 31, v7
	v_subrev_nc_u32_e32 v8, 29, v6
	v_sub_nc_u32_e32 v6, 30, v6
	s_delay_alu instid0(VALU_DEP_3) | instskip(NEXT) | instid1(VALU_DEP_3)
	v_cmp_eq_u32_e32 vcc_lo, 0, v7
	v_lshlrev_b32_e32 v8, v8, v2
	s_delay_alu instid0(VALU_DEP_1) | instskip(SKIP_1) | instid1(VALU_DEP_2)
	v_dual_cndmask_b32 v6, v7, v6, vcc_lo :: v_dual_bitop2_b32 v8, 3, v8 bitop3:0x40
	v_and_b32_e32 v7, 0x80000000, v9
	v_cndmask_b32_e32 v1, v1, v8, vcc_lo
	s_delay_alu instid0(VALU_DEP_3) | instskip(NEXT) | instid1(VALU_DEP_2)
	v_lshl_add_u32 v6, v6, 23, 0x37800000
	v_lshlrev_b32_e32 v1, 21, v1
	s_delay_alu instid0(VALU_DEP_1)
	v_or3_b32 v1, v7, v6, v1
.LBB256_17:
	s_or_b32 exec_lo, exec_lo, s13
	s_delay_alu instid0(VALU_DEP_1)
	v_cmp_neq_f32_e64 s8, s8, v1
	s_branch .LBB256_35
.LBB256_18:
	s_and_b32 s12, s10, 0xff
	s_delay_alu instid0(SALU_CYCLE_1)
	s_cmp_lt_i32 s12, 0x80
	s_cbranch_scc1 .LBB256_26
; %bb.19:
	s_and_b32 s8, 0xffff, s12
	s_mov_b32 s13, -1
	s_cmp_eq_u32 s8, 0x80
	s_cbranch_scc0 .LBB256_21
; %bb.20:
	s_mov_b32 s13, 0
.LBB256_21:
	s_mov_b32 s8, 0x7f800001
	s_branch .LBB256_28
.LBB256_22:
	s_mov_b32 s12, -1
	s_mov_b32 s14, exec_lo
	v_cmpx_eq_u16_e32 0x80, v6
; %bb.23:
	s_xor_b32 s12, exec_lo, -1
; %bb.24:
	s_or_b32 exec_lo, exec_lo, s14
	s_delay_alu instid0(SALU_CYCLE_1)
	s_and_b32 s12, s12, exec_lo
                                        ; implicit-def: $vgpr6
	s_or_saveexec_b32 s13, s13
	v_mov_b32_e32 v1, 0x7f800001
	s_xor_b32 exec_lo, exec_lo, s13
	s_cbranch_execz .LBB256_15
.LBB256_25:
	v_cmp_ne_u16_e32 vcc_lo, 0, v6
	v_mov_b32_e32 v1, 0
	s_and_not1_b32 s12, s12, exec_lo
	s_and_b32 s14, vcc_lo, exec_lo
	s_delay_alu instid0(SALU_CYCLE_1)
	s_or_b32 s12, s12, s14
	s_or_b32 exec_lo, exec_lo, s13
	s_and_saveexec_b32 s13, s12
	s_cbranch_execnz .LBB256_16
	s_branch .LBB256_17
.LBB256_26:
	s_mov_b32 s13, 0
	s_mov_b32 s8, 0x7f800001
	s_cbranch_execz .LBB256_28
; %bb.27:
	s_and_b32 s8, 0xffff, s12
	s_delay_alu instid0(SALU_CYCLE_1)
	s_cmp_lg_u32 s8, 0
	s_mov_b32 s8, 0
	s_cselect_b32 s13, -1, 0
.LBB256_28:
	s_delay_alu instid0(SALU_CYCLE_1)
	s_and_not1_b32 vcc_lo, exec_lo, s13
	s_cbranch_vccnz .LBB256_30
; %bb.29:
	s_mov_b32 s8, s3
.LBB256_30:
	s_wait_loadcnt 0x0
	v_and_b32_e32 v6, 0xff, v2
	s_mov_b32 s12, 0
	s_mov_b32 s13, exec_lo
	s_delay_alu instid0(VALU_DEP_1)
	v_cmpx_lt_i16_e32 0x7f, v6
	s_xor_b32 s13, exec_lo, s13
	s_cbranch_execnz .LBB256_310
; %bb.31:
	s_or_saveexec_b32 s13, s13
	v_mov_b32_e32 v1, 0x7f800001
	s_xor_b32 exec_lo, exec_lo, s13
	s_cbranch_execnz .LBB256_313
.LBB256_32:
	s_or_b32 exec_lo, exec_lo, s13
	s_and_saveexec_b32 s13, s12
	s_cbranch_execz .LBB256_34
.LBB256_33:
	v_and_b32_e32 v1, 3, v2
	v_lshrrev_b16 v7, 2, v2
	v_lshlrev_b32_e32 v9, 24, v2
	s_delay_alu instid0(VALU_DEP_3) | instskip(NEXT) | instid1(VALU_DEP_1)
	v_clz_i32_u32_e32 v6, v1
	v_min_u32_e32 v6, 32, v6
	s_delay_alu instid0(VALU_DEP_4) | instskip(NEXT) | instid1(VALU_DEP_2)
	v_and_b32_e32 v7, 31, v7
	v_subrev_nc_u32_e32 v8, 29, v6
	v_sub_nc_u32_e32 v6, 30, v6
	s_delay_alu instid0(VALU_DEP_3) | instskip(NEXT) | instid1(VALU_DEP_3)
	v_cmp_eq_u32_e32 vcc_lo, 0, v7
	v_lshlrev_b32_e32 v8, v8, v2
	s_delay_alu instid0(VALU_DEP_1) | instskip(SKIP_1) | instid1(VALU_DEP_2)
	v_dual_cndmask_b32 v6, v7, v6, vcc_lo :: v_dual_bitop2_b32 v8, 3, v8 bitop3:0x40
	v_and_b32_e32 v7, 0x80000000, v9
	v_cndmask_b32_e32 v1, v1, v8, vcc_lo
	s_delay_alu instid0(VALU_DEP_3) | instskip(NEXT) | instid1(VALU_DEP_2)
	v_lshl_add_u32 v6, v6, 23, 0x37800000
	v_lshlrev_b32_e32 v1, 21, v1
	s_delay_alu instid0(VALU_DEP_1)
	v_or3_b32 v1, v7, v6, v1
.LBB256_34:
	s_or_b32 exec_lo, exec_lo, s13
	s_delay_alu instid0(VALU_DEP_1)
	v_cmp_eq_f32_e64 s8, s8, v1
.LBB256_35:
	s_wait_loadcnt 0x0
	v_dual_lshrrev_b32 v1, 24, v5 :: v_dual_lshrrev_b32 v6, 16, v5
	v_dual_lshrrev_b32 v7, 8, v5 :: v_dual_lshrrev_b32 v8, 24, v4
	;; [unrolled: 1-line block ×6, first 2 shown]
	v_cndmask_b32_e64 v2, 0, 1, s11
	s_and_not1_b32 vcc_lo, exec_lo, s11
	s_cbranch_vccnz .LBB256_40
; %bb.36:
	s_and_b32 s12, s10, 0xff
	s_delay_alu instid0(SALU_CYCLE_1)
	s_cmp_lt_i32 s12, 0x80
	s_cbranch_scc1 .LBB256_46
; %bb.37:
	s_and_b32 s11, 0xffff, s12
	s_mov_b32 s13, -1
	s_cmp_eq_u32 s11, 0x80
	s_cbranch_scc0 .LBB256_39
; %bb.38:
	s_mov_b32 s13, 0
.LBB256_39:
	s_mov_b32 s11, 0x7f800001
	s_branch .LBB256_48
.LBB256_40:
                                        ; implicit-def: $sgpr11
	s_cbranch_execnz .LBB256_55
.LBB256_41:
	s_delay_alu instid0(VALU_DEP_1)
	v_cmp_ne_u32_e32 vcc_lo, 1, v2
	s_cbranch_vccnz .LBB256_323
.LBB256_42:
	s_and_b32 s13, s10, 0xff
	s_delay_alu instid0(SALU_CYCLE_1)
	s_cmp_lt_i32 s13, 0x80
	s_cbranch_scc1 .LBB256_59
; %bb.43:
	s_and_b32 s12, 0xffff, s13
	s_mov_b32 s14, -1
	s_cmp_eq_u32 s12, 0x80
	s_cbranch_scc0 .LBB256_45
; %bb.44:
	s_mov_b32 s14, 0
.LBB256_45:
	s_mov_b32 s12, 0x7f800001
	s_branch .LBB256_61
.LBB256_46:
	s_mov_b32 s13, 0
	s_mov_b32 s11, 0x7f800001
	s_cbranch_execz .LBB256_48
; %bb.47:
	s_and_b32 s11, 0xffff, s12
	s_delay_alu instid0(SALU_CYCLE_1)
	s_cmp_lg_u32 s11, 0
	s_mov_b32 s11, 0
	s_cselect_b32 s13, -1, 0
.LBB256_48:
	s_delay_alu instid0(SALU_CYCLE_1)
	s_and_not1_b32 vcc_lo, exec_lo, s13
	s_cbranch_vccnz .LBB256_50
; %bb.49:
	s_mov_b32 s11, s3
.LBB256_50:
	v_and_b32_e32 v18, 0xff, v16
	s_mov_b32 s12, 0
	s_mov_b32 s13, exec_lo
	s_delay_alu instid0(VALU_DEP_1)
	v_cmpx_lt_i16_e32 0x7f, v18
	s_xor_b32 s13, exec_lo, s13
	s_cbranch_execnz .LBB256_73
; %bb.51:
	s_or_saveexec_b32 s13, s13
	v_mov_b32_e32 v17, 0x7f800001
	s_xor_b32 exec_lo, exec_lo, s13
	s_cbranch_execnz .LBB256_76
.LBB256_52:
	s_or_b32 exec_lo, exec_lo, s13
	s_and_saveexec_b32 s13, s12
	s_cbranch_execz .LBB256_54
.LBB256_53:
	v_and_b32_e32 v17, 3, v16
	v_lshrrev_b16 v19, 2, v16
	s_delay_alu instid0(VALU_DEP_2) | instskip(NEXT) | instid1(VALU_DEP_1)
	v_clz_i32_u32_e32 v18, v17
	v_min_u32_e32 v18, 32, v18
	s_delay_alu instid0(VALU_DEP_3) | instskip(NEXT) | instid1(VALU_DEP_2)
	v_and_b32_e32 v19, 31, v19
	v_subrev_nc_u32_e32 v20, 29, v18
	v_sub_nc_u32_e32 v18, 30, v18
	s_delay_alu instid0(VALU_DEP_3) | instskip(NEXT) | instid1(VALU_DEP_2)
	v_cmp_eq_u32_e32 vcc_lo, 0, v19
	v_dual_lshlrev_b32 v20, v20, v16 :: v_dual_cndmask_b32 v18, v19, v18, vcc_lo
	s_delay_alu instid0(VALU_DEP_1) | instskip(NEXT) | instid1(VALU_DEP_2)
	v_and_b32_e32 v20, 3, v20
	v_lshl_add_u32 v18, v18, 23, 0x37800000
	s_delay_alu instid0(VALU_DEP_2) | instskip(NEXT) | instid1(VALU_DEP_1)
	v_cndmask_b32_e32 v17, v17, v20, vcc_lo
	v_dual_lshlrev_b32 v21, 24, v16 :: v_dual_lshlrev_b32 v17, 21, v17
	s_delay_alu instid0(VALU_DEP_1) | instskip(NEXT) | instid1(VALU_DEP_1)
	v_and_b32_e32 v19, 0x80000000, v21
	v_or3_b32 v17, v19, v18, v17
.LBB256_54:
	s_or_b32 exec_lo, exec_lo, s13
	s_delay_alu instid0(VALU_DEP_1)
	v_cmp_neq_f32_e64 s11, s11, v17
	s_branch .LBB256_41
.LBB256_55:
	s_and_b32 s12, s10, 0xff
	s_delay_alu instid0(SALU_CYCLE_1)
	s_cmp_lt_i32 s12, 0x80
	s_cbranch_scc1 .LBB256_314
; %bb.56:
	s_and_b32 s11, 0xffff, s12
	s_mov_b32 s13, -1
	s_cmp_eq_u32 s11, 0x80
	s_cbranch_scc0 .LBB256_58
; %bb.57:
	s_mov_b32 s13, 0
.LBB256_58:
	s_mov_b32 s11, 0x7f800001
	s_branch .LBB256_316
.LBB256_59:
	s_mov_b32 s14, 0
	s_mov_b32 s12, 0x7f800001
	s_cbranch_execz .LBB256_61
; %bb.60:
	s_and_b32 s12, 0xffff, s13
	s_delay_alu instid0(SALU_CYCLE_1)
	s_cmp_lg_u32 s12, 0
	s_mov_b32 s12, 0
	s_cselect_b32 s14, -1, 0
.LBB256_61:
	s_delay_alu instid0(SALU_CYCLE_1)
	s_and_not1_b32 vcc_lo, exec_lo, s14
	s_cbranch_vccnz .LBB256_63
; %bb.62:
	s_mov_b32 s12, s3
.LBB256_63:
	v_and_b32_e32 v17, 0xff, v15
	s_mov_b32 s13, 0
	s_mov_b32 s14, exec_lo
	s_delay_alu instid0(VALU_DEP_1)
	v_cmpx_lt_i16_e32 0x7f, v17
	s_xor_b32 s14, exec_lo, s14
	s_cbranch_execnz .LBB256_77
; %bb.64:
	s_or_saveexec_b32 s14, s14
	v_mov_b32_e32 v16, 0x7f800001
	s_xor_b32 exec_lo, exec_lo, s14
	s_cbranch_execnz .LBB256_80
.LBB256_65:
	s_or_b32 exec_lo, exec_lo, s14
	s_and_saveexec_b32 s14, s13
	s_cbranch_execz .LBB256_67
.LBB256_66:
	v_and_b32_e32 v16, 3, v15
	v_lshrrev_b16 v18, 2, v15
	s_delay_alu instid0(VALU_DEP_2) | instskip(NEXT) | instid1(VALU_DEP_1)
	v_clz_i32_u32_e32 v17, v16
	v_min_u32_e32 v17, 32, v17
	s_delay_alu instid0(VALU_DEP_3) | instskip(NEXT) | instid1(VALU_DEP_2)
	v_and_b32_e32 v18, 31, v18
	v_subrev_nc_u32_e32 v19, 29, v17
	v_sub_nc_u32_e32 v17, 30, v17
	s_delay_alu instid0(VALU_DEP_3) | instskip(NEXT) | instid1(VALU_DEP_2)
	v_cmp_eq_u32_e32 vcc_lo, 0, v18
	v_dual_lshlrev_b32 v19, v19, v15 :: v_dual_cndmask_b32 v17, v18, v17, vcc_lo
	s_delay_alu instid0(VALU_DEP_1) | instskip(NEXT) | instid1(VALU_DEP_2)
	v_and_b32_e32 v19, 3, v19
	v_lshl_add_u32 v17, v17, 23, 0x37800000
	s_delay_alu instid0(VALU_DEP_2) | instskip(NEXT) | instid1(VALU_DEP_1)
	v_cndmask_b32_e32 v16, v16, v19, vcc_lo
	v_dual_lshlrev_b32 v20, 24, v15 :: v_dual_lshlrev_b32 v16, 21, v16
	s_delay_alu instid0(VALU_DEP_1) | instskip(NEXT) | instid1(VALU_DEP_1)
	v_and_b32_e32 v18, 0x80000000, v20
	v_or3_b32 v16, v18, v17, v16
.LBB256_67:
	s_or_b32 exec_lo, exec_lo, s14
	s_delay_alu instid0(VALU_DEP_1)
	v_cmp_neq_f32_e64 s12, s12, v16
.LBB256_68:
	v_cmp_ne_u32_e32 vcc_lo, 1, v2
	s_cbranch_vccnz .LBB256_341
.LBB256_69:
	s_and_b32 s14, s10, 0xff
	s_delay_alu instid0(SALU_CYCLE_1)
	s_cmp_lt_i32 s14, 0x80
	s_cbranch_scc1 .LBB256_81
; %bb.70:
	s_and_b32 s13, 0xffff, s14
	s_mov_b32 s15, -1
	s_cmp_eq_u32 s13, 0x80
	s_cbranch_scc0 .LBB256_72
; %bb.71:
	s_mov_b32 s15, 0
.LBB256_72:
	s_mov_b32 s13, 0x7f800001
	s_branch .LBB256_83
.LBB256_73:
	s_mov_b32 s12, -1
	s_mov_b32 s14, exec_lo
	v_cmpx_eq_u16_e32 0x80, v18
; %bb.74:
	s_xor_b32 s12, exec_lo, -1
; %bb.75:
	s_or_b32 exec_lo, exec_lo, s14
	s_delay_alu instid0(SALU_CYCLE_1)
	s_and_b32 s12, s12, exec_lo
                                        ; implicit-def: $vgpr18
	s_or_saveexec_b32 s13, s13
	v_mov_b32_e32 v17, 0x7f800001
	s_xor_b32 exec_lo, exec_lo, s13
	s_cbranch_execz .LBB256_52
.LBB256_76:
	v_cmp_ne_u16_e32 vcc_lo, 0, v18
	v_mov_b32_e32 v17, 0
	s_and_not1_b32 s12, s12, exec_lo
	s_and_b32 s14, vcc_lo, exec_lo
	s_delay_alu instid0(SALU_CYCLE_1)
	s_or_b32 s12, s12, s14
	s_or_b32 exec_lo, exec_lo, s13
	s_and_saveexec_b32 s13, s12
	s_cbranch_execnz .LBB256_53
	s_branch .LBB256_54
.LBB256_77:
	s_mov_b32 s13, -1
	s_mov_b32 s15, exec_lo
	v_cmpx_eq_u16_e32 0x80, v17
; %bb.78:
	s_xor_b32 s13, exec_lo, -1
; %bb.79:
	s_or_b32 exec_lo, exec_lo, s15
	s_delay_alu instid0(SALU_CYCLE_1)
	s_and_b32 s13, s13, exec_lo
                                        ; implicit-def: $vgpr17
	s_or_saveexec_b32 s14, s14
	v_mov_b32_e32 v16, 0x7f800001
	s_xor_b32 exec_lo, exec_lo, s14
	s_cbranch_execz .LBB256_65
.LBB256_80:
	v_cmp_ne_u16_e32 vcc_lo, 0, v17
	v_mov_b32_e32 v16, 0
	s_and_not1_b32 s13, s13, exec_lo
	s_and_b32 s15, vcc_lo, exec_lo
	s_delay_alu instid0(SALU_CYCLE_1)
	s_or_b32 s13, s13, s15
	s_or_b32 exec_lo, exec_lo, s14
	s_and_saveexec_b32 s14, s13
	s_cbranch_execnz .LBB256_66
	s_branch .LBB256_67
.LBB256_81:
	s_mov_b32 s15, 0
	s_mov_b32 s13, 0x7f800001
	s_cbranch_execz .LBB256_83
; %bb.82:
	s_and_b32 s13, 0xffff, s14
	s_delay_alu instid0(SALU_CYCLE_1)
	s_cmp_lg_u32 s13, 0
	s_mov_b32 s13, 0
	s_cselect_b32 s15, -1, 0
.LBB256_83:
	s_delay_alu instid0(SALU_CYCLE_1)
	s_and_not1_b32 vcc_lo, exec_lo, s15
	s_cbranch_vccnz .LBB256_85
; %bb.84:
	s_mov_b32 s13, s3
.LBB256_85:
	s_mov_b32 s14, 0
	s_mov_b32 s15, exec_lo
	v_cmpx_lt_i16_e32 0x7f, v14
	s_xor_b32 s15, exec_lo, s15
	s_cbranch_execnz .LBB256_95
; %bb.86:
	s_or_saveexec_b32 s15, s15
	v_mov_b32_e32 v15, 0x7f800001
	s_xor_b32 exec_lo, exec_lo, s15
	s_cbranch_execnz .LBB256_98
.LBB256_87:
	s_or_b32 exec_lo, exec_lo, s15
	s_and_saveexec_b32 s15, s14
	s_cbranch_execz .LBB256_89
.LBB256_88:
	v_and_b32_e32 v15, 0xffff, v14
	s_delay_alu instid0(VALU_DEP_1) | instskip(SKIP_1) | instid1(VALU_DEP_2)
	v_and_b32_e32 v16, 3, v15
	v_bfe_u32 v19, v15, 2, 5
	v_clz_i32_u32_e32 v17, v16
	s_delay_alu instid0(VALU_DEP_2) | instskip(NEXT) | instid1(VALU_DEP_2)
	v_cmp_eq_u32_e32 vcc_lo, 0, v19
	v_min_u32_e32 v17, 32, v17
	s_delay_alu instid0(VALU_DEP_1) | instskip(NEXT) | instid1(VALU_DEP_1)
	v_subrev_nc_u32_e32 v18, 29, v17
	v_dual_lshlrev_b32 v15, v18, v15 :: v_dual_sub_nc_u32 v17, 30, v17
	s_delay_alu instid0(VALU_DEP_1) | instskip(NEXT) | instid1(VALU_DEP_1)
	v_dual_lshlrev_b32 v18, 24, v14 :: v_dual_bitop2_b32 v15, 3, v15 bitop3:0x40
	v_dual_cndmask_b32 v17, v19, v17, vcc_lo :: v_dual_cndmask_b32 v15, v16, v15, vcc_lo
	s_delay_alu instid0(VALU_DEP_2) | instskip(NEXT) | instid1(VALU_DEP_2)
	v_and_b32_e32 v16, 0x80000000, v18
	v_lshl_add_u32 v17, v17, 23, 0x37800000
	s_delay_alu instid0(VALU_DEP_3) | instskip(NEXT) | instid1(VALU_DEP_1)
	v_lshlrev_b32_e32 v15, 21, v15
	v_or3_b32 v15, v16, v17, v15
.LBB256_89:
	s_or_b32 exec_lo, exec_lo, s15
	s_delay_alu instid0(VALU_DEP_1)
	v_cmp_neq_f32_e64 s13, s13, v15
.LBB256_90:
	v_cmp_ne_u32_e32 vcc_lo, 1, v2
	s_cbranch_vccnz .LBB256_359
.LBB256_91:
	s_and_b32 s15, s10, 0xff
	s_delay_alu instid0(SALU_CYCLE_1)
	s_cmp_lt_i32 s15, 0x80
	s_cbranch_scc1 .LBB256_99
; %bb.92:
	s_and_b32 s14, 0xffff, s15
	s_mov_b32 s16, -1
	s_cmp_eq_u32 s14, 0x80
	s_cbranch_scc0 .LBB256_94
; %bb.93:
	s_mov_b32 s16, 0
.LBB256_94:
	s_mov_b32 s14, 0x7f800001
	s_branch .LBB256_101
.LBB256_95:
	s_mov_b32 s14, -1
	s_mov_b32 s16, exec_lo
	v_cmpx_eq_u16_e32 0x80, v14
; %bb.96:
	s_xor_b32 s14, exec_lo, -1
; %bb.97:
	s_or_b32 exec_lo, exec_lo, s16
	s_delay_alu instid0(SALU_CYCLE_1)
	s_and_b32 s14, s14, exec_lo
	s_or_saveexec_b32 s15, s15
	v_mov_b32_e32 v15, 0x7f800001
	s_xor_b32 exec_lo, exec_lo, s15
	s_cbranch_execz .LBB256_87
.LBB256_98:
	v_cmp_ne_u16_e32 vcc_lo, 0, v14
	v_mov_b32_e32 v15, 0
	s_and_not1_b32 s14, s14, exec_lo
	s_and_b32 s16, vcc_lo, exec_lo
	s_delay_alu instid0(SALU_CYCLE_1)
	s_or_b32 s14, s14, s16
	s_or_b32 exec_lo, exec_lo, s15
	s_and_saveexec_b32 s15, s14
	s_cbranch_execnz .LBB256_88
	s_branch .LBB256_89
.LBB256_99:
	s_mov_b32 s16, 0
	s_mov_b32 s14, 0x7f800001
	s_cbranch_execz .LBB256_101
; %bb.100:
	s_and_b32 s14, 0xffff, s15
	s_delay_alu instid0(SALU_CYCLE_1)
	s_cmp_lg_u32 s14, 0
	s_mov_b32 s14, 0
	s_cselect_b32 s16, -1, 0
.LBB256_101:
	s_delay_alu instid0(SALU_CYCLE_1)
	s_and_not1_b32 vcc_lo, exec_lo, s16
	s_cbranch_vccnz .LBB256_103
; %bb.102:
	s_mov_b32 s14, s3
.LBB256_103:
	v_and_b32_e32 v15, 0xff, v3
	s_mov_b32 s15, 0
	s_mov_b32 s16, exec_lo
	s_delay_alu instid0(VALU_DEP_1)
	v_cmpx_lt_i16_e32 0x7f, v15
	s_xor_b32 s16, exec_lo, s16
	s_cbranch_execnz .LBB256_113
; %bb.104:
	s_or_saveexec_b32 s16, s16
	v_mov_b32_e32 v14, 0x7f800001
	s_xor_b32 exec_lo, exec_lo, s16
	s_cbranch_execnz .LBB256_116
.LBB256_105:
	s_or_b32 exec_lo, exec_lo, s16
	s_and_saveexec_b32 s16, s15
	s_cbranch_execz .LBB256_107
.LBB256_106:
	v_and_b32_e32 v14, 3, v3
	v_lshrrev_b16 v16, 2, v3
	v_lshlrev_b32_e32 v18, 24, v3
	s_delay_alu instid0(VALU_DEP_3) | instskip(NEXT) | instid1(VALU_DEP_1)
	v_clz_i32_u32_e32 v15, v14
	v_min_u32_e32 v15, 32, v15
	s_delay_alu instid0(VALU_DEP_4) | instskip(NEXT) | instid1(VALU_DEP_2)
	v_and_b32_e32 v16, 31, v16
	v_subrev_nc_u32_e32 v17, 29, v15
	v_sub_nc_u32_e32 v15, 30, v15
	s_delay_alu instid0(VALU_DEP_3) | instskip(NEXT) | instid1(VALU_DEP_3)
	v_cmp_eq_u32_e32 vcc_lo, 0, v16
	v_lshlrev_b32_e32 v17, v17, v3
	s_delay_alu instid0(VALU_DEP_1) | instskip(SKIP_1) | instid1(VALU_DEP_2)
	v_dual_cndmask_b32 v15, v16, v15, vcc_lo :: v_dual_bitop2_b32 v17, 3, v17 bitop3:0x40
	v_and_b32_e32 v16, 0x80000000, v18
	v_cndmask_b32_e32 v14, v14, v17, vcc_lo
	s_delay_alu instid0(VALU_DEP_3) | instskip(NEXT) | instid1(VALU_DEP_2)
	v_lshl_add_u32 v15, v15, 23, 0x37800000
	v_lshlrev_b32_e32 v14, 21, v14
	s_delay_alu instid0(VALU_DEP_1)
	v_or3_b32 v14, v16, v15, v14
.LBB256_107:
	s_or_b32 exec_lo, exec_lo, s16
	s_delay_alu instid0(VALU_DEP_1)
	v_cmp_neq_f32_e64 s14, s14, v14
.LBB256_108:
	v_cmp_ne_u32_e32 vcc_lo, 1, v2
	s_cbranch_vccnz .LBB256_377
.LBB256_109:
	s_and_b32 s16, s10, 0xff
	s_delay_alu instid0(SALU_CYCLE_1)
	s_cmp_lt_i32 s16, 0x80
	s_cbranch_scc1 .LBB256_117
; %bb.110:
	s_and_b32 s15, 0xffff, s16
	s_mov_b32 s17, -1
	s_cmp_eq_u32 s15, 0x80
	s_cbranch_scc0 .LBB256_112
; %bb.111:
	s_mov_b32 s17, 0
.LBB256_112:
	s_mov_b32 s15, 0x7f800001
	s_branch .LBB256_119
.LBB256_113:
	s_mov_b32 s15, -1
	s_mov_b32 s17, exec_lo
	v_cmpx_eq_u16_e32 0x80, v15
; %bb.114:
	s_xor_b32 s15, exec_lo, -1
; %bb.115:
	s_or_b32 exec_lo, exec_lo, s17
	s_delay_alu instid0(SALU_CYCLE_1)
	s_and_b32 s15, s15, exec_lo
                                        ; implicit-def: $vgpr15
	s_or_saveexec_b32 s16, s16
	v_mov_b32_e32 v14, 0x7f800001
	s_xor_b32 exec_lo, exec_lo, s16
	s_cbranch_execz .LBB256_105
.LBB256_116:
	v_cmp_ne_u16_e32 vcc_lo, 0, v15
	v_mov_b32_e32 v14, 0
	s_and_not1_b32 s15, s15, exec_lo
	s_and_b32 s17, vcc_lo, exec_lo
	s_delay_alu instid0(SALU_CYCLE_1)
	s_or_b32 s15, s15, s17
	s_or_b32 exec_lo, exec_lo, s16
	s_and_saveexec_b32 s16, s15
	s_cbranch_execnz .LBB256_106
	s_branch .LBB256_107
.LBB256_117:
	s_mov_b32 s17, 0
	s_mov_b32 s15, 0x7f800001
	s_cbranch_execz .LBB256_119
; %bb.118:
	s_and_b32 s15, 0xffff, s16
	s_delay_alu instid0(SALU_CYCLE_1)
	s_cmp_lg_u32 s15, 0
	s_mov_b32 s15, 0
	s_cselect_b32 s17, -1, 0
.LBB256_119:
	s_delay_alu instid0(SALU_CYCLE_1)
	s_and_not1_b32 vcc_lo, exec_lo, s17
	s_cbranch_vccnz .LBB256_121
; %bb.120:
	s_mov_b32 s15, s3
.LBB256_121:
	v_and_b32_e32 v14, 0xff, v13
	s_mov_b32 s16, 0
	s_mov_b32 s17, exec_lo
	s_delay_alu instid0(VALU_DEP_1)
	v_cmpx_lt_i16_e32 0x7f, v14
	s_xor_b32 s17, exec_lo, s17
	s_cbranch_execnz .LBB256_131
; %bb.122:
	s_or_saveexec_b32 s17, s17
	v_mov_b32_e32 v3, 0x7f800001
	s_xor_b32 exec_lo, exec_lo, s17
	s_cbranch_execnz .LBB256_134
.LBB256_123:
	s_or_b32 exec_lo, exec_lo, s17
	s_and_saveexec_b32 s17, s16
	s_cbranch_execz .LBB256_125
.LBB256_124:
	v_and_b32_e32 v3, 3, v13
	v_lshrrev_b16 v15, 2, v13
	v_lshlrev_b32_e32 v17, 24, v13
	s_delay_alu instid0(VALU_DEP_3) | instskip(NEXT) | instid1(VALU_DEP_1)
	v_clz_i32_u32_e32 v14, v3
	v_min_u32_e32 v14, 32, v14
	s_delay_alu instid0(VALU_DEP_4) | instskip(NEXT) | instid1(VALU_DEP_2)
	v_and_b32_e32 v15, 31, v15
	v_subrev_nc_u32_e32 v16, 29, v14
	v_sub_nc_u32_e32 v14, 30, v14
	s_delay_alu instid0(VALU_DEP_3) | instskip(NEXT) | instid1(VALU_DEP_3)
	v_cmp_eq_u32_e32 vcc_lo, 0, v15
	v_lshlrev_b32_e32 v16, v16, v13
	s_delay_alu instid0(VALU_DEP_1) | instskip(NEXT) | instid1(VALU_DEP_1)
	v_and_b32_e32 v16, 3, v16
	v_cndmask_b32_e32 v3, v3, v16, vcc_lo
	v_cndmask_b32_e32 v14, v15, v14, vcc_lo
	v_and_b32_e32 v15, 0x80000000, v17
	s_delay_alu instid0(VALU_DEP_3) | instskip(NEXT) | instid1(VALU_DEP_3)
	v_lshlrev_b32_e32 v3, 21, v3
	v_lshl_add_u32 v14, v14, 23, 0x37800000
	s_delay_alu instid0(VALU_DEP_1)
	v_or3_b32 v3, v15, v14, v3
.LBB256_125:
	s_or_b32 exec_lo, exec_lo, s17
	s_delay_alu instid0(VALU_DEP_1)
	v_cmp_neq_f32_e64 s15, s15, v3
.LBB256_126:
	v_cmp_ne_u32_e32 vcc_lo, 1, v2
	s_cbranch_vccnz .LBB256_395
.LBB256_127:
	s_and_b32 s17, s10, 0xff
	s_delay_alu instid0(SALU_CYCLE_1)
	s_cmp_lt_i32 s17, 0x80
	s_cbranch_scc1 .LBB256_135
; %bb.128:
	s_and_b32 s16, 0xffff, s17
	s_mov_b32 s18, -1
	s_cmp_eq_u32 s16, 0x80
	s_cbranch_scc0 .LBB256_130
; %bb.129:
	s_mov_b32 s18, 0
.LBB256_130:
	s_mov_b32 s16, 0x7f800001
	s_branch .LBB256_137
.LBB256_131:
	s_mov_b32 s16, -1
	s_mov_b32 s18, exec_lo
	v_cmpx_eq_u16_e32 0x80, v14
; %bb.132:
	s_xor_b32 s16, exec_lo, -1
; %bb.133:
	s_or_b32 exec_lo, exec_lo, s18
	s_delay_alu instid0(SALU_CYCLE_1)
	s_and_b32 s16, s16, exec_lo
                                        ; implicit-def: $vgpr14
	s_or_saveexec_b32 s17, s17
	v_mov_b32_e32 v3, 0x7f800001
	s_xor_b32 exec_lo, exec_lo, s17
	s_cbranch_execz .LBB256_123
.LBB256_134:
	v_cmp_ne_u16_e32 vcc_lo, 0, v14
	v_mov_b32_e32 v3, 0
	s_and_not1_b32 s16, s16, exec_lo
	s_and_b32 s18, vcc_lo, exec_lo
	s_delay_alu instid0(SALU_CYCLE_1)
	s_or_b32 s16, s16, s18
	s_or_b32 exec_lo, exec_lo, s17
	s_and_saveexec_b32 s17, s16
	s_cbranch_execnz .LBB256_124
	s_branch .LBB256_125
.LBB256_135:
	s_mov_b32 s18, 0
	s_mov_b32 s16, 0x7f800001
	s_cbranch_execz .LBB256_137
; %bb.136:
	s_and_b32 s16, 0xffff, s17
	s_delay_alu instid0(SALU_CYCLE_1)
	s_cmp_lg_u32 s16, 0
	s_mov_b32 s16, 0
	s_cselect_b32 s18, -1, 0
.LBB256_137:
	s_delay_alu instid0(SALU_CYCLE_1)
	s_and_not1_b32 vcc_lo, exec_lo, s18
	s_cbranch_vccnz .LBB256_139
; %bb.138:
	s_mov_b32 s16, s3
.LBB256_139:
	v_and_b32_e32 v13, 0xff, v12
	s_mov_b32 s17, 0
	s_mov_b32 s18, exec_lo
	s_delay_alu instid0(VALU_DEP_1)
	v_cmpx_lt_i16_e32 0x7f, v13
	s_xor_b32 s18, exec_lo, s18
	s_cbranch_execnz .LBB256_149
; %bb.140:
	s_or_saveexec_b32 s18, s18
	v_mov_b32_e32 v3, 0x7f800001
	s_xor_b32 exec_lo, exec_lo, s18
	s_cbranch_execnz .LBB256_152
.LBB256_141:
	s_or_b32 exec_lo, exec_lo, s18
	s_and_saveexec_b32 s18, s17
	s_cbranch_execz .LBB256_143
.LBB256_142:
	v_and_b32_e32 v3, 3, v12
	v_lshrrev_b16 v14, 2, v12
	v_lshlrev_b32_e32 v16, 24, v12
	s_delay_alu instid0(VALU_DEP_3) | instskip(NEXT) | instid1(VALU_DEP_1)
	v_clz_i32_u32_e32 v13, v3
	v_min_u32_e32 v13, 32, v13
	s_delay_alu instid0(VALU_DEP_4) | instskip(NEXT) | instid1(VALU_DEP_2)
	v_and_b32_e32 v14, 31, v14
	v_subrev_nc_u32_e32 v15, 29, v13
	v_sub_nc_u32_e32 v13, 30, v13
	s_delay_alu instid0(VALU_DEP_3) | instskip(NEXT) | instid1(VALU_DEP_3)
	v_cmp_eq_u32_e32 vcc_lo, 0, v14
	v_lshlrev_b32_e32 v15, v15, v12
	s_delay_alu instid0(VALU_DEP_1) | instskip(SKIP_1) | instid1(VALU_DEP_2)
	v_dual_cndmask_b32 v13, v14, v13, vcc_lo :: v_dual_bitop2_b32 v15, 3, v15 bitop3:0x40
	v_and_b32_e32 v14, 0x80000000, v16
	v_cndmask_b32_e32 v3, v3, v15, vcc_lo
	s_delay_alu instid0(VALU_DEP_3) | instskip(NEXT) | instid1(VALU_DEP_2)
	v_lshl_add_u32 v13, v13, 23, 0x37800000
	v_lshlrev_b32_e32 v3, 21, v3
	s_delay_alu instid0(VALU_DEP_1)
	v_or3_b32 v3, v14, v13, v3
.LBB256_143:
	s_or_b32 exec_lo, exec_lo, s18
	s_delay_alu instid0(VALU_DEP_1)
	v_cmp_neq_f32_e64 s16, s16, v3
.LBB256_144:
	v_cmp_ne_u32_e32 vcc_lo, 1, v2
	s_cbranch_vccnz .LBB256_413
.LBB256_145:
	s_and_b32 s18, s10, 0xff
	s_delay_alu instid0(SALU_CYCLE_1)
	s_cmp_lt_i32 s18, 0x80
	s_cbranch_scc1 .LBB256_153
; %bb.146:
	s_and_b32 s17, 0xffff, s18
	s_mov_b32 s19, -1
	s_cmp_eq_u32 s17, 0x80
	s_cbranch_scc0 .LBB256_148
; %bb.147:
	s_mov_b32 s19, 0
.LBB256_148:
	s_mov_b32 s17, 0x7f800001
	s_branch .LBB256_155
.LBB256_149:
	s_mov_b32 s17, -1
	s_mov_b32 s19, exec_lo
	v_cmpx_eq_u16_e32 0x80, v13
; %bb.150:
	s_xor_b32 s17, exec_lo, -1
; %bb.151:
	s_or_b32 exec_lo, exec_lo, s19
	s_delay_alu instid0(SALU_CYCLE_1)
	s_and_b32 s17, s17, exec_lo
                                        ; implicit-def: $vgpr13
	s_or_saveexec_b32 s18, s18
	v_mov_b32_e32 v3, 0x7f800001
	s_xor_b32 exec_lo, exec_lo, s18
	s_cbranch_execz .LBB256_141
.LBB256_152:
	v_cmp_ne_u16_e32 vcc_lo, 0, v13
	v_mov_b32_e32 v3, 0
	s_and_not1_b32 s17, s17, exec_lo
	s_and_b32 s19, vcc_lo, exec_lo
	s_delay_alu instid0(SALU_CYCLE_1)
	s_or_b32 s17, s17, s19
	s_or_b32 exec_lo, exec_lo, s18
	s_and_saveexec_b32 s18, s17
	s_cbranch_execnz .LBB256_142
	s_branch .LBB256_143
.LBB256_153:
	s_mov_b32 s19, 0
	s_mov_b32 s17, 0x7f800001
	s_cbranch_execz .LBB256_155
; %bb.154:
	s_and_b32 s17, 0xffff, s18
	s_delay_alu instid0(SALU_CYCLE_1)
	s_cmp_lg_u32 s17, 0
	s_mov_b32 s17, 0
	s_cselect_b32 s19, -1, 0
.LBB256_155:
	s_delay_alu instid0(SALU_CYCLE_1)
	s_and_not1_b32 vcc_lo, exec_lo, s19
	s_cbranch_vccnz .LBB256_157
; %bb.156:
	s_mov_b32 s17, s3
.LBB256_157:
	s_mov_b32 s18, 0
	s_mov_b32 s19, exec_lo
	v_cmpx_lt_i16_e32 0x7f, v11
	s_xor_b32 s19, exec_lo, s19
	s_cbranch_execnz .LBB256_167
; %bb.158:
	s_or_saveexec_b32 s19, s19
	v_mov_b32_e32 v3, 0x7f800001
	s_xor_b32 exec_lo, exec_lo, s19
	s_cbranch_execnz .LBB256_170
.LBB256_159:
	s_or_b32 exec_lo, exec_lo, s19
	s_and_saveexec_b32 s19, s18
	s_cbranch_execz .LBB256_161
.LBB256_160:
	v_and_b32_e32 v3, 0xffff, v11
	s_delay_alu instid0(VALU_DEP_1) | instskip(SKIP_1) | instid1(VALU_DEP_2)
	v_and_b32_e32 v12, 3, v3
	v_bfe_u32 v15, v3, 2, 5
	v_clz_i32_u32_e32 v13, v12
	s_delay_alu instid0(VALU_DEP_2) | instskip(NEXT) | instid1(VALU_DEP_2)
	v_cmp_eq_u32_e32 vcc_lo, 0, v15
	v_min_u32_e32 v13, 32, v13
	s_delay_alu instid0(VALU_DEP_1) | instskip(NEXT) | instid1(VALU_DEP_1)
	v_subrev_nc_u32_e32 v14, 29, v13
	v_dual_lshlrev_b32 v3, v14, v3 :: v_dual_sub_nc_u32 v13, 30, v13
	s_delay_alu instid0(VALU_DEP_1) | instskip(NEXT) | instid1(VALU_DEP_2)
	v_and_b32_e32 v3, 3, v3
	v_dual_cndmask_b32 v13, v15, v13 :: v_dual_lshlrev_b32 v14, 24, v11
	s_delay_alu instid0(VALU_DEP_2) | instskip(NEXT) | instid1(VALU_DEP_2)
	v_cndmask_b32_e32 v3, v12, v3, vcc_lo
	v_and_b32_e32 v12, 0x80000000, v14
	s_delay_alu instid0(VALU_DEP_3) | instskip(NEXT) | instid1(VALU_DEP_3)
	v_lshl_add_u32 v13, v13, 23, 0x37800000
	v_lshlrev_b32_e32 v3, 21, v3
	s_delay_alu instid0(VALU_DEP_1)
	v_or3_b32 v3, v12, v13, v3
.LBB256_161:
	s_or_b32 exec_lo, exec_lo, s19
	s_delay_alu instid0(VALU_DEP_1)
	v_cmp_neq_f32_e64 s17, s17, v3
.LBB256_162:
	v_cmp_ne_u32_e32 vcc_lo, 1, v2
	s_cbranch_vccnz .LBB256_431
.LBB256_163:
	s_and_b32 s19, s10, 0xff
	s_delay_alu instid0(SALU_CYCLE_1)
	s_cmp_lt_i32 s19, 0x80
	s_cbranch_scc1 .LBB256_171
; %bb.164:
	s_and_b32 s18, 0xffff, s19
	s_mov_b32 s20, -1
	s_cmp_eq_u32 s18, 0x80
	s_cbranch_scc0 .LBB256_166
; %bb.165:
	s_mov_b32 s20, 0
.LBB256_166:
	s_mov_b32 s18, 0x7f800001
	s_branch .LBB256_173
.LBB256_167:
	s_mov_b32 s18, -1
	s_mov_b32 s20, exec_lo
	v_cmpx_eq_u16_e32 0x80, v11
; %bb.168:
	s_xor_b32 s18, exec_lo, -1
; %bb.169:
	s_or_b32 exec_lo, exec_lo, s20
	s_delay_alu instid0(SALU_CYCLE_1)
	s_and_b32 s18, s18, exec_lo
	s_or_saveexec_b32 s19, s19
	v_mov_b32_e32 v3, 0x7f800001
	s_xor_b32 exec_lo, exec_lo, s19
	s_cbranch_execz .LBB256_159
.LBB256_170:
	v_cmp_ne_u16_e32 vcc_lo, 0, v11
	v_mov_b32_e32 v3, 0
	s_and_not1_b32 s18, s18, exec_lo
	s_and_b32 s20, vcc_lo, exec_lo
	s_delay_alu instid0(SALU_CYCLE_1)
	s_or_b32 s18, s18, s20
	s_or_b32 exec_lo, exec_lo, s19
	s_and_saveexec_b32 s19, s18
	s_cbranch_execnz .LBB256_160
	s_branch .LBB256_161
.LBB256_171:
	s_mov_b32 s20, 0
	s_mov_b32 s18, 0x7f800001
	s_cbranch_execz .LBB256_173
; %bb.172:
	s_and_b32 s18, 0xffff, s19
	s_delay_alu instid0(SALU_CYCLE_1)
	s_cmp_lg_u32 s18, 0
	s_mov_b32 s18, 0
	s_cselect_b32 s20, -1, 0
.LBB256_173:
	s_delay_alu instid0(SALU_CYCLE_1)
	s_and_not1_b32 vcc_lo, exec_lo, s20
	s_cbranch_vccnz .LBB256_175
; %bb.174:
	s_mov_b32 s18, s3
.LBB256_175:
	v_and_b32_e32 v11, 0xff, v4
	s_mov_b32 s19, 0
	s_mov_b32 s20, exec_lo
	s_delay_alu instid0(VALU_DEP_1)
	v_cmpx_lt_i16_e32 0x7f, v11
	s_xor_b32 s20, exec_lo, s20
	s_cbranch_execnz .LBB256_185
; %bb.176:
	s_or_saveexec_b32 s20, s20
	v_mov_b32_e32 v3, 0x7f800001
	s_xor_b32 exec_lo, exec_lo, s20
	s_cbranch_execnz .LBB256_188
.LBB256_177:
	s_or_b32 exec_lo, exec_lo, s20
	s_and_saveexec_b32 s20, s19
	s_cbranch_execz .LBB256_179
.LBB256_178:
	v_and_b32_e32 v3, 3, v4
	v_lshrrev_b16 v12, 2, v4
	v_lshlrev_b32_e32 v14, 24, v4
	s_delay_alu instid0(VALU_DEP_3) | instskip(NEXT) | instid1(VALU_DEP_1)
	v_clz_i32_u32_e32 v11, v3
	v_min_u32_e32 v11, 32, v11
	s_delay_alu instid0(VALU_DEP_4) | instskip(NEXT) | instid1(VALU_DEP_2)
	v_and_b32_e32 v12, 31, v12
	v_subrev_nc_u32_e32 v13, 29, v11
	v_sub_nc_u32_e32 v11, 30, v11
	s_delay_alu instid0(VALU_DEP_3) | instskip(NEXT) | instid1(VALU_DEP_3)
	v_cmp_eq_u32_e32 vcc_lo, 0, v12
	v_lshlrev_b32_e32 v13, v13, v4
	s_delay_alu instid0(VALU_DEP_1) | instskip(SKIP_1) | instid1(VALU_DEP_2)
	v_dual_cndmask_b32 v11, v12, v11, vcc_lo :: v_dual_bitop2_b32 v13, 3, v13 bitop3:0x40
	v_and_b32_e32 v12, 0x80000000, v14
	v_cndmask_b32_e32 v3, v3, v13, vcc_lo
	s_delay_alu instid0(VALU_DEP_3) | instskip(NEXT) | instid1(VALU_DEP_2)
	v_lshl_add_u32 v11, v11, 23, 0x37800000
	v_lshlrev_b32_e32 v3, 21, v3
	s_delay_alu instid0(VALU_DEP_1)
	v_or3_b32 v3, v12, v11, v3
.LBB256_179:
	s_or_b32 exec_lo, exec_lo, s20
	s_delay_alu instid0(VALU_DEP_1)
	v_cmp_neq_f32_e64 s18, s18, v3
.LBB256_180:
	v_cmp_ne_u32_e32 vcc_lo, 1, v2
	s_cbranch_vccnz .LBB256_449
.LBB256_181:
	s_and_b32 s20, s10, 0xff
	s_delay_alu instid0(SALU_CYCLE_1)
	s_cmp_lt_i32 s20, 0x80
	s_cbranch_scc1 .LBB256_189
; %bb.182:
	s_and_b32 s19, 0xffff, s20
	s_mov_b32 s21, -1
	s_cmp_eq_u32 s19, 0x80
	s_cbranch_scc0 .LBB256_184
; %bb.183:
	s_mov_b32 s21, 0
.LBB256_184:
	s_mov_b32 s19, 0x7f800001
	s_branch .LBB256_191
.LBB256_185:
	s_mov_b32 s19, -1
	s_mov_b32 s21, exec_lo
	v_cmpx_eq_u16_e32 0x80, v11
; %bb.186:
	s_xor_b32 s19, exec_lo, -1
; %bb.187:
	s_or_b32 exec_lo, exec_lo, s21
	s_delay_alu instid0(SALU_CYCLE_1)
	s_and_b32 s19, s19, exec_lo
                                        ; implicit-def: $vgpr11
	s_or_saveexec_b32 s20, s20
	v_mov_b32_e32 v3, 0x7f800001
	s_xor_b32 exec_lo, exec_lo, s20
	s_cbranch_execz .LBB256_177
.LBB256_188:
	v_cmp_ne_u16_e32 vcc_lo, 0, v11
	v_mov_b32_e32 v3, 0
	s_and_not1_b32 s19, s19, exec_lo
	s_and_b32 s21, vcc_lo, exec_lo
	s_delay_alu instid0(SALU_CYCLE_1)
	s_or_b32 s19, s19, s21
	s_or_b32 exec_lo, exec_lo, s20
	s_and_saveexec_b32 s20, s19
	s_cbranch_execnz .LBB256_178
	s_branch .LBB256_179
.LBB256_189:
	s_mov_b32 s21, 0
	s_mov_b32 s19, 0x7f800001
	s_cbranch_execz .LBB256_191
; %bb.190:
	s_and_b32 s19, 0xffff, s20
	s_delay_alu instid0(SALU_CYCLE_1)
	s_cmp_lg_u32 s19, 0
	s_mov_b32 s19, 0
	s_cselect_b32 s21, -1, 0
.LBB256_191:
	s_delay_alu instid0(SALU_CYCLE_1)
	s_and_not1_b32 vcc_lo, exec_lo, s21
	s_cbranch_vccnz .LBB256_193
; %bb.192:
	s_mov_b32 s19, s3
.LBB256_193:
	v_and_b32_e32 v4, 0xff, v10
	s_mov_b32 s20, 0
	s_mov_b32 s21, exec_lo
	s_delay_alu instid0(VALU_DEP_1)
	v_cmpx_lt_i16_e32 0x7f, v4
	s_xor_b32 s21, exec_lo, s21
	s_cbranch_execnz .LBB256_203
; %bb.194:
	s_or_saveexec_b32 s21, s21
	v_mov_b32_e32 v3, 0x7f800001
	s_xor_b32 exec_lo, exec_lo, s21
	s_cbranch_execnz .LBB256_206
.LBB256_195:
	s_or_b32 exec_lo, exec_lo, s21
	s_and_saveexec_b32 s21, s20
	s_cbranch_execz .LBB256_197
.LBB256_196:
	v_and_b32_e32 v3, 3, v10
	v_lshrrev_b16 v11, 2, v10
	v_lshlrev_b32_e32 v13, 24, v10
	s_delay_alu instid0(VALU_DEP_3) | instskip(NEXT) | instid1(VALU_DEP_1)
	v_clz_i32_u32_e32 v4, v3
	v_min_u32_e32 v4, 32, v4
	s_delay_alu instid0(VALU_DEP_4) | instskip(NEXT) | instid1(VALU_DEP_2)
	v_and_b32_e32 v11, 31, v11
	v_subrev_nc_u32_e32 v12, 29, v4
	v_sub_nc_u32_e32 v4, 30, v4
	s_delay_alu instid0(VALU_DEP_3) | instskip(NEXT) | instid1(VALU_DEP_3)
	v_cmp_eq_u32_e32 vcc_lo, 0, v11
	v_lshlrev_b32_e32 v12, v12, v10
	s_delay_alu instid0(VALU_DEP_1) | instskip(NEXT) | instid1(VALU_DEP_1)
	v_and_b32_e32 v12, 3, v12
	v_cndmask_b32_e32 v3, v3, v12, vcc_lo
	v_cndmask_b32_e32 v4, v11, v4, vcc_lo
	v_and_b32_e32 v11, 0x80000000, v13
	s_delay_alu instid0(VALU_DEP_3) | instskip(NEXT) | instid1(VALU_DEP_3)
	v_lshlrev_b32_e32 v3, 21, v3
	v_lshl_add_u32 v4, v4, 23, 0x37800000
	s_delay_alu instid0(VALU_DEP_1)
	v_or3_b32 v3, v11, v4, v3
.LBB256_197:
	s_or_b32 exec_lo, exec_lo, s21
	s_delay_alu instid0(VALU_DEP_1)
	v_cmp_neq_f32_e64 s19, s19, v3
.LBB256_198:
	v_cmp_ne_u32_e32 vcc_lo, 1, v2
	s_cbranch_vccnz .LBB256_467
.LBB256_199:
	s_and_b32 s21, s10, 0xff
	s_delay_alu instid0(SALU_CYCLE_1)
	s_cmp_lt_i32 s21, 0x80
	s_cbranch_scc1 .LBB256_207
; %bb.200:
	s_and_b32 s20, 0xffff, s21
	s_mov_b32 s22, -1
	s_cmp_eq_u32 s20, 0x80
	s_cbranch_scc0 .LBB256_202
; %bb.201:
	s_mov_b32 s22, 0
.LBB256_202:
	s_mov_b32 s20, 0x7f800001
	s_branch .LBB256_209
.LBB256_203:
	s_mov_b32 s20, -1
	s_mov_b32 s22, exec_lo
	v_cmpx_eq_u16_e32 0x80, v4
; %bb.204:
	s_xor_b32 s20, exec_lo, -1
; %bb.205:
	s_or_b32 exec_lo, exec_lo, s22
	s_delay_alu instid0(SALU_CYCLE_1)
	s_and_b32 s20, s20, exec_lo
                                        ; implicit-def: $vgpr4
	s_or_saveexec_b32 s21, s21
	v_mov_b32_e32 v3, 0x7f800001
	s_xor_b32 exec_lo, exec_lo, s21
	s_cbranch_execz .LBB256_195
.LBB256_206:
	v_cmp_ne_u16_e32 vcc_lo, 0, v4
	v_mov_b32_e32 v3, 0
	s_and_not1_b32 s20, s20, exec_lo
	s_and_b32 s22, vcc_lo, exec_lo
	s_delay_alu instid0(SALU_CYCLE_1)
	s_or_b32 s20, s20, s22
	s_or_b32 exec_lo, exec_lo, s21
	s_and_saveexec_b32 s21, s20
	s_cbranch_execnz .LBB256_196
	s_branch .LBB256_197
.LBB256_207:
	s_mov_b32 s22, 0
	s_mov_b32 s20, 0x7f800001
	s_cbranch_execz .LBB256_209
; %bb.208:
	s_and_b32 s20, 0xffff, s21
	s_delay_alu instid0(SALU_CYCLE_1)
	s_cmp_lg_u32 s20, 0
	s_mov_b32 s20, 0
	s_cselect_b32 s22, -1, 0
.LBB256_209:
	s_delay_alu instid0(SALU_CYCLE_1)
	s_and_not1_b32 vcc_lo, exec_lo, s22
	s_cbranch_vccnz .LBB256_211
; %bb.210:
	s_mov_b32 s20, s3
.LBB256_211:
	v_and_b32_e32 v4, 0xff, v9
	s_mov_b32 s21, 0
	s_mov_b32 s22, exec_lo
	s_delay_alu instid0(VALU_DEP_1)
	v_cmpx_lt_i16_e32 0x7f, v4
	s_xor_b32 s22, exec_lo, s22
	s_cbranch_execnz .LBB256_221
; %bb.212:
	s_or_saveexec_b32 s22, s22
	v_mov_b32_e32 v3, 0x7f800001
	s_xor_b32 exec_lo, exec_lo, s22
	s_cbranch_execnz .LBB256_224
.LBB256_213:
	s_or_b32 exec_lo, exec_lo, s22
	s_and_saveexec_b32 s22, s21
	s_cbranch_execz .LBB256_215
.LBB256_214:
	v_and_b32_e32 v3, 3, v9
	v_lshrrev_b16 v10, 2, v9
	v_lshlrev_b32_e32 v12, 24, v9
	s_delay_alu instid0(VALU_DEP_3) | instskip(NEXT) | instid1(VALU_DEP_1)
	v_clz_i32_u32_e32 v4, v3
	v_min_u32_e32 v4, 32, v4
	s_delay_alu instid0(VALU_DEP_4) | instskip(NEXT) | instid1(VALU_DEP_2)
	v_and_b32_e32 v10, 31, v10
	v_subrev_nc_u32_e32 v11, 29, v4
	v_sub_nc_u32_e32 v4, 30, v4
	s_delay_alu instid0(VALU_DEP_3) | instskip(NEXT) | instid1(VALU_DEP_3)
	v_cmp_eq_u32_e32 vcc_lo, 0, v10
	v_lshlrev_b32_e32 v11, v11, v9
	s_delay_alu instid0(VALU_DEP_1) | instskip(SKIP_1) | instid1(VALU_DEP_2)
	v_dual_cndmask_b32 v4, v10, v4, vcc_lo :: v_dual_bitop2_b32 v11, 3, v11 bitop3:0x40
	v_and_b32_e32 v10, 0x80000000, v12
	v_cndmask_b32_e32 v3, v3, v11, vcc_lo
	s_delay_alu instid0(VALU_DEP_3) | instskip(NEXT) | instid1(VALU_DEP_2)
	v_lshl_add_u32 v4, v4, 23, 0x37800000
	v_lshlrev_b32_e32 v3, 21, v3
	s_delay_alu instid0(VALU_DEP_1)
	v_or3_b32 v3, v10, v4, v3
.LBB256_215:
	s_or_b32 exec_lo, exec_lo, s22
	s_delay_alu instid0(VALU_DEP_1)
	v_cmp_neq_f32_e64 s20, s20, v3
.LBB256_216:
	v_cmp_ne_u32_e32 vcc_lo, 1, v2
	s_cbranch_vccnz .LBB256_485
.LBB256_217:
	s_and_b32 s22, s10, 0xff
	s_delay_alu instid0(SALU_CYCLE_1)
	s_cmp_lt_i32 s22, 0x80
	s_cbranch_scc1 .LBB256_225
; %bb.218:
	s_and_b32 s21, 0xffff, s22
	s_mov_b32 s23, -1
	s_cmp_eq_u32 s21, 0x80
	s_cbranch_scc0 .LBB256_220
; %bb.219:
	s_mov_b32 s23, 0
.LBB256_220:
	s_mov_b32 s21, 0x7f800001
	s_branch .LBB256_227
.LBB256_221:
	s_mov_b32 s21, -1
	s_mov_b32 s23, exec_lo
	v_cmpx_eq_u16_e32 0x80, v4
; %bb.222:
	s_xor_b32 s21, exec_lo, -1
; %bb.223:
	s_or_b32 exec_lo, exec_lo, s23
	s_delay_alu instid0(SALU_CYCLE_1)
	s_and_b32 s21, s21, exec_lo
                                        ; implicit-def: $vgpr4
	s_or_saveexec_b32 s22, s22
	v_mov_b32_e32 v3, 0x7f800001
	s_xor_b32 exec_lo, exec_lo, s22
	s_cbranch_execz .LBB256_213
.LBB256_224:
	v_cmp_ne_u16_e32 vcc_lo, 0, v4
	v_mov_b32_e32 v3, 0
	s_and_not1_b32 s21, s21, exec_lo
	s_and_b32 s23, vcc_lo, exec_lo
	s_delay_alu instid0(SALU_CYCLE_1)
	s_or_b32 s21, s21, s23
	s_or_b32 exec_lo, exec_lo, s22
	s_and_saveexec_b32 s22, s21
	s_cbranch_execnz .LBB256_214
	s_branch .LBB256_215
.LBB256_225:
	s_mov_b32 s23, 0
	s_mov_b32 s21, 0x7f800001
	s_cbranch_execz .LBB256_227
; %bb.226:
	s_and_b32 s21, 0xffff, s22
	s_delay_alu instid0(SALU_CYCLE_1)
	s_cmp_lg_u32 s21, 0
	s_mov_b32 s21, 0
	s_cselect_b32 s23, -1, 0
.LBB256_227:
	s_delay_alu instid0(SALU_CYCLE_1)
	s_and_not1_b32 vcc_lo, exec_lo, s23
	s_cbranch_vccnz .LBB256_229
; %bb.228:
	s_mov_b32 s21, s3
.LBB256_229:
	s_mov_b32 s22, 0
	s_mov_b32 s23, exec_lo
	v_cmpx_lt_i16_e32 0x7f, v8
	s_xor_b32 s23, exec_lo, s23
	s_cbranch_execnz .LBB256_239
; %bb.230:
	s_or_saveexec_b32 s23, s23
	v_mov_b32_e32 v3, 0x7f800001
	s_xor_b32 exec_lo, exec_lo, s23
	s_cbranch_execnz .LBB256_242
.LBB256_231:
	s_or_b32 exec_lo, exec_lo, s23
	s_and_saveexec_b32 s23, s22
	s_cbranch_execz .LBB256_233
.LBB256_232:
	v_and_b32_e32 v3, 0xffff, v8
	s_delay_alu instid0(VALU_DEP_1) | instskip(SKIP_1) | instid1(VALU_DEP_2)
	v_and_b32_e32 v4, 3, v3
	v_bfe_u32 v11, v3, 2, 5
	v_clz_i32_u32_e32 v9, v4
	s_delay_alu instid0(VALU_DEP_2) | instskip(NEXT) | instid1(VALU_DEP_2)
	v_cmp_eq_u32_e32 vcc_lo, 0, v11
	v_min_u32_e32 v9, 32, v9
	s_delay_alu instid0(VALU_DEP_1) | instskip(NEXT) | instid1(VALU_DEP_1)
	v_subrev_nc_u32_e32 v10, 29, v9
	v_dual_lshlrev_b32 v3, v10, v3 :: v_dual_sub_nc_u32 v9, 30, v9
	s_delay_alu instid0(VALU_DEP_1) | instskip(NEXT) | instid1(VALU_DEP_1)
	v_dual_lshlrev_b32 v10, 24, v8 :: v_dual_bitop2_b32 v3, 3, v3 bitop3:0x40
	v_dual_cndmask_b32 v9, v11, v9, vcc_lo :: v_dual_cndmask_b32 v3, v4, v3, vcc_lo
	s_delay_alu instid0(VALU_DEP_2) | instskip(NEXT) | instid1(VALU_DEP_2)
	v_and_b32_e32 v4, 0x80000000, v10
	v_lshl_add_u32 v9, v9, 23, 0x37800000
	s_delay_alu instid0(VALU_DEP_3) | instskip(NEXT) | instid1(VALU_DEP_1)
	v_lshlrev_b32_e32 v3, 21, v3
	v_or3_b32 v3, v4, v9, v3
.LBB256_233:
	s_or_b32 exec_lo, exec_lo, s23
	s_delay_alu instid0(VALU_DEP_1)
	v_cmp_neq_f32_e64 s21, s21, v3
.LBB256_234:
	v_cmp_ne_u32_e32 vcc_lo, 1, v2
	s_cbranch_vccnz .LBB256_503
.LBB256_235:
	s_and_b32 s23, s10, 0xff
	s_delay_alu instid0(SALU_CYCLE_1)
	s_cmp_lt_i32 s23, 0x80
	s_cbranch_scc1 .LBB256_243
; %bb.236:
	s_and_b32 s22, 0xffff, s23
	s_mov_b32 s24, -1
	s_cmp_eq_u32 s22, 0x80
	s_cbranch_scc0 .LBB256_238
; %bb.237:
	s_mov_b32 s24, 0
.LBB256_238:
	s_mov_b32 s22, 0x7f800001
	s_branch .LBB256_245
.LBB256_239:
	s_mov_b32 s22, -1
	s_mov_b32 s24, exec_lo
	v_cmpx_eq_u16_e32 0x80, v8
; %bb.240:
	s_xor_b32 s22, exec_lo, -1
; %bb.241:
	s_or_b32 exec_lo, exec_lo, s24
	s_delay_alu instid0(SALU_CYCLE_1)
	s_and_b32 s22, s22, exec_lo
	s_or_saveexec_b32 s23, s23
	v_mov_b32_e32 v3, 0x7f800001
	s_xor_b32 exec_lo, exec_lo, s23
	s_cbranch_execz .LBB256_231
.LBB256_242:
	v_cmp_ne_u16_e32 vcc_lo, 0, v8
	v_mov_b32_e32 v3, 0
	s_and_not1_b32 s22, s22, exec_lo
	s_and_b32 s24, vcc_lo, exec_lo
	s_delay_alu instid0(SALU_CYCLE_1)
	s_or_b32 s22, s22, s24
	s_or_b32 exec_lo, exec_lo, s23
	s_and_saveexec_b32 s23, s22
	s_cbranch_execnz .LBB256_232
	s_branch .LBB256_233
.LBB256_243:
	s_mov_b32 s24, 0
	s_mov_b32 s22, 0x7f800001
	s_cbranch_execz .LBB256_245
; %bb.244:
	s_and_b32 s22, 0xffff, s23
	s_delay_alu instid0(SALU_CYCLE_1)
	s_cmp_lg_u32 s22, 0
	s_mov_b32 s22, 0
	s_cselect_b32 s24, -1, 0
.LBB256_245:
	s_delay_alu instid0(SALU_CYCLE_1)
	s_and_not1_b32 vcc_lo, exec_lo, s24
	s_cbranch_vccnz .LBB256_247
; %bb.246:
	s_mov_b32 s22, s3
.LBB256_247:
	v_and_b32_e32 v4, 0xff, v5
	s_mov_b32 s23, 0
	s_mov_b32 s24, exec_lo
	s_delay_alu instid0(VALU_DEP_1)
	v_cmpx_lt_i16_e32 0x7f, v4
	s_xor_b32 s24, exec_lo, s24
	s_cbranch_execnz .LBB256_257
; %bb.248:
	s_or_saveexec_b32 s24, s24
	v_mov_b32_e32 v3, 0x7f800001
	s_xor_b32 exec_lo, exec_lo, s24
	s_cbranch_execnz .LBB256_260
.LBB256_249:
	s_or_b32 exec_lo, exec_lo, s24
	s_and_saveexec_b32 s24, s23
	s_cbranch_execz .LBB256_251
.LBB256_250:
	v_and_b32_e32 v3, 3, v5
	v_lshrrev_b16 v8, 2, v5
	v_lshlrev_b32_e32 v10, 24, v5
	s_delay_alu instid0(VALU_DEP_3) | instskip(NEXT) | instid1(VALU_DEP_3)
	v_clz_i32_u32_e32 v4, v3
	v_and_b32_e32 v8, 31, v8
	s_delay_alu instid0(VALU_DEP_2) | instskip(NEXT) | instid1(VALU_DEP_2)
	v_min_u32_e32 v4, 32, v4
	v_cmp_eq_u32_e32 vcc_lo, 0, v8
	s_delay_alu instid0(VALU_DEP_2) | instskip(NEXT) | instid1(VALU_DEP_1)
	v_subrev_nc_u32_e32 v9, 29, v4
	v_dual_lshlrev_b32 v9, v9, v5 :: v_dual_sub_nc_u32 v4, 30, v4
	s_delay_alu instid0(VALU_DEP_1) | instskip(SKIP_1) | instid1(VALU_DEP_2)
	v_dual_cndmask_b32 v4, v8, v4, vcc_lo :: v_dual_bitop2_b32 v9, 3, v9 bitop3:0x40
	v_and_b32_e32 v8, 0x80000000, v10
	v_cndmask_b32_e32 v3, v3, v9, vcc_lo
	s_delay_alu instid0(VALU_DEP_3) | instskip(NEXT) | instid1(VALU_DEP_2)
	v_lshl_add_u32 v4, v4, 23, 0x37800000
	v_lshlrev_b32_e32 v3, 21, v3
	s_delay_alu instid0(VALU_DEP_1)
	v_or3_b32 v3, v8, v4, v3
.LBB256_251:
	s_or_b32 exec_lo, exec_lo, s24
	s_delay_alu instid0(VALU_DEP_1)
	v_cmp_neq_f32_e64 s22, s22, v3
.LBB256_252:
	v_cmp_ne_u32_e32 vcc_lo, 1, v2
	s_cbranch_vccnz .LBB256_521
.LBB256_253:
	s_and_b32 s24, s10, 0xff
	s_delay_alu instid0(SALU_CYCLE_1)
	s_cmp_lt_i32 s24, 0x80
	s_cbranch_scc1 .LBB256_261
; %bb.254:
	s_and_b32 s23, 0xffff, s24
	s_mov_b32 s25, -1
	s_cmp_eq_u32 s23, 0x80
	s_cbranch_scc0 .LBB256_256
; %bb.255:
	s_mov_b32 s25, 0
.LBB256_256:
	s_mov_b32 s23, 0x7f800001
	s_branch .LBB256_263
.LBB256_257:
	s_mov_b32 s23, -1
	s_mov_b32 s25, exec_lo
	v_cmpx_eq_u16_e32 0x80, v4
; %bb.258:
	s_xor_b32 s23, exec_lo, -1
; %bb.259:
	s_or_b32 exec_lo, exec_lo, s25
	s_delay_alu instid0(SALU_CYCLE_1)
	s_and_b32 s23, s23, exec_lo
                                        ; implicit-def: $vgpr4
	s_or_saveexec_b32 s24, s24
	v_mov_b32_e32 v3, 0x7f800001
	s_xor_b32 exec_lo, exec_lo, s24
	s_cbranch_execz .LBB256_249
.LBB256_260:
	v_cmp_ne_u16_e32 vcc_lo, 0, v4
	v_mov_b32_e32 v3, 0
	s_and_not1_b32 s23, s23, exec_lo
	s_and_b32 s25, vcc_lo, exec_lo
	s_delay_alu instid0(SALU_CYCLE_1)
	s_or_b32 s23, s23, s25
	s_or_b32 exec_lo, exec_lo, s24
	s_and_saveexec_b32 s24, s23
	s_cbranch_execnz .LBB256_250
	s_branch .LBB256_251
.LBB256_261:
	s_mov_b32 s25, 0
	s_mov_b32 s23, 0x7f800001
	s_cbranch_execz .LBB256_263
; %bb.262:
	s_and_b32 s23, 0xffff, s24
	s_delay_alu instid0(SALU_CYCLE_1)
	s_cmp_lg_u32 s23, 0
	s_mov_b32 s23, 0
	s_cselect_b32 s25, -1, 0
.LBB256_263:
	s_delay_alu instid0(SALU_CYCLE_1)
	s_and_not1_b32 vcc_lo, exec_lo, s25
	s_cbranch_vccnz .LBB256_265
; %bb.264:
	s_mov_b32 s23, s3
.LBB256_265:
	v_and_b32_e32 v4, 0xff, v7
	s_mov_b32 s24, 0
	s_mov_b32 s25, exec_lo
	s_delay_alu instid0(VALU_DEP_1)
	v_cmpx_lt_i16_e32 0x7f, v4
	s_xor_b32 s25, exec_lo, s25
	s_cbranch_execnz .LBB256_275
; %bb.266:
	s_or_saveexec_b32 s25, s25
	v_mov_b32_e32 v3, 0x7f800001
	s_xor_b32 exec_lo, exec_lo, s25
	s_cbranch_execnz .LBB256_278
.LBB256_267:
	s_or_b32 exec_lo, exec_lo, s25
	s_and_saveexec_b32 s25, s24
	s_cbranch_execz .LBB256_269
.LBB256_268:
	v_and_b32_e32 v3, 3, v7
	v_lshrrev_b16 v5, 2, v7
	v_lshlrev_b32_e32 v9, 24, v7
	s_delay_alu instid0(VALU_DEP_3) | instskip(NEXT) | instid1(VALU_DEP_1)
	v_clz_i32_u32_e32 v4, v3
	v_min_u32_e32 v4, 32, v4
	s_delay_alu instid0(VALU_DEP_4) | instskip(NEXT) | instid1(VALU_DEP_2)
	v_and_b32_e32 v5, 31, v5
	v_subrev_nc_u32_e32 v8, 29, v4
	v_sub_nc_u32_e32 v4, 30, v4
	s_delay_alu instid0(VALU_DEP_3) | instskip(NEXT) | instid1(VALU_DEP_3)
	v_cmp_eq_u32_e32 vcc_lo, 0, v5
	v_lshlrev_b32_e32 v8, v8, v7
	s_delay_alu instid0(VALU_DEP_1) | instskip(NEXT) | instid1(VALU_DEP_1)
	v_and_b32_e32 v8, 3, v8
	v_cndmask_b32_e32 v3, v3, v8, vcc_lo
	v_cndmask_b32_e32 v4, v5, v4, vcc_lo
	v_and_b32_e32 v5, 0x80000000, v9
	s_delay_alu instid0(VALU_DEP_3) | instskip(NEXT) | instid1(VALU_DEP_3)
	v_lshlrev_b32_e32 v3, 21, v3
	v_lshl_add_u32 v4, v4, 23, 0x37800000
	s_delay_alu instid0(VALU_DEP_1)
	v_or3_b32 v3, v5, v4, v3
.LBB256_269:
	s_or_b32 exec_lo, exec_lo, s25
	s_delay_alu instid0(VALU_DEP_1)
	v_cmp_neq_f32_e64 s23, s23, v3
.LBB256_270:
	v_cmp_ne_u32_e32 vcc_lo, 1, v2
	s_cbranch_vccnz .LBB256_539
.LBB256_271:
	s_and_b32 s25, s10, 0xff
	s_delay_alu instid0(SALU_CYCLE_1)
	s_cmp_lt_i32 s25, 0x80
	s_cbranch_scc1 .LBB256_279
; %bb.272:
	s_and_b32 s24, 0xffff, s25
	s_mov_b32 s26, -1
	s_cmp_eq_u32 s24, 0x80
	s_cbranch_scc0 .LBB256_274
; %bb.273:
	s_mov_b32 s26, 0
.LBB256_274:
	s_mov_b32 s24, 0x7f800001
	s_branch .LBB256_281
.LBB256_275:
	s_mov_b32 s24, -1
	s_mov_b32 s26, exec_lo
	v_cmpx_eq_u16_e32 0x80, v4
; %bb.276:
	s_xor_b32 s24, exec_lo, -1
; %bb.277:
	s_or_b32 exec_lo, exec_lo, s26
	s_delay_alu instid0(SALU_CYCLE_1)
	s_and_b32 s24, s24, exec_lo
                                        ; implicit-def: $vgpr4
	s_or_saveexec_b32 s25, s25
	v_mov_b32_e32 v3, 0x7f800001
	s_xor_b32 exec_lo, exec_lo, s25
	s_cbranch_execz .LBB256_267
.LBB256_278:
	v_cmp_ne_u16_e32 vcc_lo, 0, v4
	v_mov_b32_e32 v3, 0
	s_and_not1_b32 s24, s24, exec_lo
	s_and_b32 s26, vcc_lo, exec_lo
	s_delay_alu instid0(SALU_CYCLE_1)
	s_or_b32 s24, s24, s26
	s_or_b32 exec_lo, exec_lo, s25
	s_and_saveexec_b32 s25, s24
	s_cbranch_execnz .LBB256_268
	s_branch .LBB256_269
.LBB256_279:
	s_mov_b32 s26, 0
	s_mov_b32 s24, 0x7f800001
	s_cbranch_execz .LBB256_281
; %bb.280:
	s_and_b32 s24, 0xffff, s25
	s_delay_alu instid0(SALU_CYCLE_1)
	s_cmp_lg_u32 s24, 0
	s_mov_b32 s24, 0
	s_cselect_b32 s26, -1, 0
.LBB256_281:
	s_delay_alu instid0(SALU_CYCLE_1)
	s_and_not1_b32 vcc_lo, exec_lo, s26
	s_cbranch_vccnz .LBB256_283
; %bb.282:
	s_mov_b32 s24, s3
.LBB256_283:
	v_and_b32_e32 v4, 0xff, v6
	s_mov_b32 s25, 0
	s_mov_b32 s26, exec_lo
	s_delay_alu instid0(VALU_DEP_1)
	v_cmpx_lt_i16_e32 0x7f, v4
	s_xor_b32 s26, exec_lo, s26
	s_cbranch_execnz .LBB256_293
; %bb.284:
	s_or_saveexec_b32 s26, s26
	v_mov_b32_e32 v3, 0x7f800001
	s_xor_b32 exec_lo, exec_lo, s26
	s_cbranch_execnz .LBB256_296
.LBB256_285:
	s_or_b32 exec_lo, exec_lo, s26
	s_and_saveexec_b32 s26, s25
	s_cbranch_execz .LBB256_287
.LBB256_286:
	v_and_b32_e32 v3, 3, v6
	v_lshrrev_b16 v5, 2, v6
	v_lshlrev_b32_e32 v8, 24, v6
	s_delay_alu instid0(VALU_DEP_3) | instskip(NEXT) | instid1(VALU_DEP_1)
	v_clz_i32_u32_e32 v4, v3
	v_min_u32_e32 v4, 32, v4
	s_delay_alu instid0(VALU_DEP_4) | instskip(NEXT) | instid1(VALU_DEP_2)
	v_and_b32_e32 v5, 31, v5
	v_subrev_nc_u32_e32 v7, 29, v4
	v_sub_nc_u32_e32 v4, 30, v4
	s_delay_alu instid0(VALU_DEP_3) | instskip(NEXT) | instid1(VALU_DEP_3)
	v_cmp_eq_u32_e32 vcc_lo, 0, v5
	v_lshlrev_b32_e32 v7, v7, v6
	s_delay_alu instid0(VALU_DEP_1) | instskip(SKIP_1) | instid1(VALU_DEP_2)
	v_dual_cndmask_b32 v4, v5, v4, vcc_lo :: v_dual_bitop2_b32 v7, 3, v7 bitop3:0x40
	v_and_b32_e32 v5, 0x80000000, v8
	v_cndmask_b32_e32 v3, v3, v7, vcc_lo
	s_delay_alu instid0(VALU_DEP_3) | instskip(NEXT) | instid1(VALU_DEP_2)
	v_lshl_add_u32 v4, v4, 23, 0x37800000
	v_lshlrev_b32_e32 v3, 21, v3
	s_delay_alu instid0(VALU_DEP_1)
	v_or3_b32 v3, v5, v4, v3
.LBB256_287:
	s_or_b32 exec_lo, exec_lo, s26
	s_delay_alu instid0(VALU_DEP_1)
	v_cmp_neq_f32_e64 s24, s24, v3
.LBB256_288:
	v_cmp_ne_u32_e32 vcc_lo, 1, v2
	s_cbranch_vccnz .LBB256_557
.LBB256_289:
	s_and_b32 s26, s10, 0xff
	s_delay_alu instid0(SALU_CYCLE_1)
	s_cmp_lt_i32 s26, 0x80
	s_cbranch_scc1 .LBB256_297
; %bb.290:
	s_and_b32 s25, 0xffff, s26
	s_mov_b32 s27, -1
	s_cmp_eq_u32 s25, 0x80
	s_cbranch_scc0 .LBB256_292
; %bb.291:
	s_mov_b32 s27, 0
.LBB256_292:
	s_mov_b32 s25, 0x7f800001
	s_branch .LBB256_299
.LBB256_293:
	s_mov_b32 s25, -1
	s_mov_b32 s27, exec_lo
	v_cmpx_eq_u16_e32 0x80, v4
; %bb.294:
	s_xor_b32 s25, exec_lo, -1
; %bb.295:
	s_or_b32 exec_lo, exec_lo, s27
	s_delay_alu instid0(SALU_CYCLE_1)
	s_and_b32 s25, s25, exec_lo
                                        ; implicit-def: $vgpr4
	s_or_saveexec_b32 s26, s26
	v_mov_b32_e32 v3, 0x7f800001
	s_xor_b32 exec_lo, exec_lo, s26
	s_cbranch_execz .LBB256_285
.LBB256_296:
	v_cmp_ne_u16_e32 vcc_lo, 0, v4
	v_mov_b32_e32 v3, 0
	s_and_not1_b32 s25, s25, exec_lo
	s_and_b32 s27, vcc_lo, exec_lo
	s_delay_alu instid0(SALU_CYCLE_1)
	s_or_b32 s25, s25, s27
	s_or_b32 exec_lo, exec_lo, s26
	s_and_saveexec_b32 s26, s25
	s_cbranch_execnz .LBB256_286
	s_branch .LBB256_287
.LBB256_297:
	s_mov_b32 s27, 0
	s_mov_b32 s25, 0x7f800001
	s_cbranch_execz .LBB256_299
; %bb.298:
	s_and_b32 s25, 0xffff, s26
	s_delay_alu instid0(SALU_CYCLE_1)
	s_cmp_lg_u32 s25, 0
	s_mov_b32 s25, 0
	s_cselect_b32 s27, -1, 0
.LBB256_299:
	s_delay_alu instid0(SALU_CYCLE_1)
	s_and_not1_b32 vcc_lo, exec_lo, s27
	s_cbranch_vccnz .LBB256_301
; %bb.300:
	s_mov_b32 s25, s3
.LBB256_301:
	s_mov_b32 s26, 0
	s_mov_b32 s27, exec_lo
	v_cmpx_lt_i16_e32 0x7f, v1
	s_xor_b32 s27, exec_lo, s27
	s_cbranch_execnz .LBB256_306
; %bb.302:
	s_or_saveexec_b32 s27, s27
	v_mov_b32_e32 v2, 0x7f800001
	s_xor_b32 exec_lo, exec_lo, s27
	s_cbranch_execnz .LBB256_309
.LBB256_303:
	s_or_b32 exec_lo, exec_lo, s27
	s_and_saveexec_b32 s27, s26
	s_cbranch_execz .LBB256_305
.LBB256_304:
	v_and_b32_e32 v2, 0xffff, v1
	s_delay_alu instid0(VALU_DEP_1) | instskip(SKIP_1) | instid1(VALU_DEP_2)
	v_and_b32_e32 v3, 3, v2
	v_bfe_u32 v6, v2, 2, 5
	v_clz_i32_u32_e32 v4, v3
	s_delay_alu instid0(VALU_DEP_2) | instskip(NEXT) | instid1(VALU_DEP_2)
	v_cmp_eq_u32_e32 vcc_lo, 0, v6
	v_min_u32_e32 v4, 32, v4
	s_delay_alu instid0(VALU_DEP_1) | instskip(NEXT) | instid1(VALU_DEP_1)
	v_subrev_nc_u32_e32 v5, 29, v4
	v_dual_lshlrev_b32 v2, v5, v2 :: v_dual_sub_nc_u32 v4, 30, v4
	s_delay_alu instid0(VALU_DEP_1) | instskip(NEXT) | instid1(VALU_DEP_1)
	v_dual_lshlrev_b32 v5, 24, v1 :: v_dual_bitop2_b32 v2, 3, v2 bitop3:0x40
	v_dual_cndmask_b32 v4, v6, v4, vcc_lo :: v_dual_cndmask_b32 v2, v3, v2, vcc_lo
	s_delay_alu instid0(VALU_DEP_2) | instskip(NEXT) | instid1(VALU_DEP_2)
	v_and_b32_e32 v3, 0x80000000, v5
	v_lshl_add_u32 v4, v4, 23, 0x37800000
	s_delay_alu instid0(VALU_DEP_3) | instskip(NEXT) | instid1(VALU_DEP_1)
	v_lshlrev_b32_e32 v2, 21, v2
	v_or3_b32 v2, v3, v4, v2
.LBB256_305:
	s_or_b32 exec_lo, exec_lo, s27
	s_delay_alu instid0(VALU_DEP_1)
	v_cmp_neq_f32_e64 s25, s25, v2
	s_branch .LBB256_575
.LBB256_306:
	s_mov_b32 s26, -1
	s_mov_b32 s28, exec_lo
	v_cmpx_eq_u16_e32 0x80, v1
; %bb.307:
	s_xor_b32 s26, exec_lo, -1
; %bb.308:
	s_or_b32 exec_lo, exec_lo, s28
	s_delay_alu instid0(SALU_CYCLE_1)
	s_and_b32 s26, s26, exec_lo
	s_or_saveexec_b32 s27, s27
	v_mov_b32_e32 v2, 0x7f800001
	s_xor_b32 exec_lo, exec_lo, s27
	s_cbranch_execz .LBB256_303
.LBB256_309:
	v_cmp_ne_u16_e32 vcc_lo, 0, v1
	v_mov_b32_e32 v2, 0
	s_and_not1_b32 s26, s26, exec_lo
	s_and_b32 s28, vcc_lo, exec_lo
	s_delay_alu instid0(SALU_CYCLE_1)
	s_or_b32 s26, s26, s28
	s_or_b32 exec_lo, exec_lo, s27
	s_and_saveexec_b32 s27, s26
	s_cbranch_execnz .LBB256_304
	s_branch .LBB256_305
.LBB256_310:
	s_mov_b32 s12, -1
	s_mov_b32 s14, exec_lo
	v_cmpx_eq_u16_e32 0x80, v6
; %bb.311:
	s_xor_b32 s12, exec_lo, -1
; %bb.312:
	s_or_b32 exec_lo, exec_lo, s14
	s_delay_alu instid0(SALU_CYCLE_1)
	s_and_b32 s12, s12, exec_lo
                                        ; implicit-def: $vgpr6
	s_or_saveexec_b32 s13, s13
	v_mov_b32_e32 v1, 0x7f800001
	s_xor_b32 exec_lo, exec_lo, s13
	s_cbranch_execz .LBB256_32
.LBB256_313:
	v_cmp_ne_u16_e32 vcc_lo, 0, v6
	v_mov_b32_e32 v1, 0
	s_and_not1_b32 s12, s12, exec_lo
	s_and_b32 s14, vcc_lo, exec_lo
	s_delay_alu instid0(SALU_CYCLE_1)
	s_or_b32 s12, s12, s14
	s_or_b32 exec_lo, exec_lo, s13
	s_and_saveexec_b32 s13, s12
	s_cbranch_execnz .LBB256_33
	s_branch .LBB256_34
.LBB256_314:
	s_mov_b32 s13, 0
	s_mov_b32 s11, 0x7f800001
	s_cbranch_execz .LBB256_316
; %bb.315:
	s_and_b32 s11, 0xffff, s12
	s_delay_alu instid0(SALU_CYCLE_1)
	s_cmp_lg_u32 s11, 0
	s_mov_b32 s11, 0
	s_cselect_b32 s13, -1, 0
.LBB256_316:
	s_delay_alu instid0(SALU_CYCLE_1)
	s_and_not1_b32 vcc_lo, exec_lo, s13
	s_cbranch_vccnz .LBB256_318
; %bb.317:
	s_mov_b32 s11, s3
.LBB256_318:
	v_and_b32_e32 v18, 0xff, v16
	s_mov_b32 s12, 0
	s_mov_b32 s13, exec_lo
	s_delay_alu instid0(VALU_DEP_1)
	v_cmpx_lt_i16_e32 0x7f, v18
	s_xor_b32 s13, exec_lo, s13
	s_cbranch_execnz .LBB256_328
; %bb.319:
	s_or_saveexec_b32 s13, s13
	v_mov_b32_e32 v17, 0x7f800001
	s_xor_b32 exec_lo, exec_lo, s13
	s_cbranch_execnz .LBB256_331
.LBB256_320:
	s_or_b32 exec_lo, exec_lo, s13
	s_and_saveexec_b32 s13, s12
	s_cbranch_execz .LBB256_322
.LBB256_321:
	v_and_b32_e32 v17, 3, v16
	v_lshrrev_b16 v19, 2, v16
	s_delay_alu instid0(VALU_DEP_2) | instskip(NEXT) | instid1(VALU_DEP_1)
	v_clz_i32_u32_e32 v18, v17
	v_min_u32_e32 v18, 32, v18
	s_delay_alu instid0(VALU_DEP_3) | instskip(NEXT) | instid1(VALU_DEP_2)
	v_and_b32_e32 v19, 31, v19
	v_subrev_nc_u32_e32 v20, 29, v18
	v_sub_nc_u32_e32 v18, 30, v18
	s_delay_alu instid0(VALU_DEP_3) | instskip(NEXT) | instid1(VALU_DEP_2)
	v_cmp_eq_u32_e32 vcc_lo, 0, v19
	v_dual_lshlrev_b32 v20, v20, v16 :: v_dual_cndmask_b32 v18, v19, v18, vcc_lo
	s_delay_alu instid0(VALU_DEP_1) | instskip(NEXT) | instid1(VALU_DEP_2)
	v_and_b32_e32 v20, 3, v20
	v_lshl_add_u32 v18, v18, 23, 0x37800000
	s_delay_alu instid0(VALU_DEP_2) | instskip(NEXT) | instid1(VALU_DEP_1)
	v_cndmask_b32_e32 v17, v17, v20, vcc_lo
	v_dual_lshlrev_b32 v16, 24, v16 :: v_dual_lshlrev_b32 v17, 21, v17
	s_delay_alu instid0(VALU_DEP_1) | instskip(NEXT) | instid1(VALU_DEP_1)
	v_and_b32_e32 v16, 0x80000000, v16
	v_or3_b32 v17, v16, v18, v17
.LBB256_322:
	s_or_b32 exec_lo, exec_lo, s13
	s_delay_alu instid0(VALU_DEP_1)
	v_cmp_eq_f32_e64 s11, s11, v17
	v_cmp_ne_u32_e32 vcc_lo, 1, v2
	s_cbranch_vccz .LBB256_42
.LBB256_323:
                                        ; implicit-def: $sgpr12
	s_cbranch_execz .LBB256_68
; %bb.324:
	s_and_b32 s13, s10, 0xff
	s_delay_alu instid0(SALU_CYCLE_1)
	s_cmp_lt_i32 s13, 0x80
	s_cbranch_scc1 .LBB256_332
; %bb.325:
	s_and_b32 s12, 0xffff, s13
	s_mov_b32 s14, -1
	s_cmp_eq_u32 s12, 0x80
	s_cbranch_scc0 .LBB256_327
; %bb.326:
	s_mov_b32 s14, 0
.LBB256_327:
	s_mov_b32 s12, 0x7f800001
	s_branch .LBB256_334
.LBB256_328:
	s_mov_b32 s12, -1
	s_mov_b32 s14, exec_lo
	v_cmpx_eq_u16_e32 0x80, v18
; %bb.329:
	s_xor_b32 s12, exec_lo, -1
; %bb.330:
	s_or_b32 exec_lo, exec_lo, s14
	s_delay_alu instid0(SALU_CYCLE_1)
	s_and_b32 s12, s12, exec_lo
                                        ; implicit-def: $vgpr18
	s_or_saveexec_b32 s13, s13
	v_mov_b32_e32 v17, 0x7f800001
	s_xor_b32 exec_lo, exec_lo, s13
	s_cbranch_execz .LBB256_320
.LBB256_331:
	v_cmp_ne_u16_e32 vcc_lo, 0, v18
	v_mov_b32_e32 v17, 0
	s_and_not1_b32 s12, s12, exec_lo
	s_and_b32 s14, vcc_lo, exec_lo
	s_delay_alu instid0(SALU_CYCLE_1)
	s_or_b32 s12, s12, s14
	s_or_b32 exec_lo, exec_lo, s13
	s_and_saveexec_b32 s13, s12
	s_cbranch_execnz .LBB256_321
	s_branch .LBB256_322
.LBB256_332:
	s_mov_b32 s14, 0
	s_mov_b32 s12, 0x7f800001
	s_cbranch_execz .LBB256_334
; %bb.333:
	s_and_b32 s12, 0xffff, s13
	s_delay_alu instid0(SALU_CYCLE_1)
	s_cmp_lg_u32 s12, 0
	s_mov_b32 s12, 0
	s_cselect_b32 s14, -1, 0
.LBB256_334:
	s_delay_alu instid0(SALU_CYCLE_1)
	s_and_not1_b32 vcc_lo, exec_lo, s14
	s_cbranch_vccnz .LBB256_336
; %bb.335:
	s_mov_b32 s12, s3
.LBB256_336:
	v_and_b32_e32 v17, 0xff, v15
	s_mov_b32 s13, 0
	s_mov_b32 s14, exec_lo
	s_delay_alu instid0(VALU_DEP_1)
	v_cmpx_lt_i16_e32 0x7f, v17
	s_xor_b32 s14, exec_lo, s14
	s_cbranch_execnz .LBB256_346
; %bb.337:
	s_or_saveexec_b32 s14, s14
	v_mov_b32_e32 v16, 0x7f800001
	s_xor_b32 exec_lo, exec_lo, s14
	s_cbranch_execnz .LBB256_349
.LBB256_338:
	s_or_b32 exec_lo, exec_lo, s14
	s_and_saveexec_b32 s14, s13
	s_cbranch_execz .LBB256_340
.LBB256_339:
	v_and_b32_e32 v16, 3, v15
	v_lshrrev_b16 v18, 2, v15
	s_delay_alu instid0(VALU_DEP_2) | instskip(NEXT) | instid1(VALU_DEP_1)
	v_clz_i32_u32_e32 v17, v16
	v_min_u32_e32 v17, 32, v17
	s_delay_alu instid0(VALU_DEP_3) | instskip(NEXT) | instid1(VALU_DEP_2)
	v_and_b32_e32 v18, 31, v18
	v_subrev_nc_u32_e32 v19, 29, v17
	v_sub_nc_u32_e32 v17, 30, v17
	s_delay_alu instid0(VALU_DEP_3) | instskip(NEXT) | instid1(VALU_DEP_2)
	v_cmp_eq_u32_e32 vcc_lo, 0, v18
	v_dual_lshlrev_b32 v19, v19, v15 :: v_dual_cndmask_b32 v17, v18, v17, vcc_lo
	s_delay_alu instid0(VALU_DEP_1) | instskip(NEXT) | instid1(VALU_DEP_2)
	v_and_b32_e32 v19, 3, v19
	v_lshl_add_u32 v17, v17, 23, 0x37800000
	s_delay_alu instid0(VALU_DEP_2) | instskip(NEXT) | instid1(VALU_DEP_1)
	v_cndmask_b32_e32 v16, v16, v19, vcc_lo
	v_dual_lshlrev_b32 v15, 24, v15 :: v_dual_lshlrev_b32 v16, 21, v16
	s_delay_alu instid0(VALU_DEP_1) | instskip(NEXT) | instid1(VALU_DEP_1)
	v_and_b32_e32 v15, 0x80000000, v15
	v_or3_b32 v16, v15, v17, v16
.LBB256_340:
	s_or_b32 exec_lo, exec_lo, s14
	s_delay_alu instid0(VALU_DEP_1)
	v_cmp_eq_f32_e64 s12, s12, v16
	v_cmp_ne_u32_e32 vcc_lo, 1, v2
	s_cbranch_vccz .LBB256_69
.LBB256_341:
                                        ; implicit-def: $sgpr13
	s_cbranch_execz .LBB256_90
; %bb.342:
	s_and_b32 s14, s10, 0xff
	s_delay_alu instid0(SALU_CYCLE_1)
	s_cmp_lt_i32 s14, 0x80
	s_cbranch_scc1 .LBB256_350
; %bb.343:
	s_and_b32 s13, 0xffff, s14
	s_mov_b32 s15, -1
	s_cmp_eq_u32 s13, 0x80
	s_cbranch_scc0 .LBB256_345
; %bb.344:
	s_mov_b32 s15, 0
.LBB256_345:
	s_mov_b32 s13, 0x7f800001
	s_branch .LBB256_352
.LBB256_346:
	s_mov_b32 s13, -1
	s_mov_b32 s15, exec_lo
	v_cmpx_eq_u16_e32 0x80, v17
; %bb.347:
	s_xor_b32 s13, exec_lo, -1
; %bb.348:
	s_or_b32 exec_lo, exec_lo, s15
	s_delay_alu instid0(SALU_CYCLE_1)
	s_and_b32 s13, s13, exec_lo
                                        ; implicit-def: $vgpr17
	s_or_saveexec_b32 s14, s14
	v_mov_b32_e32 v16, 0x7f800001
	s_xor_b32 exec_lo, exec_lo, s14
	s_cbranch_execz .LBB256_338
.LBB256_349:
	v_cmp_ne_u16_e32 vcc_lo, 0, v17
	v_mov_b32_e32 v16, 0
	s_and_not1_b32 s13, s13, exec_lo
	s_and_b32 s15, vcc_lo, exec_lo
	s_delay_alu instid0(SALU_CYCLE_1)
	s_or_b32 s13, s13, s15
	s_or_b32 exec_lo, exec_lo, s14
	s_and_saveexec_b32 s14, s13
	s_cbranch_execnz .LBB256_339
	s_branch .LBB256_340
.LBB256_350:
	s_mov_b32 s15, 0
	s_mov_b32 s13, 0x7f800001
	s_cbranch_execz .LBB256_352
; %bb.351:
	s_and_b32 s13, 0xffff, s14
	s_delay_alu instid0(SALU_CYCLE_1)
	s_cmp_lg_u32 s13, 0
	s_mov_b32 s13, 0
	s_cselect_b32 s15, -1, 0
.LBB256_352:
	s_delay_alu instid0(SALU_CYCLE_1)
	s_and_not1_b32 vcc_lo, exec_lo, s15
	s_cbranch_vccnz .LBB256_354
; %bb.353:
	s_mov_b32 s13, s3
.LBB256_354:
	s_mov_b32 s14, 0
	s_mov_b32 s15, exec_lo
	v_cmpx_lt_i16_e32 0x7f, v14
	s_xor_b32 s15, exec_lo, s15
	s_cbranch_execnz .LBB256_364
; %bb.355:
	s_or_saveexec_b32 s15, s15
	v_mov_b32_e32 v15, 0x7f800001
	s_xor_b32 exec_lo, exec_lo, s15
	s_cbranch_execnz .LBB256_367
.LBB256_356:
	s_or_b32 exec_lo, exec_lo, s15
	s_and_saveexec_b32 s15, s14
	s_cbranch_execz .LBB256_358
.LBB256_357:
	v_and_b32_e32 v15, 0xffff, v14
	s_delay_alu instid0(VALU_DEP_1) | instskip(SKIP_1) | instid1(VALU_DEP_2)
	v_and_b32_e32 v16, 3, v15
	v_bfe_u32 v19, v15, 2, 5
	v_clz_i32_u32_e32 v17, v16
	s_delay_alu instid0(VALU_DEP_2) | instskip(NEXT) | instid1(VALU_DEP_2)
	v_cmp_eq_u32_e32 vcc_lo, 0, v19
	v_min_u32_e32 v17, 32, v17
	s_delay_alu instid0(VALU_DEP_1) | instskip(NEXT) | instid1(VALU_DEP_1)
	v_subrev_nc_u32_e32 v18, 29, v17
	v_dual_lshlrev_b32 v15, v18, v15 :: v_dual_sub_nc_u32 v17, 30, v17
	s_delay_alu instid0(VALU_DEP_1) | instskip(NEXT) | instid1(VALU_DEP_1)
	v_dual_lshlrev_b32 v14, 24, v14 :: v_dual_bitop2_b32 v15, 3, v15 bitop3:0x40
	v_dual_cndmask_b32 v17, v19, v17, vcc_lo :: v_dual_cndmask_b32 v15, v16, v15, vcc_lo
	s_delay_alu instid0(VALU_DEP_2) | instskip(NEXT) | instid1(VALU_DEP_2)
	v_and_b32_e32 v14, 0x80000000, v14
	v_lshl_add_u32 v16, v17, 23, 0x37800000
	s_delay_alu instid0(VALU_DEP_3) | instskip(NEXT) | instid1(VALU_DEP_1)
	v_lshlrev_b32_e32 v15, 21, v15
	v_or3_b32 v15, v14, v16, v15
.LBB256_358:
	s_or_b32 exec_lo, exec_lo, s15
	s_delay_alu instid0(VALU_DEP_1)
	v_cmp_eq_f32_e64 s13, s13, v15
	v_cmp_ne_u32_e32 vcc_lo, 1, v2
	s_cbranch_vccz .LBB256_91
.LBB256_359:
                                        ; implicit-def: $sgpr14
	s_cbranch_execz .LBB256_108
; %bb.360:
	s_and_b32 s15, s10, 0xff
	s_delay_alu instid0(SALU_CYCLE_1)
	s_cmp_lt_i32 s15, 0x80
	s_cbranch_scc1 .LBB256_368
; %bb.361:
	s_and_b32 s14, 0xffff, s15
	s_mov_b32 s16, -1
	s_cmp_eq_u32 s14, 0x80
	s_cbranch_scc0 .LBB256_363
; %bb.362:
	s_mov_b32 s16, 0
.LBB256_363:
	s_mov_b32 s14, 0x7f800001
	s_branch .LBB256_370
.LBB256_364:
	s_mov_b32 s14, -1
	s_mov_b32 s16, exec_lo
	v_cmpx_eq_u16_e32 0x80, v14
; %bb.365:
	s_xor_b32 s14, exec_lo, -1
; %bb.366:
	s_or_b32 exec_lo, exec_lo, s16
	s_delay_alu instid0(SALU_CYCLE_1)
	s_and_b32 s14, s14, exec_lo
	s_or_saveexec_b32 s15, s15
	v_mov_b32_e32 v15, 0x7f800001
	s_xor_b32 exec_lo, exec_lo, s15
	s_cbranch_execz .LBB256_356
.LBB256_367:
	v_cmp_ne_u16_e32 vcc_lo, 0, v14
	v_mov_b32_e32 v15, 0
	s_and_not1_b32 s14, s14, exec_lo
	s_and_b32 s16, vcc_lo, exec_lo
	s_delay_alu instid0(SALU_CYCLE_1)
	s_or_b32 s14, s14, s16
	s_or_b32 exec_lo, exec_lo, s15
	s_and_saveexec_b32 s15, s14
	s_cbranch_execnz .LBB256_357
	s_branch .LBB256_358
.LBB256_368:
	s_mov_b32 s16, 0
	s_mov_b32 s14, 0x7f800001
	s_cbranch_execz .LBB256_370
; %bb.369:
	s_and_b32 s14, 0xffff, s15
	s_delay_alu instid0(SALU_CYCLE_1)
	s_cmp_lg_u32 s14, 0
	s_mov_b32 s14, 0
	s_cselect_b32 s16, -1, 0
.LBB256_370:
	s_delay_alu instid0(SALU_CYCLE_1)
	s_and_not1_b32 vcc_lo, exec_lo, s16
	s_cbranch_vccnz .LBB256_372
; %bb.371:
	s_mov_b32 s14, s3
.LBB256_372:
	v_and_b32_e32 v15, 0xff, v3
	s_mov_b32 s15, 0
	s_mov_b32 s16, exec_lo
	s_delay_alu instid0(VALU_DEP_1)
	v_cmpx_lt_i16_e32 0x7f, v15
	s_xor_b32 s16, exec_lo, s16
	s_cbranch_execnz .LBB256_382
; %bb.373:
	s_or_saveexec_b32 s16, s16
	v_mov_b32_e32 v14, 0x7f800001
	s_xor_b32 exec_lo, exec_lo, s16
	s_cbranch_execnz .LBB256_385
.LBB256_374:
	s_or_b32 exec_lo, exec_lo, s16
	s_and_saveexec_b32 s16, s15
	s_cbranch_execz .LBB256_376
.LBB256_375:
	v_and_b32_e32 v14, 3, v3
	v_lshrrev_b16 v16, 2, v3
	s_delay_alu instid0(VALU_DEP_2) | instskip(NEXT) | instid1(VALU_DEP_1)
	v_clz_i32_u32_e32 v15, v14
	v_min_u32_e32 v15, 32, v15
	s_delay_alu instid0(VALU_DEP_3) | instskip(NEXT) | instid1(VALU_DEP_2)
	v_and_b32_e32 v16, 31, v16
	v_subrev_nc_u32_e32 v17, 29, v15
	v_sub_nc_u32_e32 v15, 30, v15
	s_delay_alu instid0(VALU_DEP_3) | instskip(NEXT) | instid1(VALU_DEP_3)
	v_cmp_eq_u32_e32 vcc_lo, 0, v16
	v_dual_lshlrev_b32 v17, v17, v3 :: v_dual_lshlrev_b32 v3, 24, v3
	s_delay_alu instid0(VALU_DEP_1) | instskip(NEXT) | instid1(VALU_DEP_2)
	v_dual_cndmask_b32 v15, v16, v15, vcc_lo :: v_dual_bitop2_b32 v17, 3, v17 bitop3:0x40
	v_and_b32_e32 v3, 0x80000000, v3
	s_delay_alu instid0(VALU_DEP_2) | instskip(NEXT) | instid1(VALU_DEP_3)
	v_cndmask_b32_e32 v14, v14, v17, vcc_lo
	v_lshl_add_u32 v15, v15, 23, 0x37800000
	s_delay_alu instid0(VALU_DEP_2) | instskip(NEXT) | instid1(VALU_DEP_1)
	v_lshlrev_b32_e32 v14, 21, v14
	v_or3_b32 v14, v3, v15, v14
.LBB256_376:
	s_or_b32 exec_lo, exec_lo, s16
	s_delay_alu instid0(VALU_DEP_1)
	v_cmp_eq_f32_e64 s14, s14, v14
	v_cmp_ne_u32_e32 vcc_lo, 1, v2
	s_cbranch_vccz .LBB256_109
.LBB256_377:
                                        ; implicit-def: $sgpr15
	s_cbranch_execz .LBB256_126
; %bb.378:
	s_and_b32 s16, s10, 0xff
	s_delay_alu instid0(SALU_CYCLE_1)
	s_cmp_lt_i32 s16, 0x80
	s_cbranch_scc1 .LBB256_386
; %bb.379:
	s_and_b32 s15, 0xffff, s16
	s_mov_b32 s17, -1
	s_cmp_eq_u32 s15, 0x80
	s_cbranch_scc0 .LBB256_381
; %bb.380:
	s_mov_b32 s17, 0
.LBB256_381:
	s_mov_b32 s15, 0x7f800001
	s_branch .LBB256_388
.LBB256_382:
	s_mov_b32 s15, -1
	s_mov_b32 s17, exec_lo
	v_cmpx_eq_u16_e32 0x80, v15
; %bb.383:
	s_xor_b32 s15, exec_lo, -1
; %bb.384:
	s_or_b32 exec_lo, exec_lo, s17
	s_delay_alu instid0(SALU_CYCLE_1)
	s_and_b32 s15, s15, exec_lo
                                        ; implicit-def: $vgpr15
	s_or_saveexec_b32 s16, s16
	v_mov_b32_e32 v14, 0x7f800001
	s_xor_b32 exec_lo, exec_lo, s16
	s_cbranch_execz .LBB256_374
.LBB256_385:
	v_cmp_ne_u16_e32 vcc_lo, 0, v15
	v_mov_b32_e32 v14, 0
	s_and_not1_b32 s15, s15, exec_lo
	s_and_b32 s17, vcc_lo, exec_lo
	s_delay_alu instid0(SALU_CYCLE_1)
	s_or_b32 s15, s15, s17
	s_or_b32 exec_lo, exec_lo, s16
	s_and_saveexec_b32 s16, s15
	s_cbranch_execnz .LBB256_375
	s_branch .LBB256_376
.LBB256_386:
	s_mov_b32 s17, 0
	s_mov_b32 s15, 0x7f800001
	s_cbranch_execz .LBB256_388
; %bb.387:
	s_and_b32 s15, 0xffff, s16
	s_delay_alu instid0(SALU_CYCLE_1)
	s_cmp_lg_u32 s15, 0
	s_mov_b32 s15, 0
	s_cselect_b32 s17, -1, 0
.LBB256_388:
	s_delay_alu instid0(SALU_CYCLE_1)
	s_and_not1_b32 vcc_lo, exec_lo, s17
	s_cbranch_vccnz .LBB256_390
; %bb.389:
	s_mov_b32 s15, s3
.LBB256_390:
	v_and_b32_e32 v14, 0xff, v13
	s_mov_b32 s16, 0
	s_mov_b32 s17, exec_lo
	s_delay_alu instid0(VALU_DEP_1)
	v_cmpx_lt_i16_e32 0x7f, v14
	s_xor_b32 s17, exec_lo, s17
	s_cbranch_execnz .LBB256_400
; %bb.391:
	s_or_saveexec_b32 s17, s17
	v_mov_b32_e32 v3, 0x7f800001
	s_xor_b32 exec_lo, exec_lo, s17
	s_cbranch_execnz .LBB256_403
.LBB256_392:
	s_or_b32 exec_lo, exec_lo, s17
	s_and_saveexec_b32 s17, s16
	s_cbranch_execz .LBB256_394
.LBB256_393:
	v_and_b32_e32 v3, 3, v13
	v_lshrrev_b16 v15, 2, v13
	s_delay_alu instid0(VALU_DEP_2) | instskip(NEXT) | instid1(VALU_DEP_1)
	v_clz_i32_u32_e32 v14, v3
	v_min_u32_e32 v14, 32, v14
	s_delay_alu instid0(VALU_DEP_3) | instskip(NEXT) | instid1(VALU_DEP_2)
	v_and_b32_e32 v15, 31, v15
	v_subrev_nc_u32_e32 v16, 29, v14
	v_sub_nc_u32_e32 v14, 30, v14
	s_delay_alu instid0(VALU_DEP_3) | instskip(NEXT) | instid1(VALU_DEP_3)
	v_cmp_eq_u32_e32 vcc_lo, 0, v15
	v_dual_lshlrev_b32 v16, v16, v13 :: v_dual_lshlrev_b32 v13, 24, v13
	s_delay_alu instid0(VALU_DEP_1) | instskip(NEXT) | instid1(VALU_DEP_2)
	v_and_b32_e32 v16, 3, v16
	v_and_b32_e32 v13, 0x80000000, v13
	s_delay_alu instid0(VALU_DEP_2) | instskip(NEXT) | instid1(VALU_DEP_1)
	v_cndmask_b32_e32 v3, v3, v16, vcc_lo
	v_dual_cndmask_b32 v14, v15, v14 :: v_dual_lshlrev_b32 v3, 21, v3
	s_delay_alu instid0(VALU_DEP_1) | instskip(NEXT) | instid1(VALU_DEP_1)
	v_lshl_add_u32 v14, v14, 23, 0x37800000
	v_or3_b32 v3, v13, v14, v3
.LBB256_394:
	s_or_b32 exec_lo, exec_lo, s17
	s_delay_alu instid0(VALU_DEP_1)
	v_cmp_eq_f32_e64 s15, s15, v3
	v_cmp_ne_u32_e32 vcc_lo, 1, v2
	s_cbranch_vccz .LBB256_127
.LBB256_395:
                                        ; implicit-def: $sgpr16
	s_cbranch_execz .LBB256_144
; %bb.396:
	s_and_b32 s17, s10, 0xff
	s_delay_alu instid0(SALU_CYCLE_1)
	s_cmp_lt_i32 s17, 0x80
	s_cbranch_scc1 .LBB256_404
; %bb.397:
	s_and_b32 s16, 0xffff, s17
	s_mov_b32 s18, -1
	s_cmp_eq_u32 s16, 0x80
	s_cbranch_scc0 .LBB256_399
; %bb.398:
	s_mov_b32 s18, 0
.LBB256_399:
	s_mov_b32 s16, 0x7f800001
	s_branch .LBB256_406
.LBB256_400:
	s_mov_b32 s16, -1
	s_mov_b32 s18, exec_lo
	v_cmpx_eq_u16_e32 0x80, v14
; %bb.401:
	s_xor_b32 s16, exec_lo, -1
; %bb.402:
	s_or_b32 exec_lo, exec_lo, s18
	s_delay_alu instid0(SALU_CYCLE_1)
	s_and_b32 s16, s16, exec_lo
                                        ; implicit-def: $vgpr14
	s_or_saveexec_b32 s17, s17
	v_mov_b32_e32 v3, 0x7f800001
	s_xor_b32 exec_lo, exec_lo, s17
	s_cbranch_execz .LBB256_392
.LBB256_403:
	v_cmp_ne_u16_e32 vcc_lo, 0, v14
	v_mov_b32_e32 v3, 0
	s_and_not1_b32 s16, s16, exec_lo
	s_and_b32 s18, vcc_lo, exec_lo
	s_delay_alu instid0(SALU_CYCLE_1)
	s_or_b32 s16, s16, s18
	s_or_b32 exec_lo, exec_lo, s17
	s_and_saveexec_b32 s17, s16
	s_cbranch_execnz .LBB256_393
	s_branch .LBB256_394
.LBB256_404:
	s_mov_b32 s18, 0
	s_mov_b32 s16, 0x7f800001
	s_cbranch_execz .LBB256_406
; %bb.405:
	s_and_b32 s16, 0xffff, s17
	s_delay_alu instid0(SALU_CYCLE_1)
	s_cmp_lg_u32 s16, 0
	s_mov_b32 s16, 0
	s_cselect_b32 s18, -1, 0
.LBB256_406:
	s_delay_alu instid0(SALU_CYCLE_1)
	s_and_not1_b32 vcc_lo, exec_lo, s18
	s_cbranch_vccnz .LBB256_408
; %bb.407:
	s_mov_b32 s16, s3
.LBB256_408:
	v_and_b32_e32 v13, 0xff, v12
	s_mov_b32 s17, 0
	s_mov_b32 s18, exec_lo
	s_delay_alu instid0(VALU_DEP_1)
	v_cmpx_lt_i16_e32 0x7f, v13
	s_xor_b32 s18, exec_lo, s18
	s_cbranch_execnz .LBB256_418
; %bb.409:
	s_or_saveexec_b32 s18, s18
	v_mov_b32_e32 v3, 0x7f800001
	s_xor_b32 exec_lo, exec_lo, s18
	s_cbranch_execnz .LBB256_421
.LBB256_410:
	s_or_b32 exec_lo, exec_lo, s18
	s_and_saveexec_b32 s18, s17
	s_cbranch_execz .LBB256_412
.LBB256_411:
	v_and_b32_e32 v3, 3, v12
	v_lshrrev_b16 v14, 2, v12
	s_delay_alu instid0(VALU_DEP_2) | instskip(NEXT) | instid1(VALU_DEP_1)
	v_clz_i32_u32_e32 v13, v3
	v_min_u32_e32 v13, 32, v13
	s_delay_alu instid0(VALU_DEP_3) | instskip(NEXT) | instid1(VALU_DEP_2)
	v_and_b32_e32 v14, 31, v14
	v_subrev_nc_u32_e32 v15, 29, v13
	v_sub_nc_u32_e32 v13, 30, v13
	s_delay_alu instid0(VALU_DEP_3) | instskip(NEXT) | instid1(VALU_DEP_3)
	v_cmp_eq_u32_e32 vcc_lo, 0, v14
	v_dual_lshlrev_b32 v15, v15, v12 :: v_dual_lshlrev_b32 v12, 24, v12
	s_delay_alu instid0(VALU_DEP_1) | instskip(NEXT) | instid1(VALU_DEP_2)
	v_dual_cndmask_b32 v13, v14, v13, vcc_lo :: v_dual_bitop2_b32 v15, 3, v15 bitop3:0x40
	v_and_b32_e32 v12, 0x80000000, v12
	s_delay_alu instid0(VALU_DEP_2) | instskip(NEXT) | instid1(VALU_DEP_3)
	v_cndmask_b32_e32 v3, v3, v15, vcc_lo
	v_lshl_add_u32 v13, v13, 23, 0x37800000
	s_delay_alu instid0(VALU_DEP_2) | instskip(NEXT) | instid1(VALU_DEP_1)
	v_lshlrev_b32_e32 v3, 21, v3
	v_or3_b32 v3, v12, v13, v3
.LBB256_412:
	s_or_b32 exec_lo, exec_lo, s18
	s_delay_alu instid0(VALU_DEP_1)
	v_cmp_eq_f32_e64 s16, s16, v3
	v_cmp_ne_u32_e32 vcc_lo, 1, v2
	s_cbranch_vccz .LBB256_145
.LBB256_413:
                                        ; implicit-def: $sgpr17
	s_cbranch_execz .LBB256_162
; %bb.414:
	s_and_b32 s18, s10, 0xff
	s_delay_alu instid0(SALU_CYCLE_1)
	s_cmp_lt_i32 s18, 0x80
	s_cbranch_scc1 .LBB256_422
; %bb.415:
	s_and_b32 s17, 0xffff, s18
	s_mov_b32 s19, -1
	s_cmp_eq_u32 s17, 0x80
	s_cbranch_scc0 .LBB256_417
; %bb.416:
	s_mov_b32 s19, 0
.LBB256_417:
	s_mov_b32 s17, 0x7f800001
	s_branch .LBB256_424
.LBB256_418:
	s_mov_b32 s17, -1
	s_mov_b32 s19, exec_lo
	v_cmpx_eq_u16_e32 0x80, v13
; %bb.419:
	s_xor_b32 s17, exec_lo, -1
; %bb.420:
	s_or_b32 exec_lo, exec_lo, s19
	s_delay_alu instid0(SALU_CYCLE_1)
	s_and_b32 s17, s17, exec_lo
                                        ; implicit-def: $vgpr13
	s_or_saveexec_b32 s18, s18
	v_mov_b32_e32 v3, 0x7f800001
	s_xor_b32 exec_lo, exec_lo, s18
	s_cbranch_execz .LBB256_410
.LBB256_421:
	v_cmp_ne_u16_e32 vcc_lo, 0, v13
	v_mov_b32_e32 v3, 0
	s_and_not1_b32 s17, s17, exec_lo
	s_and_b32 s19, vcc_lo, exec_lo
	s_delay_alu instid0(SALU_CYCLE_1)
	s_or_b32 s17, s17, s19
	s_or_b32 exec_lo, exec_lo, s18
	s_and_saveexec_b32 s18, s17
	s_cbranch_execnz .LBB256_411
	s_branch .LBB256_412
.LBB256_422:
	s_mov_b32 s19, 0
	s_mov_b32 s17, 0x7f800001
	s_cbranch_execz .LBB256_424
; %bb.423:
	s_and_b32 s17, 0xffff, s18
	s_delay_alu instid0(SALU_CYCLE_1)
	s_cmp_lg_u32 s17, 0
	s_mov_b32 s17, 0
	s_cselect_b32 s19, -1, 0
.LBB256_424:
	s_delay_alu instid0(SALU_CYCLE_1)
	s_and_not1_b32 vcc_lo, exec_lo, s19
	s_cbranch_vccnz .LBB256_426
; %bb.425:
	s_mov_b32 s17, s3
.LBB256_426:
	s_mov_b32 s18, 0
	s_mov_b32 s19, exec_lo
	v_cmpx_lt_i16_e32 0x7f, v11
	s_xor_b32 s19, exec_lo, s19
	s_cbranch_execnz .LBB256_436
; %bb.427:
	s_or_saveexec_b32 s19, s19
	v_mov_b32_e32 v3, 0x7f800001
	s_xor_b32 exec_lo, exec_lo, s19
	s_cbranch_execnz .LBB256_439
.LBB256_428:
	s_or_b32 exec_lo, exec_lo, s19
	s_and_saveexec_b32 s19, s18
	s_cbranch_execz .LBB256_430
.LBB256_429:
	v_and_b32_e32 v3, 0xffff, v11
	s_delay_alu instid0(VALU_DEP_1) | instskip(SKIP_1) | instid1(VALU_DEP_2)
	v_and_b32_e32 v12, 3, v3
	v_bfe_u32 v15, v3, 2, 5
	v_clz_i32_u32_e32 v13, v12
	s_delay_alu instid0(VALU_DEP_2) | instskip(NEXT) | instid1(VALU_DEP_2)
	v_cmp_eq_u32_e32 vcc_lo, 0, v15
	v_min_u32_e32 v13, 32, v13
	s_delay_alu instid0(VALU_DEP_1) | instskip(NEXT) | instid1(VALU_DEP_1)
	v_subrev_nc_u32_e32 v14, 29, v13
	v_dual_lshlrev_b32 v3, v14, v3 :: v_dual_sub_nc_u32 v13, 30, v13
	s_delay_alu instid0(VALU_DEP_1) | instskip(NEXT) | instid1(VALU_DEP_2)
	v_and_b32_e32 v3, 3, v3
	v_dual_lshlrev_b32 v11, 24, v11 :: v_dual_cndmask_b32 v13, v15, v13, vcc_lo
	s_delay_alu instid0(VALU_DEP_2) | instskip(NEXT) | instid1(VALU_DEP_2)
	v_cndmask_b32_e32 v3, v12, v3, vcc_lo
	v_and_b32_e32 v11, 0x80000000, v11
	s_delay_alu instid0(VALU_DEP_3) | instskip(NEXT) | instid1(VALU_DEP_3)
	v_lshl_add_u32 v12, v13, 23, 0x37800000
	v_lshlrev_b32_e32 v3, 21, v3
	s_delay_alu instid0(VALU_DEP_1)
	v_or3_b32 v3, v11, v12, v3
.LBB256_430:
	s_or_b32 exec_lo, exec_lo, s19
	s_delay_alu instid0(VALU_DEP_1)
	v_cmp_eq_f32_e64 s17, s17, v3
	v_cmp_ne_u32_e32 vcc_lo, 1, v2
	s_cbranch_vccz .LBB256_163
.LBB256_431:
                                        ; implicit-def: $sgpr18
	s_cbranch_execz .LBB256_180
; %bb.432:
	s_and_b32 s19, s10, 0xff
	s_delay_alu instid0(SALU_CYCLE_1)
	s_cmp_lt_i32 s19, 0x80
	s_cbranch_scc1 .LBB256_440
; %bb.433:
	s_and_b32 s18, 0xffff, s19
	s_mov_b32 s20, -1
	s_cmp_eq_u32 s18, 0x80
	s_cbranch_scc0 .LBB256_435
; %bb.434:
	s_mov_b32 s20, 0
.LBB256_435:
	s_mov_b32 s18, 0x7f800001
	s_branch .LBB256_442
.LBB256_436:
	s_mov_b32 s18, -1
	s_mov_b32 s20, exec_lo
	v_cmpx_eq_u16_e32 0x80, v11
; %bb.437:
	s_xor_b32 s18, exec_lo, -1
; %bb.438:
	s_or_b32 exec_lo, exec_lo, s20
	s_delay_alu instid0(SALU_CYCLE_1)
	s_and_b32 s18, s18, exec_lo
	s_or_saveexec_b32 s19, s19
	v_mov_b32_e32 v3, 0x7f800001
	s_xor_b32 exec_lo, exec_lo, s19
	s_cbranch_execz .LBB256_428
.LBB256_439:
	v_cmp_ne_u16_e32 vcc_lo, 0, v11
	v_mov_b32_e32 v3, 0
	s_and_not1_b32 s18, s18, exec_lo
	s_and_b32 s20, vcc_lo, exec_lo
	s_delay_alu instid0(SALU_CYCLE_1)
	s_or_b32 s18, s18, s20
	s_or_b32 exec_lo, exec_lo, s19
	s_and_saveexec_b32 s19, s18
	s_cbranch_execnz .LBB256_429
	s_branch .LBB256_430
.LBB256_440:
	s_mov_b32 s20, 0
	s_mov_b32 s18, 0x7f800001
	s_cbranch_execz .LBB256_442
; %bb.441:
	s_and_b32 s18, 0xffff, s19
	s_delay_alu instid0(SALU_CYCLE_1)
	s_cmp_lg_u32 s18, 0
	s_mov_b32 s18, 0
	s_cselect_b32 s20, -1, 0
.LBB256_442:
	s_delay_alu instid0(SALU_CYCLE_1)
	s_and_not1_b32 vcc_lo, exec_lo, s20
	s_cbranch_vccnz .LBB256_444
; %bb.443:
	s_mov_b32 s18, s3
.LBB256_444:
	v_and_b32_e32 v11, 0xff, v4
	s_mov_b32 s19, 0
	s_mov_b32 s20, exec_lo
	s_delay_alu instid0(VALU_DEP_1)
	v_cmpx_lt_i16_e32 0x7f, v11
	s_xor_b32 s20, exec_lo, s20
	s_cbranch_execnz .LBB256_454
; %bb.445:
	s_or_saveexec_b32 s20, s20
	v_mov_b32_e32 v3, 0x7f800001
	s_xor_b32 exec_lo, exec_lo, s20
	s_cbranch_execnz .LBB256_457
.LBB256_446:
	s_or_b32 exec_lo, exec_lo, s20
	s_and_saveexec_b32 s20, s19
	s_cbranch_execz .LBB256_448
.LBB256_447:
	v_and_b32_e32 v3, 3, v4
	v_lshrrev_b16 v12, 2, v4
	s_delay_alu instid0(VALU_DEP_2) | instskip(NEXT) | instid1(VALU_DEP_1)
	v_clz_i32_u32_e32 v11, v3
	v_min_u32_e32 v11, 32, v11
	s_delay_alu instid0(VALU_DEP_3) | instskip(NEXT) | instid1(VALU_DEP_2)
	v_and_b32_e32 v12, 31, v12
	v_subrev_nc_u32_e32 v13, 29, v11
	v_sub_nc_u32_e32 v11, 30, v11
	s_delay_alu instid0(VALU_DEP_3) | instskip(NEXT) | instid1(VALU_DEP_3)
	v_cmp_eq_u32_e32 vcc_lo, 0, v12
	v_dual_lshlrev_b32 v13, v13, v4 :: v_dual_lshlrev_b32 v4, 24, v4
	s_delay_alu instid0(VALU_DEP_1) | instskip(NEXT) | instid1(VALU_DEP_2)
	v_dual_cndmask_b32 v11, v12, v11, vcc_lo :: v_dual_bitop2_b32 v13, 3, v13 bitop3:0x40
	v_and_b32_e32 v4, 0x80000000, v4
	s_delay_alu instid0(VALU_DEP_2) | instskip(NEXT) | instid1(VALU_DEP_3)
	v_cndmask_b32_e32 v3, v3, v13, vcc_lo
	v_lshl_add_u32 v11, v11, 23, 0x37800000
	s_delay_alu instid0(VALU_DEP_2) | instskip(NEXT) | instid1(VALU_DEP_1)
	v_lshlrev_b32_e32 v3, 21, v3
	v_or3_b32 v3, v4, v11, v3
.LBB256_448:
	s_or_b32 exec_lo, exec_lo, s20
	s_delay_alu instid0(VALU_DEP_1)
	v_cmp_eq_f32_e64 s18, s18, v3
	v_cmp_ne_u32_e32 vcc_lo, 1, v2
	s_cbranch_vccz .LBB256_181
.LBB256_449:
                                        ; implicit-def: $sgpr19
	s_cbranch_execz .LBB256_198
; %bb.450:
	s_and_b32 s20, s10, 0xff
	s_delay_alu instid0(SALU_CYCLE_1)
	s_cmp_lt_i32 s20, 0x80
	s_cbranch_scc1 .LBB256_458
; %bb.451:
	s_and_b32 s19, 0xffff, s20
	s_mov_b32 s21, -1
	s_cmp_eq_u32 s19, 0x80
	s_cbranch_scc0 .LBB256_453
; %bb.452:
	s_mov_b32 s21, 0
.LBB256_453:
	s_mov_b32 s19, 0x7f800001
	s_branch .LBB256_460
.LBB256_454:
	s_mov_b32 s19, -1
	s_mov_b32 s21, exec_lo
	v_cmpx_eq_u16_e32 0x80, v11
; %bb.455:
	s_xor_b32 s19, exec_lo, -1
; %bb.456:
	s_or_b32 exec_lo, exec_lo, s21
	s_delay_alu instid0(SALU_CYCLE_1)
	s_and_b32 s19, s19, exec_lo
                                        ; implicit-def: $vgpr11
	s_or_saveexec_b32 s20, s20
	v_mov_b32_e32 v3, 0x7f800001
	s_xor_b32 exec_lo, exec_lo, s20
	s_cbranch_execz .LBB256_446
.LBB256_457:
	v_cmp_ne_u16_e32 vcc_lo, 0, v11
	v_mov_b32_e32 v3, 0
	s_and_not1_b32 s19, s19, exec_lo
	s_and_b32 s21, vcc_lo, exec_lo
	s_delay_alu instid0(SALU_CYCLE_1)
	s_or_b32 s19, s19, s21
	s_or_b32 exec_lo, exec_lo, s20
	s_and_saveexec_b32 s20, s19
	s_cbranch_execnz .LBB256_447
	s_branch .LBB256_448
.LBB256_458:
	s_mov_b32 s21, 0
	s_mov_b32 s19, 0x7f800001
	s_cbranch_execz .LBB256_460
; %bb.459:
	s_and_b32 s19, 0xffff, s20
	s_delay_alu instid0(SALU_CYCLE_1)
	s_cmp_lg_u32 s19, 0
	s_mov_b32 s19, 0
	s_cselect_b32 s21, -1, 0
.LBB256_460:
	s_delay_alu instid0(SALU_CYCLE_1)
	s_and_not1_b32 vcc_lo, exec_lo, s21
	s_cbranch_vccnz .LBB256_462
; %bb.461:
	s_mov_b32 s19, s3
.LBB256_462:
	v_and_b32_e32 v4, 0xff, v10
	s_mov_b32 s20, 0
	s_mov_b32 s21, exec_lo
	s_delay_alu instid0(VALU_DEP_1)
	v_cmpx_lt_i16_e32 0x7f, v4
	s_xor_b32 s21, exec_lo, s21
	s_cbranch_execnz .LBB256_472
; %bb.463:
	s_or_saveexec_b32 s21, s21
	v_mov_b32_e32 v3, 0x7f800001
	s_xor_b32 exec_lo, exec_lo, s21
	s_cbranch_execnz .LBB256_475
.LBB256_464:
	s_or_b32 exec_lo, exec_lo, s21
	s_and_saveexec_b32 s21, s20
	s_cbranch_execz .LBB256_466
.LBB256_465:
	v_and_b32_e32 v3, 3, v10
	v_lshrrev_b16 v11, 2, v10
	s_delay_alu instid0(VALU_DEP_2) | instskip(NEXT) | instid1(VALU_DEP_1)
	v_clz_i32_u32_e32 v4, v3
	v_min_u32_e32 v4, 32, v4
	s_delay_alu instid0(VALU_DEP_3) | instskip(NEXT) | instid1(VALU_DEP_2)
	v_and_b32_e32 v11, 31, v11
	v_subrev_nc_u32_e32 v12, 29, v4
	v_sub_nc_u32_e32 v4, 30, v4
	s_delay_alu instid0(VALU_DEP_3) | instskip(NEXT) | instid1(VALU_DEP_3)
	v_cmp_eq_u32_e32 vcc_lo, 0, v11
	v_dual_lshlrev_b32 v12, v12, v10 :: v_dual_lshlrev_b32 v10, 24, v10
	s_delay_alu instid0(VALU_DEP_1) | instskip(NEXT) | instid1(VALU_DEP_2)
	v_and_b32_e32 v12, 3, v12
	v_and_b32_e32 v10, 0x80000000, v10
	s_delay_alu instid0(VALU_DEP_2) | instskip(NEXT) | instid1(VALU_DEP_1)
	v_cndmask_b32_e32 v3, v3, v12, vcc_lo
	v_dual_cndmask_b32 v4, v11, v4 :: v_dual_lshlrev_b32 v3, 21, v3
	s_delay_alu instid0(VALU_DEP_1) | instskip(NEXT) | instid1(VALU_DEP_1)
	v_lshl_add_u32 v4, v4, 23, 0x37800000
	v_or3_b32 v3, v10, v4, v3
.LBB256_466:
	s_or_b32 exec_lo, exec_lo, s21
	s_delay_alu instid0(VALU_DEP_1)
	v_cmp_eq_f32_e64 s19, s19, v3
	v_cmp_ne_u32_e32 vcc_lo, 1, v2
	s_cbranch_vccz .LBB256_199
.LBB256_467:
                                        ; implicit-def: $sgpr20
	s_cbranch_execz .LBB256_216
; %bb.468:
	s_and_b32 s21, s10, 0xff
	s_delay_alu instid0(SALU_CYCLE_1)
	s_cmp_lt_i32 s21, 0x80
	s_cbranch_scc1 .LBB256_476
; %bb.469:
	s_and_b32 s20, 0xffff, s21
	s_mov_b32 s22, -1
	s_cmp_eq_u32 s20, 0x80
	s_cbranch_scc0 .LBB256_471
; %bb.470:
	s_mov_b32 s22, 0
.LBB256_471:
	s_mov_b32 s20, 0x7f800001
	s_branch .LBB256_478
.LBB256_472:
	s_mov_b32 s20, -1
	s_mov_b32 s22, exec_lo
	v_cmpx_eq_u16_e32 0x80, v4
; %bb.473:
	s_xor_b32 s20, exec_lo, -1
; %bb.474:
	s_or_b32 exec_lo, exec_lo, s22
	s_delay_alu instid0(SALU_CYCLE_1)
	s_and_b32 s20, s20, exec_lo
                                        ; implicit-def: $vgpr4
	s_or_saveexec_b32 s21, s21
	v_mov_b32_e32 v3, 0x7f800001
	s_xor_b32 exec_lo, exec_lo, s21
	s_cbranch_execz .LBB256_464
.LBB256_475:
	v_cmp_ne_u16_e32 vcc_lo, 0, v4
	v_mov_b32_e32 v3, 0
	s_and_not1_b32 s20, s20, exec_lo
	s_and_b32 s22, vcc_lo, exec_lo
	s_delay_alu instid0(SALU_CYCLE_1)
	s_or_b32 s20, s20, s22
	s_or_b32 exec_lo, exec_lo, s21
	s_and_saveexec_b32 s21, s20
	s_cbranch_execnz .LBB256_465
	s_branch .LBB256_466
.LBB256_476:
	s_mov_b32 s22, 0
	s_mov_b32 s20, 0x7f800001
	s_cbranch_execz .LBB256_478
; %bb.477:
	s_and_b32 s20, 0xffff, s21
	s_delay_alu instid0(SALU_CYCLE_1)
	s_cmp_lg_u32 s20, 0
	s_mov_b32 s20, 0
	s_cselect_b32 s22, -1, 0
.LBB256_478:
	s_delay_alu instid0(SALU_CYCLE_1)
	s_and_not1_b32 vcc_lo, exec_lo, s22
	s_cbranch_vccnz .LBB256_480
; %bb.479:
	s_mov_b32 s20, s3
.LBB256_480:
	v_and_b32_e32 v4, 0xff, v9
	s_mov_b32 s21, 0
	s_mov_b32 s22, exec_lo
	s_delay_alu instid0(VALU_DEP_1)
	v_cmpx_lt_i16_e32 0x7f, v4
	s_xor_b32 s22, exec_lo, s22
	s_cbranch_execnz .LBB256_490
; %bb.481:
	s_or_saveexec_b32 s22, s22
	v_mov_b32_e32 v3, 0x7f800001
	s_xor_b32 exec_lo, exec_lo, s22
	s_cbranch_execnz .LBB256_493
.LBB256_482:
	s_or_b32 exec_lo, exec_lo, s22
	s_and_saveexec_b32 s22, s21
	s_cbranch_execz .LBB256_484
.LBB256_483:
	v_and_b32_e32 v3, 3, v9
	v_lshrrev_b16 v10, 2, v9
	s_delay_alu instid0(VALU_DEP_2) | instskip(NEXT) | instid1(VALU_DEP_1)
	v_clz_i32_u32_e32 v4, v3
	v_min_u32_e32 v4, 32, v4
	s_delay_alu instid0(VALU_DEP_3) | instskip(NEXT) | instid1(VALU_DEP_2)
	v_and_b32_e32 v10, 31, v10
	v_subrev_nc_u32_e32 v11, 29, v4
	v_sub_nc_u32_e32 v4, 30, v4
	s_delay_alu instid0(VALU_DEP_3) | instskip(NEXT) | instid1(VALU_DEP_3)
	v_cmp_eq_u32_e32 vcc_lo, 0, v10
	v_dual_lshlrev_b32 v11, v11, v9 :: v_dual_lshlrev_b32 v9, 24, v9
	s_delay_alu instid0(VALU_DEP_1) | instskip(NEXT) | instid1(VALU_DEP_2)
	v_dual_cndmask_b32 v4, v10, v4, vcc_lo :: v_dual_bitop2_b32 v11, 3, v11 bitop3:0x40
	v_and_b32_e32 v9, 0x80000000, v9
	s_delay_alu instid0(VALU_DEP_2) | instskip(NEXT) | instid1(VALU_DEP_3)
	v_cndmask_b32_e32 v3, v3, v11, vcc_lo
	v_lshl_add_u32 v4, v4, 23, 0x37800000
	s_delay_alu instid0(VALU_DEP_2) | instskip(NEXT) | instid1(VALU_DEP_1)
	v_lshlrev_b32_e32 v3, 21, v3
	v_or3_b32 v3, v9, v4, v3
.LBB256_484:
	s_or_b32 exec_lo, exec_lo, s22
	s_delay_alu instid0(VALU_DEP_1)
	v_cmp_eq_f32_e64 s20, s20, v3
	v_cmp_ne_u32_e32 vcc_lo, 1, v2
	s_cbranch_vccz .LBB256_217
.LBB256_485:
                                        ; implicit-def: $sgpr21
	s_cbranch_execz .LBB256_234
; %bb.486:
	s_and_b32 s22, s10, 0xff
	s_delay_alu instid0(SALU_CYCLE_1)
	s_cmp_lt_i32 s22, 0x80
	s_cbranch_scc1 .LBB256_494
; %bb.487:
	s_and_b32 s21, 0xffff, s22
	s_mov_b32 s23, -1
	s_cmp_eq_u32 s21, 0x80
	s_cbranch_scc0 .LBB256_489
; %bb.488:
	s_mov_b32 s23, 0
.LBB256_489:
	s_mov_b32 s21, 0x7f800001
	s_branch .LBB256_496
.LBB256_490:
	s_mov_b32 s21, -1
	s_mov_b32 s23, exec_lo
	v_cmpx_eq_u16_e32 0x80, v4
; %bb.491:
	s_xor_b32 s21, exec_lo, -1
; %bb.492:
	s_or_b32 exec_lo, exec_lo, s23
	s_delay_alu instid0(SALU_CYCLE_1)
	s_and_b32 s21, s21, exec_lo
                                        ; implicit-def: $vgpr4
	s_or_saveexec_b32 s22, s22
	v_mov_b32_e32 v3, 0x7f800001
	s_xor_b32 exec_lo, exec_lo, s22
	s_cbranch_execz .LBB256_482
.LBB256_493:
	v_cmp_ne_u16_e32 vcc_lo, 0, v4
	v_mov_b32_e32 v3, 0
	s_and_not1_b32 s21, s21, exec_lo
	s_and_b32 s23, vcc_lo, exec_lo
	s_delay_alu instid0(SALU_CYCLE_1)
	s_or_b32 s21, s21, s23
	s_or_b32 exec_lo, exec_lo, s22
	s_and_saveexec_b32 s22, s21
	s_cbranch_execnz .LBB256_483
	s_branch .LBB256_484
.LBB256_494:
	s_mov_b32 s23, 0
	s_mov_b32 s21, 0x7f800001
	s_cbranch_execz .LBB256_496
; %bb.495:
	s_and_b32 s21, 0xffff, s22
	s_delay_alu instid0(SALU_CYCLE_1)
	s_cmp_lg_u32 s21, 0
	s_mov_b32 s21, 0
	s_cselect_b32 s23, -1, 0
.LBB256_496:
	s_delay_alu instid0(SALU_CYCLE_1)
	s_and_not1_b32 vcc_lo, exec_lo, s23
	s_cbranch_vccnz .LBB256_498
; %bb.497:
	s_mov_b32 s21, s3
.LBB256_498:
	s_mov_b32 s22, 0
	s_mov_b32 s23, exec_lo
	v_cmpx_lt_i16_e32 0x7f, v8
	s_xor_b32 s23, exec_lo, s23
	s_cbranch_execnz .LBB256_508
; %bb.499:
	s_or_saveexec_b32 s23, s23
	v_mov_b32_e32 v3, 0x7f800001
	s_xor_b32 exec_lo, exec_lo, s23
	s_cbranch_execnz .LBB256_511
.LBB256_500:
	s_or_b32 exec_lo, exec_lo, s23
	s_and_saveexec_b32 s23, s22
	s_cbranch_execz .LBB256_502
.LBB256_501:
	v_and_b32_e32 v3, 0xffff, v8
	s_delay_alu instid0(VALU_DEP_1) | instskip(SKIP_1) | instid1(VALU_DEP_2)
	v_and_b32_e32 v4, 3, v3
	v_bfe_u32 v11, v3, 2, 5
	v_clz_i32_u32_e32 v9, v4
	s_delay_alu instid0(VALU_DEP_2) | instskip(NEXT) | instid1(VALU_DEP_2)
	v_cmp_eq_u32_e32 vcc_lo, 0, v11
	v_min_u32_e32 v9, 32, v9
	s_delay_alu instid0(VALU_DEP_1) | instskip(NEXT) | instid1(VALU_DEP_1)
	v_subrev_nc_u32_e32 v10, 29, v9
	v_dual_lshlrev_b32 v3, v10, v3 :: v_dual_sub_nc_u32 v9, 30, v9
	s_delay_alu instid0(VALU_DEP_1) | instskip(NEXT) | instid1(VALU_DEP_1)
	v_dual_lshlrev_b32 v8, 24, v8 :: v_dual_bitop2_b32 v3, 3, v3 bitop3:0x40
	v_dual_cndmask_b32 v9, v11, v9, vcc_lo :: v_dual_cndmask_b32 v3, v4, v3, vcc_lo
	s_delay_alu instid0(VALU_DEP_2) | instskip(NEXT) | instid1(VALU_DEP_2)
	v_and_b32_e32 v4, 0x80000000, v8
	v_lshl_add_u32 v8, v9, 23, 0x37800000
	s_delay_alu instid0(VALU_DEP_3) | instskip(NEXT) | instid1(VALU_DEP_1)
	v_lshlrev_b32_e32 v3, 21, v3
	v_or3_b32 v3, v4, v8, v3
.LBB256_502:
	s_or_b32 exec_lo, exec_lo, s23
	s_delay_alu instid0(VALU_DEP_1)
	v_cmp_eq_f32_e64 s21, s21, v3
	v_cmp_ne_u32_e32 vcc_lo, 1, v2
	s_cbranch_vccz .LBB256_235
.LBB256_503:
                                        ; implicit-def: $sgpr22
	s_cbranch_execz .LBB256_252
; %bb.504:
	s_and_b32 s23, s10, 0xff
	s_delay_alu instid0(SALU_CYCLE_1)
	s_cmp_lt_i32 s23, 0x80
	s_cbranch_scc1 .LBB256_512
; %bb.505:
	s_and_b32 s22, 0xffff, s23
	s_mov_b32 s24, -1
	s_cmp_eq_u32 s22, 0x80
	s_cbranch_scc0 .LBB256_507
; %bb.506:
	s_mov_b32 s24, 0
.LBB256_507:
	s_mov_b32 s22, 0x7f800001
	s_branch .LBB256_514
.LBB256_508:
	s_mov_b32 s22, -1
	s_mov_b32 s24, exec_lo
	v_cmpx_eq_u16_e32 0x80, v8
; %bb.509:
	s_xor_b32 s22, exec_lo, -1
; %bb.510:
	s_or_b32 exec_lo, exec_lo, s24
	s_delay_alu instid0(SALU_CYCLE_1)
	s_and_b32 s22, s22, exec_lo
	s_or_saveexec_b32 s23, s23
	v_mov_b32_e32 v3, 0x7f800001
	s_xor_b32 exec_lo, exec_lo, s23
	s_cbranch_execz .LBB256_500
.LBB256_511:
	v_cmp_ne_u16_e32 vcc_lo, 0, v8
	v_mov_b32_e32 v3, 0
	s_and_not1_b32 s22, s22, exec_lo
	s_and_b32 s24, vcc_lo, exec_lo
	s_delay_alu instid0(SALU_CYCLE_1)
	s_or_b32 s22, s22, s24
	s_or_b32 exec_lo, exec_lo, s23
	s_and_saveexec_b32 s23, s22
	s_cbranch_execnz .LBB256_501
	s_branch .LBB256_502
.LBB256_512:
	s_mov_b32 s24, 0
	s_mov_b32 s22, 0x7f800001
	s_cbranch_execz .LBB256_514
; %bb.513:
	s_and_b32 s22, 0xffff, s23
	s_delay_alu instid0(SALU_CYCLE_1)
	s_cmp_lg_u32 s22, 0
	s_mov_b32 s22, 0
	s_cselect_b32 s24, -1, 0
.LBB256_514:
	s_delay_alu instid0(SALU_CYCLE_1)
	s_and_not1_b32 vcc_lo, exec_lo, s24
	s_cbranch_vccnz .LBB256_516
; %bb.515:
	s_mov_b32 s22, s3
.LBB256_516:
	v_and_b32_e32 v4, 0xff, v5
	s_mov_b32 s23, 0
	s_mov_b32 s24, exec_lo
	s_delay_alu instid0(VALU_DEP_1)
	v_cmpx_lt_i16_e32 0x7f, v4
	s_xor_b32 s24, exec_lo, s24
	s_cbranch_execnz .LBB256_526
; %bb.517:
	s_or_saveexec_b32 s24, s24
	v_mov_b32_e32 v3, 0x7f800001
	s_xor_b32 exec_lo, exec_lo, s24
	s_cbranch_execnz .LBB256_529
.LBB256_518:
	s_or_b32 exec_lo, exec_lo, s24
	s_and_saveexec_b32 s24, s23
	s_cbranch_execz .LBB256_520
.LBB256_519:
	v_and_b32_e32 v3, 3, v5
	v_lshrrev_b16 v8, 2, v5
	s_delay_alu instid0(VALU_DEP_2) | instskip(NEXT) | instid1(VALU_DEP_2)
	v_clz_i32_u32_e32 v4, v3
	v_and_b32_e32 v8, 31, v8
	s_delay_alu instid0(VALU_DEP_2) | instskip(NEXT) | instid1(VALU_DEP_1)
	v_min_u32_e32 v4, 32, v4
	v_subrev_nc_u32_e32 v9, 29, v4
	s_delay_alu instid0(VALU_DEP_1) | instskip(SKIP_2) | instid1(VALU_DEP_3)
	v_dual_lshlrev_b32 v9, v9, v5 :: v_dual_sub_nc_u32 v4, 30, v4
	v_lshlrev_b32_e32 v5, 24, v5
	v_cmp_eq_u32_e32 vcc_lo, 0, v8
	v_and_b32_e32 v9, 3, v9
	s_delay_alu instid0(VALU_DEP_3) | instskip(NEXT) | instid1(VALU_DEP_2)
	v_and_b32_e32 v5, 0x80000000, v5
	v_dual_cndmask_b32 v4, v8, v4 :: v_dual_cndmask_b32 v3, v3, v9
	s_delay_alu instid0(VALU_DEP_1) | instskip(NEXT) | instid1(VALU_DEP_2)
	v_lshl_add_u32 v4, v4, 23, 0x37800000
	v_lshlrev_b32_e32 v3, 21, v3
	s_delay_alu instid0(VALU_DEP_1)
	v_or3_b32 v3, v5, v4, v3
.LBB256_520:
	s_or_b32 exec_lo, exec_lo, s24
	s_delay_alu instid0(VALU_DEP_1)
	v_cmp_eq_f32_e64 s22, s22, v3
	v_cmp_ne_u32_e32 vcc_lo, 1, v2
	s_cbranch_vccz .LBB256_253
.LBB256_521:
                                        ; implicit-def: $sgpr23
	s_cbranch_execz .LBB256_270
; %bb.522:
	s_and_b32 s24, s10, 0xff
	s_delay_alu instid0(SALU_CYCLE_1)
	s_cmp_lt_i32 s24, 0x80
	s_cbranch_scc1 .LBB256_530
; %bb.523:
	s_and_b32 s23, 0xffff, s24
	s_mov_b32 s25, -1
	s_cmp_eq_u32 s23, 0x80
	s_cbranch_scc0 .LBB256_525
; %bb.524:
	s_mov_b32 s25, 0
.LBB256_525:
	s_mov_b32 s23, 0x7f800001
	s_branch .LBB256_532
.LBB256_526:
	s_mov_b32 s23, -1
	s_mov_b32 s25, exec_lo
	v_cmpx_eq_u16_e32 0x80, v4
; %bb.527:
	s_xor_b32 s23, exec_lo, -1
; %bb.528:
	s_or_b32 exec_lo, exec_lo, s25
	s_delay_alu instid0(SALU_CYCLE_1)
	s_and_b32 s23, s23, exec_lo
                                        ; implicit-def: $vgpr4
	s_or_saveexec_b32 s24, s24
	v_mov_b32_e32 v3, 0x7f800001
	s_xor_b32 exec_lo, exec_lo, s24
	s_cbranch_execz .LBB256_518
.LBB256_529:
	v_cmp_ne_u16_e32 vcc_lo, 0, v4
	v_mov_b32_e32 v3, 0
	s_and_not1_b32 s23, s23, exec_lo
	s_and_b32 s25, vcc_lo, exec_lo
	s_delay_alu instid0(SALU_CYCLE_1)
	s_or_b32 s23, s23, s25
	s_or_b32 exec_lo, exec_lo, s24
	s_and_saveexec_b32 s24, s23
	s_cbranch_execnz .LBB256_519
	s_branch .LBB256_520
.LBB256_530:
	s_mov_b32 s25, 0
	s_mov_b32 s23, 0x7f800001
	s_cbranch_execz .LBB256_532
; %bb.531:
	s_and_b32 s23, 0xffff, s24
	s_delay_alu instid0(SALU_CYCLE_1)
	s_cmp_lg_u32 s23, 0
	s_mov_b32 s23, 0
	s_cselect_b32 s25, -1, 0
.LBB256_532:
	s_delay_alu instid0(SALU_CYCLE_1)
	s_and_not1_b32 vcc_lo, exec_lo, s25
	s_cbranch_vccnz .LBB256_534
; %bb.533:
	s_mov_b32 s23, s3
.LBB256_534:
	v_and_b32_e32 v4, 0xff, v7
	s_mov_b32 s24, 0
	s_mov_b32 s25, exec_lo
	s_delay_alu instid0(VALU_DEP_1)
	v_cmpx_lt_i16_e32 0x7f, v4
	s_xor_b32 s25, exec_lo, s25
	s_cbranch_execnz .LBB256_544
; %bb.535:
	s_or_saveexec_b32 s25, s25
	v_mov_b32_e32 v3, 0x7f800001
	s_xor_b32 exec_lo, exec_lo, s25
	s_cbranch_execnz .LBB256_547
.LBB256_536:
	s_or_b32 exec_lo, exec_lo, s25
	s_and_saveexec_b32 s25, s24
	s_cbranch_execz .LBB256_538
.LBB256_537:
	v_and_b32_e32 v3, 3, v7
	v_lshrrev_b16 v5, 2, v7
	s_delay_alu instid0(VALU_DEP_2) | instskip(NEXT) | instid1(VALU_DEP_1)
	v_clz_i32_u32_e32 v4, v3
	v_min_u32_e32 v4, 32, v4
	s_delay_alu instid0(VALU_DEP_3) | instskip(NEXT) | instid1(VALU_DEP_2)
	v_and_b32_e32 v5, 31, v5
	v_subrev_nc_u32_e32 v8, 29, v4
	v_sub_nc_u32_e32 v4, 30, v4
	s_delay_alu instid0(VALU_DEP_3) | instskip(NEXT) | instid1(VALU_DEP_3)
	v_cmp_eq_u32_e32 vcc_lo, 0, v5
	v_dual_lshlrev_b32 v8, v8, v7 :: v_dual_lshlrev_b32 v7, 24, v7
	s_delay_alu instid0(VALU_DEP_1) | instskip(NEXT) | instid1(VALU_DEP_1)
	v_and_b32_e32 v8, 3, v8
	v_cndmask_b32_e32 v3, v3, v8, vcc_lo
	v_cndmask_b32_e32 v4, v5, v4, vcc_lo
	s_delay_alu instid0(VALU_DEP_4) | instskip(NEXT) | instid1(VALU_DEP_3)
	v_and_b32_e32 v5, 0x80000000, v7
	v_lshlrev_b32_e32 v3, 21, v3
	s_delay_alu instid0(VALU_DEP_3) | instskip(NEXT) | instid1(VALU_DEP_1)
	v_lshl_add_u32 v4, v4, 23, 0x37800000
	v_or3_b32 v3, v5, v4, v3
.LBB256_538:
	s_or_b32 exec_lo, exec_lo, s25
	s_delay_alu instid0(VALU_DEP_1)
	v_cmp_eq_f32_e64 s23, s23, v3
	v_cmp_ne_u32_e32 vcc_lo, 1, v2
	s_cbranch_vccz .LBB256_271
.LBB256_539:
                                        ; implicit-def: $sgpr24
	s_cbranch_execz .LBB256_288
; %bb.540:
	s_and_b32 s25, s10, 0xff
	s_delay_alu instid0(SALU_CYCLE_1)
	s_cmp_lt_i32 s25, 0x80
	s_cbranch_scc1 .LBB256_548
; %bb.541:
	s_and_b32 s24, 0xffff, s25
	s_mov_b32 s26, -1
	s_cmp_eq_u32 s24, 0x80
	s_cbranch_scc0 .LBB256_543
; %bb.542:
	s_mov_b32 s26, 0
.LBB256_543:
	s_mov_b32 s24, 0x7f800001
	s_branch .LBB256_550
.LBB256_544:
	s_mov_b32 s24, -1
	s_mov_b32 s26, exec_lo
	v_cmpx_eq_u16_e32 0x80, v4
; %bb.545:
	s_xor_b32 s24, exec_lo, -1
; %bb.546:
	s_or_b32 exec_lo, exec_lo, s26
	s_delay_alu instid0(SALU_CYCLE_1)
	s_and_b32 s24, s24, exec_lo
                                        ; implicit-def: $vgpr4
	s_or_saveexec_b32 s25, s25
	v_mov_b32_e32 v3, 0x7f800001
	s_xor_b32 exec_lo, exec_lo, s25
	s_cbranch_execz .LBB256_536
.LBB256_547:
	v_cmp_ne_u16_e32 vcc_lo, 0, v4
	v_mov_b32_e32 v3, 0
	s_and_not1_b32 s24, s24, exec_lo
	s_and_b32 s26, vcc_lo, exec_lo
	s_delay_alu instid0(SALU_CYCLE_1)
	s_or_b32 s24, s24, s26
	s_or_b32 exec_lo, exec_lo, s25
	s_and_saveexec_b32 s25, s24
	s_cbranch_execnz .LBB256_537
	s_branch .LBB256_538
.LBB256_548:
	s_mov_b32 s26, 0
	s_mov_b32 s24, 0x7f800001
	s_cbranch_execz .LBB256_550
; %bb.549:
	s_and_b32 s24, 0xffff, s25
	s_delay_alu instid0(SALU_CYCLE_1)
	s_cmp_lg_u32 s24, 0
	s_mov_b32 s24, 0
	s_cselect_b32 s26, -1, 0
.LBB256_550:
	s_delay_alu instid0(SALU_CYCLE_1)
	s_and_not1_b32 vcc_lo, exec_lo, s26
	s_cbranch_vccnz .LBB256_552
; %bb.551:
	s_mov_b32 s24, s3
.LBB256_552:
	v_and_b32_e32 v4, 0xff, v6
	s_mov_b32 s25, 0
	s_mov_b32 s26, exec_lo
	s_delay_alu instid0(VALU_DEP_1)
	v_cmpx_lt_i16_e32 0x7f, v4
	s_xor_b32 s26, exec_lo, s26
	s_cbranch_execnz .LBB256_562
; %bb.553:
	s_or_saveexec_b32 s26, s26
	v_mov_b32_e32 v3, 0x7f800001
	s_xor_b32 exec_lo, exec_lo, s26
	s_cbranch_execnz .LBB256_565
.LBB256_554:
	s_or_b32 exec_lo, exec_lo, s26
	s_and_saveexec_b32 s26, s25
	s_cbranch_execz .LBB256_556
.LBB256_555:
	v_and_b32_e32 v3, 3, v6
	v_lshrrev_b16 v5, 2, v6
	s_delay_alu instid0(VALU_DEP_2) | instskip(NEXT) | instid1(VALU_DEP_1)
	v_clz_i32_u32_e32 v4, v3
	v_min_u32_e32 v4, 32, v4
	s_delay_alu instid0(VALU_DEP_3) | instskip(NEXT) | instid1(VALU_DEP_2)
	v_and_b32_e32 v5, 31, v5
	v_subrev_nc_u32_e32 v7, 29, v4
	v_sub_nc_u32_e32 v4, 30, v4
	s_delay_alu instid0(VALU_DEP_3) | instskip(NEXT) | instid1(VALU_DEP_3)
	v_cmp_eq_u32_e32 vcc_lo, 0, v5
	v_dual_lshlrev_b32 v7, v7, v6 :: v_dual_lshlrev_b32 v6, 24, v6
	s_delay_alu instid0(VALU_DEP_1) | instskip(NEXT) | instid1(VALU_DEP_2)
	v_dual_cndmask_b32 v4, v5, v4, vcc_lo :: v_dual_bitop2_b32 v7, 3, v7 bitop3:0x40
	v_and_b32_e32 v5, 0x80000000, v6
	s_delay_alu instid0(VALU_DEP_2) | instskip(NEXT) | instid1(VALU_DEP_3)
	v_cndmask_b32_e32 v3, v3, v7, vcc_lo
	v_lshl_add_u32 v4, v4, 23, 0x37800000
	s_delay_alu instid0(VALU_DEP_2) | instskip(NEXT) | instid1(VALU_DEP_1)
	v_lshlrev_b32_e32 v3, 21, v3
	v_or3_b32 v3, v5, v4, v3
.LBB256_556:
	s_or_b32 exec_lo, exec_lo, s26
	s_delay_alu instid0(VALU_DEP_1)
	v_cmp_eq_f32_e64 s24, s24, v3
	v_cmp_ne_u32_e32 vcc_lo, 1, v2
	s_cbranch_vccz .LBB256_289
.LBB256_557:
                                        ; implicit-def: $sgpr25
	s_cbranch_execz .LBB256_575
; %bb.558:
	s_and_b32 s26, s10, 0xff
	s_delay_alu instid0(SALU_CYCLE_1)
	s_cmp_lt_i32 s26, 0x80
	s_cbranch_scc1 .LBB256_566
; %bb.559:
	s_and_b32 s25, 0xffff, s26
	s_mov_b32 s27, -1
	s_cmp_eq_u32 s25, 0x80
	s_cbranch_scc0 .LBB256_561
; %bb.560:
	s_mov_b32 s27, 0
.LBB256_561:
	s_mov_b32 s25, 0x7f800001
	s_branch .LBB256_568
.LBB256_562:
	s_mov_b32 s25, -1
	s_mov_b32 s27, exec_lo
	v_cmpx_eq_u16_e32 0x80, v4
; %bb.563:
	s_xor_b32 s25, exec_lo, -1
; %bb.564:
	s_or_b32 exec_lo, exec_lo, s27
	s_delay_alu instid0(SALU_CYCLE_1)
	s_and_b32 s25, s25, exec_lo
                                        ; implicit-def: $vgpr4
	s_or_saveexec_b32 s26, s26
	v_mov_b32_e32 v3, 0x7f800001
	s_xor_b32 exec_lo, exec_lo, s26
	s_cbranch_execz .LBB256_554
.LBB256_565:
	v_cmp_ne_u16_e32 vcc_lo, 0, v4
	v_mov_b32_e32 v3, 0
	s_and_not1_b32 s25, s25, exec_lo
	s_and_b32 s27, vcc_lo, exec_lo
	s_delay_alu instid0(SALU_CYCLE_1)
	s_or_b32 s25, s25, s27
	s_or_b32 exec_lo, exec_lo, s26
	s_and_saveexec_b32 s26, s25
	s_cbranch_execnz .LBB256_555
	s_branch .LBB256_556
.LBB256_566:
	s_mov_b32 s27, 0
	s_mov_b32 s25, 0x7f800001
	s_cbranch_execz .LBB256_568
; %bb.567:
	s_and_b32 s25, 0xffff, s26
	s_delay_alu instid0(SALU_CYCLE_1)
	s_cmp_lg_u32 s25, 0
	s_mov_b32 s25, 0
	s_cselect_b32 s27, -1, 0
.LBB256_568:
	s_delay_alu instid0(SALU_CYCLE_1)
	s_and_not1_b32 vcc_lo, exec_lo, s27
	s_cbranch_vccnz .LBB256_570
; %bb.569:
	s_mov_b32 s25, s3
.LBB256_570:
	s_mov_b32 s3, 0
	s_mov_b32 s26, exec_lo
	v_cmpx_lt_i16_e32 0x7f, v1
	s_xor_b32 s26, exec_lo, s26
	s_cbranch_execnz .LBB256_577
; %bb.571:
	s_or_saveexec_b32 s26, s26
	v_mov_b32_e32 v2, 0x7f800001
	s_xor_b32 exec_lo, exec_lo, s26
	s_cbranch_execnz .LBB256_580
.LBB256_572:
	s_or_b32 exec_lo, exec_lo, s26
	s_and_saveexec_b32 s26, s3
	s_cbranch_execz .LBB256_574
.LBB256_573:
	v_and_b32_e32 v2, 0xffff, v1
	s_delay_alu instid0(VALU_DEP_1) | instskip(SKIP_1) | instid1(VALU_DEP_2)
	v_and_b32_e32 v3, 3, v2
	v_bfe_u32 v6, v2, 2, 5
	v_clz_i32_u32_e32 v4, v3
	s_delay_alu instid0(VALU_DEP_2) | instskip(NEXT) | instid1(VALU_DEP_2)
	v_cmp_eq_u32_e32 vcc_lo, 0, v6
	v_min_u32_e32 v4, 32, v4
	s_delay_alu instid0(VALU_DEP_1) | instskip(NEXT) | instid1(VALU_DEP_1)
	v_subrev_nc_u32_e32 v5, 29, v4
	v_dual_lshlrev_b32 v2, v5, v2 :: v_dual_sub_nc_u32 v4, 30, v4
	s_delay_alu instid0(VALU_DEP_1) | instskip(NEXT) | instid1(VALU_DEP_1)
	v_dual_lshlrev_b32 v1, 24, v1 :: v_dual_bitop2_b32 v2, 3, v2 bitop3:0x40
	v_dual_cndmask_b32 v4, v6, v4, vcc_lo :: v_dual_cndmask_b32 v2, v3, v2, vcc_lo
	s_delay_alu instid0(VALU_DEP_2) | instskip(NEXT) | instid1(VALU_DEP_2)
	v_and_b32_e32 v1, 0x80000000, v1
	v_lshl_add_u32 v3, v4, 23, 0x37800000
	s_delay_alu instid0(VALU_DEP_3) | instskip(NEXT) | instid1(VALU_DEP_1)
	v_lshlrev_b32_e32 v2, 21, v2
	v_or3_b32 v2, v1, v3, v2
.LBB256_574:
	s_or_b32 exec_lo, exec_lo, s26
	s_delay_alu instid0(VALU_DEP_1)
	v_cmp_eq_f32_e64 s25, s25, v2
.LBB256_575:
	v_cndmask_b32_e64 v1, 0, 1, s15
	v_cndmask_b32_e64 v2, 0, 1, s17
	;; [unrolled: 1-line block ×5, first 2 shown]
	v_lshlrev_b16 v1, 8, v1
	v_lshlrev_b16 v2, 8, v2
	v_cndmask_b32_e64 v6, 0, 1, s8
	v_lshlrev_b16 v4, 8, v4
	v_cndmask_b32_e64 v7, 0, 1, s25
	v_cndmask_b32_e64 v8, 0, 1, s19
	v_or_b32_e32 v2, v5, v2
	v_or_b32_e32 v1, v3, v1
	;; [unrolled: 1-line block ×3, first 2 shown]
	v_cndmask_b32_e64 v4, 0, 1, s13
	v_cndmask_b32_e64 v5, 0, 1, s23
	;; [unrolled: 1-line block ×4, first 2 shown]
	v_and_b32_e32 v6, 0xffff, v3
	v_lshlrev_b16 v3, 8, v4
	v_cndmask_b32_e64 v4, 0, 1, s12
	v_lshlrev_b16 v5, 8, v5
	v_lshlrev_b16 v7, 8, v7
	v_cndmask_b32_e64 v11, 0, 1, s24
	v_lshlrev_b16 v8, 8, v8
	v_cndmask_b32_e64 v12, 0, 1, s18
	;; [unrolled: 2-line block ×3, first 2 shown]
	v_or_b32_e32 v3, v4, v3
	v_or_b32_e32 v4, v9, v5
	;; [unrolled: 1-line block ×5, first 2 shown]
	s_add_nc_u64 s[12:13], s[4:5], s[0:1]
	v_and_b32_e32 v4, 0xffff, v4
	v_lshlrev_b32_e32 v5, 16, v5
	v_and_b32_e32 v7, 0xffff, v7
	v_dual_lshlrev_b32 v8, 16, v8 :: v_dual_lshlrev_b32 v9, 16, v3
	v_lshlrev_b32_e32 v2, 16, v2
	v_and_b32_e32 v1, 0xffff, v1
	v_or_b32_e32 v5, v4, v5
	s_delay_alu instid0(VALU_DEP_4) | instskip(NEXT) | instid1(VALU_DEP_3)
	v_or_b32_e32 v4, v7, v8
	v_or_b32_e32 v3, v1, v2
	;; [unrolled: 1-line block ×3, first 2 shown]
	global_store_b128 v0, v[2:5], s[12:13] scale_offset
	s_branch .LBB256_2
.LBB256_576:
	s_wait_xcnt 0x0
	v_dual_mov_b32 v31, v0 :: v_dual_mov_b32 v0, s9
	v_dual_mov_b32 v1, s10 :: v_dual_mov_b32 v2, s4
	;; [unrolled: 1-line block ×4, first 2 shown]
	s_get_pc_i64 s[0:1]
	s_add_nc_u64 s[0:1], s[0:1], _ZN2at6native25elementwise_kernel_helperILb0ENS0_13AUnaryFunctorIN3c1015Float8_e5m2fnuzES4_bNS0_12_GLOBAL__N_116CompareEqFunctorIS4_EEEENS0_6memory8policies11unroll_baseILi256ESt5arrayIPcLm2EE23TrivialOffsetCalculatorILi1EjESG_NS9_15LoadWithoutCastENS9_16StoreWithoutCastELi16ELi1EEEEEvT0_T1_@rel64+4
	s_delay_alu instid0(SALU_CYCLE_1)
	s_swap_pc_i64 s[30:31], s[0:1]
	s_endpgm
.LBB256_577:
	s_mov_b32 s3, -1
	s_mov_b32 s27, exec_lo
	v_cmpx_eq_u16_e32 0x80, v1
; %bb.578:
	s_xor_b32 s3, exec_lo, -1
; %bb.579:
	s_or_b32 exec_lo, exec_lo, s27
	s_delay_alu instid0(SALU_CYCLE_1)
	s_and_b32 s3, s3, exec_lo
	s_or_saveexec_b32 s26, s26
	v_mov_b32_e32 v2, 0x7f800001
	s_xor_b32 exec_lo, exec_lo, s26
	s_cbranch_execz .LBB256_572
.LBB256_580:
	v_cmp_ne_u16_e32 vcc_lo, 0, v1
	v_mov_b32_e32 v2, 0
	s_and_not1_b32 s3, s3, exec_lo
	s_and_b32 s27, vcc_lo, exec_lo
	s_delay_alu instid0(SALU_CYCLE_1)
	s_or_b32 s3, s3, s27
	s_or_b32 exec_lo, exec_lo, s26
	s_and_saveexec_b32 s26, s3
	s_cbranch_execnz .LBB256_573
	s_branch .LBB256_574
	.section	.rodata,"a",@progbits
	.p2align	6, 0x0
	.amdhsa_kernel _ZN2at6native29vectorized_elementwise_kernelILi16ENS0_13AUnaryFunctorIN3c1015Float8_e5m2fnuzES4_bNS0_12_GLOBAL__N_116CompareEqFunctorIS4_EEEESt5arrayIPcLm2EEEEviT0_T1_
		.amdhsa_group_segment_fixed_size 0
		.amdhsa_private_segment_fixed_size 0
		.amdhsa_kernarg_size 32
		.amdhsa_user_sgpr_count 2
		.amdhsa_user_sgpr_dispatch_ptr 0
		.amdhsa_user_sgpr_queue_ptr 0
		.amdhsa_user_sgpr_kernarg_segment_ptr 1
		.amdhsa_user_sgpr_dispatch_id 0
		.amdhsa_user_sgpr_kernarg_preload_length 0
		.amdhsa_user_sgpr_kernarg_preload_offset 0
		.amdhsa_user_sgpr_private_segment_size 0
		.amdhsa_wavefront_size32 1
		.amdhsa_uses_dynamic_stack 0
		.amdhsa_enable_private_segment 0
		.amdhsa_system_sgpr_workgroup_id_x 1
		.amdhsa_system_sgpr_workgroup_id_y 0
		.amdhsa_system_sgpr_workgroup_id_z 0
		.amdhsa_system_sgpr_workgroup_info 0
		.amdhsa_system_vgpr_workitem_id 0
		.amdhsa_next_free_vgpr 32
		.amdhsa_next_free_sgpr 33
		.amdhsa_named_barrier_count 0
		.amdhsa_reserve_vcc 1
		.amdhsa_float_round_mode_32 0
		.amdhsa_float_round_mode_16_64 0
		.amdhsa_float_denorm_mode_32 3
		.amdhsa_float_denorm_mode_16_64 3
		.amdhsa_fp16_overflow 0
		.amdhsa_memory_ordered 1
		.amdhsa_forward_progress 1
		.amdhsa_inst_pref_size 112
		.amdhsa_round_robin_scheduling 0
		.amdhsa_exception_fp_ieee_invalid_op 0
		.amdhsa_exception_fp_denorm_src 0
		.amdhsa_exception_fp_ieee_div_zero 0
		.amdhsa_exception_fp_ieee_overflow 0
		.amdhsa_exception_fp_ieee_underflow 0
		.amdhsa_exception_fp_ieee_inexact 0
		.amdhsa_exception_int_div_zero 0
	.end_amdhsa_kernel
	.section	.text._ZN2at6native29vectorized_elementwise_kernelILi16ENS0_13AUnaryFunctorIN3c1015Float8_e5m2fnuzES4_bNS0_12_GLOBAL__N_116CompareEqFunctorIS4_EEEESt5arrayIPcLm2EEEEviT0_T1_,"axG",@progbits,_ZN2at6native29vectorized_elementwise_kernelILi16ENS0_13AUnaryFunctorIN3c1015Float8_e5m2fnuzES4_bNS0_12_GLOBAL__N_116CompareEqFunctorIS4_EEEESt5arrayIPcLm2EEEEviT0_T1_,comdat
.Lfunc_end256:
	.size	_ZN2at6native29vectorized_elementwise_kernelILi16ENS0_13AUnaryFunctorIN3c1015Float8_e5m2fnuzES4_bNS0_12_GLOBAL__N_116CompareEqFunctorIS4_EEEESt5arrayIPcLm2EEEEviT0_T1_, .Lfunc_end256-_ZN2at6native29vectorized_elementwise_kernelILi16ENS0_13AUnaryFunctorIN3c1015Float8_e5m2fnuzES4_bNS0_12_GLOBAL__N_116CompareEqFunctorIS4_EEEESt5arrayIPcLm2EEEEviT0_T1_
                                        ; -- End function
	.set _ZN2at6native29vectorized_elementwise_kernelILi16ENS0_13AUnaryFunctorIN3c1015Float8_e5m2fnuzES4_bNS0_12_GLOBAL__N_116CompareEqFunctorIS4_EEEESt5arrayIPcLm2EEEEviT0_T1_.num_vgpr, max(32, .L_ZN2at6native25elementwise_kernel_helperILb0ENS0_13AUnaryFunctorIN3c1015Float8_e5m2fnuzES4_bNS0_12_GLOBAL__N_116CompareEqFunctorIS4_EEEENS0_6memory8policies11unroll_baseILi256ESt5arrayIPcLm2EE23TrivialOffsetCalculatorILi1EjESG_NS9_15LoadWithoutCastENS9_16StoreWithoutCastELi16ELi1EEEEEvT0_T1_.num_vgpr)
	.set _ZN2at6native29vectorized_elementwise_kernelILi16ENS0_13AUnaryFunctorIN3c1015Float8_e5m2fnuzES4_bNS0_12_GLOBAL__N_116CompareEqFunctorIS4_EEEESt5arrayIPcLm2EEEEviT0_T1_.num_agpr, max(0, .L_ZN2at6native25elementwise_kernel_helperILb0ENS0_13AUnaryFunctorIN3c1015Float8_e5m2fnuzES4_bNS0_12_GLOBAL__N_116CompareEqFunctorIS4_EEEENS0_6memory8policies11unroll_baseILi256ESt5arrayIPcLm2EE23TrivialOffsetCalculatorILi1EjESG_NS9_15LoadWithoutCastENS9_16StoreWithoutCastELi16ELi1EEEEEvT0_T1_.num_agpr)
	.set _ZN2at6native29vectorized_elementwise_kernelILi16ENS0_13AUnaryFunctorIN3c1015Float8_e5m2fnuzES4_bNS0_12_GLOBAL__N_116CompareEqFunctorIS4_EEEESt5arrayIPcLm2EEEEviT0_T1_.numbered_sgpr, max(33, .L_ZN2at6native25elementwise_kernel_helperILb0ENS0_13AUnaryFunctorIN3c1015Float8_e5m2fnuzES4_bNS0_12_GLOBAL__N_116CompareEqFunctorIS4_EEEENS0_6memory8policies11unroll_baseILi256ESt5arrayIPcLm2EE23TrivialOffsetCalculatorILi1EjESG_NS9_15LoadWithoutCastENS9_16StoreWithoutCastELi16ELi1EEEEEvT0_T1_.numbered_sgpr)
	.set _ZN2at6native29vectorized_elementwise_kernelILi16ENS0_13AUnaryFunctorIN3c1015Float8_e5m2fnuzES4_bNS0_12_GLOBAL__N_116CompareEqFunctorIS4_EEEESt5arrayIPcLm2EEEEviT0_T1_.num_named_barrier, max(0, .L_ZN2at6native25elementwise_kernel_helperILb0ENS0_13AUnaryFunctorIN3c1015Float8_e5m2fnuzES4_bNS0_12_GLOBAL__N_116CompareEqFunctorIS4_EEEENS0_6memory8policies11unroll_baseILi256ESt5arrayIPcLm2EE23TrivialOffsetCalculatorILi1EjESG_NS9_15LoadWithoutCastENS9_16StoreWithoutCastELi16ELi1EEEEEvT0_T1_.num_named_barrier)
	.set _ZN2at6native29vectorized_elementwise_kernelILi16ENS0_13AUnaryFunctorIN3c1015Float8_e5m2fnuzES4_bNS0_12_GLOBAL__N_116CompareEqFunctorIS4_EEEESt5arrayIPcLm2EEEEviT0_T1_.private_seg_size, 0+max(.L_ZN2at6native25elementwise_kernel_helperILb0ENS0_13AUnaryFunctorIN3c1015Float8_e5m2fnuzES4_bNS0_12_GLOBAL__N_116CompareEqFunctorIS4_EEEENS0_6memory8policies11unroll_baseILi256ESt5arrayIPcLm2EE23TrivialOffsetCalculatorILi1EjESG_NS9_15LoadWithoutCastENS9_16StoreWithoutCastELi16ELi1EEEEEvT0_T1_.private_seg_size)
	.set _ZN2at6native29vectorized_elementwise_kernelILi16ENS0_13AUnaryFunctorIN3c1015Float8_e5m2fnuzES4_bNS0_12_GLOBAL__N_116CompareEqFunctorIS4_EEEESt5arrayIPcLm2EEEEviT0_T1_.uses_vcc, or(1, .L_ZN2at6native25elementwise_kernel_helperILb0ENS0_13AUnaryFunctorIN3c1015Float8_e5m2fnuzES4_bNS0_12_GLOBAL__N_116CompareEqFunctorIS4_EEEENS0_6memory8policies11unroll_baseILi256ESt5arrayIPcLm2EE23TrivialOffsetCalculatorILi1EjESG_NS9_15LoadWithoutCastENS9_16StoreWithoutCastELi16ELi1EEEEEvT0_T1_.uses_vcc)
	.set _ZN2at6native29vectorized_elementwise_kernelILi16ENS0_13AUnaryFunctorIN3c1015Float8_e5m2fnuzES4_bNS0_12_GLOBAL__N_116CompareEqFunctorIS4_EEEESt5arrayIPcLm2EEEEviT0_T1_.uses_flat_scratch, or(0, .L_ZN2at6native25elementwise_kernel_helperILb0ENS0_13AUnaryFunctorIN3c1015Float8_e5m2fnuzES4_bNS0_12_GLOBAL__N_116CompareEqFunctorIS4_EEEENS0_6memory8policies11unroll_baseILi256ESt5arrayIPcLm2EE23TrivialOffsetCalculatorILi1EjESG_NS9_15LoadWithoutCastENS9_16StoreWithoutCastELi16ELi1EEEEEvT0_T1_.uses_flat_scratch)
	.set _ZN2at6native29vectorized_elementwise_kernelILi16ENS0_13AUnaryFunctorIN3c1015Float8_e5m2fnuzES4_bNS0_12_GLOBAL__N_116CompareEqFunctorIS4_EEEESt5arrayIPcLm2EEEEviT0_T1_.has_dyn_sized_stack, or(0, .L_ZN2at6native25elementwise_kernel_helperILb0ENS0_13AUnaryFunctorIN3c1015Float8_e5m2fnuzES4_bNS0_12_GLOBAL__N_116CompareEqFunctorIS4_EEEENS0_6memory8policies11unroll_baseILi256ESt5arrayIPcLm2EE23TrivialOffsetCalculatorILi1EjESG_NS9_15LoadWithoutCastENS9_16StoreWithoutCastELi16ELi1EEEEEvT0_T1_.has_dyn_sized_stack)
	.set _ZN2at6native29vectorized_elementwise_kernelILi16ENS0_13AUnaryFunctorIN3c1015Float8_e5m2fnuzES4_bNS0_12_GLOBAL__N_116CompareEqFunctorIS4_EEEESt5arrayIPcLm2EEEEviT0_T1_.has_recursion, or(0, .L_ZN2at6native25elementwise_kernel_helperILb0ENS0_13AUnaryFunctorIN3c1015Float8_e5m2fnuzES4_bNS0_12_GLOBAL__N_116CompareEqFunctorIS4_EEEENS0_6memory8policies11unroll_baseILi256ESt5arrayIPcLm2EE23TrivialOffsetCalculatorILi1EjESG_NS9_15LoadWithoutCastENS9_16StoreWithoutCastELi16ELi1EEEEEvT0_T1_.has_recursion)
	.set _ZN2at6native29vectorized_elementwise_kernelILi16ENS0_13AUnaryFunctorIN3c1015Float8_e5m2fnuzES4_bNS0_12_GLOBAL__N_116CompareEqFunctorIS4_EEEESt5arrayIPcLm2EEEEviT0_T1_.has_indirect_call, or(0, .L_ZN2at6native25elementwise_kernel_helperILb0ENS0_13AUnaryFunctorIN3c1015Float8_e5m2fnuzES4_bNS0_12_GLOBAL__N_116CompareEqFunctorIS4_EEEENS0_6memory8policies11unroll_baseILi256ESt5arrayIPcLm2EE23TrivialOffsetCalculatorILi1EjESG_NS9_15LoadWithoutCastENS9_16StoreWithoutCastELi16ELi1EEEEEvT0_T1_.has_indirect_call)
	.section	.AMDGPU.csdata,"",@progbits
; Kernel info:
; codeLenInByte = 14240
; TotalNumSgprs: 35
; NumVgprs: 32
; ScratchSize: 0
; MemoryBound: 0
; FloatMode: 240
; IeeeMode: 1
; LDSByteSize: 0 bytes/workgroup (compile time only)
; SGPRBlocks: 0
; VGPRBlocks: 1
; NumSGPRsForWavesPerEU: 35
; NumVGPRsForWavesPerEU: 32
; NamedBarCnt: 0
; Occupancy: 16
; WaveLimiterHint : 0
; COMPUTE_PGM_RSRC2:SCRATCH_EN: 0
; COMPUTE_PGM_RSRC2:USER_SGPR: 2
; COMPUTE_PGM_RSRC2:TRAP_HANDLER: 0
; COMPUTE_PGM_RSRC2:TGID_X_EN: 1
; COMPUTE_PGM_RSRC2:TGID_Y_EN: 0
; COMPUTE_PGM_RSRC2:TGID_Z_EN: 0
; COMPUTE_PGM_RSRC2:TIDIG_COMP_CNT: 0
	.section	.text._ZN2at6native29vectorized_elementwise_kernelILi8ENS0_13AUnaryFunctorIN3c1015Float8_e5m2fnuzES4_bNS0_12_GLOBAL__N_116CompareEqFunctorIS4_EEEESt5arrayIPcLm2EEEEviT0_T1_,"axG",@progbits,_ZN2at6native29vectorized_elementwise_kernelILi8ENS0_13AUnaryFunctorIN3c1015Float8_e5m2fnuzES4_bNS0_12_GLOBAL__N_116CompareEqFunctorIS4_EEEESt5arrayIPcLm2EEEEviT0_T1_,comdat
	.globl	_ZN2at6native29vectorized_elementwise_kernelILi8ENS0_13AUnaryFunctorIN3c1015Float8_e5m2fnuzES4_bNS0_12_GLOBAL__N_116CompareEqFunctorIS4_EEEESt5arrayIPcLm2EEEEviT0_T1_ ; -- Begin function _ZN2at6native29vectorized_elementwise_kernelILi8ENS0_13AUnaryFunctorIN3c1015Float8_e5m2fnuzES4_bNS0_12_GLOBAL__N_116CompareEqFunctorIS4_EEEESt5arrayIPcLm2EEEEviT0_T1_
	.p2align	8
	.type	_ZN2at6native29vectorized_elementwise_kernelILi8ENS0_13AUnaryFunctorIN3c1015Float8_e5m2fnuzES4_bNS0_12_GLOBAL__N_116CompareEqFunctorIS4_EEEESt5arrayIPcLm2EEEEviT0_T1_,@function
_ZN2at6native29vectorized_elementwise_kernelILi8ENS0_13AUnaryFunctorIN3c1015Float8_e5m2fnuzES4_bNS0_12_GLOBAL__N_116CompareEqFunctorIS4_EEEESt5arrayIPcLm2EEEEviT0_T1_: ; @_ZN2at6native29vectorized_elementwise_kernelILi8ENS0_13AUnaryFunctorIN3c1015Float8_e5m2fnuzES4_bNS0_12_GLOBAL__N_116CompareEqFunctorIS4_EEEESt5arrayIPcLm2EEEEviT0_T1_
; %bb.0:
	s_clause 0x1
	s_load_b96 s[8:10], s[0:1], 0x0
	s_load_b128 s[4:7], s[0:1], 0x10
	s_wait_xcnt 0x0
	s_bfe_u32 s0, ttmp6, 0x4000c
	s_and_b32 s1, ttmp6, 15
	s_add_co_i32 s0, s0, 1
	s_getreg_b32 s2, hwreg(HW_REG_IB_STS2, 6, 4)
	s_mul_i32 s0, ttmp9, s0
	s_mov_b32 s32, 0
	s_add_co_i32 s1, s1, s0
	s_cmp_eq_u32 s2, 0
	s_cselect_b32 s0, ttmp9, s1
	s_mov_b32 s1, -1
	s_lshl_b32 s0, s0, 12
	s_wait_kmcnt 0x0
	s_sub_co_i32 s2, s8, s0
	s_delay_alu instid0(SALU_CYCLE_1)
	s_cmp_gt_i32 s2, 0xfff
	s_cbranch_scc1 .LBB257_3
; %bb.1:
	s_and_b32 vcc_lo, exec_lo, s1
	s_cbranch_vccnz .LBB257_576
.LBB257_2:
	s_sendmsg sendmsg(MSG_DEALLOC_VGPRS)
	s_endpgm
.LBB257_3:
	s_ashr_i32 s1, s0, 31
	s_cmp_lg_u32 s9, 0
	s_add_nc_u64 s[12:13], s[6:7], s[0:1]
	s_cselect_b32 s11, -1, 0
	s_clause 0x1
	global_load_b64 v[4:5], v0, s[12:13] scale_offset
	global_load_b64 v[2:3], v0, s[12:13] offset:2048 scale_offset
	s_and_b32 s3, s10, 3
	s_wait_xcnt 0x0
	s_bfe_u32 s13, s10, 0x50002
	s_clz_i32_u32 s8, s3
	s_delay_alu instid0(SALU_CYCLE_1) | instskip(NEXT) | instid1(SALU_CYCLE_1)
	s_min_u32 s8, s8, 32
	s_sub_co_i32 s12, s8, 29
	s_sub_co_i32 s8, 30, s8
	s_lshl_b32 s12, s10, s12
	s_delay_alu instid0(SALU_CYCLE_1)
	s_and_b32 s12, s12, 3
	s_cmp_eq_u32 s13, 0
	s_cselect_b32 s8, s8, s13
	s_cselect_b32 s3, s12, s3
	s_lshl_b32 s12, s10, 24
	s_lshl_b32 s8, s8, 23
	s_and_b32 s12, s12, 0x80000000
	s_add_co_i32 s8, s8, 0x37800000
	s_lshl_b32 s3, s3, 21
	s_or_b32 s8, s12, s8
	s_and_b32 vcc_lo, exec_lo, s11
	s_or_b32 s3, s8, s3
	s_cbranch_vccz .LBB257_8
; %bb.4:
	s_and_b32 s12, s10, 0xff
	s_delay_alu instid0(SALU_CYCLE_1)
	s_cmp_lt_i32 s12, 0x80
	s_cbranch_scc1 .LBB257_14
; %bb.5:
	s_and_b32 s8, 0xffff, s12
	s_mov_b32 s13, -1
	s_cmp_eq_u32 s8, 0x80
	s_cbranch_scc0 .LBB257_7
; %bb.6:
	s_mov_b32 s13, 0
.LBB257_7:
	s_mov_b32 s8, 0x7f800001
	s_branch .LBB257_16
.LBB257_8:
                                        ; implicit-def: $sgpr8
	s_cbranch_execnz .LBB257_23
.LBB257_9:
	v_cndmask_b32_e64 v1, 0, 1, s11
	s_wait_loadcnt 0x1
	v_lshrrev_b32_e32 v6, 8, v4
	s_and_not1_b32 vcc_lo, exec_lo, s11
	s_cbranch_vccnz .LBB257_305
.LBB257_10:
	s_and_b32 s12, s10, 0xff
	s_delay_alu instid0(SALU_CYCLE_1)
	s_cmp_lt_i32 s12, 0x80
	s_cbranch_scc1 .LBB257_27
; %bb.11:
	s_and_b32 s11, 0xffff, s12
	s_mov_b32 s13, -1
	s_cmp_eq_u32 s11, 0x80
	s_cbranch_scc0 .LBB257_13
; %bb.12:
	s_mov_b32 s13, 0
.LBB257_13:
	s_mov_b32 s11, 0x7f800001
	s_branch .LBB257_29
.LBB257_14:
	s_mov_b32 s13, 0
	s_mov_b32 s8, 0x7f800001
	s_cbranch_execz .LBB257_16
; %bb.15:
	s_and_b32 s8, 0xffff, s12
	s_delay_alu instid0(SALU_CYCLE_1)
	s_cmp_lg_u32 s8, 0
	s_mov_b32 s8, 0
	s_cselect_b32 s13, -1, 0
.LBB257_16:
	s_delay_alu instid0(SALU_CYCLE_1)
	s_and_not1_b32 vcc_lo, exec_lo, s13
	s_cbranch_vccnz .LBB257_18
; %bb.17:
	s_mov_b32 s8, s3
.LBB257_18:
	s_wait_loadcnt 0x1
	v_and_b32_e32 v6, 0xff, v4
	s_mov_b32 s12, 0
	s_mov_b32 s13, exec_lo
	s_delay_alu instid0(VALU_DEP_1)
	v_cmpx_lt_i16_e32 0x7f, v6
	s_xor_b32 s13, exec_lo, s13
	s_cbranch_execnz .LBB257_41
; %bb.19:
	s_or_saveexec_b32 s13, s13
	v_mov_b32_e32 v1, 0x7f800001
	s_xor_b32 exec_lo, exec_lo, s13
	s_cbranch_execnz .LBB257_44
.LBB257_20:
	s_or_b32 exec_lo, exec_lo, s13
	s_and_saveexec_b32 s13, s12
	s_cbranch_execz .LBB257_22
.LBB257_21:
	v_and_b32_e32 v1, 3, v4
	v_bfe_u32 v8, v4, 2, 5
	s_delay_alu instid0(VALU_DEP_2) | instskip(NEXT) | instid1(VALU_DEP_2)
	v_clz_i32_u32_e32 v6, v1
	v_cmp_eq_u32_e32 vcc_lo, 0, v8
	s_delay_alu instid0(VALU_DEP_2) | instskip(NEXT) | instid1(VALU_DEP_1)
	v_min_u32_e32 v6, 32, v6
	v_subrev_nc_u32_e32 v7, 29, v6
	s_delay_alu instid0(VALU_DEP_1) | instskip(NEXT) | instid1(VALU_DEP_1)
	v_dual_lshlrev_b32 v7, v7, v4 :: v_dual_sub_nc_u32 v6, 30, v6
	v_dual_lshlrev_b32 v9, 24, v4 :: v_dual_bitop2_b32 v7, 3, v7 bitop3:0x40
	s_delay_alu instid0(VALU_DEP_1) | instskip(NEXT) | instid1(VALU_DEP_2)
	v_dual_cndmask_b32 v6, v8, v6 :: v_dual_cndmask_b32 v1, v1, v7
	v_and_b32_e32 v7, 0x80000000, v9
	s_delay_alu instid0(VALU_DEP_2) | instskip(NEXT) | instid1(VALU_DEP_3)
	v_lshl_add_u32 v6, v6, 23, 0x37800000
	v_lshlrev_b32_e32 v1, 21, v1
	s_delay_alu instid0(VALU_DEP_1)
	v_or3_b32 v1, v7, v6, v1
.LBB257_22:
	s_or_b32 exec_lo, exec_lo, s13
	s_delay_alu instid0(VALU_DEP_1)
	v_cmp_neq_f32_e64 s8, s8, v1
	s_branch .LBB257_9
.LBB257_23:
	s_and_b32 s12, s10, 0xff
	s_delay_alu instid0(SALU_CYCLE_1)
	s_cmp_lt_i32 s12, 0x80
	s_cbranch_scc1 .LBB257_296
; %bb.24:
	s_and_b32 s8, 0xffff, s12
	s_mov_b32 s13, -1
	s_cmp_eq_u32 s8, 0x80
	s_cbranch_scc0 .LBB257_26
; %bb.25:
	s_mov_b32 s13, 0
.LBB257_26:
	s_mov_b32 s8, 0x7f800001
	s_branch .LBB257_298
.LBB257_27:
	s_mov_b32 s13, 0
	s_mov_b32 s11, 0x7f800001
	s_cbranch_execz .LBB257_29
; %bb.28:
	s_and_b32 s11, 0xffff, s12
	s_delay_alu instid0(SALU_CYCLE_1)
	s_cmp_lg_u32 s11, 0
	s_mov_b32 s11, 0
	s_cselect_b32 s13, -1, 0
.LBB257_29:
	s_delay_alu instid0(SALU_CYCLE_1)
	s_and_not1_b32 vcc_lo, exec_lo, s13
	s_cbranch_vccnz .LBB257_31
; %bb.30:
	s_mov_b32 s11, s3
.LBB257_31:
	v_and_b32_e32 v8, 0xff, v6
	s_mov_b32 s12, 0
	s_mov_b32 s13, exec_lo
	s_delay_alu instid0(VALU_DEP_1)
	v_cmpx_lt_i16_e32 0x7f, v8
	s_xor_b32 s13, exec_lo, s13
	s_cbranch_execnz .LBB257_45
; %bb.32:
	s_or_saveexec_b32 s13, s13
	v_mov_b32_e32 v7, 0x7f800001
	s_xor_b32 exec_lo, exec_lo, s13
	s_cbranch_execnz .LBB257_48
.LBB257_33:
	s_or_b32 exec_lo, exec_lo, s13
	s_and_saveexec_b32 s13, s12
	s_cbranch_execz .LBB257_35
.LBB257_34:
	v_bfe_u32 v7, v4, 8, 2
	v_bfe_u32 v10, v4, 10, 5
	v_lshlrev_b32_e32 v11, 24, v6
	s_delay_alu instid0(VALU_DEP_3) | instskip(NEXT) | instid1(VALU_DEP_3)
	v_clz_i32_u32_e32 v8, v7
	v_cmp_eq_u32_e32 vcc_lo, 0, v10
	s_delay_alu instid0(VALU_DEP_2) | instskip(NEXT) | instid1(VALU_DEP_1)
	v_min_u32_e32 v8, 32, v8
	v_subrev_nc_u32_e32 v9, 29, v8
	s_delay_alu instid0(VALU_DEP_1) | instskip(NEXT) | instid1(VALU_DEP_1)
	v_dual_sub_nc_u32 v8, 30, v8 :: v_dual_lshlrev_b32 v9, v9, v6
	v_dual_cndmask_b32 v8, v10, v8, vcc_lo :: v_dual_bitop2_b32 v9, 3, v9 bitop3:0x40
	s_delay_alu instid0(VALU_DEP_1) | instskip(SKIP_1) | instid1(VALU_DEP_3)
	v_cndmask_b32_e32 v7, v7, v9, vcc_lo
	v_and_b32_e32 v9, 0x80000000, v11
	v_lshl_add_u32 v8, v8, 23, 0x37800000
	s_delay_alu instid0(VALU_DEP_3) | instskip(NEXT) | instid1(VALU_DEP_1)
	v_lshlrev_b32_e32 v7, 21, v7
	v_or3_b32 v7, v9, v8, v7
.LBB257_35:
	s_or_b32 exec_lo, exec_lo, s13
	s_delay_alu instid0(VALU_DEP_1)
	v_cmp_neq_f32_e64 s11, s11, v7
.LBB257_36:
	v_cmp_ne_u32_e32 vcc_lo, 1, v1
	v_lshrrev_b32_e32 v6, 16, v4
	s_cbranch_vccnz .LBB257_323
.LBB257_37:
	s_and_b32 s13, s10, 0xff
	s_delay_alu instid0(SALU_CYCLE_1)
	s_cmp_lt_i32 s13, 0x80
	s_cbranch_scc1 .LBB257_49
; %bb.38:
	s_and_b32 s12, 0xffff, s13
	s_mov_b32 s14, -1
	s_cmp_eq_u32 s12, 0x80
	s_cbranch_scc0 .LBB257_40
; %bb.39:
	s_mov_b32 s14, 0
.LBB257_40:
	s_mov_b32 s12, 0x7f800001
	s_branch .LBB257_51
.LBB257_41:
	s_mov_b32 s12, -1
	s_mov_b32 s14, exec_lo
	v_cmpx_eq_u16_e32 0x80, v6
; %bb.42:
	s_xor_b32 s12, exec_lo, -1
; %bb.43:
	s_or_b32 exec_lo, exec_lo, s14
	s_delay_alu instid0(SALU_CYCLE_1)
	s_and_b32 s12, s12, exec_lo
                                        ; implicit-def: $vgpr6
	s_or_saveexec_b32 s13, s13
	v_mov_b32_e32 v1, 0x7f800001
	s_xor_b32 exec_lo, exec_lo, s13
	s_cbranch_execz .LBB257_20
.LBB257_44:
	v_cmp_ne_u16_e32 vcc_lo, 0, v6
	v_mov_b32_e32 v1, 0
	s_and_not1_b32 s12, s12, exec_lo
	s_and_b32 s14, vcc_lo, exec_lo
	s_delay_alu instid0(SALU_CYCLE_1)
	s_or_b32 s12, s12, s14
	s_or_b32 exec_lo, exec_lo, s13
	s_and_saveexec_b32 s13, s12
	s_cbranch_execnz .LBB257_21
	s_branch .LBB257_22
.LBB257_45:
	s_mov_b32 s12, -1
	s_mov_b32 s14, exec_lo
	v_cmpx_eq_u16_e32 0x80, v8
; %bb.46:
	s_xor_b32 s12, exec_lo, -1
; %bb.47:
	s_or_b32 exec_lo, exec_lo, s14
	s_delay_alu instid0(SALU_CYCLE_1)
	s_and_b32 s12, s12, exec_lo
                                        ; implicit-def: $vgpr8
	s_or_saveexec_b32 s13, s13
	v_mov_b32_e32 v7, 0x7f800001
	s_xor_b32 exec_lo, exec_lo, s13
	s_cbranch_execz .LBB257_33
.LBB257_48:
	v_cmp_ne_u16_e32 vcc_lo, 0, v8
	v_mov_b32_e32 v7, 0
	s_and_not1_b32 s12, s12, exec_lo
	s_and_b32 s14, vcc_lo, exec_lo
	s_delay_alu instid0(SALU_CYCLE_1)
	s_or_b32 s12, s12, s14
	s_or_b32 exec_lo, exec_lo, s13
	s_and_saveexec_b32 s13, s12
	s_cbranch_execnz .LBB257_34
	s_branch .LBB257_35
.LBB257_49:
	s_mov_b32 s14, 0
	s_mov_b32 s12, 0x7f800001
	s_cbranch_execz .LBB257_51
; %bb.50:
	s_and_b32 s12, 0xffff, s13
	s_delay_alu instid0(SALU_CYCLE_1)
	s_cmp_lg_u32 s12, 0
	s_mov_b32 s12, 0
	s_cselect_b32 s14, -1, 0
.LBB257_51:
	s_delay_alu instid0(SALU_CYCLE_1)
	s_and_not1_b32 vcc_lo, exec_lo, s14
	s_cbranch_vccnz .LBB257_53
; %bb.52:
	s_mov_b32 s12, s3
.LBB257_53:
	v_and_b32_e32 v8, 0xff, v6
	s_mov_b32 s13, 0
	s_mov_b32 s14, exec_lo
	s_delay_alu instid0(VALU_DEP_1)
	v_cmpx_lt_i16_e32 0x7f, v8
	s_xor_b32 s14, exec_lo, s14
	s_cbranch_execnz .LBB257_63
; %bb.54:
	s_or_saveexec_b32 s14, s14
	v_mov_b32_e32 v7, 0x7f800001
	s_xor_b32 exec_lo, exec_lo, s14
	s_cbranch_execnz .LBB257_66
.LBB257_55:
	s_or_b32 exec_lo, exec_lo, s14
	s_and_saveexec_b32 s14, s13
	s_cbranch_execz .LBB257_57
.LBB257_56:
	v_bfe_u32 v7, v4, 16, 2
	v_bfe_u32 v10, v4, 18, 5
	v_lshlrev_b32_e32 v11, 24, v6
	s_delay_alu instid0(VALU_DEP_3) | instskip(NEXT) | instid1(VALU_DEP_3)
	v_clz_i32_u32_e32 v8, v7
	v_cmp_eq_u32_e32 vcc_lo, 0, v10
	s_delay_alu instid0(VALU_DEP_2) | instskip(NEXT) | instid1(VALU_DEP_1)
	v_min_u32_e32 v8, 32, v8
	v_subrev_nc_u32_e32 v9, 29, v8
	s_delay_alu instid0(VALU_DEP_1) | instskip(NEXT) | instid1(VALU_DEP_1)
	v_dual_sub_nc_u32 v8, 30, v8 :: v_dual_lshlrev_b32 v9, v9, v6
	v_dual_cndmask_b32 v8, v10, v8, vcc_lo :: v_dual_bitop2_b32 v9, 3, v9 bitop3:0x40
	s_delay_alu instid0(VALU_DEP_1) | instskip(SKIP_1) | instid1(VALU_DEP_3)
	v_cndmask_b32_e32 v7, v7, v9, vcc_lo
	v_and_b32_e32 v9, 0x80000000, v11
	v_lshl_add_u32 v8, v8, 23, 0x37800000
	s_delay_alu instid0(VALU_DEP_3) | instskip(NEXT) | instid1(VALU_DEP_1)
	v_lshlrev_b32_e32 v7, 21, v7
	v_or3_b32 v7, v9, v8, v7
.LBB257_57:
	s_or_b32 exec_lo, exec_lo, s14
	s_delay_alu instid0(VALU_DEP_1)
	v_cmp_neq_f32_e64 s12, s12, v7
.LBB257_58:
	v_cmp_ne_u32_e32 vcc_lo, 1, v1
	v_lshrrev_b32_e32 v6, 24, v4
	s_cbranch_vccnz .LBB257_341
.LBB257_59:
	s_and_b32 s14, s10, 0xff
	s_delay_alu instid0(SALU_CYCLE_1)
	s_cmp_lt_i32 s14, 0x80
	s_cbranch_scc1 .LBB257_67
; %bb.60:
	s_and_b32 s13, 0xffff, s14
	s_mov_b32 s15, -1
	s_cmp_eq_u32 s13, 0x80
	s_cbranch_scc0 .LBB257_62
; %bb.61:
	s_mov_b32 s15, 0
.LBB257_62:
	s_mov_b32 s13, 0x7f800001
	s_branch .LBB257_69
.LBB257_63:
	s_mov_b32 s13, -1
	s_mov_b32 s15, exec_lo
	v_cmpx_eq_u16_e32 0x80, v8
; %bb.64:
	s_xor_b32 s13, exec_lo, -1
; %bb.65:
	s_or_b32 exec_lo, exec_lo, s15
	s_delay_alu instid0(SALU_CYCLE_1)
	s_and_b32 s13, s13, exec_lo
                                        ; implicit-def: $vgpr8
	s_or_saveexec_b32 s14, s14
	v_mov_b32_e32 v7, 0x7f800001
	s_xor_b32 exec_lo, exec_lo, s14
	s_cbranch_execz .LBB257_55
.LBB257_66:
	v_cmp_ne_u16_e32 vcc_lo, 0, v8
	v_mov_b32_e32 v7, 0
	s_and_not1_b32 s13, s13, exec_lo
	s_and_b32 s15, vcc_lo, exec_lo
	s_delay_alu instid0(SALU_CYCLE_1)
	s_or_b32 s13, s13, s15
	s_or_b32 exec_lo, exec_lo, s14
	s_and_saveexec_b32 s14, s13
	s_cbranch_execnz .LBB257_56
	s_branch .LBB257_57
.LBB257_67:
	s_mov_b32 s15, 0
	s_mov_b32 s13, 0x7f800001
	s_cbranch_execz .LBB257_69
; %bb.68:
	s_and_b32 s13, 0xffff, s14
	s_delay_alu instid0(SALU_CYCLE_1)
	s_cmp_lg_u32 s13, 0
	s_mov_b32 s13, 0
	s_cselect_b32 s15, -1, 0
.LBB257_69:
	s_delay_alu instid0(SALU_CYCLE_1)
	s_and_not1_b32 vcc_lo, exec_lo, s15
	s_cbranch_vccnz .LBB257_71
; %bb.70:
	s_mov_b32 s13, s3
.LBB257_71:
	s_mov_b32 s14, 0
	s_mov_b32 s15, exec_lo
	v_cmpx_lt_i16_e32 0x7f, v6
	s_xor_b32 s15, exec_lo, s15
	s_cbranch_execnz .LBB257_81
; %bb.72:
	s_or_saveexec_b32 s15, s15
	v_mov_b32_e32 v7, 0x7f800001
	s_xor_b32 exec_lo, exec_lo, s15
	s_cbranch_execnz .LBB257_84
.LBB257_73:
	s_or_b32 exec_lo, exec_lo, s15
	s_and_saveexec_b32 s15, s14
	s_cbranch_execz .LBB257_75
.LBB257_74:
	v_bfe_u32 v7, v4, 24, 2
	v_bfe_u32 v10, v4, 26, 5
	s_delay_alu instid0(VALU_DEP_2) | instskip(NEXT) | instid1(VALU_DEP_2)
	v_clz_i32_u32_e32 v8, v7
	v_cmp_eq_u32_e32 vcc_lo, 0, v10
	s_delay_alu instid0(VALU_DEP_2) | instskip(NEXT) | instid1(VALU_DEP_1)
	v_min_u32_e32 v8, 32, v8
	v_subrev_nc_u32_e32 v9, 29, v8
	s_delay_alu instid0(VALU_DEP_1) | instskip(NEXT) | instid1(VALU_DEP_1)
	v_dual_sub_nc_u32 v8, 30, v8 :: v_dual_lshlrev_b32 v9, v9, v6
	v_dual_cndmask_b32 v8, v10, v8, vcc_lo :: v_dual_bitop2_b32 v9, 3, v9 bitop3:0x40
	s_delay_alu instid0(VALU_DEP_1) | instskip(NEXT) | instid1(VALU_DEP_2)
	v_lshl_add_u32 v8, v8, 23, 0x37800000
	v_cndmask_b32_e32 v7, v7, v9, vcc_lo
	v_and_b32_e32 v9, 0x80000000, v4
	s_delay_alu instid0(VALU_DEP_2) | instskip(NEXT) | instid1(VALU_DEP_1)
	v_lshlrev_b32_e32 v7, 21, v7
	v_or3_b32 v7, v9, v8, v7
.LBB257_75:
	s_or_b32 exec_lo, exec_lo, s15
	s_delay_alu instid0(VALU_DEP_1)
	v_cmp_neq_f32_e64 s13, s13, v7
.LBB257_76:
	v_cmp_ne_u32_e32 vcc_lo, 1, v1
	s_cbranch_vccnz .LBB257_359
.LBB257_77:
	s_and_b32 s15, s10, 0xff
	s_delay_alu instid0(SALU_CYCLE_1)
	s_cmp_lt_i32 s15, 0x80
	s_cbranch_scc1 .LBB257_85
; %bb.78:
	s_and_b32 s14, 0xffff, s15
	s_mov_b32 s16, -1
	s_cmp_eq_u32 s14, 0x80
	s_cbranch_scc0 .LBB257_80
; %bb.79:
	s_mov_b32 s16, 0
.LBB257_80:
	s_mov_b32 s14, 0x7f800001
	s_branch .LBB257_87
.LBB257_81:
	s_mov_b32 s14, -1
	s_mov_b32 s16, exec_lo
	v_cmpx_eq_u16_e32 0x80, v6
; %bb.82:
	s_xor_b32 s14, exec_lo, -1
; %bb.83:
	s_or_b32 exec_lo, exec_lo, s16
	s_delay_alu instid0(SALU_CYCLE_1)
	s_and_b32 s14, s14, exec_lo
	s_or_saveexec_b32 s15, s15
	v_mov_b32_e32 v7, 0x7f800001
	s_xor_b32 exec_lo, exec_lo, s15
	s_cbranch_execz .LBB257_73
.LBB257_84:
	v_cmp_ne_u16_e32 vcc_lo, 0, v6
	v_mov_b32_e32 v7, 0
	s_and_not1_b32 s14, s14, exec_lo
	s_and_b32 s16, vcc_lo, exec_lo
	s_delay_alu instid0(SALU_CYCLE_1)
	s_or_b32 s14, s14, s16
	s_or_b32 exec_lo, exec_lo, s15
	s_and_saveexec_b32 s15, s14
	s_cbranch_execnz .LBB257_74
	s_branch .LBB257_75
.LBB257_85:
	s_mov_b32 s16, 0
	s_mov_b32 s14, 0x7f800001
	s_cbranch_execz .LBB257_87
; %bb.86:
	s_and_b32 s14, 0xffff, s15
	s_delay_alu instid0(SALU_CYCLE_1)
	s_cmp_lg_u32 s14, 0
	s_mov_b32 s14, 0
	s_cselect_b32 s16, -1, 0
.LBB257_87:
	s_delay_alu instid0(SALU_CYCLE_1)
	s_and_not1_b32 vcc_lo, exec_lo, s16
	s_cbranch_vccnz .LBB257_89
; %bb.88:
	s_mov_b32 s14, s3
.LBB257_89:
	v_and_b32_e32 v6, 0xff, v5
	s_mov_b32 s15, 0
	s_mov_b32 s16, exec_lo
	s_delay_alu instid0(VALU_DEP_1)
	v_cmpx_lt_i16_e32 0x7f, v6
	s_xor_b32 s16, exec_lo, s16
	s_cbranch_execnz .LBB257_99
; %bb.90:
	s_or_saveexec_b32 s16, s16
	v_mov_b32_e32 v4, 0x7f800001
	s_xor_b32 exec_lo, exec_lo, s16
	s_cbranch_execnz .LBB257_102
.LBB257_91:
	s_or_b32 exec_lo, exec_lo, s16
	s_and_saveexec_b32 s16, s15
	s_cbranch_execz .LBB257_93
.LBB257_92:
	v_and_b32_e32 v4, 3, v5
	v_bfe_u32 v8, v5, 2, 5
	s_delay_alu instid0(VALU_DEP_2) | instskip(NEXT) | instid1(VALU_DEP_2)
	v_clz_i32_u32_e32 v6, v4
	v_cmp_eq_u32_e32 vcc_lo, 0, v8
	s_delay_alu instid0(VALU_DEP_2) | instskip(NEXT) | instid1(VALU_DEP_1)
	v_min_u32_e32 v6, 32, v6
	v_subrev_nc_u32_e32 v7, 29, v6
	s_delay_alu instid0(VALU_DEP_1) | instskip(NEXT) | instid1(VALU_DEP_1)
	v_dual_lshlrev_b32 v7, v7, v5 :: v_dual_sub_nc_u32 v6, 30, v6
	v_dual_lshlrev_b32 v9, 24, v5 :: v_dual_bitop2_b32 v7, 3, v7 bitop3:0x40
	s_delay_alu instid0(VALU_DEP_2) | instskip(NEXT) | instid1(VALU_DEP_2)
	v_cndmask_b32_e32 v6, v8, v6, vcc_lo
	v_cndmask_b32_e32 v4, v4, v7, vcc_lo
	s_delay_alu instid0(VALU_DEP_3) | instskip(NEXT) | instid1(VALU_DEP_3)
	v_and_b32_e32 v7, 0x80000000, v9
	v_lshl_add_u32 v6, v6, 23, 0x37800000
	s_delay_alu instid0(VALU_DEP_3) | instskip(NEXT) | instid1(VALU_DEP_1)
	v_lshlrev_b32_e32 v4, 21, v4
	v_or3_b32 v4, v7, v6, v4
.LBB257_93:
	s_or_b32 exec_lo, exec_lo, s16
	s_delay_alu instid0(VALU_DEP_1)
	v_cmp_neq_f32_e64 s14, s14, v4
.LBB257_94:
	v_cmp_ne_u32_e32 vcc_lo, 1, v1
	v_lshrrev_b32_e32 v4, 8, v5
	s_cbranch_vccnz .LBB257_377
.LBB257_95:
	s_and_b32 s16, s10, 0xff
	s_delay_alu instid0(SALU_CYCLE_1)
	s_cmp_lt_i32 s16, 0x80
	s_cbranch_scc1 .LBB257_103
; %bb.96:
	s_and_b32 s15, 0xffff, s16
	s_mov_b32 s17, -1
	s_cmp_eq_u32 s15, 0x80
	s_cbranch_scc0 .LBB257_98
; %bb.97:
	s_mov_b32 s17, 0
.LBB257_98:
	s_mov_b32 s15, 0x7f800001
	s_branch .LBB257_105
.LBB257_99:
	s_mov_b32 s15, -1
	s_mov_b32 s17, exec_lo
	v_cmpx_eq_u16_e32 0x80, v6
; %bb.100:
	s_xor_b32 s15, exec_lo, -1
; %bb.101:
	s_or_b32 exec_lo, exec_lo, s17
	s_delay_alu instid0(SALU_CYCLE_1)
	s_and_b32 s15, s15, exec_lo
                                        ; implicit-def: $vgpr6
	s_or_saveexec_b32 s16, s16
	v_mov_b32_e32 v4, 0x7f800001
	s_xor_b32 exec_lo, exec_lo, s16
	s_cbranch_execz .LBB257_91
.LBB257_102:
	v_cmp_ne_u16_e32 vcc_lo, 0, v6
	v_mov_b32_e32 v4, 0
	s_and_not1_b32 s15, s15, exec_lo
	s_and_b32 s17, vcc_lo, exec_lo
	s_delay_alu instid0(SALU_CYCLE_1)
	s_or_b32 s15, s15, s17
	s_or_b32 exec_lo, exec_lo, s16
	s_and_saveexec_b32 s16, s15
	s_cbranch_execnz .LBB257_92
	s_branch .LBB257_93
.LBB257_103:
	s_mov_b32 s17, 0
	s_mov_b32 s15, 0x7f800001
	s_cbranch_execz .LBB257_105
; %bb.104:
	s_and_b32 s15, 0xffff, s16
	s_delay_alu instid0(SALU_CYCLE_1)
	s_cmp_lg_u32 s15, 0
	s_mov_b32 s15, 0
	s_cselect_b32 s17, -1, 0
.LBB257_105:
	s_delay_alu instid0(SALU_CYCLE_1)
	s_and_not1_b32 vcc_lo, exec_lo, s17
	s_cbranch_vccnz .LBB257_107
; %bb.106:
	s_mov_b32 s15, s3
.LBB257_107:
	v_and_b32_e32 v7, 0xff, v4
	s_mov_b32 s16, 0
	s_mov_b32 s17, exec_lo
	s_delay_alu instid0(VALU_DEP_1)
	v_cmpx_lt_i16_e32 0x7f, v7
	s_xor_b32 s17, exec_lo, s17
	s_cbranch_execnz .LBB257_117
; %bb.108:
	s_or_saveexec_b32 s17, s17
	v_mov_b32_e32 v6, 0x7f800001
	s_xor_b32 exec_lo, exec_lo, s17
	s_cbranch_execnz .LBB257_120
.LBB257_109:
	s_or_b32 exec_lo, exec_lo, s17
	s_and_saveexec_b32 s17, s16
	s_cbranch_execz .LBB257_111
.LBB257_110:
	v_bfe_u32 v6, v5, 8, 2
	v_bfe_u32 v9, v5, 10, 5
	s_delay_alu instid0(VALU_DEP_2) | instskip(NEXT) | instid1(VALU_DEP_2)
	v_clz_i32_u32_e32 v7, v6
	v_cmp_eq_u32_e32 vcc_lo, 0, v9
	s_delay_alu instid0(VALU_DEP_2) | instskip(NEXT) | instid1(VALU_DEP_1)
	v_min_u32_e32 v7, 32, v7
	v_subrev_nc_u32_e32 v8, 29, v7
	s_delay_alu instid0(VALU_DEP_1) | instskip(NEXT) | instid1(VALU_DEP_1)
	v_dual_sub_nc_u32 v7, 30, v7 :: v_dual_lshlrev_b32 v8, v8, v4
	v_dual_cndmask_b32 v7, v9, v7, vcc_lo :: v_dual_bitop2_b32 v8, 3, v8 bitop3:0x40
	s_delay_alu instid0(VALU_DEP_1) | instskip(NEXT) | instid1(VALU_DEP_2)
	v_lshl_add_u32 v7, v7, 23, 0x37800000
	v_cndmask_b32_e32 v6, v6, v8, vcc_lo
	s_delay_alu instid0(VALU_DEP_1) | instskip(NEXT) | instid1(VALU_DEP_1)
	v_dual_lshlrev_b32 v10, 24, v4 :: v_dual_lshlrev_b32 v6, 21, v6
	v_and_b32_e32 v8, 0x80000000, v10
	s_delay_alu instid0(VALU_DEP_1)
	v_or3_b32 v6, v8, v7, v6
.LBB257_111:
	s_or_b32 exec_lo, exec_lo, s17
	s_delay_alu instid0(VALU_DEP_1)
	v_cmp_neq_f32_e64 s15, s15, v6
.LBB257_112:
	v_cmp_ne_u32_e32 vcc_lo, 1, v1
	v_lshrrev_b32_e32 v4, 16, v5
	s_cbranch_vccnz .LBB257_395
.LBB257_113:
	s_and_b32 s17, s10, 0xff
	s_delay_alu instid0(SALU_CYCLE_1)
	s_cmp_lt_i32 s17, 0x80
	s_cbranch_scc1 .LBB257_121
; %bb.114:
	s_and_b32 s16, 0xffff, s17
	s_mov_b32 s18, -1
	s_cmp_eq_u32 s16, 0x80
	s_cbranch_scc0 .LBB257_116
; %bb.115:
	s_mov_b32 s18, 0
.LBB257_116:
	s_mov_b32 s16, 0x7f800001
	s_branch .LBB257_123
.LBB257_117:
	s_mov_b32 s16, -1
	s_mov_b32 s18, exec_lo
	v_cmpx_eq_u16_e32 0x80, v7
; %bb.118:
	s_xor_b32 s16, exec_lo, -1
; %bb.119:
	s_or_b32 exec_lo, exec_lo, s18
	s_delay_alu instid0(SALU_CYCLE_1)
	s_and_b32 s16, s16, exec_lo
                                        ; implicit-def: $vgpr7
	s_or_saveexec_b32 s17, s17
	v_mov_b32_e32 v6, 0x7f800001
	s_xor_b32 exec_lo, exec_lo, s17
	s_cbranch_execz .LBB257_109
.LBB257_120:
	v_cmp_ne_u16_e32 vcc_lo, 0, v7
	v_mov_b32_e32 v6, 0
	s_and_not1_b32 s16, s16, exec_lo
	s_and_b32 s18, vcc_lo, exec_lo
	s_delay_alu instid0(SALU_CYCLE_1)
	s_or_b32 s16, s16, s18
	s_or_b32 exec_lo, exec_lo, s17
	s_and_saveexec_b32 s17, s16
	s_cbranch_execnz .LBB257_110
	s_branch .LBB257_111
.LBB257_121:
	s_mov_b32 s18, 0
	s_mov_b32 s16, 0x7f800001
	s_cbranch_execz .LBB257_123
; %bb.122:
	s_and_b32 s16, 0xffff, s17
	s_delay_alu instid0(SALU_CYCLE_1)
	s_cmp_lg_u32 s16, 0
	s_mov_b32 s16, 0
	s_cselect_b32 s18, -1, 0
.LBB257_123:
	s_delay_alu instid0(SALU_CYCLE_1)
	s_and_not1_b32 vcc_lo, exec_lo, s18
	s_cbranch_vccnz .LBB257_125
; %bb.124:
	s_mov_b32 s16, s3
.LBB257_125:
	v_and_b32_e32 v7, 0xff, v4
	s_mov_b32 s17, 0
	s_mov_b32 s18, exec_lo
	s_delay_alu instid0(VALU_DEP_1)
	v_cmpx_lt_i16_e32 0x7f, v7
	s_xor_b32 s18, exec_lo, s18
	s_cbranch_execnz .LBB257_135
; %bb.126:
	s_or_saveexec_b32 s18, s18
	v_mov_b32_e32 v6, 0x7f800001
	s_xor_b32 exec_lo, exec_lo, s18
	s_cbranch_execnz .LBB257_138
.LBB257_127:
	s_or_b32 exec_lo, exec_lo, s18
	s_and_saveexec_b32 s18, s17
	s_cbranch_execz .LBB257_129
.LBB257_128:
	v_bfe_u32 v6, v5, 16, 2
	v_bfe_u32 v9, v5, 18, 5
	s_delay_alu instid0(VALU_DEP_2) | instskip(NEXT) | instid1(VALU_DEP_2)
	v_clz_i32_u32_e32 v7, v6
	v_cmp_eq_u32_e32 vcc_lo, 0, v9
	s_delay_alu instid0(VALU_DEP_2) | instskip(NEXT) | instid1(VALU_DEP_1)
	v_min_u32_e32 v7, 32, v7
	v_subrev_nc_u32_e32 v8, 29, v7
	s_delay_alu instid0(VALU_DEP_1) | instskip(NEXT) | instid1(VALU_DEP_1)
	v_dual_sub_nc_u32 v7, 30, v7 :: v_dual_lshlrev_b32 v8, v8, v4
	v_dual_cndmask_b32 v7, v9, v7, vcc_lo :: v_dual_bitop2_b32 v8, 3, v8 bitop3:0x40
	s_delay_alu instid0(VALU_DEP_1) | instskip(NEXT) | instid1(VALU_DEP_2)
	v_lshl_add_u32 v7, v7, 23, 0x37800000
	v_cndmask_b32_e32 v6, v6, v8, vcc_lo
	s_delay_alu instid0(VALU_DEP_1) | instskip(NEXT) | instid1(VALU_DEP_1)
	v_dual_lshlrev_b32 v10, 24, v4 :: v_dual_lshlrev_b32 v6, 21, v6
	v_and_b32_e32 v8, 0x80000000, v10
	s_delay_alu instid0(VALU_DEP_1)
	v_or3_b32 v6, v8, v7, v6
.LBB257_129:
	s_or_b32 exec_lo, exec_lo, s18
	s_delay_alu instid0(VALU_DEP_1)
	v_cmp_neq_f32_e64 s16, s16, v6
.LBB257_130:
	v_cmp_ne_u32_e32 vcc_lo, 1, v1
	v_lshrrev_b32_e32 v4, 24, v5
	s_cbranch_vccnz .LBB257_413
.LBB257_131:
	s_and_b32 s18, s10, 0xff
	s_delay_alu instid0(SALU_CYCLE_1)
	s_cmp_lt_i32 s18, 0x80
	s_cbranch_scc1 .LBB257_139
; %bb.132:
	s_and_b32 s17, 0xffff, s18
	s_mov_b32 s19, -1
	s_cmp_eq_u32 s17, 0x80
	s_cbranch_scc0 .LBB257_134
; %bb.133:
	s_mov_b32 s19, 0
.LBB257_134:
	s_mov_b32 s17, 0x7f800001
	s_branch .LBB257_141
.LBB257_135:
	s_mov_b32 s17, -1
	s_mov_b32 s19, exec_lo
	v_cmpx_eq_u16_e32 0x80, v7
; %bb.136:
	s_xor_b32 s17, exec_lo, -1
; %bb.137:
	s_or_b32 exec_lo, exec_lo, s19
	s_delay_alu instid0(SALU_CYCLE_1)
	s_and_b32 s17, s17, exec_lo
                                        ; implicit-def: $vgpr7
	s_or_saveexec_b32 s18, s18
	v_mov_b32_e32 v6, 0x7f800001
	s_xor_b32 exec_lo, exec_lo, s18
	s_cbranch_execz .LBB257_127
.LBB257_138:
	v_cmp_ne_u16_e32 vcc_lo, 0, v7
	v_mov_b32_e32 v6, 0
	s_and_not1_b32 s17, s17, exec_lo
	s_and_b32 s19, vcc_lo, exec_lo
	s_delay_alu instid0(SALU_CYCLE_1)
	s_or_b32 s17, s17, s19
	s_or_b32 exec_lo, exec_lo, s18
	s_and_saveexec_b32 s18, s17
	s_cbranch_execnz .LBB257_128
	s_branch .LBB257_129
.LBB257_139:
	s_mov_b32 s19, 0
	s_mov_b32 s17, 0x7f800001
	s_cbranch_execz .LBB257_141
; %bb.140:
	s_and_b32 s17, 0xffff, s18
	s_delay_alu instid0(SALU_CYCLE_1)
	s_cmp_lg_u32 s17, 0
	s_mov_b32 s17, 0
	s_cselect_b32 s19, -1, 0
.LBB257_141:
	s_delay_alu instid0(SALU_CYCLE_1)
	s_and_not1_b32 vcc_lo, exec_lo, s19
	s_cbranch_vccnz .LBB257_143
; %bb.142:
	s_mov_b32 s17, s3
.LBB257_143:
	s_mov_b32 s18, 0
	s_mov_b32 s19, exec_lo
	v_cmpx_lt_i16_e32 0x7f, v4
	s_xor_b32 s19, exec_lo, s19
	s_cbranch_execnz .LBB257_153
; %bb.144:
	s_or_saveexec_b32 s19, s19
	v_mov_b32_e32 v6, 0x7f800001
	s_xor_b32 exec_lo, exec_lo, s19
	s_cbranch_execnz .LBB257_156
.LBB257_145:
	s_or_b32 exec_lo, exec_lo, s19
	s_and_saveexec_b32 s19, s18
	s_cbranch_execz .LBB257_147
.LBB257_146:
	v_bfe_u32 v6, v5, 24, 2
	v_bfe_u32 v9, v5, 26, 5
	s_delay_alu instid0(VALU_DEP_2) | instskip(NEXT) | instid1(VALU_DEP_2)
	v_clz_i32_u32_e32 v7, v6
	v_cmp_eq_u32_e32 vcc_lo, 0, v9
	s_delay_alu instid0(VALU_DEP_2) | instskip(NEXT) | instid1(VALU_DEP_1)
	v_min_u32_e32 v7, 32, v7
	v_subrev_nc_u32_e32 v8, 29, v7
	s_delay_alu instid0(VALU_DEP_1) | instskip(NEXT) | instid1(VALU_DEP_1)
	v_dual_sub_nc_u32 v7, 30, v7 :: v_dual_lshlrev_b32 v8, v8, v4
	v_dual_cndmask_b32 v7, v9, v7, vcc_lo :: v_dual_bitop2_b32 v8, 3, v8 bitop3:0x40
	s_delay_alu instid0(VALU_DEP_1) | instskip(NEXT) | instid1(VALU_DEP_2)
	v_lshl_add_u32 v7, v7, 23, 0x37800000
	v_cndmask_b32_e32 v6, v6, v8, vcc_lo
	v_and_b32_e32 v8, 0x80000000, v5
	s_delay_alu instid0(VALU_DEP_2) | instskip(NEXT) | instid1(VALU_DEP_1)
	v_lshlrev_b32_e32 v6, 21, v6
	v_or3_b32 v6, v8, v7, v6
.LBB257_147:
	s_or_b32 exec_lo, exec_lo, s19
	s_delay_alu instid0(VALU_DEP_1)
	v_cmp_neq_f32_e64 s17, s17, v6
.LBB257_148:
	v_cmp_ne_u32_e32 vcc_lo, 1, v1
	s_cbranch_vccnz .LBB257_431
.LBB257_149:
	s_and_b32 s19, s10, 0xff
	s_delay_alu instid0(SALU_CYCLE_1)
	s_cmp_lt_i32 s19, 0x80
	s_cbranch_scc1 .LBB257_157
; %bb.150:
	s_and_b32 s18, 0xffff, s19
	s_mov_b32 s20, -1
	s_cmp_eq_u32 s18, 0x80
	s_cbranch_scc0 .LBB257_152
; %bb.151:
	s_mov_b32 s20, 0
.LBB257_152:
	s_mov_b32 s18, 0x7f800001
	s_branch .LBB257_159
.LBB257_153:
	s_mov_b32 s18, -1
	s_mov_b32 s20, exec_lo
	v_cmpx_eq_u16_e32 0x80, v4
; %bb.154:
	s_xor_b32 s18, exec_lo, -1
; %bb.155:
	s_or_b32 exec_lo, exec_lo, s20
	s_delay_alu instid0(SALU_CYCLE_1)
	s_and_b32 s18, s18, exec_lo
	s_or_saveexec_b32 s19, s19
	v_mov_b32_e32 v6, 0x7f800001
	s_xor_b32 exec_lo, exec_lo, s19
	s_cbranch_execz .LBB257_145
.LBB257_156:
	v_cmp_ne_u16_e32 vcc_lo, 0, v4
	v_mov_b32_e32 v6, 0
	s_and_not1_b32 s18, s18, exec_lo
	s_and_b32 s20, vcc_lo, exec_lo
	s_delay_alu instid0(SALU_CYCLE_1)
	s_or_b32 s18, s18, s20
	s_or_b32 exec_lo, exec_lo, s19
	s_and_saveexec_b32 s19, s18
	s_cbranch_execnz .LBB257_146
	s_branch .LBB257_147
.LBB257_157:
	s_mov_b32 s20, 0
	s_mov_b32 s18, 0x7f800001
	s_cbranch_execz .LBB257_159
; %bb.158:
	s_and_b32 s18, 0xffff, s19
	s_delay_alu instid0(SALU_CYCLE_1)
	s_cmp_lg_u32 s18, 0
	s_mov_b32 s18, 0
	s_cselect_b32 s20, -1, 0
.LBB257_159:
	s_delay_alu instid0(SALU_CYCLE_1)
	s_and_not1_b32 vcc_lo, exec_lo, s20
	s_cbranch_vccnz .LBB257_161
; %bb.160:
	s_mov_b32 s18, s3
.LBB257_161:
	s_wait_loadcnt 0x0
	v_and_b32_e32 v5, 0xff, v2
	s_mov_b32 s19, 0
	s_mov_b32 s20, exec_lo
	s_delay_alu instid0(VALU_DEP_1)
	v_cmpx_lt_i16_e32 0x7f, v5
	s_xor_b32 s20, exec_lo, s20
	s_cbranch_execnz .LBB257_171
; %bb.162:
	s_or_saveexec_b32 s20, s20
	v_mov_b32_e32 v4, 0x7f800001
	s_xor_b32 exec_lo, exec_lo, s20
	s_cbranch_execnz .LBB257_174
.LBB257_163:
	s_or_b32 exec_lo, exec_lo, s20
	s_and_saveexec_b32 s20, s19
	s_cbranch_execz .LBB257_165
.LBB257_164:
	v_and_b32_e32 v4, 3, v2
	v_bfe_u32 v7, v2, 2, 5
	s_delay_alu instid0(VALU_DEP_2) | instskip(NEXT) | instid1(VALU_DEP_2)
	v_clz_i32_u32_e32 v5, v4
	v_cmp_eq_u32_e32 vcc_lo, 0, v7
	s_delay_alu instid0(VALU_DEP_2) | instskip(NEXT) | instid1(VALU_DEP_1)
	v_min_u32_e32 v5, 32, v5
	v_subrev_nc_u32_e32 v6, 29, v5
	s_delay_alu instid0(VALU_DEP_1) | instskip(NEXT) | instid1(VALU_DEP_1)
	v_dual_lshlrev_b32 v6, v6, v2 :: v_dual_sub_nc_u32 v5, 30, v5
	v_and_b32_e32 v6, 3, v6
	s_delay_alu instid0(VALU_DEP_2) | instskip(NEXT) | instid1(VALU_DEP_2)
	v_dual_cndmask_b32 v5, v7, v5 :: v_dual_lshlrev_b32 v8, 24, v2
	v_cndmask_b32_e32 v4, v4, v6, vcc_lo
	s_delay_alu instid0(VALU_DEP_2) | instskip(NEXT) | instid1(VALU_DEP_3)
	v_and_b32_e32 v6, 0x80000000, v8
	v_lshl_add_u32 v5, v5, 23, 0x37800000
	s_delay_alu instid0(VALU_DEP_3) | instskip(NEXT) | instid1(VALU_DEP_1)
	v_lshlrev_b32_e32 v4, 21, v4
	v_or3_b32 v4, v6, v5, v4
.LBB257_165:
	s_or_b32 exec_lo, exec_lo, s20
	s_delay_alu instid0(VALU_DEP_1)
	v_cmp_neq_f32_e64 s18, s18, v4
.LBB257_166:
	v_cmp_ne_u32_e32 vcc_lo, 1, v1
	s_wait_loadcnt 0x0
	v_lshrrev_b32_e32 v4, 8, v2
	s_cbranch_vccnz .LBB257_449
.LBB257_167:
	s_and_b32 s20, s10, 0xff
	s_delay_alu instid0(SALU_CYCLE_1)
	s_cmp_lt_i32 s20, 0x80
	s_cbranch_scc1 .LBB257_175
; %bb.168:
	s_and_b32 s19, 0xffff, s20
	s_mov_b32 s21, -1
	s_cmp_eq_u32 s19, 0x80
	s_cbranch_scc0 .LBB257_170
; %bb.169:
	s_mov_b32 s21, 0
.LBB257_170:
	s_mov_b32 s19, 0x7f800001
	s_branch .LBB257_177
.LBB257_171:
	s_mov_b32 s19, -1
	s_mov_b32 s21, exec_lo
	v_cmpx_eq_u16_e32 0x80, v5
; %bb.172:
	s_xor_b32 s19, exec_lo, -1
; %bb.173:
	s_or_b32 exec_lo, exec_lo, s21
	s_delay_alu instid0(SALU_CYCLE_1)
	s_and_b32 s19, s19, exec_lo
                                        ; implicit-def: $vgpr5
	s_or_saveexec_b32 s20, s20
	v_mov_b32_e32 v4, 0x7f800001
	s_xor_b32 exec_lo, exec_lo, s20
	s_cbranch_execz .LBB257_163
.LBB257_174:
	v_cmp_ne_u16_e32 vcc_lo, 0, v5
	v_mov_b32_e32 v4, 0
	s_and_not1_b32 s19, s19, exec_lo
	s_and_b32 s21, vcc_lo, exec_lo
	s_delay_alu instid0(SALU_CYCLE_1)
	s_or_b32 s19, s19, s21
	s_or_b32 exec_lo, exec_lo, s20
	s_and_saveexec_b32 s20, s19
	s_cbranch_execnz .LBB257_164
	s_branch .LBB257_165
.LBB257_175:
	s_mov_b32 s21, 0
	s_mov_b32 s19, 0x7f800001
	s_cbranch_execz .LBB257_177
; %bb.176:
	s_and_b32 s19, 0xffff, s20
	s_delay_alu instid0(SALU_CYCLE_1)
	s_cmp_lg_u32 s19, 0
	s_mov_b32 s19, 0
	s_cselect_b32 s21, -1, 0
.LBB257_177:
	s_delay_alu instid0(SALU_CYCLE_1)
	s_and_not1_b32 vcc_lo, exec_lo, s21
	s_cbranch_vccnz .LBB257_179
; %bb.178:
	s_mov_b32 s19, s3
.LBB257_179:
	v_and_b32_e32 v6, 0xff, v4
	s_mov_b32 s20, 0
	s_mov_b32 s21, exec_lo
	s_delay_alu instid0(VALU_DEP_1)
	v_cmpx_lt_i16_e32 0x7f, v6
	s_xor_b32 s21, exec_lo, s21
	s_cbranch_execnz .LBB257_189
; %bb.180:
	s_or_saveexec_b32 s21, s21
	v_mov_b32_e32 v5, 0x7f800001
	s_xor_b32 exec_lo, exec_lo, s21
	s_cbranch_execnz .LBB257_192
.LBB257_181:
	s_or_b32 exec_lo, exec_lo, s21
	s_and_saveexec_b32 s21, s20
	s_cbranch_execz .LBB257_183
.LBB257_182:
	v_bfe_u32 v5, v2, 8, 2
	v_bfe_u32 v8, v2, 10, 5
	v_lshlrev_b32_e32 v9, 24, v4
	s_delay_alu instid0(VALU_DEP_3) | instskip(NEXT) | instid1(VALU_DEP_3)
	v_clz_i32_u32_e32 v6, v5
	v_cmp_eq_u32_e32 vcc_lo, 0, v8
	s_delay_alu instid0(VALU_DEP_2) | instskip(NEXT) | instid1(VALU_DEP_1)
	v_min_u32_e32 v6, 32, v6
	v_subrev_nc_u32_e32 v7, 29, v6
	s_delay_alu instid0(VALU_DEP_1) | instskip(NEXT) | instid1(VALU_DEP_1)
	v_dual_sub_nc_u32 v6, 30, v6 :: v_dual_lshlrev_b32 v7, v7, v4
	v_dual_cndmask_b32 v6, v8, v6, vcc_lo :: v_dual_bitop2_b32 v7, 3, v7 bitop3:0x40
	s_delay_alu instid0(VALU_DEP_1) | instskip(SKIP_1) | instid1(VALU_DEP_3)
	v_cndmask_b32_e32 v5, v5, v7, vcc_lo
	v_and_b32_e32 v7, 0x80000000, v9
	v_lshl_add_u32 v6, v6, 23, 0x37800000
	s_delay_alu instid0(VALU_DEP_3) | instskip(NEXT) | instid1(VALU_DEP_1)
	v_lshlrev_b32_e32 v5, 21, v5
	v_or3_b32 v5, v7, v6, v5
.LBB257_183:
	s_or_b32 exec_lo, exec_lo, s21
	s_delay_alu instid0(VALU_DEP_1)
	v_cmp_neq_f32_e64 s19, s19, v5
.LBB257_184:
	v_cmp_ne_u32_e32 vcc_lo, 1, v1
	v_lshrrev_b32_e32 v4, 16, v2
	s_cbranch_vccnz .LBB257_467
.LBB257_185:
	s_and_b32 s21, s10, 0xff
	s_delay_alu instid0(SALU_CYCLE_1)
	s_cmp_lt_i32 s21, 0x80
	s_cbranch_scc1 .LBB257_193
; %bb.186:
	s_and_b32 s20, 0xffff, s21
	s_mov_b32 s22, -1
	s_cmp_eq_u32 s20, 0x80
	s_cbranch_scc0 .LBB257_188
; %bb.187:
	s_mov_b32 s22, 0
.LBB257_188:
	s_mov_b32 s20, 0x7f800001
	s_branch .LBB257_195
.LBB257_189:
	s_mov_b32 s20, -1
	s_mov_b32 s22, exec_lo
	v_cmpx_eq_u16_e32 0x80, v6
; %bb.190:
	s_xor_b32 s20, exec_lo, -1
; %bb.191:
	s_or_b32 exec_lo, exec_lo, s22
	s_delay_alu instid0(SALU_CYCLE_1)
	s_and_b32 s20, s20, exec_lo
                                        ; implicit-def: $vgpr6
	s_or_saveexec_b32 s21, s21
	v_mov_b32_e32 v5, 0x7f800001
	s_xor_b32 exec_lo, exec_lo, s21
	s_cbranch_execz .LBB257_181
.LBB257_192:
	v_cmp_ne_u16_e32 vcc_lo, 0, v6
	v_mov_b32_e32 v5, 0
	s_and_not1_b32 s20, s20, exec_lo
	s_and_b32 s22, vcc_lo, exec_lo
	s_delay_alu instid0(SALU_CYCLE_1)
	s_or_b32 s20, s20, s22
	s_or_b32 exec_lo, exec_lo, s21
	s_and_saveexec_b32 s21, s20
	s_cbranch_execnz .LBB257_182
	s_branch .LBB257_183
.LBB257_193:
	s_mov_b32 s22, 0
	s_mov_b32 s20, 0x7f800001
	s_cbranch_execz .LBB257_195
; %bb.194:
	s_and_b32 s20, 0xffff, s21
	s_delay_alu instid0(SALU_CYCLE_1)
	s_cmp_lg_u32 s20, 0
	s_mov_b32 s20, 0
	s_cselect_b32 s22, -1, 0
.LBB257_195:
	s_delay_alu instid0(SALU_CYCLE_1)
	s_and_not1_b32 vcc_lo, exec_lo, s22
	s_cbranch_vccnz .LBB257_197
; %bb.196:
	s_mov_b32 s20, s3
.LBB257_197:
	v_and_b32_e32 v6, 0xff, v4
	s_mov_b32 s21, 0
	s_mov_b32 s22, exec_lo
	s_delay_alu instid0(VALU_DEP_1)
	v_cmpx_lt_i16_e32 0x7f, v6
	s_xor_b32 s22, exec_lo, s22
	s_cbranch_execnz .LBB257_207
; %bb.198:
	s_or_saveexec_b32 s22, s22
	v_mov_b32_e32 v5, 0x7f800001
	s_xor_b32 exec_lo, exec_lo, s22
	s_cbranch_execnz .LBB257_210
.LBB257_199:
	s_or_b32 exec_lo, exec_lo, s22
	s_and_saveexec_b32 s22, s21
	s_cbranch_execz .LBB257_201
.LBB257_200:
	v_bfe_u32 v5, v2, 16, 2
	v_bfe_u32 v8, v2, 18, 5
	v_lshlrev_b32_e32 v9, 24, v4
	s_delay_alu instid0(VALU_DEP_3) | instskip(NEXT) | instid1(VALU_DEP_3)
	v_clz_i32_u32_e32 v6, v5
	v_cmp_eq_u32_e32 vcc_lo, 0, v8
	s_delay_alu instid0(VALU_DEP_2) | instskip(NEXT) | instid1(VALU_DEP_1)
	v_min_u32_e32 v6, 32, v6
	v_subrev_nc_u32_e32 v7, 29, v6
	s_delay_alu instid0(VALU_DEP_1) | instskip(NEXT) | instid1(VALU_DEP_1)
	v_dual_sub_nc_u32 v6, 30, v6 :: v_dual_lshlrev_b32 v7, v7, v4
	v_dual_cndmask_b32 v6, v8, v6, vcc_lo :: v_dual_bitop2_b32 v7, 3, v7 bitop3:0x40
	s_delay_alu instid0(VALU_DEP_1) | instskip(SKIP_1) | instid1(VALU_DEP_3)
	v_cndmask_b32_e32 v5, v5, v7, vcc_lo
	v_and_b32_e32 v7, 0x80000000, v9
	v_lshl_add_u32 v6, v6, 23, 0x37800000
	s_delay_alu instid0(VALU_DEP_3) | instskip(NEXT) | instid1(VALU_DEP_1)
	v_lshlrev_b32_e32 v5, 21, v5
	v_or3_b32 v5, v7, v6, v5
.LBB257_201:
	s_or_b32 exec_lo, exec_lo, s22
	s_delay_alu instid0(VALU_DEP_1)
	v_cmp_neq_f32_e64 s20, s20, v5
.LBB257_202:
	v_cmp_ne_u32_e32 vcc_lo, 1, v1
	v_lshrrev_b32_e32 v4, 24, v2
	s_cbranch_vccnz .LBB257_485
.LBB257_203:
	s_and_b32 s22, s10, 0xff
	s_delay_alu instid0(SALU_CYCLE_1)
	s_cmp_lt_i32 s22, 0x80
	s_cbranch_scc1 .LBB257_211
; %bb.204:
	s_and_b32 s21, 0xffff, s22
	s_mov_b32 s23, -1
	s_cmp_eq_u32 s21, 0x80
	s_cbranch_scc0 .LBB257_206
; %bb.205:
	s_mov_b32 s23, 0
.LBB257_206:
	s_mov_b32 s21, 0x7f800001
	s_branch .LBB257_213
.LBB257_207:
	s_mov_b32 s21, -1
	s_mov_b32 s23, exec_lo
	v_cmpx_eq_u16_e32 0x80, v6
; %bb.208:
	s_xor_b32 s21, exec_lo, -1
; %bb.209:
	s_or_b32 exec_lo, exec_lo, s23
	s_delay_alu instid0(SALU_CYCLE_1)
	s_and_b32 s21, s21, exec_lo
                                        ; implicit-def: $vgpr6
	s_or_saveexec_b32 s22, s22
	v_mov_b32_e32 v5, 0x7f800001
	s_xor_b32 exec_lo, exec_lo, s22
	s_cbranch_execz .LBB257_199
.LBB257_210:
	v_cmp_ne_u16_e32 vcc_lo, 0, v6
	v_mov_b32_e32 v5, 0
	s_and_not1_b32 s21, s21, exec_lo
	s_and_b32 s23, vcc_lo, exec_lo
	s_delay_alu instid0(SALU_CYCLE_1)
	s_or_b32 s21, s21, s23
	s_or_b32 exec_lo, exec_lo, s22
	s_and_saveexec_b32 s22, s21
	s_cbranch_execnz .LBB257_200
	s_branch .LBB257_201
.LBB257_211:
	s_mov_b32 s23, 0
	s_mov_b32 s21, 0x7f800001
	s_cbranch_execz .LBB257_213
; %bb.212:
	s_and_b32 s21, 0xffff, s22
	s_delay_alu instid0(SALU_CYCLE_1)
	s_cmp_lg_u32 s21, 0
	s_mov_b32 s21, 0
	s_cselect_b32 s23, -1, 0
.LBB257_213:
	s_delay_alu instid0(SALU_CYCLE_1)
	s_and_not1_b32 vcc_lo, exec_lo, s23
	s_cbranch_vccnz .LBB257_215
; %bb.214:
	s_mov_b32 s21, s3
.LBB257_215:
	s_mov_b32 s22, 0
	s_mov_b32 s23, exec_lo
	v_cmpx_lt_i16_e32 0x7f, v4
	s_xor_b32 s23, exec_lo, s23
	s_cbranch_execnz .LBB257_225
; %bb.216:
	s_or_saveexec_b32 s23, s23
	v_mov_b32_e32 v5, 0x7f800001
	s_xor_b32 exec_lo, exec_lo, s23
	s_cbranch_execnz .LBB257_228
.LBB257_217:
	s_or_b32 exec_lo, exec_lo, s23
	s_and_saveexec_b32 s23, s22
	s_cbranch_execz .LBB257_219
.LBB257_218:
	v_bfe_u32 v5, v2, 24, 2
	v_bfe_u32 v8, v2, 26, 5
	s_delay_alu instid0(VALU_DEP_2) | instskip(NEXT) | instid1(VALU_DEP_2)
	v_clz_i32_u32_e32 v6, v5
	v_cmp_eq_u32_e32 vcc_lo, 0, v8
	s_delay_alu instid0(VALU_DEP_2) | instskip(NEXT) | instid1(VALU_DEP_1)
	v_min_u32_e32 v6, 32, v6
	v_subrev_nc_u32_e32 v7, 29, v6
	s_delay_alu instid0(VALU_DEP_1) | instskip(NEXT) | instid1(VALU_DEP_1)
	v_dual_sub_nc_u32 v6, 30, v6 :: v_dual_lshlrev_b32 v7, v7, v4
	v_dual_cndmask_b32 v6, v8, v6, vcc_lo :: v_dual_bitop2_b32 v7, 3, v7 bitop3:0x40
	s_delay_alu instid0(VALU_DEP_1) | instskip(NEXT) | instid1(VALU_DEP_2)
	v_lshl_add_u32 v6, v6, 23, 0x37800000
	v_cndmask_b32_e32 v5, v5, v7, vcc_lo
	v_and_b32_e32 v7, 0x80000000, v2
	s_delay_alu instid0(VALU_DEP_2) | instskip(NEXT) | instid1(VALU_DEP_1)
	v_lshlrev_b32_e32 v5, 21, v5
	v_or3_b32 v5, v7, v6, v5
.LBB257_219:
	s_or_b32 exec_lo, exec_lo, s23
	s_delay_alu instid0(VALU_DEP_1)
	v_cmp_neq_f32_e64 s21, s21, v5
.LBB257_220:
	v_cmp_ne_u32_e32 vcc_lo, 1, v1
	s_cbranch_vccnz .LBB257_503
.LBB257_221:
	s_and_b32 s23, s10, 0xff
	s_delay_alu instid0(SALU_CYCLE_1)
	s_cmp_lt_i32 s23, 0x80
	s_cbranch_scc1 .LBB257_229
; %bb.222:
	s_and_b32 s22, 0xffff, s23
	s_mov_b32 s24, -1
	s_cmp_eq_u32 s22, 0x80
	s_cbranch_scc0 .LBB257_224
; %bb.223:
	s_mov_b32 s24, 0
.LBB257_224:
	s_mov_b32 s22, 0x7f800001
	s_branch .LBB257_231
.LBB257_225:
	s_mov_b32 s22, -1
	s_mov_b32 s24, exec_lo
	v_cmpx_eq_u16_e32 0x80, v4
; %bb.226:
	s_xor_b32 s22, exec_lo, -1
; %bb.227:
	s_or_b32 exec_lo, exec_lo, s24
	s_delay_alu instid0(SALU_CYCLE_1)
	s_and_b32 s22, s22, exec_lo
	s_or_saveexec_b32 s23, s23
	v_mov_b32_e32 v5, 0x7f800001
	s_xor_b32 exec_lo, exec_lo, s23
	s_cbranch_execz .LBB257_217
.LBB257_228:
	v_cmp_ne_u16_e32 vcc_lo, 0, v4
	v_mov_b32_e32 v5, 0
	s_and_not1_b32 s22, s22, exec_lo
	s_and_b32 s24, vcc_lo, exec_lo
	s_delay_alu instid0(SALU_CYCLE_1)
	s_or_b32 s22, s22, s24
	s_or_b32 exec_lo, exec_lo, s23
	s_and_saveexec_b32 s23, s22
	s_cbranch_execnz .LBB257_218
	s_branch .LBB257_219
.LBB257_229:
	s_mov_b32 s24, 0
	s_mov_b32 s22, 0x7f800001
	s_cbranch_execz .LBB257_231
; %bb.230:
	s_and_b32 s22, 0xffff, s23
	s_delay_alu instid0(SALU_CYCLE_1)
	s_cmp_lg_u32 s22, 0
	s_mov_b32 s22, 0
	s_cselect_b32 s24, -1, 0
.LBB257_231:
	s_delay_alu instid0(SALU_CYCLE_1)
	s_and_not1_b32 vcc_lo, exec_lo, s24
	s_cbranch_vccnz .LBB257_233
; %bb.232:
	s_mov_b32 s22, s3
.LBB257_233:
	v_and_b32_e32 v4, 0xff, v3
	s_mov_b32 s23, 0
	s_mov_b32 s24, exec_lo
	s_delay_alu instid0(VALU_DEP_1)
	v_cmpx_lt_i16_e32 0x7f, v4
	s_xor_b32 s24, exec_lo, s24
	s_cbranch_execnz .LBB257_243
; %bb.234:
	s_or_saveexec_b32 s24, s24
	v_mov_b32_e32 v2, 0x7f800001
	s_xor_b32 exec_lo, exec_lo, s24
	s_cbranch_execnz .LBB257_246
.LBB257_235:
	s_or_b32 exec_lo, exec_lo, s24
	s_and_saveexec_b32 s24, s23
	s_cbranch_execz .LBB257_237
.LBB257_236:
	v_and_b32_e32 v2, 3, v3
	v_bfe_u32 v6, v3, 2, 5
	s_delay_alu instid0(VALU_DEP_2) | instskip(NEXT) | instid1(VALU_DEP_2)
	v_clz_i32_u32_e32 v4, v2
	v_cmp_eq_u32_e32 vcc_lo, 0, v6
	s_delay_alu instid0(VALU_DEP_2) | instskip(NEXT) | instid1(VALU_DEP_1)
	v_min_u32_e32 v4, 32, v4
	v_subrev_nc_u32_e32 v5, 29, v4
	s_delay_alu instid0(VALU_DEP_1) | instskip(NEXT) | instid1(VALU_DEP_1)
	v_dual_lshlrev_b32 v5, v5, v3 :: v_dual_sub_nc_u32 v4, 30, v4
	v_dual_lshlrev_b32 v7, 24, v3 :: v_dual_bitop2_b32 v5, 3, v5 bitop3:0x40
	s_delay_alu instid0(VALU_DEP_2) | instskip(NEXT) | instid1(VALU_DEP_2)
	v_cndmask_b32_e32 v4, v6, v4, vcc_lo
	v_cndmask_b32_e32 v2, v2, v5, vcc_lo
	s_delay_alu instid0(VALU_DEP_3) | instskip(NEXT) | instid1(VALU_DEP_3)
	v_and_b32_e32 v5, 0x80000000, v7
	v_lshl_add_u32 v4, v4, 23, 0x37800000
	s_delay_alu instid0(VALU_DEP_3) | instskip(NEXT) | instid1(VALU_DEP_1)
	v_lshlrev_b32_e32 v2, 21, v2
	v_or3_b32 v2, v5, v4, v2
.LBB257_237:
	s_or_b32 exec_lo, exec_lo, s24
	s_delay_alu instid0(VALU_DEP_1)
	v_cmp_neq_f32_e64 s22, s22, v2
.LBB257_238:
	v_cmp_ne_u32_e32 vcc_lo, 1, v1
	v_lshrrev_b32_e32 v2, 8, v3
	s_cbranch_vccnz .LBB257_521
.LBB257_239:
	s_and_b32 s24, s10, 0xff
	s_delay_alu instid0(SALU_CYCLE_1)
	s_cmp_lt_i32 s24, 0x80
	s_cbranch_scc1 .LBB257_247
; %bb.240:
	s_and_b32 s23, 0xffff, s24
	s_mov_b32 s25, -1
	s_cmp_eq_u32 s23, 0x80
	s_cbranch_scc0 .LBB257_242
; %bb.241:
	s_mov_b32 s25, 0
.LBB257_242:
	s_mov_b32 s23, 0x7f800001
	s_branch .LBB257_249
.LBB257_243:
	s_mov_b32 s23, -1
	s_mov_b32 s25, exec_lo
	v_cmpx_eq_u16_e32 0x80, v4
; %bb.244:
	s_xor_b32 s23, exec_lo, -1
; %bb.245:
	s_or_b32 exec_lo, exec_lo, s25
	s_delay_alu instid0(SALU_CYCLE_1)
	s_and_b32 s23, s23, exec_lo
                                        ; implicit-def: $vgpr4
	s_or_saveexec_b32 s24, s24
	v_mov_b32_e32 v2, 0x7f800001
	s_xor_b32 exec_lo, exec_lo, s24
	s_cbranch_execz .LBB257_235
.LBB257_246:
	v_cmp_ne_u16_e32 vcc_lo, 0, v4
	v_mov_b32_e32 v2, 0
	s_and_not1_b32 s23, s23, exec_lo
	s_and_b32 s25, vcc_lo, exec_lo
	s_delay_alu instid0(SALU_CYCLE_1)
	s_or_b32 s23, s23, s25
	s_or_b32 exec_lo, exec_lo, s24
	s_and_saveexec_b32 s24, s23
	s_cbranch_execnz .LBB257_236
	s_branch .LBB257_237
.LBB257_247:
	s_mov_b32 s25, 0
	s_mov_b32 s23, 0x7f800001
	s_cbranch_execz .LBB257_249
; %bb.248:
	s_and_b32 s23, 0xffff, s24
	s_delay_alu instid0(SALU_CYCLE_1)
	s_cmp_lg_u32 s23, 0
	s_mov_b32 s23, 0
	s_cselect_b32 s25, -1, 0
.LBB257_249:
	s_delay_alu instid0(SALU_CYCLE_1)
	s_and_not1_b32 vcc_lo, exec_lo, s25
	s_cbranch_vccnz .LBB257_251
; %bb.250:
	s_mov_b32 s23, s3
.LBB257_251:
	v_and_b32_e32 v5, 0xff, v2
	s_mov_b32 s24, 0
	s_mov_b32 s25, exec_lo
	s_delay_alu instid0(VALU_DEP_1)
	v_cmpx_lt_i16_e32 0x7f, v5
	s_xor_b32 s25, exec_lo, s25
	s_cbranch_execnz .LBB257_261
; %bb.252:
	s_or_saveexec_b32 s25, s25
	v_mov_b32_e32 v4, 0x7f800001
	s_xor_b32 exec_lo, exec_lo, s25
	s_cbranch_execnz .LBB257_264
.LBB257_253:
	s_or_b32 exec_lo, exec_lo, s25
	s_and_saveexec_b32 s25, s24
	s_cbranch_execz .LBB257_255
.LBB257_254:
	v_bfe_u32 v4, v3, 8, 2
	v_bfe_u32 v7, v3, 10, 5
	s_delay_alu instid0(VALU_DEP_2) | instskip(NEXT) | instid1(VALU_DEP_2)
	v_clz_i32_u32_e32 v5, v4
	v_cmp_eq_u32_e32 vcc_lo, 0, v7
	s_delay_alu instid0(VALU_DEP_2) | instskip(NEXT) | instid1(VALU_DEP_1)
	v_min_u32_e32 v5, 32, v5
	v_subrev_nc_u32_e32 v6, 29, v5
	s_delay_alu instid0(VALU_DEP_1) | instskip(NEXT) | instid1(VALU_DEP_1)
	v_dual_sub_nc_u32 v5, 30, v5 :: v_dual_lshlrev_b32 v6, v6, v2
	v_dual_cndmask_b32 v5, v7, v5, vcc_lo :: v_dual_bitop2_b32 v6, 3, v6 bitop3:0x40
	s_delay_alu instid0(VALU_DEP_1) | instskip(NEXT) | instid1(VALU_DEP_2)
	v_lshl_add_u32 v5, v5, 23, 0x37800000
	v_cndmask_b32_e32 v4, v4, v6, vcc_lo
	s_delay_alu instid0(VALU_DEP_1) | instskip(NEXT) | instid1(VALU_DEP_1)
	v_dual_lshlrev_b32 v8, 24, v2 :: v_dual_lshlrev_b32 v4, 21, v4
	v_and_b32_e32 v6, 0x80000000, v8
	s_delay_alu instid0(VALU_DEP_1)
	v_or3_b32 v4, v6, v5, v4
.LBB257_255:
	s_or_b32 exec_lo, exec_lo, s25
	s_delay_alu instid0(VALU_DEP_1)
	v_cmp_neq_f32_e64 s23, s23, v4
.LBB257_256:
	v_cmp_ne_u32_e32 vcc_lo, 1, v1
	v_lshrrev_b32_e32 v2, 16, v3
	s_cbranch_vccnz .LBB257_539
.LBB257_257:
	s_and_b32 s25, s10, 0xff
	s_delay_alu instid0(SALU_CYCLE_1)
	s_cmp_lt_i32 s25, 0x80
	s_cbranch_scc1 .LBB257_265
; %bb.258:
	s_and_b32 s24, 0xffff, s25
	s_mov_b32 s26, -1
	s_cmp_eq_u32 s24, 0x80
	s_cbranch_scc0 .LBB257_260
; %bb.259:
	s_mov_b32 s26, 0
.LBB257_260:
	s_mov_b32 s24, 0x7f800001
	s_branch .LBB257_267
.LBB257_261:
	s_mov_b32 s24, -1
	s_mov_b32 s26, exec_lo
	v_cmpx_eq_u16_e32 0x80, v5
; %bb.262:
	s_xor_b32 s24, exec_lo, -1
; %bb.263:
	s_or_b32 exec_lo, exec_lo, s26
	s_delay_alu instid0(SALU_CYCLE_1)
	s_and_b32 s24, s24, exec_lo
                                        ; implicit-def: $vgpr5
	s_or_saveexec_b32 s25, s25
	v_mov_b32_e32 v4, 0x7f800001
	s_xor_b32 exec_lo, exec_lo, s25
	s_cbranch_execz .LBB257_253
.LBB257_264:
	v_cmp_ne_u16_e32 vcc_lo, 0, v5
	v_mov_b32_e32 v4, 0
	s_and_not1_b32 s24, s24, exec_lo
	s_and_b32 s26, vcc_lo, exec_lo
	s_delay_alu instid0(SALU_CYCLE_1)
	s_or_b32 s24, s24, s26
	s_or_b32 exec_lo, exec_lo, s25
	s_and_saveexec_b32 s25, s24
	s_cbranch_execnz .LBB257_254
	s_branch .LBB257_255
.LBB257_265:
	s_mov_b32 s26, 0
	s_mov_b32 s24, 0x7f800001
	s_cbranch_execz .LBB257_267
; %bb.266:
	s_and_b32 s24, 0xffff, s25
	s_delay_alu instid0(SALU_CYCLE_1)
	s_cmp_lg_u32 s24, 0
	s_mov_b32 s24, 0
	s_cselect_b32 s26, -1, 0
.LBB257_267:
	s_delay_alu instid0(SALU_CYCLE_1)
	s_and_not1_b32 vcc_lo, exec_lo, s26
	s_cbranch_vccnz .LBB257_269
; %bb.268:
	s_mov_b32 s24, s3
.LBB257_269:
	v_and_b32_e32 v5, 0xff, v2
	s_mov_b32 s25, 0
	s_mov_b32 s26, exec_lo
	s_delay_alu instid0(VALU_DEP_1)
	v_cmpx_lt_i16_e32 0x7f, v5
	s_xor_b32 s26, exec_lo, s26
	s_cbranch_execnz .LBB257_279
; %bb.270:
	s_or_saveexec_b32 s26, s26
	v_mov_b32_e32 v4, 0x7f800001
	s_xor_b32 exec_lo, exec_lo, s26
	s_cbranch_execnz .LBB257_282
.LBB257_271:
	s_or_b32 exec_lo, exec_lo, s26
	s_and_saveexec_b32 s26, s25
	s_cbranch_execz .LBB257_273
.LBB257_272:
	v_bfe_u32 v4, v3, 16, 2
	v_bfe_u32 v7, v3, 18, 5
	s_delay_alu instid0(VALU_DEP_2) | instskip(NEXT) | instid1(VALU_DEP_2)
	v_clz_i32_u32_e32 v5, v4
	v_cmp_eq_u32_e32 vcc_lo, 0, v7
	s_delay_alu instid0(VALU_DEP_2) | instskip(NEXT) | instid1(VALU_DEP_1)
	v_min_u32_e32 v5, 32, v5
	v_subrev_nc_u32_e32 v6, 29, v5
	s_delay_alu instid0(VALU_DEP_1) | instskip(NEXT) | instid1(VALU_DEP_1)
	v_dual_sub_nc_u32 v5, 30, v5 :: v_dual_lshlrev_b32 v6, v6, v2
	v_dual_cndmask_b32 v5, v7, v5, vcc_lo :: v_dual_bitop2_b32 v6, 3, v6 bitop3:0x40
	s_delay_alu instid0(VALU_DEP_1) | instskip(NEXT) | instid1(VALU_DEP_2)
	v_lshl_add_u32 v5, v5, 23, 0x37800000
	v_cndmask_b32_e32 v4, v4, v6, vcc_lo
	s_delay_alu instid0(VALU_DEP_1) | instskip(NEXT) | instid1(VALU_DEP_1)
	v_dual_lshlrev_b32 v8, 24, v2 :: v_dual_lshlrev_b32 v4, 21, v4
	v_and_b32_e32 v6, 0x80000000, v8
	s_delay_alu instid0(VALU_DEP_1)
	v_or3_b32 v4, v6, v5, v4
.LBB257_273:
	s_or_b32 exec_lo, exec_lo, s26
	s_delay_alu instid0(VALU_DEP_1)
	v_cmp_neq_f32_e64 s24, s24, v4
.LBB257_274:
	v_cmp_ne_u32_e32 vcc_lo, 1, v1
	v_lshrrev_b32_e32 v1, 24, v3
	s_cbranch_vccnz .LBB257_557
.LBB257_275:
	s_and_b32 s26, s10, 0xff
	s_delay_alu instid0(SALU_CYCLE_1)
	s_cmp_lt_i32 s26, 0x80
	s_cbranch_scc1 .LBB257_283
; %bb.276:
	s_and_b32 s25, 0xffff, s26
	s_mov_b32 s27, -1
	s_cmp_eq_u32 s25, 0x80
	s_cbranch_scc0 .LBB257_278
; %bb.277:
	s_mov_b32 s27, 0
.LBB257_278:
	s_mov_b32 s25, 0x7f800001
	s_branch .LBB257_285
.LBB257_279:
	s_mov_b32 s25, -1
	s_mov_b32 s27, exec_lo
	v_cmpx_eq_u16_e32 0x80, v5
; %bb.280:
	s_xor_b32 s25, exec_lo, -1
; %bb.281:
	s_or_b32 exec_lo, exec_lo, s27
	s_delay_alu instid0(SALU_CYCLE_1)
	s_and_b32 s25, s25, exec_lo
                                        ; implicit-def: $vgpr5
	s_or_saveexec_b32 s26, s26
	v_mov_b32_e32 v4, 0x7f800001
	s_xor_b32 exec_lo, exec_lo, s26
	s_cbranch_execz .LBB257_271
.LBB257_282:
	v_cmp_ne_u16_e32 vcc_lo, 0, v5
	v_mov_b32_e32 v4, 0
	s_and_not1_b32 s25, s25, exec_lo
	s_and_b32 s27, vcc_lo, exec_lo
	s_delay_alu instid0(SALU_CYCLE_1)
	s_or_b32 s25, s25, s27
	s_or_b32 exec_lo, exec_lo, s26
	s_and_saveexec_b32 s26, s25
	s_cbranch_execnz .LBB257_272
	s_branch .LBB257_273
.LBB257_283:
	s_mov_b32 s27, 0
	s_mov_b32 s25, 0x7f800001
	s_cbranch_execz .LBB257_285
; %bb.284:
	s_and_b32 s25, 0xffff, s26
	s_delay_alu instid0(SALU_CYCLE_1)
	s_cmp_lg_u32 s25, 0
	s_mov_b32 s25, 0
	s_cselect_b32 s27, -1, 0
.LBB257_285:
	s_delay_alu instid0(SALU_CYCLE_1)
	s_and_not1_b32 vcc_lo, exec_lo, s27
	s_cbranch_vccnz .LBB257_287
; %bb.286:
	s_mov_b32 s25, s3
.LBB257_287:
	s_mov_b32 s26, 0
	s_mov_b32 s27, exec_lo
	v_cmpx_lt_i16_e32 0x7f, v1
	s_xor_b32 s27, exec_lo, s27
	s_cbranch_execnz .LBB257_292
; %bb.288:
	s_or_saveexec_b32 s27, s27
	v_mov_b32_e32 v2, 0x7f800001
	s_xor_b32 exec_lo, exec_lo, s27
	s_cbranch_execnz .LBB257_295
.LBB257_289:
	s_or_b32 exec_lo, exec_lo, s27
	s_and_saveexec_b32 s27, s26
	s_cbranch_execz .LBB257_291
.LBB257_290:
	v_bfe_u32 v2, v3, 24, 2
	v_bfe_u32 v6, v3, 26, 5
	s_delay_alu instid0(VALU_DEP_2) | instskip(NEXT) | instid1(VALU_DEP_2)
	v_clz_i32_u32_e32 v4, v2
	v_cmp_eq_u32_e32 vcc_lo, 0, v6
	s_delay_alu instid0(VALU_DEP_2) | instskip(NEXT) | instid1(VALU_DEP_1)
	v_min_u32_e32 v4, 32, v4
	v_subrev_nc_u32_e32 v5, 29, v4
	s_delay_alu instid0(VALU_DEP_1) | instskip(NEXT) | instid1(VALU_DEP_1)
	v_dual_sub_nc_u32 v4, 30, v4 :: v_dual_lshlrev_b32 v5, v5, v1
	v_dual_cndmask_b32 v4, v6, v4, vcc_lo :: v_dual_bitop2_b32 v5, 3, v5 bitop3:0x40
	s_delay_alu instid0(VALU_DEP_1) | instskip(NEXT) | instid1(VALU_DEP_2)
	v_lshl_add_u32 v4, v4, 23, 0x37800000
	v_cndmask_b32_e32 v2, v2, v5, vcc_lo
	v_and_b32_e32 v5, 0x80000000, v3
	s_delay_alu instid0(VALU_DEP_2) | instskip(NEXT) | instid1(VALU_DEP_1)
	v_lshlrev_b32_e32 v2, 21, v2
	v_or3_b32 v2, v5, v4, v2
.LBB257_291:
	s_or_b32 exec_lo, exec_lo, s27
	s_delay_alu instid0(VALU_DEP_1)
	v_cmp_neq_f32_e64 s25, s25, v2
	s_branch .LBB257_575
.LBB257_292:
	s_mov_b32 s26, -1
	s_mov_b32 s28, exec_lo
	v_cmpx_eq_u16_e32 0x80, v1
; %bb.293:
	s_xor_b32 s26, exec_lo, -1
; %bb.294:
	s_or_b32 exec_lo, exec_lo, s28
	s_delay_alu instid0(SALU_CYCLE_1)
	s_and_b32 s26, s26, exec_lo
	s_or_saveexec_b32 s27, s27
	v_mov_b32_e32 v2, 0x7f800001
	s_xor_b32 exec_lo, exec_lo, s27
	s_cbranch_execz .LBB257_289
.LBB257_295:
	v_cmp_ne_u16_e32 vcc_lo, 0, v1
	v_mov_b32_e32 v2, 0
	s_and_not1_b32 s26, s26, exec_lo
	s_and_b32 s28, vcc_lo, exec_lo
	s_delay_alu instid0(SALU_CYCLE_1)
	s_or_b32 s26, s26, s28
	s_or_b32 exec_lo, exec_lo, s27
	s_and_saveexec_b32 s27, s26
	s_cbranch_execnz .LBB257_290
	s_branch .LBB257_291
.LBB257_296:
	s_mov_b32 s13, 0
	s_mov_b32 s8, 0x7f800001
	s_cbranch_execz .LBB257_298
; %bb.297:
	s_and_b32 s8, 0xffff, s12
	s_delay_alu instid0(SALU_CYCLE_1)
	s_cmp_lg_u32 s8, 0
	s_mov_b32 s8, 0
	s_cselect_b32 s13, -1, 0
.LBB257_298:
	s_delay_alu instid0(SALU_CYCLE_1)
	s_and_not1_b32 vcc_lo, exec_lo, s13
	s_cbranch_vccnz .LBB257_300
; %bb.299:
	s_mov_b32 s8, s3
.LBB257_300:
	s_wait_loadcnt 0x1
	v_and_b32_e32 v6, 0xff, v4
	s_mov_b32 s12, 0
	s_mov_b32 s13, exec_lo
	s_delay_alu instid0(VALU_DEP_1)
	v_cmpx_lt_i16_e32 0x7f, v6
	s_xor_b32 s13, exec_lo, s13
	s_cbranch_execnz .LBB257_310
; %bb.301:
	s_or_saveexec_b32 s13, s13
	v_mov_b32_e32 v1, 0x7f800001
	s_xor_b32 exec_lo, exec_lo, s13
	s_cbranch_execnz .LBB257_313
.LBB257_302:
	s_or_b32 exec_lo, exec_lo, s13
	s_and_saveexec_b32 s13, s12
	s_cbranch_execz .LBB257_304
.LBB257_303:
	v_and_b32_e32 v1, 3, v4
	v_bfe_u32 v8, v4, 2, 5
	s_delay_alu instid0(VALU_DEP_2) | instskip(NEXT) | instid1(VALU_DEP_2)
	v_clz_i32_u32_e32 v6, v1
	v_cmp_eq_u32_e32 vcc_lo, 0, v8
	s_delay_alu instid0(VALU_DEP_2) | instskip(NEXT) | instid1(VALU_DEP_1)
	v_min_u32_e32 v6, 32, v6
	v_subrev_nc_u32_e32 v7, 29, v6
	s_delay_alu instid0(VALU_DEP_1) | instskip(NEXT) | instid1(VALU_DEP_1)
	v_dual_lshlrev_b32 v7, v7, v4 :: v_dual_sub_nc_u32 v6, 30, v6
	v_dual_lshlrev_b32 v9, 24, v4 :: v_dual_bitop2_b32 v7, 3, v7 bitop3:0x40
	s_delay_alu instid0(VALU_DEP_1) | instskip(NEXT) | instid1(VALU_DEP_2)
	v_dual_cndmask_b32 v6, v8, v6 :: v_dual_cndmask_b32 v1, v1, v7
	v_and_b32_e32 v7, 0x80000000, v9
	s_delay_alu instid0(VALU_DEP_2) | instskip(NEXT) | instid1(VALU_DEP_3)
	v_lshl_add_u32 v6, v6, 23, 0x37800000
	v_lshlrev_b32_e32 v1, 21, v1
	s_delay_alu instid0(VALU_DEP_1)
	v_or3_b32 v1, v7, v6, v1
.LBB257_304:
	s_or_b32 exec_lo, exec_lo, s13
	s_delay_alu instid0(VALU_DEP_1)
	v_cmp_eq_f32_e64 s8, s8, v1
	v_cndmask_b32_e64 v1, 0, 1, s11
	v_lshrrev_b32_e32 v6, 8, v4
	s_and_not1_b32 vcc_lo, exec_lo, s11
	s_cbranch_vccz .LBB257_10
.LBB257_305:
                                        ; implicit-def: $sgpr11
	s_cbranch_execz .LBB257_36
; %bb.306:
	s_and_b32 s12, s10, 0xff
	s_delay_alu instid0(SALU_CYCLE_1)
	s_cmp_lt_i32 s12, 0x80
	s_cbranch_scc1 .LBB257_314
; %bb.307:
	s_and_b32 s11, 0xffff, s12
	s_mov_b32 s13, -1
	s_cmp_eq_u32 s11, 0x80
	s_cbranch_scc0 .LBB257_309
; %bb.308:
	s_mov_b32 s13, 0
.LBB257_309:
	s_mov_b32 s11, 0x7f800001
	s_branch .LBB257_316
.LBB257_310:
	s_mov_b32 s12, -1
	s_mov_b32 s14, exec_lo
	v_cmpx_eq_u16_e32 0x80, v6
; %bb.311:
	s_xor_b32 s12, exec_lo, -1
; %bb.312:
	s_or_b32 exec_lo, exec_lo, s14
	s_delay_alu instid0(SALU_CYCLE_1)
	s_and_b32 s12, s12, exec_lo
                                        ; implicit-def: $vgpr6
	s_or_saveexec_b32 s13, s13
	v_mov_b32_e32 v1, 0x7f800001
	s_xor_b32 exec_lo, exec_lo, s13
	s_cbranch_execz .LBB257_302
.LBB257_313:
	v_cmp_ne_u16_e32 vcc_lo, 0, v6
	v_mov_b32_e32 v1, 0
	s_and_not1_b32 s12, s12, exec_lo
	s_and_b32 s14, vcc_lo, exec_lo
	s_delay_alu instid0(SALU_CYCLE_1)
	s_or_b32 s12, s12, s14
	s_or_b32 exec_lo, exec_lo, s13
	s_and_saveexec_b32 s13, s12
	s_cbranch_execnz .LBB257_303
	s_branch .LBB257_304
.LBB257_314:
	s_mov_b32 s13, 0
	s_mov_b32 s11, 0x7f800001
	s_cbranch_execz .LBB257_316
; %bb.315:
	s_and_b32 s11, 0xffff, s12
	s_delay_alu instid0(SALU_CYCLE_1)
	s_cmp_lg_u32 s11, 0
	s_mov_b32 s11, 0
	s_cselect_b32 s13, -1, 0
.LBB257_316:
	s_delay_alu instid0(SALU_CYCLE_1)
	s_and_not1_b32 vcc_lo, exec_lo, s13
	s_cbranch_vccnz .LBB257_318
; %bb.317:
	s_mov_b32 s11, s3
.LBB257_318:
	v_and_b32_e32 v8, 0xff, v6
	s_mov_b32 s12, 0
	s_mov_b32 s13, exec_lo
	s_delay_alu instid0(VALU_DEP_1)
	v_cmpx_lt_i16_e32 0x7f, v8
	s_xor_b32 s13, exec_lo, s13
	s_cbranch_execnz .LBB257_328
; %bb.319:
	s_or_saveexec_b32 s13, s13
	v_mov_b32_e32 v7, 0x7f800001
	s_xor_b32 exec_lo, exec_lo, s13
	s_cbranch_execnz .LBB257_331
.LBB257_320:
	s_or_b32 exec_lo, exec_lo, s13
	s_and_saveexec_b32 s13, s12
	s_cbranch_execz .LBB257_322
.LBB257_321:
	v_bfe_u32 v7, v4, 8, 2
	v_bfe_u32 v10, v4, 10, 5
	s_delay_alu instid0(VALU_DEP_2) | instskip(NEXT) | instid1(VALU_DEP_2)
	v_clz_i32_u32_e32 v8, v7
	v_cmp_eq_u32_e32 vcc_lo, 0, v10
	s_delay_alu instid0(VALU_DEP_2) | instskip(NEXT) | instid1(VALU_DEP_1)
	v_min_u32_e32 v8, 32, v8
	v_subrev_nc_u32_e32 v9, 29, v8
	s_delay_alu instid0(VALU_DEP_1) | instskip(NEXT) | instid1(VALU_DEP_1)
	v_dual_sub_nc_u32 v8, 30, v8 :: v_dual_lshlrev_b32 v9, v9, v6
	v_dual_lshlrev_b32 v6, 24, v6 :: v_dual_bitop2_b32 v9, 3, v9 bitop3:0x40
	s_delay_alu instid0(VALU_DEP_2) | instskip(NEXT) | instid1(VALU_DEP_2)
	v_cndmask_b32_e32 v8, v10, v8, vcc_lo
	v_and_b32_e32 v6, 0x80000000, v6
	s_delay_alu instid0(VALU_DEP_3) | instskip(NEXT) | instid1(VALU_DEP_3)
	v_cndmask_b32_e32 v7, v7, v9, vcc_lo
	v_lshl_add_u32 v8, v8, 23, 0x37800000
	s_delay_alu instid0(VALU_DEP_2) | instskip(NEXT) | instid1(VALU_DEP_1)
	v_lshlrev_b32_e32 v7, 21, v7
	v_or3_b32 v7, v6, v8, v7
.LBB257_322:
	s_or_b32 exec_lo, exec_lo, s13
	s_delay_alu instid0(VALU_DEP_1)
	v_cmp_eq_f32_e64 s11, s11, v7
	v_cmp_ne_u32_e32 vcc_lo, 1, v1
	v_lshrrev_b32_e32 v6, 16, v4
	s_cbranch_vccz .LBB257_37
.LBB257_323:
                                        ; implicit-def: $sgpr12
	s_cbranch_execz .LBB257_58
; %bb.324:
	s_and_b32 s13, s10, 0xff
	s_delay_alu instid0(SALU_CYCLE_1)
	s_cmp_lt_i32 s13, 0x80
	s_cbranch_scc1 .LBB257_332
; %bb.325:
	s_and_b32 s12, 0xffff, s13
	s_mov_b32 s14, -1
	s_cmp_eq_u32 s12, 0x80
	s_cbranch_scc0 .LBB257_327
; %bb.326:
	s_mov_b32 s14, 0
.LBB257_327:
	s_mov_b32 s12, 0x7f800001
	s_branch .LBB257_334
.LBB257_328:
	s_mov_b32 s12, -1
	s_mov_b32 s14, exec_lo
	v_cmpx_eq_u16_e32 0x80, v8
; %bb.329:
	s_xor_b32 s12, exec_lo, -1
; %bb.330:
	s_or_b32 exec_lo, exec_lo, s14
	s_delay_alu instid0(SALU_CYCLE_1)
	s_and_b32 s12, s12, exec_lo
                                        ; implicit-def: $vgpr8
	s_or_saveexec_b32 s13, s13
	v_mov_b32_e32 v7, 0x7f800001
	s_xor_b32 exec_lo, exec_lo, s13
	s_cbranch_execz .LBB257_320
.LBB257_331:
	v_cmp_ne_u16_e32 vcc_lo, 0, v8
	v_mov_b32_e32 v7, 0
	s_and_not1_b32 s12, s12, exec_lo
	s_and_b32 s14, vcc_lo, exec_lo
	s_delay_alu instid0(SALU_CYCLE_1)
	s_or_b32 s12, s12, s14
	s_or_b32 exec_lo, exec_lo, s13
	s_and_saveexec_b32 s13, s12
	s_cbranch_execnz .LBB257_321
	s_branch .LBB257_322
.LBB257_332:
	s_mov_b32 s14, 0
	s_mov_b32 s12, 0x7f800001
	s_cbranch_execz .LBB257_334
; %bb.333:
	s_and_b32 s12, 0xffff, s13
	s_delay_alu instid0(SALU_CYCLE_1)
	s_cmp_lg_u32 s12, 0
	s_mov_b32 s12, 0
	s_cselect_b32 s14, -1, 0
.LBB257_334:
	s_delay_alu instid0(SALU_CYCLE_1)
	s_and_not1_b32 vcc_lo, exec_lo, s14
	s_cbranch_vccnz .LBB257_336
; %bb.335:
	s_mov_b32 s12, s3
.LBB257_336:
	v_and_b32_e32 v8, 0xff, v6
	s_mov_b32 s13, 0
	s_mov_b32 s14, exec_lo
	s_delay_alu instid0(VALU_DEP_1)
	v_cmpx_lt_i16_e32 0x7f, v8
	s_xor_b32 s14, exec_lo, s14
	s_cbranch_execnz .LBB257_346
; %bb.337:
	s_or_saveexec_b32 s14, s14
	v_mov_b32_e32 v7, 0x7f800001
	s_xor_b32 exec_lo, exec_lo, s14
	s_cbranch_execnz .LBB257_349
.LBB257_338:
	s_or_b32 exec_lo, exec_lo, s14
	s_and_saveexec_b32 s14, s13
	s_cbranch_execz .LBB257_340
.LBB257_339:
	v_bfe_u32 v7, v4, 16, 2
	v_bfe_u32 v10, v4, 18, 5
	s_delay_alu instid0(VALU_DEP_2) | instskip(NEXT) | instid1(VALU_DEP_2)
	v_clz_i32_u32_e32 v8, v7
	v_cmp_eq_u32_e32 vcc_lo, 0, v10
	s_delay_alu instid0(VALU_DEP_2) | instskip(NEXT) | instid1(VALU_DEP_1)
	v_min_u32_e32 v8, 32, v8
	v_subrev_nc_u32_e32 v9, 29, v8
	s_delay_alu instid0(VALU_DEP_1) | instskip(NEXT) | instid1(VALU_DEP_1)
	v_dual_sub_nc_u32 v8, 30, v8 :: v_dual_lshlrev_b32 v9, v9, v6
	v_dual_lshlrev_b32 v6, 24, v6 :: v_dual_bitop2_b32 v9, 3, v9 bitop3:0x40
	s_delay_alu instid0(VALU_DEP_2) | instskip(NEXT) | instid1(VALU_DEP_2)
	v_cndmask_b32_e32 v8, v10, v8, vcc_lo
	v_and_b32_e32 v6, 0x80000000, v6
	s_delay_alu instid0(VALU_DEP_3) | instskip(NEXT) | instid1(VALU_DEP_3)
	v_cndmask_b32_e32 v7, v7, v9, vcc_lo
	v_lshl_add_u32 v8, v8, 23, 0x37800000
	s_delay_alu instid0(VALU_DEP_2) | instskip(NEXT) | instid1(VALU_DEP_1)
	v_lshlrev_b32_e32 v7, 21, v7
	v_or3_b32 v7, v6, v8, v7
.LBB257_340:
	s_or_b32 exec_lo, exec_lo, s14
	s_delay_alu instid0(VALU_DEP_1)
	v_cmp_eq_f32_e64 s12, s12, v7
	v_cmp_ne_u32_e32 vcc_lo, 1, v1
	v_lshrrev_b32_e32 v6, 24, v4
	s_cbranch_vccz .LBB257_59
.LBB257_341:
                                        ; implicit-def: $sgpr13
	s_cbranch_execz .LBB257_76
; %bb.342:
	s_and_b32 s14, s10, 0xff
	s_delay_alu instid0(SALU_CYCLE_1)
	s_cmp_lt_i32 s14, 0x80
	s_cbranch_scc1 .LBB257_350
; %bb.343:
	s_and_b32 s13, 0xffff, s14
	s_mov_b32 s15, -1
	s_cmp_eq_u32 s13, 0x80
	s_cbranch_scc0 .LBB257_345
; %bb.344:
	s_mov_b32 s15, 0
.LBB257_345:
	s_mov_b32 s13, 0x7f800001
	s_branch .LBB257_352
.LBB257_346:
	s_mov_b32 s13, -1
	s_mov_b32 s15, exec_lo
	v_cmpx_eq_u16_e32 0x80, v8
; %bb.347:
	s_xor_b32 s13, exec_lo, -1
; %bb.348:
	s_or_b32 exec_lo, exec_lo, s15
	s_delay_alu instid0(SALU_CYCLE_1)
	s_and_b32 s13, s13, exec_lo
                                        ; implicit-def: $vgpr8
	s_or_saveexec_b32 s14, s14
	v_mov_b32_e32 v7, 0x7f800001
	s_xor_b32 exec_lo, exec_lo, s14
	s_cbranch_execz .LBB257_338
.LBB257_349:
	v_cmp_ne_u16_e32 vcc_lo, 0, v8
	v_mov_b32_e32 v7, 0
	s_and_not1_b32 s13, s13, exec_lo
	s_and_b32 s15, vcc_lo, exec_lo
	s_delay_alu instid0(SALU_CYCLE_1)
	s_or_b32 s13, s13, s15
	s_or_b32 exec_lo, exec_lo, s14
	s_and_saveexec_b32 s14, s13
	s_cbranch_execnz .LBB257_339
	s_branch .LBB257_340
.LBB257_350:
	s_mov_b32 s15, 0
	s_mov_b32 s13, 0x7f800001
	s_cbranch_execz .LBB257_352
; %bb.351:
	s_and_b32 s13, 0xffff, s14
	s_delay_alu instid0(SALU_CYCLE_1)
	s_cmp_lg_u32 s13, 0
	s_mov_b32 s13, 0
	s_cselect_b32 s15, -1, 0
.LBB257_352:
	s_delay_alu instid0(SALU_CYCLE_1)
	s_and_not1_b32 vcc_lo, exec_lo, s15
	s_cbranch_vccnz .LBB257_354
; %bb.353:
	s_mov_b32 s13, s3
.LBB257_354:
	s_mov_b32 s14, 0
	s_mov_b32 s15, exec_lo
	v_cmpx_lt_i16_e32 0x7f, v6
	s_xor_b32 s15, exec_lo, s15
	s_cbranch_execnz .LBB257_364
; %bb.355:
	s_or_saveexec_b32 s15, s15
	v_mov_b32_e32 v7, 0x7f800001
	s_xor_b32 exec_lo, exec_lo, s15
	s_cbranch_execnz .LBB257_367
.LBB257_356:
	s_or_b32 exec_lo, exec_lo, s15
	s_and_saveexec_b32 s15, s14
	s_cbranch_execz .LBB257_358
.LBB257_357:
	v_bfe_u32 v7, v4, 24, 2
	s_delay_alu instid0(VALU_DEP_1) | instskip(NEXT) | instid1(VALU_DEP_1)
	v_clz_i32_u32_e32 v8, v7
	v_min_u32_e32 v8, 32, v8
	s_delay_alu instid0(VALU_DEP_1) | instskip(NEXT) | instid1(VALU_DEP_1)
	v_subrev_nc_u32_e32 v9, 29, v8
	v_dual_sub_nc_u32 v8, 30, v8 :: v_dual_lshlrev_b32 v6, v9, v6
	v_bfe_u32 v9, v4, 26, 5
	v_and_b32_e32 v4, 0x80000000, v4
	s_delay_alu instid0(VALU_DEP_2) | instskip(NEXT) | instid1(VALU_DEP_4)
	v_cmp_eq_u32_e32 vcc_lo, 0, v9
	v_dual_cndmask_b32 v8, v9, v8, vcc_lo :: v_dual_bitop2_b32 v6, 3, v6 bitop3:0x40
	s_delay_alu instid0(VALU_DEP_1) | instskip(NEXT) | instid1(VALU_DEP_2)
	v_cndmask_b32_e32 v6, v7, v6, vcc_lo
	v_lshl_add_u32 v7, v8, 23, 0x37800000
	s_delay_alu instid0(VALU_DEP_2) | instskip(NEXT) | instid1(VALU_DEP_1)
	v_lshlrev_b32_e32 v6, 21, v6
	v_or3_b32 v7, v4, v7, v6
.LBB257_358:
	s_or_b32 exec_lo, exec_lo, s15
	s_delay_alu instid0(VALU_DEP_1)
	v_cmp_eq_f32_e64 s13, s13, v7
	v_cmp_ne_u32_e32 vcc_lo, 1, v1
	s_cbranch_vccz .LBB257_77
.LBB257_359:
                                        ; implicit-def: $sgpr14
	s_cbranch_execz .LBB257_94
; %bb.360:
	s_and_b32 s15, s10, 0xff
	s_delay_alu instid0(SALU_CYCLE_1)
	s_cmp_lt_i32 s15, 0x80
	s_cbranch_scc1 .LBB257_368
; %bb.361:
	s_and_b32 s14, 0xffff, s15
	s_mov_b32 s16, -1
	s_cmp_eq_u32 s14, 0x80
	s_cbranch_scc0 .LBB257_363
; %bb.362:
	s_mov_b32 s16, 0
.LBB257_363:
	s_mov_b32 s14, 0x7f800001
	s_branch .LBB257_370
.LBB257_364:
	s_mov_b32 s14, -1
	s_mov_b32 s16, exec_lo
	v_cmpx_eq_u16_e32 0x80, v6
; %bb.365:
	s_xor_b32 s14, exec_lo, -1
; %bb.366:
	s_or_b32 exec_lo, exec_lo, s16
	s_delay_alu instid0(SALU_CYCLE_1)
	s_and_b32 s14, s14, exec_lo
	s_or_saveexec_b32 s15, s15
	v_mov_b32_e32 v7, 0x7f800001
	s_xor_b32 exec_lo, exec_lo, s15
	s_cbranch_execz .LBB257_356
.LBB257_367:
	v_cmp_ne_u16_e32 vcc_lo, 0, v6
	v_mov_b32_e32 v7, 0
	s_and_not1_b32 s14, s14, exec_lo
	s_and_b32 s16, vcc_lo, exec_lo
	s_delay_alu instid0(SALU_CYCLE_1)
	s_or_b32 s14, s14, s16
	s_or_b32 exec_lo, exec_lo, s15
	s_and_saveexec_b32 s15, s14
	s_cbranch_execnz .LBB257_357
	s_branch .LBB257_358
.LBB257_368:
	s_mov_b32 s16, 0
	s_mov_b32 s14, 0x7f800001
	s_cbranch_execz .LBB257_370
; %bb.369:
	s_and_b32 s14, 0xffff, s15
	s_delay_alu instid0(SALU_CYCLE_1)
	s_cmp_lg_u32 s14, 0
	s_mov_b32 s14, 0
	s_cselect_b32 s16, -1, 0
.LBB257_370:
	s_delay_alu instid0(SALU_CYCLE_1)
	s_and_not1_b32 vcc_lo, exec_lo, s16
	s_cbranch_vccnz .LBB257_372
; %bb.371:
	s_mov_b32 s14, s3
.LBB257_372:
	v_and_b32_e32 v6, 0xff, v5
	s_mov_b32 s15, 0
	s_mov_b32 s16, exec_lo
	s_delay_alu instid0(VALU_DEP_1)
	v_cmpx_lt_i16_e32 0x7f, v6
	s_xor_b32 s16, exec_lo, s16
	s_cbranch_execnz .LBB257_382
; %bb.373:
	s_or_saveexec_b32 s16, s16
	v_mov_b32_e32 v4, 0x7f800001
	s_xor_b32 exec_lo, exec_lo, s16
	s_cbranch_execnz .LBB257_385
.LBB257_374:
	s_or_b32 exec_lo, exec_lo, s16
	s_and_saveexec_b32 s16, s15
	s_cbranch_execz .LBB257_376
.LBB257_375:
	v_and_b32_e32 v4, 3, v5
	v_bfe_u32 v8, v5, 2, 5
	s_delay_alu instid0(VALU_DEP_2) | instskip(NEXT) | instid1(VALU_DEP_2)
	v_clz_i32_u32_e32 v6, v4
	v_cmp_eq_u32_e32 vcc_lo, 0, v8
	s_delay_alu instid0(VALU_DEP_2) | instskip(NEXT) | instid1(VALU_DEP_1)
	v_min_u32_e32 v6, 32, v6
	v_subrev_nc_u32_e32 v7, 29, v6
	s_delay_alu instid0(VALU_DEP_1) | instskip(NEXT) | instid1(VALU_DEP_1)
	v_dual_lshlrev_b32 v7, v7, v5 :: v_dual_sub_nc_u32 v6, 30, v6
	v_dual_lshlrev_b32 v9, 24, v5 :: v_dual_bitop2_b32 v7, 3, v7 bitop3:0x40
	s_delay_alu instid0(VALU_DEP_2) | instskip(NEXT) | instid1(VALU_DEP_2)
	v_cndmask_b32_e32 v6, v8, v6, vcc_lo
	v_cndmask_b32_e32 v4, v4, v7, vcc_lo
	s_delay_alu instid0(VALU_DEP_3) | instskip(NEXT) | instid1(VALU_DEP_3)
	v_and_b32_e32 v7, 0x80000000, v9
	v_lshl_add_u32 v6, v6, 23, 0x37800000
	s_delay_alu instid0(VALU_DEP_3) | instskip(NEXT) | instid1(VALU_DEP_1)
	v_lshlrev_b32_e32 v4, 21, v4
	v_or3_b32 v4, v7, v6, v4
.LBB257_376:
	s_or_b32 exec_lo, exec_lo, s16
	s_delay_alu instid0(VALU_DEP_1)
	v_cmp_eq_f32_e64 s14, s14, v4
	v_cmp_ne_u32_e32 vcc_lo, 1, v1
	v_lshrrev_b32_e32 v4, 8, v5
	s_cbranch_vccz .LBB257_95
.LBB257_377:
                                        ; implicit-def: $sgpr15
	s_cbranch_execz .LBB257_112
; %bb.378:
	s_and_b32 s16, s10, 0xff
	s_delay_alu instid0(SALU_CYCLE_1)
	s_cmp_lt_i32 s16, 0x80
	s_cbranch_scc1 .LBB257_386
; %bb.379:
	s_and_b32 s15, 0xffff, s16
	s_mov_b32 s17, -1
	s_cmp_eq_u32 s15, 0x80
	s_cbranch_scc0 .LBB257_381
; %bb.380:
	s_mov_b32 s17, 0
.LBB257_381:
	s_mov_b32 s15, 0x7f800001
	s_branch .LBB257_388
.LBB257_382:
	s_mov_b32 s15, -1
	s_mov_b32 s17, exec_lo
	v_cmpx_eq_u16_e32 0x80, v6
; %bb.383:
	s_xor_b32 s15, exec_lo, -1
; %bb.384:
	s_or_b32 exec_lo, exec_lo, s17
	s_delay_alu instid0(SALU_CYCLE_1)
	s_and_b32 s15, s15, exec_lo
                                        ; implicit-def: $vgpr6
	s_or_saveexec_b32 s16, s16
	v_mov_b32_e32 v4, 0x7f800001
	s_xor_b32 exec_lo, exec_lo, s16
	s_cbranch_execz .LBB257_374
.LBB257_385:
	v_cmp_ne_u16_e32 vcc_lo, 0, v6
	v_mov_b32_e32 v4, 0
	s_and_not1_b32 s15, s15, exec_lo
	s_and_b32 s17, vcc_lo, exec_lo
	s_delay_alu instid0(SALU_CYCLE_1)
	s_or_b32 s15, s15, s17
	s_or_b32 exec_lo, exec_lo, s16
	s_and_saveexec_b32 s16, s15
	s_cbranch_execnz .LBB257_375
	s_branch .LBB257_376
.LBB257_386:
	s_mov_b32 s17, 0
	s_mov_b32 s15, 0x7f800001
	s_cbranch_execz .LBB257_388
; %bb.387:
	s_and_b32 s15, 0xffff, s16
	s_delay_alu instid0(SALU_CYCLE_1)
	s_cmp_lg_u32 s15, 0
	s_mov_b32 s15, 0
	s_cselect_b32 s17, -1, 0
.LBB257_388:
	s_delay_alu instid0(SALU_CYCLE_1)
	s_and_not1_b32 vcc_lo, exec_lo, s17
	s_cbranch_vccnz .LBB257_390
; %bb.389:
	s_mov_b32 s15, s3
.LBB257_390:
	v_and_b32_e32 v7, 0xff, v4
	s_mov_b32 s16, 0
	s_mov_b32 s17, exec_lo
	s_delay_alu instid0(VALU_DEP_1)
	v_cmpx_lt_i16_e32 0x7f, v7
	s_xor_b32 s17, exec_lo, s17
	s_cbranch_execnz .LBB257_400
; %bb.391:
	s_or_saveexec_b32 s17, s17
	v_mov_b32_e32 v6, 0x7f800001
	s_xor_b32 exec_lo, exec_lo, s17
	s_cbranch_execnz .LBB257_403
.LBB257_392:
	s_or_b32 exec_lo, exec_lo, s17
	s_and_saveexec_b32 s17, s16
	s_cbranch_execz .LBB257_394
.LBB257_393:
	v_bfe_u32 v6, v5, 8, 2
	v_bfe_u32 v9, v5, 10, 5
	s_delay_alu instid0(VALU_DEP_2) | instskip(NEXT) | instid1(VALU_DEP_2)
	v_clz_i32_u32_e32 v7, v6
	v_cmp_eq_u32_e32 vcc_lo, 0, v9
	s_delay_alu instid0(VALU_DEP_2) | instskip(NEXT) | instid1(VALU_DEP_1)
	v_min_u32_e32 v7, 32, v7
	v_subrev_nc_u32_e32 v8, 29, v7
	s_delay_alu instid0(VALU_DEP_1) | instskip(NEXT) | instid1(VALU_DEP_1)
	v_dual_sub_nc_u32 v7, 30, v7 :: v_dual_lshlrev_b32 v8, v8, v4
	v_dual_cndmask_b32 v7, v9, v7, vcc_lo :: v_dual_bitop2_b32 v8, 3, v8 bitop3:0x40
	s_delay_alu instid0(VALU_DEP_1) | instskip(NEXT) | instid1(VALU_DEP_2)
	v_lshl_add_u32 v7, v7, 23, 0x37800000
	v_cndmask_b32_e32 v6, v6, v8, vcc_lo
	s_delay_alu instid0(VALU_DEP_1) | instskip(NEXT) | instid1(VALU_DEP_1)
	v_dual_lshlrev_b32 v4, 24, v4 :: v_dual_lshlrev_b32 v6, 21, v6
	v_and_b32_e32 v4, 0x80000000, v4
	s_delay_alu instid0(VALU_DEP_1)
	v_or3_b32 v6, v4, v7, v6
.LBB257_394:
	s_or_b32 exec_lo, exec_lo, s17
	s_delay_alu instid0(VALU_DEP_1)
	v_cmp_eq_f32_e64 s15, s15, v6
	v_cmp_ne_u32_e32 vcc_lo, 1, v1
	v_lshrrev_b32_e32 v4, 16, v5
	s_cbranch_vccz .LBB257_113
.LBB257_395:
                                        ; implicit-def: $sgpr16
	s_cbranch_execz .LBB257_130
; %bb.396:
	s_and_b32 s17, s10, 0xff
	s_delay_alu instid0(SALU_CYCLE_1)
	s_cmp_lt_i32 s17, 0x80
	s_cbranch_scc1 .LBB257_404
; %bb.397:
	s_and_b32 s16, 0xffff, s17
	s_mov_b32 s18, -1
	s_cmp_eq_u32 s16, 0x80
	s_cbranch_scc0 .LBB257_399
; %bb.398:
	s_mov_b32 s18, 0
.LBB257_399:
	s_mov_b32 s16, 0x7f800001
	s_branch .LBB257_406
.LBB257_400:
	s_mov_b32 s16, -1
	s_mov_b32 s18, exec_lo
	v_cmpx_eq_u16_e32 0x80, v7
; %bb.401:
	s_xor_b32 s16, exec_lo, -1
; %bb.402:
	s_or_b32 exec_lo, exec_lo, s18
	s_delay_alu instid0(SALU_CYCLE_1)
	s_and_b32 s16, s16, exec_lo
                                        ; implicit-def: $vgpr7
	s_or_saveexec_b32 s17, s17
	v_mov_b32_e32 v6, 0x7f800001
	s_xor_b32 exec_lo, exec_lo, s17
	s_cbranch_execz .LBB257_392
.LBB257_403:
	v_cmp_ne_u16_e32 vcc_lo, 0, v7
	v_mov_b32_e32 v6, 0
	s_and_not1_b32 s16, s16, exec_lo
	s_and_b32 s18, vcc_lo, exec_lo
	s_delay_alu instid0(SALU_CYCLE_1)
	s_or_b32 s16, s16, s18
	s_or_b32 exec_lo, exec_lo, s17
	s_and_saveexec_b32 s17, s16
	s_cbranch_execnz .LBB257_393
	s_branch .LBB257_394
.LBB257_404:
	s_mov_b32 s18, 0
	s_mov_b32 s16, 0x7f800001
	s_cbranch_execz .LBB257_406
; %bb.405:
	s_and_b32 s16, 0xffff, s17
	s_delay_alu instid0(SALU_CYCLE_1)
	s_cmp_lg_u32 s16, 0
	s_mov_b32 s16, 0
	s_cselect_b32 s18, -1, 0
.LBB257_406:
	s_delay_alu instid0(SALU_CYCLE_1)
	s_and_not1_b32 vcc_lo, exec_lo, s18
	s_cbranch_vccnz .LBB257_408
; %bb.407:
	s_mov_b32 s16, s3
.LBB257_408:
	v_and_b32_e32 v7, 0xff, v4
	s_mov_b32 s17, 0
	s_mov_b32 s18, exec_lo
	s_delay_alu instid0(VALU_DEP_1)
	v_cmpx_lt_i16_e32 0x7f, v7
	s_xor_b32 s18, exec_lo, s18
	s_cbranch_execnz .LBB257_418
; %bb.409:
	s_or_saveexec_b32 s18, s18
	v_mov_b32_e32 v6, 0x7f800001
	s_xor_b32 exec_lo, exec_lo, s18
	s_cbranch_execnz .LBB257_421
.LBB257_410:
	s_or_b32 exec_lo, exec_lo, s18
	s_and_saveexec_b32 s18, s17
	s_cbranch_execz .LBB257_412
.LBB257_411:
	v_bfe_u32 v6, v5, 16, 2
	v_bfe_u32 v9, v5, 18, 5
	s_delay_alu instid0(VALU_DEP_2) | instskip(NEXT) | instid1(VALU_DEP_2)
	v_clz_i32_u32_e32 v7, v6
	v_cmp_eq_u32_e32 vcc_lo, 0, v9
	s_delay_alu instid0(VALU_DEP_2) | instskip(NEXT) | instid1(VALU_DEP_1)
	v_min_u32_e32 v7, 32, v7
	v_subrev_nc_u32_e32 v8, 29, v7
	s_delay_alu instid0(VALU_DEP_1) | instskip(NEXT) | instid1(VALU_DEP_1)
	v_dual_sub_nc_u32 v7, 30, v7 :: v_dual_lshlrev_b32 v8, v8, v4
	v_dual_cndmask_b32 v7, v9, v7, vcc_lo :: v_dual_bitop2_b32 v8, 3, v8 bitop3:0x40
	s_delay_alu instid0(VALU_DEP_1) | instskip(NEXT) | instid1(VALU_DEP_2)
	v_lshl_add_u32 v7, v7, 23, 0x37800000
	v_cndmask_b32_e32 v6, v6, v8, vcc_lo
	s_delay_alu instid0(VALU_DEP_1) | instskip(NEXT) | instid1(VALU_DEP_1)
	v_dual_lshlrev_b32 v4, 24, v4 :: v_dual_lshlrev_b32 v6, 21, v6
	v_and_b32_e32 v4, 0x80000000, v4
	s_delay_alu instid0(VALU_DEP_1)
	v_or3_b32 v6, v4, v7, v6
.LBB257_412:
	s_or_b32 exec_lo, exec_lo, s18
	s_delay_alu instid0(VALU_DEP_1)
	v_cmp_eq_f32_e64 s16, s16, v6
	v_cmp_ne_u32_e32 vcc_lo, 1, v1
	v_lshrrev_b32_e32 v4, 24, v5
	s_cbranch_vccz .LBB257_131
.LBB257_413:
                                        ; implicit-def: $sgpr17
	s_cbranch_execz .LBB257_148
; %bb.414:
	s_and_b32 s18, s10, 0xff
	s_delay_alu instid0(SALU_CYCLE_1)
	s_cmp_lt_i32 s18, 0x80
	s_cbranch_scc1 .LBB257_422
; %bb.415:
	s_and_b32 s17, 0xffff, s18
	s_mov_b32 s19, -1
	s_cmp_eq_u32 s17, 0x80
	s_cbranch_scc0 .LBB257_417
; %bb.416:
	s_mov_b32 s19, 0
.LBB257_417:
	s_mov_b32 s17, 0x7f800001
	s_branch .LBB257_424
.LBB257_418:
	s_mov_b32 s17, -1
	s_mov_b32 s19, exec_lo
	v_cmpx_eq_u16_e32 0x80, v7
; %bb.419:
	s_xor_b32 s17, exec_lo, -1
; %bb.420:
	s_or_b32 exec_lo, exec_lo, s19
	s_delay_alu instid0(SALU_CYCLE_1)
	s_and_b32 s17, s17, exec_lo
                                        ; implicit-def: $vgpr7
	s_or_saveexec_b32 s18, s18
	v_mov_b32_e32 v6, 0x7f800001
	s_xor_b32 exec_lo, exec_lo, s18
	s_cbranch_execz .LBB257_410
.LBB257_421:
	v_cmp_ne_u16_e32 vcc_lo, 0, v7
	v_mov_b32_e32 v6, 0
	s_and_not1_b32 s17, s17, exec_lo
	s_and_b32 s19, vcc_lo, exec_lo
	s_delay_alu instid0(SALU_CYCLE_1)
	s_or_b32 s17, s17, s19
	s_or_b32 exec_lo, exec_lo, s18
	s_and_saveexec_b32 s18, s17
	s_cbranch_execnz .LBB257_411
	s_branch .LBB257_412
.LBB257_422:
	s_mov_b32 s19, 0
	s_mov_b32 s17, 0x7f800001
	s_cbranch_execz .LBB257_424
; %bb.423:
	s_and_b32 s17, 0xffff, s18
	s_delay_alu instid0(SALU_CYCLE_1)
	s_cmp_lg_u32 s17, 0
	s_mov_b32 s17, 0
	s_cselect_b32 s19, -1, 0
.LBB257_424:
	s_delay_alu instid0(SALU_CYCLE_1)
	s_and_not1_b32 vcc_lo, exec_lo, s19
	s_cbranch_vccnz .LBB257_426
; %bb.425:
	s_mov_b32 s17, s3
.LBB257_426:
	s_mov_b32 s18, 0
	s_mov_b32 s19, exec_lo
	v_cmpx_lt_i16_e32 0x7f, v4
	s_xor_b32 s19, exec_lo, s19
	s_cbranch_execnz .LBB257_436
; %bb.427:
	s_or_saveexec_b32 s19, s19
	v_mov_b32_e32 v6, 0x7f800001
	s_xor_b32 exec_lo, exec_lo, s19
	s_cbranch_execnz .LBB257_439
.LBB257_428:
	s_or_b32 exec_lo, exec_lo, s19
	s_and_saveexec_b32 s19, s18
	s_cbranch_execz .LBB257_430
.LBB257_429:
	v_bfe_u32 v6, v5, 24, 2
	s_delay_alu instid0(VALU_DEP_1) | instskip(NEXT) | instid1(VALU_DEP_1)
	v_clz_i32_u32_e32 v7, v6
	v_min_u32_e32 v7, 32, v7
	s_delay_alu instid0(VALU_DEP_1) | instskip(NEXT) | instid1(VALU_DEP_1)
	v_subrev_nc_u32_e32 v8, 29, v7
	v_dual_sub_nc_u32 v7, 30, v7 :: v_dual_lshlrev_b32 v4, v8, v4
	v_bfe_u32 v8, v5, 26, 5
	v_and_b32_e32 v5, 0x80000000, v5
	s_delay_alu instid0(VALU_DEP_2) | instskip(NEXT) | instid1(VALU_DEP_4)
	v_cmp_eq_u32_e32 vcc_lo, 0, v8
	v_dual_cndmask_b32 v7, v8, v7, vcc_lo :: v_dual_bitop2_b32 v4, 3, v4 bitop3:0x40
	s_delay_alu instid0(VALU_DEP_1) | instskip(NEXT) | instid1(VALU_DEP_2)
	v_cndmask_b32_e32 v4, v6, v4, vcc_lo
	v_lshl_add_u32 v6, v7, 23, 0x37800000
	s_delay_alu instid0(VALU_DEP_2) | instskip(NEXT) | instid1(VALU_DEP_1)
	v_lshlrev_b32_e32 v4, 21, v4
	v_or3_b32 v6, v5, v6, v4
.LBB257_430:
	s_or_b32 exec_lo, exec_lo, s19
	s_delay_alu instid0(VALU_DEP_1)
	v_cmp_eq_f32_e64 s17, s17, v6
	v_cmp_ne_u32_e32 vcc_lo, 1, v1
	s_cbranch_vccz .LBB257_149
.LBB257_431:
                                        ; implicit-def: $sgpr18
	s_cbranch_execz .LBB257_166
; %bb.432:
	s_and_b32 s19, s10, 0xff
	s_delay_alu instid0(SALU_CYCLE_1)
	s_cmp_lt_i32 s19, 0x80
	s_cbranch_scc1 .LBB257_440
; %bb.433:
	s_and_b32 s18, 0xffff, s19
	s_mov_b32 s20, -1
	s_cmp_eq_u32 s18, 0x80
	s_cbranch_scc0 .LBB257_435
; %bb.434:
	s_mov_b32 s20, 0
.LBB257_435:
	s_mov_b32 s18, 0x7f800001
	s_branch .LBB257_442
.LBB257_436:
	s_mov_b32 s18, -1
	s_mov_b32 s20, exec_lo
	v_cmpx_eq_u16_e32 0x80, v4
; %bb.437:
	s_xor_b32 s18, exec_lo, -1
; %bb.438:
	s_or_b32 exec_lo, exec_lo, s20
	s_delay_alu instid0(SALU_CYCLE_1)
	s_and_b32 s18, s18, exec_lo
	s_or_saveexec_b32 s19, s19
	v_mov_b32_e32 v6, 0x7f800001
	s_xor_b32 exec_lo, exec_lo, s19
	s_cbranch_execz .LBB257_428
.LBB257_439:
	v_cmp_ne_u16_e32 vcc_lo, 0, v4
	v_mov_b32_e32 v6, 0
	s_and_not1_b32 s18, s18, exec_lo
	s_and_b32 s20, vcc_lo, exec_lo
	s_delay_alu instid0(SALU_CYCLE_1)
	s_or_b32 s18, s18, s20
	s_or_b32 exec_lo, exec_lo, s19
	s_and_saveexec_b32 s19, s18
	s_cbranch_execnz .LBB257_429
	s_branch .LBB257_430
.LBB257_440:
	s_mov_b32 s20, 0
	s_mov_b32 s18, 0x7f800001
	s_cbranch_execz .LBB257_442
; %bb.441:
	s_and_b32 s18, 0xffff, s19
	s_delay_alu instid0(SALU_CYCLE_1)
	s_cmp_lg_u32 s18, 0
	s_mov_b32 s18, 0
	s_cselect_b32 s20, -1, 0
.LBB257_442:
	s_delay_alu instid0(SALU_CYCLE_1)
	s_and_not1_b32 vcc_lo, exec_lo, s20
	s_cbranch_vccnz .LBB257_444
; %bb.443:
	s_mov_b32 s18, s3
.LBB257_444:
	s_wait_loadcnt 0x0
	v_and_b32_e32 v5, 0xff, v2
	s_mov_b32 s19, 0
	s_mov_b32 s20, exec_lo
	s_delay_alu instid0(VALU_DEP_1)
	v_cmpx_lt_i16_e32 0x7f, v5
	s_xor_b32 s20, exec_lo, s20
	s_cbranch_execnz .LBB257_454
; %bb.445:
	s_or_saveexec_b32 s20, s20
	v_mov_b32_e32 v4, 0x7f800001
	s_xor_b32 exec_lo, exec_lo, s20
	s_cbranch_execnz .LBB257_457
.LBB257_446:
	s_or_b32 exec_lo, exec_lo, s20
	s_and_saveexec_b32 s20, s19
	s_cbranch_execz .LBB257_448
.LBB257_447:
	v_and_b32_e32 v4, 3, v2
	v_bfe_u32 v7, v2, 2, 5
	s_delay_alu instid0(VALU_DEP_2) | instskip(NEXT) | instid1(VALU_DEP_2)
	v_clz_i32_u32_e32 v5, v4
	v_cmp_eq_u32_e32 vcc_lo, 0, v7
	s_delay_alu instid0(VALU_DEP_2) | instskip(NEXT) | instid1(VALU_DEP_1)
	v_min_u32_e32 v5, 32, v5
	v_subrev_nc_u32_e32 v6, 29, v5
	s_delay_alu instid0(VALU_DEP_1) | instskip(NEXT) | instid1(VALU_DEP_1)
	v_dual_lshlrev_b32 v6, v6, v2 :: v_dual_sub_nc_u32 v5, 30, v5
	v_and_b32_e32 v6, 3, v6
	s_delay_alu instid0(VALU_DEP_2) | instskip(NEXT) | instid1(VALU_DEP_2)
	v_dual_cndmask_b32 v5, v7, v5 :: v_dual_lshlrev_b32 v8, 24, v2
	v_cndmask_b32_e32 v4, v4, v6, vcc_lo
	s_delay_alu instid0(VALU_DEP_2) | instskip(NEXT) | instid1(VALU_DEP_3)
	v_and_b32_e32 v6, 0x80000000, v8
	v_lshl_add_u32 v5, v5, 23, 0x37800000
	s_delay_alu instid0(VALU_DEP_3) | instskip(NEXT) | instid1(VALU_DEP_1)
	v_lshlrev_b32_e32 v4, 21, v4
	v_or3_b32 v4, v6, v5, v4
.LBB257_448:
	s_or_b32 exec_lo, exec_lo, s20
	s_delay_alu instid0(VALU_DEP_1)
	v_cmp_eq_f32_e64 s18, s18, v4
	v_cmp_ne_u32_e32 vcc_lo, 1, v1
	v_lshrrev_b32_e32 v4, 8, v2
	s_cbranch_vccz .LBB257_167
.LBB257_449:
                                        ; implicit-def: $sgpr19
	s_cbranch_execz .LBB257_184
; %bb.450:
	s_and_b32 s20, s10, 0xff
	s_delay_alu instid0(SALU_CYCLE_1)
	s_cmp_lt_i32 s20, 0x80
	s_cbranch_scc1 .LBB257_458
; %bb.451:
	s_and_b32 s19, 0xffff, s20
	s_mov_b32 s21, -1
	s_cmp_eq_u32 s19, 0x80
	s_cbranch_scc0 .LBB257_453
; %bb.452:
	s_mov_b32 s21, 0
.LBB257_453:
	s_mov_b32 s19, 0x7f800001
	s_branch .LBB257_460
.LBB257_454:
	s_mov_b32 s19, -1
	s_mov_b32 s21, exec_lo
	v_cmpx_eq_u16_e32 0x80, v5
; %bb.455:
	s_xor_b32 s19, exec_lo, -1
; %bb.456:
	s_or_b32 exec_lo, exec_lo, s21
	s_delay_alu instid0(SALU_CYCLE_1)
	s_and_b32 s19, s19, exec_lo
                                        ; implicit-def: $vgpr5
	s_or_saveexec_b32 s20, s20
	v_mov_b32_e32 v4, 0x7f800001
	s_xor_b32 exec_lo, exec_lo, s20
	s_cbranch_execz .LBB257_446
.LBB257_457:
	v_cmp_ne_u16_e32 vcc_lo, 0, v5
	v_mov_b32_e32 v4, 0
	s_and_not1_b32 s19, s19, exec_lo
	s_and_b32 s21, vcc_lo, exec_lo
	s_delay_alu instid0(SALU_CYCLE_1)
	s_or_b32 s19, s19, s21
	s_or_b32 exec_lo, exec_lo, s20
	s_and_saveexec_b32 s20, s19
	s_cbranch_execnz .LBB257_447
	s_branch .LBB257_448
.LBB257_458:
	s_mov_b32 s21, 0
	s_mov_b32 s19, 0x7f800001
	s_cbranch_execz .LBB257_460
; %bb.459:
	s_and_b32 s19, 0xffff, s20
	s_delay_alu instid0(SALU_CYCLE_1)
	s_cmp_lg_u32 s19, 0
	s_mov_b32 s19, 0
	s_cselect_b32 s21, -1, 0
.LBB257_460:
	s_delay_alu instid0(SALU_CYCLE_1)
	s_and_not1_b32 vcc_lo, exec_lo, s21
	s_cbranch_vccnz .LBB257_462
; %bb.461:
	s_mov_b32 s19, s3
.LBB257_462:
	v_and_b32_e32 v6, 0xff, v4
	s_mov_b32 s20, 0
	s_mov_b32 s21, exec_lo
	s_delay_alu instid0(VALU_DEP_1)
	v_cmpx_lt_i16_e32 0x7f, v6
	s_xor_b32 s21, exec_lo, s21
	s_cbranch_execnz .LBB257_472
; %bb.463:
	s_or_saveexec_b32 s21, s21
	v_mov_b32_e32 v5, 0x7f800001
	s_xor_b32 exec_lo, exec_lo, s21
	s_cbranch_execnz .LBB257_475
.LBB257_464:
	s_or_b32 exec_lo, exec_lo, s21
	s_and_saveexec_b32 s21, s20
	s_cbranch_execz .LBB257_466
.LBB257_465:
	v_bfe_u32 v5, v2, 8, 2
	v_bfe_u32 v8, v2, 10, 5
	s_delay_alu instid0(VALU_DEP_2) | instskip(NEXT) | instid1(VALU_DEP_2)
	v_clz_i32_u32_e32 v6, v5
	v_cmp_eq_u32_e32 vcc_lo, 0, v8
	s_delay_alu instid0(VALU_DEP_2) | instskip(NEXT) | instid1(VALU_DEP_1)
	v_min_u32_e32 v6, 32, v6
	v_subrev_nc_u32_e32 v7, 29, v6
	s_delay_alu instid0(VALU_DEP_1) | instskip(NEXT) | instid1(VALU_DEP_1)
	v_dual_sub_nc_u32 v6, 30, v6 :: v_dual_lshlrev_b32 v7, v7, v4
	v_dual_lshlrev_b32 v4, 24, v4 :: v_dual_bitop2_b32 v7, 3, v7 bitop3:0x40
	s_delay_alu instid0(VALU_DEP_2) | instskip(NEXT) | instid1(VALU_DEP_2)
	v_cndmask_b32_e32 v6, v8, v6, vcc_lo
	v_and_b32_e32 v4, 0x80000000, v4
	s_delay_alu instid0(VALU_DEP_3) | instskip(NEXT) | instid1(VALU_DEP_3)
	v_cndmask_b32_e32 v5, v5, v7, vcc_lo
	v_lshl_add_u32 v6, v6, 23, 0x37800000
	s_delay_alu instid0(VALU_DEP_2) | instskip(NEXT) | instid1(VALU_DEP_1)
	v_lshlrev_b32_e32 v5, 21, v5
	v_or3_b32 v5, v4, v6, v5
.LBB257_466:
	s_or_b32 exec_lo, exec_lo, s21
	s_delay_alu instid0(VALU_DEP_1)
	v_cmp_eq_f32_e64 s19, s19, v5
	v_cmp_ne_u32_e32 vcc_lo, 1, v1
	v_lshrrev_b32_e32 v4, 16, v2
	s_cbranch_vccz .LBB257_185
.LBB257_467:
                                        ; implicit-def: $sgpr20
	s_cbranch_execz .LBB257_202
; %bb.468:
	s_and_b32 s21, s10, 0xff
	s_delay_alu instid0(SALU_CYCLE_1)
	s_cmp_lt_i32 s21, 0x80
	s_cbranch_scc1 .LBB257_476
; %bb.469:
	s_and_b32 s20, 0xffff, s21
	s_mov_b32 s22, -1
	s_cmp_eq_u32 s20, 0x80
	s_cbranch_scc0 .LBB257_471
; %bb.470:
	s_mov_b32 s22, 0
.LBB257_471:
	s_mov_b32 s20, 0x7f800001
	s_branch .LBB257_478
.LBB257_472:
	s_mov_b32 s20, -1
	s_mov_b32 s22, exec_lo
	v_cmpx_eq_u16_e32 0x80, v6
; %bb.473:
	s_xor_b32 s20, exec_lo, -1
; %bb.474:
	s_or_b32 exec_lo, exec_lo, s22
	s_delay_alu instid0(SALU_CYCLE_1)
	s_and_b32 s20, s20, exec_lo
                                        ; implicit-def: $vgpr6
	s_or_saveexec_b32 s21, s21
	v_mov_b32_e32 v5, 0x7f800001
	s_xor_b32 exec_lo, exec_lo, s21
	s_cbranch_execz .LBB257_464
.LBB257_475:
	v_cmp_ne_u16_e32 vcc_lo, 0, v6
	v_mov_b32_e32 v5, 0
	s_and_not1_b32 s20, s20, exec_lo
	s_and_b32 s22, vcc_lo, exec_lo
	s_delay_alu instid0(SALU_CYCLE_1)
	s_or_b32 s20, s20, s22
	s_or_b32 exec_lo, exec_lo, s21
	s_and_saveexec_b32 s21, s20
	s_cbranch_execnz .LBB257_465
	s_branch .LBB257_466
.LBB257_476:
	s_mov_b32 s22, 0
	s_mov_b32 s20, 0x7f800001
	s_cbranch_execz .LBB257_478
; %bb.477:
	s_and_b32 s20, 0xffff, s21
	s_delay_alu instid0(SALU_CYCLE_1)
	s_cmp_lg_u32 s20, 0
	s_mov_b32 s20, 0
	s_cselect_b32 s22, -1, 0
.LBB257_478:
	s_delay_alu instid0(SALU_CYCLE_1)
	s_and_not1_b32 vcc_lo, exec_lo, s22
	s_cbranch_vccnz .LBB257_480
; %bb.479:
	s_mov_b32 s20, s3
.LBB257_480:
	v_and_b32_e32 v6, 0xff, v4
	s_mov_b32 s21, 0
	s_mov_b32 s22, exec_lo
	s_delay_alu instid0(VALU_DEP_1)
	v_cmpx_lt_i16_e32 0x7f, v6
	s_xor_b32 s22, exec_lo, s22
	s_cbranch_execnz .LBB257_490
; %bb.481:
	s_or_saveexec_b32 s22, s22
	v_mov_b32_e32 v5, 0x7f800001
	s_xor_b32 exec_lo, exec_lo, s22
	s_cbranch_execnz .LBB257_493
.LBB257_482:
	s_or_b32 exec_lo, exec_lo, s22
	s_and_saveexec_b32 s22, s21
	s_cbranch_execz .LBB257_484
.LBB257_483:
	v_bfe_u32 v5, v2, 16, 2
	v_bfe_u32 v8, v2, 18, 5
	s_delay_alu instid0(VALU_DEP_2) | instskip(NEXT) | instid1(VALU_DEP_2)
	v_clz_i32_u32_e32 v6, v5
	v_cmp_eq_u32_e32 vcc_lo, 0, v8
	s_delay_alu instid0(VALU_DEP_2) | instskip(NEXT) | instid1(VALU_DEP_1)
	v_min_u32_e32 v6, 32, v6
	v_subrev_nc_u32_e32 v7, 29, v6
	s_delay_alu instid0(VALU_DEP_1) | instskip(NEXT) | instid1(VALU_DEP_1)
	v_dual_sub_nc_u32 v6, 30, v6 :: v_dual_lshlrev_b32 v7, v7, v4
	v_dual_lshlrev_b32 v4, 24, v4 :: v_dual_bitop2_b32 v7, 3, v7 bitop3:0x40
	s_delay_alu instid0(VALU_DEP_2) | instskip(NEXT) | instid1(VALU_DEP_2)
	v_cndmask_b32_e32 v6, v8, v6, vcc_lo
	v_and_b32_e32 v4, 0x80000000, v4
	s_delay_alu instid0(VALU_DEP_3) | instskip(NEXT) | instid1(VALU_DEP_3)
	v_cndmask_b32_e32 v5, v5, v7, vcc_lo
	v_lshl_add_u32 v6, v6, 23, 0x37800000
	s_delay_alu instid0(VALU_DEP_2) | instskip(NEXT) | instid1(VALU_DEP_1)
	v_lshlrev_b32_e32 v5, 21, v5
	v_or3_b32 v5, v4, v6, v5
.LBB257_484:
	s_or_b32 exec_lo, exec_lo, s22
	s_delay_alu instid0(VALU_DEP_1)
	v_cmp_eq_f32_e64 s20, s20, v5
	v_cmp_ne_u32_e32 vcc_lo, 1, v1
	v_lshrrev_b32_e32 v4, 24, v2
	s_cbranch_vccz .LBB257_203
.LBB257_485:
                                        ; implicit-def: $sgpr21
	s_cbranch_execz .LBB257_220
; %bb.486:
	s_and_b32 s22, s10, 0xff
	s_delay_alu instid0(SALU_CYCLE_1)
	s_cmp_lt_i32 s22, 0x80
	s_cbranch_scc1 .LBB257_494
; %bb.487:
	s_and_b32 s21, 0xffff, s22
	s_mov_b32 s23, -1
	s_cmp_eq_u32 s21, 0x80
	s_cbranch_scc0 .LBB257_489
; %bb.488:
	s_mov_b32 s23, 0
.LBB257_489:
	s_mov_b32 s21, 0x7f800001
	s_branch .LBB257_496
.LBB257_490:
	s_mov_b32 s21, -1
	s_mov_b32 s23, exec_lo
	v_cmpx_eq_u16_e32 0x80, v6
; %bb.491:
	s_xor_b32 s21, exec_lo, -1
; %bb.492:
	s_or_b32 exec_lo, exec_lo, s23
	s_delay_alu instid0(SALU_CYCLE_1)
	s_and_b32 s21, s21, exec_lo
                                        ; implicit-def: $vgpr6
	s_or_saveexec_b32 s22, s22
	v_mov_b32_e32 v5, 0x7f800001
	s_xor_b32 exec_lo, exec_lo, s22
	s_cbranch_execz .LBB257_482
.LBB257_493:
	v_cmp_ne_u16_e32 vcc_lo, 0, v6
	v_mov_b32_e32 v5, 0
	s_and_not1_b32 s21, s21, exec_lo
	s_and_b32 s23, vcc_lo, exec_lo
	s_delay_alu instid0(SALU_CYCLE_1)
	s_or_b32 s21, s21, s23
	s_or_b32 exec_lo, exec_lo, s22
	s_and_saveexec_b32 s22, s21
	s_cbranch_execnz .LBB257_483
	s_branch .LBB257_484
.LBB257_494:
	s_mov_b32 s23, 0
	s_mov_b32 s21, 0x7f800001
	s_cbranch_execz .LBB257_496
; %bb.495:
	s_and_b32 s21, 0xffff, s22
	s_delay_alu instid0(SALU_CYCLE_1)
	s_cmp_lg_u32 s21, 0
	s_mov_b32 s21, 0
	s_cselect_b32 s23, -1, 0
.LBB257_496:
	s_delay_alu instid0(SALU_CYCLE_1)
	s_and_not1_b32 vcc_lo, exec_lo, s23
	s_cbranch_vccnz .LBB257_498
; %bb.497:
	s_mov_b32 s21, s3
.LBB257_498:
	s_mov_b32 s22, 0
	s_mov_b32 s23, exec_lo
	v_cmpx_lt_i16_e32 0x7f, v4
	s_xor_b32 s23, exec_lo, s23
	s_cbranch_execnz .LBB257_508
; %bb.499:
	s_or_saveexec_b32 s23, s23
	v_mov_b32_e32 v5, 0x7f800001
	s_xor_b32 exec_lo, exec_lo, s23
	s_cbranch_execnz .LBB257_511
.LBB257_500:
	s_or_b32 exec_lo, exec_lo, s23
	s_and_saveexec_b32 s23, s22
	s_cbranch_execz .LBB257_502
.LBB257_501:
	v_bfe_u32 v5, v2, 24, 2
	s_delay_alu instid0(VALU_DEP_1) | instskip(NEXT) | instid1(VALU_DEP_1)
	v_clz_i32_u32_e32 v6, v5
	v_min_u32_e32 v6, 32, v6
	s_delay_alu instid0(VALU_DEP_1) | instskip(NEXT) | instid1(VALU_DEP_1)
	v_subrev_nc_u32_e32 v7, 29, v6
	v_dual_sub_nc_u32 v6, 30, v6 :: v_dual_lshlrev_b32 v4, v7, v4
	v_bfe_u32 v7, v2, 26, 5
	v_and_b32_e32 v2, 0x80000000, v2
	s_delay_alu instid0(VALU_DEP_2) | instskip(NEXT) | instid1(VALU_DEP_4)
	v_cmp_eq_u32_e32 vcc_lo, 0, v7
	v_dual_cndmask_b32 v6, v7, v6, vcc_lo :: v_dual_bitop2_b32 v4, 3, v4 bitop3:0x40
	s_delay_alu instid0(VALU_DEP_1) | instskip(NEXT) | instid1(VALU_DEP_2)
	v_cndmask_b32_e32 v4, v5, v4, vcc_lo
	v_lshl_add_u32 v5, v6, 23, 0x37800000
	s_delay_alu instid0(VALU_DEP_2) | instskip(NEXT) | instid1(VALU_DEP_1)
	v_lshlrev_b32_e32 v4, 21, v4
	v_or3_b32 v5, v2, v5, v4
.LBB257_502:
	s_or_b32 exec_lo, exec_lo, s23
	s_delay_alu instid0(VALU_DEP_1)
	v_cmp_eq_f32_e64 s21, s21, v5
	v_cmp_ne_u32_e32 vcc_lo, 1, v1
	s_cbranch_vccz .LBB257_221
.LBB257_503:
                                        ; implicit-def: $sgpr22
	s_cbranch_execz .LBB257_238
; %bb.504:
	s_and_b32 s23, s10, 0xff
	s_delay_alu instid0(SALU_CYCLE_1)
	s_cmp_lt_i32 s23, 0x80
	s_cbranch_scc1 .LBB257_512
; %bb.505:
	s_and_b32 s22, 0xffff, s23
	s_mov_b32 s24, -1
	s_cmp_eq_u32 s22, 0x80
	s_cbranch_scc0 .LBB257_507
; %bb.506:
	s_mov_b32 s24, 0
.LBB257_507:
	s_mov_b32 s22, 0x7f800001
	s_branch .LBB257_514
.LBB257_508:
	s_mov_b32 s22, -1
	s_mov_b32 s24, exec_lo
	v_cmpx_eq_u16_e32 0x80, v4
; %bb.509:
	s_xor_b32 s22, exec_lo, -1
; %bb.510:
	s_or_b32 exec_lo, exec_lo, s24
	s_delay_alu instid0(SALU_CYCLE_1)
	s_and_b32 s22, s22, exec_lo
	s_or_saveexec_b32 s23, s23
	v_mov_b32_e32 v5, 0x7f800001
	s_xor_b32 exec_lo, exec_lo, s23
	s_cbranch_execz .LBB257_500
.LBB257_511:
	v_cmp_ne_u16_e32 vcc_lo, 0, v4
	v_mov_b32_e32 v5, 0
	s_and_not1_b32 s22, s22, exec_lo
	s_and_b32 s24, vcc_lo, exec_lo
	s_delay_alu instid0(SALU_CYCLE_1)
	s_or_b32 s22, s22, s24
	s_or_b32 exec_lo, exec_lo, s23
	s_and_saveexec_b32 s23, s22
	s_cbranch_execnz .LBB257_501
	s_branch .LBB257_502
.LBB257_512:
	s_mov_b32 s24, 0
	s_mov_b32 s22, 0x7f800001
	s_cbranch_execz .LBB257_514
; %bb.513:
	s_and_b32 s22, 0xffff, s23
	s_delay_alu instid0(SALU_CYCLE_1)
	s_cmp_lg_u32 s22, 0
	s_mov_b32 s22, 0
	s_cselect_b32 s24, -1, 0
.LBB257_514:
	s_delay_alu instid0(SALU_CYCLE_1)
	s_and_not1_b32 vcc_lo, exec_lo, s24
	s_cbranch_vccnz .LBB257_516
; %bb.515:
	s_mov_b32 s22, s3
.LBB257_516:
	v_and_b32_e32 v4, 0xff, v3
	s_mov_b32 s23, 0
	s_mov_b32 s24, exec_lo
	s_delay_alu instid0(VALU_DEP_1)
	v_cmpx_lt_i16_e32 0x7f, v4
	s_xor_b32 s24, exec_lo, s24
	s_cbranch_execnz .LBB257_526
; %bb.517:
	s_or_saveexec_b32 s24, s24
	v_mov_b32_e32 v2, 0x7f800001
	s_xor_b32 exec_lo, exec_lo, s24
	s_cbranch_execnz .LBB257_529
.LBB257_518:
	s_or_b32 exec_lo, exec_lo, s24
	s_and_saveexec_b32 s24, s23
	s_cbranch_execz .LBB257_520
.LBB257_519:
	v_and_b32_e32 v2, 3, v3
	v_bfe_u32 v6, v3, 2, 5
	s_delay_alu instid0(VALU_DEP_2) | instskip(NEXT) | instid1(VALU_DEP_2)
	v_clz_i32_u32_e32 v4, v2
	v_cmp_eq_u32_e32 vcc_lo, 0, v6
	s_delay_alu instid0(VALU_DEP_2) | instskip(NEXT) | instid1(VALU_DEP_1)
	v_min_u32_e32 v4, 32, v4
	v_subrev_nc_u32_e32 v5, 29, v4
	s_delay_alu instid0(VALU_DEP_1) | instskip(NEXT) | instid1(VALU_DEP_1)
	v_dual_lshlrev_b32 v5, v5, v3 :: v_dual_sub_nc_u32 v4, 30, v4
	v_dual_lshlrev_b32 v7, 24, v3 :: v_dual_bitop2_b32 v5, 3, v5 bitop3:0x40
	s_delay_alu instid0(VALU_DEP_2) | instskip(NEXT) | instid1(VALU_DEP_2)
	v_cndmask_b32_e32 v4, v6, v4, vcc_lo
	v_cndmask_b32_e32 v2, v2, v5, vcc_lo
	s_delay_alu instid0(VALU_DEP_3) | instskip(NEXT) | instid1(VALU_DEP_3)
	v_and_b32_e32 v5, 0x80000000, v7
	v_lshl_add_u32 v4, v4, 23, 0x37800000
	s_delay_alu instid0(VALU_DEP_3) | instskip(NEXT) | instid1(VALU_DEP_1)
	v_lshlrev_b32_e32 v2, 21, v2
	v_or3_b32 v2, v5, v4, v2
.LBB257_520:
	s_or_b32 exec_lo, exec_lo, s24
	s_delay_alu instid0(VALU_DEP_1)
	v_cmp_eq_f32_e64 s22, s22, v2
	v_cmp_ne_u32_e32 vcc_lo, 1, v1
	v_lshrrev_b32_e32 v2, 8, v3
	s_cbranch_vccz .LBB257_239
.LBB257_521:
                                        ; implicit-def: $sgpr23
	s_cbranch_execz .LBB257_256
; %bb.522:
	s_and_b32 s24, s10, 0xff
	s_delay_alu instid0(SALU_CYCLE_1)
	s_cmp_lt_i32 s24, 0x80
	s_cbranch_scc1 .LBB257_530
; %bb.523:
	s_and_b32 s23, 0xffff, s24
	s_mov_b32 s25, -1
	s_cmp_eq_u32 s23, 0x80
	s_cbranch_scc0 .LBB257_525
; %bb.524:
	s_mov_b32 s25, 0
.LBB257_525:
	s_mov_b32 s23, 0x7f800001
	s_branch .LBB257_532
.LBB257_526:
	s_mov_b32 s23, -1
	s_mov_b32 s25, exec_lo
	v_cmpx_eq_u16_e32 0x80, v4
; %bb.527:
	s_xor_b32 s23, exec_lo, -1
; %bb.528:
	s_or_b32 exec_lo, exec_lo, s25
	s_delay_alu instid0(SALU_CYCLE_1)
	s_and_b32 s23, s23, exec_lo
                                        ; implicit-def: $vgpr4
	s_or_saveexec_b32 s24, s24
	v_mov_b32_e32 v2, 0x7f800001
	s_xor_b32 exec_lo, exec_lo, s24
	s_cbranch_execz .LBB257_518
.LBB257_529:
	v_cmp_ne_u16_e32 vcc_lo, 0, v4
	v_mov_b32_e32 v2, 0
	s_and_not1_b32 s23, s23, exec_lo
	s_and_b32 s25, vcc_lo, exec_lo
	s_delay_alu instid0(SALU_CYCLE_1)
	s_or_b32 s23, s23, s25
	s_or_b32 exec_lo, exec_lo, s24
	s_and_saveexec_b32 s24, s23
	s_cbranch_execnz .LBB257_519
	s_branch .LBB257_520
.LBB257_530:
	s_mov_b32 s25, 0
	s_mov_b32 s23, 0x7f800001
	s_cbranch_execz .LBB257_532
; %bb.531:
	s_and_b32 s23, 0xffff, s24
	s_delay_alu instid0(SALU_CYCLE_1)
	s_cmp_lg_u32 s23, 0
	s_mov_b32 s23, 0
	s_cselect_b32 s25, -1, 0
.LBB257_532:
	s_delay_alu instid0(SALU_CYCLE_1)
	s_and_not1_b32 vcc_lo, exec_lo, s25
	s_cbranch_vccnz .LBB257_534
; %bb.533:
	s_mov_b32 s23, s3
.LBB257_534:
	v_and_b32_e32 v5, 0xff, v2
	s_mov_b32 s24, 0
	s_mov_b32 s25, exec_lo
	s_delay_alu instid0(VALU_DEP_1)
	v_cmpx_lt_i16_e32 0x7f, v5
	s_xor_b32 s25, exec_lo, s25
	s_cbranch_execnz .LBB257_544
; %bb.535:
	s_or_saveexec_b32 s25, s25
	v_mov_b32_e32 v4, 0x7f800001
	s_xor_b32 exec_lo, exec_lo, s25
	s_cbranch_execnz .LBB257_547
.LBB257_536:
	s_or_b32 exec_lo, exec_lo, s25
	s_and_saveexec_b32 s25, s24
	s_cbranch_execz .LBB257_538
.LBB257_537:
	v_bfe_u32 v4, v3, 8, 2
	v_bfe_u32 v7, v3, 10, 5
	s_delay_alu instid0(VALU_DEP_2) | instskip(NEXT) | instid1(VALU_DEP_2)
	v_clz_i32_u32_e32 v5, v4
	v_cmp_eq_u32_e32 vcc_lo, 0, v7
	s_delay_alu instid0(VALU_DEP_2) | instskip(NEXT) | instid1(VALU_DEP_1)
	v_min_u32_e32 v5, 32, v5
	v_subrev_nc_u32_e32 v6, 29, v5
	s_delay_alu instid0(VALU_DEP_1) | instskip(NEXT) | instid1(VALU_DEP_1)
	v_dual_sub_nc_u32 v5, 30, v5 :: v_dual_lshlrev_b32 v6, v6, v2
	v_dual_cndmask_b32 v5, v7, v5, vcc_lo :: v_dual_bitop2_b32 v6, 3, v6 bitop3:0x40
	s_delay_alu instid0(VALU_DEP_1) | instskip(NEXT) | instid1(VALU_DEP_2)
	v_lshl_add_u32 v5, v5, 23, 0x37800000
	v_cndmask_b32_e32 v4, v4, v6, vcc_lo
	s_delay_alu instid0(VALU_DEP_1) | instskip(NEXT) | instid1(VALU_DEP_1)
	v_dual_lshlrev_b32 v2, 24, v2 :: v_dual_lshlrev_b32 v4, 21, v4
	v_and_b32_e32 v2, 0x80000000, v2
	s_delay_alu instid0(VALU_DEP_1)
	v_or3_b32 v4, v2, v5, v4
.LBB257_538:
	s_or_b32 exec_lo, exec_lo, s25
	s_delay_alu instid0(VALU_DEP_1)
	v_cmp_eq_f32_e64 s23, s23, v4
	v_cmp_ne_u32_e32 vcc_lo, 1, v1
	v_lshrrev_b32_e32 v2, 16, v3
	s_cbranch_vccz .LBB257_257
.LBB257_539:
                                        ; implicit-def: $sgpr24
	s_cbranch_execz .LBB257_274
; %bb.540:
	s_and_b32 s25, s10, 0xff
	s_delay_alu instid0(SALU_CYCLE_1)
	s_cmp_lt_i32 s25, 0x80
	s_cbranch_scc1 .LBB257_548
; %bb.541:
	s_and_b32 s24, 0xffff, s25
	s_mov_b32 s26, -1
	s_cmp_eq_u32 s24, 0x80
	s_cbranch_scc0 .LBB257_543
; %bb.542:
	s_mov_b32 s26, 0
.LBB257_543:
	s_mov_b32 s24, 0x7f800001
	s_branch .LBB257_550
.LBB257_544:
	s_mov_b32 s24, -1
	s_mov_b32 s26, exec_lo
	v_cmpx_eq_u16_e32 0x80, v5
; %bb.545:
	s_xor_b32 s24, exec_lo, -1
; %bb.546:
	s_or_b32 exec_lo, exec_lo, s26
	s_delay_alu instid0(SALU_CYCLE_1)
	s_and_b32 s24, s24, exec_lo
                                        ; implicit-def: $vgpr5
	s_or_saveexec_b32 s25, s25
	v_mov_b32_e32 v4, 0x7f800001
	s_xor_b32 exec_lo, exec_lo, s25
	s_cbranch_execz .LBB257_536
.LBB257_547:
	v_cmp_ne_u16_e32 vcc_lo, 0, v5
	v_mov_b32_e32 v4, 0
	s_and_not1_b32 s24, s24, exec_lo
	s_and_b32 s26, vcc_lo, exec_lo
	s_delay_alu instid0(SALU_CYCLE_1)
	s_or_b32 s24, s24, s26
	s_or_b32 exec_lo, exec_lo, s25
	s_and_saveexec_b32 s25, s24
	s_cbranch_execnz .LBB257_537
	s_branch .LBB257_538
.LBB257_548:
	s_mov_b32 s26, 0
	s_mov_b32 s24, 0x7f800001
	s_cbranch_execz .LBB257_550
; %bb.549:
	s_and_b32 s24, 0xffff, s25
	s_delay_alu instid0(SALU_CYCLE_1)
	s_cmp_lg_u32 s24, 0
	s_mov_b32 s24, 0
	s_cselect_b32 s26, -1, 0
.LBB257_550:
	s_delay_alu instid0(SALU_CYCLE_1)
	s_and_not1_b32 vcc_lo, exec_lo, s26
	s_cbranch_vccnz .LBB257_552
; %bb.551:
	s_mov_b32 s24, s3
.LBB257_552:
	v_and_b32_e32 v5, 0xff, v2
	s_mov_b32 s25, 0
	s_mov_b32 s26, exec_lo
	s_delay_alu instid0(VALU_DEP_1)
	v_cmpx_lt_i16_e32 0x7f, v5
	s_xor_b32 s26, exec_lo, s26
	s_cbranch_execnz .LBB257_562
; %bb.553:
	s_or_saveexec_b32 s26, s26
	v_mov_b32_e32 v4, 0x7f800001
	s_xor_b32 exec_lo, exec_lo, s26
	s_cbranch_execnz .LBB257_565
.LBB257_554:
	s_or_b32 exec_lo, exec_lo, s26
	s_and_saveexec_b32 s26, s25
	s_cbranch_execz .LBB257_556
.LBB257_555:
	v_bfe_u32 v4, v3, 16, 2
	v_bfe_u32 v7, v3, 18, 5
	s_delay_alu instid0(VALU_DEP_2) | instskip(NEXT) | instid1(VALU_DEP_2)
	v_clz_i32_u32_e32 v5, v4
	v_cmp_eq_u32_e32 vcc_lo, 0, v7
	s_delay_alu instid0(VALU_DEP_2) | instskip(NEXT) | instid1(VALU_DEP_1)
	v_min_u32_e32 v5, 32, v5
	v_subrev_nc_u32_e32 v6, 29, v5
	s_delay_alu instid0(VALU_DEP_1) | instskip(NEXT) | instid1(VALU_DEP_1)
	v_dual_sub_nc_u32 v5, 30, v5 :: v_dual_lshlrev_b32 v6, v6, v2
	v_dual_cndmask_b32 v5, v7, v5, vcc_lo :: v_dual_bitop2_b32 v6, 3, v6 bitop3:0x40
	s_delay_alu instid0(VALU_DEP_1) | instskip(NEXT) | instid1(VALU_DEP_2)
	v_lshl_add_u32 v5, v5, 23, 0x37800000
	v_cndmask_b32_e32 v4, v4, v6, vcc_lo
	s_delay_alu instid0(VALU_DEP_1) | instskip(NEXT) | instid1(VALU_DEP_1)
	v_dual_lshlrev_b32 v2, 24, v2 :: v_dual_lshlrev_b32 v4, 21, v4
	v_and_b32_e32 v2, 0x80000000, v2
	s_delay_alu instid0(VALU_DEP_1)
	v_or3_b32 v4, v2, v5, v4
.LBB257_556:
	s_or_b32 exec_lo, exec_lo, s26
	s_delay_alu instid0(VALU_DEP_1)
	v_cmp_eq_f32_e64 s24, s24, v4
	v_cmp_ne_u32_e32 vcc_lo, 1, v1
	v_lshrrev_b32_e32 v1, 24, v3
	s_cbranch_vccz .LBB257_275
.LBB257_557:
                                        ; implicit-def: $sgpr25
	s_cbranch_execz .LBB257_575
; %bb.558:
	s_and_b32 s26, s10, 0xff
	s_delay_alu instid0(SALU_CYCLE_1)
	s_cmp_lt_i32 s26, 0x80
	s_cbranch_scc1 .LBB257_566
; %bb.559:
	s_and_b32 s25, 0xffff, s26
	s_mov_b32 s27, -1
	s_cmp_eq_u32 s25, 0x80
	s_cbranch_scc0 .LBB257_561
; %bb.560:
	s_mov_b32 s27, 0
.LBB257_561:
	s_mov_b32 s25, 0x7f800001
	s_branch .LBB257_568
.LBB257_562:
	s_mov_b32 s25, -1
	s_mov_b32 s27, exec_lo
	v_cmpx_eq_u16_e32 0x80, v5
; %bb.563:
	s_xor_b32 s25, exec_lo, -1
; %bb.564:
	s_or_b32 exec_lo, exec_lo, s27
	s_delay_alu instid0(SALU_CYCLE_1)
	s_and_b32 s25, s25, exec_lo
                                        ; implicit-def: $vgpr5
	s_or_saveexec_b32 s26, s26
	v_mov_b32_e32 v4, 0x7f800001
	s_xor_b32 exec_lo, exec_lo, s26
	s_cbranch_execz .LBB257_554
.LBB257_565:
	v_cmp_ne_u16_e32 vcc_lo, 0, v5
	v_mov_b32_e32 v4, 0
	s_and_not1_b32 s25, s25, exec_lo
	s_and_b32 s27, vcc_lo, exec_lo
	s_delay_alu instid0(SALU_CYCLE_1)
	s_or_b32 s25, s25, s27
	s_or_b32 exec_lo, exec_lo, s26
	s_and_saveexec_b32 s26, s25
	s_cbranch_execnz .LBB257_555
	s_branch .LBB257_556
.LBB257_566:
	s_mov_b32 s27, 0
	s_mov_b32 s25, 0x7f800001
	s_cbranch_execz .LBB257_568
; %bb.567:
	s_and_b32 s25, 0xffff, s26
	s_delay_alu instid0(SALU_CYCLE_1)
	s_cmp_lg_u32 s25, 0
	s_mov_b32 s25, 0
	s_cselect_b32 s27, -1, 0
.LBB257_568:
	s_delay_alu instid0(SALU_CYCLE_1)
	s_and_not1_b32 vcc_lo, exec_lo, s27
	s_cbranch_vccnz .LBB257_570
; %bb.569:
	s_mov_b32 s25, s3
.LBB257_570:
	s_mov_b32 s3, 0
	s_mov_b32 s26, exec_lo
	v_cmpx_lt_i16_e32 0x7f, v1
	s_xor_b32 s26, exec_lo, s26
	s_cbranch_execnz .LBB257_577
; %bb.571:
	s_or_saveexec_b32 s26, s26
	v_mov_b32_e32 v2, 0x7f800001
	s_xor_b32 exec_lo, exec_lo, s26
	s_cbranch_execnz .LBB257_580
.LBB257_572:
	s_or_b32 exec_lo, exec_lo, s26
	s_and_saveexec_b32 s26, s3
	s_cbranch_execz .LBB257_574
.LBB257_573:
	v_bfe_u32 v2, v3, 24, 2
	s_delay_alu instid0(VALU_DEP_1) | instskip(NEXT) | instid1(VALU_DEP_1)
	v_clz_i32_u32_e32 v4, v2
	v_min_u32_e32 v4, 32, v4
	s_delay_alu instid0(VALU_DEP_1) | instskip(NEXT) | instid1(VALU_DEP_1)
	v_subrev_nc_u32_e32 v5, 29, v4
	v_dual_sub_nc_u32 v4, 30, v4 :: v_dual_lshlrev_b32 v1, v5, v1
	v_bfe_u32 v5, v3, 26, 5
	s_delay_alu instid0(VALU_DEP_1) | instskip(NEXT) | instid1(VALU_DEP_3)
	v_cmp_eq_u32_e32 vcc_lo, 0, v5
	v_dual_cndmask_b32 v4, v5, v4, vcc_lo :: v_dual_bitop2_b32 v1, 3, v1 bitop3:0x40
	s_delay_alu instid0(VALU_DEP_1) | instskip(SKIP_1) | instid1(VALU_DEP_3)
	v_cndmask_b32_e32 v1, v2, v1, vcc_lo
	v_and_b32_e32 v2, 0x80000000, v3
	v_lshl_add_u32 v3, v4, 23, 0x37800000
	s_delay_alu instid0(VALU_DEP_3) | instskip(NEXT) | instid1(VALU_DEP_1)
	v_lshlrev_b32_e32 v1, 21, v1
	v_or3_b32 v2, v2, v3, v1
.LBB257_574:
	s_or_b32 exec_lo, exec_lo, s26
	s_delay_alu instid0(VALU_DEP_1)
	v_cmp_eq_f32_e64 s25, s25, v2
.LBB257_575:
	v_cndmask_b32_e64 v1, 0, 1, s11
	v_cndmask_b32_e64 v2, 0, 1, s13
	;; [unrolled: 1-line block ×5, first 2 shown]
	v_lshlrev_b16 v1, 8, v1
	v_lshlrev_b16 v2, 8, v2
	v_cndmask_b32_e64 v6, 0, 1, s14
	v_lshlrev_b16 v4, 8, v4
	v_cndmask_b32_e64 v7, 0, 1, s21
	v_cndmask_b32_e64 v8, 0, 1, s23
	v_or_b32_e32 v2, v5, v2
	v_or_b32_e32 v1, v3, v1
	;; [unrolled: 1-line block ×3, first 2 shown]
	v_cndmask_b32_e64 v4, 0, 1, s17
	v_cndmask_b32_e64 v5, 0, 1, s19
	;; [unrolled: 1-line block ×4, first 2 shown]
	v_lshlrev_b16 v7, 8, v7
	v_lshlrev_b16 v4, 8, v4
	v_cndmask_b32_e64 v11, 0, 1, s20
	v_lshlrev_b16 v5, 8, v5
	v_cndmask_b32_e64 v9, 0, 1, s18
	;; [unrolled: 2-line block ×4, first 2 shown]
	v_or_b32_e32 v4, v6, v4
	v_or_b32_e32 v6, v11, v7
	v_or_b32_e32 v7, v12, v8
	s_add_nc_u64 s[12:13], s[4:5], s[0:1]
	v_or_b32_e32 v8, v13, v10
	v_dual_lshlrev_b32 v4, 16, v4 :: v_dual_bitop2_b32 v5, v9, v5 bitop3:0x54
	v_lshlrev_b32_e32 v2, 16, v2
	v_and_b32_e32 v1, 0xffff, v1
	v_lshlrev_b32_e32 v6, 16, v6
	v_and_b32_e32 v3, 0xffff, v3
	v_and_b32_e32 v7, 0xffff, v7
	v_lshlrev_b32_e32 v8, 16, v8
	v_and_b32_e32 v5, 0xffff, v5
	v_or_b32_e32 v2, v1, v2
	v_or_b32_e32 v3, v3, v4
	s_delay_alu instid0(VALU_DEP_3)
	v_or_b32_e32 v4, v5, v6
	v_or_b32_e32 v5, v7, v8
	s_clause 0x1
	global_store_b64 v0, v[2:3], s[12:13] scale_offset
	global_store_b64 v0, v[4:5], s[12:13] offset:2048 scale_offset
	s_branch .LBB257_2
.LBB257_576:
	s_wait_xcnt 0x0
	v_dual_mov_b32 v31, v0 :: v_dual_mov_b32 v0, s9
	v_dual_mov_b32 v1, s10 :: v_dual_mov_b32 v2, s4
	;; [unrolled: 1-line block ×4, first 2 shown]
	s_get_pc_i64 s[0:1]
	s_add_nc_u64 s[0:1], s[0:1], _ZN2at6native25elementwise_kernel_helperILb0ENS0_13AUnaryFunctorIN3c1015Float8_e5m2fnuzES4_bNS0_12_GLOBAL__N_116CompareEqFunctorIS4_EEEENS0_6memory8policies11unroll_baseILi256ESt5arrayIPcLm2EE23TrivialOffsetCalculatorILi1EjESG_NS9_15LoadWithoutCastENS9_16StoreWithoutCastELi16ELi1EEEEEvT0_T1_@rel64+4
	s_delay_alu instid0(SALU_CYCLE_1)
	s_swap_pc_i64 s[30:31], s[0:1]
	s_endpgm
.LBB257_577:
	s_mov_b32 s3, -1
	s_mov_b32 s27, exec_lo
	v_cmpx_eq_u16_e32 0x80, v1
; %bb.578:
	s_xor_b32 s3, exec_lo, -1
; %bb.579:
	s_or_b32 exec_lo, exec_lo, s27
	s_delay_alu instid0(SALU_CYCLE_1)
	s_and_b32 s3, s3, exec_lo
	s_or_saveexec_b32 s26, s26
	v_mov_b32_e32 v2, 0x7f800001
	s_xor_b32 exec_lo, exec_lo, s26
	s_cbranch_execz .LBB257_572
.LBB257_580:
	v_cmp_ne_u16_e32 vcc_lo, 0, v1
	v_mov_b32_e32 v2, 0
	s_and_not1_b32 s3, s3, exec_lo
	s_and_b32 s27, vcc_lo, exec_lo
	s_delay_alu instid0(SALU_CYCLE_1)
	s_or_b32 s3, s3, s27
	s_or_b32 exec_lo, exec_lo, s26
	s_and_saveexec_b32 s26, s3
	s_cbranch_execnz .LBB257_573
	s_branch .LBB257_574
	.section	.rodata,"a",@progbits
	.p2align	6, 0x0
	.amdhsa_kernel _ZN2at6native29vectorized_elementwise_kernelILi8ENS0_13AUnaryFunctorIN3c1015Float8_e5m2fnuzES4_bNS0_12_GLOBAL__N_116CompareEqFunctorIS4_EEEESt5arrayIPcLm2EEEEviT0_T1_
		.amdhsa_group_segment_fixed_size 0
		.amdhsa_private_segment_fixed_size 0
		.amdhsa_kernarg_size 32
		.amdhsa_user_sgpr_count 2
		.amdhsa_user_sgpr_dispatch_ptr 0
		.amdhsa_user_sgpr_queue_ptr 0
		.amdhsa_user_sgpr_kernarg_segment_ptr 1
		.amdhsa_user_sgpr_dispatch_id 0
		.amdhsa_user_sgpr_kernarg_preload_length 0
		.amdhsa_user_sgpr_kernarg_preload_offset 0
		.amdhsa_user_sgpr_private_segment_size 0
		.amdhsa_wavefront_size32 1
		.amdhsa_uses_dynamic_stack 0
		.amdhsa_enable_private_segment 0
		.amdhsa_system_sgpr_workgroup_id_x 1
		.amdhsa_system_sgpr_workgroup_id_y 0
		.amdhsa_system_sgpr_workgroup_id_z 0
		.amdhsa_system_sgpr_workgroup_info 0
		.amdhsa_system_vgpr_workitem_id 0
		.amdhsa_next_free_vgpr 32
		.amdhsa_next_free_sgpr 33
		.amdhsa_named_barrier_count 0
		.amdhsa_reserve_vcc 1
		.amdhsa_float_round_mode_32 0
		.amdhsa_float_round_mode_16_64 0
		.amdhsa_float_denorm_mode_32 3
		.amdhsa_float_denorm_mode_16_64 3
		.amdhsa_fp16_overflow 0
		.amdhsa_memory_ordered 1
		.amdhsa_forward_progress 1
		.amdhsa_inst_pref_size 112
		.amdhsa_round_robin_scheduling 0
		.amdhsa_exception_fp_ieee_invalid_op 0
		.amdhsa_exception_fp_denorm_src 0
		.amdhsa_exception_fp_ieee_div_zero 0
		.amdhsa_exception_fp_ieee_overflow 0
		.amdhsa_exception_fp_ieee_underflow 0
		.amdhsa_exception_fp_ieee_inexact 0
		.amdhsa_exception_int_div_zero 0
	.end_amdhsa_kernel
	.section	.text._ZN2at6native29vectorized_elementwise_kernelILi8ENS0_13AUnaryFunctorIN3c1015Float8_e5m2fnuzES4_bNS0_12_GLOBAL__N_116CompareEqFunctorIS4_EEEESt5arrayIPcLm2EEEEviT0_T1_,"axG",@progbits,_ZN2at6native29vectorized_elementwise_kernelILi8ENS0_13AUnaryFunctorIN3c1015Float8_e5m2fnuzES4_bNS0_12_GLOBAL__N_116CompareEqFunctorIS4_EEEESt5arrayIPcLm2EEEEviT0_T1_,comdat
.Lfunc_end257:
	.size	_ZN2at6native29vectorized_elementwise_kernelILi8ENS0_13AUnaryFunctorIN3c1015Float8_e5m2fnuzES4_bNS0_12_GLOBAL__N_116CompareEqFunctorIS4_EEEESt5arrayIPcLm2EEEEviT0_T1_, .Lfunc_end257-_ZN2at6native29vectorized_elementwise_kernelILi8ENS0_13AUnaryFunctorIN3c1015Float8_e5m2fnuzES4_bNS0_12_GLOBAL__N_116CompareEqFunctorIS4_EEEESt5arrayIPcLm2EEEEviT0_T1_
                                        ; -- End function
	.set _ZN2at6native29vectorized_elementwise_kernelILi8ENS0_13AUnaryFunctorIN3c1015Float8_e5m2fnuzES4_bNS0_12_GLOBAL__N_116CompareEqFunctorIS4_EEEESt5arrayIPcLm2EEEEviT0_T1_.num_vgpr, max(32, .L_ZN2at6native25elementwise_kernel_helperILb0ENS0_13AUnaryFunctorIN3c1015Float8_e5m2fnuzES4_bNS0_12_GLOBAL__N_116CompareEqFunctorIS4_EEEENS0_6memory8policies11unroll_baseILi256ESt5arrayIPcLm2EE23TrivialOffsetCalculatorILi1EjESG_NS9_15LoadWithoutCastENS9_16StoreWithoutCastELi16ELi1EEEEEvT0_T1_.num_vgpr)
	.set _ZN2at6native29vectorized_elementwise_kernelILi8ENS0_13AUnaryFunctorIN3c1015Float8_e5m2fnuzES4_bNS0_12_GLOBAL__N_116CompareEqFunctorIS4_EEEESt5arrayIPcLm2EEEEviT0_T1_.num_agpr, max(0, .L_ZN2at6native25elementwise_kernel_helperILb0ENS0_13AUnaryFunctorIN3c1015Float8_e5m2fnuzES4_bNS0_12_GLOBAL__N_116CompareEqFunctorIS4_EEEENS0_6memory8policies11unroll_baseILi256ESt5arrayIPcLm2EE23TrivialOffsetCalculatorILi1EjESG_NS9_15LoadWithoutCastENS9_16StoreWithoutCastELi16ELi1EEEEEvT0_T1_.num_agpr)
	.set _ZN2at6native29vectorized_elementwise_kernelILi8ENS0_13AUnaryFunctorIN3c1015Float8_e5m2fnuzES4_bNS0_12_GLOBAL__N_116CompareEqFunctorIS4_EEEESt5arrayIPcLm2EEEEviT0_T1_.numbered_sgpr, max(33, .L_ZN2at6native25elementwise_kernel_helperILb0ENS0_13AUnaryFunctorIN3c1015Float8_e5m2fnuzES4_bNS0_12_GLOBAL__N_116CompareEqFunctorIS4_EEEENS0_6memory8policies11unroll_baseILi256ESt5arrayIPcLm2EE23TrivialOffsetCalculatorILi1EjESG_NS9_15LoadWithoutCastENS9_16StoreWithoutCastELi16ELi1EEEEEvT0_T1_.numbered_sgpr)
	.set _ZN2at6native29vectorized_elementwise_kernelILi8ENS0_13AUnaryFunctorIN3c1015Float8_e5m2fnuzES4_bNS0_12_GLOBAL__N_116CompareEqFunctorIS4_EEEESt5arrayIPcLm2EEEEviT0_T1_.num_named_barrier, max(0, .L_ZN2at6native25elementwise_kernel_helperILb0ENS0_13AUnaryFunctorIN3c1015Float8_e5m2fnuzES4_bNS0_12_GLOBAL__N_116CompareEqFunctorIS4_EEEENS0_6memory8policies11unroll_baseILi256ESt5arrayIPcLm2EE23TrivialOffsetCalculatorILi1EjESG_NS9_15LoadWithoutCastENS9_16StoreWithoutCastELi16ELi1EEEEEvT0_T1_.num_named_barrier)
	.set _ZN2at6native29vectorized_elementwise_kernelILi8ENS0_13AUnaryFunctorIN3c1015Float8_e5m2fnuzES4_bNS0_12_GLOBAL__N_116CompareEqFunctorIS4_EEEESt5arrayIPcLm2EEEEviT0_T1_.private_seg_size, 0+max(.L_ZN2at6native25elementwise_kernel_helperILb0ENS0_13AUnaryFunctorIN3c1015Float8_e5m2fnuzES4_bNS0_12_GLOBAL__N_116CompareEqFunctorIS4_EEEENS0_6memory8policies11unroll_baseILi256ESt5arrayIPcLm2EE23TrivialOffsetCalculatorILi1EjESG_NS9_15LoadWithoutCastENS9_16StoreWithoutCastELi16ELi1EEEEEvT0_T1_.private_seg_size)
	.set _ZN2at6native29vectorized_elementwise_kernelILi8ENS0_13AUnaryFunctorIN3c1015Float8_e5m2fnuzES4_bNS0_12_GLOBAL__N_116CompareEqFunctorIS4_EEEESt5arrayIPcLm2EEEEviT0_T1_.uses_vcc, or(1, .L_ZN2at6native25elementwise_kernel_helperILb0ENS0_13AUnaryFunctorIN3c1015Float8_e5m2fnuzES4_bNS0_12_GLOBAL__N_116CompareEqFunctorIS4_EEEENS0_6memory8policies11unroll_baseILi256ESt5arrayIPcLm2EE23TrivialOffsetCalculatorILi1EjESG_NS9_15LoadWithoutCastENS9_16StoreWithoutCastELi16ELi1EEEEEvT0_T1_.uses_vcc)
	.set _ZN2at6native29vectorized_elementwise_kernelILi8ENS0_13AUnaryFunctorIN3c1015Float8_e5m2fnuzES4_bNS0_12_GLOBAL__N_116CompareEqFunctorIS4_EEEESt5arrayIPcLm2EEEEviT0_T1_.uses_flat_scratch, or(0, .L_ZN2at6native25elementwise_kernel_helperILb0ENS0_13AUnaryFunctorIN3c1015Float8_e5m2fnuzES4_bNS0_12_GLOBAL__N_116CompareEqFunctorIS4_EEEENS0_6memory8policies11unroll_baseILi256ESt5arrayIPcLm2EE23TrivialOffsetCalculatorILi1EjESG_NS9_15LoadWithoutCastENS9_16StoreWithoutCastELi16ELi1EEEEEvT0_T1_.uses_flat_scratch)
	.set _ZN2at6native29vectorized_elementwise_kernelILi8ENS0_13AUnaryFunctorIN3c1015Float8_e5m2fnuzES4_bNS0_12_GLOBAL__N_116CompareEqFunctorIS4_EEEESt5arrayIPcLm2EEEEviT0_T1_.has_dyn_sized_stack, or(0, .L_ZN2at6native25elementwise_kernel_helperILb0ENS0_13AUnaryFunctorIN3c1015Float8_e5m2fnuzES4_bNS0_12_GLOBAL__N_116CompareEqFunctorIS4_EEEENS0_6memory8policies11unroll_baseILi256ESt5arrayIPcLm2EE23TrivialOffsetCalculatorILi1EjESG_NS9_15LoadWithoutCastENS9_16StoreWithoutCastELi16ELi1EEEEEvT0_T1_.has_dyn_sized_stack)
	.set _ZN2at6native29vectorized_elementwise_kernelILi8ENS0_13AUnaryFunctorIN3c1015Float8_e5m2fnuzES4_bNS0_12_GLOBAL__N_116CompareEqFunctorIS4_EEEESt5arrayIPcLm2EEEEviT0_T1_.has_recursion, or(0, .L_ZN2at6native25elementwise_kernel_helperILb0ENS0_13AUnaryFunctorIN3c1015Float8_e5m2fnuzES4_bNS0_12_GLOBAL__N_116CompareEqFunctorIS4_EEEENS0_6memory8policies11unroll_baseILi256ESt5arrayIPcLm2EE23TrivialOffsetCalculatorILi1EjESG_NS9_15LoadWithoutCastENS9_16StoreWithoutCastELi16ELi1EEEEEvT0_T1_.has_recursion)
	.set _ZN2at6native29vectorized_elementwise_kernelILi8ENS0_13AUnaryFunctorIN3c1015Float8_e5m2fnuzES4_bNS0_12_GLOBAL__N_116CompareEqFunctorIS4_EEEESt5arrayIPcLm2EEEEviT0_T1_.has_indirect_call, or(0, .L_ZN2at6native25elementwise_kernel_helperILb0ENS0_13AUnaryFunctorIN3c1015Float8_e5m2fnuzES4_bNS0_12_GLOBAL__N_116CompareEqFunctorIS4_EEEENS0_6memory8policies11unroll_baseILi256ESt5arrayIPcLm2EE23TrivialOffsetCalculatorILi1EjESG_NS9_15LoadWithoutCastENS9_16StoreWithoutCastELi16ELi1EEEEEvT0_T1_.has_indirect_call)
	.section	.AMDGPU.csdata,"",@progbits
; Kernel info:
; codeLenInByte = 14232
; TotalNumSgprs: 35
; NumVgprs: 32
; ScratchSize: 0
; MemoryBound: 0
; FloatMode: 240
; IeeeMode: 1
; LDSByteSize: 0 bytes/workgroup (compile time only)
; SGPRBlocks: 0
; VGPRBlocks: 1
; NumSGPRsForWavesPerEU: 35
; NumVGPRsForWavesPerEU: 32
; NamedBarCnt: 0
; Occupancy: 16
; WaveLimiterHint : 1
; COMPUTE_PGM_RSRC2:SCRATCH_EN: 0
; COMPUTE_PGM_RSRC2:USER_SGPR: 2
; COMPUTE_PGM_RSRC2:TRAP_HANDLER: 0
; COMPUTE_PGM_RSRC2:TGID_X_EN: 1
; COMPUTE_PGM_RSRC2:TGID_Y_EN: 0
; COMPUTE_PGM_RSRC2:TGID_Z_EN: 0
; COMPUTE_PGM_RSRC2:TIDIG_COMP_CNT: 0
	.section	.text._ZN2at6native29vectorized_elementwise_kernelILi4ENS0_13AUnaryFunctorIN3c1015Float8_e5m2fnuzES4_bNS0_12_GLOBAL__N_116CompareEqFunctorIS4_EEEESt5arrayIPcLm2EEEEviT0_T1_,"axG",@progbits,_ZN2at6native29vectorized_elementwise_kernelILi4ENS0_13AUnaryFunctorIN3c1015Float8_e5m2fnuzES4_bNS0_12_GLOBAL__N_116CompareEqFunctorIS4_EEEESt5arrayIPcLm2EEEEviT0_T1_,comdat
	.globl	_ZN2at6native29vectorized_elementwise_kernelILi4ENS0_13AUnaryFunctorIN3c1015Float8_e5m2fnuzES4_bNS0_12_GLOBAL__N_116CompareEqFunctorIS4_EEEESt5arrayIPcLm2EEEEviT0_T1_ ; -- Begin function _ZN2at6native29vectorized_elementwise_kernelILi4ENS0_13AUnaryFunctorIN3c1015Float8_e5m2fnuzES4_bNS0_12_GLOBAL__N_116CompareEqFunctorIS4_EEEESt5arrayIPcLm2EEEEviT0_T1_
	.p2align	8
	.type	_ZN2at6native29vectorized_elementwise_kernelILi4ENS0_13AUnaryFunctorIN3c1015Float8_e5m2fnuzES4_bNS0_12_GLOBAL__N_116CompareEqFunctorIS4_EEEESt5arrayIPcLm2EEEEviT0_T1_,@function
_ZN2at6native29vectorized_elementwise_kernelILi4ENS0_13AUnaryFunctorIN3c1015Float8_e5m2fnuzES4_bNS0_12_GLOBAL__N_116CompareEqFunctorIS4_EEEESt5arrayIPcLm2EEEEviT0_T1_: ; @_ZN2at6native29vectorized_elementwise_kernelILi4ENS0_13AUnaryFunctorIN3c1015Float8_e5m2fnuzES4_bNS0_12_GLOBAL__N_116CompareEqFunctorIS4_EEEESt5arrayIPcLm2EEEEviT0_T1_
; %bb.0:
	s_clause 0x1
	s_load_b96 s[8:10], s[0:1], 0x0
	s_load_b128 s[4:7], s[0:1], 0x10
	s_wait_xcnt 0x0
	s_bfe_u32 s0, ttmp6, 0x4000c
	s_and_b32 s1, ttmp6, 15
	s_add_co_i32 s0, s0, 1
	s_getreg_b32 s2, hwreg(HW_REG_IB_STS2, 6, 4)
	s_mul_i32 s0, ttmp9, s0
	s_mov_b32 s32, 0
	s_add_co_i32 s1, s1, s0
	s_cmp_eq_u32 s2, 0
	s_cselect_b32 s0, ttmp9, s1
	s_mov_b32 s1, -1
	s_lshl_b32 s0, s0, 12
	s_wait_kmcnt 0x0
	s_sub_co_i32 s2, s8, s0
	s_delay_alu instid0(SALU_CYCLE_1)
	s_cmp_gt_i32 s2, 0xfff
	s_cbranch_scc1 .LBB258_3
; %bb.1:
	s_and_b32 vcc_lo, exec_lo, s1
	s_cbranch_vccnz .LBB258_576
.LBB258_2:
	s_sendmsg sendmsg(MSG_DEALLOC_VGPRS)
	s_endpgm
.LBB258_3:
	s_ashr_i32 s1, s0, 31
	s_cmp_lg_u32 s9, 0
	s_add_nc_u64 s[12:13], s[6:7], s[0:1]
	s_cselect_b32 s11, -1, 0
	s_clause 0x3
	global_load_b32 v5, v0, s[12:13] scale_offset
	global_load_b32 v4, v0, s[12:13] offset:1024 scale_offset
	global_load_b32 v3, v0, s[12:13] offset:2048 scale_offset
	;; [unrolled: 1-line block ×3, first 2 shown]
	s_and_b32 s3, s10, 3
	s_wait_xcnt 0x0
	s_bfe_u32 s13, s10, 0x50002
	s_clz_i32_u32 s8, s3
	s_delay_alu instid0(SALU_CYCLE_1) | instskip(NEXT) | instid1(SALU_CYCLE_1)
	s_min_u32 s8, s8, 32
	s_sub_co_i32 s12, s8, 29
	s_sub_co_i32 s8, 30, s8
	s_lshl_b32 s12, s10, s12
	s_delay_alu instid0(SALU_CYCLE_1)
	s_and_b32 s12, s12, 3
	s_cmp_eq_u32 s13, 0
	s_cselect_b32 s8, s8, s13
	s_cselect_b32 s3, s12, s3
	s_lshl_b32 s12, s10, 24
	s_lshl_b32 s8, s8, 23
	s_and_b32 s12, s12, 0x80000000
	s_add_co_i32 s8, s8, 0x37800000
	s_lshl_b32 s3, s3, 21
	s_or_b32 s8, s12, s8
	s_and_b32 vcc_lo, exec_lo, s11
	s_or_b32 s3, s8, s3
	s_cbranch_vccz .LBB258_8
; %bb.4:
	s_and_b32 s12, s10, 0xff
	s_delay_alu instid0(SALU_CYCLE_1)
	s_cmp_lt_i32 s12, 0x80
	s_cbranch_scc1 .LBB258_14
; %bb.5:
	s_and_b32 s8, 0xffff, s12
	s_mov_b32 s13, -1
	s_cmp_eq_u32 s8, 0x80
	s_cbranch_scc0 .LBB258_7
; %bb.6:
	s_mov_b32 s13, 0
.LBB258_7:
	s_mov_b32 s8, 0x7f800001
	s_branch .LBB258_16
.LBB258_8:
                                        ; implicit-def: $sgpr8
	s_cbranch_execnz .LBB258_23
.LBB258_9:
	v_cndmask_b32_e64 v2, 0, 1, s11
	s_wait_loadcnt 0x3
	v_lshrrev_b32_e32 v6, 8, v5
	s_and_not1_b32 vcc_lo, exec_lo, s11
	s_cbranch_vccnz .LBB258_305
.LBB258_10:
	s_and_b32 s12, s10, 0xff
	s_delay_alu instid0(SALU_CYCLE_1)
	s_cmp_lt_i32 s12, 0x80
	s_cbranch_scc1 .LBB258_27
; %bb.11:
	s_and_b32 s11, 0xffff, s12
	s_mov_b32 s13, -1
	s_cmp_eq_u32 s11, 0x80
	s_cbranch_scc0 .LBB258_13
; %bb.12:
	s_mov_b32 s13, 0
.LBB258_13:
	s_mov_b32 s11, 0x7f800001
	s_branch .LBB258_29
.LBB258_14:
	s_mov_b32 s13, 0
	s_mov_b32 s8, 0x7f800001
	s_cbranch_execz .LBB258_16
; %bb.15:
	s_and_b32 s8, 0xffff, s12
	s_delay_alu instid0(SALU_CYCLE_1)
	s_cmp_lg_u32 s8, 0
	s_mov_b32 s8, 0
	s_cselect_b32 s13, -1, 0
.LBB258_16:
	s_delay_alu instid0(SALU_CYCLE_1)
	s_and_not1_b32 vcc_lo, exec_lo, s13
	s_cbranch_vccnz .LBB258_18
; %bb.17:
	s_mov_b32 s8, s3
.LBB258_18:
	s_wait_loadcnt 0x3
	v_and_b32_e32 v6, 0xff, v5
	s_mov_b32 s12, 0
	s_mov_b32 s13, exec_lo
	s_delay_alu instid0(VALU_DEP_1)
	v_cmpx_lt_i16_e32 0x7f, v6
	s_xor_b32 s13, exec_lo, s13
	s_cbranch_execnz .LBB258_41
; %bb.19:
	s_or_saveexec_b32 s13, s13
	v_mov_b32_e32 v2, 0x7f800001
	s_xor_b32 exec_lo, exec_lo, s13
	s_cbranch_execnz .LBB258_44
.LBB258_20:
	s_or_b32 exec_lo, exec_lo, s13
	s_and_saveexec_b32 s13, s12
	s_cbranch_execz .LBB258_22
.LBB258_21:
	v_and_b32_e32 v2, 3, v5
	v_bfe_u32 v8, v5, 2, 5
	s_delay_alu instid0(VALU_DEP_2) | instskip(NEXT) | instid1(VALU_DEP_2)
	v_clz_i32_u32_e32 v6, v2
	v_cmp_eq_u32_e32 vcc_lo, 0, v8
	s_delay_alu instid0(VALU_DEP_2) | instskip(NEXT) | instid1(VALU_DEP_1)
	v_min_u32_e32 v6, 32, v6
	v_subrev_nc_u32_e32 v7, 29, v6
	s_delay_alu instid0(VALU_DEP_1) | instskip(NEXT) | instid1(VALU_DEP_1)
	v_dual_lshlrev_b32 v7, v7, v5 :: v_dual_sub_nc_u32 v6, 30, v6
	v_dual_lshlrev_b32 v9, 24, v5 :: v_dual_bitop2_b32 v7, 3, v7 bitop3:0x40
	s_delay_alu instid0(VALU_DEP_1) | instskip(NEXT) | instid1(VALU_DEP_2)
	v_dual_cndmask_b32 v6, v8, v6, vcc_lo :: v_dual_cndmask_b32 v2, v2, v7, vcc_lo
	v_and_b32_e32 v7, 0x80000000, v9
	s_delay_alu instid0(VALU_DEP_2) | instskip(NEXT) | instid1(VALU_DEP_3)
	v_lshl_add_u32 v6, v6, 23, 0x37800000
	v_lshlrev_b32_e32 v2, 21, v2
	s_delay_alu instid0(VALU_DEP_1)
	v_or3_b32 v2, v7, v6, v2
.LBB258_22:
	s_or_b32 exec_lo, exec_lo, s13
	s_delay_alu instid0(VALU_DEP_1)
	v_cmp_neq_f32_e64 s8, s8, v2
	s_branch .LBB258_9
.LBB258_23:
	s_and_b32 s12, s10, 0xff
	s_delay_alu instid0(SALU_CYCLE_1)
	s_cmp_lt_i32 s12, 0x80
	s_cbranch_scc1 .LBB258_296
; %bb.24:
	s_and_b32 s8, 0xffff, s12
	s_mov_b32 s13, -1
	s_cmp_eq_u32 s8, 0x80
	s_cbranch_scc0 .LBB258_26
; %bb.25:
	s_mov_b32 s13, 0
.LBB258_26:
	s_mov_b32 s8, 0x7f800001
	s_branch .LBB258_298
.LBB258_27:
	s_mov_b32 s13, 0
	s_mov_b32 s11, 0x7f800001
	s_cbranch_execz .LBB258_29
; %bb.28:
	s_and_b32 s11, 0xffff, s12
	s_delay_alu instid0(SALU_CYCLE_1)
	s_cmp_lg_u32 s11, 0
	s_mov_b32 s11, 0
	s_cselect_b32 s13, -1, 0
.LBB258_29:
	s_delay_alu instid0(SALU_CYCLE_1)
	s_and_not1_b32 vcc_lo, exec_lo, s13
	s_cbranch_vccnz .LBB258_31
; %bb.30:
	s_mov_b32 s11, s3
.LBB258_31:
	v_and_b32_e32 v8, 0xff, v6
	s_mov_b32 s12, 0
	s_mov_b32 s13, exec_lo
	s_delay_alu instid0(VALU_DEP_1)
	v_cmpx_lt_i16_e32 0x7f, v8
	s_xor_b32 s13, exec_lo, s13
	s_cbranch_execnz .LBB258_45
; %bb.32:
	s_or_saveexec_b32 s13, s13
	v_mov_b32_e32 v7, 0x7f800001
	s_xor_b32 exec_lo, exec_lo, s13
	s_cbranch_execnz .LBB258_48
.LBB258_33:
	s_or_b32 exec_lo, exec_lo, s13
	s_and_saveexec_b32 s13, s12
	s_cbranch_execz .LBB258_35
.LBB258_34:
	v_bfe_u32 v7, v5, 8, 2
	v_bfe_u32 v10, v5, 10, 5
	v_lshlrev_b32_e32 v11, 24, v6
	s_delay_alu instid0(VALU_DEP_3) | instskip(NEXT) | instid1(VALU_DEP_3)
	v_clz_i32_u32_e32 v8, v7
	v_cmp_eq_u32_e32 vcc_lo, 0, v10
	s_delay_alu instid0(VALU_DEP_2) | instskip(NEXT) | instid1(VALU_DEP_1)
	v_min_u32_e32 v8, 32, v8
	v_subrev_nc_u32_e32 v9, 29, v8
	s_delay_alu instid0(VALU_DEP_1) | instskip(NEXT) | instid1(VALU_DEP_1)
	v_dual_sub_nc_u32 v8, 30, v8 :: v_dual_lshlrev_b32 v9, v9, v6
	v_dual_cndmask_b32 v8, v10, v8, vcc_lo :: v_dual_bitop2_b32 v9, 3, v9 bitop3:0x40
	s_delay_alu instid0(VALU_DEP_1) | instskip(SKIP_1) | instid1(VALU_DEP_3)
	v_cndmask_b32_e32 v7, v7, v9, vcc_lo
	v_and_b32_e32 v9, 0x80000000, v11
	v_lshl_add_u32 v8, v8, 23, 0x37800000
	s_delay_alu instid0(VALU_DEP_3) | instskip(NEXT) | instid1(VALU_DEP_1)
	v_lshlrev_b32_e32 v7, 21, v7
	v_or3_b32 v7, v9, v8, v7
.LBB258_35:
	s_or_b32 exec_lo, exec_lo, s13
	s_delay_alu instid0(VALU_DEP_1)
	v_cmp_neq_f32_e64 s11, s11, v7
.LBB258_36:
	v_cmp_ne_u32_e32 vcc_lo, 1, v2
	v_lshrrev_b32_e32 v6, 16, v5
	s_cbranch_vccnz .LBB258_323
.LBB258_37:
	s_and_b32 s13, s10, 0xff
	s_delay_alu instid0(SALU_CYCLE_1)
	s_cmp_lt_i32 s13, 0x80
	s_cbranch_scc1 .LBB258_49
; %bb.38:
	s_and_b32 s12, 0xffff, s13
	s_mov_b32 s14, -1
	s_cmp_eq_u32 s12, 0x80
	s_cbranch_scc0 .LBB258_40
; %bb.39:
	s_mov_b32 s14, 0
.LBB258_40:
	s_mov_b32 s12, 0x7f800001
	s_branch .LBB258_51
.LBB258_41:
	s_mov_b32 s12, -1
	s_mov_b32 s14, exec_lo
	v_cmpx_eq_u16_e32 0x80, v6
; %bb.42:
	s_xor_b32 s12, exec_lo, -1
; %bb.43:
	s_or_b32 exec_lo, exec_lo, s14
	s_delay_alu instid0(SALU_CYCLE_1)
	s_and_b32 s12, s12, exec_lo
                                        ; implicit-def: $vgpr6
	s_or_saveexec_b32 s13, s13
	v_mov_b32_e32 v2, 0x7f800001
	s_xor_b32 exec_lo, exec_lo, s13
	s_cbranch_execz .LBB258_20
.LBB258_44:
	v_cmp_ne_u16_e32 vcc_lo, 0, v6
	v_mov_b32_e32 v2, 0
	s_and_not1_b32 s12, s12, exec_lo
	s_and_b32 s14, vcc_lo, exec_lo
	s_delay_alu instid0(SALU_CYCLE_1)
	s_or_b32 s12, s12, s14
	s_or_b32 exec_lo, exec_lo, s13
	s_and_saveexec_b32 s13, s12
	s_cbranch_execnz .LBB258_21
	s_branch .LBB258_22
.LBB258_45:
	s_mov_b32 s12, -1
	s_mov_b32 s14, exec_lo
	v_cmpx_eq_u16_e32 0x80, v8
; %bb.46:
	s_xor_b32 s12, exec_lo, -1
; %bb.47:
	s_or_b32 exec_lo, exec_lo, s14
	s_delay_alu instid0(SALU_CYCLE_1)
	s_and_b32 s12, s12, exec_lo
                                        ; implicit-def: $vgpr8
	s_or_saveexec_b32 s13, s13
	v_mov_b32_e32 v7, 0x7f800001
	s_xor_b32 exec_lo, exec_lo, s13
	s_cbranch_execz .LBB258_33
.LBB258_48:
	v_cmp_ne_u16_e32 vcc_lo, 0, v8
	v_mov_b32_e32 v7, 0
	s_and_not1_b32 s12, s12, exec_lo
	s_and_b32 s14, vcc_lo, exec_lo
	s_delay_alu instid0(SALU_CYCLE_1)
	s_or_b32 s12, s12, s14
	s_or_b32 exec_lo, exec_lo, s13
	s_and_saveexec_b32 s13, s12
	s_cbranch_execnz .LBB258_34
	s_branch .LBB258_35
.LBB258_49:
	s_mov_b32 s14, 0
	s_mov_b32 s12, 0x7f800001
	s_cbranch_execz .LBB258_51
; %bb.50:
	s_and_b32 s12, 0xffff, s13
	s_delay_alu instid0(SALU_CYCLE_1)
	s_cmp_lg_u32 s12, 0
	s_mov_b32 s12, 0
	s_cselect_b32 s14, -1, 0
.LBB258_51:
	s_delay_alu instid0(SALU_CYCLE_1)
	s_and_not1_b32 vcc_lo, exec_lo, s14
	s_cbranch_vccnz .LBB258_53
; %bb.52:
	s_mov_b32 s12, s3
.LBB258_53:
	v_and_b32_e32 v8, 0xff, v6
	s_mov_b32 s13, 0
	s_mov_b32 s14, exec_lo
	s_delay_alu instid0(VALU_DEP_1)
	v_cmpx_lt_i16_e32 0x7f, v8
	s_xor_b32 s14, exec_lo, s14
	s_cbranch_execnz .LBB258_63
; %bb.54:
	s_or_saveexec_b32 s14, s14
	v_mov_b32_e32 v7, 0x7f800001
	s_xor_b32 exec_lo, exec_lo, s14
	s_cbranch_execnz .LBB258_66
.LBB258_55:
	s_or_b32 exec_lo, exec_lo, s14
	s_and_saveexec_b32 s14, s13
	s_cbranch_execz .LBB258_57
.LBB258_56:
	v_bfe_u32 v7, v5, 16, 2
	v_bfe_u32 v10, v5, 18, 5
	v_lshlrev_b32_e32 v11, 24, v6
	s_delay_alu instid0(VALU_DEP_3) | instskip(NEXT) | instid1(VALU_DEP_3)
	v_clz_i32_u32_e32 v8, v7
	v_cmp_eq_u32_e32 vcc_lo, 0, v10
	s_delay_alu instid0(VALU_DEP_2) | instskip(NEXT) | instid1(VALU_DEP_1)
	v_min_u32_e32 v8, 32, v8
	v_subrev_nc_u32_e32 v9, 29, v8
	s_delay_alu instid0(VALU_DEP_1) | instskip(NEXT) | instid1(VALU_DEP_1)
	v_dual_sub_nc_u32 v8, 30, v8 :: v_dual_lshlrev_b32 v9, v9, v6
	v_dual_cndmask_b32 v8, v10, v8, vcc_lo :: v_dual_bitop2_b32 v9, 3, v9 bitop3:0x40
	s_delay_alu instid0(VALU_DEP_1) | instskip(SKIP_1) | instid1(VALU_DEP_3)
	v_cndmask_b32_e32 v7, v7, v9, vcc_lo
	v_and_b32_e32 v9, 0x80000000, v11
	v_lshl_add_u32 v8, v8, 23, 0x37800000
	s_delay_alu instid0(VALU_DEP_3) | instskip(NEXT) | instid1(VALU_DEP_1)
	v_lshlrev_b32_e32 v7, 21, v7
	v_or3_b32 v7, v9, v8, v7
.LBB258_57:
	s_or_b32 exec_lo, exec_lo, s14
	s_delay_alu instid0(VALU_DEP_1)
	v_cmp_neq_f32_e64 s12, s12, v7
.LBB258_58:
	v_cmp_ne_u32_e32 vcc_lo, 1, v2
	v_lshrrev_b32_e32 v6, 24, v5
	s_cbranch_vccnz .LBB258_341
.LBB258_59:
	s_and_b32 s14, s10, 0xff
	s_delay_alu instid0(SALU_CYCLE_1)
	s_cmp_lt_i32 s14, 0x80
	s_cbranch_scc1 .LBB258_67
; %bb.60:
	s_and_b32 s13, 0xffff, s14
	s_mov_b32 s15, -1
	s_cmp_eq_u32 s13, 0x80
	s_cbranch_scc0 .LBB258_62
; %bb.61:
	s_mov_b32 s15, 0
.LBB258_62:
	s_mov_b32 s13, 0x7f800001
	s_branch .LBB258_69
.LBB258_63:
	s_mov_b32 s13, -1
	s_mov_b32 s15, exec_lo
	v_cmpx_eq_u16_e32 0x80, v8
; %bb.64:
	s_xor_b32 s13, exec_lo, -1
; %bb.65:
	s_or_b32 exec_lo, exec_lo, s15
	s_delay_alu instid0(SALU_CYCLE_1)
	s_and_b32 s13, s13, exec_lo
                                        ; implicit-def: $vgpr8
	s_or_saveexec_b32 s14, s14
	v_mov_b32_e32 v7, 0x7f800001
	s_xor_b32 exec_lo, exec_lo, s14
	s_cbranch_execz .LBB258_55
.LBB258_66:
	v_cmp_ne_u16_e32 vcc_lo, 0, v8
	v_mov_b32_e32 v7, 0
	s_and_not1_b32 s13, s13, exec_lo
	s_and_b32 s15, vcc_lo, exec_lo
	s_delay_alu instid0(SALU_CYCLE_1)
	s_or_b32 s13, s13, s15
	s_or_b32 exec_lo, exec_lo, s14
	s_and_saveexec_b32 s14, s13
	s_cbranch_execnz .LBB258_56
	s_branch .LBB258_57
.LBB258_67:
	s_mov_b32 s15, 0
	s_mov_b32 s13, 0x7f800001
	s_cbranch_execz .LBB258_69
; %bb.68:
	s_and_b32 s13, 0xffff, s14
	s_delay_alu instid0(SALU_CYCLE_1)
	s_cmp_lg_u32 s13, 0
	s_mov_b32 s13, 0
	s_cselect_b32 s15, -1, 0
.LBB258_69:
	s_delay_alu instid0(SALU_CYCLE_1)
	s_and_not1_b32 vcc_lo, exec_lo, s15
	s_cbranch_vccnz .LBB258_71
; %bb.70:
	s_mov_b32 s13, s3
.LBB258_71:
	s_mov_b32 s14, 0
	s_mov_b32 s15, exec_lo
	v_cmpx_lt_i16_e32 0x7f, v6
	s_xor_b32 s15, exec_lo, s15
	s_cbranch_execnz .LBB258_81
; %bb.72:
	s_or_saveexec_b32 s15, s15
	v_mov_b32_e32 v7, 0x7f800001
	s_xor_b32 exec_lo, exec_lo, s15
	s_cbranch_execnz .LBB258_84
.LBB258_73:
	s_or_b32 exec_lo, exec_lo, s15
	s_and_saveexec_b32 s15, s14
	s_cbranch_execz .LBB258_75
.LBB258_74:
	v_bfe_u32 v7, v5, 24, 2
	v_bfe_u32 v10, v5, 26, 5
	s_delay_alu instid0(VALU_DEP_2) | instskip(NEXT) | instid1(VALU_DEP_2)
	v_clz_i32_u32_e32 v8, v7
	v_cmp_eq_u32_e32 vcc_lo, 0, v10
	s_delay_alu instid0(VALU_DEP_2) | instskip(NEXT) | instid1(VALU_DEP_1)
	v_min_u32_e32 v8, 32, v8
	v_subrev_nc_u32_e32 v9, 29, v8
	s_delay_alu instid0(VALU_DEP_1) | instskip(NEXT) | instid1(VALU_DEP_1)
	v_dual_sub_nc_u32 v8, 30, v8 :: v_dual_lshlrev_b32 v9, v9, v6
	v_dual_cndmask_b32 v8, v10, v8, vcc_lo :: v_dual_bitop2_b32 v9, 3, v9 bitop3:0x40
	s_delay_alu instid0(VALU_DEP_1) | instskip(NEXT) | instid1(VALU_DEP_2)
	v_lshl_add_u32 v8, v8, 23, 0x37800000
	v_cndmask_b32_e32 v7, v7, v9, vcc_lo
	v_and_b32_e32 v9, 0x80000000, v5
	s_delay_alu instid0(VALU_DEP_2) | instskip(NEXT) | instid1(VALU_DEP_1)
	v_lshlrev_b32_e32 v7, 21, v7
	v_or3_b32 v7, v9, v8, v7
.LBB258_75:
	s_or_b32 exec_lo, exec_lo, s15
	s_delay_alu instid0(VALU_DEP_1)
	v_cmp_neq_f32_e64 s13, s13, v7
.LBB258_76:
	v_cmp_ne_u32_e32 vcc_lo, 1, v2
	s_cbranch_vccnz .LBB258_359
.LBB258_77:
	s_and_b32 s15, s10, 0xff
	s_delay_alu instid0(SALU_CYCLE_1)
	s_cmp_lt_i32 s15, 0x80
	s_cbranch_scc1 .LBB258_85
; %bb.78:
	s_and_b32 s14, 0xffff, s15
	s_mov_b32 s16, -1
	s_cmp_eq_u32 s14, 0x80
	s_cbranch_scc0 .LBB258_80
; %bb.79:
	s_mov_b32 s16, 0
.LBB258_80:
	s_mov_b32 s14, 0x7f800001
	s_branch .LBB258_87
.LBB258_81:
	s_mov_b32 s14, -1
	s_mov_b32 s16, exec_lo
	v_cmpx_eq_u16_e32 0x80, v6
; %bb.82:
	s_xor_b32 s14, exec_lo, -1
; %bb.83:
	s_or_b32 exec_lo, exec_lo, s16
	s_delay_alu instid0(SALU_CYCLE_1)
	s_and_b32 s14, s14, exec_lo
	s_or_saveexec_b32 s15, s15
	v_mov_b32_e32 v7, 0x7f800001
	s_xor_b32 exec_lo, exec_lo, s15
	s_cbranch_execz .LBB258_73
.LBB258_84:
	v_cmp_ne_u16_e32 vcc_lo, 0, v6
	v_mov_b32_e32 v7, 0
	s_and_not1_b32 s14, s14, exec_lo
	s_and_b32 s16, vcc_lo, exec_lo
	s_delay_alu instid0(SALU_CYCLE_1)
	s_or_b32 s14, s14, s16
	s_or_b32 exec_lo, exec_lo, s15
	s_and_saveexec_b32 s15, s14
	s_cbranch_execnz .LBB258_74
	s_branch .LBB258_75
.LBB258_85:
	s_mov_b32 s16, 0
	s_mov_b32 s14, 0x7f800001
	s_cbranch_execz .LBB258_87
; %bb.86:
	s_and_b32 s14, 0xffff, s15
	s_delay_alu instid0(SALU_CYCLE_1)
	s_cmp_lg_u32 s14, 0
	s_mov_b32 s14, 0
	s_cselect_b32 s16, -1, 0
.LBB258_87:
	s_delay_alu instid0(SALU_CYCLE_1)
	s_and_not1_b32 vcc_lo, exec_lo, s16
	s_cbranch_vccnz .LBB258_89
; %bb.88:
	s_mov_b32 s14, s3
.LBB258_89:
	s_wait_loadcnt 0x2
	v_and_b32_e32 v6, 0xff, v4
	s_mov_b32 s15, 0
	s_mov_b32 s16, exec_lo
	s_delay_alu instid0(VALU_DEP_1)
	v_cmpx_lt_i16_e32 0x7f, v6
	s_xor_b32 s16, exec_lo, s16
	s_cbranch_execnz .LBB258_99
; %bb.90:
	s_or_saveexec_b32 s16, s16
	v_mov_b32_e32 v5, 0x7f800001
	s_xor_b32 exec_lo, exec_lo, s16
	s_cbranch_execnz .LBB258_102
.LBB258_91:
	s_or_b32 exec_lo, exec_lo, s16
	s_and_saveexec_b32 s16, s15
	s_cbranch_execz .LBB258_93
.LBB258_92:
	v_and_b32_e32 v5, 3, v4
	v_bfe_u32 v8, v4, 2, 5
	s_delay_alu instid0(VALU_DEP_2) | instskip(NEXT) | instid1(VALU_DEP_2)
	v_clz_i32_u32_e32 v6, v5
	v_cmp_eq_u32_e32 vcc_lo, 0, v8
	s_delay_alu instid0(VALU_DEP_2) | instskip(NEXT) | instid1(VALU_DEP_1)
	v_min_u32_e32 v6, 32, v6
	v_subrev_nc_u32_e32 v7, 29, v6
	s_delay_alu instid0(VALU_DEP_1) | instskip(NEXT) | instid1(VALU_DEP_1)
	v_dual_lshlrev_b32 v7, v7, v4 :: v_dual_sub_nc_u32 v6, 30, v6
	v_dual_lshlrev_b32 v9, 24, v4 :: v_dual_bitop2_b32 v7, 3, v7 bitop3:0x40
	s_delay_alu instid0(VALU_DEP_1) | instskip(NEXT) | instid1(VALU_DEP_2)
	v_dual_cndmask_b32 v6, v8, v6 :: v_dual_cndmask_b32 v5, v5, v7
	v_and_b32_e32 v7, 0x80000000, v9
	s_delay_alu instid0(VALU_DEP_2) | instskip(NEXT) | instid1(VALU_DEP_3)
	v_lshl_add_u32 v6, v6, 23, 0x37800000
	v_lshlrev_b32_e32 v5, 21, v5
	s_delay_alu instid0(VALU_DEP_1)
	v_or3_b32 v5, v7, v6, v5
.LBB258_93:
	s_or_b32 exec_lo, exec_lo, s16
	s_delay_alu instid0(VALU_DEP_1)
	v_cmp_neq_f32_e64 s14, s14, v5
.LBB258_94:
	v_cmp_ne_u32_e32 vcc_lo, 1, v2
	s_wait_loadcnt 0x2
	v_lshrrev_b32_e32 v5, 8, v4
	s_cbranch_vccnz .LBB258_377
.LBB258_95:
	s_and_b32 s16, s10, 0xff
	s_delay_alu instid0(SALU_CYCLE_1)
	s_cmp_lt_i32 s16, 0x80
	s_cbranch_scc1 .LBB258_103
; %bb.96:
	s_and_b32 s15, 0xffff, s16
	s_mov_b32 s17, -1
	s_cmp_eq_u32 s15, 0x80
	s_cbranch_scc0 .LBB258_98
; %bb.97:
	s_mov_b32 s17, 0
.LBB258_98:
	s_mov_b32 s15, 0x7f800001
	s_branch .LBB258_105
.LBB258_99:
	s_mov_b32 s15, -1
	s_mov_b32 s17, exec_lo
	v_cmpx_eq_u16_e32 0x80, v6
; %bb.100:
	s_xor_b32 s15, exec_lo, -1
; %bb.101:
	s_or_b32 exec_lo, exec_lo, s17
	s_delay_alu instid0(SALU_CYCLE_1)
	s_and_b32 s15, s15, exec_lo
                                        ; implicit-def: $vgpr6
	s_or_saveexec_b32 s16, s16
	v_mov_b32_e32 v5, 0x7f800001
	s_xor_b32 exec_lo, exec_lo, s16
	s_cbranch_execz .LBB258_91
.LBB258_102:
	v_cmp_ne_u16_e32 vcc_lo, 0, v6
	v_mov_b32_e32 v5, 0
	s_and_not1_b32 s15, s15, exec_lo
	s_and_b32 s17, vcc_lo, exec_lo
	s_delay_alu instid0(SALU_CYCLE_1)
	s_or_b32 s15, s15, s17
	s_or_b32 exec_lo, exec_lo, s16
	s_and_saveexec_b32 s16, s15
	s_cbranch_execnz .LBB258_92
	s_branch .LBB258_93
.LBB258_103:
	s_mov_b32 s17, 0
	s_mov_b32 s15, 0x7f800001
	s_cbranch_execz .LBB258_105
; %bb.104:
	s_and_b32 s15, 0xffff, s16
	s_delay_alu instid0(SALU_CYCLE_1)
	s_cmp_lg_u32 s15, 0
	s_mov_b32 s15, 0
	s_cselect_b32 s17, -1, 0
.LBB258_105:
	s_delay_alu instid0(SALU_CYCLE_1)
	s_and_not1_b32 vcc_lo, exec_lo, s17
	s_cbranch_vccnz .LBB258_107
; %bb.106:
	s_mov_b32 s15, s3
.LBB258_107:
	v_and_b32_e32 v7, 0xff, v5
	s_mov_b32 s16, 0
	s_mov_b32 s17, exec_lo
	s_delay_alu instid0(VALU_DEP_1)
	v_cmpx_lt_i16_e32 0x7f, v7
	s_xor_b32 s17, exec_lo, s17
	s_cbranch_execnz .LBB258_117
; %bb.108:
	s_or_saveexec_b32 s17, s17
	v_mov_b32_e32 v6, 0x7f800001
	s_xor_b32 exec_lo, exec_lo, s17
	s_cbranch_execnz .LBB258_120
.LBB258_109:
	s_or_b32 exec_lo, exec_lo, s17
	s_and_saveexec_b32 s17, s16
	s_cbranch_execz .LBB258_111
.LBB258_110:
	v_bfe_u32 v6, v4, 8, 2
	v_bfe_u32 v9, v4, 10, 5
	v_lshlrev_b32_e32 v10, 24, v5
	s_delay_alu instid0(VALU_DEP_3) | instskip(NEXT) | instid1(VALU_DEP_3)
	v_clz_i32_u32_e32 v7, v6
	v_cmp_eq_u32_e32 vcc_lo, 0, v9
	s_delay_alu instid0(VALU_DEP_2) | instskip(NEXT) | instid1(VALU_DEP_1)
	v_min_u32_e32 v7, 32, v7
	v_subrev_nc_u32_e32 v8, 29, v7
	s_delay_alu instid0(VALU_DEP_1) | instskip(NEXT) | instid1(VALU_DEP_1)
	v_dual_sub_nc_u32 v7, 30, v7 :: v_dual_lshlrev_b32 v8, v8, v5
	v_dual_cndmask_b32 v7, v9, v7, vcc_lo :: v_dual_bitop2_b32 v8, 3, v8 bitop3:0x40
	s_delay_alu instid0(VALU_DEP_1) | instskip(SKIP_1) | instid1(VALU_DEP_3)
	v_cndmask_b32_e32 v6, v6, v8, vcc_lo
	v_and_b32_e32 v8, 0x80000000, v10
	v_lshl_add_u32 v7, v7, 23, 0x37800000
	s_delay_alu instid0(VALU_DEP_3) | instskip(NEXT) | instid1(VALU_DEP_1)
	v_lshlrev_b32_e32 v6, 21, v6
	v_or3_b32 v6, v8, v7, v6
.LBB258_111:
	s_or_b32 exec_lo, exec_lo, s17
	s_delay_alu instid0(VALU_DEP_1)
	v_cmp_neq_f32_e64 s15, s15, v6
.LBB258_112:
	v_cmp_ne_u32_e32 vcc_lo, 1, v2
	v_lshrrev_b32_e32 v5, 16, v4
	s_cbranch_vccnz .LBB258_395
.LBB258_113:
	s_and_b32 s17, s10, 0xff
	s_delay_alu instid0(SALU_CYCLE_1)
	s_cmp_lt_i32 s17, 0x80
	s_cbranch_scc1 .LBB258_121
; %bb.114:
	s_and_b32 s16, 0xffff, s17
	s_mov_b32 s18, -1
	s_cmp_eq_u32 s16, 0x80
	s_cbranch_scc0 .LBB258_116
; %bb.115:
	s_mov_b32 s18, 0
.LBB258_116:
	s_mov_b32 s16, 0x7f800001
	s_branch .LBB258_123
.LBB258_117:
	s_mov_b32 s16, -1
	s_mov_b32 s18, exec_lo
	v_cmpx_eq_u16_e32 0x80, v7
; %bb.118:
	s_xor_b32 s16, exec_lo, -1
; %bb.119:
	s_or_b32 exec_lo, exec_lo, s18
	s_delay_alu instid0(SALU_CYCLE_1)
	s_and_b32 s16, s16, exec_lo
                                        ; implicit-def: $vgpr7
	s_or_saveexec_b32 s17, s17
	v_mov_b32_e32 v6, 0x7f800001
	s_xor_b32 exec_lo, exec_lo, s17
	s_cbranch_execz .LBB258_109
.LBB258_120:
	v_cmp_ne_u16_e32 vcc_lo, 0, v7
	v_mov_b32_e32 v6, 0
	s_and_not1_b32 s16, s16, exec_lo
	s_and_b32 s18, vcc_lo, exec_lo
	s_delay_alu instid0(SALU_CYCLE_1)
	s_or_b32 s16, s16, s18
	s_or_b32 exec_lo, exec_lo, s17
	s_and_saveexec_b32 s17, s16
	s_cbranch_execnz .LBB258_110
	s_branch .LBB258_111
.LBB258_121:
	s_mov_b32 s18, 0
	s_mov_b32 s16, 0x7f800001
	s_cbranch_execz .LBB258_123
; %bb.122:
	s_and_b32 s16, 0xffff, s17
	s_delay_alu instid0(SALU_CYCLE_1)
	s_cmp_lg_u32 s16, 0
	s_mov_b32 s16, 0
	s_cselect_b32 s18, -1, 0
.LBB258_123:
	s_delay_alu instid0(SALU_CYCLE_1)
	s_and_not1_b32 vcc_lo, exec_lo, s18
	s_cbranch_vccnz .LBB258_125
; %bb.124:
	s_mov_b32 s16, s3
.LBB258_125:
	v_and_b32_e32 v7, 0xff, v5
	s_mov_b32 s17, 0
	s_mov_b32 s18, exec_lo
	s_delay_alu instid0(VALU_DEP_1)
	v_cmpx_lt_i16_e32 0x7f, v7
	s_xor_b32 s18, exec_lo, s18
	s_cbranch_execnz .LBB258_135
; %bb.126:
	s_or_saveexec_b32 s18, s18
	v_mov_b32_e32 v6, 0x7f800001
	s_xor_b32 exec_lo, exec_lo, s18
	s_cbranch_execnz .LBB258_138
.LBB258_127:
	s_or_b32 exec_lo, exec_lo, s18
	s_and_saveexec_b32 s18, s17
	s_cbranch_execz .LBB258_129
.LBB258_128:
	v_bfe_u32 v6, v4, 16, 2
	v_bfe_u32 v9, v4, 18, 5
	v_lshlrev_b32_e32 v10, 24, v5
	s_delay_alu instid0(VALU_DEP_3) | instskip(NEXT) | instid1(VALU_DEP_3)
	v_clz_i32_u32_e32 v7, v6
	v_cmp_eq_u32_e32 vcc_lo, 0, v9
	s_delay_alu instid0(VALU_DEP_2) | instskip(NEXT) | instid1(VALU_DEP_1)
	v_min_u32_e32 v7, 32, v7
	v_subrev_nc_u32_e32 v8, 29, v7
	s_delay_alu instid0(VALU_DEP_1) | instskip(NEXT) | instid1(VALU_DEP_1)
	v_dual_sub_nc_u32 v7, 30, v7 :: v_dual_lshlrev_b32 v8, v8, v5
	v_dual_cndmask_b32 v7, v9, v7, vcc_lo :: v_dual_bitop2_b32 v8, 3, v8 bitop3:0x40
	s_delay_alu instid0(VALU_DEP_1) | instskip(SKIP_1) | instid1(VALU_DEP_3)
	v_cndmask_b32_e32 v6, v6, v8, vcc_lo
	v_and_b32_e32 v8, 0x80000000, v10
	v_lshl_add_u32 v7, v7, 23, 0x37800000
	s_delay_alu instid0(VALU_DEP_3) | instskip(NEXT) | instid1(VALU_DEP_1)
	v_lshlrev_b32_e32 v6, 21, v6
	v_or3_b32 v6, v8, v7, v6
.LBB258_129:
	s_or_b32 exec_lo, exec_lo, s18
	s_delay_alu instid0(VALU_DEP_1)
	v_cmp_neq_f32_e64 s16, s16, v6
.LBB258_130:
	v_cmp_ne_u32_e32 vcc_lo, 1, v2
	v_lshrrev_b32_e32 v5, 24, v4
	s_cbranch_vccnz .LBB258_413
.LBB258_131:
	s_and_b32 s18, s10, 0xff
	s_delay_alu instid0(SALU_CYCLE_1)
	s_cmp_lt_i32 s18, 0x80
	s_cbranch_scc1 .LBB258_139
; %bb.132:
	s_and_b32 s17, 0xffff, s18
	s_mov_b32 s19, -1
	s_cmp_eq_u32 s17, 0x80
	s_cbranch_scc0 .LBB258_134
; %bb.133:
	s_mov_b32 s19, 0
.LBB258_134:
	s_mov_b32 s17, 0x7f800001
	s_branch .LBB258_141
.LBB258_135:
	s_mov_b32 s17, -1
	s_mov_b32 s19, exec_lo
	v_cmpx_eq_u16_e32 0x80, v7
; %bb.136:
	s_xor_b32 s17, exec_lo, -1
; %bb.137:
	s_or_b32 exec_lo, exec_lo, s19
	s_delay_alu instid0(SALU_CYCLE_1)
	s_and_b32 s17, s17, exec_lo
                                        ; implicit-def: $vgpr7
	s_or_saveexec_b32 s18, s18
	v_mov_b32_e32 v6, 0x7f800001
	s_xor_b32 exec_lo, exec_lo, s18
	s_cbranch_execz .LBB258_127
.LBB258_138:
	v_cmp_ne_u16_e32 vcc_lo, 0, v7
	v_mov_b32_e32 v6, 0
	s_and_not1_b32 s17, s17, exec_lo
	s_and_b32 s19, vcc_lo, exec_lo
	s_delay_alu instid0(SALU_CYCLE_1)
	s_or_b32 s17, s17, s19
	s_or_b32 exec_lo, exec_lo, s18
	s_and_saveexec_b32 s18, s17
	s_cbranch_execnz .LBB258_128
	s_branch .LBB258_129
.LBB258_139:
	s_mov_b32 s19, 0
	s_mov_b32 s17, 0x7f800001
	s_cbranch_execz .LBB258_141
; %bb.140:
	s_and_b32 s17, 0xffff, s18
	s_delay_alu instid0(SALU_CYCLE_1)
	s_cmp_lg_u32 s17, 0
	s_mov_b32 s17, 0
	s_cselect_b32 s19, -1, 0
.LBB258_141:
	s_delay_alu instid0(SALU_CYCLE_1)
	s_and_not1_b32 vcc_lo, exec_lo, s19
	s_cbranch_vccnz .LBB258_143
; %bb.142:
	s_mov_b32 s17, s3
.LBB258_143:
	s_mov_b32 s18, 0
	s_mov_b32 s19, exec_lo
	v_cmpx_lt_i16_e32 0x7f, v5
	s_xor_b32 s19, exec_lo, s19
	s_cbranch_execnz .LBB258_153
; %bb.144:
	s_or_saveexec_b32 s19, s19
	v_mov_b32_e32 v6, 0x7f800001
	s_xor_b32 exec_lo, exec_lo, s19
	s_cbranch_execnz .LBB258_156
.LBB258_145:
	s_or_b32 exec_lo, exec_lo, s19
	s_and_saveexec_b32 s19, s18
	s_cbranch_execz .LBB258_147
.LBB258_146:
	v_bfe_u32 v6, v4, 24, 2
	v_bfe_u32 v9, v4, 26, 5
	s_delay_alu instid0(VALU_DEP_2) | instskip(NEXT) | instid1(VALU_DEP_2)
	v_clz_i32_u32_e32 v7, v6
	v_cmp_eq_u32_e32 vcc_lo, 0, v9
	s_delay_alu instid0(VALU_DEP_2) | instskip(NEXT) | instid1(VALU_DEP_1)
	v_min_u32_e32 v7, 32, v7
	v_subrev_nc_u32_e32 v8, 29, v7
	s_delay_alu instid0(VALU_DEP_1) | instskip(NEXT) | instid1(VALU_DEP_1)
	v_dual_sub_nc_u32 v7, 30, v7 :: v_dual_lshlrev_b32 v8, v8, v5
	v_dual_cndmask_b32 v7, v9, v7, vcc_lo :: v_dual_bitop2_b32 v8, 3, v8 bitop3:0x40
	s_delay_alu instid0(VALU_DEP_1) | instskip(NEXT) | instid1(VALU_DEP_2)
	v_lshl_add_u32 v7, v7, 23, 0x37800000
	v_cndmask_b32_e32 v6, v6, v8, vcc_lo
	v_and_b32_e32 v8, 0x80000000, v4
	s_delay_alu instid0(VALU_DEP_2) | instskip(NEXT) | instid1(VALU_DEP_1)
	v_lshlrev_b32_e32 v6, 21, v6
	v_or3_b32 v6, v8, v7, v6
.LBB258_147:
	s_or_b32 exec_lo, exec_lo, s19
	s_delay_alu instid0(VALU_DEP_1)
	v_cmp_neq_f32_e64 s17, s17, v6
.LBB258_148:
	v_cmp_ne_u32_e32 vcc_lo, 1, v2
	s_cbranch_vccnz .LBB258_431
.LBB258_149:
	s_and_b32 s19, s10, 0xff
	s_delay_alu instid0(SALU_CYCLE_1)
	s_cmp_lt_i32 s19, 0x80
	s_cbranch_scc1 .LBB258_157
; %bb.150:
	s_and_b32 s18, 0xffff, s19
	s_mov_b32 s20, -1
	s_cmp_eq_u32 s18, 0x80
	s_cbranch_scc0 .LBB258_152
; %bb.151:
	s_mov_b32 s20, 0
.LBB258_152:
	s_mov_b32 s18, 0x7f800001
	s_branch .LBB258_159
.LBB258_153:
	s_mov_b32 s18, -1
	s_mov_b32 s20, exec_lo
	v_cmpx_eq_u16_e32 0x80, v5
; %bb.154:
	s_xor_b32 s18, exec_lo, -1
; %bb.155:
	s_or_b32 exec_lo, exec_lo, s20
	s_delay_alu instid0(SALU_CYCLE_1)
	s_and_b32 s18, s18, exec_lo
	s_or_saveexec_b32 s19, s19
	v_mov_b32_e32 v6, 0x7f800001
	s_xor_b32 exec_lo, exec_lo, s19
	s_cbranch_execz .LBB258_145
.LBB258_156:
	v_cmp_ne_u16_e32 vcc_lo, 0, v5
	v_mov_b32_e32 v6, 0
	s_and_not1_b32 s18, s18, exec_lo
	s_and_b32 s20, vcc_lo, exec_lo
	s_delay_alu instid0(SALU_CYCLE_1)
	s_or_b32 s18, s18, s20
	s_or_b32 exec_lo, exec_lo, s19
	s_and_saveexec_b32 s19, s18
	s_cbranch_execnz .LBB258_146
	s_branch .LBB258_147
.LBB258_157:
	s_mov_b32 s20, 0
	s_mov_b32 s18, 0x7f800001
	s_cbranch_execz .LBB258_159
; %bb.158:
	s_and_b32 s18, 0xffff, s19
	s_delay_alu instid0(SALU_CYCLE_1)
	s_cmp_lg_u32 s18, 0
	s_mov_b32 s18, 0
	s_cselect_b32 s20, -1, 0
.LBB258_159:
	s_delay_alu instid0(SALU_CYCLE_1)
	s_and_not1_b32 vcc_lo, exec_lo, s20
	s_cbranch_vccnz .LBB258_161
; %bb.160:
	s_mov_b32 s18, s3
.LBB258_161:
	s_wait_loadcnt 0x1
	v_and_b32_e32 v5, 0xff, v3
	s_mov_b32 s19, 0
	s_mov_b32 s20, exec_lo
	s_delay_alu instid0(VALU_DEP_1)
	v_cmpx_lt_i16_e32 0x7f, v5
	s_xor_b32 s20, exec_lo, s20
	s_cbranch_execnz .LBB258_171
; %bb.162:
	s_or_saveexec_b32 s20, s20
	v_mov_b32_e32 v4, 0x7f800001
	s_xor_b32 exec_lo, exec_lo, s20
	s_cbranch_execnz .LBB258_174
.LBB258_163:
	s_or_b32 exec_lo, exec_lo, s20
	s_and_saveexec_b32 s20, s19
	s_cbranch_execz .LBB258_165
.LBB258_164:
	v_and_b32_e32 v4, 3, v3
	v_bfe_u32 v7, v3, 2, 5
	s_delay_alu instid0(VALU_DEP_2) | instskip(NEXT) | instid1(VALU_DEP_2)
	v_clz_i32_u32_e32 v5, v4
	v_cmp_eq_u32_e32 vcc_lo, 0, v7
	s_delay_alu instid0(VALU_DEP_2) | instskip(NEXT) | instid1(VALU_DEP_1)
	v_min_u32_e32 v5, 32, v5
	v_subrev_nc_u32_e32 v6, 29, v5
	s_delay_alu instid0(VALU_DEP_1) | instskip(NEXT) | instid1(VALU_DEP_1)
	v_dual_lshlrev_b32 v6, v6, v3 :: v_dual_sub_nc_u32 v5, 30, v5
	v_dual_lshlrev_b32 v8, 24, v3 :: v_dual_bitop2_b32 v6, 3, v6 bitop3:0x40
	s_delay_alu instid0(VALU_DEP_1) | instskip(NEXT) | instid1(VALU_DEP_2)
	v_dual_cndmask_b32 v5, v7, v5 :: v_dual_cndmask_b32 v4, v4, v6
	v_and_b32_e32 v6, 0x80000000, v8
	s_delay_alu instid0(VALU_DEP_2) | instskip(NEXT) | instid1(VALU_DEP_3)
	v_lshl_add_u32 v5, v5, 23, 0x37800000
	v_lshlrev_b32_e32 v4, 21, v4
	s_delay_alu instid0(VALU_DEP_1)
	v_or3_b32 v4, v6, v5, v4
.LBB258_165:
	s_or_b32 exec_lo, exec_lo, s20
	s_delay_alu instid0(VALU_DEP_1)
	v_cmp_neq_f32_e64 s18, s18, v4
.LBB258_166:
	v_cmp_ne_u32_e32 vcc_lo, 1, v2
	s_wait_loadcnt 0x1
	v_lshrrev_b32_e32 v4, 8, v3
	s_cbranch_vccnz .LBB258_449
.LBB258_167:
	s_and_b32 s20, s10, 0xff
	s_delay_alu instid0(SALU_CYCLE_1)
	s_cmp_lt_i32 s20, 0x80
	s_cbranch_scc1 .LBB258_175
; %bb.168:
	s_and_b32 s19, 0xffff, s20
	s_mov_b32 s21, -1
	s_cmp_eq_u32 s19, 0x80
	s_cbranch_scc0 .LBB258_170
; %bb.169:
	s_mov_b32 s21, 0
.LBB258_170:
	s_mov_b32 s19, 0x7f800001
	s_branch .LBB258_177
.LBB258_171:
	s_mov_b32 s19, -1
	s_mov_b32 s21, exec_lo
	v_cmpx_eq_u16_e32 0x80, v5
; %bb.172:
	s_xor_b32 s19, exec_lo, -1
; %bb.173:
	s_or_b32 exec_lo, exec_lo, s21
	s_delay_alu instid0(SALU_CYCLE_1)
	s_and_b32 s19, s19, exec_lo
                                        ; implicit-def: $vgpr5
	s_or_saveexec_b32 s20, s20
	v_mov_b32_e32 v4, 0x7f800001
	s_xor_b32 exec_lo, exec_lo, s20
	s_cbranch_execz .LBB258_163
.LBB258_174:
	v_cmp_ne_u16_e32 vcc_lo, 0, v5
	v_mov_b32_e32 v4, 0
	s_and_not1_b32 s19, s19, exec_lo
	s_and_b32 s21, vcc_lo, exec_lo
	s_delay_alu instid0(SALU_CYCLE_1)
	s_or_b32 s19, s19, s21
	s_or_b32 exec_lo, exec_lo, s20
	s_and_saveexec_b32 s20, s19
	s_cbranch_execnz .LBB258_164
	s_branch .LBB258_165
.LBB258_175:
	s_mov_b32 s21, 0
	s_mov_b32 s19, 0x7f800001
	s_cbranch_execz .LBB258_177
; %bb.176:
	s_and_b32 s19, 0xffff, s20
	s_delay_alu instid0(SALU_CYCLE_1)
	s_cmp_lg_u32 s19, 0
	s_mov_b32 s19, 0
	s_cselect_b32 s21, -1, 0
.LBB258_177:
	s_delay_alu instid0(SALU_CYCLE_1)
	s_and_not1_b32 vcc_lo, exec_lo, s21
	s_cbranch_vccnz .LBB258_179
; %bb.178:
	s_mov_b32 s19, s3
.LBB258_179:
	v_and_b32_e32 v6, 0xff, v4
	s_mov_b32 s20, 0
	s_mov_b32 s21, exec_lo
	s_delay_alu instid0(VALU_DEP_1)
	v_cmpx_lt_i16_e32 0x7f, v6
	s_xor_b32 s21, exec_lo, s21
	s_cbranch_execnz .LBB258_189
; %bb.180:
	s_or_saveexec_b32 s21, s21
	v_mov_b32_e32 v5, 0x7f800001
	s_xor_b32 exec_lo, exec_lo, s21
	s_cbranch_execnz .LBB258_192
.LBB258_181:
	s_or_b32 exec_lo, exec_lo, s21
	s_and_saveexec_b32 s21, s20
	s_cbranch_execz .LBB258_183
.LBB258_182:
	v_bfe_u32 v5, v3, 8, 2
	v_bfe_u32 v8, v3, 10, 5
	v_lshlrev_b32_e32 v9, 24, v4
	s_delay_alu instid0(VALU_DEP_3) | instskip(NEXT) | instid1(VALU_DEP_3)
	v_clz_i32_u32_e32 v6, v5
	v_cmp_eq_u32_e32 vcc_lo, 0, v8
	s_delay_alu instid0(VALU_DEP_2) | instskip(NEXT) | instid1(VALU_DEP_1)
	v_min_u32_e32 v6, 32, v6
	v_subrev_nc_u32_e32 v7, 29, v6
	s_delay_alu instid0(VALU_DEP_1) | instskip(NEXT) | instid1(VALU_DEP_1)
	v_dual_sub_nc_u32 v6, 30, v6 :: v_dual_lshlrev_b32 v7, v7, v4
	v_dual_cndmask_b32 v6, v8, v6, vcc_lo :: v_dual_bitop2_b32 v7, 3, v7 bitop3:0x40
	s_delay_alu instid0(VALU_DEP_1) | instskip(SKIP_1) | instid1(VALU_DEP_3)
	v_cndmask_b32_e32 v5, v5, v7, vcc_lo
	v_and_b32_e32 v7, 0x80000000, v9
	v_lshl_add_u32 v6, v6, 23, 0x37800000
	s_delay_alu instid0(VALU_DEP_3) | instskip(NEXT) | instid1(VALU_DEP_1)
	v_lshlrev_b32_e32 v5, 21, v5
	v_or3_b32 v5, v7, v6, v5
.LBB258_183:
	s_or_b32 exec_lo, exec_lo, s21
	s_delay_alu instid0(VALU_DEP_1)
	v_cmp_neq_f32_e64 s19, s19, v5
.LBB258_184:
	v_cmp_ne_u32_e32 vcc_lo, 1, v2
	v_lshrrev_b32_e32 v4, 16, v3
	s_cbranch_vccnz .LBB258_467
.LBB258_185:
	s_and_b32 s21, s10, 0xff
	s_delay_alu instid0(SALU_CYCLE_1)
	s_cmp_lt_i32 s21, 0x80
	s_cbranch_scc1 .LBB258_193
; %bb.186:
	s_and_b32 s20, 0xffff, s21
	s_mov_b32 s22, -1
	s_cmp_eq_u32 s20, 0x80
	s_cbranch_scc0 .LBB258_188
; %bb.187:
	s_mov_b32 s22, 0
.LBB258_188:
	s_mov_b32 s20, 0x7f800001
	s_branch .LBB258_195
.LBB258_189:
	s_mov_b32 s20, -1
	s_mov_b32 s22, exec_lo
	v_cmpx_eq_u16_e32 0x80, v6
; %bb.190:
	s_xor_b32 s20, exec_lo, -1
; %bb.191:
	s_or_b32 exec_lo, exec_lo, s22
	s_delay_alu instid0(SALU_CYCLE_1)
	s_and_b32 s20, s20, exec_lo
                                        ; implicit-def: $vgpr6
	s_or_saveexec_b32 s21, s21
	v_mov_b32_e32 v5, 0x7f800001
	s_xor_b32 exec_lo, exec_lo, s21
	s_cbranch_execz .LBB258_181
.LBB258_192:
	v_cmp_ne_u16_e32 vcc_lo, 0, v6
	v_mov_b32_e32 v5, 0
	s_and_not1_b32 s20, s20, exec_lo
	s_and_b32 s22, vcc_lo, exec_lo
	s_delay_alu instid0(SALU_CYCLE_1)
	s_or_b32 s20, s20, s22
	s_or_b32 exec_lo, exec_lo, s21
	s_and_saveexec_b32 s21, s20
	s_cbranch_execnz .LBB258_182
	s_branch .LBB258_183
.LBB258_193:
	s_mov_b32 s22, 0
	s_mov_b32 s20, 0x7f800001
	s_cbranch_execz .LBB258_195
; %bb.194:
	s_and_b32 s20, 0xffff, s21
	s_delay_alu instid0(SALU_CYCLE_1)
	s_cmp_lg_u32 s20, 0
	s_mov_b32 s20, 0
	s_cselect_b32 s22, -1, 0
.LBB258_195:
	s_delay_alu instid0(SALU_CYCLE_1)
	s_and_not1_b32 vcc_lo, exec_lo, s22
	s_cbranch_vccnz .LBB258_197
; %bb.196:
	s_mov_b32 s20, s3
.LBB258_197:
	v_and_b32_e32 v6, 0xff, v4
	s_mov_b32 s21, 0
	s_mov_b32 s22, exec_lo
	s_delay_alu instid0(VALU_DEP_1)
	v_cmpx_lt_i16_e32 0x7f, v6
	s_xor_b32 s22, exec_lo, s22
	s_cbranch_execnz .LBB258_207
; %bb.198:
	s_or_saveexec_b32 s22, s22
	v_mov_b32_e32 v5, 0x7f800001
	s_xor_b32 exec_lo, exec_lo, s22
	s_cbranch_execnz .LBB258_210
.LBB258_199:
	s_or_b32 exec_lo, exec_lo, s22
	s_and_saveexec_b32 s22, s21
	s_cbranch_execz .LBB258_201
.LBB258_200:
	v_bfe_u32 v5, v3, 16, 2
	v_bfe_u32 v8, v3, 18, 5
	v_lshlrev_b32_e32 v9, 24, v4
	s_delay_alu instid0(VALU_DEP_3) | instskip(NEXT) | instid1(VALU_DEP_3)
	v_clz_i32_u32_e32 v6, v5
	v_cmp_eq_u32_e32 vcc_lo, 0, v8
	s_delay_alu instid0(VALU_DEP_2) | instskip(NEXT) | instid1(VALU_DEP_1)
	v_min_u32_e32 v6, 32, v6
	v_subrev_nc_u32_e32 v7, 29, v6
	s_delay_alu instid0(VALU_DEP_1) | instskip(NEXT) | instid1(VALU_DEP_1)
	v_dual_sub_nc_u32 v6, 30, v6 :: v_dual_lshlrev_b32 v7, v7, v4
	v_dual_cndmask_b32 v6, v8, v6, vcc_lo :: v_dual_bitop2_b32 v7, 3, v7 bitop3:0x40
	s_delay_alu instid0(VALU_DEP_1) | instskip(SKIP_1) | instid1(VALU_DEP_3)
	v_cndmask_b32_e32 v5, v5, v7, vcc_lo
	v_and_b32_e32 v7, 0x80000000, v9
	v_lshl_add_u32 v6, v6, 23, 0x37800000
	s_delay_alu instid0(VALU_DEP_3) | instskip(NEXT) | instid1(VALU_DEP_1)
	v_lshlrev_b32_e32 v5, 21, v5
	v_or3_b32 v5, v7, v6, v5
.LBB258_201:
	s_or_b32 exec_lo, exec_lo, s22
	s_delay_alu instid0(VALU_DEP_1)
	v_cmp_neq_f32_e64 s20, s20, v5
.LBB258_202:
	v_cmp_ne_u32_e32 vcc_lo, 1, v2
	v_lshrrev_b32_e32 v4, 24, v3
	s_cbranch_vccnz .LBB258_485
.LBB258_203:
	s_and_b32 s22, s10, 0xff
	s_delay_alu instid0(SALU_CYCLE_1)
	s_cmp_lt_i32 s22, 0x80
	s_cbranch_scc1 .LBB258_211
; %bb.204:
	s_and_b32 s21, 0xffff, s22
	s_mov_b32 s23, -1
	s_cmp_eq_u32 s21, 0x80
	s_cbranch_scc0 .LBB258_206
; %bb.205:
	s_mov_b32 s23, 0
.LBB258_206:
	s_mov_b32 s21, 0x7f800001
	s_branch .LBB258_213
.LBB258_207:
	s_mov_b32 s21, -1
	s_mov_b32 s23, exec_lo
	v_cmpx_eq_u16_e32 0x80, v6
; %bb.208:
	s_xor_b32 s21, exec_lo, -1
; %bb.209:
	s_or_b32 exec_lo, exec_lo, s23
	s_delay_alu instid0(SALU_CYCLE_1)
	s_and_b32 s21, s21, exec_lo
                                        ; implicit-def: $vgpr6
	s_or_saveexec_b32 s22, s22
	v_mov_b32_e32 v5, 0x7f800001
	s_xor_b32 exec_lo, exec_lo, s22
	s_cbranch_execz .LBB258_199
.LBB258_210:
	v_cmp_ne_u16_e32 vcc_lo, 0, v6
	v_mov_b32_e32 v5, 0
	s_and_not1_b32 s21, s21, exec_lo
	s_and_b32 s23, vcc_lo, exec_lo
	s_delay_alu instid0(SALU_CYCLE_1)
	s_or_b32 s21, s21, s23
	s_or_b32 exec_lo, exec_lo, s22
	s_and_saveexec_b32 s22, s21
	s_cbranch_execnz .LBB258_200
	s_branch .LBB258_201
.LBB258_211:
	s_mov_b32 s23, 0
	s_mov_b32 s21, 0x7f800001
	s_cbranch_execz .LBB258_213
; %bb.212:
	s_and_b32 s21, 0xffff, s22
	s_delay_alu instid0(SALU_CYCLE_1)
	s_cmp_lg_u32 s21, 0
	s_mov_b32 s21, 0
	s_cselect_b32 s23, -1, 0
.LBB258_213:
	s_delay_alu instid0(SALU_CYCLE_1)
	s_and_not1_b32 vcc_lo, exec_lo, s23
	s_cbranch_vccnz .LBB258_215
; %bb.214:
	s_mov_b32 s21, s3
.LBB258_215:
	s_mov_b32 s22, 0
	s_mov_b32 s23, exec_lo
	v_cmpx_lt_i16_e32 0x7f, v4
	s_xor_b32 s23, exec_lo, s23
	s_cbranch_execnz .LBB258_225
; %bb.216:
	s_or_saveexec_b32 s23, s23
	v_mov_b32_e32 v5, 0x7f800001
	s_xor_b32 exec_lo, exec_lo, s23
	s_cbranch_execnz .LBB258_228
.LBB258_217:
	s_or_b32 exec_lo, exec_lo, s23
	s_and_saveexec_b32 s23, s22
	s_cbranch_execz .LBB258_219
.LBB258_218:
	v_bfe_u32 v5, v3, 24, 2
	v_bfe_u32 v8, v3, 26, 5
	s_delay_alu instid0(VALU_DEP_2) | instskip(NEXT) | instid1(VALU_DEP_2)
	v_clz_i32_u32_e32 v6, v5
	v_cmp_eq_u32_e32 vcc_lo, 0, v8
	s_delay_alu instid0(VALU_DEP_2) | instskip(NEXT) | instid1(VALU_DEP_1)
	v_min_u32_e32 v6, 32, v6
	v_subrev_nc_u32_e32 v7, 29, v6
	s_delay_alu instid0(VALU_DEP_1) | instskip(NEXT) | instid1(VALU_DEP_1)
	v_dual_sub_nc_u32 v6, 30, v6 :: v_dual_lshlrev_b32 v7, v7, v4
	v_dual_cndmask_b32 v6, v8, v6, vcc_lo :: v_dual_bitop2_b32 v7, 3, v7 bitop3:0x40
	s_delay_alu instid0(VALU_DEP_1) | instskip(NEXT) | instid1(VALU_DEP_2)
	v_lshl_add_u32 v6, v6, 23, 0x37800000
	v_cndmask_b32_e32 v5, v5, v7, vcc_lo
	v_and_b32_e32 v7, 0x80000000, v3
	s_delay_alu instid0(VALU_DEP_2) | instskip(NEXT) | instid1(VALU_DEP_1)
	v_lshlrev_b32_e32 v5, 21, v5
	v_or3_b32 v5, v7, v6, v5
.LBB258_219:
	s_or_b32 exec_lo, exec_lo, s23
	s_delay_alu instid0(VALU_DEP_1)
	v_cmp_neq_f32_e64 s21, s21, v5
.LBB258_220:
	v_cmp_ne_u32_e32 vcc_lo, 1, v2
	s_cbranch_vccnz .LBB258_503
.LBB258_221:
	s_and_b32 s23, s10, 0xff
	s_delay_alu instid0(SALU_CYCLE_1)
	s_cmp_lt_i32 s23, 0x80
	s_cbranch_scc1 .LBB258_229
; %bb.222:
	s_and_b32 s22, 0xffff, s23
	s_mov_b32 s24, -1
	s_cmp_eq_u32 s22, 0x80
	s_cbranch_scc0 .LBB258_224
; %bb.223:
	s_mov_b32 s24, 0
.LBB258_224:
	s_mov_b32 s22, 0x7f800001
	s_branch .LBB258_231
.LBB258_225:
	s_mov_b32 s22, -1
	s_mov_b32 s24, exec_lo
	v_cmpx_eq_u16_e32 0x80, v4
; %bb.226:
	s_xor_b32 s22, exec_lo, -1
; %bb.227:
	s_or_b32 exec_lo, exec_lo, s24
	s_delay_alu instid0(SALU_CYCLE_1)
	s_and_b32 s22, s22, exec_lo
	s_or_saveexec_b32 s23, s23
	v_mov_b32_e32 v5, 0x7f800001
	s_xor_b32 exec_lo, exec_lo, s23
	s_cbranch_execz .LBB258_217
.LBB258_228:
	v_cmp_ne_u16_e32 vcc_lo, 0, v4
	v_mov_b32_e32 v5, 0
	s_and_not1_b32 s22, s22, exec_lo
	s_and_b32 s24, vcc_lo, exec_lo
	s_delay_alu instid0(SALU_CYCLE_1)
	s_or_b32 s22, s22, s24
	s_or_b32 exec_lo, exec_lo, s23
	s_and_saveexec_b32 s23, s22
	s_cbranch_execnz .LBB258_218
	s_branch .LBB258_219
.LBB258_229:
	s_mov_b32 s24, 0
	s_mov_b32 s22, 0x7f800001
	s_cbranch_execz .LBB258_231
; %bb.230:
	s_and_b32 s22, 0xffff, s23
	s_delay_alu instid0(SALU_CYCLE_1)
	s_cmp_lg_u32 s22, 0
	s_mov_b32 s22, 0
	s_cselect_b32 s24, -1, 0
.LBB258_231:
	s_delay_alu instid0(SALU_CYCLE_1)
	s_and_not1_b32 vcc_lo, exec_lo, s24
	s_cbranch_vccnz .LBB258_233
; %bb.232:
	s_mov_b32 s22, s3
.LBB258_233:
	s_wait_loadcnt 0x0
	v_and_b32_e32 v4, 0xff, v1
	s_mov_b32 s23, 0
	s_mov_b32 s24, exec_lo
	s_delay_alu instid0(VALU_DEP_1)
	v_cmpx_lt_i16_e32 0x7f, v4
	s_xor_b32 s24, exec_lo, s24
	s_cbranch_execnz .LBB258_243
; %bb.234:
	s_or_saveexec_b32 s24, s24
	v_mov_b32_e32 v3, 0x7f800001
	s_xor_b32 exec_lo, exec_lo, s24
	s_cbranch_execnz .LBB258_246
.LBB258_235:
	s_or_b32 exec_lo, exec_lo, s24
	s_and_saveexec_b32 s24, s23
	s_cbranch_execz .LBB258_237
.LBB258_236:
	v_and_b32_e32 v3, 3, v1
	v_bfe_u32 v6, v1, 2, 5
	s_delay_alu instid0(VALU_DEP_2) | instskip(NEXT) | instid1(VALU_DEP_2)
	v_clz_i32_u32_e32 v4, v3
	v_cmp_eq_u32_e32 vcc_lo, 0, v6
	s_delay_alu instid0(VALU_DEP_2) | instskip(NEXT) | instid1(VALU_DEP_1)
	v_min_u32_e32 v4, 32, v4
	v_subrev_nc_u32_e32 v5, 29, v4
	s_delay_alu instid0(VALU_DEP_1) | instskip(NEXT) | instid1(VALU_DEP_1)
	v_dual_lshlrev_b32 v5, v5, v1 :: v_dual_sub_nc_u32 v4, 30, v4
	v_and_b32_e32 v5, 3, v5
	s_delay_alu instid0(VALU_DEP_2) | instskip(NEXT) | instid1(VALU_DEP_2)
	v_dual_cndmask_b32 v4, v6, v4 :: v_dual_lshlrev_b32 v7, 24, v1
	v_cndmask_b32_e32 v3, v3, v5, vcc_lo
	s_delay_alu instid0(VALU_DEP_2) | instskip(NEXT) | instid1(VALU_DEP_3)
	v_and_b32_e32 v5, 0x80000000, v7
	v_lshl_add_u32 v4, v4, 23, 0x37800000
	s_delay_alu instid0(VALU_DEP_3) | instskip(NEXT) | instid1(VALU_DEP_1)
	v_lshlrev_b32_e32 v3, 21, v3
	v_or3_b32 v3, v5, v4, v3
.LBB258_237:
	s_or_b32 exec_lo, exec_lo, s24
	s_delay_alu instid0(VALU_DEP_1)
	v_cmp_neq_f32_e64 s22, s22, v3
.LBB258_238:
	v_cmp_ne_u32_e32 vcc_lo, 1, v2
	s_wait_loadcnt 0x0
	v_lshrrev_b32_e32 v3, 8, v1
	s_cbranch_vccnz .LBB258_521
.LBB258_239:
	s_and_b32 s24, s10, 0xff
	s_delay_alu instid0(SALU_CYCLE_1)
	s_cmp_lt_i32 s24, 0x80
	s_cbranch_scc1 .LBB258_247
; %bb.240:
	s_and_b32 s23, 0xffff, s24
	s_mov_b32 s25, -1
	s_cmp_eq_u32 s23, 0x80
	s_cbranch_scc0 .LBB258_242
; %bb.241:
	s_mov_b32 s25, 0
.LBB258_242:
	s_mov_b32 s23, 0x7f800001
	s_branch .LBB258_249
.LBB258_243:
	s_mov_b32 s23, -1
	s_mov_b32 s25, exec_lo
	v_cmpx_eq_u16_e32 0x80, v4
; %bb.244:
	s_xor_b32 s23, exec_lo, -1
; %bb.245:
	s_or_b32 exec_lo, exec_lo, s25
	s_delay_alu instid0(SALU_CYCLE_1)
	s_and_b32 s23, s23, exec_lo
                                        ; implicit-def: $vgpr4
	s_or_saveexec_b32 s24, s24
	v_mov_b32_e32 v3, 0x7f800001
	s_xor_b32 exec_lo, exec_lo, s24
	s_cbranch_execz .LBB258_235
.LBB258_246:
	v_cmp_ne_u16_e32 vcc_lo, 0, v4
	v_mov_b32_e32 v3, 0
	s_and_not1_b32 s23, s23, exec_lo
	s_and_b32 s25, vcc_lo, exec_lo
	s_delay_alu instid0(SALU_CYCLE_1)
	s_or_b32 s23, s23, s25
	s_or_b32 exec_lo, exec_lo, s24
	s_and_saveexec_b32 s24, s23
	s_cbranch_execnz .LBB258_236
	s_branch .LBB258_237
.LBB258_247:
	s_mov_b32 s25, 0
	s_mov_b32 s23, 0x7f800001
	s_cbranch_execz .LBB258_249
; %bb.248:
	s_and_b32 s23, 0xffff, s24
	s_delay_alu instid0(SALU_CYCLE_1)
	s_cmp_lg_u32 s23, 0
	s_mov_b32 s23, 0
	s_cselect_b32 s25, -1, 0
.LBB258_249:
	s_delay_alu instid0(SALU_CYCLE_1)
	s_and_not1_b32 vcc_lo, exec_lo, s25
	s_cbranch_vccnz .LBB258_251
; %bb.250:
	s_mov_b32 s23, s3
.LBB258_251:
	v_and_b32_e32 v5, 0xff, v3
	s_mov_b32 s24, 0
	s_mov_b32 s25, exec_lo
	s_delay_alu instid0(VALU_DEP_1)
	v_cmpx_lt_i16_e32 0x7f, v5
	s_xor_b32 s25, exec_lo, s25
	s_cbranch_execnz .LBB258_261
; %bb.252:
	s_or_saveexec_b32 s25, s25
	v_mov_b32_e32 v4, 0x7f800001
	s_xor_b32 exec_lo, exec_lo, s25
	s_cbranch_execnz .LBB258_264
.LBB258_253:
	s_or_b32 exec_lo, exec_lo, s25
	s_and_saveexec_b32 s25, s24
	s_cbranch_execz .LBB258_255
.LBB258_254:
	v_bfe_u32 v4, v1, 8, 2
	v_bfe_u32 v7, v1, 10, 5
	v_lshlrev_b32_e32 v8, 24, v3
	s_delay_alu instid0(VALU_DEP_3) | instskip(NEXT) | instid1(VALU_DEP_3)
	v_clz_i32_u32_e32 v5, v4
	v_cmp_eq_u32_e32 vcc_lo, 0, v7
	s_delay_alu instid0(VALU_DEP_2) | instskip(NEXT) | instid1(VALU_DEP_1)
	v_min_u32_e32 v5, 32, v5
	v_subrev_nc_u32_e32 v6, 29, v5
	s_delay_alu instid0(VALU_DEP_1) | instskip(NEXT) | instid1(VALU_DEP_1)
	v_dual_sub_nc_u32 v5, 30, v5 :: v_dual_lshlrev_b32 v6, v6, v3
	v_dual_cndmask_b32 v5, v7, v5, vcc_lo :: v_dual_bitop2_b32 v6, 3, v6 bitop3:0x40
	s_delay_alu instid0(VALU_DEP_1) | instskip(SKIP_1) | instid1(VALU_DEP_3)
	v_cndmask_b32_e32 v4, v4, v6, vcc_lo
	v_and_b32_e32 v6, 0x80000000, v8
	v_lshl_add_u32 v5, v5, 23, 0x37800000
	s_delay_alu instid0(VALU_DEP_3) | instskip(NEXT) | instid1(VALU_DEP_1)
	v_lshlrev_b32_e32 v4, 21, v4
	v_or3_b32 v4, v6, v5, v4
.LBB258_255:
	s_or_b32 exec_lo, exec_lo, s25
	s_delay_alu instid0(VALU_DEP_1)
	v_cmp_neq_f32_e64 s23, s23, v4
.LBB258_256:
	v_cmp_ne_u32_e32 vcc_lo, 1, v2
	v_lshrrev_b32_e32 v3, 16, v1
	s_cbranch_vccnz .LBB258_539
.LBB258_257:
	s_and_b32 s25, s10, 0xff
	s_delay_alu instid0(SALU_CYCLE_1)
	s_cmp_lt_i32 s25, 0x80
	s_cbranch_scc1 .LBB258_265
; %bb.258:
	s_and_b32 s24, 0xffff, s25
	s_mov_b32 s26, -1
	s_cmp_eq_u32 s24, 0x80
	s_cbranch_scc0 .LBB258_260
; %bb.259:
	s_mov_b32 s26, 0
.LBB258_260:
	s_mov_b32 s24, 0x7f800001
	s_branch .LBB258_267
.LBB258_261:
	s_mov_b32 s24, -1
	s_mov_b32 s26, exec_lo
	v_cmpx_eq_u16_e32 0x80, v5
; %bb.262:
	s_xor_b32 s24, exec_lo, -1
; %bb.263:
	s_or_b32 exec_lo, exec_lo, s26
	s_delay_alu instid0(SALU_CYCLE_1)
	s_and_b32 s24, s24, exec_lo
                                        ; implicit-def: $vgpr5
	s_or_saveexec_b32 s25, s25
	v_mov_b32_e32 v4, 0x7f800001
	s_xor_b32 exec_lo, exec_lo, s25
	s_cbranch_execz .LBB258_253
.LBB258_264:
	v_cmp_ne_u16_e32 vcc_lo, 0, v5
	v_mov_b32_e32 v4, 0
	s_and_not1_b32 s24, s24, exec_lo
	s_and_b32 s26, vcc_lo, exec_lo
	s_delay_alu instid0(SALU_CYCLE_1)
	s_or_b32 s24, s24, s26
	s_or_b32 exec_lo, exec_lo, s25
	s_and_saveexec_b32 s25, s24
	s_cbranch_execnz .LBB258_254
	s_branch .LBB258_255
.LBB258_265:
	s_mov_b32 s26, 0
	s_mov_b32 s24, 0x7f800001
	s_cbranch_execz .LBB258_267
; %bb.266:
	s_and_b32 s24, 0xffff, s25
	s_delay_alu instid0(SALU_CYCLE_1)
	s_cmp_lg_u32 s24, 0
	s_mov_b32 s24, 0
	s_cselect_b32 s26, -1, 0
.LBB258_267:
	s_delay_alu instid0(SALU_CYCLE_1)
	s_and_not1_b32 vcc_lo, exec_lo, s26
	s_cbranch_vccnz .LBB258_269
; %bb.268:
	s_mov_b32 s24, s3
.LBB258_269:
	v_and_b32_e32 v5, 0xff, v3
	s_mov_b32 s25, 0
	s_mov_b32 s26, exec_lo
	s_delay_alu instid0(VALU_DEP_1)
	v_cmpx_lt_i16_e32 0x7f, v5
	s_xor_b32 s26, exec_lo, s26
	s_cbranch_execnz .LBB258_279
; %bb.270:
	s_or_saveexec_b32 s26, s26
	v_mov_b32_e32 v4, 0x7f800001
	s_xor_b32 exec_lo, exec_lo, s26
	s_cbranch_execnz .LBB258_282
.LBB258_271:
	s_or_b32 exec_lo, exec_lo, s26
	s_and_saveexec_b32 s26, s25
	s_cbranch_execz .LBB258_273
.LBB258_272:
	v_bfe_u32 v4, v1, 16, 2
	v_bfe_u32 v7, v1, 18, 5
	v_lshlrev_b32_e32 v8, 24, v3
	s_delay_alu instid0(VALU_DEP_3) | instskip(NEXT) | instid1(VALU_DEP_3)
	v_clz_i32_u32_e32 v5, v4
	v_cmp_eq_u32_e32 vcc_lo, 0, v7
	s_delay_alu instid0(VALU_DEP_2) | instskip(NEXT) | instid1(VALU_DEP_1)
	v_min_u32_e32 v5, 32, v5
	v_subrev_nc_u32_e32 v6, 29, v5
	s_delay_alu instid0(VALU_DEP_1) | instskip(NEXT) | instid1(VALU_DEP_1)
	v_dual_sub_nc_u32 v5, 30, v5 :: v_dual_lshlrev_b32 v6, v6, v3
	v_dual_cndmask_b32 v5, v7, v5, vcc_lo :: v_dual_bitop2_b32 v6, 3, v6 bitop3:0x40
	s_delay_alu instid0(VALU_DEP_1) | instskip(SKIP_1) | instid1(VALU_DEP_3)
	v_cndmask_b32_e32 v4, v4, v6, vcc_lo
	v_and_b32_e32 v6, 0x80000000, v8
	v_lshl_add_u32 v5, v5, 23, 0x37800000
	s_delay_alu instid0(VALU_DEP_3) | instskip(NEXT) | instid1(VALU_DEP_1)
	v_lshlrev_b32_e32 v4, 21, v4
	v_or3_b32 v4, v6, v5, v4
.LBB258_273:
	s_or_b32 exec_lo, exec_lo, s26
	s_delay_alu instid0(VALU_DEP_1)
	v_cmp_neq_f32_e64 s24, s24, v4
.LBB258_274:
	v_cmp_ne_u32_e32 vcc_lo, 1, v2
	v_lshrrev_b32_e32 v2, 24, v1
	s_cbranch_vccnz .LBB258_557
.LBB258_275:
	s_and_b32 s26, s10, 0xff
	s_delay_alu instid0(SALU_CYCLE_1)
	s_cmp_lt_i32 s26, 0x80
	s_cbranch_scc1 .LBB258_283
; %bb.276:
	s_and_b32 s25, 0xffff, s26
	s_mov_b32 s27, -1
	s_cmp_eq_u32 s25, 0x80
	s_cbranch_scc0 .LBB258_278
; %bb.277:
	s_mov_b32 s27, 0
.LBB258_278:
	s_mov_b32 s25, 0x7f800001
	s_branch .LBB258_285
.LBB258_279:
	s_mov_b32 s25, -1
	s_mov_b32 s27, exec_lo
	v_cmpx_eq_u16_e32 0x80, v5
; %bb.280:
	s_xor_b32 s25, exec_lo, -1
; %bb.281:
	s_or_b32 exec_lo, exec_lo, s27
	s_delay_alu instid0(SALU_CYCLE_1)
	s_and_b32 s25, s25, exec_lo
                                        ; implicit-def: $vgpr5
	s_or_saveexec_b32 s26, s26
	v_mov_b32_e32 v4, 0x7f800001
	s_xor_b32 exec_lo, exec_lo, s26
	s_cbranch_execz .LBB258_271
.LBB258_282:
	v_cmp_ne_u16_e32 vcc_lo, 0, v5
	v_mov_b32_e32 v4, 0
	s_and_not1_b32 s25, s25, exec_lo
	s_and_b32 s27, vcc_lo, exec_lo
	s_delay_alu instid0(SALU_CYCLE_1)
	s_or_b32 s25, s25, s27
	s_or_b32 exec_lo, exec_lo, s26
	s_and_saveexec_b32 s26, s25
	s_cbranch_execnz .LBB258_272
	s_branch .LBB258_273
.LBB258_283:
	s_mov_b32 s27, 0
	s_mov_b32 s25, 0x7f800001
	s_cbranch_execz .LBB258_285
; %bb.284:
	s_and_b32 s25, 0xffff, s26
	s_delay_alu instid0(SALU_CYCLE_1)
	s_cmp_lg_u32 s25, 0
	s_mov_b32 s25, 0
	s_cselect_b32 s27, -1, 0
.LBB258_285:
	s_delay_alu instid0(SALU_CYCLE_1)
	s_and_not1_b32 vcc_lo, exec_lo, s27
	s_cbranch_vccnz .LBB258_287
; %bb.286:
	s_mov_b32 s25, s3
.LBB258_287:
	s_mov_b32 s26, 0
	s_mov_b32 s27, exec_lo
	v_cmpx_lt_i16_e32 0x7f, v2
	s_xor_b32 s27, exec_lo, s27
	s_cbranch_execnz .LBB258_292
; %bb.288:
	s_or_saveexec_b32 s27, s27
	v_mov_b32_e32 v3, 0x7f800001
	s_xor_b32 exec_lo, exec_lo, s27
	s_cbranch_execnz .LBB258_295
.LBB258_289:
	s_or_b32 exec_lo, exec_lo, s27
	s_and_saveexec_b32 s27, s26
	s_cbranch_execz .LBB258_291
.LBB258_290:
	v_bfe_u32 v3, v1, 24, 2
	v_bfe_u32 v6, v1, 26, 5
	s_delay_alu instid0(VALU_DEP_2) | instskip(NEXT) | instid1(VALU_DEP_2)
	v_clz_i32_u32_e32 v4, v3
	v_cmp_eq_u32_e32 vcc_lo, 0, v6
	s_delay_alu instid0(VALU_DEP_2) | instskip(NEXT) | instid1(VALU_DEP_1)
	v_min_u32_e32 v4, 32, v4
	v_subrev_nc_u32_e32 v5, 29, v4
	s_delay_alu instid0(VALU_DEP_1) | instskip(NEXT) | instid1(VALU_DEP_1)
	v_dual_sub_nc_u32 v4, 30, v4 :: v_dual_lshlrev_b32 v5, v5, v2
	v_dual_cndmask_b32 v4, v6, v4, vcc_lo :: v_dual_bitop2_b32 v5, 3, v5 bitop3:0x40
	s_delay_alu instid0(VALU_DEP_1) | instskip(NEXT) | instid1(VALU_DEP_2)
	v_lshl_add_u32 v4, v4, 23, 0x37800000
	v_cndmask_b32_e32 v3, v3, v5, vcc_lo
	v_and_b32_e32 v5, 0x80000000, v1
	s_delay_alu instid0(VALU_DEP_2) | instskip(NEXT) | instid1(VALU_DEP_1)
	v_lshlrev_b32_e32 v3, 21, v3
	v_or3_b32 v3, v5, v4, v3
.LBB258_291:
	s_or_b32 exec_lo, exec_lo, s27
	s_delay_alu instid0(VALU_DEP_1)
	v_cmp_neq_f32_e64 s25, s25, v3
	s_branch .LBB258_575
.LBB258_292:
	s_mov_b32 s26, -1
	s_mov_b32 s28, exec_lo
	v_cmpx_eq_u16_e32 0x80, v2
; %bb.293:
	s_xor_b32 s26, exec_lo, -1
; %bb.294:
	s_or_b32 exec_lo, exec_lo, s28
	s_delay_alu instid0(SALU_CYCLE_1)
	s_and_b32 s26, s26, exec_lo
	s_or_saveexec_b32 s27, s27
	v_mov_b32_e32 v3, 0x7f800001
	s_xor_b32 exec_lo, exec_lo, s27
	s_cbranch_execz .LBB258_289
.LBB258_295:
	v_cmp_ne_u16_e32 vcc_lo, 0, v2
	v_mov_b32_e32 v3, 0
	s_and_not1_b32 s26, s26, exec_lo
	s_and_b32 s28, vcc_lo, exec_lo
	s_delay_alu instid0(SALU_CYCLE_1)
	s_or_b32 s26, s26, s28
	s_or_b32 exec_lo, exec_lo, s27
	s_and_saveexec_b32 s27, s26
	s_cbranch_execnz .LBB258_290
	s_branch .LBB258_291
.LBB258_296:
	s_mov_b32 s13, 0
	s_mov_b32 s8, 0x7f800001
	s_cbranch_execz .LBB258_298
; %bb.297:
	s_and_b32 s8, 0xffff, s12
	s_delay_alu instid0(SALU_CYCLE_1)
	s_cmp_lg_u32 s8, 0
	s_mov_b32 s8, 0
	s_cselect_b32 s13, -1, 0
.LBB258_298:
	s_delay_alu instid0(SALU_CYCLE_1)
	s_and_not1_b32 vcc_lo, exec_lo, s13
	s_cbranch_vccnz .LBB258_300
; %bb.299:
	s_mov_b32 s8, s3
.LBB258_300:
	s_wait_loadcnt 0x3
	v_and_b32_e32 v6, 0xff, v5
	s_mov_b32 s12, 0
	s_mov_b32 s13, exec_lo
	s_delay_alu instid0(VALU_DEP_1)
	v_cmpx_lt_i16_e32 0x7f, v6
	s_xor_b32 s13, exec_lo, s13
	s_cbranch_execnz .LBB258_310
; %bb.301:
	s_or_saveexec_b32 s13, s13
	v_mov_b32_e32 v2, 0x7f800001
	s_xor_b32 exec_lo, exec_lo, s13
	s_cbranch_execnz .LBB258_313
.LBB258_302:
	s_or_b32 exec_lo, exec_lo, s13
	s_and_saveexec_b32 s13, s12
	s_cbranch_execz .LBB258_304
.LBB258_303:
	v_and_b32_e32 v2, 3, v5
	v_bfe_u32 v8, v5, 2, 5
	s_delay_alu instid0(VALU_DEP_2) | instskip(NEXT) | instid1(VALU_DEP_2)
	v_clz_i32_u32_e32 v6, v2
	v_cmp_eq_u32_e32 vcc_lo, 0, v8
	s_delay_alu instid0(VALU_DEP_2) | instskip(NEXT) | instid1(VALU_DEP_1)
	v_min_u32_e32 v6, 32, v6
	v_subrev_nc_u32_e32 v7, 29, v6
	s_delay_alu instid0(VALU_DEP_1) | instskip(NEXT) | instid1(VALU_DEP_1)
	v_dual_lshlrev_b32 v7, v7, v5 :: v_dual_sub_nc_u32 v6, 30, v6
	v_dual_lshlrev_b32 v9, 24, v5 :: v_dual_bitop2_b32 v7, 3, v7 bitop3:0x40
	s_delay_alu instid0(VALU_DEP_1) | instskip(NEXT) | instid1(VALU_DEP_2)
	v_dual_cndmask_b32 v6, v8, v6, vcc_lo :: v_dual_cndmask_b32 v2, v2, v7, vcc_lo
	v_and_b32_e32 v7, 0x80000000, v9
	s_delay_alu instid0(VALU_DEP_2) | instskip(NEXT) | instid1(VALU_DEP_3)
	v_lshl_add_u32 v6, v6, 23, 0x37800000
	v_lshlrev_b32_e32 v2, 21, v2
	s_delay_alu instid0(VALU_DEP_1)
	v_or3_b32 v2, v7, v6, v2
.LBB258_304:
	s_or_b32 exec_lo, exec_lo, s13
	s_delay_alu instid0(VALU_DEP_1)
	v_cmp_eq_f32_e64 s8, s8, v2
	v_cndmask_b32_e64 v2, 0, 1, s11
	v_lshrrev_b32_e32 v6, 8, v5
	s_and_not1_b32 vcc_lo, exec_lo, s11
	s_cbranch_vccz .LBB258_10
.LBB258_305:
                                        ; implicit-def: $sgpr11
	s_cbranch_execz .LBB258_36
; %bb.306:
	s_and_b32 s12, s10, 0xff
	s_delay_alu instid0(SALU_CYCLE_1)
	s_cmp_lt_i32 s12, 0x80
	s_cbranch_scc1 .LBB258_314
; %bb.307:
	s_and_b32 s11, 0xffff, s12
	s_mov_b32 s13, -1
	s_cmp_eq_u32 s11, 0x80
	s_cbranch_scc0 .LBB258_309
; %bb.308:
	s_mov_b32 s13, 0
.LBB258_309:
	s_mov_b32 s11, 0x7f800001
	s_branch .LBB258_316
.LBB258_310:
	s_mov_b32 s12, -1
	s_mov_b32 s14, exec_lo
	v_cmpx_eq_u16_e32 0x80, v6
; %bb.311:
	s_xor_b32 s12, exec_lo, -1
; %bb.312:
	s_or_b32 exec_lo, exec_lo, s14
	s_delay_alu instid0(SALU_CYCLE_1)
	s_and_b32 s12, s12, exec_lo
                                        ; implicit-def: $vgpr6
	s_or_saveexec_b32 s13, s13
	v_mov_b32_e32 v2, 0x7f800001
	s_xor_b32 exec_lo, exec_lo, s13
	s_cbranch_execz .LBB258_302
.LBB258_313:
	v_cmp_ne_u16_e32 vcc_lo, 0, v6
	v_mov_b32_e32 v2, 0
	s_and_not1_b32 s12, s12, exec_lo
	s_and_b32 s14, vcc_lo, exec_lo
	s_delay_alu instid0(SALU_CYCLE_1)
	s_or_b32 s12, s12, s14
	s_or_b32 exec_lo, exec_lo, s13
	s_and_saveexec_b32 s13, s12
	s_cbranch_execnz .LBB258_303
	s_branch .LBB258_304
.LBB258_314:
	s_mov_b32 s13, 0
	s_mov_b32 s11, 0x7f800001
	s_cbranch_execz .LBB258_316
; %bb.315:
	s_and_b32 s11, 0xffff, s12
	s_delay_alu instid0(SALU_CYCLE_1)
	s_cmp_lg_u32 s11, 0
	s_mov_b32 s11, 0
	s_cselect_b32 s13, -1, 0
.LBB258_316:
	s_delay_alu instid0(SALU_CYCLE_1)
	s_and_not1_b32 vcc_lo, exec_lo, s13
	s_cbranch_vccnz .LBB258_318
; %bb.317:
	s_mov_b32 s11, s3
.LBB258_318:
	v_and_b32_e32 v8, 0xff, v6
	s_mov_b32 s12, 0
	s_mov_b32 s13, exec_lo
	s_delay_alu instid0(VALU_DEP_1)
	v_cmpx_lt_i16_e32 0x7f, v8
	s_xor_b32 s13, exec_lo, s13
	s_cbranch_execnz .LBB258_328
; %bb.319:
	s_or_saveexec_b32 s13, s13
	v_mov_b32_e32 v7, 0x7f800001
	s_xor_b32 exec_lo, exec_lo, s13
	s_cbranch_execnz .LBB258_331
.LBB258_320:
	s_or_b32 exec_lo, exec_lo, s13
	s_and_saveexec_b32 s13, s12
	s_cbranch_execz .LBB258_322
.LBB258_321:
	v_bfe_u32 v7, v5, 8, 2
	v_bfe_u32 v10, v5, 10, 5
	s_delay_alu instid0(VALU_DEP_2) | instskip(NEXT) | instid1(VALU_DEP_2)
	v_clz_i32_u32_e32 v8, v7
	v_cmp_eq_u32_e32 vcc_lo, 0, v10
	s_delay_alu instid0(VALU_DEP_2) | instskip(NEXT) | instid1(VALU_DEP_1)
	v_min_u32_e32 v8, 32, v8
	v_subrev_nc_u32_e32 v9, 29, v8
	s_delay_alu instid0(VALU_DEP_1) | instskip(NEXT) | instid1(VALU_DEP_1)
	v_dual_sub_nc_u32 v8, 30, v8 :: v_dual_lshlrev_b32 v9, v9, v6
	v_dual_lshlrev_b32 v6, 24, v6 :: v_dual_bitop2_b32 v9, 3, v9 bitop3:0x40
	s_delay_alu instid0(VALU_DEP_2) | instskip(NEXT) | instid1(VALU_DEP_2)
	v_cndmask_b32_e32 v8, v10, v8, vcc_lo
	v_and_b32_e32 v6, 0x80000000, v6
	s_delay_alu instid0(VALU_DEP_3) | instskip(NEXT) | instid1(VALU_DEP_3)
	v_cndmask_b32_e32 v7, v7, v9, vcc_lo
	v_lshl_add_u32 v8, v8, 23, 0x37800000
	s_delay_alu instid0(VALU_DEP_2) | instskip(NEXT) | instid1(VALU_DEP_1)
	v_lshlrev_b32_e32 v7, 21, v7
	v_or3_b32 v7, v6, v8, v7
.LBB258_322:
	s_or_b32 exec_lo, exec_lo, s13
	s_delay_alu instid0(VALU_DEP_1)
	v_cmp_eq_f32_e64 s11, s11, v7
	v_cmp_ne_u32_e32 vcc_lo, 1, v2
	v_lshrrev_b32_e32 v6, 16, v5
	s_cbranch_vccz .LBB258_37
.LBB258_323:
                                        ; implicit-def: $sgpr12
	s_cbranch_execz .LBB258_58
; %bb.324:
	s_and_b32 s13, s10, 0xff
	s_delay_alu instid0(SALU_CYCLE_1)
	s_cmp_lt_i32 s13, 0x80
	s_cbranch_scc1 .LBB258_332
; %bb.325:
	s_and_b32 s12, 0xffff, s13
	s_mov_b32 s14, -1
	s_cmp_eq_u32 s12, 0x80
	s_cbranch_scc0 .LBB258_327
; %bb.326:
	s_mov_b32 s14, 0
.LBB258_327:
	s_mov_b32 s12, 0x7f800001
	s_branch .LBB258_334
.LBB258_328:
	s_mov_b32 s12, -1
	s_mov_b32 s14, exec_lo
	v_cmpx_eq_u16_e32 0x80, v8
; %bb.329:
	s_xor_b32 s12, exec_lo, -1
; %bb.330:
	s_or_b32 exec_lo, exec_lo, s14
	s_delay_alu instid0(SALU_CYCLE_1)
	s_and_b32 s12, s12, exec_lo
                                        ; implicit-def: $vgpr8
	s_or_saveexec_b32 s13, s13
	v_mov_b32_e32 v7, 0x7f800001
	s_xor_b32 exec_lo, exec_lo, s13
	s_cbranch_execz .LBB258_320
.LBB258_331:
	v_cmp_ne_u16_e32 vcc_lo, 0, v8
	v_mov_b32_e32 v7, 0
	s_and_not1_b32 s12, s12, exec_lo
	s_and_b32 s14, vcc_lo, exec_lo
	s_delay_alu instid0(SALU_CYCLE_1)
	s_or_b32 s12, s12, s14
	s_or_b32 exec_lo, exec_lo, s13
	s_and_saveexec_b32 s13, s12
	s_cbranch_execnz .LBB258_321
	s_branch .LBB258_322
.LBB258_332:
	s_mov_b32 s14, 0
	s_mov_b32 s12, 0x7f800001
	s_cbranch_execz .LBB258_334
; %bb.333:
	s_and_b32 s12, 0xffff, s13
	s_delay_alu instid0(SALU_CYCLE_1)
	s_cmp_lg_u32 s12, 0
	s_mov_b32 s12, 0
	s_cselect_b32 s14, -1, 0
.LBB258_334:
	s_delay_alu instid0(SALU_CYCLE_1)
	s_and_not1_b32 vcc_lo, exec_lo, s14
	s_cbranch_vccnz .LBB258_336
; %bb.335:
	s_mov_b32 s12, s3
.LBB258_336:
	v_and_b32_e32 v8, 0xff, v6
	s_mov_b32 s13, 0
	s_mov_b32 s14, exec_lo
	s_delay_alu instid0(VALU_DEP_1)
	v_cmpx_lt_i16_e32 0x7f, v8
	s_xor_b32 s14, exec_lo, s14
	s_cbranch_execnz .LBB258_346
; %bb.337:
	s_or_saveexec_b32 s14, s14
	v_mov_b32_e32 v7, 0x7f800001
	s_xor_b32 exec_lo, exec_lo, s14
	s_cbranch_execnz .LBB258_349
.LBB258_338:
	s_or_b32 exec_lo, exec_lo, s14
	s_and_saveexec_b32 s14, s13
	s_cbranch_execz .LBB258_340
.LBB258_339:
	v_bfe_u32 v7, v5, 16, 2
	v_bfe_u32 v10, v5, 18, 5
	s_delay_alu instid0(VALU_DEP_2) | instskip(NEXT) | instid1(VALU_DEP_2)
	v_clz_i32_u32_e32 v8, v7
	v_cmp_eq_u32_e32 vcc_lo, 0, v10
	s_delay_alu instid0(VALU_DEP_2) | instskip(NEXT) | instid1(VALU_DEP_1)
	v_min_u32_e32 v8, 32, v8
	v_subrev_nc_u32_e32 v9, 29, v8
	s_delay_alu instid0(VALU_DEP_1) | instskip(NEXT) | instid1(VALU_DEP_1)
	v_dual_sub_nc_u32 v8, 30, v8 :: v_dual_lshlrev_b32 v9, v9, v6
	v_dual_lshlrev_b32 v6, 24, v6 :: v_dual_bitop2_b32 v9, 3, v9 bitop3:0x40
	s_delay_alu instid0(VALU_DEP_2) | instskip(NEXT) | instid1(VALU_DEP_2)
	v_cndmask_b32_e32 v8, v10, v8, vcc_lo
	v_and_b32_e32 v6, 0x80000000, v6
	s_delay_alu instid0(VALU_DEP_3) | instskip(NEXT) | instid1(VALU_DEP_3)
	v_cndmask_b32_e32 v7, v7, v9, vcc_lo
	v_lshl_add_u32 v8, v8, 23, 0x37800000
	s_delay_alu instid0(VALU_DEP_2) | instskip(NEXT) | instid1(VALU_DEP_1)
	v_lshlrev_b32_e32 v7, 21, v7
	v_or3_b32 v7, v6, v8, v7
.LBB258_340:
	s_or_b32 exec_lo, exec_lo, s14
	s_delay_alu instid0(VALU_DEP_1)
	v_cmp_eq_f32_e64 s12, s12, v7
	v_cmp_ne_u32_e32 vcc_lo, 1, v2
	v_lshrrev_b32_e32 v6, 24, v5
	s_cbranch_vccz .LBB258_59
.LBB258_341:
                                        ; implicit-def: $sgpr13
	s_cbranch_execz .LBB258_76
; %bb.342:
	s_and_b32 s14, s10, 0xff
	s_delay_alu instid0(SALU_CYCLE_1)
	s_cmp_lt_i32 s14, 0x80
	s_cbranch_scc1 .LBB258_350
; %bb.343:
	s_and_b32 s13, 0xffff, s14
	s_mov_b32 s15, -1
	s_cmp_eq_u32 s13, 0x80
	s_cbranch_scc0 .LBB258_345
; %bb.344:
	s_mov_b32 s15, 0
.LBB258_345:
	s_mov_b32 s13, 0x7f800001
	s_branch .LBB258_352
.LBB258_346:
	s_mov_b32 s13, -1
	s_mov_b32 s15, exec_lo
	v_cmpx_eq_u16_e32 0x80, v8
; %bb.347:
	s_xor_b32 s13, exec_lo, -1
; %bb.348:
	s_or_b32 exec_lo, exec_lo, s15
	s_delay_alu instid0(SALU_CYCLE_1)
	s_and_b32 s13, s13, exec_lo
                                        ; implicit-def: $vgpr8
	s_or_saveexec_b32 s14, s14
	v_mov_b32_e32 v7, 0x7f800001
	s_xor_b32 exec_lo, exec_lo, s14
	s_cbranch_execz .LBB258_338
.LBB258_349:
	v_cmp_ne_u16_e32 vcc_lo, 0, v8
	v_mov_b32_e32 v7, 0
	s_and_not1_b32 s13, s13, exec_lo
	s_and_b32 s15, vcc_lo, exec_lo
	s_delay_alu instid0(SALU_CYCLE_1)
	s_or_b32 s13, s13, s15
	s_or_b32 exec_lo, exec_lo, s14
	s_and_saveexec_b32 s14, s13
	s_cbranch_execnz .LBB258_339
	s_branch .LBB258_340
.LBB258_350:
	s_mov_b32 s15, 0
	s_mov_b32 s13, 0x7f800001
	s_cbranch_execz .LBB258_352
; %bb.351:
	s_and_b32 s13, 0xffff, s14
	s_delay_alu instid0(SALU_CYCLE_1)
	s_cmp_lg_u32 s13, 0
	s_mov_b32 s13, 0
	s_cselect_b32 s15, -1, 0
.LBB258_352:
	s_delay_alu instid0(SALU_CYCLE_1)
	s_and_not1_b32 vcc_lo, exec_lo, s15
	s_cbranch_vccnz .LBB258_354
; %bb.353:
	s_mov_b32 s13, s3
.LBB258_354:
	s_mov_b32 s14, 0
	s_mov_b32 s15, exec_lo
	v_cmpx_lt_i16_e32 0x7f, v6
	s_xor_b32 s15, exec_lo, s15
	s_cbranch_execnz .LBB258_364
; %bb.355:
	s_or_saveexec_b32 s15, s15
	v_mov_b32_e32 v7, 0x7f800001
	s_xor_b32 exec_lo, exec_lo, s15
	s_cbranch_execnz .LBB258_367
.LBB258_356:
	s_or_b32 exec_lo, exec_lo, s15
	s_and_saveexec_b32 s15, s14
	s_cbranch_execz .LBB258_358
.LBB258_357:
	v_bfe_u32 v7, v5, 24, 2
	s_delay_alu instid0(VALU_DEP_1) | instskip(NEXT) | instid1(VALU_DEP_1)
	v_clz_i32_u32_e32 v8, v7
	v_min_u32_e32 v8, 32, v8
	s_delay_alu instid0(VALU_DEP_1) | instskip(NEXT) | instid1(VALU_DEP_1)
	v_subrev_nc_u32_e32 v9, 29, v8
	v_dual_sub_nc_u32 v8, 30, v8 :: v_dual_lshlrev_b32 v6, v9, v6
	v_bfe_u32 v9, v5, 26, 5
	v_and_b32_e32 v5, 0x80000000, v5
	s_delay_alu instid0(VALU_DEP_2) | instskip(NEXT) | instid1(VALU_DEP_4)
	v_cmp_eq_u32_e32 vcc_lo, 0, v9
	v_dual_cndmask_b32 v8, v9, v8, vcc_lo :: v_dual_bitop2_b32 v6, 3, v6 bitop3:0x40
	s_delay_alu instid0(VALU_DEP_1) | instskip(NEXT) | instid1(VALU_DEP_2)
	v_cndmask_b32_e32 v6, v7, v6, vcc_lo
	v_lshl_add_u32 v7, v8, 23, 0x37800000
	s_delay_alu instid0(VALU_DEP_2) | instskip(NEXT) | instid1(VALU_DEP_1)
	v_lshlrev_b32_e32 v6, 21, v6
	v_or3_b32 v7, v5, v7, v6
.LBB258_358:
	s_or_b32 exec_lo, exec_lo, s15
	s_delay_alu instid0(VALU_DEP_1)
	v_cmp_eq_f32_e64 s13, s13, v7
	v_cmp_ne_u32_e32 vcc_lo, 1, v2
	s_cbranch_vccz .LBB258_77
.LBB258_359:
                                        ; implicit-def: $sgpr14
	s_cbranch_execz .LBB258_94
; %bb.360:
	s_and_b32 s15, s10, 0xff
	s_delay_alu instid0(SALU_CYCLE_1)
	s_cmp_lt_i32 s15, 0x80
	s_cbranch_scc1 .LBB258_368
; %bb.361:
	s_and_b32 s14, 0xffff, s15
	s_mov_b32 s16, -1
	s_cmp_eq_u32 s14, 0x80
	s_cbranch_scc0 .LBB258_363
; %bb.362:
	s_mov_b32 s16, 0
.LBB258_363:
	s_mov_b32 s14, 0x7f800001
	s_branch .LBB258_370
.LBB258_364:
	s_mov_b32 s14, -1
	s_mov_b32 s16, exec_lo
	v_cmpx_eq_u16_e32 0x80, v6
; %bb.365:
	s_xor_b32 s14, exec_lo, -1
; %bb.366:
	s_or_b32 exec_lo, exec_lo, s16
	s_delay_alu instid0(SALU_CYCLE_1)
	s_and_b32 s14, s14, exec_lo
	s_or_saveexec_b32 s15, s15
	v_mov_b32_e32 v7, 0x7f800001
	s_xor_b32 exec_lo, exec_lo, s15
	s_cbranch_execz .LBB258_356
.LBB258_367:
	v_cmp_ne_u16_e32 vcc_lo, 0, v6
	v_mov_b32_e32 v7, 0
	s_and_not1_b32 s14, s14, exec_lo
	s_and_b32 s16, vcc_lo, exec_lo
	s_delay_alu instid0(SALU_CYCLE_1)
	s_or_b32 s14, s14, s16
	s_or_b32 exec_lo, exec_lo, s15
	s_and_saveexec_b32 s15, s14
	s_cbranch_execnz .LBB258_357
	s_branch .LBB258_358
.LBB258_368:
	s_mov_b32 s16, 0
	s_mov_b32 s14, 0x7f800001
	s_cbranch_execz .LBB258_370
; %bb.369:
	s_and_b32 s14, 0xffff, s15
	s_delay_alu instid0(SALU_CYCLE_1)
	s_cmp_lg_u32 s14, 0
	s_mov_b32 s14, 0
	s_cselect_b32 s16, -1, 0
.LBB258_370:
	s_delay_alu instid0(SALU_CYCLE_1)
	s_and_not1_b32 vcc_lo, exec_lo, s16
	s_cbranch_vccnz .LBB258_372
; %bb.371:
	s_mov_b32 s14, s3
.LBB258_372:
	s_wait_loadcnt 0x2
	v_and_b32_e32 v6, 0xff, v4
	s_mov_b32 s15, 0
	s_mov_b32 s16, exec_lo
	s_delay_alu instid0(VALU_DEP_1)
	v_cmpx_lt_i16_e32 0x7f, v6
	s_xor_b32 s16, exec_lo, s16
	s_cbranch_execnz .LBB258_382
; %bb.373:
	s_or_saveexec_b32 s16, s16
	v_mov_b32_e32 v5, 0x7f800001
	s_xor_b32 exec_lo, exec_lo, s16
	s_cbranch_execnz .LBB258_385
.LBB258_374:
	s_or_b32 exec_lo, exec_lo, s16
	s_and_saveexec_b32 s16, s15
	s_cbranch_execz .LBB258_376
.LBB258_375:
	v_and_b32_e32 v5, 3, v4
	v_bfe_u32 v8, v4, 2, 5
	s_delay_alu instid0(VALU_DEP_2) | instskip(NEXT) | instid1(VALU_DEP_2)
	v_clz_i32_u32_e32 v6, v5
	v_cmp_eq_u32_e32 vcc_lo, 0, v8
	s_delay_alu instid0(VALU_DEP_2) | instskip(NEXT) | instid1(VALU_DEP_1)
	v_min_u32_e32 v6, 32, v6
	v_subrev_nc_u32_e32 v7, 29, v6
	s_delay_alu instid0(VALU_DEP_1) | instskip(NEXT) | instid1(VALU_DEP_1)
	v_dual_lshlrev_b32 v7, v7, v4 :: v_dual_sub_nc_u32 v6, 30, v6
	v_dual_lshlrev_b32 v9, 24, v4 :: v_dual_bitop2_b32 v7, 3, v7 bitop3:0x40
	s_delay_alu instid0(VALU_DEP_1) | instskip(NEXT) | instid1(VALU_DEP_2)
	v_dual_cndmask_b32 v6, v8, v6 :: v_dual_cndmask_b32 v5, v5, v7
	v_and_b32_e32 v7, 0x80000000, v9
	s_delay_alu instid0(VALU_DEP_2) | instskip(NEXT) | instid1(VALU_DEP_3)
	v_lshl_add_u32 v6, v6, 23, 0x37800000
	v_lshlrev_b32_e32 v5, 21, v5
	s_delay_alu instid0(VALU_DEP_1)
	v_or3_b32 v5, v7, v6, v5
.LBB258_376:
	s_or_b32 exec_lo, exec_lo, s16
	s_delay_alu instid0(VALU_DEP_1)
	v_cmp_eq_f32_e64 s14, s14, v5
	v_cmp_ne_u32_e32 vcc_lo, 1, v2
	v_lshrrev_b32_e32 v5, 8, v4
	s_cbranch_vccz .LBB258_95
.LBB258_377:
                                        ; implicit-def: $sgpr15
	s_cbranch_execz .LBB258_112
; %bb.378:
	s_and_b32 s16, s10, 0xff
	s_delay_alu instid0(SALU_CYCLE_1)
	s_cmp_lt_i32 s16, 0x80
	s_cbranch_scc1 .LBB258_386
; %bb.379:
	s_and_b32 s15, 0xffff, s16
	s_mov_b32 s17, -1
	s_cmp_eq_u32 s15, 0x80
	s_cbranch_scc0 .LBB258_381
; %bb.380:
	s_mov_b32 s17, 0
.LBB258_381:
	s_mov_b32 s15, 0x7f800001
	s_branch .LBB258_388
.LBB258_382:
	s_mov_b32 s15, -1
	s_mov_b32 s17, exec_lo
	v_cmpx_eq_u16_e32 0x80, v6
; %bb.383:
	s_xor_b32 s15, exec_lo, -1
; %bb.384:
	s_or_b32 exec_lo, exec_lo, s17
	s_delay_alu instid0(SALU_CYCLE_1)
	s_and_b32 s15, s15, exec_lo
                                        ; implicit-def: $vgpr6
	s_or_saveexec_b32 s16, s16
	v_mov_b32_e32 v5, 0x7f800001
	s_xor_b32 exec_lo, exec_lo, s16
	s_cbranch_execz .LBB258_374
.LBB258_385:
	v_cmp_ne_u16_e32 vcc_lo, 0, v6
	v_mov_b32_e32 v5, 0
	s_and_not1_b32 s15, s15, exec_lo
	s_and_b32 s17, vcc_lo, exec_lo
	s_delay_alu instid0(SALU_CYCLE_1)
	s_or_b32 s15, s15, s17
	s_or_b32 exec_lo, exec_lo, s16
	s_and_saveexec_b32 s16, s15
	s_cbranch_execnz .LBB258_375
	s_branch .LBB258_376
.LBB258_386:
	s_mov_b32 s17, 0
	s_mov_b32 s15, 0x7f800001
	s_cbranch_execz .LBB258_388
; %bb.387:
	s_and_b32 s15, 0xffff, s16
	s_delay_alu instid0(SALU_CYCLE_1)
	s_cmp_lg_u32 s15, 0
	s_mov_b32 s15, 0
	s_cselect_b32 s17, -1, 0
.LBB258_388:
	s_delay_alu instid0(SALU_CYCLE_1)
	s_and_not1_b32 vcc_lo, exec_lo, s17
	s_cbranch_vccnz .LBB258_390
; %bb.389:
	s_mov_b32 s15, s3
.LBB258_390:
	v_and_b32_e32 v7, 0xff, v5
	s_mov_b32 s16, 0
	s_mov_b32 s17, exec_lo
	s_delay_alu instid0(VALU_DEP_1)
	v_cmpx_lt_i16_e32 0x7f, v7
	s_xor_b32 s17, exec_lo, s17
	s_cbranch_execnz .LBB258_400
; %bb.391:
	s_or_saveexec_b32 s17, s17
	v_mov_b32_e32 v6, 0x7f800001
	s_xor_b32 exec_lo, exec_lo, s17
	s_cbranch_execnz .LBB258_403
.LBB258_392:
	s_or_b32 exec_lo, exec_lo, s17
	s_and_saveexec_b32 s17, s16
	s_cbranch_execz .LBB258_394
.LBB258_393:
	v_bfe_u32 v6, v4, 8, 2
	v_bfe_u32 v9, v4, 10, 5
	s_delay_alu instid0(VALU_DEP_2) | instskip(NEXT) | instid1(VALU_DEP_2)
	v_clz_i32_u32_e32 v7, v6
	v_cmp_eq_u32_e32 vcc_lo, 0, v9
	s_delay_alu instid0(VALU_DEP_2) | instskip(NEXT) | instid1(VALU_DEP_1)
	v_min_u32_e32 v7, 32, v7
	v_subrev_nc_u32_e32 v8, 29, v7
	s_delay_alu instid0(VALU_DEP_1) | instskip(NEXT) | instid1(VALU_DEP_1)
	v_dual_sub_nc_u32 v7, 30, v7 :: v_dual_lshlrev_b32 v8, v8, v5
	v_dual_lshlrev_b32 v5, 24, v5 :: v_dual_bitop2_b32 v8, 3, v8 bitop3:0x40
	s_delay_alu instid0(VALU_DEP_2) | instskip(NEXT) | instid1(VALU_DEP_2)
	v_cndmask_b32_e32 v7, v9, v7, vcc_lo
	v_and_b32_e32 v5, 0x80000000, v5
	s_delay_alu instid0(VALU_DEP_3) | instskip(NEXT) | instid1(VALU_DEP_3)
	v_cndmask_b32_e32 v6, v6, v8, vcc_lo
	v_lshl_add_u32 v7, v7, 23, 0x37800000
	s_delay_alu instid0(VALU_DEP_2) | instskip(NEXT) | instid1(VALU_DEP_1)
	v_lshlrev_b32_e32 v6, 21, v6
	v_or3_b32 v6, v5, v7, v6
.LBB258_394:
	s_or_b32 exec_lo, exec_lo, s17
	s_delay_alu instid0(VALU_DEP_1)
	v_cmp_eq_f32_e64 s15, s15, v6
	v_cmp_ne_u32_e32 vcc_lo, 1, v2
	v_lshrrev_b32_e32 v5, 16, v4
	s_cbranch_vccz .LBB258_113
.LBB258_395:
                                        ; implicit-def: $sgpr16
	s_cbranch_execz .LBB258_130
; %bb.396:
	s_and_b32 s17, s10, 0xff
	s_delay_alu instid0(SALU_CYCLE_1)
	s_cmp_lt_i32 s17, 0x80
	s_cbranch_scc1 .LBB258_404
; %bb.397:
	s_and_b32 s16, 0xffff, s17
	s_mov_b32 s18, -1
	s_cmp_eq_u32 s16, 0x80
	s_cbranch_scc0 .LBB258_399
; %bb.398:
	s_mov_b32 s18, 0
.LBB258_399:
	s_mov_b32 s16, 0x7f800001
	s_branch .LBB258_406
.LBB258_400:
	s_mov_b32 s16, -1
	s_mov_b32 s18, exec_lo
	v_cmpx_eq_u16_e32 0x80, v7
; %bb.401:
	s_xor_b32 s16, exec_lo, -1
; %bb.402:
	s_or_b32 exec_lo, exec_lo, s18
	s_delay_alu instid0(SALU_CYCLE_1)
	s_and_b32 s16, s16, exec_lo
                                        ; implicit-def: $vgpr7
	s_or_saveexec_b32 s17, s17
	v_mov_b32_e32 v6, 0x7f800001
	s_xor_b32 exec_lo, exec_lo, s17
	s_cbranch_execz .LBB258_392
.LBB258_403:
	v_cmp_ne_u16_e32 vcc_lo, 0, v7
	v_mov_b32_e32 v6, 0
	s_and_not1_b32 s16, s16, exec_lo
	s_and_b32 s18, vcc_lo, exec_lo
	s_delay_alu instid0(SALU_CYCLE_1)
	s_or_b32 s16, s16, s18
	s_or_b32 exec_lo, exec_lo, s17
	s_and_saveexec_b32 s17, s16
	s_cbranch_execnz .LBB258_393
	s_branch .LBB258_394
.LBB258_404:
	s_mov_b32 s18, 0
	s_mov_b32 s16, 0x7f800001
	s_cbranch_execz .LBB258_406
; %bb.405:
	s_and_b32 s16, 0xffff, s17
	s_delay_alu instid0(SALU_CYCLE_1)
	s_cmp_lg_u32 s16, 0
	s_mov_b32 s16, 0
	s_cselect_b32 s18, -1, 0
.LBB258_406:
	s_delay_alu instid0(SALU_CYCLE_1)
	s_and_not1_b32 vcc_lo, exec_lo, s18
	s_cbranch_vccnz .LBB258_408
; %bb.407:
	s_mov_b32 s16, s3
.LBB258_408:
	v_and_b32_e32 v7, 0xff, v5
	s_mov_b32 s17, 0
	s_mov_b32 s18, exec_lo
	s_delay_alu instid0(VALU_DEP_1)
	v_cmpx_lt_i16_e32 0x7f, v7
	s_xor_b32 s18, exec_lo, s18
	s_cbranch_execnz .LBB258_418
; %bb.409:
	s_or_saveexec_b32 s18, s18
	v_mov_b32_e32 v6, 0x7f800001
	s_xor_b32 exec_lo, exec_lo, s18
	s_cbranch_execnz .LBB258_421
.LBB258_410:
	s_or_b32 exec_lo, exec_lo, s18
	s_and_saveexec_b32 s18, s17
	s_cbranch_execz .LBB258_412
.LBB258_411:
	v_bfe_u32 v6, v4, 16, 2
	v_bfe_u32 v9, v4, 18, 5
	s_delay_alu instid0(VALU_DEP_2) | instskip(NEXT) | instid1(VALU_DEP_2)
	v_clz_i32_u32_e32 v7, v6
	v_cmp_eq_u32_e32 vcc_lo, 0, v9
	s_delay_alu instid0(VALU_DEP_2) | instskip(NEXT) | instid1(VALU_DEP_1)
	v_min_u32_e32 v7, 32, v7
	v_subrev_nc_u32_e32 v8, 29, v7
	s_delay_alu instid0(VALU_DEP_1) | instskip(NEXT) | instid1(VALU_DEP_1)
	v_dual_sub_nc_u32 v7, 30, v7 :: v_dual_lshlrev_b32 v8, v8, v5
	v_dual_lshlrev_b32 v5, 24, v5 :: v_dual_bitop2_b32 v8, 3, v8 bitop3:0x40
	s_delay_alu instid0(VALU_DEP_2) | instskip(NEXT) | instid1(VALU_DEP_2)
	v_cndmask_b32_e32 v7, v9, v7, vcc_lo
	v_and_b32_e32 v5, 0x80000000, v5
	s_delay_alu instid0(VALU_DEP_3) | instskip(NEXT) | instid1(VALU_DEP_3)
	v_cndmask_b32_e32 v6, v6, v8, vcc_lo
	v_lshl_add_u32 v7, v7, 23, 0x37800000
	s_delay_alu instid0(VALU_DEP_2) | instskip(NEXT) | instid1(VALU_DEP_1)
	v_lshlrev_b32_e32 v6, 21, v6
	v_or3_b32 v6, v5, v7, v6
.LBB258_412:
	s_or_b32 exec_lo, exec_lo, s18
	s_delay_alu instid0(VALU_DEP_1)
	v_cmp_eq_f32_e64 s16, s16, v6
	v_cmp_ne_u32_e32 vcc_lo, 1, v2
	v_lshrrev_b32_e32 v5, 24, v4
	s_cbranch_vccz .LBB258_131
.LBB258_413:
                                        ; implicit-def: $sgpr17
	s_cbranch_execz .LBB258_148
; %bb.414:
	s_and_b32 s18, s10, 0xff
	s_delay_alu instid0(SALU_CYCLE_1)
	s_cmp_lt_i32 s18, 0x80
	s_cbranch_scc1 .LBB258_422
; %bb.415:
	s_and_b32 s17, 0xffff, s18
	s_mov_b32 s19, -1
	s_cmp_eq_u32 s17, 0x80
	s_cbranch_scc0 .LBB258_417
; %bb.416:
	s_mov_b32 s19, 0
.LBB258_417:
	s_mov_b32 s17, 0x7f800001
	s_branch .LBB258_424
.LBB258_418:
	s_mov_b32 s17, -1
	s_mov_b32 s19, exec_lo
	v_cmpx_eq_u16_e32 0x80, v7
; %bb.419:
	s_xor_b32 s17, exec_lo, -1
; %bb.420:
	s_or_b32 exec_lo, exec_lo, s19
	s_delay_alu instid0(SALU_CYCLE_1)
	s_and_b32 s17, s17, exec_lo
                                        ; implicit-def: $vgpr7
	s_or_saveexec_b32 s18, s18
	v_mov_b32_e32 v6, 0x7f800001
	s_xor_b32 exec_lo, exec_lo, s18
	s_cbranch_execz .LBB258_410
.LBB258_421:
	v_cmp_ne_u16_e32 vcc_lo, 0, v7
	v_mov_b32_e32 v6, 0
	s_and_not1_b32 s17, s17, exec_lo
	s_and_b32 s19, vcc_lo, exec_lo
	s_delay_alu instid0(SALU_CYCLE_1)
	s_or_b32 s17, s17, s19
	s_or_b32 exec_lo, exec_lo, s18
	s_and_saveexec_b32 s18, s17
	s_cbranch_execnz .LBB258_411
	s_branch .LBB258_412
.LBB258_422:
	s_mov_b32 s19, 0
	s_mov_b32 s17, 0x7f800001
	s_cbranch_execz .LBB258_424
; %bb.423:
	s_and_b32 s17, 0xffff, s18
	s_delay_alu instid0(SALU_CYCLE_1)
	s_cmp_lg_u32 s17, 0
	s_mov_b32 s17, 0
	s_cselect_b32 s19, -1, 0
.LBB258_424:
	s_delay_alu instid0(SALU_CYCLE_1)
	s_and_not1_b32 vcc_lo, exec_lo, s19
	s_cbranch_vccnz .LBB258_426
; %bb.425:
	s_mov_b32 s17, s3
.LBB258_426:
	s_mov_b32 s18, 0
	s_mov_b32 s19, exec_lo
	v_cmpx_lt_i16_e32 0x7f, v5
	s_xor_b32 s19, exec_lo, s19
	s_cbranch_execnz .LBB258_436
; %bb.427:
	s_or_saveexec_b32 s19, s19
	v_mov_b32_e32 v6, 0x7f800001
	s_xor_b32 exec_lo, exec_lo, s19
	s_cbranch_execnz .LBB258_439
.LBB258_428:
	s_or_b32 exec_lo, exec_lo, s19
	s_and_saveexec_b32 s19, s18
	s_cbranch_execz .LBB258_430
.LBB258_429:
	v_bfe_u32 v6, v4, 24, 2
	s_delay_alu instid0(VALU_DEP_1) | instskip(NEXT) | instid1(VALU_DEP_1)
	v_clz_i32_u32_e32 v7, v6
	v_min_u32_e32 v7, 32, v7
	s_delay_alu instid0(VALU_DEP_1) | instskip(NEXT) | instid1(VALU_DEP_1)
	v_subrev_nc_u32_e32 v8, 29, v7
	v_dual_sub_nc_u32 v7, 30, v7 :: v_dual_lshlrev_b32 v5, v8, v5
	v_bfe_u32 v8, v4, 26, 5
	v_and_b32_e32 v4, 0x80000000, v4
	s_delay_alu instid0(VALU_DEP_2) | instskip(NEXT) | instid1(VALU_DEP_4)
	v_cmp_eq_u32_e32 vcc_lo, 0, v8
	v_dual_cndmask_b32 v7, v8, v7, vcc_lo :: v_dual_bitop2_b32 v5, 3, v5 bitop3:0x40
	s_delay_alu instid0(VALU_DEP_1) | instskip(NEXT) | instid1(VALU_DEP_2)
	v_cndmask_b32_e32 v5, v6, v5, vcc_lo
	v_lshl_add_u32 v6, v7, 23, 0x37800000
	s_delay_alu instid0(VALU_DEP_2) | instskip(NEXT) | instid1(VALU_DEP_1)
	v_lshlrev_b32_e32 v5, 21, v5
	v_or3_b32 v6, v4, v6, v5
.LBB258_430:
	s_or_b32 exec_lo, exec_lo, s19
	s_delay_alu instid0(VALU_DEP_1)
	v_cmp_eq_f32_e64 s17, s17, v6
	v_cmp_ne_u32_e32 vcc_lo, 1, v2
	s_cbranch_vccz .LBB258_149
.LBB258_431:
                                        ; implicit-def: $sgpr18
	s_cbranch_execz .LBB258_166
; %bb.432:
	s_and_b32 s19, s10, 0xff
	s_delay_alu instid0(SALU_CYCLE_1)
	s_cmp_lt_i32 s19, 0x80
	s_cbranch_scc1 .LBB258_440
; %bb.433:
	s_and_b32 s18, 0xffff, s19
	s_mov_b32 s20, -1
	s_cmp_eq_u32 s18, 0x80
	s_cbranch_scc0 .LBB258_435
; %bb.434:
	s_mov_b32 s20, 0
.LBB258_435:
	s_mov_b32 s18, 0x7f800001
	s_branch .LBB258_442
.LBB258_436:
	s_mov_b32 s18, -1
	s_mov_b32 s20, exec_lo
	v_cmpx_eq_u16_e32 0x80, v5
; %bb.437:
	s_xor_b32 s18, exec_lo, -1
; %bb.438:
	s_or_b32 exec_lo, exec_lo, s20
	s_delay_alu instid0(SALU_CYCLE_1)
	s_and_b32 s18, s18, exec_lo
	s_or_saveexec_b32 s19, s19
	v_mov_b32_e32 v6, 0x7f800001
	s_xor_b32 exec_lo, exec_lo, s19
	s_cbranch_execz .LBB258_428
.LBB258_439:
	v_cmp_ne_u16_e32 vcc_lo, 0, v5
	v_mov_b32_e32 v6, 0
	s_and_not1_b32 s18, s18, exec_lo
	s_and_b32 s20, vcc_lo, exec_lo
	s_delay_alu instid0(SALU_CYCLE_1)
	s_or_b32 s18, s18, s20
	s_or_b32 exec_lo, exec_lo, s19
	s_and_saveexec_b32 s19, s18
	s_cbranch_execnz .LBB258_429
	s_branch .LBB258_430
.LBB258_440:
	s_mov_b32 s20, 0
	s_mov_b32 s18, 0x7f800001
	s_cbranch_execz .LBB258_442
; %bb.441:
	s_and_b32 s18, 0xffff, s19
	s_delay_alu instid0(SALU_CYCLE_1)
	s_cmp_lg_u32 s18, 0
	s_mov_b32 s18, 0
	s_cselect_b32 s20, -1, 0
.LBB258_442:
	s_delay_alu instid0(SALU_CYCLE_1)
	s_and_not1_b32 vcc_lo, exec_lo, s20
	s_cbranch_vccnz .LBB258_444
; %bb.443:
	s_mov_b32 s18, s3
.LBB258_444:
	s_wait_loadcnt 0x1
	v_and_b32_e32 v5, 0xff, v3
	s_mov_b32 s19, 0
	s_mov_b32 s20, exec_lo
	s_delay_alu instid0(VALU_DEP_1)
	v_cmpx_lt_i16_e32 0x7f, v5
	s_xor_b32 s20, exec_lo, s20
	s_cbranch_execnz .LBB258_454
; %bb.445:
	s_or_saveexec_b32 s20, s20
	v_mov_b32_e32 v4, 0x7f800001
	s_xor_b32 exec_lo, exec_lo, s20
	s_cbranch_execnz .LBB258_457
.LBB258_446:
	s_or_b32 exec_lo, exec_lo, s20
	s_and_saveexec_b32 s20, s19
	s_cbranch_execz .LBB258_448
.LBB258_447:
	v_and_b32_e32 v4, 3, v3
	v_bfe_u32 v7, v3, 2, 5
	s_delay_alu instid0(VALU_DEP_2) | instskip(NEXT) | instid1(VALU_DEP_2)
	v_clz_i32_u32_e32 v5, v4
	v_cmp_eq_u32_e32 vcc_lo, 0, v7
	s_delay_alu instid0(VALU_DEP_2) | instskip(NEXT) | instid1(VALU_DEP_1)
	v_min_u32_e32 v5, 32, v5
	v_subrev_nc_u32_e32 v6, 29, v5
	s_delay_alu instid0(VALU_DEP_1) | instskip(NEXT) | instid1(VALU_DEP_1)
	v_dual_lshlrev_b32 v6, v6, v3 :: v_dual_sub_nc_u32 v5, 30, v5
	v_dual_lshlrev_b32 v8, 24, v3 :: v_dual_bitop2_b32 v6, 3, v6 bitop3:0x40
	s_delay_alu instid0(VALU_DEP_1) | instskip(NEXT) | instid1(VALU_DEP_2)
	v_dual_cndmask_b32 v5, v7, v5 :: v_dual_cndmask_b32 v4, v4, v6
	v_and_b32_e32 v6, 0x80000000, v8
	s_delay_alu instid0(VALU_DEP_2) | instskip(NEXT) | instid1(VALU_DEP_3)
	v_lshl_add_u32 v5, v5, 23, 0x37800000
	v_lshlrev_b32_e32 v4, 21, v4
	s_delay_alu instid0(VALU_DEP_1)
	v_or3_b32 v4, v6, v5, v4
.LBB258_448:
	s_or_b32 exec_lo, exec_lo, s20
	s_delay_alu instid0(VALU_DEP_1)
	v_cmp_eq_f32_e64 s18, s18, v4
	v_cmp_ne_u32_e32 vcc_lo, 1, v2
	v_lshrrev_b32_e32 v4, 8, v3
	s_cbranch_vccz .LBB258_167
.LBB258_449:
                                        ; implicit-def: $sgpr19
	s_cbranch_execz .LBB258_184
; %bb.450:
	s_and_b32 s20, s10, 0xff
	s_delay_alu instid0(SALU_CYCLE_1)
	s_cmp_lt_i32 s20, 0x80
	s_cbranch_scc1 .LBB258_458
; %bb.451:
	s_and_b32 s19, 0xffff, s20
	s_mov_b32 s21, -1
	s_cmp_eq_u32 s19, 0x80
	s_cbranch_scc0 .LBB258_453
; %bb.452:
	s_mov_b32 s21, 0
.LBB258_453:
	s_mov_b32 s19, 0x7f800001
	s_branch .LBB258_460
.LBB258_454:
	s_mov_b32 s19, -1
	s_mov_b32 s21, exec_lo
	v_cmpx_eq_u16_e32 0x80, v5
; %bb.455:
	s_xor_b32 s19, exec_lo, -1
; %bb.456:
	s_or_b32 exec_lo, exec_lo, s21
	s_delay_alu instid0(SALU_CYCLE_1)
	s_and_b32 s19, s19, exec_lo
                                        ; implicit-def: $vgpr5
	s_or_saveexec_b32 s20, s20
	v_mov_b32_e32 v4, 0x7f800001
	s_xor_b32 exec_lo, exec_lo, s20
	s_cbranch_execz .LBB258_446
.LBB258_457:
	v_cmp_ne_u16_e32 vcc_lo, 0, v5
	v_mov_b32_e32 v4, 0
	s_and_not1_b32 s19, s19, exec_lo
	s_and_b32 s21, vcc_lo, exec_lo
	s_delay_alu instid0(SALU_CYCLE_1)
	s_or_b32 s19, s19, s21
	s_or_b32 exec_lo, exec_lo, s20
	s_and_saveexec_b32 s20, s19
	s_cbranch_execnz .LBB258_447
	s_branch .LBB258_448
.LBB258_458:
	s_mov_b32 s21, 0
	s_mov_b32 s19, 0x7f800001
	s_cbranch_execz .LBB258_460
; %bb.459:
	s_and_b32 s19, 0xffff, s20
	s_delay_alu instid0(SALU_CYCLE_1)
	s_cmp_lg_u32 s19, 0
	s_mov_b32 s19, 0
	s_cselect_b32 s21, -1, 0
.LBB258_460:
	s_delay_alu instid0(SALU_CYCLE_1)
	s_and_not1_b32 vcc_lo, exec_lo, s21
	s_cbranch_vccnz .LBB258_462
; %bb.461:
	s_mov_b32 s19, s3
.LBB258_462:
	v_and_b32_e32 v6, 0xff, v4
	s_mov_b32 s20, 0
	s_mov_b32 s21, exec_lo
	s_delay_alu instid0(VALU_DEP_1)
	v_cmpx_lt_i16_e32 0x7f, v6
	s_xor_b32 s21, exec_lo, s21
	s_cbranch_execnz .LBB258_472
; %bb.463:
	s_or_saveexec_b32 s21, s21
	v_mov_b32_e32 v5, 0x7f800001
	s_xor_b32 exec_lo, exec_lo, s21
	s_cbranch_execnz .LBB258_475
.LBB258_464:
	s_or_b32 exec_lo, exec_lo, s21
	s_and_saveexec_b32 s21, s20
	s_cbranch_execz .LBB258_466
.LBB258_465:
	v_bfe_u32 v5, v3, 8, 2
	v_bfe_u32 v8, v3, 10, 5
	s_delay_alu instid0(VALU_DEP_2) | instskip(NEXT) | instid1(VALU_DEP_2)
	v_clz_i32_u32_e32 v6, v5
	v_cmp_eq_u32_e32 vcc_lo, 0, v8
	s_delay_alu instid0(VALU_DEP_2) | instskip(NEXT) | instid1(VALU_DEP_1)
	v_min_u32_e32 v6, 32, v6
	v_subrev_nc_u32_e32 v7, 29, v6
	s_delay_alu instid0(VALU_DEP_1) | instskip(NEXT) | instid1(VALU_DEP_1)
	v_dual_sub_nc_u32 v6, 30, v6 :: v_dual_lshlrev_b32 v7, v7, v4
	v_dual_lshlrev_b32 v4, 24, v4 :: v_dual_bitop2_b32 v7, 3, v7 bitop3:0x40
	s_delay_alu instid0(VALU_DEP_2) | instskip(NEXT) | instid1(VALU_DEP_2)
	v_cndmask_b32_e32 v6, v8, v6, vcc_lo
	v_and_b32_e32 v4, 0x80000000, v4
	s_delay_alu instid0(VALU_DEP_3) | instskip(NEXT) | instid1(VALU_DEP_3)
	v_cndmask_b32_e32 v5, v5, v7, vcc_lo
	v_lshl_add_u32 v6, v6, 23, 0x37800000
	s_delay_alu instid0(VALU_DEP_2) | instskip(NEXT) | instid1(VALU_DEP_1)
	v_lshlrev_b32_e32 v5, 21, v5
	v_or3_b32 v5, v4, v6, v5
.LBB258_466:
	s_or_b32 exec_lo, exec_lo, s21
	s_delay_alu instid0(VALU_DEP_1)
	v_cmp_eq_f32_e64 s19, s19, v5
	v_cmp_ne_u32_e32 vcc_lo, 1, v2
	v_lshrrev_b32_e32 v4, 16, v3
	s_cbranch_vccz .LBB258_185
.LBB258_467:
                                        ; implicit-def: $sgpr20
	s_cbranch_execz .LBB258_202
; %bb.468:
	s_and_b32 s21, s10, 0xff
	s_delay_alu instid0(SALU_CYCLE_1)
	s_cmp_lt_i32 s21, 0x80
	s_cbranch_scc1 .LBB258_476
; %bb.469:
	s_and_b32 s20, 0xffff, s21
	s_mov_b32 s22, -1
	s_cmp_eq_u32 s20, 0x80
	s_cbranch_scc0 .LBB258_471
; %bb.470:
	s_mov_b32 s22, 0
.LBB258_471:
	s_mov_b32 s20, 0x7f800001
	s_branch .LBB258_478
.LBB258_472:
	s_mov_b32 s20, -1
	s_mov_b32 s22, exec_lo
	v_cmpx_eq_u16_e32 0x80, v6
; %bb.473:
	s_xor_b32 s20, exec_lo, -1
; %bb.474:
	s_or_b32 exec_lo, exec_lo, s22
	s_delay_alu instid0(SALU_CYCLE_1)
	s_and_b32 s20, s20, exec_lo
                                        ; implicit-def: $vgpr6
	s_or_saveexec_b32 s21, s21
	v_mov_b32_e32 v5, 0x7f800001
	s_xor_b32 exec_lo, exec_lo, s21
	s_cbranch_execz .LBB258_464
.LBB258_475:
	v_cmp_ne_u16_e32 vcc_lo, 0, v6
	v_mov_b32_e32 v5, 0
	s_and_not1_b32 s20, s20, exec_lo
	s_and_b32 s22, vcc_lo, exec_lo
	s_delay_alu instid0(SALU_CYCLE_1)
	s_or_b32 s20, s20, s22
	s_or_b32 exec_lo, exec_lo, s21
	s_and_saveexec_b32 s21, s20
	s_cbranch_execnz .LBB258_465
	s_branch .LBB258_466
.LBB258_476:
	s_mov_b32 s22, 0
	s_mov_b32 s20, 0x7f800001
	s_cbranch_execz .LBB258_478
; %bb.477:
	s_and_b32 s20, 0xffff, s21
	s_delay_alu instid0(SALU_CYCLE_1)
	s_cmp_lg_u32 s20, 0
	s_mov_b32 s20, 0
	s_cselect_b32 s22, -1, 0
.LBB258_478:
	s_delay_alu instid0(SALU_CYCLE_1)
	s_and_not1_b32 vcc_lo, exec_lo, s22
	s_cbranch_vccnz .LBB258_480
; %bb.479:
	s_mov_b32 s20, s3
.LBB258_480:
	v_and_b32_e32 v6, 0xff, v4
	s_mov_b32 s21, 0
	s_mov_b32 s22, exec_lo
	s_delay_alu instid0(VALU_DEP_1)
	v_cmpx_lt_i16_e32 0x7f, v6
	s_xor_b32 s22, exec_lo, s22
	s_cbranch_execnz .LBB258_490
; %bb.481:
	s_or_saveexec_b32 s22, s22
	v_mov_b32_e32 v5, 0x7f800001
	s_xor_b32 exec_lo, exec_lo, s22
	s_cbranch_execnz .LBB258_493
.LBB258_482:
	s_or_b32 exec_lo, exec_lo, s22
	s_and_saveexec_b32 s22, s21
	s_cbranch_execz .LBB258_484
.LBB258_483:
	v_bfe_u32 v5, v3, 16, 2
	v_bfe_u32 v8, v3, 18, 5
	s_delay_alu instid0(VALU_DEP_2) | instskip(NEXT) | instid1(VALU_DEP_2)
	v_clz_i32_u32_e32 v6, v5
	v_cmp_eq_u32_e32 vcc_lo, 0, v8
	s_delay_alu instid0(VALU_DEP_2) | instskip(NEXT) | instid1(VALU_DEP_1)
	v_min_u32_e32 v6, 32, v6
	v_subrev_nc_u32_e32 v7, 29, v6
	s_delay_alu instid0(VALU_DEP_1) | instskip(NEXT) | instid1(VALU_DEP_1)
	v_dual_sub_nc_u32 v6, 30, v6 :: v_dual_lshlrev_b32 v7, v7, v4
	v_dual_lshlrev_b32 v4, 24, v4 :: v_dual_bitop2_b32 v7, 3, v7 bitop3:0x40
	s_delay_alu instid0(VALU_DEP_2) | instskip(NEXT) | instid1(VALU_DEP_2)
	v_cndmask_b32_e32 v6, v8, v6, vcc_lo
	v_and_b32_e32 v4, 0x80000000, v4
	s_delay_alu instid0(VALU_DEP_3) | instskip(NEXT) | instid1(VALU_DEP_3)
	v_cndmask_b32_e32 v5, v5, v7, vcc_lo
	v_lshl_add_u32 v6, v6, 23, 0x37800000
	s_delay_alu instid0(VALU_DEP_2) | instskip(NEXT) | instid1(VALU_DEP_1)
	v_lshlrev_b32_e32 v5, 21, v5
	v_or3_b32 v5, v4, v6, v5
.LBB258_484:
	s_or_b32 exec_lo, exec_lo, s22
	s_delay_alu instid0(VALU_DEP_1)
	v_cmp_eq_f32_e64 s20, s20, v5
	v_cmp_ne_u32_e32 vcc_lo, 1, v2
	v_lshrrev_b32_e32 v4, 24, v3
	s_cbranch_vccz .LBB258_203
.LBB258_485:
                                        ; implicit-def: $sgpr21
	s_cbranch_execz .LBB258_220
; %bb.486:
	s_and_b32 s22, s10, 0xff
	s_delay_alu instid0(SALU_CYCLE_1)
	s_cmp_lt_i32 s22, 0x80
	s_cbranch_scc1 .LBB258_494
; %bb.487:
	s_and_b32 s21, 0xffff, s22
	s_mov_b32 s23, -1
	s_cmp_eq_u32 s21, 0x80
	s_cbranch_scc0 .LBB258_489
; %bb.488:
	s_mov_b32 s23, 0
.LBB258_489:
	s_mov_b32 s21, 0x7f800001
	s_branch .LBB258_496
.LBB258_490:
	s_mov_b32 s21, -1
	s_mov_b32 s23, exec_lo
	v_cmpx_eq_u16_e32 0x80, v6
; %bb.491:
	s_xor_b32 s21, exec_lo, -1
; %bb.492:
	s_or_b32 exec_lo, exec_lo, s23
	s_delay_alu instid0(SALU_CYCLE_1)
	s_and_b32 s21, s21, exec_lo
                                        ; implicit-def: $vgpr6
	s_or_saveexec_b32 s22, s22
	v_mov_b32_e32 v5, 0x7f800001
	s_xor_b32 exec_lo, exec_lo, s22
	s_cbranch_execz .LBB258_482
.LBB258_493:
	v_cmp_ne_u16_e32 vcc_lo, 0, v6
	v_mov_b32_e32 v5, 0
	s_and_not1_b32 s21, s21, exec_lo
	s_and_b32 s23, vcc_lo, exec_lo
	s_delay_alu instid0(SALU_CYCLE_1)
	s_or_b32 s21, s21, s23
	s_or_b32 exec_lo, exec_lo, s22
	s_and_saveexec_b32 s22, s21
	s_cbranch_execnz .LBB258_483
	s_branch .LBB258_484
.LBB258_494:
	s_mov_b32 s23, 0
	s_mov_b32 s21, 0x7f800001
	s_cbranch_execz .LBB258_496
; %bb.495:
	s_and_b32 s21, 0xffff, s22
	s_delay_alu instid0(SALU_CYCLE_1)
	s_cmp_lg_u32 s21, 0
	s_mov_b32 s21, 0
	s_cselect_b32 s23, -1, 0
.LBB258_496:
	s_delay_alu instid0(SALU_CYCLE_1)
	s_and_not1_b32 vcc_lo, exec_lo, s23
	s_cbranch_vccnz .LBB258_498
; %bb.497:
	s_mov_b32 s21, s3
.LBB258_498:
	s_mov_b32 s22, 0
	s_mov_b32 s23, exec_lo
	v_cmpx_lt_i16_e32 0x7f, v4
	s_xor_b32 s23, exec_lo, s23
	s_cbranch_execnz .LBB258_508
; %bb.499:
	s_or_saveexec_b32 s23, s23
	v_mov_b32_e32 v5, 0x7f800001
	s_xor_b32 exec_lo, exec_lo, s23
	s_cbranch_execnz .LBB258_511
.LBB258_500:
	s_or_b32 exec_lo, exec_lo, s23
	s_and_saveexec_b32 s23, s22
	s_cbranch_execz .LBB258_502
.LBB258_501:
	v_bfe_u32 v5, v3, 24, 2
	s_delay_alu instid0(VALU_DEP_1) | instskip(NEXT) | instid1(VALU_DEP_1)
	v_clz_i32_u32_e32 v6, v5
	v_min_u32_e32 v6, 32, v6
	s_delay_alu instid0(VALU_DEP_1) | instskip(NEXT) | instid1(VALU_DEP_1)
	v_subrev_nc_u32_e32 v7, 29, v6
	v_dual_sub_nc_u32 v6, 30, v6 :: v_dual_lshlrev_b32 v4, v7, v4
	v_bfe_u32 v7, v3, 26, 5
	v_and_b32_e32 v3, 0x80000000, v3
	s_delay_alu instid0(VALU_DEP_2) | instskip(NEXT) | instid1(VALU_DEP_4)
	v_cmp_eq_u32_e32 vcc_lo, 0, v7
	v_dual_cndmask_b32 v6, v7, v6, vcc_lo :: v_dual_bitop2_b32 v4, 3, v4 bitop3:0x40
	s_delay_alu instid0(VALU_DEP_1) | instskip(NEXT) | instid1(VALU_DEP_2)
	v_cndmask_b32_e32 v4, v5, v4, vcc_lo
	v_lshl_add_u32 v5, v6, 23, 0x37800000
	s_delay_alu instid0(VALU_DEP_2) | instskip(NEXT) | instid1(VALU_DEP_1)
	v_lshlrev_b32_e32 v4, 21, v4
	v_or3_b32 v5, v3, v5, v4
.LBB258_502:
	s_or_b32 exec_lo, exec_lo, s23
	s_delay_alu instid0(VALU_DEP_1)
	v_cmp_eq_f32_e64 s21, s21, v5
	v_cmp_ne_u32_e32 vcc_lo, 1, v2
	s_cbranch_vccz .LBB258_221
.LBB258_503:
                                        ; implicit-def: $sgpr22
	s_cbranch_execz .LBB258_238
; %bb.504:
	s_and_b32 s23, s10, 0xff
	s_delay_alu instid0(SALU_CYCLE_1)
	s_cmp_lt_i32 s23, 0x80
	s_cbranch_scc1 .LBB258_512
; %bb.505:
	s_and_b32 s22, 0xffff, s23
	s_mov_b32 s24, -1
	s_cmp_eq_u32 s22, 0x80
	s_cbranch_scc0 .LBB258_507
; %bb.506:
	s_mov_b32 s24, 0
.LBB258_507:
	s_mov_b32 s22, 0x7f800001
	s_branch .LBB258_514
.LBB258_508:
	s_mov_b32 s22, -1
	s_mov_b32 s24, exec_lo
	v_cmpx_eq_u16_e32 0x80, v4
; %bb.509:
	s_xor_b32 s22, exec_lo, -1
; %bb.510:
	s_or_b32 exec_lo, exec_lo, s24
	s_delay_alu instid0(SALU_CYCLE_1)
	s_and_b32 s22, s22, exec_lo
	s_or_saveexec_b32 s23, s23
	v_mov_b32_e32 v5, 0x7f800001
	s_xor_b32 exec_lo, exec_lo, s23
	s_cbranch_execz .LBB258_500
.LBB258_511:
	v_cmp_ne_u16_e32 vcc_lo, 0, v4
	v_mov_b32_e32 v5, 0
	s_and_not1_b32 s22, s22, exec_lo
	s_and_b32 s24, vcc_lo, exec_lo
	s_delay_alu instid0(SALU_CYCLE_1)
	s_or_b32 s22, s22, s24
	s_or_b32 exec_lo, exec_lo, s23
	s_and_saveexec_b32 s23, s22
	s_cbranch_execnz .LBB258_501
	s_branch .LBB258_502
.LBB258_512:
	s_mov_b32 s24, 0
	s_mov_b32 s22, 0x7f800001
	s_cbranch_execz .LBB258_514
; %bb.513:
	s_and_b32 s22, 0xffff, s23
	s_delay_alu instid0(SALU_CYCLE_1)
	s_cmp_lg_u32 s22, 0
	s_mov_b32 s22, 0
	s_cselect_b32 s24, -1, 0
.LBB258_514:
	s_delay_alu instid0(SALU_CYCLE_1)
	s_and_not1_b32 vcc_lo, exec_lo, s24
	s_cbranch_vccnz .LBB258_516
; %bb.515:
	s_mov_b32 s22, s3
.LBB258_516:
	s_wait_loadcnt 0x0
	v_and_b32_e32 v4, 0xff, v1
	s_mov_b32 s23, 0
	s_mov_b32 s24, exec_lo
	s_delay_alu instid0(VALU_DEP_1)
	v_cmpx_lt_i16_e32 0x7f, v4
	s_xor_b32 s24, exec_lo, s24
	s_cbranch_execnz .LBB258_526
; %bb.517:
	s_or_saveexec_b32 s24, s24
	v_mov_b32_e32 v3, 0x7f800001
	s_xor_b32 exec_lo, exec_lo, s24
	s_cbranch_execnz .LBB258_529
.LBB258_518:
	s_or_b32 exec_lo, exec_lo, s24
	s_and_saveexec_b32 s24, s23
	s_cbranch_execz .LBB258_520
.LBB258_519:
	v_and_b32_e32 v3, 3, v1
	v_bfe_u32 v6, v1, 2, 5
	s_delay_alu instid0(VALU_DEP_2) | instskip(NEXT) | instid1(VALU_DEP_2)
	v_clz_i32_u32_e32 v4, v3
	v_cmp_eq_u32_e32 vcc_lo, 0, v6
	s_delay_alu instid0(VALU_DEP_2) | instskip(NEXT) | instid1(VALU_DEP_1)
	v_min_u32_e32 v4, 32, v4
	v_subrev_nc_u32_e32 v5, 29, v4
	s_delay_alu instid0(VALU_DEP_1) | instskip(NEXT) | instid1(VALU_DEP_1)
	v_dual_lshlrev_b32 v5, v5, v1 :: v_dual_sub_nc_u32 v4, 30, v4
	v_and_b32_e32 v5, 3, v5
	s_delay_alu instid0(VALU_DEP_2) | instskip(NEXT) | instid1(VALU_DEP_2)
	v_dual_cndmask_b32 v4, v6, v4 :: v_dual_lshlrev_b32 v7, 24, v1
	v_cndmask_b32_e32 v3, v3, v5, vcc_lo
	s_delay_alu instid0(VALU_DEP_2) | instskip(NEXT) | instid1(VALU_DEP_3)
	v_and_b32_e32 v5, 0x80000000, v7
	v_lshl_add_u32 v4, v4, 23, 0x37800000
	s_delay_alu instid0(VALU_DEP_3) | instskip(NEXT) | instid1(VALU_DEP_1)
	v_lshlrev_b32_e32 v3, 21, v3
	v_or3_b32 v3, v5, v4, v3
.LBB258_520:
	s_or_b32 exec_lo, exec_lo, s24
	s_delay_alu instid0(VALU_DEP_1)
	v_cmp_eq_f32_e64 s22, s22, v3
	v_cmp_ne_u32_e32 vcc_lo, 1, v2
	v_lshrrev_b32_e32 v3, 8, v1
	s_cbranch_vccz .LBB258_239
.LBB258_521:
                                        ; implicit-def: $sgpr23
	s_cbranch_execz .LBB258_256
; %bb.522:
	s_and_b32 s24, s10, 0xff
	s_delay_alu instid0(SALU_CYCLE_1)
	s_cmp_lt_i32 s24, 0x80
	s_cbranch_scc1 .LBB258_530
; %bb.523:
	s_and_b32 s23, 0xffff, s24
	s_mov_b32 s25, -1
	s_cmp_eq_u32 s23, 0x80
	s_cbranch_scc0 .LBB258_525
; %bb.524:
	s_mov_b32 s25, 0
.LBB258_525:
	s_mov_b32 s23, 0x7f800001
	s_branch .LBB258_532
.LBB258_526:
	s_mov_b32 s23, -1
	s_mov_b32 s25, exec_lo
	v_cmpx_eq_u16_e32 0x80, v4
; %bb.527:
	s_xor_b32 s23, exec_lo, -1
; %bb.528:
	s_or_b32 exec_lo, exec_lo, s25
	s_delay_alu instid0(SALU_CYCLE_1)
	s_and_b32 s23, s23, exec_lo
                                        ; implicit-def: $vgpr4
	s_or_saveexec_b32 s24, s24
	v_mov_b32_e32 v3, 0x7f800001
	s_xor_b32 exec_lo, exec_lo, s24
	s_cbranch_execz .LBB258_518
.LBB258_529:
	v_cmp_ne_u16_e32 vcc_lo, 0, v4
	v_mov_b32_e32 v3, 0
	s_and_not1_b32 s23, s23, exec_lo
	s_and_b32 s25, vcc_lo, exec_lo
	s_delay_alu instid0(SALU_CYCLE_1)
	s_or_b32 s23, s23, s25
	s_or_b32 exec_lo, exec_lo, s24
	s_and_saveexec_b32 s24, s23
	s_cbranch_execnz .LBB258_519
	s_branch .LBB258_520
.LBB258_530:
	s_mov_b32 s25, 0
	s_mov_b32 s23, 0x7f800001
	s_cbranch_execz .LBB258_532
; %bb.531:
	s_and_b32 s23, 0xffff, s24
	s_delay_alu instid0(SALU_CYCLE_1)
	s_cmp_lg_u32 s23, 0
	s_mov_b32 s23, 0
	s_cselect_b32 s25, -1, 0
.LBB258_532:
	s_delay_alu instid0(SALU_CYCLE_1)
	s_and_not1_b32 vcc_lo, exec_lo, s25
	s_cbranch_vccnz .LBB258_534
; %bb.533:
	s_mov_b32 s23, s3
.LBB258_534:
	v_and_b32_e32 v5, 0xff, v3
	s_mov_b32 s24, 0
	s_mov_b32 s25, exec_lo
	s_delay_alu instid0(VALU_DEP_1)
	v_cmpx_lt_i16_e32 0x7f, v5
	s_xor_b32 s25, exec_lo, s25
	s_cbranch_execnz .LBB258_544
; %bb.535:
	s_or_saveexec_b32 s25, s25
	v_mov_b32_e32 v4, 0x7f800001
	s_xor_b32 exec_lo, exec_lo, s25
	s_cbranch_execnz .LBB258_547
.LBB258_536:
	s_or_b32 exec_lo, exec_lo, s25
	s_and_saveexec_b32 s25, s24
	s_cbranch_execz .LBB258_538
.LBB258_537:
	v_bfe_u32 v4, v1, 8, 2
	v_bfe_u32 v7, v1, 10, 5
	s_delay_alu instid0(VALU_DEP_2) | instskip(NEXT) | instid1(VALU_DEP_2)
	v_clz_i32_u32_e32 v5, v4
	v_cmp_eq_u32_e32 vcc_lo, 0, v7
	s_delay_alu instid0(VALU_DEP_2) | instskip(NEXT) | instid1(VALU_DEP_1)
	v_min_u32_e32 v5, 32, v5
	v_subrev_nc_u32_e32 v6, 29, v5
	s_delay_alu instid0(VALU_DEP_1) | instskip(NEXT) | instid1(VALU_DEP_1)
	v_dual_sub_nc_u32 v5, 30, v5 :: v_dual_lshlrev_b32 v6, v6, v3
	v_dual_lshlrev_b32 v3, 24, v3 :: v_dual_bitop2_b32 v6, 3, v6 bitop3:0x40
	s_delay_alu instid0(VALU_DEP_2) | instskip(NEXT) | instid1(VALU_DEP_2)
	v_cndmask_b32_e32 v5, v7, v5, vcc_lo
	v_and_b32_e32 v3, 0x80000000, v3
	s_delay_alu instid0(VALU_DEP_3) | instskip(NEXT) | instid1(VALU_DEP_3)
	v_cndmask_b32_e32 v4, v4, v6, vcc_lo
	v_lshl_add_u32 v5, v5, 23, 0x37800000
	s_delay_alu instid0(VALU_DEP_2) | instskip(NEXT) | instid1(VALU_DEP_1)
	v_lshlrev_b32_e32 v4, 21, v4
	v_or3_b32 v4, v3, v5, v4
.LBB258_538:
	s_or_b32 exec_lo, exec_lo, s25
	s_delay_alu instid0(VALU_DEP_1)
	v_cmp_eq_f32_e64 s23, s23, v4
	v_cmp_ne_u32_e32 vcc_lo, 1, v2
	v_lshrrev_b32_e32 v3, 16, v1
	s_cbranch_vccz .LBB258_257
.LBB258_539:
                                        ; implicit-def: $sgpr24
	s_cbranch_execz .LBB258_274
; %bb.540:
	s_and_b32 s25, s10, 0xff
	s_delay_alu instid0(SALU_CYCLE_1)
	s_cmp_lt_i32 s25, 0x80
	s_cbranch_scc1 .LBB258_548
; %bb.541:
	s_and_b32 s24, 0xffff, s25
	s_mov_b32 s26, -1
	s_cmp_eq_u32 s24, 0x80
	s_cbranch_scc0 .LBB258_543
; %bb.542:
	s_mov_b32 s26, 0
.LBB258_543:
	s_mov_b32 s24, 0x7f800001
	s_branch .LBB258_550
.LBB258_544:
	s_mov_b32 s24, -1
	s_mov_b32 s26, exec_lo
	v_cmpx_eq_u16_e32 0x80, v5
; %bb.545:
	s_xor_b32 s24, exec_lo, -1
; %bb.546:
	s_or_b32 exec_lo, exec_lo, s26
	s_delay_alu instid0(SALU_CYCLE_1)
	s_and_b32 s24, s24, exec_lo
                                        ; implicit-def: $vgpr5
	s_or_saveexec_b32 s25, s25
	v_mov_b32_e32 v4, 0x7f800001
	s_xor_b32 exec_lo, exec_lo, s25
	s_cbranch_execz .LBB258_536
.LBB258_547:
	v_cmp_ne_u16_e32 vcc_lo, 0, v5
	v_mov_b32_e32 v4, 0
	s_and_not1_b32 s24, s24, exec_lo
	s_and_b32 s26, vcc_lo, exec_lo
	s_delay_alu instid0(SALU_CYCLE_1)
	s_or_b32 s24, s24, s26
	s_or_b32 exec_lo, exec_lo, s25
	s_and_saveexec_b32 s25, s24
	s_cbranch_execnz .LBB258_537
	s_branch .LBB258_538
.LBB258_548:
	s_mov_b32 s26, 0
	s_mov_b32 s24, 0x7f800001
	s_cbranch_execz .LBB258_550
; %bb.549:
	s_and_b32 s24, 0xffff, s25
	s_delay_alu instid0(SALU_CYCLE_1)
	s_cmp_lg_u32 s24, 0
	s_mov_b32 s24, 0
	s_cselect_b32 s26, -1, 0
.LBB258_550:
	s_delay_alu instid0(SALU_CYCLE_1)
	s_and_not1_b32 vcc_lo, exec_lo, s26
	s_cbranch_vccnz .LBB258_552
; %bb.551:
	s_mov_b32 s24, s3
.LBB258_552:
	v_and_b32_e32 v5, 0xff, v3
	s_mov_b32 s25, 0
	s_mov_b32 s26, exec_lo
	s_delay_alu instid0(VALU_DEP_1)
	v_cmpx_lt_i16_e32 0x7f, v5
	s_xor_b32 s26, exec_lo, s26
	s_cbranch_execnz .LBB258_562
; %bb.553:
	s_or_saveexec_b32 s26, s26
	v_mov_b32_e32 v4, 0x7f800001
	s_xor_b32 exec_lo, exec_lo, s26
	s_cbranch_execnz .LBB258_565
.LBB258_554:
	s_or_b32 exec_lo, exec_lo, s26
	s_and_saveexec_b32 s26, s25
	s_cbranch_execz .LBB258_556
.LBB258_555:
	v_bfe_u32 v4, v1, 16, 2
	v_bfe_u32 v7, v1, 18, 5
	s_delay_alu instid0(VALU_DEP_2) | instskip(NEXT) | instid1(VALU_DEP_2)
	v_clz_i32_u32_e32 v5, v4
	v_cmp_eq_u32_e32 vcc_lo, 0, v7
	s_delay_alu instid0(VALU_DEP_2) | instskip(NEXT) | instid1(VALU_DEP_1)
	v_min_u32_e32 v5, 32, v5
	v_subrev_nc_u32_e32 v6, 29, v5
	s_delay_alu instid0(VALU_DEP_1) | instskip(NEXT) | instid1(VALU_DEP_1)
	v_dual_sub_nc_u32 v5, 30, v5 :: v_dual_lshlrev_b32 v6, v6, v3
	v_dual_lshlrev_b32 v3, 24, v3 :: v_dual_bitop2_b32 v6, 3, v6 bitop3:0x40
	s_delay_alu instid0(VALU_DEP_2) | instskip(NEXT) | instid1(VALU_DEP_2)
	v_cndmask_b32_e32 v5, v7, v5, vcc_lo
	v_and_b32_e32 v3, 0x80000000, v3
	s_delay_alu instid0(VALU_DEP_3) | instskip(NEXT) | instid1(VALU_DEP_3)
	v_cndmask_b32_e32 v4, v4, v6, vcc_lo
	v_lshl_add_u32 v5, v5, 23, 0x37800000
	s_delay_alu instid0(VALU_DEP_2) | instskip(NEXT) | instid1(VALU_DEP_1)
	v_lshlrev_b32_e32 v4, 21, v4
	v_or3_b32 v4, v3, v5, v4
.LBB258_556:
	s_or_b32 exec_lo, exec_lo, s26
	s_delay_alu instid0(VALU_DEP_1)
	v_cmp_eq_f32_e64 s24, s24, v4
	v_cmp_ne_u32_e32 vcc_lo, 1, v2
	v_lshrrev_b32_e32 v2, 24, v1
	s_cbranch_vccz .LBB258_275
.LBB258_557:
                                        ; implicit-def: $sgpr25
	s_cbranch_execz .LBB258_575
; %bb.558:
	s_and_b32 s26, s10, 0xff
	s_delay_alu instid0(SALU_CYCLE_1)
	s_cmp_lt_i32 s26, 0x80
	s_cbranch_scc1 .LBB258_566
; %bb.559:
	s_and_b32 s25, 0xffff, s26
	s_mov_b32 s27, -1
	s_cmp_eq_u32 s25, 0x80
	s_cbranch_scc0 .LBB258_561
; %bb.560:
	s_mov_b32 s27, 0
.LBB258_561:
	s_mov_b32 s25, 0x7f800001
	s_branch .LBB258_568
.LBB258_562:
	s_mov_b32 s25, -1
	s_mov_b32 s27, exec_lo
	v_cmpx_eq_u16_e32 0x80, v5
; %bb.563:
	s_xor_b32 s25, exec_lo, -1
; %bb.564:
	s_or_b32 exec_lo, exec_lo, s27
	s_delay_alu instid0(SALU_CYCLE_1)
	s_and_b32 s25, s25, exec_lo
                                        ; implicit-def: $vgpr5
	s_or_saveexec_b32 s26, s26
	v_mov_b32_e32 v4, 0x7f800001
	s_xor_b32 exec_lo, exec_lo, s26
	s_cbranch_execz .LBB258_554
.LBB258_565:
	v_cmp_ne_u16_e32 vcc_lo, 0, v5
	v_mov_b32_e32 v4, 0
	s_and_not1_b32 s25, s25, exec_lo
	s_and_b32 s27, vcc_lo, exec_lo
	s_delay_alu instid0(SALU_CYCLE_1)
	s_or_b32 s25, s25, s27
	s_or_b32 exec_lo, exec_lo, s26
	s_and_saveexec_b32 s26, s25
	s_cbranch_execnz .LBB258_555
	s_branch .LBB258_556
.LBB258_566:
	s_mov_b32 s27, 0
	s_mov_b32 s25, 0x7f800001
	s_cbranch_execz .LBB258_568
; %bb.567:
	s_and_b32 s25, 0xffff, s26
	s_delay_alu instid0(SALU_CYCLE_1)
	s_cmp_lg_u32 s25, 0
	s_mov_b32 s25, 0
	s_cselect_b32 s27, -1, 0
.LBB258_568:
	s_delay_alu instid0(SALU_CYCLE_1)
	s_and_not1_b32 vcc_lo, exec_lo, s27
	s_cbranch_vccnz .LBB258_570
; %bb.569:
	s_mov_b32 s25, s3
.LBB258_570:
	s_mov_b32 s3, 0
	s_mov_b32 s26, exec_lo
	v_cmpx_lt_i16_e32 0x7f, v2
	s_xor_b32 s26, exec_lo, s26
	s_cbranch_execnz .LBB258_577
; %bb.571:
	s_or_saveexec_b32 s26, s26
	v_mov_b32_e32 v3, 0x7f800001
	s_xor_b32 exec_lo, exec_lo, s26
	s_cbranch_execnz .LBB258_580
.LBB258_572:
	s_or_b32 exec_lo, exec_lo, s26
	s_and_saveexec_b32 s26, s3
	s_cbranch_execz .LBB258_574
.LBB258_573:
	v_bfe_u32 v3, v1, 24, 2
	s_delay_alu instid0(VALU_DEP_1) | instskip(NEXT) | instid1(VALU_DEP_1)
	v_clz_i32_u32_e32 v4, v3
	v_min_u32_e32 v4, 32, v4
	s_delay_alu instid0(VALU_DEP_1) | instskip(NEXT) | instid1(VALU_DEP_1)
	v_subrev_nc_u32_e32 v5, 29, v4
	v_dual_sub_nc_u32 v4, 30, v4 :: v_dual_lshlrev_b32 v2, v5, v2
	v_bfe_u32 v5, v1, 26, 5
	v_and_b32_e32 v1, 0x80000000, v1
	s_delay_alu instid0(VALU_DEP_2) | instskip(NEXT) | instid1(VALU_DEP_4)
	v_cmp_eq_u32_e32 vcc_lo, 0, v5
	v_dual_cndmask_b32 v4, v5, v4, vcc_lo :: v_dual_bitop2_b32 v2, 3, v2 bitop3:0x40
	s_delay_alu instid0(VALU_DEP_1) | instskip(NEXT) | instid1(VALU_DEP_2)
	v_cndmask_b32_e32 v2, v3, v2, vcc_lo
	v_lshl_add_u32 v3, v4, 23, 0x37800000
	s_delay_alu instid0(VALU_DEP_2) | instskip(NEXT) | instid1(VALU_DEP_1)
	v_lshlrev_b32_e32 v2, 21, v2
	v_or3_b32 v3, v1, v3, v2
.LBB258_574:
	s_or_b32 exec_lo, exec_lo, s26
	s_delay_alu instid0(VALU_DEP_1)
	v_cmp_eq_f32_e64 s25, s25, v3
.LBB258_575:
	v_cndmask_b32_e64 v1, 0, 1, s11
	v_cndmask_b32_e64 v2, 0, 1, s13
	;; [unrolled: 1-line block ×5, first 2 shown]
	v_lshlrev_b16 v1, 8, v1
	v_lshlrev_b16 v2, 8, v2
	v_cndmask_b32_e64 v6, 0, 1, s14
	v_lshlrev_b16 v4, 8, v4
	v_cndmask_b32_e64 v7, 0, 1, s21
	v_cndmask_b32_e64 v8, 0, 1, s23
	v_or_b32_e32 v2, v5, v2
	v_or_b32_e32 v1, v3, v1
	;; [unrolled: 1-line block ×3, first 2 shown]
	v_cndmask_b32_e64 v4, 0, 1, s17
	v_cndmask_b32_e64 v5, 0, 1, s19
	;; [unrolled: 1-line block ×4, first 2 shown]
	v_lshlrev_b16 v7, 8, v7
	v_lshlrev_b16 v4, 8, v4
	v_cndmask_b32_e64 v11, 0, 1, s20
	v_lshlrev_b16 v5, 8, v5
	v_cndmask_b32_e64 v9, 0, 1, s18
	;; [unrolled: 2-line block ×4, first 2 shown]
	v_or_b32_e32 v4, v6, v4
	v_or_b32_e32 v6, v11, v7
	;; [unrolled: 1-line block ×3, first 2 shown]
	s_add_nc_u64 s[12:13], s[4:5], s[0:1]
	v_or_b32_e32 v8, v13, v10
	v_dual_lshlrev_b32 v4, 16, v4 :: v_dual_bitop2_b32 v5, v9, v5 bitop3:0x54
	v_lshlrev_b32_e32 v2, 16, v2
	v_and_b32_e32 v1, 0xffff, v1
	v_lshlrev_b32_e32 v6, 16, v6
	v_and_b32_e32 v3, 0xffff, v3
	;; [unrolled: 2-line block ×3, first 2 shown]
	v_and_b32_e32 v7, 0xffff, v7
	v_or_b32_e32 v1, v1, v2
	v_or_b32_e32 v2, v3, v4
	s_delay_alu instid0(VALU_DEP_4) | instskip(NEXT) | instid1(VALU_DEP_4)
	v_or_b32_e32 v3, v5, v6
	v_or_b32_e32 v4, v7, v8
	s_clause 0x3
	global_store_b32 v0, v1, s[12:13] scale_offset
	global_store_b32 v0, v2, s[12:13] offset:1024 scale_offset
	global_store_b32 v0, v3, s[12:13] offset:2048 scale_offset
	global_store_b32 v0, v4, s[12:13] offset:3072 scale_offset
	s_branch .LBB258_2
.LBB258_576:
	s_wait_xcnt 0x0
	v_dual_mov_b32 v31, v0 :: v_dual_mov_b32 v0, s9
	v_dual_mov_b32 v1, s10 :: v_dual_mov_b32 v2, s4
	;; [unrolled: 1-line block ×4, first 2 shown]
	s_get_pc_i64 s[0:1]
	s_add_nc_u64 s[0:1], s[0:1], _ZN2at6native25elementwise_kernel_helperILb0ENS0_13AUnaryFunctorIN3c1015Float8_e5m2fnuzES4_bNS0_12_GLOBAL__N_116CompareEqFunctorIS4_EEEENS0_6memory8policies11unroll_baseILi256ESt5arrayIPcLm2EE23TrivialOffsetCalculatorILi1EjESG_NS9_15LoadWithoutCastENS9_16StoreWithoutCastELi16ELi1EEEEEvT0_T1_@rel64+4
	s_delay_alu instid0(SALU_CYCLE_1)
	s_swap_pc_i64 s[30:31], s[0:1]
	s_endpgm
.LBB258_577:
	s_mov_b32 s3, -1
	s_mov_b32 s27, exec_lo
	v_cmpx_eq_u16_e32 0x80, v2
; %bb.578:
	s_xor_b32 s3, exec_lo, -1
; %bb.579:
	s_or_b32 exec_lo, exec_lo, s27
	s_delay_alu instid0(SALU_CYCLE_1)
	s_and_b32 s3, s3, exec_lo
	s_or_saveexec_b32 s26, s26
	v_mov_b32_e32 v3, 0x7f800001
	s_xor_b32 exec_lo, exec_lo, s26
	s_cbranch_execz .LBB258_572
.LBB258_580:
	v_cmp_ne_u16_e32 vcc_lo, 0, v2
	v_mov_b32_e32 v3, 0
	s_and_not1_b32 s3, s3, exec_lo
	s_and_b32 s27, vcc_lo, exec_lo
	s_delay_alu instid0(SALU_CYCLE_1)
	s_or_b32 s3, s3, s27
	s_or_b32 exec_lo, exec_lo, s26
	s_and_saveexec_b32 s26, s3
	s_cbranch_execnz .LBB258_573
	s_branch .LBB258_574
	.section	.rodata,"a",@progbits
	.p2align	6, 0x0
	.amdhsa_kernel _ZN2at6native29vectorized_elementwise_kernelILi4ENS0_13AUnaryFunctorIN3c1015Float8_e5m2fnuzES4_bNS0_12_GLOBAL__N_116CompareEqFunctorIS4_EEEESt5arrayIPcLm2EEEEviT0_T1_
		.amdhsa_group_segment_fixed_size 0
		.amdhsa_private_segment_fixed_size 0
		.amdhsa_kernarg_size 32
		.amdhsa_user_sgpr_count 2
		.amdhsa_user_sgpr_dispatch_ptr 0
		.amdhsa_user_sgpr_queue_ptr 0
		.amdhsa_user_sgpr_kernarg_segment_ptr 1
		.amdhsa_user_sgpr_dispatch_id 0
		.amdhsa_user_sgpr_kernarg_preload_length 0
		.amdhsa_user_sgpr_kernarg_preload_offset 0
		.amdhsa_user_sgpr_private_segment_size 0
		.amdhsa_wavefront_size32 1
		.amdhsa_uses_dynamic_stack 0
		.amdhsa_enable_private_segment 0
		.amdhsa_system_sgpr_workgroup_id_x 1
		.amdhsa_system_sgpr_workgroup_id_y 0
		.amdhsa_system_sgpr_workgroup_id_z 0
		.amdhsa_system_sgpr_workgroup_info 0
		.amdhsa_system_vgpr_workitem_id 0
		.amdhsa_next_free_vgpr 32
		.amdhsa_next_free_sgpr 33
		.amdhsa_named_barrier_count 0
		.amdhsa_reserve_vcc 1
		.amdhsa_float_round_mode_32 0
		.amdhsa_float_round_mode_16_64 0
		.amdhsa_float_denorm_mode_32 3
		.amdhsa_float_denorm_mode_16_64 3
		.amdhsa_fp16_overflow 0
		.amdhsa_memory_ordered 1
		.amdhsa_forward_progress 1
		.amdhsa_inst_pref_size 112
		.amdhsa_round_robin_scheduling 0
		.amdhsa_exception_fp_ieee_invalid_op 0
		.amdhsa_exception_fp_denorm_src 0
		.amdhsa_exception_fp_ieee_div_zero 0
		.amdhsa_exception_fp_ieee_overflow 0
		.amdhsa_exception_fp_ieee_underflow 0
		.amdhsa_exception_fp_ieee_inexact 0
		.amdhsa_exception_int_div_zero 0
	.end_amdhsa_kernel
	.section	.text._ZN2at6native29vectorized_elementwise_kernelILi4ENS0_13AUnaryFunctorIN3c1015Float8_e5m2fnuzES4_bNS0_12_GLOBAL__N_116CompareEqFunctorIS4_EEEESt5arrayIPcLm2EEEEviT0_T1_,"axG",@progbits,_ZN2at6native29vectorized_elementwise_kernelILi4ENS0_13AUnaryFunctorIN3c1015Float8_e5m2fnuzES4_bNS0_12_GLOBAL__N_116CompareEqFunctorIS4_EEEESt5arrayIPcLm2EEEEviT0_T1_,comdat
.Lfunc_end258:
	.size	_ZN2at6native29vectorized_elementwise_kernelILi4ENS0_13AUnaryFunctorIN3c1015Float8_e5m2fnuzES4_bNS0_12_GLOBAL__N_116CompareEqFunctorIS4_EEEESt5arrayIPcLm2EEEEviT0_T1_, .Lfunc_end258-_ZN2at6native29vectorized_elementwise_kernelILi4ENS0_13AUnaryFunctorIN3c1015Float8_e5m2fnuzES4_bNS0_12_GLOBAL__N_116CompareEqFunctorIS4_EEEESt5arrayIPcLm2EEEEviT0_T1_
                                        ; -- End function
	.set _ZN2at6native29vectorized_elementwise_kernelILi4ENS0_13AUnaryFunctorIN3c1015Float8_e5m2fnuzES4_bNS0_12_GLOBAL__N_116CompareEqFunctorIS4_EEEESt5arrayIPcLm2EEEEviT0_T1_.num_vgpr, max(32, .L_ZN2at6native25elementwise_kernel_helperILb0ENS0_13AUnaryFunctorIN3c1015Float8_e5m2fnuzES4_bNS0_12_GLOBAL__N_116CompareEqFunctorIS4_EEEENS0_6memory8policies11unroll_baseILi256ESt5arrayIPcLm2EE23TrivialOffsetCalculatorILi1EjESG_NS9_15LoadWithoutCastENS9_16StoreWithoutCastELi16ELi1EEEEEvT0_T1_.num_vgpr)
	.set _ZN2at6native29vectorized_elementwise_kernelILi4ENS0_13AUnaryFunctorIN3c1015Float8_e5m2fnuzES4_bNS0_12_GLOBAL__N_116CompareEqFunctorIS4_EEEESt5arrayIPcLm2EEEEviT0_T1_.num_agpr, max(0, .L_ZN2at6native25elementwise_kernel_helperILb0ENS0_13AUnaryFunctorIN3c1015Float8_e5m2fnuzES4_bNS0_12_GLOBAL__N_116CompareEqFunctorIS4_EEEENS0_6memory8policies11unroll_baseILi256ESt5arrayIPcLm2EE23TrivialOffsetCalculatorILi1EjESG_NS9_15LoadWithoutCastENS9_16StoreWithoutCastELi16ELi1EEEEEvT0_T1_.num_agpr)
	.set _ZN2at6native29vectorized_elementwise_kernelILi4ENS0_13AUnaryFunctorIN3c1015Float8_e5m2fnuzES4_bNS0_12_GLOBAL__N_116CompareEqFunctorIS4_EEEESt5arrayIPcLm2EEEEviT0_T1_.numbered_sgpr, max(33, .L_ZN2at6native25elementwise_kernel_helperILb0ENS0_13AUnaryFunctorIN3c1015Float8_e5m2fnuzES4_bNS0_12_GLOBAL__N_116CompareEqFunctorIS4_EEEENS0_6memory8policies11unroll_baseILi256ESt5arrayIPcLm2EE23TrivialOffsetCalculatorILi1EjESG_NS9_15LoadWithoutCastENS9_16StoreWithoutCastELi16ELi1EEEEEvT0_T1_.numbered_sgpr)
	.set _ZN2at6native29vectorized_elementwise_kernelILi4ENS0_13AUnaryFunctorIN3c1015Float8_e5m2fnuzES4_bNS0_12_GLOBAL__N_116CompareEqFunctorIS4_EEEESt5arrayIPcLm2EEEEviT0_T1_.num_named_barrier, max(0, .L_ZN2at6native25elementwise_kernel_helperILb0ENS0_13AUnaryFunctorIN3c1015Float8_e5m2fnuzES4_bNS0_12_GLOBAL__N_116CompareEqFunctorIS4_EEEENS0_6memory8policies11unroll_baseILi256ESt5arrayIPcLm2EE23TrivialOffsetCalculatorILi1EjESG_NS9_15LoadWithoutCastENS9_16StoreWithoutCastELi16ELi1EEEEEvT0_T1_.num_named_barrier)
	.set _ZN2at6native29vectorized_elementwise_kernelILi4ENS0_13AUnaryFunctorIN3c1015Float8_e5m2fnuzES4_bNS0_12_GLOBAL__N_116CompareEqFunctorIS4_EEEESt5arrayIPcLm2EEEEviT0_T1_.private_seg_size, 0+max(.L_ZN2at6native25elementwise_kernel_helperILb0ENS0_13AUnaryFunctorIN3c1015Float8_e5m2fnuzES4_bNS0_12_GLOBAL__N_116CompareEqFunctorIS4_EEEENS0_6memory8policies11unroll_baseILi256ESt5arrayIPcLm2EE23TrivialOffsetCalculatorILi1EjESG_NS9_15LoadWithoutCastENS9_16StoreWithoutCastELi16ELi1EEEEEvT0_T1_.private_seg_size)
	.set _ZN2at6native29vectorized_elementwise_kernelILi4ENS0_13AUnaryFunctorIN3c1015Float8_e5m2fnuzES4_bNS0_12_GLOBAL__N_116CompareEqFunctorIS4_EEEESt5arrayIPcLm2EEEEviT0_T1_.uses_vcc, or(1, .L_ZN2at6native25elementwise_kernel_helperILb0ENS0_13AUnaryFunctorIN3c1015Float8_e5m2fnuzES4_bNS0_12_GLOBAL__N_116CompareEqFunctorIS4_EEEENS0_6memory8policies11unroll_baseILi256ESt5arrayIPcLm2EE23TrivialOffsetCalculatorILi1EjESG_NS9_15LoadWithoutCastENS9_16StoreWithoutCastELi16ELi1EEEEEvT0_T1_.uses_vcc)
	.set _ZN2at6native29vectorized_elementwise_kernelILi4ENS0_13AUnaryFunctorIN3c1015Float8_e5m2fnuzES4_bNS0_12_GLOBAL__N_116CompareEqFunctorIS4_EEEESt5arrayIPcLm2EEEEviT0_T1_.uses_flat_scratch, or(0, .L_ZN2at6native25elementwise_kernel_helperILb0ENS0_13AUnaryFunctorIN3c1015Float8_e5m2fnuzES4_bNS0_12_GLOBAL__N_116CompareEqFunctorIS4_EEEENS0_6memory8policies11unroll_baseILi256ESt5arrayIPcLm2EE23TrivialOffsetCalculatorILi1EjESG_NS9_15LoadWithoutCastENS9_16StoreWithoutCastELi16ELi1EEEEEvT0_T1_.uses_flat_scratch)
	.set _ZN2at6native29vectorized_elementwise_kernelILi4ENS0_13AUnaryFunctorIN3c1015Float8_e5m2fnuzES4_bNS0_12_GLOBAL__N_116CompareEqFunctorIS4_EEEESt5arrayIPcLm2EEEEviT0_T1_.has_dyn_sized_stack, or(0, .L_ZN2at6native25elementwise_kernel_helperILb0ENS0_13AUnaryFunctorIN3c1015Float8_e5m2fnuzES4_bNS0_12_GLOBAL__N_116CompareEqFunctorIS4_EEEENS0_6memory8policies11unroll_baseILi256ESt5arrayIPcLm2EE23TrivialOffsetCalculatorILi1EjESG_NS9_15LoadWithoutCastENS9_16StoreWithoutCastELi16ELi1EEEEEvT0_T1_.has_dyn_sized_stack)
	.set _ZN2at6native29vectorized_elementwise_kernelILi4ENS0_13AUnaryFunctorIN3c1015Float8_e5m2fnuzES4_bNS0_12_GLOBAL__N_116CompareEqFunctorIS4_EEEESt5arrayIPcLm2EEEEviT0_T1_.has_recursion, or(0, .L_ZN2at6native25elementwise_kernel_helperILb0ENS0_13AUnaryFunctorIN3c1015Float8_e5m2fnuzES4_bNS0_12_GLOBAL__N_116CompareEqFunctorIS4_EEEENS0_6memory8policies11unroll_baseILi256ESt5arrayIPcLm2EE23TrivialOffsetCalculatorILi1EjESG_NS9_15LoadWithoutCastENS9_16StoreWithoutCastELi16ELi1EEEEEvT0_T1_.has_recursion)
	.set _ZN2at6native29vectorized_elementwise_kernelILi4ENS0_13AUnaryFunctorIN3c1015Float8_e5m2fnuzES4_bNS0_12_GLOBAL__N_116CompareEqFunctorIS4_EEEESt5arrayIPcLm2EEEEviT0_T1_.has_indirect_call, or(0, .L_ZN2at6native25elementwise_kernel_helperILb0ENS0_13AUnaryFunctorIN3c1015Float8_e5m2fnuzES4_bNS0_12_GLOBAL__N_116CompareEqFunctorIS4_EEEENS0_6memory8policies11unroll_baseILi256ESt5arrayIPcLm2EE23TrivialOffsetCalculatorILi1EjESG_NS9_15LoadWithoutCastENS9_16StoreWithoutCastELi16ELi1EEEEEvT0_T1_.has_indirect_call)
	.section	.AMDGPU.csdata,"",@progbits
; Kernel info:
; codeLenInByte = 14264
; TotalNumSgprs: 35
; NumVgprs: 32
; ScratchSize: 0
; MemoryBound: 0
; FloatMode: 240
; IeeeMode: 1
; LDSByteSize: 0 bytes/workgroup (compile time only)
; SGPRBlocks: 0
; VGPRBlocks: 1
; NumSGPRsForWavesPerEU: 35
; NumVGPRsForWavesPerEU: 32
; NamedBarCnt: 0
; Occupancy: 16
; WaveLimiterHint : 1
; COMPUTE_PGM_RSRC2:SCRATCH_EN: 0
; COMPUTE_PGM_RSRC2:USER_SGPR: 2
; COMPUTE_PGM_RSRC2:TRAP_HANDLER: 0
; COMPUTE_PGM_RSRC2:TGID_X_EN: 1
; COMPUTE_PGM_RSRC2:TGID_Y_EN: 0
; COMPUTE_PGM_RSRC2:TGID_Z_EN: 0
; COMPUTE_PGM_RSRC2:TIDIG_COMP_CNT: 0
	.section	.text._ZN2at6native29vectorized_elementwise_kernelILi2ENS0_13AUnaryFunctorIN3c1015Float8_e5m2fnuzES4_bNS0_12_GLOBAL__N_116CompareEqFunctorIS4_EEEESt5arrayIPcLm2EEEEviT0_T1_,"axG",@progbits,_ZN2at6native29vectorized_elementwise_kernelILi2ENS0_13AUnaryFunctorIN3c1015Float8_e5m2fnuzES4_bNS0_12_GLOBAL__N_116CompareEqFunctorIS4_EEEESt5arrayIPcLm2EEEEviT0_T1_,comdat
	.globl	_ZN2at6native29vectorized_elementwise_kernelILi2ENS0_13AUnaryFunctorIN3c1015Float8_e5m2fnuzES4_bNS0_12_GLOBAL__N_116CompareEqFunctorIS4_EEEESt5arrayIPcLm2EEEEviT0_T1_ ; -- Begin function _ZN2at6native29vectorized_elementwise_kernelILi2ENS0_13AUnaryFunctorIN3c1015Float8_e5m2fnuzES4_bNS0_12_GLOBAL__N_116CompareEqFunctorIS4_EEEESt5arrayIPcLm2EEEEviT0_T1_
	.p2align	8
	.type	_ZN2at6native29vectorized_elementwise_kernelILi2ENS0_13AUnaryFunctorIN3c1015Float8_e5m2fnuzES4_bNS0_12_GLOBAL__N_116CompareEqFunctorIS4_EEEESt5arrayIPcLm2EEEEviT0_T1_,@function
_ZN2at6native29vectorized_elementwise_kernelILi2ENS0_13AUnaryFunctorIN3c1015Float8_e5m2fnuzES4_bNS0_12_GLOBAL__N_116CompareEqFunctorIS4_EEEESt5arrayIPcLm2EEEEviT0_T1_: ; @_ZN2at6native29vectorized_elementwise_kernelILi2ENS0_13AUnaryFunctorIN3c1015Float8_e5m2fnuzES4_bNS0_12_GLOBAL__N_116CompareEqFunctorIS4_EEEESt5arrayIPcLm2EEEEviT0_T1_
; %bb.0:
	s_clause 0x1
	s_load_b96 s[8:10], s[0:1], 0x0
	s_load_b128 s[4:7], s[0:1], 0x10
	s_wait_xcnt 0x0
	s_bfe_u32 s0, ttmp6, 0x4000c
	s_and_b32 s1, ttmp6, 15
	s_add_co_i32 s0, s0, 1
	s_getreg_b32 s2, hwreg(HW_REG_IB_STS2, 6, 4)
	s_mul_i32 s0, ttmp9, s0
	s_mov_b32 s32, 0
	s_add_co_i32 s1, s1, s0
	s_cmp_eq_u32 s2, 0
	s_cselect_b32 s0, ttmp9, s1
	s_mov_b32 s1, -1
	s_lshl_b32 s0, s0, 12
	s_wait_kmcnt 0x0
	s_sub_co_i32 s2, s8, s0
	s_delay_alu instid0(SALU_CYCLE_1)
	s_cmp_gt_i32 s2, 0xfff
	s_cbranch_scc1 .LBB259_3
; %bb.1:
	s_and_b32 vcc_lo, exec_lo, s1
	s_cbranch_vccnz .LBB259_576
.LBB259_2:
	s_sendmsg sendmsg(MSG_DEALLOC_VGPRS)
	s_endpgm
.LBB259_3:
	s_ashr_i32 s1, s0, 31
	s_cmp_lg_u32 s9, 0
	s_add_nc_u64 s[12:13], s[6:7], s[0:1]
	s_cselect_b32 s11, -1, 0
	s_clause 0x7
	global_load_u16 v9, v0, s[12:13] scale_offset
	global_load_u16 v8, v0, s[12:13] offset:512 scale_offset
	global_load_u16 v7, v0, s[12:13] offset:1024 scale_offset
	;; [unrolled: 1-line block ×7, first 2 shown]
	s_and_b32 s3, s10, 3
	s_wait_xcnt 0x0
	s_bfe_u32 s13, s10, 0x50002
	s_clz_i32_u32 s8, s3
	s_delay_alu instid0(SALU_CYCLE_1) | instskip(NEXT) | instid1(SALU_CYCLE_1)
	s_min_u32 s8, s8, 32
	s_sub_co_i32 s12, s8, 29
	s_sub_co_i32 s8, 30, s8
	s_lshl_b32 s12, s10, s12
	s_delay_alu instid0(SALU_CYCLE_1)
	s_and_b32 s12, s12, 3
	s_cmp_eq_u32 s13, 0
	s_cselect_b32 s8, s8, s13
	s_cselect_b32 s3, s12, s3
	s_lshl_b32 s12, s10, 24
	s_lshl_b32 s8, s8, 23
	s_and_b32 s12, s12, 0x80000000
	s_add_co_i32 s8, s8, 0x37800000
	s_lshl_b32 s3, s3, 21
	s_or_b32 s8, s12, s8
	s_and_b32 vcc_lo, exec_lo, s11
	s_or_b32 s3, s8, s3
	s_cbranch_vccz .LBB259_8
; %bb.4:
	s_and_b32 s12, s10, 0xff
	s_delay_alu instid0(SALU_CYCLE_1)
	s_cmp_lt_i32 s12, 0x80
	s_cbranch_scc1 .LBB259_14
; %bb.5:
	s_and_b32 s8, 0xffff, s12
	s_mov_b32 s13, -1
	s_cmp_eq_u32 s8, 0x80
	s_cbranch_scc0 .LBB259_7
; %bb.6:
	s_mov_b32 s13, 0
.LBB259_7:
	s_mov_b32 s8, 0x7f800001
	s_branch .LBB259_16
.LBB259_8:
                                        ; implicit-def: $sgpr8
	s_cbranch_execnz .LBB259_23
.LBB259_9:
	v_cndmask_b32_e64 v3, 0, 1, s11
	s_wait_loadcnt 0x7
	v_lshrrev_b16 v10, 8, v9
	s_and_not1_b32 vcc_lo, exec_lo, s11
	s_cbranch_vccnz .LBB259_305
.LBB259_10:
	s_and_b32 s12, s10, 0xff
	s_delay_alu instid0(SALU_CYCLE_1)
	s_cmp_lt_i32 s12, 0x80
	s_cbranch_scc1 .LBB259_27
; %bb.11:
	s_and_b32 s11, 0xffff, s12
	s_mov_b32 s13, -1
	s_cmp_eq_u32 s11, 0x80
	s_cbranch_scc0 .LBB259_13
; %bb.12:
	s_mov_b32 s13, 0
.LBB259_13:
	s_mov_b32 s11, 0x7f800001
	s_branch .LBB259_29
.LBB259_14:
	s_mov_b32 s13, 0
	s_mov_b32 s8, 0x7f800001
	s_cbranch_execz .LBB259_16
; %bb.15:
	s_and_b32 s8, 0xffff, s12
	s_delay_alu instid0(SALU_CYCLE_1)
	s_cmp_lg_u32 s8, 0
	s_mov_b32 s8, 0
	s_cselect_b32 s13, -1, 0
.LBB259_16:
	s_delay_alu instid0(SALU_CYCLE_1)
	s_and_not1_b32 vcc_lo, exec_lo, s13
	s_cbranch_vccnz .LBB259_18
; %bb.17:
	s_mov_b32 s8, s3
.LBB259_18:
	s_wait_loadcnt 0x7
	v_and_b32_e32 v3, 0xff, v9
	s_mov_b32 s12, 0
	s_mov_b32 s13, exec_lo
	s_delay_alu instid0(VALU_DEP_1)
	v_cmpx_lt_i16_e32 0x7f, v3
	s_xor_b32 s13, exec_lo, s13
	s_cbranch_execnz .LBB259_41
; %bb.19:
	s_or_saveexec_b32 s13, s13
	v_mov_b32_e32 v10, 0x7f800001
	s_xor_b32 exec_lo, exec_lo, s13
	s_cbranch_execnz .LBB259_44
.LBB259_20:
	s_or_b32 exec_lo, exec_lo, s13
	s_and_saveexec_b32 s13, s12
	s_cbranch_execz .LBB259_22
.LBB259_21:
	v_and_b32_e32 v3, 0xffff, v3
	s_delay_alu instid0(VALU_DEP_1) | instskip(SKIP_1) | instid1(VALU_DEP_2)
	v_and_b32_e32 v10, 3, v3
	v_bfe_u32 v13, v3, 2, 5
	v_clz_i32_u32_e32 v11, v10
	s_delay_alu instid0(VALU_DEP_2) | instskip(NEXT) | instid1(VALU_DEP_2)
	v_cmp_eq_u32_e32 vcc_lo, 0, v13
	v_min_u32_e32 v11, 32, v11
	s_delay_alu instid0(VALU_DEP_1) | instskip(SKIP_1) | instid1(VALU_DEP_2)
	v_subrev_nc_u32_e32 v12, 29, v11
	v_sub_nc_u32_e32 v11, 30, v11
	v_dual_lshlrev_b32 v3, v12, v3 :: v_dual_lshlrev_b32 v12, 24, v9
	s_delay_alu instid0(VALU_DEP_2) | instskip(NEXT) | instid1(VALU_DEP_2)
	v_cndmask_b32_e32 v11, v13, v11, vcc_lo
	v_and_b32_e32 v3, 3, v3
	s_delay_alu instid0(VALU_DEP_2) | instskip(NEXT) | instid1(VALU_DEP_2)
	v_lshl_add_u32 v11, v11, 23, 0x37800000
	v_cndmask_b32_e32 v3, v10, v3, vcc_lo
	v_and_b32_e32 v10, 0x80000000, v12
	s_delay_alu instid0(VALU_DEP_2) | instskip(NEXT) | instid1(VALU_DEP_1)
	v_lshlrev_b32_e32 v3, 21, v3
	v_or3_b32 v10, v10, v11, v3
.LBB259_22:
	s_or_b32 exec_lo, exec_lo, s13
	s_delay_alu instid0(VALU_DEP_1)
	v_cmp_neq_f32_e64 s8, s8, v10
	s_branch .LBB259_9
.LBB259_23:
	s_and_b32 s12, s10, 0xff
	s_delay_alu instid0(SALU_CYCLE_1)
	s_cmp_lt_i32 s12, 0x80
	s_cbranch_scc1 .LBB259_296
; %bb.24:
	s_and_b32 s8, 0xffff, s12
	s_mov_b32 s13, -1
	s_cmp_eq_u32 s8, 0x80
	s_cbranch_scc0 .LBB259_26
; %bb.25:
	s_mov_b32 s13, 0
.LBB259_26:
	s_mov_b32 s8, 0x7f800001
	s_branch .LBB259_298
.LBB259_27:
	s_mov_b32 s13, 0
	s_mov_b32 s11, 0x7f800001
	s_cbranch_execz .LBB259_29
; %bb.28:
	s_and_b32 s11, 0xffff, s12
	s_delay_alu instid0(SALU_CYCLE_1)
	s_cmp_lg_u32 s11, 0
	s_mov_b32 s11, 0
	s_cselect_b32 s13, -1, 0
.LBB259_29:
	s_delay_alu instid0(SALU_CYCLE_1)
	s_and_not1_b32 vcc_lo, exec_lo, s13
	s_cbranch_vccnz .LBB259_31
; %bb.30:
	s_mov_b32 s11, s3
.LBB259_31:
	s_mov_b32 s12, 0
	s_mov_b32 s13, exec_lo
	v_cmpx_lt_i16_e32 0x7f, v10
	s_xor_b32 s13, exec_lo, s13
	s_cbranch_execnz .LBB259_45
; %bb.32:
	s_or_saveexec_b32 s13, s13
	v_mov_b32_e32 v11, 0x7f800001
	s_xor_b32 exec_lo, exec_lo, s13
	s_cbranch_execnz .LBB259_48
.LBB259_33:
	s_or_b32 exec_lo, exec_lo, s13
	s_and_saveexec_b32 s13, s12
	s_cbranch_execz .LBB259_35
.LBB259_34:
	v_and_b32_e32 v11, 0xffff, v10
	s_delay_alu instid0(VALU_DEP_1) | instskip(SKIP_1) | instid1(VALU_DEP_2)
	v_and_b32_e32 v12, 3, v11
	v_bfe_u32 v15, v11, 2, 5
	v_clz_i32_u32_e32 v13, v12
	s_delay_alu instid0(VALU_DEP_2) | instskip(NEXT) | instid1(VALU_DEP_2)
	v_cmp_eq_u32_e32 vcc_lo, 0, v15
	v_min_u32_e32 v13, 32, v13
	s_delay_alu instid0(VALU_DEP_1) | instskip(NEXT) | instid1(VALU_DEP_1)
	v_subrev_nc_u32_e32 v14, 29, v13
	v_dual_lshlrev_b32 v11, v14, v11 :: v_dual_sub_nc_u32 v13, 30, v13
	s_delay_alu instid0(VALU_DEP_1) | instskip(NEXT) | instid1(VALU_DEP_1)
	v_dual_lshlrev_b32 v14, 16, v9 :: v_dual_bitop2_b32 v11, 3, v11 bitop3:0x40
	v_dual_cndmask_b32 v11, v12, v11, vcc_lo :: v_dual_cndmask_b32 v13, v15, v13, vcc_lo
	s_delay_alu instid0(VALU_DEP_2) | instskip(NEXT) | instid1(VALU_DEP_2)
	v_and_b32_e32 v12, 0x80000000, v14
	v_lshlrev_b32_e32 v11, 21, v11
	s_delay_alu instid0(VALU_DEP_3) | instskip(NEXT) | instid1(VALU_DEP_1)
	v_lshl_add_u32 v13, v13, 23, 0x37800000
	v_or3_b32 v11, v12, v13, v11
.LBB259_35:
	s_or_b32 exec_lo, exec_lo, s13
	s_delay_alu instid0(VALU_DEP_1)
	v_cmp_neq_f32_e64 s11, s11, v11
.LBB259_36:
	v_cmp_ne_u32_e32 vcc_lo, 1, v3
	s_cbranch_vccnz .LBB259_323
.LBB259_37:
	s_and_b32 s13, s10, 0xff
	s_delay_alu instid0(SALU_CYCLE_1)
	s_cmp_lt_i32 s13, 0x80
	s_cbranch_scc1 .LBB259_49
; %bb.38:
	s_and_b32 s12, 0xffff, s13
	s_mov_b32 s14, -1
	s_cmp_eq_u32 s12, 0x80
	s_cbranch_scc0 .LBB259_40
; %bb.39:
	s_mov_b32 s14, 0
.LBB259_40:
	s_mov_b32 s12, 0x7f800001
	s_branch .LBB259_51
.LBB259_41:
	s_mov_b32 s12, -1
	s_mov_b32 s14, exec_lo
	v_cmpx_eq_u16_e32 0x80, v3
; %bb.42:
	s_xor_b32 s12, exec_lo, -1
; %bb.43:
	s_or_b32 exec_lo, exec_lo, s14
	s_delay_alu instid0(SALU_CYCLE_1)
	s_and_b32 s12, s12, exec_lo
	s_or_saveexec_b32 s13, s13
	v_mov_b32_e32 v10, 0x7f800001
	s_xor_b32 exec_lo, exec_lo, s13
	s_cbranch_execz .LBB259_20
.LBB259_44:
	v_cmp_ne_u16_e32 vcc_lo, 0, v3
	v_mov_b32_e32 v10, 0
	s_and_not1_b32 s12, s12, exec_lo
	s_and_b32 s14, vcc_lo, exec_lo
	s_delay_alu instid0(SALU_CYCLE_1)
	s_or_b32 s12, s12, s14
	s_or_b32 exec_lo, exec_lo, s13
	s_and_saveexec_b32 s13, s12
	s_cbranch_execnz .LBB259_21
	s_branch .LBB259_22
.LBB259_45:
	s_mov_b32 s12, -1
	s_mov_b32 s14, exec_lo
	v_cmpx_eq_u16_e32 0x80, v10
; %bb.46:
	s_xor_b32 s12, exec_lo, -1
; %bb.47:
	s_or_b32 exec_lo, exec_lo, s14
	s_delay_alu instid0(SALU_CYCLE_1)
	s_and_b32 s12, s12, exec_lo
	s_or_saveexec_b32 s13, s13
	v_mov_b32_e32 v11, 0x7f800001
	s_xor_b32 exec_lo, exec_lo, s13
	s_cbranch_execz .LBB259_33
.LBB259_48:
	v_cmp_ne_u16_e32 vcc_lo, 0, v10
	v_mov_b32_e32 v11, 0
	s_and_not1_b32 s12, s12, exec_lo
	s_and_b32 s14, vcc_lo, exec_lo
	s_delay_alu instid0(SALU_CYCLE_1)
	s_or_b32 s12, s12, s14
	s_or_b32 exec_lo, exec_lo, s13
	s_and_saveexec_b32 s13, s12
	s_cbranch_execnz .LBB259_34
	s_branch .LBB259_35
.LBB259_49:
	s_mov_b32 s14, 0
	s_mov_b32 s12, 0x7f800001
	s_cbranch_execz .LBB259_51
; %bb.50:
	s_and_b32 s12, 0xffff, s13
	s_delay_alu instid0(SALU_CYCLE_1)
	s_cmp_lg_u32 s12, 0
	s_mov_b32 s12, 0
	s_cselect_b32 s14, -1, 0
.LBB259_51:
	s_delay_alu instid0(SALU_CYCLE_1)
	s_and_not1_b32 vcc_lo, exec_lo, s14
	s_cbranch_vccnz .LBB259_53
; %bb.52:
	s_mov_b32 s12, s3
.LBB259_53:
	s_wait_loadcnt 0x6
	v_and_b32_e32 v9, 0xff, v8
	s_mov_b32 s13, 0
	s_mov_b32 s14, exec_lo
	s_delay_alu instid0(VALU_DEP_1)
	v_cmpx_lt_i16_e32 0x7f, v9
	s_xor_b32 s14, exec_lo, s14
	s_cbranch_execnz .LBB259_63
; %bb.54:
	s_or_saveexec_b32 s14, s14
	v_mov_b32_e32 v10, 0x7f800001
	s_xor_b32 exec_lo, exec_lo, s14
	s_cbranch_execnz .LBB259_66
.LBB259_55:
	s_or_b32 exec_lo, exec_lo, s14
	s_and_saveexec_b32 s14, s13
	s_cbranch_execz .LBB259_57
.LBB259_56:
	v_and_b32_e32 v9, 0xffff, v9
	s_delay_alu instid0(VALU_DEP_1) | instskip(SKIP_1) | instid1(VALU_DEP_2)
	v_and_b32_e32 v10, 3, v9
	v_bfe_u32 v13, v9, 2, 5
	v_clz_i32_u32_e32 v11, v10
	s_delay_alu instid0(VALU_DEP_2) | instskip(NEXT) | instid1(VALU_DEP_2)
	v_cmp_eq_u32_e32 vcc_lo, 0, v13
	v_min_u32_e32 v11, 32, v11
	s_delay_alu instid0(VALU_DEP_1) | instskip(NEXT) | instid1(VALU_DEP_1)
	v_subrev_nc_u32_e32 v12, 29, v11
	v_dual_lshlrev_b32 v9, v12, v9 :: v_dual_sub_nc_u32 v11, 30, v11
	s_delay_alu instid0(VALU_DEP_1) | instskip(NEXT) | instid1(VALU_DEP_1)
	v_dual_lshlrev_b32 v12, 24, v8 :: v_dual_bitop2_b32 v9, 3, v9 bitop3:0x40
	v_dual_cndmask_b32 v11, v13, v11, vcc_lo :: v_dual_cndmask_b32 v9, v10, v9, vcc_lo
	s_delay_alu instid0(VALU_DEP_2) | instskip(NEXT) | instid1(VALU_DEP_2)
	v_and_b32_e32 v10, 0x80000000, v12
	v_lshl_add_u32 v11, v11, 23, 0x37800000
	s_delay_alu instid0(VALU_DEP_3) | instskip(NEXT) | instid1(VALU_DEP_1)
	v_lshlrev_b32_e32 v9, 21, v9
	v_or3_b32 v10, v10, v11, v9
.LBB259_57:
	s_or_b32 exec_lo, exec_lo, s14
	s_delay_alu instid0(VALU_DEP_1)
	v_cmp_neq_f32_e64 s12, s12, v10
.LBB259_58:
	v_cmp_ne_u32_e32 vcc_lo, 1, v3
	s_wait_loadcnt 0x6
	v_lshrrev_b16 v9, 8, v8
	s_cbranch_vccnz .LBB259_341
.LBB259_59:
	s_and_b32 s14, s10, 0xff
	s_delay_alu instid0(SALU_CYCLE_1)
	s_cmp_lt_i32 s14, 0x80
	s_cbranch_scc1 .LBB259_67
; %bb.60:
	s_and_b32 s13, 0xffff, s14
	s_mov_b32 s15, -1
	s_cmp_eq_u32 s13, 0x80
	s_cbranch_scc0 .LBB259_62
; %bb.61:
	s_mov_b32 s15, 0
.LBB259_62:
	s_mov_b32 s13, 0x7f800001
	s_branch .LBB259_69
.LBB259_63:
	s_mov_b32 s13, -1
	s_mov_b32 s15, exec_lo
	v_cmpx_eq_u16_e32 0x80, v9
; %bb.64:
	s_xor_b32 s13, exec_lo, -1
; %bb.65:
	s_or_b32 exec_lo, exec_lo, s15
	s_delay_alu instid0(SALU_CYCLE_1)
	s_and_b32 s13, s13, exec_lo
	s_or_saveexec_b32 s14, s14
	v_mov_b32_e32 v10, 0x7f800001
	s_xor_b32 exec_lo, exec_lo, s14
	s_cbranch_execz .LBB259_55
.LBB259_66:
	v_cmp_ne_u16_e32 vcc_lo, 0, v9
	v_mov_b32_e32 v10, 0
	s_and_not1_b32 s13, s13, exec_lo
	s_and_b32 s15, vcc_lo, exec_lo
	s_delay_alu instid0(SALU_CYCLE_1)
	s_or_b32 s13, s13, s15
	s_or_b32 exec_lo, exec_lo, s14
	s_and_saveexec_b32 s14, s13
	s_cbranch_execnz .LBB259_56
	s_branch .LBB259_57
.LBB259_67:
	s_mov_b32 s15, 0
	s_mov_b32 s13, 0x7f800001
	s_cbranch_execz .LBB259_69
; %bb.68:
	s_and_b32 s13, 0xffff, s14
	s_delay_alu instid0(SALU_CYCLE_1)
	s_cmp_lg_u32 s13, 0
	s_mov_b32 s13, 0
	s_cselect_b32 s15, -1, 0
.LBB259_69:
	s_delay_alu instid0(SALU_CYCLE_1)
	s_and_not1_b32 vcc_lo, exec_lo, s15
	s_cbranch_vccnz .LBB259_71
; %bb.70:
	s_mov_b32 s13, s3
.LBB259_71:
	s_mov_b32 s14, 0
	s_mov_b32 s15, exec_lo
	v_cmpx_lt_i16_e32 0x7f, v9
	s_xor_b32 s15, exec_lo, s15
	s_cbranch_execnz .LBB259_81
; %bb.72:
	s_or_saveexec_b32 s15, s15
	v_mov_b32_e32 v10, 0x7f800001
	s_xor_b32 exec_lo, exec_lo, s15
	s_cbranch_execnz .LBB259_84
.LBB259_73:
	s_or_b32 exec_lo, exec_lo, s15
	s_and_saveexec_b32 s15, s14
	s_cbranch_execz .LBB259_75
.LBB259_74:
	v_and_b32_e32 v10, 0xffff, v9
	s_delay_alu instid0(VALU_DEP_1) | instskip(SKIP_1) | instid1(VALU_DEP_2)
	v_and_b32_e32 v11, 3, v10
	v_bfe_u32 v14, v10, 2, 5
	v_clz_i32_u32_e32 v12, v11
	s_delay_alu instid0(VALU_DEP_2) | instskip(NEXT) | instid1(VALU_DEP_2)
	v_cmp_eq_u32_e32 vcc_lo, 0, v14
	v_min_u32_e32 v12, 32, v12
	s_delay_alu instid0(VALU_DEP_1) | instskip(NEXT) | instid1(VALU_DEP_1)
	v_subrev_nc_u32_e32 v13, 29, v12
	v_dual_lshlrev_b32 v10, v13, v10 :: v_dual_sub_nc_u32 v12, 30, v12
	s_delay_alu instid0(VALU_DEP_1) | instskip(NEXT) | instid1(VALU_DEP_1)
	v_dual_lshlrev_b32 v13, 16, v8 :: v_dual_bitop2_b32 v10, 3, v10 bitop3:0x40
	v_dual_cndmask_b32 v10, v11, v10, vcc_lo :: v_dual_cndmask_b32 v12, v14, v12, vcc_lo
	s_delay_alu instid0(VALU_DEP_2) | instskip(NEXT) | instid1(VALU_DEP_2)
	v_and_b32_e32 v11, 0x80000000, v13
	v_lshlrev_b32_e32 v10, 21, v10
	s_delay_alu instid0(VALU_DEP_3) | instskip(NEXT) | instid1(VALU_DEP_1)
	v_lshl_add_u32 v12, v12, 23, 0x37800000
	v_or3_b32 v10, v11, v12, v10
.LBB259_75:
	s_or_b32 exec_lo, exec_lo, s15
	s_delay_alu instid0(VALU_DEP_1)
	v_cmp_neq_f32_e64 s13, s13, v10
.LBB259_76:
	v_cmp_ne_u32_e32 vcc_lo, 1, v3
	s_cbranch_vccnz .LBB259_359
.LBB259_77:
	s_and_b32 s15, s10, 0xff
	s_delay_alu instid0(SALU_CYCLE_1)
	s_cmp_lt_i32 s15, 0x80
	s_cbranch_scc1 .LBB259_85
; %bb.78:
	s_and_b32 s14, 0xffff, s15
	s_mov_b32 s16, -1
	s_cmp_eq_u32 s14, 0x80
	s_cbranch_scc0 .LBB259_80
; %bb.79:
	s_mov_b32 s16, 0
.LBB259_80:
	s_mov_b32 s14, 0x7f800001
	s_branch .LBB259_87
.LBB259_81:
	s_mov_b32 s14, -1
	s_mov_b32 s16, exec_lo
	v_cmpx_eq_u16_e32 0x80, v9
; %bb.82:
	s_xor_b32 s14, exec_lo, -1
; %bb.83:
	s_or_b32 exec_lo, exec_lo, s16
	s_delay_alu instid0(SALU_CYCLE_1)
	s_and_b32 s14, s14, exec_lo
	s_or_saveexec_b32 s15, s15
	v_mov_b32_e32 v10, 0x7f800001
	s_xor_b32 exec_lo, exec_lo, s15
	s_cbranch_execz .LBB259_73
.LBB259_84:
	v_cmp_ne_u16_e32 vcc_lo, 0, v9
	v_mov_b32_e32 v10, 0
	s_and_not1_b32 s14, s14, exec_lo
	s_and_b32 s16, vcc_lo, exec_lo
	s_delay_alu instid0(SALU_CYCLE_1)
	s_or_b32 s14, s14, s16
	s_or_b32 exec_lo, exec_lo, s15
	s_and_saveexec_b32 s15, s14
	s_cbranch_execnz .LBB259_74
	s_branch .LBB259_75
.LBB259_85:
	s_mov_b32 s16, 0
	s_mov_b32 s14, 0x7f800001
	s_cbranch_execz .LBB259_87
; %bb.86:
	s_and_b32 s14, 0xffff, s15
	s_delay_alu instid0(SALU_CYCLE_1)
	s_cmp_lg_u32 s14, 0
	s_mov_b32 s14, 0
	s_cselect_b32 s16, -1, 0
.LBB259_87:
	s_delay_alu instid0(SALU_CYCLE_1)
	s_and_not1_b32 vcc_lo, exec_lo, s16
	s_cbranch_vccnz .LBB259_89
; %bb.88:
	s_mov_b32 s14, s3
.LBB259_89:
	s_wait_loadcnt 0x5
	v_and_b32_e32 v8, 0xff, v7
	s_mov_b32 s15, 0
	s_mov_b32 s16, exec_lo
	s_delay_alu instid0(VALU_DEP_1)
	v_cmpx_lt_i16_e32 0x7f, v8
	s_xor_b32 s16, exec_lo, s16
	s_cbranch_execnz .LBB259_99
; %bb.90:
	s_or_saveexec_b32 s16, s16
	v_mov_b32_e32 v9, 0x7f800001
	s_xor_b32 exec_lo, exec_lo, s16
	s_cbranch_execnz .LBB259_102
.LBB259_91:
	s_or_b32 exec_lo, exec_lo, s16
	s_and_saveexec_b32 s16, s15
	s_cbranch_execz .LBB259_93
.LBB259_92:
	v_and_b32_e32 v8, 0xffff, v8
	s_delay_alu instid0(VALU_DEP_1) | instskip(SKIP_1) | instid1(VALU_DEP_2)
	v_and_b32_e32 v9, 3, v8
	v_bfe_u32 v12, v8, 2, 5
	v_clz_i32_u32_e32 v10, v9
	s_delay_alu instid0(VALU_DEP_2) | instskip(NEXT) | instid1(VALU_DEP_2)
	v_cmp_eq_u32_e32 vcc_lo, 0, v12
	v_min_u32_e32 v10, 32, v10
	s_delay_alu instid0(VALU_DEP_1) | instskip(NEXT) | instid1(VALU_DEP_1)
	v_subrev_nc_u32_e32 v11, 29, v10
	v_dual_lshlrev_b32 v8, v11, v8 :: v_dual_sub_nc_u32 v10, 30, v10
	s_delay_alu instid0(VALU_DEP_1) | instskip(NEXT) | instid1(VALU_DEP_1)
	v_dual_lshlrev_b32 v11, 24, v7 :: v_dual_bitop2_b32 v8, 3, v8 bitop3:0x40
	v_dual_cndmask_b32 v10, v12, v10, vcc_lo :: v_dual_cndmask_b32 v8, v9, v8, vcc_lo
	s_delay_alu instid0(VALU_DEP_2) | instskip(NEXT) | instid1(VALU_DEP_2)
	v_and_b32_e32 v9, 0x80000000, v11
	v_lshl_add_u32 v10, v10, 23, 0x37800000
	s_delay_alu instid0(VALU_DEP_3) | instskip(NEXT) | instid1(VALU_DEP_1)
	v_lshlrev_b32_e32 v8, 21, v8
	v_or3_b32 v9, v9, v10, v8
.LBB259_93:
	s_or_b32 exec_lo, exec_lo, s16
	s_delay_alu instid0(VALU_DEP_1)
	v_cmp_neq_f32_e64 s14, s14, v9
.LBB259_94:
	v_cmp_ne_u32_e32 vcc_lo, 1, v3
	s_wait_loadcnt 0x5
	v_lshrrev_b16 v8, 8, v7
	s_cbranch_vccnz .LBB259_377
.LBB259_95:
	s_and_b32 s16, s10, 0xff
	s_delay_alu instid0(SALU_CYCLE_1)
	s_cmp_lt_i32 s16, 0x80
	s_cbranch_scc1 .LBB259_103
; %bb.96:
	s_and_b32 s15, 0xffff, s16
	s_mov_b32 s17, -1
	s_cmp_eq_u32 s15, 0x80
	s_cbranch_scc0 .LBB259_98
; %bb.97:
	s_mov_b32 s17, 0
.LBB259_98:
	s_mov_b32 s15, 0x7f800001
	s_branch .LBB259_105
.LBB259_99:
	s_mov_b32 s15, -1
	s_mov_b32 s17, exec_lo
	v_cmpx_eq_u16_e32 0x80, v8
; %bb.100:
	s_xor_b32 s15, exec_lo, -1
; %bb.101:
	s_or_b32 exec_lo, exec_lo, s17
	s_delay_alu instid0(SALU_CYCLE_1)
	s_and_b32 s15, s15, exec_lo
	s_or_saveexec_b32 s16, s16
	v_mov_b32_e32 v9, 0x7f800001
	s_xor_b32 exec_lo, exec_lo, s16
	s_cbranch_execz .LBB259_91
.LBB259_102:
	v_cmp_ne_u16_e32 vcc_lo, 0, v8
	v_mov_b32_e32 v9, 0
	s_and_not1_b32 s15, s15, exec_lo
	s_and_b32 s17, vcc_lo, exec_lo
	s_delay_alu instid0(SALU_CYCLE_1)
	s_or_b32 s15, s15, s17
	s_or_b32 exec_lo, exec_lo, s16
	s_and_saveexec_b32 s16, s15
	s_cbranch_execnz .LBB259_92
	s_branch .LBB259_93
.LBB259_103:
	s_mov_b32 s17, 0
	s_mov_b32 s15, 0x7f800001
	s_cbranch_execz .LBB259_105
; %bb.104:
	s_and_b32 s15, 0xffff, s16
	s_delay_alu instid0(SALU_CYCLE_1)
	s_cmp_lg_u32 s15, 0
	s_mov_b32 s15, 0
	s_cselect_b32 s17, -1, 0
.LBB259_105:
	s_delay_alu instid0(SALU_CYCLE_1)
	s_and_not1_b32 vcc_lo, exec_lo, s17
	s_cbranch_vccnz .LBB259_107
; %bb.106:
	s_mov_b32 s15, s3
.LBB259_107:
	s_mov_b32 s16, 0
	s_mov_b32 s17, exec_lo
	v_cmpx_lt_i16_e32 0x7f, v8
	s_xor_b32 s17, exec_lo, s17
	s_cbranch_execnz .LBB259_117
; %bb.108:
	s_or_saveexec_b32 s17, s17
	v_mov_b32_e32 v9, 0x7f800001
	s_xor_b32 exec_lo, exec_lo, s17
	s_cbranch_execnz .LBB259_120
.LBB259_109:
	s_or_b32 exec_lo, exec_lo, s17
	s_and_saveexec_b32 s17, s16
	s_cbranch_execz .LBB259_111
.LBB259_110:
	v_and_b32_e32 v9, 0xffff, v8
	s_delay_alu instid0(VALU_DEP_1) | instskip(SKIP_1) | instid1(VALU_DEP_2)
	v_and_b32_e32 v10, 3, v9
	v_bfe_u32 v13, v9, 2, 5
	v_clz_i32_u32_e32 v11, v10
	s_delay_alu instid0(VALU_DEP_2) | instskip(NEXT) | instid1(VALU_DEP_2)
	v_cmp_eq_u32_e32 vcc_lo, 0, v13
	v_min_u32_e32 v11, 32, v11
	s_delay_alu instid0(VALU_DEP_1) | instskip(NEXT) | instid1(VALU_DEP_1)
	v_subrev_nc_u32_e32 v12, 29, v11
	v_dual_lshlrev_b32 v9, v12, v9 :: v_dual_sub_nc_u32 v11, 30, v11
	s_delay_alu instid0(VALU_DEP_1) | instskip(NEXT) | instid1(VALU_DEP_1)
	v_dual_lshlrev_b32 v12, 16, v7 :: v_dual_bitop2_b32 v9, 3, v9 bitop3:0x40
	v_dual_cndmask_b32 v9, v10, v9, vcc_lo :: v_dual_cndmask_b32 v11, v13, v11, vcc_lo
	s_delay_alu instid0(VALU_DEP_2) | instskip(NEXT) | instid1(VALU_DEP_2)
	v_and_b32_e32 v10, 0x80000000, v12
	v_lshlrev_b32_e32 v9, 21, v9
	s_delay_alu instid0(VALU_DEP_3) | instskip(NEXT) | instid1(VALU_DEP_1)
	v_lshl_add_u32 v11, v11, 23, 0x37800000
	v_or3_b32 v9, v10, v11, v9
.LBB259_111:
	s_or_b32 exec_lo, exec_lo, s17
	s_delay_alu instid0(VALU_DEP_1)
	v_cmp_neq_f32_e64 s15, s15, v9
.LBB259_112:
	v_cmp_ne_u32_e32 vcc_lo, 1, v3
	s_cbranch_vccnz .LBB259_395
.LBB259_113:
	s_and_b32 s17, s10, 0xff
	s_delay_alu instid0(SALU_CYCLE_1)
	s_cmp_lt_i32 s17, 0x80
	s_cbranch_scc1 .LBB259_121
; %bb.114:
	s_and_b32 s16, 0xffff, s17
	s_mov_b32 s18, -1
	s_cmp_eq_u32 s16, 0x80
	s_cbranch_scc0 .LBB259_116
; %bb.115:
	s_mov_b32 s18, 0
.LBB259_116:
	s_mov_b32 s16, 0x7f800001
	s_branch .LBB259_123
.LBB259_117:
	s_mov_b32 s16, -1
	s_mov_b32 s18, exec_lo
	v_cmpx_eq_u16_e32 0x80, v8
; %bb.118:
	s_xor_b32 s16, exec_lo, -1
; %bb.119:
	s_or_b32 exec_lo, exec_lo, s18
	s_delay_alu instid0(SALU_CYCLE_1)
	s_and_b32 s16, s16, exec_lo
	s_or_saveexec_b32 s17, s17
	v_mov_b32_e32 v9, 0x7f800001
	s_xor_b32 exec_lo, exec_lo, s17
	s_cbranch_execz .LBB259_109
.LBB259_120:
	v_cmp_ne_u16_e32 vcc_lo, 0, v8
	v_mov_b32_e32 v9, 0
	s_and_not1_b32 s16, s16, exec_lo
	s_and_b32 s18, vcc_lo, exec_lo
	s_delay_alu instid0(SALU_CYCLE_1)
	s_or_b32 s16, s16, s18
	s_or_b32 exec_lo, exec_lo, s17
	s_and_saveexec_b32 s17, s16
	s_cbranch_execnz .LBB259_110
	s_branch .LBB259_111
.LBB259_121:
	s_mov_b32 s18, 0
	s_mov_b32 s16, 0x7f800001
	s_cbranch_execz .LBB259_123
; %bb.122:
	s_and_b32 s16, 0xffff, s17
	s_delay_alu instid0(SALU_CYCLE_1)
	s_cmp_lg_u32 s16, 0
	s_mov_b32 s16, 0
	s_cselect_b32 s18, -1, 0
.LBB259_123:
	s_delay_alu instid0(SALU_CYCLE_1)
	s_and_not1_b32 vcc_lo, exec_lo, s18
	s_cbranch_vccnz .LBB259_125
; %bb.124:
	s_mov_b32 s16, s3
.LBB259_125:
	s_wait_loadcnt 0x4
	v_and_b32_e32 v7, 0xff, v6
	s_mov_b32 s17, 0
	s_mov_b32 s18, exec_lo
	s_delay_alu instid0(VALU_DEP_1)
	v_cmpx_lt_i16_e32 0x7f, v7
	s_xor_b32 s18, exec_lo, s18
	s_cbranch_execnz .LBB259_135
; %bb.126:
	s_or_saveexec_b32 s18, s18
	v_mov_b32_e32 v8, 0x7f800001
	s_xor_b32 exec_lo, exec_lo, s18
	s_cbranch_execnz .LBB259_138
.LBB259_127:
	s_or_b32 exec_lo, exec_lo, s18
	s_and_saveexec_b32 s18, s17
	s_cbranch_execz .LBB259_129
.LBB259_128:
	v_and_b32_e32 v7, 0xffff, v7
	s_delay_alu instid0(VALU_DEP_1) | instskip(SKIP_1) | instid1(VALU_DEP_2)
	v_and_b32_e32 v8, 3, v7
	v_bfe_u32 v11, v7, 2, 5
	v_clz_i32_u32_e32 v9, v8
	s_delay_alu instid0(VALU_DEP_2) | instskip(NEXT) | instid1(VALU_DEP_2)
	v_cmp_eq_u32_e32 vcc_lo, 0, v11
	v_min_u32_e32 v9, 32, v9
	s_delay_alu instid0(VALU_DEP_1) | instskip(NEXT) | instid1(VALU_DEP_1)
	v_subrev_nc_u32_e32 v10, 29, v9
	v_dual_lshlrev_b32 v7, v10, v7 :: v_dual_sub_nc_u32 v9, 30, v9
	s_delay_alu instid0(VALU_DEP_1) | instskip(NEXT) | instid1(VALU_DEP_1)
	v_dual_lshlrev_b32 v10, 24, v6 :: v_dual_bitop2_b32 v7, 3, v7 bitop3:0x40
	v_dual_cndmask_b32 v9, v11, v9, vcc_lo :: v_dual_cndmask_b32 v7, v8, v7, vcc_lo
	s_delay_alu instid0(VALU_DEP_2) | instskip(NEXT) | instid1(VALU_DEP_2)
	v_and_b32_e32 v8, 0x80000000, v10
	v_lshl_add_u32 v9, v9, 23, 0x37800000
	s_delay_alu instid0(VALU_DEP_3) | instskip(NEXT) | instid1(VALU_DEP_1)
	v_lshlrev_b32_e32 v7, 21, v7
	v_or3_b32 v8, v8, v9, v7
.LBB259_129:
	s_or_b32 exec_lo, exec_lo, s18
	s_delay_alu instid0(VALU_DEP_1)
	v_cmp_neq_f32_e64 s16, s16, v8
.LBB259_130:
	v_cmp_ne_u32_e32 vcc_lo, 1, v3
	s_wait_loadcnt 0x4
	v_lshrrev_b16 v7, 8, v6
	s_cbranch_vccnz .LBB259_413
.LBB259_131:
	s_and_b32 s18, s10, 0xff
	s_delay_alu instid0(SALU_CYCLE_1)
	s_cmp_lt_i32 s18, 0x80
	s_cbranch_scc1 .LBB259_139
; %bb.132:
	s_and_b32 s17, 0xffff, s18
	s_mov_b32 s19, -1
	s_cmp_eq_u32 s17, 0x80
	s_cbranch_scc0 .LBB259_134
; %bb.133:
	s_mov_b32 s19, 0
.LBB259_134:
	s_mov_b32 s17, 0x7f800001
	s_branch .LBB259_141
.LBB259_135:
	s_mov_b32 s17, -1
	s_mov_b32 s19, exec_lo
	v_cmpx_eq_u16_e32 0x80, v7
; %bb.136:
	s_xor_b32 s17, exec_lo, -1
; %bb.137:
	s_or_b32 exec_lo, exec_lo, s19
	s_delay_alu instid0(SALU_CYCLE_1)
	s_and_b32 s17, s17, exec_lo
	s_or_saveexec_b32 s18, s18
	v_mov_b32_e32 v8, 0x7f800001
	s_xor_b32 exec_lo, exec_lo, s18
	s_cbranch_execz .LBB259_127
.LBB259_138:
	v_cmp_ne_u16_e32 vcc_lo, 0, v7
	v_mov_b32_e32 v8, 0
	s_and_not1_b32 s17, s17, exec_lo
	s_and_b32 s19, vcc_lo, exec_lo
	s_delay_alu instid0(SALU_CYCLE_1)
	s_or_b32 s17, s17, s19
	s_or_b32 exec_lo, exec_lo, s18
	s_and_saveexec_b32 s18, s17
	s_cbranch_execnz .LBB259_128
	s_branch .LBB259_129
.LBB259_139:
	s_mov_b32 s19, 0
	s_mov_b32 s17, 0x7f800001
	s_cbranch_execz .LBB259_141
; %bb.140:
	s_and_b32 s17, 0xffff, s18
	s_delay_alu instid0(SALU_CYCLE_1)
	s_cmp_lg_u32 s17, 0
	s_mov_b32 s17, 0
	s_cselect_b32 s19, -1, 0
.LBB259_141:
	s_delay_alu instid0(SALU_CYCLE_1)
	s_and_not1_b32 vcc_lo, exec_lo, s19
	s_cbranch_vccnz .LBB259_143
; %bb.142:
	s_mov_b32 s17, s3
.LBB259_143:
	s_mov_b32 s18, 0
	s_mov_b32 s19, exec_lo
	v_cmpx_lt_i16_e32 0x7f, v7
	s_xor_b32 s19, exec_lo, s19
	s_cbranch_execnz .LBB259_153
; %bb.144:
	s_or_saveexec_b32 s19, s19
	v_mov_b32_e32 v8, 0x7f800001
	s_xor_b32 exec_lo, exec_lo, s19
	s_cbranch_execnz .LBB259_156
.LBB259_145:
	s_or_b32 exec_lo, exec_lo, s19
	s_and_saveexec_b32 s19, s18
	s_cbranch_execz .LBB259_147
.LBB259_146:
	v_and_b32_e32 v8, 0xffff, v7
	s_delay_alu instid0(VALU_DEP_1) | instskip(SKIP_1) | instid1(VALU_DEP_2)
	v_and_b32_e32 v9, 3, v8
	v_bfe_u32 v12, v8, 2, 5
	v_clz_i32_u32_e32 v10, v9
	s_delay_alu instid0(VALU_DEP_2) | instskip(NEXT) | instid1(VALU_DEP_2)
	v_cmp_eq_u32_e32 vcc_lo, 0, v12
	v_min_u32_e32 v10, 32, v10
	s_delay_alu instid0(VALU_DEP_1) | instskip(NEXT) | instid1(VALU_DEP_1)
	v_subrev_nc_u32_e32 v11, 29, v10
	v_dual_lshlrev_b32 v8, v11, v8 :: v_dual_sub_nc_u32 v10, 30, v10
	s_delay_alu instid0(VALU_DEP_1) | instskip(NEXT) | instid1(VALU_DEP_1)
	v_dual_lshlrev_b32 v11, 16, v6 :: v_dual_bitop2_b32 v8, 3, v8 bitop3:0x40
	v_dual_cndmask_b32 v8, v9, v8, vcc_lo :: v_dual_cndmask_b32 v10, v12, v10, vcc_lo
	s_delay_alu instid0(VALU_DEP_2) | instskip(NEXT) | instid1(VALU_DEP_2)
	v_and_b32_e32 v9, 0x80000000, v11
	v_lshlrev_b32_e32 v8, 21, v8
	s_delay_alu instid0(VALU_DEP_3) | instskip(NEXT) | instid1(VALU_DEP_1)
	v_lshl_add_u32 v10, v10, 23, 0x37800000
	v_or3_b32 v8, v9, v10, v8
.LBB259_147:
	s_or_b32 exec_lo, exec_lo, s19
	s_delay_alu instid0(VALU_DEP_1)
	v_cmp_neq_f32_e64 s17, s17, v8
.LBB259_148:
	v_cmp_ne_u32_e32 vcc_lo, 1, v3
	s_cbranch_vccnz .LBB259_431
.LBB259_149:
	s_and_b32 s19, s10, 0xff
	s_delay_alu instid0(SALU_CYCLE_1)
	s_cmp_lt_i32 s19, 0x80
	s_cbranch_scc1 .LBB259_157
; %bb.150:
	s_and_b32 s18, 0xffff, s19
	s_mov_b32 s20, -1
	s_cmp_eq_u32 s18, 0x80
	s_cbranch_scc0 .LBB259_152
; %bb.151:
	s_mov_b32 s20, 0
.LBB259_152:
	s_mov_b32 s18, 0x7f800001
	s_branch .LBB259_159
.LBB259_153:
	s_mov_b32 s18, -1
	s_mov_b32 s20, exec_lo
	v_cmpx_eq_u16_e32 0x80, v7
; %bb.154:
	s_xor_b32 s18, exec_lo, -1
; %bb.155:
	s_or_b32 exec_lo, exec_lo, s20
	s_delay_alu instid0(SALU_CYCLE_1)
	s_and_b32 s18, s18, exec_lo
	s_or_saveexec_b32 s19, s19
	v_mov_b32_e32 v8, 0x7f800001
	s_xor_b32 exec_lo, exec_lo, s19
	s_cbranch_execz .LBB259_145
.LBB259_156:
	v_cmp_ne_u16_e32 vcc_lo, 0, v7
	v_mov_b32_e32 v8, 0
	s_and_not1_b32 s18, s18, exec_lo
	s_and_b32 s20, vcc_lo, exec_lo
	s_delay_alu instid0(SALU_CYCLE_1)
	s_or_b32 s18, s18, s20
	s_or_b32 exec_lo, exec_lo, s19
	s_and_saveexec_b32 s19, s18
	s_cbranch_execnz .LBB259_146
	s_branch .LBB259_147
.LBB259_157:
	s_mov_b32 s20, 0
	s_mov_b32 s18, 0x7f800001
	s_cbranch_execz .LBB259_159
; %bb.158:
	s_and_b32 s18, 0xffff, s19
	s_delay_alu instid0(SALU_CYCLE_1)
	s_cmp_lg_u32 s18, 0
	s_mov_b32 s18, 0
	s_cselect_b32 s20, -1, 0
.LBB259_159:
	s_delay_alu instid0(SALU_CYCLE_1)
	s_and_not1_b32 vcc_lo, exec_lo, s20
	s_cbranch_vccnz .LBB259_161
; %bb.160:
	s_mov_b32 s18, s3
.LBB259_161:
	s_wait_loadcnt 0x3
	v_and_b32_e32 v6, 0xff, v5
	s_mov_b32 s19, 0
	s_mov_b32 s20, exec_lo
	s_delay_alu instid0(VALU_DEP_1)
	v_cmpx_lt_i16_e32 0x7f, v6
	s_xor_b32 s20, exec_lo, s20
	s_cbranch_execnz .LBB259_171
; %bb.162:
	s_or_saveexec_b32 s20, s20
	v_mov_b32_e32 v7, 0x7f800001
	s_xor_b32 exec_lo, exec_lo, s20
	s_cbranch_execnz .LBB259_174
.LBB259_163:
	s_or_b32 exec_lo, exec_lo, s20
	s_and_saveexec_b32 s20, s19
	s_cbranch_execz .LBB259_165
.LBB259_164:
	v_and_b32_e32 v6, 0xffff, v6
	s_delay_alu instid0(VALU_DEP_1) | instskip(SKIP_1) | instid1(VALU_DEP_2)
	v_and_b32_e32 v7, 3, v6
	v_bfe_u32 v10, v6, 2, 5
	v_clz_i32_u32_e32 v8, v7
	s_delay_alu instid0(VALU_DEP_2) | instskip(NEXT) | instid1(VALU_DEP_2)
	v_cmp_eq_u32_e32 vcc_lo, 0, v10
	v_min_u32_e32 v8, 32, v8
	s_delay_alu instid0(VALU_DEP_1) | instskip(NEXT) | instid1(VALU_DEP_1)
	v_subrev_nc_u32_e32 v9, 29, v8
	v_dual_lshlrev_b32 v6, v9, v6 :: v_dual_sub_nc_u32 v8, 30, v8
	s_delay_alu instid0(VALU_DEP_1) | instskip(NEXT) | instid1(VALU_DEP_1)
	v_dual_lshlrev_b32 v9, 24, v5 :: v_dual_bitop2_b32 v6, 3, v6 bitop3:0x40
	v_dual_cndmask_b32 v8, v10, v8, vcc_lo :: v_dual_cndmask_b32 v6, v7, v6, vcc_lo
	s_delay_alu instid0(VALU_DEP_2) | instskip(NEXT) | instid1(VALU_DEP_2)
	v_and_b32_e32 v7, 0x80000000, v9
	v_lshl_add_u32 v8, v8, 23, 0x37800000
	s_delay_alu instid0(VALU_DEP_3) | instskip(NEXT) | instid1(VALU_DEP_1)
	v_lshlrev_b32_e32 v6, 21, v6
	v_or3_b32 v7, v7, v8, v6
.LBB259_165:
	s_or_b32 exec_lo, exec_lo, s20
	s_delay_alu instid0(VALU_DEP_1)
	v_cmp_neq_f32_e64 s18, s18, v7
.LBB259_166:
	v_cmp_ne_u32_e32 vcc_lo, 1, v3
	s_wait_loadcnt 0x3
	v_lshrrev_b16 v6, 8, v5
	s_cbranch_vccnz .LBB259_449
.LBB259_167:
	s_and_b32 s20, s10, 0xff
	s_delay_alu instid0(SALU_CYCLE_1)
	s_cmp_lt_i32 s20, 0x80
	s_cbranch_scc1 .LBB259_175
; %bb.168:
	s_and_b32 s19, 0xffff, s20
	s_mov_b32 s21, -1
	s_cmp_eq_u32 s19, 0x80
	s_cbranch_scc0 .LBB259_170
; %bb.169:
	s_mov_b32 s21, 0
.LBB259_170:
	s_mov_b32 s19, 0x7f800001
	s_branch .LBB259_177
.LBB259_171:
	s_mov_b32 s19, -1
	s_mov_b32 s21, exec_lo
	v_cmpx_eq_u16_e32 0x80, v6
; %bb.172:
	s_xor_b32 s19, exec_lo, -1
; %bb.173:
	s_or_b32 exec_lo, exec_lo, s21
	s_delay_alu instid0(SALU_CYCLE_1)
	s_and_b32 s19, s19, exec_lo
	s_or_saveexec_b32 s20, s20
	v_mov_b32_e32 v7, 0x7f800001
	s_xor_b32 exec_lo, exec_lo, s20
	s_cbranch_execz .LBB259_163
.LBB259_174:
	v_cmp_ne_u16_e32 vcc_lo, 0, v6
	v_mov_b32_e32 v7, 0
	s_and_not1_b32 s19, s19, exec_lo
	s_and_b32 s21, vcc_lo, exec_lo
	s_delay_alu instid0(SALU_CYCLE_1)
	s_or_b32 s19, s19, s21
	s_or_b32 exec_lo, exec_lo, s20
	s_and_saveexec_b32 s20, s19
	s_cbranch_execnz .LBB259_164
	s_branch .LBB259_165
.LBB259_175:
	s_mov_b32 s21, 0
	s_mov_b32 s19, 0x7f800001
	s_cbranch_execz .LBB259_177
; %bb.176:
	s_and_b32 s19, 0xffff, s20
	s_delay_alu instid0(SALU_CYCLE_1)
	s_cmp_lg_u32 s19, 0
	s_mov_b32 s19, 0
	s_cselect_b32 s21, -1, 0
.LBB259_177:
	s_delay_alu instid0(SALU_CYCLE_1)
	s_and_not1_b32 vcc_lo, exec_lo, s21
	s_cbranch_vccnz .LBB259_179
; %bb.178:
	s_mov_b32 s19, s3
.LBB259_179:
	s_mov_b32 s20, 0
	s_mov_b32 s21, exec_lo
	v_cmpx_lt_i16_e32 0x7f, v6
	s_xor_b32 s21, exec_lo, s21
	s_cbranch_execnz .LBB259_189
; %bb.180:
	s_or_saveexec_b32 s21, s21
	v_mov_b32_e32 v7, 0x7f800001
	s_xor_b32 exec_lo, exec_lo, s21
	s_cbranch_execnz .LBB259_192
.LBB259_181:
	s_or_b32 exec_lo, exec_lo, s21
	s_and_saveexec_b32 s21, s20
	s_cbranch_execz .LBB259_183
.LBB259_182:
	v_and_b32_e32 v7, 0xffff, v6
	s_delay_alu instid0(VALU_DEP_1) | instskip(SKIP_1) | instid1(VALU_DEP_2)
	v_and_b32_e32 v8, 3, v7
	v_bfe_u32 v11, v7, 2, 5
	v_clz_i32_u32_e32 v9, v8
	s_delay_alu instid0(VALU_DEP_2) | instskip(NEXT) | instid1(VALU_DEP_2)
	v_cmp_eq_u32_e32 vcc_lo, 0, v11
	v_min_u32_e32 v9, 32, v9
	s_delay_alu instid0(VALU_DEP_1) | instskip(NEXT) | instid1(VALU_DEP_1)
	v_subrev_nc_u32_e32 v10, 29, v9
	v_dual_lshlrev_b32 v7, v10, v7 :: v_dual_sub_nc_u32 v9, 30, v9
	s_delay_alu instid0(VALU_DEP_1) | instskip(NEXT) | instid1(VALU_DEP_1)
	v_dual_lshlrev_b32 v10, 16, v5 :: v_dual_bitop2_b32 v7, 3, v7 bitop3:0x40
	v_dual_cndmask_b32 v7, v8, v7, vcc_lo :: v_dual_cndmask_b32 v9, v11, v9, vcc_lo
	s_delay_alu instid0(VALU_DEP_2) | instskip(NEXT) | instid1(VALU_DEP_2)
	v_and_b32_e32 v8, 0x80000000, v10
	v_lshlrev_b32_e32 v7, 21, v7
	s_delay_alu instid0(VALU_DEP_3) | instskip(NEXT) | instid1(VALU_DEP_1)
	v_lshl_add_u32 v9, v9, 23, 0x37800000
	v_or3_b32 v7, v8, v9, v7
.LBB259_183:
	s_or_b32 exec_lo, exec_lo, s21
	s_delay_alu instid0(VALU_DEP_1)
	v_cmp_neq_f32_e64 s19, s19, v7
.LBB259_184:
	v_cmp_ne_u32_e32 vcc_lo, 1, v3
	s_cbranch_vccnz .LBB259_467
.LBB259_185:
	s_and_b32 s21, s10, 0xff
	s_delay_alu instid0(SALU_CYCLE_1)
	s_cmp_lt_i32 s21, 0x80
	s_cbranch_scc1 .LBB259_193
; %bb.186:
	s_and_b32 s20, 0xffff, s21
	s_mov_b32 s22, -1
	s_cmp_eq_u32 s20, 0x80
	s_cbranch_scc0 .LBB259_188
; %bb.187:
	s_mov_b32 s22, 0
.LBB259_188:
	s_mov_b32 s20, 0x7f800001
	s_branch .LBB259_195
.LBB259_189:
	s_mov_b32 s20, -1
	s_mov_b32 s22, exec_lo
	v_cmpx_eq_u16_e32 0x80, v6
; %bb.190:
	s_xor_b32 s20, exec_lo, -1
; %bb.191:
	s_or_b32 exec_lo, exec_lo, s22
	s_delay_alu instid0(SALU_CYCLE_1)
	s_and_b32 s20, s20, exec_lo
	s_or_saveexec_b32 s21, s21
	v_mov_b32_e32 v7, 0x7f800001
	s_xor_b32 exec_lo, exec_lo, s21
	s_cbranch_execz .LBB259_181
.LBB259_192:
	v_cmp_ne_u16_e32 vcc_lo, 0, v6
	v_mov_b32_e32 v7, 0
	s_and_not1_b32 s20, s20, exec_lo
	s_and_b32 s22, vcc_lo, exec_lo
	s_delay_alu instid0(SALU_CYCLE_1)
	s_or_b32 s20, s20, s22
	s_or_b32 exec_lo, exec_lo, s21
	s_and_saveexec_b32 s21, s20
	s_cbranch_execnz .LBB259_182
	s_branch .LBB259_183
.LBB259_193:
	s_mov_b32 s22, 0
	s_mov_b32 s20, 0x7f800001
	s_cbranch_execz .LBB259_195
; %bb.194:
	s_and_b32 s20, 0xffff, s21
	s_delay_alu instid0(SALU_CYCLE_1)
	s_cmp_lg_u32 s20, 0
	s_mov_b32 s20, 0
	s_cselect_b32 s22, -1, 0
.LBB259_195:
	s_delay_alu instid0(SALU_CYCLE_1)
	s_and_not1_b32 vcc_lo, exec_lo, s22
	s_cbranch_vccnz .LBB259_197
; %bb.196:
	s_mov_b32 s20, s3
.LBB259_197:
	s_wait_loadcnt 0x2
	v_and_b32_e32 v5, 0xff, v4
	s_mov_b32 s21, 0
	s_mov_b32 s22, exec_lo
	s_delay_alu instid0(VALU_DEP_1)
	v_cmpx_lt_i16_e32 0x7f, v5
	s_xor_b32 s22, exec_lo, s22
	s_cbranch_execnz .LBB259_207
; %bb.198:
	s_or_saveexec_b32 s22, s22
	v_mov_b32_e32 v6, 0x7f800001
	s_xor_b32 exec_lo, exec_lo, s22
	s_cbranch_execnz .LBB259_210
.LBB259_199:
	s_or_b32 exec_lo, exec_lo, s22
	s_and_saveexec_b32 s22, s21
	s_cbranch_execz .LBB259_201
.LBB259_200:
	v_and_b32_e32 v5, 0xffff, v5
	s_delay_alu instid0(VALU_DEP_1) | instskip(SKIP_1) | instid1(VALU_DEP_2)
	v_and_b32_e32 v6, 3, v5
	v_bfe_u32 v9, v5, 2, 5
	v_clz_i32_u32_e32 v7, v6
	s_delay_alu instid0(VALU_DEP_2) | instskip(NEXT) | instid1(VALU_DEP_2)
	v_cmp_eq_u32_e32 vcc_lo, 0, v9
	v_min_u32_e32 v7, 32, v7
	s_delay_alu instid0(VALU_DEP_1) | instskip(NEXT) | instid1(VALU_DEP_1)
	v_subrev_nc_u32_e32 v8, 29, v7
	v_dual_lshlrev_b32 v5, v8, v5 :: v_dual_sub_nc_u32 v7, 30, v7
	s_delay_alu instid0(VALU_DEP_1) | instskip(NEXT) | instid1(VALU_DEP_1)
	v_dual_lshlrev_b32 v8, 24, v4 :: v_dual_bitop2_b32 v5, 3, v5 bitop3:0x40
	v_dual_cndmask_b32 v7, v9, v7, vcc_lo :: v_dual_cndmask_b32 v5, v6, v5, vcc_lo
	s_delay_alu instid0(VALU_DEP_2) | instskip(NEXT) | instid1(VALU_DEP_2)
	v_and_b32_e32 v6, 0x80000000, v8
	v_lshl_add_u32 v7, v7, 23, 0x37800000
	s_delay_alu instid0(VALU_DEP_3) | instskip(NEXT) | instid1(VALU_DEP_1)
	v_lshlrev_b32_e32 v5, 21, v5
	v_or3_b32 v6, v6, v7, v5
.LBB259_201:
	s_or_b32 exec_lo, exec_lo, s22
	s_delay_alu instid0(VALU_DEP_1)
	v_cmp_neq_f32_e64 s20, s20, v6
.LBB259_202:
	v_cmp_ne_u32_e32 vcc_lo, 1, v3
	s_wait_loadcnt 0x2
	v_lshrrev_b16 v5, 8, v4
	s_cbranch_vccnz .LBB259_485
.LBB259_203:
	s_and_b32 s22, s10, 0xff
	s_delay_alu instid0(SALU_CYCLE_1)
	s_cmp_lt_i32 s22, 0x80
	s_cbranch_scc1 .LBB259_211
; %bb.204:
	s_and_b32 s21, 0xffff, s22
	s_mov_b32 s23, -1
	s_cmp_eq_u32 s21, 0x80
	s_cbranch_scc0 .LBB259_206
; %bb.205:
	s_mov_b32 s23, 0
.LBB259_206:
	s_mov_b32 s21, 0x7f800001
	s_branch .LBB259_213
.LBB259_207:
	s_mov_b32 s21, -1
	s_mov_b32 s23, exec_lo
	v_cmpx_eq_u16_e32 0x80, v5
; %bb.208:
	s_xor_b32 s21, exec_lo, -1
; %bb.209:
	s_or_b32 exec_lo, exec_lo, s23
	s_delay_alu instid0(SALU_CYCLE_1)
	s_and_b32 s21, s21, exec_lo
	s_or_saveexec_b32 s22, s22
	v_mov_b32_e32 v6, 0x7f800001
	s_xor_b32 exec_lo, exec_lo, s22
	s_cbranch_execz .LBB259_199
.LBB259_210:
	v_cmp_ne_u16_e32 vcc_lo, 0, v5
	v_mov_b32_e32 v6, 0
	s_and_not1_b32 s21, s21, exec_lo
	s_and_b32 s23, vcc_lo, exec_lo
	s_delay_alu instid0(SALU_CYCLE_1)
	s_or_b32 s21, s21, s23
	s_or_b32 exec_lo, exec_lo, s22
	s_and_saveexec_b32 s22, s21
	s_cbranch_execnz .LBB259_200
	s_branch .LBB259_201
.LBB259_211:
	s_mov_b32 s23, 0
	s_mov_b32 s21, 0x7f800001
	s_cbranch_execz .LBB259_213
; %bb.212:
	s_and_b32 s21, 0xffff, s22
	s_delay_alu instid0(SALU_CYCLE_1)
	s_cmp_lg_u32 s21, 0
	s_mov_b32 s21, 0
	s_cselect_b32 s23, -1, 0
.LBB259_213:
	s_delay_alu instid0(SALU_CYCLE_1)
	s_and_not1_b32 vcc_lo, exec_lo, s23
	s_cbranch_vccnz .LBB259_215
; %bb.214:
	s_mov_b32 s21, s3
.LBB259_215:
	s_mov_b32 s22, 0
	s_mov_b32 s23, exec_lo
	v_cmpx_lt_i16_e32 0x7f, v5
	s_xor_b32 s23, exec_lo, s23
	s_cbranch_execnz .LBB259_225
; %bb.216:
	s_or_saveexec_b32 s23, s23
	v_mov_b32_e32 v6, 0x7f800001
	s_xor_b32 exec_lo, exec_lo, s23
	s_cbranch_execnz .LBB259_228
.LBB259_217:
	s_or_b32 exec_lo, exec_lo, s23
	s_and_saveexec_b32 s23, s22
	s_cbranch_execz .LBB259_219
.LBB259_218:
	v_and_b32_e32 v6, 0xffff, v5
	s_delay_alu instid0(VALU_DEP_1) | instskip(SKIP_1) | instid1(VALU_DEP_2)
	v_and_b32_e32 v7, 3, v6
	v_bfe_u32 v10, v6, 2, 5
	v_clz_i32_u32_e32 v8, v7
	s_delay_alu instid0(VALU_DEP_2) | instskip(NEXT) | instid1(VALU_DEP_2)
	v_cmp_eq_u32_e32 vcc_lo, 0, v10
	v_min_u32_e32 v8, 32, v8
	s_delay_alu instid0(VALU_DEP_1) | instskip(NEXT) | instid1(VALU_DEP_1)
	v_subrev_nc_u32_e32 v9, 29, v8
	v_dual_lshlrev_b32 v6, v9, v6 :: v_dual_sub_nc_u32 v8, 30, v8
	s_delay_alu instid0(VALU_DEP_1) | instskip(NEXT) | instid1(VALU_DEP_1)
	v_dual_lshlrev_b32 v9, 16, v4 :: v_dual_bitop2_b32 v6, 3, v6 bitop3:0x40
	v_dual_cndmask_b32 v6, v7, v6, vcc_lo :: v_dual_cndmask_b32 v8, v10, v8, vcc_lo
	s_delay_alu instid0(VALU_DEP_2) | instskip(NEXT) | instid1(VALU_DEP_2)
	v_and_b32_e32 v7, 0x80000000, v9
	v_lshlrev_b32_e32 v6, 21, v6
	s_delay_alu instid0(VALU_DEP_3) | instskip(NEXT) | instid1(VALU_DEP_1)
	v_lshl_add_u32 v8, v8, 23, 0x37800000
	v_or3_b32 v6, v7, v8, v6
.LBB259_219:
	s_or_b32 exec_lo, exec_lo, s23
	s_delay_alu instid0(VALU_DEP_1)
	v_cmp_neq_f32_e64 s21, s21, v6
.LBB259_220:
	v_cmp_ne_u32_e32 vcc_lo, 1, v3
	s_cbranch_vccnz .LBB259_503
.LBB259_221:
	s_and_b32 s23, s10, 0xff
	s_delay_alu instid0(SALU_CYCLE_1)
	s_cmp_lt_i32 s23, 0x80
	s_cbranch_scc1 .LBB259_229
; %bb.222:
	s_and_b32 s22, 0xffff, s23
	s_mov_b32 s24, -1
	s_cmp_eq_u32 s22, 0x80
	s_cbranch_scc0 .LBB259_224
; %bb.223:
	s_mov_b32 s24, 0
.LBB259_224:
	s_mov_b32 s22, 0x7f800001
	s_branch .LBB259_231
.LBB259_225:
	s_mov_b32 s22, -1
	s_mov_b32 s24, exec_lo
	v_cmpx_eq_u16_e32 0x80, v5
; %bb.226:
	s_xor_b32 s22, exec_lo, -1
; %bb.227:
	s_or_b32 exec_lo, exec_lo, s24
	s_delay_alu instid0(SALU_CYCLE_1)
	s_and_b32 s22, s22, exec_lo
	s_or_saveexec_b32 s23, s23
	v_mov_b32_e32 v6, 0x7f800001
	s_xor_b32 exec_lo, exec_lo, s23
	s_cbranch_execz .LBB259_217
.LBB259_228:
	v_cmp_ne_u16_e32 vcc_lo, 0, v5
	v_mov_b32_e32 v6, 0
	s_and_not1_b32 s22, s22, exec_lo
	s_and_b32 s24, vcc_lo, exec_lo
	s_delay_alu instid0(SALU_CYCLE_1)
	s_or_b32 s22, s22, s24
	s_or_b32 exec_lo, exec_lo, s23
	s_and_saveexec_b32 s23, s22
	s_cbranch_execnz .LBB259_218
	s_branch .LBB259_219
.LBB259_229:
	s_mov_b32 s24, 0
	s_mov_b32 s22, 0x7f800001
	s_cbranch_execz .LBB259_231
; %bb.230:
	s_and_b32 s22, 0xffff, s23
	s_delay_alu instid0(SALU_CYCLE_1)
	s_cmp_lg_u32 s22, 0
	s_mov_b32 s22, 0
	s_cselect_b32 s24, -1, 0
.LBB259_231:
	s_delay_alu instid0(SALU_CYCLE_1)
	s_and_not1_b32 vcc_lo, exec_lo, s24
	s_cbranch_vccnz .LBB259_233
; %bb.232:
	s_mov_b32 s22, s3
.LBB259_233:
	s_wait_loadcnt 0x1
	v_and_b32_e32 v4, 0xff, v2
	s_mov_b32 s23, 0
	s_mov_b32 s24, exec_lo
	s_delay_alu instid0(VALU_DEP_1)
	v_cmpx_lt_i16_e32 0x7f, v4
	s_xor_b32 s24, exec_lo, s24
	s_cbranch_execnz .LBB259_243
; %bb.234:
	s_or_saveexec_b32 s24, s24
	v_mov_b32_e32 v5, 0x7f800001
	s_xor_b32 exec_lo, exec_lo, s24
	s_cbranch_execnz .LBB259_246
.LBB259_235:
	s_or_b32 exec_lo, exec_lo, s24
	s_and_saveexec_b32 s24, s23
	s_cbranch_execz .LBB259_237
.LBB259_236:
	v_and_b32_e32 v4, 0xffff, v4
	s_delay_alu instid0(VALU_DEP_1) | instskip(SKIP_1) | instid1(VALU_DEP_2)
	v_and_b32_e32 v5, 3, v4
	v_bfe_u32 v8, v4, 2, 5
	v_clz_i32_u32_e32 v6, v5
	s_delay_alu instid0(VALU_DEP_2) | instskip(NEXT) | instid1(VALU_DEP_2)
	v_cmp_eq_u32_e32 vcc_lo, 0, v8
	v_min_u32_e32 v6, 32, v6
	s_delay_alu instid0(VALU_DEP_1) | instskip(NEXT) | instid1(VALU_DEP_1)
	v_subrev_nc_u32_e32 v7, 29, v6
	v_dual_lshlrev_b32 v4, v7, v4 :: v_dual_sub_nc_u32 v6, 30, v6
	s_delay_alu instid0(VALU_DEP_1) | instskip(NEXT) | instid1(VALU_DEP_1)
	v_dual_lshlrev_b32 v7, 24, v2 :: v_dual_bitop2_b32 v4, 3, v4 bitop3:0x40
	v_dual_cndmask_b32 v4, v5, v4, vcc_lo :: v_dual_cndmask_b32 v6, v8, v6, vcc_lo
	s_delay_alu instid0(VALU_DEP_2) | instskip(NEXT) | instid1(VALU_DEP_2)
	v_and_b32_e32 v5, 0x80000000, v7
	v_lshlrev_b32_e32 v4, 21, v4
	s_delay_alu instid0(VALU_DEP_3) | instskip(NEXT) | instid1(VALU_DEP_1)
	v_lshl_add_u32 v6, v6, 23, 0x37800000
	v_or3_b32 v5, v5, v6, v4
.LBB259_237:
	s_or_b32 exec_lo, exec_lo, s24
	s_delay_alu instid0(VALU_DEP_1)
	v_cmp_neq_f32_e64 s22, s22, v5
.LBB259_238:
	v_cmp_ne_u32_e32 vcc_lo, 1, v3
	s_wait_loadcnt 0x1
	v_lshrrev_b16 v4, 8, v2
	s_cbranch_vccnz .LBB259_521
.LBB259_239:
	s_and_b32 s24, s10, 0xff
	s_delay_alu instid0(SALU_CYCLE_1)
	s_cmp_lt_i32 s24, 0x80
	s_cbranch_scc1 .LBB259_247
; %bb.240:
	s_and_b32 s23, 0xffff, s24
	s_mov_b32 s25, -1
	s_cmp_eq_u32 s23, 0x80
	s_cbranch_scc0 .LBB259_242
; %bb.241:
	s_mov_b32 s25, 0
.LBB259_242:
	s_mov_b32 s23, 0x7f800001
	s_branch .LBB259_249
.LBB259_243:
	s_mov_b32 s23, -1
	s_mov_b32 s25, exec_lo
	v_cmpx_eq_u16_e32 0x80, v4
; %bb.244:
	s_xor_b32 s23, exec_lo, -1
; %bb.245:
	s_or_b32 exec_lo, exec_lo, s25
	s_delay_alu instid0(SALU_CYCLE_1)
	s_and_b32 s23, s23, exec_lo
	s_or_saveexec_b32 s24, s24
	v_mov_b32_e32 v5, 0x7f800001
	s_xor_b32 exec_lo, exec_lo, s24
	s_cbranch_execz .LBB259_235
.LBB259_246:
	v_cmp_ne_u16_e32 vcc_lo, 0, v4
	v_mov_b32_e32 v5, 0
	s_and_not1_b32 s23, s23, exec_lo
	s_and_b32 s25, vcc_lo, exec_lo
	s_delay_alu instid0(SALU_CYCLE_1)
	s_or_b32 s23, s23, s25
	s_or_b32 exec_lo, exec_lo, s24
	s_and_saveexec_b32 s24, s23
	s_cbranch_execnz .LBB259_236
	s_branch .LBB259_237
.LBB259_247:
	s_mov_b32 s25, 0
	s_mov_b32 s23, 0x7f800001
	s_cbranch_execz .LBB259_249
; %bb.248:
	s_and_b32 s23, 0xffff, s24
	s_delay_alu instid0(SALU_CYCLE_1)
	s_cmp_lg_u32 s23, 0
	s_mov_b32 s23, 0
	s_cselect_b32 s25, -1, 0
.LBB259_249:
	s_delay_alu instid0(SALU_CYCLE_1)
	s_and_not1_b32 vcc_lo, exec_lo, s25
	s_cbranch_vccnz .LBB259_251
; %bb.250:
	s_mov_b32 s23, s3
.LBB259_251:
	s_mov_b32 s24, 0
	s_mov_b32 s25, exec_lo
	v_cmpx_lt_i16_e32 0x7f, v4
	s_xor_b32 s25, exec_lo, s25
	s_cbranch_execnz .LBB259_261
; %bb.252:
	s_or_saveexec_b32 s25, s25
	v_mov_b32_e32 v5, 0x7f800001
	s_xor_b32 exec_lo, exec_lo, s25
	s_cbranch_execnz .LBB259_264
.LBB259_253:
	s_or_b32 exec_lo, exec_lo, s25
	s_and_saveexec_b32 s25, s24
	s_cbranch_execz .LBB259_255
.LBB259_254:
	v_and_b32_e32 v5, 0xffff, v4
	s_delay_alu instid0(VALU_DEP_1) | instskip(SKIP_1) | instid1(VALU_DEP_2)
	v_and_b32_e32 v6, 3, v5
	v_bfe_u32 v9, v5, 2, 5
	v_clz_i32_u32_e32 v7, v6
	s_delay_alu instid0(VALU_DEP_2) | instskip(NEXT) | instid1(VALU_DEP_2)
	v_cmp_eq_u32_e32 vcc_lo, 0, v9
	v_min_u32_e32 v7, 32, v7
	s_delay_alu instid0(VALU_DEP_1) | instskip(NEXT) | instid1(VALU_DEP_1)
	v_subrev_nc_u32_e32 v8, 29, v7
	v_dual_lshlrev_b32 v5, v8, v5 :: v_dual_sub_nc_u32 v7, 30, v7
	s_delay_alu instid0(VALU_DEP_1) | instskip(NEXT) | instid1(VALU_DEP_1)
	v_dual_lshlrev_b32 v8, 16, v2 :: v_dual_bitop2_b32 v5, 3, v5 bitop3:0x40
	v_dual_cndmask_b32 v7, v9, v7, vcc_lo :: v_dual_cndmask_b32 v5, v6, v5, vcc_lo
	s_delay_alu instid0(VALU_DEP_2) | instskip(NEXT) | instid1(VALU_DEP_2)
	v_and_b32_e32 v6, 0x80000000, v8
	v_lshl_add_u32 v7, v7, 23, 0x37800000
	s_delay_alu instid0(VALU_DEP_3) | instskip(NEXT) | instid1(VALU_DEP_1)
	v_lshlrev_b32_e32 v5, 21, v5
	v_or3_b32 v5, v6, v7, v5
.LBB259_255:
	s_or_b32 exec_lo, exec_lo, s25
	s_delay_alu instid0(VALU_DEP_1)
	v_cmp_neq_f32_e64 s23, s23, v5
.LBB259_256:
	v_cmp_ne_u32_e32 vcc_lo, 1, v3
	s_cbranch_vccnz .LBB259_539
.LBB259_257:
	s_and_b32 s25, s10, 0xff
	s_delay_alu instid0(SALU_CYCLE_1)
	s_cmp_lt_i32 s25, 0x80
	s_cbranch_scc1 .LBB259_265
; %bb.258:
	s_and_b32 s24, 0xffff, s25
	s_mov_b32 s26, -1
	s_cmp_eq_u32 s24, 0x80
	s_cbranch_scc0 .LBB259_260
; %bb.259:
	s_mov_b32 s26, 0
.LBB259_260:
	s_mov_b32 s24, 0x7f800001
	s_branch .LBB259_267
.LBB259_261:
	s_mov_b32 s24, -1
	s_mov_b32 s26, exec_lo
	v_cmpx_eq_u16_e32 0x80, v4
; %bb.262:
	s_xor_b32 s24, exec_lo, -1
; %bb.263:
	s_or_b32 exec_lo, exec_lo, s26
	s_delay_alu instid0(SALU_CYCLE_1)
	s_and_b32 s24, s24, exec_lo
	s_or_saveexec_b32 s25, s25
	v_mov_b32_e32 v5, 0x7f800001
	s_xor_b32 exec_lo, exec_lo, s25
	s_cbranch_execz .LBB259_253
.LBB259_264:
	v_cmp_ne_u16_e32 vcc_lo, 0, v4
	v_mov_b32_e32 v5, 0
	s_and_not1_b32 s24, s24, exec_lo
	s_and_b32 s26, vcc_lo, exec_lo
	s_delay_alu instid0(SALU_CYCLE_1)
	s_or_b32 s24, s24, s26
	s_or_b32 exec_lo, exec_lo, s25
	s_and_saveexec_b32 s25, s24
	s_cbranch_execnz .LBB259_254
	s_branch .LBB259_255
.LBB259_265:
	s_mov_b32 s26, 0
	s_mov_b32 s24, 0x7f800001
	s_cbranch_execz .LBB259_267
; %bb.266:
	s_and_b32 s24, 0xffff, s25
	s_delay_alu instid0(SALU_CYCLE_1)
	s_cmp_lg_u32 s24, 0
	s_mov_b32 s24, 0
	s_cselect_b32 s26, -1, 0
.LBB259_267:
	s_delay_alu instid0(SALU_CYCLE_1)
	s_and_not1_b32 vcc_lo, exec_lo, s26
	s_cbranch_vccnz .LBB259_269
; %bb.268:
	s_mov_b32 s24, s3
.LBB259_269:
	s_wait_loadcnt 0x0
	v_and_b32_e32 v2, 0xff, v1
	s_mov_b32 s25, 0
	s_mov_b32 s26, exec_lo
	s_delay_alu instid0(VALU_DEP_1)
	v_cmpx_lt_i16_e32 0x7f, v2
	s_xor_b32 s26, exec_lo, s26
	s_cbranch_execnz .LBB259_279
; %bb.270:
	s_or_saveexec_b32 s26, s26
	v_mov_b32_e32 v4, 0x7f800001
	s_xor_b32 exec_lo, exec_lo, s26
	s_cbranch_execnz .LBB259_282
.LBB259_271:
	s_or_b32 exec_lo, exec_lo, s26
	s_and_saveexec_b32 s26, s25
	s_cbranch_execz .LBB259_273
.LBB259_272:
	v_and_b32_e32 v2, 0xffff, v2
	s_delay_alu instid0(VALU_DEP_1) | instskip(SKIP_1) | instid1(VALU_DEP_2)
	v_and_b32_e32 v4, 3, v2
	v_bfe_u32 v7, v2, 2, 5
	v_clz_i32_u32_e32 v5, v4
	s_delay_alu instid0(VALU_DEP_2) | instskip(NEXT) | instid1(VALU_DEP_2)
	v_cmp_eq_u32_e32 vcc_lo, 0, v7
	v_min_u32_e32 v5, 32, v5
	s_delay_alu instid0(VALU_DEP_1) | instskip(NEXT) | instid1(VALU_DEP_1)
	v_subrev_nc_u32_e32 v6, 29, v5
	v_dual_lshlrev_b32 v2, v6, v2 :: v_dual_sub_nc_u32 v5, 30, v5
	s_delay_alu instid0(VALU_DEP_1) | instskip(NEXT) | instid1(VALU_DEP_1)
	v_dual_lshlrev_b32 v6, 24, v1 :: v_dual_bitop2_b32 v2, 3, v2 bitop3:0x40
	v_dual_cndmask_b32 v2, v4, v2 :: v_dual_cndmask_b32 v5, v7, v5
	s_delay_alu instid0(VALU_DEP_2) | instskip(NEXT) | instid1(VALU_DEP_2)
	v_and_b32_e32 v4, 0x80000000, v6
	v_lshlrev_b32_e32 v2, 21, v2
	s_delay_alu instid0(VALU_DEP_3) | instskip(NEXT) | instid1(VALU_DEP_1)
	v_lshl_add_u32 v5, v5, 23, 0x37800000
	v_or3_b32 v4, v4, v5, v2
.LBB259_273:
	s_or_b32 exec_lo, exec_lo, s26
	s_delay_alu instid0(VALU_DEP_1)
	v_cmp_neq_f32_e64 s24, s24, v4
.LBB259_274:
	v_cmp_ne_u32_e32 vcc_lo, 1, v3
	s_wait_loadcnt 0x0
	v_lshrrev_b16 v2, 8, v1
	s_cbranch_vccnz .LBB259_557
.LBB259_275:
	s_and_b32 s26, s10, 0xff
	s_delay_alu instid0(SALU_CYCLE_1)
	s_cmp_lt_i32 s26, 0x80
	s_cbranch_scc1 .LBB259_283
; %bb.276:
	s_and_b32 s25, 0xffff, s26
	s_mov_b32 s27, -1
	s_cmp_eq_u32 s25, 0x80
	s_cbranch_scc0 .LBB259_278
; %bb.277:
	s_mov_b32 s27, 0
.LBB259_278:
	s_mov_b32 s25, 0x7f800001
	s_branch .LBB259_285
.LBB259_279:
	s_mov_b32 s25, -1
	s_mov_b32 s27, exec_lo
	v_cmpx_eq_u16_e32 0x80, v2
; %bb.280:
	s_xor_b32 s25, exec_lo, -1
; %bb.281:
	s_or_b32 exec_lo, exec_lo, s27
	s_delay_alu instid0(SALU_CYCLE_1)
	s_and_b32 s25, s25, exec_lo
	s_or_saveexec_b32 s26, s26
	v_mov_b32_e32 v4, 0x7f800001
	s_xor_b32 exec_lo, exec_lo, s26
	s_cbranch_execz .LBB259_271
.LBB259_282:
	v_cmp_ne_u16_e32 vcc_lo, 0, v2
	v_mov_b32_e32 v4, 0
	s_and_not1_b32 s25, s25, exec_lo
	s_and_b32 s27, vcc_lo, exec_lo
	s_delay_alu instid0(SALU_CYCLE_1)
	s_or_b32 s25, s25, s27
	s_or_b32 exec_lo, exec_lo, s26
	s_and_saveexec_b32 s26, s25
	s_cbranch_execnz .LBB259_272
	s_branch .LBB259_273
.LBB259_283:
	s_mov_b32 s27, 0
	s_mov_b32 s25, 0x7f800001
	s_cbranch_execz .LBB259_285
; %bb.284:
	s_and_b32 s25, 0xffff, s26
	s_delay_alu instid0(SALU_CYCLE_1)
	s_cmp_lg_u32 s25, 0
	s_mov_b32 s25, 0
	s_cselect_b32 s27, -1, 0
.LBB259_285:
	s_delay_alu instid0(SALU_CYCLE_1)
	s_and_not1_b32 vcc_lo, exec_lo, s27
	s_cbranch_vccnz .LBB259_287
; %bb.286:
	s_mov_b32 s25, s3
.LBB259_287:
	s_mov_b32 s26, 0
	s_mov_b32 s27, exec_lo
	v_cmpx_lt_i16_e32 0x7f, v2
	s_xor_b32 s27, exec_lo, s27
	s_cbranch_execnz .LBB259_292
; %bb.288:
	s_or_saveexec_b32 s27, s27
	v_mov_b32_e32 v3, 0x7f800001
	s_xor_b32 exec_lo, exec_lo, s27
	s_cbranch_execnz .LBB259_295
.LBB259_289:
	s_or_b32 exec_lo, exec_lo, s27
	s_and_saveexec_b32 s27, s26
	s_cbranch_execz .LBB259_291
.LBB259_290:
	v_and_b32_e32 v3, 0xffff, v2
	s_delay_alu instid0(VALU_DEP_1) | instskip(SKIP_1) | instid1(VALU_DEP_2)
	v_and_b32_e32 v4, 3, v3
	v_bfe_u32 v7, v3, 2, 5
	v_clz_i32_u32_e32 v5, v4
	s_delay_alu instid0(VALU_DEP_2) | instskip(NEXT) | instid1(VALU_DEP_2)
	v_cmp_eq_u32_e32 vcc_lo, 0, v7
	v_min_u32_e32 v5, 32, v5
	s_delay_alu instid0(VALU_DEP_1) | instskip(NEXT) | instid1(VALU_DEP_1)
	v_subrev_nc_u32_e32 v6, 29, v5
	v_dual_lshlrev_b32 v3, v6, v3 :: v_dual_sub_nc_u32 v5, 30, v5
	s_delay_alu instid0(VALU_DEP_1) | instskip(NEXT) | instid1(VALU_DEP_1)
	v_dual_lshlrev_b32 v6, 16, v1 :: v_dual_bitop2_b32 v3, 3, v3 bitop3:0x40
	v_dual_cndmask_b32 v3, v4, v3, vcc_lo :: v_dual_cndmask_b32 v5, v7, v5, vcc_lo
	s_delay_alu instid0(VALU_DEP_2) | instskip(NEXT) | instid1(VALU_DEP_2)
	v_and_b32_e32 v4, 0x80000000, v6
	v_lshlrev_b32_e32 v3, 21, v3
	s_delay_alu instid0(VALU_DEP_3) | instskip(NEXT) | instid1(VALU_DEP_1)
	v_lshl_add_u32 v5, v5, 23, 0x37800000
	v_or3_b32 v3, v4, v5, v3
.LBB259_291:
	s_or_b32 exec_lo, exec_lo, s27
	s_delay_alu instid0(VALU_DEP_1)
	v_cmp_neq_f32_e64 s25, s25, v3
	s_branch .LBB259_575
.LBB259_292:
	s_mov_b32 s26, -1
	s_mov_b32 s28, exec_lo
	v_cmpx_eq_u16_e32 0x80, v2
; %bb.293:
	s_xor_b32 s26, exec_lo, -1
; %bb.294:
	s_or_b32 exec_lo, exec_lo, s28
	s_delay_alu instid0(SALU_CYCLE_1)
	s_and_b32 s26, s26, exec_lo
	s_or_saveexec_b32 s27, s27
	v_mov_b32_e32 v3, 0x7f800001
	s_xor_b32 exec_lo, exec_lo, s27
	s_cbranch_execz .LBB259_289
.LBB259_295:
	v_cmp_ne_u16_e32 vcc_lo, 0, v2
	v_mov_b32_e32 v3, 0
	s_and_not1_b32 s26, s26, exec_lo
	s_and_b32 s28, vcc_lo, exec_lo
	s_delay_alu instid0(SALU_CYCLE_1)
	s_or_b32 s26, s26, s28
	s_or_b32 exec_lo, exec_lo, s27
	s_and_saveexec_b32 s27, s26
	s_cbranch_execnz .LBB259_290
	s_branch .LBB259_291
.LBB259_296:
	s_mov_b32 s13, 0
	s_mov_b32 s8, 0x7f800001
	s_cbranch_execz .LBB259_298
; %bb.297:
	s_and_b32 s8, 0xffff, s12
	s_delay_alu instid0(SALU_CYCLE_1)
	s_cmp_lg_u32 s8, 0
	s_mov_b32 s8, 0
	s_cselect_b32 s13, -1, 0
.LBB259_298:
	s_delay_alu instid0(SALU_CYCLE_1)
	s_and_not1_b32 vcc_lo, exec_lo, s13
	s_cbranch_vccnz .LBB259_300
; %bb.299:
	s_mov_b32 s8, s3
.LBB259_300:
	s_wait_loadcnt 0x7
	v_and_b32_e32 v3, 0xff, v9
	s_mov_b32 s12, 0
	s_mov_b32 s13, exec_lo
	s_delay_alu instid0(VALU_DEP_1)
	v_cmpx_lt_i16_e32 0x7f, v3
	s_xor_b32 s13, exec_lo, s13
	s_cbranch_execnz .LBB259_310
; %bb.301:
	s_or_saveexec_b32 s13, s13
	v_mov_b32_e32 v10, 0x7f800001
	s_xor_b32 exec_lo, exec_lo, s13
	s_cbranch_execnz .LBB259_313
.LBB259_302:
	s_or_b32 exec_lo, exec_lo, s13
	s_and_saveexec_b32 s13, s12
	s_cbranch_execz .LBB259_304
.LBB259_303:
	v_and_b32_e32 v3, 0xffff, v3
	s_delay_alu instid0(VALU_DEP_1) | instskip(SKIP_1) | instid1(VALU_DEP_2)
	v_and_b32_e32 v10, 3, v3
	v_bfe_u32 v13, v3, 2, 5
	v_clz_i32_u32_e32 v11, v10
	s_delay_alu instid0(VALU_DEP_2) | instskip(NEXT) | instid1(VALU_DEP_2)
	v_cmp_eq_u32_e32 vcc_lo, 0, v13
	v_min_u32_e32 v11, 32, v11
	s_delay_alu instid0(VALU_DEP_1) | instskip(SKIP_1) | instid1(VALU_DEP_2)
	v_subrev_nc_u32_e32 v12, 29, v11
	v_sub_nc_u32_e32 v11, 30, v11
	v_dual_lshlrev_b32 v3, v12, v3 :: v_dual_lshlrev_b32 v12, 24, v9
	s_delay_alu instid0(VALU_DEP_2) | instskip(NEXT) | instid1(VALU_DEP_2)
	v_cndmask_b32_e32 v11, v13, v11, vcc_lo
	v_and_b32_e32 v3, 3, v3
	s_delay_alu instid0(VALU_DEP_2) | instskip(NEXT) | instid1(VALU_DEP_2)
	v_lshl_add_u32 v11, v11, 23, 0x37800000
	v_cndmask_b32_e32 v3, v10, v3, vcc_lo
	v_and_b32_e32 v10, 0x80000000, v12
	s_delay_alu instid0(VALU_DEP_2) | instskip(NEXT) | instid1(VALU_DEP_1)
	v_lshlrev_b32_e32 v3, 21, v3
	v_or3_b32 v10, v10, v11, v3
.LBB259_304:
	s_or_b32 exec_lo, exec_lo, s13
	s_delay_alu instid0(VALU_DEP_1)
	v_cmp_eq_f32_e64 s8, s8, v10
	v_cndmask_b32_e64 v3, 0, 1, s11
	v_lshrrev_b16 v10, 8, v9
	s_and_not1_b32 vcc_lo, exec_lo, s11
	s_cbranch_vccz .LBB259_10
.LBB259_305:
                                        ; implicit-def: $sgpr11
	s_cbranch_execz .LBB259_36
; %bb.306:
	s_and_b32 s12, s10, 0xff
	s_delay_alu instid0(SALU_CYCLE_1)
	s_cmp_lt_i32 s12, 0x80
	s_cbranch_scc1 .LBB259_314
; %bb.307:
	s_and_b32 s11, 0xffff, s12
	s_mov_b32 s13, -1
	s_cmp_eq_u32 s11, 0x80
	s_cbranch_scc0 .LBB259_309
; %bb.308:
	s_mov_b32 s13, 0
.LBB259_309:
	s_mov_b32 s11, 0x7f800001
	s_branch .LBB259_316
.LBB259_310:
	s_mov_b32 s12, -1
	s_mov_b32 s14, exec_lo
	v_cmpx_eq_u16_e32 0x80, v3
; %bb.311:
	s_xor_b32 s12, exec_lo, -1
; %bb.312:
	s_or_b32 exec_lo, exec_lo, s14
	s_delay_alu instid0(SALU_CYCLE_1)
	s_and_b32 s12, s12, exec_lo
	s_or_saveexec_b32 s13, s13
	v_mov_b32_e32 v10, 0x7f800001
	s_xor_b32 exec_lo, exec_lo, s13
	s_cbranch_execz .LBB259_302
.LBB259_313:
	v_cmp_ne_u16_e32 vcc_lo, 0, v3
	v_mov_b32_e32 v10, 0
	s_and_not1_b32 s12, s12, exec_lo
	s_and_b32 s14, vcc_lo, exec_lo
	s_delay_alu instid0(SALU_CYCLE_1)
	s_or_b32 s12, s12, s14
	s_or_b32 exec_lo, exec_lo, s13
	s_and_saveexec_b32 s13, s12
	s_cbranch_execnz .LBB259_303
	s_branch .LBB259_304
.LBB259_314:
	s_mov_b32 s13, 0
	s_mov_b32 s11, 0x7f800001
	s_cbranch_execz .LBB259_316
; %bb.315:
	s_and_b32 s11, 0xffff, s12
	s_delay_alu instid0(SALU_CYCLE_1)
	s_cmp_lg_u32 s11, 0
	s_mov_b32 s11, 0
	s_cselect_b32 s13, -1, 0
.LBB259_316:
	s_delay_alu instid0(SALU_CYCLE_1)
	s_and_not1_b32 vcc_lo, exec_lo, s13
	s_cbranch_vccnz .LBB259_318
; %bb.317:
	s_mov_b32 s11, s3
.LBB259_318:
	s_mov_b32 s12, 0
	s_mov_b32 s13, exec_lo
	v_cmpx_lt_i16_e32 0x7f, v10
	s_xor_b32 s13, exec_lo, s13
	s_cbranch_execnz .LBB259_328
; %bb.319:
	s_or_saveexec_b32 s13, s13
	v_mov_b32_e32 v11, 0x7f800001
	s_xor_b32 exec_lo, exec_lo, s13
	s_cbranch_execnz .LBB259_331
.LBB259_320:
	s_or_b32 exec_lo, exec_lo, s13
	s_and_saveexec_b32 s13, s12
	s_cbranch_execz .LBB259_322
.LBB259_321:
	v_and_b32_e32 v10, 0xffff, v10
	s_delay_alu instid0(VALU_DEP_1) | instskip(SKIP_1) | instid1(VALU_DEP_2)
	v_and_b32_e32 v11, 3, v10
	v_bfe_u32 v14, v10, 2, 5
	v_clz_i32_u32_e32 v12, v11
	s_delay_alu instid0(VALU_DEP_2) | instskip(NEXT) | instid1(VALU_DEP_2)
	v_cmp_eq_u32_e32 vcc_lo, 0, v14
	v_min_u32_e32 v12, 32, v12
	s_delay_alu instid0(VALU_DEP_1) | instskip(NEXT) | instid1(VALU_DEP_1)
	v_subrev_nc_u32_e32 v13, 29, v12
	v_dual_lshlrev_b32 v10, v13, v10 :: v_dual_sub_nc_u32 v12, 30, v12
	s_delay_alu instid0(VALU_DEP_1) | instskip(NEXT) | instid1(VALU_DEP_1)
	v_dual_lshlrev_b32 v9, 16, v9 :: v_dual_bitop2_b32 v10, 3, v10 bitop3:0x40
	v_dual_cndmask_b32 v12, v14, v12, vcc_lo :: v_dual_cndmask_b32 v10, v11, v10, vcc_lo
	s_delay_alu instid0(VALU_DEP_2) | instskip(NEXT) | instid1(VALU_DEP_2)
	v_and_b32_e32 v9, 0x80000000, v9
	v_lshl_add_u32 v11, v12, 23, 0x37800000
	s_delay_alu instid0(VALU_DEP_3) | instskip(NEXT) | instid1(VALU_DEP_1)
	v_lshlrev_b32_e32 v10, 21, v10
	v_or3_b32 v11, v9, v11, v10
.LBB259_322:
	s_or_b32 exec_lo, exec_lo, s13
	s_delay_alu instid0(VALU_DEP_1)
	v_cmp_eq_f32_e64 s11, s11, v11
	v_cmp_ne_u32_e32 vcc_lo, 1, v3
	s_cbranch_vccz .LBB259_37
.LBB259_323:
                                        ; implicit-def: $sgpr12
	s_cbranch_execz .LBB259_58
; %bb.324:
	s_and_b32 s13, s10, 0xff
	s_delay_alu instid0(SALU_CYCLE_1)
	s_cmp_lt_i32 s13, 0x80
	s_cbranch_scc1 .LBB259_332
; %bb.325:
	s_and_b32 s12, 0xffff, s13
	s_mov_b32 s14, -1
	s_cmp_eq_u32 s12, 0x80
	s_cbranch_scc0 .LBB259_327
; %bb.326:
	s_mov_b32 s14, 0
.LBB259_327:
	s_mov_b32 s12, 0x7f800001
	s_branch .LBB259_334
.LBB259_328:
	s_mov_b32 s12, -1
	s_mov_b32 s14, exec_lo
	v_cmpx_eq_u16_e32 0x80, v10
; %bb.329:
	s_xor_b32 s12, exec_lo, -1
; %bb.330:
	s_or_b32 exec_lo, exec_lo, s14
	s_delay_alu instid0(SALU_CYCLE_1)
	s_and_b32 s12, s12, exec_lo
	s_or_saveexec_b32 s13, s13
	v_mov_b32_e32 v11, 0x7f800001
	s_xor_b32 exec_lo, exec_lo, s13
	s_cbranch_execz .LBB259_320
.LBB259_331:
	v_cmp_ne_u16_e32 vcc_lo, 0, v10
	v_mov_b32_e32 v11, 0
	s_and_not1_b32 s12, s12, exec_lo
	s_and_b32 s14, vcc_lo, exec_lo
	s_delay_alu instid0(SALU_CYCLE_1)
	s_or_b32 s12, s12, s14
	s_or_b32 exec_lo, exec_lo, s13
	s_and_saveexec_b32 s13, s12
	s_cbranch_execnz .LBB259_321
	s_branch .LBB259_322
.LBB259_332:
	s_mov_b32 s14, 0
	s_mov_b32 s12, 0x7f800001
	s_cbranch_execz .LBB259_334
; %bb.333:
	s_and_b32 s12, 0xffff, s13
	s_delay_alu instid0(SALU_CYCLE_1)
	s_cmp_lg_u32 s12, 0
	s_mov_b32 s12, 0
	s_cselect_b32 s14, -1, 0
.LBB259_334:
	s_delay_alu instid0(SALU_CYCLE_1)
	s_and_not1_b32 vcc_lo, exec_lo, s14
	s_cbranch_vccnz .LBB259_336
; %bb.335:
	s_mov_b32 s12, s3
.LBB259_336:
	s_wait_loadcnt 0x6
	v_and_b32_e32 v9, 0xff, v8
	s_mov_b32 s13, 0
	s_mov_b32 s14, exec_lo
	s_delay_alu instid0(VALU_DEP_1)
	v_cmpx_lt_i16_e32 0x7f, v9
	s_xor_b32 s14, exec_lo, s14
	s_cbranch_execnz .LBB259_346
; %bb.337:
	s_or_saveexec_b32 s14, s14
	v_mov_b32_e32 v10, 0x7f800001
	s_xor_b32 exec_lo, exec_lo, s14
	s_cbranch_execnz .LBB259_349
.LBB259_338:
	s_or_b32 exec_lo, exec_lo, s14
	s_and_saveexec_b32 s14, s13
	s_cbranch_execz .LBB259_340
.LBB259_339:
	v_and_b32_e32 v9, 0xffff, v9
	s_delay_alu instid0(VALU_DEP_1) | instskip(SKIP_1) | instid1(VALU_DEP_2)
	v_and_b32_e32 v10, 3, v9
	v_bfe_u32 v13, v9, 2, 5
	v_clz_i32_u32_e32 v11, v10
	s_delay_alu instid0(VALU_DEP_2) | instskip(NEXT) | instid1(VALU_DEP_2)
	v_cmp_eq_u32_e32 vcc_lo, 0, v13
	v_min_u32_e32 v11, 32, v11
	s_delay_alu instid0(VALU_DEP_1) | instskip(NEXT) | instid1(VALU_DEP_1)
	v_subrev_nc_u32_e32 v12, 29, v11
	v_dual_lshlrev_b32 v9, v12, v9 :: v_dual_sub_nc_u32 v11, 30, v11
	s_delay_alu instid0(VALU_DEP_1) | instskip(NEXT) | instid1(VALU_DEP_1)
	v_dual_lshlrev_b32 v12, 24, v8 :: v_dual_bitop2_b32 v9, 3, v9 bitop3:0x40
	v_dual_cndmask_b32 v11, v13, v11, vcc_lo :: v_dual_cndmask_b32 v9, v10, v9, vcc_lo
	s_delay_alu instid0(VALU_DEP_2) | instskip(NEXT) | instid1(VALU_DEP_2)
	v_and_b32_e32 v10, 0x80000000, v12
	v_lshl_add_u32 v11, v11, 23, 0x37800000
	s_delay_alu instid0(VALU_DEP_3) | instskip(NEXT) | instid1(VALU_DEP_1)
	v_lshlrev_b32_e32 v9, 21, v9
	v_or3_b32 v10, v10, v11, v9
.LBB259_340:
	s_or_b32 exec_lo, exec_lo, s14
	s_delay_alu instid0(VALU_DEP_1)
	v_cmp_eq_f32_e64 s12, s12, v10
	v_cmp_ne_u32_e32 vcc_lo, 1, v3
	v_lshrrev_b16 v9, 8, v8
	s_cbranch_vccz .LBB259_59
.LBB259_341:
                                        ; implicit-def: $sgpr13
	s_cbranch_execz .LBB259_76
; %bb.342:
	s_and_b32 s14, s10, 0xff
	s_delay_alu instid0(SALU_CYCLE_1)
	s_cmp_lt_i32 s14, 0x80
	s_cbranch_scc1 .LBB259_350
; %bb.343:
	s_and_b32 s13, 0xffff, s14
	s_mov_b32 s15, -1
	s_cmp_eq_u32 s13, 0x80
	s_cbranch_scc0 .LBB259_345
; %bb.344:
	s_mov_b32 s15, 0
.LBB259_345:
	s_mov_b32 s13, 0x7f800001
	s_branch .LBB259_352
.LBB259_346:
	s_mov_b32 s13, -1
	s_mov_b32 s15, exec_lo
	v_cmpx_eq_u16_e32 0x80, v9
; %bb.347:
	s_xor_b32 s13, exec_lo, -1
; %bb.348:
	s_or_b32 exec_lo, exec_lo, s15
	s_delay_alu instid0(SALU_CYCLE_1)
	s_and_b32 s13, s13, exec_lo
	s_or_saveexec_b32 s14, s14
	v_mov_b32_e32 v10, 0x7f800001
	s_xor_b32 exec_lo, exec_lo, s14
	s_cbranch_execz .LBB259_338
.LBB259_349:
	v_cmp_ne_u16_e32 vcc_lo, 0, v9
	v_mov_b32_e32 v10, 0
	s_and_not1_b32 s13, s13, exec_lo
	s_and_b32 s15, vcc_lo, exec_lo
	s_delay_alu instid0(SALU_CYCLE_1)
	s_or_b32 s13, s13, s15
	s_or_b32 exec_lo, exec_lo, s14
	s_and_saveexec_b32 s14, s13
	s_cbranch_execnz .LBB259_339
	s_branch .LBB259_340
.LBB259_350:
	s_mov_b32 s15, 0
	s_mov_b32 s13, 0x7f800001
	s_cbranch_execz .LBB259_352
; %bb.351:
	s_and_b32 s13, 0xffff, s14
	s_delay_alu instid0(SALU_CYCLE_1)
	s_cmp_lg_u32 s13, 0
	s_mov_b32 s13, 0
	s_cselect_b32 s15, -1, 0
.LBB259_352:
	s_delay_alu instid0(SALU_CYCLE_1)
	s_and_not1_b32 vcc_lo, exec_lo, s15
	s_cbranch_vccnz .LBB259_354
; %bb.353:
	s_mov_b32 s13, s3
.LBB259_354:
	s_mov_b32 s14, 0
	s_mov_b32 s15, exec_lo
	v_cmpx_lt_i16_e32 0x7f, v9
	s_xor_b32 s15, exec_lo, s15
	s_cbranch_execnz .LBB259_364
; %bb.355:
	s_or_saveexec_b32 s15, s15
	v_mov_b32_e32 v10, 0x7f800001
	s_xor_b32 exec_lo, exec_lo, s15
	s_cbranch_execnz .LBB259_367
.LBB259_356:
	s_or_b32 exec_lo, exec_lo, s15
	s_and_saveexec_b32 s15, s14
	s_cbranch_execz .LBB259_358
.LBB259_357:
	v_and_b32_e32 v9, 0xffff, v9
	s_delay_alu instid0(VALU_DEP_1) | instskip(SKIP_1) | instid1(VALU_DEP_2)
	v_and_b32_e32 v10, 3, v9
	v_bfe_u32 v13, v9, 2, 5
	v_clz_i32_u32_e32 v11, v10
	s_delay_alu instid0(VALU_DEP_2) | instskip(NEXT) | instid1(VALU_DEP_2)
	v_cmp_eq_u32_e32 vcc_lo, 0, v13
	v_min_u32_e32 v11, 32, v11
	s_delay_alu instid0(VALU_DEP_1) | instskip(NEXT) | instid1(VALU_DEP_1)
	v_subrev_nc_u32_e32 v12, 29, v11
	v_dual_lshlrev_b32 v9, v12, v9 :: v_dual_sub_nc_u32 v11, 30, v11
	s_delay_alu instid0(VALU_DEP_1) | instskip(NEXT) | instid1(VALU_DEP_1)
	v_dual_lshlrev_b32 v8, 16, v8 :: v_dual_bitop2_b32 v9, 3, v9 bitop3:0x40
	v_dual_cndmask_b32 v11, v13, v11, vcc_lo :: v_dual_cndmask_b32 v9, v10, v9, vcc_lo
	s_delay_alu instid0(VALU_DEP_2) | instskip(NEXT) | instid1(VALU_DEP_2)
	v_and_b32_e32 v8, 0x80000000, v8
	v_lshl_add_u32 v10, v11, 23, 0x37800000
	s_delay_alu instid0(VALU_DEP_3) | instskip(NEXT) | instid1(VALU_DEP_1)
	v_lshlrev_b32_e32 v9, 21, v9
	v_or3_b32 v10, v8, v10, v9
.LBB259_358:
	s_or_b32 exec_lo, exec_lo, s15
	s_delay_alu instid0(VALU_DEP_1)
	v_cmp_eq_f32_e64 s13, s13, v10
	v_cmp_ne_u32_e32 vcc_lo, 1, v3
	s_cbranch_vccz .LBB259_77
.LBB259_359:
                                        ; implicit-def: $sgpr14
	s_cbranch_execz .LBB259_94
; %bb.360:
	s_and_b32 s15, s10, 0xff
	s_delay_alu instid0(SALU_CYCLE_1)
	s_cmp_lt_i32 s15, 0x80
	s_cbranch_scc1 .LBB259_368
; %bb.361:
	s_and_b32 s14, 0xffff, s15
	s_mov_b32 s16, -1
	s_cmp_eq_u32 s14, 0x80
	s_cbranch_scc0 .LBB259_363
; %bb.362:
	s_mov_b32 s16, 0
.LBB259_363:
	s_mov_b32 s14, 0x7f800001
	s_branch .LBB259_370
.LBB259_364:
	s_mov_b32 s14, -1
	s_mov_b32 s16, exec_lo
	v_cmpx_eq_u16_e32 0x80, v9
; %bb.365:
	s_xor_b32 s14, exec_lo, -1
; %bb.366:
	s_or_b32 exec_lo, exec_lo, s16
	s_delay_alu instid0(SALU_CYCLE_1)
	s_and_b32 s14, s14, exec_lo
	s_or_saveexec_b32 s15, s15
	v_mov_b32_e32 v10, 0x7f800001
	s_xor_b32 exec_lo, exec_lo, s15
	s_cbranch_execz .LBB259_356
.LBB259_367:
	v_cmp_ne_u16_e32 vcc_lo, 0, v9
	v_mov_b32_e32 v10, 0
	s_and_not1_b32 s14, s14, exec_lo
	s_and_b32 s16, vcc_lo, exec_lo
	s_delay_alu instid0(SALU_CYCLE_1)
	s_or_b32 s14, s14, s16
	s_or_b32 exec_lo, exec_lo, s15
	s_and_saveexec_b32 s15, s14
	s_cbranch_execnz .LBB259_357
	s_branch .LBB259_358
.LBB259_368:
	s_mov_b32 s16, 0
	s_mov_b32 s14, 0x7f800001
	s_cbranch_execz .LBB259_370
; %bb.369:
	s_and_b32 s14, 0xffff, s15
	s_delay_alu instid0(SALU_CYCLE_1)
	s_cmp_lg_u32 s14, 0
	s_mov_b32 s14, 0
	s_cselect_b32 s16, -1, 0
.LBB259_370:
	s_delay_alu instid0(SALU_CYCLE_1)
	s_and_not1_b32 vcc_lo, exec_lo, s16
	s_cbranch_vccnz .LBB259_372
; %bb.371:
	s_mov_b32 s14, s3
.LBB259_372:
	s_wait_loadcnt 0x5
	v_and_b32_e32 v8, 0xff, v7
	s_mov_b32 s15, 0
	s_mov_b32 s16, exec_lo
	s_delay_alu instid0(VALU_DEP_1)
	v_cmpx_lt_i16_e32 0x7f, v8
	s_xor_b32 s16, exec_lo, s16
	s_cbranch_execnz .LBB259_382
; %bb.373:
	s_or_saveexec_b32 s16, s16
	v_mov_b32_e32 v9, 0x7f800001
	s_xor_b32 exec_lo, exec_lo, s16
	s_cbranch_execnz .LBB259_385
.LBB259_374:
	s_or_b32 exec_lo, exec_lo, s16
	s_and_saveexec_b32 s16, s15
	s_cbranch_execz .LBB259_376
.LBB259_375:
	v_and_b32_e32 v8, 0xffff, v8
	s_delay_alu instid0(VALU_DEP_1) | instskip(SKIP_1) | instid1(VALU_DEP_2)
	v_and_b32_e32 v9, 3, v8
	v_bfe_u32 v12, v8, 2, 5
	v_clz_i32_u32_e32 v10, v9
	s_delay_alu instid0(VALU_DEP_2) | instskip(NEXT) | instid1(VALU_DEP_2)
	v_cmp_eq_u32_e32 vcc_lo, 0, v12
	v_min_u32_e32 v10, 32, v10
	s_delay_alu instid0(VALU_DEP_1) | instskip(NEXT) | instid1(VALU_DEP_1)
	v_subrev_nc_u32_e32 v11, 29, v10
	v_dual_lshlrev_b32 v8, v11, v8 :: v_dual_sub_nc_u32 v10, 30, v10
	s_delay_alu instid0(VALU_DEP_1) | instskip(NEXT) | instid1(VALU_DEP_1)
	v_dual_lshlrev_b32 v11, 24, v7 :: v_dual_bitop2_b32 v8, 3, v8 bitop3:0x40
	v_dual_cndmask_b32 v10, v12, v10, vcc_lo :: v_dual_cndmask_b32 v8, v9, v8, vcc_lo
	s_delay_alu instid0(VALU_DEP_2) | instskip(NEXT) | instid1(VALU_DEP_2)
	v_and_b32_e32 v9, 0x80000000, v11
	v_lshl_add_u32 v10, v10, 23, 0x37800000
	s_delay_alu instid0(VALU_DEP_3) | instskip(NEXT) | instid1(VALU_DEP_1)
	v_lshlrev_b32_e32 v8, 21, v8
	v_or3_b32 v9, v9, v10, v8
.LBB259_376:
	s_or_b32 exec_lo, exec_lo, s16
	s_delay_alu instid0(VALU_DEP_1)
	v_cmp_eq_f32_e64 s14, s14, v9
	v_cmp_ne_u32_e32 vcc_lo, 1, v3
	v_lshrrev_b16 v8, 8, v7
	s_cbranch_vccz .LBB259_95
.LBB259_377:
                                        ; implicit-def: $sgpr15
	s_cbranch_execz .LBB259_112
; %bb.378:
	s_and_b32 s16, s10, 0xff
	s_delay_alu instid0(SALU_CYCLE_1)
	s_cmp_lt_i32 s16, 0x80
	s_cbranch_scc1 .LBB259_386
; %bb.379:
	s_and_b32 s15, 0xffff, s16
	s_mov_b32 s17, -1
	s_cmp_eq_u32 s15, 0x80
	s_cbranch_scc0 .LBB259_381
; %bb.380:
	s_mov_b32 s17, 0
.LBB259_381:
	s_mov_b32 s15, 0x7f800001
	s_branch .LBB259_388
.LBB259_382:
	s_mov_b32 s15, -1
	s_mov_b32 s17, exec_lo
	v_cmpx_eq_u16_e32 0x80, v8
; %bb.383:
	s_xor_b32 s15, exec_lo, -1
; %bb.384:
	s_or_b32 exec_lo, exec_lo, s17
	s_delay_alu instid0(SALU_CYCLE_1)
	s_and_b32 s15, s15, exec_lo
	s_or_saveexec_b32 s16, s16
	v_mov_b32_e32 v9, 0x7f800001
	s_xor_b32 exec_lo, exec_lo, s16
	s_cbranch_execz .LBB259_374
.LBB259_385:
	v_cmp_ne_u16_e32 vcc_lo, 0, v8
	v_mov_b32_e32 v9, 0
	s_and_not1_b32 s15, s15, exec_lo
	s_and_b32 s17, vcc_lo, exec_lo
	s_delay_alu instid0(SALU_CYCLE_1)
	s_or_b32 s15, s15, s17
	s_or_b32 exec_lo, exec_lo, s16
	s_and_saveexec_b32 s16, s15
	s_cbranch_execnz .LBB259_375
	s_branch .LBB259_376
.LBB259_386:
	s_mov_b32 s17, 0
	s_mov_b32 s15, 0x7f800001
	s_cbranch_execz .LBB259_388
; %bb.387:
	s_and_b32 s15, 0xffff, s16
	s_delay_alu instid0(SALU_CYCLE_1)
	s_cmp_lg_u32 s15, 0
	s_mov_b32 s15, 0
	s_cselect_b32 s17, -1, 0
.LBB259_388:
	s_delay_alu instid0(SALU_CYCLE_1)
	s_and_not1_b32 vcc_lo, exec_lo, s17
	s_cbranch_vccnz .LBB259_390
; %bb.389:
	s_mov_b32 s15, s3
.LBB259_390:
	s_mov_b32 s16, 0
	s_mov_b32 s17, exec_lo
	v_cmpx_lt_i16_e32 0x7f, v8
	s_xor_b32 s17, exec_lo, s17
	s_cbranch_execnz .LBB259_400
; %bb.391:
	s_or_saveexec_b32 s17, s17
	v_mov_b32_e32 v9, 0x7f800001
	s_xor_b32 exec_lo, exec_lo, s17
	s_cbranch_execnz .LBB259_403
.LBB259_392:
	s_or_b32 exec_lo, exec_lo, s17
	s_and_saveexec_b32 s17, s16
	s_cbranch_execz .LBB259_394
.LBB259_393:
	v_and_b32_e32 v8, 0xffff, v8
	s_delay_alu instid0(VALU_DEP_1) | instskip(SKIP_1) | instid1(VALU_DEP_2)
	v_and_b32_e32 v9, 3, v8
	v_bfe_u32 v12, v8, 2, 5
	v_clz_i32_u32_e32 v10, v9
	s_delay_alu instid0(VALU_DEP_2) | instskip(NEXT) | instid1(VALU_DEP_2)
	v_cmp_eq_u32_e32 vcc_lo, 0, v12
	v_min_u32_e32 v10, 32, v10
	s_delay_alu instid0(VALU_DEP_1) | instskip(NEXT) | instid1(VALU_DEP_1)
	v_subrev_nc_u32_e32 v11, 29, v10
	v_dual_lshlrev_b32 v8, v11, v8 :: v_dual_sub_nc_u32 v10, 30, v10
	s_delay_alu instid0(VALU_DEP_1) | instskip(NEXT) | instid1(VALU_DEP_1)
	v_dual_lshlrev_b32 v7, 16, v7 :: v_dual_bitop2_b32 v8, 3, v8 bitop3:0x40
	v_dual_cndmask_b32 v10, v12, v10, vcc_lo :: v_dual_cndmask_b32 v8, v9, v8, vcc_lo
	s_delay_alu instid0(VALU_DEP_2) | instskip(NEXT) | instid1(VALU_DEP_2)
	v_and_b32_e32 v7, 0x80000000, v7
	v_lshl_add_u32 v9, v10, 23, 0x37800000
	s_delay_alu instid0(VALU_DEP_3) | instskip(NEXT) | instid1(VALU_DEP_1)
	v_lshlrev_b32_e32 v8, 21, v8
	v_or3_b32 v9, v7, v9, v8
.LBB259_394:
	s_or_b32 exec_lo, exec_lo, s17
	s_delay_alu instid0(VALU_DEP_1)
	v_cmp_eq_f32_e64 s15, s15, v9
	v_cmp_ne_u32_e32 vcc_lo, 1, v3
	s_cbranch_vccz .LBB259_113
.LBB259_395:
                                        ; implicit-def: $sgpr16
	s_cbranch_execz .LBB259_130
; %bb.396:
	s_and_b32 s17, s10, 0xff
	s_delay_alu instid0(SALU_CYCLE_1)
	s_cmp_lt_i32 s17, 0x80
	s_cbranch_scc1 .LBB259_404
; %bb.397:
	s_and_b32 s16, 0xffff, s17
	s_mov_b32 s18, -1
	s_cmp_eq_u32 s16, 0x80
	s_cbranch_scc0 .LBB259_399
; %bb.398:
	s_mov_b32 s18, 0
.LBB259_399:
	s_mov_b32 s16, 0x7f800001
	s_branch .LBB259_406
.LBB259_400:
	s_mov_b32 s16, -1
	s_mov_b32 s18, exec_lo
	v_cmpx_eq_u16_e32 0x80, v8
; %bb.401:
	s_xor_b32 s16, exec_lo, -1
; %bb.402:
	s_or_b32 exec_lo, exec_lo, s18
	s_delay_alu instid0(SALU_CYCLE_1)
	s_and_b32 s16, s16, exec_lo
	s_or_saveexec_b32 s17, s17
	v_mov_b32_e32 v9, 0x7f800001
	s_xor_b32 exec_lo, exec_lo, s17
	s_cbranch_execz .LBB259_392
.LBB259_403:
	v_cmp_ne_u16_e32 vcc_lo, 0, v8
	v_mov_b32_e32 v9, 0
	s_and_not1_b32 s16, s16, exec_lo
	s_and_b32 s18, vcc_lo, exec_lo
	s_delay_alu instid0(SALU_CYCLE_1)
	s_or_b32 s16, s16, s18
	s_or_b32 exec_lo, exec_lo, s17
	s_and_saveexec_b32 s17, s16
	s_cbranch_execnz .LBB259_393
	s_branch .LBB259_394
.LBB259_404:
	s_mov_b32 s18, 0
	s_mov_b32 s16, 0x7f800001
	s_cbranch_execz .LBB259_406
; %bb.405:
	s_and_b32 s16, 0xffff, s17
	s_delay_alu instid0(SALU_CYCLE_1)
	s_cmp_lg_u32 s16, 0
	s_mov_b32 s16, 0
	s_cselect_b32 s18, -1, 0
.LBB259_406:
	s_delay_alu instid0(SALU_CYCLE_1)
	s_and_not1_b32 vcc_lo, exec_lo, s18
	s_cbranch_vccnz .LBB259_408
; %bb.407:
	s_mov_b32 s16, s3
.LBB259_408:
	s_wait_loadcnt 0x4
	v_and_b32_e32 v7, 0xff, v6
	s_mov_b32 s17, 0
	s_mov_b32 s18, exec_lo
	s_delay_alu instid0(VALU_DEP_1)
	v_cmpx_lt_i16_e32 0x7f, v7
	s_xor_b32 s18, exec_lo, s18
	s_cbranch_execnz .LBB259_418
; %bb.409:
	s_or_saveexec_b32 s18, s18
	v_mov_b32_e32 v8, 0x7f800001
	s_xor_b32 exec_lo, exec_lo, s18
	s_cbranch_execnz .LBB259_421
.LBB259_410:
	s_or_b32 exec_lo, exec_lo, s18
	s_and_saveexec_b32 s18, s17
	s_cbranch_execz .LBB259_412
.LBB259_411:
	v_and_b32_e32 v7, 0xffff, v7
	s_delay_alu instid0(VALU_DEP_1) | instskip(SKIP_1) | instid1(VALU_DEP_2)
	v_and_b32_e32 v8, 3, v7
	v_bfe_u32 v11, v7, 2, 5
	v_clz_i32_u32_e32 v9, v8
	s_delay_alu instid0(VALU_DEP_2) | instskip(NEXT) | instid1(VALU_DEP_2)
	v_cmp_eq_u32_e32 vcc_lo, 0, v11
	v_min_u32_e32 v9, 32, v9
	s_delay_alu instid0(VALU_DEP_1) | instskip(NEXT) | instid1(VALU_DEP_1)
	v_subrev_nc_u32_e32 v10, 29, v9
	v_dual_lshlrev_b32 v7, v10, v7 :: v_dual_sub_nc_u32 v9, 30, v9
	s_delay_alu instid0(VALU_DEP_1) | instskip(NEXT) | instid1(VALU_DEP_1)
	v_dual_lshlrev_b32 v10, 24, v6 :: v_dual_bitop2_b32 v7, 3, v7 bitop3:0x40
	v_dual_cndmask_b32 v9, v11, v9, vcc_lo :: v_dual_cndmask_b32 v7, v8, v7, vcc_lo
	s_delay_alu instid0(VALU_DEP_2) | instskip(NEXT) | instid1(VALU_DEP_2)
	v_and_b32_e32 v8, 0x80000000, v10
	v_lshl_add_u32 v9, v9, 23, 0x37800000
	s_delay_alu instid0(VALU_DEP_3) | instskip(NEXT) | instid1(VALU_DEP_1)
	v_lshlrev_b32_e32 v7, 21, v7
	v_or3_b32 v8, v8, v9, v7
.LBB259_412:
	s_or_b32 exec_lo, exec_lo, s18
	s_delay_alu instid0(VALU_DEP_1)
	v_cmp_eq_f32_e64 s16, s16, v8
	v_cmp_ne_u32_e32 vcc_lo, 1, v3
	v_lshrrev_b16 v7, 8, v6
	s_cbranch_vccz .LBB259_131
.LBB259_413:
                                        ; implicit-def: $sgpr17
	s_cbranch_execz .LBB259_148
; %bb.414:
	s_and_b32 s18, s10, 0xff
	s_delay_alu instid0(SALU_CYCLE_1)
	s_cmp_lt_i32 s18, 0x80
	s_cbranch_scc1 .LBB259_422
; %bb.415:
	s_and_b32 s17, 0xffff, s18
	s_mov_b32 s19, -1
	s_cmp_eq_u32 s17, 0x80
	s_cbranch_scc0 .LBB259_417
; %bb.416:
	s_mov_b32 s19, 0
.LBB259_417:
	s_mov_b32 s17, 0x7f800001
	s_branch .LBB259_424
.LBB259_418:
	s_mov_b32 s17, -1
	s_mov_b32 s19, exec_lo
	v_cmpx_eq_u16_e32 0x80, v7
; %bb.419:
	s_xor_b32 s17, exec_lo, -1
; %bb.420:
	s_or_b32 exec_lo, exec_lo, s19
	s_delay_alu instid0(SALU_CYCLE_1)
	s_and_b32 s17, s17, exec_lo
	s_or_saveexec_b32 s18, s18
	v_mov_b32_e32 v8, 0x7f800001
	s_xor_b32 exec_lo, exec_lo, s18
	s_cbranch_execz .LBB259_410
.LBB259_421:
	v_cmp_ne_u16_e32 vcc_lo, 0, v7
	v_mov_b32_e32 v8, 0
	s_and_not1_b32 s17, s17, exec_lo
	s_and_b32 s19, vcc_lo, exec_lo
	s_delay_alu instid0(SALU_CYCLE_1)
	s_or_b32 s17, s17, s19
	s_or_b32 exec_lo, exec_lo, s18
	s_and_saveexec_b32 s18, s17
	s_cbranch_execnz .LBB259_411
	s_branch .LBB259_412
.LBB259_422:
	s_mov_b32 s19, 0
	s_mov_b32 s17, 0x7f800001
	s_cbranch_execz .LBB259_424
; %bb.423:
	s_and_b32 s17, 0xffff, s18
	s_delay_alu instid0(SALU_CYCLE_1)
	s_cmp_lg_u32 s17, 0
	s_mov_b32 s17, 0
	s_cselect_b32 s19, -1, 0
.LBB259_424:
	s_delay_alu instid0(SALU_CYCLE_1)
	s_and_not1_b32 vcc_lo, exec_lo, s19
	s_cbranch_vccnz .LBB259_426
; %bb.425:
	s_mov_b32 s17, s3
.LBB259_426:
	s_mov_b32 s18, 0
	s_mov_b32 s19, exec_lo
	v_cmpx_lt_i16_e32 0x7f, v7
	s_xor_b32 s19, exec_lo, s19
	s_cbranch_execnz .LBB259_436
; %bb.427:
	s_or_saveexec_b32 s19, s19
	v_mov_b32_e32 v8, 0x7f800001
	s_xor_b32 exec_lo, exec_lo, s19
	s_cbranch_execnz .LBB259_439
.LBB259_428:
	s_or_b32 exec_lo, exec_lo, s19
	s_and_saveexec_b32 s19, s18
	s_cbranch_execz .LBB259_430
.LBB259_429:
	v_and_b32_e32 v7, 0xffff, v7
	s_delay_alu instid0(VALU_DEP_1) | instskip(SKIP_1) | instid1(VALU_DEP_2)
	v_and_b32_e32 v8, 3, v7
	v_bfe_u32 v11, v7, 2, 5
	v_clz_i32_u32_e32 v9, v8
	s_delay_alu instid0(VALU_DEP_2) | instskip(NEXT) | instid1(VALU_DEP_2)
	v_cmp_eq_u32_e32 vcc_lo, 0, v11
	v_min_u32_e32 v9, 32, v9
	s_delay_alu instid0(VALU_DEP_1) | instskip(NEXT) | instid1(VALU_DEP_1)
	v_subrev_nc_u32_e32 v10, 29, v9
	v_dual_lshlrev_b32 v7, v10, v7 :: v_dual_sub_nc_u32 v9, 30, v9
	s_delay_alu instid0(VALU_DEP_1) | instskip(NEXT) | instid1(VALU_DEP_1)
	v_dual_lshlrev_b32 v6, 16, v6 :: v_dual_bitop2_b32 v7, 3, v7 bitop3:0x40
	v_dual_cndmask_b32 v9, v11, v9, vcc_lo :: v_dual_cndmask_b32 v7, v8, v7, vcc_lo
	s_delay_alu instid0(VALU_DEP_2) | instskip(NEXT) | instid1(VALU_DEP_2)
	v_and_b32_e32 v6, 0x80000000, v6
	v_lshl_add_u32 v8, v9, 23, 0x37800000
	s_delay_alu instid0(VALU_DEP_3) | instskip(NEXT) | instid1(VALU_DEP_1)
	v_lshlrev_b32_e32 v7, 21, v7
	v_or3_b32 v8, v6, v8, v7
.LBB259_430:
	s_or_b32 exec_lo, exec_lo, s19
	s_delay_alu instid0(VALU_DEP_1)
	v_cmp_eq_f32_e64 s17, s17, v8
	v_cmp_ne_u32_e32 vcc_lo, 1, v3
	s_cbranch_vccz .LBB259_149
.LBB259_431:
                                        ; implicit-def: $sgpr18
	s_cbranch_execz .LBB259_166
; %bb.432:
	s_and_b32 s19, s10, 0xff
	s_delay_alu instid0(SALU_CYCLE_1)
	s_cmp_lt_i32 s19, 0x80
	s_cbranch_scc1 .LBB259_440
; %bb.433:
	s_and_b32 s18, 0xffff, s19
	s_mov_b32 s20, -1
	s_cmp_eq_u32 s18, 0x80
	s_cbranch_scc0 .LBB259_435
; %bb.434:
	s_mov_b32 s20, 0
.LBB259_435:
	s_mov_b32 s18, 0x7f800001
	s_branch .LBB259_442
.LBB259_436:
	s_mov_b32 s18, -1
	s_mov_b32 s20, exec_lo
	v_cmpx_eq_u16_e32 0x80, v7
; %bb.437:
	s_xor_b32 s18, exec_lo, -1
; %bb.438:
	s_or_b32 exec_lo, exec_lo, s20
	s_delay_alu instid0(SALU_CYCLE_1)
	s_and_b32 s18, s18, exec_lo
	s_or_saveexec_b32 s19, s19
	v_mov_b32_e32 v8, 0x7f800001
	s_xor_b32 exec_lo, exec_lo, s19
	s_cbranch_execz .LBB259_428
.LBB259_439:
	v_cmp_ne_u16_e32 vcc_lo, 0, v7
	v_mov_b32_e32 v8, 0
	s_and_not1_b32 s18, s18, exec_lo
	s_and_b32 s20, vcc_lo, exec_lo
	s_delay_alu instid0(SALU_CYCLE_1)
	s_or_b32 s18, s18, s20
	s_or_b32 exec_lo, exec_lo, s19
	s_and_saveexec_b32 s19, s18
	s_cbranch_execnz .LBB259_429
	s_branch .LBB259_430
.LBB259_440:
	s_mov_b32 s20, 0
	s_mov_b32 s18, 0x7f800001
	s_cbranch_execz .LBB259_442
; %bb.441:
	s_and_b32 s18, 0xffff, s19
	s_delay_alu instid0(SALU_CYCLE_1)
	s_cmp_lg_u32 s18, 0
	s_mov_b32 s18, 0
	s_cselect_b32 s20, -1, 0
.LBB259_442:
	s_delay_alu instid0(SALU_CYCLE_1)
	s_and_not1_b32 vcc_lo, exec_lo, s20
	s_cbranch_vccnz .LBB259_444
; %bb.443:
	s_mov_b32 s18, s3
.LBB259_444:
	s_wait_loadcnt 0x3
	v_and_b32_e32 v6, 0xff, v5
	s_mov_b32 s19, 0
	s_mov_b32 s20, exec_lo
	s_delay_alu instid0(VALU_DEP_1)
	v_cmpx_lt_i16_e32 0x7f, v6
	s_xor_b32 s20, exec_lo, s20
	s_cbranch_execnz .LBB259_454
; %bb.445:
	s_or_saveexec_b32 s20, s20
	v_mov_b32_e32 v7, 0x7f800001
	s_xor_b32 exec_lo, exec_lo, s20
	s_cbranch_execnz .LBB259_457
.LBB259_446:
	s_or_b32 exec_lo, exec_lo, s20
	s_and_saveexec_b32 s20, s19
	s_cbranch_execz .LBB259_448
.LBB259_447:
	v_and_b32_e32 v6, 0xffff, v6
	s_delay_alu instid0(VALU_DEP_1) | instskip(SKIP_1) | instid1(VALU_DEP_2)
	v_and_b32_e32 v7, 3, v6
	v_bfe_u32 v10, v6, 2, 5
	v_clz_i32_u32_e32 v8, v7
	s_delay_alu instid0(VALU_DEP_2) | instskip(NEXT) | instid1(VALU_DEP_2)
	v_cmp_eq_u32_e32 vcc_lo, 0, v10
	v_min_u32_e32 v8, 32, v8
	s_delay_alu instid0(VALU_DEP_1) | instskip(NEXT) | instid1(VALU_DEP_1)
	v_subrev_nc_u32_e32 v9, 29, v8
	v_dual_lshlrev_b32 v6, v9, v6 :: v_dual_sub_nc_u32 v8, 30, v8
	s_delay_alu instid0(VALU_DEP_1) | instskip(NEXT) | instid1(VALU_DEP_1)
	v_dual_lshlrev_b32 v9, 24, v5 :: v_dual_bitop2_b32 v6, 3, v6 bitop3:0x40
	v_dual_cndmask_b32 v8, v10, v8, vcc_lo :: v_dual_cndmask_b32 v6, v7, v6, vcc_lo
	s_delay_alu instid0(VALU_DEP_2) | instskip(NEXT) | instid1(VALU_DEP_2)
	v_and_b32_e32 v7, 0x80000000, v9
	v_lshl_add_u32 v8, v8, 23, 0x37800000
	s_delay_alu instid0(VALU_DEP_3) | instskip(NEXT) | instid1(VALU_DEP_1)
	v_lshlrev_b32_e32 v6, 21, v6
	v_or3_b32 v7, v7, v8, v6
.LBB259_448:
	s_or_b32 exec_lo, exec_lo, s20
	s_delay_alu instid0(VALU_DEP_1)
	v_cmp_eq_f32_e64 s18, s18, v7
	v_cmp_ne_u32_e32 vcc_lo, 1, v3
	v_lshrrev_b16 v6, 8, v5
	s_cbranch_vccz .LBB259_167
.LBB259_449:
                                        ; implicit-def: $sgpr19
	s_cbranch_execz .LBB259_184
; %bb.450:
	s_and_b32 s20, s10, 0xff
	s_delay_alu instid0(SALU_CYCLE_1)
	s_cmp_lt_i32 s20, 0x80
	s_cbranch_scc1 .LBB259_458
; %bb.451:
	s_and_b32 s19, 0xffff, s20
	s_mov_b32 s21, -1
	s_cmp_eq_u32 s19, 0x80
	s_cbranch_scc0 .LBB259_453
; %bb.452:
	s_mov_b32 s21, 0
.LBB259_453:
	s_mov_b32 s19, 0x7f800001
	s_branch .LBB259_460
.LBB259_454:
	s_mov_b32 s19, -1
	s_mov_b32 s21, exec_lo
	v_cmpx_eq_u16_e32 0x80, v6
; %bb.455:
	s_xor_b32 s19, exec_lo, -1
; %bb.456:
	s_or_b32 exec_lo, exec_lo, s21
	s_delay_alu instid0(SALU_CYCLE_1)
	s_and_b32 s19, s19, exec_lo
	s_or_saveexec_b32 s20, s20
	v_mov_b32_e32 v7, 0x7f800001
	s_xor_b32 exec_lo, exec_lo, s20
	s_cbranch_execz .LBB259_446
.LBB259_457:
	v_cmp_ne_u16_e32 vcc_lo, 0, v6
	v_mov_b32_e32 v7, 0
	s_and_not1_b32 s19, s19, exec_lo
	s_and_b32 s21, vcc_lo, exec_lo
	s_delay_alu instid0(SALU_CYCLE_1)
	s_or_b32 s19, s19, s21
	s_or_b32 exec_lo, exec_lo, s20
	s_and_saveexec_b32 s20, s19
	s_cbranch_execnz .LBB259_447
	s_branch .LBB259_448
.LBB259_458:
	s_mov_b32 s21, 0
	s_mov_b32 s19, 0x7f800001
	s_cbranch_execz .LBB259_460
; %bb.459:
	s_and_b32 s19, 0xffff, s20
	s_delay_alu instid0(SALU_CYCLE_1)
	s_cmp_lg_u32 s19, 0
	s_mov_b32 s19, 0
	s_cselect_b32 s21, -1, 0
.LBB259_460:
	s_delay_alu instid0(SALU_CYCLE_1)
	s_and_not1_b32 vcc_lo, exec_lo, s21
	s_cbranch_vccnz .LBB259_462
; %bb.461:
	s_mov_b32 s19, s3
.LBB259_462:
	s_mov_b32 s20, 0
	s_mov_b32 s21, exec_lo
	v_cmpx_lt_i16_e32 0x7f, v6
	s_xor_b32 s21, exec_lo, s21
	s_cbranch_execnz .LBB259_472
; %bb.463:
	s_or_saveexec_b32 s21, s21
	v_mov_b32_e32 v7, 0x7f800001
	s_xor_b32 exec_lo, exec_lo, s21
	s_cbranch_execnz .LBB259_475
.LBB259_464:
	s_or_b32 exec_lo, exec_lo, s21
	s_and_saveexec_b32 s21, s20
	s_cbranch_execz .LBB259_466
.LBB259_465:
	v_and_b32_e32 v6, 0xffff, v6
	s_delay_alu instid0(VALU_DEP_1) | instskip(SKIP_1) | instid1(VALU_DEP_2)
	v_and_b32_e32 v7, 3, v6
	v_bfe_u32 v10, v6, 2, 5
	v_clz_i32_u32_e32 v8, v7
	s_delay_alu instid0(VALU_DEP_2) | instskip(NEXT) | instid1(VALU_DEP_2)
	v_cmp_eq_u32_e32 vcc_lo, 0, v10
	v_min_u32_e32 v8, 32, v8
	s_delay_alu instid0(VALU_DEP_1) | instskip(NEXT) | instid1(VALU_DEP_1)
	v_subrev_nc_u32_e32 v9, 29, v8
	v_dual_lshlrev_b32 v6, v9, v6 :: v_dual_sub_nc_u32 v8, 30, v8
	s_delay_alu instid0(VALU_DEP_1) | instskip(NEXT) | instid1(VALU_DEP_1)
	v_dual_lshlrev_b32 v5, 16, v5 :: v_dual_bitop2_b32 v6, 3, v6 bitop3:0x40
	v_dual_cndmask_b32 v8, v10, v8, vcc_lo :: v_dual_cndmask_b32 v6, v7, v6, vcc_lo
	s_delay_alu instid0(VALU_DEP_2) | instskip(NEXT) | instid1(VALU_DEP_2)
	v_and_b32_e32 v5, 0x80000000, v5
	v_lshl_add_u32 v7, v8, 23, 0x37800000
	s_delay_alu instid0(VALU_DEP_3) | instskip(NEXT) | instid1(VALU_DEP_1)
	v_lshlrev_b32_e32 v6, 21, v6
	v_or3_b32 v7, v5, v7, v6
.LBB259_466:
	s_or_b32 exec_lo, exec_lo, s21
	s_delay_alu instid0(VALU_DEP_1)
	v_cmp_eq_f32_e64 s19, s19, v7
	v_cmp_ne_u32_e32 vcc_lo, 1, v3
	s_cbranch_vccz .LBB259_185
.LBB259_467:
                                        ; implicit-def: $sgpr20
	s_cbranch_execz .LBB259_202
; %bb.468:
	s_and_b32 s21, s10, 0xff
	s_delay_alu instid0(SALU_CYCLE_1)
	s_cmp_lt_i32 s21, 0x80
	s_cbranch_scc1 .LBB259_476
; %bb.469:
	s_and_b32 s20, 0xffff, s21
	s_mov_b32 s22, -1
	s_cmp_eq_u32 s20, 0x80
	s_cbranch_scc0 .LBB259_471
; %bb.470:
	s_mov_b32 s22, 0
.LBB259_471:
	s_mov_b32 s20, 0x7f800001
	s_branch .LBB259_478
.LBB259_472:
	s_mov_b32 s20, -1
	s_mov_b32 s22, exec_lo
	v_cmpx_eq_u16_e32 0x80, v6
; %bb.473:
	s_xor_b32 s20, exec_lo, -1
; %bb.474:
	s_or_b32 exec_lo, exec_lo, s22
	s_delay_alu instid0(SALU_CYCLE_1)
	s_and_b32 s20, s20, exec_lo
	s_or_saveexec_b32 s21, s21
	v_mov_b32_e32 v7, 0x7f800001
	s_xor_b32 exec_lo, exec_lo, s21
	s_cbranch_execz .LBB259_464
.LBB259_475:
	v_cmp_ne_u16_e32 vcc_lo, 0, v6
	v_mov_b32_e32 v7, 0
	s_and_not1_b32 s20, s20, exec_lo
	s_and_b32 s22, vcc_lo, exec_lo
	s_delay_alu instid0(SALU_CYCLE_1)
	s_or_b32 s20, s20, s22
	s_or_b32 exec_lo, exec_lo, s21
	s_and_saveexec_b32 s21, s20
	s_cbranch_execnz .LBB259_465
	s_branch .LBB259_466
.LBB259_476:
	s_mov_b32 s22, 0
	s_mov_b32 s20, 0x7f800001
	s_cbranch_execz .LBB259_478
; %bb.477:
	s_and_b32 s20, 0xffff, s21
	s_delay_alu instid0(SALU_CYCLE_1)
	s_cmp_lg_u32 s20, 0
	s_mov_b32 s20, 0
	s_cselect_b32 s22, -1, 0
.LBB259_478:
	s_delay_alu instid0(SALU_CYCLE_1)
	s_and_not1_b32 vcc_lo, exec_lo, s22
	s_cbranch_vccnz .LBB259_480
; %bb.479:
	s_mov_b32 s20, s3
.LBB259_480:
	s_wait_loadcnt 0x2
	v_and_b32_e32 v5, 0xff, v4
	s_mov_b32 s21, 0
	s_mov_b32 s22, exec_lo
	s_delay_alu instid0(VALU_DEP_1)
	v_cmpx_lt_i16_e32 0x7f, v5
	s_xor_b32 s22, exec_lo, s22
	s_cbranch_execnz .LBB259_490
; %bb.481:
	s_or_saveexec_b32 s22, s22
	v_mov_b32_e32 v6, 0x7f800001
	s_xor_b32 exec_lo, exec_lo, s22
	s_cbranch_execnz .LBB259_493
.LBB259_482:
	s_or_b32 exec_lo, exec_lo, s22
	s_and_saveexec_b32 s22, s21
	s_cbranch_execz .LBB259_484
.LBB259_483:
	v_and_b32_e32 v5, 0xffff, v5
	s_delay_alu instid0(VALU_DEP_1) | instskip(SKIP_1) | instid1(VALU_DEP_2)
	v_and_b32_e32 v6, 3, v5
	v_bfe_u32 v9, v5, 2, 5
	v_clz_i32_u32_e32 v7, v6
	s_delay_alu instid0(VALU_DEP_2) | instskip(NEXT) | instid1(VALU_DEP_2)
	v_cmp_eq_u32_e32 vcc_lo, 0, v9
	v_min_u32_e32 v7, 32, v7
	s_delay_alu instid0(VALU_DEP_1) | instskip(NEXT) | instid1(VALU_DEP_1)
	v_subrev_nc_u32_e32 v8, 29, v7
	v_dual_lshlrev_b32 v5, v8, v5 :: v_dual_sub_nc_u32 v7, 30, v7
	s_delay_alu instid0(VALU_DEP_1) | instskip(NEXT) | instid1(VALU_DEP_1)
	v_dual_lshlrev_b32 v8, 24, v4 :: v_dual_bitop2_b32 v5, 3, v5 bitop3:0x40
	v_dual_cndmask_b32 v7, v9, v7, vcc_lo :: v_dual_cndmask_b32 v5, v6, v5, vcc_lo
	s_delay_alu instid0(VALU_DEP_2) | instskip(NEXT) | instid1(VALU_DEP_2)
	v_and_b32_e32 v6, 0x80000000, v8
	v_lshl_add_u32 v7, v7, 23, 0x37800000
	s_delay_alu instid0(VALU_DEP_3) | instskip(NEXT) | instid1(VALU_DEP_1)
	v_lshlrev_b32_e32 v5, 21, v5
	v_or3_b32 v6, v6, v7, v5
.LBB259_484:
	s_or_b32 exec_lo, exec_lo, s22
	s_delay_alu instid0(VALU_DEP_1)
	v_cmp_eq_f32_e64 s20, s20, v6
	v_cmp_ne_u32_e32 vcc_lo, 1, v3
	v_lshrrev_b16 v5, 8, v4
	s_cbranch_vccz .LBB259_203
.LBB259_485:
                                        ; implicit-def: $sgpr21
	s_cbranch_execz .LBB259_220
; %bb.486:
	s_and_b32 s22, s10, 0xff
	s_delay_alu instid0(SALU_CYCLE_1)
	s_cmp_lt_i32 s22, 0x80
	s_cbranch_scc1 .LBB259_494
; %bb.487:
	s_and_b32 s21, 0xffff, s22
	s_mov_b32 s23, -1
	s_cmp_eq_u32 s21, 0x80
	s_cbranch_scc0 .LBB259_489
; %bb.488:
	s_mov_b32 s23, 0
.LBB259_489:
	s_mov_b32 s21, 0x7f800001
	s_branch .LBB259_496
.LBB259_490:
	s_mov_b32 s21, -1
	s_mov_b32 s23, exec_lo
	v_cmpx_eq_u16_e32 0x80, v5
; %bb.491:
	s_xor_b32 s21, exec_lo, -1
; %bb.492:
	s_or_b32 exec_lo, exec_lo, s23
	s_delay_alu instid0(SALU_CYCLE_1)
	s_and_b32 s21, s21, exec_lo
	s_or_saveexec_b32 s22, s22
	v_mov_b32_e32 v6, 0x7f800001
	s_xor_b32 exec_lo, exec_lo, s22
	s_cbranch_execz .LBB259_482
.LBB259_493:
	v_cmp_ne_u16_e32 vcc_lo, 0, v5
	v_mov_b32_e32 v6, 0
	s_and_not1_b32 s21, s21, exec_lo
	s_and_b32 s23, vcc_lo, exec_lo
	s_delay_alu instid0(SALU_CYCLE_1)
	s_or_b32 s21, s21, s23
	s_or_b32 exec_lo, exec_lo, s22
	s_and_saveexec_b32 s22, s21
	s_cbranch_execnz .LBB259_483
	s_branch .LBB259_484
.LBB259_494:
	s_mov_b32 s23, 0
	s_mov_b32 s21, 0x7f800001
	s_cbranch_execz .LBB259_496
; %bb.495:
	s_and_b32 s21, 0xffff, s22
	s_delay_alu instid0(SALU_CYCLE_1)
	s_cmp_lg_u32 s21, 0
	s_mov_b32 s21, 0
	s_cselect_b32 s23, -1, 0
.LBB259_496:
	s_delay_alu instid0(SALU_CYCLE_1)
	s_and_not1_b32 vcc_lo, exec_lo, s23
	s_cbranch_vccnz .LBB259_498
; %bb.497:
	s_mov_b32 s21, s3
.LBB259_498:
	s_mov_b32 s22, 0
	s_mov_b32 s23, exec_lo
	v_cmpx_lt_i16_e32 0x7f, v5
	s_xor_b32 s23, exec_lo, s23
	s_cbranch_execnz .LBB259_508
; %bb.499:
	s_or_saveexec_b32 s23, s23
	v_mov_b32_e32 v6, 0x7f800001
	s_xor_b32 exec_lo, exec_lo, s23
	s_cbranch_execnz .LBB259_511
.LBB259_500:
	s_or_b32 exec_lo, exec_lo, s23
	s_and_saveexec_b32 s23, s22
	s_cbranch_execz .LBB259_502
.LBB259_501:
	v_and_b32_e32 v5, 0xffff, v5
	s_delay_alu instid0(VALU_DEP_1) | instskip(SKIP_1) | instid1(VALU_DEP_2)
	v_and_b32_e32 v6, 3, v5
	v_bfe_u32 v9, v5, 2, 5
	v_clz_i32_u32_e32 v7, v6
	s_delay_alu instid0(VALU_DEP_2) | instskip(NEXT) | instid1(VALU_DEP_2)
	v_cmp_eq_u32_e32 vcc_lo, 0, v9
	v_min_u32_e32 v7, 32, v7
	s_delay_alu instid0(VALU_DEP_1) | instskip(NEXT) | instid1(VALU_DEP_1)
	v_subrev_nc_u32_e32 v8, 29, v7
	v_dual_lshlrev_b32 v5, v8, v5 :: v_dual_sub_nc_u32 v7, 30, v7
	s_delay_alu instid0(VALU_DEP_1) | instskip(NEXT) | instid1(VALU_DEP_1)
	v_dual_lshlrev_b32 v4, 16, v4 :: v_dual_bitop2_b32 v5, 3, v5 bitop3:0x40
	v_dual_cndmask_b32 v7, v9, v7, vcc_lo :: v_dual_cndmask_b32 v5, v6, v5, vcc_lo
	s_delay_alu instid0(VALU_DEP_2) | instskip(NEXT) | instid1(VALU_DEP_2)
	v_and_b32_e32 v4, 0x80000000, v4
	v_lshl_add_u32 v6, v7, 23, 0x37800000
	s_delay_alu instid0(VALU_DEP_3) | instskip(NEXT) | instid1(VALU_DEP_1)
	v_lshlrev_b32_e32 v5, 21, v5
	v_or3_b32 v6, v4, v6, v5
.LBB259_502:
	s_or_b32 exec_lo, exec_lo, s23
	s_delay_alu instid0(VALU_DEP_1)
	v_cmp_eq_f32_e64 s21, s21, v6
	v_cmp_ne_u32_e32 vcc_lo, 1, v3
	s_cbranch_vccz .LBB259_221
.LBB259_503:
                                        ; implicit-def: $sgpr22
	s_cbranch_execz .LBB259_238
; %bb.504:
	s_and_b32 s23, s10, 0xff
	s_delay_alu instid0(SALU_CYCLE_1)
	s_cmp_lt_i32 s23, 0x80
	s_cbranch_scc1 .LBB259_512
; %bb.505:
	s_and_b32 s22, 0xffff, s23
	s_mov_b32 s24, -1
	s_cmp_eq_u32 s22, 0x80
	s_cbranch_scc0 .LBB259_507
; %bb.506:
	s_mov_b32 s24, 0
.LBB259_507:
	s_mov_b32 s22, 0x7f800001
	s_branch .LBB259_514
.LBB259_508:
	s_mov_b32 s22, -1
	s_mov_b32 s24, exec_lo
	v_cmpx_eq_u16_e32 0x80, v5
; %bb.509:
	s_xor_b32 s22, exec_lo, -1
; %bb.510:
	s_or_b32 exec_lo, exec_lo, s24
	s_delay_alu instid0(SALU_CYCLE_1)
	s_and_b32 s22, s22, exec_lo
	s_or_saveexec_b32 s23, s23
	v_mov_b32_e32 v6, 0x7f800001
	s_xor_b32 exec_lo, exec_lo, s23
	s_cbranch_execz .LBB259_500
.LBB259_511:
	v_cmp_ne_u16_e32 vcc_lo, 0, v5
	v_mov_b32_e32 v6, 0
	s_and_not1_b32 s22, s22, exec_lo
	s_and_b32 s24, vcc_lo, exec_lo
	s_delay_alu instid0(SALU_CYCLE_1)
	s_or_b32 s22, s22, s24
	s_or_b32 exec_lo, exec_lo, s23
	s_and_saveexec_b32 s23, s22
	s_cbranch_execnz .LBB259_501
	s_branch .LBB259_502
.LBB259_512:
	s_mov_b32 s24, 0
	s_mov_b32 s22, 0x7f800001
	s_cbranch_execz .LBB259_514
; %bb.513:
	s_and_b32 s22, 0xffff, s23
	s_delay_alu instid0(SALU_CYCLE_1)
	s_cmp_lg_u32 s22, 0
	s_mov_b32 s22, 0
	s_cselect_b32 s24, -1, 0
.LBB259_514:
	s_delay_alu instid0(SALU_CYCLE_1)
	s_and_not1_b32 vcc_lo, exec_lo, s24
	s_cbranch_vccnz .LBB259_516
; %bb.515:
	s_mov_b32 s22, s3
.LBB259_516:
	s_wait_loadcnt 0x1
	v_and_b32_e32 v4, 0xff, v2
	s_mov_b32 s23, 0
	s_mov_b32 s24, exec_lo
	s_delay_alu instid0(VALU_DEP_1)
	v_cmpx_lt_i16_e32 0x7f, v4
	s_xor_b32 s24, exec_lo, s24
	s_cbranch_execnz .LBB259_526
; %bb.517:
	s_or_saveexec_b32 s24, s24
	v_mov_b32_e32 v5, 0x7f800001
	s_xor_b32 exec_lo, exec_lo, s24
	s_cbranch_execnz .LBB259_529
.LBB259_518:
	s_or_b32 exec_lo, exec_lo, s24
	s_and_saveexec_b32 s24, s23
	s_cbranch_execz .LBB259_520
.LBB259_519:
	v_and_b32_e32 v4, 0xffff, v4
	s_delay_alu instid0(VALU_DEP_1) | instskip(SKIP_1) | instid1(VALU_DEP_2)
	v_and_b32_e32 v5, 3, v4
	v_bfe_u32 v8, v4, 2, 5
	v_clz_i32_u32_e32 v6, v5
	s_delay_alu instid0(VALU_DEP_2) | instskip(NEXT) | instid1(VALU_DEP_2)
	v_cmp_eq_u32_e32 vcc_lo, 0, v8
	v_min_u32_e32 v6, 32, v6
	s_delay_alu instid0(VALU_DEP_1) | instskip(NEXT) | instid1(VALU_DEP_1)
	v_subrev_nc_u32_e32 v7, 29, v6
	v_dual_lshlrev_b32 v4, v7, v4 :: v_dual_sub_nc_u32 v6, 30, v6
	s_delay_alu instid0(VALU_DEP_1) | instskip(NEXT) | instid1(VALU_DEP_1)
	v_dual_lshlrev_b32 v7, 24, v2 :: v_dual_bitop2_b32 v4, 3, v4 bitop3:0x40
	v_dual_cndmask_b32 v4, v5, v4, vcc_lo :: v_dual_cndmask_b32 v6, v8, v6, vcc_lo
	s_delay_alu instid0(VALU_DEP_2) | instskip(NEXT) | instid1(VALU_DEP_2)
	v_and_b32_e32 v5, 0x80000000, v7
	v_lshlrev_b32_e32 v4, 21, v4
	s_delay_alu instid0(VALU_DEP_3) | instskip(NEXT) | instid1(VALU_DEP_1)
	v_lshl_add_u32 v6, v6, 23, 0x37800000
	v_or3_b32 v5, v5, v6, v4
.LBB259_520:
	s_or_b32 exec_lo, exec_lo, s24
	s_delay_alu instid0(VALU_DEP_1)
	v_cmp_eq_f32_e64 s22, s22, v5
	v_cmp_ne_u32_e32 vcc_lo, 1, v3
	v_lshrrev_b16 v4, 8, v2
	s_cbranch_vccz .LBB259_239
.LBB259_521:
                                        ; implicit-def: $sgpr23
	s_cbranch_execz .LBB259_256
; %bb.522:
	s_and_b32 s24, s10, 0xff
	s_delay_alu instid0(SALU_CYCLE_1)
	s_cmp_lt_i32 s24, 0x80
	s_cbranch_scc1 .LBB259_530
; %bb.523:
	s_and_b32 s23, 0xffff, s24
	s_mov_b32 s25, -1
	s_cmp_eq_u32 s23, 0x80
	s_cbranch_scc0 .LBB259_525
; %bb.524:
	s_mov_b32 s25, 0
.LBB259_525:
	s_mov_b32 s23, 0x7f800001
	s_branch .LBB259_532
.LBB259_526:
	s_mov_b32 s23, -1
	s_mov_b32 s25, exec_lo
	v_cmpx_eq_u16_e32 0x80, v4
; %bb.527:
	s_xor_b32 s23, exec_lo, -1
; %bb.528:
	s_or_b32 exec_lo, exec_lo, s25
	s_delay_alu instid0(SALU_CYCLE_1)
	s_and_b32 s23, s23, exec_lo
	s_or_saveexec_b32 s24, s24
	v_mov_b32_e32 v5, 0x7f800001
	s_xor_b32 exec_lo, exec_lo, s24
	s_cbranch_execz .LBB259_518
.LBB259_529:
	v_cmp_ne_u16_e32 vcc_lo, 0, v4
	v_mov_b32_e32 v5, 0
	s_and_not1_b32 s23, s23, exec_lo
	s_and_b32 s25, vcc_lo, exec_lo
	s_delay_alu instid0(SALU_CYCLE_1)
	s_or_b32 s23, s23, s25
	s_or_b32 exec_lo, exec_lo, s24
	s_and_saveexec_b32 s24, s23
	s_cbranch_execnz .LBB259_519
	s_branch .LBB259_520
.LBB259_530:
	s_mov_b32 s25, 0
	s_mov_b32 s23, 0x7f800001
	s_cbranch_execz .LBB259_532
; %bb.531:
	s_and_b32 s23, 0xffff, s24
	s_delay_alu instid0(SALU_CYCLE_1)
	s_cmp_lg_u32 s23, 0
	s_mov_b32 s23, 0
	s_cselect_b32 s25, -1, 0
.LBB259_532:
	s_delay_alu instid0(SALU_CYCLE_1)
	s_and_not1_b32 vcc_lo, exec_lo, s25
	s_cbranch_vccnz .LBB259_534
; %bb.533:
	s_mov_b32 s23, s3
.LBB259_534:
	s_mov_b32 s24, 0
	s_mov_b32 s25, exec_lo
	v_cmpx_lt_i16_e32 0x7f, v4
	s_xor_b32 s25, exec_lo, s25
	s_cbranch_execnz .LBB259_544
; %bb.535:
	s_or_saveexec_b32 s25, s25
	v_mov_b32_e32 v5, 0x7f800001
	s_xor_b32 exec_lo, exec_lo, s25
	s_cbranch_execnz .LBB259_547
.LBB259_536:
	s_or_b32 exec_lo, exec_lo, s25
	s_and_saveexec_b32 s25, s24
	s_cbranch_execz .LBB259_538
.LBB259_537:
	v_and_b32_e32 v4, 0xffff, v4
	s_delay_alu instid0(VALU_DEP_1) | instskip(SKIP_1) | instid1(VALU_DEP_2)
	v_and_b32_e32 v5, 3, v4
	v_bfe_u32 v8, v4, 2, 5
	v_clz_i32_u32_e32 v6, v5
	s_delay_alu instid0(VALU_DEP_2) | instskip(NEXT) | instid1(VALU_DEP_2)
	v_cmp_eq_u32_e32 vcc_lo, 0, v8
	v_min_u32_e32 v6, 32, v6
	s_delay_alu instid0(VALU_DEP_1) | instskip(NEXT) | instid1(VALU_DEP_1)
	v_subrev_nc_u32_e32 v7, 29, v6
	v_dual_lshlrev_b32 v4, v7, v4 :: v_dual_sub_nc_u32 v6, 30, v6
	s_delay_alu instid0(VALU_DEP_1) | instskip(NEXT) | instid1(VALU_DEP_1)
	v_dual_lshlrev_b32 v2, 16, v2 :: v_dual_bitop2_b32 v4, 3, v4 bitop3:0x40
	v_dual_cndmask_b32 v4, v5, v4, vcc_lo :: v_dual_cndmask_b32 v6, v8, v6, vcc_lo
	s_delay_alu instid0(VALU_DEP_2) | instskip(NEXT) | instid1(VALU_DEP_2)
	v_and_b32_e32 v2, 0x80000000, v2
	v_lshlrev_b32_e32 v4, 21, v4
	s_delay_alu instid0(VALU_DEP_3) | instskip(NEXT) | instid1(VALU_DEP_1)
	v_lshl_add_u32 v5, v6, 23, 0x37800000
	v_or3_b32 v5, v2, v5, v4
.LBB259_538:
	s_or_b32 exec_lo, exec_lo, s25
	s_delay_alu instid0(VALU_DEP_1)
	v_cmp_eq_f32_e64 s23, s23, v5
	v_cmp_ne_u32_e32 vcc_lo, 1, v3
	s_cbranch_vccz .LBB259_257
.LBB259_539:
                                        ; implicit-def: $sgpr24
	s_cbranch_execz .LBB259_274
; %bb.540:
	s_and_b32 s25, s10, 0xff
	s_delay_alu instid0(SALU_CYCLE_1)
	s_cmp_lt_i32 s25, 0x80
	s_cbranch_scc1 .LBB259_548
; %bb.541:
	s_and_b32 s24, 0xffff, s25
	s_mov_b32 s26, -1
	s_cmp_eq_u32 s24, 0x80
	s_cbranch_scc0 .LBB259_543
; %bb.542:
	s_mov_b32 s26, 0
.LBB259_543:
	s_mov_b32 s24, 0x7f800001
	s_branch .LBB259_550
.LBB259_544:
	s_mov_b32 s24, -1
	s_mov_b32 s26, exec_lo
	v_cmpx_eq_u16_e32 0x80, v4
; %bb.545:
	s_xor_b32 s24, exec_lo, -1
; %bb.546:
	s_or_b32 exec_lo, exec_lo, s26
	s_delay_alu instid0(SALU_CYCLE_1)
	s_and_b32 s24, s24, exec_lo
	s_or_saveexec_b32 s25, s25
	v_mov_b32_e32 v5, 0x7f800001
	s_xor_b32 exec_lo, exec_lo, s25
	s_cbranch_execz .LBB259_536
.LBB259_547:
	v_cmp_ne_u16_e32 vcc_lo, 0, v4
	v_mov_b32_e32 v5, 0
	s_and_not1_b32 s24, s24, exec_lo
	s_and_b32 s26, vcc_lo, exec_lo
	s_delay_alu instid0(SALU_CYCLE_1)
	s_or_b32 s24, s24, s26
	s_or_b32 exec_lo, exec_lo, s25
	s_and_saveexec_b32 s25, s24
	s_cbranch_execnz .LBB259_537
	s_branch .LBB259_538
.LBB259_548:
	s_mov_b32 s26, 0
	s_mov_b32 s24, 0x7f800001
	s_cbranch_execz .LBB259_550
; %bb.549:
	s_and_b32 s24, 0xffff, s25
	s_delay_alu instid0(SALU_CYCLE_1)
	s_cmp_lg_u32 s24, 0
	s_mov_b32 s24, 0
	s_cselect_b32 s26, -1, 0
.LBB259_550:
	s_delay_alu instid0(SALU_CYCLE_1)
	s_and_not1_b32 vcc_lo, exec_lo, s26
	s_cbranch_vccnz .LBB259_552
; %bb.551:
	s_mov_b32 s24, s3
.LBB259_552:
	s_wait_loadcnt 0x0
	v_and_b32_e32 v2, 0xff, v1
	s_mov_b32 s25, 0
	s_mov_b32 s26, exec_lo
	s_delay_alu instid0(VALU_DEP_1)
	v_cmpx_lt_i16_e32 0x7f, v2
	s_xor_b32 s26, exec_lo, s26
	s_cbranch_execnz .LBB259_562
; %bb.553:
	s_or_saveexec_b32 s26, s26
	v_mov_b32_e32 v4, 0x7f800001
	s_xor_b32 exec_lo, exec_lo, s26
	s_cbranch_execnz .LBB259_565
.LBB259_554:
	s_or_b32 exec_lo, exec_lo, s26
	s_and_saveexec_b32 s26, s25
	s_cbranch_execz .LBB259_556
.LBB259_555:
	v_and_b32_e32 v2, 0xffff, v2
	s_delay_alu instid0(VALU_DEP_1) | instskip(SKIP_1) | instid1(VALU_DEP_2)
	v_and_b32_e32 v4, 3, v2
	v_bfe_u32 v7, v2, 2, 5
	v_clz_i32_u32_e32 v5, v4
	s_delay_alu instid0(VALU_DEP_2) | instskip(NEXT) | instid1(VALU_DEP_2)
	v_cmp_eq_u32_e32 vcc_lo, 0, v7
	v_min_u32_e32 v5, 32, v5
	s_delay_alu instid0(VALU_DEP_1) | instskip(NEXT) | instid1(VALU_DEP_1)
	v_subrev_nc_u32_e32 v6, 29, v5
	v_dual_lshlrev_b32 v2, v6, v2 :: v_dual_sub_nc_u32 v5, 30, v5
	s_delay_alu instid0(VALU_DEP_1) | instskip(NEXT) | instid1(VALU_DEP_1)
	v_dual_lshlrev_b32 v6, 24, v1 :: v_dual_bitop2_b32 v2, 3, v2 bitop3:0x40
	v_dual_cndmask_b32 v2, v4, v2 :: v_dual_cndmask_b32 v5, v7, v5
	s_delay_alu instid0(VALU_DEP_2) | instskip(NEXT) | instid1(VALU_DEP_2)
	v_and_b32_e32 v4, 0x80000000, v6
	v_lshlrev_b32_e32 v2, 21, v2
	s_delay_alu instid0(VALU_DEP_3) | instskip(NEXT) | instid1(VALU_DEP_1)
	v_lshl_add_u32 v5, v5, 23, 0x37800000
	v_or3_b32 v4, v4, v5, v2
.LBB259_556:
	s_or_b32 exec_lo, exec_lo, s26
	s_delay_alu instid0(VALU_DEP_1)
	v_cmp_eq_f32_e64 s24, s24, v4
	v_cmp_ne_u32_e32 vcc_lo, 1, v3
	v_lshrrev_b16 v2, 8, v1
	s_cbranch_vccz .LBB259_275
.LBB259_557:
                                        ; implicit-def: $sgpr25
	s_cbranch_execz .LBB259_575
; %bb.558:
	s_and_b32 s26, s10, 0xff
	s_delay_alu instid0(SALU_CYCLE_1)
	s_cmp_lt_i32 s26, 0x80
	s_cbranch_scc1 .LBB259_566
; %bb.559:
	s_and_b32 s25, 0xffff, s26
	s_mov_b32 s27, -1
	s_cmp_eq_u32 s25, 0x80
	s_cbranch_scc0 .LBB259_561
; %bb.560:
	s_mov_b32 s27, 0
.LBB259_561:
	s_mov_b32 s25, 0x7f800001
	s_branch .LBB259_568
.LBB259_562:
	s_mov_b32 s25, -1
	s_mov_b32 s27, exec_lo
	v_cmpx_eq_u16_e32 0x80, v2
; %bb.563:
	s_xor_b32 s25, exec_lo, -1
; %bb.564:
	s_or_b32 exec_lo, exec_lo, s27
	s_delay_alu instid0(SALU_CYCLE_1)
	s_and_b32 s25, s25, exec_lo
	s_or_saveexec_b32 s26, s26
	v_mov_b32_e32 v4, 0x7f800001
	s_xor_b32 exec_lo, exec_lo, s26
	s_cbranch_execz .LBB259_554
.LBB259_565:
	v_cmp_ne_u16_e32 vcc_lo, 0, v2
	v_mov_b32_e32 v4, 0
	s_and_not1_b32 s25, s25, exec_lo
	s_and_b32 s27, vcc_lo, exec_lo
	s_delay_alu instid0(SALU_CYCLE_1)
	s_or_b32 s25, s25, s27
	s_or_b32 exec_lo, exec_lo, s26
	s_and_saveexec_b32 s26, s25
	s_cbranch_execnz .LBB259_555
	s_branch .LBB259_556
.LBB259_566:
	s_mov_b32 s27, 0
	s_mov_b32 s25, 0x7f800001
	s_cbranch_execz .LBB259_568
; %bb.567:
	s_and_b32 s25, 0xffff, s26
	s_delay_alu instid0(SALU_CYCLE_1)
	s_cmp_lg_u32 s25, 0
	s_mov_b32 s25, 0
	s_cselect_b32 s27, -1, 0
.LBB259_568:
	s_delay_alu instid0(SALU_CYCLE_1)
	s_and_not1_b32 vcc_lo, exec_lo, s27
	s_cbranch_vccnz .LBB259_570
; %bb.569:
	s_mov_b32 s25, s3
.LBB259_570:
	s_mov_b32 s3, 0
	s_mov_b32 s26, exec_lo
	v_cmpx_lt_i16_e32 0x7f, v2
	s_xor_b32 s26, exec_lo, s26
	s_cbranch_execnz .LBB259_577
; %bb.571:
	s_or_saveexec_b32 s26, s26
	v_mov_b32_e32 v3, 0x7f800001
	s_xor_b32 exec_lo, exec_lo, s26
	s_cbranch_execnz .LBB259_580
.LBB259_572:
	s_or_b32 exec_lo, exec_lo, s26
	s_and_saveexec_b32 s26, s3
	s_cbranch_execz .LBB259_574
.LBB259_573:
	v_and_b32_e32 v2, 0xffff, v2
	s_delay_alu instid0(VALU_DEP_1) | instskip(SKIP_1) | instid1(VALU_DEP_2)
	v_and_b32_e32 v3, 3, v2
	v_bfe_u32 v6, v2, 2, 5
	v_clz_i32_u32_e32 v4, v3
	s_delay_alu instid0(VALU_DEP_2) | instskip(NEXT) | instid1(VALU_DEP_2)
	v_cmp_eq_u32_e32 vcc_lo, 0, v6
	v_min_u32_e32 v4, 32, v4
	s_delay_alu instid0(VALU_DEP_1) | instskip(NEXT) | instid1(VALU_DEP_1)
	v_subrev_nc_u32_e32 v5, 29, v4
	v_dual_lshlrev_b32 v2, v5, v2 :: v_dual_sub_nc_u32 v4, 30, v4
	s_delay_alu instid0(VALU_DEP_1) | instskip(NEXT) | instid1(VALU_DEP_1)
	v_dual_lshlrev_b32 v1, 16, v1 :: v_dual_bitop2_b32 v2, 3, v2 bitop3:0x40
	v_dual_cndmask_b32 v4, v6, v4, vcc_lo :: v_dual_cndmask_b32 v2, v3, v2, vcc_lo
	s_delay_alu instid0(VALU_DEP_2) | instskip(NEXT) | instid1(VALU_DEP_2)
	v_and_b32_e32 v1, 0x80000000, v1
	v_lshl_add_u32 v3, v4, 23, 0x37800000
	s_delay_alu instid0(VALU_DEP_3) | instskip(NEXT) | instid1(VALU_DEP_1)
	v_lshlrev_b32_e32 v2, 21, v2
	v_or3_b32 v3, v1, v3, v2
.LBB259_574:
	s_or_b32 exec_lo, exec_lo, s26
	s_delay_alu instid0(VALU_DEP_1)
	v_cmp_eq_f32_e64 s25, s25, v3
.LBB259_575:
	v_cndmask_b32_e64 v2, 0, 1, s11
	v_cndmask_b32_e64 v1, 0, 1, s13
	v_cndmask_b32_e64 v4, 0, 1, s17
	v_cndmask_b32_e64 v5, 0, 1, s8
	v_cndmask_b32_e64 v7, 0, 1, s15
	v_lshlrev_b16 v2, 8, v2
	v_cndmask_b32_e64 v3, 0, 1, s12
	v_lshlrev_b16 v1, 8, v1
	v_cndmask_b32_e64 v6, 0, 1, s16
	v_lshlrev_b16 v4, 8, v4
	v_or_b32_e32 v2, v5, v2
	v_lshlrev_b16 v5, 8, v7
	v_cndmask_b32_e64 v7, 0, 1, s19
	v_or_b32_e32 v1, v3, v1
	v_cndmask_b32_e64 v3, 0, 1, s21
	v_cndmask_b32_e64 v8, 0, 1, s25
	;; [unrolled: 1-line block ×3, first 2 shown]
	v_or_b32_e32 v4, v6, v4
	v_cndmask_b32_e64 v6, 0, 1, s14
	v_lshlrev_b16 v7, 8, v7
	v_cndmask_b32_e64 v11, 0, 1, s18
	v_lshlrev_b16 v3, 8, v3
	;; [unrolled: 2-line block ×4, first 2 shown]
	v_cndmask_b32_e64 v13, 0, 1, s22
	v_or_b32_e32 v5, v6, v5
	s_add_nc_u64 s[12:13], s[4:5], s[0:1]
	v_or_b32_e32 v6, v11, v7
	v_or_b32_e32 v3, v9, v3
	;; [unrolled: 1-line block ×4, first 2 shown]
	s_clause 0x7
	global_store_b16 v0, v2, s[12:13] scale_offset
	global_store_b16 v0, v1, s[12:13] offset:512 scale_offset
	global_store_b16 v0, v5, s[12:13] offset:1024 scale_offset
	;; [unrolled: 1-line block ×7, first 2 shown]
	s_branch .LBB259_2
.LBB259_576:
	s_wait_xcnt 0x0
	v_dual_mov_b32 v31, v0 :: v_dual_mov_b32 v0, s9
	v_dual_mov_b32 v1, s10 :: v_dual_mov_b32 v2, s4
	;; [unrolled: 1-line block ×4, first 2 shown]
	s_get_pc_i64 s[0:1]
	s_add_nc_u64 s[0:1], s[0:1], _ZN2at6native25elementwise_kernel_helperILb0ENS0_13AUnaryFunctorIN3c1015Float8_e5m2fnuzES4_bNS0_12_GLOBAL__N_116CompareEqFunctorIS4_EEEENS0_6memory8policies11unroll_baseILi256ESt5arrayIPcLm2EE23TrivialOffsetCalculatorILi1EjESG_NS9_15LoadWithoutCastENS9_16StoreWithoutCastELi16ELi1EEEEEvT0_T1_@rel64+4
	s_delay_alu instid0(SALU_CYCLE_1)
	s_swap_pc_i64 s[30:31], s[0:1]
	s_endpgm
.LBB259_577:
	s_mov_b32 s3, -1
	s_mov_b32 s27, exec_lo
	v_cmpx_eq_u16_e32 0x80, v2
; %bb.578:
	s_xor_b32 s3, exec_lo, -1
; %bb.579:
	s_or_b32 exec_lo, exec_lo, s27
	s_delay_alu instid0(SALU_CYCLE_1)
	s_and_b32 s3, s3, exec_lo
	s_or_saveexec_b32 s26, s26
	v_mov_b32_e32 v3, 0x7f800001
	s_xor_b32 exec_lo, exec_lo, s26
	s_cbranch_execz .LBB259_572
.LBB259_580:
	v_cmp_ne_u16_e32 vcc_lo, 0, v2
	v_mov_b32_e32 v3, 0
	s_and_not1_b32 s3, s3, exec_lo
	s_and_b32 s27, vcc_lo, exec_lo
	s_delay_alu instid0(SALU_CYCLE_1)
	s_or_b32 s3, s3, s27
	s_or_b32 exec_lo, exec_lo, s26
	s_and_saveexec_b32 s26, s3
	s_cbranch_execnz .LBB259_573
	s_branch .LBB259_574
	.section	.rodata,"a",@progbits
	.p2align	6, 0x0
	.amdhsa_kernel _ZN2at6native29vectorized_elementwise_kernelILi2ENS0_13AUnaryFunctorIN3c1015Float8_e5m2fnuzES4_bNS0_12_GLOBAL__N_116CompareEqFunctorIS4_EEEESt5arrayIPcLm2EEEEviT0_T1_
		.amdhsa_group_segment_fixed_size 0
		.amdhsa_private_segment_fixed_size 0
		.amdhsa_kernarg_size 32
		.amdhsa_user_sgpr_count 2
		.amdhsa_user_sgpr_dispatch_ptr 0
		.amdhsa_user_sgpr_queue_ptr 0
		.amdhsa_user_sgpr_kernarg_segment_ptr 1
		.amdhsa_user_sgpr_dispatch_id 0
		.amdhsa_user_sgpr_kernarg_preload_length 0
		.amdhsa_user_sgpr_kernarg_preload_offset 0
		.amdhsa_user_sgpr_private_segment_size 0
		.amdhsa_wavefront_size32 1
		.amdhsa_uses_dynamic_stack 0
		.amdhsa_enable_private_segment 0
		.amdhsa_system_sgpr_workgroup_id_x 1
		.amdhsa_system_sgpr_workgroup_id_y 0
		.amdhsa_system_sgpr_workgroup_id_z 0
		.amdhsa_system_sgpr_workgroup_info 0
		.amdhsa_system_vgpr_workitem_id 0
		.amdhsa_next_free_vgpr 32
		.amdhsa_next_free_sgpr 33
		.amdhsa_named_barrier_count 0
		.amdhsa_reserve_vcc 1
		.amdhsa_float_round_mode_32 0
		.amdhsa_float_round_mode_16_64 0
		.amdhsa_float_denorm_mode_32 3
		.amdhsa_float_denorm_mode_16_64 3
		.amdhsa_fp16_overflow 0
		.amdhsa_memory_ordered 1
		.amdhsa_forward_progress 1
		.amdhsa_inst_pref_size 115
		.amdhsa_round_robin_scheduling 0
		.amdhsa_exception_fp_ieee_invalid_op 0
		.amdhsa_exception_fp_denorm_src 0
		.amdhsa_exception_fp_ieee_div_zero 0
		.amdhsa_exception_fp_ieee_overflow 0
		.amdhsa_exception_fp_ieee_underflow 0
		.amdhsa_exception_fp_ieee_inexact 0
		.amdhsa_exception_int_div_zero 0
	.end_amdhsa_kernel
	.section	.text._ZN2at6native29vectorized_elementwise_kernelILi2ENS0_13AUnaryFunctorIN3c1015Float8_e5m2fnuzES4_bNS0_12_GLOBAL__N_116CompareEqFunctorIS4_EEEESt5arrayIPcLm2EEEEviT0_T1_,"axG",@progbits,_ZN2at6native29vectorized_elementwise_kernelILi2ENS0_13AUnaryFunctorIN3c1015Float8_e5m2fnuzES4_bNS0_12_GLOBAL__N_116CompareEqFunctorIS4_EEEESt5arrayIPcLm2EEEEviT0_T1_,comdat
.Lfunc_end259:
	.size	_ZN2at6native29vectorized_elementwise_kernelILi2ENS0_13AUnaryFunctorIN3c1015Float8_e5m2fnuzES4_bNS0_12_GLOBAL__N_116CompareEqFunctorIS4_EEEESt5arrayIPcLm2EEEEviT0_T1_, .Lfunc_end259-_ZN2at6native29vectorized_elementwise_kernelILi2ENS0_13AUnaryFunctorIN3c1015Float8_e5m2fnuzES4_bNS0_12_GLOBAL__N_116CompareEqFunctorIS4_EEEESt5arrayIPcLm2EEEEviT0_T1_
                                        ; -- End function
	.set _ZN2at6native29vectorized_elementwise_kernelILi2ENS0_13AUnaryFunctorIN3c1015Float8_e5m2fnuzES4_bNS0_12_GLOBAL__N_116CompareEqFunctorIS4_EEEESt5arrayIPcLm2EEEEviT0_T1_.num_vgpr, max(32, .L_ZN2at6native25elementwise_kernel_helperILb0ENS0_13AUnaryFunctorIN3c1015Float8_e5m2fnuzES4_bNS0_12_GLOBAL__N_116CompareEqFunctorIS4_EEEENS0_6memory8policies11unroll_baseILi256ESt5arrayIPcLm2EE23TrivialOffsetCalculatorILi1EjESG_NS9_15LoadWithoutCastENS9_16StoreWithoutCastELi16ELi1EEEEEvT0_T1_.num_vgpr)
	.set _ZN2at6native29vectorized_elementwise_kernelILi2ENS0_13AUnaryFunctorIN3c1015Float8_e5m2fnuzES4_bNS0_12_GLOBAL__N_116CompareEqFunctorIS4_EEEESt5arrayIPcLm2EEEEviT0_T1_.num_agpr, max(0, .L_ZN2at6native25elementwise_kernel_helperILb0ENS0_13AUnaryFunctorIN3c1015Float8_e5m2fnuzES4_bNS0_12_GLOBAL__N_116CompareEqFunctorIS4_EEEENS0_6memory8policies11unroll_baseILi256ESt5arrayIPcLm2EE23TrivialOffsetCalculatorILi1EjESG_NS9_15LoadWithoutCastENS9_16StoreWithoutCastELi16ELi1EEEEEvT0_T1_.num_agpr)
	.set _ZN2at6native29vectorized_elementwise_kernelILi2ENS0_13AUnaryFunctorIN3c1015Float8_e5m2fnuzES4_bNS0_12_GLOBAL__N_116CompareEqFunctorIS4_EEEESt5arrayIPcLm2EEEEviT0_T1_.numbered_sgpr, max(33, .L_ZN2at6native25elementwise_kernel_helperILb0ENS0_13AUnaryFunctorIN3c1015Float8_e5m2fnuzES4_bNS0_12_GLOBAL__N_116CompareEqFunctorIS4_EEEENS0_6memory8policies11unroll_baseILi256ESt5arrayIPcLm2EE23TrivialOffsetCalculatorILi1EjESG_NS9_15LoadWithoutCastENS9_16StoreWithoutCastELi16ELi1EEEEEvT0_T1_.numbered_sgpr)
	.set _ZN2at6native29vectorized_elementwise_kernelILi2ENS0_13AUnaryFunctorIN3c1015Float8_e5m2fnuzES4_bNS0_12_GLOBAL__N_116CompareEqFunctorIS4_EEEESt5arrayIPcLm2EEEEviT0_T1_.num_named_barrier, max(0, .L_ZN2at6native25elementwise_kernel_helperILb0ENS0_13AUnaryFunctorIN3c1015Float8_e5m2fnuzES4_bNS0_12_GLOBAL__N_116CompareEqFunctorIS4_EEEENS0_6memory8policies11unroll_baseILi256ESt5arrayIPcLm2EE23TrivialOffsetCalculatorILi1EjESG_NS9_15LoadWithoutCastENS9_16StoreWithoutCastELi16ELi1EEEEEvT0_T1_.num_named_barrier)
	.set _ZN2at6native29vectorized_elementwise_kernelILi2ENS0_13AUnaryFunctorIN3c1015Float8_e5m2fnuzES4_bNS0_12_GLOBAL__N_116CompareEqFunctorIS4_EEEESt5arrayIPcLm2EEEEviT0_T1_.private_seg_size, 0+max(.L_ZN2at6native25elementwise_kernel_helperILb0ENS0_13AUnaryFunctorIN3c1015Float8_e5m2fnuzES4_bNS0_12_GLOBAL__N_116CompareEqFunctorIS4_EEEENS0_6memory8policies11unroll_baseILi256ESt5arrayIPcLm2EE23TrivialOffsetCalculatorILi1EjESG_NS9_15LoadWithoutCastENS9_16StoreWithoutCastELi16ELi1EEEEEvT0_T1_.private_seg_size)
	.set _ZN2at6native29vectorized_elementwise_kernelILi2ENS0_13AUnaryFunctorIN3c1015Float8_e5m2fnuzES4_bNS0_12_GLOBAL__N_116CompareEqFunctorIS4_EEEESt5arrayIPcLm2EEEEviT0_T1_.uses_vcc, or(1, .L_ZN2at6native25elementwise_kernel_helperILb0ENS0_13AUnaryFunctorIN3c1015Float8_e5m2fnuzES4_bNS0_12_GLOBAL__N_116CompareEqFunctorIS4_EEEENS0_6memory8policies11unroll_baseILi256ESt5arrayIPcLm2EE23TrivialOffsetCalculatorILi1EjESG_NS9_15LoadWithoutCastENS9_16StoreWithoutCastELi16ELi1EEEEEvT0_T1_.uses_vcc)
	.set _ZN2at6native29vectorized_elementwise_kernelILi2ENS0_13AUnaryFunctorIN3c1015Float8_e5m2fnuzES4_bNS0_12_GLOBAL__N_116CompareEqFunctorIS4_EEEESt5arrayIPcLm2EEEEviT0_T1_.uses_flat_scratch, or(0, .L_ZN2at6native25elementwise_kernel_helperILb0ENS0_13AUnaryFunctorIN3c1015Float8_e5m2fnuzES4_bNS0_12_GLOBAL__N_116CompareEqFunctorIS4_EEEENS0_6memory8policies11unroll_baseILi256ESt5arrayIPcLm2EE23TrivialOffsetCalculatorILi1EjESG_NS9_15LoadWithoutCastENS9_16StoreWithoutCastELi16ELi1EEEEEvT0_T1_.uses_flat_scratch)
	.set _ZN2at6native29vectorized_elementwise_kernelILi2ENS0_13AUnaryFunctorIN3c1015Float8_e5m2fnuzES4_bNS0_12_GLOBAL__N_116CompareEqFunctorIS4_EEEESt5arrayIPcLm2EEEEviT0_T1_.has_dyn_sized_stack, or(0, .L_ZN2at6native25elementwise_kernel_helperILb0ENS0_13AUnaryFunctorIN3c1015Float8_e5m2fnuzES4_bNS0_12_GLOBAL__N_116CompareEqFunctorIS4_EEEENS0_6memory8policies11unroll_baseILi256ESt5arrayIPcLm2EE23TrivialOffsetCalculatorILi1EjESG_NS9_15LoadWithoutCastENS9_16StoreWithoutCastELi16ELi1EEEEEvT0_T1_.has_dyn_sized_stack)
	.set _ZN2at6native29vectorized_elementwise_kernelILi2ENS0_13AUnaryFunctorIN3c1015Float8_e5m2fnuzES4_bNS0_12_GLOBAL__N_116CompareEqFunctorIS4_EEEESt5arrayIPcLm2EEEEviT0_T1_.has_recursion, or(0, .L_ZN2at6native25elementwise_kernel_helperILb0ENS0_13AUnaryFunctorIN3c1015Float8_e5m2fnuzES4_bNS0_12_GLOBAL__N_116CompareEqFunctorIS4_EEEENS0_6memory8policies11unroll_baseILi256ESt5arrayIPcLm2EE23TrivialOffsetCalculatorILi1EjESG_NS9_15LoadWithoutCastENS9_16StoreWithoutCastELi16ELi1EEEEEvT0_T1_.has_recursion)
	.set _ZN2at6native29vectorized_elementwise_kernelILi2ENS0_13AUnaryFunctorIN3c1015Float8_e5m2fnuzES4_bNS0_12_GLOBAL__N_116CompareEqFunctorIS4_EEEESt5arrayIPcLm2EEEEviT0_T1_.has_indirect_call, or(0, .L_ZN2at6native25elementwise_kernel_helperILb0ENS0_13AUnaryFunctorIN3c1015Float8_e5m2fnuzES4_bNS0_12_GLOBAL__N_116CompareEqFunctorIS4_EEEENS0_6memory8policies11unroll_baseILi256ESt5arrayIPcLm2EE23TrivialOffsetCalculatorILi1EjESG_NS9_15LoadWithoutCastENS9_16StoreWithoutCastELi16ELi1EEEEEvT0_T1_.has_indirect_call)
	.section	.AMDGPU.csdata,"",@progbits
; Kernel info:
; codeLenInByte = 14632
; TotalNumSgprs: 35
; NumVgprs: 32
; ScratchSize: 0
; MemoryBound: 0
; FloatMode: 240
; IeeeMode: 1
; LDSByteSize: 0 bytes/workgroup (compile time only)
; SGPRBlocks: 0
; VGPRBlocks: 1
; NumSGPRsForWavesPerEU: 35
; NumVGPRsForWavesPerEU: 32
; NamedBarCnt: 0
; Occupancy: 16
; WaveLimiterHint : 1
; COMPUTE_PGM_RSRC2:SCRATCH_EN: 0
; COMPUTE_PGM_RSRC2:USER_SGPR: 2
; COMPUTE_PGM_RSRC2:TRAP_HANDLER: 0
; COMPUTE_PGM_RSRC2:TGID_X_EN: 1
; COMPUTE_PGM_RSRC2:TGID_Y_EN: 0
; COMPUTE_PGM_RSRC2:TGID_Z_EN: 0
; COMPUTE_PGM_RSRC2:TIDIG_COMP_CNT: 0
	.section	.text._ZN2at6native27unrolled_elementwise_kernelINS0_13AUnaryFunctorIN3c1015Float8_e5m2fnuzES4_bNS0_12_GLOBAL__N_116CompareEqFunctorIS4_EEEESt5arrayIPcLm2EELi4E23TrivialOffsetCalculatorILi1EjESD_NS0_6memory15LoadWithoutCastENSE_16StoreWithoutCastEEEviT_T0_T2_T3_T4_T5_,"axG",@progbits,_ZN2at6native27unrolled_elementwise_kernelINS0_13AUnaryFunctorIN3c1015Float8_e5m2fnuzES4_bNS0_12_GLOBAL__N_116CompareEqFunctorIS4_EEEESt5arrayIPcLm2EELi4E23TrivialOffsetCalculatorILi1EjESD_NS0_6memory15LoadWithoutCastENSE_16StoreWithoutCastEEEviT_T0_T2_T3_T4_T5_,comdat
	.globl	_ZN2at6native27unrolled_elementwise_kernelINS0_13AUnaryFunctorIN3c1015Float8_e5m2fnuzES4_bNS0_12_GLOBAL__N_116CompareEqFunctorIS4_EEEESt5arrayIPcLm2EELi4E23TrivialOffsetCalculatorILi1EjESD_NS0_6memory15LoadWithoutCastENSE_16StoreWithoutCastEEEviT_T0_T2_T3_T4_T5_ ; -- Begin function _ZN2at6native27unrolled_elementwise_kernelINS0_13AUnaryFunctorIN3c1015Float8_e5m2fnuzES4_bNS0_12_GLOBAL__N_116CompareEqFunctorIS4_EEEESt5arrayIPcLm2EELi4E23TrivialOffsetCalculatorILi1EjESD_NS0_6memory15LoadWithoutCastENSE_16StoreWithoutCastEEEviT_T0_T2_T3_T4_T5_
	.p2align	8
	.type	_ZN2at6native27unrolled_elementwise_kernelINS0_13AUnaryFunctorIN3c1015Float8_e5m2fnuzES4_bNS0_12_GLOBAL__N_116CompareEqFunctorIS4_EEEESt5arrayIPcLm2EELi4E23TrivialOffsetCalculatorILi1EjESD_NS0_6memory15LoadWithoutCastENSE_16StoreWithoutCastEEEviT_T0_T2_T3_T4_T5_,@function
_ZN2at6native27unrolled_elementwise_kernelINS0_13AUnaryFunctorIN3c1015Float8_e5m2fnuzES4_bNS0_12_GLOBAL__N_116CompareEqFunctorIS4_EEEESt5arrayIPcLm2EELi4E23TrivialOffsetCalculatorILi1EjESD_NS0_6memory15LoadWithoutCastENSE_16StoreWithoutCastEEEviT_T0_T2_T3_T4_T5_: ; @_ZN2at6native27unrolled_elementwise_kernelINS0_13AUnaryFunctorIN3c1015Float8_e5m2fnuzES4_bNS0_12_GLOBAL__N_116CompareEqFunctorIS4_EEEESt5arrayIPcLm2EELi4E23TrivialOffsetCalculatorILi1EjESD_NS0_6memory15LoadWithoutCastENSE_16StoreWithoutCastEEEviT_T0_T2_T3_T4_T5_
; %bb.0:
	s_clause 0x1
	s_load_b96 s[8:10], s[0:1], 0x0
	s_load_b128 s[4:7], s[0:1], 0x10
	s_bfe_u32 s3, ttmp6, 0x4000c
	s_and_b32 s2, ttmp6, 15
	s_add_co_i32 s3, s3, 1
	s_getreg_b32 s11, hwreg(HW_REG_IB_STS2, 6, 4)
	s_wait_xcnt 0x0
	s_mul_i32 s0, ttmp9, s3
	v_dual_mov_b32 v4, 0 :: v_dual_mov_b32 v3, 0
	s_add_co_i32 s2, s2, s0
	s_cmp_eq_u32 s11, 0
	v_dual_mov_b32 v5, 0 :: v_dual_mov_b32 v6, 0
	s_cselect_b32 s0, ttmp9, s2
	v_or_b32_e32 v1, 0x100, v0
	s_lshl_b32 s1, s0, 10
	s_delay_alu instid0(SALU_CYCLE_1) | instskip(SKIP_2) | instid1(SALU_CYCLE_1)
	v_dual_mov_b32 v7, 0 :: v_dual_bitop2_b32 v2, s1, v0 bitop3:0x54
	s_wait_kmcnt 0x0
	s_sub_co_i32 s2, s8, s1
	v_cmp_gt_i32_e64 s0, s2, v0
	s_and_saveexec_b32 s3, s0
	s_cbranch_execz .LBB260_8
; %bb.1:
	global_load_u8 v7, v2, s[6:7]
	v_or_b32_e32 v8, 0x100, v0
	v_dual_mov_b32 v6, 0 :: v_dual_mov_b32 v5, 0
	v_mov_b32_e32 v3, 0
	s_mov_b32 s8, exec_lo
	s_wait_xcnt 0x0
	v_cmpx_gt_u32_e64 s2, v8
	s_cbranch_execz .LBB260_7
; %bb.2:
	v_dual_add_nc_u32 v3, s1, v8 :: v_dual_mov_b32 v5, 0
	v_or_b32_e32 v8, 0x200, v0
	s_mov_b32 s11, exec_lo
	global_load_u8 v6, v3, s[6:7]
	s_wait_xcnt 0x0
	v_mov_b32_e32 v3, 0
	v_cmpx_gt_u32_e64 s2, v8
	s_cbranch_execz .LBB260_6
; %bb.3:
	v_add_nc_u32_e32 v3, s1, v8
	v_or_b32_e32 v8, 0x300, v0
	s_mov_b32 s12, exec_lo
	global_load_u8 v5, v3, s[6:7]
	s_wait_xcnt 0x0
	v_mov_b32_e32 v3, 0
	v_cmpx_gt_u32_e64 s2, v8
	s_cbranch_execz .LBB260_5
; %bb.4:
	v_add_nc_u32_e32 v3, s1, v8
	global_load_u8 v3, v3, s[6:7]
.LBB260_5:
	s_wait_xcnt 0x0
	s_or_b32 exec_lo, exec_lo, s12
.LBB260_6:
	s_delay_alu instid0(SALU_CYCLE_1)
	s_or_b32 exec_lo, exec_lo, s11
.LBB260_7:
	s_delay_alu instid0(SALU_CYCLE_1)
	s_or_b32 exec_lo, exec_lo, s8
.LBB260_8:
	s_delay_alu instid0(SALU_CYCLE_1)
	s_or_b32 exec_lo, exec_lo, s3
	s_cmp_lg_u32 s9, 0
	s_cselect_b32 s6, -1, 0
	s_and_b32 s3, s10, 3
	s_bfe_u32 s9, s10, 0x50002
	s_clz_i32_u32 s7, s3
	s_delay_alu instid0(SALU_CYCLE_1) | instskip(NEXT) | instid1(SALU_CYCLE_1)
	s_min_u32 s7, s7, 32
	s_sub_co_i32 s8, s7, 29
	s_sub_co_i32 s7, 30, s7
	s_lshl_b32 s8, s10, s8
	s_delay_alu instid0(SALU_CYCLE_1)
	s_and_b32 s8, s8, 3
	s_cmp_eq_u32 s9, 0
	s_cselect_b32 s7, s7, s9
	s_cselect_b32 s3, s8, s3
	s_lshl_b32 s8, s10, 24
	s_lshl_b32 s7, s7, 23
	s_and_b32 s8, s8, 0x80000000
	s_add_co_i32 s7, s7, 0x37800000
	s_lshl_b32 s3, s3, 21
	s_or_b32 s7, s8, s7
	s_delay_alu instid0(SALU_CYCLE_1)
	s_or_b32 s3, s7, s3
	s_and_saveexec_b32 s7, s0
	s_cbranch_execz .LBB260_42
; %bb.9:
	s_and_b32 vcc_lo, exec_lo, s6
	s_cbranch_vccz .LBB260_14
; %bb.10:
	s_and_b32 s9, s10, 0xff
	s_delay_alu instid0(SALU_CYCLE_1)
	s_cmp_lt_i32 s9, 0x80
	s_cbranch_scc1 .LBB260_15
; %bb.11:
	s_and_b32 s8, 0xffff, s9
	s_mov_b32 s11, -1
	s_cmp_eq_u32 s8, 0x80
	s_cbranch_scc0 .LBB260_13
; %bb.12:
	s_mov_b32 s11, 0
.LBB260_13:
	s_mov_b32 s8, 0x7f800001
	s_branch .LBB260_17
.LBB260_14:
                                        ; implicit-def: $sgpr8
	s_cbranch_execnz .LBB260_24
	s_branch .LBB260_41
.LBB260_15:
	s_mov_b32 s11, 0
	s_mov_b32 s8, 0x7f800001
	s_cbranch_execz .LBB260_17
; %bb.16:
	s_and_b32 s8, 0xffff, s9
	s_delay_alu instid0(SALU_CYCLE_1)
	s_cmp_lg_u32 s8, 0
	s_mov_b32 s8, 0
	s_cselect_b32 s11, -1, 0
.LBB260_17:
	s_delay_alu instid0(SALU_CYCLE_1)
	s_and_not1_b32 vcc_lo, exec_lo, s11
	s_cbranch_vccnz .LBB260_19
; %bb.18:
	s_mov_b32 s8, s3
.LBB260_19:
	s_wait_loadcnt 0x0
	v_and_b32_e32 v8, 0xff, v7
	s_mov_b32 s9, 0
	s_mov_b32 s11, exec_lo
	s_delay_alu instid0(VALU_DEP_1)
	v_cmpx_lt_i16_e32 0x7f, v8
	s_xor_b32 s11, exec_lo, s11
	s_cbranch_execnz .LBB260_28
; %bb.20:
	s_or_saveexec_b32 s11, s11
	v_mov_b32_e32 v4, 0x7f800001
	s_xor_b32 exec_lo, exec_lo, s11
	s_cbranch_execnz .LBB260_31
.LBB260_21:
	s_or_b32 exec_lo, exec_lo, s11
	s_and_saveexec_b32 s11, s9
	s_cbranch_execz .LBB260_23
.LBB260_22:
	v_and_b32_e32 v4, 3, v7
	v_lshrrev_b16 v9, 2, v7
	v_lshlrev_b32_e32 v11, 24, v7
	s_delay_alu instid0(VALU_DEP_3) | instskip(NEXT) | instid1(VALU_DEP_1)
	v_clz_i32_u32_e32 v8, v4
	v_min_u32_e32 v8, 32, v8
	s_delay_alu instid0(VALU_DEP_4) | instskip(NEXT) | instid1(VALU_DEP_2)
	v_and_b32_e32 v9, 31, v9
	v_subrev_nc_u32_e32 v10, 29, v8
	v_sub_nc_u32_e32 v8, 30, v8
	s_delay_alu instid0(VALU_DEP_3) | instskip(NEXT) | instid1(VALU_DEP_3)
	v_cmp_eq_u32_e32 vcc_lo, 0, v9
	v_lshlrev_b32_e32 v10, v10, v7
	s_delay_alu instid0(VALU_DEP_1) | instskip(SKIP_1) | instid1(VALU_DEP_2)
	v_dual_cndmask_b32 v8, v9, v8, vcc_lo :: v_dual_bitop2_b32 v10, 3, v10 bitop3:0x40
	v_and_b32_e32 v9, 0x80000000, v11
	v_cndmask_b32_e32 v4, v4, v10, vcc_lo
	s_delay_alu instid0(VALU_DEP_3) | instskip(NEXT) | instid1(VALU_DEP_2)
	v_lshl_add_u32 v8, v8, 23, 0x37800000
	v_lshlrev_b32_e32 v4, 21, v4
	s_delay_alu instid0(VALU_DEP_1)
	v_or3_b32 v4, v9, v8, v4
.LBB260_23:
	s_or_b32 exec_lo, exec_lo, s11
	s_delay_alu instid0(VALU_DEP_1)
	v_cmp_neq_f32_e64 s8, s8, v4
	s_branch .LBB260_41
.LBB260_24:
	s_and_b32 s9, s10, 0xff
	s_delay_alu instid0(SALU_CYCLE_1)
	s_cmp_lt_i32 s9, 0x80
	s_cbranch_scc1 .LBB260_32
; %bb.25:
	s_and_b32 s8, 0xffff, s9
	s_mov_b32 s11, -1
	s_cmp_eq_u32 s8, 0x80
	s_cbranch_scc0 .LBB260_27
; %bb.26:
	s_mov_b32 s11, 0
.LBB260_27:
	s_mov_b32 s8, 0x7f800001
	s_branch .LBB260_34
.LBB260_28:
	s_mov_b32 s9, -1
	s_mov_b32 s12, exec_lo
	v_cmpx_eq_u16_e32 0x80, v8
; %bb.29:
	s_xor_b32 s9, exec_lo, -1
; %bb.30:
	s_or_b32 exec_lo, exec_lo, s12
	s_delay_alu instid0(SALU_CYCLE_1)
	s_and_b32 s9, s9, exec_lo
                                        ; implicit-def: $vgpr8
	s_or_saveexec_b32 s11, s11
	v_mov_b32_e32 v4, 0x7f800001
	s_xor_b32 exec_lo, exec_lo, s11
	s_cbranch_execz .LBB260_21
.LBB260_31:
	v_cmp_ne_u16_e32 vcc_lo, 0, v8
	v_mov_b32_e32 v4, 0
	s_and_not1_b32 s9, s9, exec_lo
	s_and_b32 s12, vcc_lo, exec_lo
	s_delay_alu instid0(SALU_CYCLE_1)
	s_or_b32 s9, s9, s12
	s_or_b32 exec_lo, exec_lo, s11
	s_and_saveexec_b32 s11, s9
	s_cbranch_execnz .LBB260_22
	s_branch .LBB260_23
.LBB260_32:
	s_mov_b32 s11, 0
	s_mov_b32 s8, 0x7f800001
	s_cbranch_execz .LBB260_34
; %bb.33:
	s_and_b32 s8, 0xffff, s9
	s_delay_alu instid0(SALU_CYCLE_1)
	s_cmp_lg_u32 s8, 0
	s_mov_b32 s8, 0
	s_cselect_b32 s11, -1, 0
.LBB260_34:
	s_delay_alu instid0(SALU_CYCLE_1)
	s_and_not1_b32 vcc_lo, exec_lo, s11
	s_cbranch_vccnz .LBB260_36
; %bb.35:
	s_mov_b32 s8, s3
.LBB260_36:
	s_wait_loadcnt 0x0
	v_and_b32_e32 v8, 0xff, v7
	s_mov_b32 s9, 0
	s_mov_b32 s11, exec_lo
	s_delay_alu instid0(VALU_DEP_1)
	v_cmpx_lt_i16_e32 0x7f, v8
	s_xor_b32 s11, exec_lo, s11
	s_cbranch_execnz .LBB260_66
; %bb.37:
	s_or_saveexec_b32 s11, s11
	v_mov_b32_e32 v4, 0x7f800001
	s_xor_b32 exec_lo, exec_lo, s11
	s_cbranch_execnz .LBB260_69
.LBB260_38:
	s_or_b32 exec_lo, exec_lo, s11
	s_and_saveexec_b32 s11, s9
	s_cbranch_execz .LBB260_40
.LBB260_39:
	v_and_b32_e32 v4, 3, v7
	v_lshrrev_b16 v9, 2, v7
	s_delay_alu instid0(VALU_DEP_2) | instskip(NEXT) | instid1(VALU_DEP_1)
	v_clz_i32_u32_e32 v8, v4
	v_min_u32_e32 v8, 32, v8
	s_delay_alu instid0(VALU_DEP_3) | instskip(NEXT) | instid1(VALU_DEP_2)
	v_and_b32_e32 v9, 31, v9
	v_subrev_nc_u32_e32 v10, 29, v8
	v_sub_nc_u32_e32 v8, 30, v8
	s_delay_alu instid0(VALU_DEP_3) | instskip(NEXT) | instid1(VALU_DEP_3)
	v_cmp_eq_u32_e32 vcc_lo, 0, v9
	v_dual_lshlrev_b32 v10, v10, v7 :: v_dual_lshlrev_b32 v7, 24, v7
	s_delay_alu instid0(VALU_DEP_1) | instskip(NEXT) | instid1(VALU_DEP_2)
	v_dual_cndmask_b32 v8, v9, v8, vcc_lo :: v_dual_bitop2_b32 v10, 3, v10 bitop3:0x40
	v_and_b32_e32 v7, 0x80000000, v7
	s_delay_alu instid0(VALU_DEP_2) | instskip(NEXT) | instid1(VALU_DEP_3)
	v_cndmask_b32_e32 v4, v4, v10, vcc_lo
	v_lshl_add_u32 v8, v8, 23, 0x37800000
	s_delay_alu instid0(VALU_DEP_2) | instskip(NEXT) | instid1(VALU_DEP_1)
	v_lshlrev_b32_e32 v4, 21, v4
	v_or3_b32 v4, v7, v8, v4
.LBB260_40:
	s_or_b32 exec_lo, exec_lo, s11
	s_delay_alu instid0(VALU_DEP_1)
	v_cmp_eq_f32_e64 s8, s8, v4
.LBB260_41:
	s_delay_alu instid0(VALU_DEP_1)
	v_cndmask_b32_e64 v4, 0, 1, s8
.LBB260_42:
	s_or_b32 exec_lo, exec_lo, s7
	s_wait_loadcnt 0x0
	v_cndmask_b32_e64 v7, 0, 1, s6
	s_mov_b32 s7, exec_lo
	v_cmpx_gt_i32_e64 s2, v1
	s_cbranch_execz .LBB260_80
; %bb.43:
	s_and_not1_b32 vcc_lo, exec_lo, s6
	s_cbranch_vccnz .LBB260_48
; %bb.44:
	s_and_b32 s8, s10, 0xff
	s_delay_alu instid0(SALU_CYCLE_1)
	s_cmp_lt_i32 s8, 0x80
	s_cbranch_scc1 .LBB260_49
; %bb.45:
	s_and_b32 s6, 0xffff, s8
	s_mov_b32 s9, -1
	s_cmp_eq_u32 s6, 0x80
	s_cbranch_scc0 .LBB260_47
; %bb.46:
	s_mov_b32 s9, 0
.LBB260_47:
	s_mov_b32 s6, 0x7f800001
	s_branch .LBB260_51
.LBB260_48:
                                        ; implicit-def: $sgpr6
	s_cbranch_execnz .LBB260_58
	s_branch .LBB260_79
.LBB260_49:
	s_mov_b32 s9, 0
	s_mov_b32 s6, 0x7f800001
	s_cbranch_execz .LBB260_51
; %bb.50:
	s_and_b32 s6, 0xffff, s8
	s_delay_alu instid0(SALU_CYCLE_1)
	s_cmp_lg_u32 s6, 0
	s_mov_b32 s6, 0
	s_cselect_b32 s9, -1, 0
.LBB260_51:
	s_delay_alu instid0(SALU_CYCLE_1)
	s_and_not1_b32 vcc_lo, exec_lo, s9
	s_cbranch_vccnz .LBB260_53
; %bb.52:
	s_mov_b32 s6, s3
.LBB260_53:
	v_and_b32_e32 v9, 0xff, v6
	s_mov_b32 s8, 0
	s_mov_b32 s9, exec_lo
	s_delay_alu instid0(VALU_DEP_1)
	v_cmpx_lt_i16_e32 0x7f, v9
	s_xor_b32 s9, exec_lo, s9
	s_cbranch_execnz .LBB260_62
; %bb.54:
	s_or_saveexec_b32 s9, s9
	v_mov_b32_e32 v8, 0x7f800001
	s_xor_b32 exec_lo, exec_lo, s9
	s_cbranch_execnz .LBB260_65
.LBB260_55:
	s_or_b32 exec_lo, exec_lo, s9
	s_and_saveexec_b32 s9, s8
	s_cbranch_execz .LBB260_57
.LBB260_56:
	v_and_b32_e32 v8, 3, v6
	v_lshrrev_b16 v10, 2, v6
	v_lshlrev_b32_e32 v12, 24, v6
	s_delay_alu instid0(VALU_DEP_3) | instskip(NEXT) | instid1(VALU_DEP_1)
	v_clz_i32_u32_e32 v9, v8
	v_min_u32_e32 v9, 32, v9
	s_delay_alu instid0(VALU_DEP_4) | instskip(NEXT) | instid1(VALU_DEP_2)
	v_and_b32_e32 v10, 31, v10
	v_subrev_nc_u32_e32 v11, 29, v9
	v_sub_nc_u32_e32 v9, 30, v9
	s_delay_alu instid0(VALU_DEP_3) | instskip(NEXT) | instid1(VALU_DEP_3)
	v_cmp_eq_u32_e32 vcc_lo, 0, v10
	v_lshlrev_b32_e32 v11, v11, v6
	s_delay_alu instid0(VALU_DEP_1) | instskip(SKIP_1) | instid1(VALU_DEP_2)
	v_dual_cndmask_b32 v9, v10, v9, vcc_lo :: v_dual_bitop2_b32 v11, 3, v11 bitop3:0x40
	v_and_b32_e32 v10, 0x80000000, v12
	v_cndmask_b32_e32 v8, v8, v11, vcc_lo
	s_delay_alu instid0(VALU_DEP_3) | instskip(NEXT) | instid1(VALU_DEP_2)
	v_lshl_add_u32 v9, v9, 23, 0x37800000
	v_lshlrev_b32_e32 v8, 21, v8
	s_delay_alu instid0(VALU_DEP_1)
	v_or3_b32 v8, v10, v9, v8
.LBB260_57:
	s_or_b32 exec_lo, exec_lo, s9
	s_delay_alu instid0(VALU_DEP_1)
	v_cmp_neq_f32_e64 s6, s6, v8
	s_branch .LBB260_79
.LBB260_58:
	s_and_b32 s8, s10, 0xff
	s_delay_alu instid0(SALU_CYCLE_1)
	s_cmp_lt_i32 s8, 0x80
	s_cbranch_scc1 .LBB260_70
; %bb.59:
	s_and_b32 s6, 0xffff, s8
	s_mov_b32 s9, -1
	s_cmp_eq_u32 s6, 0x80
	s_cbranch_scc0 .LBB260_61
; %bb.60:
	s_mov_b32 s9, 0
.LBB260_61:
	s_mov_b32 s6, 0x7f800001
	s_branch .LBB260_72
.LBB260_62:
	s_mov_b32 s8, -1
	s_mov_b32 s11, exec_lo
	v_cmpx_eq_u16_e32 0x80, v9
; %bb.63:
	s_xor_b32 s8, exec_lo, -1
; %bb.64:
	s_or_b32 exec_lo, exec_lo, s11
	s_delay_alu instid0(SALU_CYCLE_1)
	s_and_b32 s8, s8, exec_lo
                                        ; implicit-def: $vgpr9
	s_or_saveexec_b32 s9, s9
	v_mov_b32_e32 v8, 0x7f800001
	s_xor_b32 exec_lo, exec_lo, s9
	s_cbranch_execz .LBB260_55
.LBB260_65:
	v_cmp_ne_u16_e32 vcc_lo, 0, v9
	v_mov_b32_e32 v8, 0
	s_and_not1_b32 s8, s8, exec_lo
	s_and_b32 s11, vcc_lo, exec_lo
	s_delay_alu instid0(SALU_CYCLE_1)
	s_or_b32 s8, s8, s11
	s_or_b32 exec_lo, exec_lo, s9
	s_and_saveexec_b32 s9, s8
	s_cbranch_execnz .LBB260_56
	s_branch .LBB260_57
.LBB260_66:
	s_mov_b32 s9, -1
	s_mov_b32 s12, exec_lo
	v_cmpx_eq_u16_e32 0x80, v8
; %bb.67:
	s_xor_b32 s9, exec_lo, -1
; %bb.68:
	s_or_b32 exec_lo, exec_lo, s12
	s_delay_alu instid0(SALU_CYCLE_1)
	s_and_b32 s9, s9, exec_lo
                                        ; implicit-def: $vgpr8
	s_or_saveexec_b32 s11, s11
	v_mov_b32_e32 v4, 0x7f800001
	s_xor_b32 exec_lo, exec_lo, s11
	s_cbranch_execz .LBB260_38
.LBB260_69:
	v_cmp_ne_u16_e32 vcc_lo, 0, v8
	v_mov_b32_e32 v4, 0
	s_and_not1_b32 s9, s9, exec_lo
	s_and_b32 s12, vcc_lo, exec_lo
	s_delay_alu instid0(SALU_CYCLE_1)
	s_or_b32 s9, s9, s12
	s_or_b32 exec_lo, exec_lo, s11
	s_and_saveexec_b32 s11, s9
	s_cbranch_execnz .LBB260_39
	s_branch .LBB260_40
.LBB260_70:
	s_mov_b32 s9, 0
	s_mov_b32 s6, 0x7f800001
	s_cbranch_execz .LBB260_72
; %bb.71:
	s_and_b32 s6, 0xffff, s8
	s_delay_alu instid0(SALU_CYCLE_1)
	s_cmp_lg_u32 s6, 0
	s_mov_b32 s6, 0
	s_cselect_b32 s9, -1, 0
.LBB260_72:
	s_delay_alu instid0(SALU_CYCLE_1)
	s_and_not1_b32 vcc_lo, exec_lo, s9
	s_cbranch_vccnz .LBB260_74
; %bb.73:
	s_mov_b32 s6, s3
.LBB260_74:
	v_and_b32_e32 v9, 0xff, v6
	s_mov_b32 s8, 0
	s_mov_b32 s9, exec_lo
	s_delay_alu instid0(VALU_DEP_1)
	v_cmpx_lt_i16_e32 0x7f, v9
	s_xor_b32 s9, exec_lo, s9
	s_cbranch_execnz .LBB260_104
; %bb.75:
	s_or_saveexec_b32 s9, s9
	v_mov_b32_e32 v8, 0x7f800001
	s_xor_b32 exec_lo, exec_lo, s9
	s_cbranch_execnz .LBB260_107
.LBB260_76:
	s_or_b32 exec_lo, exec_lo, s9
	s_and_saveexec_b32 s9, s8
	s_cbranch_execz .LBB260_78
.LBB260_77:
	v_and_b32_e32 v8, 3, v6
	v_lshrrev_b16 v10, 2, v6
	s_delay_alu instid0(VALU_DEP_2) | instskip(NEXT) | instid1(VALU_DEP_1)
	v_clz_i32_u32_e32 v9, v8
	v_min_u32_e32 v9, 32, v9
	s_delay_alu instid0(VALU_DEP_3) | instskip(NEXT) | instid1(VALU_DEP_2)
	v_and_b32_e32 v10, 31, v10
	v_subrev_nc_u32_e32 v11, 29, v9
	v_sub_nc_u32_e32 v9, 30, v9
	s_delay_alu instid0(VALU_DEP_3) | instskip(NEXT) | instid1(VALU_DEP_3)
	v_cmp_eq_u32_e32 vcc_lo, 0, v10
	v_dual_lshlrev_b32 v11, v11, v6 :: v_dual_lshlrev_b32 v6, 24, v6
	s_delay_alu instid0(VALU_DEP_1) | instskip(NEXT) | instid1(VALU_DEP_2)
	v_dual_cndmask_b32 v9, v10, v9, vcc_lo :: v_dual_bitop2_b32 v11, 3, v11 bitop3:0x40
	v_and_b32_e32 v6, 0x80000000, v6
	s_delay_alu instid0(VALU_DEP_2) | instskip(NEXT) | instid1(VALU_DEP_3)
	v_cndmask_b32_e32 v8, v8, v11, vcc_lo
	v_lshl_add_u32 v9, v9, 23, 0x37800000
	s_delay_alu instid0(VALU_DEP_2) | instskip(NEXT) | instid1(VALU_DEP_1)
	v_lshlrev_b32_e32 v8, 21, v8
	v_or3_b32 v8, v6, v9, v8
.LBB260_78:
	s_or_b32 exec_lo, exec_lo, s9
	s_delay_alu instid0(VALU_DEP_1)
	v_cmp_eq_f32_e64 s6, s6, v8
.LBB260_79:
	s_delay_alu instid0(VALU_DEP_1) | instskip(NEXT) | instid1(VALU_DEP_1)
	v_cndmask_b32_e64 v6, 0, 1, s6
	v_lshlrev_b16 v6, 8, v6
	s_delay_alu instid0(VALU_DEP_1) | instskip(NEXT) | instid1(VALU_DEP_1)
	v_or_b32_e32 v4, v4, v6
	v_and_b32_e32 v4, 0xffff, v4
.LBB260_80:
	s_or_b32 exec_lo, exec_lo, s7
	v_or_b32_e32 v6, 0x200, v0
	s_mov_b32 s6, exec_lo
	s_delay_alu instid0(VALU_DEP_1)
	v_cmpx_gt_i32_e64 s2, v6
	s_cbranch_execz .LBB260_118
; %bb.81:
	v_cmp_ne_u32_e32 vcc_lo, 1, v7
	s_cbranch_vccnz .LBB260_86
; %bb.82:
	s_and_b32 s8, s10, 0xff
	s_delay_alu instid0(SALU_CYCLE_1)
	s_cmp_lt_i32 s8, 0x80
	s_cbranch_scc1 .LBB260_87
; %bb.83:
	s_and_b32 s7, 0xffff, s8
	s_mov_b32 s9, -1
	s_cmp_eq_u32 s7, 0x80
	s_cbranch_scc0 .LBB260_85
; %bb.84:
	s_mov_b32 s9, 0
.LBB260_85:
	s_mov_b32 s7, 0x7f800001
	s_branch .LBB260_89
.LBB260_86:
                                        ; implicit-def: $sgpr7
	s_cbranch_execnz .LBB260_96
	s_branch .LBB260_117
.LBB260_87:
	s_mov_b32 s9, 0
	s_mov_b32 s7, 0x7f800001
	s_cbranch_execz .LBB260_89
; %bb.88:
	s_and_b32 s7, 0xffff, s8
	s_delay_alu instid0(SALU_CYCLE_1)
	s_cmp_lg_u32 s7, 0
	s_mov_b32 s7, 0
	s_cselect_b32 s9, -1, 0
.LBB260_89:
	s_delay_alu instid0(SALU_CYCLE_1)
	s_and_not1_b32 vcc_lo, exec_lo, s9
	s_cbranch_vccnz .LBB260_91
; %bb.90:
	s_mov_b32 s7, s3
.LBB260_91:
	v_and_b32_e32 v8, 0xff, v5
	s_mov_b32 s8, 0
	s_mov_b32 s9, exec_lo
	s_delay_alu instid0(VALU_DEP_1)
	v_cmpx_lt_i16_e32 0x7f, v8
	s_xor_b32 s9, exec_lo, s9
	s_cbranch_execnz .LBB260_100
; %bb.92:
	s_or_saveexec_b32 s9, s9
	v_mov_b32_e32 v6, 0x7f800001
	s_xor_b32 exec_lo, exec_lo, s9
	s_cbranch_execnz .LBB260_103
.LBB260_93:
	s_or_b32 exec_lo, exec_lo, s9
	s_and_saveexec_b32 s9, s8
	s_cbranch_execz .LBB260_95
.LBB260_94:
	v_and_b32_e32 v6, 3, v5
	v_lshrrev_b16 v9, 2, v5
	v_lshlrev_b32_e32 v11, 24, v5
	s_delay_alu instid0(VALU_DEP_3) | instskip(NEXT) | instid1(VALU_DEP_1)
	v_clz_i32_u32_e32 v8, v6
	v_min_u32_e32 v8, 32, v8
	s_delay_alu instid0(VALU_DEP_4) | instskip(NEXT) | instid1(VALU_DEP_2)
	v_and_b32_e32 v9, 31, v9
	v_subrev_nc_u32_e32 v10, 29, v8
	v_sub_nc_u32_e32 v8, 30, v8
	s_delay_alu instid0(VALU_DEP_3) | instskip(NEXT) | instid1(VALU_DEP_3)
	v_cmp_eq_u32_e32 vcc_lo, 0, v9
	v_lshlrev_b32_e32 v10, v10, v5
	s_delay_alu instid0(VALU_DEP_1) | instskip(SKIP_1) | instid1(VALU_DEP_2)
	v_dual_cndmask_b32 v8, v9, v8, vcc_lo :: v_dual_bitop2_b32 v10, 3, v10 bitop3:0x40
	v_and_b32_e32 v9, 0x80000000, v11
	v_cndmask_b32_e32 v6, v6, v10, vcc_lo
	s_delay_alu instid0(VALU_DEP_3) | instskip(NEXT) | instid1(VALU_DEP_2)
	v_lshl_add_u32 v8, v8, 23, 0x37800000
	v_lshlrev_b32_e32 v6, 21, v6
	s_delay_alu instid0(VALU_DEP_1)
	v_or3_b32 v6, v9, v8, v6
.LBB260_95:
	s_or_b32 exec_lo, exec_lo, s9
	s_delay_alu instid0(VALU_DEP_1)
	v_cmp_neq_f32_e64 s7, s7, v6
	s_branch .LBB260_117
.LBB260_96:
	s_and_b32 s8, s10, 0xff
	s_delay_alu instid0(SALU_CYCLE_1)
	s_cmp_lt_i32 s8, 0x80
	s_cbranch_scc1 .LBB260_108
; %bb.97:
	s_and_b32 s7, 0xffff, s8
	s_mov_b32 s9, -1
	s_cmp_eq_u32 s7, 0x80
	s_cbranch_scc0 .LBB260_99
; %bb.98:
	s_mov_b32 s9, 0
.LBB260_99:
	s_mov_b32 s7, 0x7f800001
	s_branch .LBB260_110
.LBB260_100:
	s_mov_b32 s8, -1
	s_mov_b32 s11, exec_lo
	v_cmpx_eq_u16_e32 0x80, v8
; %bb.101:
	s_xor_b32 s8, exec_lo, -1
; %bb.102:
	s_or_b32 exec_lo, exec_lo, s11
	s_delay_alu instid0(SALU_CYCLE_1)
	s_and_b32 s8, s8, exec_lo
                                        ; implicit-def: $vgpr8
	s_or_saveexec_b32 s9, s9
	v_mov_b32_e32 v6, 0x7f800001
	s_xor_b32 exec_lo, exec_lo, s9
	s_cbranch_execz .LBB260_93
.LBB260_103:
	v_cmp_ne_u16_e32 vcc_lo, 0, v8
	v_mov_b32_e32 v6, 0
	s_and_not1_b32 s8, s8, exec_lo
	s_and_b32 s11, vcc_lo, exec_lo
	s_delay_alu instid0(SALU_CYCLE_1)
	s_or_b32 s8, s8, s11
	s_or_b32 exec_lo, exec_lo, s9
	s_and_saveexec_b32 s9, s8
	s_cbranch_execnz .LBB260_94
	s_branch .LBB260_95
.LBB260_104:
	s_mov_b32 s8, -1
	s_mov_b32 s11, exec_lo
	v_cmpx_eq_u16_e32 0x80, v9
; %bb.105:
	s_xor_b32 s8, exec_lo, -1
; %bb.106:
	s_or_b32 exec_lo, exec_lo, s11
	s_delay_alu instid0(SALU_CYCLE_1)
	s_and_b32 s8, s8, exec_lo
                                        ; implicit-def: $vgpr9
	s_or_saveexec_b32 s9, s9
	v_mov_b32_e32 v8, 0x7f800001
	s_xor_b32 exec_lo, exec_lo, s9
	s_cbranch_execz .LBB260_76
.LBB260_107:
	v_cmp_ne_u16_e32 vcc_lo, 0, v9
	v_mov_b32_e32 v8, 0
	s_and_not1_b32 s8, s8, exec_lo
	s_and_b32 s11, vcc_lo, exec_lo
	s_delay_alu instid0(SALU_CYCLE_1)
	s_or_b32 s8, s8, s11
	s_or_b32 exec_lo, exec_lo, s9
	s_and_saveexec_b32 s9, s8
	s_cbranch_execnz .LBB260_77
	s_branch .LBB260_78
.LBB260_108:
	s_mov_b32 s9, 0
	s_mov_b32 s7, 0x7f800001
	s_cbranch_execz .LBB260_110
; %bb.109:
	s_and_b32 s7, 0xffff, s8
	s_delay_alu instid0(SALU_CYCLE_1)
	s_cmp_lg_u32 s7, 0
	s_mov_b32 s7, 0
	s_cselect_b32 s9, -1, 0
.LBB260_110:
	s_delay_alu instid0(SALU_CYCLE_1)
	s_and_not1_b32 vcc_lo, exec_lo, s9
	s_cbranch_vccnz .LBB260_112
; %bb.111:
	s_mov_b32 s7, s3
.LBB260_112:
	v_and_b32_e32 v8, 0xff, v5
	s_mov_b32 s8, 0
	s_mov_b32 s9, exec_lo
	s_delay_alu instid0(VALU_DEP_1)
	v_cmpx_lt_i16_e32 0x7f, v8
	s_xor_b32 s9, exec_lo, s9
	s_cbranch_execnz .LBB260_142
; %bb.113:
	s_or_saveexec_b32 s9, s9
	v_mov_b32_e32 v6, 0x7f800001
	s_xor_b32 exec_lo, exec_lo, s9
	s_cbranch_execnz .LBB260_145
.LBB260_114:
	s_or_b32 exec_lo, exec_lo, s9
	s_and_saveexec_b32 s9, s8
	s_cbranch_execz .LBB260_116
.LBB260_115:
	v_and_b32_e32 v6, 3, v5
	v_lshrrev_b16 v9, 2, v5
	s_delay_alu instid0(VALU_DEP_2) | instskip(NEXT) | instid1(VALU_DEP_1)
	v_clz_i32_u32_e32 v8, v6
	v_min_u32_e32 v8, 32, v8
	s_delay_alu instid0(VALU_DEP_3) | instskip(NEXT) | instid1(VALU_DEP_2)
	v_and_b32_e32 v9, 31, v9
	v_subrev_nc_u32_e32 v10, 29, v8
	v_sub_nc_u32_e32 v8, 30, v8
	s_delay_alu instid0(VALU_DEP_3) | instskip(NEXT) | instid1(VALU_DEP_3)
	v_cmp_eq_u32_e32 vcc_lo, 0, v9
	v_dual_lshlrev_b32 v10, v10, v5 :: v_dual_lshlrev_b32 v5, 24, v5
	s_delay_alu instid0(VALU_DEP_1) | instskip(NEXT) | instid1(VALU_DEP_2)
	v_dual_cndmask_b32 v8, v9, v8, vcc_lo :: v_dual_bitop2_b32 v10, 3, v10 bitop3:0x40
	v_and_b32_e32 v5, 0x80000000, v5
	s_delay_alu instid0(VALU_DEP_2) | instskip(NEXT) | instid1(VALU_DEP_3)
	v_cndmask_b32_e32 v6, v6, v10, vcc_lo
	v_lshl_add_u32 v8, v8, 23, 0x37800000
	s_delay_alu instid0(VALU_DEP_2) | instskip(NEXT) | instid1(VALU_DEP_1)
	v_lshlrev_b32_e32 v6, 21, v6
	v_or3_b32 v6, v5, v8, v6
.LBB260_116:
	s_or_b32 exec_lo, exec_lo, s9
	s_delay_alu instid0(VALU_DEP_1)
	v_cmp_eq_f32_e64 s7, s7, v6
.LBB260_117:
	s_delay_alu instid0(VALU_DEP_1) | instskip(NEXT) | instid1(VALU_DEP_1)
	v_cndmask_b32_e64 v5, 0, 1, s7
	v_lshl_or_b32 v4, v5, 16, v4
.LBB260_118:
	s_or_b32 exec_lo, exec_lo, s6
	v_or_b32_e32 v5, 0x300, v0
	s_mov_b32 s6, exec_lo
	s_delay_alu instid0(VALU_DEP_1)
	v_cmpx_gt_i32_e64 s2, v5
	s_cbranch_execz .LBB260_156
; %bb.119:
	v_cmp_ne_u32_e32 vcc_lo, 1, v7
	s_cbranch_vccnz .LBB260_124
; %bb.120:
	s_and_b32 s8, s10, 0xff
	s_delay_alu instid0(SALU_CYCLE_1)
	s_cmp_lt_i32 s8, 0x80
	s_cbranch_scc1 .LBB260_125
; %bb.121:
	s_and_b32 s7, 0xffff, s8
	s_mov_b32 s9, -1
	s_cmp_eq_u32 s7, 0x80
	s_cbranch_scc0 .LBB260_123
; %bb.122:
	s_mov_b32 s9, 0
.LBB260_123:
	s_mov_b32 s7, 0x7f800001
	s_branch .LBB260_127
.LBB260_124:
                                        ; implicit-def: $sgpr7
	s_cbranch_execnz .LBB260_134
	s_branch .LBB260_155
.LBB260_125:
	s_mov_b32 s9, 0
	s_mov_b32 s7, 0x7f800001
	s_cbranch_execz .LBB260_127
; %bb.126:
	s_and_b32 s7, 0xffff, s8
	s_delay_alu instid0(SALU_CYCLE_1)
	s_cmp_lg_u32 s7, 0
	s_mov_b32 s7, 0
	s_cselect_b32 s9, -1, 0
.LBB260_127:
	s_delay_alu instid0(SALU_CYCLE_1)
	s_and_not1_b32 vcc_lo, exec_lo, s9
	s_cbranch_vccnz .LBB260_129
; %bb.128:
	s_mov_b32 s7, s3
.LBB260_129:
	v_and_b32_e32 v6, 0xff, v3
	s_mov_b32 s8, 0
	s_mov_b32 s9, exec_lo
	s_delay_alu instid0(VALU_DEP_1)
	v_cmpx_lt_i16_e32 0x7f, v6
	s_xor_b32 s9, exec_lo, s9
	s_cbranch_execnz .LBB260_138
; %bb.130:
	s_or_saveexec_b32 s9, s9
	v_mov_b32_e32 v5, 0x7f800001
	s_xor_b32 exec_lo, exec_lo, s9
	s_cbranch_execnz .LBB260_141
.LBB260_131:
	s_or_b32 exec_lo, exec_lo, s9
	s_and_saveexec_b32 s9, s8
	s_cbranch_execz .LBB260_133
.LBB260_132:
	v_and_b32_e32 v5, 3, v3
	v_lshrrev_b16 v7, 2, v3
	v_lshlrev_b32_e32 v9, 24, v3
	s_delay_alu instid0(VALU_DEP_3) | instskip(NEXT) | instid1(VALU_DEP_1)
	v_clz_i32_u32_e32 v6, v5
	v_min_u32_e32 v6, 32, v6
	s_delay_alu instid0(VALU_DEP_4) | instskip(NEXT) | instid1(VALU_DEP_2)
	v_and_b32_e32 v7, 31, v7
	v_subrev_nc_u32_e32 v8, 29, v6
	v_sub_nc_u32_e32 v6, 30, v6
	s_delay_alu instid0(VALU_DEP_3) | instskip(NEXT) | instid1(VALU_DEP_3)
	v_cmp_eq_u32_e32 vcc_lo, 0, v7
	v_lshlrev_b32_e32 v8, v8, v3
	s_delay_alu instid0(VALU_DEP_1) | instskip(SKIP_1) | instid1(VALU_DEP_2)
	v_dual_cndmask_b32 v6, v7, v6, vcc_lo :: v_dual_bitop2_b32 v8, 3, v8 bitop3:0x40
	v_and_b32_e32 v7, 0x80000000, v9
	v_cndmask_b32_e32 v5, v5, v8, vcc_lo
	s_delay_alu instid0(VALU_DEP_3) | instskip(NEXT) | instid1(VALU_DEP_2)
	v_lshl_add_u32 v6, v6, 23, 0x37800000
	v_lshlrev_b32_e32 v5, 21, v5
	s_delay_alu instid0(VALU_DEP_1)
	v_or3_b32 v5, v7, v6, v5
.LBB260_133:
	s_or_b32 exec_lo, exec_lo, s9
	s_delay_alu instid0(VALU_DEP_1)
	v_cmp_neq_f32_e64 s7, s7, v5
	s_branch .LBB260_155
.LBB260_134:
	s_and_b32 s8, s10, 0xff
	s_delay_alu instid0(SALU_CYCLE_1)
	s_cmp_lt_i32 s8, 0x80
	s_cbranch_scc1 .LBB260_146
; %bb.135:
	s_and_b32 s7, 0xffff, s8
	s_mov_b32 s9, -1
	s_cmp_eq_u32 s7, 0x80
	s_cbranch_scc0 .LBB260_137
; %bb.136:
	s_mov_b32 s9, 0
.LBB260_137:
	s_mov_b32 s7, 0x7f800001
	s_branch .LBB260_148
.LBB260_138:
	s_mov_b32 s8, -1
	s_mov_b32 s11, exec_lo
	v_cmpx_eq_u16_e32 0x80, v6
; %bb.139:
	s_xor_b32 s8, exec_lo, -1
; %bb.140:
	s_or_b32 exec_lo, exec_lo, s11
	s_delay_alu instid0(SALU_CYCLE_1)
	s_and_b32 s8, s8, exec_lo
                                        ; implicit-def: $vgpr6
	s_or_saveexec_b32 s9, s9
	v_mov_b32_e32 v5, 0x7f800001
	s_xor_b32 exec_lo, exec_lo, s9
	s_cbranch_execz .LBB260_131
.LBB260_141:
	v_cmp_ne_u16_e32 vcc_lo, 0, v6
	v_mov_b32_e32 v5, 0
	s_and_not1_b32 s8, s8, exec_lo
	s_and_b32 s11, vcc_lo, exec_lo
	s_delay_alu instid0(SALU_CYCLE_1)
	s_or_b32 s8, s8, s11
	s_or_b32 exec_lo, exec_lo, s9
	s_and_saveexec_b32 s9, s8
	s_cbranch_execnz .LBB260_132
	s_branch .LBB260_133
.LBB260_142:
	s_mov_b32 s8, -1
	s_mov_b32 s11, exec_lo
	v_cmpx_eq_u16_e32 0x80, v8
; %bb.143:
	s_xor_b32 s8, exec_lo, -1
; %bb.144:
	s_or_b32 exec_lo, exec_lo, s11
	s_delay_alu instid0(SALU_CYCLE_1)
	s_and_b32 s8, s8, exec_lo
                                        ; implicit-def: $vgpr8
	s_or_saveexec_b32 s9, s9
	v_mov_b32_e32 v6, 0x7f800001
	s_xor_b32 exec_lo, exec_lo, s9
	s_cbranch_execz .LBB260_114
.LBB260_145:
	v_cmp_ne_u16_e32 vcc_lo, 0, v8
	v_mov_b32_e32 v6, 0
	s_and_not1_b32 s8, s8, exec_lo
	s_and_b32 s11, vcc_lo, exec_lo
	s_delay_alu instid0(SALU_CYCLE_1)
	s_or_b32 s8, s8, s11
	s_or_b32 exec_lo, exec_lo, s9
	s_and_saveexec_b32 s9, s8
	s_cbranch_execnz .LBB260_115
	s_branch .LBB260_116
.LBB260_146:
	s_mov_b32 s9, 0
	s_mov_b32 s7, 0x7f800001
	s_cbranch_execz .LBB260_148
; %bb.147:
	s_and_b32 s7, 0xffff, s8
	s_delay_alu instid0(SALU_CYCLE_1)
	s_cmp_lg_u32 s7, 0
	s_mov_b32 s7, 0
	s_cselect_b32 s9, -1, 0
.LBB260_148:
	s_delay_alu instid0(SALU_CYCLE_1)
	s_and_not1_b32 vcc_lo, exec_lo, s9
	s_cbranch_vccnz .LBB260_150
; %bb.149:
	s_mov_b32 s7, s3
.LBB260_150:
	v_and_b32_e32 v6, 0xff, v3
	s_mov_b32 s3, 0
	s_mov_b32 s8, exec_lo
	s_delay_alu instid0(VALU_DEP_1)
	v_cmpx_lt_i16_e32 0x7f, v6
	s_xor_b32 s8, exec_lo, s8
	s_cbranch_execnz .LBB260_165
; %bb.151:
	s_or_saveexec_b32 s8, s8
	v_mov_b32_e32 v5, 0x7f800001
	s_xor_b32 exec_lo, exec_lo, s8
	s_cbranch_execnz .LBB260_168
.LBB260_152:
	s_or_b32 exec_lo, exec_lo, s8
	s_and_saveexec_b32 s8, s3
	s_cbranch_execz .LBB260_154
.LBB260_153:
	v_and_b32_e32 v5, 3, v3
	v_lshrrev_b16 v7, 2, v3
	s_delay_alu instid0(VALU_DEP_2) | instskip(NEXT) | instid1(VALU_DEP_1)
	v_clz_i32_u32_e32 v6, v5
	v_min_u32_e32 v6, 32, v6
	s_delay_alu instid0(VALU_DEP_3) | instskip(NEXT) | instid1(VALU_DEP_2)
	v_and_b32_e32 v7, 31, v7
	v_subrev_nc_u32_e32 v8, 29, v6
	v_sub_nc_u32_e32 v6, 30, v6
	s_delay_alu instid0(VALU_DEP_3) | instskip(NEXT) | instid1(VALU_DEP_3)
	v_cmp_eq_u32_e32 vcc_lo, 0, v7
	v_dual_lshlrev_b32 v8, v8, v3 :: v_dual_lshlrev_b32 v3, 24, v3
	s_delay_alu instid0(VALU_DEP_1) | instskip(NEXT) | instid1(VALU_DEP_2)
	v_dual_cndmask_b32 v6, v7, v6, vcc_lo :: v_dual_bitop2_b32 v8, 3, v8 bitop3:0x40
	v_and_b32_e32 v3, 0x80000000, v3
	s_delay_alu instid0(VALU_DEP_2) | instskip(NEXT) | instid1(VALU_DEP_3)
	v_cndmask_b32_e32 v5, v5, v8, vcc_lo
	v_lshl_add_u32 v6, v6, 23, 0x37800000
	s_delay_alu instid0(VALU_DEP_2) | instskip(NEXT) | instid1(VALU_DEP_1)
	v_lshlrev_b32_e32 v5, 21, v5
	v_or3_b32 v5, v3, v6, v5
.LBB260_154:
	s_or_b32 exec_lo, exec_lo, s8
	s_delay_alu instid0(VALU_DEP_1)
	v_cmp_eq_f32_e64 s7, s7, v5
.LBB260_155:
	s_delay_alu instid0(VALU_DEP_1) | instskip(SKIP_1) | instid1(VALU_DEP_2)
	v_cndmask_b32_e64 v3, 0, 1, s7
	v_lshrrev_b32_e32 v5, 16, v4
	v_lshlrev_b16 v3, 8, v3
	s_delay_alu instid0(VALU_DEP_1) | instskip(NEXT) | instid1(VALU_DEP_1)
	v_or_b32_e32 v3, v5, v3
	v_lshlrev_b32_e32 v3, 16, v3
	s_delay_alu instid0(VALU_DEP_1)
	v_and_or_b32 v4, 0xffff, v4, v3
.LBB260_156:
	s_or_b32 exec_lo, exec_lo, s6
	s_and_saveexec_b32 s3, s0
	s_delay_alu instid0(SALU_CYCLE_1)
	s_xor_b32 s0, exec_lo, s3
	s_cbranch_execz .LBB260_158
; %bb.157:
	v_mov_b32_e32 v0, v1
	global_store_b8 v2, v4, s[4:5]
.LBB260_158:
	s_wait_xcnt 0x0
	s_or_b32 exec_lo, exec_lo, s0
	s_delay_alu instid0(SALU_CYCLE_1)
	s_mov_b32 s0, exec_lo
	v_cmpx_gt_i32_e64 s2, v0
	s_cbranch_execnz .LBB260_162
; %bb.159:
	s_or_b32 exec_lo, exec_lo, s0
	s_delay_alu instid0(SALU_CYCLE_1)
	s_mov_b32 s0, exec_lo
	v_cmpx_gt_i32_e64 s2, v0
	s_cbranch_execnz .LBB260_163
.LBB260_160:
	s_or_b32 exec_lo, exec_lo, s0
	s_delay_alu instid0(SALU_CYCLE_1)
	s_mov_b32 s0, exec_lo
	v_cmpx_gt_i32_e64 s2, v0
	s_cbranch_execnz .LBB260_164
.LBB260_161:
	s_endpgm
.LBB260_162:
	v_add_nc_u32_e32 v1, 0x100, v0
	v_add_nc_u32_e32 v2, s1, v0
	s_delay_alu instid0(VALU_DEP_2) | instskip(SKIP_3) | instid1(SALU_CYCLE_1)
	v_dual_mov_b32 v0, v1 :: v_dual_lshrrev_b32 v3, 8, v4
	global_store_b8 v2, v3, s[4:5]
	s_wait_xcnt 0x0
	s_or_b32 exec_lo, exec_lo, s0
	s_mov_b32 s0, exec_lo
	v_cmpx_gt_i32_e64 s2, v0
	s_cbranch_execz .LBB260_160
.LBB260_163:
	v_add_nc_u32_e32 v1, 0x100, v0
	s_delay_alu instid0(VALU_DEP_1) | instskip(SKIP_3) | instid1(SALU_CYCLE_1)
	v_dual_add_nc_u32 v2, s1, v0 :: v_dual_mov_b32 v0, v1
	global_store_d16_hi_b8 v2, v4, s[4:5]
	s_wait_xcnt 0x0
	s_or_b32 exec_lo, exec_lo, s0
	s_mov_b32 s0, exec_lo
	v_cmpx_gt_i32_e64 s2, v0
	s_cbranch_execz .LBB260_161
.LBB260_164:
	v_add_nc_u32_e32 v0, s1, v0
	v_lshrrev_b32_e32 v1, 24, v4
	global_store_b8 v0, v1, s[4:5]
	s_endpgm
.LBB260_165:
	s_mov_b32 s3, -1
	s_mov_b32 s9, exec_lo
	v_cmpx_eq_u16_e32 0x80, v6
; %bb.166:
	s_xor_b32 s3, exec_lo, -1
; %bb.167:
	s_or_b32 exec_lo, exec_lo, s9
	s_delay_alu instid0(SALU_CYCLE_1)
	s_and_b32 s3, s3, exec_lo
                                        ; implicit-def: $vgpr6
	s_or_saveexec_b32 s8, s8
	v_mov_b32_e32 v5, 0x7f800001
	s_xor_b32 exec_lo, exec_lo, s8
	s_cbranch_execz .LBB260_152
.LBB260_168:
	v_cmp_ne_u16_e32 vcc_lo, 0, v6
	v_mov_b32_e32 v5, 0
	s_and_not1_b32 s3, s3, exec_lo
	s_and_b32 s9, vcc_lo, exec_lo
	s_delay_alu instid0(SALU_CYCLE_1)
	s_or_b32 s3, s3, s9
	s_or_b32 exec_lo, exec_lo, s8
	s_and_saveexec_b32 s8, s3
	s_cbranch_execnz .LBB260_153
	s_branch .LBB260_154
	.section	.rodata,"a",@progbits
	.p2align	6, 0x0
	.amdhsa_kernel _ZN2at6native27unrolled_elementwise_kernelINS0_13AUnaryFunctorIN3c1015Float8_e5m2fnuzES4_bNS0_12_GLOBAL__N_116CompareEqFunctorIS4_EEEESt5arrayIPcLm2EELi4E23TrivialOffsetCalculatorILi1EjESD_NS0_6memory15LoadWithoutCastENSE_16StoreWithoutCastEEEviT_T0_T2_T3_T4_T5_
		.amdhsa_group_segment_fixed_size 0
		.amdhsa_private_segment_fixed_size 0
		.amdhsa_kernarg_size 36
		.amdhsa_user_sgpr_count 2
		.amdhsa_user_sgpr_dispatch_ptr 0
		.amdhsa_user_sgpr_queue_ptr 0
		.amdhsa_user_sgpr_kernarg_segment_ptr 1
		.amdhsa_user_sgpr_dispatch_id 0
		.amdhsa_user_sgpr_kernarg_preload_length 0
		.amdhsa_user_sgpr_kernarg_preload_offset 0
		.amdhsa_user_sgpr_private_segment_size 0
		.amdhsa_wavefront_size32 1
		.amdhsa_uses_dynamic_stack 0
		.amdhsa_enable_private_segment 0
		.amdhsa_system_sgpr_workgroup_id_x 1
		.amdhsa_system_sgpr_workgroup_id_y 0
		.amdhsa_system_sgpr_workgroup_id_z 0
		.amdhsa_system_sgpr_workgroup_info 0
		.amdhsa_system_vgpr_workitem_id 0
		.amdhsa_next_free_vgpr 13
		.amdhsa_next_free_sgpr 13
		.amdhsa_named_barrier_count 0
		.amdhsa_reserve_vcc 1
		.amdhsa_float_round_mode_32 0
		.amdhsa_float_round_mode_16_64 0
		.amdhsa_float_denorm_mode_32 3
		.amdhsa_float_denorm_mode_16_64 3
		.amdhsa_fp16_overflow 0
		.amdhsa_memory_ordered 1
		.amdhsa_forward_progress 1
		.amdhsa_inst_pref_size 34
		.amdhsa_round_robin_scheduling 0
		.amdhsa_exception_fp_ieee_invalid_op 0
		.amdhsa_exception_fp_denorm_src 0
		.amdhsa_exception_fp_ieee_div_zero 0
		.amdhsa_exception_fp_ieee_overflow 0
		.amdhsa_exception_fp_ieee_underflow 0
		.amdhsa_exception_fp_ieee_inexact 0
		.amdhsa_exception_int_div_zero 0
	.end_amdhsa_kernel
	.section	.text._ZN2at6native27unrolled_elementwise_kernelINS0_13AUnaryFunctorIN3c1015Float8_e5m2fnuzES4_bNS0_12_GLOBAL__N_116CompareEqFunctorIS4_EEEESt5arrayIPcLm2EELi4E23TrivialOffsetCalculatorILi1EjESD_NS0_6memory15LoadWithoutCastENSE_16StoreWithoutCastEEEviT_T0_T2_T3_T4_T5_,"axG",@progbits,_ZN2at6native27unrolled_elementwise_kernelINS0_13AUnaryFunctorIN3c1015Float8_e5m2fnuzES4_bNS0_12_GLOBAL__N_116CompareEqFunctorIS4_EEEESt5arrayIPcLm2EELi4E23TrivialOffsetCalculatorILi1EjESD_NS0_6memory15LoadWithoutCastENSE_16StoreWithoutCastEEEviT_T0_T2_T3_T4_T5_,comdat
.Lfunc_end260:
	.size	_ZN2at6native27unrolled_elementwise_kernelINS0_13AUnaryFunctorIN3c1015Float8_e5m2fnuzES4_bNS0_12_GLOBAL__N_116CompareEqFunctorIS4_EEEESt5arrayIPcLm2EELi4E23TrivialOffsetCalculatorILi1EjESD_NS0_6memory15LoadWithoutCastENSE_16StoreWithoutCastEEEviT_T0_T2_T3_T4_T5_, .Lfunc_end260-_ZN2at6native27unrolled_elementwise_kernelINS0_13AUnaryFunctorIN3c1015Float8_e5m2fnuzES4_bNS0_12_GLOBAL__N_116CompareEqFunctorIS4_EEEESt5arrayIPcLm2EELi4E23TrivialOffsetCalculatorILi1EjESD_NS0_6memory15LoadWithoutCastENSE_16StoreWithoutCastEEEviT_T0_T2_T3_T4_T5_
                                        ; -- End function
	.set _ZN2at6native27unrolled_elementwise_kernelINS0_13AUnaryFunctorIN3c1015Float8_e5m2fnuzES4_bNS0_12_GLOBAL__N_116CompareEqFunctorIS4_EEEESt5arrayIPcLm2EELi4E23TrivialOffsetCalculatorILi1EjESD_NS0_6memory15LoadWithoutCastENSE_16StoreWithoutCastEEEviT_T0_T2_T3_T4_T5_.num_vgpr, 13
	.set _ZN2at6native27unrolled_elementwise_kernelINS0_13AUnaryFunctorIN3c1015Float8_e5m2fnuzES4_bNS0_12_GLOBAL__N_116CompareEqFunctorIS4_EEEESt5arrayIPcLm2EELi4E23TrivialOffsetCalculatorILi1EjESD_NS0_6memory15LoadWithoutCastENSE_16StoreWithoutCastEEEviT_T0_T2_T3_T4_T5_.num_agpr, 0
	.set _ZN2at6native27unrolled_elementwise_kernelINS0_13AUnaryFunctorIN3c1015Float8_e5m2fnuzES4_bNS0_12_GLOBAL__N_116CompareEqFunctorIS4_EEEESt5arrayIPcLm2EELi4E23TrivialOffsetCalculatorILi1EjESD_NS0_6memory15LoadWithoutCastENSE_16StoreWithoutCastEEEviT_T0_T2_T3_T4_T5_.numbered_sgpr, 13
	.set _ZN2at6native27unrolled_elementwise_kernelINS0_13AUnaryFunctorIN3c1015Float8_e5m2fnuzES4_bNS0_12_GLOBAL__N_116CompareEqFunctorIS4_EEEESt5arrayIPcLm2EELi4E23TrivialOffsetCalculatorILi1EjESD_NS0_6memory15LoadWithoutCastENSE_16StoreWithoutCastEEEviT_T0_T2_T3_T4_T5_.num_named_barrier, 0
	.set _ZN2at6native27unrolled_elementwise_kernelINS0_13AUnaryFunctorIN3c1015Float8_e5m2fnuzES4_bNS0_12_GLOBAL__N_116CompareEqFunctorIS4_EEEESt5arrayIPcLm2EELi4E23TrivialOffsetCalculatorILi1EjESD_NS0_6memory15LoadWithoutCastENSE_16StoreWithoutCastEEEviT_T0_T2_T3_T4_T5_.private_seg_size, 0
	.set _ZN2at6native27unrolled_elementwise_kernelINS0_13AUnaryFunctorIN3c1015Float8_e5m2fnuzES4_bNS0_12_GLOBAL__N_116CompareEqFunctorIS4_EEEESt5arrayIPcLm2EELi4E23TrivialOffsetCalculatorILi1EjESD_NS0_6memory15LoadWithoutCastENSE_16StoreWithoutCastEEEviT_T0_T2_T3_T4_T5_.uses_vcc, 1
	.set _ZN2at6native27unrolled_elementwise_kernelINS0_13AUnaryFunctorIN3c1015Float8_e5m2fnuzES4_bNS0_12_GLOBAL__N_116CompareEqFunctorIS4_EEEESt5arrayIPcLm2EELi4E23TrivialOffsetCalculatorILi1EjESD_NS0_6memory15LoadWithoutCastENSE_16StoreWithoutCastEEEviT_T0_T2_T3_T4_T5_.uses_flat_scratch, 0
	.set _ZN2at6native27unrolled_elementwise_kernelINS0_13AUnaryFunctorIN3c1015Float8_e5m2fnuzES4_bNS0_12_GLOBAL__N_116CompareEqFunctorIS4_EEEESt5arrayIPcLm2EELi4E23TrivialOffsetCalculatorILi1EjESD_NS0_6memory15LoadWithoutCastENSE_16StoreWithoutCastEEEviT_T0_T2_T3_T4_T5_.has_dyn_sized_stack, 0
	.set _ZN2at6native27unrolled_elementwise_kernelINS0_13AUnaryFunctorIN3c1015Float8_e5m2fnuzES4_bNS0_12_GLOBAL__N_116CompareEqFunctorIS4_EEEESt5arrayIPcLm2EELi4E23TrivialOffsetCalculatorILi1EjESD_NS0_6memory15LoadWithoutCastENSE_16StoreWithoutCastEEEviT_T0_T2_T3_T4_T5_.has_recursion, 0
	.set _ZN2at6native27unrolled_elementwise_kernelINS0_13AUnaryFunctorIN3c1015Float8_e5m2fnuzES4_bNS0_12_GLOBAL__N_116CompareEqFunctorIS4_EEEESt5arrayIPcLm2EELi4E23TrivialOffsetCalculatorILi1EjESD_NS0_6memory15LoadWithoutCastENSE_16StoreWithoutCastEEEviT_T0_T2_T3_T4_T5_.has_indirect_call, 0
	.section	.AMDGPU.csdata,"",@progbits
; Kernel info:
; codeLenInByte = 4320
; TotalNumSgprs: 15
; NumVgprs: 13
; ScratchSize: 0
; MemoryBound: 0
; FloatMode: 240
; IeeeMode: 1
; LDSByteSize: 0 bytes/workgroup (compile time only)
; SGPRBlocks: 0
; VGPRBlocks: 0
; NumSGPRsForWavesPerEU: 15
; NumVGPRsForWavesPerEU: 13
; NamedBarCnt: 0
; Occupancy: 16
; WaveLimiterHint : 0
; COMPUTE_PGM_RSRC2:SCRATCH_EN: 0
; COMPUTE_PGM_RSRC2:USER_SGPR: 2
; COMPUTE_PGM_RSRC2:TRAP_HANDLER: 0
; COMPUTE_PGM_RSRC2:TGID_X_EN: 1
; COMPUTE_PGM_RSRC2:TGID_Y_EN: 0
; COMPUTE_PGM_RSRC2:TGID_Z_EN: 0
; COMPUTE_PGM_RSRC2:TIDIG_COMP_CNT: 0
	.section	.text._ZN2at6native32elementwise_kernel_manual_unrollILi128ELi8EZNS0_22gpu_kernel_impl_nocastINS0_13AUnaryFunctorIN3c1015Float8_e5m2fnuzES5_bNS0_12_GLOBAL__N_116CompareEqFunctorIS5_EEEEEEvRNS_18TensorIteratorBaseERKT_EUlibE_EEviT1_,"axG",@progbits,_ZN2at6native32elementwise_kernel_manual_unrollILi128ELi8EZNS0_22gpu_kernel_impl_nocastINS0_13AUnaryFunctorIN3c1015Float8_e5m2fnuzES5_bNS0_12_GLOBAL__N_116CompareEqFunctorIS5_EEEEEEvRNS_18TensorIteratorBaseERKT_EUlibE_EEviT1_,comdat
	.globl	_ZN2at6native32elementwise_kernel_manual_unrollILi128ELi8EZNS0_22gpu_kernel_impl_nocastINS0_13AUnaryFunctorIN3c1015Float8_e5m2fnuzES5_bNS0_12_GLOBAL__N_116CompareEqFunctorIS5_EEEEEEvRNS_18TensorIteratorBaseERKT_EUlibE_EEviT1_ ; -- Begin function _ZN2at6native32elementwise_kernel_manual_unrollILi128ELi8EZNS0_22gpu_kernel_impl_nocastINS0_13AUnaryFunctorIN3c1015Float8_e5m2fnuzES5_bNS0_12_GLOBAL__N_116CompareEqFunctorIS5_EEEEEEvRNS_18TensorIteratorBaseERKT_EUlibE_EEviT1_
	.p2align	8
	.type	_ZN2at6native32elementwise_kernel_manual_unrollILi128ELi8EZNS0_22gpu_kernel_impl_nocastINS0_13AUnaryFunctorIN3c1015Float8_e5m2fnuzES5_bNS0_12_GLOBAL__N_116CompareEqFunctorIS5_EEEEEEvRNS_18TensorIteratorBaseERKT_EUlibE_EEviT1_,@function
_ZN2at6native32elementwise_kernel_manual_unrollILi128ELi8EZNS0_22gpu_kernel_impl_nocastINS0_13AUnaryFunctorIN3c1015Float8_e5m2fnuzES5_bNS0_12_GLOBAL__N_116CompareEqFunctorIS5_EEEEEEvRNS_18TensorIteratorBaseERKT_EUlibE_EEviT1_: ; @_ZN2at6native32elementwise_kernel_manual_unrollILi128ELi8EZNS0_22gpu_kernel_impl_nocastINS0_13AUnaryFunctorIN3c1015Float8_e5m2fnuzES5_bNS0_12_GLOBAL__N_116CompareEqFunctorIS5_EEEEEEvRNS_18TensorIteratorBaseERKT_EUlibE_EEviT1_
; %bb.0:
	s_clause 0x1
	s_load_b32 s30, s[0:1], 0x8
	s_load_b32 s36, s[0:1], 0x0
	s_bfe_u32 s2, ttmp6, 0x4000c
	s_and_b32 s3, ttmp6, 15
	s_add_co_i32 s2, s2, 1
	s_getreg_b32 s4, hwreg(HW_REG_IB_STS2, 6, 4)
	s_mul_i32 s2, ttmp9, s2
	s_add_nc_u64 s[12:13], s[0:1], 8
	s_add_co_i32 s3, s3, s2
	s_cmp_eq_u32 s4, 0
	s_mov_b32 s17, 0
	s_cselect_b32 s2, ttmp9, s3
	s_wait_xcnt 0x0
	s_mov_b32 s0, exec_lo
	v_lshl_or_b32 v0, s2, 10, v0
	s_delay_alu instid0(VALU_DEP_1) | instskip(SKIP_2) | instid1(SALU_CYCLE_1)
	v_or_b32_e32 v16, 0x380, v0
	s_wait_kmcnt 0x0
	s_add_co_i32 s31, s30, -1
	s_cmp_gt_u32 s31, 1
	s_cselect_b32 s33, -1, 0
	v_cmpx_le_i32_e64 s36, v16
	s_xor_b32 s34, exec_lo, s0
	s_cbranch_execz .LBB261_414
; %bb.1:
	s_clause 0x1
	s_load_b64 s[14:15], s[12:13], 0x158
	s_load_b128 s[4:7], s[12:13], 0x4
	s_cmp_lg_u32 s30, 0
	s_load_b64 s[18:19], s[12:13], 0x14
	s_cselect_b32 s38, -1, 0
	s_min_u32 s37, s31, 15
	s_cmp_gt_u32 s30, 1
	s_clause 0x1
	s_load_b128 s[8:11], s[12:13], 0xc4
	s_load_b128 s[0:3], s[12:13], 0x148
	s_cselect_b32 s35, -1, 0
	s_add_nc_u64 s[22:23], s[12:13], 0xc4
	s_wait_kmcnt 0x0
	s_cmp_lg_u32 s14, 0
	s_cselect_b32 s14, -1, 0
	s_and_b32 s21, s15, 3
	s_bfe_u32 s24, s15, 0x50002
	s_clz_i32_u32 s16, s21
	s_delay_alu instid0(SALU_CYCLE_1)
	s_min_u32 s20, s16, 32
	s_mov_b32 s16, s5
	s_sub_co_i32 s5, s20, 29
	s_sub_co_i32 s25, 30, s20
	s_lshl_b32 s5, s15, s5
	s_mov_b32 s20, s18
	s_and_b32 s5, s5, 3
	s_cmp_eq_u32 s24, 0
	s_cselect_b32 s18, s25, s24
	s_cselect_b32 s5, s5, s21
	s_lshl_b32 s21, s15, 24
	s_lshl_b32 s18, s18, 23
	s_and_b32 s21, s21, 0x80000000
	s_add_co_i32 s18, s18, 0x37800000
	s_lshl_b32 s5, s5, 21
	s_or_b32 s18, s21, s18
	s_mov_b32 s21, s17
	s_or_b32 s5, s18, s5
	s_mov_b32 s18, exec_lo
	v_cmpx_gt_i32_e64 s36, v0
	s_cbranch_execnz .LBB261_9
; %bb.2:
	s_or_b32 exec_lo, exec_lo, s18
	s_delay_alu instid0(SALU_CYCLE_1)
	s_mov_b32 s18, exec_lo
	v_cmpx_gt_i32_e64 s36, v0
	s_cbranch_execnz .LBB261_56
.LBB261_3:
	s_or_b32 exec_lo, exec_lo, s18
	s_delay_alu instid0(SALU_CYCLE_1)
	s_mov_b32 s18, exec_lo
	v_cmpx_gt_i32_e64 s36, v0
	s_cbranch_execnz .LBB261_107
.LBB261_4:
	s_or_b32 exec_lo, exec_lo, s18
	s_delay_alu instid0(SALU_CYCLE_1)
	s_mov_b32 s18, exec_lo
	v_cmpx_gt_i32_e64 s36, v0
	s_cbranch_execnz .LBB261_158
.LBB261_5:
	s_or_b32 exec_lo, exec_lo, s18
	s_delay_alu instid0(SALU_CYCLE_1)
	s_mov_b32 s18, exec_lo
	v_cmpx_gt_i32_e64 s36, v0
	s_cbranch_execnz .LBB261_209
.LBB261_6:
	s_or_b32 exec_lo, exec_lo, s18
	s_delay_alu instid0(SALU_CYCLE_1)
	s_mov_b32 s18, exec_lo
	v_cmpx_gt_i32_e64 s36, v0
	s_cbranch_execnz .LBB261_260
.LBB261_7:
	s_or_b32 exec_lo, exec_lo, s18
	s_delay_alu instid0(SALU_CYCLE_1)
	s_mov_b32 s18, exec_lo
	v_cmpx_gt_i32_e64 s36, v0
	s_cbranch_execnz .LBB261_311
.LBB261_8:
	s_or_b32 exec_lo, exec_lo, s18
	s_delay_alu instid0(SALU_CYCLE_1)
	s_mov_b32 s18, exec_lo
	v_cmpx_gt_i32_e64 s36, v0
	s_cbranch_execnz .LBB261_362
	s_branch .LBB261_413
.LBB261_9:
	s_and_not1_b32 vcc_lo, exec_lo, s33
	s_cbranch_vccnz .LBB261_14
; %bb.10:
	s_and_not1_b32 vcc_lo, exec_lo, s38
	s_cbranch_vccnz .LBB261_15
; %bb.11:
	s_add_co_i32 s25, s37, 1
	s_cmp_eq_u32 s31, 2
	s_cbranch_scc1 .LBB261_16
; %bb.12:
	v_dual_mov_b32 v2, 0 :: v_dual_mov_b32 v3, 0
	v_mov_b32_e32 v1, v0
	s_and_b32 s24, s25, 28
	s_mov_b32 s39, 0
	s_mov_b64 s[26:27], s[12:13]
	s_mov_b64 s[28:29], s[22:23]
.LBB261_13:                             ; =>This Inner Loop Header: Depth=1
	s_clause 0x1
	s_load_b256 s[40:47], s[26:27], 0x4
	s_load_b128 s[56:59], s[26:27], 0x24
	s_load_b256 s[48:55], s[28:29], 0x0
	s_add_co_i32 s39, s39, 4
	s_wait_xcnt 0x0
	s_add_nc_u64 s[26:27], s[26:27], 48
	s_cmp_lg_u32 s24, s39
	s_add_nc_u64 s[28:29], s[28:29], 32
	s_wait_kmcnt 0x0
	v_mul_hi_u32 v4, s41, v1
	s_delay_alu instid0(VALU_DEP_1) | instskip(NEXT) | instid1(VALU_DEP_1)
	v_add_nc_u32_e32 v4, v1, v4
	v_lshrrev_b32_e32 v4, s42, v4
	s_delay_alu instid0(VALU_DEP_1) | instskip(NEXT) | instid1(VALU_DEP_1)
	v_mul_hi_u32 v5, s44, v4
	v_add_nc_u32_e32 v5, v4, v5
	s_delay_alu instid0(VALU_DEP_1) | instskip(NEXT) | instid1(VALU_DEP_1)
	v_lshrrev_b32_e32 v5, s45, v5
	v_mul_hi_u32 v6, s47, v5
	s_delay_alu instid0(VALU_DEP_1) | instskip(SKIP_1) | instid1(VALU_DEP_1)
	v_add_nc_u32_e32 v6, v5, v6
	v_mul_lo_u32 v7, v4, s40
	v_sub_nc_u32_e32 v1, v1, v7
	v_mul_lo_u32 v7, v5, s43
	s_delay_alu instid0(VALU_DEP_4) | instskip(NEXT) | instid1(VALU_DEP_3)
	v_lshrrev_b32_e32 v6, s56, v6
	v_mad_u32 v3, v1, s49, v3
	v_mad_u32 v1, v1, s48, v2
	s_delay_alu instid0(VALU_DEP_4) | instskip(NEXT) | instid1(VALU_DEP_4)
	v_sub_nc_u32_e32 v2, v4, v7
	v_mul_hi_u32 v8, s58, v6
	v_mul_lo_u32 v4, v6, s46
	s_delay_alu instid0(VALU_DEP_3) | instskip(SKIP_1) | instid1(VALU_DEP_4)
	v_mad_u32 v3, v2, s51, v3
	v_mad_u32 v2, v2, s50, v1
	v_add_nc_u32_e32 v7, v6, v8
	s_delay_alu instid0(VALU_DEP_1) | instskip(NEXT) | instid1(VALU_DEP_1)
	v_dual_sub_nc_u32 v4, v5, v4 :: v_dual_lshrrev_b32 v1, s59, v7
	v_mad_u32 v3, v4, s53, v3
	s_delay_alu instid0(VALU_DEP_4) | instskip(NEXT) | instid1(VALU_DEP_3)
	v_mad_u32 v2, v4, s52, v2
	v_mul_lo_u32 v5, v1, s57
	s_delay_alu instid0(VALU_DEP_1) | instskip(NEXT) | instid1(VALU_DEP_1)
	v_sub_nc_u32_e32 v4, v6, v5
	v_mad_u32 v3, v4, s55, v3
	s_delay_alu instid0(VALU_DEP_4)
	v_mad_u32 v2, v4, s54, v2
	s_cbranch_scc1 .LBB261_13
	s_branch .LBB261_17
.LBB261_14:
                                        ; implicit-def: $vgpr3
	s_branch .LBB261_21
.LBB261_15:
	v_dual_mov_b32 v3, 0 :: v_dual_mov_b32 v2, 0
	s_branch .LBB261_20
.LBB261_16:
	v_mov_b64_e32 v[2:3], 0
	v_mov_b32_e32 v1, v0
	s_mov_b32 s24, 0
.LBB261_17:
	s_and_b32 s28, s25, 3
	s_mov_b32 s25, 0
	s_cmp_eq_u32 s28, 0
	s_cbranch_scc1 .LBB261_20
; %bb.18:
	s_lshl_b32 s26, s24, 3
	s_mov_b32 s27, s25
	s_mul_u64 s[40:41], s[24:25], 12
	s_add_nc_u64 s[26:27], s[12:13], s[26:27]
	s_delay_alu instid0(SALU_CYCLE_1)
	s_add_nc_u64 s[24:25], s[26:27], 0xc4
	s_add_nc_u64 s[26:27], s[12:13], s[40:41]
.LBB261_19:                             ; =>This Inner Loop Header: Depth=1
	s_load_b96 s[40:42], s[26:27], 0x4
	s_add_co_i32 s28, s28, -1
	s_wait_xcnt 0x0
	s_add_nc_u64 s[26:27], s[26:27], 12
	s_cmp_lg_u32 s28, 0
	s_wait_kmcnt 0x0
	v_mul_hi_u32 v4, s41, v1
	s_delay_alu instid0(VALU_DEP_1) | instskip(NEXT) | instid1(VALU_DEP_1)
	v_add_nc_u32_e32 v4, v1, v4
	v_lshrrev_b32_e32 v4, s42, v4
	s_load_b64 s[42:43], s[24:25], 0x0
	s_wait_xcnt 0x0
	s_add_nc_u64 s[24:25], s[24:25], 8
	s_delay_alu instid0(VALU_DEP_1) | instskip(NEXT) | instid1(VALU_DEP_1)
	v_mul_lo_u32 v5, v4, s40
	v_sub_nc_u32_e32 v1, v1, v5
	s_wait_kmcnt 0x0
	s_delay_alu instid0(VALU_DEP_1)
	v_mad_u32 v3, v1, s43, v3
	v_mad_u32 v2, v1, s42, v2
	v_mov_b32_e32 v1, v4
	s_cbranch_scc1 .LBB261_19
.LBB261_20:
	s_cbranch_execnz .LBB261_23
.LBB261_21:
	v_mov_b32_e32 v1, 0
	s_and_not1_b32 vcc_lo, exec_lo, s35
	s_delay_alu instid0(VALU_DEP_1) | instskip(NEXT) | instid1(VALU_DEP_1)
	v_mul_u64_e32 v[2:3], s[16:17], v[0:1]
	v_add_nc_u32_e32 v2, v0, v3
	s_delay_alu instid0(VALU_DEP_1) | instskip(NEXT) | instid1(VALU_DEP_1)
	v_lshrrev_b32_e32 v4, s6, v2
	v_mul_lo_u32 v2, v4, s4
	s_delay_alu instid0(VALU_DEP_1) | instskip(NEXT) | instid1(VALU_DEP_1)
	v_sub_nc_u32_e32 v2, v0, v2
	v_mul_lo_u32 v3, v2, s9
	v_mul_lo_u32 v2, v2, s8
	s_cbranch_vccnz .LBB261_23
; %bb.22:
	v_mov_b32_e32 v5, v1
	s_delay_alu instid0(VALU_DEP_1) | instskip(NEXT) | instid1(VALU_DEP_1)
	v_mul_u64_e32 v[6:7], s[20:21], v[4:5]
	v_add_nc_u32_e32 v1, v4, v7
	s_delay_alu instid0(VALU_DEP_1) | instskip(NEXT) | instid1(VALU_DEP_1)
	v_lshrrev_b32_e32 v1, s19, v1
	v_mul_lo_u32 v1, v1, s7
	s_delay_alu instid0(VALU_DEP_1) | instskip(NEXT) | instid1(VALU_DEP_1)
	v_sub_nc_u32_e32 v1, v4, v1
	v_mad_u32 v2, v1, s10, v2
	v_mad_u32 v3, v1, s11, v3
.LBB261_23:
	global_load_u8 v1, v3, s[2:3]
	s_and_b32 vcc_lo, exec_lo, s14
	s_cbranch_vccz .LBB261_28
; %bb.24:
	s_and_b32 s25, s15, 0xff
	s_delay_alu instid0(SALU_CYCLE_1)
	s_cmp_lt_i32 s25, 0x80
	s_cbranch_scc1 .LBB261_29
; %bb.25:
	s_and_b32 s24, 0xffff, s25
	s_mov_b32 s26, -1
	s_cmp_eq_u32 s24, 0x80
	s_cbranch_scc0 .LBB261_27
; %bb.26:
	s_mov_b32 s26, 0
.LBB261_27:
	s_mov_b32 s24, 0x7f800001
	s_branch .LBB261_31
.LBB261_28:
                                        ; implicit-def: $sgpr24
	s_cbranch_execnz .LBB261_38
	s_branch .LBB261_55
.LBB261_29:
	s_mov_b32 s26, 0
	s_mov_b32 s24, 0x7f800001
	s_cbranch_execz .LBB261_31
; %bb.30:
	s_and_b32 s24, 0xffff, s25
	s_delay_alu instid0(SALU_CYCLE_1)
	s_cmp_lg_u32 s24, 0
	s_mov_b32 s24, 0
	s_cselect_b32 s26, -1, 0
.LBB261_31:
	s_delay_alu instid0(SALU_CYCLE_1)
	s_and_not1_b32 vcc_lo, exec_lo, s26
	s_cbranch_vccnz .LBB261_33
; %bb.32:
	s_mov_b32 s24, s5
.LBB261_33:
	s_wait_loadcnt 0x0
	v_and_b32_e32 v4, 0xff, v1
	s_mov_b32 s25, 0
	s_mov_b32 s26, exec_lo
	s_delay_alu instid0(VALU_DEP_1)
	v_cmpx_lt_i16_e32 0x7f, v4
	s_xor_b32 s26, exec_lo, s26
	s_cbranch_execnz .LBB261_42
; %bb.34:
	s_or_saveexec_b32 s26, s26
	v_mov_b32_e32 v3, 0x7f800001
	s_xor_b32 exec_lo, exec_lo, s26
	s_cbranch_execnz .LBB261_45
.LBB261_35:
	s_or_b32 exec_lo, exec_lo, s26
	s_and_saveexec_b32 s26, s25
	s_cbranch_execz .LBB261_37
.LBB261_36:
	v_and_b32_e32 v3, 3, v1
	v_lshrrev_b16 v5, 2, v1
	v_lshlrev_b32_e32 v7, 24, v1
	s_delay_alu instid0(VALU_DEP_3) | instskip(NEXT) | instid1(VALU_DEP_1)
	v_clz_i32_u32_e32 v4, v3
	v_min_u32_e32 v4, 32, v4
	s_delay_alu instid0(VALU_DEP_4) | instskip(NEXT) | instid1(VALU_DEP_2)
	v_and_b32_e32 v5, 31, v5
	v_subrev_nc_u32_e32 v6, 29, v4
	v_sub_nc_u32_e32 v4, 30, v4
	s_delay_alu instid0(VALU_DEP_3) | instskip(NEXT) | instid1(VALU_DEP_3)
	v_cmp_eq_u32_e32 vcc_lo, 0, v5
	v_lshlrev_b32_e32 v6, v6, v1
	s_delay_alu instid0(VALU_DEP_1) | instskip(SKIP_1) | instid1(VALU_DEP_2)
	v_dual_cndmask_b32 v4, v5, v4, vcc_lo :: v_dual_bitop2_b32 v6, 3, v6 bitop3:0x40
	v_and_b32_e32 v5, 0x80000000, v7
	v_cndmask_b32_e32 v3, v3, v6, vcc_lo
	s_delay_alu instid0(VALU_DEP_3) | instskip(NEXT) | instid1(VALU_DEP_2)
	v_lshl_add_u32 v4, v4, 23, 0x37800000
	v_lshlrev_b32_e32 v3, 21, v3
	s_delay_alu instid0(VALU_DEP_1)
	v_or3_b32 v3, v5, v4, v3
.LBB261_37:
	s_or_b32 exec_lo, exec_lo, s26
	s_delay_alu instid0(VALU_DEP_1)
	v_cmp_neq_f32_e64 s24, s24, v3
	s_branch .LBB261_55
.LBB261_38:
	s_and_b32 s25, s15, 0xff
	s_delay_alu instid0(SALU_CYCLE_1)
	s_cmp_lt_i32 s25, 0x80
	s_cbranch_scc1 .LBB261_46
; %bb.39:
	s_and_b32 s24, 0xffff, s25
	s_mov_b32 s26, -1
	s_cmp_eq_u32 s24, 0x80
	s_cbranch_scc0 .LBB261_41
; %bb.40:
	s_mov_b32 s26, 0
.LBB261_41:
	s_mov_b32 s24, 0x7f800001
	s_branch .LBB261_48
.LBB261_42:
	s_mov_b32 s25, -1
	s_mov_b32 s27, exec_lo
	v_cmpx_eq_u16_e32 0x80, v4
; %bb.43:
	s_xor_b32 s25, exec_lo, -1
; %bb.44:
	s_or_b32 exec_lo, exec_lo, s27
	s_delay_alu instid0(SALU_CYCLE_1)
	s_and_b32 s25, s25, exec_lo
                                        ; implicit-def: $vgpr4
	s_or_saveexec_b32 s26, s26
	v_mov_b32_e32 v3, 0x7f800001
	s_xor_b32 exec_lo, exec_lo, s26
	s_cbranch_execz .LBB261_35
.LBB261_45:
	v_cmp_ne_u16_e32 vcc_lo, 0, v4
	v_mov_b32_e32 v3, 0
	s_and_not1_b32 s25, s25, exec_lo
	s_and_b32 s27, vcc_lo, exec_lo
	s_delay_alu instid0(SALU_CYCLE_1)
	s_or_b32 s25, s25, s27
	s_or_b32 exec_lo, exec_lo, s26
	s_and_saveexec_b32 s26, s25
	s_cbranch_execnz .LBB261_36
	s_branch .LBB261_37
.LBB261_46:
	s_mov_b32 s26, 0
	s_mov_b32 s24, 0x7f800001
	s_cbranch_execz .LBB261_48
; %bb.47:
	s_and_b32 s24, 0xffff, s25
	s_delay_alu instid0(SALU_CYCLE_1)
	s_cmp_lg_u32 s24, 0
	s_mov_b32 s24, 0
	s_cselect_b32 s26, -1, 0
.LBB261_48:
	s_delay_alu instid0(SALU_CYCLE_1)
	s_and_not1_b32 vcc_lo, exec_lo, s26
	s_cbranch_vccnz .LBB261_50
; %bb.49:
	s_mov_b32 s24, s5
.LBB261_50:
	s_wait_loadcnt 0x0
	v_and_b32_e32 v4, 0xff, v1
	s_mov_b32 s25, 0
	s_mov_b32 s26, exec_lo
	s_delay_alu instid0(VALU_DEP_1)
	v_cmpx_lt_i16_e32 0x7f, v4
	s_xor_b32 s26, exec_lo, s26
	s_cbranch_execnz .LBB261_62
; %bb.51:
	s_or_saveexec_b32 s26, s26
	v_mov_b32_e32 v3, 0x7f800001
	s_xor_b32 exec_lo, exec_lo, s26
	s_cbranch_execnz .LBB261_65
.LBB261_52:
	s_or_b32 exec_lo, exec_lo, s26
	s_and_saveexec_b32 s26, s25
	s_cbranch_execz .LBB261_54
.LBB261_53:
	v_and_b32_e32 v3, 3, v1
	v_lshrrev_b16 v5, 2, v1
	s_delay_alu instid0(VALU_DEP_2) | instskip(NEXT) | instid1(VALU_DEP_1)
	v_clz_i32_u32_e32 v4, v3
	v_min_u32_e32 v4, 32, v4
	s_delay_alu instid0(VALU_DEP_3) | instskip(NEXT) | instid1(VALU_DEP_2)
	v_and_b32_e32 v5, 31, v5
	v_subrev_nc_u32_e32 v6, 29, v4
	v_sub_nc_u32_e32 v4, 30, v4
	s_delay_alu instid0(VALU_DEP_3) | instskip(NEXT) | instid1(VALU_DEP_3)
	v_cmp_eq_u32_e32 vcc_lo, 0, v5
	v_dual_lshlrev_b32 v6, v6, v1 :: v_dual_lshlrev_b32 v1, 24, v1
	s_delay_alu instid0(VALU_DEP_1) | instskip(NEXT) | instid1(VALU_DEP_2)
	v_dual_cndmask_b32 v4, v5, v4, vcc_lo :: v_dual_bitop2_b32 v6, 3, v6 bitop3:0x40
	v_and_b32_e32 v1, 0x80000000, v1
	s_delay_alu instid0(VALU_DEP_2) | instskip(NEXT) | instid1(VALU_DEP_3)
	v_cndmask_b32_e32 v3, v3, v6, vcc_lo
	v_lshl_add_u32 v4, v4, 23, 0x37800000
	s_delay_alu instid0(VALU_DEP_2) | instskip(NEXT) | instid1(VALU_DEP_1)
	v_lshlrev_b32_e32 v3, 21, v3
	v_or3_b32 v3, v1, v4, v3
.LBB261_54:
	s_or_b32 exec_lo, exec_lo, s26
	s_delay_alu instid0(VALU_DEP_1)
	v_cmp_eq_f32_e64 s24, s24, v3
.LBB261_55:
	s_wait_loadcnt 0x0
	s_delay_alu instid0(VALU_DEP_1) | instskip(SKIP_4) | instid1(SALU_CYCLE_1)
	v_cndmask_b32_e64 v1, 0, 1, s24
	v_add_nc_u32_e32 v0, 0x80, v0
	global_store_b8 v2, v1, s[0:1]
	s_wait_xcnt 0x0
	s_or_b32 exec_lo, exec_lo, s18
	s_mov_b32 s18, exec_lo
	v_cmpx_gt_i32_e64 s36, v0
	s_cbranch_execz .LBB261_3
.LBB261_56:
	s_and_not1_b32 vcc_lo, exec_lo, s33
	s_cbranch_vccnz .LBB261_61
; %bb.57:
	s_and_not1_b32 vcc_lo, exec_lo, s38
	s_cbranch_vccnz .LBB261_66
; %bb.58:
	s_add_co_i32 s25, s37, 1
	s_cmp_eq_u32 s31, 2
	s_cbranch_scc1 .LBB261_67
; %bb.59:
	v_dual_mov_b32 v2, 0 :: v_dual_mov_b32 v3, 0
	v_mov_b32_e32 v1, v0
	s_and_b32 s24, s25, 28
	s_mov_b32 s39, 0
	s_mov_b64 s[26:27], s[12:13]
	s_mov_b64 s[28:29], s[22:23]
.LBB261_60:                             ; =>This Inner Loop Header: Depth=1
	s_clause 0x1
	s_load_b256 s[40:47], s[26:27], 0x4
	s_load_b128 s[56:59], s[26:27], 0x24
	s_load_b256 s[48:55], s[28:29], 0x0
	s_add_co_i32 s39, s39, 4
	s_wait_xcnt 0x0
	s_add_nc_u64 s[26:27], s[26:27], 48
	s_cmp_eq_u32 s24, s39
	s_add_nc_u64 s[28:29], s[28:29], 32
	s_wait_kmcnt 0x0
	v_mul_hi_u32 v4, s41, v1
	s_delay_alu instid0(VALU_DEP_1) | instskip(NEXT) | instid1(VALU_DEP_1)
	v_add_nc_u32_e32 v4, v1, v4
	v_lshrrev_b32_e32 v4, s42, v4
	s_delay_alu instid0(VALU_DEP_1) | instskip(NEXT) | instid1(VALU_DEP_1)
	v_mul_hi_u32 v5, s44, v4
	v_add_nc_u32_e32 v5, v4, v5
	s_delay_alu instid0(VALU_DEP_1) | instskip(NEXT) | instid1(VALU_DEP_1)
	v_lshrrev_b32_e32 v5, s45, v5
	v_mul_hi_u32 v6, s47, v5
	s_delay_alu instid0(VALU_DEP_1) | instskip(SKIP_1) | instid1(VALU_DEP_1)
	v_add_nc_u32_e32 v6, v5, v6
	v_mul_lo_u32 v7, v4, s40
	v_sub_nc_u32_e32 v1, v1, v7
	v_mul_lo_u32 v7, v5, s43
	s_delay_alu instid0(VALU_DEP_4) | instskip(NEXT) | instid1(VALU_DEP_3)
	v_lshrrev_b32_e32 v6, s56, v6
	v_mad_u32 v3, v1, s49, v3
	v_mad_u32 v1, v1, s48, v2
	s_delay_alu instid0(VALU_DEP_4) | instskip(NEXT) | instid1(VALU_DEP_4)
	v_sub_nc_u32_e32 v2, v4, v7
	v_mul_hi_u32 v8, s58, v6
	v_mul_lo_u32 v4, v6, s46
	s_delay_alu instid0(VALU_DEP_3) | instskip(SKIP_1) | instid1(VALU_DEP_4)
	v_mad_u32 v3, v2, s51, v3
	v_mad_u32 v2, v2, s50, v1
	v_add_nc_u32_e32 v7, v6, v8
	s_delay_alu instid0(VALU_DEP_1) | instskip(NEXT) | instid1(VALU_DEP_1)
	v_dual_sub_nc_u32 v4, v5, v4 :: v_dual_lshrrev_b32 v1, s59, v7
	v_mad_u32 v3, v4, s53, v3
	s_delay_alu instid0(VALU_DEP_4) | instskip(NEXT) | instid1(VALU_DEP_3)
	v_mad_u32 v2, v4, s52, v2
	v_mul_lo_u32 v5, v1, s57
	s_delay_alu instid0(VALU_DEP_1) | instskip(NEXT) | instid1(VALU_DEP_1)
	v_sub_nc_u32_e32 v4, v6, v5
	v_mad_u32 v3, v4, s55, v3
	s_delay_alu instid0(VALU_DEP_4)
	v_mad_u32 v2, v4, s54, v2
	s_cbranch_scc0 .LBB261_60
	s_branch .LBB261_68
.LBB261_61:
                                        ; implicit-def: $vgpr3
	s_branch .LBB261_72
.LBB261_62:
	s_mov_b32 s25, -1
	s_mov_b32 s27, exec_lo
	v_cmpx_eq_u16_e32 0x80, v4
; %bb.63:
	s_xor_b32 s25, exec_lo, -1
; %bb.64:
	s_or_b32 exec_lo, exec_lo, s27
	s_delay_alu instid0(SALU_CYCLE_1)
	s_and_b32 s25, s25, exec_lo
                                        ; implicit-def: $vgpr4
	s_or_saveexec_b32 s26, s26
	v_mov_b32_e32 v3, 0x7f800001
	s_xor_b32 exec_lo, exec_lo, s26
	s_cbranch_execz .LBB261_52
.LBB261_65:
	v_cmp_ne_u16_e32 vcc_lo, 0, v4
	v_mov_b32_e32 v3, 0
	s_and_not1_b32 s25, s25, exec_lo
	s_and_b32 s27, vcc_lo, exec_lo
	s_delay_alu instid0(SALU_CYCLE_1)
	s_or_b32 s25, s25, s27
	s_or_b32 exec_lo, exec_lo, s26
	s_and_saveexec_b32 s26, s25
	s_cbranch_execnz .LBB261_53
	s_branch .LBB261_54
.LBB261_66:
	v_dual_mov_b32 v3, 0 :: v_dual_mov_b32 v2, 0
	s_branch .LBB261_71
.LBB261_67:
	v_mov_b64_e32 v[2:3], 0
	v_mov_b32_e32 v1, v0
	s_mov_b32 s24, 0
.LBB261_68:
	s_and_b32 s28, s25, 3
	s_mov_b32 s25, 0
	s_cmp_eq_u32 s28, 0
	s_cbranch_scc1 .LBB261_71
; %bb.69:
	s_lshl_b32 s26, s24, 3
	s_mov_b32 s27, s25
	s_mul_u64 s[40:41], s[24:25], 12
	s_add_nc_u64 s[26:27], s[12:13], s[26:27]
	s_delay_alu instid0(SALU_CYCLE_1)
	s_add_nc_u64 s[24:25], s[26:27], 0xc4
	s_add_nc_u64 s[26:27], s[12:13], s[40:41]
.LBB261_70:                             ; =>This Inner Loop Header: Depth=1
	s_load_b96 s[40:42], s[26:27], 0x4
	s_add_co_i32 s28, s28, -1
	s_wait_xcnt 0x0
	s_add_nc_u64 s[26:27], s[26:27], 12
	s_cmp_lg_u32 s28, 0
	s_wait_kmcnt 0x0
	v_mul_hi_u32 v4, s41, v1
	s_delay_alu instid0(VALU_DEP_1) | instskip(NEXT) | instid1(VALU_DEP_1)
	v_add_nc_u32_e32 v4, v1, v4
	v_lshrrev_b32_e32 v4, s42, v4
	s_load_b64 s[42:43], s[24:25], 0x0
	s_wait_xcnt 0x0
	s_add_nc_u64 s[24:25], s[24:25], 8
	s_delay_alu instid0(VALU_DEP_1) | instskip(NEXT) | instid1(VALU_DEP_1)
	v_mul_lo_u32 v5, v4, s40
	v_sub_nc_u32_e32 v1, v1, v5
	s_wait_kmcnt 0x0
	s_delay_alu instid0(VALU_DEP_1)
	v_mad_u32 v3, v1, s43, v3
	v_mad_u32 v2, v1, s42, v2
	v_mov_b32_e32 v1, v4
	s_cbranch_scc1 .LBB261_70
.LBB261_71:
	s_cbranch_execnz .LBB261_74
.LBB261_72:
	v_mov_b32_e32 v1, 0
	s_and_not1_b32 vcc_lo, exec_lo, s35
	s_delay_alu instid0(VALU_DEP_1) | instskip(NEXT) | instid1(VALU_DEP_1)
	v_mul_u64_e32 v[2:3], s[16:17], v[0:1]
	v_add_nc_u32_e32 v2, v0, v3
	s_delay_alu instid0(VALU_DEP_1) | instskip(NEXT) | instid1(VALU_DEP_1)
	v_lshrrev_b32_e32 v4, s6, v2
	v_mul_lo_u32 v2, v4, s4
	s_delay_alu instid0(VALU_DEP_1) | instskip(NEXT) | instid1(VALU_DEP_1)
	v_sub_nc_u32_e32 v2, v0, v2
	v_mul_lo_u32 v3, v2, s9
	v_mul_lo_u32 v2, v2, s8
	s_cbranch_vccnz .LBB261_74
; %bb.73:
	v_mov_b32_e32 v5, v1
	s_delay_alu instid0(VALU_DEP_1) | instskip(NEXT) | instid1(VALU_DEP_1)
	v_mul_u64_e32 v[6:7], s[20:21], v[4:5]
	v_add_nc_u32_e32 v1, v4, v7
	s_delay_alu instid0(VALU_DEP_1) | instskip(NEXT) | instid1(VALU_DEP_1)
	v_lshrrev_b32_e32 v1, s19, v1
	v_mul_lo_u32 v1, v1, s7
	s_delay_alu instid0(VALU_DEP_1) | instskip(NEXT) | instid1(VALU_DEP_1)
	v_sub_nc_u32_e32 v1, v4, v1
	v_mad_u32 v2, v1, s10, v2
	v_mad_u32 v3, v1, s11, v3
.LBB261_74:
	global_load_u8 v1, v3, s[2:3]
	s_and_not1_b32 vcc_lo, exec_lo, s14
	s_cbranch_vccnz .LBB261_79
; %bb.75:
	s_and_b32 s25, s15, 0xff
	s_delay_alu instid0(SALU_CYCLE_1)
	s_cmp_lt_i32 s25, 0x80
	s_cbranch_scc1 .LBB261_80
; %bb.76:
	s_and_b32 s24, 0xffff, s25
	s_mov_b32 s26, -1
	s_cmp_eq_u32 s24, 0x80
	s_cbranch_scc0 .LBB261_78
; %bb.77:
	s_mov_b32 s26, 0
.LBB261_78:
	s_mov_b32 s24, 0x7f800001
	s_branch .LBB261_82
.LBB261_79:
                                        ; implicit-def: $sgpr24
	s_cbranch_execnz .LBB261_89
	s_branch .LBB261_106
.LBB261_80:
	s_mov_b32 s26, 0
	s_mov_b32 s24, 0x7f800001
	s_cbranch_execz .LBB261_82
; %bb.81:
	s_and_b32 s24, 0xffff, s25
	s_delay_alu instid0(SALU_CYCLE_1)
	s_cmp_lg_u32 s24, 0
	s_mov_b32 s24, 0
	s_cselect_b32 s26, -1, 0
.LBB261_82:
	s_delay_alu instid0(SALU_CYCLE_1)
	s_and_not1_b32 vcc_lo, exec_lo, s26
	s_cbranch_vccnz .LBB261_84
; %bb.83:
	s_mov_b32 s24, s5
.LBB261_84:
	s_wait_loadcnt 0x0
	v_and_b32_e32 v4, 0xff, v1
	s_mov_b32 s25, 0
	s_mov_b32 s26, exec_lo
	s_wait_xcnt 0x0
	s_delay_alu instid0(VALU_DEP_1)
	v_cmpx_lt_i16_e32 0x7f, v4
	s_xor_b32 s26, exec_lo, s26
	s_cbranch_execnz .LBB261_93
; %bb.85:
	s_or_saveexec_b32 s26, s26
	v_mov_b32_e32 v3, 0x7f800001
	s_xor_b32 exec_lo, exec_lo, s26
	s_cbranch_execnz .LBB261_96
.LBB261_86:
	s_or_b32 exec_lo, exec_lo, s26
	s_and_saveexec_b32 s26, s25
	s_cbranch_execz .LBB261_88
.LBB261_87:
	v_and_b32_e32 v3, 3, v1
	v_lshrrev_b16 v5, 2, v1
	v_lshlrev_b32_e32 v7, 24, v1
	s_delay_alu instid0(VALU_DEP_3) | instskip(NEXT) | instid1(VALU_DEP_1)
	v_clz_i32_u32_e32 v4, v3
	v_min_u32_e32 v4, 32, v4
	s_delay_alu instid0(VALU_DEP_4) | instskip(NEXT) | instid1(VALU_DEP_2)
	v_and_b32_e32 v5, 31, v5
	v_subrev_nc_u32_e32 v6, 29, v4
	v_sub_nc_u32_e32 v4, 30, v4
	s_delay_alu instid0(VALU_DEP_3) | instskip(NEXT) | instid1(VALU_DEP_3)
	v_cmp_eq_u32_e32 vcc_lo, 0, v5
	v_lshlrev_b32_e32 v6, v6, v1
	s_delay_alu instid0(VALU_DEP_1) | instskip(SKIP_1) | instid1(VALU_DEP_2)
	v_dual_cndmask_b32 v4, v5, v4, vcc_lo :: v_dual_bitop2_b32 v6, 3, v6 bitop3:0x40
	v_and_b32_e32 v5, 0x80000000, v7
	v_cndmask_b32_e32 v3, v3, v6, vcc_lo
	s_delay_alu instid0(VALU_DEP_3) | instskip(NEXT) | instid1(VALU_DEP_2)
	v_lshl_add_u32 v4, v4, 23, 0x37800000
	v_lshlrev_b32_e32 v3, 21, v3
	s_delay_alu instid0(VALU_DEP_1)
	v_or3_b32 v3, v5, v4, v3
.LBB261_88:
	s_or_b32 exec_lo, exec_lo, s26
	s_delay_alu instid0(VALU_DEP_1)
	v_cmp_neq_f32_e64 s24, s24, v3
	s_branch .LBB261_106
.LBB261_89:
	s_and_b32 s25, s15, 0xff
	s_delay_alu instid0(SALU_CYCLE_1)
	s_cmp_lt_i32 s25, 0x80
	s_cbranch_scc1 .LBB261_97
; %bb.90:
	s_and_b32 s24, 0xffff, s25
	s_mov_b32 s26, -1
	s_cmp_eq_u32 s24, 0x80
	s_cbranch_scc0 .LBB261_92
; %bb.91:
	s_mov_b32 s26, 0
.LBB261_92:
	s_mov_b32 s24, 0x7f800001
	s_branch .LBB261_99
.LBB261_93:
	s_mov_b32 s25, -1
	s_mov_b32 s27, exec_lo
	v_cmpx_eq_u16_e32 0x80, v4
; %bb.94:
	s_xor_b32 s25, exec_lo, -1
; %bb.95:
	s_or_b32 exec_lo, exec_lo, s27
	s_delay_alu instid0(SALU_CYCLE_1)
	s_and_b32 s25, s25, exec_lo
                                        ; implicit-def: $vgpr4
	s_or_saveexec_b32 s26, s26
	v_mov_b32_e32 v3, 0x7f800001
	s_xor_b32 exec_lo, exec_lo, s26
	s_cbranch_execz .LBB261_86
.LBB261_96:
	v_cmp_ne_u16_e32 vcc_lo, 0, v4
	v_mov_b32_e32 v3, 0
	s_and_not1_b32 s25, s25, exec_lo
	s_and_b32 s27, vcc_lo, exec_lo
	s_delay_alu instid0(SALU_CYCLE_1)
	s_or_b32 s25, s25, s27
	s_or_b32 exec_lo, exec_lo, s26
	s_and_saveexec_b32 s26, s25
	s_cbranch_execnz .LBB261_87
	s_branch .LBB261_88
.LBB261_97:
	s_mov_b32 s26, 0
	s_mov_b32 s24, 0x7f800001
	s_cbranch_execz .LBB261_99
; %bb.98:
	s_and_b32 s24, 0xffff, s25
	s_delay_alu instid0(SALU_CYCLE_1)
	s_cmp_lg_u32 s24, 0
	s_mov_b32 s24, 0
	s_cselect_b32 s26, -1, 0
.LBB261_99:
	s_delay_alu instid0(SALU_CYCLE_1)
	s_and_not1_b32 vcc_lo, exec_lo, s26
	s_cbranch_vccnz .LBB261_101
; %bb.100:
	s_mov_b32 s24, s5
.LBB261_101:
	s_wait_loadcnt 0x0
	v_and_b32_e32 v4, 0xff, v1
	s_mov_b32 s25, 0
	s_mov_b32 s26, exec_lo
	s_wait_xcnt 0x0
	s_delay_alu instid0(VALU_DEP_1)
	v_cmpx_lt_i16_e32 0x7f, v4
	s_xor_b32 s26, exec_lo, s26
	s_cbranch_execnz .LBB261_113
; %bb.102:
	s_or_saveexec_b32 s26, s26
	v_mov_b32_e32 v3, 0x7f800001
	s_xor_b32 exec_lo, exec_lo, s26
	s_cbranch_execnz .LBB261_116
.LBB261_103:
	s_or_b32 exec_lo, exec_lo, s26
	s_and_saveexec_b32 s26, s25
	s_cbranch_execz .LBB261_105
.LBB261_104:
	v_and_b32_e32 v3, 3, v1
	v_lshrrev_b16 v5, 2, v1
	s_delay_alu instid0(VALU_DEP_2) | instskip(NEXT) | instid1(VALU_DEP_1)
	v_clz_i32_u32_e32 v4, v3
	v_min_u32_e32 v4, 32, v4
	s_delay_alu instid0(VALU_DEP_3) | instskip(NEXT) | instid1(VALU_DEP_2)
	v_and_b32_e32 v5, 31, v5
	v_subrev_nc_u32_e32 v6, 29, v4
	v_sub_nc_u32_e32 v4, 30, v4
	s_delay_alu instid0(VALU_DEP_3) | instskip(NEXT) | instid1(VALU_DEP_3)
	v_cmp_eq_u32_e32 vcc_lo, 0, v5
	v_dual_lshlrev_b32 v6, v6, v1 :: v_dual_lshlrev_b32 v1, 24, v1
	s_delay_alu instid0(VALU_DEP_1) | instskip(NEXT) | instid1(VALU_DEP_2)
	v_dual_cndmask_b32 v4, v5, v4, vcc_lo :: v_dual_bitop2_b32 v6, 3, v6 bitop3:0x40
	v_and_b32_e32 v1, 0x80000000, v1
	s_delay_alu instid0(VALU_DEP_2) | instskip(NEXT) | instid1(VALU_DEP_3)
	v_cndmask_b32_e32 v3, v3, v6, vcc_lo
	v_lshl_add_u32 v4, v4, 23, 0x37800000
	s_delay_alu instid0(VALU_DEP_2) | instskip(NEXT) | instid1(VALU_DEP_1)
	v_lshlrev_b32_e32 v3, 21, v3
	v_or3_b32 v3, v1, v4, v3
.LBB261_105:
	s_or_b32 exec_lo, exec_lo, s26
	s_delay_alu instid0(VALU_DEP_1)
	v_cmp_eq_f32_e64 s24, s24, v3
.LBB261_106:
	s_wait_loadcnt 0x0
	s_delay_alu instid0(VALU_DEP_1) | instskip(SKIP_4) | instid1(SALU_CYCLE_1)
	v_cndmask_b32_e64 v1, 0, 1, s24
	v_add_nc_u32_e32 v0, 0x80, v0
	global_store_b8 v2, v1, s[0:1]
	s_wait_xcnt 0x0
	s_or_b32 exec_lo, exec_lo, s18
	s_mov_b32 s18, exec_lo
	v_cmpx_gt_i32_e64 s36, v0
	s_cbranch_execz .LBB261_4
.LBB261_107:
	s_and_not1_b32 vcc_lo, exec_lo, s33
	s_cbranch_vccnz .LBB261_112
; %bb.108:
	s_and_not1_b32 vcc_lo, exec_lo, s38
	s_cbranch_vccnz .LBB261_117
; %bb.109:
	s_add_co_i32 s25, s37, 1
	s_cmp_eq_u32 s31, 2
	s_cbranch_scc1 .LBB261_118
; %bb.110:
	v_dual_mov_b32 v2, 0 :: v_dual_mov_b32 v3, 0
	v_mov_b32_e32 v1, v0
	s_and_b32 s24, s25, 28
	s_mov_b32 s39, 0
	s_mov_b64 s[26:27], s[12:13]
	s_mov_b64 s[28:29], s[22:23]
.LBB261_111:                            ; =>This Inner Loop Header: Depth=1
	s_clause 0x1
	s_load_b256 s[40:47], s[26:27], 0x4
	s_load_b128 s[56:59], s[26:27], 0x24
	s_load_b256 s[48:55], s[28:29], 0x0
	s_add_co_i32 s39, s39, 4
	s_wait_xcnt 0x0
	s_add_nc_u64 s[26:27], s[26:27], 48
	s_cmp_eq_u32 s24, s39
	s_add_nc_u64 s[28:29], s[28:29], 32
	s_wait_kmcnt 0x0
	v_mul_hi_u32 v4, s41, v1
	s_delay_alu instid0(VALU_DEP_1) | instskip(NEXT) | instid1(VALU_DEP_1)
	v_add_nc_u32_e32 v4, v1, v4
	v_lshrrev_b32_e32 v4, s42, v4
	s_delay_alu instid0(VALU_DEP_1) | instskip(NEXT) | instid1(VALU_DEP_1)
	v_mul_hi_u32 v5, s44, v4
	v_add_nc_u32_e32 v5, v4, v5
	s_delay_alu instid0(VALU_DEP_1) | instskip(NEXT) | instid1(VALU_DEP_1)
	v_lshrrev_b32_e32 v5, s45, v5
	v_mul_hi_u32 v6, s47, v5
	s_delay_alu instid0(VALU_DEP_1) | instskip(SKIP_1) | instid1(VALU_DEP_1)
	v_add_nc_u32_e32 v6, v5, v6
	v_mul_lo_u32 v7, v4, s40
	v_sub_nc_u32_e32 v1, v1, v7
	v_mul_lo_u32 v7, v5, s43
	s_delay_alu instid0(VALU_DEP_4) | instskip(NEXT) | instid1(VALU_DEP_3)
	v_lshrrev_b32_e32 v6, s56, v6
	v_mad_u32 v3, v1, s49, v3
	v_mad_u32 v1, v1, s48, v2
	s_delay_alu instid0(VALU_DEP_4) | instskip(NEXT) | instid1(VALU_DEP_4)
	v_sub_nc_u32_e32 v2, v4, v7
	v_mul_hi_u32 v8, s58, v6
	v_mul_lo_u32 v4, v6, s46
	s_delay_alu instid0(VALU_DEP_3) | instskip(SKIP_1) | instid1(VALU_DEP_4)
	v_mad_u32 v3, v2, s51, v3
	v_mad_u32 v2, v2, s50, v1
	v_add_nc_u32_e32 v7, v6, v8
	s_delay_alu instid0(VALU_DEP_1) | instskip(NEXT) | instid1(VALU_DEP_1)
	v_dual_sub_nc_u32 v4, v5, v4 :: v_dual_lshrrev_b32 v1, s59, v7
	v_mad_u32 v3, v4, s53, v3
	s_delay_alu instid0(VALU_DEP_4) | instskip(NEXT) | instid1(VALU_DEP_3)
	v_mad_u32 v2, v4, s52, v2
	v_mul_lo_u32 v5, v1, s57
	s_delay_alu instid0(VALU_DEP_1) | instskip(NEXT) | instid1(VALU_DEP_1)
	v_sub_nc_u32_e32 v4, v6, v5
	v_mad_u32 v3, v4, s55, v3
	s_delay_alu instid0(VALU_DEP_4)
	v_mad_u32 v2, v4, s54, v2
	s_cbranch_scc0 .LBB261_111
	s_branch .LBB261_119
.LBB261_112:
                                        ; implicit-def: $vgpr3
	s_branch .LBB261_123
.LBB261_113:
	s_mov_b32 s25, -1
	s_mov_b32 s27, exec_lo
	v_cmpx_eq_u16_e32 0x80, v4
; %bb.114:
	s_xor_b32 s25, exec_lo, -1
; %bb.115:
	s_or_b32 exec_lo, exec_lo, s27
	s_delay_alu instid0(SALU_CYCLE_1)
	s_and_b32 s25, s25, exec_lo
                                        ; implicit-def: $vgpr4
	s_or_saveexec_b32 s26, s26
	v_mov_b32_e32 v3, 0x7f800001
	s_xor_b32 exec_lo, exec_lo, s26
	s_cbranch_execz .LBB261_103
.LBB261_116:
	v_cmp_ne_u16_e32 vcc_lo, 0, v4
	v_mov_b32_e32 v3, 0
	s_and_not1_b32 s25, s25, exec_lo
	s_and_b32 s27, vcc_lo, exec_lo
	s_delay_alu instid0(SALU_CYCLE_1)
	s_or_b32 s25, s25, s27
	s_or_b32 exec_lo, exec_lo, s26
	s_and_saveexec_b32 s26, s25
	s_cbranch_execnz .LBB261_104
	s_branch .LBB261_105
.LBB261_117:
	v_dual_mov_b32 v3, 0 :: v_dual_mov_b32 v2, 0
	s_branch .LBB261_122
.LBB261_118:
	v_mov_b64_e32 v[2:3], 0
	v_mov_b32_e32 v1, v0
	s_mov_b32 s24, 0
.LBB261_119:
	s_and_b32 s28, s25, 3
	s_mov_b32 s25, 0
	s_cmp_eq_u32 s28, 0
	s_cbranch_scc1 .LBB261_122
; %bb.120:
	s_lshl_b32 s26, s24, 3
	s_mov_b32 s27, s25
	s_mul_u64 s[40:41], s[24:25], 12
	s_add_nc_u64 s[26:27], s[12:13], s[26:27]
	s_delay_alu instid0(SALU_CYCLE_1)
	s_add_nc_u64 s[24:25], s[26:27], 0xc4
	s_add_nc_u64 s[26:27], s[12:13], s[40:41]
.LBB261_121:                            ; =>This Inner Loop Header: Depth=1
	s_load_b96 s[40:42], s[26:27], 0x4
	s_add_co_i32 s28, s28, -1
	s_wait_xcnt 0x0
	s_add_nc_u64 s[26:27], s[26:27], 12
	s_cmp_lg_u32 s28, 0
	s_wait_kmcnt 0x0
	v_mul_hi_u32 v4, s41, v1
	s_delay_alu instid0(VALU_DEP_1) | instskip(NEXT) | instid1(VALU_DEP_1)
	v_add_nc_u32_e32 v4, v1, v4
	v_lshrrev_b32_e32 v4, s42, v4
	s_load_b64 s[42:43], s[24:25], 0x0
	s_wait_xcnt 0x0
	s_add_nc_u64 s[24:25], s[24:25], 8
	s_delay_alu instid0(VALU_DEP_1) | instskip(NEXT) | instid1(VALU_DEP_1)
	v_mul_lo_u32 v5, v4, s40
	v_sub_nc_u32_e32 v1, v1, v5
	s_wait_kmcnt 0x0
	s_delay_alu instid0(VALU_DEP_1)
	v_mad_u32 v3, v1, s43, v3
	v_mad_u32 v2, v1, s42, v2
	v_mov_b32_e32 v1, v4
	s_cbranch_scc1 .LBB261_121
.LBB261_122:
	s_cbranch_execnz .LBB261_125
.LBB261_123:
	v_mov_b32_e32 v1, 0
	s_and_not1_b32 vcc_lo, exec_lo, s35
	s_delay_alu instid0(VALU_DEP_1) | instskip(NEXT) | instid1(VALU_DEP_1)
	v_mul_u64_e32 v[2:3], s[16:17], v[0:1]
	v_add_nc_u32_e32 v2, v0, v3
	s_delay_alu instid0(VALU_DEP_1) | instskip(NEXT) | instid1(VALU_DEP_1)
	v_lshrrev_b32_e32 v4, s6, v2
	v_mul_lo_u32 v2, v4, s4
	s_delay_alu instid0(VALU_DEP_1) | instskip(NEXT) | instid1(VALU_DEP_1)
	v_sub_nc_u32_e32 v2, v0, v2
	v_mul_lo_u32 v3, v2, s9
	v_mul_lo_u32 v2, v2, s8
	s_cbranch_vccnz .LBB261_125
; %bb.124:
	v_mov_b32_e32 v5, v1
	s_delay_alu instid0(VALU_DEP_1) | instskip(NEXT) | instid1(VALU_DEP_1)
	v_mul_u64_e32 v[6:7], s[20:21], v[4:5]
	v_add_nc_u32_e32 v1, v4, v7
	s_delay_alu instid0(VALU_DEP_1) | instskip(NEXT) | instid1(VALU_DEP_1)
	v_lshrrev_b32_e32 v1, s19, v1
	v_mul_lo_u32 v1, v1, s7
	s_delay_alu instid0(VALU_DEP_1) | instskip(NEXT) | instid1(VALU_DEP_1)
	v_sub_nc_u32_e32 v1, v4, v1
	v_mad_u32 v2, v1, s10, v2
	v_mad_u32 v3, v1, s11, v3
.LBB261_125:
	global_load_u8 v1, v3, s[2:3]
	s_and_not1_b32 vcc_lo, exec_lo, s14
	s_cbranch_vccnz .LBB261_130
; %bb.126:
	s_and_b32 s25, s15, 0xff
	s_delay_alu instid0(SALU_CYCLE_1)
	s_cmp_lt_i32 s25, 0x80
	s_cbranch_scc1 .LBB261_131
; %bb.127:
	s_and_b32 s24, 0xffff, s25
	s_mov_b32 s26, -1
	s_cmp_eq_u32 s24, 0x80
	s_cbranch_scc0 .LBB261_129
; %bb.128:
	s_mov_b32 s26, 0
.LBB261_129:
	s_mov_b32 s24, 0x7f800001
	s_branch .LBB261_133
.LBB261_130:
                                        ; implicit-def: $sgpr24
	s_cbranch_execnz .LBB261_140
	s_branch .LBB261_157
.LBB261_131:
	s_mov_b32 s26, 0
	s_mov_b32 s24, 0x7f800001
	s_cbranch_execz .LBB261_133
; %bb.132:
	s_and_b32 s24, 0xffff, s25
	s_delay_alu instid0(SALU_CYCLE_1)
	s_cmp_lg_u32 s24, 0
	s_mov_b32 s24, 0
	s_cselect_b32 s26, -1, 0
.LBB261_133:
	s_delay_alu instid0(SALU_CYCLE_1)
	s_and_not1_b32 vcc_lo, exec_lo, s26
	s_cbranch_vccnz .LBB261_135
; %bb.134:
	s_mov_b32 s24, s5
.LBB261_135:
	s_wait_loadcnt 0x0
	v_and_b32_e32 v4, 0xff, v1
	s_mov_b32 s25, 0
	s_mov_b32 s26, exec_lo
	s_wait_xcnt 0x0
	s_delay_alu instid0(VALU_DEP_1)
	v_cmpx_lt_i16_e32 0x7f, v4
	s_xor_b32 s26, exec_lo, s26
	s_cbranch_execnz .LBB261_144
; %bb.136:
	s_or_saveexec_b32 s26, s26
	v_mov_b32_e32 v3, 0x7f800001
	s_xor_b32 exec_lo, exec_lo, s26
	s_cbranch_execnz .LBB261_147
.LBB261_137:
	s_or_b32 exec_lo, exec_lo, s26
	s_and_saveexec_b32 s26, s25
	s_cbranch_execz .LBB261_139
.LBB261_138:
	v_and_b32_e32 v3, 3, v1
	v_lshrrev_b16 v5, 2, v1
	v_lshlrev_b32_e32 v7, 24, v1
	s_delay_alu instid0(VALU_DEP_3) | instskip(NEXT) | instid1(VALU_DEP_1)
	v_clz_i32_u32_e32 v4, v3
	v_min_u32_e32 v4, 32, v4
	s_delay_alu instid0(VALU_DEP_4) | instskip(NEXT) | instid1(VALU_DEP_2)
	v_and_b32_e32 v5, 31, v5
	v_subrev_nc_u32_e32 v6, 29, v4
	v_sub_nc_u32_e32 v4, 30, v4
	s_delay_alu instid0(VALU_DEP_3) | instskip(NEXT) | instid1(VALU_DEP_3)
	v_cmp_eq_u32_e32 vcc_lo, 0, v5
	v_lshlrev_b32_e32 v6, v6, v1
	s_delay_alu instid0(VALU_DEP_1) | instskip(SKIP_1) | instid1(VALU_DEP_2)
	v_dual_cndmask_b32 v4, v5, v4, vcc_lo :: v_dual_bitop2_b32 v6, 3, v6 bitop3:0x40
	v_and_b32_e32 v5, 0x80000000, v7
	v_cndmask_b32_e32 v3, v3, v6, vcc_lo
	s_delay_alu instid0(VALU_DEP_3) | instskip(NEXT) | instid1(VALU_DEP_2)
	v_lshl_add_u32 v4, v4, 23, 0x37800000
	v_lshlrev_b32_e32 v3, 21, v3
	s_delay_alu instid0(VALU_DEP_1)
	v_or3_b32 v3, v5, v4, v3
.LBB261_139:
	s_or_b32 exec_lo, exec_lo, s26
	s_delay_alu instid0(VALU_DEP_1)
	v_cmp_neq_f32_e64 s24, s24, v3
	s_branch .LBB261_157
.LBB261_140:
	s_and_b32 s25, s15, 0xff
	s_delay_alu instid0(SALU_CYCLE_1)
	s_cmp_lt_i32 s25, 0x80
	s_cbranch_scc1 .LBB261_148
; %bb.141:
	s_and_b32 s24, 0xffff, s25
	s_mov_b32 s26, -1
	s_cmp_eq_u32 s24, 0x80
	s_cbranch_scc0 .LBB261_143
; %bb.142:
	s_mov_b32 s26, 0
.LBB261_143:
	s_mov_b32 s24, 0x7f800001
	s_branch .LBB261_150
.LBB261_144:
	s_mov_b32 s25, -1
	s_mov_b32 s27, exec_lo
	v_cmpx_eq_u16_e32 0x80, v4
; %bb.145:
	s_xor_b32 s25, exec_lo, -1
; %bb.146:
	s_or_b32 exec_lo, exec_lo, s27
	s_delay_alu instid0(SALU_CYCLE_1)
	s_and_b32 s25, s25, exec_lo
                                        ; implicit-def: $vgpr4
	s_or_saveexec_b32 s26, s26
	v_mov_b32_e32 v3, 0x7f800001
	s_xor_b32 exec_lo, exec_lo, s26
	s_cbranch_execz .LBB261_137
.LBB261_147:
	v_cmp_ne_u16_e32 vcc_lo, 0, v4
	v_mov_b32_e32 v3, 0
	s_and_not1_b32 s25, s25, exec_lo
	s_and_b32 s27, vcc_lo, exec_lo
	s_delay_alu instid0(SALU_CYCLE_1)
	s_or_b32 s25, s25, s27
	s_or_b32 exec_lo, exec_lo, s26
	s_and_saveexec_b32 s26, s25
	s_cbranch_execnz .LBB261_138
	s_branch .LBB261_139
.LBB261_148:
	s_mov_b32 s26, 0
	s_mov_b32 s24, 0x7f800001
	s_cbranch_execz .LBB261_150
; %bb.149:
	s_and_b32 s24, 0xffff, s25
	s_delay_alu instid0(SALU_CYCLE_1)
	s_cmp_lg_u32 s24, 0
	s_mov_b32 s24, 0
	s_cselect_b32 s26, -1, 0
.LBB261_150:
	s_delay_alu instid0(SALU_CYCLE_1)
	s_and_not1_b32 vcc_lo, exec_lo, s26
	s_cbranch_vccnz .LBB261_152
; %bb.151:
	s_mov_b32 s24, s5
.LBB261_152:
	s_wait_loadcnt 0x0
	v_and_b32_e32 v4, 0xff, v1
	s_mov_b32 s25, 0
	s_mov_b32 s26, exec_lo
	s_wait_xcnt 0x0
	s_delay_alu instid0(VALU_DEP_1)
	v_cmpx_lt_i16_e32 0x7f, v4
	s_xor_b32 s26, exec_lo, s26
	s_cbranch_execnz .LBB261_164
; %bb.153:
	s_or_saveexec_b32 s26, s26
	v_mov_b32_e32 v3, 0x7f800001
	s_xor_b32 exec_lo, exec_lo, s26
	s_cbranch_execnz .LBB261_167
.LBB261_154:
	s_or_b32 exec_lo, exec_lo, s26
	s_and_saveexec_b32 s26, s25
	s_cbranch_execz .LBB261_156
.LBB261_155:
	v_and_b32_e32 v3, 3, v1
	v_lshrrev_b16 v5, 2, v1
	s_delay_alu instid0(VALU_DEP_2) | instskip(NEXT) | instid1(VALU_DEP_1)
	v_clz_i32_u32_e32 v4, v3
	v_min_u32_e32 v4, 32, v4
	s_delay_alu instid0(VALU_DEP_3) | instskip(NEXT) | instid1(VALU_DEP_2)
	v_and_b32_e32 v5, 31, v5
	v_subrev_nc_u32_e32 v6, 29, v4
	v_sub_nc_u32_e32 v4, 30, v4
	s_delay_alu instid0(VALU_DEP_3) | instskip(NEXT) | instid1(VALU_DEP_3)
	v_cmp_eq_u32_e32 vcc_lo, 0, v5
	v_dual_lshlrev_b32 v6, v6, v1 :: v_dual_lshlrev_b32 v1, 24, v1
	s_delay_alu instid0(VALU_DEP_1) | instskip(NEXT) | instid1(VALU_DEP_2)
	v_dual_cndmask_b32 v4, v5, v4, vcc_lo :: v_dual_bitop2_b32 v6, 3, v6 bitop3:0x40
	v_and_b32_e32 v1, 0x80000000, v1
	s_delay_alu instid0(VALU_DEP_2) | instskip(NEXT) | instid1(VALU_DEP_3)
	v_cndmask_b32_e32 v3, v3, v6, vcc_lo
	v_lshl_add_u32 v4, v4, 23, 0x37800000
	s_delay_alu instid0(VALU_DEP_2) | instskip(NEXT) | instid1(VALU_DEP_1)
	v_lshlrev_b32_e32 v3, 21, v3
	v_or3_b32 v3, v1, v4, v3
.LBB261_156:
	s_or_b32 exec_lo, exec_lo, s26
	s_delay_alu instid0(VALU_DEP_1)
	v_cmp_eq_f32_e64 s24, s24, v3
.LBB261_157:
	s_wait_loadcnt 0x0
	s_delay_alu instid0(VALU_DEP_1) | instskip(SKIP_4) | instid1(SALU_CYCLE_1)
	v_cndmask_b32_e64 v1, 0, 1, s24
	v_add_nc_u32_e32 v0, 0x80, v0
	global_store_b8 v2, v1, s[0:1]
	s_wait_xcnt 0x0
	s_or_b32 exec_lo, exec_lo, s18
	s_mov_b32 s18, exec_lo
	v_cmpx_gt_i32_e64 s36, v0
	s_cbranch_execz .LBB261_5
.LBB261_158:
	s_and_not1_b32 vcc_lo, exec_lo, s33
	s_cbranch_vccnz .LBB261_163
; %bb.159:
	s_and_not1_b32 vcc_lo, exec_lo, s38
	s_cbranch_vccnz .LBB261_168
; %bb.160:
	s_add_co_i32 s25, s37, 1
	s_cmp_eq_u32 s31, 2
	s_cbranch_scc1 .LBB261_169
; %bb.161:
	v_dual_mov_b32 v2, 0 :: v_dual_mov_b32 v3, 0
	v_mov_b32_e32 v1, v0
	s_and_b32 s24, s25, 28
	s_mov_b32 s39, 0
	s_mov_b64 s[26:27], s[12:13]
	s_mov_b64 s[28:29], s[22:23]
.LBB261_162:                            ; =>This Inner Loop Header: Depth=1
	s_clause 0x1
	s_load_b256 s[40:47], s[26:27], 0x4
	s_load_b128 s[56:59], s[26:27], 0x24
	s_load_b256 s[48:55], s[28:29], 0x0
	s_add_co_i32 s39, s39, 4
	s_wait_xcnt 0x0
	s_add_nc_u64 s[26:27], s[26:27], 48
	s_cmp_eq_u32 s24, s39
	s_add_nc_u64 s[28:29], s[28:29], 32
	s_wait_kmcnt 0x0
	v_mul_hi_u32 v4, s41, v1
	s_delay_alu instid0(VALU_DEP_1) | instskip(NEXT) | instid1(VALU_DEP_1)
	v_add_nc_u32_e32 v4, v1, v4
	v_lshrrev_b32_e32 v4, s42, v4
	s_delay_alu instid0(VALU_DEP_1) | instskip(NEXT) | instid1(VALU_DEP_1)
	v_mul_hi_u32 v5, s44, v4
	v_add_nc_u32_e32 v5, v4, v5
	s_delay_alu instid0(VALU_DEP_1) | instskip(NEXT) | instid1(VALU_DEP_1)
	v_lshrrev_b32_e32 v5, s45, v5
	v_mul_hi_u32 v6, s47, v5
	s_delay_alu instid0(VALU_DEP_1) | instskip(SKIP_1) | instid1(VALU_DEP_1)
	v_add_nc_u32_e32 v6, v5, v6
	v_mul_lo_u32 v7, v4, s40
	v_sub_nc_u32_e32 v1, v1, v7
	v_mul_lo_u32 v7, v5, s43
	s_delay_alu instid0(VALU_DEP_4) | instskip(NEXT) | instid1(VALU_DEP_3)
	v_lshrrev_b32_e32 v6, s56, v6
	v_mad_u32 v3, v1, s49, v3
	v_mad_u32 v1, v1, s48, v2
	s_delay_alu instid0(VALU_DEP_4) | instskip(NEXT) | instid1(VALU_DEP_4)
	v_sub_nc_u32_e32 v2, v4, v7
	v_mul_hi_u32 v8, s58, v6
	v_mul_lo_u32 v4, v6, s46
	s_delay_alu instid0(VALU_DEP_3) | instskip(SKIP_1) | instid1(VALU_DEP_4)
	v_mad_u32 v3, v2, s51, v3
	v_mad_u32 v2, v2, s50, v1
	v_add_nc_u32_e32 v7, v6, v8
	s_delay_alu instid0(VALU_DEP_1) | instskip(NEXT) | instid1(VALU_DEP_1)
	v_dual_sub_nc_u32 v4, v5, v4 :: v_dual_lshrrev_b32 v1, s59, v7
	v_mad_u32 v3, v4, s53, v3
	s_delay_alu instid0(VALU_DEP_4) | instskip(NEXT) | instid1(VALU_DEP_3)
	v_mad_u32 v2, v4, s52, v2
	v_mul_lo_u32 v5, v1, s57
	s_delay_alu instid0(VALU_DEP_1) | instskip(NEXT) | instid1(VALU_DEP_1)
	v_sub_nc_u32_e32 v4, v6, v5
	v_mad_u32 v3, v4, s55, v3
	s_delay_alu instid0(VALU_DEP_4)
	v_mad_u32 v2, v4, s54, v2
	s_cbranch_scc0 .LBB261_162
	s_branch .LBB261_170
.LBB261_163:
                                        ; implicit-def: $vgpr3
	s_branch .LBB261_174
.LBB261_164:
	s_mov_b32 s25, -1
	s_mov_b32 s27, exec_lo
	v_cmpx_eq_u16_e32 0x80, v4
; %bb.165:
	s_xor_b32 s25, exec_lo, -1
; %bb.166:
	s_or_b32 exec_lo, exec_lo, s27
	s_delay_alu instid0(SALU_CYCLE_1)
	s_and_b32 s25, s25, exec_lo
                                        ; implicit-def: $vgpr4
	s_or_saveexec_b32 s26, s26
	v_mov_b32_e32 v3, 0x7f800001
	s_xor_b32 exec_lo, exec_lo, s26
	s_cbranch_execz .LBB261_154
.LBB261_167:
	v_cmp_ne_u16_e32 vcc_lo, 0, v4
	v_mov_b32_e32 v3, 0
	s_and_not1_b32 s25, s25, exec_lo
	s_and_b32 s27, vcc_lo, exec_lo
	s_delay_alu instid0(SALU_CYCLE_1)
	s_or_b32 s25, s25, s27
	s_or_b32 exec_lo, exec_lo, s26
	s_and_saveexec_b32 s26, s25
	s_cbranch_execnz .LBB261_155
	s_branch .LBB261_156
.LBB261_168:
	v_dual_mov_b32 v3, 0 :: v_dual_mov_b32 v2, 0
	s_branch .LBB261_173
.LBB261_169:
	v_mov_b64_e32 v[2:3], 0
	v_mov_b32_e32 v1, v0
	s_mov_b32 s24, 0
.LBB261_170:
	s_and_b32 s28, s25, 3
	s_mov_b32 s25, 0
	s_cmp_eq_u32 s28, 0
	s_cbranch_scc1 .LBB261_173
; %bb.171:
	s_lshl_b32 s26, s24, 3
	s_mov_b32 s27, s25
	s_mul_u64 s[40:41], s[24:25], 12
	s_add_nc_u64 s[26:27], s[12:13], s[26:27]
	s_delay_alu instid0(SALU_CYCLE_1)
	s_add_nc_u64 s[24:25], s[26:27], 0xc4
	s_add_nc_u64 s[26:27], s[12:13], s[40:41]
.LBB261_172:                            ; =>This Inner Loop Header: Depth=1
	s_load_b96 s[40:42], s[26:27], 0x4
	s_add_co_i32 s28, s28, -1
	s_wait_xcnt 0x0
	s_add_nc_u64 s[26:27], s[26:27], 12
	s_cmp_lg_u32 s28, 0
	s_wait_kmcnt 0x0
	v_mul_hi_u32 v4, s41, v1
	s_delay_alu instid0(VALU_DEP_1) | instskip(NEXT) | instid1(VALU_DEP_1)
	v_add_nc_u32_e32 v4, v1, v4
	v_lshrrev_b32_e32 v4, s42, v4
	s_load_b64 s[42:43], s[24:25], 0x0
	s_wait_xcnt 0x0
	s_add_nc_u64 s[24:25], s[24:25], 8
	s_delay_alu instid0(VALU_DEP_1) | instskip(NEXT) | instid1(VALU_DEP_1)
	v_mul_lo_u32 v5, v4, s40
	v_sub_nc_u32_e32 v1, v1, v5
	s_wait_kmcnt 0x0
	s_delay_alu instid0(VALU_DEP_1)
	v_mad_u32 v3, v1, s43, v3
	v_mad_u32 v2, v1, s42, v2
	v_mov_b32_e32 v1, v4
	s_cbranch_scc1 .LBB261_172
.LBB261_173:
	s_cbranch_execnz .LBB261_176
.LBB261_174:
	v_mov_b32_e32 v1, 0
	s_and_not1_b32 vcc_lo, exec_lo, s35
	s_delay_alu instid0(VALU_DEP_1) | instskip(NEXT) | instid1(VALU_DEP_1)
	v_mul_u64_e32 v[2:3], s[16:17], v[0:1]
	v_add_nc_u32_e32 v2, v0, v3
	s_delay_alu instid0(VALU_DEP_1) | instskip(NEXT) | instid1(VALU_DEP_1)
	v_lshrrev_b32_e32 v4, s6, v2
	v_mul_lo_u32 v2, v4, s4
	s_delay_alu instid0(VALU_DEP_1) | instskip(NEXT) | instid1(VALU_DEP_1)
	v_sub_nc_u32_e32 v2, v0, v2
	v_mul_lo_u32 v3, v2, s9
	v_mul_lo_u32 v2, v2, s8
	s_cbranch_vccnz .LBB261_176
; %bb.175:
	v_mov_b32_e32 v5, v1
	s_delay_alu instid0(VALU_DEP_1) | instskip(NEXT) | instid1(VALU_DEP_1)
	v_mul_u64_e32 v[6:7], s[20:21], v[4:5]
	v_add_nc_u32_e32 v1, v4, v7
	s_delay_alu instid0(VALU_DEP_1) | instskip(NEXT) | instid1(VALU_DEP_1)
	v_lshrrev_b32_e32 v1, s19, v1
	v_mul_lo_u32 v1, v1, s7
	s_delay_alu instid0(VALU_DEP_1) | instskip(NEXT) | instid1(VALU_DEP_1)
	v_sub_nc_u32_e32 v1, v4, v1
	v_mad_u32 v2, v1, s10, v2
	v_mad_u32 v3, v1, s11, v3
.LBB261_176:
	global_load_u8 v1, v3, s[2:3]
	s_and_not1_b32 vcc_lo, exec_lo, s14
	s_cbranch_vccnz .LBB261_181
; %bb.177:
	s_and_b32 s25, s15, 0xff
	s_delay_alu instid0(SALU_CYCLE_1)
	s_cmp_lt_i32 s25, 0x80
	s_cbranch_scc1 .LBB261_182
; %bb.178:
	s_and_b32 s24, 0xffff, s25
	s_mov_b32 s26, -1
	s_cmp_eq_u32 s24, 0x80
	s_cbranch_scc0 .LBB261_180
; %bb.179:
	s_mov_b32 s26, 0
.LBB261_180:
	s_mov_b32 s24, 0x7f800001
	s_branch .LBB261_184
.LBB261_181:
                                        ; implicit-def: $sgpr24
	s_cbranch_execnz .LBB261_191
	s_branch .LBB261_208
.LBB261_182:
	s_mov_b32 s26, 0
	s_mov_b32 s24, 0x7f800001
	s_cbranch_execz .LBB261_184
; %bb.183:
	s_and_b32 s24, 0xffff, s25
	s_delay_alu instid0(SALU_CYCLE_1)
	s_cmp_lg_u32 s24, 0
	s_mov_b32 s24, 0
	s_cselect_b32 s26, -1, 0
.LBB261_184:
	s_delay_alu instid0(SALU_CYCLE_1)
	s_and_not1_b32 vcc_lo, exec_lo, s26
	s_cbranch_vccnz .LBB261_186
; %bb.185:
	s_mov_b32 s24, s5
.LBB261_186:
	s_wait_loadcnt 0x0
	v_and_b32_e32 v4, 0xff, v1
	s_mov_b32 s25, 0
	s_mov_b32 s26, exec_lo
	s_wait_xcnt 0x0
	s_delay_alu instid0(VALU_DEP_1)
	v_cmpx_lt_i16_e32 0x7f, v4
	s_xor_b32 s26, exec_lo, s26
	s_cbranch_execnz .LBB261_195
; %bb.187:
	s_or_saveexec_b32 s26, s26
	v_mov_b32_e32 v3, 0x7f800001
	s_xor_b32 exec_lo, exec_lo, s26
	s_cbranch_execnz .LBB261_198
.LBB261_188:
	s_or_b32 exec_lo, exec_lo, s26
	s_and_saveexec_b32 s26, s25
	s_cbranch_execz .LBB261_190
.LBB261_189:
	v_and_b32_e32 v3, 3, v1
	v_lshrrev_b16 v5, 2, v1
	v_lshlrev_b32_e32 v7, 24, v1
	s_delay_alu instid0(VALU_DEP_3) | instskip(NEXT) | instid1(VALU_DEP_1)
	v_clz_i32_u32_e32 v4, v3
	v_min_u32_e32 v4, 32, v4
	s_delay_alu instid0(VALU_DEP_4) | instskip(NEXT) | instid1(VALU_DEP_2)
	v_and_b32_e32 v5, 31, v5
	v_subrev_nc_u32_e32 v6, 29, v4
	v_sub_nc_u32_e32 v4, 30, v4
	s_delay_alu instid0(VALU_DEP_3) | instskip(NEXT) | instid1(VALU_DEP_3)
	v_cmp_eq_u32_e32 vcc_lo, 0, v5
	v_lshlrev_b32_e32 v6, v6, v1
	s_delay_alu instid0(VALU_DEP_1) | instskip(SKIP_1) | instid1(VALU_DEP_2)
	v_dual_cndmask_b32 v4, v5, v4, vcc_lo :: v_dual_bitop2_b32 v6, 3, v6 bitop3:0x40
	v_and_b32_e32 v5, 0x80000000, v7
	v_cndmask_b32_e32 v3, v3, v6, vcc_lo
	s_delay_alu instid0(VALU_DEP_3) | instskip(NEXT) | instid1(VALU_DEP_2)
	v_lshl_add_u32 v4, v4, 23, 0x37800000
	v_lshlrev_b32_e32 v3, 21, v3
	s_delay_alu instid0(VALU_DEP_1)
	v_or3_b32 v3, v5, v4, v3
.LBB261_190:
	s_or_b32 exec_lo, exec_lo, s26
	s_delay_alu instid0(VALU_DEP_1)
	v_cmp_neq_f32_e64 s24, s24, v3
	s_branch .LBB261_208
.LBB261_191:
	s_and_b32 s25, s15, 0xff
	s_delay_alu instid0(SALU_CYCLE_1)
	s_cmp_lt_i32 s25, 0x80
	s_cbranch_scc1 .LBB261_199
; %bb.192:
	s_and_b32 s24, 0xffff, s25
	s_mov_b32 s26, -1
	s_cmp_eq_u32 s24, 0x80
	s_cbranch_scc0 .LBB261_194
; %bb.193:
	s_mov_b32 s26, 0
.LBB261_194:
	s_mov_b32 s24, 0x7f800001
	s_branch .LBB261_201
.LBB261_195:
	s_mov_b32 s25, -1
	s_mov_b32 s27, exec_lo
	v_cmpx_eq_u16_e32 0x80, v4
; %bb.196:
	s_xor_b32 s25, exec_lo, -1
; %bb.197:
	s_or_b32 exec_lo, exec_lo, s27
	s_delay_alu instid0(SALU_CYCLE_1)
	s_and_b32 s25, s25, exec_lo
                                        ; implicit-def: $vgpr4
	s_or_saveexec_b32 s26, s26
	v_mov_b32_e32 v3, 0x7f800001
	s_xor_b32 exec_lo, exec_lo, s26
	s_cbranch_execz .LBB261_188
.LBB261_198:
	v_cmp_ne_u16_e32 vcc_lo, 0, v4
	v_mov_b32_e32 v3, 0
	s_and_not1_b32 s25, s25, exec_lo
	s_and_b32 s27, vcc_lo, exec_lo
	s_delay_alu instid0(SALU_CYCLE_1)
	s_or_b32 s25, s25, s27
	s_or_b32 exec_lo, exec_lo, s26
	s_and_saveexec_b32 s26, s25
	s_cbranch_execnz .LBB261_189
	s_branch .LBB261_190
.LBB261_199:
	s_mov_b32 s26, 0
	s_mov_b32 s24, 0x7f800001
	s_cbranch_execz .LBB261_201
; %bb.200:
	s_and_b32 s24, 0xffff, s25
	s_delay_alu instid0(SALU_CYCLE_1)
	s_cmp_lg_u32 s24, 0
	s_mov_b32 s24, 0
	s_cselect_b32 s26, -1, 0
.LBB261_201:
	s_delay_alu instid0(SALU_CYCLE_1)
	s_and_not1_b32 vcc_lo, exec_lo, s26
	s_cbranch_vccnz .LBB261_203
; %bb.202:
	s_mov_b32 s24, s5
.LBB261_203:
	s_wait_loadcnt 0x0
	v_and_b32_e32 v4, 0xff, v1
	s_mov_b32 s25, 0
	s_mov_b32 s26, exec_lo
	s_wait_xcnt 0x0
	s_delay_alu instid0(VALU_DEP_1)
	v_cmpx_lt_i16_e32 0x7f, v4
	s_xor_b32 s26, exec_lo, s26
	s_cbranch_execnz .LBB261_215
; %bb.204:
	s_or_saveexec_b32 s26, s26
	v_mov_b32_e32 v3, 0x7f800001
	s_xor_b32 exec_lo, exec_lo, s26
	s_cbranch_execnz .LBB261_218
.LBB261_205:
	s_or_b32 exec_lo, exec_lo, s26
	s_and_saveexec_b32 s26, s25
	s_cbranch_execz .LBB261_207
.LBB261_206:
	v_and_b32_e32 v3, 3, v1
	v_lshrrev_b16 v5, 2, v1
	s_delay_alu instid0(VALU_DEP_2) | instskip(NEXT) | instid1(VALU_DEP_1)
	v_clz_i32_u32_e32 v4, v3
	v_min_u32_e32 v4, 32, v4
	s_delay_alu instid0(VALU_DEP_3) | instskip(NEXT) | instid1(VALU_DEP_2)
	v_and_b32_e32 v5, 31, v5
	v_subrev_nc_u32_e32 v6, 29, v4
	v_sub_nc_u32_e32 v4, 30, v4
	s_delay_alu instid0(VALU_DEP_3) | instskip(NEXT) | instid1(VALU_DEP_3)
	v_cmp_eq_u32_e32 vcc_lo, 0, v5
	v_dual_lshlrev_b32 v6, v6, v1 :: v_dual_lshlrev_b32 v1, 24, v1
	s_delay_alu instid0(VALU_DEP_1) | instskip(NEXT) | instid1(VALU_DEP_2)
	v_dual_cndmask_b32 v4, v5, v4, vcc_lo :: v_dual_bitop2_b32 v6, 3, v6 bitop3:0x40
	v_and_b32_e32 v1, 0x80000000, v1
	s_delay_alu instid0(VALU_DEP_2) | instskip(NEXT) | instid1(VALU_DEP_3)
	v_cndmask_b32_e32 v3, v3, v6, vcc_lo
	v_lshl_add_u32 v4, v4, 23, 0x37800000
	s_delay_alu instid0(VALU_DEP_2) | instskip(NEXT) | instid1(VALU_DEP_1)
	v_lshlrev_b32_e32 v3, 21, v3
	v_or3_b32 v3, v1, v4, v3
.LBB261_207:
	s_or_b32 exec_lo, exec_lo, s26
	s_delay_alu instid0(VALU_DEP_1)
	v_cmp_eq_f32_e64 s24, s24, v3
.LBB261_208:
	s_wait_loadcnt 0x0
	s_delay_alu instid0(VALU_DEP_1) | instskip(SKIP_4) | instid1(SALU_CYCLE_1)
	v_cndmask_b32_e64 v1, 0, 1, s24
	v_add_nc_u32_e32 v0, 0x80, v0
	global_store_b8 v2, v1, s[0:1]
	s_wait_xcnt 0x0
	s_or_b32 exec_lo, exec_lo, s18
	s_mov_b32 s18, exec_lo
	v_cmpx_gt_i32_e64 s36, v0
	s_cbranch_execz .LBB261_6
.LBB261_209:
	s_and_not1_b32 vcc_lo, exec_lo, s33
	s_cbranch_vccnz .LBB261_214
; %bb.210:
	s_and_not1_b32 vcc_lo, exec_lo, s38
	s_cbranch_vccnz .LBB261_219
; %bb.211:
	s_add_co_i32 s25, s37, 1
	s_cmp_eq_u32 s31, 2
	s_cbranch_scc1 .LBB261_220
; %bb.212:
	v_dual_mov_b32 v2, 0 :: v_dual_mov_b32 v3, 0
	v_mov_b32_e32 v1, v0
	s_and_b32 s24, s25, 28
	s_mov_b32 s39, 0
	s_mov_b64 s[26:27], s[12:13]
	s_mov_b64 s[28:29], s[22:23]
.LBB261_213:                            ; =>This Inner Loop Header: Depth=1
	s_clause 0x1
	s_load_b256 s[40:47], s[26:27], 0x4
	s_load_b128 s[56:59], s[26:27], 0x24
	s_load_b256 s[48:55], s[28:29], 0x0
	s_add_co_i32 s39, s39, 4
	s_wait_xcnt 0x0
	s_add_nc_u64 s[26:27], s[26:27], 48
	s_cmp_eq_u32 s24, s39
	s_add_nc_u64 s[28:29], s[28:29], 32
	s_wait_kmcnt 0x0
	v_mul_hi_u32 v4, s41, v1
	s_delay_alu instid0(VALU_DEP_1) | instskip(NEXT) | instid1(VALU_DEP_1)
	v_add_nc_u32_e32 v4, v1, v4
	v_lshrrev_b32_e32 v4, s42, v4
	s_delay_alu instid0(VALU_DEP_1) | instskip(NEXT) | instid1(VALU_DEP_1)
	v_mul_hi_u32 v5, s44, v4
	v_add_nc_u32_e32 v5, v4, v5
	s_delay_alu instid0(VALU_DEP_1) | instskip(NEXT) | instid1(VALU_DEP_1)
	v_lshrrev_b32_e32 v5, s45, v5
	v_mul_hi_u32 v6, s47, v5
	s_delay_alu instid0(VALU_DEP_1) | instskip(SKIP_1) | instid1(VALU_DEP_1)
	v_add_nc_u32_e32 v6, v5, v6
	v_mul_lo_u32 v7, v4, s40
	v_sub_nc_u32_e32 v1, v1, v7
	v_mul_lo_u32 v7, v5, s43
	s_delay_alu instid0(VALU_DEP_4) | instskip(NEXT) | instid1(VALU_DEP_3)
	v_lshrrev_b32_e32 v6, s56, v6
	v_mad_u32 v3, v1, s49, v3
	v_mad_u32 v1, v1, s48, v2
	s_delay_alu instid0(VALU_DEP_4) | instskip(NEXT) | instid1(VALU_DEP_4)
	v_sub_nc_u32_e32 v2, v4, v7
	v_mul_hi_u32 v8, s58, v6
	v_mul_lo_u32 v4, v6, s46
	s_delay_alu instid0(VALU_DEP_3) | instskip(SKIP_1) | instid1(VALU_DEP_4)
	v_mad_u32 v3, v2, s51, v3
	v_mad_u32 v2, v2, s50, v1
	v_add_nc_u32_e32 v7, v6, v8
	s_delay_alu instid0(VALU_DEP_1) | instskip(NEXT) | instid1(VALU_DEP_1)
	v_dual_sub_nc_u32 v4, v5, v4 :: v_dual_lshrrev_b32 v1, s59, v7
	v_mad_u32 v3, v4, s53, v3
	s_delay_alu instid0(VALU_DEP_4) | instskip(NEXT) | instid1(VALU_DEP_3)
	v_mad_u32 v2, v4, s52, v2
	v_mul_lo_u32 v5, v1, s57
	s_delay_alu instid0(VALU_DEP_1) | instskip(NEXT) | instid1(VALU_DEP_1)
	v_sub_nc_u32_e32 v4, v6, v5
	v_mad_u32 v3, v4, s55, v3
	s_delay_alu instid0(VALU_DEP_4)
	v_mad_u32 v2, v4, s54, v2
	s_cbranch_scc0 .LBB261_213
	s_branch .LBB261_221
.LBB261_214:
                                        ; implicit-def: $vgpr3
	s_branch .LBB261_225
.LBB261_215:
	s_mov_b32 s25, -1
	s_mov_b32 s27, exec_lo
	v_cmpx_eq_u16_e32 0x80, v4
; %bb.216:
	s_xor_b32 s25, exec_lo, -1
; %bb.217:
	s_or_b32 exec_lo, exec_lo, s27
	s_delay_alu instid0(SALU_CYCLE_1)
	s_and_b32 s25, s25, exec_lo
                                        ; implicit-def: $vgpr4
	s_or_saveexec_b32 s26, s26
	v_mov_b32_e32 v3, 0x7f800001
	s_xor_b32 exec_lo, exec_lo, s26
	s_cbranch_execz .LBB261_205
.LBB261_218:
	v_cmp_ne_u16_e32 vcc_lo, 0, v4
	v_mov_b32_e32 v3, 0
	s_and_not1_b32 s25, s25, exec_lo
	s_and_b32 s27, vcc_lo, exec_lo
	s_delay_alu instid0(SALU_CYCLE_1)
	s_or_b32 s25, s25, s27
	s_or_b32 exec_lo, exec_lo, s26
	s_and_saveexec_b32 s26, s25
	s_cbranch_execnz .LBB261_206
	s_branch .LBB261_207
.LBB261_219:
	v_dual_mov_b32 v3, 0 :: v_dual_mov_b32 v2, 0
	s_branch .LBB261_224
.LBB261_220:
	v_mov_b64_e32 v[2:3], 0
	v_mov_b32_e32 v1, v0
	s_mov_b32 s24, 0
.LBB261_221:
	s_and_b32 s28, s25, 3
	s_mov_b32 s25, 0
	s_cmp_eq_u32 s28, 0
	s_cbranch_scc1 .LBB261_224
; %bb.222:
	s_lshl_b32 s26, s24, 3
	s_mov_b32 s27, s25
	s_mul_u64 s[40:41], s[24:25], 12
	s_add_nc_u64 s[26:27], s[12:13], s[26:27]
	s_delay_alu instid0(SALU_CYCLE_1)
	s_add_nc_u64 s[24:25], s[26:27], 0xc4
	s_add_nc_u64 s[26:27], s[12:13], s[40:41]
.LBB261_223:                            ; =>This Inner Loop Header: Depth=1
	s_load_b96 s[40:42], s[26:27], 0x4
	s_add_co_i32 s28, s28, -1
	s_wait_xcnt 0x0
	s_add_nc_u64 s[26:27], s[26:27], 12
	s_cmp_lg_u32 s28, 0
	s_wait_kmcnt 0x0
	v_mul_hi_u32 v4, s41, v1
	s_delay_alu instid0(VALU_DEP_1) | instskip(NEXT) | instid1(VALU_DEP_1)
	v_add_nc_u32_e32 v4, v1, v4
	v_lshrrev_b32_e32 v4, s42, v4
	s_load_b64 s[42:43], s[24:25], 0x0
	s_wait_xcnt 0x0
	s_add_nc_u64 s[24:25], s[24:25], 8
	s_delay_alu instid0(VALU_DEP_1) | instskip(NEXT) | instid1(VALU_DEP_1)
	v_mul_lo_u32 v5, v4, s40
	v_sub_nc_u32_e32 v1, v1, v5
	s_wait_kmcnt 0x0
	s_delay_alu instid0(VALU_DEP_1)
	v_mad_u32 v3, v1, s43, v3
	v_mad_u32 v2, v1, s42, v2
	v_mov_b32_e32 v1, v4
	s_cbranch_scc1 .LBB261_223
.LBB261_224:
	s_cbranch_execnz .LBB261_227
.LBB261_225:
	v_mov_b32_e32 v1, 0
	s_and_not1_b32 vcc_lo, exec_lo, s35
	s_delay_alu instid0(VALU_DEP_1) | instskip(NEXT) | instid1(VALU_DEP_1)
	v_mul_u64_e32 v[2:3], s[16:17], v[0:1]
	v_add_nc_u32_e32 v2, v0, v3
	s_delay_alu instid0(VALU_DEP_1) | instskip(NEXT) | instid1(VALU_DEP_1)
	v_lshrrev_b32_e32 v4, s6, v2
	v_mul_lo_u32 v2, v4, s4
	s_delay_alu instid0(VALU_DEP_1) | instskip(NEXT) | instid1(VALU_DEP_1)
	v_sub_nc_u32_e32 v2, v0, v2
	v_mul_lo_u32 v3, v2, s9
	v_mul_lo_u32 v2, v2, s8
	s_cbranch_vccnz .LBB261_227
; %bb.226:
	v_mov_b32_e32 v5, v1
	s_delay_alu instid0(VALU_DEP_1) | instskip(NEXT) | instid1(VALU_DEP_1)
	v_mul_u64_e32 v[6:7], s[20:21], v[4:5]
	v_add_nc_u32_e32 v1, v4, v7
	s_delay_alu instid0(VALU_DEP_1) | instskip(NEXT) | instid1(VALU_DEP_1)
	v_lshrrev_b32_e32 v1, s19, v1
	v_mul_lo_u32 v1, v1, s7
	s_delay_alu instid0(VALU_DEP_1) | instskip(NEXT) | instid1(VALU_DEP_1)
	v_sub_nc_u32_e32 v1, v4, v1
	v_mad_u32 v2, v1, s10, v2
	v_mad_u32 v3, v1, s11, v3
.LBB261_227:
	global_load_u8 v1, v3, s[2:3]
	s_and_not1_b32 vcc_lo, exec_lo, s14
	s_cbranch_vccnz .LBB261_232
; %bb.228:
	s_and_b32 s25, s15, 0xff
	s_delay_alu instid0(SALU_CYCLE_1)
	s_cmp_lt_i32 s25, 0x80
	s_cbranch_scc1 .LBB261_233
; %bb.229:
	s_and_b32 s24, 0xffff, s25
	s_mov_b32 s26, -1
	s_cmp_eq_u32 s24, 0x80
	s_cbranch_scc0 .LBB261_231
; %bb.230:
	s_mov_b32 s26, 0
.LBB261_231:
	s_mov_b32 s24, 0x7f800001
	s_branch .LBB261_235
.LBB261_232:
                                        ; implicit-def: $sgpr24
	s_cbranch_execnz .LBB261_242
	s_branch .LBB261_259
.LBB261_233:
	s_mov_b32 s26, 0
	s_mov_b32 s24, 0x7f800001
	s_cbranch_execz .LBB261_235
; %bb.234:
	s_and_b32 s24, 0xffff, s25
	s_delay_alu instid0(SALU_CYCLE_1)
	s_cmp_lg_u32 s24, 0
	s_mov_b32 s24, 0
	s_cselect_b32 s26, -1, 0
.LBB261_235:
	s_delay_alu instid0(SALU_CYCLE_1)
	s_and_not1_b32 vcc_lo, exec_lo, s26
	s_cbranch_vccnz .LBB261_237
; %bb.236:
	s_mov_b32 s24, s5
.LBB261_237:
	s_wait_loadcnt 0x0
	v_and_b32_e32 v4, 0xff, v1
	s_mov_b32 s25, 0
	s_mov_b32 s26, exec_lo
	s_wait_xcnt 0x0
	s_delay_alu instid0(VALU_DEP_1)
	v_cmpx_lt_i16_e32 0x7f, v4
	s_xor_b32 s26, exec_lo, s26
	s_cbranch_execnz .LBB261_246
; %bb.238:
	s_or_saveexec_b32 s26, s26
	v_mov_b32_e32 v3, 0x7f800001
	s_xor_b32 exec_lo, exec_lo, s26
	s_cbranch_execnz .LBB261_249
.LBB261_239:
	s_or_b32 exec_lo, exec_lo, s26
	s_and_saveexec_b32 s26, s25
	s_cbranch_execz .LBB261_241
.LBB261_240:
	v_and_b32_e32 v3, 3, v1
	v_lshrrev_b16 v5, 2, v1
	v_lshlrev_b32_e32 v7, 24, v1
	s_delay_alu instid0(VALU_DEP_3) | instskip(NEXT) | instid1(VALU_DEP_1)
	v_clz_i32_u32_e32 v4, v3
	v_min_u32_e32 v4, 32, v4
	s_delay_alu instid0(VALU_DEP_4) | instskip(NEXT) | instid1(VALU_DEP_2)
	v_and_b32_e32 v5, 31, v5
	v_subrev_nc_u32_e32 v6, 29, v4
	v_sub_nc_u32_e32 v4, 30, v4
	s_delay_alu instid0(VALU_DEP_3) | instskip(NEXT) | instid1(VALU_DEP_3)
	v_cmp_eq_u32_e32 vcc_lo, 0, v5
	v_lshlrev_b32_e32 v6, v6, v1
	s_delay_alu instid0(VALU_DEP_1) | instskip(SKIP_1) | instid1(VALU_DEP_2)
	v_dual_cndmask_b32 v4, v5, v4, vcc_lo :: v_dual_bitop2_b32 v6, 3, v6 bitop3:0x40
	v_and_b32_e32 v5, 0x80000000, v7
	v_cndmask_b32_e32 v3, v3, v6, vcc_lo
	s_delay_alu instid0(VALU_DEP_3) | instskip(NEXT) | instid1(VALU_DEP_2)
	v_lshl_add_u32 v4, v4, 23, 0x37800000
	v_lshlrev_b32_e32 v3, 21, v3
	s_delay_alu instid0(VALU_DEP_1)
	v_or3_b32 v3, v5, v4, v3
.LBB261_241:
	s_or_b32 exec_lo, exec_lo, s26
	s_delay_alu instid0(VALU_DEP_1)
	v_cmp_neq_f32_e64 s24, s24, v3
	s_branch .LBB261_259
.LBB261_242:
	s_and_b32 s25, s15, 0xff
	s_delay_alu instid0(SALU_CYCLE_1)
	s_cmp_lt_i32 s25, 0x80
	s_cbranch_scc1 .LBB261_250
; %bb.243:
	s_and_b32 s24, 0xffff, s25
	s_mov_b32 s26, -1
	s_cmp_eq_u32 s24, 0x80
	s_cbranch_scc0 .LBB261_245
; %bb.244:
	s_mov_b32 s26, 0
.LBB261_245:
	s_mov_b32 s24, 0x7f800001
	s_branch .LBB261_252
.LBB261_246:
	s_mov_b32 s25, -1
	s_mov_b32 s27, exec_lo
	v_cmpx_eq_u16_e32 0x80, v4
; %bb.247:
	s_xor_b32 s25, exec_lo, -1
; %bb.248:
	s_or_b32 exec_lo, exec_lo, s27
	s_delay_alu instid0(SALU_CYCLE_1)
	s_and_b32 s25, s25, exec_lo
                                        ; implicit-def: $vgpr4
	s_or_saveexec_b32 s26, s26
	v_mov_b32_e32 v3, 0x7f800001
	s_xor_b32 exec_lo, exec_lo, s26
	s_cbranch_execz .LBB261_239
.LBB261_249:
	v_cmp_ne_u16_e32 vcc_lo, 0, v4
	v_mov_b32_e32 v3, 0
	s_and_not1_b32 s25, s25, exec_lo
	s_and_b32 s27, vcc_lo, exec_lo
	s_delay_alu instid0(SALU_CYCLE_1)
	s_or_b32 s25, s25, s27
	s_or_b32 exec_lo, exec_lo, s26
	s_and_saveexec_b32 s26, s25
	s_cbranch_execnz .LBB261_240
	s_branch .LBB261_241
.LBB261_250:
	s_mov_b32 s26, 0
	s_mov_b32 s24, 0x7f800001
	s_cbranch_execz .LBB261_252
; %bb.251:
	s_and_b32 s24, 0xffff, s25
	s_delay_alu instid0(SALU_CYCLE_1)
	s_cmp_lg_u32 s24, 0
	s_mov_b32 s24, 0
	s_cselect_b32 s26, -1, 0
.LBB261_252:
	s_delay_alu instid0(SALU_CYCLE_1)
	s_and_not1_b32 vcc_lo, exec_lo, s26
	s_cbranch_vccnz .LBB261_254
; %bb.253:
	s_mov_b32 s24, s5
.LBB261_254:
	s_wait_loadcnt 0x0
	v_and_b32_e32 v4, 0xff, v1
	s_mov_b32 s25, 0
	s_mov_b32 s26, exec_lo
	s_wait_xcnt 0x0
	s_delay_alu instid0(VALU_DEP_1)
	v_cmpx_lt_i16_e32 0x7f, v4
	s_xor_b32 s26, exec_lo, s26
	s_cbranch_execnz .LBB261_266
; %bb.255:
	s_or_saveexec_b32 s26, s26
	v_mov_b32_e32 v3, 0x7f800001
	s_xor_b32 exec_lo, exec_lo, s26
	s_cbranch_execnz .LBB261_269
.LBB261_256:
	s_or_b32 exec_lo, exec_lo, s26
	s_and_saveexec_b32 s26, s25
	s_cbranch_execz .LBB261_258
.LBB261_257:
	v_and_b32_e32 v3, 3, v1
	v_lshrrev_b16 v5, 2, v1
	s_delay_alu instid0(VALU_DEP_2) | instskip(NEXT) | instid1(VALU_DEP_1)
	v_clz_i32_u32_e32 v4, v3
	v_min_u32_e32 v4, 32, v4
	s_delay_alu instid0(VALU_DEP_3) | instskip(NEXT) | instid1(VALU_DEP_2)
	v_and_b32_e32 v5, 31, v5
	v_subrev_nc_u32_e32 v6, 29, v4
	v_sub_nc_u32_e32 v4, 30, v4
	s_delay_alu instid0(VALU_DEP_3) | instskip(NEXT) | instid1(VALU_DEP_3)
	v_cmp_eq_u32_e32 vcc_lo, 0, v5
	v_dual_lshlrev_b32 v6, v6, v1 :: v_dual_lshlrev_b32 v1, 24, v1
	s_delay_alu instid0(VALU_DEP_1) | instskip(NEXT) | instid1(VALU_DEP_2)
	v_dual_cndmask_b32 v4, v5, v4, vcc_lo :: v_dual_bitop2_b32 v6, 3, v6 bitop3:0x40
	v_and_b32_e32 v1, 0x80000000, v1
	s_delay_alu instid0(VALU_DEP_2) | instskip(NEXT) | instid1(VALU_DEP_3)
	v_cndmask_b32_e32 v3, v3, v6, vcc_lo
	v_lshl_add_u32 v4, v4, 23, 0x37800000
	s_delay_alu instid0(VALU_DEP_2) | instskip(NEXT) | instid1(VALU_DEP_1)
	v_lshlrev_b32_e32 v3, 21, v3
	v_or3_b32 v3, v1, v4, v3
.LBB261_258:
	s_or_b32 exec_lo, exec_lo, s26
	s_delay_alu instid0(VALU_DEP_1)
	v_cmp_eq_f32_e64 s24, s24, v3
.LBB261_259:
	s_wait_loadcnt 0x0
	s_delay_alu instid0(VALU_DEP_1) | instskip(SKIP_4) | instid1(SALU_CYCLE_1)
	v_cndmask_b32_e64 v1, 0, 1, s24
	v_add_nc_u32_e32 v0, 0x80, v0
	global_store_b8 v2, v1, s[0:1]
	s_wait_xcnt 0x0
	s_or_b32 exec_lo, exec_lo, s18
	s_mov_b32 s18, exec_lo
	v_cmpx_gt_i32_e64 s36, v0
	s_cbranch_execz .LBB261_7
.LBB261_260:
	s_and_not1_b32 vcc_lo, exec_lo, s33
	s_cbranch_vccnz .LBB261_265
; %bb.261:
	s_and_not1_b32 vcc_lo, exec_lo, s38
	s_cbranch_vccnz .LBB261_270
; %bb.262:
	s_add_co_i32 s25, s37, 1
	s_cmp_eq_u32 s31, 2
	s_cbranch_scc1 .LBB261_271
; %bb.263:
	v_dual_mov_b32 v2, 0 :: v_dual_mov_b32 v3, 0
	v_mov_b32_e32 v1, v0
	s_and_b32 s24, s25, 28
	s_mov_b32 s39, 0
	s_mov_b64 s[26:27], s[12:13]
	s_mov_b64 s[28:29], s[22:23]
.LBB261_264:                            ; =>This Inner Loop Header: Depth=1
	s_clause 0x1
	s_load_b256 s[40:47], s[26:27], 0x4
	s_load_b128 s[56:59], s[26:27], 0x24
	s_load_b256 s[48:55], s[28:29], 0x0
	s_add_co_i32 s39, s39, 4
	s_wait_xcnt 0x0
	s_add_nc_u64 s[26:27], s[26:27], 48
	s_cmp_eq_u32 s24, s39
	s_add_nc_u64 s[28:29], s[28:29], 32
	s_wait_kmcnt 0x0
	v_mul_hi_u32 v4, s41, v1
	s_delay_alu instid0(VALU_DEP_1) | instskip(NEXT) | instid1(VALU_DEP_1)
	v_add_nc_u32_e32 v4, v1, v4
	v_lshrrev_b32_e32 v4, s42, v4
	s_delay_alu instid0(VALU_DEP_1) | instskip(NEXT) | instid1(VALU_DEP_1)
	v_mul_hi_u32 v5, s44, v4
	v_add_nc_u32_e32 v5, v4, v5
	s_delay_alu instid0(VALU_DEP_1) | instskip(NEXT) | instid1(VALU_DEP_1)
	v_lshrrev_b32_e32 v5, s45, v5
	v_mul_hi_u32 v6, s47, v5
	s_delay_alu instid0(VALU_DEP_1) | instskip(SKIP_1) | instid1(VALU_DEP_1)
	v_add_nc_u32_e32 v6, v5, v6
	v_mul_lo_u32 v7, v4, s40
	v_sub_nc_u32_e32 v1, v1, v7
	v_mul_lo_u32 v7, v5, s43
	s_delay_alu instid0(VALU_DEP_4) | instskip(NEXT) | instid1(VALU_DEP_3)
	v_lshrrev_b32_e32 v6, s56, v6
	v_mad_u32 v3, v1, s49, v3
	v_mad_u32 v1, v1, s48, v2
	s_delay_alu instid0(VALU_DEP_4) | instskip(NEXT) | instid1(VALU_DEP_4)
	v_sub_nc_u32_e32 v2, v4, v7
	v_mul_hi_u32 v8, s58, v6
	v_mul_lo_u32 v4, v6, s46
	s_delay_alu instid0(VALU_DEP_3) | instskip(SKIP_1) | instid1(VALU_DEP_4)
	v_mad_u32 v3, v2, s51, v3
	v_mad_u32 v2, v2, s50, v1
	v_add_nc_u32_e32 v7, v6, v8
	s_delay_alu instid0(VALU_DEP_1) | instskip(NEXT) | instid1(VALU_DEP_1)
	v_dual_sub_nc_u32 v4, v5, v4 :: v_dual_lshrrev_b32 v1, s59, v7
	v_mad_u32 v3, v4, s53, v3
	s_delay_alu instid0(VALU_DEP_4) | instskip(NEXT) | instid1(VALU_DEP_3)
	v_mad_u32 v2, v4, s52, v2
	v_mul_lo_u32 v5, v1, s57
	s_delay_alu instid0(VALU_DEP_1) | instskip(NEXT) | instid1(VALU_DEP_1)
	v_sub_nc_u32_e32 v4, v6, v5
	v_mad_u32 v3, v4, s55, v3
	s_delay_alu instid0(VALU_DEP_4)
	v_mad_u32 v2, v4, s54, v2
	s_cbranch_scc0 .LBB261_264
	s_branch .LBB261_272
.LBB261_265:
                                        ; implicit-def: $vgpr3
	s_branch .LBB261_276
.LBB261_266:
	s_mov_b32 s25, -1
	s_mov_b32 s27, exec_lo
	v_cmpx_eq_u16_e32 0x80, v4
; %bb.267:
	s_xor_b32 s25, exec_lo, -1
; %bb.268:
	s_or_b32 exec_lo, exec_lo, s27
	s_delay_alu instid0(SALU_CYCLE_1)
	s_and_b32 s25, s25, exec_lo
                                        ; implicit-def: $vgpr4
	s_or_saveexec_b32 s26, s26
	v_mov_b32_e32 v3, 0x7f800001
	s_xor_b32 exec_lo, exec_lo, s26
	s_cbranch_execz .LBB261_256
.LBB261_269:
	v_cmp_ne_u16_e32 vcc_lo, 0, v4
	v_mov_b32_e32 v3, 0
	s_and_not1_b32 s25, s25, exec_lo
	s_and_b32 s27, vcc_lo, exec_lo
	s_delay_alu instid0(SALU_CYCLE_1)
	s_or_b32 s25, s25, s27
	s_or_b32 exec_lo, exec_lo, s26
	s_and_saveexec_b32 s26, s25
	s_cbranch_execnz .LBB261_257
	s_branch .LBB261_258
.LBB261_270:
	v_dual_mov_b32 v3, 0 :: v_dual_mov_b32 v2, 0
	s_branch .LBB261_275
.LBB261_271:
	v_mov_b64_e32 v[2:3], 0
	v_mov_b32_e32 v1, v0
	s_mov_b32 s24, 0
.LBB261_272:
	s_and_b32 s28, s25, 3
	s_mov_b32 s25, 0
	s_cmp_eq_u32 s28, 0
	s_cbranch_scc1 .LBB261_275
; %bb.273:
	s_lshl_b32 s26, s24, 3
	s_mov_b32 s27, s25
	s_mul_u64 s[40:41], s[24:25], 12
	s_add_nc_u64 s[26:27], s[12:13], s[26:27]
	s_delay_alu instid0(SALU_CYCLE_1)
	s_add_nc_u64 s[24:25], s[26:27], 0xc4
	s_add_nc_u64 s[26:27], s[12:13], s[40:41]
.LBB261_274:                            ; =>This Inner Loop Header: Depth=1
	s_load_b96 s[40:42], s[26:27], 0x4
	s_add_co_i32 s28, s28, -1
	s_wait_xcnt 0x0
	s_add_nc_u64 s[26:27], s[26:27], 12
	s_cmp_lg_u32 s28, 0
	s_wait_kmcnt 0x0
	v_mul_hi_u32 v4, s41, v1
	s_delay_alu instid0(VALU_DEP_1) | instskip(NEXT) | instid1(VALU_DEP_1)
	v_add_nc_u32_e32 v4, v1, v4
	v_lshrrev_b32_e32 v4, s42, v4
	s_load_b64 s[42:43], s[24:25], 0x0
	s_wait_xcnt 0x0
	s_add_nc_u64 s[24:25], s[24:25], 8
	s_delay_alu instid0(VALU_DEP_1) | instskip(NEXT) | instid1(VALU_DEP_1)
	v_mul_lo_u32 v5, v4, s40
	v_sub_nc_u32_e32 v1, v1, v5
	s_wait_kmcnt 0x0
	s_delay_alu instid0(VALU_DEP_1)
	v_mad_u32 v3, v1, s43, v3
	v_mad_u32 v2, v1, s42, v2
	v_mov_b32_e32 v1, v4
	s_cbranch_scc1 .LBB261_274
.LBB261_275:
	s_cbranch_execnz .LBB261_278
.LBB261_276:
	v_mov_b32_e32 v1, 0
	s_and_not1_b32 vcc_lo, exec_lo, s35
	s_delay_alu instid0(VALU_DEP_1) | instskip(NEXT) | instid1(VALU_DEP_1)
	v_mul_u64_e32 v[2:3], s[16:17], v[0:1]
	v_add_nc_u32_e32 v2, v0, v3
	s_delay_alu instid0(VALU_DEP_1) | instskip(NEXT) | instid1(VALU_DEP_1)
	v_lshrrev_b32_e32 v4, s6, v2
	v_mul_lo_u32 v2, v4, s4
	s_delay_alu instid0(VALU_DEP_1) | instskip(NEXT) | instid1(VALU_DEP_1)
	v_sub_nc_u32_e32 v2, v0, v2
	v_mul_lo_u32 v3, v2, s9
	v_mul_lo_u32 v2, v2, s8
	s_cbranch_vccnz .LBB261_278
; %bb.277:
	v_mov_b32_e32 v5, v1
	s_delay_alu instid0(VALU_DEP_1) | instskip(NEXT) | instid1(VALU_DEP_1)
	v_mul_u64_e32 v[6:7], s[20:21], v[4:5]
	v_add_nc_u32_e32 v1, v4, v7
	s_delay_alu instid0(VALU_DEP_1) | instskip(NEXT) | instid1(VALU_DEP_1)
	v_lshrrev_b32_e32 v1, s19, v1
	v_mul_lo_u32 v1, v1, s7
	s_delay_alu instid0(VALU_DEP_1) | instskip(NEXT) | instid1(VALU_DEP_1)
	v_sub_nc_u32_e32 v1, v4, v1
	v_mad_u32 v2, v1, s10, v2
	v_mad_u32 v3, v1, s11, v3
.LBB261_278:
	global_load_u8 v1, v3, s[2:3]
	s_and_not1_b32 vcc_lo, exec_lo, s14
	s_cbranch_vccnz .LBB261_283
; %bb.279:
	s_and_b32 s25, s15, 0xff
	s_delay_alu instid0(SALU_CYCLE_1)
	s_cmp_lt_i32 s25, 0x80
	s_cbranch_scc1 .LBB261_284
; %bb.280:
	s_and_b32 s24, 0xffff, s25
	s_mov_b32 s26, -1
	s_cmp_eq_u32 s24, 0x80
	s_cbranch_scc0 .LBB261_282
; %bb.281:
	s_mov_b32 s26, 0
.LBB261_282:
	s_mov_b32 s24, 0x7f800001
	s_branch .LBB261_286
.LBB261_283:
                                        ; implicit-def: $sgpr24
	s_cbranch_execnz .LBB261_293
	s_branch .LBB261_310
.LBB261_284:
	s_mov_b32 s26, 0
	s_mov_b32 s24, 0x7f800001
	s_cbranch_execz .LBB261_286
; %bb.285:
	s_and_b32 s24, 0xffff, s25
	s_delay_alu instid0(SALU_CYCLE_1)
	s_cmp_lg_u32 s24, 0
	s_mov_b32 s24, 0
	s_cselect_b32 s26, -1, 0
.LBB261_286:
	s_delay_alu instid0(SALU_CYCLE_1)
	s_and_not1_b32 vcc_lo, exec_lo, s26
	s_cbranch_vccnz .LBB261_288
; %bb.287:
	s_mov_b32 s24, s5
.LBB261_288:
	s_wait_loadcnt 0x0
	v_and_b32_e32 v4, 0xff, v1
	s_mov_b32 s25, 0
	s_mov_b32 s26, exec_lo
	s_wait_xcnt 0x0
	s_delay_alu instid0(VALU_DEP_1)
	v_cmpx_lt_i16_e32 0x7f, v4
	s_xor_b32 s26, exec_lo, s26
	s_cbranch_execnz .LBB261_297
; %bb.289:
	s_or_saveexec_b32 s26, s26
	v_mov_b32_e32 v3, 0x7f800001
	s_xor_b32 exec_lo, exec_lo, s26
	s_cbranch_execnz .LBB261_300
.LBB261_290:
	s_or_b32 exec_lo, exec_lo, s26
	s_and_saveexec_b32 s26, s25
	s_cbranch_execz .LBB261_292
.LBB261_291:
	v_and_b32_e32 v3, 3, v1
	v_lshrrev_b16 v5, 2, v1
	v_lshlrev_b32_e32 v7, 24, v1
	s_delay_alu instid0(VALU_DEP_3) | instskip(NEXT) | instid1(VALU_DEP_1)
	v_clz_i32_u32_e32 v4, v3
	v_min_u32_e32 v4, 32, v4
	s_delay_alu instid0(VALU_DEP_4) | instskip(NEXT) | instid1(VALU_DEP_2)
	v_and_b32_e32 v5, 31, v5
	v_subrev_nc_u32_e32 v6, 29, v4
	v_sub_nc_u32_e32 v4, 30, v4
	s_delay_alu instid0(VALU_DEP_3) | instskip(NEXT) | instid1(VALU_DEP_3)
	v_cmp_eq_u32_e32 vcc_lo, 0, v5
	v_lshlrev_b32_e32 v6, v6, v1
	s_delay_alu instid0(VALU_DEP_1) | instskip(SKIP_1) | instid1(VALU_DEP_2)
	v_dual_cndmask_b32 v4, v5, v4, vcc_lo :: v_dual_bitop2_b32 v6, 3, v6 bitop3:0x40
	v_and_b32_e32 v5, 0x80000000, v7
	v_cndmask_b32_e32 v3, v3, v6, vcc_lo
	s_delay_alu instid0(VALU_DEP_3) | instskip(NEXT) | instid1(VALU_DEP_2)
	v_lshl_add_u32 v4, v4, 23, 0x37800000
	v_lshlrev_b32_e32 v3, 21, v3
	s_delay_alu instid0(VALU_DEP_1)
	v_or3_b32 v3, v5, v4, v3
.LBB261_292:
	s_or_b32 exec_lo, exec_lo, s26
	s_delay_alu instid0(VALU_DEP_1)
	v_cmp_neq_f32_e64 s24, s24, v3
	s_branch .LBB261_310
.LBB261_293:
	s_and_b32 s25, s15, 0xff
	s_delay_alu instid0(SALU_CYCLE_1)
	s_cmp_lt_i32 s25, 0x80
	s_cbranch_scc1 .LBB261_301
; %bb.294:
	s_and_b32 s24, 0xffff, s25
	s_mov_b32 s26, -1
	s_cmp_eq_u32 s24, 0x80
	s_cbranch_scc0 .LBB261_296
; %bb.295:
	s_mov_b32 s26, 0
.LBB261_296:
	s_mov_b32 s24, 0x7f800001
	s_branch .LBB261_303
.LBB261_297:
	s_mov_b32 s25, -1
	s_mov_b32 s27, exec_lo
	v_cmpx_eq_u16_e32 0x80, v4
; %bb.298:
	s_xor_b32 s25, exec_lo, -1
; %bb.299:
	s_or_b32 exec_lo, exec_lo, s27
	s_delay_alu instid0(SALU_CYCLE_1)
	s_and_b32 s25, s25, exec_lo
                                        ; implicit-def: $vgpr4
	s_or_saveexec_b32 s26, s26
	v_mov_b32_e32 v3, 0x7f800001
	s_xor_b32 exec_lo, exec_lo, s26
	s_cbranch_execz .LBB261_290
.LBB261_300:
	v_cmp_ne_u16_e32 vcc_lo, 0, v4
	v_mov_b32_e32 v3, 0
	s_and_not1_b32 s25, s25, exec_lo
	s_and_b32 s27, vcc_lo, exec_lo
	s_delay_alu instid0(SALU_CYCLE_1)
	s_or_b32 s25, s25, s27
	s_or_b32 exec_lo, exec_lo, s26
	s_and_saveexec_b32 s26, s25
	s_cbranch_execnz .LBB261_291
	s_branch .LBB261_292
.LBB261_301:
	s_mov_b32 s26, 0
	s_mov_b32 s24, 0x7f800001
	s_cbranch_execz .LBB261_303
; %bb.302:
	s_and_b32 s24, 0xffff, s25
	s_delay_alu instid0(SALU_CYCLE_1)
	s_cmp_lg_u32 s24, 0
	s_mov_b32 s24, 0
	s_cselect_b32 s26, -1, 0
.LBB261_303:
	s_delay_alu instid0(SALU_CYCLE_1)
	s_and_not1_b32 vcc_lo, exec_lo, s26
	s_cbranch_vccnz .LBB261_305
; %bb.304:
	s_mov_b32 s24, s5
.LBB261_305:
	s_wait_loadcnt 0x0
	v_and_b32_e32 v4, 0xff, v1
	s_mov_b32 s25, 0
	s_mov_b32 s26, exec_lo
	s_wait_xcnt 0x0
	s_delay_alu instid0(VALU_DEP_1)
	v_cmpx_lt_i16_e32 0x7f, v4
	s_xor_b32 s26, exec_lo, s26
	s_cbranch_execnz .LBB261_317
; %bb.306:
	s_or_saveexec_b32 s26, s26
	v_mov_b32_e32 v3, 0x7f800001
	s_xor_b32 exec_lo, exec_lo, s26
	s_cbranch_execnz .LBB261_320
.LBB261_307:
	s_or_b32 exec_lo, exec_lo, s26
	s_and_saveexec_b32 s26, s25
	s_cbranch_execz .LBB261_309
.LBB261_308:
	v_and_b32_e32 v3, 3, v1
	v_lshrrev_b16 v5, 2, v1
	s_delay_alu instid0(VALU_DEP_2) | instskip(NEXT) | instid1(VALU_DEP_1)
	v_clz_i32_u32_e32 v4, v3
	v_min_u32_e32 v4, 32, v4
	s_delay_alu instid0(VALU_DEP_3) | instskip(NEXT) | instid1(VALU_DEP_2)
	v_and_b32_e32 v5, 31, v5
	v_subrev_nc_u32_e32 v6, 29, v4
	v_sub_nc_u32_e32 v4, 30, v4
	s_delay_alu instid0(VALU_DEP_3) | instskip(NEXT) | instid1(VALU_DEP_3)
	v_cmp_eq_u32_e32 vcc_lo, 0, v5
	v_dual_lshlrev_b32 v6, v6, v1 :: v_dual_lshlrev_b32 v1, 24, v1
	s_delay_alu instid0(VALU_DEP_1) | instskip(NEXT) | instid1(VALU_DEP_2)
	v_dual_cndmask_b32 v4, v5, v4, vcc_lo :: v_dual_bitop2_b32 v6, 3, v6 bitop3:0x40
	v_and_b32_e32 v1, 0x80000000, v1
	s_delay_alu instid0(VALU_DEP_2) | instskip(NEXT) | instid1(VALU_DEP_3)
	v_cndmask_b32_e32 v3, v3, v6, vcc_lo
	v_lshl_add_u32 v4, v4, 23, 0x37800000
	s_delay_alu instid0(VALU_DEP_2) | instskip(NEXT) | instid1(VALU_DEP_1)
	v_lshlrev_b32_e32 v3, 21, v3
	v_or3_b32 v3, v1, v4, v3
.LBB261_309:
	s_or_b32 exec_lo, exec_lo, s26
	s_delay_alu instid0(VALU_DEP_1)
	v_cmp_eq_f32_e64 s24, s24, v3
.LBB261_310:
	s_wait_loadcnt 0x0
	s_delay_alu instid0(VALU_DEP_1) | instskip(SKIP_4) | instid1(SALU_CYCLE_1)
	v_cndmask_b32_e64 v1, 0, 1, s24
	v_add_nc_u32_e32 v0, 0x80, v0
	global_store_b8 v2, v1, s[0:1]
	s_wait_xcnt 0x0
	s_or_b32 exec_lo, exec_lo, s18
	s_mov_b32 s18, exec_lo
	v_cmpx_gt_i32_e64 s36, v0
	s_cbranch_execz .LBB261_8
.LBB261_311:
	s_and_not1_b32 vcc_lo, exec_lo, s33
	s_cbranch_vccnz .LBB261_316
; %bb.312:
	s_and_not1_b32 vcc_lo, exec_lo, s38
	s_cbranch_vccnz .LBB261_321
; %bb.313:
	s_add_co_i32 s25, s37, 1
	s_cmp_eq_u32 s31, 2
	s_cbranch_scc1 .LBB261_322
; %bb.314:
	v_dual_mov_b32 v2, 0 :: v_dual_mov_b32 v3, 0
	v_mov_b32_e32 v1, v0
	s_and_b32 s24, s25, 28
	s_mov_b32 s39, 0
	s_mov_b64 s[26:27], s[12:13]
	s_mov_b64 s[28:29], s[22:23]
.LBB261_315:                            ; =>This Inner Loop Header: Depth=1
	s_clause 0x1
	s_load_b256 s[40:47], s[26:27], 0x4
	s_load_b128 s[56:59], s[26:27], 0x24
	s_load_b256 s[48:55], s[28:29], 0x0
	s_add_co_i32 s39, s39, 4
	s_wait_xcnt 0x0
	s_add_nc_u64 s[26:27], s[26:27], 48
	s_cmp_eq_u32 s24, s39
	s_add_nc_u64 s[28:29], s[28:29], 32
	s_wait_kmcnt 0x0
	v_mul_hi_u32 v4, s41, v1
	s_delay_alu instid0(VALU_DEP_1) | instskip(NEXT) | instid1(VALU_DEP_1)
	v_add_nc_u32_e32 v4, v1, v4
	v_lshrrev_b32_e32 v4, s42, v4
	s_delay_alu instid0(VALU_DEP_1) | instskip(NEXT) | instid1(VALU_DEP_1)
	v_mul_hi_u32 v5, s44, v4
	v_add_nc_u32_e32 v5, v4, v5
	s_delay_alu instid0(VALU_DEP_1) | instskip(NEXT) | instid1(VALU_DEP_1)
	v_lshrrev_b32_e32 v5, s45, v5
	v_mul_hi_u32 v6, s47, v5
	s_delay_alu instid0(VALU_DEP_1) | instskip(SKIP_1) | instid1(VALU_DEP_1)
	v_add_nc_u32_e32 v6, v5, v6
	v_mul_lo_u32 v7, v4, s40
	v_sub_nc_u32_e32 v1, v1, v7
	v_mul_lo_u32 v7, v5, s43
	s_delay_alu instid0(VALU_DEP_4) | instskip(NEXT) | instid1(VALU_DEP_3)
	v_lshrrev_b32_e32 v6, s56, v6
	v_mad_u32 v3, v1, s49, v3
	v_mad_u32 v1, v1, s48, v2
	s_delay_alu instid0(VALU_DEP_4) | instskip(NEXT) | instid1(VALU_DEP_4)
	v_sub_nc_u32_e32 v2, v4, v7
	v_mul_hi_u32 v8, s58, v6
	v_mul_lo_u32 v4, v6, s46
	s_delay_alu instid0(VALU_DEP_3) | instskip(SKIP_1) | instid1(VALU_DEP_4)
	v_mad_u32 v3, v2, s51, v3
	v_mad_u32 v2, v2, s50, v1
	v_add_nc_u32_e32 v7, v6, v8
	s_delay_alu instid0(VALU_DEP_1) | instskip(NEXT) | instid1(VALU_DEP_1)
	v_dual_sub_nc_u32 v4, v5, v4 :: v_dual_lshrrev_b32 v1, s59, v7
	v_mad_u32 v3, v4, s53, v3
	s_delay_alu instid0(VALU_DEP_4) | instskip(NEXT) | instid1(VALU_DEP_3)
	v_mad_u32 v2, v4, s52, v2
	v_mul_lo_u32 v5, v1, s57
	s_delay_alu instid0(VALU_DEP_1) | instskip(NEXT) | instid1(VALU_DEP_1)
	v_sub_nc_u32_e32 v4, v6, v5
	v_mad_u32 v3, v4, s55, v3
	s_delay_alu instid0(VALU_DEP_4)
	v_mad_u32 v2, v4, s54, v2
	s_cbranch_scc0 .LBB261_315
	s_branch .LBB261_323
.LBB261_316:
                                        ; implicit-def: $vgpr3
	s_branch .LBB261_327
.LBB261_317:
	s_mov_b32 s25, -1
	s_mov_b32 s27, exec_lo
	v_cmpx_eq_u16_e32 0x80, v4
; %bb.318:
	s_xor_b32 s25, exec_lo, -1
; %bb.319:
	s_or_b32 exec_lo, exec_lo, s27
	s_delay_alu instid0(SALU_CYCLE_1)
	s_and_b32 s25, s25, exec_lo
                                        ; implicit-def: $vgpr4
	s_or_saveexec_b32 s26, s26
	v_mov_b32_e32 v3, 0x7f800001
	s_xor_b32 exec_lo, exec_lo, s26
	s_cbranch_execz .LBB261_307
.LBB261_320:
	v_cmp_ne_u16_e32 vcc_lo, 0, v4
	v_mov_b32_e32 v3, 0
	s_and_not1_b32 s25, s25, exec_lo
	s_and_b32 s27, vcc_lo, exec_lo
	s_delay_alu instid0(SALU_CYCLE_1)
	s_or_b32 s25, s25, s27
	s_or_b32 exec_lo, exec_lo, s26
	s_and_saveexec_b32 s26, s25
	s_cbranch_execnz .LBB261_308
	s_branch .LBB261_309
.LBB261_321:
	v_dual_mov_b32 v3, 0 :: v_dual_mov_b32 v2, 0
	s_branch .LBB261_326
.LBB261_322:
	v_mov_b64_e32 v[2:3], 0
	v_mov_b32_e32 v1, v0
	s_mov_b32 s24, 0
.LBB261_323:
	s_and_b32 s28, s25, 3
	s_mov_b32 s25, 0
	s_cmp_eq_u32 s28, 0
	s_cbranch_scc1 .LBB261_326
; %bb.324:
	s_lshl_b32 s26, s24, 3
	s_mov_b32 s27, s25
	s_mul_u64 s[40:41], s[24:25], 12
	s_add_nc_u64 s[26:27], s[12:13], s[26:27]
	s_delay_alu instid0(SALU_CYCLE_1)
	s_add_nc_u64 s[24:25], s[26:27], 0xc4
	s_add_nc_u64 s[26:27], s[12:13], s[40:41]
.LBB261_325:                            ; =>This Inner Loop Header: Depth=1
	s_load_b96 s[40:42], s[26:27], 0x4
	s_add_co_i32 s28, s28, -1
	s_wait_xcnt 0x0
	s_add_nc_u64 s[26:27], s[26:27], 12
	s_cmp_lg_u32 s28, 0
	s_wait_kmcnt 0x0
	v_mul_hi_u32 v4, s41, v1
	s_delay_alu instid0(VALU_DEP_1) | instskip(NEXT) | instid1(VALU_DEP_1)
	v_add_nc_u32_e32 v4, v1, v4
	v_lshrrev_b32_e32 v4, s42, v4
	s_load_b64 s[42:43], s[24:25], 0x0
	s_wait_xcnt 0x0
	s_add_nc_u64 s[24:25], s[24:25], 8
	s_delay_alu instid0(VALU_DEP_1) | instskip(NEXT) | instid1(VALU_DEP_1)
	v_mul_lo_u32 v5, v4, s40
	v_sub_nc_u32_e32 v1, v1, v5
	s_wait_kmcnt 0x0
	s_delay_alu instid0(VALU_DEP_1)
	v_mad_u32 v3, v1, s43, v3
	v_mad_u32 v2, v1, s42, v2
	v_mov_b32_e32 v1, v4
	s_cbranch_scc1 .LBB261_325
.LBB261_326:
	s_cbranch_execnz .LBB261_329
.LBB261_327:
	v_mov_b32_e32 v1, 0
	s_and_not1_b32 vcc_lo, exec_lo, s35
	s_delay_alu instid0(VALU_DEP_1) | instskip(NEXT) | instid1(VALU_DEP_1)
	v_mul_u64_e32 v[2:3], s[16:17], v[0:1]
	v_add_nc_u32_e32 v2, v0, v3
	s_delay_alu instid0(VALU_DEP_1) | instskip(NEXT) | instid1(VALU_DEP_1)
	v_lshrrev_b32_e32 v4, s6, v2
	v_mul_lo_u32 v2, v4, s4
	s_delay_alu instid0(VALU_DEP_1) | instskip(NEXT) | instid1(VALU_DEP_1)
	v_sub_nc_u32_e32 v2, v0, v2
	v_mul_lo_u32 v3, v2, s9
	v_mul_lo_u32 v2, v2, s8
	s_cbranch_vccnz .LBB261_329
; %bb.328:
	v_mov_b32_e32 v5, v1
	s_delay_alu instid0(VALU_DEP_1) | instskip(NEXT) | instid1(VALU_DEP_1)
	v_mul_u64_e32 v[6:7], s[20:21], v[4:5]
	v_add_nc_u32_e32 v1, v4, v7
	s_delay_alu instid0(VALU_DEP_1) | instskip(NEXT) | instid1(VALU_DEP_1)
	v_lshrrev_b32_e32 v1, s19, v1
	v_mul_lo_u32 v1, v1, s7
	s_delay_alu instid0(VALU_DEP_1) | instskip(NEXT) | instid1(VALU_DEP_1)
	v_sub_nc_u32_e32 v1, v4, v1
	v_mad_u32 v2, v1, s10, v2
	v_mad_u32 v3, v1, s11, v3
.LBB261_329:
	global_load_u8 v1, v3, s[2:3]
	s_and_not1_b32 vcc_lo, exec_lo, s14
	s_cbranch_vccnz .LBB261_334
; %bb.330:
	s_and_b32 s25, s15, 0xff
	s_delay_alu instid0(SALU_CYCLE_1)
	s_cmp_lt_i32 s25, 0x80
	s_cbranch_scc1 .LBB261_335
; %bb.331:
	s_and_b32 s24, 0xffff, s25
	s_mov_b32 s26, -1
	s_cmp_eq_u32 s24, 0x80
	s_cbranch_scc0 .LBB261_333
; %bb.332:
	s_mov_b32 s26, 0
.LBB261_333:
	s_mov_b32 s24, 0x7f800001
	s_branch .LBB261_337
.LBB261_334:
                                        ; implicit-def: $sgpr24
	s_cbranch_execnz .LBB261_344
	s_branch .LBB261_361
.LBB261_335:
	s_mov_b32 s26, 0
	s_mov_b32 s24, 0x7f800001
	s_cbranch_execz .LBB261_337
; %bb.336:
	s_and_b32 s24, 0xffff, s25
	s_delay_alu instid0(SALU_CYCLE_1)
	s_cmp_lg_u32 s24, 0
	s_mov_b32 s24, 0
	s_cselect_b32 s26, -1, 0
.LBB261_337:
	s_delay_alu instid0(SALU_CYCLE_1)
	s_and_not1_b32 vcc_lo, exec_lo, s26
	s_cbranch_vccnz .LBB261_339
; %bb.338:
	s_mov_b32 s24, s5
.LBB261_339:
	s_wait_loadcnt 0x0
	v_and_b32_e32 v4, 0xff, v1
	s_mov_b32 s25, 0
	s_mov_b32 s26, exec_lo
	s_wait_xcnt 0x0
	s_delay_alu instid0(VALU_DEP_1)
	v_cmpx_lt_i16_e32 0x7f, v4
	s_xor_b32 s26, exec_lo, s26
	s_cbranch_execnz .LBB261_348
; %bb.340:
	s_or_saveexec_b32 s26, s26
	v_mov_b32_e32 v3, 0x7f800001
	s_xor_b32 exec_lo, exec_lo, s26
	s_cbranch_execnz .LBB261_351
.LBB261_341:
	s_or_b32 exec_lo, exec_lo, s26
	s_and_saveexec_b32 s26, s25
	s_cbranch_execz .LBB261_343
.LBB261_342:
	v_and_b32_e32 v3, 3, v1
	v_lshrrev_b16 v5, 2, v1
	v_lshlrev_b32_e32 v7, 24, v1
	s_delay_alu instid0(VALU_DEP_3) | instskip(NEXT) | instid1(VALU_DEP_1)
	v_clz_i32_u32_e32 v4, v3
	v_min_u32_e32 v4, 32, v4
	s_delay_alu instid0(VALU_DEP_4) | instskip(NEXT) | instid1(VALU_DEP_2)
	v_and_b32_e32 v5, 31, v5
	v_subrev_nc_u32_e32 v6, 29, v4
	v_sub_nc_u32_e32 v4, 30, v4
	s_delay_alu instid0(VALU_DEP_3) | instskip(NEXT) | instid1(VALU_DEP_3)
	v_cmp_eq_u32_e32 vcc_lo, 0, v5
	v_lshlrev_b32_e32 v6, v6, v1
	s_delay_alu instid0(VALU_DEP_1) | instskip(SKIP_1) | instid1(VALU_DEP_2)
	v_dual_cndmask_b32 v4, v5, v4, vcc_lo :: v_dual_bitop2_b32 v6, 3, v6 bitop3:0x40
	v_and_b32_e32 v5, 0x80000000, v7
	v_cndmask_b32_e32 v3, v3, v6, vcc_lo
	s_delay_alu instid0(VALU_DEP_3) | instskip(NEXT) | instid1(VALU_DEP_2)
	v_lshl_add_u32 v4, v4, 23, 0x37800000
	v_lshlrev_b32_e32 v3, 21, v3
	s_delay_alu instid0(VALU_DEP_1)
	v_or3_b32 v3, v5, v4, v3
.LBB261_343:
	s_or_b32 exec_lo, exec_lo, s26
	s_delay_alu instid0(VALU_DEP_1)
	v_cmp_neq_f32_e64 s24, s24, v3
	s_branch .LBB261_361
.LBB261_344:
	s_and_b32 s25, s15, 0xff
	s_delay_alu instid0(SALU_CYCLE_1)
	s_cmp_lt_i32 s25, 0x80
	s_cbranch_scc1 .LBB261_352
; %bb.345:
	s_and_b32 s24, 0xffff, s25
	s_mov_b32 s26, -1
	s_cmp_eq_u32 s24, 0x80
	s_cbranch_scc0 .LBB261_347
; %bb.346:
	s_mov_b32 s26, 0
.LBB261_347:
	s_mov_b32 s24, 0x7f800001
	s_branch .LBB261_354
.LBB261_348:
	s_mov_b32 s25, -1
	s_mov_b32 s27, exec_lo
	v_cmpx_eq_u16_e32 0x80, v4
; %bb.349:
	s_xor_b32 s25, exec_lo, -1
; %bb.350:
	s_or_b32 exec_lo, exec_lo, s27
	s_delay_alu instid0(SALU_CYCLE_1)
	s_and_b32 s25, s25, exec_lo
                                        ; implicit-def: $vgpr4
	s_or_saveexec_b32 s26, s26
	v_mov_b32_e32 v3, 0x7f800001
	s_xor_b32 exec_lo, exec_lo, s26
	s_cbranch_execz .LBB261_341
.LBB261_351:
	v_cmp_ne_u16_e32 vcc_lo, 0, v4
	v_mov_b32_e32 v3, 0
	s_and_not1_b32 s25, s25, exec_lo
	s_and_b32 s27, vcc_lo, exec_lo
	s_delay_alu instid0(SALU_CYCLE_1)
	s_or_b32 s25, s25, s27
	s_or_b32 exec_lo, exec_lo, s26
	s_and_saveexec_b32 s26, s25
	s_cbranch_execnz .LBB261_342
	s_branch .LBB261_343
.LBB261_352:
	s_mov_b32 s26, 0
	s_mov_b32 s24, 0x7f800001
	s_cbranch_execz .LBB261_354
; %bb.353:
	s_and_b32 s24, 0xffff, s25
	s_delay_alu instid0(SALU_CYCLE_1)
	s_cmp_lg_u32 s24, 0
	s_mov_b32 s24, 0
	s_cselect_b32 s26, -1, 0
.LBB261_354:
	s_delay_alu instid0(SALU_CYCLE_1)
	s_and_not1_b32 vcc_lo, exec_lo, s26
	s_cbranch_vccnz .LBB261_356
; %bb.355:
	s_mov_b32 s24, s5
.LBB261_356:
	s_wait_loadcnt 0x0
	v_and_b32_e32 v4, 0xff, v1
	s_mov_b32 s25, 0
	s_mov_b32 s26, exec_lo
	s_wait_xcnt 0x0
	s_delay_alu instid0(VALU_DEP_1)
	v_cmpx_lt_i16_e32 0x7f, v4
	s_xor_b32 s26, exec_lo, s26
	s_cbranch_execnz .LBB261_368
; %bb.357:
	s_or_saveexec_b32 s26, s26
	v_mov_b32_e32 v3, 0x7f800001
	s_xor_b32 exec_lo, exec_lo, s26
	s_cbranch_execnz .LBB261_371
.LBB261_358:
	s_or_b32 exec_lo, exec_lo, s26
	s_and_saveexec_b32 s26, s25
	s_cbranch_execz .LBB261_360
.LBB261_359:
	v_and_b32_e32 v3, 3, v1
	v_lshrrev_b16 v5, 2, v1
	s_delay_alu instid0(VALU_DEP_2) | instskip(NEXT) | instid1(VALU_DEP_1)
	v_clz_i32_u32_e32 v4, v3
	v_min_u32_e32 v4, 32, v4
	s_delay_alu instid0(VALU_DEP_3) | instskip(NEXT) | instid1(VALU_DEP_2)
	v_and_b32_e32 v5, 31, v5
	v_subrev_nc_u32_e32 v6, 29, v4
	v_sub_nc_u32_e32 v4, 30, v4
	s_delay_alu instid0(VALU_DEP_3) | instskip(NEXT) | instid1(VALU_DEP_3)
	v_cmp_eq_u32_e32 vcc_lo, 0, v5
	v_dual_lshlrev_b32 v6, v6, v1 :: v_dual_lshlrev_b32 v1, 24, v1
	s_delay_alu instid0(VALU_DEP_1) | instskip(NEXT) | instid1(VALU_DEP_2)
	v_dual_cndmask_b32 v4, v5, v4, vcc_lo :: v_dual_bitop2_b32 v6, 3, v6 bitop3:0x40
	v_and_b32_e32 v1, 0x80000000, v1
	s_delay_alu instid0(VALU_DEP_2) | instskip(NEXT) | instid1(VALU_DEP_3)
	v_cndmask_b32_e32 v3, v3, v6, vcc_lo
	v_lshl_add_u32 v4, v4, 23, 0x37800000
	s_delay_alu instid0(VALU_DEP_2) | instskip(NEXT) | instid1(VALU_DEP_1)
	v_lshlrev_b32_e32 v3, 21, v3
	v_or3_b32 v3, v1, v4, v3
.LBB261_360:
	s_or_b32 exec_lo, exec_lo, s26
	s_delay_alu instid0(VALU_DEP_1)
	v_cmp_eq_f32_e64 s24, s24, v3
.LBB261_361:
	s_wait_loadcnt 0x0
	s_delay_alu instid0(VALU_DEP_1) | instskip(SKIP_4) | instid1(SALU_CYCLE_1)
	v_cndmask_b32_e64 v1, 0, 1, s24
	v_add_nc_u32_e32 v0, 0x80, v0
	global_store_b8 v2, v1, s[0:1]
	s_wait_xcnt 0x0
	s_or_b32 exec_lo, exec_lo, s18
	s_mov_b32 s18, exec_lo
	v_cmpx_gt_i32_e64 s36, v0
	s_cbranch_execz .LBB261_413
.LBB261_362:
	s_and_not1_b32 vcc_lo, exec_lo, s33
	s_cbranch_vccnz .LBB261_367
; %bb.363:
	s_and_not1_b32 vcc_lo, exec_lo, s38
	s_cbranch_vccnz .LBB261_372
; %bb.364:
	s_add_co_i32 s37, s37, 1
	s_cmp_eq_u32 s31, 2
	s_cbranch_scc1 .LBB261_373
; %bb.365:
	v_dual_mov_b32 v2, 0 :: v_dual_mov_b32 v3, 0
	v_mov_b32_e32 v1, v0
	s_and_b32 s24, s37, 28
	s_mov_b32 s25, 0
	s_mov_b64 s[26:27], s[12:13]
.LBB261_366:                            ; =>This Inner Loop Header: Depth=1
	s_clause 0x1
	s_load_b256 s[40:47], s[26:27], 0x4
	s_load_b128 s[56:59], s[26:27], 0x24
	s_load_b256 s[48:55], s[22:23], 0x0
	s_add_co_i32 s25, s25, 4
	s_wait_xcnt 0x0
	s_add_nc_u64 s[26:27], s[26:27], 48
	s_cmp_eq_u32 s24, s25
	s_add_nc_u64 s[22:23], s[22:23], 32
	s_wait_kmcnt 0x0
	v_mul_hi_u32 v4, s41, v1
	s_delay_alu instid0(VALU_DEP_1) | instskip(NEXT) | instid1(VALU_DEP_1)
	v_add_nc_u32_e32 v4, v1, v4
	v_lshrrev_b32_e32 v4, s42, v4
	s_delay_alu instid0(VALU_DEP_1) | instskip(NEXT) | instid1(VALU_DEP_1)
	v_mul_hi_u32 v5, s44, v4
	v_add_nc_u32_e32 v5, v4, v5
	s_delay_alu instid0(VALU_DEP_1) | instskip(NEXT) | instid1(VALU_DEP_1)
	v_lshrrev_b32_e32 v5, s45, v5
	v_mul_hi_u32 v6, s47, v5
	s_delay_alu instid0(VALU_DEP_1) | instskip(SKIP_1) | instid1(VALU_DEP_1)
	v_add_nc_u32_e32 v6, v5, v6
	v_mul_lo_u32 v7, v4, s40
	v_sub_nc_u32_e32 v1, v1, v7
	v_mul_lo_u32 v7, v5, s43
	s_delay_alu instid0(VALU_DEP_4) | instskip(NEXT) | instid1(VALU_DEP_3)
	v_lshrrev_b32_e32 v6, s56, v6
	v_mad_u32 v3, v1, s49, v3
	v_mad_u32 v1, v1, s48, v2
	s_delay_alu instid0(VALU_DEP_4) | instskip(NEXT) | instid1(VALU_DEP_4)
	v_sub_nc_u32_e32 v2, v4, v7
	v_mul_hi_u32 v8, s58, v6
	v_mul_lo_u32 v4, v6, s46
	s_delay_alu instid0(VALU_DEP_3) | instskip(SKIP_1) | instid1(VALU_DEP_4)
	v_mad_u32 v3, v2, s51, v3
	v_mad_u32 v2, v2, s50, v1
	v_add_nc_u32_e32 v7, v6, v8
	s_delay_alu instid0(VALU_DEP_1) | instskip(NEXT) | instid1(VALU_DEP_1)
	v_dual_sub_nc_u32 v4, v5, v4 :: v_dual_lshrrev_b32 v1, s59, v7
	v_mad_u32 v3, v4, s53, v3
	s_delay_alu instid0(VALU_DEP_4) | instskip(NEXT) | instid1(VALU_DEP_3)
	v_mad_u32 v2, v4, s52, v2
	v_mul_lo_u32 v5, v1, s57
	s_delay_alu instid0(VALU_DEP_1) | instskip(NEXT) | instid1(VALU_DEP_1)
	v_sub_nc_u32_e32 v4, v6, v5
	v_mad_u32 v3, v4, s55, v3
	s_delay_alu instid0(VALU_DEP_4)
	v_mad_u32 v2, v4, s54, v2
	s_cbranch_scc0 .LBB261_366
	s_branch .LBB261_374
.LBB261_367:
                                        ; implicit-def: $vgpr3
	s_branch .LBB261_378
.LBB261_368:
	s_mov_b32 s25, -1
	s_mov_b32 s27, exec_lo
	v_cmpx_eq_u16_e32 0x80, v4
; %bb.369:
	s_xor_b32 s25, exec_lo, -1
; %bb.370:
	s_or_b32 exec_lo, exec_lo, s27
	s_delay_alu instid0(SALU_CYCLE_1)
	s_and_b32 s25, s25, exec_lo
                                        ; implicit-def: $vgpr4
	s_or_saveexec_b32 s26, s26
	v_mov_b32_e32 v3, 0x7f800001
	s_xor_b32 exec_lo, exec_lo, s26
	s_cbranch_execz .LBB261_358
.LBB261_371:
	v_cmp_ne_u16_e32 vcc_lo, 0, v4
	v_mov_b32_e32 v3, 0
	s_and_not1_b32 s25, s25, exec_lo
	s_and_b32 s27, vcc_lo, exec_lo
	s_delay_alu instid0(SALU_CYCLE_1)
	s_or_b32 s25, s25, s27
	s_or_b32 exec_lo, exec_lo, s26
	s_and_saveexec_b32 s26, s25
	s_cbranch_execnz .LBB261_359
	s_branch .LBB261_360
.LBB261_372:
	v_dual_mov_b32 v3, 0 :: v_dual_mov_b32 v2, 0
	s_branch .LBB261_377
.LBB261_373:
	v_mov_b64_e32 v[2:3], 0
	v_mov_b32_e32 v1, v0
	s_mov_b32 s24, 0
.LBB261_374:
	s_and_b32 s26, s37, 3
	s_mov_b32 s25, 0
	s_cmp_eq_u32 s26, 0
	s_cbranch_scc1 .LBB261_377
; %bb.375:
	s_lshl_b32 s22, s24, 3
	s_mov_b32 s23, s25
	s_mul_u64 s[24:25], s[24:25], 12
	s_add_nc_u64 s[22:23], s[12:13], s[22:23]
	s_add_nc_u64 s[24:25], s[12:13], s[24:25]
	;; [unrolled: 1-line block ×3, first 2 shown]
.LBB261_376:                            ; =>This Inner Loop Header: Depth=1
	s_load_b96 s[36:38], s[24:25], 0x4
	s_load_b64 s[28:29], s[22:23], 0x0
	s_add_co_i32 s26, s26, -1
	s_wait_xcnt 0x0
	s_add_nc_u64 s[24:25], s[24:25], 12
	s_cmp_lg_u32 s26, 0
	s_add_nc_u64 s[22:23], s[22:23], 8
	s_wait_kmcnt 0x0
	v_mul_hi_u32 v4, s37, v1
	s_delay_alu instid0(VALU_DEP_1) | instskip(NEXT) | instid1(VALU_DEP_1)
	v_add_nc_u32_e32 v4, v1, v4
	v_lshrrev_b32_e32 v4, s38, v4
	s_delay_alu instid0(VALU_DEP_1) | instskip(NEXT) | instid1(VALU_DEP_1)
	v_mul_lo_u32 v5, v4, s36
	v_sub_nc_u32_e32 v1, v1, v5
	s_delay_alu instid0(VALU_DEP_1)
	v_mad_u32 v3, v1, s29, v3
	v_mad_u32 v2, v1, s28, v2
	v_mov_b32_e32 v1, v4
	s_cbranch_scc1 .LBB261_376
.LBB261_377:
	s_cbranch_execnz .LBB261_380
.LBB261_378:
	v_mov_b32_e32 v1, 0
	s_and_not1_b32 vcc_lo, exec_lo, s35
	s_delay_alu instid0(VALU_DEP_1) | instskip(NEXT) | instid1(VALU_DEP_1)
	v_mul_u64_e32 v[2:3], s[16:17], v[0:1]
	v_add_nc_u32_e32 v2, v0, v3
	s_delay_alu instid0(VALU_DEP_1) | instskip(NEXT) | instid1(VALU_DEP_1)
	v_lshrrev_b32_e32 v4, s6, v2
	v_mul_lo_u32 v2, v4, s4
	s_delay_alu instid0(VALU_DEP_1) | instskip(NEXT) | instid1(VALU_DEP_1)
	v_sub_nc_u32_e32 v0, v0, v2
	v_mul_lo_u32 v3, v0, s9
	v_mul_lo_u32 v2, v0, s8
	s_cbranch_vccnz .LBB261_380
; %bb.379:
	v_mov_b32_e32 v5, v1
	s_delay_alu instid0(VALU_DEP_1) | instskip(NEXT) | instid1(VALU_DEP_1)
	v_mul_u64_e32 v[0:1], s[20:21], v[4:5]
	v_add_nc_u32_e32 v0, v4, v1
	s_delay_alu instid0(VALU_DEP_1) | instskip(NEXT) | instid1(VALU_DEP_1)
	v_lshrrev_b32_e32 v0, s19, v0
	v_mul_lo_u32 v0, v0, s7
	s_delay_alu instid0(VALU_DEP_1) | instskip(NEXT) | instid1(VALU_DEP_1)
	v_sub_nc_u32_e32 v0, v4, v0
	v_mad_u32 v2, v0, s10, v2
	v_mad_u32 v3, v0, s11, v3
.LBB261_380:
	global_load_u8 v0, v3, s[2:3]
	s_and_not1_b32 vcc_lo, exec_lo, s14
	s_cbranch_vccnz .LBB261_385
; %bb.381:
	s_wait_xcnt 0x0
	s_and_b32 s3, s15, 0xff
	s_delay_alu instid0(SALU_CYCLE_1)
	s_cmp_lt_i32 s3, 0x80
	s_cbranch_scc1 .LBB261_386
; %bb.382:
	s_and_b32 s2, 0xffff, s3
	s_mov_b32 s4, -1
	s_cmp_eq_u32 s2, 0x80
	s_cbranch_scc0 .LBB261_384
; %bb.383:
	s_mov_b32 s4, 0
.LBB261_384:
	s_mov_b32 s2, 0x7f800001
	s_branch .LBB261_388
.LBB261_385:
	s_wait_xcnt 0x0
                                        ; implicit-def: $sgpr2
	s_cbranch_execnz .LBB261_395
	s_branch .LBB261_412
.LBB261_386:
	s_mov_b32 s4, 0
	s_mov_b32 s2, 0x7f800001
	s_cbranch_execz .LBB261_388
; %bb.387:
	s_and_b32 s2, 0xffff, s3
	s_delay_alu instid0(SALU_CYCLE_1)
	s_cmp_lg_u32 s2, 0
	s_mov_b32 s2, 0
	s_cselect_b32 s4, -1, 0
.LBB261_388:
	s_delay_alu instid0(SALU_CYCLE_1)
	s_and_not1_b32 vcc_lo, exec_lo, s4
	s_cbranch_vccnz .LBB261_390
; %bb.389:
	s_mov_b32 s2, s5
.LBB261_390:
	s_wait_loadcnt 0x0
	v_and_b32_e32 v3, 0xff, v0
	s_mov_b32 s3, 0
	s_mov_b32 s4, exec_lo
	s_delay_alu instid0(VALU_DEP_1)
	v_cmpx_lt_i16_e32 0x7f, v3
	s_xor_b32 s4, exec_lo, s4
	s_cbranch_execnz .LBB261_399
; %bb.391:
	s_or_saveexec_b32 s4, s4
	v_mov_b32_e32 v1, 0x7f800001
	s_xor_b32 exec_lo, exec_lo, s4
	s_cbranch_execnz .LBB261_402
.LBB261_392:
	s_or_b32 exec_lo, exec_lo, s4
	s_and_saveexec_b32 s4, s3
	s_cbranch_execz .LBB261_394
.LBB261_393:
	v_and_b32_e32 v1, 3, v0
	v_lshrrev_b16 v4, 2, v0
	v_lshlrev_b32_e32 v6, 24, v0
	s_delay_alu instid0(VALU_DEP_3) | instskip(NEXT) | instid1(VALU_DEP_1)
	v_clz_i32_u32_e32 v3, v1
	v_min_u32_e32 v3, 32, v3
	s_delay_alu instid0(VALU_DEP_4) | instskip(NEXT) | instid1(VALU_DEP_2)
	v_and_b32_e32 v4, 31, v4
	v_subrev_nc_u32_e32 v5, 29, v3
	v_sub_nc_u32_e32 v3, 30, v3
	s_delay_alu instid0(VALU_DEP_3) | instskip(NEXT) | instid1(VALU_DEP_3)
	v_cmp_eq_u32_e32 vcc_lo, 0, v4
	v_lshlrev_b32_e32 v5, v5, v0
	s_delay_alu instid0(VALU_DEP_1) | instskip(SKIP_1) | instid1(VALU_DEP_2)
	v_dual_cndmask_b32 v3, v4, v3, vcc_lo :: v_dual_bitop2_b32 v5, 3, v5 bitop3:0x40
	v_and_b32_e32 v4, 0x80000000, v6
	v_cndmask_b32_e32 v1, v1, v5, vcc_lo
	s_delay_alu instid0(VALU_DEP_3) | instskip(NEXT) | instid1(VALU_DEP_2)
	v_lshl_add_u32 v3, v3, 23, 0x37800000
	v_lshlrev_b32_e32 v1, 21, v1
	s_delay_alu instid0(VALU_DEP_1)
	v_or3_b32 v1, v4, v3, v1
.LBB261_394:
	s_or_b32 exec_lo, exec_lo, s4
	s_delay_alu instid0(VALU_DEP_1)
	v_cmp_neq_f32_e64 s2, s2, v1
	s_branch .LBB261_412
.LBB261_395:
	s_and_b32 s3, s15, 0xff
	s_delay_alu instid0(SALU_CYCLE_1)
	s_cmp_lt_i32 s3, 0x80
	s_cbranch_scc1 .LBB261_403
; %bb.396:
	s_and_b32 s2, 0xffff, s3
	s_mov_b32 s4, -1
	s_cmp_eq_u32 s2, 0x80
	s_cbranch_scc0 .LBB261_398
; %bb.397:
	s_mov_b32 s4, 0
.LBB261_398:
	s_mov_b32 s2, 0x7f800001
	s_branch .LBB261_405
.LBB261_399:
	s_mov_b32 s3, -1
	s_mov_b32 s6, exec_lo
	v_cmpx_eq_u16_e32 0x80, v3
; %bb.400:
	s_xor_b32 s3, exec_lo, -1
; %bb.401:
	s_or_b32 exec_lo, exec_lo, s6
	s_delay_alu instid0(SALU_CYCLE_1)
	s_and_b32 s3, s3, exec_lo
                                        ; implicit-def: $vgpr3
	s_or_saveexec_b32 s4, s4
	v_mov_b32_e32 v1, 0x7f800001
	s_xor_b32 exec_lo, exec_lo, s4
	s_cbranch_execz .LBB261_392
.LBB261_402:
	v_cmp_ne_u16_e32 vcc_lo, 0, v3
	v_mov_b32_e32 v1, 0
	s_and_not1_b32 s3, s3, exec_lo
	s_and_b32 s6, vcc_lo, exec_lo
	s_delay_alu instid0(SALU_CYCLE_1)
	s_or_b32 s3, s3, s6
	s_or_b32 exec_lo, exec_lo, s4
	s_and_saveexec_b32 s4, s3
	s_cbranch_execnz .LBB261_393
	s_branch .LBB261_394
.LBB261_403:
	s_mov_b32 s4, 0
	s_mov_b32 s2, 0x7f800001
	s_cbranch_execz .LBB261_405
; %bb.404:
	s_and_b32 s2, 0xffff, s3
	s_delay_alu instid0(SALU_CYCLE_1)
	s_cmp_lg_u32 s2, 0
	s_mov_b32 s2, 0
	s_cselect_b32 s4, -1, 0
.LBB261_405:
	s_delay_alu instid0(SALU_CYCLE_1)
	s_and_not1_b32 vcc_lo, exec_lo, s4
	s_cbranch_vccnz .LBB261_407
; %bb.406:
	s_mov_b32 s2, s5
.LBB261_407:
	s_wait_loadcnt 0x0
	v_and_b32_e32 v3, 0xff, v0
	s_mov_b32 s3, 0
	s_mov_b32 s4, exec_lo
	s_delay_alu instid0(VALU_DEP_1)
	v_cmpx_lt_i16_e32 0x7f, v3
	s_xor_b32 s4, exec_lo, s4
	s_cbranch_execnz .LBB261_817
; %bb.408:
	s_or_saveexec_b32 s4, s4
	v_mov_b32_e32 v1, 0x7f800001
	s_xor_b32 exec_lo, exec_lo, s4
	s_cbranch_execnz .LBB261_820
.LBB261_409:
	s_or_b32 exec_lo, exec_lo, s4
	s_and_saveexec_b32 s4, s3
	s_cbranch_execz .LBB261_411
.LBB261_410:
	v_and_b32_e32 v1, 3, v0
	v_lshrrev_b16 v4, 2, v0
	s_delay_alu instid0(VALU_DEP_2) | instskip(NEXT) | instid1(VALU_DEP_1)
	v_clz_i32_u32_e32 v3, v1
	v_min_u32_e32 v3, 32, v3
	s_delay_alu instid0(VALU_DEP_3) | instskip(NEXT) | instid1(VALU_DEP_2)
	v_and_b32_e32 v4, 31, v4
	v_subrev_nc_u32_e32 v5, 29, v3
	v_sub_nc_u32_e32 v3, 30, v3
	s_delay_alu instid0(VALU_DEP_3) | instskip(NEXT) | instid1(VALU_DEP_3)
	v_cmp_eq_u32_e32 vcc_lo, 0, v4
	v_dual_lshlrev_b32 v5, v5, v0 :: v_dual_lshlrev_b32 v0, 24, v0
	s_delay_alu instid0(VALU_DEP_1) | instskip(NEXT) | instid1(VALU_DEP_2)
	v_dual_cndmask_b32 v3, v4, v3, vcc_lo :: v_dual_bitop2_b32 v5, 3, v5 bitop3:0x40
	v_and_b32_e32 v0, 0x80000000, v0
	s_delay_alu instid0(VALU_DEP_2) | instskip(NEXT) | instid1(VALU_DEP_3)
	v_cndmask_b32_e32 v1, v1, v5, vcc_lo
	v_lshl_add_u32 v3, v3, 23, 0x37800000
	s_delay_alu instid0(VALU_DEP_2) | instskip(NEXT) | instid1(VALU_DEP_1)
	v_lshlrev_b32_e32 v1, 21, v1
	v_or3_b32 v1, v0, v3, v1
.LBB261_411:
	s_or_b32 exec_lo, exec_lo, s4
	s_delay_alu instid0(VALU_DEP_1)
	v_cmp_eq_f32_e64 s2, s2, v1
.LBB261_412:
	s_wait_loadcnt 0x0
	s_delay_alu instid0(VALU_DEP_1)
	v_cndmask_b32_e64 v0, 0, 1, s2
	global_store_b8 v2, v0, s[0:1]
.LBB261_413:
	s_wait_xcnt 0x0
	s_or_b32 exec_lo, exec_lo, s18
                                        ; implicit-def: $vgpr16
                                        ; implicit-def: $vgpr0
.LBB261_414:
	s_and_not1_saveexec_b32 s0, s34
	s_cbranch_execz .LBB261_421
; %bb.415:
	v_cndmask_b32_e64 v14, 0, 1, s33
	s_and_not1_b32 vcc_lo, exec_lo, s33
	s_cbranch_vccnz .LBB261_422
; %bb.416:
	s_cmp_lg_u32 s30, 0
	s_mov_b32 s6, 0
	s_cbranch_scc0 .LBB261_423
; %bb.417:
	s_min_u32 s1, s31, 15
	s_delay_alu instid0(SALU_CYCLE_1)
	s_add_co_i32 s1, s1, 1
	s_cmp_eq_u32 s31, 2
	s_cbranch_scc1 .LBB261_424
; %bb.418:
	v_dual_mov_b32 v2, 0 :: v_dual_mov_b32 v3, 0
	v_mov_b32_e32 v1, v0
	s_and_b32 s0, s1, 28
	s_add_nc_u64 s[2:3], s[12:13], 0xc4
	s_mov_b32 s7, 0
	s_mov_b64 s[4:5], s[12:13]
.LBB261_419:                            ; =>This Inner Loop Header: Depth=1
	s_clause 0x1
	s_load_b256 s[16:23], s[4:5], 0x4
	s_load_b128 s[8:11], s[4:5], 0x24
	s_load_b256 s[36:43], s[2:3], 0x0
	s_add_co_i32 s7, s7, 4
	s_wait_xcnt 0x0
	s_add_nc_u64 s[4:5], s[4:5], 48
	s_cmp_lg_u32 s0, s7
	s_add_nc_u64 s[2:3], s[2:3], 32
	s_wait_kmcnt 0x0
	v_mul_hi_u32 v4, s17, v1
	s_delay_alu instid0(VALU_DEP_1) | instskip(NEXT) | instid1(VALU_DEP_1)
	v_add_nc_u32_e32 v4, v1, v4
	v_lshrrev_b32_e32 v4, s18, v4
	s_delay_alu instid0(VALU_DEP_1) | instskip(NEXT) | instid1(VALU_DEP_1)
	v_mul_hi_u32 v5, s20, v4
	v_add_nc_u32_e32 v5, v4, v5
	s_delay_alu instid0(VALU_DEP_1) | instskip(NEXT) | instid1(VALU_DEP_1)
	v_lshrrev_b32_e32 v5, s21, v5
	v_mul_hi_u32 v6, s23, v5
	s_delay_alu instid0(VALU_DEP_1) | instskip(SKIP_1) | instid1(VALU_DEP_1)
	v_add_nc_u32_e32 v6, v5, v6
	v_mul_lo_u32 v7, v4, s16
	v_sub_nc_u32_e32 v1, v1, v7
	v_mul_lo_u32 v7, v5, s19
	s_delay_alu instid0(VALU_DEP_4) | instskip(NEXT) | instid1(VALU_DEP_3)
	v_lshrrev_b32_e32 v6, s8, v6
	v_mad_u32 v3, v1, s37, v3
	v_mad_u32 v1, v1, s36, v2
	s_delay_alu instid0(VALU_DEP_4) | instskip(NEXT) | instid1(VALU_DEP_4)
	v_sub_nc_u32_e32 v2, v4, v7
	v_mul_hi_u32 v8, s10, v6
	v_mul_lo_u32 v4, v6, s22
	s_delay_alu instid0(VALU_DEP_3) | instskip(SKIP_1) | instid1(VALU_DEP_4)
	v_mad_u32 v3, v2, s39, v3
	v_mad_u32 v2, v2, s38, v1
	v_add_nc_u32_e32 v7, v6, v8
	s_delay_alu instid0(VALU_DEP_1) | instskip(NEXT) | instid1(VALU_DEP_1)
	v_dual_sub_nc_u32 v4, v5, v4 :: v_dual_lshrrev_b32 v1, s11, v7
	v_mad_u32 v3, v4, s41, v3
	s_delay_alu instid0(VALU_DEP_4) | instskip(NEXT) | instid1(VALU_DEP_3)
	v_mad_u32 v2, v4, s40, v2
	v_mul_lo_u32 v5, v1, s9
	s_delay_alu instid0(VALU_DEP_1) | instskip(NEXT) | instid1(VALU_DEP_1)
	v_sub_nc_u32_e32 v4, v6, v5
	v_mad_u32 v3, v4, s43, v3
	s_delay_alu instid0(VALU_DEP_4)
	v_mad_u32 v2, v4, s42, v2
	s_cbranch_scc1 .LBB261_419
; %bb.420:
	s_and_b32 s4, s1, 3
	s_mov_b32 s1, 0
	s_cmp_eq_u32 s4, 0
	s_cbranch_scc0 .LBB261_425
	s_branch .LBB261_427
.LBB261_421:
	s_endpgm
.LBB261_422:
	s_mov_b32 s6, -1
                                        ; implicit-def: $vgpr3
	s_branch .LBB261_427
.LBB261_423:
	v_dual_mov_b32 v3, 0 :: v_dual_mov_b32 v2, 0
	s_branch .LBB261_427
.LBB261_424:
	v_mov_b64_e32 v[2:3], 0
	v_mov_b32_e32 v1, v0
	s_mov_b32 s0, 0
	s_and_b32 s4, s1, 3
	s_mov_b32 s1, 0
	s_cmp_eq_u32 s4, 0
	s_cbranch_scc1 .LBB261_427
.LBB261_425:
	s_lshl_b32 s2, s0, 3
	s_mov_b32 s3, s1
	s_mul_u64 s[8:9], s[0:1], 12
	s_add_nc_u64 s[2:3], s[12:13], s[2:3]
	s_delay_alu instid0(SALU_CYCLE_1)
	s_add_nc_u64 s[0:1], s[2:3], 0xc4
	s_add_nc_u64 s[2:3], s[12:13], s[8:9]
.LBB261_426:                            ; =>This Inner Loop Header: Depth=1
	s_load_b96 s[8:10], s[2:3], 0x4
	s_add_co_i32 s4, s4, -1
	s_wait_xcnt 0x0
	s_add_nc_u64 s[2:3], s[2:3], 12
	s_cmp_lg_u32 s4, 0
	s_wait_kmcnt 0x0
	v_mul_hi_u32 v4, s9, v1
	s_delay_alu instid0(VALU_DEP_1) | instskip(NEXT) | instid1(VALU_DEP_1)
	v_add_nc_u32_e32 v4, v1, v4
	v_lshrrev_b32_e32 v4, s10, v4
	s_load_b64 s[10:11], s[0:1], 0x0
	s_wait_xcnt 0x0
	s_add_nc_u64 s[0:1], s[0:1], 8
	s_delay_alu instid0(VALU_DEP_1) | instskip(NEXT) | instid1(VALU_DEP_1)
	v_mul_lo_u32 v5, v4, s8
	v_sub_nc_u32_e32 v1, v1, v5
	s_wait_kmcnt 0x0
	s_delay_alu instid0(VALU_DEP_1)
	v_mad_u32 v3, v1, s11, v3
	v_mad_u32 v2, v1, s10, v2
	v_mov_b32_e32 v1, v4
	s_cbranch_scc1 .LBB261_426
.LBB261_427:
	s_and_not1_b32 vcc_lo, exec_lo, s6
	s_cbranch_vccnz .LBB261_430
; %bb.428:
	s_clause 0x1
	s_load_b96 s[0:2], s[12:13], 0x4
	s_load_b64 s[4:5], s[12:13], 0xc4
	s_cmp_lt_u32 s30, 2
	s_wait_kmcnt 0x0
	v_mul_hi_u32 v1, s1, v0
	s_delay_alu instid0(VALU_DEP_1) | instskip(NEXT) | instid1(VALU_DEP_1)
	v_add_nc_u32_e32 v1, v0, v1
	v_lshrrev_b32_e32 v1, s2, v1
	s_delay_alu instid0(VALU_DEP_1) | instskip(NEXT) | instid1(VALU_DEP_1)
	v_mul_lo_u32 v2, v1, s0
	v_sub_nc_u32_e32 v2, v0, v2
	s_delay_alu instid0(VALU_DEP_1)
	v_mul_lo_u32 v3, v2, s5
	v_mul_lo_u32 v2, v2, s4
	s_cbranch_scc1 .LBB261_430
; %bb.429:
	s_clause 0x1
	s_load_b96 s[0:2], s[12:13], 0x10
	s_load_b64 s[4:5], s[12:13], 0xcc
	s_wait_kmcnt 0x0
	v_mul_hi_u32 v4, s1, v1
	s_delay_alu instid0(VALU_DEP_1) | instskip(NEXT) | instid1(VALU_DEP_1)
	v_add_nc_u32_e32 v4, v1, v4
	v_lshrrev_b32_e32 v4, s2, v4
	s_delay_alu instid0(VALU_DEP_1) | instskip(NEXT) | instid1(VALU_DEP_1)
	v_mul_lo_u32 v4, v4, s0
	v_sub_nc_u32_e32 v1, v1, v4
	s_delay_alu instid0(VALU_DEP_1)
	v_mad_u32 v2, v1, s4, v2
	v_mad_u32 v3, v1, s5, v3
.LBB261_430:
	v_cmp_ne_u32_e32 vcc_lo, 1, v14
	v_add_nc_u32_e32 v1, 0x80, v0
	s_cbranch_vccnz .LBB261_436
; %bb.431:
	s_cmp_lg_u32 s30, 0
	s_mov_b32 s6, 0
	s_cbranch_scc0 .LBB261_437
; %bb.432:
	s_min_u32 s1, s31, 15
	s_delay_alu instid0(SALU_CYCLE_1)
	s_add_co_i32 s1, s1, 1
	s_cmp_eq_u32 s31, 2
	s_cbranch_scc1 .LBB261_438
; %bb.433:
	v_dual_mov_b32 v4, 0 :: v_dual_mov_b32 v5, 0
	v_mov_b32_e32 v6, v1
	s_and_b32 s0, s1, 28
	s_add_nc_u64 s[2:3], s[12:13], 0xc4
	s_mov_b32 s7, 0
	s_mov_b64 s[4:5], s[12:13]
.LBB261_434:                            ; =>This Inner Loop Header: Depth=1
	s_clause 0x1
	s_load_b256 s[16:23], s[4:5], 0x4
	s_load_b128 s[8:11], s[4:5], 0x24
	s_load_b256 s[36:43], s[2:3], 0x0
	s_add_co_i32 s7, s7, 4
	s_wait_xcnt 0x0
	s_add_nc_u64 s[4:5], s[4:5], 48
	s_cmp_lg_u32 s0, s7
	s_add_nc_u64 s[2:3], s[2:3], 32
	s_wait_kmcnt 0x0
	v_mul_hi_u32 v7, s17, v6
	s_delay_alu instid0(VALU_DEP_1) | instskip(NEXT) | instid1(VALU_DEP_1)
	v_add_nc_u32_e32 v7, v6, v7
	v_lshrrev_b32_e32 v7, s18, v7
	s_delay_alu instid0(VALU_DEP_1) | instskip(NEXT) | instid1(VALU_DEP_1)
	v_mul_hi_u32 v8, s20, v7
	v_add_nc_u32_e32 v8, v7, v8
	s_delay_alu instid0(VALU_DEP_1) | instskip(NEXT) | instid1(VALU_DEP_1)
	v_lshrrev_b32_e32 v8, s21, v8
	v_mul_hi_u32 v9, s23, v8
	s_delay_alu instid0(VALU_DEP_1) | instskip(SKIP_1) | instid1(VALU_DEP_1)
	v_add_nc_u32_e32 v9, v8, v9
	v_mul_lo_u32 v10, v7, s16
	v_sub_nc_u32_e32 v6, v6, v10
	v_mul_lo_u32 v10, v8, s19
	s_delay_alu instid0(VALU_DEP_4) | instskip(NEXT) | instid1(VALU_DEP_3)
	v_lshrrev_b32_e32 v9, s8, v9
	v_mad_u32 v5, v6, s37, v5
	v_mad_u32 v4, v6, s36, v4
	s_delay_alu instid0(VALU_DEP_4) | instskip(NEXT) | instid1(VALU_DEP_4)
	v_sub_nc_u32_e32 v6, v7, v10
	v_mul_hi_u32 v11, s10, v9
	v_mul_lo_u32 v7, v9, s22
	s_delay_alu instid0(VALU_DEP_3) | instskip(SKIP_1) | instid1(VALU_DEP_4)
	v_mad_u32 v5, v6, s39, v5
	v_mad_u32 v4, v6, s38, v4
	v_add_nc_u32_e32 v10, v9, v11
	s_delay_alu instid0(VALU_DEP_1) | instskip(NEXT) | instid1(VALU_DEP_1)
	v_dual_sub_nc_u32 v7, v8, v7 :: v_dual_lshrrev_b32 v6, s11, v10
	v_mad_u32 v5, v7, s41, v5
	s_delay_alu instid0(VALU_DEP_4) | instskip(NEXT) | instid1(VALU_DEP_3)
	v_mad_u32 v4, v7, s40, v4
	v_mul_lo_u32 v8, v6, s9
	s_delay_alu instid0(VALU_DEP_1) | instskip(NEXT) | instid1(VALU_DEP_1)
	v_sub_nc_u32_e32 v7, v9, v8
	v_mad_u32 v5, v7, s43, v5
	s_delay_alu instid0(VALU_DEP_4)
	v_mad_u32 v4, v7, s42, v4
	s_cbranch_scc1 .LBB261_434
; %bb.435:
	s_and_b32 s4, s1, 3
	s_mov_b32 s1, 0
	s_cmp_eq_u32 s4, 0
	s_cbranch_scc0 .LBB261_439
	s_branch .LBB261_441
.LBB261_436:
	s_mov_b32 s6, -1
                                        ; implicit-def: $vgpr5
	s_branch .LBB261_441
.LBB261_437:
	v_dual_mov_b32 v5, 0 :: v_dual_mov_b32 v4, 0
	s_branch .LBB261_441
.LBB261_438:
	v_mov_b64_e32 v[4:5], 0
	v_mov_b32_e32 v6, v1
	s_mov_b32 s0, 0
	s_and_b32 s4, s1, 3
	s_mov_b32 s1, 0
	s_cmp_eq_u32 s4, 0
	s_cbranch_scc1 .LBB261_441
.LBB261_439:
	s_lshl_b32 s2, s0, 3
	s_mov_b32 s3, s1
	s_mul_u64 s[8:9], s[0:1], 12
	s_add_nc_u64 s[2:3], s[12:13], s[2:3]
	s_delay_alu instid0(SALU_CYCLE_1)
	s_add_nc_u64 s[0:1], s[2:3], 0xc4
	s_add_nc_u64 s[2:3], s[12:13], s[8:9]
.LBB261_440:                            ; =>This Inner Loop Header: Depth=1
	s_load_b96 s[8:10], s[2:3], 0x4
	s_add_co_i32 s4, s4, -1
	s_wait_xcnt 0x0
	s_add_nc_u64 s[2:3], s[2:3], 12
	s_cmp_lg_u32 s4, 0
	s_wait_kmcnt 0x0
	v_mul_hi_u32 v7, s9, v6
	s_delay_alu instid0(VALU_DEP_1) | instskip(NEXT) | instid1(VALU_DEP_1)
	v_add_nc_u32_e32 v7, v6, v7
	v_lshrrev_b32_e32 v7, s10, v7
	s_load_b64 s[10:11], s[0:1], 0x0
	s_wait_xcnt 0x0
	s_add_nc_u64 s[0:1], s[0:1], 8
	s_delay_alu instid0(VALU_DEP_1) | instskip(NEXT) | instid1(VALU_DEP_1)
	v_mul_lo_u32 v8, v7, s8
	v_sub_nc_u32_e32 v6, v6, v8
	s_wait_kmcnt 0x0
	s_delay_alu instid0(VALU_DEP_1)
	v_mad_u32 v5, v6, s11, v5
	v_mad_u32 v4, v6, s10, v4
	v_mov_b32_e32 v6, v7
	s_cbranch_scc1 .LBB261_440
.LBB261_441:
	s_and_not1_b32 vcc_lo, exec_lo, s6
	s_cbranch_vccnz .LBB261_444
; %bb.442:
	s_clause 0x1
	s_load_b96 s[0:2], s[12:13], 0x4
	s_load_b64 s[4:5], s[12:13], 0xc4
	s_cmp_lt_u32 s30, 2
	s_wait_kmcnt 0x0
	v_mul_hi_u32 v4, s1, v1
	s_delay_alu instid0(VALU_DEP_1) | instskip(NEXT) | instid1(VALU_DEP_1)
	v_add_nc_u32_e32 v4, v1, v4
	v_lshrrev_b32_e32 v6, s2, v4
	s_delay_alu instid0(VALU_DEP_1) | instskip(NEXT) | instid1(VALU_DEP_1)
	v_mul_lo_u32 v4, v6, s0
	v_sub_nc_u32_e32 v1, v1, v4
	s_delay_alu instid0(VALU_DEP_1)
	v_mul_lo_u32 v5, v1, s5
	v_mul_lo_u32 v4, v1, s4
	s_cbranch_scc1 .LBB261_444
; %bb.443:
	s_clause 0x1
	s_load_b96 s[0:2], s[12:13], 0x10
	s_load_b64 s[4:5], s[12:13], 0xcc
	s_wait_kmcnt 0x0
	v_mul_hi_u32 v1, s1, v6
	s_delay_alu instid0(VALU_DEP_1) | instskip(NEXT) | instid1(VALU_DEP_1)
	v_add_nc_u32_e32 v1, v6, v1
	v_lshrrev_b32_e32 v1, s2, v1
	s_delay_alu instid0(VALU_DEP_1) | instskip(NEXT) | instid1(VALU_DEP_1)
	v_mul_lo_u32 v1, v1, s0
	v_sub_nc_u32_e32 v1, v6, v1
	s_delay_alu instid0(VALU_DEP_1)
	v_mad_u32 v4, v1, s4, v4
	v_mad_u32 v5, v1, s5, v5
.LBB261_444:
	v_cmp_ne_u32_e32 vcc_lo, 1, v14
	v_add_nc_u32_e32 v1, 0x100, v0
	s_cbranch_vccnz .LBB261_450
; %bb.445:
	s_cmp_lg_u32 s30, 0
	s_mov_b32 s6, 0
	s_cbranch_scc0 .LBB261_451
; %bb.446:
	s_min_u32 s1, s31, 15
	s_delay_alu instid0(SALU_CYCLE_1)
	s_add_co_i32 s1, s1, 1
	s_cmp_eq_u32 s31, 2
	s_cbranch_scc1 .LBB261_452
; %bb.447:
	v_dual_mov_b32 v6, 0 :: v_dual_mov_b32 v7, 0
	v_mov_b32_e32 v8, v1
	s_and_b32 s0, s1, 28
	s_add_nc_u64 s[2:3], s[12:13], 0xc4
	s_mov_b32 s7, 0
	s_mov_b64 s[4:5], s[12:13]
.LBB261_448:                            ; =>This Inner Loop Header: Depth=1
	s_clause 0x1
	s_load_b256 s[16:23], s[4:5], 0x4
	s_load_b128 s[8:11], s[4:5], 0x24
	s_load_b256 s[36:43], s[2:3], 0x0
	s_add_co_i32 s7, s7, 4
	s_wait_xcnt 0x0
	s_add_nc_u64 s[4:5], s[4:5], 48
	s_cmp_lg_u32 s0, s7
	s_add_nc_u64 s[2:3], s[2:3], 32
	s_wait_kmcnt 0x0
	v_mul_hi_u32 v9, s17, v8
	s_delay_alu instid0(VALU_DEP_1) | instskip(NEXT) | instid1(VALU_DEP_1)
	v_add_nc_u32_e32 v9, v8, v9
	v_lshrrev_b32_e32 v9, s18, v9
	s_delay_alu instid0(VALU_DEP_1) | instskip(NEXT) | instid1(VALU_DEP_1)
	v_mul_hi_u32 v10, s20, v9
	v_add_nc_u32_e32 v10, v9, v10
	s_delay_alu instid0(VALU_DEP_1) | instskip(NEXT) | instid1(VALU_DEP_1)
	v_lshrrev_b32_e32 v10, s21, v10
	v_mul_hi_u32 v11, s23, v10
	s_delay_alu instid0(VALU_DEP_1) | instskip(SKIP_1) | instid1(VALU_DEP_1)
	v_add_nc_u32_e32 v11, v10, v11
	v_mul_lo_u32 v12, v9, s16
	v_sub_nc_u32_e32 v8, v8, v12
	v_mul_lo_u32 v12, v10, s19
	s_delay_alu instid0(VALU_DEP_4) | instskip(NEXT) | instid1(VALU_DEP_3)
	v_lshrrev_b32_e32 v11, s8, v11
	v_mad_u32 v7, v8, s37, v7
	v_mad_u32 v6, v8, s36, v6
	s_delay_alu instid0(VALU_DEP_4) | instskip(NEXT) | instid1(VALU_DEP_4)
	v_sub_nc_u32_e32 v8, v9, v12
	v_mul_hi_u32 v13, s10, v11
	v_mul_lo_u32 v9, v11, s22
	s_delay_alu instid0(VALU_DEP_3) | instskip(SKIP_1) | instid1(VALU_DEP_4)
	v_mad_u32 v7, v8, s39, v7
	v_mad_u32 v6, v8, s38, v6
	v_add_nc_u32_e32 v12, v11, v13
	s_delay_alu instid0(VALU_DEP_1) | instskip(NEXT) | instid1(VALU_DEP_1)
	v_dual_sub_nc_u32 v9, v10, v9 :: v_dual_lshrrev_b32 v8, s11, v12
	v_mad_u32 v7, v9, s41, v7
	s_delay_alu instid0(VALU_DEP_4) | instskip(NEXT) | instid1(VALU_DEP_3)
	v_mad_u32 v6, v9, s40, v6
	v_mul_lo_u32 v10, v8, s9
	s_delay_alu instid0(VALU_DEP_1) | instskip(NEXT) | instid1(VALU_DEP_1)
	v_sub_nc_u32_e32 v9, v11, v10
	v_mad_u32 v7, v9, s43, v7
	s_delay_alu instid0(VALU_DEP_4)
	v_mad_u32 v6, v9, s42, v6
	s_cbranch_scc1 .LBB261_448
; %bb.449:
	s_and_b32 s4, s1, 3
	s_mov_b32 s1, 0
	s_cmp_eq_u32 s4, 0
	s_cbranch_scc0 .LBB261_453
	s_branch .LBB261_455
.LBB261_450:
	s_mov_b32 s6, -1
                                        ; implicit-def: $vgpr7
	s_branch .LBB261_455
.LBB261_451:
	v_dual_mov_b32 v7, 0 :: v_dual_mov_b32 v6, 0
	s_branch .LBB261_455
.LBB261_452:
	v_mov_b64_e32 v[6:7], 0
	v_mov_b32_e32 v8, v1
	s_mov_b32 s0, 0
	s_and_b32 s4, s1, 3
	s_mov_b32 s1, 0
	s_cmp_eq_u32 s4, 0
	s_cbranch_scc1 .LBB261_455
.LBB261_453:
	s_lshl_b32 s2, s0, 3
	s_mov_b32 s3, s1
	s_mul_u64 s[8:9], s[0:1], 12
	s_add_nc_u64 s[2:3], s[12:13], s[2:3]
	s_delay_alu instid0(SALU_CYCLE_1)
	s_add_nc_u64 s[0:1], s[2:3], 0xc4
	s_add_nc_u64 s[2:3], s[12:13], s[8:9]
.LBB261_454:                            ; =>This Inner Loop Header: Depth=1
	s_load_b96 s[8:10], s[2:3], 0x4
	s_add_co_i32 s4, s4, -1
	s_wait_xcnt 0x0
	s_add_nc_u64 s[2:3], s[2:3], 12
	s_cmp_lg_u32 s4, 0
	s_wait_kmcnt 0x0
	v_mul_hi_u32 v9, s9, v8
	s_delay_alu instid0(VALU_DEP_1) | instskip(NEXT) | instid1(VALU_DEP_1)
	v_add_nc_u32_e32 v9, v8, v9
	v_lshrrev_b32_e32 v9, s10, v9
	s_load_b64 s[10:11], s[0:1], 0x0
	s_wait_xcnt 0x0
	s_add_nc_u64 s[0:1], s[0:1], 8
	s_delay_alu instid0(VALU_DEP_1) | instskip(NEXT) | instid1(VALU_DEP_1)
	v_mul_lo_u32 v10, v9, s8
	v_sub_nc_u32_e32 v8, v8, v10
	s_wait_kmcnt 0x0
	s_delay_alu instid0(VALU_DEP_1)
	v_mad_u32 v7, v8, s11, v7
	v_mad_u32 v6, v8, s10, v6
	v_mov_b32_e32 v8, v9
	s_cbranch_scc1 .LBB261_454
.LBB261_455:
	s_and_not1_b32 vcc_lo, exec_lo, s6
	s_cbranch_vccnz .LBB261_458
; %bb.456:
	s_clause 0x1
	s_load_b96 s[0:2], s[12:13], 0x4
	s_load_b64 s[4:5], s[12:13], 0xc4
	s_cmp_lt_u32 s30, 2
	s_wait_kmcnt 0x0
	v_mul_hi_u32 v6, s1, v1
	s_delay_alu instid0(VALU_DEP_1) | instskip(NEXT) | instid1(VALU_DEP_1)
	v_add_nc_u32_e32 v6, v1, v6
	v_lshrrev_b32_e32 v8, s2, v6
	s_delay_alu instid0(VALU_DEP_1) | instskip(NEXT) | instid1(VALU_DEP_1)
	v_mul_lo_u32 v6, v8, s0
	v_sub_nc_u32_e32 v1, v1, v6
	s_delay_alu instid0(VALU_DEP_1)
	v_mul_lo_u32 v7, v1, s5
	v_mul_lo_u32 v6, v1, s4
	s_cbranch_scc1 .LBB261_458
; %bb.457:
	s_clause 0x1
	s_load_b96 s[0:2], s[12:13], 0x10
	s_load_b64 s[4:5], s[12:13], 0xcc
	s_wait_kmcnt 0x0
	v_mul_hi_u32 v1, s1, v8
	s_delay_alu instid0(VALU_DEP_1) | instskip(NEXT) | instid1(VALU_DEP_1)
	v_add_nc_u32_e32 v1, v8, v1
	v_lshrrev_b32_e32 v1, s2, v1
	s_delay_alu instid0(VALU_DEP_1) | instskip(NEXT) | instid1(VALU_DEP_1)
	v_mul_lo_u32 v1, v1, s0
	v_sub_nc_u32_e32 v1, v8, v1
	s_delay_alu instid0(VALU_DEP_1)
	v_mad_u32 v6, v1, s4, v6
	v_mad_u32 v7, v1, s5, v7
.LBB261_458:
	v_cmp_ne_u32_e32 vcc_lo, 1, v14
	v_add_nc_u32_e32 v1, 0x180, v0
	s_cbranch_vccnz .LBB261_464
; %bb.459:
	s_cmp_lg_u32 s30, 0
	s_mov_b32 s6, 0
	s_cbranch_scc0 .LBB261_465
; %bb.460:
	s_min_u32 s1, s31, 15
	s_delay_alu instid0(SALU_CYCLE_1)
	s_add_co_i32 s1, s1, 1
	s_cmp_eq_u32 s31, 2
	s_cbranch_scc1 .LBB261_466
; %bb.461:
	v_dual_mov_b32 v8, 0 :: v_dual_mov_b32 v9, 0
	v_mov_b32_e32 v10, v1
	s_and_b32 s0, s1, 28
	s_add_nc_u64 s[2:3], s[12:13], 0xc4
	s_mov_b32 s7, 0
	s_mov_b64 s[4:5], s[12:13]
.LBB261_462:                            ; =>This Inner Loop Header: Depth=1
	s_clause 0x1
	s_load_b256 s[16:23], s[4:5], 0x4
	s_load_b128 s[8:11], s[4:5], 0x24
	s_load_b256 s[36:43], s[2:3], 0x0
	s_add_co_i32 s7, s7, 4
	s_wait_xcnt 0x0
	s_add_nc_u64 s[4:5], s[4:5], 48
	s_cmp_lg_u32 s0, s7
	s_add_nc_u64 s[2:3], s[2:3], 32
	s_wait_kmcnt 0x0
	v_mul_hi_u32 v11, s17, v10
	s_delay_alu instid0(VALU_DEP_1) | instskip(NEXT) | instid1(VALU_DEP_1)
	v_add_nc_u32_e32 v11, v10, v11
	v_lshrrev_b32_e32 v11, s18, v11
	s_delay_alu instid0(VALU_DEP_1) | instskip(NEXT) | instid1(VALU_DEP_1)
	v_mul_hi_u32 v12, s20, v11
	v_add_nc_u32_e32 v12, v11, v12
	s_delay_alu instid0(VALU_DEP_1) | instskip(NEXT) | instid1(VALU_DEP_1)
	v_lshrrev_b32_e32 v12, s21, v12
	v_mul_hi_u32 v13, s23, v12
	s_delay_alu instid0(VALU_DEP_1) | instskip(SKIP_1) | instid1(VALU_DEP_1)
	v_add_nc_u32_e32 v13, v12, v13
	v_mul_lo_u32 v15, v11, s16
	v_sub_nc_u32_e32 v10, v10, v15
	v_mul_lo_u32 v15, v12, s19
	s_delay_alu instid0(VALU_DEP_4) | instskip(NEXT) | instid1(VALU_DEP_3)
	v_lshrrev_b32_e32 v13, s8, v13
	v_mad_u32 v9, v10, s37, v9
	v_mad_u32 v8, v10, s36, v8
	s_delay_alu instid0(VALU_DEP_4) | instskip(NEXT) | instid1(VALU_DEP_4)
	v_sub_nc_u32_e32 v10, v11, v15
	v_mul_hi_u32 v17, s10, v13
	v_mul_lo_u32 v11, v13, s22
	s_delay_alu instid0(VALU_DEP_3) | instskip(SKIP_1) | instid1(VALU_DEP_3)
	v_mad_u32 v9, v10, s39, v9
	v_mad_u32 v8, v10, s38, v8
	v_dual_add_nc_u32 v15, v13, v17 :: v_dual_sub_nc_u32 v11, v12, v11
	s_delay_alu instid0(VALU_DEP_1) | instskip(NEXT) | instid1(VALU_DEP_2)
	v_lshrrev_b32_e32 v10, s11, v15
	v_mad_u32 v9, v11, s41, v9
	s_delay_alu instid0(VALU_DEP_4) | instskip(NEXT) | instid1(VALU_DEP_3)
	v_mad_u32 v8, v11, s40, v8
	v_mul_lo_u32 v12, v10, s9
	s_delay_alu instid0(VALU_DEP_1) | instskip(NEXT) | instid1(VALU_DEP_1)
	v_sub_nc_u32_e32 v11, v13, v12
	v_mad_u32 v9, v11, s43, v9
	s_delay_alu instid0(VALU_DEP_4)
	v_mad_u32 v8, v11, s42, v8
	s_cbranch_scc1 .LBB261_462
; %bb.463:
	s_and_b32 s4, s1, 3
	s_mov_b32 s1, 0
	s_cmp_eq_u32 s4, 0
	s_cbranch_scc0 .LBB261_467
	s_branch .LBB261_469
.LBB261_464:
	s_mov_b32 s6, -1
                                        ; implicit-def: $vgpr9
	s_branch .LBB261_469
.LBB261_465:
	v_dual_mov_b32 v9, 0 :: v_dual_mov_b32 v8, 0
	s_branch .LBB261_469
.LBB261_466:
	v_mov_b64_e32 v[8:9], 0
	v_mov_b32_e32 v10, v1
	s_mov_b32 s0, 0
	s_and_b32 s4, s1, 3
	s_mov_b32 s1, 0
	s_cmp_eq_u32 s4, 0
	s_cbranch_scc1 .LBB261_469
.LBB261_467:
	s_lshl_b32 s2, s0, 3
	s_mov_b32 s3, s1
	s_mul_u64 s[8:9], s[0:1], 12
	s_add_nc_u64 s[2:3], s[12:13], s[2:3]
	s_delay_alu instid0(SALU_CYCLE_1)
	s_add_nc_u64 s[0:1], s[2:3], 0xc4
	s_add_nc_u64 s[2:3], s[12:13], s[8:9]
.LBB261_468:                            ; =>This Inner Loop Header: Depth=1
	s_load_b96 s[8:10], s[2:3], 0x4
	s_add_co_i32 s4, s4, -1
	s_wait_xcnt 0x0
	s_add_nc_u64 s[2:3], s[2:3], 12
	s_cmp_lg_u32 s4, 0
	s_wait_kmcnt 0x0
	v_mul_hi_u32 v11, s9, v10
	s_delay_alu instid0(VALU_DEP_1) | instskip(NEXT) | instid1(VALU_DEP_1)
	v_add_nc_u32_e32 v11, v10, v11
	v_lshrrev_b32_e32 v11, s10, v11
	s_load_b64 s[10:11], s[0:1], 0x0
	s_wait_xcnt 0x0
	s_add_nc_u64 s[0:1], s[0:1], 8
	s_delay_alu instid0(VALU_DEP_1) | instskip(NEXT) | instid1(VALU_DEP_1)
	v_mul_lo_u32 v12, v11, s8
	v_sub_nc_u32_e32 v10, v10, v12
	s_wait_kmcnt 0x0
	s_delay_alu instid0(VALU_DEP_1)
	v_mad_u32 v9, v10, s11, v9
	v_mad_u32 v8, v10, s10, v8
	v_mov_b32_e32 v10, v11
	s_cbranch_scc1 .LBB261_468
.LBB261_469:
	s_and_not1_b32 vcc_lo, exec_lo, s6
	s_cbranch_vccnz .LBB261_472
; %bb.470:
	s_clause 0x1
	s_load_b96 s[0:2], s[12:13], 0x4
	s_load_b64 s[4:5], s[12:13], 0xc4
	s_cmp_lt_u32 s30, 2
	s_wait_kmcnt 0x0
	v_mul_hi_u32 v8, s1, v1
	s_delay_alu instid0(VALU_DEP_1) | instskip(NEXT) | instid1(VALU_DEP_1)
	v_add_nc_u32_e32 v8, v1, v8
	v_lshrrev_b32_e32 v10, s2, v8
	s_delay_alu instid0(VALU_DEP_1) | instskip(NEXT) | instid1(VALU_DEP_1)
	v_mul_lo_u32 v8, v10, s0
	v_sub_nc_u32_e32 v1, v1, v8
	s_delay_alu instid0(VALU_DEP_1)
	v_mul_lo_u32 v9, v1, s5
	v_mul_lo_u32 v8, v1, s4
	s_cbranch_scc1 .LBB261_472
; %bb.471:
	s_clause 0x1
	s_load_b96 s[0:2], s[12:13], 0x10
	s_load_b64 s[4:5], s[12:13], 0xcc
	s_wait_kmcnt 0x0
	v_mul_hi_u32 v1, s1, v10
	s_delay_alu instid0(VALU_DEP_1) | instskip(NEXT) | instid1(VALU_DEP_1)
	v_add_nc_u32_e32 v1, v10, v1
	v_lshrrev_b32_e32 v1, s2, v1
	s_delay_alu instid0(VALU_DEP_1) | instskip(NEXT) | instid1(VALU_DEP_1)
	v_mul_lo_u32 v1, v1, s0
	v_sub_nc_u32_e32 v1, v10, v1
	s_delay_alu instid0(VALU_DEP_1)
	v_mad_u32 v8, v1, s4, v8
	v_mad_u32 v9, v1, s5, v9
.LBB261_472:
	v_cmp_ne_u32_e32 vcc_lo, 1, v14
	v_add_nc_u32_e32 v1, 0x200, v0
	s_cbranch_vccnz .LBB261_478
; %bb.473:
	s_cmp_lg_u32 s30, 0
	s_mov_b32 s6, 0
	s_cbranch_scc0 .LBB261_479
; %bb.474:
	s_min_u32 s1, s31, 15
	s_delay_alu instid0(SALU_CYCLE_1)
	s_add_co_i32 s1, s1, 1
	s_cmp_eq_u32 s31, 2
	s_cbranch_scc1 .LBB261_480
; %bb.475:
	v_dual_mov_b32 v10, 0 :: v_dual_mov_b32 v11, 0
	v_mov_b32_e32 v12, v1
	s_and_b32 s0, s1, 28
	s_add_nc_u64 s[2:3], s[12:13], 0xc4
	s_mov_b32 s7, 0
	s_mov_b64 s[4:5], s[12:13]
.LBB261_476:                            ; =>This Inner Loop Header: Depth=1
	s_clause 0x1
	s_load_b256 s[16:23], s[4:5], 0x4
	s_load_b128 s[8:11], s[4:5], 0x24
	s_load_b256 s[36:43], s[2:3], 0x0
	s_add_co_i32 s7, s7, 4
	s_wait_xcnt 0x0
	s_add_nc_u64 s[4:5], s[4:5], 48
	s_cmp_lg_u32 s0, s7
	s_add_nc_u64 s[2:3], s[2:3], 32
	s_wait_kmcnt 0x0
	v_mul_hi_u32 v13, s17, v12
	s_delay_alu instid0(VALU_DEP_1) | instskip(NEXT) | instid1(VALU_DEP_1)
	v_add_nc_u32_e32 v13, v12, v13
	v_lshrrev_b32_e32 v13, s18, v13
	s_delay_alu instid0(VALU_DEP_1) | instskip(NEXT) | instid1(VALU_DEP_1)
	v_mul_lo_u32 v18, v13, s16
	v_sub_nc_u32_e32 v12, v12, v18
	v_mul_hi_u32 v15, s20, v13
	s_delay_alu instid0(VALU_DEP_2) | instskip(SKIP_1) | instid1(VALU_DEP_3)
	v_mad_u32 v11, v12, s37, v11
	v_mad_u32 v10, v12, s36, v10
	v_add_nc_u32_e32 v15, v13, v15
	s_delay_alu instid0(VALU_DEP_1) | instskip(NEXT) | instid1(VALU_DEP_1)
	v_lshrrev_b32_e32 v15, s21, v15
	v_mul_hi_u32 v17, s23, v15
	v_mul_lo_u32 v18, v15, s19
	s_delay_alu instid0(VALU_DEP_1) | instskip(NEXT) | instid1(VALU_DEP_1)
	v_dual_add_nc_u32 v17, v15, v17 :: v_dual_sub_nc_u32 v12, v13, v18
	v_lshrrev_b32_e32 v17, s8, v17
	s_delay_alu instid0(VALU_DEP_2) | instskip(SKIP_1) | instid1(VALU_DEP_3)
	v_mad_u32 v11, v12, s39, v11
	v_mad_u32 v10, v12, s38, v10
	v_mul_hi_u32 v19, s10, v17
	v_mul_lo_u32 v13, v17, s22
	s_delay_alu instid0(VALU_DEP_1) | instskip(NEXT) | instid1(VALU_DEP_1)
	v_dual_add_nc_u32 v18, v17, v19 :: v_dual_sub_nc_u32 v13, v15, v13
	v_lshrrev_b32_e32 v12, s11, v18
	s_delay_alu instid0(VALU_DEP_2) | instskip(SKIP_1) | instid1(VALU_DEP_3)
	v_mad_u32 v11, v13, s41, v11
	v_mad_u32 v10, v13, s40, v10
	v_mul_lo_u32 v15, v12, s9
	s_delay_alu instid0(VALU_DEP_1) | instskip(NEXT) | instid1(VALU_DEP_1)
	v_sub_nc_u32_e32 v13, v17, v15
	v_mad_u32 v11, v13, s43, v11
	s_delay_alu instid0(VALU_DEP_4)
	v_mad_u32 v10, v13, s42, v10
	s_cbranch_scc1 .LBB261_476
; %bb.477:
	s_and_b32 s4, s1, 3
	s_mov_b32 s1, 0
	s_cmp_eq_u32 s4, 0
	s_cbranch_scc0 .LBB261_481
	s_branch .LBB261_483
.LBB261_478:
	s_mov_b32 s6, -1
                                        ; implicit-def: $vgpr11
	s_branch .LBB261_483
.LBB261_479:
	v_dual_mov_b32 v11, 0 :: v_dual_mov_b32 v10, 0
	s_branch .LBB261_483
.LBB261_480:
	v_mov_b64_e32 v[10:11], 0
	v_mov_b32_e32 v12, v1
	s_mov_b32 s0, 0
	s_and_b32 s4, s1, 3
	s_mov_b32 s1, 0
	s_cmp_eq_u32 s4, 0
	s_cbranch_scc1 .LBB261_483
.LBB261_481:
	s_lshl_b32 s2, s0, 3
	s_mov_b32 s3, s1
	s_mul_u64 s[8:9], s[0:1], 12
	s_add_nc_u64 s[2:3], s[12:13], s[2:3]
	s_delay_alu instid0(SALU_CYCLE_1)
	s_add_nc_u64 s[0:1], s[2:3], 0xc4
	s_add_nc_u64 s[2:3], s[12:13], s[8:9]
.LBB261_482:                            ; =>This Inner Loop Header: Depth=1
	s_load_b96 s[8:10], s[2:3], 0x4
	s_add_co_i32 s4, s4, -1
	s_wait_xcnt 0x0
	s_add_nc_u64 s[2:3], s[2:3], 12
	s_cmp_lg_u32 s4, 0
	s_wait_kmcnt 0x0
	v_mul_hi_u32 v13, s9, v12
	s_delay_alu instid0(VALU_DEP_1) | instskip(NEXT) | instid1(VALU_DEP_1)
	v_add_nc_u32_e32 v13, v12, v13
	v_lshrrev_b32_e32 v13, s10, v13
	s_load_b64 s[10:11], s[0:1], 0x0
	s_wait_xcnt 0x0
	s_add_nc_u64 s[0:1], s[0:1], 8
	s_delay_alu instid0(VALU_DEP_1) | instskip(NEXT) | instid1(VALU_DEP_1)
	v_mul_lo_u32 v15, v13, s8
	v_sub_nc_u32_e32 v12, v12, v15
	s_wait_kmcnt 0x0
	s_delay_alu instid0(VALU_DEP_1)
	v_mad_u32 v11, v12, s11, v11
	v_mad_u32 v10, v12, s10, v10
	v_mov_b32_e32 v12, v13
	s_cbranch_scc1 .LBB261_482
.LBB261_483:
	s_and_not1_b32 vcc_lo, exec_lo, s6
	s_cbranch_vccnz .LBB261_486
; %bb.484:
	s_clause 0x1
	s_load_b96 s[0:2], s[12:13], 0x4
	s_load_b64 s[4:5], s[12:13], 0xc4
	s_cmp_lt_u32 s30, 2
	s_wait_kmcnt 0x0
	v_mul_hi_u32 v10, s1, v1
	s_delay_alu instid0(VALU_DEP_1) | instskip(NEXT) | instid1(VALU_DEP_1)
	v_add_nc_u32_e32 v10, v1, v10
	v_lshrrev_b32_e32 v12, s2, v10
	s_delay_alu instid0(VALU_DEP_1) | instskip(NEXT) | instid1(VALU_DEP_1)
	v_mul_lo_u32 v10, v12, s0
	v_sub_nc_u32_e32 v1, v1, v10
	s_delay_alu instid0(VALU_DEP_1)
	v_mul_lo_u32 v11, v1, s5
	v_mul_lo_u32 v10, v1, s4
	s_cbranch_scc1 .LBB261_486
; %bb.485:
	s_clause 0x1
	s_load_b96 s[0:2], s[12:13], 0x10
	s_load_b64 s[4:5], s[12:13], 0xcc
	s_wait_kmcnt 0x0
	v_mul_hi_u32 v1, s1, v12
	s_delay_alu instid0(VALU_DEP_1) | instskip(NEXT) | instid1(VALU_DEP_1)
	v_add_nc_u32_e32 v1, v12, v1
	v_lshrrev_b32_e32 v1, s2, v1
	s_delay_alu instid0(VALU_DEP_1) | instskip(NEXT) | instid1(VALU_DEP_1)
	v_mul_lo_u32 v1, v1, s0
	v_sub_nc_u32_e32 v1, v12, v1
	s_delay_alu instid0(VALU_DEP_1)
	v_mad_u32 v10, v1, s4, v10
	v_mad_u32 v11, v1, s5, v11
.LBB261_486:
	v_cmp_ne_u32_e32 vcc_lo, 1, v14
	v_add_nc_u32_e32 v1, 0x280, v0
	s_cbranch_vccnz .LBB261_492
; %bb.487:
	s_cmp_lg_u32 s30, 0
	s_mov_b32 s6, 0
	s_cbranch_scc0 .LBB261_493
; %bb.488:
	s_min_u32 s1, s31, 15
	s_delay_alu instid0(SALU_CYCLE_1)
	s_add_co_i32 s1, s1, 1
	s_cmp_eq_u32 s31, 2
	s_cbranch_scc1 .LBB261_494
; %bb.489:
	v_dual_mov_b32 v12, 0 :: v_dual_mov_b32 v13, 0
	v_mov_b32_e32 v15, v1
	s_and_b32 s0, s1, 28
	s_add_nc_u64 s[2:3], s[12:13], 0xc4
	s_mov_b32 s7, 0
	s_mov_b64 s[4:5], s[12:13]
.LBB261_490:                            ; =>This Inner Loop Header: Depth=1
	s_clause 0x1
	s_load_b256 s[16:23], s[4:5], 0x4
	s_load_b128 s[8:11], s[4:5], 0x24
	s_load_b256 s[36:43], s[2:3], 0x0
	s_add_co_i32 s7, s7, 4
	s_wait_xcnt 0x0
	s_add_nc_u64 s[4:5], s[4:5], 48
	s_cmp_lg_u32 s0, s7
	s_add_nc_u64 s[2:3], s[2:3], 32
	s_wait_kmcnt 0x0
	v_mul_hi_u32 v17, s17, v15
	s_delay_alu instid0(VALU_DEP_1) | instskip(NEXT) | instid1(VALU_DEP_1)
	v_add_nc_u32_e32 v17, v15, v17
	v_lshrrev_b32_e32 v17, s18, v17
	s_delay_alu instid0(VALU_DEP_1) | instskip(NEXT) | instid1(VALU_DEP_1)
	v_mul_hi_u32 v18, s20, v17
	v_add_nc_u32_e32 v18, v17, v18
	s_delay_alu instid0(VALU_DEP_1) | instskip(NEXT) | instid1(VALU_DEP_1)
	v_lshrrev_b32_e32 v18, s21, v18
	v_mul_hi_u32 v19, s23, v18
	s_delay_alu instid0(VALU_DEP_1) | instskip(SKIP_1) | instid1(VALU_DEP_1)
	v_add_nc_u32_e32 v19, v18, v19
	v_mul_lo_u32 v20, v17, s16
	v_sub_nc_u32_e32 v15, v15, v20
	v_mul_lo_u32 v20, v18, s19
	s_delay_alu instid0(VALU_DEP_4) | instskip(NEXT) | instid1(VALU_DEP_3)
	v_lshrrev_b32_e32 v19, s8, v19
	v_mad_u32 v13, v15, s37, v13
	v_mad_u32 v12, v15, s36, v12
	s_delay_alu instid0(VALU_DEP_4) | instskip(NEXT) | instid1(VALU_DEP_4)
	v_sub_nc_u32_e32 v15, v17, v20
	v_mul_hi_u32 v21, s10, v19
	v_mul_lo_u32 v17, v19, s22
	s_delay_alu instid0(VALU_DEP_3) | instskip(SKIP_1) | instid1(VALU_DEP_4)
	v_mad_u32 v13, v15, s39, v13
	v_mad_u32 v12, v15, s38, v12
	v_add_nc_u32_e32 v20, v19, v21
	s_delay_alu instid0(VALU_DEP_1) | instskip(NEXT) | instid1(VALU_DEP_1)
	v_dual_sub_nc_u32 v17, v18, v17 :: v_dual_lshrrev_b32 v15, s11, v20
	v_mad_u32 v13, v17, s41, v13
	s_delay_alu instid0(VALU_DEP_4) | instskip(NEXT) | instid1(VALU_DEP_3)
	v_mad_u32 v12, v17, s40, v12
	v_mul_lo_u32 v18, v15, s9
	s_delay_alu instid0(VALU_DEP_1) | instskip(NEXT) | instid1(VALU_DEP_1)
	v_sub_nc_u32_e32 v17, v19, v18
	v_mad_u32 v13, v17, s43, v13
	s_delay_alu instid0(VALU_DEP_4)
	v_mad_u32 v12, v17, s42, v12
	s_cbranch_scc1 .LBB261_490
; %bb.491:
	s_and_b32 s4, s1, 3
	s_mov_b32 s1, 0
	s_cmp_eq_u32 s4, 0
	s_cbranch_scc0 .LBB261_495
	s_branch .LBB261_497
.LBB261_492:
	s_mov_b32 s6, -1
                                        ; implicit-def: $vgpr13
	s_branch .LBB261_497
.LBB261_493:
	v_dual_mov_b32 v13, 0 :: v_dual_mov_b32 v12, 0
	s_branch .LBB261_497
.LBB261_494:
	v_mov_b64_e32 v[12:13], 0
	v_mov_b32_e32 v15, v1
	s_mov_b32 s0, 0
	s_and_b32 s4, s1, 3
	s_mov_b32 s1, 0
	s_cmp_eq_u32 s4, 0
	s_cbranch_scc1 .LBB261_497
.LBB261_495:
	s_lshl_b32 s2, s0, 3
	s_mov_b32 s3, s1
	s_mul_u64 s[8:9], s[0:1], 12
	s_add_nc_u64 s[2:3], s[12:13], s[2:3]
	s_delay_alu instid0(SALU_CYCLE_1)
	s_add_nc_u64 s[0:1], s[2:3], 0xc4
	s_add_nc_u64 s[2:3], s[12:13], s[8:9]
.LBB261_496:                            ; =>This Inner Loop Header: Depth=1
	s_load_b96 s[8:10], s[2:3], 0x4
	s_add_co_i32 s4, s4, -1
	s_wait_xcnt 0x0
	s_add_nc_u64 s[2:3], s[2:3], 12
	s_cmp_lg_u32 s4, 0
	s_wait_kmcnt 0x0
	v_mul_hi_u32 v17, s9, v15
	s_delay_alu instid0(VALU_DEP_1) | instskip(NEXT) | instid1(VALU_DEP_1)
	v_add_nc_u32_e32 v17, v15, v17
	v_lshrrev_b32_e32 v17, s10, v17
	s_load_b64 s[10:11], s[0:1], 0x0
	s_wait_xcnt 0x0
	s_add_nc_u64 s[0:1], s[0:1], 8
	s_delay_alu instid0(VALU_DEP_1) | instskip(NEXT) | instid1(VALU_DEP_1)
	v_mul_lo_u32 v18, v17, s8
	v_sub_nc_u32_e32 v15, v15, v18
	s_wait_kmcnt 0x0
	s_delay_alu instid0(VALU_DEP_1)
	v_mad_u32 v13, v15, s11, v13
	v_mad_u32 v12, v15, s10, v12
	v_mov_b32_e32 v15, v17
	s_cbranch_scc1 .LBB261_496
.LBB261_497:
	s_and_not1_b32 vcc_lo, exec_lo, s6
	s_cbranch_vccnz .LBB261_500
; %bb.498:
	s_clause 0x1
	s_load_b96 s[0:2], s[12:13], 0x4
	s_load_b64 s[4:5], s[12:13], 0xc4
	s_cmp_lt_u32 s30, 2
	s_wait_kmcnt 0x0
	v_mul_hi_u32 v12, s1, v1
	s_delay_alu instid0(VALU_DEP_1) | instskip(NEXT) | instid1(VALU_DEP_1)
	v_add_nc_u32_e32 v12, v1, v12
	v_lshrrev_b32_e32 v15, s2, v12
	s_delay_alu instid0(VALU_DEP_1) | instskip(NEXT) | instid1(VALU_DEP_1)
	v_mul_lo_u32 v12, v15, s0
	v_sub_nc_u32_e32 v1, v1, v12
	s_delay_alu instid0(VALU_DEP_1)
	v_mul_lo_u32 v13, v1, s5
	v_mul_lo_u32 v12, v1, s4
	s_cbranch_scc1 .LBB261_500
; %bb.499:
	s_clause 0x1
	s_load_b96 s[0:2], s[12:13], 0x10
	s_load_b64 s[4:5], s[12:13], 0xcc
	s_wait_kmcnt 0x0
	v_mul_hi_u32 v1, s1, v15
	s_delay_alu instid0(VALU_DEP_1) | instskip(NEXT) | instid1(VALU_DEP_1)
	v_add_nc_u32_e32 v1, v15, v1
	v_lshrrev_b32_e32 v1, s2, v1
	s_delay_alu instid0(VALU_DEP_1) | instskip(NEXT) | instid1(VALU_DEP_1)
	v_mul_lo_u32 v1, v1, s0
	v_sub_nc_u32_e32 v1, v15, v1
	s_delay_alu instid0(VALU_DEP_1)
	v_mad_u32 v12, v1, s4, v12
	v_mad_u32 v13, v1, s5, v13
.LBB261_500:
	v_cmp_ne_u32_e32 vcc_lo, 1, v14
	v_add_nc_u32_e32 v15, 0x300, v0
	s_cbranch_vccnz .LBB261_506
; %bb.501:
	s_cmp_lg_u32 s30, 0
	s_mov_b32 s6, 0
	s_cbranch_scc0 .LBB261_507
; %bb.502:
	s_min_u32 s1, s31, 15
	s_delay_alu instid0(SALU_CYCLE_1)
	s_add_co_i32 s1, s1, 1
	s_cmp_eq_u32 s31, 2
	s_cbranch_scc1 .LBB261_508
; %bb.503:
	v_dual_mov_b32 v0, 0 :: v_dual_mov_b32 v1, 0
	v_mov_b32_e32 v17, v15
	s_and_b32 s0, s1, 28
	s_add_nc_u64 s[2:3], s[12:13], 0xc4
	s_mov_b32 s7, 0
	s_mov_b64 s[4:5], s[12:13]
.LBB261_504:                            ; =>This Inner Loop Header: Depth=1
	s_clause 0x1
	s_load_b256 s[16:23], s[4:5], 0x4
	s_load_b128 s[8:11], s[4:5], 0x24
	s_load_b256 s[36:43], s[2:3], 0x0
	s_add_co_i32 s7, s7, 4
	s_wait_xcnt 0x0
	s_add_nc_u64 s[4:5], s[4:5], 48
	s_cmp_lg_u32 s0, s7
	s_add_nc_u64 s[2:3], s[2:3], 32
	s_wait_kmcnt 0x0
	v_mul_hi_u32 v18, s17, v17
	s_delay_alu instid0(VALU_DEP_1) | instskip(NEXT) | instid1(VALU_DEP_1)
	v_add_nc_u32_e32 v18, v17, v18
	v_lshrrev_b32_e32 v18, s18, v18
	s_delay_alu instid0(VALU_DEP_1) | instskip(NEXT) | instid1(VALU_DEP_1)
	v_mul_hi_u32 v19, s20, v18
	v_add_nc_u32_e32 v19, v18, v19
	s_delay_alu instid0(VALU_DEP_1) | instskip(NEXT) | instid1(VALU_DEP_1)
	v_lshrrev_b32_e32 v19, s21, v19
	v_mul_hi_u32 v20, s23, v19
	s_delay_alu instid0(VALU_DEP_1) | instskip(SKIP_1) | instid1(VALU_DEP_1)
	v_add_nc_u32_e32 v20, v19, v20
	v_mul_lo_u32 v21, v18, s16
	v_sub_nc_u32_e32 v17, v17, v21
	v_mul_lo_u32 v21, v19, s19
	s_delay_alu instid0(VALU_DEP_4) | instskip(NEXT) | instid1(VALU_DEP_3)
	v_lshrrev_b32_e32 v20, s8, v20
	v_mad_u32 v1, v17, s37, v1
	v_mad_u32 v0, v17, s36, v0
	s_delay_alu instid0(VALU_DEP_4) | instskip(NEXT) | instid1(VALU_DEP_4)
	v_sub_nc_u32_e32 v17, v18, v21
	v_mul_hi_u32 v22, s10, v20
	v_mul_lo_u32 v18, v20, s22
	s_delay_alu instid0(VALU_DEP_3) | instskip(SKIP_1) | instid1(VALU_DEP_4)
	v_mad_u32 v1, v17, s39, v1
	v_mad_u32 v0, v17, s38, v0
	v_add_nc_u32_e32 v21, v20, v22
	s_delay_alu instid0(VALU_DEP_1) | instskip(NEXT) | instid1(VALU_DEP_1)
	v_dual_sub_nc_u32 v18, v19, v18 :: v_dual_lshrrev_b32 v17, s11, v21
	v_mad_u32 v1, v18, s41, v1
	s_delay_alu instid0(VALU_DEP_4) | instskip(NEXT) | instid1(VALU_DEP_3)
	v_mad_u32 v0, v18, s40, v0
	v_mul_lo_u32 v19, v17, s9
	s_delay_alu instid0(VALU_DEP_1) | instskip(NEXT) | instid1(VALU_DEP_1)
	v_sub_nc_u32_e32 v18, v20, v19
	v_mad_u32 v1, v18, s43, v1
	s_delay_alu instid0(VALU_DEP_4)
	v_mad_u32 v0, v18, s42, v0
	s_cbranch_scc1 .LBB261_504
; %bb.505:
	s_and_b32 s4, s1, 3
	s_mov_b32 s1, 0
	s_cmp_eq_u32 s4, 0
	s_cbranch_scc0 .LBB261_509
	s_branch .LBB261_511
.LBB261_506:
	s_mov_b32 s6, -1
                                        ; implicit-def: $vgpr1
	s_branch .LBB261_511
.LBB261_507:
	v_dual_mov_b32 v1, 0 :: v_dual_mov_b32 v0, 0
	s_branch .LBB261_511
.LBB261_508:
	v_mov_b64_e32 v[0:1], 0
	v_mov_b32_e32 v17, v15
	s_mov_b32 s0, 0
	s_and_b32 s4, s1, 3
	s_mov_b32 s1, 0
	s_cmp_eq_u32 s4, 0
	s_cbranch_scc1 .LBB261_511
.LBB261_509:
	s_lshl_b32 s2, s0, 3
	s_mov_b32 s3, s1
	s_mul_u64 s[8:9], s[0:1], 12
	s_add_nc_u64 s[2:3], s[12:13], s[2:3]
	s_delay_alu instid0(SALU_CYCLE_1)
	s_add_nc_u64 s[0:1], s[2:3], 0xc4
	s_add_nc_u64 s[2:3], s[12:13], s[8:9]
.LBB261_510:                            ; =>This Inner Loop Header: Depth=1
	s_load_b96 s[8:10], s[2:3], 0x4
	s_add_co_i32 s4, s4, -1
	s_wait_xcnt 0x0
	s_add_nc_u64 s[2:3], s[2:3], 12
	s_cmp_lg_u32 s4, 0
	s_wait_kmcnt 0x0
	v_mul_hi_u32 v18, s9, v17
	s_delay_alu instid0(VALU_DEP_1) | instskip(NEXT) | instid1(VALU_DEP_1)
	v_add_nc_u32_e32 v18, v17, v18
	v_lshrrev_b32_e32 v18, s10, v18
	s_load_b64 s[10:11], s[0:1], 0x0
	s_wait_xcnt 0x0
	s_add_nc_u64 s[0:1], s[0:1], 8
	s_delay_alu instid0(VALU_DEP_1) | instskip(NEXT) | instid1(VALU_DEP_1)
	v_mul_lo_u32 v19, v18, s8
	v_sub_nc_u32_e32 v17, v17, v19
	s_wait_kmcnt 0x0
	s_delay_alu instid0(VALU_DEP_1)
	v_mad_u32 v1, v17, s11, v1
	v_mad_u32 v0, v17, s10, v0
	v_mov_b32_e32 v17, v18
	s_cbranch_scc1 .LBB261_510
.LBB261_511:
	s_and_not1_b32 vcc_lo, exec_lo, s6
	s_cbranch_vccnz .LBB261_514
; %bb.512:
	s_clause 0x1
	s_load_b96 s[0:2], s[12:13], 0x4
	s_load_b64 s[4:5], s[12:13], 0xc4
	s_cmp_lt_u32 s30, 2
	s_wait_kmcnt 0x0
	v_mul_hi_u32 v0, s1, v15
	s_delay_alu instid0(VALU_DEP_1) | instskip(NEXT) | instid1(VALU_DEP_1)
	v_add_nc_u32_e32 v0, v15, v0
	v_lshrrev_b32_e32 v17, s2, v0
	s_delay_alu instid0(VALU_DEP_1) | instskip(NEXT) | instid1(VALU_DEP_1)
	v_mul_lo_u32 v0, v17, s0
	v_sub_nc_u32_e32 v0, v15, v0
	s_delay_alu instid0(VALU_DEP_1)
	v_mul_lo_u32 v1, v0, s5
	v_mul_lo_u32 v0, v0, s4
	s_cbranch_scc1 .LBB261_514
; %bb.513:
	s_clause 0x1
	s_load_b96 s[0:2], s[12:13], 0x10
	s_load_b64 s[4:5], s[12:13], 0xcc
	s_wait_kmcnt 0x0
	v_mul_hi_u32 v15, s1, v17
	s_delay_alu instid0(VALU_DEP_1) | instskip(NEXT) | instid1(VALU_DEP_1)
	v_add_nc_u32_e32 v15, v17, v15
	v_lshrrev_b32_e32 v15, s2, v15
	s_delay_alu instid0(VALU_DEP_1) | instskip(NEXT) | instid1(VALU_DEP_1)
	v_mul_lo_u32 v15, v15, s0
	v_sub_nc_u32_e32 v15, v17, v15
	s_delay_alu instid0(VALU_DEP_1)
	v_mad_u32 v0, v15, s4, v0
	v_mad_u32 v1, v15, s5, v1
.LBB261_514:
	v_cmp_ne_u32_e32 vcc_lo, 1, v14
	s_cbranch_vccnz .LBB261_520
; %bb.515:
	s_cmp_lg_u32 s30, 0
	s_mov_b32 s6, 0
	s_cbranch_scc0 .LBB261_521
; %bb.516:
	s_min_u32 s1, s31, 15
	s_delay_alu instid0(SALU_CYCLE_1)
	s_add_co_i32 s1, s1, 1
	s_cmp_eq_u32 s31, 2
	s_cbranch_scc1 .LBB261_522
; %bb.517:
	v_dual_mov_b32 v14, 0 :: v_dual_mov_b32 v15, 0
	v_mov_b32_e32 v17, v16
	s_and_b32 s0, s1, 28
	s_add_nc_u64 s[2:3], s[12:13], 0xc4
	s_mov_b32 s7, 0
	s_mov_b64 s[4:5], s[12:13]
.LBB261_518:                            ; =>This Inner Loop Header: Depth=1
	s_clause 0x1
	s_load_b256 s[16:23], s[4:5], 0x4
	s_load_b128 s[8:11], s[4:5], 0x24
	s_load_b256 s[36:43], s[2:3], 0x0
	s_add_co_i32 s7, s7, 4
	s_wait_xcnt 0x0
	s_add_nc_u64 s[4:5], s[4:5], 48
	s_cmp_lg_u32 s0, s7
	s_add_nc_u64 s[2:3], s[2:3], 32
	s_wait_kmcnt 0x0
	v_mul_hi_u32 v18, s17, v17
	s_delay_alu instid0(VALU_DEP_1) | instskip(NEXT) | instid1(VALU_DEP_1)
	v_add_nc_u32_e32 v18, v17, v18
	v_lshrrev_b32_e32 v18, s18, v18
	s_delay_alu instid0(VALU_DEP_1) | instskip(NEXT) | instid1(VALU_DEP_1)
	v_mul_hi_u32 v19, s20, v18
	v_add_nc_u32_e32 v19, v18, v19
	s_delay_alu instid0(VALU_DEP_1) | instskip(NEXT) | instid1(VALU_DEP_1)
	v_lshrrev_b32_e32 v19, s21, v19
	v_mul_hi_u32 v20, s23, v19
	s_delay_alu instid0(VALU_DEP_1) | instskip(SKIP_1) | instid1(VALU_DEP_1)
	v_add_nc_u32_e32 v20, v19, v20
	v_mul_lo_u32 v21, v18, s16
	v_sub_nc_u32_e32 v17, v17, v21
	v_mul_lo_u32 v21, v19, s19
	s_delay_alu instid0(VALU_DEP_4) | instskip(NEXT) | instid1(VALU_DEP_3)
	v_lshrrev_b32_e32 v20, s8, v20
	v_mad_u32 v15, v17, s37, v15
	v_mad_u32 v14, v17, s36, v14
	s_delay_alu instid0(VALU_DEP_4) | instskip(NEXT) | instid1(VALU_DEP_4)
	v_sub_nc_u32_e32 v17, v18, v21
	v_mul_hi_u32 v22, s10, v20
	v_mul_lo_u32 v18, v20, s22
	s_delay_alu instid0(VALU_DEP_3) | instskip(SKIP_1) | instid1(VALU_DEP_4)
	v_mad_u32 v15, v17, s39, v15
	v_mad_u32 v14, v17, s38, v14
	v_add_nc_u32_e32 v21, v20, v22
	s_delay_alu instid0(VALU_DEP_1) | instskip(NEXT) | instid1(VALU_DEP_1)
	v_dual_sub_nc_u32 v18, v19, v18 :: v_dual_lshrrev_b32 v17, s11, v21
	v_mad_u32 v15, v18, s41, v15
	s_delay_alu instid0(VALU_DEP_4) | instskip(NEXT) | instid1(VALU_DEP_3)
	v_mad_u32 v14, v18, s40, v14
	v_mul_lo_u32 v19, v17, s9
	s_delay_alu instid0(VALU_DEP_1) | instskip(NEXT) | instid1(VALU_DEP_1)
	v_sub_nc_u32_e32 v18, v20, v19
	v_mad_u32 v15, v18, s43, v15
	s_delay_alu instid0(VALU_DEP_4)
	v_mad_u32 v14, v18, s42, v14
	s_cbranch_scc1 .LBB261_518
; %bb.519:
	s_and_b32 s4, s1, 3
	s_mov_b32 s1, 0
	s_cmp_eq_u32 s4, 0
	s_cbranch_scc0 .LBB261_523
	s_branch .LBB261_525
.LBB261_520:
	s_mov_b32 s6, -1
                                        ; implicit-def: $vgpr15
	s_branch .LBB261_525
.LBB261_521:
	v_dual_mov_b32 v15, 0 :: v_dual_mov_b32 v14, 0
	s_branch .LBB261_525
.LBB261_522:
	v_mov_b64_e32 v[14:15], 0
	v_mov_b32_e32 v17, v16
	s_mov_b32 s0, 0
	s_and_b32 s4, s1, 3
	s_mov_b32 s1, 0
	s_cmp_eq_u32 s4, 0
	s_cbranch_scc1 .LBB261_525
.LBB261_523:
	s_lshl_b32 s2, s0, 3
	s_mov_b32 s3, s1
	s_mul_u64 s[8:9], s[0:1], 12
	s_add_nc_u64 s[2:3], s[12:13], s[2:3]
	s_delay_alu instid0(SALU_CYCLE_1)
	s_add_nc_u64 s[0:1], s[2:3], 0xc4
	s_add_nc_u64 s[2:3], s[12:13], s[8:9]
.LBB261_524:                            ; =>This Inner Loop Header: Depth=1
	s_load_b96 s[8:10], s[2:3], 0x4
	s_add_co_i32 s4, s4, -1
	s_wait_xcnt 0x0
	s_add_nc_u64 s[2:3], s[2:3], 12
	s_cmp_lg_u32 s4, 0
	s_wait_kmcnt 0x0
	v_mul_hi_u32 v18, s9, v17
	s_delay_alu instid0(VALU_DEP_1) | instskip(NEXT) | instid1(VALU_DEP_1)
	v_add_nc_u32_e32 v18, v17, v18
	v_lshrrev_b32_e32 v18, s10, v18
	s_load_b64 s[10:11], s[0:1], 0x0
	s_wait_xcnt 0x0
	s_add_nc_u64 s[0:1], s[0:1], 8
	s_delay_alu instid0(VALU_DEP_1) | instskip(NEXT) | instid1(VALU_DEP_1)
	v_mul_lo_u32 v19, v18, s8
	v_sub_nc_u32_e32 v17, v17, v19
	s_wait_kmcnt 0x0
	s_delay_alu instid0(VALU_DEP_1)
	v_mad_u32 v15, v17, s11, v15
	v_mad_u32 v14, v17, s10, v14
	v_mov_b32_e32 v17, v18
	s_cbranch_scc1 .LBB261_524
.LBB261_525:
	s_and_not1_b32 vcc_lo, exec_lo, s6
	s_cbranch_vccnz .LBB261_528
; %bb.526:
	s_clause 0x1
	s_load_b96 s[0:2], s[12:13], 0x4
	s_load_b64 s[4:5], s[12:13], 0xc4
	s_cmp_lt_u32 s30, 2
	s_wait_kmcnt 0x0
	v_mul_hi_u32 v14, s1, v16
	s_delay_alu instid0(VALU_DEP_1) | instskip(NEXT) | instid1(VALU_DEP_1)
	v_add_nc_u32_e32 v14, v16, v14
	v_lshrrev_b32_e32 v17, s2, v14
	s_delay_alu instid0(VALU_DEP_1) | instskip(NEXT) | instid1(VALU_DEP_1)
	v_mul_lo_u32 v14, v17, s0
	v_sub_nc_u32_e32 v14, v16, v14
	s_delay_alu instid0(VALU_DEP_1)
	v_mul_lo_u32 v15, v14, s5
	v_mul_lo_u32 v14, v14, s4
	s_cbranch_scc1 .LBB261_528
; %bb.527:
	s_clause 0x1
	s_load_b96 s[0:2], s[12:13], 0x10
	s_load_b64 s[4:5], s[12:13], 0xcc
	s_wait_kmcnt 0x0
	v_mul_hi_u32 v16, s1, v17
	s_delay_alu instid0(VALU_DEP_1) | instskip(NEXT) | instid1(VALU_DEP_1)
	v_add_nc_u32_e32 v16, v17, v16
	v_lshrrev_b32_e32 v16, s2, v16
	s_delay_alu instid0(VALU_DEP_1) | instskip(NEXT) | instid1(VALU_DEP_1)
	v_mul_lo_u32 v16, v16, s0
	v_sub_nc_u32_e32 v16, v17, v16
	s_delay_alu instid0(VALU_DEP_1)
	v_mad_u32 v14, v16, s4, v14
	v_mad_u32 v15, v16, s5, v15
.LBB261_528:
	s_clause 0x1
	s_load_b128 s[0:3], s[12:13], 0x148
	s_load_b64 s[4:5], s[12:13], 0x158
	s_mov_b32 s7, 0
	s_wait_kmcnt 0x0
	global_load_u8 v3, v3, s[2:3]
	s_cmp_lg_u32 s4, 0
	s_cselect_b32 s6, -1, 0
	s_delay_alu instid0(SALU_CYCLE_1)
	s_and_b32 vcc_lo, exec_lo, s6
	s_cbranch_vccz .LBB261_543
; %bb.529:
	s_and_b32 s8, s5, 0xff
	s_mov_b32 s4, -1
	s_cmp_lt_i32 s8, 0x80
	s_cbranch_scc0 .LBB261_548
; %bb.530:
	s_and_b32 vcc_lo, exec_lo, s4
	s_mov_b32 s4, 0x7f800001
	s_cbranch_vccnz .LBB261_551
.LBB261_531:
	s_and_not1_b32 vcc_lo, exec_lo, s7
	s_cbranch_vccnz .LBB261_533
.LBB261_532:
	s_and_b32 s4, s5, 3
	s_bfe_u32 s10, s5, 0x50002
	s_clz_i32_u32 s7, s4
	s_lshl_b32 s8, s5, 24
	s_min_u32 s7, s7, 32
	s_delay_alu instid0(SALU_CYCLE_1) | instskip(SKIP_2) | instid1(SALU_CYCLE_1)
	s_sub_co_i32 s9, s7, 29
	s_sub_co_i32 s7, 30, s7
	s_lshl_b32 s9, s5, s9
	s_and_b32 s9, s9, 3
	s_cmp_eq_u32 s10, 0
	s_cselect_b32 s7, s7, s10
	s_cselect_b32 s4, s9, s4
	s_lshl_b32 s7, s7, 23
	s_and_b32 s8, s8, 0x80000000
	s_add_co_i32 s7, s7, 0x37800000
	s_lshl_b32 s4, s4, 21
	s_or_b32 s7, s8, s7
	s_delay_alu instid0(SALU_CYCLE_1)
	s_or_b32 s4, s7, s4
.LBB261_533:
	s_wait_loadcnt 0x0
	v_and_b32_e32 v17, 0xff, v3
	s_mov_b32 s7, 0
	s_mov_b32 s8, exec_lo
	s_wait_xcnt 0x0
	s_delay_alu instid0(VALU_DEP_1)
	v_cmpx_lt_i16_e32 0x7f, v17
	s_xor_b32 s8, exec_lo, s8
	s_cbranch_execnz .LBB261_552
; %bb.534:
	s_or_saveexec_b32 s8, s8
	v_mov_b32_e32 v16, 0x7f800001
	s_xor_b32 exec_lo, exec_lo, s8
	s_cbranch_execnz .LBB261_555
.LBB261_535:
	s_or_b32 exec_lo, exec_lo, s8
	s_and_saveexec_b32 s8, s7
	s_cbranch_execz .LBB261_537
.LBB261_536:
	v_and_b32_e32 v16, 3, v3
	v_lshrrev_b16 v18, 2, v3
	s_delay_alu instid0(VALU_DEP_2) | instskip(NEXT) | instid1(VALU_DEP_1)
	v_clz_i32_u32_e32 v17, v16
	v_min_u32_e32 v17, 32, v17
	s_delay_alu instid0(VALU_DEP_3) | instskip(NEXT) | instid1(VALU_DEP_2)
	v_and_b32_e32 v18, 31, v18
	v_subrev_nc_u32_e32 v19, 29, v17
	v_sub_nc_u32_e32 v17, 30, v17
	s_delay_alu instid0(VALU_DEP_3) | instskip(NEXT) | instid1(VALU_DEP_2)
	v_cmp_eq_u32_e32 vcc_lo, 0, v18
	v_dual_lshlrev_b32 v19, v19, v3 :: v_dual_cndmask_b32 v17, v18, v17, vcc_lo
	s_delay_alu instid0(VALU_DEP_1) | instskip(NEXT) | instid1(VALU_DEP_2)
	v_and_b32_e32 v19, 3, v19
	v_lshl_add_u32 v17, v17, 23, 0x37800000
	s_delay_alu instid0(VALU_DEP_2) | instskip(NEXT) | instid1(VALU_DEP_1)
	v_cndmask_b32_e32 v16, v16, v19, vcc_lo
	v_dual_lshlrev_b32 v20, 24, v3 :: v_dual_lshlrev_b32 v16, 21, v16
	s_delay_alu instid0(VALU_DEP_1) | instskip(NEXT) | instid1(VALU_DEP_1)
	v_and_b32_e32 v18, 0x80000000, v20
	v_or3_b32 v16, v18, v17, v16
.LBB261_537:
	s_or_b32 exec_lo, exec_lo, s8
	s_delay_alu instid0(VALU_DEP_1)
	v_cmp_neq_f32_e64 s4, s4, v16
.LBB261_538:
	s_wait_loadcnt 0x0
	global_load_u8 v3, v5, s[2:3]
	s_and_b32 vcc_lo, exec_lo, s6
	s_cbranch_vccz .LBB261_686
.LBB261_539:
	s_and_b32 s8, s5, 0xff
	s_delay_alu instid0(SALU_CYCLE_1)
	s_cmp_lt_i32 s8, 0x80
	s_cbranch_scc1 .LBB261_556
; %bb.540:
	s_and_b32 s7, 0xffff, s8
	s_mov_b32 s9, -1
	s_cmp_eq_u32 s7, 0x80
	s_cbranch_scc0 .LBB261_542
; %bb.541:
	s_mov_b32 s9, 0
.LBB261_542:
	s_mov_b32 s7, 0x7f800001
	s_branch .LBB261_558
.LBB261_543:
                                        ; implicit-def: $sgpr4
	s_cbranch_execz .LBB261_538
; %bb.544:
	s_and_b32 s7, s5, 0xff
	s_delay_alu instid0(SALU_CYCLE_1)
	s_cmp_lt_i32 s7, 0x80
	s_cbranch_scc1 .LBB261_677
; %bb.545:
	s_and_b32 s4, 0xffff, s7
	s_mov_b32 s8, -1
	s_cmp_eq_u32 s4, 0x80
	s_cbranch_scc0 .LBB261_547
; %bb.546:
	s_mov_b32 s8, 0
.LBB261_547:
	s_mov_b32 s4, 0x7f800001
	s_branch .LBB261_679
.LBB261_548:
	s_and_b32 s4, 0xffff, s8
	s_mov_b32 s7, -1
	s_cmp_eq_u32 s4, 0x80
	s_cbranch_scc0 .LBB261_550
; %bb.549:
	s_mov_b32 s7, 0
.LBB261_550:
	s_mov_b32 s4, 0x7f800001
	s_branch .LBB261_531
.LBB261_551:
	s_and_b32 s4, 0xffff, s8
	s_delay_alu instid0(SALU_CYCLE_1) | instskip(SKIP_2) | instid1(SALU_CYCLE_1)
	s_cmp_lg_u32 s4, 0
	s_mov_b32 s4, 0
	s_cselect_b32 s7, -1, 0
	s_and_not1_b32 vcc_lo, exec_lo, s7
	s_cbranch_vccz .LBB261_532
	s_branch .LBB261_533
.LBB261_552:
	s_mov_b32 s7, -1
	s_mov_b32 s9, exec_lo
	v_cmpx_eq_u16_e32 0x80, v17
; %bb.553:
	s_xor_b32 s7, exec_lo, -1
; %bb.554:
	s_or_b32 exec_lo, exec_lo, s9
	s_delay_alu instid0(SALU_CYCLE_1)
	s_and_b32 s7, s7, exec_lo
                                        ; implicit-def: $vgpr17
	s_or_saveexec_b32 s8, s8
	v_mov_b32_e32 v16, 0x7f800001
	s_xor_b32 exec_lo, exec_lo, s8
	s_cbranch_execz .LBB261_535
.LBB261_555:
	v_cmp_ne_u16_e32 vcc_lo, 0, v17
	v_mov_b32_e32 v16, 0
	s_and_not1_b32 s7, s7, exec_lo
	s_and_b32 s9, vcc_lo, exec_lo
	s_delay_alu instid0(SALU_CYCLE_1)
	s_or_b32 s7, s7, s9
	s_or_b32 exec_lo, exec_lo, s8
	s_and_saveexec_b32 s8, s7
	s_cbranch_execnz .LBB261_536
	s_branch .LBB261_537
.LBB261_556:
	s_mov_b32 s9, 0
	s_mov_b32 s7, 0x7f800001
	s_cbranch_execz .LBB261_558
; %bb.557:
	s_and_b32 s7, 0xffff, s8
	s_delay_alu instid0(SALU_CYCLE_1)
	s_cmp_lg_u32 s7, 0
	s_mov_b32 s7, 0
	s_cselect_b32 s9, -1, 0
.LBB261_558:
	s_delay_alu instid0(SALU_CYCLE_1)
	s_and_not1_b32 vcc_lo, exec_lo, s9
	s_cbranch_vccnz .LBB261_560
; %bb.559:
	s_and_b32 s7, s5, 3
	s_bfe_u32 s11, s5, 0x50002
	s_clz_i32_u32 s8, s7
	s_lshl_b32 s9, s5, 24
	s_min_u32 s8, s8, 32
	s_delay_alu instid0(SALU_CYCLE_1) | instskip(SKIP_2) | instid1(SALU_CYCLE_1)
	s_sub_co_i32 s10, s8, 29
	s_sub_co_i32 s8, 30, s8
	s_lshl_b32 s10, s5, s10
	s_and_b32 s10, s10, 3
	s_cmp_eq_u32 s11, 0
	s_cselect_b32 s8, s8, s11
	s_cselect_b32 s7, s10, s7
	s_lshl_b32 s8, s8, 23
	s_and_b32 s9, s9, 0x80000000
	s_add_co_i32 s8, s8, 0x37800000
	s_lshl_b32 s7, s7, 21
	s_or_b32 s8, s9, s8
	s_delay_alu instid0(SALU_CYCLE_1)
	s_or_b32 s7, s8, s7
.LBB261_560:
	s_wait_loadcnt 0x0
	v_and_b32_e32 v16, 0xff, v3
	s_mov_b32 s8, 0
	s_mov_b32 s9, exec_lo
	s_wait_xcnt 0x0
	s_delay_alu instid0(VALU_DEP_1)
	v_cmpx_lt_i16_e32 0x7f, v16
	s_xor_b32 s9, exec_lo, s9
	s_cbranch_execnz .LBB261_570
; %bb.561:
	s_or_saveexec_b32 s9, s9
	v_mov_b32_e32 v5, 0x7f800001
	s_xor_b32 exec_lo, exec_lo, s9
	s_cbranch_execnz .LBB261_573
.LBB261_562:
	s_or_b32 exec_lo, exec_lo, s9
	s_and_saveexec_b32 s9, s8
	s_cbranch_execz .LBB261_564
.LBB261_563:
	v_and_b32_e32 v5, 3, v3
	v_lshrrev_b16 v17, 2, v3
	v_lshlrev_b32_e32 v19, 24, v3
	s_delay_alu instid0(VALU_DEP_3) | instskip(NEXT) | instid1(VALU_DEP_1)
	v_clz_i32_u32_e32 v16, v5
	v_min_u32_e32 v16, 32, v16
	s_delay_alu instid0(VALU_DEP_4) | instskip(NEXT) | instid1(VALU_DEP_2)
	v_and_b32_e32 v17, 31, v17
	v_subrev_nc_u32_e32 v18, 29, v16
	v_sub_nc_u32_e32 v16, 30, v16
	s_delay_alu instid0(VALU_DEP_3) | instskip(NEXT) | instid1(VALU_DEP_3)
	v_cmp_eq_u32_e32 vcc_lo, 0, v17
	v_lshlrev_b32_e32 v18, v18, v3
	s_delay_alu instid0(VALU_DEP_1) | instskip(NEXT) | instid1(VALU_DEP_1)
	v_and_b32_e32 v18, 3, v18
	v_cndmask_b32_e32 v5, v5, v18, vcc_lo
	v_cndmask_b32_e32 v16, v17, v16, vcc_lo
	v_and_b32_e32 v17, 0x80000000, v19
	s_delay_alu instid0(VALU_DEP_3) | instskip(NEXT) | instid1(VALU_DEP_3)
	v_lshlrev_b32_e32 v5, 21, v5
	v_lshl_add_u32 v16, v16, 23, 0x37800000
	s_delay_alu instid0(VALU_DEP_1)
	v_or3_b32 v5, v17, v16, v5
.LBB261_564:
	s_or_b32 exec_lo, exec_lo, s9
	s_delay_alu instid0(VALU_DEP_1)
	v_cmp_neq_f32_e64 s7, s7, v5
.LBB261_565:
	s_wait_loadcnt 0x0
	global_load_u8 v3, v7, s[2:3]
	s_and_b32 vcc_lo, exec_lo, s6
	s_cbranch_vccz .LBB261_704
.LBB261_566:
	s_and_b32 s9, s5, 0xff
	s_delay_alu instid0(SALU_CYCLE_1)
	s_cmp_lt_i32 s9, 0x80
	s_cbranch_scc1 .LBB261_574
; %bb.567:
	s_and_b32 s8, 0xffff, s9
	s_mov_b32 s10, -1
	s_cmp_eq_u32 s8, 0x80
	s_cbranch_scc0 .LBB261_569
; %bb.568:
	s_mov_b32 s10, 0
.LBB261_569:
	s_mov_b32 s8, 0x7f800001
	s_branch .LBB261_576
.LBB261_570:
	s_mov_b32 s8, -1
	s_mov_b32 s10, exec_lo
	v_cmpx_eq_u16_e32 0x80, v16
; %bb.571:
	s_xor_b32 s8, exec_lo, -1
; %bb.572:
	s_or_b32 exec_lo, exec_lo, s10
	s_delay_alu instid0(SALU_CYCLE_1)
	s_and_b32 s8, s8, exec_lo
                                        ; implicit-def: $vgpr16
	s_or_saveexec_b32 s9, s9
	v_mov_b32_e32 v5, 0x7f800001
	s_xor_b32 exec_lo, exec_lo, s9
	s_cbranch_execz .LBB261_562
.LBB261_573:
	v_cmp_ne_u16_e32 vcc_lo, 0, v16
	v_mov_b32_e32 v5, 0
	s_and_not1_b32 s8, s8, exec_lo
	s_and_b32 s10, vcc_lo, exec_lo
	s_delay_alu instid0(SALU_CYCLE_1)
	s_or_b32 s8, s8, s10
	s_or_b32 exec_lo, exec_lo, s9
	s_and_saveexec_b32 s9, s8
	s_cbranch_execnz .LBB261_563
	s_branch .LBB261_564
.LBB261_574:
	s_mov_b32 s10, 0
	s_mov_b32 s8, 0x7f800001
	s_cbranch_execz .LBB261_576
; %bb.575:
	s_and_b32 s8, 0xffff, s9
	s_delay_alu instid0(SALU_CYCLE_1)
	s_cmp_lg_u32 s8, 0
	s_mov_b32 s8, 0
	s_cselect_b32 s10, -1, 0
.LBB261_576:
	s_delay_alu instid0(SALU_CYCLE_1)
	s_and_not1_b32 vcc_lo, exec_lo, s10
	s_cbranch_vccnz .LBB261_578
; %bb.577:
	s_and_b32 s8, s5, 3
	s_bfe_u32 s12, s5, 0x50002
	s_clz_i32_u32 s9, s8
	s_lshl_b32 s10, s5, 24
	s_min_u32 s9, s9, 32
	s_delay_alu instid0(SALU_CYCLE_1) | instskip(SKIP_2) | instid1(SALU_CYCLE_1)
	s_sub_co_i32 s11, s9, 29
	s_sub_co_i32 s9, 30, s9
	s_lshl_b32 s11, s5, s11
	s_and_b32 s11, s11, 3
	s_cmp_eq_u32 s12, 0
	s_cselect_b32 s9, s9, s12
	s_cselect_b32 s8, s11, s8
	s_lshl_b32 s9, s9, 23
	s_and_b32 s10, s10, 0x80000000
	s_add_co_i32 s9, s9, 0x37800000
	s_lshl_b32 s8, s8, 21
	s_or_b32 s9, s10, s9
	s_delay_alu instid0(SALU_CYCLE_1)
	s_or_b32 s8, s9, s8
.LBB261_578:
	s_wait_loadcnt 0x0
	v_and_b32_e32 v7, 0xff, v3
	s_mov_b32 s9, 0
	s_mov_b32 s10, exec_lo
	s_delay_alu instid0(VALU_DEP_1)
	v_cmpx_lt_i16_e32 0x7f, v7
	s_xor_b32 s10, exec_lo, s10
	s_cbranch_execnz .LBB261_588
; %bb.579:
	s_or_saveexec_b32 s10, s10
	v_mov_b32_e32 v5, 0x7f800001
	s_xor_b32 exec_lo, exec_lo, s10
	s_cbranch_execnz .LBB261_591
.LBB261_580:
	s_or_b32 exec_lo, exec_lo, s10
	s_and_saveexec_b32 s10, s9
	s_cbranch_execz .LBB261_582
.LBB261_581:
	v_and_b32_e32 v5, 3, v3
	v_lshrrev_b16 v16, 2, v3
	v_lshlrev_b32_e32 v18, 24, v3
	s_delay_alu instid0(VALU_DEP_3) | instskip(NEXT) | instid1(VALU_DEP_1)
	v_clz_i32_u32_e32 v7, v5
	v_min_u32_e32 v7, 32, v7
	s_delay_alu instid0(VALU_DEP_4) | instskip(NEXT) | instid1(VALU_DEP_2)
	v_and_b32_e32 v16, 31, v16
	v_subrev_nc_u32_e32 v17, 29, v7
	v_sub_nc_u32_e32 v7, 30, v7
	s_delay_alu instid0(VALU_DEP_3) | instskip(NEXT) | instid1(VALU_DEP_3)
	v_cmp_eq_u32_e32 vcc_lo, 0, v16
	v_lshlrev_b32_e32 v17, v17, v3
	s_delay_alu instid0(VALU_DEP_1) | instskip(SKIP_1) | instid1(VALU_DEP_2)
	v_dual_cndmask_b32 v7, v16, v7, vcc_lo :: v_dual_bitop2_b32 v17, 3, v17 bitop3:0x40
	v_and_b32_e32 v16, 0x80000000, v18
	v_cndmask_b32_e32 v5, v5, v17, vcc_lo
	s_delay_alu instid0(VALU_DEP_3) | instskip(NEXT) | instid1(VALU_DEP_2)
	v_lshl_add_u32 v7, v7, 23, 0x37800000
	v_lshlrev_b32_e32 v5, 21, v5
	s_delay_alu instid0(VALU_DEP_1)
	v_or3_b32 v5, v16, v7, v5
.LBB261_582:
	s_or_b32 exec_lo, exec_lo, s10
	s_delay_alu instid0(VALU_DEP_1)
	v_cmp_neq_f32_e64 s8, s8, v5
.LBB261_583:
	s_wait_loadcnt 0x0
	global_load_u8 v3, v9, s[2:3]
	s_and_b32 vcc_lo, exec_lo, s6
	s_cbranch_vccz .LBB261_722
.LBB261_584:
	s_and_b32 s10, s5, 0xff
	s_delay_alu instid0(SALU_CYCLE_1)
	s_cmp_lt_i32 s10, 0x80
	s_cbranch_scc1 .LBB261_592
; %bb.585:
	s_and_b32 s9, 0xffff, s10
	s_mov_b32 s11, -1
	s_cmp_eq_u32 s9, 0x80
	s_cbranch_scc0 .LBB261_587
; %bb.586:
	s_mov_b32 s11, 0
.LBB261_587:
	s_mov_b32 s9, 0x7f800001
	s_branch .LBB261_594
.LBB261_588:
	s_mov_b32 s9, -1
	s_mov_b32 s11, exec_lo
	v_cmpx_eq_u16_e32 0x80, v7
; %bb.589:
	s_xor_b32 s9, exec_lo, -1
; %bb.590:
	s_or_b32 exec_lo, exec_lo, s11
	s_delay_alu instid0(SALU_CYCLE_1)
	s_and_b32 s9, s9, exec_lo
                                        ; implicit-def: $vgpr7
	s_or_saveexec_b32 s10, s10
	v_mov_b32_e32 v5, 0x7f800001
	s_xor_b32 exec_lo, exec_lo, s10
	s_cbranch_execz .LBB261_580
.LBB261_591:
	v_cmp_ne_u16_e32 vcc_lo, 0, v7
	v_mov_b32_e32 v5, 0
	s_and_not1_b32 s9, s9, exec_lo
	s_and_b32 s11, vcc_lo, exec_lo
	s_delay_alu instid0(SALU_CYCLE_1)
	s_or_b32 s9, s9, s11
	s_or_b32 exec_lo, exec_lo, s10
	s_and_saveexec_b32 s10, s9
	s_cbranch_execnz .LBB261_581
	s_branch .LBB261_582
.LBB261_592:
	s_mov_b32 s11, 0
	s_mov_b32 s9, 0x7f800001
	s_cbranch_execz .LBB261_594
; %bb.593:
	s_and_b32 s9, 0xffff, s10
	s_delay_alu instid0(SALU_CYCLE_1)
	s_cmp_lg_u32 s9, 0
	s_mov_b32 s9, 0
	s_cselect_b32 s11, -1, 0
.LBB261_594:
	s_delay_alu instid0(SALU_CYCLE_1)
	s_and_not1_b32 vcc_lo, exec_lo, s11
	s_cbranch_vccnz .LBB261_596
; %bb.595:
	s_and_b32 s9, s5, 3
	s_bfe_u32 s13, s5, 0x50002
	s_clz_i32_u32 s10, s9
	s_lshl_b32 s11, s5, 24
	s_min_u32 s10, s10, 32
	s_delay_alu instid0(SALU_CYCLE_1) | instskip(SKIP_2) | instid1(SALU_CYCLE_1)
	s_sub_co_i32 s12, s10, 29
	s_sub_co_i32 s10, 30, s10
	s_lshl_b32 s12, s5, s12
	s_and_b32 s12, s12, 3
	s_cmp_eq_u32 s13, 0
	s_cselect_b32 s10, s10, s13
	s_cselect_b32 s9, s12, s9
	s_lshl_b32 s10, s10, 23
	s_and_b32 s11, s11, 0x80000000
	s_add_co_i32 s10, s10, 0x37800000
	s_lshl_b32 s9, s9, 21
	s_or_b32 s10, s11, s10
	s_delay_alu instid0(SALU_CYCLE_1)
	s_or_b32 s9, s10, s9
.LBB261_596:
	s_wait_loadcnt 0x0
	s_wait_xcnt 0x1
	v_and_b32_e32 v7, 0xff, v3
	s_mov_b32 s10, 0
	s_mov_b32 s11, exec_lo
	s_wait_xcnt 0x0
	s_delay_alu instid0(VALU_DEP_1)
	v_cmpx_lt_i16_e32 0x7f, v7
	s_xor_b32 s11, exec_lo, s11
	s_cbranch_execnz .LBB261_606
; %bb.597:
	s_or_saveexec_b32 s11, s11
	v_mov_b32_e32 v5, 0x7f800001
	s_xor_b32 exec_lo, exec_lo, s11
	s_cbranch_execnz .LBB261_609
.LBB261_598:
	s_or_b32 exec_lo, exec_lo, s11
	s_and_saveexec_b32 s11, s10
	s_cbranch_execz .LBB261_600
.LBB261_599:
	v_and_b32_e32 v5, 3, v3
	v_lshrrev_b16 v9, 2, v3
	v_lshlrev_b32_e32 v17, 24, v3
	s_delay_alu instid0(VALU_DEP_3) | instskip(NEXT) | instid1(VALU_DEP_1)
	v_clz_i32_u32_e32 v7, v5
	v_min_u32_e32 v7, 32, v7
	s_delay_alu instid0(VALU_DEP_4) | instskip(NEXT) | instid1(VALU_DEP_2)
	v_and_b32_e32 v9, 31, v9
	v_subrev_nc_u32_e32 v16, 29, v7
	v_sub_nc_u32_e32 v7, 30, v7
	s_delay_alu instid0(VALU_DEP_3) | instskip(NEXT) | instid1(VALU_DEP_3)
	v_cmp_eq_u32_e32 vcc_lo, 0, v9
	v_lshlrev_b32_e32 v16, v16, v3
	s_delay_alu instid0(VALU_DEP_1) | instskip(NEXT) | instid1(VALU_DEP_1)
	v_and_b32_e32 v16, 3, v16
	v_cndmask_b32_e32 v5, v5, v16, vcc_lo
	v_cndmask_b32_e32 v7, v9, v7, vcc_lo
	v_and_b32_e32 v9, 0x80000000, v17
	s_delay_alu instid0(VALU_DEP_3) | instskip(NEXT) | instid1(VALU_DEP_3)
	v_lshlrev_b32_e32 v5, 21, v5
	v_lshl_add_u32 v7, v7, 23, 0x37800000
	s_delay_alu instid0(VALU_DEP_1)
	v_or3_b32 v5, v9, v7, v5
.LBB261_600:
	s_or_b32 exec_lo, exec_lo, s11
	s_delay_alu instid0(VALU_DEP_1)
	v_cmp_neq_f32_e64 s9, s9, v5
.LBB261_601:
	s_wait_loadcnt 0x0
	global_load_u8 v3, v11, s[2:3]
	s_and_b32 vcc_lo, exec_lo, s6
	s_cbranch_vccz .LBB261_740
.LBB261_602:
	s_and_b32 s11, s5, 0xff
	s_delay_alu instid0(SALU_CYCLE_1)
	s_cmp_lt_i32 s11, 0x80
	s_cbranch_scc1 .LBB261_610
; %bb.603:
	s_and_b32 s10, 0xffff, s11
	s_mov_b32 s12, -1
	s_cmp_eq_u32 s10, 0x80
	s_cbranch_scc0 .LBB261_605
; %bb.604:
	s_mov_b32 s12, 0
.LBB261_605:
	s_mov_b32 s10, 0x7f800001
	s_branch .LBB261_612
.LBB261_606:
	s_mov_b32 s10, -1
	s_mov_b32 s12, exec_lo
	v_cmpx_eq_u16_e32 0x80, v7
; %bb.607:
	s_xor_b32 s10, exec_lo, -1
; %bb.608:
	s_or_b32 exec_lo, exec_lo, s12
	s_delay_alu instid0(SALU_CYCLE_1)
	s_and_b32 s10, s10, exec_lo
                                        ; implicit-def: $vgpr7
	s_or_saveexec_b32 s11, s11
	v_mov_b32_e32 v5, 0x7f800001
	s_xor_b32 exec_lo, exec_lo, s11
	s_cbranch_execz .LBB261_598
.LBB261_609:
	v_cmp_ne_u16_e32 vcc_lo, 0, v7
	v_mov_b32_e32 v5, 0
	s_and_not1_b32 s10, s10, exec_lo
	s_and_b32 s12, vcc_lo, exec_lo
	s_delay_alu instid0(SALU_CYCLE_1)
	s_or_b32 s10, s10, s12
	s_or_b32 exec_lo, exec_lo, s11
	s_and_saveexec_b32 s11, s10
	s_cbranch_execnz .LBB261_599
	s_branch .LBB261_600
.LBB261_610:
	s_mov_b32 s12, 0
	s_mov_b32 s10, 0x7f800001
	s_cbranch_execz .LBB261_612
; %bb.611:
	s_and_b32 s10, 0xffff, s11
	s_delay_alu instid0(SALU_CYCLE_1)
	s_cmp_lg_u32 s10, 0
	s_mov_b32 s10, 0
	s_cselect_b32 s12, -1, 0
.LBB261_612:
	s_delay_alu instid0(SALU_CYCLE_1)
	s_and_not1_b32 vcc_lo, exec_lo, s12
	s_cbranch_vccnz .LBB261_614
; %bb.613:
	s_and_b32 s10, s5, 3
	s_bfe_u32 s14, s5, 0x50002
	s_clz_i32_u32 s11, s10
	s_lshl_b32 s12, s5, 24
	s_min_u32 s11, s11, 32
	s_delay_alu instid0(SALU_CYCLE_1) | instskip(SKIP_2) | instid1(SALU_CYCLE_1)
	s_sub_co_i32 s13, s11, 29
	s_sub_co_i32 s11, 30, s11
	s_lshl_b32 s13, s5, s13
	s_and_b32 s13, s13, 3
	s_cmp_eq_u32 s14, 0
	s_cselect_b32 s11, s11, s14
	s_cselect_b32 s10, s13, s10
	s_lshl_b32 s11, s11, 23
	s_and_b32 s12, s12, 0x80000000
	s_add_co_i32 s11, s11, 0x37800000
	s_lshl_b32 s10, s10, 21
	s_or_b32 s11, s12, s11
	s_delay_alu instid0(SALU_CYCLE_1)
	s_or_b32 s10, s11, s10
.LBB261_614:
	s_wait_loadcnt 0x0
	s_wait_xcnt 0x2
	v_and_b32_e32 v7, 0xff, v3
	s_mov_b32 s11, 0
	s_mov_b32 s12, exec_lo
	s_wait_xcnt 0x0
	s_delay_alu instid0(VALU_DEP_1)
	v_cmpx_lt_i16_e32 0x7f, v7
	s_xor_b32 s12, exec_lo, s12
	s_cbranch_execnz .LBB261_624
; %bb.615:
	s_or_saveexec_b32 s12, s12
	v_mov_b32_e32 v5, 0x7f800001
	s_xor_b32 exec_lo, exec_lo, s12
	s_cbranch_execnz .LBB261_627
.LBB261_616:
	s_or_b32 exec_lo, exec_lo, s12
	s_and_saveexec_b32 s12, s11
	s_cbranch_execz .LBB261_618
.LBB261_617:
	v_and_b32_e32 v5, 3, v3
	v_lshrrev_b16 v9, 2, v3
	v_lshlrev_b32_e32 v16, 24, v3
	s_delay_alu instid0(VALU_DEP_3) | instskip(NEXT) | instid1(VALU_DEP_1)
	v_clz_i32_u32_e32 v7, v5
	v_min_u32_e32 v7, 32, v7
	s_delay_alu instid0(VALU_DEP_4) | instskip(NEXT) | instid1(VALU_DEP_2)
	v_and_b32_e32 v9, 31, v9
	v_subrev_nc_u32_e32 v11, 29, v7
	v_sub_nc_u32_e32 v7, 30, v7
	s_delay_alu instid0(VALU_DEP_3) | instskip(NEXT) | instid1(VALU_DEP_3)
	v_cmp_eq_u32_e32 vcc_lo, 0, v9
	v_lshlrev_b32_e32 v11, v11, v3
	s_delay_alu instid0(VALU_DEP_3) | instskip(SKIP_1) | instid1(VALU_DEP_3)
	v_cndmask_b32_e32 v7, v9, v7, vcc_lo
	v_and_b32_e32 v9, 0x80000000, v16
	v_and_b32_e32 v11, 3, v11
	s_delay_alu instid0(VALU_DEP_3) | instskip(NEXT) | instid1(VALU_DEP_2)
	v_lshl_add_u32 v7, v7, 23, 0x37800000
	v_cndmask_b32_e32 v5, v5, v11, vcc_lo
	s_delay_alu instid0(VALU_DEP_1) | instskip(NEXT) | instid1(VALU_DEP_1)
	v_lshlrev_b32_e32 v5, 21, v5
	v_or3_b32 v5, v9, v7, v5
.LBB261_618:
	s_or_b32 exec_lo, exec_lo, s12
	s_delay_alu instid0(VALU_DEP_1)
	v_cmp_neq_f32_e64 s10, s10, v5
.LBB261_619:
	s_wait_loadcnt 0x0
	global_load_u8 v3, v13, s[2:3]
	s_and_b32 vcc_lo, exec_lo, s6
	s_cbranch_vccz .LBB261_758
.LBB261_620:
	s_and_b32 s12, s5, 0xff
	s_delay_alu instid0(SALU_CYCLE_1)
	s_cmp_lt_i32 s12, 0x80
	s_cbranch_scc1 .LBB261_628
; %bb.621:
	s_and_b32 s11, 0xffff, s12
	s_mov_b32 s13, -1
	s_cmp_eq_u32 s11, 0x80
	s_cbranch_scc0 .LBB261_623
; %bb.622:
	s_mov_b32 s13, 0
.LBB261_623:
	s_mov_b32 s11, 0x7f800001
	s_branch .LBB261_630
.LBB261_624:
	s_mov_b32 s11, -1
	s_mov_b32 s13, exec_lo
	v_cmpx_eq_u16_e32 0x80, v7
; %bb.625:
	s_xor_b32 s11, exec_lo, -1
; %bb.626:
	s_or_b32 exec_lo, exec_lo, s13
	s_delay_alu instid0(SALU_CYCLE_1)
	s_and_b32 s11, s11, exec_lo
                                        ; implicit-def: $vgpr7
	s_or_saveexec_b32 s12, s12
	v_mov_b32_e32 v5, 0x7f800001
	s_xor_b32 exec_lo, exec_lo, s12
	s_cbranch_execz .LBB261_616
.LBB261_627:
	v_cmp_ne_u16_e32 vcc_lo, 0, v7
	v_mov_b32_e32 v5, 0
	s_and_not1_b32 s11, s11, exec_lo
	s_and_b32 s13, vcc_lo, exec_lo
	s_delay_alu instid0(SALU_CYCLE_1)
	s_or_b32 s11, s11, s13
	s_or_b32 exec_lo, exec_lo, s12
	s_and_saveexec_b32 s12, s11
	s_cbranch_execnz .LBB261_617
	s_branch .LBB261_618
.LBB261_628:
	s_mov_b32 s13, 0
	s_mov_b32 s11, 0x7f800001
	s_cbranch_execz .LBB261_630
; %bb.629:
	s_and_b32 s11, 0xffff, s12
	s_delay_alu instid0(SALU_CYCLE_1)
	s_cmp_lg_u32 s11, 0
	s_mov_b32 s11, 0
	s_cselect_b32 s13, -1, 0
.LBB261_630:
	s_delay_alu instid0(SALU_CYCLE_1)
	s_and_not1_b32 vcc_lo, exec_lo, s13
	s_cbranch_vccnz .LBB261_632
; %bb.631:
	s_and_b32 s11, s5, 3
	s_bfe_u32 s15, s5, 0x50002
	s_clz_i32_u32 s12, s11
	s_lshl_b32 s13, s5, 24
	s_min_u32 s12, s12, 32
	s_delay_alu instid0(SALU_CYCLE_1) | instskip(SKIP_2) | instid1(SALU_CYCLE_1)
	s_sub_co_i32 s14, s12, 29
	s_sub_co_i32 s12, 30, s12
	s_lshl_b32 s14, s5, s14
	s_and_b32 s14, s14, 3
	s_cmp_eq_u32 s15, 0
	s_cselect_b32 s12, s12, s15
	s_cselect_b32 s11, s14, s11
	s_lshl_b32 s12, s12, 23
	s_and_b32 s13, s13, 0x80000000
	s_add_co_i32 s12, s12, 0x37800000
	s_lshl_b32 s11, s11, 21
	s_or_b32 s12, s13, s12
	s_delay_alu instid0(SALU_CYCLE_1)
	s_or_b32 s11, s12, s11
.LBB261_632:
	s_wait_loadcnt 0x0
	s_wait_xcnt 0x3
	v_and_b32_e32 v7, 0xff, v3
	s_mov_b32 s12, 0
	s_mov_b32 s13, exec_lo
	s_wait_xcnt 0x0
	s_delay_alu instid0(VALU_DEP_1)
	v_cmpx_lt_i16_e32 0x7f, v7
	s_xor_b32 s13, exec_lo, s13
	s_cbranch_execnz .LBB261_642
; %bb.633:
	s_or_saveexec_b32 s13, s13
	v_mov_b32_e32 v5, 0x7f800001
	s_xor_b32 exec_lo, exec_lo, s13
	s_cbranch_execnz .LBB261_645
.LBB261_634:
	s_or_b32 exec_lo, exec_lo, s13
	s_and_saveexec_b32 s13, s12
	s_cbranch_execz .LBB261_636
.LBB261_635:
	v_and_b32_e32 v5, 3, v3
	v_lshrrev_b16 v9, 2, v3
	v_lshlrev_b32_e32 v13, 24, v3
	s_delay_alu instid0(VALU_DEP_3) | instskip(NEXT) | instid1(VALU_DEP_1)
	v_clz_i32_u32_e32 v7, v5
	v_min_u32_e32 v7, 32, v7
	s_delay_alu instid0(VALU_DEP_4) | instskip(NEXT) | instid1(VALU_DEP_2)
	v_and_b32_e32 v9, 31, v9
	v_subrev_nc_u32_e32 v11, 29, v7
	v_sub_nc_u32_e32 v7, 30, v7
	s_delay_alu instid0(VALU_DEP_3) | instskip(NEXT) | instid1(VALU_DEP_3)
	v_cmp_eq_u32_e32 vcc_lo, 0, v9
	v_lshlrev_b32_e32 v11, v11, v3
	s_delay_alu instid0(VALU_DEP_3) | instskip(SKIP_1) | instid1(VALU_DEP_3)
	v_cndmask_b32_e32 v7, v9, v7, vcc_lo
	v_and_b32_e32 v9, 0x80000000, v13
	v_and_b32_e32 v11, 3, v11
	s_delay_alu instid0(VALU_DEP_3) | instskip(NEXT) | instid1(VALU_DEP_2)
	v_lshl_add_u32 v7, v7, 23, 0x37800000
	v_cndmask_b32_e32 v5, v5, v11, vcc_lo
	s_delay_alu instid0(VALU_DEP_1) | instskip(NEXT) | instid1(VALU_DEP_1)
	v_lshlrev_b32_e32 v5, 21, v5
	v_or3_b32 v5, v9, v7, v5
.LBB261_636:
	s_or_b32 exec_lo, exec_lo, s13
	s_delay_alu instid0(VALU_DEP_1)
	v_cmp_neq_f32_e64 s11, s11, v5
.LBB261_637:
	global_load_u8 v1, v1, s[2:3]
	s_and_b32 vcc_lo, exec_lo, s6
	s_cbranch_vccz .LBB261_776
.LBB261_638:
	s_and_b32 s13, s5, 0xff
	s_delay_alu instid0(SALU_CYCLE_1)
	s_cmp_lt_i32 s13, 0x80
	s_cbranch_scc1 .LBB261_646
; %bb.639:
	s_and_b32 s12, 0xffff, s13
	s_mov_b32 s14, -1
	s_cmp_eq_u32 s12, 0x80
	s_cbranch_scc0 .LBB261_641
; %bb.640:
	s_mov_b32 s14, 0
.LBB261_641:
	s_mov_b32 s12, 0x7f800001
	s_branch .LBB261_648
.LBB261_642:
	s_mov_b32 s12, -1
	s_mov_b32 s14, exec_lo
	v_cmpx_eq_u16_e32 0x80, v7
; %bb.643:
	s_xor_b32 s12, exec_lo, -1
; %bb.644:
	s_or_b32 exec_lo, exec_lo, s14
	s_delay_alu instid0(SALU_CYCLE_1)
	s_and_b32 s12, s12, exec_lo
                                        ; implicit-def: $vgpr7
	s_or_saveexec_b32 s13, s13
	v_mov_b32_e32 v5, 0x7f800001
	s_xor_b32 exec_lo, exec_lo, s13
	s_cbranch_execz .LBB261_634
.LBB261_645:
	v_cmp_ne_u16_e32 vcc_lo, 0, v7
	v_mov_b32_e32 v5, 0
	s_and_not1_b32 s12, s12, exec_lo
	s_and_b32 s14, vcc_lo, exec_lo
	s_delay_alu instid0(SALU_CYCLE_1)
	s_or_b32 s12, s12, s14
	s_or_b32 exec_lo, exec_lo, s13
	s_and_saveexec_b32 s13, s12
	s_cbranch_execnz .LBB261_635
	s_branch .LBB261_636
.LBB261_646:
	s_mov_b32 s14, 0
	s_mov_b32 s12, 0x7f800001
	s_cbranch_execz .LBB261_648
; %bb.647:
	s_and_b32 s12, 0xffff, s13
	s_delay_alu instid0(SALU_CYCLE_1)
	s_cmp_lg_u32 s12, 0
	s_mov_b32 s12, 0
	s_cselect_b32 s14, -1, 0
.LBB261_648:
	s_delay_alu instid0(SALU_CYCLE_1)
	s_and_not1_b32 vcc_lo, exec_lo, s14
	s_cbranch_vccnz .LBB261_650
; %bb.649:
	s_and_b32 s12, s5, 3
	s_bfe_u32 s16, s5, 0x50002
	s_clz_i32_u32 s13, s12
	s_lshl_b32 s14, s5, 24
	s_min_u32 s13, s13, 32
	s_delay_alu instid0(SALU_CYCLE_1) | instskip(SKIP_2) | instid1(SALU_CYCLE_1)
	s_sub_co_i32 s15, s13, 29
	s_sub_co_i32 s13, 30, s13
	s_lshl_b32 s15, s5, s15
	s_and_b32 s15, s15, 3
	s_cmp_eq_u32 s16, 0
	s_cselect_b32 s13, s13, s16
	s_cselect_b32 s12, s15, s12
	s_lshl_b32 s13, s13, 23
	s_and_b32 s14, s14, 0x80000000
	s_add_co_i32 s13, s13, 0x37800000
	s_lshl_b32 s12, s12, 21
	s_or_b32 s13, s14, s13
	s_delay_alu instid0(SALU_CYCLE_1)
	s_or_b32 s12, s13, s12
.LBB261_650:
	s_wait_loadcnt 0x0
	s_wait_xcnt 0x5
	v_and_b32_e32 v5, 0xff, v1
	s_mov_b32 s13, 0
	s_mov_b32 s14, exec_lo
	s_wait_xcnt 0x0
	s_delay_alu instid0(VALU_DEP_1)
	v_cmpx_lt_i16_e32 0x7f, v5
	s_xor_b32 s14, exec_lo, s14
	s_cbranch_execnz .LBB261_660
; %bb.651:
	s_or_saveexec_b32 s14, s14
	v_mov_b32_e32 v3, 0x7f800001
	s_xor_b32 exec_lo, exec_lo, s14
	s_cbranch_execnz .LBB261_663
.LBB261_652:
	s_or_b32 exec_lo, exec_lo, s14
	s_and_saveexec_b32 s14, s13
	s_cbranch_execz .LBB261_654
.LBB261_653:
	v_and_b32_e32 v3, 3, v1
	v_lshrrev_b16 v7, 2, v1
	v_lshlrev_b32_e32 v11, 24, v1
	s_delay_alu instid0(VALU_DEP_3) | instskip(NEXT) | instid1(VALU_DEP_1)
	v_clz_i32_u32_e32 v5, v3
	v_min_u32_e32 v5, 32, v5
	s_delay_alu instid0(VALU_DEP_4) | instskip(NEXT) | instid1(VALU_DEP_2)
	v_and_b32_e32 v7, 31, v7
	v_subrev_nc_u32_e32 v9, 29, v5
	v_sub_nc_u32_e32 v5, 30, v5
	s_delay_alu instid0(VALU_DEP_3) | instskip(NEXT) | instid1(VALU_DEP_3)
	v_cmp_eq_u32_e32 vcc_lo, 0, v7
	v_lshlrev_b32_e32 v9, v9, v1
	s_delay_alu instid0(VALU_DEP_3) | instskip(SKIP_1) | instid1(VALU_DEP_3)
	v_cndmask_b32_e32 v5, v7, v5, vcc_lo
	v_and_b32_e32 v7, 0x80000000, v11
	v_and_b32_e32 v9, 3, v9
	s_delay_alu instid0(VALU_DEP_3) | instskip(NEXT) | instid1(VALU_DEP_2)
	v_lshl_add_u32 v5, v5, 23, 0x37800000
	v_cndmask_b32_e32 v3, v3, v9, vcc_lo
	s_delay_alu instid0(VALU_DEP_1) | instskip(NEXT) | instid1(VALU_DEP_1)
	v_lshlrev_b32_e32 v3, 21, v3
	v_or3_b32 v3, v7, v5, v3
.LBB261_654:
	s_or_b32 exec_lo, exec_lo, s14
	s_delay_alu instid0(VALU_DEP_1)
	v_cmp_neq_f32_e64 s12, s12, v3
.LBB261_655:
	s_wait_loadcnt 0x0
	global_load_u8 v1, v15, s[2:3]
	s_and_b32 vcc_lo, exec_lo, s6
	s_cbranch_vccz .LBB261_794
.LBB261_656:
	s_wait_xcnt 0x0
	s_and_b32 s3, s5, 0xff
	s_delay_alu instid0(SALU_CYCLE_1)
	s_cmp_lt_i32 s3, 0x80
	s_cbranch_scc1 .LBB261_664
; %bb.657:
	s_and_b32 s2, 0xffff, s3
	s_mov_b32 s6, -1
	s_cmp_eq_u32 s2, 0x80
	s_cbranch_scc0 .LBB261_659
; %bb.658:
	s_mov_b32 s6, 0
.LBB261_659:
	s_mov_b32 s2, 0x7f800001
	s_branch .LBB261_666
.LBB261_660:
	s_mov_b32 s13, -1
	s_mov_b32 s15, exec_lo
	v_cmpx_eq_u16_e32 0x80, v5
; %bb.661:
	s_xor_b32 s13, exec_lo, -1
; %bb.662:
	s_or_b32 exec_lo, exec_lo, s15
	s_delay_alu instid0(SALU_CYCLE_1)
	s_and_b32 s13, s13, exec_lo
                                        ; implicit-def: $vgpr5
	s_or_saveexec_b32 s14, s14
	v_mov_b32_e32 v3, 0x7f800001
	s_xor_b32 exec_lo, exec_lo, s14
	s_cbranch_execz .LBB261_652
.LBB261_663:
	v_cmp_ne_u16_e32 vcc_lo, 0, v5
	v_mov_b32_e32 v3, 0
	s_and_not1_b32 s13, s13, exec_lo
	s_and_b32 s15, vcc_lo, exec_lo
	s_delay_alu instid0(SALU_CYCLE_1)
	s_or_b32 s13, s13, s15
	s_or_b32 exec_lo, exec_lo, s14
	s_and_saveexec_b32 s14, s13
	s_cbranch_execnz .LBB261_653
	s_branch .LBB261_654
.LBB261_664:
	s_mov_b32 s6, 0
	s_mov_b32 s2, 0x7f800001
	s_cbranch_execz .LBB261_666
; %bb.665:
	s_and_b32 s2, 0xffff, s3
	s_delay_alu instid0(SALU_CYCLE_1)
	s_cmp_lg_u32 s2, 0
	s_mov_b32 s2, 0
	s_cselect_b32 s6, -1, 0
.LBB261_666:
	s_delay_alu instid0(SALU_CYCLE_1)
	s_and_not1_b32 vcc_lo, exec_lo, s6
	s_cbranch_vccnz .LBB261_668
; %bb.667:
	s_and_b32 s2, s5, 3
	s_bfe_u32 s14, s5, 0x50002
	s_clz_i32_u32 s3, s2
	s_lshl_b32 s6, s5, 24
	s_min_u32 s3, s3, 32
	s_delay_alu instid0(SALU_CYCLE_1) | instskip(SKIP_2) | instid1(SALU_CYCLE_1)
	s_sub_co_i32 s13, s3, 29
	s_sub_co_i32 s3, 30, s3
	s_lshl_b32 s13, s5, s13
	s_and_b32 s13, s13, 3
	s_cmp_eq_u32 s14, 0
	s_cselect_b32 s3, s3, s14
	s_cselect_b32 s2, s13, s2
	s_lshl_b32 s3, s3, 23
	s_and_b32 s6, s6, 0x80000000
	s_add_co_i32 s3, s3, 0x37800000
	s_lshl_b32 s2, s2, 21
	s_or_b32 s3, s6, s3
	s_delay_alu instid0(SALU_CYCLE_1)
	s_or_b32 s2, s3, s2
.LBB261_668:
	s_wait_loadcnt 0x0
	v_and_b32_e32 v5, 0xff, v1
	s_mov_b32 s3, 0
	s_mov_b32 s6, exec_lo
	s_delay_alu instid0(VALU_DEP_1)
	v_cmpx_lt_i16_e32 0x7f, v5
	s_xor_b32 s6, exec_lo, s6
	s_cbranch_execnz .LBB261_673
; %bb.669:
	s_or_saveexec_b32 s6, s6
	v_mov_b32_e32 v3, 0x7f800001
	s_xor_b32 exec_lo, exec_lo, s6
	s_cbranch_execnz .LBB261_676
.LBB261_670:
	s_or_b32 exec_lo, exec_lo, s6
	s_and_saveexec_b32 s6, s3
	s_cbranch_execz .LBB261_672
.LBB261_671:
	v_and_b32_e32 v3, 3, v1
	v_lshrrev_b16 v7, 2, v1
	v_lshlrev_b32_e32 v11, 24, v1
	s_delay_alu instid0(VALU_DEP_3) | instskip(NEXT) | instid1(VALU_DEP_1)
	v_clz_i32_u32_e32 v5, v3
	v_min_u32_e32 v5, 32, v5
	s_delay_alu instid0(VALU_DEP_4) | instskip(NEXT) | instid1(VALU_DEP_2)
	v_and_b32_e32 v7, 31, v7
	v_subrev_nc_u32_e32 v9, 29, v5
	v_sub_nc_u32_e32 v5, 30, v5
	s_delay_alu instid0(VALU_DEP_3) | instskip(NEXT) | instid1(VALU_DEP_3)
	v_cmp_eq_u32_e32 vcc_lo, 0, v7
	v_lshlrev_b32_e32 v9, v9, v1
	s_delay_alu instid0(VALU_DEP_3) | instskip(SKIP_1) | instid1(VALU_DEP_3)
	v_cndmask_b32_e32 v5, v7, v5, vcc_lo
	v_and_b32_e32 v7, 0x80000000, v11
	v_and_b32_e32 v9, 3, v9
	s_delay_alu instid0(VALU_DEP_3) | instskip(NEXT) | instid1(VALU_DEP_2)
	v_lshl_add_u32 v5, v5, 23, 0x37800000
	v_cndmask_b32_e32 v3, v3, v9, vcc_lo
	s_delay_alu instid0(VALU_DEP_1) | instskip(NEXT) | instid1(VALU_DEP_1)
	v_lshlrev_b32_e32 v3, 21, v3
	v_or3_b32 v3, v7, v5, v3
.LBB261_672:
	s_or_b32 exec_lo, exec_lo, s6
	s_delay_alu instid0(VALU_DEP_1)
	v_cmp_neq_f32_e64 s2, s2, v3
	s_branch .LBB261_812
.LBB261_673:
	s_mov_b32 s3, -1
	s_mov_b32 s13, exec_lo
	v_cmpx_eq_u16_e32 0x80, v5
; %bb.674:
	s_xor_b32 s3, exec_lo, -1
; %bb.675:
	s_or_b32 exec_lo, exec_lo, s13
	s_delay_alu instid0(SALU_CYCLE_1)
	s_and_b32 s3, s3, exec_lo
                                        ; implicit-def: $vgpr5
	s_or_saveexec_b32 s6, s6
	v_mov_b32_e32 v3, 0x7f800001
	s_xor_b32 exec_lo, exec_lo, s6
	s_cbranch_execz .LBB261_670
.LBB261_676:
	v_cmp_ne_u16_e32 vcc_lo, 0, v5
	v_mov_b32_e32 v3, 0
	s_and_not1_b32 s3, s3, exec_lo
	s_and_b32 s13, vcc_lo, exec_lo
	s_delay_alu instid0(SALU_CYCLE_1)
	s_or_b32 s3, s3, s13
	s_or_b32 exec_lo, exec_lo, s6
	s_and_saveexec_b32 s6, s3
	s_cbranch_execnz .LBB261_671
	s_branch .LBB261_672
.LBB261_677:
	s_mov_b32 s8, 0
	s_mov_b32 s4, 0x7f800001
	s_cbranch_execz .LBB261_679
; %bb.678:
	s_and_b32 s4, 0xffff, s7
	s_delay_alu instid0(SALU_CYCLE_1)
	s_cmp_lg_u32 s4, 0
	s_mov_b32 s4, 0
	s_cselect_b32 s8, -1, 0
.LBB261_679:
	s_delay_alu instid0(SALU_CYCLE_1)
	s_and_not1_b32 vcc_lo, exec_lo, s8
	s_cbranch_vccnz .LBB261_681
; %bb.680:
	s_and_b32 s4, s5, 3
	s_bfe_u32 s10, s5, 0x50002
	s_clz_i32_u32 s7, s4
	s_lshl_b32 s8, s5, 24
	s_min_u32 s7, s7, 32
	s_delay_alu instid0(SALU_CYCLE_1) | instskip(SKIP_2) | instid1(SALU_CYCLE_1)
	s_sub_co_i32 s9, s7, 29
	s_sub_co_i32 s7, 30, s7
	s_lshl_b32 s9, s5, s9
	s_and_b32 s9, s9, 3
	s_cmp_eq_u32 s10, 0
	s_cselect_b32 s7, s7, s10
	s_cselect_b32 s4, s9, s4
	s_lshl_b32 s7, s7, 23
	s_and_b32 s8, s8, 0x80000000
	s_add_co_i32 s7, s7, 0x37800000
	s_lshl_b32 s4, s4, 21
	s_or_b32 s7, s8, s7
	s_delay_alu instid0(SALU_CYCLE_1)
	s_or_b32 s4, s7, s4
.LBB261_681:
	s_wait_loadcnt 0x0
	v_and_b32_e32 v17, 0xff, v3
	s_mov_b32 s7, 0
	s_mov_b32 s8, exec_lo
	s_wait_xcnt 0x0
	s_delay_alu instid0(VALU_DEP_1)
	v_cmpx_lt_i16_e32 0x7f, v17
	s_xor_b32 s8, exec_lo, s8
	s_cbranch_execnz .LBB261_691
; %bb.682:
	s_or_saveexec_b32 s8, s8
	v_mov_b32_e32 v16, 0x7f800001
	s_xor_b32 exec_lo, exec_lo, s8
	s_cbranch_execnz .LBB261_694
.LBB261_683:
	s_or_b32 exec_lo, exec_lo, s8
	s_and_saveexec_b32 s8, s7
	s_cbranch_execz .LBB261_685
.LBB261_684:
	v_and_b32_e32 v16, 3, v3
	v_lshrrev_b16 v18, 2, v3
	s_delay_alu instid0(VALU_DEP_2) | instskip(NEXT) | instid1(VALU_DEP_1)
	v_clz_i32_u32_e32 v17, v16
	v_min_u32_e32 v17, 32, v17
	s_delay_alu instid0(VALU_DEP_3) | instskip(NEXT) | instid1(VALU_DEP_2)
	v_and_b32_e32 v18, 31, v18
	v_subrev_nc_u32_e32 v19, 29, v17
	v_sub_nc_u32_e32 v17, 30, v17
	s_delay_alu instid0(VALU_DEP_3) | instskip(NEXT) | instid1(VALU_DEP_2)
	v_cmp_eq_u32_e32 vcc_lo, 0, v18
	v_dual_lshlrev_b32 v19, v19, v3 :: v_dual_cndmask_b32 v17, v18, v17, vcc_lo
	s_delay_alu instid0(VALU_DEP_1) | instskip(NEXT) | instid1(VALU_DEP_2)
	v_and_b32_e32 v19, 3, v19
	v_lshl_add_u32 v17, v17, 23, 0x37800000
	s_delay_alu instid0(VALU_DEP_2) | instskip(NEXT) | instid1(VALU_DEP_1)
	v_cndmask_b32_e32 v16, v16, v19, vcc_lo
	v_dual_lshlrev_b32 v3, 24, v3 :: v_dual_lshlrev_b32 v16, 21, v16
	s_delay_alu instid0(VALU_DEP_1) | instskip(NEXT) | instid1(VALU_DEP_1)
	v_and_b32_e32 v3, 0x80000000, v3
	v_or3_b32 v16, v3, v17, v16
.LBB261_685:
	s_or_b32 exec_lo, exec_lo, s8
	s_delay_alu instid0(VALU_DEP_1)
	v_cmp_eq_f32_e64 s4, s4, v16
	global_load_u8 v3, v5, s[2:3]
	s_and_b32 vcc_lo, exec_lo, s6
	s_cbranch_vccnz .LBB261_539
.LBB261_686:
                                        ; implicit-def: $sgpr7
	s_cbranch_execz .LBB261_565
; %bb.687:
	s_and_b32 s8, s5, 0xff
	s_delay_alu instid0(SALU_CYCLE_1)
	s_cmp_lt_i32 s8, 0x80
	s_cbranch_scc1 .LBB261_695
; %bb.688:
	s_and_b32 s7, 0xffff, s8
	s_mov_b32 s9, -1
	s_cmp_eq_u32 s7, 0x80
	s_cbranch_scc0 .LBB261_690
; %bb.689:
	s_mov_b32 s9, 0
.LBB261_690:
	s_mov_b32 s7, 0x7f800001
	s_branch .LBB261_697
.LBB261_691:
	s_mov_b32 s7, -1
	s_mov_b32 s9, exec_lo
	v_cmpx_eq_u16_e32 0x80, v17
; %bb.692:
	s_xor_b32 s7, exec_lo, -1
; %bb.693:
	s_or_b32 exec_lo, exec_lo, s9
	s_delay_alu instid0(SALU_CYCLE_1)
	s_and_b32 s7, s7, exec_lo
                                        ; implicit-def: $vgpr17
	s_or_saveexec_b32 s8, s8
	v_mov_b32_e32 v16, 0x7f800001
	s_xor_b32 exec_lo, exec_lo, s8
	s_cbranch_execz .LBB261_683
.LBB261_694:
	v_cmp_ne_u16_e32 vcc_lo, 0, v17
	v_mov_b32_e32 v16, 0
	s_and_not1_b32 s7, s7, exec_lo
	s_and_b32 s9, vcc_lo, exec_lo
	s_delay_alu instid0(SALU_CYCLE_1)
	s_or_b32 s7, s7, s9
	s_or_b32 exec_lo, exec_lo, s8
	s_and_saveexec_b32 s8, s7
	s_cbranch_execnz .LBB261_684
	s_branch .LBB261_685
.LBB261_695:
	s_mov_b32 s9, 0
	s_mov_b32 s7, 0x7f800001
	s_cbranch_execz .LBB261_697
; %bb.696:
	s_and_b32 s7, 0xffff, s8
	s_delay_alu instid0(SALU_CYCLE_1)
	s_cmp_lg_u32 s7, 0
	s_mov_b32 s7, 0
	s_cselect_b32 s9, -1, 0
.LBB261_697:
	s_delay_alu instid0(SALU_CYCLE_1)
	s_and_not1_b32 vcc_lo, exec_lo, s9
	s_cbranch_vccnz .LBB261_699
; %bb.698:
	s_and_b32 s7, s5, 3
	s_bfe_u32 s11, s5, 0x50002
	s_clz_i32_u32 s8, s7
	s_lshl_b32 s9, s5, 24
	s_min_u32 s8, s8, 32
	s_delay_alu instid0(SALU_CYCLE_1) | instskip(SKIP_2) | instid1(SALU_CYCLE_1)
	s_sub_co_i32 s10, s8, 29
	s_sub_co_i32 s8, 30, s8
	s_lshl_b32 s10, s5, s10
	s_and_b32 s10, s10, 3
	s_cmp_eq_u32 s11, 0
	s_cselect_b32 s8, s8, s11
	s_cselect_b32 s7, s10, s7
	s_lshl_b32 s8, s8, 23
	s_and_b32 s9, s9, 0x80000000
	s_add_co_i32 s8, s8, 0x37800000
	s_lshl_b32 s7, s7, 21
	s_or_b32 s8, s9, s8
	s_delay_alu instid0(SALU_CYCLE_1)
	s_or_b32 s7, s8, s7
.LBB261_699:
	s_wait_loadcnt 0x0
	v_and_b32_e32 v16, 0xff, v3
	s_mov_b32 s8, 0
	s_mov_b32 s9, exec_lo
	s_wait_xcnt 0x0
	s_delay_alu instid0(VALU_DEP_1)
	v_cmpx_lt_i16_e32 0x7f, v16
	s_xor_b32 s9, exec_lo, s9
	s_cbranch_execnz .LBB261_709
; %bb.700:
	s_or_saveexec_b32 s9, s9
	v_mov_b32_e32 v5, 0x7f800001
	s_xor_b32 exec_lo, exec_lo, s9
	s_cbranch_execnz .LBB261_712
.LBB261_701:
	s_or_b32 exec_lo, exec_lo, s9
	s_and_saveexec_b32 s9, s8
	s_cbranch_execz .LBB261_703
.LBB261_702:
	v_and_b32_e32 v5, 3, v3
	v_lshrrev_b16 v17, 2, v3
	s_delay_alu instid0(VALU_DEP_2) | instskip(NEXT) | instid1(VALU_DEP_1)
	v_clz_i32_u32_e32 v16, v5
	v_min_u32_e32 v16, 32, v16
	s_delay_alu instid0(VALU_DEP_3) | instskip(NEXT) | instid1(VALU_DEP_2)
	v_and_b32_e32 v17, 31, v17
	v_subrev_nc_u32_e32 v18, 29, v16
	v_sub_nc_u32_e32 v16, 30, v16
	s_delay_alu instid0(VALU_DEP_3) | instskip(NEXT) | instid1(VALU_DEP_3)
	v_cmp_eq_u32_e32 vcc_lo, 0, v17
	v_dual_lshlrev_b32 v18, v18, v3 :: v_dual_lshlrev_b32 v3, 24, v3
	s_delay_alu instid0(VALU_DEP_1) | instskip(NEXT) | instid1(VALU_DEP_2)
	v_and_b32_e32 v18, 3, v18
	v_and_b32_e32 v3, 0x80000000, v3
	s_delay_alu instid0(VALU_DEP_2) | instskip(NEXT) | instid1(VALU_DEP_1)
	v_cndmask_b32_e32 v5, v5, v18, vcc_lo
	v_dual_cndmask_b32 v16, v17, v16 :: v_dual_lshlrev_b32 v5, 21, v5
	s_delay_alu instid0(VALU_DEP_1) | instskip(NEXT) | instid1(VALU_DEP_1)
	v_lshl_add_u32 v16, v16, 23, 0x37800000
	v_or3_b32 v5, v3, v16, v5
.LBB261_703:
	s_or_b32 exec_lo, exec_lo, s9
	s_delay_alu instid0(VALU_DEP_1)
	v_cmp_eq_f32_e64 s7, s7, v5
	global_load_u8 v3, v7, s[2:3]
	s_and_b32 vcc_lo, exec_lo, s6
	s_cbranch_vccnz .LBB261_566
.LBB261_704:
                                        ; implicit-def: $sgpr8
	s_cbranch_execz .LBB261_583
; %bb.705:
	s_and_b32 s9, s5, 0xff
	s_delay_alu instid0(SALU_CYCLE_1)
	s_cmp_lt_i32 s9, 0x80
	s_cbranch_scc1 .LBB261_713
; %bb.706:
	s_and_b32 s8, 0xffff, s9
	s_mov_b32 s10, -1
	s_cmp_eq_u32 s8, 0x80
	s_cbranch_scc0 .LBB261_708
; %bb.707:
	s_mov_b32 s10, 0
.LBB261_708:
	s_mov_b32 s8, 0x7f800001
	s_branch .LBB261_715
.LBB261_709:
	s_mov_b32 s8, -1
	s_mov_b32 s10, exec_lo
	v_cmpx_eq_u16_e32 0x80, v16
; %bb.710:
	s_xor_b32 s8, exec_lo, -1
; %bb.711:
	s_or_b32 exec_lo, exec_lo, s10
	s_delay_alu instid0(SALU_CYCLE_1)
	s_and_b32 s8, s8, exec_lo
                                        ; implicit-def: $vgpr16
	s_or_saveexec_b32 s9, s9
	v_mov_b32_e32 v5, 0x7f800001
	s_xor_b32 exec_lo, exec_lo, s9
	s_cbranch_execz .LBB261_701
.LBB261_712:
	v_cmp_ne_u16_e32 vcc_lo, 0, v16
	v_mov_b32_e32 v5, 0
	s_and_not1_b32 s8, s8, exec_lo
	s_and_b32 s10, vcc_lo, exec_lo
	s_delay_alu instid0(SALU_CYCLE_1)
	s_or_b32 s8, s8, s10
	s_or_b32 exec_lo, exec_lo, s9
	s_and_saveexec_b32 s9, s8
	s_cbranch_execnz .LBB261_702
	s_branch .LBB261_703
.LBB261_713:
	s_mov_b32 s10, 0
	s_mov_b32 s8, 0x7f800001
	s_cbranch_execz .LBB261_715
; %bb.714:
	s_and_b32 s8, 0xffff, s9
	s_delay_alu instid0(SALU_CYCLE_1)
	s_cmp_lg_u32 s8, 0
	s_mov_b32 s8, 0
	s_cselect_b32 s10, -1, 0
.LBB261_715:
	s_delay_alu instid0(SALU_CYCLE_1)
	s_and_not1_b32 vcc_lo, exec_lo, s10
	s_cbranch_vccnz .LBB261_717
; %bb.716:
	s_and_b32 s8, s5, 3
	s_bfe_u32 s12, s5, 0x50002
	s_clz_i32_u32 s9, s8
	s_lshl_b32 s10, s5, 24
	s_min_u32 s9, s9, 32
	s_delay_alu instid0(SALU_CYCLE_1) | instskip(SKIP_2) | instid1(SALU_CYCLE_1)
	s_sub_co_i32 s11, s9, 29
	s_sub_co_i32 s9, 30, s9
	s_lshl_b32 s11, s5, s11
	s_and_b32 s11, s11, 3
	s_cmp_eq_u32 s12, 0
	s_cselect_b32 s9, s9, s12
	s_cselect_b32 s8, s11, s8
	s_lshl_b32 s9, s9, 23
	s_and_b32 s10, s10, 0x80000000
	s_add_co_i32 s9, s9, 0x37800000
	s_lshl_b32 s8, s8, 21
	s_or_b32 s9, s10, s9
	s_delay_alu instid0(SALU_CYCLE_1)
	s_or_b32 s8, s9, s8
.LBB261_717:
	s_wait_loadcnt 0x0
	v_and_b32_e32 v7, 0xff, v3
	s_mov_b32 s9, 0
	s_mov_b32 s10, exec_lo
	s_delay_alu instid0(VALU_DEP_1)
	v_cmpx_lt_i16_e32 0x7f, v7
	s_xor_b32 s10, exec_lo, s10
	s_cbranch_execnz .LBB261_727
; %bb.718:
	s_or_saveexec_b32 s10, s10
	v_mov_b32_e32 v5, 0x7f800001
	s_xor_b32 exec_lo, exec_lo, s10
	s_cbranch_execnz .LBB261_730
.LBB261_719:
	s_or_b32 exec_lo, exec_lo, s10
	s_and_saveexec_b32 s10, s9
	s_cbranch_execz .LBB261_721
.LBB261_720:
	v_and_b32_e32 v5, 3, v3
	v_lshrrev_b16 v16, 2, v3
	s_delay_alu instid0(VALU_DEP_2) | instskip(NEXT) | instid1(VALU_DEP_1)
	v_clz_i32_u32_e32 v7, v5
	v_min_u32_e32 v7, 32, v7
	s_delay_alu instid0(VALU_DEP_3) | instskip(NEXT) | instid1(VALU_DEP_2)
	v_and_b32_e32 v16, 31, v16
	v_subrev_nc_u32_e32 v17, 29, v7
	v_sub_nc_u32_e32 v7, 30, v7
	s_delay_alu instid0(VALU_DEP_3) | instskip(NEXT) | instid1(VALU_DEP_3)
	v_cmp_eq_u32_e32 vcc_lo, 0, v16
	v_dual_lshlrev_b32 v17, v17, v3 :: v_dual_lshlrev_b32 v3, 24, v3
	s_delay_alu instid0(VALU_DEP_1) | instskip(NEXT) | instid1(VALU_DEP_2)
	v_dual_cndmask_b32 v7, v16, v7, vcc_lo :: v_dual_bitop2_b32 v17, 3, v17 bitop3:0x40
	v_and_b32_e32 v3, 0x80000000, v3
	s_delay_alu instid0(VALU_DEP_2) | instskip(NEXT) | instid1(VALU_DEP_3)
	v_cndmask_b32_e32 v5, v5, v17, vcc_lo
	v_lshl_add_u32 v7, v7, 23, 0x37800000
	s_delay_alu instid0(VALU_DEP_2) | instskip(NEXT) | instid1(VALU_DEP_1)
	v_lshlrev_b32_e32 v5, 21, v5
	v_or3_b32 v5, v3, v7, v5
.LBB261_721:
	s_or_b32 exec_lo, exec_lo, s10
	s_delay_alu instid0(VALU_DEP_1)
	v_cmp_eq_f32_e64 s8, s8, v5
	global_load_u8 v3, v9, s[2:3]
	s_and_b32 vcc_lo, exec_lo, s6
	s_cbranch_vccnz .LBB261_584
.LBB261_722:
                                        ; implicit-def: $sgpr9
	s_cbranch_execz .LBB261_601
; %bb.723:
	s_and_b32 s10, s5, 0xff
	s_delay_alu instid0(SALU_CYCLE_1)
	s_cmp_lt_i32 s10, 0x80
	s_cbranch_scc1 .LBB261_731
; %bb.724:
	s_and_b32 s9, 0xffff, s10
	s_mov_b32 s11, -1
	s_cmp_eq_u32 s9, 0x80
	s_cbranch_scc0 .LBB261_726
; %bb.725:
	s_mov_b32 s11, 0
.LBB261_726:
	s_mov_b32 s9, 0x7f800001
	s_branch .LBB261_733
.LBB261_727:
	s_mov_b32 s9, -1
	s_mov_b32 s11, exec_lo
	v_cmpx_eq_u16_e32 0x80, v7
; %bb.728:
	s_xor_b32 s9, exec_lo, -1
; %bb.729:
	s_or_b32 exec_lo, exec_lo, s11
	s_delay_alu instid0(SALU_CYCLE_1)
	s_and_b32 s9, s9, exec_lo
                                        ; implicit-def: $vgpr7
	s_or_saveexec_b32 s10, s10
	v_mov_b32_e32 v5, 0x7f800001
	s_xor_b32 exec_lo, exec_lo, s10
	s_cbranch_execz .LBB261_719
.LBB261_730:
	v_cmp_ne_u16_e32 vcc_lo, 0, v7
	v_mov_b32_e32 v5, 0
	s_and_not1_b32 s9, s9, exec_lo
	s_and_b32 s11, vcc_lo, exec_lo
	s_delay_alu instid0(SALU_CYCLE_1)
	s_or_b32 s9, s9, s11
	s_or_b32 exec_lo, exec_lo, s10
	s_and_saveexec_b32 s10, s9
	s_cbranch_execnz .LBB261_720
	s_branch .LBB261_721
.LBB261_731:
	s_mov_b32 s11, 0
	s_mov_b32 s9, 0x7f800001
	s_cbranch_execz .LBB261_733
; %bb.732:
	s_and_b32 s9, 0xffff, s10
	s_delay_alu instid0(SALU_CYCLE_1)
	s_cmp_lg_u32 s9, 0
	s_mov_b32 s9, 0
	s_cselect_b32 s11, -1, 0
.LBB261_733:
	s_delay_alu instid0(SALU_CYCLE_1)
	s_and_not1_b32 vcc_lo, exec_lo, s11
	s_cbranch_vccnz .LBB261_735
; %bb.734:
	s_and_b32 s9, s5, 3
	s_bfe_u32 s13, s5, 0x50002
	s_clz_i32_u32 s10, s9
	s_lshl_b32 s11, s5, 24
	s_min_u32 s10, s10, 32
	s_delay_alu instid0(SALU_CYCLE_1) | instskip(SKIP_2) | instid1(SALU_CYCLE_1)
	s_sub_co_i32 s12, s10, 29
	s_sub_co_i32 s10, 30, s10
	s_lshl_b32 s12, s5, s12
	s_and_b32 s12, s12, 3
	s_cmp_eq_u32 s13, 0
	s_cselect_b32 s10, s10, s13
	s_cselect_b32 s9, s12, s9
	s_lshl_b32 s10, s10, 23
	s_and_b32 s11, s11, 0x80000000
	s_add_co_i32 s10, s10, 0x37800000
	s_lshl_b32 s9, s9, 21
	s_or_b32 s10, s11, s10
	s_delay_alu instid0(SALU_CYCLE_1)
	s_or_b32 s9, s10, s9
.LBB261_735:
	s_wait_loadcnt 0x0
	s_wait_xcnt 0x1
	v_and_b32_e32 v7, 0xff, v3
	s_mov_b32 s10, 0
	s_mov_b32 s11, exec_lo
	s_wait_xcnt 0x0
	s_delay_alu instid0(VALU_DEP_1)
	v_cmpx_lt_i16_e32 0x7f, v7
	s_xor_b32 s11, exec_lo, s11
	s_cbranch_execnz .LBB261_745
; %bb.736:
	s_or_saveexec_b32 s11, s11
	v_mov_b32_e32 v5, 0x7f800001
	s_xor_b32 exec_lo, exec_lo, s11
	s_cbranch_execnz .LBB261_748
.LBB261_737:
	s_or_b32 exec_lo, exec_lo, s11
	s_and_saveexec_b32 s11, s10
	s_cbranch_execz .LBB261_739
.LBB261_738:
	v_and_b32_e32 v5, 3, v3
	v_lshrrev_b16 v9, 2, v3
	s_delay_alu instid0(VALU_DEP_2) | instskip(NEXT) | instid1(VALU_DEP_1)
	v_clz_i32_u32_e32 v7, v5
	v_min_u32_e32 v7, 32, v7
	s_delay_alu instid0(VALU_DEP_3) | instskip(NEXT) | instid1(VALU_DEP_2)
	v_and_b32_e32 v9, 31, v9
	v_subrev_nc_u32_e32 v16, 29, v7
	v_sub_nc_u32_e32 v7, 30, v7
	s_delay_alu instid0(VALU_DEP_3) | instskip(NEXT) | instid1(VALU_DEP_3)
	v_cmp_eq_u32_e32 vcc_lo, 0, v9
	v_dual_lshlrev_b32 v16, v16, v3 :: v_dual_lshlrev_b32 v3, 24, v3
	s_delay_alu instid0(VALU_DEP_1) | instskip(NEXT) | instid1(VALU_DEP_2)
	v_and_b32_e32 v16, 3, v16
	v_and_b32_e32 v3, 0x80000000, v3
	s_delay_alu instid0(VALU_DEP_2) | instskip(NEXT) | instid1(VALU_DEP_1)
	v_cndmask_b32_e32 v5, v5, v16, vcc_lo
	v_dual_cndmask_b32 v7, v9, v7, vcc_lo :: v_dual_lshlrev_b32 v5, 21, v5
	s_delay_alu instid0(VALU_DEP_1) | instskip(NEXT) | instid1(VALU_DEP_1)
	v_lshl_add_u32 v7, v7, 23, 0x37800000
	v_or3_b32 v5, v3, v7, v5
.LBB261_739:
	s_or_b32 exec_lo, exec_lo, s11
	s_delay_alu instid0(VALU_DEP_1)
	v_cmp_eq_f32_e64 s9, s9, v5
	global_load_u8 v3, v11, s[2:3]
	s_and_b32 vcc_lo, exec_lo, s6
	s_cbranch_vccnz .LBB261_602
.LBB261_740:
                                        ; implicit-def: $sgpr10
	s_cbranch_execz .LBB261_619
; %bb.741:
	s_and_b32 s11, s5, 0xff
	s_delay_alu instid0(SALU_CYCLE_1)
	s_cmp_lt_i32 s11, 0x80
	s_cbranch_scc1 .LBB261_749
; %bb.742:
	s_and_b32 s10, 0xffff, s11
	s_mov_b32 s12, -1
	s_cmp_eq_u32 s10, 0x80
	s_cbranch_scc0 .LBB261_744
; %bb.743:
	s_mov_b32 s12, 0
.LBB261_744:
	s_mov_b32 s10, 0x7f800001
	s_branch .LBB261_751
.LBB261_745:
	s_mov_b32 s10, -1
	s_mov_b32 s12, exec_lo
	v_cmpx_eq_u16_e32 0x80, v7
; %bb.746:
	s_xor_b32 s10, exec_lo, -1
; %bb.747:
	s_or_b32 exec_lo, exec_lo, s12
	s_delay_alu instid0(SALU_CYCLE_1)
	s_and_b32 s10, s10, exec_lo
                                        ; implicit-def: $vgpr7
	s_or_saveexec_b32 s11, s11
	v_mov_b32_e32 v5, 0x7f800001
	s_xor_b32 exec_lo, exec_lo, s11
	s_cbranch_execz .LBB261_737
.LBB261_748:
	v_cmp_ne_u16_e32 vcc_lo, 0, v7
	v_mov_b32_e32 v5, 0
	s_and_not1_b32 s10, s10, exec_lo
	s_and_b32 s12, vcc_lo, exec_lo
	s_delay_alu instid0(SALU_CYCLE_1)
	s_or_b32 s10, s10, s12
	s_or_b32 exec_lo, exec_lo, s11
	s_and_saveexec_b32 s11, s10
	s_cbranch_execnz .LBB261_738
	s_branch .LBB261_739
.LBB261_749:
	s_mov_b32 s12, 0
	s_mov_b32 s10, 0x7f800001
	s_cbranch_execz .LBB261_751
; %bb.750:
	s_and_b32 s10, 0xffff, s11
	s_delay_alu instid0(SALU_CYCLE_1)
	s_cmp_lg_u32 s10, 0
	s_mov_b32 s10, 0
	s_cselect_b32 s12, -1, 0
.LBB261_751:
	s_delay_alu instid0(SALU_CYCLE_1)
	s_and_not1_b32 vcc_lo, exec_lo, s12
	s_cbranch_vccnz .LBB261_753
; %bb.752:
	s_and_b32 s10, s5, 3
	s_bfe_u32 s14, s5, 0x50002
	s_clz_i32_u32 s11, s10
	s_lshl_b32 s12, s5, 24
	s_min_u32 s11, s11, 32
	s_delay_alu instid0(SALU_CYCLE_1) | instskip(SKIP_2) | instid1(SALU_CYCLE_1)
	s_sub_co_i32 s13, s11, 29
	s_sub_co_i32 s11, 30, s11
	s_lshl_b32 s13, s5, s13
	s_and_b32 s13, s13, 3
	s_cmp_eq_u32 s14, 0
	s_cselect_b32 s11, s11, s14
	s_cselect_b32 s10, s13, s10
	s_lshl_b32 s11, s11, 23
	s_and_b32 s12, s12, 0x80000000
	s_add_co_i32 s11, s11, 0x37800000
	s_lshl_b32 s10, s10, 21
	s_or_b32 s11, s12, s11
	s_delay_alu instid0(SALU_CYCLE_1)
	s_or_b32 s10, s11, s10
.LBB261_753:
	s_wait_loadcnt 0x0
	s_wait_xcnt 0x2
	v_and_b32_e32 v7, 0xff, v3
	s_mov_b32 s11, 0
	s_mov_b32 s12, exec_lo
	s_wait_xcnt 0x0
	s_delay_alu instid0(VALU_DEP_1)
	v_cmpx_lt_i16_e32 0x7f, v7
	s_xor_b32 s12, exec_lo, s12
	s_cbranch_execnz .LBB261_763
; %bb.754:
	s_or_saveexec_b32 s12, s12
	v_mov_b32_e32 v5, 0x7f800001
	s_xor_b32 exec_lo, exec_lo, s12
	s_cbranch_execnz .LBB261_766
.LBB261_755:
	s_or_b32 exec_lo, exec_lo, s12
	s_and_saveexec_b32 s12, s11
	s_cbranch_execz .LBB261_757
.LBB261_756:
	v_and_b32_e32 v5, 3, v3
	v_lshrrev_b16 v9, 2, v3
	s_delay_alu instid0(VALU_DEP_2) | instskip(NEXT) | instid1(VALU_DEP_1)
	v_clz_i32_u32_e32 v7, v5
	v_min_u32_e32 v7, 32, v7
	s_delay_alu instid0(VALU_DEP_3) | instskip(NEXT) | instid1(VALU_DEP_2)
	v_and_b32_e32 v9, 31, v9
	v_subrev_nc_u32_e32 v11, 29, v7
	v_sub_nc_u32_e32 v7, 30, v7
	s_delay_alu instid0(VALU_DEP_3) | instskip(NEXT) | instid1(VALU_DEP_3)
	v_cmp_eq_u32_e32 vcc_lo, 0, v9
	v_dual_lshlrev_b32 v11, v11, v3 :: v_dual_lshlrev_b32 v3, 24, v3
	s_delay_alu instid0(VALU_DEP_3) | instskip(NEXT) | instid1(VALU_DEP_2)
	v_cndmask_b32_e32 v7, v9, v7, vcc_lo
	v_and_b32_e32 v11, 3, v11
	s_delay_alu instid0(VALU_DEP_3) | instskip(NEXT) | instid1(VALU_DEP_3)
	v_and_b32_e32 v3, 0x80000000, v3
	v_lshl_add_u32 v7, v7, 23, 0x37800000
	s_delay_alu instid0(VALU_DEP_3) | instskip(NEXT) | instid1(VALU_DEP_1)
	v_cndmask_b32_e32 v5, v5, v11, vcc_lo
	v_lshlrev_b32_e32 v5, 21, v5
	s_delay_alu instid0(VALU_DEP_1)
	v_or3_b32 v5, v3, v7, v5
.LBB261_757:
	s_or_b32 exec_lo, exec_lo, s12
	s_delay_alu instid0(VALU_DEP_1)
	v_cmp_eq_f32_e64 s10, s10, v5
	global_load_u8 v3, v13, s[2:3]
	s_and_b32 vcc_lo, exec_lo, s6
	s_cbranch_vccnz .LBB261_620
.LBB261_758:
                                        ; implicit-def: $sgpr11
	s_cbranch_execz .LBB261_637
; %bb.759:
	s_and_b32 s12, s5, 0xff
	s_delay_alu instid0(SALU_CYCLE_1)
	s_cmp_lt_i32 s12, 0x80
	s_cbranch_scc1 .LBB261_767
; %bb.760:
	s_and_b32 s11, 0xffff, s12
	s_mov_b32 s13, -1
	s_cmp_eq_u32 s11, 0x80
	s_cbranch_scc0 .LBB261_762
; %bb.761:
	s_mov_b32 s13, 0
.LBB261_762:
	s_mov_b32 s11, 0x7f800001
	s_branch .LBB261_769
.LBB261_763:
	s_mov_b32 s11, -1
	s_mov_b32 s13, exec_lo
	v_cmpx_eq_u16_e32 0x80, v7
; %bb.764:
	s_xor_b32 s11, exec_lo, -1
; %bb.765:
	s_or_b32 exec_lo, exec_lo, s13
	s_delay_alu instid0(SALU_CYCLE_1)
	s_and_b32 s11, s11, exec_lo
                                        ; implicit-def: $vgpr7
	s_or_saveexec_b32 s12, s12
	v_mov_b32_e32 v5, 0x7f800001
	s_xor_b32 exec_lo, exec_lo, s12
	s_cbranch_execz .LBB261_755
.LBB261_766:
	v_cmp_ne_u16_e32 vcc_lo, 0, v7
	v_mov_b32_e32 v5, 0
	s_and_not1_b32 s11, s11, exec_lo
	s_and_b32 s13, vcc_lo, exec_lo
	s_delay_alu instid0(SALU_CYCLE_1)
	s_or_b32 s11, s11, s13
	s_or_b32 exec_lo, exec_lo, s12
	s_and_saveexec_b32 s12, s11
	s_cbranch_execnz .LBB261_756
	s_branch .LBB261_757
.LBB261_767:
	s_mov_b32 s13, 0
	s_mov_b32 s11, 0x7f800001
	s_cbranch_execz .LBB261_769
; %bb.768:
	s_and_b32 s11, 0xffff, s12
	s_delay_alu instid0(SALU_CYCLE_1)
	s_cmp_lg_u32 s11, 0
	s_mov_b32 s11, 0
	s_cselect_b32 s13, -1, 0
.LBB261_769:
	s_delay_alu instid0(SALU_CYCLE_1)
	s_and_not1_b32 vcc_lo, exec_lo, s13
	s_cbranch_vccnz .LBB261_771
; %bb.770:
	s_and_b32 s11, s5, 3
	s_bfe_u32 s15, s5, 0x50002
	s_clz_i32_u32 s12, s11
	s_lshl_b32 s13, s5, 24
	s_min_u32 s12, s12, 32
	s_delay_alu instid0(SALU_CYCLE_1) | instskip(SKIP_2) | instid1(SALU_CYCLE_1)
	s_sub_co_i32 s14, s12, 29
	s_sub_co_i32 s12, 30, s12
	s_lshl_b32 s14, s5, s14
	s_and_b32 s14, s14, 3
	s_cmp_eq_u32 s15, 0
	s_cselect_b32 s12, s12, s15
	s_cselect_b32 s11, s14, s11
	s_lshl_b32 s12, s12, 23
	s_and_b32 s13, s13, 0x80000000
	s_add_co_i32 s12, s12, 0x37800000
	s_lshl_b32 s11, s11, 21
	s_or_b32 s12, s13, s12
	s_delay_alu instid0(SALU_CYCLE_1)
	s_or_b32 s11, s12, s11
.LBB261_771:
	s_wait_loadcnt 0x0
	s_wait_xcnt 0x3
	v_and_b32_e32 v7, 0xff, v3
	s_mov_b32 s12, 0
	s_mov_b32 s13, exec_lo
	s_wait_xcnt 0x0
	s_delay_alu instid0(VALU_DEP_1)
	v_cmpx_lt_i16_e32 0x7f, v7
	s_xor_b32 s13, exec_lo, s13
	s_cbranch_execnz .LBB261_781
; %bb.772:
	s_or_saveexec_b32 s13, s13
	v_mov_b32_e32 v5, 0x7f800001
	s_xor_b32 exec_lo, exec_lo, s13
	s_cbranch_execnz .LBB261_784
.LBB261_773:
	s_or_b32 exec_lo, exec_lo, s13
	s_and_saveexec_b32 s13, s12
	s_cbranch_execz .LBB261_775
.LBB261_774:
	v_and_b32_e32 v5, 3, v3
	v_lshrrev_b16 v9, 2, v3
	s_delay_alu instid0(VALU_DEP_2) | instskip(NEXT) | instid1(VALU_DEP_1)
	v_clz_i32_u32_e32 v7, v5
	v_min_u32_e32 v7, 32, v7
	s_delay_alu instid0(VALU_DEP_3) | instskip(NEXT) | instid1(VALU_DEP_2)
	v_and_b32_e32 v9, 31, v9
	v_subrev_nc_u32_e32 v11, 29, v7
	v_sub_nc_u32_e32 v7, 30, v7
	s_delay_alu instid0(VALU_DEP_3) | instskip(NEXT) | instid1(VALU_DEP_3)
	v_cmp_eq_u32_e32 vcc_lo, 0, v9
	v_dual_lshlrev_b32 v11, v11, v3 :: v_dual_lshlrev_b32 v3, 24, v3
	s_delay_alu instid0(VALU_DEP_3) | instskip(NEXT) | instid1(VALU_DEP_2)
	v_cndmask_b32_e32 v7, v9, v7, vcc_lo
	v_and_b32_e32 v11, 3, v11
	s_delay_alu instid0(VALU_DEP_3) | instskip(NEXT) | instid1(VALU_DEP_3)
	v_and_b32_e32 v3, 0x80000000, v3
	v_lshl_add_u32 v7, v7, 23, 0x37800000
	s_delay_alu instid0(VALU_DEP_3) | instskip(NEXT) | instid1(VALU_DEP_1)
	v_cndmask_b32_e32 v5, v5, v11, vcc_lo
	v_lshlrev_b32_e32 v5, 21, v5
	s_delay_alu instid0(VALU_DEP_1)
	v_or3_b32 v5, v3, v7, v5
.LBB261_775:
	s_or_b32 exec_lo, exec_lo, s13
	s_delay_alu instid0(VALU_DEP_1)
	v_cmp_eq_f32_e64 s11, s11, v5
	global_load_u8 v1, v1, s[2:3]
	s_and_b32 vcc_lo, exec_lo, s6
	s_cbranch_vccnz .LBB261_638
.LBB261_776:
                                        ; implicit-def: $sgpr12
	s_cbranch_execz .LBB261_655
; %bb.777:
	s_and_b32 s13, s5, 0xff
	s_delay_alu instid0(SALU_CYCLE_1)
	s_cmp_lt_i32 s13, 0x80
	s_cbranch_scc1 .LBB261_785
; %bb.778:
	s_and_b32 s12, 0xffff, s13
	s_mov_b32 s14, -1
	s_cmp_eq_u32 s12, 0x80
	s_cbranch_scc0 .LBB261_780
; %bb.779:
	s_mov_b32 s14, 0
.LBB261_780:
	s_mov_b32 s12, 0x7f800001
	s_branch .LBB261_787
.LBB261_781:
	s_mov_b32 s12, -1
	s_mov_b32 s14, exec_lo
	v_cmpx_eq_u16_e32 0x80, v7
; %bb.782:
	s_xor_b32 s12, exec_lo, -1
; %bb.783:
	s_or_b32 exec_lo, exec_lo, s14
	s_delay_alu instid0(SALU_CYCLE_1)
	s_and_b32 s12, s12, exec_lo
                                        ; implicit-def: $vgpr7
	s_or_saveexec_b32 s13, s13
	v_mov_b32_e32 v5, 0x7f800001
	s_xor_b32 exec_lo, exec_lo, s13
	s_cbranch_execz .LBB261_773
.LBB261_784:
	v_cmp_ne_u16_e32 vcc_lo, 0, v7
	v_mov_b32_e32 v5, 0
	s_and_not1_b32 s12, s12, exec_lo
	s_and_b32 s14, vcc_lo, exec_lo
	s_delay_alu instid0(SALU_CYCLE_1)
	s_or_b32 s12, s12, s14
	s_or_b32 exec_lo, exec_lo, s13
	s_and_saveexec_b32 s13, s12
	s_cbranch_execnz .LBB261_774
	s_branch .LBB261_775
.LBB261_785:
	s_mov_b32 s14, 0
	s_mov_b32 s12, 0x7f800001
	s_cbranch_execz .LBB261_787
; %bb.786:
	s_and_b32 s12, 0xffff, s13
	s_delay_alu instid0(SALU_CYCLE_1)
	s_cmp_lg_u32 s12, 0
	s_mov_b32 s12, 0
	s_cselect_b32 s14, -1, 0
.LBB261_787:
	s_delay_alu instid0(SALU_CYCLE_1)
	s_and_not1_b32 vcc_lo, exec_lo, s14
	s_cbranch_vccnz .LBB261_789
; %bb.788:
	s_and_b32 s12, s5, 3
	s_bfe_u32 s16, s5, 0x50002
	s_clz_i32_u32 s13, s12
	s_lshl_b32 s14, s5, 24
	s_min_u32 s13, s13, 32
	s_delay_alu instid0(SALU_CYCLE_1) | instskip(SKIP_2) | instid1(SALU_CYCLE_1)
	s_sub_co_i32 s15, s13, 29
	s_sub_co_i32 s13, 30, s13
	s_lshl_b32 s15, s5, s15
	s_and_b32 s15, s15, 3
	s_cmp_eq_u32 s16, 0
	s_cselect_b32 s13, s13, s16
	s_cselect_b32 s12, s15, s12
	s_lshl_b32 s13, s13, 23
	s_and_b32 s14, s14, 0x80000000
	s_add_co_i32 s13, s13, 0x37800000
	s_lshl_b32 s12, s12, 21
	s_or_b32 s13, s14, s13
	s_delay_alu instid0(SALU_CYCLE_1)
	s_or_b32 s12, s13, s12
.LBB261_789:
	s_wait_loadcnt 0x0
	s_wait_xcnt 0x5
	v_and_b32_e32 v5, 0xff, v1
	s_mov_b32 s13, 0
	s_mov_b32 s14, exec_lo
	s_wait_xcnt 0x0
	s_delay_alu instid0(VALU_DEP_1)
	v_cmpx_lt_i16_e32 0x7f, v5
	s_xor_b32 s14, exec_lo, s14
	s_cbranch_execnz .LBB261_799
; %bb.790:
	s_or_saveexec_b32 s14, s14
	v_mov_b32_e32 v3, 0x7f800001
	s_xor_b32 exec_lo, exec_lo, s14
	s_cbranch_execnz .LBB261_802
.LBB261_791:
	s_or_b32 exec_lo, exec_lo, s14
	s_and_saveexec_b32 s14, s13
	s_cbranch_execz .LBB261_793
.LBB261_792:
	v_and_b32_e32 v3, 3, v1
	v_lshrrev_b16 v7, 2, v1
	s_delay_alu instid0(VALU_DEP_2) | instskip(NEXT) | instid1(VALU_DEP_1)
	v_clz_i32_u32_e32 v5, v3
	v_min_u32_e32 v5, 32, v5
	s_delay_alu instid0(VALU_DEP_3) | instskip(NEXT) | instid1(VALU_DEP_2)
	v_and_b32_e32 v7, 31, v7
	v_subrev_nc_u32_e32 v9, 29, v5
	v_sub_nc_u32_e32 v5, 30, v5
	s_delay_alu instid0(VALU_DEP_3) | instskip(NEXT) | instid1(VALU_DEP_3)
	v_cmp_eq_u32_e32 vcc_lo, 0, v7
	v_dual_lshlrev_b32 v9, v9, v1 :: v_dual_lshlrev_b32 v1, 24, v1
	s_delay_alu instid0(VALU_DEP_3) | instskip(NEXT) | instid1(VALU_DEP_2)
	v_cndmask_b32_e32 v5, v7, v5, vcc_lo
	v_and_b32_e32 v9, 3, v9
	s_delay_alu instid0(VALU_DEP_3) | instskip(NEXT) | instid1(VALU_DEP_3)
	v_and_b32_e32 v1, 0x80000000, v1
	v_lshl_add_u32 v5, v5, 23, 0x37800000
	s_delay_alu instid0(VALU_DEP_3) | instskip(NEXT) | instid1(VALU_DEP_1)
	v_cndmask_b32_e32 v3, v3, v9, vcc_lo
	v_lshlrev_b32_e32 v3, 21, v3
	s_delay_alu instid0(VALU_DEP_1)
	v_or3_b32 v3, v1, v5, v3
.LBB261_793:
	s_or_b32 exec_lo, exec_lo, s14
	s_delay_alu instid0(VALU_DEP_1)
	v_cmp_eq_f32_e64 s12, s12, v3
	global_load_u8 v1, v15, s[2:3]
	s_and_b32 vcc_lo, exec_lo, s6
	s_cbranch_vccnz .LBB261_656
.LBB261_794:
	s_wait_xcnt 0x0
                                        ; implicit-def: $sgpr2
	s_cbranch_execz .LBB261_812
; %bb.795:
	s_and_b32 s3, s5, 0xff
	s_delay_alu instid0(SALU_CYCLE_1)
	s_cmp_lt_i32 s3, 0x80
	s_cbranch_scc1 .LBB261_803
; %bb.796:
	s_and_b32 s2, 0xffff, s3
	s_mov_b32 s6, -1
	s_cmp_eq_u32 s2, 0x80
	s_cbranch_scc0 .LBB261_798
; %bb.797:
	s_mov_b32 s6, 0
.LBB261_798:
	s_mov_b32 s2, 0x7f800001
	s_branch .LBB261_805
.LBB261_799:
	s_mov_b32 s13, -1
	s_mov_b32 s15, exec_lo
	v_cmpx_eq_u16_e32 0x80, v5
; %bb.800:
	s_xor_b32 s13, exec_lo, -1
; %bb.801:
	s_or_b32 exec_lo, exec_lo, s15
	s_delay_alu instid0(SALU_CYCLE_1)
	s_and_b32 s13, s13, exec_lo
                                        ; implicit-def: $vgpr5
	s_or_saveexec_b32 s14, s14
	v_mov_b32_e32 v3, 0x7f800001
	s_xor_b32 exec_lo, exec_lo, s14
	s_cbranch_execz .LBB261_791
.LBB261_802:
	v_cmp_ne_u16_e32 vcc_lo, 0, v5
	v_mov_b32_e32 v3, 0
	s_and_not1_b32 s13, s13, exec_lo
	s_and_b32 s15, vcc_lo, exec_lo
	s_delay_alu instid0(SALU_CYCLE_1)
	s_or_b32 s13, s13, s15
	s_or_b32 exec_lo, exec_lo, s14
	s_and_saveexec_b32 s14, s13
	s_cbranch_execnz .LBB261_792
	s_branch .LBB261_793
.LBB261_803:
	s_mov_b32 s6, 0
	s_mov_b32 s2, 0x7f800001
	s_cbranch_execz .LBB261_805
; %bb.804:
	s_and_b32 s2, 0xffff, s3
	s_delay_alu instid0(SALU_CYCLE_1)
	s_cmp_lg_u32 s2, 0
	s_mov_b32 s2, 0
	s_cselect_b32 s6, -1, 0
.LBB261_805:
	s_delay_alu instid0(SALU_CYCLE_1)
	s_and_not1_b32 vcc_lo, exec_lo, s6
	s_cbranch_vccnz .LBB261_807
; %bb.806:
	s_and_b32 s2, s5, 3
	s_lshl_b32 s6, s5, 24
	s_clz_i32_u32 s3, s2
	s_bfe_u32 s14, s5, 0x50002
	s_min_u32 s3, s3, 32
	s_delay_alu instid0(SALU_CYCLE_1) | instskip(SKIP_2) | instid1(SALU_CYCLE_1)
	s_sub_co_i32 s13, s3, 29
	s_sub_co_i32 s3, 30, s3
	s_lshl_b32 s5, s5, s13
	s_and_b32 s5, s5, 3
	s_cmp_eq_u32 s14, 0
	s_cselect_b32 s3, s3, s14
	s_cselect_b32 s2, s5, s2
	s_lshl_b32 s3, s3, 23
	s_and_b32 s5, s6, 0x80000000
	s_add_co_i32 s3, s3, 0x37800000
	s_lshl_b32 s2, s2, 21
	s_or_b32 s3, s5, s3
	s_delay_alu instid0(SALU_CYCLE_1)
	s_or_b32 s2, s3, s2
.LBB261_807:
	s_wait_loadcnt 0x0
	v_and_b32_e32 v5, 0xff, v1
	s_mov_b32 s3, 0
	s_mov_b32 s5, exec_lo
	s_delay_alu instid0(VALU_DEP_1)
	v_cmpx_lt_i16_e32 0x7f, v5
	s_xor_b32 s5, exec_lo, s5
	s_cbranch_execnz .LBB261_813
; %bb.808:
	s_or_saveexec_b32 s5, s5
	v_mov_b32_e32 v3, 0x7f800001
	s_xor_b32 exec_lo, exec_lo, s5
	s_cbranch_execnz .LBB261_816
.LBB261_809:
	s_or_b32 exec_lo, exec_lo, s5
	s_and_saveexec_b32 s5, s3
	s_cbranch_execz .LBB261_811
.LBB261_810:
	v_and_b32_e32 v3, 3, v1
	v_lshrrev_b16 v7, 2, v1
	s_delay_alu instid0(VALU_DEP_2) | instskip(NEXT) | instid1(VALU_DEP_1)
	v_clz_i32_u32_e32 v5, v3
	v_min_u32_e32 v5, 32, v5
	s_delay_alu instid0(VALU_DEP_3) | instskip(NEXT) | instid1(VALU_DEP_2)
	v_and_b32_e32 v7, 31, v7
	v_subrev_nc_u32_e32 v9, 29, v5
	v_sub_nc_u32_e32 v5, 30, v5
	s_delay_alu instid0(VALU_DEP_3) | instskip(NEXT) | instid1(VALU_DEP_3)
	v_cmp_eq_u32_e32 vcc_lo, 0, v7
	v_dual_lshlrev_b32 v9, v9, v1 :: v_dual_lshlrev_b32 v1, 24, v1
	s_delay_alu instid0(VALU_DEP_3) | instskip(NEXT) | instid1(VALU_DEP_2)
	v_cndmask_b32_e32 v5, v7, v5, vcc_lo
	v_and_b32_e32 v9, 3, v9
	s_delay_alu instid0(VALU_DEP_3) | instskip(NEXT) | instid1(VALU_DEP_3)
	v_and_b32_e32 v1, 0x80000000, v1
	v_lshl_add_u32 v5, v5, 23, 0x37800000
	s_delay_alu instid0(VALU_DEP_3) | instskip(NEXT) | instid1(VALU_DEP_1)
	v_cndmask_b32_e32 v3, v3, v9, vcc_lo
	v_lshlrev_b32_e32 v3, 21, v3
	s_delay_alu instid0(VALU_DEP_1)
	v_or3_b32 v3, v1, v5, v3
.LBB261_811:
	s_or_b32 exec_lo, exec_lo, s5
	s_delay_alu instid0(VALU_DEP_1)
	v_cmp_eq_f32_e64 s2, s2, v3
.LBB261_812:
	v_cndmask_b32_e64 v7, 0, 1, s4
	v_cndmask_b32_e64 v9, 0, 1, s7
	;; [unrolled: 1-line block ×5, first 2 shown]
	s_wait_loadcnt 0x0
	v_cndmask_b32_e64 v1, 0, 1, s12
	v_cndmask_b32_e64 v3, 0, 1, s11
	;; [unrolled: 1-line block ×3, first 2 shown]
	s_clause 0x7
	global_store_b8 v2, v7, s[0:1]
	global_store_b8 v4, v9, s[0:1]
	;; [unrolled: 1-line block ×8, first 2 shown]
	s_endpgm
.LBB261_813:
	s_mov_b32 s3, -1
	s_mov_b32 s6, exec_lo
	v_cmpx_eq_u16_e32 0x80, v5
; %bb.814:
	s_xor_b32 s3, exec_lo, -1
; %bb.815:
	s_or_b32 exec_lo, exec_lo, s6
	s_delay_alu instid0(SALU_CYCLE_1)
	s_and_b32 s3, s3, exec_lo
                                        ; implicit-def: $vgpr5
	s_or_saveexec_b32 s5, s5
	v_mov_b32_e32 v3, 0x7f800001
	s_xor_b32 exec_lo, exec_lo, s5
	s_cbranch_execz .LBB261_809
.LBB261_816:
	v_cmp_ne_u16_e32 vcc_lo, 0, v5
	v_mov_b32_e32 v3, 0
	s_and_not1_b32 s3, s3, exec_lo
	s_and_b32 s6, vcc_lo, exec_lo
	s_delay_alu instid0(SALU_CYCLE_1)
	s_or_b32 s3, s3, s6
	s_or_b32 exec_lo, exec_lo, s5
	s_and_saveexec_b32 s5, s3
	s_cbranch_execnz .LBB261_810
	s_branch .LBB261_811
.LBB261_817:
	s_mov_b32 s3, -1
	s_mov_b32 s5, exec_lo
	v_cmpx_eq_u16_e32 0x80, v3
; %bb.818:
	s_xor_b32 s3, exec_lo, -1
; %bb.819:
	s_or_b32 exec_lo, exec_lo, s5
	s_delay_alu instid0(SALU_CYCLE_1)
	s_and_b32 s3, s3, exec_lo
                                        ; implicit-def: $vgpr3
	s_or_saveexec_b32 s4, s4
	v_mov_b32_e32 v1, 0x7f800001
	s_xor_b32 exec_lo, exec_lo, s4
	s_cbranch_execz .LBB261_409
.LBB261_820:
	v_cmp_ne_u16_e32 vcc_lo, 0, v3
	v_mov_b32_e32 v1, 0
	s_and_not1_b32 s3, s3, exec_lo
	s_and_b32 s5, vcc_lo, exec_lo
	s_delay_alu instid0(SALU_CYCLE_1)
	s_or_b32 s3, s3, s5
	s_or_b32 exec_lo, exec_lo, s4
	s_and_saveexec_b32 s4, s3
	s_cbranch_execnz .LBB261_410
	s_branch .LBB261_411
	.section	.rodata,"a",@progbits
	.p2align	6, 0x0
	.amdhsa_kernel _ZN2at6native32elementwise_kernel_manual_unrollILi128ELi8EZNS0_22gpu_kernel_impl_nocastINS0_13AUnaryFunctorIN3c1015Float8_e5m2fnuzES5_bNS0_12_GLOBAL__N_116CompareEqFunctorIS5_EEEEEEvRNS_18TensorIteratorBaseERKT_EUlibE_EEviT1_
		.amdhsa_group_segment_fixed_size 0
		.amdhsa_private_segment_fixed_size 0
		.amdhsa_kernarg_size 360
		.amdhsa_user_sgpr_count 2
		.amdhsa_user_sgpr_dispatch_ptr 0
		.amdhsa_user_sgpr_queue_ptr 0
		.amdhsa_user_sgpr_kernarg_segment_ptr 1
		.amdhsa_user_sgpr_dispatch_id 0
		.amdhsa_user_sgpr_kernarg_preload_length 0
		.amdhsa_user_sgpr_kernarg_preload_offset 0
		.amdhsa_user_sgpr_private_segment_size 0
		.amdhsa_wavefront_size32 1
		.amdhsa_uses_dynamic_stack 0
		.amdhsa_enable_private_segment 0
		.amdhsa_system_sgpr_workgroup_id_x 1
		.amdhsa_system_sgpr_workgroup_id_y 0
		.amdhsa_system_sgpr_workgroup_id_z 0
		.amdhsa_system_sgpr_workgroup_info 0
		.amdhsa_system_vgpr_workitem_id 0
		.amdhsa_next_free_vgpr 23
		.amdhsa_next_free_sgpr 60
		.amdhsa_named_barrier_count 0
		.amdhsa_reserve_vcc 1
		.amdhsa_float_round_mode_32 0
		.amdhsa_float_round_mode_16_64 0
		.amdhsa_float_denorm_mode_32 3
		.amdhsa_float_denorm_mode_16_64 3
		.amdhsa_fp16_overflow 0
		.amdhsa_memory_ordered 1
		.amdhsa_forward_progress 1
		.amdhsa_inst_pref_size 218
		.amdhsa_round_robin_scheduling 0
		.amdhsa_exception_fp_ieee_invalid_op 0
		.amdhsa_exception_fp_denorm_src 0
		.amdhsa_exception_fp_ieee_div_zero 0
		.amdhsa_exception_fp_ieee_overflow 0
		.amdhsa_exception_fp_ieee_underflow 0
		.amdhsa_exception_fp_ieee_inexact 0
		.amdhsa_exception_int_div_zero 0
	.end_amdhsa_kernel
	.section	.text._ZN2at6native32elementwise_kernel_manual_unrollILi128ELi8EZNS0_22gpu_kernel_impl_nocastINS0_13AUnaryFunctorIN3c1015Float8_e5m2fnuzES5_bNS0_12_GLOBAL__N_116CompareEqFunctorIS5_EEEEEEvRNS_18TensorIteratorBaseERKT_EUlibE_EEviT1_,"axG",@progbits,_ZN2at6native32elementwise_kernel_manual_unrollILi128ELi8EZNS0_22gpu_kernel_impl_nocastINS0_13AUnaryFunctorIN3c1015Float8_e5m2fnuzES5_bNS0_12_GLOBAL__N_116CompareEqFunctorIS5_EEEEEEvRNS_18TensorIteratorBaseERKT_EUlibE_EEviT1_,comdat
.Lfunc_end261:
	.size	_ZN2at6native32elementwise_kernel_manual_unrollILi128ELi8EZNS0_22gpu_kernel_impl_nocastINS0_13AUnaryFunctorIN3c1015Float8_e5m2fnuzES5_bNS0_12_GLOBAL__N_116CompareEqFunctorIS5_EEEEEEvRNS_18TensorIteratorBaseERKT_EUlibE_EEviT1_, .Lfunc_end261-_ZN2at6native32elementwise_kernel_manual_unrollILi128ELi8EZNS0_22gpu_kernel_impl_nocastINS0_13AUnaryFunctorIN3c1015Float8_e5m2fnuzES5_bNS0_12_GLOBAL__N_116CompareEqFunctorIS5_EEEEEEvRNS_18TensorIteratorBaseERKT_EUlibE_EEviT1_
                                        ; -- End function
	.set _ZN2at6native32elementwise_kernel_manual_unrollILi128ELi8EZNS0_22gpu_kernel_impl_nocastINS0_13AUnaryFunctorIN3c1015Float8_e5m2fnuzES5_bNS0_12_GLOBAL__N_116CompareEqFunctorIS5_EEEEEEvRNS_18TensorIteratorBaseERKT_EUlibE_EEviT1_.num_vgpr, 23
	.set _ZN2at6native32elementwise_kernel_manual_unrollILi128ELi8EZNS0_22gpu_kernel_impl_nocastINS0_13AUnaryFunctorIN3c1015Float8_e5m2fnuzES5_bNS0_12_GLOBAL__N_116CompareEqFunctorIS5_EEEEEEvRNS_18TensorIteratorBaseERKT_EUlibE_EEviT1_.num_agpr, 0
	.set _ZN2at6native32elementwise_kernel_manual_unrollILi128ELi8EZNS0_22gpu_kernel_impl_nocastINS0_13AUnaryFunctorIN3c1015Float8_e5m2fnuzES5_bNS0_12_GLOBAL__N_116CompareEqFunctorIS5_EEEEEEvRNS_18TensorIteratorBaseERKT_EUlibE_EEviT1_.numbered_sgpr, 60
	.set _ZN2at6native32elementwise_kernel_manual_unrollILi128ELi8EZNS0_22gpu_kernel_impl_nocastINS0_13AUnaryFunctorIN3c1015Float8_e5m2fnuzES5_bNS0_12_GLOBAL__N_116CompareEqFunctorIS5_EEEEEEvRNS_18TensorIteratorBaseERKT_EUlibE_EEviT1_.num_named_barrier, 0
	.set _ZN2at6native32elementwise_kernel_manual_unrollILi128ELi8EZNS0_22gpu_kernel_impl_nocastINS0_13AUnaryFunctorIN3c1015Float8_e5m2fnuzES5_bNS0_12_GLOBAL__N_116CompareEqFunctorIS5_EEEEEEvRNS_18TensorIteratorBaseERKT_EUlibE_EEviT1_.private_seg_size, 0
	.set _ZN2at6native32elementwise_kernel_manual_unrollILi128ELi8EZNS0_22gpu_kernel_impl_nocastINS0_13AUnaryFunctorIN3c1015Float8_e5m2fnuzES5_bNS0_12_GLOBAL__N_116CompareEqFunctorIS5_EEEEEEvRNS_18TensorIteratorBaseERKT_EUlibE_EEviT1_.uses_vcc, 1
	.set _ZN2at6native32elementwise_kernel_manual_unrollILi128ELi8EZNS0_22gpu_kernel_impl_nocastINS0_13AUnaryFunctorIN3c1015Float8_e5m2fnuzES5_bNS0_12_GLOBAL__N_116CompareEqFunctorIS5_EEEEEEvRNS_18TensorIteratorBaseERKT_EUlibE_EEviT1_.uses_flat_scratch, 0
	.set _ZN2at6native32elementwise_kernel_manual_unrollILi128ELi8EZNS0_22gpu_kernel_impl_nocastINS0_13AUnaryFunctorIN3c1015Float8_e5m2fnuzES5_bNS0_12_GLOBAL__N_116CompareEqFunctorIS5_EEEEEEvRNS_18TensorIteratorBaseERKT_EUlibE_EEviT1_.has_dyn_sized_stack, 0
	.set _ZN2at6native32elementwise_kernel_manual_unrollILi128ELi8EZNS0_22gpu_kernel_impl_nocastINS0_13AUnaryFunctorIN3c1015Float8_e5m2fnuzES5_bNS0_12_GLOBAL__N_116CompareEqFunctorIS5_EEEEEEvRNS_18TensorIteratorBaseERKT_EUlibE_EEviT1_.has_recursion, 0
	.set _ZN2at6native32elementwise_kernel_manual_unrollILi128ELi8EZNS0_22gpu_kernel_impl_nocastINS0_13AUnaryFunctorIN3c1015Float8_e5m2fnuzES5_bNS0_12_GLOBAL__N_116CompareEqFunctorIS5_EEEEEEvRNS_18TensorIteratorBaseERKT_EUlibE_EEviT1_.has_indirect_call, 0
	.section	.AMDGPU.csdata,"",@progbits
; Kernel info:
; codeLenInByte = 27884
; TotalNumSgprs: 62
; NumVgprs: 23
; ScratchSize: 0
; MemoryBound: 0
; FloatMode: 240
; IeeeMode: 1
; LDSByteSize: 0 bytes/workgroup (compile time only)
; SGPRBlocks: 0
; VGPRBlocks: 1
; NumSGPRsForWavesPerEU: 62
; NumVGPRsForWavesPerEU: 23
; NamedBarCnt: 0
; Occupancy: 16
; WaveLimiterHint : 1
; COMPUTE_PGM_RSRC2:SCRATCH_EN: 0
; COMPUTE_PGM_RSRC2:USER_SGPR: 2
; COMPUTE_PGM_RSRC2:TRAP_HANDLER: 0
; COMPUTE_PGM_RSRC2:TGID_X_EN: 1
; COMPUTE_PGM_RSRC2:TGID_Y_EN: 0
; COMPUTE_PGM_RSRC2:TGID_Z_EN: 0
; COMPUTE_PGM_RSRC2:TIDIG_COMP_CNT: 0
	.text
	.p2align	2                               ; -- Begin function _ZN2at6native6invokeINS0_13AUnaryFunctorIN3c1015Float8_e5m2fnuzES4_bNS0_12_GLOBAL__N_116CompareEqFunctorIS4_EEEEi15function_traitsIS8_EEENT1_11result_typeERKT_PrKPcPKT0_PKNS3_10ScalarTypeEi
	.type	_ZN2at6native6invokeINS0_13AUnaryFunctorIN3c1015Float8_e5m2fnuzES4_bNS0_12_GLOBAL__N_116CompareEqFunctorIS4_EEEEi15function_traitsIS8_EEENT1_11result_typeERKT_PrKPcPKT0_PKNS3_10ScalarTypeEi,@function
_ZN2at6native6invokeINS0_13AUnaryFunctorIN3c1015Float8_e5m2fnuzES4_bNS0_12_GLOBAL__N_116CompareEqFunctorIS4_EEEEi15function_traitsIS8_EEENT1_11result_typeERKT_PrKPcPKT0_PKNS3_10ScalarTypeEi: ; @_ZN2at6native6invokeINS0_13AUnaryFunctorIN3c1015Float8_e5m2fnuzES4_bNS0_12_GLOBAL__N_116CompareEqFunctorIS4_EEEEi15function_traitsIS8_EEENT1_11result_typeERKT_PrKPcPKT0_PKNS3_10ScalarTypeEi
; %bb.0:
	s_wait_loadcnt_dscnt 0x0
	s_wait_kmcnt 0x0
	v_mul_lo_u32 v6, v6, v4
	v_and_b32_e32 v5, 0xff, v5
	s_mov_b32 s1, 0
	s_mov_b32 s0, exec_lo
                                        ; implicit-def: $vgpr4
	s_delay_alu instid0(VALU_DEP_2) | instskip(NEXT) | instid1(VALU_DEP_1)
	v_ashrrev_i32_e32 v7, 31, v6
	v_add_nc_u64_e32 v[2:3], v[2:3], v[6:7]
	v_cmpx_lt_i16_e32 10, v5
	s_xor_b32 s0, exec_lo, s0
	s_cbranch_execnz .LBB262_4
; %bb.1:
	s_and_not1_saveexec_b32 s0, s0
	s_cbranch_execnz .LBB262_16
.LBB262_2:
	s_or_b32 exec_lo, exec_lo, s0
                                        ; implicit-def: $sgpr2
	s_and_saveexec_b32 s0, s1
	s_cbranch_execnz .LBB262_123
.LBB262_3:
	s_or_b32 exec_lo, exec_lo, s0
	s_delay_alu instid0(VALU_DEP_1)
	v_cndmask_b32_e64 v0, 0, 1, s2
	s_wait_loadcnt_dscnt 0x0
	s_set_pc_i64 s[30:31]
.LBB262_4:
	s_mov_b32 s4, 0
	s_mov_b32 s3, 0
	s_mov_b32 s2, exec_lo
                                        ; implicit-def: $vgpr4
	v_cmpx_lt_i16_e32 25, v5
	s_xor_b32 s2, exec_lo, s2
	s_cbranch_execnz .LBB262_143
; %bb.5:
	s_and_not1_saveexec_b32 s2, s2
	s_cbranch_execnz .LBB262_210
.LBB262_6:
	s_or_b32 exec_lo, exec_lo, s2
	s_and_saveexec_b32 s2, s4
	s_cbranch_execnz .LBB262_247
.LBB262_7:
	s_or_b32 exec_lo, exec_lo, s2
	s_and_saveexec_b32 s2, s1
	s_delay_alu instid0(SALU_CYCLE_1)
	s_xor_b32 s1, exec_lo, s2
	s_cbranch_execz .LBB262_15
.LBB262_8:
	flat_load_u8 v2, v[2:3]
	s_wait_loadcnt_dscnt 0x101
	v_mov_b32_e32 v4, 0x80
	s_mov_b32 s4, 0
	s_mov_b32 s2, exec_lo
	s_wait_loadcnt_dscnt 0x0
	v_cmp_ne_u16_e32 vcc_lo, 0, v2
	s_wait_xcnt 0x0
	v_cndmask_b32_e64 v3, 0, 1.0, vcc_lo
	s_delay_alu instid0(VALU_DEP_1)
	v_cmpx_gt_u32_e32 0x47800000, v3
	s_cbranch_execz .LBB262_14
; %bb.9:
	s_mov_b32 s5, exec_lo
                                        ; implicit-def: $vgpr2
	v_cmpx_lt_u32_e32 0x37ffffff, v3
	s_xor_b32 s5, exec_lo, s5
	s_cbranch_execnz .LBB262_264
; %bb.10:
	s_and_not1_saveexec_b32 s5, s5
	s_cbranch_execnz .LBB262_265
.LBB262_11:
	s_or_b32 exec_lo, exec_lo, s5
	v_mov_b32_e32 v4, 0
	s_and_saveexec_b32 s5, s4
.LBB262_12:
	v_mov_b32_e32 v4, v2
.LBB262_13:
	s_or_b32 exec_lo, exec_lo, s5
.LBB262_14:
	s_delay_alu instid0(SALU_CYCLE_1) | instskip(NEXT) | instid1(SALU_CYCLE_1)
	s_or_b32 exec_lo, exec_lo, s2
	s_or_b32 s3, s3, exec_lo
.LBB262_15:
	s_or_b32 exec_lo, exec_lo, s1
	s_delay_alu instid0(SALU_CYCLE_1)
	s_and_b32 s1, s3, exec_lo
                                        ; implicit-def: $vgpr5
                                        ; implicit-def: $vgpr2_vgpr3
	s_and_not1_saveexec_b32 s0, s0
	s_cbranch_execz .LBB262_2
.LBB262_16:
	s_mov_b32 s2, exec_lo
                                        ; implicit-def: $vgpr4
	v_cmpx_lt_i16_e32 4, v5
	s_xor_b32 s2, exec_lo, s2
	s_cbranch_execz .LBB262_74
; %bb.17:
	s_mov_b32 s3, exec_lo
                                        ; implicit-def: $vgpr4
	v_cmpx_lt_i16_e32 7, v5
	s_xor_b32 s3, exec_lo, s3
	s_cbranch_execz .LBB262_45
; %bb.18:
	;; [unrolled: 6-line block ×4, first 2 shown]
	flat_load_b64 v[2:3], v[2:3]
	s_wait_loadcnt_dscnt 0x101
	v_mov_b32_e32 v4, 0x80
	s_mov_b32 s6, exec_lo
	s_wait_loadcnt_dscnt 0x0
	v_cvt_f32_f64_e32 v2, v[2:3]
	s_delay_alu instid0(VALU_DEP_1) | instskip(NEXT) | instid1(VALU_DEP_1)
	v_and_b32_e32 v3, 0x7fffffff, v2
	v_cmpx_gt_u32_e32 0x47800000, v3
	s_cbranch_execz .LBB262_26
; %bb.21:
	v_cmp_lt_u32_e32 vcc_lo, 0x37ffffff, v3
	s_mov_b32 s7, 0
                                        ; implicit-def: $vgpr3
	s_and_saveexec_b32 s8, vcc_lo
	s_delay_alu instid0(SALU_CYCLE_1)
	s_xor_b32 s8, exec_lo, s8
	s_cbranch_execnz .LBB262_284
; %bb.22:
	s_and_not1_saveexec_b32 s8, s8
	s_cbranch_execnz .LBB262_285
.LBB262_23:
	s_or_b32 exec_lo, exec_lo, s8
	v_mov_b32_e32 v4, 0
	s_and_saveexec_b32 s8, s7
.LBB262_24:
	v_lshrrev_b32_e32 v2, 24, v2
	s_delay_alu instid0(VALU_DEP_1)
	v_and_or_b32 v4, 0x80, v2, v3
.LBB262_25:
	s_or_b32 exec_lo, exec_lo, s8
.LBB262_26:
	s_delay_alu instid0(SALU_CYCLE_1)
	s_or_b32 exec_lo, exec_lo, s6
                                        ; implicit-def: $vgpr2_vgpr3
.LBB262_27:
	s_and_not1_saveexec_b32 s5, s5
	s_cbranch_execz .LBB262_35
; %bb.28:
	flat_load_b32 v2, v[2:3]
	s_wait_loadcnt_dscnt 0x101
	v_mov_b32_e32 v4, 0x80
	s_mov_b32 s6, exec_lo
	s_wait_loadcnt_dscnt 0x0
	v_and_b32_e32 v3, 0x7fffffff, v2
	s_delay_alu instid0(VALU_DEP_1)
	v_cmpx_gt_u32_e32 0x47800000, v3
	s_cbranch_execz .LBB262_34
; %bb.29:
	v_cmp_lt_u32_e32 vcc_lo, 0x37ffffff, v3
	s_mov_b32 s7, 0
                                        ; implicit-def: $vgpr3
	s_and_saveexec_b32 s8, vcc_lo
	s_delay_alu instid0(SALU_CYCLE_1)
	s_xor_b32 s8, exec_lo, s8
	s_cbranch_execnz .LBB262_286
; %bb.30:
	s_and_not1_saveexec_b32 s8, s8
	s_cbranch_execnz .LBB262_287
.LBB262_31:
	s_or_b32 exec_lo, exec_lo, s8
	v_mov_b32_e32 v4, 0
	s_and_saveexec_b32 s8, s7
.LBB262_32:
	v_lshrrev_b32_e32 v2, 24, v2
	s_delay_alu instid0(VALU_DEP_1)
	v_and_or_b32 v4, 0x80, v2, v3
.LBB262_33:
	s_or_b32 exec_lo, exec_lo, s8
.LBB262_34:
	s_delay_alu instid0(SALU_CYCLE_1)
	s_or_b32 exec_lo, exec_lo, s6
.LBB262_35:
	s_delay_alu instid0(SALU_CYCLE_1)
	s_or_b32 exec_lo, exec_lo, s5
                                        ; implicit-def: $vgpr2_vgpr3
.LBB262_36:
	s_and_not1_saveexec_b32 s4, s4
	s_cbranch_execz .LBB262_44
; %bb.37:
	flat_load_b32 v2, v[2:3]
	s_wait_loadcnt_dscnt 0x101
	v_mov_b32_e32 v4, 0x80
	s_mov_b32 s5, exec_lo
	s_wait_loadcnt_dscnt 0x0
	v_cvt_f32_f16_e32 v2, v2
	s_delay_alu instid0(VALU_DEP_1) | instskip(NEXT) | instid1(VALU_DEP_1)
	v_and_b32_e32 v3, 0x7fffffff, v2
	v_cmpx_gt_u32_e32 0x47800000, v3
	s_cbranch_execz .LBB262_43
; %bb.38:
	v_cmp_lt_u32_e32 vcc_lo, 0x37ffffff, v3
	s_mov_b32 s6, 0
                                        ; implicit-def: $vgpr3
	s_and_saveexec_b32 s7, vcc_lo
	s_delay_alu instid0(SALU_CYCLE_1)
	s_xor_b32 s7, exec_lo, s7
	s_cbranch_execnz .LBB262_270
; %bb.39:
	s_and_not1_saveexec_b32 s7, s7
	s_cbranch_execnz .LBB262_271
.LBB262_40:
	s_or_b32 exec_lo, exec_lo, s7
	v_mov_b32_e32 v4, 0
	s_and_saveexec_b32 s7, s6
.LBB262_41:
	v_lshrrev_b32_e32 v2, 24, v2
	s_delay_alu instid0(VALU_DEP_1)
	v_and_or_b32 v4, 0x80, v2, v3
.LBB262_42:
	s_or_b32 exec_lo, exec_lo, s7
.LBB262_43:
	s_delay_alu instid0(SALU_CYCLE_1)
	s_or_b32 exec_lo, exec_lo, s5
.LBB262_44:
	s_delay_alu instid0(SALU_CYCLE_1)
	s_or_b32 exec_lo, exec_lo, s4
                                        ; implicit-def: $vgpr5
                                        ; implicit-def: $vgpr2_vgpr3
.LBB262_45:
	s_and_not1_saveexec_b32 s3, s3
	s_cbranch_execz .LBB262_73
; %bb.46:
	s_mov_b32 s4, exec_lo
                                        ; implicit-def: $vgpr4
	v_cmpx_lt_i16_e32 5, v5
	s_xor_b32 s4, exec_lo, s4
	s_cbranch_execz .LBB262_64
; %bb.47:
	s_mov_b32 s5, exec_lo
                                        ; implicit-def: $vgpr4
	v_cmpx_lt_i16_e32 6, v5
	s_xor_b32 s5, exec_lo, s5
	s_cbranch_execz .LBB262_55
; %bb.48:
	flat_load_b64 v[2:3], v[2:3]
	s_wait_loadcnt_dscnt 0x101
	v_mov_b32_e32 v4, 0x80
	s_mov_b32 s6, exec_lo
	s_wait_loadcnt_dscnt 0x0
	v_cvt_f32_f64_e32 v2, v[2:3]
	s_delay_alu instid0(VALU_DEP_1) | instskip(NEXT) | instid1(VALU_DEP_1)
	v_and_b32_e32 v3, 0x7fffffff, v2
	v_cmpx_gt_u32_e32 0x47800000, v3
	s_cbranch_execz .LBB262_54
; %bb.49:
	v_cmp_lt_u32_e32 vcc_lo, 0x37ffffff, v3
	s_mov_b32 s7, 0
                                        ; implicit-def: $vgpr3
	s_and_saveexec_b32 s8, vcc_lo
	s_delay_alu instid0(SALU_CYCLE_1)
	s_xor_b32 s8, exec_lo, s8
	s_cbranch_execnz .LBB262_288
; %bb.50:
	s_and_not1_saveexec_b32 s8, s8
	s_cbranch_execnz .LBB262_289
.LBB262_51:
	s_or_b32 exec_lo, exec_lo, s8
	v_mov_b32_e32 v4, 0
	s_and_saveexec_b32 s8, s7
.LBB262_52:
	v_lshrrev_b32_e32 v2, 24, v2
	s_delay_alu instid0(VALU_DEP_1)
	v_and_or_b32 v4, 0x80, v2, v3
.LBB262_53:
	s_or_b32 exec_lo, exec_lo, s8
.LBB262_54:
	s_delay_alu instid0(SALU_CYCLE_1)
	s_or_b32 exec_lo, exec_lo, s6
                                        ; implicit-def: $vgpr2_vgpr3
.LBB262_55:
	s_and_not1_saveexec_b32 s5, s5
	s_cbranch_execz .LBB262_63
; %bb.56:
	flat_load_b32 v2, v[2:3]
	s_wait_loadcnt_dscnt 0x101
	v_mov_b32_e32 v4, 0x80
	s_mov_b32 s6, exec_lo
	s_wait_loadcnt_dscnt 0x0
	v_and_b32_e32 v3, 0x7fffffff, v2
	s_delay_alu instid0(VALU_DEP_1)
	v_cmpx_gt_u32_e32 0x47800000, v3
	s_cbranch_execz .LBB262_62
; %bb.57:
	v_cmp_lt_u32_e32 vcc_lo, 0x37ffffff, v3
	s_mov_b32 s7, 0
                                        ; implicit-def: $vgpr3
	s_and_saveexec_b32 s8, vcc_lo
	s_delay_alu instid0(SALU_CYCLE_1)
	s_xor_b32 s8, exec_lo, s8
	s_cbranch_execnz .LBB262_290
; %bb.58:
	s_and_not1_saveexec_b32 s8, s8
	s_cbranch_execnz .LBB262_291
.LBB262_59:
	s_or_b32 exec_lo, exec_lo, s8
	v_mov_b32_e32 v4, 0
	s_and_saveexec_b32 s8, s7
.LBB262_60:
	v_lshrrev_b32_e32 v2, 24, v2
	s_delay_alu instid0(VALU_DEP_1)
	v_and_or_b32 v4, 0x80, v2, v3
.LBB262_61:
	s_or_b32 exec_lo, exec_lo, s8
.LBB262_62:
	s_delay_alu instid0(SALU_CYCLE_1)
	s_or_b32 exec_lo, exec_lo, s6
.LBB262_63:
	s_delay_alu instid0(SALU_CYCLE_1)
	s_or_b32 exec_lo, exec_lo, s5
                                        ; implicit-def: $vgpr2_vgpr3
.LBB262_64:
	s_and_not1_saveexec_b32 s4, s4
	s_cbranch_execz .LBB262_72
; %bb.65:
	flat_load_u16 v2, v[2:3]
	s_wait_loadcnt_dscnt 0x101
	v_mov_b32_e32 v4, 0x80
	s_mov_b32 s5, exec_lo
	s_wait_loadcnt_dscnt 0x0
	v_cvt_f32_f16_e32 v2, v2
	s_delay_alu instid0(VALU_DEP_1) | instskip(NEXT) | instid1(VALU_DEP_1)
	v_and_b32_e32 v3, 0x7fffffff, v2
	v_cmpx_gt_u32_e32 0x47800000, v3
	s_cbranch_execz .LBB262_71
; %bb.66:
	v_cmp_lt_u32_e32 vcc_lo, 0x37ffffff, v3
	s_mov_b32 s6, 0
                                        ; implicit-def: $vgpr3
	s_and_saveexec_b32 s7, vcc_lo
	s_delay_alu instid0(SALU_CYCLE_1)
	s_xor_b32 s7, exec_lo, s7
	s_cbranch_execnz .LBB262_272
; %bb.67:
	s_and_not1_saveexec_b32 s7, s7
	s_cbranch_execnz .LBB262_273
.LBB262_68:
	s_or_b32 exec_lo, exec_lo, s7
	v_mov_b32_e32 v4, 0
	s_and_saveexec_b32 s7, s6
.LBB262_69:
	v_lshrrev_b32_e32 v2, 24, v2
	s_delay_alu instid0(VALU_DEP_1)
	v_and_or_b32 v4, 0x80, v2, v3
.LBB262_70:
	s_or_b32 exec_lo, exec_lo, s7
.LBB262_71:
	s_delay_alu instid0(SALU_CYCLE_1)
	s_or_b32 exec_lo, exec_lo, s5
.LBB262_72:
	s_delay_alu instid0(SALU_CYCLE_1)
	s_or_b32 exec_lo, exec_lo, s4
.LBB262_73:
	s_delay_alu instid0(SALU_CYCLE_1)
	s_or_b32 exec_lo, exec_lo, s3
                                        ; implicit-def: $vgpr5
                                        ; implicit-def: $vgpr2_vgpr3
.LBB262_74:
	s_and_not1_saveexec_b32 s2, s2
	s_cbranch_execz .LBB262_122
; %bb.75:
	s_mov_b32 s3, exec_lo
                                        ; implicit-def: $vgpr4
	v_cmpx_lt_i16_e32 1, v5
	s_xor_b32 s3, exec_lo, s3
	s_cbranch_execz .LBB262_103
; %bb.76:
	s_mov_b32 s4, exec_lo
                                        ; implicit-def: $vgpr4
	v_cmpx_lt_i16_e32 2, v5
	s_xor_b32 s4, exec_lo, s4
	;; [unrolled: 6-line block ×3, first 2 shown]
	s_cbranch_execz .LBB262_85
; %bb.78:
	flat_load_b64 v[2:3], v[2:3]
	s_mov_b32 s6, exec_lo
	s_wait_loadcnt_dscnt 0x0
	v_xor_b32_e32 v4, v2, v3
	v_cls_i32_e32 v5, v3
	s_delay_alu instid0(VALU_DEP_2) | instskip(NEXT) | instid1(VALU_DEP_1)
	v_ashrrev_i32_e32 v4, 31, v4
	v_add_nc_u32_e32 v4, 32, v4
	s_delay_alu instid0(VALU_DEP_1) | instskip(SKIP_1) | instid1(VALU_DEP_1)
	v_add_min_u32_e64 v4, v5, -1, v4
	s_wait_xcnt 0x0
	v_lshlrev_b64_e32 v[2:3], v4, v[2:3]
	s_delay_alu instid0(VALU_DEP_1) | instskip(NEXT) | instid1(VALU_DEP_1)
	v_min_u32_e32 v2, 1, v2
	v_dual_sub_nc_u32 v3, 32, v4 :: v_dual_bitop2_b32 v2, v3, v2 bitop3:0x54
	v_mov_b32_e32 v4, 0x80
	s_delay_alu instid0(VALU_DEP_2) | instskip(NEXT) | instid1(VALU_DEP_1)
	v_cvt_f32_i32_e32 v2, v2
	v_ldexp_f32 v2, v2, v3
	s_delay_alu instid0(VALU_DEP_1) | instskip(NEXT) | instid1(VALU_DEP_1)
	v_and_b32_e32 v3, 0x7fffffff, v2
	v_cmpx_gt_u32_e32 0x47800000, v3
	s_cbranch_execz .LBB262_84
; %bb.79:
	v_cmp_lt_u32_e32 vcc_lo, 0x37ffffff, v3
	s_mov_b32 s7, 0
                                        ; implicit-def: $vgpr3
	s_and_saveexec_b32 s8, vcc_lo
	s_delay_alu instid0(SALU_CYCLE_1)
	s_xor_b32 s8, exec_lo, s8
	s_cbranch_execnz .LBB262_292
; %bb.80:
	s_and_not1_saveexec_b32 s8, s8
	s_cbranch_execnz .LBB262_293
.LBB262_81:
	s_or_b32 exec_lo, exec_lo, s8
	v_mov_b32_e32 v4, 0
	s_and_saveexec_b32 s8, s7
.LBB262_82:
	v_lshrrev_b32_e32 v2, 24, v2
	s_delay_alu instid0(VALU_DEP_1)
	v_and_or_b32 v4, 0x80, v2, v3
.LBB262_83:
	s_or_b32 exec_lo, exec_lo, s8
.LBB262_84:
	s_delay_alu instid0(SALU_CYCLE_1)
	s_or_b32 exec_lo, exec_lo, s6
                                        ; implicit-def: $vgpr2_vgpr3
.LBB262_85:
	s_and_not1_saveexec_b32 s5, s5
	s_cbranch_execz .LBB262_93
; %bb.86:
	flat_load_b32 v2, v[2:3]
	s_wait_loadcnt_dscnt 0x101
	v_mov_b32_e32 v4, 0x80
	s_mov_b32 s6, exec_lo
	s_wait_loadcnt_dscnt 0x0
	v_cvt_f32_i32_e32 v2, v2
	s_delay_alu instid0(VALU_DEP_1) | instskip(NEXT) | instid1(VALU_DEP_1)
	v_and_b32_e32 v3, 0x7fffffff, v2
	v_cmpx_gt_u32_e32 0x47800000, v3
	s_cbranch_execz .LBB262_92
; %bb.87:
	v_cmp_lt_u32_e32 vcc_lo, 0x37ffffff, v3
	s_mov_b32 s7, 0
                                        ; implicit-def: $vgpr3
	s_and_saveexec_b32 s8, vcc_lo
	s_delay_alu instid0(SALU_CYCLE_1)
	s_xor_b32 s8, exec_lo, s8
	s_cbranch_execnz .LBB262_294
; %bb.88:
	s_and_not1_saveexec_b32 s8, s8
	s_cbranch_execnz .LBB262_295
.LBB262_89:
	s_or_b32 exec_lo, exec_lo, s8
	v_mov_b32_e32 v4, 0
	s_and_saveexec_b32 s8, s7
.LBB262_90:
	v_lshrrev_b32_e32 v2, 24, v2
	s_delay_alu instid0(VALU_DEP_1)
	v_and_or_b32 v4, 0x80, v2, v3
.LBB262_91:
	s_or_b32 exec_lo, exec_lo, s8
.LBB262_92:
	s_delay_alu instid0(SALU_CYCLE_1)
	s_or_b32 exec_lo, exec_lo, s6
.LBB262_93:
	s_delay_alu instid0(SALU_CYCLE_1)
	s_or_b32 exec_lo, exec_lo, s5
                                        ; implicit-def: $vgpr2_vgpr3
.LBB262_94:
	s_and_not1_saveexec_b32 s4, s4
	s_cbranch_execz .LBB262_102
; %bb.95:
	flat_load_i16 v2, v[2:3]
	s_wait_loadcnt_dscnt 0x101
	v_mov_b32_e32 v4, 0x80
	s_mov_b32 s5, exec_lo
	s_wait_loadcnt_dscnt 0x0
	v_cvt_f32_i32_e32 v2, v2
	s_delay_alu instid0(VALU_DEP_1) | instskip(NEXT) | instid1(VALU_DEP_1)
	v_and_b32_e32 v3, 0x7fffffff, v2
	v_cmpx_gt_u32_e32 0x47800000, v3
	s_cbranch_execz .LBB262_101
; %bb.96:
	v_cmp_lt_u32_e32 vcc_lo, 0x37ffffff, v3
	s_mov_b32 s6, 0
                                        ; implicit-def: $vgpr3
	s_and_saveexec_b32 s7, vcc_lo
	s_delay_alu instid0(SALU_CYCLE_1)
	s_xor_b32 s7, exec_lo, s7
	s_cbranch_execnz .LBB262_274
; %bb.97:
	s_and_not1_saveexec_b32 s7, s7
	s_cbranch_execnz .LBB262_275
.LBB262_98:
	s_or_b32 exec_lo, exec_lo, s7
	v_mov_b32_e32 v4, 0
	s_and_saveexec_b32 s7, s6
.LBB262_99:
	v_lshrrev_b32_e32 v2, 24, v2
	s_delay_alu instid0(VALU_DEP_1)
	v_and_or_b32 v4, 0x80, v2, v3
.LBB262_100:
	s_or_b32 exec_lo, exec_lo, s7
.LBB262_101:
	s_delay_alu instid0(SALU_CYCLE_1)
	s_or_b32 exec_lo, exec_lo, s5
.LBB262_102:
	s_delay_alu instid0(SALU_CYCLE_1)
	s_or_b32 exec_lo, exec_lo, s4
                                        ; implicit-def: $vgpr5
                                        ; implicit-def: $vgpr2_vgpr3
.LBB262_103:
	s_and_not1_saveexec_b32 s3, s3
	s_cbranch_execz .LBB262_121
; %bb.104:
	s_mov_b32 s4, exec_lo
                                        ; implicit-def: $vgpr4
	v_cmpx_lt_i16_e32 0, v5
	s_xor_b32 s4, exec_lo, s4
	s_cbranch_execz .LBB262_112
; %bb.105:
	flat_load_i8 v2, v[2:3]
	s_wait_loadcnt_dscnt 0x101
	v_mov_b32_e32 v4, 0x80
	s_mov_b32 s5, exec_lo
	s_wait_loadcnt_dscnt 0x0
	v_cvt_f32_i32_e32 v2, v2
	s_delay_alu instid0(VALU_DEP_1) | instskip(NEXT) | instid1(VALU_DEP_1)
	v_and_b32_e32 v3, 0x7fffffff, v2
	v_cmpx_gt_u32_e32 0x47800000, v3
	s_cbranch_execz .LBB262_111
; %bb.106:
	v_cmp_lt_u32_e32 vcc_lo, 0x37ffffff, v3
	s_mov_b32 s6, 0
                                        ; implicit-def: $vgpr3
	s_and_saveexec_b32 s7, vcc_lo
	s_delay_alu instid0(SALU_CYCLE_1)
	s_xor_b32 s7, exec_lo, s7
	s_cbranch_execnz .LBB262_276
; %bb.107:
	s_and_not1_saveexec_b32 s7, s7
	s_cbranch_execnz .LBB262_277
.LBB262_108:
	s_or_b32 exec_lo, exec_lo, s7
	v_mov_b32_e32 v4, 0
	s_and_saveexec_b32 s7, s6
.LBB262_109:
	v_lshrrev_b32_e32 v2, 24, v2
	s_delay_alu instid0(VALU_DEP_1)
	v_and_or_b32 v4, 0x80, v2, v3
.LBB262_110:
	s_or_b32 exec_lo, exec_lo, s7
.LBB262_111:
	s_delay_alu instid0(SALU_CYCLE_1)
	s_or_b32 exec_lo, exec_lo, s5
                                        ; implicit-def: $vgpr2_vgpr3
.LBB262_112:
	s_and_not1_saveexec_b32 s4, s4
	s_cbranch_execz .LBB262_120
; %bb.113:
	flat_load_u8 v2, v[2:3]
	s_wait_loadcnt_dscnt 0x101
	v_mov_b32_e32 v4, 0x80
	s_mov_b32 s5, exec_lo
	s_wait_loadcnt_dscnt 0x0
	v_cvt_f32_ubyte0_e32 v3, v2
	s_delay_alu instid0(VALU_DEP_1)
	v_cmpx_gt_u32_e32 0x47800000, v3
	s_cbranch_execz .LBB262_119
; %bb.114:
	s_mov_b32 s6, 0
	s_mov_b32 s7, exec_lo
                                        ; implicit-def: $vgpr2
	v_cmpx_lt_u32_e32 0x37ffffff, v3
	s_xor_b32 s7, exec_lo, s7
	s_cbranch_execnz .LBB262_278
; %bb.115:
	s_and_not1_saveexec_b32 s7, s7
	s_cbranch_execnz .LBB262_279
.LBB262_116:
	s_or_b32 exec_lo, exec_lo, s7
	v_mov_b32_e32 v4, 0
	s_and_saveexec_b32 s7, s6
.LBB262_117:
	v_mov_b32_e32 v4, v2
.LBB262_118:
	s_or_b32 exec_lo, exec_lo, s7
.LBB262_119:
	s_delay_alu instid0(SALU_CYCLE_1)
	s_or_b32 exec_lo, exec_lo, s5
.LBB262_120:
	s_delay_alu instid0(SALU_CYCLE_1)
	s_or_b32 exec_lo, exec_lo, s4
.LBB262_121:
	s_delay_alu instid0(SALU_CYCLE_1)
	s_or_b32 exec_lo, exec_lo, s3
.LBB262_122:
	s_delay_alu instid0(SALU_CYCLE_1) | instskip(NEXT) | instid1(SALU_CYCLE_1)
	s_or_b32 exec_lo, exec_lo, s2
	s_or_b32 s1, s1, exec_lo
	s_or_b32 exec_lo, exec_lo, s0
                                        ; implicit-def: $sgpr2
	s_and_saveexec_b32 s0, s1
	s_cbranch_execz .LBB262_3
.LBB262_123:
	s_mov_b32 s1, exec_lo
                                        ; implicit-def: $sgpr2
	v_cmpx_ne_u32_e32 0, v0
	s_xor_b32 s1, exec_lo, s1
	s_cbranch_execz .LBB262_133
; %bb.124:
	v_and_b32_e32 v2, 0xff, v1
	s_mov_b32 s2, 0
	s_mov_b32 s3, exec_lo
	s_delay_alu instid0(VALU_DEP_1)
	v_cmpx_lt_i16_e32 0x7f, v2
	s_xor_b32 s3, exec_lo, s3
	s_cbranch_execnz .LBB262_248
; %bb.125:
	s_or_saveexec_b32 s3, s3
	v_mov_b32_e32 v0, 0x7f800001
	s_xor_b32 exec_lo, exec_lo, s3
	s_cbranch_execnz .LBB262_251
.LBB262_126:
	s_or_b32 exec_lo, exec_lo, s3
	s_and_saveexec_b32 s3, s2
	s_cbranch_execz .LBB262_128
.LBB262_127:
	v_and_b32_e32 v0, 3, v1
	v_lshrrev_b16 v3, 2, v1
	s_delay_alu instid0(VALU_DEP_2) | instskip(NEXT) | instid1(VALU_DEP_1)
	v_clz_i32_u32_e32 v2, v0
	v_min_u32_e32 v2, 32, v2
	s_delay_alu instid0(VALU_DEP_3) | instskip(NEXT) | instid1(VALU_DEP_2)
	v_and_b32_e32 v3, 31, v3
	v_subrev_nc_u32_e32 v5, 29, v2
	v_sub_nc_u32_e32 v2, 30, v2
	s_delay_alu instid0(VALU_DEP_3) | instskip(NEXT) | instid1(VALU_DEP_2)
	v_cmp_eq_u32_e32 vcc_lo, 0, v3
	v_dual_cndmask_b32 v2, v3, v2 :: v_dual_lshlrev_b32 v5, v5, v1
	s_delay_alu instid0(VALU_DEP_1) | instskip(NEXT) | instid1(VALU_DEP_2)
	v_and_b32_e32 v5, 3, v5
	v_lshl_add_u32 v2, v2, 23, 0x37800000
	s_delay_alu instid0(VALU_DEP_2) | instskip(NEXT) | instid1(VALU_DEP_1)
	v_cndmask_b32_e32 v0, v0, v5, vcc_lo
	v_dual_lshlrev_b32 v1, 24, v1 :: v_dual_lshlrev_b32 v0, 21, v0
	s_delay_alu instid0(VALU_DEP_1) | instskip(NEXT) | instid1(VALU_DEP_1)
	v_and_b32_e32 v1, 0x80000000, v1
	v_or3_b32 v0, v1, v2, v0
.LBB262_128:
	s_or_b32 exec_lo, exec_lo, s3
	s_wait_loadcnt_dscnt 0x0
	v_and_b32_e32 v2, 0xff, v4
	s_mov_b32 s2, 0
	s_mov_b32 s3, exec_lo
	s_delay_alu instid0(VALU_DEP_1)
	v_cmpx_lt_i16_e32 0x7f, v2
	s_xor_b32 s3, exec_lo, s3
	s_cbranch_execnz .LBB262_252
; %bb.129:
	s_or_saveexec_b32 s3, s3
	v_mov_b32_e32 v1, 0x7f800001
	s_xor_b32 exec_lo, exec_lo, s3
	s_cbranch_execnz .LBB262_255
.LBB262_130:
	s_or_b32 exec_lo, exec_lo, s3
	s_and_saveexec_b32 s3, s2
	s_cbranch_execz .LBB262_132
.LBB262_131:
	v_and_b32_e32 v1, 3, v4
	v_lshrrev_b16 v3, 2, v4
	s_delay_alu instid0(VALU_DEP_2) | instskip(NEXT) | instid1(VALU_DEP_1)
	v_clz_i32_u32_e32 v2, v1
	v_min_u32_e32 v2, 32, v2
	s_delay_alu instid0(VALU_DEP_3) | instskip(NEXT) | instid1(VALU_DEP_2)
	v_and_b32_e32 v3, 31, v3
	v_subrev_nc_u32_e32 v5, 29, v2
	v_sub_nc_u32_e32 v2, 30, v2
	s_delay_alu instid0(VALU_DEP_3) | instskip(NEXT) | instid1(VALU_DEP_3)
	v_cmp_eq_u32_e32 vcc_lo, 0, v3
	v_dual_lshlrev_b32 v5, v5, v4 :: v_dual_lshlrev_b32 v4, 24, v4
	s_delay_alu instid0(VALU_DEP_1) | instskip(NEXT) | instid1(VALU_DEP_2)
	v_dual_cndmask_b32 v2, v3, v2, vcc_lo :: v_dual_bitop2_b32 v5, 3, v5 bitop3:0x40
	v_and_b32_e32 v3, 0x80000000, v4
	s_delay_alu instid0(VALU_DEP_2) | instskip(NEXT) | instid1(VALU_DEP_3)
	v_cndmask_b32_e32 v1, v1, v5, vcc_lo
	v_lshl_add_u32 v2, v2, 23, 0x37800000
	s_delay_alu instid0(VALU_DEP_2) | instskip(NEXT) | instid1(VALU_DEP_1)
	v_lshlrev_b32_e32 v1, 21, v1
	v_or3_b32 v1, v3, v2, v1
.LBB262_132:
	s_or_b32 exec_lo, exec_lo, s3
	s_delay_alu instid0(VALU_DEP_1)
	v_cmp_neq_f32_e64 s2, v0, v1
                                        ; implicit-def: $vgpr4
                                        ; implicit-def: $vgpr1
.LBB262_133:
	s_and_not1_saveexec_b32 s1, s1
	s_cbranch_execz .LBB262_3
; %bb.134:
	v_and_b32_e32 v2, 0xff, v1
	s_mov_b32 s1, 0
	s_mov_b32 s3, exec_lo
	s_delay_alu instid0(VALU_DEP_1)
	v_cmpx_lt_i16_e32 0x7f, v2
	s_xor_b32 s3, exec_lo, s3
	s_cbranch_execnz .LBB262_256
; %bb.135:
	s_or_saveexec_b32 s3, s3
	v_mov_b32_e32 v0, 0x7f800001
	s_xor_b32 exec_lo, exec_lo, s3
	s_cbranch_execnz .LBB262_259
.LBB262_136:
	s_or_b32 exec_lo, exec_lo, s3
	s_and_saveexec_b32 s3, s1
	s_cbranch_execz .LBB262_138
.LBB262_137:
	v_and_b32_e32 v0, 3, v1
	v_lshrrev_b16 v3, 2, v1
	s_delay_alu instid0(VALU_DEP_2) | instskip(NEXT) | instid1(VALU_DEP_1)
	v_clz_i32_u32_e32 v2, v0
	v_min_u32_e32 v2, 32, v2
	s_delay_alu instid0(VALU_DEP_3) | instskip(NEXT) | instid1(VALU_DEP_2)
	v_and_b32_e32 v3, 31, v3
	v_subrev_nc_u32_e32 v5, 29, v2
	v_sub_nc_u32_e32 v2, 30, v2
	s_delay_alu instid0(VALU_DEP_3) | instskip(NEXT) | instid1(VALU_DEP_2)
	v_cmp_eq_u32_e32 vcc_lo, 0, v3
	v_dual_cndmask_b32 v2, v3, v2 :: v_dual_lshlrev_b32 v5, v5, v1
	s_delay_alu instid0(VALU_DEP_1) | instskip(NEXT) | instid1(VALU_DEP_2)
	v_and_b32_e32 v5, 3, v5
	v_lshl_add_u32 v2, v2, 23, 0x37800000
	s_delay_alu instid0(VALU_DEP_2) | instskip(NEXT) | instid1(VALU_DEP_1)
	v_cndmask_b32_e32 v0, v0, v5, vcc_lo
	v_dual_lshlrev_b32 v1, 24, v1 :: v_dual_lshlrev_b32 v0, 21, v0
	s_delay_alu instid0(VALU_DEP_1) | instskip(NEXT) | instid1(VALU_DEP_1)
	v_and_b32_e32 v1, 0x80000000, v1
	v_or3_b32 v0, v1, v2, v0
.LBB262_138:
	s_or_b32 exec_lo, exec_lo, s3
	s_wait_loadcnt_dscnt 0x0
	v_and_b32_e32 v2, 0xff, v4
	s_mov_b32 s1, 0
	s_mov_b32 s3, exec_lo
	s_delay_alu instid0(VALU_DEP_1)
	v_cmpx_lt_i16_e32 0x7f, v2
	s_xor_b32 s3, exec_lo, s3
	s_cbranch_execnz .LBB262_260
; %bb.139:
	s_or_saveexec_b32 s3, s3
	v_mov_b32_e32 v1, 0x7f800001
	s_xor_b32 exec_lo, exec_lo, s3
	s_cbranch_execnz .LBB262_263
.LBB262_140:
	s_or_b32 exec_lo, exec_lo, s3
	s_and_saveexec_b32 s3, s1
	s_cbranch_execz .LBB262_142
.LBB262_141:
	v_and_b32_e32 v1, 3, v4
	v_lshrrev_b16 v3, 2, v4
	s_delay_alu instid0(VALU_DEP_2) | instskip(NEXT) | instid1(VALU_DEP_1)
	v_clz_i32_u32_e32 v2, v1
	v_min_u32_e32 v2, 32, v2
	s_delay_alu instid0(VALU_DEP_3) | instskip(NEXT) | instid1(VALU_DEP_2)
	v_and_b32_e32 v3, 31, v3
	v_subrev_nc_u32_e32 v5, 29, v2
	v_sub_nc_u32_e32 v2, 30, v2
	s_delay_alu instid0(VALU_DEP_3) | instskip(NEXT) | instid1(VALU_DEP_3)
	v_cmp_eq_u32_e32 vcc_lo, 0, v3
	v_dual_lshlrev_b32 v5, v5, v4 :: v_dual_lshlrev_b32 v4, 24, v4
	s_delay_alu instid0(VALU_DEP_1) | instskip(NEXT) | instid1(VALU_DEP_2)
	v_dual_cndmask_b32 v2, v3, v2, vcc_lo :: v_dual_bitop2_b32 v5, 3, v5 bitop3:0x40
	v_and_b32_e32 v3, 0x80000000, v4
	s_delay_alu instid0(VALU_DEP_2) | instskip(NEXT) | instid1(VALU_DEP_3)
	v_cndmask_b32_e32 v1, v1, v5, vcc_lo
	v_lshl_add_u32 v2, v2, 23, 0x37800000
	s_delay_alu instid0(VALU_DEP_2) | instskip(NEXT) | instid1(VALU_DEP_1)
	v_lshlrev_b32_e32 v1, 21, v1
	v_or3_b32 v1, v3, v2, v1
.LBB262_142:
	s_or_b32 exec_lo, exec_lo, s3
	s_delay_alu instid0(VALU_DEP_1) | instskip(SKIP_2) | instid1(SALU_CYCLE_1)
	v_cmp_eq_f32_e32 vcc_lo, v0, v1
	s_and_not1_b32 s1, s2, exec_lo
	s_and_b32 s2, vcc_lo, exec_lo
	s_or_b32 s2, s1, s2
	s_or_b32 exec_lo, exec_lo, s0
	v_cndmask_b32_e64 v0, 0, 1, s2
	s_set_pc_i64 s[30:31]
.LBB262_143:
	s_mov_b32 s5, 0
	s_mov_b32 s3, exec_lo
                                        ; implicit-def: $vgpr4
	v_cmpx_lt_i16_e32 28, v5
	s_xor_b32 s3, exec_lo, s3
	s_cbranch_execz .LBB262_177
; %bb.144:
	s_mov_b32 s6, 0
	s_mov_b32 s7, 0
	s_mov_b32 s4, exec_lo
                                        ; implicit-def: $vgpr4
	v_cmpx_lt_i16_e32 43, v5
	s_xor_b32 s4, exec_lo, s4
	s_cbranch_execz .LBB262_166
; %bb.145:
	s_mov_b32 s7, exec_lo
                                        ; implicit-def: $vgpr4
	v_cmpx_lt_i16_e32 45, v5
	s_xor_b32 s7, exec_lo, s7
	s_cbranch_execz .LBB262_155
; %bb.146:
	s_mov_b32 s8, -1
	s_mov_b32 s5, exec_lo
                                        ; implicit-def: $vgpr4
	v_cmpx_eq_u16_e32 46, v5
	s_cbranch_execz .LBB262_154
; %bb.147:
	flat_load_b32 v4, v[2:3]
	s_mov_b32 s6, exec_lo
	s_wait_loadcnt_dscnt 0x0
	v_dual_mov_b32 v4, 0x80 :: v_dual_lshlrev_b32 v5, 16, v4
	s_delay_alu instid0(VALU_DEP_1) | instskip(SKIP_1) | instid1(VALU_DEP_1)
	v_and_b32_e32 v6, 0x7fffffff, v5
	s_wait_xcnt 0x0
	v_cmpx_gt_u32_e32 0x47800000, v6
	s_cbranch_execz .LBB262_153
; %bb.148:
	v_cmp_lt_u32_e32 vcc_lo, 0x37ffffff, v6
	s_mov_b32 s8, 0
                                        ; implicit-def: $vgpr6
	s_and_saveexec_b32 s9, vcc_lo
	s_delay_alu instid0(SALU_CYCLE_1)
	s_xor_b32 s9, exec_lo, s9
	s_cbranch_execnz .LBB262_306
; %bb.149:
	s_and_not1_saveexec_b32 s9, s9
	s_cbranch_execnz .LBB262_307
.LBB262_150:
	s_or_b32 exec_lo, exec_lo, s9
	v_mov_b32_e32 v4, 0
	s_and_saveexec_b32 s9, s8
.LBB262_151:
	v_lshrrev_b32_e32 v4, 24, v5
	s_delay_alu instid0(VALU_DEP_1)
	v_and_or_b32 v4, 0x80, v4, v6
.LBB262_152:
	s_or_b32 exec_lo, exec_lo, s9
.LBB262_153:
	s_delay_alu instid0(SALU_CYCLE_1) | instskip(NEXT) | instid1(SALU_CYCLE_1)
	s_or_b32 exec_lo, exec_lo, s6
	s_mov_b32 s6, exec_lo
	s_xor_b32 s8, exec_lo, -1
.LBB262_154:
	s_or_b32 exec_lo, exec_lo, s5
	s_delay_alu instid0(SALU_CYCLE_1)
	s_and_b32 s6, s6, exec_lo
	s_and_b32 s5, s8, exec_lo
                                        ; implicit-def: $vgpr5
.LBB262_155:
	s_and_not1_saveexec_b32 s7, s7
	s_cbranch_execz .LBB262_165
; %bb.156:
	s_mov_b32 s9, -1
	s_mov_b32 s10, s6
	s_mov_b32 s8, exec_lo
                                        ; implicit-def: $vgpr4
	v_cmpx_eq_u16_e32 44, v5
	s_cbranch_execz .LBB262_164
; %bb.157:
	flat_load_u8 v4, v[2:3]
	s_mov_b32 s10, 0
	s_mov_b32 s9, exec_lo
	s_wait_loadcnt_dscnt 0x0
	v_lshlrev_b32_e32 v5, 23, v4
	v_cmp_ne_u32_e32 vcc_lo, 0xff, v4
	s_delay_alu instid0(VALU_DEP_2) | instskip(SKIP_2) | instid1(VALU_DEP_3)
	v_cndmask_b32_e32 v5, 0x7f800001, v5, vcc_lo
	v_cmp_ne_u32_e32 vcc_lo, 0, v4
	v_mov_b32_e32 v4, 0x80
	v_cndmask_b32_e32 v6, 0x400000, v5, vcc_lo
	s_wait_xcnt 0x0
	s_delay_alu instid0(VALU_DEP_1)
	v_cmpx_gt_u32_e32 0x47800000, v6
	s_cbranch_execz .LBB262_163
; %bb.158:
	s_mov_b32 s11, exec_lo
                                        ; implicit-def: $vgpr5
	v_cmpx_lt_u32_e32 0x37ffffff, v6
	s_xor_b32 s11, exec_lo, s11
	s_cbranch_execnz .LBB262_308
; %bb.159:
	s_and_not1_saveexec_b32 s11, s11
	s_cbranch_execnz .LBB262_309
.LBB262_160:
	s_or_b32 exec_lo, exec_lo, s11
	v_mov_b32_e32 v4, 0
	s_and_saveexec_b32 s11, s10
.LBB262_161:
	v_mov_b32_e32 v4, v5
.LBB262_162:
	s_or_b32 exec_lo, exec_lo, s11
.LBB262_163:
	s_delay_alu instid0(SALU_CYCLE_1) | instskip(NEXT) | instid1(SALU_CYCLE_1)
	s_or_b32 exec_lo, exec_lo, s9
	s_or_b32 s10, s6, exec_lo
	s_xor_b32 s9, exec_lo, -1
.LBB262_164:
	s_or_b32 exec_lo, exec_lo, s8
	s_delay_alu instid0(SALU_CYCLE_1)
	s_and_not1_b32 s6, s6, exec_lo
	s_and_b32 s8, s10, exec_lo
	s_and_not1_b32 s5, s5, exec_lo
	s_and_b32 s9, s9, exec_lo
	s_or_b32 s6, s6, s8
	s_or_b32 s5, s5, s9
.LBB262_165:
	s_or_b32 exec_lo, exec_lo, s7
	s_delay_alu instid0(SALU_CYCLE_1)
	s_and_b32 s7, s6, exec_lo
	s_and_b32 s6, s5, exec_lo
                                        ; implicit-def: $vgpr5
.LBB262_166:
	s_and_not1_saveexec_b32 s4, s4
	s_cbranch_execz .LBB262_176
; %bb.167:
	s_mov_b32 s8, -1
	s_mov_b32 s9, s7
	s_mov_b32 s5, exec_lo
                                        ; implicit-def: $vgpr4
	v_cmpx_eq_u16_e32 29, v5
	s_cbranch_execz .LBB262_175
; %bb.168:
	flat_load_b64 v[4:5], v[2:3]
	s_mov_b32 s8, exec_lo
	s_wait_loadcnt_dscnt 0x0
	v_clz_i32_u32_e32 v6, v5
	s_delay_alu instid0(VALU_DEP_1) | instskip(NEXT) | instid1(VALU_DEP_1)
	v_min_u32_e32 v6, 32, v6
	v_lshlrev_b64_e32 v[4:5], v6, v[4:5]
	s_delay_alu instid0(VALU_DEP_1) | instskip(NEXT) | instid1(VALU_DEP_1)
	v_min_u32_e32 v4, 1, v4
	v_dual_sub_nc_u32 v5, 32, v6 :: v_dual_bitop2_b32 v4, v5, v4 bitop3:0x54
	s_delay_alu instid0(VALU_DEP_1) | instskip(NEXT) | instid1(VALU_DEP_1)
	v_cvt_f32_u32_e32 v4, v4
	v_ldexp_f32 v6, v4, v5
	v_mov_b32_e32 v4, 0x80
	s_wait_xcnt 0x0
	s_delay_alu instid0(VALU_DEP_2)
	v_cmpx_gt_u32_e32 0x47800000, v6
	s_cbranch_execz .LBB262_174
; %bb.169:
	s_mov_b32 s9, 0
	s_mov_b32 s10, exec_lo
                                        ; implicit-def: $vgpr5
	v_cmpx_lt_u32_e32 0x37ffffff, v6
	s_xor_b32 s10, exec_lo, s10
	s_cbranch_execnz .LBB262_296
; %bb.170:
	s_and_not1_saveexec_b32 s10, s10
	s_cbranch_execnz .LBB262_297
.LBB262_171:
	s_or_b32 exec_lo, exec_lo, s10
	v_mov_b32_e32 v4, 0
	s_and_saveexec_b32 s10, s9
.LBB262_172:
	v_mov_b32_e32 v4, v5
.LBB262_173:
	s_or_b32 exec_lo, exec_lo, s10
.LBB262_174:
	s_delay_alu instid0(SALU_CYCLE_1) | instskip(NEXT) | instid1(SALU_CYCLE_1)
	s_or_b32 exec_lo, exec_lo, s8
	s_or_b32 s9, s7, exec_lo
	s_xor_b32 s8, exec_lo, -1
.LBB262_175:
	s_or_b32 exec_lo, exec_lo, s5
	s_delay_alu instid0(SALU_CYCLE_1)
	s_and_not1_b32 s5, s7, exec_lo
	s_and_b32 s7, s9, exec_lo
	s_and_not1_b32 s6, s6, exec_lo
	s_and_b32 s8, s8, exec_lo
	s_or_b32 s7, s5, s7
	s_or_b32 s6, s6, s8
.LBB262_176:
	s_or_b32 exec_lo, exec_lo, s4
	s_delay_alu instid0(SALU_CYCLE_1)
	s_and_b32 s5, s7, exec_lo
	s_and_b32 s4, s6, exec_lo
                                        ; implicit-def: $vgpr5
.LBB262_177:
	s_and_not1_saveexec_b32 s3, s3
	s_cbranch_execz .LBB262_209
; %bb.178:
	s_mov_b32 s6, exec_lo
                                        ; implicit-def: $vgpr4
	v_cmpx_lt_i16_e32 26, v5
	s_xor_b32 s6, exec_lo, s6
	s_cbranch_execz .LBB262_196
; %bb.179:
	s_mov_b32 s7, exec_lo
                                        ; implicit-def: $vgpr4
	v_cmpx_lt_i16_e32 27, v5
	s_xor_b32 s7, exec_lo, s7
	s_cbranch_execz .LBB262_187
; %bb.180:
	flat_load_b32 v4, v[2:3]
	s_mov_b32 s8, exec_lo
	s_wait_loadcnt_dscnt 0x0
	v_cvt_f32_u32_e32 v6, v4
	v_mov_b32_e32 v4, 0x80
	s_wait_xcnt 0x0
	s_delay_alu instid0(VALU_DEP_2)
	v_cmpx_gt_u32_e32 0x47800000, v6
	s_cbranch_execz .LBB262_186
; %bb.181:
	s_mov_b32 s9, 0
	s_mov_b32 s10, exec_lo
                                        ; implicit-def: $vgpr5
	v_cmpx_lt_u32_e32 0x37ffffff, v6
	s_xor_b32 s10, exec_lo, s10
	s_cbranch_execnz .LBB262_298
; %bb.182:
	s_and_not1_saveexec_b32 s10, s10
	s_cbranch_execnz .LBB262_299
.LBB262_183:
	s_or_b32 exec_lo, exec_lo, s10
	v_mov_b32_e32 v4, 0
	s_and_saveexec_b32 s10, s9
.LBB262_184:
	v_mov_b32_e32 v4, v5
.LBB262_185:
	s_or_b32 exec_lo, exec_lo, s10
.LBB262_186:
	s_delay_alu instid0(SALU_CYCLE_1)
	s_or_b32 exec_lo, exec_lo, s8
.LBB262_187:
	s_and_not1_saveexec_b32 s7, s7
	s_cbranch_execz .LBB262_195
; %bb.188:
	flat_load_u16 v4, v[2:3]
	s_mov_b32 s8, exec_lo
	s_wait_loadcnt_dscnt 0x0
	v_cvt_f32_u32_e32 v6, v4
	v_mov_b32_e32 v4, 0x80
	s_wait_xcnt 0x0
	s_delay_alu instid0(VALU_DEP_2)
	v_cmpx_gt_u32_e32 0x47800000, v6
	s_cbranch_execz .LBB262_194
; %bb.189:
	s_mov_b32 s9, 0
	s_mov_b32 s10, exec_lo
                                        ; implicit-def: $vgpr5
	v_cmpx_lt_u32_e32 0x37ffffff, v6
	s_xor_b32 s10, exec_lo, s10
	s_cbranch_execnz .LBB262_300
; %bb.190:
	s_and_not1_saveexec_b32 s10, s10
	s_cbranch_execnz .LBB262_301
.LBB262_191:
	s_or_b32 exec_lo, exec_lo, s10
	v_mov_b32_e32 v4, 0
	s_and_saveexec_b32 s10, s9
.LBB262_192:
	v_mov_b32_e32 v4, v5
.LBB262_193:
	s_or_b32 exec_lo, exec_lo, s10
.LBB262_194:
	s_delay_alu instid0(SALU_CYCLE_1)
	s_or_b32 exec_lo, exec_lo, s8
.LBB262_195:
	s_delay_alu instid0(SALU_CYCLE_1)
	s_or_b32 exec_lo, exec_lo, s7
.LBB262_196:
	s_and_not1_saveexec_b32 s6, s6
	s_cbranch_execz .LBB262_208
; %bb.197:
	flat_load_u8 v4, v[2:3]
	s_mov_b32 s7, 0
	s_mov_b32 s8, exec_lo
	s_wait_loadcnt_dscnt 0x0
	v_cmpx_lt_i16_e32 0x7f, v4
	s_xor_b32 s8, exec_lo, s8
	s_cbranch_execnz .LBB262_266
; %bb.198:
	s_or_saveexec_b32 s8, s8
	v_mov_b32_e32 v5, 0x7f800001
	s_xor_b32 exec_lo, exec_lo, s8
	s_cbranch_execnz .LBB262_269
.LBB262_199:
	s_or_b32 exec_lo, exec_lo, s8
	s_and_saveexec_b32 s8, s7
	s_cbranch_execz .LBB262_201
.LBB262_200:
	v_and_b32_e32 v5, 0xffff, v4
	s_delay_alu instid0(VALU_DEP_1) | instskip(SKIP_1) | instid1(VALU_DEP_2)
	v_and_b32_e32 v6, 7, v5
	v_bfe_u32 v9, v5, 3, 4
	v_clz_i32_u32_e32 v7, v6
	s_delay_alu instid0(VALU_DEP_2) | instskip(NEXT) | instid1(VALU_DEP_2)
	v_cmp_eq_u32_e32 vcc_lo, 0, v9
	v_min_u32_e32 v7, 32, v7
	s_delay_alu instid0(VALU_DEP_1) | instskip(NEXT) | instid1(VALU_DEP_1)
	v_subrev_nc_u32_e32 v8, 28, v7
	v_dual_lshlrev_b32 v5, v8, v5 :: v_dual_sub_nc_u32 v7, 29, v7
	s_delay_alu instid0(VALU_DEP_1) | instskip(NEXT) | instid1(VALU_DEP_1)
	v_dual_lshlrev_b32 v4, 24, v4 :: v_dual_bitop2_b32 v5, 7, v5 bitop3:0x40
	v_dual_cndmask_b32 v7, v9, v7, vcc_lo :: v_dual_cndmask_b32 v5, v6, v5, vcc_lo
	s_delay_alu instid0(VALU_DEP_2) | instskip(NEXT) | instid1(VALU_DEP_2)
	v_and_b32_e32 v4, 0x80000000, v4
	v_lshl_add_u32 v6, v7, 23, 0x3b800000
	s_delay_alu instid0(VALU_DEP_3) | instskip(NEXT) | instid1(VALU_DEP_1)
	v_lshlrev_b32_e32 v5, 20, v5
	v_or3_b32 v5, v4, v6, v5
.LBB262_201:
	s_or_b32 exec_lo, exec_lo, s8
	s_delay_alu instid0(VALU_DEP_1) | instskip(SKIP_2) | instid1(VALU_DEP_2)
	v_and_b32_e32 v6, 0x7fffffff, v5
	v_mov_b32_e32 v4, 0x80
	s_mov_b32 s7, exec_lo
	v_cmpx_gt_u32_e32 0x47800000, v6
	s_cbranch_execz .LBB262_207
; %bb.202:
	v_cmp_lt_u32_e32 vcc_lo, 0x37ffffff, v6
	s_mov_b32 s8, 0
                                        ; implicit-def: $vgpr6
	s_and_saveexec_b32 s9, vcc_lo
	s_delay_alu instid0(SALU_CYCLE_1)
	s_xor_b32 s9, exec_lo, s9
	s_cbranch_execnz .LBB262_280
; %bb.203:
	s_and_not1_saveexec_b32 s9, s9
	s_cbranch_execnz .LBB262_281
.LBB262_204:
	s_or_b32 exec_lo, exec_lo, s9
	v_mov_b32_e32 v4, 0
	s_and_saveexec_b32 s9, s8
.LBB262_205:
	v_lshrrev_b32_e32 v4, 24, v5
	s_delay_alu instid0(VALU_DEP_1)
	v_and_or_b32 v4, 0x80, v4, v6
.LBB262_206:
	s_or_b32 exec_lo, exec_lo, s9
.LBB262_207:
	s_delay_alu instid0(SALU_CYCLE_1)
	s_or_b32 exec_lo, exec_lo, s7
.LBB262_208:
	s_delay_alu instid0(SALU_CYCLE_1) | instskip(NEXT) | instid1(SALU_CYCLE_1)
	s_or_b32 exec_lo, exec_lo, s6
	s_or_b32 s5, s5, exec_lo
.LBB262_209:
	s_or_b32 exec_lo, exec_lo, s3
	s_delay_alu instid0(SALU_CYCLE_1)
	s_and_b32 s3, s5, exec_lo
	s_and_b32 s4, s4, exec_lo
                                        ; implicit-def: $vgpr5
	s_and_not1_saveexec_b32 s2, s2
	s_cbranch_execz .LBB262_6
.LBB262_210:
	s_mov_b32 s5, s3
	s_mov_b32 s1, exec_lo
                                        ; implicit-def: $vgpr4
	v_cmpx_lt_i16_e32 22, v5
	s_xor_b32 s1, exec_lo, s1
	s_cbranch_execz .LBB262_232
; %bb.211:
	s_mov_b32 s5, exec_lo
                                        ; implicit-def: $vgpr4
	v_cmpx_lt_i16_e32 23, v5
	s_xor_b32 s5, exec_lo, s5
	s_cbranch_execz .LBB262_223
; %bb.212:
	;; [unrolled: 6-line block ×3, first 2 shown]
	flat_load_u8 v4, v[2:3]
.LBB262_214:
	s_wait_xcnt 0x0
	s_and_not1_saveexec_b32 s6, s6
	s_cbranch_execz .LBB262_222
; %bb.215:
	s_wait_loadcnt_dscnt 0x0
	flat_load_u8 v4, v[2:3]
	s_mov_b32 s8, 0
	s_mov_b32 s7, exec_lo
	s_wait_loadcnt_dscnt 0x0
	v_lshlrev_b32_e32 v4, 24, v4
	s_delay_alu instid0(VALU_DEP_1) | instskip(NEXT) | instid1(VALU_DEP_1)
	v_and_b32_e32 v5, 0x7f000000, v4
	v_clz_i32_u32_e32 v6, v5
	v_cmp_ne_u32_e32 vcc_lo, 0, v5
	v_add_nc_u32_e32 v8, 0x1000000, v5
	s_delay_alu instid0(VALU_DEP_3) | instskip(NEXT) | instid1(VALU_DEP_1)
	v_min_u32_e32 v6, 32, v6
	v_sub_nc_u32_e64 v6, v6, 4 clamp
	s_delay_alu instid0(VALU_DEP_1) | instskip(NEXT) | instid1(VALU_DEP_1)
	v_dual_lshlrev_b32 v7, v6, v5 :: v_dual_lshlrev_b32 v6, 23, v6
	v_lshrrev_b32_e32 v7, 4, v7
	s_delay_alu instid0(VALU_DEP_1) | instskip(NEXT) | instid1(VALU_DEP_1)
	v_dual_sub_nc_u32 v6, v7, v6 :: v_dual_ashrrev_i32 v7, 8, v8
	v_add_nc_u32_e32 v6, 0x3c000000, v6
	s_delay_alu instid0(VALU_DEP_1) | instskip(NEXT) | instid1(VALU_DEP_1)
	v_and_or_b32 v6, 0x7f800000, v7, v6
	v_cndmask_b32_e32 v7, 0, v6, vcc_lo
	s_delay_alu instid0(VALU_DEP_1) | instskip(SKIP_1) | instid1(VALU_DEP_2)
	v_and_or_b32 v5, 0x80000000, v4, v7
	v_mov_b32_e32 v4, 0x80
	v_and_b32_e32 v6, 0x7fffffff, v5
	s_wait_xcnt 0x0
	s_delay_alu instid0(VALU_DEP_1)
	v_cmpx_gt_u32_e32 0x47800000, v6
	s_cbranch_execz .LBB262_221
; %bb.216:
	v_cmp_lt_u32_e32 vcc_lo, 0x37ffffff, v6
                                        ; implicit-def: $vgpr6
	s_and_saveexec_b32 s9, vcc_lo
	s_delay_alu instid0(SALU_CYCLE_1)
	s_xor_b32 s9, exec_lo, s9
	s_cbranch_execnz .LBB262_302
; %bb.217:
	s_and_not1_saveexec_b32 s9, s9
	s_cbranch_execnz .LBB262_303
.LBB262_218:
	s_or_b32 exec_lo, exec_lo, s9
	v_mov_b32_e32 v4, 0
	s_and_saveexec_b32 s9, s8
.LBB262_219:
	v_lshrrev_b32_e32 v4, 24, v5
	s_delay_alu instid0(VALU_DEP_1)
	v_and_or_b32 v4, 0x80, v4, v6
.LBB262_220:
	s_or_b32 exec_lo, exec_lo, s9
.LBB262_221:
	s_delay_alu instid0(SALU_CYCLE_1)
	s_or_b32 exec_lo, exec_lo, s7
.LBB262_222:
	s_delay_alu instid0(SALU_CYCLE_1)
	s_or_b32 exec_lo, exec_lo, s6
.LBB262_223:
	s_and_not1_saveexec_b32 s5, s5
	s_cbranch_execz .LBB262_231
; %bb.224:
	s_wait_loadcnt_dscnt 0x0
	flat_load_u8 v4, v[2:3]
	s_mov_b32 s6, exec_lo
	s_wait_loadcnt_dscnt 0x0
	v_lshlrev_b32_e32 v5, 25, v4
	v_lshlrev_b16 v4, 8, v4
	s_delay_alu instid0(VALU_DEP_1) | instskip(SKIP_1) | instid1(VALU_DEP_2)
	v_and_or_b32 v7, 0x7f00, v4, 0.5
	v_bfe_i32 v4, v4, 0, 16
	v_dual_add_f32 v7, -0.5, v7 :: v_dual_lshrrev_b32 v6, 4, v5
	v_cmp_gt_u32_e32 vcc_lo, 0x8000000, v5
	s_delay_alu instid0(VALU_DEP_2) | instskip(NEXT) | instid1(VALU_DEP_1)
	v_or_b32_e32 v6, 0x70000000, v6
	v_mul_f32_e32 v6, 0x7800000, v6
	s_delay_alu instid0(VALU_DEP_1) | instskip(NEXT) | instid1(VALU_DEP_1)
	v_cndmask_b32_e32 v7, v6, v7, vcc_lo
	v_and_or_b32 v5, 0x80000000, v4, v7
	v_mov_b32_e32 v4, 0x80
	s_delay_alu instid0(VALU_DEP_2) | instskip(SKIP_1) | instid1(VALU_DEP_1)
	v_and_b32_e32 v6, 0x7fffffff, v5
	s_wait_xcnt 0x0
	v_cmpx_gt_u32_e32 0x47800000, v6
	s_cbranch_execz .LBB262_230
; %bb.225:
	v_cmp_lt_u32_e32 vcc_lo, 0x37ffffff, v6
	s_mov_b32 s7, 0
                                        ; implicit-def: $vgpr6
	s_and_saveexec_b32 s8, vcc_lo
	s_delay_alu instid0(SALU_CYCLE_1)
	s_xor_b32 s8, exec_lo, s8
	s_cbranch_execnz .LBB262_282
; %bb.226:
	s_and_not1_saveexec_b32 s8, s8
	s_cbranch_execnz .LBB262_283
.LBB262_227:
	s_or_b32 exec_lo, exec_lo, s8
	v_mov_b32_e32 v4, 0
	s_and_saveexec_b32 s8, s7
.LBB262_228:
	v_lshrrev_b32_e32 v4, 24, v5
	s_delay_alu instid0(VALU_DEP_1)
	v_and_or_b32 v4, 0x80, v4, v6
.LBB262_229:
	s_or_b32 exec_lo, exec_lo, s8
.LBB262_230:
	s_delay_alu instid0(SALU_CYCLE_1)
	s_or_b32 exec_lo, exec_lo, s6
.LBB262_231:
	s_delay_alu instid0(SALU_CYCLE_1) | instskip(NEXT) | instid1(SALU_CYCLE_1)
	s_or_b32 exec_lo, exec_lo, s5
	s_or_b32 s5, s3, exec_lo
                                        ; implicit-def: $vgpr5
.LBB262_232:
	s_or_saveexec_b32 s1, s1
	s_mov_b32 s6, 0
	s_mov_b32 s7, s4
	s_xor_b32 exec_lo, exec_lo, s1
	s_cbranch_execz .LBB262_246
; %bb.233:
	s_mov_b32 s7, s4
	s_mov_b32 s8, s5
	s_mov_b32 s6, exec_lo
                                        ; implicit-def: $vgpr4
	v_cmpx_lt_i16_e32 14, v5
	s_xor_b32 s6, exec_lo, s6
	s_cbranch_execz .LBB262_243
; %bb.234:
	s_mov_b32 s8, -1
	s_mov_b32 s9, s5
	s_mov_b32 s7, exec_lo
                                        ; implicit-def: $vgpr4
	v_cmpx_eq_u16_e32 15, v5
	s_cbranch_execz .LBB262_242
; %bb.235:
	flat_load_u16 v5, v[2:3]
	s_mov_b32 s8, exec_lo
	s_wait_loadcnt_dscnt 0x0
	v_dual_mov_b32 v4, 0x80 :: v_dual_lshlrev_b32 v7, 16, v5
	s_delay_alu instid0(VALU_DEP_1) | instskip(SKIP_1) | instid1(VALU_DEP_1)
	v_and_b32_e32 v6, 0x7fffffff, v7
	s_wait_xcnt 0x0
	v_cmpx_gt_u32_e32 0x47800000, v6
	s_cbranch_execz .LBB262_241
; %bb.236:
	v_cmp_lt_u32_e32 vcc_lo, 0x37ffffff, v6
	s_mov_b32 s9, 0
                                        ; implicit-def: $vgpr6
	s_and_saveexec_b32 s10, vcc_lo
	s_delay_alu instid0(SALU_CYCLE_1)
	s_xor_b32 s10, exec_lo, s10
	s_cbranch_execnz .LBB262_304
; %bb.237:
	s_and_not1_saveexec_b32 s10, s10
	s_cbranch_execnz .LBB262_305
.LBB262_238:
	s_or_b32 exec_lo, exec_lo, s10
	v_mov_b32_e32 v4, 0
	s_and_saveexec_b32 s10, s9
.LBB262_239:
	v_lshrrev_b32_e32 v4, 8, v5
	s_delay_alu instid0(VALU_DEP_1)
	v_and_or_b32 v4, 0x80, v4, v6
.LBB262_240:
	s_or_b32 exec_lo, exec_lo, s10
.LBB262_241:
	s_delay_alu instid0(SALU_CYCLE_1) | instskip(NEXT) | instid1(SALU_CYCLE_1)
	s_or_b32 exec_lo, exec_lo, s8
	s_or_b32 s9, s5, exec_lo
	s_xor_b32 s8, exec_lo, -1
.LBB262_242:
	s_or_b32 exec_lo, exec_lo, s7
	s_delay_alu instid0(SALU_CYCLE_1)
	s_and_not1_b32 s7, s5, exec_lo
	s_and_b32 s9, s9, exec_lo
	s_and_not1_b32 s10, s4, exec_lo
	s_and_b32 s11, s8, exec_lo
	s_or_b32 s8, s7, s9
	s_or_b32 s7, s10, s11
                                        ; implicit-def: $vgpr5
.LBB262_243:
	s_or_saveexec_b32 s6, s6
	s_mov_b32 s9, 0
	s_xor_b32 exec_lo, exec_lo, s6
; %bb.244:
	v_cmp_ne_u16_e32 vcc_lo, 11, v5
	s_and_not1_b32 s7, s7, exec_lo
	s_mov_b32 s9, exec_lo
	s_and_b32 s10, vcc_lo, exec_lo
	s_delay_alu instid0(SALU_CYCLE_1)
	s_or_b32 s7, s7, s10
; %bb.245:
	s_or_b32 exec_lo, exec_lo, s6
	s_delay_alu instid0(SALU_CYCLE_1)
	s_and_not1_b32 s5, s5, exec_lo
	s_and_b32 s6, s8, exec_lo
	s_and_not1_b32 s8, s4, exec_lo
	s_and_b32 s7, s7, exec_lo
	s_or_b32 s5, s5, s6
	s_and_b32 s6, s9, exec_lo
	s_or_b32 s7, s8, s7
.LBB262_246:
	s_or_b32 exec_lo, exec_lo, s1
	s_delay_alu instid0(SALU_CYCLE_1)
	s_and_not1_b32 s1, s3, exec_lo
	s_and_b32 s3, s5, exec_lo
	s_and_not1_b32 s4, s4, exec_lo
	s_and_b32 s5, s7, exec_lo
	s_or_b32 s3, s1, s3
	s_and_b32 s1, s6, exec_lo
	s_or_b32 s4, s4, s5
	s_or_b32 exec_lo, exec_lo, s2
	s_and_saveexec_b32 s2, s4
	s_cbranch_execz .LBB262_7
.LBB262_247:
	s_trap 2
	; divergent unreachable
	s_and_not1_b32 s1, s1, exec_lo
	s_or_b32 exec_lo, exec_lo, s2
	s_and_saveexec_b32 s2, s1
	s_delay_alu instid0(SALU_CYCLE_1)
	s_xor_b32 s1, exec_lo, s2
	s_cbranch_execnz .LBB262_8
	s_branch .LBB262_15
.LBB262_248:
	s_mov_b32 s2, -1
	s_mov_b32 s4, exec_lo
	v_cmpx_eq_u16_e32 0x80, v2
; %bb.249:
	s_xor_b32 s2, exec_lo, -1
; %bb.250:
	s_or_b32 exec_lo, exec_lo, s4
	s_delay_alu instid0(SALU_CYCLE_1)
	s_and_b32 s2, s2, exec_lo
                                        ; implicit-def: $vgpr2
	s_or_saveexec_b32 s3, s3
	v_mov_b32_e32 v0, 0x7f800001
	s_xor_b32 exec_lo, exec_lo, s3
	s_cbranch_execz .LBB262_126
.LBB262_251:
	v_cmp_ne_u16_e32 vcc_lo, 0, v2
	v_mov_b32_e32 v0, 0
	s_and_not1_b32 s2, s2, exec_lo
	s_and_b32 s4, vcc_lo, exec_lo
	s_delay_alu instid0(SALU_CYCLE_1)
	s_or_b32 s2, s2, s4
	s_or_b32 exec_lo, exec_lo, s3
	s_and_saveexec_b32 s3, s2
	s_cbranch_execnz .LBB262_127
	s_branch .LBB262_128
.LBB262_252:
	s_mov_b32 s2, -1
	s_mov_b32 s4, exec_lo
	v_cmpx_eq_u16_e32 0x80, v2
; %bb.253:
	s_xor_b32 s2, exec_lo, -1
; %bb.254:
	s_or_b32 exec_lo, exec_lo, s4
	s_delay_alu instid0(SALU_CYCLE_1)
	s_and_b32 s2, s2, exec_lo
                                        ; implicit-def: $vgpr2
	s_or_saveexec_b32 s3, s3
	v_mov_b32_e32 v1, 0x7f800001
	s_xor_b32 exec_lo, exec_lo, s3
	s_cbranch_execz .LBB262_130
.LBB262_255:
	v_cmp_ne_u16_e32 vcc_lo, 0, v2
	v_mov_b32_e32 v1, 0
	s_and_not1_b32 s2, s2, exec_lo
	s_and_b32 s4, vcc_lo, exec_lo
	s_delay_alu instid0(SALU_CYCLE_1)
	s_or_b32 s2, s2, s4
	s_or_b32 exec_lo, exec_lo, s3
	s_and_saveexec_b32 s3, s2
	s_cbranch_execnz .LBB262_131
	s_branch .LBB262_132
.LBB262_256:
	s_mov_b32 s1, -1
	s_mov_b32 s4, exec_lo
	v_cmpx_eq_u16_e32 0x80, v2
; %bb.257:
	s_xor_b32 s1, exec_lo, -1
; %bb.258:
	s_or_b32 exec_lo, exec_lo, s4
	s_delay_alu instid0(SALU_CYCLE_1)
	s_and_b32 s1, s1, exec_lo
                                        ; implicit-def: $vgpr2
	s_or_saveexec_b32 s3, s3
	v_mov_b32_e32 v0, 0x7f800001
	s_xor_b32 exec_lo, exec_lo, s3
	s_cbranch_execz .LBB262_136
.LBB262_259:
	v_cmp_ne_u16_e32 vcc_lo, 0, v2
	v_mov_b32_e32 v0, 0
	s_and_not1_b32 s1, s1, exec_lo
	s_and_b32 s4, vcc_lo, exec_lo
	s_delay_alu instid0(SALU_CYCLE_1)
	s_or_b32 s1, s1, s4
	s_or_b32 exec_lo, exec_lo, s3
	s_and_saveexec_b32 s3, s1
	s_cbranch_execnz .LBB262_137
	s_branch .LBB262_138
.LBB262_260:
	s_mov_b32 s1, -1
	s_mov_b32 s4, exec_lo
	v_cmpx_eq_u16_e32 0x80, v2
; %bb.261:
	s_xor_b32 s1, exec_lo, -1
; %bb.262:
	s_or_b32 exec_lo, exec_lo, s4
	s_delay_alu instid0(SALU_CYCLE_1)
	s_and_b32 s1, s1, exec_lo
                                        ; implicit-def: $vgpr2
	s_or_saveexec_b32 s3, s3
	v_mov_b32_e32 v1, 0x7f800001
	s_xor_b32 exec_lo, exec_lo, s3
	s_cbranch_execz .LBB262_140
.LBB262_263:
	v_cmp_ne_u16_e32 vcc_lo, 0, v2
	v_mov_b32_e32 v1, 0
	s_and_not1_b32 s1, s1, exec_lo
	s_and_b32 s4, vcc_lo, exec_lo
	s_delay_alu instid0(SALU_CYCLE_1)
	s_or_b32 s1, s1, s4
	s_or_b32 exec_lo, exec_lo, s3
	s_and_saveexec_b32 s3, s1
	s_cbranch_execnz .LBB262_141
	s_branch .LBB262_142
.LBB262_264:
	v_bfe_u32 v2, v3, 21, 1
	s_mov_b32 s4, exec_lo
	s_delay_alu instid0(VALU_DEP_1) | instskip(NEXT) | instid1(VALU_DEP_1)
	v_add3_u32 v2, v3, v2, 0x88fffff
                                        ; implicit-def: $vgpr3
	v_lshrrev_b32_e32 v2, 21, v2
	s_and_not1_saveexec_b32 s5, s5
	s_cbranch_execz .LBB262_11
.LBB262_265:
	v_add_f32_e32 v2, 0x42800000, v3
	s_and_not1_b32 s4, s4, exec_lo
	s_delay_alu instid0(VALU_DEP_1) | instskip(NEXT) | instid1(VALU_DEP_1)
	v_and_b32_e32 v2, 0xff, v2
	v_cmp_ne_u32_e32 vcc_lo, 0, v2
	s_and_b32 s6, vcc_lo, exec_lo
	s_delay_alu instid0(SALU_CYCLE_1)
	s_or_b32 s4, s4, s6
	s_or_b32 exec_lo, exec_lo, s5
	v_mov_b32_e32 v4, 0
	s_and_saveexec_b32 s5, s4
	s_cbranch_execnz .LBB262_12
	s_branch .LBB262_13
.LBB262_266:
	s_mov_b32 s7, -1
	s_mov_b32 s9, exec_lo
	v_cmpx_eq_u16_e32 0x80, v4
; %bb.267:
	s_xor_b32 s7, exec_lo, -1
; %bb.268:
	s_or_b32 exec_lo, exec_lo, s9
	s_delay_alu instid0(SALU_CYCLE_1)
	s_and_b32 s7, s7, exec_lo
	s_or_saveexec_b32 s8, s8
	v_mov_b32_e32 v5, 0x7f800001
	s_xor_b32 exec_lo, exec_lo, s8
	s_cbranch_execz .LBB262_199
.LBB262_269:
	v_cmp_ne_u16_e32 vcc_lo, 0, v4
	v_mov_b32_e32 v5, 0
	s_and_not1_b32 s7, s7, exec_lo
	s_and_b32 s9, vcc_lo, exec_lo
	s_delay_alu instid0(SALU_CYCLE_1)
	s_or_b32 s7, s7, s9
	s_or_b32 exec_lo, exec_lo, s8
	s_and_saveexec_b32 s8, s7
	s_cbranch_execnz .LBB262_200
	s_branch .LBB262_201
.LBB262_270:
	v_bfe_u32 v3, v2, 21, 1
	s_mov_b32 s6, exec_lo
	s_delay_alu instid0(VALU_DEP_1) | instskip(NEXT) | instid1(VALU_DEP_1)
	v_add3_u32 v3, v2, v3, 0x88fffff
	v_lshrrev_b32_e32 v3, 21, v3
	s_and_not1_saveexec_b32 s7, s7
	s_cbranch_execz .LBB262_40
.LBB262_271:
	v_add_f32_e64 v3, 0x42800000, |v2|
	s_and_not1_b32 s6, s6, exec_lo
	s_delay_alu instid0(VALU_DEP_1) | instskip(NEXT) | instid1(VALU_DEP_1)
	v_and_b32_e32 v3, 0xff, v3
	v_cmp_ne_u32_e32 vcc_lo, 0, v3
	s_and_b32 s8, vcc_lo, exec_lo
	s_delay_alu instid0(SALU_CYCLE_1)
	s_or_b32 s6, s6, s8
	s_or_b32 exec_lo, exec_lo, s7
	v_mov_b32_e32 v4, 0
	s_and_saveexec_b32 s7, s6
	s_cbranch_execnz .LBB262_41
	s_branch .LBB262_42
.LBB262_272:
	v_bfe_u32 v3, v2, 21, 1
	s_mov_b32 s6, exec_lo
	s_delay_alu instid0(VALU_DEP_1) | instskip(NEXT) | instid1(VALU_DEP_1)
	v_add3_u32 v3, v2, v3, 0x88fffff
	v_lshrrev_b32_e32 v3, 21, v3
	s_and_not1_saveexec_b32 s7, s7
	s_cbranch_execz .LBB262_68
.LBB262_273:
	v_add_f32_e64 v3, 0x42800000, |v2|
	s_and_not1_b32 s6, s6, exec_lo
	s_delay_alu instid0(VALU_DEP_1) | instskip(NEXT) | instid1(VALU_DEP_1)
	v_and_b32_e32 v3, 0xff, v3
	v_cmp_ne_u32_e32 vcc_lo, 0, v3
	s_and_b32 s8, vcc_lo, exec_lo
	s_delay_alu instid0(SALU_CYCLE_1)
	s_or_b32 s6, s6, s8
	s_or_b32 exec_lo, exec_lo, s7
	v_mov_b32_e32 v4, 0
	s_and_saveexec_b32 s7, s6
	s_cbranch_execnz .LBB262_69
	s_branch .LBB262_70
.LBB262_274:
	v_bfe_u32 v3, v2, 21, 1
	s_mov_b32 s6, exec_lo
	s_delay_alu instid0(VALU_DEP_1) | instskip(NEXT) | instid1(VALU_DEP_1)
	v_add3_u32 v3, v2, v3, 0x88fffff
	v_lshrrev_b32_e32 v3, 21, v3
	s_and_not1_saveexec_b32 s7, s7
	s_cbranch_execz .LBB262_98
.LBB262_275:
	v_add_f32_e64 v3, 0x42800000, |v2|
	s_and_not1_b32 s6, s6, exec_lo
	s_delay_alu instid0(VALU_DEP_1) | instskip(NEXT) | instid1(VALU_DEP_1)
	v_and_b32_e32 v3, 0xff, v3
	v_cmp_ne_u32_e32 vcc_lo, 0, v3
	s_and_b32 s8, vcc_lo, exec_lo
	s_delay_alu instid0(SALU_CYCLE_1)
	s_or_b32 s6, s6, s8
	s_or_b32 exec_lo, exec_lo, s7
	v_mov_b32_e32 v4, 0
	s_and_saveexec_b32 s7, s6
	s_cbranch_execnz .LBB262_99
	s_branch .LBB262_100
.LBB262_276:
	v_bfe_u32 v3, v2, 21, 1
	s_mov_b32 s6, exec_lo
	s_delay_alu instid0(VALU_DEP_1) | instskip(NEXT) | instid1(VALU_DEP_1)
	v_add3_u32 v3, v2, v3, 0x88fffff
	v_lshrrev_b32_e32 v3, 21, v3
	s_and_not1_saveexec_b32 s7, s7
	s_cbranch_execz .LBB262_108
.LBB262_277:
	v_add_f32_e64 v3, 0x42800000, |v2|
	s_and_not1_b32 s6, s6, exec_lo
	s_delay_alu instid0(VALU_DEP_1) | instskip(NEXT) | instid1(VALU_DEP_1)
	v_and_b32_e32 v3, 0xff, v3
	v_cmp_ne_u32_e32 vcc_lo, 0, v3
	s_and_b32 s8, vcc_lo, exec_lo
	s_delay_alu instid0(SALU_CYCLE_1)
	s_or_b32 s6, s6, s8
	s_or_b32 exec_lo, exec_lo, s7
	v_mov_b32_e32 v4, 0
	s_and_saveexec_b32 s7, s6
	s_cbranch_execnz .LBB262_109
	s_branch .LBB262_110
.LBB262_278:
	v_bfe_u32 v2, v3, 21, 1
	s_mov_b32 s6, exec_lo
	s_delay_alu instid0(VALU_DEP_1) | instskip(NEXT) | instid1(VALU_DEP_1)
	v_add3_u32 v2, v3, v2, 0x88fffff
                                        ; implicit-def: $vgpr3
	v_lshrrev_b32_e32 v2, 21, v2
	s_and_not1_saveexec_b32 s7, s7
	s_cbranch_execz .LBB262_116
.LBB262_279:
	v_add_f32_e32 v2, 0x42800000, v3
	s_and_not1_b32 s6, s6, exec_lo
	s_delay_alu instid0(VALU_DEP_1) | instskip(NEXT) | instid1(VALU_DEP_1)
	v_and_b32_e32 v2, 0xff, v2
	v_cmp_ne_u32_e32 vcc_lo, 0, v2
	s_and_b32 s8, vcc_lo, exec_lo
	s_delay_alu instid0(SALU_CYCLE_1)
	s_or_b32 s6, s6, s8
	s_or_b32 exec_lo, exec_lo, s7
	v_mov_b32_e32 v4, 0
	s_and_saveexec_b32 s7, s6
	s_cbranch_execnz .LBB262_117
	s_branch .LBB262_118
.LBB262_280:
	v_bfe_u32 v4, v5, 21, 1
	s_mov_b32 s8, exec_lo
	s_delay_alu instid0(VALU_DEP_1) | instskip(NEXT) | instid1(VALU_DEP_1)
	v_add3_u32 v4, v5, v4, 0x88fffff
	v_lshrrev_b32_e32 v6, 21, v4
	s_and_not1_saveexec_b32 s9, s9
	s_cbranch_execz .LBB262_204
.LBB262_281:
	v_add_f32_e64 v4, 0x42800000, |v5|
	s_and_not1_b32 s8, s8, exec_lo
	s_delay_alu instid0(VALU_DEP_1) | instskip(NEXT) | instid1(VALU_DEP_1)
	v_and_b32_e32 v6, 0xff, v4
	v_cmp_ne_u32_e32 vcc_lo, 0, v6
	s_and_b32 s10, vcc_lo, exec_lo
	s_delay_alu instid0(SALU_CYCLE_1)
	s_or_b32 s8, s8, s10
	s_or_b32 exec_lo, exec_lo, s9
	v_mov_b32_e32 v4, 0
	s_and_saveexec_b32 s9, s8
	s_cbranch_execnz .LBB262_205
	s_branch .LBB262_206
.LBB262_282:
	v_bfe_u32 v4, v7, 21, 1
	s_mov_b32 s7, exec_lo
	s_delay_alu instid0(VALU_DEP_1) | instskip(NEXT) | instid1(VALU_DEP_1)
	v_add3_u32 v4, v5, v4, 0x88fffff
	v_lshrrev_b32_e32 v6, 21, v4
	s_and_not1_saveexec_b32 s8, s8
	s_cbranch_execz .LBB262_227
.LBB262_283:
	v_add_f32_e64 v4, 0x42800000, |v5|
	s_and_not1_b32 s7, s7, exec_lo
	s_delay_alu instid0(VALU_DEP_1) | instskip(NEXT) | instid1(VALU_DEP_1)
	v_and_b32_e32 v6, 0xff, v4
	v_cmp_ne_u32_e32 vcc_lo, 0, v6
	s_and_b32 s9, vcc_lo, exec_lo
	s_delay_alu instid0(SALU_CYCLE_1)
	s_or_b32 s7, s7, s9
	s_or_b32 exec_lo, exec_lo, s8
	v_mov_b32_e32 v4, 0
	s_and_saveexec_b32 s8, s7
	s_cbranch_execnz .LBB262_228
	s_branch .LBB262_229
.LBB262_284:
	v_bfe_u32 v3, v2, 21, 1
	s_mov_b32 s7, exec_lo
	s_delay_alu instid0(VALU_DEP_1) | instskip(NEXT) | instid1(VALU_DEP_1)
	v_add3_u32 v3, v2, v3, 0x88fffff
	v_lshrrev_b32_e32 v3, 21, v3
	s_and_not1_saveexec_b32 s8, s8
	s_cbranch_execz .LBB262_23
.LBB262_285:
	v_add_f32_e64 v3, 0x42800000, |v2|
	s_and_not1_b32 s7, s7, exec_lo
	s_delay_alu instid0(VALU_DEP_1) | instskip(NEXT) | instid1(VALU_DEP_1)
	v_and_b32_e32 v3, 0xff, v3
	v_cmp_ne_u32_e32 vcc_lo, 0, v3
	s_and_b32 s9, vcc_lo, exec_lo
	s_delay_alu instid0(SALU_CYCLE_1)
	s_or_b32 s7, s7, s9
	s_or_b32 exec_lo, exec_lo, s8
	v_mov_b32_e32 v4, 0
	s_and_saveexec_b32 s8, s7
	s_cbranch_execnz .LBB262_24
	s_branch .LBB262_25
.LBB262_286:
	v_bfe_u32 v3, v2, 21, 1
	s_mov_b32 s7, exec_lo
	s_delay_alu instid0(VALU_DEP_1) | instskip(NEXT) | instid1(VALU_DEP_1)
	v_add3_u32 v3, v2, v3, 0x88fffff
	v_lshrrev_b32_e32 v3, 21, v3
	s_and_not1_saveexec_b32 s8, s8
	s_cbranch_execz .LBB262_31
.LBB262_287:
	v_add_f32_e64 v3, 0x42800000, |v2|
	s_and_not1_b32 s7, s7, exec_lo
	s_delay_alu instid0(VALU_DEP_1) | instskip(NEXT) | instid1(VALU_DEP_1)
	v_and_b32_e32 v3, 0xff, v3
	v_cmp_ne_u32_e32 vcc_lo, 0, v3
	s_and_b32 s9, vcc_lo, exec_lo
	s_delay_alu instid0(SALU_CYCLE_1)
	s_or_b32 s7, s7, s9
	s_or_b32 exec_lo, exec_lo, s8
	v_mov_b32_e32 v4, 0
	s_and_saveexec_b32 s8, s7
	s_cbranch_execnz .LBB262_32
	s_branch .LBB262_33
.LBB262_288:
	v_bfe_u32 v3, v2, 21, 1
	s_mov_b32 s7, exec_lo
	s_delay_alu instid0(VALU_DEP_1) | instskip(NEXT) | instid1(VALU_DEP_1)
	v_add3_u32 v3, v2, v3, 0x88fffff
	v_lshrrev_b32_e32 v3, 21, v3
	s_and_not1_saveexec_b32 s8, s8
	s_cbranch_execz .LBB262_51
.LBB262_289:
	v_add_f32_e64 v3, 0x42800000, |v2|
	s_and_not1_b32 s7, s7, exec_lo
	s_delay_alu instid0(VALU_DEP_1) | instskip(NEXT) | instid1(VALU_DEP_1)
	v_and_b32_e32 v3, 0xff, v3
	v_cmp_ne_u32_e32 vcc_lo, 0, v3
	s_and_b32 s9, vcc_lo, exec_lo
	s_delay_alu instid0(SALU_CYCLE_1)
	s_or_b32 s7, s7, s9
	s_or_b32 exec_lo, exec_lo, s8
	v_mov_b32_e32 v4, 0
	s_and_saveexec_b32 s8, s7
	s_cbranch_execnz .LBB262_52
	s_branch .LBB262_53
.LBB262_290:
	v_bfe_u32 v3, v2, 21, 1
	s_mov_b32 s7, exec_lo
	s_delay_alu instid0(VALU_DEP_1) | instskip(NEXT) | instid1(VALU_DEP_1)
	v_add3_u32 v3, v2, v3, 0x88fffff
	v_lshrrev_b32_e32 v3, 21, v3
	s_and_not1_saveexec_b32 s8, s8
	s_cbranch_execz .LBB262_59
.LBB262_291:
	v_add_f32_e64 v3, 0x42800000, |v2|
	s_and_not1_b32 s7, s7, exec_lo
	s_delay_alu instid0(VALU_DEP_1) | instskip(NEXT) | instid1(VALU_DEP_1)
	v_and_b32_e32 v3, 0xff, v3
	v_cmp_ne_u32_e32 vcc_lo, 0, v3
	s_and_b32 s9, vcc_lo, exec_lo
	s_delay_alu instid0(SALU_CYCLE_1)
	s_or_b32 s7, s7, s9
	s_or_b32 exec_lo, exec_lo, s8
	v_mov_b32_e32 v4, 0
	s_and_saveexec_b32 s8, s7
	s_cbranch_execnz .LBB262_60
	s_branch .LBB262_61
.LBB262_292:
	v_bfe_u32 v3, v2, 21, 1
	s_mov_b32 s7, exec_lo
	s_delay_alu instid0(VALU_DEP_1) | instskip(NEXT) | instid1(VALU_DEP_1)
	v_add3_u32 v3, v2, v3, 0x88fffff
	v_lshrrev_b32_e32 v3, 21, v3
	s_and_not1_saveexec_b32 s8, s8
	s_cbranch_execz .LBB262_81
.LBB262_293:
	v_add_f32_e64 v3, 0x42800000, |v2|
	s_and_not1_b32 s7, s7, exec_lo
	s_delay_alu instid0(VALU_DEP_1) | instskip(NEXT) | instid1(VALU_DEP_1)
	v_and_b32_e32 v3, 0xff, v3
	v_cmp_ne_u32_e32 vcc_lo, 0, v3
	s_and_b32 s9, vcc_lo, exec_lo
	s_delay_alu instid0(SALU_CYCLE_1)
	s_or_b32 s7, s7, s9
	s_or_b32 exec_lo, exec_lo, s8
	v_mov_b32_e32 v4, 0
	s_and_saveexec_b32 s8, s7
	s_cbranch_execnz .LBB262_82
	s_branch .LBB262_83
.LBB262_294:
	v_bfe_u32 v3, v2, 21, 1
	s_mov_b32 s7, exec_lo
	s_delay_alu instid0(VALU_DEP_1) | instskip(NEXT) | instid1(VALU_DEP_1)
	v_add3_u32 v3, v2, v3, 0x88fffff
	v_lshrrev_b32_e32 v3, 21, v3
	s_and_not1_saveexec_b32 s8, s8
	s_cbranch_execz .LBB262_89
.LBB262_295:
	v_add_f32_e64 v3, 0x42800000, |v2|
	s_and_not1_b32 s7, s7, exec_lo
	s_delay_alu instid0(VALU_DEP_1) | instskip(NEXT) | instid1(VALU_DEP_1)
	v_and_b32_e32 v3, 0xff, v3
	v_cmp_ne_u32_e32 vcc_lo, 0, v3
	s_and_b32 s9, vcc_lo, exec_lo
	s_delay_alu instid0(SALU_CYCLE_1)
	s_or_b32 s7, s7, s9
	s_or_b32 exec_lo, exec_lo, s8
	v_mov_b32_e32 v4, 0
	s_and_saveexec_b32 s8, s7
	s_cbranch_execnz .LBB262_90
	s_branch .LBB262_91
.LBB262_296:
	v_bfe_u32 v4, v6, 21, 1
	s_mov_b32 s9, exec_lo
	s_delay_alu instid0(VALU_DEP_1) | instskip(NEXT) | instid1(VALU_DEP_1)
	v_add3_u32 v4, v6, v4, 0x88fffff
                                        ; implicit-def: $vgpr6
	v_lshrrev_b32_e32 v5, 21, v4
	s_and_not1_saveexec_b32 s10, s10
	s_cbranch_execz .LBB262_171
.LBB262_297:
	v_add_f32_e32 v4, 0x42800000, v6
	s_and_not1_b32 s9, s9, exec_lo
	s_delay_alu instid0(VALU_DEP_1) | instskip(NEXT) | instid1(VALU_DEP_1)
	v_and_b32_e32 v5, 0xff, v4
	v_cmp_ne_u32_e32 vcc_lo, 0, v5
	s_and_b32 s11, vcc_lo, exec_lo
	s_delay_alu instid0(SALU_CYCLE_1)
	s_or_b32 s9, s9, s11
	s_or_b32 exec_lo, exec_lo, s10
	v_mov_b32_e32 v4, 0
	s_and_saveexec_b32 s10, s9
	s_cbranch_execnz .LBB262_172
	s_branch .LBB262_173
.LBB262_298:
	v_bfe_u32 v4, v6, 21, 1
	s_mov_b32 s9, exec_lo
	s_delay_alu instid0(VALU_DEP_1) | instskip(NEXT) | instid1(VALU_DEP_1)
	v_add3_u32 v4, v6, v4, 0x88fffff
                                        ; implicit-def: $vgpr6
	v_lshrrev_b32_e32 v5, 21, v4
	s_and_not1_saveexec_b32 s10, s10
	s_cbranch_execz .LBB262_183
.LBB262_299:
	v_add_f32_e32 v4, 0x42800000, v6
	s_and_not1_b32 s9, s9, exec_lo
	s_delay_alu instid0(VALU_DEP_1) | instskip(NEXT) | instid1(VALU_DEP_1)
	v_and_b32_e32 v5, 0xff, v4
	v_cmp_ne_u32_e32 vcc_lo, 0, v5
	s_and_b32 s11, vcc_lo, exec_lo
	s_delay_alu instid0(SALU_CYCLE_1)
	s_or_b32 s9, s9, s11
	s_or_b32 exec_lo, exec_lo, s10
	v_mov_b32_e32 v4, 0
	s_and_saveexec_b32 s10, s9
	s_cbranch_execnz .LBB262_184
	s_branch .LBB262_185
.LBB262_300:
	v_bfe_u32 v4, v6, 21, 1
	s_mov_b32 s9, exec_lo
	s_delay_alu instid0(VALU_DEP_1) | instskip(NEXT) | instid1(VALU_DEP_1)
	v_add3_u32 v4, v6, v4, 0x88fffff
                                        ; implicit-def: $vgpr6
	v_lshrrev_b32_e32 v5, 21, v4
	s_and_not1_saveexec_b32 s10, s10
	s_cbranch_execz .LBB262_191
.LBB262_301:
	v_add_f32_e32 v4, 0x42800000, v6
	s_and_not1_b32 s9, s9, exec_lo
	s_delay_alu instid0(VALU_DEP_1) | instskip(NEXT) | instid1(VALU_DEP_1)
	v_and_b32_e32 v5, 0xff, v4
	v_cmp_ne_u32_e32 vcc_lo, 0, v5
	s_and_b32 s11, vcc_lo, exec_lo
	s_delay_alu instid0(SALU_CYCLE_1)
	s_or_b32 s9, s9, s11
	s_or_b32 exec_lo, exec_lo, s10
	v_mov_b32_e32 v4, 0
	s_and_saveexec_b32 s10, s9
	s_cbranch_execnz .LBB262_192
	s_branch .LBB262_193
.LBB262_302:
	v_bfe_u32 v4, v7, 21, 1
	s_mov_b32 s8, exec_lo
	s_delay_alu instid0(VALU_DEP_1) | instskip(NEXT) | instid1(VALU_DEP_1)
	v_add3_u32 v4, v5, v4, 0x88fffff
	v_lshrrev_b32_e32 v6, 21, v4
	s_and_not1_saveexec_b32 s9, s9
	s_cbranch_execz .LBB262_218
.LBB262_303:
	v_add_f32_e64 v4, 0x42800000, |v5|
	s_and_not1_b32 s8, s8, exec_lo
	s_delay_alu instid0(VALU_DEP_1) | instskip(NEXT) | instid1(VALU_DEP_1)
	v_and_b32_e32 v6, 0xff, v4
	v_cmp_ne_u32_e32 vcc_lo, 0, v6
	s_and_b32 s10, vcc_lo, exec_lo
	s_delay_alu instid0(SALU_CYCLE_1)
	s_or_b32 s8, s8, s10
	s_or_b32 exec_lo, exec_lo, s9
	v_mov_b32_e32 v4, 0
	s_and_saveexec_b32 s9, s8
	s_cbranch_execnz .LBB262_219
	s_branch .LBB262_220
.LBB262_304:
	v_bfe_u32 v4, v5, 5, 1
	s_mov_b32 s9, exec_lo
	s_delay_alu instid0(VALU_DEP_1) | instskip(NEXT) | instid1(VALU_DEP_1)
	v_add3_u32 v4, v7, v4, 0x88fffff
                                        ; implicit-def: $vgpr7
	v_lshrrev_b32_e32 v6, 21, v4
	s_and_not1_saveexec_b32 s10, s10
	s_cbranch_execz .LBB262_238
.LBB262_305:
	v_add_f32_e64 v4, 0x42800000, |v7|
	s_and_not1_b32 s9, s9, exec_lo
	s_delay_alu instid0(VALU_DEP_1) | instskip(NEXT) | instid1(VALU_DEP_1)
	v_and_b32_e32 v6, 0xff, v4
	v_cmp_ne_u32_e32 vcc_lo, 0, v6
	s_and_b32 s11, vcc_lo, exec_lo
	s_delay_alu instid0(SALU_CYCLE_1)
	s_or_b32 s9, s9, s11
	s_or_b32 exec_lo, exec_lo, s10
	v_mov_b32_e32 v4, 0
	s_and_saveexec_b32 s10, s9
	s_cbranch_execnz .LBB262_239
	s_branch .LBB262_240
.LBB262_306:
	v_bfe_u32 v4, v5, 21, 1
	s_mov_b32 s8, exec_lo
	s_delay_alu instid0(VALU_DEP_1) | instskip(NEXT) | instid1(VALU_DEP_1)
	v_add3_u32 v4, v5, v4, 0x88fffff
	v_lshrrev_b32_e32 v6, 21, v4
	s_and_not1_saveexec_b32 s9, s9
	s_cbranch_execz .LBB262_150
.LBB262_307:
	v_add_f32_e64 v4, 0x42800000, |v5|
	s_and_not1_b32 s8, s8, exec_lo
	s_delay_alu instid0(VALU_DEP_1) | instskip(NEXT) | instid1(VALU_DEP_1)
	v_and_b32_e32 v6, 0xff, v4
	v_cmp_ne_u32_e32 vcc_lo, 0, v6
	s_and_b32 s10, vcc_lo, exec_lo
	s_delay_alu instid0(SALU_CYCLE_1)
	s_or_b32 s8, s8, s10
	s_or_b32 exec_lo, exec_lo, s9
	v_mov_b32_e32 v4, 0
	s_and_saveexec_b32 s9, s8
	s_cbranch_execnz .LBB262_151
	s_branch .LBB262_152
.LBB262_308:
	v_bfe_u32 v4, v6, 21, 1
	s_mov_b32 s10, exec_lo
	s_delay_alu instid0(VALU_DEP_1) | instskip(NEXT) | instid1(VALU_DEP_1)
	v_add3_u32 v4, v6, v4, 0x88fffff
                                        ; implicit-def: $vgpr6
	v_lshrrev_b32_e32 v5, 21, v4
	s_and_not1_saveexec_b32 s11, s11
	s_cbranch_execz .LBB262_160
.LBB262_309:
	v_add_f32_e32 v4, 0x42800000, v6
	s_and_not1_b32 s10, s10, exec_lo
	s_delay_alu instid0(VALU_DEP_1) | instskip(NEXT) | instid1(VALU_DEP_1)
	v_and_b32_e32 v5, 0xff, v4
	v_cmp_ne_u32_e32 vcc_lo, 0, v5
	s_and_b32 s12, vcc_lo, exec_lo
	s_delay_alu instid0(SALU_CYCLE_1)
	s_or_b32 s10, s10, s12
	s_or_b32 exec_lo, exec_lo, s11
	v_mov_b32_e32 v4, 0
	s_and_saveexec_b32 s11, s10
	s_cbranch_execnz .LBB262_161
	s_branch .LBB262_162
.Lfunc_end262:
	.size	_ZN2at6native6invokeINS0_13AUnaryFunctorIN3c1015Float8_e5m2fnuzES4_bNS0_12_GLOBAL__N_116CompareEqFunctorIS4_EEEEi15function_traitsIS8_EEENT1_11result_typeERKT_PrKPcPKT0_PKNS3_10ScalarTypeEi, .Lfunc_end262-_ZN2at6native6invokeINS0_13AUnaryFunctorIN3c1015Float8_e5m2fnuzES4_bNS0_12_GLOBAL__N_116CompareEqFunctorIS4_EEEEi15function_traitsIS8_EEENT1_11result_typeERKT_PrKPcPKT0_PKNS3_10ScalarTypeEi
                                        ; -- End function
	.set .L_ZN2at6native6invokeINS0_13AUnaryFunctorIN3c1015Float8_e5m2fnuzES4_bNS0_12_GLOBAL__N_116CompareEqFunctorIS4_EEEEi15function_traitsIS8_EEENT1_11result_typeERKT_PrKPcPKT0_PKNS3_10ScalarTypeEi.num_vgpr, 10
	.set .L_ZN2at6native6invokeINS0_13AUnaryFunctorIN3c1015Float8_e5m2fnuzES4_bNS0_12_GLOBAL__N_116CompareEqFunctorIS4_EEEEi15function_traitsIS8_EEENT1_11result_typeERKT_PrKPcPKT0_PKNS3_10ScalarTypeEi.num_agpr, 0
	.set .L_ZN2at6native6invokeINS0_13AUnaryFunctorIN3c1015Float8_e5m2fnuzES4_bNS0_12_GLOBAL__N_116CompareEqFunctorIS4_EEEEi15function_traitsIS8_EEENT1_11result_typeERKT_PrKPcPKT0_PKNS3_10ScalarTypeEi.numbered_sgpr, 32
	.set .L_ZN2at6native6invokeINS0_13AUnaryFunctorIN3c1015Float8_e5m2fnuzES4_bNS0_12_GLOBAL__N_116CompareEqFunctorIS4_EEEEi15function_traitsIS8_EEENT1_11result_typeERKT_PrKPcPKT0_PKNS3_10ScalarTypeEi.num_named_barrier, 0
	.set .L_ZN2at6native6invokeINS0_13AUnaryFunctorIN3c1015Float8_e5m2fnuzES4_bNS0_12_GLOBAL__N_116CompareEqFunctorIS4_EEEEi15function_traitsIS8_EEENT1_11result_typeERKT_PrKPcPKT0_PKNS3_10ScalarTypeEi.private_seg_size, 0
	.set .L_ZN2at6native6invokeINS0_13AUnaryFunctorIN3c1015Float8_e5m2fnuzES4_bNS0_12_GLOBAL__N_116CompareEqFunctorIS4_EEEEi15function_traitsIS8_EEENT1_11result_typeERKT_PrKPcPKT0_PKNS3_10ScalarTypeEi.uses_vcc, 1
	.set .L_ZN2at6native6invokeINS0_13AUnaryFunctorIN3c1015Float8_e5m2fnuzES4_bNS0_12_GLOBAL__N_116CompareEqFunctorIS4_EEEEi15function_traitsIS8_EEENT1_11result_typeERKT_PrKPcPKT0_PKNS3_10ScalarTypeEi.uses_flat_scratch, 0
	.set .L_ZN2at6native6invokeINS0_13AUnaryFunctorIN3c1015Float8_e5m2fnuzES4_bNS0_12_GLOBAL__N_116CompareEqFunctorIS4_EEEEi15function_traitsIS8_EEENT1_11result_typeERKT_PrKPcPKT0_PKNS3_10ScalarTypeEi.has_dyn_sized_stack, 0
	.set .L_ZN2at6native6invokeINS0_13AUnaryFunctorIN3c1015Float8_e5m2fnuzES4_bNS0_12_GLOBAL__N_116CompareEqFunctorIS4_EEEEi15function_traitsIS8_EEENT1_11result_typeERKT_PrKPcPKT0_PKNS3_10ScalarTypeEi.has_recursion, 0
	.set .L_ZN2at6native6invokeINS0_13AUnaryFunctorIN3c1015Float8_e5m2fnuzES4_bNS0_12_GLOBAL__N_116CompareEqFunctorIS4_EEEEi15function_traitsIS8_EEENT1_11result_typeERKT_PrKPcPKT0_PKNS3_10ScalarTypeEi.has_indirect_call, 0
	.section	.AMDGPU.csdata,"",@progbits
; Function info:
; codeLenInByte = 8036
; TotalNumSgprs: 34
; NumVgprs: 10
; ScratchSize: 0
; MemoryBound: 0
	.section	.text._ZN2at6native32elementwise_kernel_manual_unrollILi128ELi4EZNS0_15gpu_kernel_implINS0_13AUnaryFunctorIN3c1015Float8_e5m2fnuzES5_bNS0_12_GLOBAL__N_116CompareEqFunctorIS5_EEEEEEvRNS_18TensorIteratorBaseERKT_EUlibE_EEviT1_,"axG",@progbits,_ZN2at6native32elementwise_kernel_manual_unrollILi128ELi4EZNS0_15gpu_kernel_implINS0_13AUnaryFunctorIN3c1015Float8_e5m2fnuzES5_bNS0_12_GLOBAL__N_116CompareEqFunctorIS5_EEEEEEvRNS_18TensorIteratorBaseERKT_EUlibE_EEviT1_,comdat
	.globl	_ZN2at6native32elementwise_kernel_manual_unrollILi128ELi4EZNS0_15gpu_kernel_implINS0_13AUnaryFunctorIN3c1015Float8_e5m2fnuzES5_bNS0_12_GLOBAL__N_116CompareEqFunctorIS5_EEEEEEvRNS_18TensorIteratorBaseERKT_EUlibE_EEviT1_ ; -- Begin function _ZN2at6native32elementwise_kernel_manual_unrollILi128ELi4EZNS0_15gpu_kernel_implINS0_13AUnaryFunctorIN3c1015Float8_e5m2fnuzES5_bNS0_12_GLOBAL__N_116CompareEqFunctorIS5_EEEEEEvRNS_18TensorIteratorBaseERKT_EUlibE_EEviT1_
	.p2align	8
	.type	_ZN2at6native32elementwise_kernel_manual_unrollILi128ELi4EZNS0_15gpu_kernel_implINS0_13AUnaryFunctorIN3c1015Float8_e5m2fnuzES5_bNS0_12_GLOBAL__N_116CompareEqFunctorIS5_EEEEEEvRNS_18TensorIteratorBaseERKT_EUlibE_EEviT1_,@function
_ZN2at6native32elementwise_kernel_manual_unrollILi128ELi4EZNS0_15gpu_kernel_implINS0_13AUnaryFunctorIN3c1015Float8_e5m2fnuzES5_bNS0_12_GLOBAL__N_116CompareEqFunctorIS5_EEEEEEvRNS_18TensorIteratorBaseERKT_EUlibE_EEviT1_: ; @_ZN2at6native32elementwise_kernel_manual_unrollILi128ELi4EZNS0_15gpu_kernel_implINS0_13AUnaryFunctorIN3c1015Float8_e5m2fnuzES5_bNS0_12_GLOBAL__N_116CompareEqFunctorIS5_EEEEEEvRNS_18TensorIteratorBaseERKT_EUlibE_EEviT1_
; %bb.0:
	s_load_b32 s24, s[0:1], 0x28
	s_bfe_u32 s3, ttmp6, 0x4000c
	s_clause 0x1
	s_load_b32 s15, s[0:1], 0x0
	s_load_b256 s[16:23], s[0:1], 0x8
	s_add_co_i32 s3, s3, 1
	s_and_b32 s2, ttmp6, 15
	s_wait_xcnt 0x0
	s_mul_i32 s0, ttmp9, s3
	s_getreg_b32 s4, hwreg(HW_REG_IB_STS2, 6, 4)
	s_add_co_i32 s2, s2, s0
	s_mov_b32 s13, 0
	s_mov_b32 s26, 0
	;; [unrolled: 1-line block ×3, first 2 shown]
	s_wait_kmcnt 0x0
	s_bfe_u32 s25, s24, 0x80008
	s_cmp_eq_u32 s4, 0
	s_cselect_b32 s0, ttmp9, s2
	s_delay_alu instid0(SALU_CYCLE_1) | instskip(SKIP_1) | instid1(VALU_DEP_1)
	v_lshl_or_b32 v10, s0, 9, v0
	s_mov_b32 s0, exec_lo
	v_or_b32_e32 v11, 0x180, v10
	s_delay_alu instid0(VALU_DEP_1)
	v_cmpx_le_i32_e64 s15, v11
	s_xor_b32 s14, exec_lo, s0
	s_cbranch_execz .LBB263_512
; %bb.1:
	s_mov_b32 s0, -1
	s_mov_b32 s28, 0
	s_mov_b32 s27, exec_lo
	v_cmpx_gt_i32_e64 s15, v10
	s_cbranch_execz .LBB263_124
; %bb.2:
	v_dual_mov_b32 v0, s22 :: v_dual_mov_b32 v1, s23
	v_dual_mov_b32 v2, s18 :: v_dual_mov_b32 v3, s19
	;; [unrolled: 1-line block ×3, first 2 shown]
	v_mov_b32_e32 v6, v10
	s_get_pc_i64 s[0:1]
	s_add_nc_u64 s[0:1], s[0:1], _ZN2at6native6invokeINS0_13AUnaryFunctorIN3c1015Float8_e5m2fnuzES4_bNS0_12_GLOBAL__N_116CompareEqFunctorIS4_EEEEi15function_traitsIS8_EEENT1_11result_typeERKT_PrKPcPKT0_PKNS3_10ScalarTypeEi@rel64+4
	s_delay_alu instid0(SALU_CYCLE_1) | instskip(SKIP_2) | instid1(SALU_CYCLE_1)
	s_swap_pc_i64 s[30:31], s[0:1]
	v_and_b32_e32 v0, 1, v0
	s_and_b32 s2, s24, 0xff
	s_cmp_lt_i32 s2, 11
	s_delay_alu instid0(VALU_DEP_1) | instskip(SKIP_1) | instid1(VALU_DEP_1)
	v_cmp_eq_u32_e64 s0, 1, v0
	v_mul_lo_u32 v0, v10, s20
	v_ashrrev_i32_e32 v1, 31, v0
	s_delay_alu instid0(VALU_DEP_1)
	v_add_nc_u64_e32 v[0:1], s[16:17], v[0:1]
	s_cbranch_scc1 .LBB263_9
; %bb.3:
	s_and_b32 s3, 0xffff, s2
	s_delay_alu instid0(SALU_CYCLE_1)
	s_cmp_gt_i32 s3, 25
	s_cbranch_scc0 .LBB263_12
; %bb.4:
	s_cmp_gt_i32 s3, 28
	s_cbranch_scc0 .LBB263_13
; %bb.5:
	;; [unrolled: 3-line block ×4, first 2 shown]
	s_mov_b32 s5, 0
	s_mov_b32 s1, -1
	s_cmp_eq_u32 s3, 46
	s_mov_b32 s4, 0
	s_cbranch_scc0 .LBB263_16
; %bb.8:
	v_cndmask_b32_e64 v2, 0, 1.0, s0
	s_mov_b32 s4, -1
	s_mov_b32 s1, 0
	s_delay_alu instid0(VALU_DEP_1) | instskip(NEXT) | instid1(VALU_DEP_1)
	v_bfe_u32 v3, v2, 16, 1
	v_add3_u32 v2, v2, v3, 0x7fff
	s_delay_alu instid0(VALU_DEP_1)
	v_lshrrev_b32_e32 v2, 16, v2
	global_store_b32 v[0:1], v2, off
	s_branch .LBB263_16
.LBB263_9:
	s_mov_b32 s1, 0
	s_mov_b32 s4, 0
	s_cbranch_execnz .LBB263_84
.LBB263_10:
	s_and_not1_b32 vcc_lo, exec_lo, s4
	s_cbranch_vccnz .LBB263_122
.LBB263_11:
	v_add_nc_u32_e32 v10, 0x80, v10
	s_mov_b32 s0, -1
	s_branch .LBB263_123
.LBB263_12:
	s_mov_b32 s1, 0
	s_mov_b32 s4, 0
	s_cbranch_execnz .LBB263_43
	s_branch .LBB263_83
.LBB263_13:
	s_mov_b32 s5, -1
	s_mov_b32 s1, 0
	s_mov_b32 s4, 0
	s_branch .LBB263_26
.LBB263_14:
	s_mov_b32 s5, -1
	s_mov_b32 s1, 0
	s_mov_b32 s4, 0
	s_branch .LBB263_22
.LBB263_15:
	s_mov_b32 s5, -1
	s_mov_b32 s1, 0
	s_mov_b32 s4, 0
.LBB263_16:
	s_and_b32 vcc_lo, exec_lo, s5
	s_cbranch_vccz .LBB263_21
; %bb.17:
	s_cmp_eq_u32 s3, 44
	s_mov_b32 s1, -1
	s_cbranch_scc0 .LBB263_21
; %bb.18:
	v_cndmask_b32_e64 v4, 0, 1.0, s0
	s_mov_b32 s4, exec_lo
	s_wait_xcnt 0x0
	s_delay_alu instid0(VALU_DEP_1) | instskip(NEXT) | instid1(VALU_DEP_1)
	v_dual_mov_b32 v3, 0xff :: v_dual_lshrrev_b32 v2, 23, v4
	v_cmpx_ne_u32_e32 0xff, v2
; %bb.19:
	v_and_b32_e32 v3, 0x400000, v4
	v_and_or_b32 v4, 0x3fffff, v4, v2
	s_delay_alu instid0(VALU_DEP_2) | instskip(NEXT) | instid1(VALU_DEP_2)
	v_cmp_ne_u32_e32 vcc_lo, 0, v3
	v_cmp_ne_u32_e64 s1, 0, v4
	s_and_b32 s1, vcc_lo, s1
	s_delay_alu instid0(SALU_CYCLE_1) | instskip(NEXT) | instid1(VALU_DEP_1)
	v_cndmask_b32_e64 v3, 0, 1, s1
	v_add_nc_u32_e32 v3, v2, v3
; %bb.20:
	s_or_b32 exec_lo, exec_lo, s4
	s_mov_b32 s4, -1
	s_mov_b32 s1, 0
	global_store_b8 v[0:1], v3, off
.LBB263_21:
	s_mov_b32 s5, 0
.LBB263_22:
	s_delay_alu instid0(SALU_CYCLE_1)
	s_and_b32 vcc_lo, exec_lo, s5
	s_cbranch_vccz .LBB263_25
; %bb.23:
	s_cmp_eq_u32 s3, 29
	s_mov_b32 s1, -1
	s_cbranch_scc0 .LBB263_25
; %bb.24:
	s_mov_b32 s1, 0
	s_wait_xcnt 0x0
	v_cndmask_b32_e64 v2, 0, 1, s0
	v_mov_b32_e32 v3, s1
	s_mov_b32 s4, -1
	s_mov_b32 s5, 0
	global_store_b64 v[0:1], v[2:3], off
	s_branch .LBB263_26
.LBB263_25:
	s_mov_b32 s5, 0
.LBB263_26:
	s_delay_alu instid0(SALU_CYCLE_1)
	s_and_b32 vcc_lo, exec_lo, s5
	s_cbranch_vccz .LBB263_42
; %bb.27:
	s_cmp_lt_i32 s3, 27
	s_mov_b32 s4, -1
	s_cbranch_scc1 .LBB263_33
; %bb.28:
	s_cmp_gt_i32 s3, 27
	s_cbranch_scc0 .LBB263_30
; %bb.29:
	s_wait_xcnt 0x0
	v_cndmask_b32_e64 v2, 0, 1, s0
	s_mov_b32 s4, 0
	global_store_b32 v[0:1], v2, off
.LBB263_30:
	s_and_not1_b32 vcc_lo, exec_lo, s4
	s_cbranch_vccnz .LBB263_32
; %bb.31:
	s_wait_xcnt 0x0
	v_cndmask_b32_e64 v2, 0, 1, s0
	global_store_b16 v[0:1], v2, off
.LBB263_32:
	s_mov_b32 s4, 0
.LBB263_33:
	s_delay_alu instid0(SALU_CYCLE_1)
	s_and_not1_b32 vcc_lo, exec_lo, s4
	s_cbranch_vccnz .LBB263_41
; %bb.34:
	s_wait_xcnt 0x0
	v_cndmask_b32_e64 v3, 0, 1.0, s0
	v_mov_b32_e32 v4, 0x80
	s_mov_b32 s4, exec_lo
	s_delay_alu instid0(VALU_DEP_2)
	v_cmpx_gt_u32_e32 0x43800000, v3
	s_cbranch_execz .LBB263_40
; %bb.35:
	s_mov_b32 s5, 0
	s_mov_b32 s6, exec_lo
                                        ; implicit-def: $vgpr2
	v_cmpx_lt_u32_e32 0x3bffffff, v3
	s_xor_b32 s6, exec_lo, s6
	s_cbranch_execz .LBB263_141
; %bb.36:
	v_bfe_u32 v2, v3, 20, 1
	s_mov_b32 s5, exec_lo
	s_delay_alu instid0(VALU_DEP_1) | instskip(NEXT) | instid1(VALU_DEP_1)
	v_add3_u32 v2, v3, v2, 0x487ffff
                                        ; implicit-def: $vgpr3
	v_lshrrev_b32_e32 v2, 20, v2
	s_and_not1_saveexec_b32 s6, s6
	s_cbranch_execnz .LBB263_142
.LBB263_37:
	s_or_b32 exec_lo, exec_lo, s6
	v_mov_b32_e32 v4, 0
	s_and_saveexec_b32 s6, s5
.LBB263_38:
	v_mov_b32_e32 v4, v2
.LBB263_39:
	s_or_b32 exec_lo, exec_lo, s6
.LBB263_40:
	s_delay_alu instid0(SALU_CYCLE_1)
	s_or_b32 exec_lo, exec_lo, s4
	global_store_b8 v[0:1], v4, off
.LBB263_41:
	s_mov_b32 s4, -1
.LBB263_42:
	s_branch .LBB263_83
.LBB263_43:
	s_cmp_gt_i32 s3, 22
	s_mov_b32 s5, -1
	s_cbranch_scc0 .LBB263_75
; %bb.44:
	s_cmp_lt_i32 s3, 24
	s_mov_b32 s4, -1
	s_cbranch_scc1 .LBB263_64
; %bb.45:
	s_cmp_gt_i32 s3, 24
	s_cbranch_scc0 .LBB263_53
; %bb.46:
	s_wait_xcnt 0x0
	v_cndmask_b32_e64 v3, 0, 1.0, s0
	v_mov_b32_e32 v4, 0x80
	s_mov_b32 s4, exec_lo
	s_delay_alu instid0(VALU_DEP_2)
	v_cmpx_gt_u32_e32 0x47800000, v3
	s_cbranch_execz .LBB263_52
; %bb.47:
	s_mov_b32 s5, 0
	s_mov_b32 s6, exec_lo
                                        ; implicit-def: $vgpr2
	v_cmpx_lt_u32_e32 0x37ffffff, v3
	s_xor_b32 s6, exec_lo, s6
	s_cbranch_execz .LBB263_144
; %bb.48:
	v_bfe_u32 v2, v3, 21, 1
	s_mov_b32 s5, exec_lo
	s_delay_alu instid0(VALU_DEP_1) | instskip(NEXT) | instid1(VALU_DEP_1)
	v_add3_u32 v2, v3, v2, 0x88fffff
                                        ; implicit-def: $vgpr3
	v_lshrrev_b32_e32 v2, 21, v2
	s_and_not1_saveexec_b32 s6, s6
	s_cbranch_execnz .LBB263_145
.LBB263_49:
	s_or_b32 exec_lo, exec_lo, s6
	v_mov_b32_e32 v4, 0
	s_and_saveexec_b32 s6, s5
.LBB263_50:
	v_mov_b32_e32 v4, v2
.LBB263_51:
	s_or_b32 exec_lo, exec_lo, s6
.LBB263_52:
	s_delay_alu instid0(SALU_CYCLE_1)
	s_or_b32 exec_lo, exec_lo, s4
	s_mov_b32 s4, 0
	global_store_b8 v[0:1], v4, off
.LBB263_53:
	s_and_b32 vcc_lo, exec_lo, s4
	s_cbranch_vccz .LBB263_63
; %bb.54:
	s_wait_xcnt 0x0
	v_cndmask_b32_e64 v3, 0, 1.0, s0
	s_mov_b32 s4, exec_lo
                                        ; implicit-def: $vgpr2
	s_delay_alu instid0(VALU_DEP_1)
	v_cmpx_gt_u32_e32 0x43f00000, v3
	s_xor_b32 s4, exec_lo, s4
	s_cbranch_execz .LBB263_60
; %bb.55:
	s_mov_b32 s5, exec_lo
                                        ; implicit-def: $vgpr2
	v_cmpx_lt_u32_e32 0x3c7fffff, v3
	s_xor_b32 s5, exec_lo, s5
; %bb.56:
	v_bfe_u32 v2, v3, 20, 1
	s_delay_alu instid0(VALU_DEP_1) | instskip(NEXT) | instid1(VALU_DEP_1)
	v_add3_u32 v2, v3, v2, 0x407ffff
	v_and_b32_e32 v3, 0xff00000, v2
	v_lshrrev_b32_e32 v2, 20, v2
	s_delay_alu instid0(VALU_DEP_2) | instskip(NEXT) | instid1(VALU_DEP_2)
	v_cmp_ne_u32_e32 vcc_lo, 0x7f00000, v3
                                        ; implicit-def: $vgpr3
	v_cndmask_b32_e32 v2, 0x7e, v2, vcc_lo
; %bb.57:
	s_and_not1_saveexec_b32 s5, s5
; %bb.58:
	v_add_f32_e32 v2, 0x46800000, v3
; %bb.59:
	s_or_b32 exec_lo, exec_lo, s5
                                        ; implicit-def: $vgpr3
.LBB263_60:
	s_and_not1_saveexec_b32 s4, s4
; %bb.61:
	v_mov_b32_e32 v2, 0x7f
	v_cmp_lt_u32_e32 vcc_lo, 0x7f800000, v3
	s_delay_alu instid0(VALU_DEP_2)
	v_cndmask_b32_e32 v2, 0x7e, v2, vcc_lo
; %bb.62:
	s_or_b32 exec_lo, exec_lo, s4
	global_store_b8 v[0:1], v2, off
.LBB263_63:
	s_mov_b32 s4, 0
.LBB263_64:
	s_delay_alu instid0(SALU_CYCLE_1)
	s_and_not1_b32 vcc_lo, exec_lo, s4
	s_cbranch_vccnz .LBB263_74
; %bb.65:
	s_wait_xcnt 0x0
	v_cndmask_b32_e64 v3, 0, 1.0, s0
	s_mov_b32 s4, exec_lo
                                        ; implicit-def: $vgpr2
	s_delay_alu instid0(VALU_DEP_1)
	v_cmpx_gt_u32_e32 0x47800000, v3
	s_xor_b32 s4, exec_lo, s4
	s_cbranch_execz .LBB263_71
; %bb.66:
	s_mov_b32 s5, exec_lo
                                        ; implicit-def: $vgpr2
	v_cmpx_lt_u32_e32 0x387fffff, v3
	s_xor_b32 s5, exec_lo, s5
; %bb.67:
	v_bfe_u32 v2, v3, 21, 1
	s_delay_alu instid0(VALU_DEP_1) | instskip(NEXT) | instid1(VALU_DEP_1)
	v_add3_u32 v2, v3, v2, 0x80fffff
                                        ; implicit-def: $vgpr3
	v_lshrrev_b32_e32 v2, 21, v2
; %bb.68:
	s_and_not1_saveexec_b32 s5, s5
; %bb.69:
	v_add_f32_e32 v2, 0x43000000, v3
; %bb.70:
	s_or_b32 exec_lo, exec_lo, s5
                                        ; implicit-def: $vgpr3
.LBB263_71:
	s_and_not1_saveexec_b32 s4, s4
; %bb.72:
	v_mov_b32_e32 v2, 0x7f
	v_cmp_lt_u32_e32 vcc_lo, 0x7f800000, v3
	s_delay_alu instid0(VALU_DEP_2)
	v_cndmask_b32_e32 v2, 0x7c, v2, vcc_lo
; %bb.73:
	s_or_b32 exec_lo, exec_lo, s4
	global_store_b8 v[0:1], v2, off
.LBB263_74:
	s_mov_b32 s5, 0
	s_mov_b32 s4, -1
.LBB263_75:
	s_and_not1_b32 vcc_lo, exec_lo, s5
	s_cbranch_vccnz .LBB263_83
; %bb.76:
	s_cmp_gt_i32 s3, 14
	s_mov_b32 s5, -1
	s_cbranch_scc0 .LBB263_80
; %bb.77:
	s_cmp_eq_u32 s3, 15
	s_mov_b32 s1, -1
	s_cbranch_scc0 .LBB263_79
; %bb.78:
	s_wait_xcnt 0x0
	v_cndmask_b32_e64 v2, 0, 1.0, s0
	s_mov_b32 s4, -1
	s_mov_b32 s1, 0
	s_delay_alu instid0(VALU_DEP_1) | instskip(NEXT) | instid1(VALU_DEP_1)
	v_bfe_u32 v3, v2, 16, 1
	v_add3_u32 v2, v2, v3, 0x7fff
	global_store_d16_hi_b16 v[0:1], v2, off
.LBB263_79:
	s_mov_b32 s5, 0
.LBB263_80:
	s_delay_alu instid0(SALU_CYCLE_1)
	s_and_b32 vcc_lo, exec_lo, s5
	s_cbranch_vccz .LBB263_83
; %bb.81:
	s_cmp_eq_u32 s3, 11
	s_mov_b32 s1, -1
	s_cbranch_scc0 .LBB263_83
; %bb.82:
	s_wait_xcnt 0x0
	v_cndmask_b32_e64 v2, 0, 1, s0
	s_mov_b32 s4, -1
	s_mov_b32 s1, 0
	global_store_b8 v[0:1], v2, off
.LBB263_83:
	s_branch .LBB263_10
.LBB263_84:
	s_and_b32 s2, 0xffff, s2
	s_mov_b32 s3, -1
	s_cmp_lt_i32 s2, 5
	s_cbranch_scc1 .LBB263_105
; %bb.85:
	s_cmp_lt_i32 s2, 8
	s_cbranch_scc1 .LBB263_95
; %bb.86:
	;; [unrolled: 3-line block ×3, first 2 shown]
	s_cmp_gt_i32 s2, 9
	s_cbranch_scc0 .LBB263_89
; %bb.88:
	s_wait_xcnt 0x0
	v_cndmask_b32_e64 v2, 0, 1, s0
	v_mov_b32_e32 v4, 0
	s_mov_b32 s3, 0
	s_delay_alu instid0(VALU_DEP_2) | instskip(NEXT) | instid1(VALU_DEP_2)
	v_cvt_f64_u32_e32 v[2:3], v2
	v_mov_b32_e32 v5, v4
	global_store_b128 v[0:1], v[2:5], off
.LBB263_89:
	s_and_not1_b32 vcc_lo, exec_lo, s3
	s_cbranch_vccnz .LBB263_91
; %bb.90:
	s_wait_xcnt 0x0
	v_cndmask_b32_e64 v2, 0, 1.0, s0
	v_mov_b32_e32 v3, 0
	global_store_b64 v[0:1], v[2:3], off
.LBB263_91:
	s_mov_b32 s3, 0
.LBB263_92:
	s_delay_alu instid0(SALU_CYCLE_1)
	s_and_not1_b32 vcc_lo, exec_lo, s3
	s_cbranch_vccnz .LBB263_94
; %bb.93:
	s_wait_xcnt 0x0
	v_cndmask_b32_e64 v2, 0, 1.0, s0
	s_delay_alu instid0(VALU_DEP_1) | instskip(NEXT) | instid1(VALU_DEP_1)
	v_cvt_f16_f32_e32 v2, v2
	v_and_b32_e32 v2, 0xffff, v2
	global_store_b32 v[0:1], v2, off
.LBB263_94:
	s_mov_b32 s3, 0
.LBB263_95:
	s_delay_alu instid0(SALU_CYCLE_1)
	s_and_not1_b32 vcc_lo, exec_lo, s3
	s_cbranch_vccnz .LBB263_104
; %bb.96:
	s_cmp_lt_i32 s2, 6
	s_mov_b32 s3, -1
	s_cbranch_scc1 .LBB263_102
; %bb.97:
	s_cmp_gt_i32 s2, 6
	s_cbranch_scc0 .LBB263_99
; %bb.98:
	s_wait_xcnt 0x0
	v_cndmask_b32_e64 v2, 0, 1, s0
	s_mov_b32 s3, 0
	s_delay_alu instid0(VALU_DEP_1)
	v_cvt_f64_u32_e32 v[2:3], v2
	global_store_b64 v[0:1], v[2:3], off
.LBB263_99:
	s_and_not1_b32 vcc_lo, exec_lo, s3
	s_cbranch_vccnz .LBB263_101
; %bb.100:
	s_wait_xcnt 0x0
	v_cndmask_b32_e64 v2, 0, 1.0, s0
	global_store_b32 v[0:1], v2, off
.LBB263_101:
	s_mov_b32 s3, 0
.LBB263_102:
	s_delay_alu instid0(SALU_CYCLE_1)
	s_and_not1_b32 vcc_lo, exec_lo, s3
	s_cbranch_vccnz .LBB263_104
; %bb.103:
	s_wait_xcnt 0x0
	v_cndmask_b32_e64 v2, 0, 1.0, s0
	s_delay_alu instid0(VALU_DEP_1)
	v_cvt_f16_f32_e32 v2, v2
	global_store_b16 v[0:1], v2, off
.LBB263_104:
	s_mov_b32 s3, 0
.LBB263_105:
	s_delay_alu instid0(SALU_CYCLE_1)
	s_and_not1_b32 vcc_lo, exec_lo, s3
	s_cbranch_vccnz .LBB263_121
; %bb.106:
	s_cmp_lt_i32 s2, 2
	s_mov_b32 s3, -1
	s_cbranch_scc1 .LBB263_116
; %bb.107:
	s_cmp_lt_i32 s2, 3
	s_cbranch_scc1 .LBB263_113
; %bb.108:
	s_cmp_gt_i32 s2, 3
	s_cbranch_scc0 .LBB263_110
; %bb.109:
	s_mov_b32 s3, 0
	s_wait_xcnt 0x0
	v_cndmask_b32_e64 v2, 0, 1, s0
	v_mov_b32_e32 v3, s3
	global_store_b64 v[0:1], v[2:3], off
.LBB263_110:
	s_and_not1_b32 vcc_lo, exec_lo, s3
	s_cbranch_vccnz .LBB263_112
; %bb.111:
	s_wait_xcnt 0x0
	v_cndmask_b32_e64 v2, 0, 1, s0
	global_store_b32 v[0:1], v2, off
.LBB263_112:
	s_mov_b32 s3, 0
.LBB263_113:
	s_delay_alu instid0(SALU_CYCLE_1)
	s_and_not1_b32 vcc_lo, exec_lo, s3
	s_cbranch_vccnz .LBB263_115
; %bb.114:
	s_wait_xcnt 0x0
	v_cndmask_b32_e64 v2, 0, 1, s0
	global_store_b16 v[0:1], v2, off
.LBB263_115:
	s_mov_b32 s3, 0
.LBB263_116:
	s_delay_alu instid0(SALU_CYCLE_1)
	s_and_not1_b32 vcc_lo, exec_lo, s3
	s_cbranch_vccnz .LBB263_121
; %bb.117:
	s_wait_xcnt 0x0
	v_cndmask_b32_e64 v2, 0, 1, s0
	s_cmp_gt_i32 s2, 0
	s_mov_b32 s0, -1
	s_cbranch_scc0 .LBB263_119
; %bb.118:
	s_mov_b32 s0, 0
	global_store_b8 v[0:1], v2, off
.LBB263_119:
	s_and_not1_b32 vcc_lo, exec_lo, s0
	s_cbranch_vccnz .LBB263_121
; %bb.120:
	global_store_b8 v[0:1], v2, off
.LBB263_121:
	s_branch .LBB263_11
.LBB263_122:
	s_mov_b32 s0, 0
                                        ; implicit-def: $vgpr10
.LBB263_123:
	s_and_b32 s26, s1, exec_lo
	s_or_not1_b32 s0, s0, exec_lo
.LBB263_124:
	s_wait_xcnt 0x0
	s_or_b32 exec_lo, exec_lo, s27
	s_mov_b32 s3, 0
                                        ; implicit-def: $sgpr1
                                        ; implicit-def: $sgpr2
                                        ; implicit-def: $vgpr0_vgpr1
	s_and_saveexec_b32 s27, s0
	s_cbranch_execz .LBB263_133
; %bb.125:
	s_mov_b32 s4, -1
	s_mov_b32 s28, s26
	s_mov_b32 s29, exec_lo
	v_cmpx_gt_i32_e64 s15, v10
	s_cbranch_execz .LBB263_256
; %bb.126:
	v_dual_mov_b32 v0, s22 :: v_dual_mov_b32 v1, s23
	v_dual_mov_b32 v2, s18 :: v_dual_mov_b32 v3, s19
	;; [unrolled: 1-line block ×3, first 2 shown]
	v_mov_b32_e32 v6, v10
	s_get_pc_i64 s[0:1]
	s_add_nc_u64 s[0:1], s[0:1], _ZN2at6native6invokeINS0_13AUnaryFunctorIN3c1015Float8_e5m2fnuzES4_bNS0_12_GLOBAL__N_116CompareEqFunctorIS4_EEEEi15function_traitsIS8_EEENT1_11result_typeERKT_PrKPcPKT0_PKNS3_10ScalarTypeEi@rel64+4
	s_delay_alu instid0(SALU_CYCLE_1) | instskip(SKIP_2) | instid1(SALU_CYCLE_1)
	s_swap_pc_i64 s[30:31], s[0:1]
	v_and_b32_e32 v0, 1, v0
	s_and_b32 s2, s24, 0xff
	s_cmp_lt_i32 s2, 11
	s_delay_alu instid0(VALU_DEP_1) | instskip(SKIP_1) | instid1(VALU_DEP_1)
	v_cmp_eq_u32_e64 s0, 1, v0
	v_mul_lo_u32 v0, v10, s20
	v_ashrrev_i32_e32 v1, 31, v0
	s_delay_alu instid0(VALU_DEP_1)
	v_add_nc_u64_e32 v[0:1], s[16:17], v[0:1]
	s_cbranch_scc1 .LBB263_136
; %bb.127:
	s_and_b32 s3, 0xffff, s2
	s_delay_alu instid0(SALU_CYCLE_1)
	s_cmp_gt_i32 s3, 25
	s_cbranch_scc0 .LBB263_139
; %bb.128:
	s_cmp_gt_i32 s3, 28
	s_cbranch_scc0 .LBB263_140
; %bb.129:
	;; [unrolled: 3-line block ×4, first 2 shown]
	s_mov_b32 s5, 0
	s_mov_b32 s1, -1
	s_cmp_eq_u32 s3, 46
	s_mov_b32 s4, 0
	s_cbranch_scc0 .LBB263_147
; %bb.132:
	v_cndmask_b32_e64 v2, 0, 1.0, s0
	s_mov_b32 s4, -1
	s_mov_b32 s1, 0
	s_delay_alu instid0(VALU_DEP_1) | instskip(NEXT) | instid1(VALU_DEP_1)
	v_bfe_u32 v3, v2, 16, 1
	v_add3_u32 v2, v2, v3, 0x7fff
	s_delay_alu instid0(VALU_DEP_1)
	v_lshrrev_b32_e32 v2, 16, v2
	global_store_b32 v[0:1], v2, off
	s_branch .LBB263_147
.LBB263_133:
	s_or_b32 exec_lo, exec_lo, s27
	s_mov_b32 s0, 0
	s_and_saveexec_b32 s4, s26
	s_cbranch_execnz .LBB263_472
.LBB263_134:
	s_or_b32 exec_lo, exec_lo, s4
	s_and_saveexec_b32 s4, s28
	s_delay_alu instid0(SALU_CYCLE_1)
	s_xor_b32 s4, exec_lo, s4
	s_cbranch_execz .LBB263_473
.LBB263_135:
	v_cndmask_b32_e64 v2, 0, 1, s1
	global_store_b8 v[0:1], v2, off
	s_wait_xcnt 0x0
	s_or_b32 exec_lo, exec_lo, s4
	s_and_saveexec_b32 s4, s3
	s_delay_alu instid0(SALU_CYCLE_1)
	s_xor_b32 s3, exec_lo, s4
	s_cbranch_execz .LBB263_511
	s_branch .LBB263_474
.LBB263_136:
	s_mov_b32 s4, 0
	s_mov_b32 s1, s26
	s_cbranch_execnz .LBB263_216
.LBB263_137:
	s_and_not1_b32 vcc_lo, exec_lo, s4
	s_cbranch_vccnz .LBB263_254
.LBB263_138:
	v_add_nc_u32_e32 v10, 0x80, v10
	s_mov_b32 s0, -1
	s_branch .LBB263_255
.LBB263_139:
	s_mov_b32 s5, -1
	s_mov_b32 s4, 0
	s_mov_b32 s1, s26
	s_branch .LBB263_174
.LBB263_140:
	s_mov_b32 s5, -1
	s_mov_b32 s4, 0
	s_mov_b32 s1, s26
	s_branch .LBB263_157
.LBB263_141:
	s_and_not1_saveexec_b32 s6, s6
	s_cbranch_execz .LBB263_37
.LBB263_142:
	v_add_f32_e32 v2, 0x46000000, v3
	s_and_not1_b32 s5, s5, exec_lo
	s_delay_alu instid0(VALU_DEP_1) | instskip(NEXT) | instid1(VALU_DEP_1)
	v_and_b32_e32 v2, 0xff, v2
	v_cmp_ne_u32_e32 vcc_lo, 0, v2
	s_and_b32 s7, vcc_lo, exec_lo
	s_delay_alu instid0(SALU_CYCLE_1)
	s_or_b32 s5, s5, s7
	s_or_b32 exec_lo, exec_lo, s6
	v_mov_b32_e32 v4, 0
	s_and_saveexec_b32 s6, s5
	s_cbranch_execnz .LBB263_38
	s_branch .LBB263_39
.LBB263_143:
	s_mov_b32 s5, -1
	s_mov_b32 s4, 0
	s_mov_b32 s1, s26
	s_branch .LBB263_153
.LBB263_144:
	s_and_not1_saveexec_b32 s6, s6
	s_cbranch_execz .LBB263_49
.LBB263_145:
	v_add_f32_e32 v2, 0x42800000, v3
	s_and_not1_b32 s5, s5, exec_lo
	s_delay_alu instid0(VALU_DEP_1) | instskip(NEXT) | instid1(VALU_DEP_1)
	v_and_b32_e32 v2, 0xff, v2
	v_cmp_ne_u32_e32 vcc_lo, 0, v2
	s_and_b32 s7, vcc_lo, exec_lo
	s_delay_alu instid0(SALU_CYCLE_1)
	s_or_b32 s5, s5, s7
	s_or_b32 exec_lo, exec_lo, s6
	v_mov_b32_e32 v4, 0
	s_and_saveexec_b32 s6, s5
	s_cbranch_execnz .LBB263_50
	s_branch .LBB263_51
.LBB263_146:
	s_mov_b32 s5, -1
	s_mov_b32 s4, 0
	s_mov_b32 s1, s26
.LBB263_147:
	s_and_b32 vcc_lo, exec_lo, s5
	s_cbranch_vccz .LBB263_152
; %bb.148:
	s_cmp_eq_u32 s3, 44
	s_mov_b32 s1, -1
	s_cbranch_scc0 .LBB263_152
; %bb.149:
	v_cndmask_b32_e64 v4, 0, 1.0, s0
	s_mov_b32 s4, exec_lo
	s_wait_xcnt 0x0
	s_delay_alu instid0(VALU_DEP_1) | instskip(NEXT) | instid1(VALU_DEP_1)
	v_dual_mov_b32 v3, 0xff :: v_dual_lshrrev_b32 v2, 23, v4
	v_cmpx_ne_u32_e32 0xff, v2
; %bb.150:
	v_and_b32_e32 v3, 0x400000, v4
	v_and_or_b32 v4, 0x3fffff, v4, v2
	s_delay_alu instid0(VALU_DEP_2) | instskip(NEXT) | instid1(VALU_DEP_2)
	v_cmp_ne_u32_e32 vcc_lo, 0, v3
	v_cmp_ne_u32_e64 s1, 0, v4
	s_and_b32 s1, vcc_lo, s1
	s_delay_alu instid0(SALU_CYCLE_1) | instskip(NEXT) | instid1(VALU_DEP_1)
	v_cndmask_b32_e64 v3, 0, 1, s1
	v_add_nc_u32_e32 v3, v2, v3
; %bb.151:
	s_or_b32 exec_lo, exec_lo, s4
	s_mov_b32 s4, -1
	s_mov_b32 s1, 0
	global_store_b8 v[0:1], v3, off
.LBB263_152:
	s_mov_b32 s5, 0
.LBB263_153:
	s_delay_alu instid0(SALU_CYCLE_1)
	s_and_b32 vcc_lo, exec_lo, s5
	s_cbranch_vccz .LBB263_156
; %bb.154:
	s_cmp_eq_u32 s3, 29
	s_mov_b32 s1, -1
	s_cbranch_scc0 .LBB263_156
; %bb.155:
	s_mov_b32 s1, 0
	s_wait_xcnt 0x0
	v_cndmask_b32_e64 v2, 0, 1, s0
	v_mov_b32_e32 v3, s1
	s_mov_b32 s4, -1
	s_mov_b32 s5, 0
	global_store_b64 v[0:1], v[2:3], off
	s_branch .LBB263_157
.LBB263_156:
	s_mov_b32 s5, 0
.LBB263_157:
	s_delay_alu instid0(SALU_CYCLE_1)
	s_and_b32 vcc_lo, exec_lo, s5
	s_cbranch_vccz .LBB263_173
; %bb.158:
	s_cmp_lt_i32 s3, 27
	s_mov_b32 s4, -1
	s_cbranch_scc1 .LBB263_164
; %bb.159:
	s_cmp_gt_i32 s3, 27
	s_cbranch_scc0 .LBB263_161
; %bb.160:
	s_wait_xcnt 0x0
	v_cndmask_b32_e64 v2, 0, 1, s0
	s_mov_b32 s4, 0
	global_store_b32 v[0:1], v2, off
.LBB263_161:
	s_and_not1_b32 vcc_lo, exec_lo, s4
	s_cbranch_vccnz .LBB263_163
; %bb.162:
	s_wait_xcnt 0x0
	v_cndmask_b32_e64 v2, 0, 1, s0
	global_store_b16 v[0:1], v2, off
.LBB263_163:
	s_mov_b32 s4, 0
.LBB263_164:
	s_delay_alu instid0(SALU_CYCLE_1)
	s_and_not1_b32 vcc_lo, exec_lo, s4
	s_cbranch_vccnz .LBB263_172
; %bb.165:
	s_wait_xcnt 0x0
	v_cndmask_b32_e64 v3, 0, 1.0, s0
	v_mov_b32_e32 v4, 0x80
	s_mov_b32 s4, exec_lo
	s_delay_alu instid0(VALU_DEP_2)
	v_cmpx_gt_u32_e32 0x43800000, v3
	s_cbranch_execz .LBB263_171
; %bb.166:
	s_mov_b32 s5, 0
	s_mov_b32 s6, exec_lo
                                        ; implicit-def: $vgpr2
	v_cmpx_lt_u32_e32 0x3bffffff, v3
	s_xor_b32 s6, exec_lo, s6
	s_cbranch_execz .LBB263_268
; %bb.167:
	v_bfe_u32 v2, v3, 20, 1
	s_mov_b32 s5, exec_lo
	s_delay_alu instid0(VALU_DEP_1) | instskip(NEXT) | instid1(VALU_DEP_1)
	v_add3_u32 v2, v3, v2, 0x487ffff
                                        ; implicit-def: $vgpr3
	v_lshrrev_b32_e32 v2, 20, v2
	s_and_not1_saveexec_b32 s6, s6
	s_cbranch_execnz .LBB263_269
.LBB263_168:
	s_or_b32 exec_lo, exec_lo, s6
	v_mov_b32_e32 v4, 0
	s_and_saveexec_b32 s6, s5
.LBB263_169:
	v_mov_b32_e32 v4, v2
.LBB263_170:
	s_or_b32 exec_lo, exec_lo, s6
.LBB263_171:
	s_delay_alu instid0(SALU_CYCLE_1)
	s_or_b32 exec_lo, exec_lo, s4
	global_store_b8 v[0:1], v4, off
.LBB263_172:
	s_mov_b32 s4, -1
.LBB263_173:
	s_mov_b32 s5, 0
.LBB263_174:
	s_delay_alu instid0(SALU_CYCLE_1)
	s_and_b32 vcc_lo, exec_lo, s5
	s_cbranch_vccz .LBB263_215
; %bb.175:
	s_cmp_gt_i32 s3, 22
	s_mov_b32 s5, -1
	s_cbranch_scc0 .LBB263_207
; %bb.176:
	s_cmp_lt_i32 s3, 24
	s_mov_b32 s4, -1
	s_cbranch_scc1 .LBB263_196
; %bb.177:
	s_cmp_gt_i32 s3, 24
	s_cbranch_scc0 .LBB263_185
; %bb.178:
	s_wait_xcnt 0x0
	v_cndmask_b32_e64 v3, 0, 1.0, s0
	v_mov_b32_e32 v4, 0x80
	s_mov_b32 s4, exec_lo
	s_delay_alu instid0(VALU_DEP_2)
	v_cmpx_gt_u32_e32 0x47800000, v3
	s_cbranch_execz .LBB263_184
; %bb.179:
	s_mov_b32 s5, 0
	s_mov_b32 s6, exec_lo
                                        ; implicit-def: $vgpr2
	v_cmpx_lt_u32_e32 0x37ffffff, v3
	s_xor_b32 s6, exec_lo, s6
	s_cbranch_execz .LBB263_271
; %bb.180:
	v_bfe_u32 v2, v3, 21, 1
	s_mov_b32 s5, exec_lo
	s_delay_alu instid0(VALU_DEP_1) | instskip(NEXT) | instid1(VALU_DEP_1)
	v_add3_u32 v2, v3, v2, 0x88fffff
                                        ; implicit-def: $vgpr3
	v_lshrrev_b32_e32 v2, 21, v2
	s_and_not1_saveexec_b32 s6, s6
	s_cbranch_execnz .LBB263_272
.LBB263_181:
	s_or_b32 exec_lo, exec_lo, s6
	v_mov_b32_e32 v4, 0
	s_and_saveexec_b32 s6, s5
.LBB263_182:
	v_mov_b32_e32 v4, v2
.LBB263_183:
	s_or_b32 exec_lo, exec_lo, s6
.LBB263_184:
	s_delay_alu instid0(SALU_CYCLE_1)
	s_or_b32 exec_lo, exec_lo, s4
	s_mov_b32 s4, 0
	global_store_b8 v[0:1], v4, off
.LBB263_185:
	s_and_b32 vcc_lo, exec_lo, s4
	s_cbranch_vccz .LBB263_195
; %bb.186:
	s_wait_xcnt 0x0
	v_cndmask_b32_e64 v3, 0, 1.0, s0
	s_mov_b32 s4, exec_lo
                                        ; implicit-def: $vgpr2
	s_delay_alu instid0(VALU_DEP_1)
	v_cmpx_gt_u32_e32 0x43f00000, v3
	s_xor_b32 s4, exec_lo, s4
	s_cbranch_execz .LBB263_192
; %bb.187:
	s_mov_b32 s5, exec_lo
                                        ; implicit-def: $vgpr2
	v_cmpx_lt_u32_e32 0x3c7fffff, v3
	s_xor_b32 s5, exec_lo, s5
; %bb.188:
	v_bfe_u32 v2, v3, 20, 1
	s_delay_alu instid0(VALU_DEP_1) | instskip(NEXT) | instid1(VALU_DEP_1)
	v_add3_u32 v2, v3, v2, 0x407ffff
	v_and_b32_e32 v3, 0xff00000, v2
	v_lshrrev_b32_e32 v2, 20, v2
	s_delay_alu instid0(VALU_DEP_2) | instskip(NEXT) | instid1(VALU_DEP_2)
	v_cmp_ne_u32_e32 vcc_lo, 0x7f00000, v3
                                        ; implicit-def: $vgpr3
	v_cndmask_b32_e32 v2, 0x7e, v2, vcc_lo
; %bb.189:
	s_and_not1_saveexec_b32 s5, s5
; %bb.190:
	v_add_f32_e32 v2, 0x46800000, v3
; %bb.191:
	s_or_b32 exec_lo, exec_lo, s5
                                        ; implicit-def: $vgpr3
.LBB263_192:
	s_and_not1_saveexec_b32 s4, s4
; %bb.193:
	v_mov_b32_e32 v2, 0x7f
	v_cmp_lt_u32_e32 vcc_lo, 0x7f800000, v3
	s_delay_alu instid0(VALU_DEP_2)
	v_cndmask_b32_e32 v2, 0x7e, v2, vcc_lo
; %bb.194:
	s_or_b32 exec_lo, exec_lo, s4
	global_store_b8 v[0:1], v2, off
.LBB263_195:
	s_mov_b32 s4, 0
.LBB263_196:
	s_delay_alu instid0(SALU_CYCLE_1)
	s_and_not1_b32 vcc_lo, exec_lo, s4
	s_cbranch_vccnz .LBB263_206
; %bb.197:
	s_wait_xcnt 0x0
	v_cndmask_b32_e64 v3, 0, 1.0, s0
	s_mov_b32 s4, exec_lo
                                        ; implicit-def: $vgpr2
	s_delay_alu instid0(VALU_DEP_1)
	v_cmpx_gt_u32_e32 0x47800000, v3
	s_xor_b32 s4, exec_lo, s4
	s_cbranch_execz .LBB263_203
; %bb.198:
	s_mov_b32 s5, exec_lo
                                        ; implicit-def: $vgpr2
	v_cmpx_lt_u32_e32 0x387fffff, v3
	s_xor_b32 s5, exec_lo, s5
; %bb.199:
	v_bfe_u32 v2, v3, 21, 1
	s_delay_alu instid0(VALU_DEP_1) | instskip(NEXT) | instid1(VALU_DEP_1)
	v_add3_u32 v2, v3, v2, 0x80fffff
                                        ; implicit-def: $vgpr3
	v_lshrrev_b32_e32 v2, 21, v2
; %bb.200:
	s_and_not1_saveexec_b32 s5, s5
; %bb.201:
	v_add_f32_e32 v2, 0x43000000, v3
; %bb.202:
	s_or_b32 exec_lo, exec_lo, s5
                                        ; implicit-def: $vgpr3
.LBB263_203:
	s_and_not1_saveexec_b32 s4, s4
; %bb.204:
	v_mov_b32_e32 v2, 0x7f
	v_cmp_lt_u32_e32 vcc_lo, 0x7f800000, v3
	s_delay_alu instid0(VALU_DEP_2)
	v_cndmask_b32_e32 v2, 0x7c, v2, vcc_lo
; %bb.205:
	s_or_b32 exec_lo, exec_lo, s4
	global_store_b8 v[0:1], v2, off
.LBB263_206:
	s_mov_b32 s5, 0
	s_mov_b32 s4, -1
.LBB263_207:
	s_and_not1_b32 vcc_lo, exec_lo, s5
	s_cbranch_vccnz .LBB263_215
; %bb.208:
	s_cmp_gt_i32 s3, 14
	s_mov_b32 s5, -1
	s_cbranch_scc0 .LBB263_212
; %bb.209:
	s_cmp_eq_u32 s3, 15
	s_mov_b32 s1, -1
	s_cbranch_scc0 .LBB263_211
; %bb.210:
	s_wait_xcnt 0x0
	v_cndmask_b32_e64 v2, 0, 1.0, s0
	s_mov_b32 s4, -1
	s_mov_b32 s1, 0
	s_delay_alu instid0(VALU_DEP_1) | instskip(NEXT) | instid1(VALU_DEP_1)
	v_bfe_u32 v3, v2, 16, 1
	v_add3_u32 v2, v2, v3, 0x7fff
	global_store_d16_hi_b16 v[0:1], v2, off
.LBB263_211:
	s_mov_b32 s5, 0
.LBB263_212:
	s_delay_alu instid0(SALU_CYCLE_1)
	s_and_b32 vcc_lo, exec_lo, s5
	s_cbranch_vccz .LBB263_215
; %bb.213:
	s_cmp_eq_u32 s3, 11
	s_mov_b32 s1, -1
	s_cbranch_scc0 .LBB263_215
; %bb.214:
	s_wait_xcnt 0x0
	v_cndmask_b32_e64 v2, 0, 1, s0
	s_mov_b32 s4, -1
	s_mov_b32 s1, 0
	global_store_b8 v[0:1], v2, off
.LBB263_215:
	s_branch .LBB263_137
.LBB263_216:
	s_and_b32 s2, 0xffff, s2
	s_mov_b32 s3, -1
	s_cmp_lt_i32 s2, 5
	s_cbranch_scc1 .LBB263_237
; %bb.217:
	s_cmp_lt_i32 s2, 8
	s_cbranch_scc1 .LBB263_227
; %bb.218:
	;; [unrolled: 3-line block ×3, first 2 shown]
	s_cmp_gt_i32 s2, 9
	s_cbranch_scc0 .LBB263_221
; %bb.220:
	s_wait_xcnt 0x0
	v_cndmask_b32_e64 v2, 0, 1, s0
	v_mov_b32_e32 v4, 0
	s_mov_b32 s3, 0
	s_delay_alu instid0(VALU_DEP_2) | instskip(NEXT) | instid1(VALU_DEP_2)
	v_cvt_f64_u32_e32 v[2:3], v2
	v_mov_b32_e32 v5, v4
	global_store_b128 v[0:1], v[2:5], off
.LBB263_221:
	s_and_not1_b32 vcc_lo, exec_lo, s3
	s_cbranch_vccnz .LBB263_223
; %bb.222:
	s_wait_xcnt 0x0
	v_cndmask_b32_e64 v2, 0, 1.0, s0
	v_mov_b32_e32 v3, 0
	global_store_b64 v[0:1], v[2:3], off
.LBB263_223:
	s_mov_b32 s3, 0
.LBB263_224:
	s_delay_alu instid0(SALU_CYCLE_1)
	s_and_not1_b32 vcc_lo, exec_lo, s3
	s_cbranch_vccnz .LBB263_226
; %bb.225:
	s_wait_xcnt 0x0
	v_cndmask_b32_e64 v2, 0, 1.0, s0
	s_delay_alu instid0(VALU_DEP_1) | instskip(NEXT) | instid1(VALU_DEP_1)
	v_cvt_f16_f32_e32 v2, v2
	v_and_b32_e32 v2, 0xffff, v2
	global_store_b32 v[0:1], v2, off
.LBB263_226:
	s_mov_b32 s3, 0
.LBB263_227:
	s_delay_alu instid0(SALU_CYCLE_1)
	s_and_not1_b32 vcc_lo, exec_lo, s3
	s_cbranch_vccnz .LBB263_236
; %bb.228:
	s_cmp_lt_i32 s2, 6
	s_mov_b32 s3, -1
	s_cbranch_scc1 .LBB263_234
; %bb.229:
	s_cmp_gt_i32 s2, 6
	s_cbranch_scc0 .LBB263_231
; %bb.230:
	s_wait_xcnt 0x0
	v_cndmask_b32_e64 v2, 0, 1, s0
	s_mov_b32 s3, 0
	s_delay_alu instid0(VALU_DEP_1)
	v_cvt_f64_u32_e32 v[2:3], v2
	global_store_b64 v[0:1], v[2:3], off
.LBB263_231:
	s_and_not1_b32 vcc_lo, exec_lo, s3
	s_cbranch_vccnz .LBB263_233
; %bb.232:
	s_wait_xcnt 0x0
	v_cndmask_b32_e64 v2, 0, 1.0, s0
	global_store_b32 v[0:1], v2, off
.LBB263_233:
	s_mov_b32 s3, 0
.LBB263_234:
	s_delay_alu instid0(SALU_CYCLE_1)
	s_and_not1_b32 vcc_lo, exec_lo, s3
	s_cbranch_vccnz .LBB263_236
; %bb.235:
	s_wait_xcnt 0x0
	v_cndmask_b32_e64 v2, 0, 1.0, s0
	s_delay_alu instid0(VALU_DEP_1)
	v_cvt_f16_f32_e32 v2, v2
	global_store_b16 v[0:1], v2, off
.LBB263_236:
	s_mov_b32 s3, 0
.LBB263_237:
	s_delay_alu instid0(SALU_CYCLE_1)
	s_and_not1_b32 vcc_lo, exec_lo, s3
	s_cbranch_vccnz .LBB263_253
; %bb.238:
	s_cmp_lt_i32 s2, 2
	s_mov_b32 s3, -1
	s_cbranch_scc1 .LBB263_248
; %bb.239:
	s_cmp_lt_i32 s2, 3
	s_cbranch_scc1 .LBB263_245
; %bb.240:
	s_cmp_gt_i32 s2, 3
	s_cbranch_scc0 .LBB263_242
; %bb.241:
	s_mov_b32 s3, 0
	s_wait_xcnt 0x0
	v_cndmask_b32_e64 v2, 0, 1, s0
	v_mov_b32_e32 v3, s3
	global_store_b64 v[0:1], v[2:3], off
.LBB263_242:
	s_and_not1_b32 vcc_lo, exec_lo, s3
	s_cbranch_vccnz .LBB263_244
; %bb.243:
	s_wait_xcnt 0x0
	v_cndmask_b32_e64 v2, 0, 1, s0
	global_store_b32 v[0:1], v2, off
.LBB263_244:
	s_mov_b32 s3, 0
.LBB263_245:
	s_delay_alu instid0(SALU_CYCLE_1)
	s_and_not1_b32 vcc_lo, exec_lo, s3
	s_cbranch_vccnz .LBB263_247
; %bb.246:
	s_wait_xcnt 0x0
	v_cndmask_b32_e64 v2, 0, 1, s0
	global_store_b16 v[0:1], v2, off
.LBB263_247:
	s_mov_b32 s3, 0
.LBB263_248:
	s_delay_alu instid0(SALU_CYCLE_1)
	s_and_not1_b32 vcc_lo, exec_lo, s3
	s_cbranch_vccnz .LBB263_253
; %bb.249:
	s_wait_xcnt 0x0
	v_cndmask_b32_e64 v2, 0, 1, s0
	s_cmp_gt_i32 s2, 0
	s_mov_b32 s0, -1
	s_cbranch_scc0 .LBB263_251
; %bb.250:
	s_mov_b32 s0, 0
	global_store_b8 v[0:1], v2, off
.LBB263_251:
	s_and_not1_b32 vcc_lo, exec_lo, s0
	s_cbranch_vccnz .LBB263_253
; %bb.252:
	global_store_b8 v[0:1], v2, off
.LBB263_253:
	s_branch .LBB263_138
.LBB263_254:
	s_mov_b32 s0, 0
                                        ; implicit-def: $vgpr10
.LBB263_255:
	s_and_not1_b32 s2, s26, exec_lo
	s_and_b32 s1, s1, exec_lo
	s_or_not1_b32 s4, s0, exec_lo
	s_or_b32 s28, s2, s1
.LBB263_256:
	s_wait_xcnt 0x0
	s_or_b32 exec_lo, exec_lo, s29
	s_mov_b32 s0, 0
	s_mov_b32 s3, 0
                                        ; implicit-def: $sgpr1
                                        ; implicit-def: $sgpr2
                                        ; implicit-def: $vgpr0_vgpr1
	s_and_saveexec_b32 s29, s4
	s_cbranch_execz .LBB263_471
; %bb.257:
	s_mov_b32 s4, -1
	s_mov_b32 s34, s28
	s_mov_b32 s33, exec_lo
	v_cmpx_gt_i32_e64 s15, v10
	s_cbranch_execz .LBB263_386
; %bb.258:
	v_dual_mov_b32 v0, s22 :: v_dual_mov_b32 v1, s23
	v_dual_mov_b32 v2, s18 :: v_dual_mov_b32 v3, s19
	;; [unrolled: 1-line block ×3, first 2 shown]
	v_mov_b32_e32 v6, v10
	s_get_pc_i64 s[0:1]
	s_add_nc_u64 s[0:1], s[0:1], _ZN2at6native6invokeINS0_13AUnaryFunctorIN3c1015Float8_e5m2fnuzES4_bNS0_12_GLOBAL__N_116CompareEqFunctorIS4_EEEEi15function_traitsIS8_EEENT1_11result_typeERKT_PrKPcPKT0_PKNS3_10ScalarTypeEi@rel64+4
	s_delay_alu instid0(SALU_CYCLE_1) | instskip(SKIP_2) | instid1(SALU_CYCLE_1)
	s_swap_pc_i64 s[30:31], s[0:1]
	v_and_b32_e32 v0, 1, v0
	s_and_b32 s2, s24, 0xff
	s_cmp_lt_i32 s2, 11
	s_delay_alu instid0(VALU_DEP_1) | instskip(SKIP_1) | instid1(VALU_DEP_1)
	v_cmp_eq_u32_e64 s0, 1, v0
	v_mul_lo_u32 v0, v10, s20
	v_ashrrev_i32_e32 v1, 31, v0
	s_delay_alu instid0(VALU_DEP_1)
	v_add_nc_u64_e32 v[0:1], s[16:17], v[0:1]
	s_cbranch_scc1 .LBB263_265
; %bb.259:
	s_and_b32 s3, 0xffff, s2
	s_delay_alu instid0(SALU_CYCLE_1)
	s_cmp_gt_i32 s3, 25
	s_cbranch_scc0 .LBB263_266
; %bb.260:
	s_cmp_gt_i32 s3, 28
	s_cbranch_scc0 .LBB263_267
; %bb.261:
	;; [unrolled: 3-line block ×4, first 2 shown]
	s_mov_b32 s5, 0
	s_mov_b32 s1, -1
	s_cmp_eq_u32 s3, 46
	s_mov_b32 s4, 0
	s_cbranch_scc0 .LBB263_274
; %bb.264:
	v_cndmask_b32_e64 v2, 0, 1.0, s0
	s_mov_b32 s4, -1
	s_mov_b32 s1, 0
	s_delay_alu instid0(VALU_DEP_1) | instskip(NEXT) | instid1(VALU_DEP_1)
	v_bfe_u32 v3, v2, 16, 1
	v_add3_u32 v2, v2, v3, 0x7fff
	s_delay_alu instid0(VALU_DEP_1)
	v_lshrrev_b32_e32 v2, 16, v2
	global_store_b32 v[0:1], v2, off
	s_branch .LBB263_274
.LBB263_265:
	s_mov_b32 s3, -1
	s_mov_b32 s4, 0
	s_mov_b32 s1, s28
	s_branch .LBB263_343
.LBB263_266:
	s_mov_b32 s5, -1
	s_mov_b32 s4, 0
	s_mov_b32 s1, s28
	s_branch .LBB263_301
.LBB263_267:
	s_mov_b32 s5, -1
	s_mov_b32 s4, 0
	s_mov_b32 s1, s28
	s_branch .LBB263_284
.LBB263_268:
	s_and_not1_saveexec_b32 s6, s6
	s_cbranch_execz .LBB263_168
.LBB263_269:
	v_add_f32_e32 v2, 0x46000000, v3
	s_and_not1_b32 s5, s5, exec_lo
	s_delay_alu instid0(VALU_DEP_1) | instskip(NEXT) | instid1(VALU_DEP_1)
	v_and_b32_e32 v2, 0xff, v2
	v_cmp_ne_u32_e32 vcc_lo, 0, v2
	s_and_b32 s7, vcc_lo, exec_lo
	s_delay_alu instid0(SALU_CYCLE_1)
	s_or_b32 s5, s5, s7
	s_or_b32 exec_lo, exec_lo, s6
	v_mov_b32_e32 v4, 0
	s_and_saveexec_b32 s6, s5
	s_cbranch_execnz .LBB263_169
	s_branch .LBB263_170
.LBB263_270:
	s_mov_b32 s5, -1
	s_mov_b32 s4, 0
	s_mov_b32 s1, s28
	s_branch .LBB263_280
.LBB263_271:
	s_and_not1_saveexec_b32 s6, s6
	s_cbranch_execz .LBB263_181
.LBB263_272:
	v_add_f32_e32 v2, 0x42800000, v3
	s_and_not1_b32 s5, s5, exec_lo
	s_delay_alu instid0(VALU_DEP_1) | instskip(NEXT) | instid1(VALU_DEP_1)
	v_and_b32_e32 v2, 0xff, v2
	v_cmp_ne_u32_e32 vcc_lo, 0, v2
	s_and_b32 s7, vcc_lo, exec_lo
	s_delay_alu instid0(SALU_CYCLE_1)
	s_or_b32 s5, s5, s7
	s_or_b32 exec_lo, exec_lo, s6
	v_mov_b32_e32 v4, 0
	s_and_saveexec_b32 s6, s5
	s_cbranch_execnz .LBB263_182
	s_branch .LBB263_183
.LBB263_273:
	s_mov_b32 s5, -1
	s_mov_b32 s4, 0
	s_mov_b32 s1, s28
.LBB263_274:
	s_and_b32 vcc_lo, exec_lo, s5
	s_cbranch_vccz .LBB263_279
; %bb.275:
	s_cmp_eq_u32 s3, 44
	s_mov_b32 s1, -1
	s_cbranch_scc0 .LBB263_279
; %bb.276:
	v_cndmask_b32_e64 v4, 0, 1.0, s0
	s_mov_b32 s4, exec_lo
	s_wait_xcnt 0x0
	s_delay_alu instid0(VALU_DEP_1) | instskip(NEXT) | instid1(VALU_DEP_1)
	v_dual_mov_b32 v3, 0xff :: v_dual_lshrrev_b32 v2, 23, v4
	v_cmpx_ne_u32_e32 0xff, v2
; %bb.277:
	v_and_b32_e32 v3, 0x400000, v4
	v_and_or_b32 v4, 0x3fffff, v4, v2
	s_delay_alu instid0(VALU_DEP_2) | instskip(NEXT) | instid1(VALU_DEP_2)
	v_cmp_ne_u32_e32 vcc_lo, 0, v3
	v_cmp_ne_u32_e64 s1, 0, v4
	s_and_b32 s1, vcc_lo, s1
	s_delay_alu instid0(SALU_CYCLE_1) | instskip(NEXT) | instid1(VALU_DEP_1)
	v_cndmask_b32_e64 v3, 0, 1, s1
	v_add_nc_u32_e32 v3, v2, v3
; %bb.278:
	s_or_b32 exec_lo, exec_lo, s4
	s_mov_b32 s4, -1
	s_mov_b32 s1, 0
	global_store_b8 v[0:1], v3, off
.LBB263_279:
	s_mov_b32 s5, 0
.LBB263_280:
	s_delay_alu instid0(SALU_CYCLE_1)
	s_and_b32 vcc_lo, exec_lo, s5
	s_cbranch_vccz .LBB263_283
; %bb.281:
	s_cmp_eq_u32 s3, 29
	s_mov_b32 s1, -1
	s_cbranch_scc0 .LBB263_283
; %bb.282:
	s_mov_b32 s1, 0
	s_wait_xcnt 0x0
	v_cndmask_b32_e64 v2, 0, 1, s0
	v_mov_b32_e32 v3, s1
	s_mov_b32 s4, -1
	s_mov_b32 s5, 0
	global_store_b64 v[0:1], v[2:3], off
	s_branch .LBB263_284
.LBB263_283:
	s_mov_b32 s5, 0
.LBB263_284:
	s_delay_alu instid0(SALU_CYCLE_1)
	s_and_b32 vcc_lo, exec_lo, s5
	s_cbranch_vccz .LBB263_300
; %bb.285:
	s_cmp_lt_i32 s3, 27
	s_mov_b32 s4, -1
	s_cbranch_scc1 .LBB263_291
; %bb.286:
	s_cmp_gt_i32 s3, 27
	s_cbranch_scc0 .LBB263_288
; %bb.287:
	s_wait_xcnt 0x0
	v_cndmask_b32_e64 v2, 0, 1, s0
	s_mov_b32 s4, 0
	global_store_b32 v[0:1], v2, off
.LBB263_288:
	s_and_not1_b32 vcc_lo, exec_lo, s4
	s_cbranch_vccnz .LBB263_290
; %bb.289:
	s_wait_xcnt 0x0
	v_cndmask_b32_e64 v2, 0, 1, s0
	global_store_b16 v[0:1], v2, off
.LBB263_290:
	s_mov_b32 s4, 0
.LBB263_291:
	s_delay_alu instid0(SALU_CYCLE_1)
	s_and_not1_b32 vcc_lo, exec_lo, s4
	s_cbranch_vccnz .LBB263_299
; %bb.292:
	s_wait_xcnt 0x0
	v_cndmask_b32_e64 v3, 0, 1.0, s0
	v_mov_b32_e32 v4, 0x80
	s_mov_b32 s4, exec_lo
	s_delay_alu instid0(VALU_DEP_2)
	v_cmpx_gt_u32_e32 0x43800000, v3
	s_cbranch_execz .LBB263_298
; %bb.293:
	s_mov_b32 s5, 0
	s_mov_b32 s6, exec_lo
                                        ; implicit-def: $vgpr2
	v_cmpx_lt_u32_e32 0x3bffffff, v3
	s_xor_b32 s6, exec_lo, s6
	s_cbranch_execz .LBB263_396
; %bb.294:
	v_bfe_u32 v2, v3, 20, 1
	s_mov_b32 s5, exec_lo
	s_delay_alu instid0(VALU_DEP_1) | instskip(NEXT) | instid1(VALU_DEP_1)
	v_add3_u32 v2, v3, v2, 0x487ffff
                                        ; implicit-def: $vgpr3
	v_lshrrev_b32_e32 v2, 20, v2
	s_and_not1_saveexec_b32 s6, s6
	s_cbranch_execnz .LBB263_397
.LBB263_295:
	s_or_b32 exec_lo, exec_lo, s6
	v_mov_b32_e32 v4, 0
	s_and_saveexec_b32 s6, s5
.LBB263_296:
	v_mov_b32_e32 v4, v2
.LBB263_297:
	s_or_b32 exec_lo, exec_lo, s6
.LBB263_298:
	s_delay_alu instid0(SALU_CYCLE_1)
	s_or_b32 exec_lo, exec_lo, s4
	global_store_b8 v[0:1], v4, off
.LBB263_299:
	s_mov_b32 s4, -1
.LBB263_300:
	s_mov_b32 s5, 0
.LBB263_301:
	s_delay_alu instid0(SALU_CYCLE_1)
	s_and_b32 vcc_lo, exec_lo, s5
	s_cbranch_vccz .LBB263_342
; %bb.302:
	s_cmp_gt_i32 s3, 22
	s_mov_b32 s5, -1
	s_cbranch_scc0 .LBB263_334
; %bb.303:
	s_cmp_lt_i32 s3, 24
	s_mov_b32 s4, -1
	s_cbranch_scc1 .LBB263_323
; %bb.304:
	s_cmp_gt_i32 s3, 24
	s_cbranch_scc0 .LBB263_312
; %bb.305:
	s_wait_xcnt 0x0
	v_cndmask_b32_e64 v3, 0, 1.0, s0
	v_mov_b32_e32 v4, 0x80
	s_mov_b32 s4, exec_lo
	s_delay_alu instid0(VALU_DEP_2)
	v_cmpx_gt_u32_e32 0x47800000, v3
	s_cbranch_execz .LBB263_311
; %bb.306:
	s_mov_b32 s5, 0
	s_mov_b32 s6, exec_lo
                                        ; implicit-def: $vgpr2
	v_cmpx_lt_u32_e32 0x37ffffff, v3
	s_xor_b32 s6, exec_lo, s6
	s_cbranch_execz .LBB263_398
; %bb.307:
	v_bfe_u32 v2, v3, 21, 1
	s_mov_b32 s5, exec_lo
	s_delay_alu instid0(VALU_DEP_1) | instskip(NEXT) | instid1(VALU_DEP_1)
	v_add3_u32 v2, v3, v2, 0x88fffff
                                        ; implicit-def: $vgpr3
	v_lshrrev_b32_e32 v2, 21, v2
	s_and_not1_saveexec_b32 s6, s6
	s_cbranch_execnz .LBB263_399
.LBB263_308:
	s_or_b32 exec_lo, exec_lo, s6
	v_mov_b32_e32 v4, 0
	s_and_saveexec_b32 s6, s5
.LBB263_309:
	v_mov_b32_e32 v4, v2
.LBB263_310:
	s_or_b32 exec_lo, exec_lo, s6
.LBB263_311:
	s_delay_alu instid0(SALU_CYCLE_1)
	s_or_b32 exec_lo, exec_lo, s4
	s_mov_b32 s4, 0
	global_store_b8 v[0:1], v4, off
.LBB263_312:
	s_and_b32 vcc_lo, exec_lo, s4
	s_cbranch_vccz .LBB263_322
; %bb.313:
	s_wait_xcnt 0x0
	v_cndmask_b32_e64 v3, 0, 1.0, s0
	s_mov_b32 s4, exec_lo
                                        ; implicit-def: $vgpr2
	s_delay_alu instid0(VALU_DEP_1)
	v_cmpx_gt_u32_e32 0x43f00000, v3
	s_xor_b32 s4, exec_lo, s4
	s_cbranch_execz .LBB263_319
; %bb.314:
	s_mov_b32 s5, exec_lo
                                        ; implicit-def: $vgpr2
	v_cmpx_lt_u32_e32 0x3c7fffff, v3
	s_xor_b32 s5, exec_lo, s5
; %bb.315:
	v_bfe_u32 v2, v3, 20, 1
	s_delay_alu instid0(VALU_DEP_1) | instskip(NEXT) | instid1(VALU_DEP_1)
	v_add3_u32 v2, v3, v2, 0x407ffff
	v_and_b32_e32 v3, 0xff00000, v2
	v_lshrrev_b32_e32 v2, 20, v2
	s_delay_alu instid0(VALU_DEP_2) | instskip(NEXT) | instid1(VALU_DEP_2)
	v_cmp_ne_u32_e32 vcc_lo, 0x7f00000, v3
                                        ; implicit-def: $vgpr3
	v_cndmask_b32_e32 v2, 0x7e, v2, vcc_lo
; %bb.316:
	s_and_not1_saveexec_b32 s5, s5
; %bb.317:
	v_add_f32_e32 v2, 0x46800000, v3
; %bb.318:
	s_or_b32 exec_lo, exec_lo, s5
                                        ; implicit-def: $vgpr3
.LBB263_319:
	s_and_not1_saveexec_b32 s4, s4
; %bb.320:
	v_mov_b32_e32 v2, 0x7f
	v_cmp_lt_u32_e32 vcc_lo, 0x7f800000, v3
	s_delay_alu instid0(VALU_DEP_2)
	v_cndmask_b32_e32 v2, 0x7e, v2, vcc_lo
; %bb.321:
	s_or_b32 exec_lo, exec_lo, s4
	global_store_b8 v[0:1], v2, off
.LBB263_322:
	s_mov_b32 s4, 0
.LBB263_323:
	s_delay_alu instid0(SALU_CYCLE_1)
	s_and_not1_b32 vcc_lo, exec_lo, s4
	s_cbranch_vccnz .LBB263_333
; %bb.324:
	s_wait_xcnt 0x0
	v_cndmask_b32_e64 v3, 0, 1.0, s0
	s_mov_b32 s4, exec_lo
                                        ; implicit-def: $vgpr2
	s_delay_alu instid0(VALU_DEP_1)
	v_cmpx_gt_u32_e32 0x47800000, v3
	s_xor_b32 s4, exec_lo, s4
	s_cbranch_execz .LBB263_330
; %bb.325:
	s_mov_b32 s5, exec_lo
                                        ; implicit-def: $vgpr2
	v_cmpx_lt_u32_e32 0x387fffff, v3
	s_xor_b32 s5, exec_lo, s5
; %bb.326:
	v_bfe_u32 v2, v3, 21, 1
	s_delay_alu instid0(VALU_DEP_1) | instskip(NEXT) | instid1(VALU_DEP_1)
	v_add3_u32 v2, v3, v2, 0x80fffff
                                        ; implicit-def: $vgpr3
	v_lshrrev_b32_e32 v2, 21, v2
; %bb.327:
	s_and_not1_saveexec_b32 s5, s5
; %bb.328:
	v_add_f32_e32 v2, 0x43000000, v3
; %bb.329:
	s_or_b32 exec_lo, exec_lo, s5
                                        ; implicit-def: $vgpr3
.LBB263_330:
	s_and_not1_saveexec_b32 s4, s4
; %bb.331:
	v_mov_b32_e32 v2, 0x7f
	v_cmp_lt_u32_e32 vcc_lo, 0x7f800000, v3
	s_delay_alu instid0(VALU_DEP_2)
	v_cndmask_b32_e32 v2, 0x7c, v2, vcc_lo
; %bb.332:
	s_or_b32 exec_lo, exec_lo, s4
	global_store_b8 v[0:1], v2, off
.LBB263_333:
	s_mov_b32 s5, 0
	s_mov_b32 s4, -1
.LBB263_334:
	s_and_not1_b32 vcc_lo, exec_lo, s5
	s_cbranch_vccnz .LBB263_342
; %bb.335:
	s_cmp_gt_i32 s3, 14
	s_mov_b32 s5, -1
	s_cbranch_scc0 .LBB263_339
; %bb.336:
	s_cmp_eq_u32 s3, 15
	s_mov_b32 s1, -1
	s_cbranch_scc0 .LBB263_338
; %bb.337:
	s_wait_xcnt 0x0
	v_cndmask_b32_e64 v2, 0, 1.0, s0
	s_mov_b32 s4, -1
	s_mov_b32 s1, 0
	s_delay_alu instid0(VALU_DEP_1) | instskip(NEXT) | instid1(VALU_DEP_1)
	v_bfe_u32 v3, v2, 16, 1
	v_add3_u32 v2, v2, v3, 0x7fff
	global_store_d16_hi_b16 v[0:1], v2, off
.LBB263_338:
	s_mov_b32 s5, 0
.LBB263_339:
	s_delay_alu instid0(SALU_CYCLE_1)
	s_and_b32 vcc_lo, exec_lo, s5
	s_cbranch_vccz .LBB263_342
; %bb.340:
	s_cmp_eq_u32 s3, 11
	s_mov_b32 s1, -1
	s_cbranch_scc0 .LBB263_342
; %bb.341:
	s_wait_xcnt 0x0
	v_cndmask_b32_e64 v2, 0, 1, s0
	s_mov_b32 s4, -1
	s_mov_b32 s1, 0
	global_store_b8 v[0:1], v2, off
.LBB263_342:
	s_mov_b32 s3, 0
.LBB263_343:
	s_delay_alu instid0(SALU_CYCLE_1)
	s_and_b32 vcc_lo, exec_lo, s3
	s_cbranch_vccz .LBB263_382
; %bb.344:
	s_and_b32 s2, 0xffff, s2
	s_mov_b32 s3, -1
	s_cmp_lt_i32 s2, 5
	s_cbranch_scc1 .LBB263_365
; %bb.345:
	s_cmp_lt_i32 s2, 8
	s_cbranch_scc1 .LBB263_355
; %bb.346:
	;; [unrolled: 3-line block ×3, first 2 shown]
	s_cmp_gt_i32 s2, 9
	s_cbranch_scc0 .LBB263_349
; %bb.348:
	s_wait_xcnt 0x0
	v_cndmask_b32_e64 v2, 0, 1, s0
	v_mov_b32_e32 v4, 0
	s_mov_b32 s3, 0
	s_delay_alu instid0(VALU_DEP_2) | instskip(NEXT) | instid1(VALU_DEP_2)
	v_cvt_f64_u32_e32 v[2:3], v2
	v_mov_b32_e32 v5, v4
	global_store_b128 v[0:1], v[2:5], off
.LBB263_349:
	s_and_not1_b32 vcc_lo, exec_lo, s3
	s_cbranch_vccnz .LBB263_351
; %bb.350:
	s_wait_xcnt 0x0
	v_cndmask_b32_e64 v2, 0, 1.0, s0
	v_mov_b32_e32 v3, 0
	global_store_b64 v[0:1], v[2:3], off
.LBB263_351:
	s_mov_b32 s3, 0
.LBB263_352:
	s_delay_alu instid0(SALU_CYCLE_1)
	s_and_not1_b32 vcc_lo, exec_lo, s3
	s_cbranch_vccnz .LBB263_354
; %bb.353:
	s_wait_xcnt 0x0
	v_cndmask_b32_e64 v2, 0, 1.0, s0
	s_delay_alu instid0(VALU_DEP_1) | instskip(NEXT) | instid1(VALU_DEP_1)
	v_cvt_f16_f32_e32 v2, v2
	v_and_b32_e32 v2, 0xffff, v2
	global_store_b32 v[0:1], v2, off
.LBB263_354:
	s_mov_b32 s3, 0
.LBB263_355:
	s_delay_alu instid0(SALU_CYCLE_1)
	s_and_not1_b32 vcc_lo, exec_lo, s3
	s_cbranch_vccnz .LBB263_364
; %bb.356:
	s_cmp_lt_i32 s2, 6
	s_mov_b32 s3, -1
	s_cbranch_scc1 .LBB263_362
; %bb.357:
	s_cmp_gt_i32 s2, 6
	s_cbranch_scc0 .LBB263_359
; %bb.358:
	s_wait_xcnt 0x0
	v_cndmask_b32_e64 v2, 0, 1, s0
	s_mov_b32 s3, 0
	s_delay_alu instid0(VALU_DEP_1)
	v_cvt_f64_u32_e32 v[2:3], v2
	global_store_b64 v[0:1], v[2:3], off
.LBB263_359:
	s_and_not1_b32 vcc_lo, exec_lo, s3
	s_cbranch_vccnz .LBB263_361
; %bb.360:
	s_wait_xcnt 0x0
	v_cndmask_b32_e64 v2, 0, 1.0, s0
	global_store_b32 v[0:1], v2, off
.LBB263_361:
	s_mov_b32 s3, 0
.LBB263_362:
	s_delay_alu instid0(SALU_CYCLE_1)
	s_and_not1_b32 vcc_lo, exec_lo, s3
	s_cbranch_vccnz .LBB263_364
; %bb.363:
	s_wait_xcnt 0x0
	v_cndmask_b32_e64 v2, 0, 1.0, s0
	s_delay_alu instid0(VALU_DEP_1)
	v_cvt_f16_f32_e32 v2, v2
	global_store_b16 v[0:1], v2, off
.LBB263_364:
	s_mov_b32 s3, 0
.LBB263_365:
	s_delay_alu instid0(SALU_CYCLE_1)
	s_and_not1_b32 vcc_lo, exec_lo, s3
	s_cbranch_vccnz .LBB263_381
; %bb.366:
	s_cmp_lt_i32 s2, 2
	s_mov_b32 s3, -1
	s_cbranch_scc1 .LBB263_376
; %bb.367:
	s_cmp_lt_i32 s2, 3
	s_cbranch_scc1 .LBB263_373
; %bb.368:
	s_cmp_gt_i32 s2, 3
	s_cbranch_scc0 .LBB263_370
; %bb.369:
	s_mov_b32 s3, 0
	s_wait_xcnt 0x0
	v_cndmask_b32_e64 v2, 0, 1, s0
	v_mov_b32_e32 v3, s3
	global_store_b64 v[0:1], v[2:3], off
.LBB263_370:
	s_and_not1_b32 vcc_lo, exec_lo, s3
	s_cbranch_vccnz .LBB263_372
; %bb.371:
	s_wait_xcnt 0x0
	v_cndmask_b32_e64 v2, 0, 1, s0
	global_store_b32 v[0:1], v2, off
.LBB263_372:
	s_mov_b32 s3, 0
.LBB263_373:
	s_delay_alu instid0(SALU_CYCLE_1)
	s_and_not1_b32 vcc_lo, exec_lo, s3
	s_cbranch_vccnz .LBB263_375
; %bb.374:
	s_wait_xcnt 0x0
	v_cndmask_b32_e64 v2, 0, 1, s0
	global_store_b16 v[0:1], v2, off
.LBB263_375:
	s_mov_b32 s3, 0
.LBB263_376:
	s_delay_alu instid0(SALU_CYCLE_1)
	s_and_not1_b32 vcc_lo, exec_lo, s3
	s_cbranch_vccnz .LBB263_381
; %bb.377:
	s_wait_xcnt 0x0
	v_cndmask_b32_e64 v2, 0, 1, s0
	s_cmp_gt_i32 s2, 0
	s_mov_b32 s0, -1
	s_cbranch_scc0 .LBB263_379
; %bb.378:
	s_mov_b32 s0, 0
	global_store_b8 v[0:1], v2, off
.LBB263_379:
	s_and_not1_b32 vcc_lo, exec_lo, s0
	s_cbranch_vccnz .LBB263_381
; %bb.380:
	global_store_b8 v[0:1], v2, off
.LBB263_381:
	s_mov_b32 s4, -1
.LBB263_382:
	s_delay_alu instid0(SALU_CYCLE_1)
	s_and_not1_b32 vcc_lo, exec_lo, s4
	s_cbranch_vccnz .LBB263_384
; %bb.383:
	v_add_nc_u32_e32 v10, 0x80, v10
	s_mov_b32 s0, -1
	s_branch .LBB263_385
.LBB263_384:
	s_mov_b32 s0, 0
                                        ; implicit-def: $vgpr10
.LBB263_385:
	s_and_not1_b32 s2, s28, exec_lo
	s_and_b32 s1, s1, exec_lo
	s_or_not1_b32 s4, s0, exec_lo
	s_or_b32 s34, s2, s1
.LBB263_386:
	s_wait_xcnt 0x0
	s_or_b32 exec_lo, exec_lo, s33
	s_mov_b32 s0, 0
	s_mov_b32 s3, 0
                                        ; implicit-def: $sgpr1
                                        ; implicit-def: $sgpr2
                                        ; implicit-def: $vgpr0_vgpr1
	s_and_saveexec_b32 s33, s4
	s_cbranch_execz .LBB263_470
; %bb.387:
	v_cmp_gt_i32_e32 vcc_lo, s15, v10
	s_mov_b32 s4, s34
                                        ; implicit-def: $sgpr1
                                        ; implicit-def: $sgpr2
                                        ; implicit-def: $vgpr0_vgpr1
	s_and_saveexec_b32 s15, vcc_lo
	s_cbranch_execz .LBB263_469
; %bb.388:
	v_dual_mov_b32 v0, s22 :: v_dual_mov_b32 v1, s23
	v_dual_mov_b32 v2, s18 :: v_dual_mov_b32 v3, s19
	;; [unrolled: 1-line block ×3, first 2 shown]
	v_mov_b32_e32 v6, v10
	s_get_pc_i64 s[0:1]
	s_add_nc_u64 s[0:1], s[0:1], _ZN2at6native6invokeINS0_13AUnaryFunctorIN3c1015Float8_e5m2fnuzES4_bNS0_12_GLOBAL__N_116CompareEqFunctorIS4_EEEEi15function_traitsIS8_EEENT1_11result_typeERKT_PrKPcPKT0_PKNS3_10ScalarTypeEi@rel64+4
	s_delay_alu instid0(SALU_CYCLE_1) | instskip(SKIP_2) | instid1(SALU_CYCLE_1)
	s_swap_pc_i64 s[30:31], s[0:1]
	v_and_b32_e32 v0, 1, v0
	s_and_b32 s2, s24, 0xff
	s_cmp_lt_i32 s2, 11
	s_delay_alu instid0(VALU_DEP_1) | instskip(SKIP_1) | instid1(VALU_DEP_1)
	v_cmp_eq_u32_e64 s1, 1, v0
	v_mul_lo_u32 v0, v10, s20
	v_ashrrev_i32_e32 v1, 31, v0
	s_delay_alu instid0(VALU_DEP_1)
	v_add_nc_u64_e32 v[0:1], s[16:17], v[0:1]
	s_cbranch_scc1 .LBB263_395
; %bb.389:
	s_and_b32 s3, 0xffff, s2
	s_mov_b32 s4, -1
	s_cmp_gt_i32 s3, 25
	s_mov_b32 s0, s34
	s_cbranch_scc0 .LBB263_427
; %bb.390:
	s_cmp_gt_i32 s3, 28
	s_mov_b32 s0, s34
	s_cbranch_scc0 .LBB263_411
; %bb.391:
	;; [unrolled: 4-line block ×4, first 2 shown]
	s_cmp_eq_u32 s3, 46
	s_mov_b32 s0, -1
	s_cbranch_scc0 .LBB263_400
; %bb.394:
	v_cndmask_b32_e64 v2, 0, 1.0, s1
	s_mov_b32 s0, 0
	s_mov_b32 s4, 0
	s_delay_alu instid0(VALU_DEP_1) | instskip(NEXT) | instid1(VALU_DEP_1)
	v_bfe_u32 v3, v2, 16, 1
	v_add3_u32 v2, v2, v3, 0x7fff
	s_delay_alu instid0(VALU_DEP_1)
	v_lshrrev_b32_e32 v2, 16, v2
	global_store_b32 v[0:1], v2, off
	s_branch .LBB263_401
.LBB263_395:
	s_mov_b32 s5, 0
	s_mov_b32 s4, -1
	s_mov_b32 s0, s34
	s_branch .LBB263_468
.LBB263_396:
	s_and_not1_saveexec_b32 s6, s6
	s_cbranch_execz .LBB263_295
.LBB263_397:
	v_add_f32_e32 v2, 0x46000000, v3
	s_and_not1_b32 s5, s5, exec_lo
	s_delay_alu instid0(VALU_DEP_1) | instskip(NEXT) | instid1(VALU_DEP_1)
	v_and_b32_e32 v2, 0xff, v2
	v_cmp_ne_u32_e32 vcc_lo, 0, v2
	s_and_b32 s7, vcc_lo, exec_lo
	s_delay_alu instid0(SALU_CYCLE_1)
	s_or_b32 s5, s5, s7
	s_or_b32 exec_lo, exec_lo, s6
	v_mov_b32_e32 v4, 0
	s_and_saveexec_b32 s6, s5
	s_cbranch_execnz .LBB263_296
	s_branch .LBB263_297
.LBB263_398:
	s_and_not1_saveexec_b32 s6, s6
	s_cbranch_execz .LBB263_308
.LBB263_399:
	v_add_f32_e32 v2, 0x42800000, v3
	s_and_not1_b32 s5, s5, exec_lo
	s_delay_alu instid0(VALU_DEP_1) | instskip(NEXT) | instid1(VALU_DEP_1)
	v_and_b32_e32 v2, 0xff, v2
	v_cmp_ne_u32_e32 vcc_lo, 0, v2
	s_and_b32 s7, vcc_lo, exec_lo
	s_delay_alu instid0(SALU_CYCLE_1)
	s_or_b32 s5, s5, s7
	s_or_b32 exec_lo, exec_lo, s6
	v_mov_b32_e32 v4, 0
	s_and_saveexec_b32 s6, s5
	s_cbranch_execnz .LBB263_309
	s_branch .LBB263_310
.LBB263_400:
	s_mov_b32 s4, 0
.LBB263_401:
	s_delay_alu instid0(SALU_CYCLE_1)
	s_and_b32 vcc_lo, exec_lo, s4
	s_cbranch_vccz .LBB263_406
; %bb.402:
	s_cmp_eq_u32 s3, 44
	s_mov_b32 s0, -1
	s_cbranch_scc0 .LBB263_406
; %bb.403:
	v_cndmask_b32_e64 v4, 0, 1.0, s1
	s_mov_b32 s4, exec_lo
	s_wait_xcnt 0x0
	s_delay_alu instid0(VALU_DEP_1) | instskip(NEXT) | instid1(VALU_DEP_1)
	v_dual_mov_b32 v3, 0xff :: v_dual_lshrrev_b32 v2, 23, v4
	v_cmpx_ne_u32_e32 0xff, v2
; %bb.404:
	v_and_b32_e32 v3, 0x400000, v4
	v_and_or_b32 v4, 0x3fffff, v4, v2
	s_delay_alu instid0(VALU_DEP_2) | instskip(NEXT) | instid1(VALU_DEP_2)
	v_cmp_ne_u32_e32 vcc_lo, 0, v3
	v_cmp_ne_u32_e64 s0, 0, v4
	s_and_b32 s0, vcc_lo, s0
	s_delay_alu instid0(SALU_CYCLE_1) | instskip(NEXT) | instid1(VALU_DEP_1)
	v_cndmask_b32_e64 v3, 0, 1, s0
	v_add_nc_u32_e32 v3, v2, v3
; %bb.405:
	s_or_b32 exec_lo, exec_lo, s4
	s_mov_b32 s0, 0
	global_store_b8 v[0:1], v3, off
.LBB263_406:
	s_mov_b32 s4, 0
.LBB263_407:
	s_delay_alu instid0(SALU_CYCLE_1)
	s_and_b32 vcc_lo, exec_lo, s4
	s_cbranch_vccz .LBB263_410
; %bb.408:
	s_cmp_eq_u32 s3, 29
	s_mov_b32 s0, -1
	s_cbranch_scc0 .LBB263_410
; %bb.409:
	s_mov_b32 s0, 0
	s_wait_xcnt 0x0
	v_cndmask_b32_e64 v2, 0, 1, s1
	v_mov_b32_e32 v3, s0
	s_mov_b32 s4, 0
	global_store_b64 v[0:1], v[2:3], off
	s_branch .LBB263_411
.LBB263_410:
	s_mov_b32 s4, 0
.LBB263_411:
	s_delay_alu instid0(SALU_CYCLE_1)
	s_and_b32 vcc_lo, exec_lo, s4
	s_cbranch_vccz .LBB263_426
; %bb.412:
	s_cmp_lt_i32 s3, 27
	s_mov_b32 s4, -1
	s_cbranch_scc1 .LBB263_418
; %bb.413:
	s_wait_xcnt 0x0
	v_cndmask_b32_e64 v2, 0, 1, s1
	s_cmp_gt_i32 s3, 27
	s_cbranch_scc0 .LBB263_415
; %bb.414:
	s_mov_b32 s4, 0
	global_store_b32 v[0:1], v2, off
.LBB263_415:
	s_and_not1_b32 vcc_lo, exec_lo, s4
	s_cbranch_vccnz .LBB263_417
; %bb.416:
	global_store_b16 v[0:1], v2, off
.LBB263_417:
	s_mov_b32 s4, 0
.LBB263_418:
	s_delay_alu instid0(SALU_CYCLE_1)
	s_and_not1_b32 vcc_lo, exec_lo, s4
	s_cbranch_vccnz .LBB263_426
; %bb.419:
	s_wait_xcnt 0x0
	v_cndmask_b32_e64 v3, 0, 1.0, s1
	v_mov_b32_e32 v4, 0x80
	s_mov_b32 s4, exec_lo
	s_delay_alu instid0(VALU_DEP_2)
	v_cmpx_gt_u32_e32 0x43800000, v3
	s_cbranch_execz .LBB263_425
; %bb.420:
	s_mov_b32 s5, 0
	s_mov_b32 s6, exec_lo
                                        ; implicit-def: $vgpr2
	v_cmpx_lt_u32_e32 0x3bffffff, v3
	s_xor_b32 s6, exec_lo, s6
	s_cbranch_execz .LBB263_1007
; %bb.421:
	v_bfe_u32 v2, v3, 20, 1
	s_mov_b32 s5, exec_lo
	s_delay_alu instid0(VALU_DEP_1) | instskip(NEXT) | instid1(VALU_DEP_1)
	v_add3_u32 v2, v3, v2, 0x487ffff
                                        ; implicit-def: $vgpr3
	v_lshrrev_b32_e32 v2, 20, v2
	s_and_not1_saveexec_b32 s6, s6
	s_cbranch_execnz .LBB263_1008
.LBB263_422:
	s_or_b32 exec_lo, exec_lo, s6
	v_mov_b32_e32 v4, 0
	s_and_saveexec_b32 s6, s5
.LBB263_423:
	v_mov_b32_e32 v4, v2
.LBB263_424:
	s_or_b32 exec_lo, exec_lo, s6
.LBB263_425:
	s_delay_alu instid0(SALU_CYCLE_1)
	s_or_b32 exec_lo, exec_lo, s4
	global_store_b8 v[0:1], v4, off
.LBB263_426:
	s_mov_b32 s4, 0
.LBB263_427:
	s_delay_alu instid0(SALU_CYCLE_1)
	s_and_b32 vcc_lo, exec_lo, s4
	s_mov_b32 s4, 0
	s_cbranch_vccz .LBB263_467
; %bb.428:
	s_cmp_gt_i32 s3, 22
	s_mov_b32 s5, -1
	s_cbranch_scc0 .LBB263_460
; %bb.429:
	s_cmp_lt_i32 s3, 24
	s_cbranch_scc1 .LBB263_449
; %bb.430:
	s_cmp_gt_i32 s3, 24
	s_cbranch_scc0 .LBB263_438
; %bb.431:
	s_wait_xcnt 0x0
	v_cndmask_b32_e64 v3, 0, 1.0, s1
	v_mov_b32_e32 v4, 0x80
	s_mov_b32 s5, exec_lo
	s_delay_alu instid0(VALU_DEP_2)
	v_cmpx_gt_u32_e32 0x47800000, v3
	s_cbranch_execz .LBB263_437
; %bb.432:
	s_mov_b32 s6, 0
	s_mov_b32 s7, exec_lo
                                        ; implicit-def: $vgpr2
	v_cmpx_lt_u32_e32 0x37ffffff, v3
	s_xor_b32 s7, exec_lo, s7
	s_cbranch_execz .LBB263_1011
; %bb.433:
	v_bfe_u32 v2, v3, 21, 1
	s_mov_b32 s6, exec_lo
	s_delay_alu instid0(VALU_DEP_1) | instskip(NEXT) | instid1(VALU_DEP_1)
	v_add3_u32 v2, v3, v2, 0x88fffff
                                        ; implicit-def: $vgpr3
	v_lshrrev_b32_e32 v2, 21, v2
	s_and_not1_saveexec_b32 s7, s7
	s_cbranch_execnz .LBB263_1012
.LBB263_434:
	s_or_b32 exec_lo, exec_lo, s7
	v_mov_b32_e32 v4, 0
	s_and_saveexec_b32 s7, s6
.LBB263_435:
	v_mov_b32_e32 v4, v2
.LBB263_436:
	s_or_b32 exec_lo, exec_lo, s7
.LBB263_437:
	s_delay_alu instid0(SALU_CYCLE_1)
	s_or_b32 exec_lo, exec_lo, s5
	s_mov_b32 s5, 0
	global_store_b8 v[0:1], v4, off
.LBB263_438:
	s_and_b32 vcc_lo, exec_lo, s5
	s_cbranch_vccz .LBB263_448
; %bb.439:
	s_wait_xcnt 0x0
	v_cndmask_b32_e64 v3, 0, 1.0, s1
	s_mov_b32 s5, exec_lo
                                        ; implicit-def: $vgpr2
	s_delay_alu instid0(VALU_DEP_1)
	v_cmpx_gt_u32_e32 0x43f00000, v3
	s_xor_b32 s5, exec_lo, s5
	s_cbranch_execz .LBB263_445
; %bb.440:
	s_mov_b32 s6, exec_lo
                                        ; implicit-def: $vgpr2
	v_cmpx_lt_u32_e32 0x3c7fffff, v3
	s_xor_b32 s6, exec_lo, s6
; %bb.441:
	v_bfe_u32 v2, v3, 20, 1
	s_delay_alu instid0(VALU_DEP_1) | instskip(NEXT) | instid1(VALU_DEP_1)
	v_add3_u32 v2, v3, v2, 0x407ffff
	v_and_b32_e32 v3, 0xff00000, v2
	v_lshrrev_b32_e32 v2, 20, v2
	s_delay_alu instid0(VALU_DEP_2) | instskip(NEXT) | instid1(VALU_DEP_2)
	v_cmp_ne_u32_e32 vcc_lo, 0x7f00000, v3
                                        ; implicit-def: $vgpr3
	v_cndmask_b32_e32 v2, 0x7e, v2, vcc_lo
; %bb.442:
	s_and_not1_saveexec_b32 s6, s6
; %bb.443:
	v_add_f32_e32 v2, 0x46800000, v3
; %bb.444:
	s_or_b32 exec_lo, exec_lo, s6
                                        ; implicit-def: $vgpr3
.LBB263_445:
	s_and_not1_saveexec_b32 s5, s5
; %bb.446:
	v_mov_b32_e32 v2, 0x7f
	v_cmp_lt_u32_e32 vcc_lo, 0x7f800000, v3
	s_delay_alu instid0(VALU_DEP_2)
	v_cndmask_b32_e32 v2, 0x7e, v2, vcc_lo
; %bb.447:
	s_or_b32 exec_lo, exec_lo, s5
	global_store_b8 v[0:1], v2, off
.LBB263_448:
	s_mov_b32 s5, 0
.LBB263_449:
	s_delay_alu instid0(SALU_CYCLE_1)
	s_and_not1_b32 vcc_lo, exec_lo, s5
	s_cbranch_vccnz .LBB263_459
; %bb.450:
	s_wait_xcnt 0x0
	v_cndmask_b32_e64 v3, 0, 1.0, s1
	s_mov_b32 s5, exec_lo
                                        ; implicit-def: $vgpr2
	s_delay_alu instid0(VALU_DEP_1)
	v_cmpx_gt_u32_e32 0x47800000, v3
	s_xor_b32 s5, exec_lo, s5
	s_cbranch_execz .LBB263_456
; %bb.451:
	s_mov_b32 s6, exec_lo
                                        ; implicit-def: $vgpr2
	v_cmpx_lt_u32_e32 0x387fffff, v3
	s_xor_b32 s6, exec_lo, s6
; %bb.452:
	v_bfe_u32 v2, v3, 21, 1
	s_delay_alu instid0(VALU_DEP_1) | instskip(NEXT) | instid1(VALU_DEP_1)
	v_add3_u32 v2, v3, v2, 0x80fffff
                                        ; implicit-def: $vgpr3
	v_lshrrev_b32_e32 v2, 21, v2
; %bb.453:
	s_and_not1_saveexec_b32 s6, s6
; %bb.454:
	v_add_f32_e32 v2, 0x43000000, v3
; %bb.455:
	s_or_b32 exec_lo, exec_lo, s6
                                        ; implicit-def: $vgpr3
.LBB263_456:
	s_and_not1_saveexec_b32 s5, s5
; %bb.457:
	v_mov_b32_e32 v2, 0x7f
	v_cmp_lt_u32_e32 vcc_lo, 0x7f800000, v3
	s_delay_alu instid0(VALU_DEP_2)
	v_cndmask_b32_e32 v2, 0x7c, v2, vcc_lo
; %bb.458:
	s_or_b32 exec_lo, exec_lo, s5
	global_store_b8 v[0:1], v2, off
.LBB263_459:
	s_mov_b32 s5, 0
.LBB263_460:
	s_delay_alu instid0(SALU_CYCLE_1)
	s_and_not1_b32 vcc_lo, exec_lo, s5
	s_mov_b32 s5, 0
	s_cbranch_vccnz .LBB263_468
; %bb.461:
	s_cmp_gt_i32 s3, 14
	s_mov_b32 s5, -1
	s_cbranch_scc0 .LBB263_465
; %bb.462:
	s_cmp_eq_u32 s3, 15
	s_mov_b32 s0, -1
	s_cbranch_scc0 .LBB263_464
; %bb.463:
	s_wait_xcnt 0x0
	v_cndmask_b32_e64 v2, 0, 1.0, s1
	s_mov_b32 s0, 0
	s_delay_alu instid0(VALU_DEP_1) | instskip(NEXT) | instid1(VALU_DEP_1)
	v_bfe_u32 v3, v2, 16, 1
	v_add3_u32 v2, v2, v3, 0x7fff
	global_store_d16_hi_b16 v[0:1], v2, off
.LBB263_464:
	s_mov_b32 s5, 0
.LBB263_465:
	s_delay_alu instid0(SALU_CYCLE_1)
	s_and_b32 vcc_lo, exec_lo, s5
	s_mov_b32 s5, 0
	s_cbranch_vccz .LBB263_468
; %bb.466:
	s_cmp_lg_u32 s3, 11
	s_mov_b32 s5, -1
	s_cselect_b32 s3, -1, 0
	s_and_not1_b32 s0, s0, exec_lo
	s_and_b32 s3, s3, exec_lo
	s_delay_alu instid0(SALU_CYCLE_1)
	s_or_b32 s0, s0, s3
	s_branch .LBB263_468
.LBB263_467:
	s_mov_b32 s5, 0
.LBB263_468:
	s_and_b32 s3, s4, exec_lo
	s_and_not1_b32 s4, s34, exec_lo
	s_and_b32 s6, s0, exec_lo
	s_and_b32 s0, s5, exec_lo
	s_or_b32 s4, s4, s6
.LBB263_469:
	s_wait_xcnt 0x0
	s_or_b32 exec_lo, exec_lo, s15
	s_delay_alu instid0(SALU_CYCLE_1)
	s_and_not1_b32 s5, s34, exec_lo
	s_and_b32 s4, s4, exec_lo
	s_and_b32 s3, s3, exec_lo
	s_and_b32 s0, s0, exec_lo
	s_or_b32 s34, s5, s4
.LBB263_470:
	s_or_b32 exec_lo, exec_lo, s33
	s_delay_alu instid0(SALU_CYCLE_1)
	s_and_not1_b32 s4, s28, exec_lo
	s_and_b32 s5, s34, exec_lo
	s_and_b32 s3, s3, exec_lo
	;; [unrolled: 1-line block ×3, first 2 shown]
	s_or_b32 s28, s4, s5
.LBB263_471:
	s_or_b32 exec_lo, exec_lo, s29
	s_delay_alu instid0(SALU_CYCLE_1)
	s_and_not1_b32 s4, s26, exec_lo
	s_and_b32 s5, s28, exec_lo
	s_and_b32 s3, s3, exec_lo
	;; [unrolled: 1-line block ×3, first 2 shown]
	s_or_b32 s26, s4, s5
	s_or_b32 exec_lo, exec_lo, s27
	s_mov_b32 s0, 0
	s_and_saveexec_b32 s4, s26
	s_cbranch_execz .LBB263_134
.LBB263_472:
	s_mov_b32 s0, exec_lo
	s_and_not1_b32 s28, s28, exec_lo
	s_trap 2
	s_or_b32 exec_lo, exec_lo, s4
	s_and_saveexec_b32 s4, s28
	s_delay_alu instid0(SALU_CYCLE_1)
	s_xor_b32 s4, exec_lo, s4
	s_cbranch_execnz .LBB263_135
.LBB263_473:
	s_or_b32 exec_lo, exec_lo, s4
	s_and_saveexec_b32 s4, s3
	s_delay_alu instid0(SALU_CYCLE_1)
	s_xor_b32 s3, exec_lo, s4
	s_cbranch_execz .LBB263_511
.LBB263_474:
	s_sext_i32_i16 s5, s2
	s_mov_b32 s4, -1
	s_cmp_lt_i32 s5, 5
	s_cbranch_scc1 .LBB263_495
; %bb.475:
	s_cmp_lt_i32 s5, 8
	s_cbranch_scc1 .LBB263_485
; %bb.476:
	;; [unrolled: 3-line block ×3, first 2 shown]
	s_cmp_gt_i32 s5, 9
	s_cbranch_scc0 .LBB263_479
; %bb.478:
	v_cndmask_b32_e64 v2, 0, 1, s1
	v_mov_b32_e32 v4, 0
	s_mov_b32 s4, 0
	s_delay_alu instid0(VALU_DEP_2) | instskip(NEXT) | instid1(VALU_DEP_2)
	v_cvt_f64_u32_e32 v[2:3], v2
	v_mov_b32_e32 v5, v4
	global_store_b128 v[0:1], v[2:5], off
.LBB263_479:
	s_and_not1_b32 vcc_lo, exec_lo, s4
	s_cbranch_vccnz .LBB263_481
; %bb.480:
	s_wait_xcnt 0x0
	v_cndmask_b32_e64 v2, 0, 1.0, s1
	v_mov_b32_e32 v3, 0
	global_store_b64 v[0:1], v[2:3], off
.LBB263_481:
	s_mov_b32 s4, 0
.LBB263_482:
	s_delay_alu instid0(SALU_CYCLE_1)
	s_and_not1_b32 vcc_lo, exec_lo, s4
	s_cbranch_vccnz .LBB263_484
; %bb.483:
	s_wait_xcnt 0x0
	v_cndmask_b32_e64 v2, 0, 1.0, s1
	s_delay_alu instid0(VALU_DEP_1) | instskip(NEXT) | instid1(VALU_DEP_1)
	v_cvt_f16_f32_e32 v2, v2
	v_and_b32_e32 v2, 0xffff, v2
	global_store_b32 v[0:1], v2, off
.LBB263_484:
	s_mov_b32 s4, 0
.LBB263_485:
	s_delay_alu instid0(SALU_CYCLE_1)
	s_and_not1_b32 vcc_lo, exec_lo, s4
	s_cbranch_vccnz .LBB263_494
; %bb.486:
	s_sext_i32_i16 s5, s2
	s_mov_b32 s4, -1
	s_cmp_lt_i32 s5, 6
	s_cbranch_scc1 .LBB263_492
; %bb.487:
	s_cmp_gt_i32 s5, 6
	s_cbranch_scc0 .LBB263_489
; %bb.488:
	s_wait_xcnt 0x0
	v_cndmask_b32_e64 v2, 0, 1, s1
	s_mov_b32 s4, 0
	s_delay_alu instid0(VALU_DEP_1)
	v_cvt_f64_u32_e32 v[2:3], v2
	global_store_b64 v[0:1], v[2:3], off
.LBB263_489:
	s_and_not1_b32 vcc_lo, exec_lo, s4
	s_cbranch_vccnz .LBB263_491
; %bb.490:
	s_wait_xcnt 0x0
	v_cndmask_b32_e64 v2, 0, 1.0, s1
	global_store_b32 v[0:1], v2, off
.LBB263_491:
	s_mov_b32 s4, 0
.LBB263_492:
	s_delay_alu instid0(SALU_CYCLE_1)
	s_and_not1_b32 vcc_lo, exec_lo, s4
	s_cbranch_vccnz .LBB263_494
; %bb.493:
	s_wait_xcnt 0x0
	v_cndmask_b32_e64 v2, 0, 1.0, s1
	s_delay_alu instid0(VALU_DEP_1)
	v_cvt_f16_f32_e32 v2, v2
	global_store_b16 v[0:1], v2, off
.LBB263_494:
	s_mov_b32 s4, 0
.LBB263_495:
	s_delay_alu instid0(SALU_CYCLE_1)
	s_and_not1_b32 vcc_lo, exec_lo, s4
	s_cbranch_vccnz .LBB263_511
; %bb.496:
	s_sext_i32_i16 s5, s2
	s_mov_b32 s4, -1
	s_cmp_lt_i32 s5, 2
	s_cbranch_scc1 .LBB263_506
; %bb.497:
	s_cmp_lt_i32 s5, 3
	s_cbranch_scc1 .LBB263_503
; %bb.498:
	s_cmp_gt_i32 s5, 3
	s_cbranch_scc0 .LBB263_500
; %bb.499:
	s_mov_b32 s4, 0
	s_wait_xcnt 0x0
	v_cndmask_b32_e64 v2, 0, 1, s1
	v_mov_b32_e32 v3, s4
	global_store_b64 v[0:1], v[2:3], off
.LBB263_500:
	s_and_not1_b32 vcc_lo, exec_lo, s4
	s_cbranch_vccnz .LBB263_502
; %bb.501:
	s_wait_xcnt 0x0
	v_cndmask_b32_e64 v2, 0, 1, s1
	global_store_b32 v[0:1], v2, off
.LBB263_502:
	s_mov_b32 s4, 0
.LBB263_503:
	s_delay_alu instid0(SALU_CYCLE_1)
	s_and_not1_b32 vcc_lo, exec_lo, s4
	s_cbranch_vccnz .LBB263_505
; %bb.504:
	s_wait_xcnt 0x0
	v_cndmask_b32_e64 v2, 0, 1, s1
	global_store_b16 v[0:1], v2, off
.LBB263_505:
	s_mov_b32 s4, 0
.LBB263_506:
	s_delay_alu instid0(SALU_CYCLE_1)
	s_and_not1_b32 vcc_lo, exec_lo, s4
	s_cbranch_vccnz .LBB263_511
; %bb.507:
	s_wait_xcnt 0x0
	v_cndmask_b32_e64 v2, 0, 1, s1
	s_sext_i32_i16 s2, s2
	s_mov_b32 s1, -1
	s_cmp_gt_i32 s2, 0
	s_cbranch_scc0 .LBB263_509
; %bb.508:
	s_mov_b32 s1, 0
	global_store_b8 v[0:1], v2, off
.LBB263_509:
	s_and_not1_b32 vcc_lo, exec_lo, s1
	s_cbranch_vccnz .LBB263_511
; %bb.510:
	global_store_b8 v[0:1], v2, off
.LBB263_511:
	s_wait_xcnt 0x0
	s_or_b32 exec_lo, exec_lo, s3
	s_delay_alu instid0(SALU_CYCLE_1)
	s_and_b32 s26, s0, exec_lo
                                        ; implicit-def: $vgpr10
                                        ; implicit-def: $vgpr11
.LBB263_512:
	s_or_saveexec_b32 s27, s14
	s_mov_b32 s0, 0
                                        ; implicit-def: $sgpr1
                                        ; implicit-def: $sgpr2
                                        ; implicit-def: $vgpr0_vgpr1
	s_xor_b32 exec_lo, exec_lo, s27
	s_cbranch_execz .LBB263_945
; %bb.513:
	v_dual_mov_b32 v1, s23 :: v_dual_add_nc_u32 v12, 0x80, v10
	v_dual_mov_b32 v0, s22 :: v_dual_add_nc_u32 v13, 0x100, v10
	v_dual_mov_b32 v2, s18 :: v_dual_mov_b32 v3, s19
	v_dual_mov_b32 v4, s21 :: v_dual_mov_b32 v5, s25
	v_mov_b32_e32 v6, v10
	s_get_pc_i64 s[28:29]
	s_add_nc_u64 s[28:29], s[28:29], _ZN2at6native6invokeINS0_13AUnaryFunctorIN3c1015Float8_e5m2fnuzES4_bNS0_12_GLOBAL__N_116CompareEqFunctorIS4_EEEEi15function_traitsIS8_EEENT1_11result_typeERKT_PrKPcPKT0_PKNS3_10ScalarTypeEi@rel64+4
	s_delay_alu instid0(SALU_CYCLE_1) | instskip(SKIP_3) | instid1(VALU_DEP_3)
	s_swap_pc_i64 s[30:31], s[28:29]
	v_dual_mov_b32 v1, s23 :: v_dual_bitop2_b32 v0, 1, v0 bitop3:0x40
	v_dual_mov_b32 v3, s19 :: v_dual_mov_b32 v4, s21
	v_dual_mov_b32 v5, s25 :: v_dual_mov_b32 v6, v12
	v_cmp_eq_u32_e64 s15, 1, v0
	v_dual_mov_b32 v0, s22 :: v_dual_mov_b32 v2, s18
	s_swap_pc_i64 s[30:31], s[28:29]
	s_delay_alu instid0(VALU_DEP_1) | instskip(SKIP_2) | instid1(VALU_DEP_3)
	v_dual_mov_b32 v1, s23 :: v_dual_bitop2_b32 v0, 1, v0 bitop3:0x40
	v_dual_mov_b32 v3, s19 :: v_dual_mov_b32 v4, s21
	v_dual_mov_b32 v5, s25 :: v_dual_mov_b32 v6, v13
	v_cmp_eq_u32_e64 s14, 1, v0
	v_dual_mov_b32 v0, s22 :: v_dual_mov_b32 v2, s18
	s_swap_pc_i64 s[30:31], s[28:29]
	s_delay_alu instid0(VALU_DEP_1) | instskip(SKIP_2) | instid1(VALU_DEP_3)
	v_dual_mov_b32 v1, s23 :: v_dual_bitop2_b32 v0, 1, v0 bitop3:0x40
	v_dual_mov_b32 v3, s19 :: v_dual_mov_b32 v4, s21
	v_dual_mov_b32 v5, s25 :: v_dual_mov_b32 v6, v11
	v_cmp_eq_u32_e64 s13, 1, v0
	v_dual_mov_b32 v0, s22 :: v_dual_mov_b32 v2, s18
	s_swap_pc_i64 s[30:31], s[28:29]
	s_delay_alu instid0(VALU_DEP_1) | instskip(SKIP_1) | instid1(SALU_CYCLE_1)
	v_and_b32_e32 v0, 1, v0
	s_and_b32 s2, s24, 0xff
	s_cmp_lt_i32 s2, 11
	s_delay_alu instid0(VALU_DEP_1) | instskip(SKIP_1) | instid1(VALU_DEP_1)
	v_cmp_eq_u32_e64 s1, 1, v0
	v_mul_lo_u32 v0, s20, v10
	v_ashrrev_i32_e32 v1, 31, v0
	s_delay_alu instid0(VALU_DEP_1)
	v_add_nc_u64_e32 v[2:3], s[16:17], v[0:1]
	s_cbranch_scc1 .LBB263_592
; %bb.514:
	s_and_b32 s3, 0xffff, s2
	s_mov_b32 s6, -1
	s_mov_b32 s4, 0
	s_cmp_gt_i32 s3, 25
	s_mov_b32 s5, 0
	s_mov_b32 s0, 0
	s_cbranch_scc0 .LBB263_547
; %bb.515:
	s_cmp_gt_i32 s3, 28
	s_cbranch_scc0 .LBB263_530
; %bb.516:
	s_cmp_gt_i32 s3, 43
	;; [unrolled: 3-line block ×3, first 2 shown]
	s_cbranch_scc0 .LBB263_520
; %bb.518:
	s_mov_b32 s0, -1
	s_mov_b32 s6, 0
	s_cmp_eq_u32 s3, 46
	s_cbranch_scc0 .LBB263_520
; %bb.519:
	v_cndmask_b32_e64 v1, 0, 1.0, s15
	s_mov_b32 s0, 0
	s_mov_b32 s5, -1
	s_delay_alu instid0(VALU_DEP_1) | instskip(NEXT) | instid1(VALU_DEP_1)
	v_bfe_u32 v4, v1, 16, 1
	v_add3_u32 v1, v1, v4, 0x7fff
	s_delay_alu instid0(VALU_DEP_1)
	v_lshrrev_b32_e32 v1, 16, v1
	global_store_b32 v[2:3], v1, off
.LBB263_520:
	s_and_b32 vcc_lo, exec_lo, s6
	s_cbranch_vccz .LBB263_525
; %bb.521:
	s_cmp_eq_u32 s3, 44
	s_mov_b32 s0, -1
	s_cbranch_scc0 .LBB263_525
; %bb.522:
	v_cndmask_b32_e64 v5, 0, 1.0, s15
	s_mov_b32 s5, exec_lo
	s_wait_xcnt 0x0
	s_delay_alu instid0(VALU_DEP_1) | instskip(NEXT) | instid1(VALU_DEP_1)
	v_dual_mov_b32 v4, 0xff :: v_dual_lshrrev_b32 v1, 23, v5
	v_cmpx_ne_u32_e32 0xff, v1
; %bb.523:
	v_and_b32_e32 v4, 0x400000, v5
	v_and_or_b32 v5, 0x3fffff, v5, v1
	s_delay_alu instid0(VALU_DEP_2) | instskip(NEXT) | instid1(VALU_DEP_2)
	v_cmp_ne_u32_e32 vcc_lo, 0, v4
	v_cmp_ne_u32_e64 s0, 0, v5
	s_and_b32 s0, vcc_lo, s0
	s_delay_alu instid0(SALU_CYCLE_1) | instskip(NEXT) | instid1(VALU_DEP_1)
	v_cndmask_b32_e64 v4, 0, 1, s0
	v_add_nc_u32_e32 v4, v1, v4
; %bb.524:
	s_or_b32 exec_lo, exec_lo, s5
	s_mov_b32 s0, 0
	s_mov_b32 s5, -1
	global_store_b8 v[2:3], v4, off
.LBB263_525:
	s_mov_b32 s6, 0
.LBB263_526:
	s_delay_alu instid0(SALU_CYCLE_1)
	s_and_b32 vcc_lo, exec_lo, s6
	s_cbranch_vccz .LBB263_529
; %bb.527:
	s_cmp_eq_u32 s3, 29
	s_mov_b32 s0, -1
	s_cbranch_scc0 .LBB263_529
; %bb.528:
	s_mov_b32 s0, 0
	s_wait_xcnt 0x0
	v_cndmask_b32_e64 v4, 0, 1, s15
	v_mov_b32_e32 v5, s0
	s_mov_b32 s5, -1
	global_store_b64 v[2:3], v[4:5], off
.LBB263_529:
	s_mov_b32 s6, 0
.LBB263_530:
	s_delay_alu instid0(SALU_CYCLE_1)
	s_and_b32 vcc_lo, exec_lo, s6
	s_cbranch_vccz .LBB263_546
; %bb.531:
	s_cmp_lt_i32 s3, 27
	s_mov_b32 s5, -1
	s_cbranch_scc1 .LBB263_537
; %bb.532:
	s_cmp_gt_i32 s3, 27
	s_cbranch_scc0 .LBB263_534
; %bb.533:
	s_wait_xcnt 0x0
	v_cndmask_b32_e64 v1, 0, 1, s15
	s_mov_b32 s5, 0
	global_store_b32 v[2:3], v1, off
.LBB263_534:
	s_and_not1_b32 vcc_lo, exec_lo, s5
	s_cbranch_vccnz .LBB263_536
; %bb.535:
	s_wait_xcnt 0x0
	v_cndmask_b32_e64 v1, 0, 1, s15
	global_store_b16 v[2:3], v1, off
.LBB263_536:
	s_mov_b32 s5, 0
.LBB263_537:
	s_delay_alu instid0(SALU_CYCLE_1)
	s_and_not1_b32 vcc_lo, exec_lo, s5
	s_cbranch_vccnz .LBB263_545
; %bb.538:
	s_wait_xcnt 0x0
	v_cndmask_b32_e64 v4, 0, 1.0, s15
	v_mov_b32_e32 v5, 0x80
	s_mov_b32 s5, exec_lo
	s_delay_alu instid0(VALU_DEP_2)
	v_cmpx_gt_u32_e32 0x43800000, v4
	s_cbranch_execz .LBB263_544
; %bb.539:
	s_mov_b32 s6, 0
	s_mov_b32 s7, exec_lo
                                        ; implicit-def: $vgpr1
	v_cmpx_lt_u32_e32 0x3bffffff, v4
	s_xor_b32 s7, exec_lo, s7
	s_cbranch_execz .LBB263_989
; %bb.540:
	v_bfe_u32 v1, v4, 20, 1
	s_mov_b32 s6, exec_lo
	s_delay_alu instid0(VALU_DEP_1) | instskip(NEXT) | instid1(VALU_DEP_1)
	v_add3_u32 v1, v4, v1, 0x487ffff
                                        ; implicit-def: $vgpr4
	v_lshrrev_b32_e32 v1, 20, v1
	s_and_not1_saveexec_b32 s7, s7
	s_cbranch_execnz .LBB263_990
.LBB263_541:
	s_or_b32 exec_lo, exec_lo, s7
	v_mov_b32_e32 v5, 0
	s_and_saveexec_b32 s7, s6
.LBB263_542:
	v_mov_b32_e32 v5, v1
.LBB263_543:
	s_or_b32 exec_lo, exec_lo, s7
.LBB263_544:
	s_delay_alu instid0(SALU_CYCLE_1)
	s_or_b32 exec_lo, exec_lo, s5
	global_store_b8 v[2:3], v5, off
.LBB263_545:
	s_mov_b32 s5, -1
.LBB263_546:
	s_mov_b32 s6, 0
.LBB263_547:
	s_delay_alu instid0(SALU_CYCLE_1)
	s_and_b32 vcc_lo, exec_lo, s6
	s_cbranch_vccz .LBB263_587
; %bb.548:
	s_cmp_gt_i32 s3, 22
	s_mov_b32 s4, -1
	s_cbranch_scc0 .LBB263_580
; %bb.549:
	s_cmp_lt_i32 s3, 24
	s_cbranch_scc1 .LBB263_569
; %bb.550:
	s_cmp_gt_i32 s3, 24
	s_cbranch_scc0 .LBB263_558
; %bb.551:
	s_wait_xcnt 0x0
	v_cndmask_b32_e64 v4, 0, 1.0, s15
	v_mov_b32_e32 v5, 0x80
	s_mov_b32 s4, exec_lo
	s_delay_alu instid0(VALU_DEP_2)
	v_cmpx_gt_u32_e32 0x47800000, v4
	s_cbranch_execz .LBB263_557
; %bb.552:
	s_mov_b32 s5, 0
	s_mov_b32 s6, exec_lo
                                        ; implicit-def: $vgpr1
	v_cmpx_lt_u32_e32 0x37ffffff, v4
	s_xor_b32 s6, exec_lo, s6
	s_cbranch_execz .LBB263_992
; %bb.553:
	v_bfe_u32 v1, v4, 21, 1
	s_mov_b32 s5, exec_lo
	s_delay_alu instid0(VALU_DEP_1) | instskip(NEXT) | instid1(VALU_DEP_1)
	v_add3_u32 v1, v4, v1, 0x88fffff
                                        ; implicit-def: $vgpr4
	v_lshrrev_b32_e32 v1, 21, v1
	s_and_not1_saveexec_b32 s6, s6
	s_cbranch_execnz .LBB263_993
.LBB263_554:
	s_or_b32 exec_lo, exec_lo, s6
	v_mov_b32_e32 v5, 0
	s_and_saveexec_b32 s6, s5
.LBB263_555:
	v_mov_b32_e32 v5, v1
.LBB263_556:
	s_or_b32 exec_lo, exec_lo, s6
.LBB263_557:
	s_delay_alu instid0(SALU_CYCLE_1)
	s_or_b32 exec_lo, exec_lo, s4
	s_mov_b32 s4, 0
	global_store_b8 v[2:3], v5, off
.LBB263_558:
	s_and_b32 vcc_lo, exec_lo, s4
	s_cbranch_vccz .LBB263_568
; %bb.559:
	s_wait_xcnt 0x0
	v_cndmask_b32_e64 v4, 0, 1.0, s15
	s_mov_b32 s4, exec_lo
                                        ; implicit-def: $vgpr1
	s_delay_alu instid0(VALU_DEP_1)
	v_cmpx_gt_u32_e32 0x43f00000, v4
	s_xor_b32 s4, exec_lo, s4
	s_cbranch_execz .LBB263_565
; %bb.560:
	s_mov_b32 s5, exec_lo
                                        ; implicit-def: $vgpr1
	v_cmpx_lt_u32_e32 0x3c7fffff, v4
	s_xor_b32 s5, exec_lo, s5
; %bb.561:
	v_bfe_u32 v1, v4, 20, 1
	s_delay_alu instid0(VALU_DEP_1) | instskip(NEXT) | instid1(VALU_DEP_1)
	v_add3_u32 v1, v4, v1, 0x407ffff
	v_and_b32_e32 v4, 0xff00000, v1
	v_lshrrev_b32_e32 v1, 20, v1
	s_delay_alu instid0(VALU_DEP_2) | instskip(NEXT) | instid1(VALU_DEP_2)
	v_cmp_ne_u32_e32 vcc_lo, 0x7f00000, v4
                                        ; implicit-def: $vgpr4
	v_cndmask_b32_e32 v1, 0x7e, v1, vcc_lo
; %bb.562:
	s_and_not1_saveexec_b32 s5, s5
; %bb.563:
	v_add_f32_e32 v1, 0x46800000, v4
; %bb.564:
	s_or_b32 exec_lo, exec_lo, s5
                                        ; implicit-def: $vgpr4
.LBB263_565:
	s_and_not1_saveexec_b32 s4, s4
; %bb.566:
	v_mov_b32_e32 v1, 0x7f
	v_cmp_lt_u32_e32 vcc_lo, 0x7f800000, v4
	s_delay_alu instid0(VALU_DEP_2)
	v_cndmask_b32_e32 v1, 0x7e, v1, vcc_lo
; %bb.567:
	s_or_b32 exec_lo, exec_lo, s4
	global_store_b8 v[2:3], v1, off
.LBB263_568:
	s_mov_b32 s4, 0
.LBB263_569:
	s_delay_alu instid0(SALU_CYCLE_1)
	s_and_not1_b32 vcc_lo, exec_lo, s4
	s_cbranch_vccnz .LBB263_579
; %bb.570:
	s_wait_xcnt 0x0
	v_cndmask_b32_e64 v4, 0, 1.0, s15
	s_mov_b32 s4, exec_lo
                                        ; implicit-def: $vgpr1
	s_delay_alu instid0(VALU_DEP_1)
	v_cmpx_gt_u32_e32 0x47800000, v4
	s_xor_b32 s4, exec_lo, s4
	s_cbranch_execz .LBB263_576
; %bb.571:
	s_mov_b32 s5, exec_lo
                                        ; implicit-def: $vgpr1
	v_cmpx_lt_u32_e32 0x387fffff, v4
	s_xor_b32 s5, exec_lo, s5
; %bb.572:
	v_bfe_u32 v1, v4, 21, 1
	s_delay_alu instid0(VALU_DEP_1) | instskip(NEXT) | instid1(VALU_DEP_1)
	v_add3_u32 v1, v4, v1, 0x80fffff
                                        ; implicit-def: $vgpr4
	v_lshrrev_b32_e32 v1, 21, v1
; %bb.573:
	s_and_not1_saveexec_b32 s5, s5
; %bb.574:
	v_add_f32_e32 v1, 0x43000000, v4
; %bb.575:
	s_or_b32 exec_lo, exec_lo, s5
                                        ; implicit-def: $vgpr4
.LBB263_576:
	s_and_not1_saveexec_b32 s4, s4
; %bb.577:
	v_mov_b32_e32 v1, 0x7f
	v_cmp_lt_u32_e32 vcc_lo, 0x7f800000, v4
	s_delay_alu instid0(VALU_DEP_2)
	v_cndmask_b32_e32 v1, 0x7c, v1, vcc_lo
; %bb.578:
	s_or_b32 exec_lo, exec_lo, s4
	global_store_b8 v[2:3], v1, off
.LBB263_579:
	s_mov_b32 s4, 0
	s_mov_b32 s5, -1
.LBB263_580:
	s_and_not1_b32 vcc_lo, exec_lo, s4
	s_mov_b32 s4, 0
	s_cbranch_vccnz .LBB263_587
; %bb.581:
	s_cmp_gt_i32 s3, 14
	s_mov_b32 s4, -1
	s_cbranch_scc0 .LBB263_585
; %bb.582:
	s_cmp_eq_u32 s3, 15
	s_mov_b32 s0, -1
	s_cbranch_scc0 .LBB263_584
; %bb.583:
	s_wait_xcnt 0x0
	v_cndmask_b32_e64 v1, 0, 1.0, s15
	s_mov_b32 s0, 0
	s_mov_b32 s5, -1
	s_delay_alu instid0(VALU_DEP_1) | instskip(NEXT) | instid1(VALU_DEP_1)
	v_bfe_u32 v4, v1, 16, 1
	v_add3_u32 v1, v1, v4, 0x7fff
	global_store_d16_hi_b16 v[2:3], v1, off
.LBB263_584:
	s_mov_b32 s4, 0
.LBB263_585:
	s_delay_alu instid0(SALU_CYCLE_1)
	s_and_b32 vcc_lo, exec_lo, s4
	s_mov_b32 s4, 0
	s_cbranch_vccz .LBB263_587
; %bb.586:
	s_cmp_lg_u32 s3, 11
	s_mov_b32 s4, -1
	s_cselect_b32 s0, -1, 0
.LBB263_587:
	s_delay_alu instid0(SALU_CYCLE_1)
	s_and_b32 vcc_lo, exec_lo, s0
	s_mov_b32 s3, s26
	s_cbranch_vccnz .LBB263_991
; %bb.588:
	s_and_not1_b32 vcc_lo, exec_lo, s4
	s_cbranch_vccnz .LBB263_590
.LBB263_589:
	s_wait_xcnt 0x0
	v_cndmask_b32_e64 v1, 0, 1, s15
	s_mov_b32 s5, -1
	global_store_b8 v[2:3], v1, off
.LBB263_590:
.LBB263_591:
	s_and_not1_b32 vcc_lo, exec_lo, s5
	s_cbranch_vccz .LBB263_631
	s_branch .LBB263_943
.LBB263_592:
	s_mov_b32 s5, 0
	s_mov_b32 s3, s26
	s_cbranch_execz .LBB263_591
; %bb.593:
	s_and_b32 s0, 0xffff, s2
	s_mov_b32 s4, -1
	s_cmp_lt_i32 s0, 5
	s_cbranch_scc1 .LBB263_614
; %bb.594:
	s_cmp_lt_i32 s0, 8
	s_cbranch_scc1 .LBB263_604
; %bb.595:
	s_cmp_lt_i32 s0, 9
	s_cbranch_scc1 .LBB263_601
; %bb.596:
	s_cmp_gt_i32 s0, 9
	s_cbranch_scc0 .LBB263_598
; %bb.597:
	s_wait_xcnt 0x0
	v_cndmask_b32_e64 v1, 0, 1, s15
	v_mov_b32_e32 v6, 0
	s_mov_b32 s4, 0
	s_delay_alu instid0(VALU_DEP_2) | instskip(NEXT) | instid1(VALU_DEP_2)
	v_cvt_f64_u32_e32 v[4:5], v1
	v_mov_b32_e32 v7, v6
	global_store_b128 v[2:3], v[4:7], off
.LBB263_598:
	s_and_not1_b32 vcc_lo, exec_lo, s4
	s_cbranch_vccnz .LBB263_600
; %bb.599:
	s_wait_xcnt 0x0
	v_cndmask_b32_e64 v4, 0, 1.0, s15
	v_mov_b32_e32 v5, 0
	global_store_b64 v[2:3], v[4:5], off
.LBB263_600:
	s_mov_b32 s4, 0
.LBB263_601:
	s_delay_alu instid0(SALU_CYCLE_1)
	s_and_not1_b32 vcc_lo, exec_lo, s4
	s_cbranch_vccnz .LBB263_603
; %bb.602:
	s_wait_xcnt 0x0
	v_cndmask_b32_e64 v1, 0, 1.0, s15
	s_delay_alu instid0(VALU_DEP_1) | instskip(NEXT) | instid1(VALU_DEP_1)
	v_cvt_f16_f32_e32 v1, v1
	v_and_b32_e32 v1, 0xffff, v1
	global_store_b32 v[2:3], v1, off
.LBB263_603:
	s_mov_b32 s4, 0
.LBB263_604:
	s_delay_alu instid0(SALU_CYCLE_1)
	s_and_not1_b32 vcc_lo, exec_lo, s4
	s_cbranch_vccnz .LBB263_613
; %bb.605:
	s_cmp_lt_i32 s0, 6
	s_mov_b32 s4, -1
	s_cbranch_scc1 .LBB263_611
; %bb.606:
	s_cmp_gt_i32 s0, 6
	s_cbranch_scc0 .LBB263_608
; %bb.607:
	s_wait_xcnt 0x0
	v_cndmask_b32_e64 v1, 0, 1, s15
	s_mov_b32 s4, 0
	s_delay_alu instid0(VALU_DEP_1)
	v_cvt_f64_u32_e32 v[4:5], v1
	global_store_b64 v[2:3], v[4:5], off
.LBB263_608:
	s_and_not1_b32 vcc_lo, exec_lo, s4
	s_cbranch_vccnz .LBB263_610
; %bb.609:
	s_wait_xcnt 0x0
	v_cndmask_b32_e64 v1, 0, 1.0, s15
	global_store_b32 v[2:3], v1, off
.LBB263_610:
	s_mov_b32 s4, 0
.LBB263_611:
	s_delay_alu instid0(SALU_CYCLE_1)
	s_and_not1_b32 vcc_lo, exec_lo, s4
	s_cbranch_vccnz .LBB263_613
; %bb.612:
	s_wait_xcnt 0x0
	v_cndmask_b32_e64 v1, 0, 1.0, s15
	s_delay_alu instid0(VALU_DEP_1)
	v_cvt_f16_f32_e32 v1, v1
	global_store_b16 v[2:3], v1, off
.LBB263_613:
	s_mov_b32 s4, 0
.LBB263_614:
	s_delay_alu instid0(SALU_CYCLE_1)
	s_and_not1_b32 vcc_lo, exec_lo, s4
	s_cbranch_vccnz .LBB263_630
; %bb.615:
	s_cmp_lt_i32 s0, 2
	s_mov_b32 s4, -1
	s_cbranch_scc1 .LBB263_625
; %bb.616:
	s_cmp_lt_i32 s0, 3
	s_cbranch_scc1 .LBB263_622
; %bb.617:
	s_cmp_gt_i32 s0, 3
	s_cbranch_scc0 .LBB263_619
; %bb.618:
	s_mov_b32 s4, 0
	s_wait_xcnt 0x0
	v_cndmask_b32_e64 v4, 0, 1, s15
	v_mov_b32_e32 v5, s4
	global_store_b64 v[2:3], v[4:5], off
.LBB263_619:
	s_and_not1_b32 vcc_lo, exec_lo, s4
	s_cbranch_vccnz .LBB263_621
; %bb.620:
	s_wait_xcnt 0x0
	v_cndmask_b32_e64 v1, 0, 1, s15
	global_store_b32 v[2:3], v1, off
.LBB263_621:
	s_mov_b32 s4, 0
.LBB263_622:
	s_delay_alu instid0(SALU_CYCLE_1)
	s_and_not1_b32 vcc_lo, exec_lo, s4
	s_cbranch_vccnz .LBB263_624
; %bb.623:
	s_wait_xcnt 0x0
	v_cndmask_b32_e64 v1, 0, 1, s15
	global_store_b16 v[2:3], v1, off
.LBB263_624:
	s_mov_b32 s4, 0
.LBB263_625:
	s_delay_alu instid0(SALU_CYCLE_1)
	s_and_not1_b32 vcc_lo, exec_lo, s4
	s_cbranch_vccnz .LBB263_630
; %bb.626:
	s_wait_xcnt 0x0
	v_cndmask_b32_e64 v1, 0, 1, s15
	s_cmp_gt_i32 s0, 0
	s_mov_b32 s0, -1
	s_cbranch_scc0 .LBB263_628
; %bb.627:
	s_mov_b32 s0, 0
	global_store_b8 v[2:3], v1, off
.LBB263_628:
	s_and_not1_b32 vcc_lo, exec_lo, s0
	s_cbranch_vccnz .LBB263_630
; %bb.629:
	global_store_b8 v[2:3], v1, off
.LBB263_630:
.LBB263_631:
	s_lshl_b32 s4, s20, 7
	s_cmp_lt_i32 s2, 11
	v_add_nc_u32_e32 v0, s4, v0
	s_wait_xcnt 0x0
	s_delay_alu instid0(VALU_DEP_1) | instskip(NEXT) | instid1(VALU_DEP_1)
	v_ashrrev_i32_e32 v1, 31, v0
	v_add_nc_u64_e32 v[2:3], s[16:17], v[0:1]
	s_cbranch_scc1 .LBB263_710
; %bb.632:
	s_and_b32 s5, 0xffff, s2
	s_mov_b32 s8, -1
	s_mov_b32 s6, 0
	s_cmp_gt_i32 s5, 25
	s_mov_b32 s7, 0
	s_mov_b32 s0, 0
	s_cbranch_scc0 .LBB263_665
; %bb.633:
	s_cmp_gt_i32 s5, 28
	s_cbranch_scc0 .LBB263_648
; %bb.634:
	s_cmp_gt_i32 s5, 43
	;; [unrolled: 3-line block ×3, first 2 shown]
	s_cbranch_scc0 .LBB263_638
; %bb.636:
	s_mov_b32 s0, -1
	s_mov_b32 s8, 0
	s_cmp_eq_u32 s5, 46
	s_cbranch_scc0 .LBB263_638
; %bb.637:
	v_cndmask_b32_e64 v1, 0, 1.0, s14
	s_mov_b32 s0, 0
	s_mov_b32 s7, -1
	s_delay_alu instid0(VALU_DEP_1) | instskip(NEXT) | instid1(VALU_DEP_1)
	v_bfe_u32 v4, v1, 16, 1
	v_add3_u32 v1, v1, v4, 0x7fff
	s_delay_alu instid0(VALU_DEP_1)
	v_lshrrev_b32_e32 v1, 16, v1
	global_store_b32 v[2:3], v1, off
.LBB263_638:
	s_and_b32 vcc_lo, exec_lo, s8
	s_cbranch_vccz .LBB263_643
; %bb.639:
	s_cmp_eq_u32 s5, 44
	s_mov_b32 s0, -1
	s_cbranch_scc0 .LBB263_643
; %bb.640:
	v_cndmask_b32_e64 v5, 0, 1.0, s14
	s_mov_b32 s7, exec_lo
	s_wait_xcnt 0x0
	s_delay_alu instid0(VALU_DEP_1) | instskip(NEXT) | instid1(VALU_DEP_1)
	v_dual_mov_b32 v4, 0xff :: v_dual_lshrrev_b32 v1, 23, v5
	v_cmpx_ne_u32_e32 0xff, v1
; %bb.641:
	v_and_b32_e32 v4, 0x400000, v5
	v_and_or_b32 v5, 0x3fffff, v5, v1
	s_delay_alu instid0(VALU_DEP_2) | instskip(NEXT) | instid1(VALU_DEP_2)
	v_cmp_ne_u32_e32 vcc_lo, 0, v4
	v_cmp_ne_u32_e64 s0, 0, v5
	s_and_b32 s0, vcc_lo, s0
	s_delay_alu instid0(SALU_CYCLE_1) | instskip(NEXT) | instid1(VALU_DEP_1)
	v_cndmask_b32_e64 v4, 0, 1, s0
	v_add_nc_u32_e32 v4, v1, v4
; %bb.642:
	s_or_b32 exec_lo, exec_lo, s7
	s_mov_b32 s0, 0
	s_mov_b32 s7, -1
	global_store_b8 v[2:3], v4, off
.LBB263_643:
	s_mov_b32 s8, 0
.LBB263_644:
	s_delay_alu instid0(SALU_CYCLE_1)
	s_and_b32 vcc_lo, exec_lo, s8
	s_cbranch_vccz .LBB263_647
; %bb.645:
	s_cmp_eq_u32 s5, 29
	s_mov_b32 s0, -1
	s_cbranch_scc0 .LBB263_647
; %bb.646:
	s_mov_b32 s0, 0
	s_wait_xcnt 0x0
	v_cndmask_b32_e64 v4, 0, 1, s14
	v_mov_b32_e32 v5, s0
	s_mov_b32 s7, -1
	global_store_b64 v[2:3], v[4:5], off
.LBB263_647:
	s_mov_b32 s8, 0
.LBB263_648:
	s_delay_alu instid0(SALU_CYCLE_1)
	s_and_b32 vcc_lo, exec_lo, s8
	s_cbranch_vccz .LBB263_664
; %bb.649:
	s_cmp_lt_i32 s5, 27
	s_mov_b32 s7, -1
	s_cbranch_scc1 .LBB263_655
; %bb.650:
	s_cmp_gt_i32 s5, 27
	s_cbranch_scc0 .LBB263_652
; %bb.651:
	s_wait_xcnt 0x0
	v_cndmask_b32_e64 v1, 0, 1, s14
	s_mov_b32 s7, 0
	global_store_b32 v[2:3], v1, off
.LBB263_652:
	s_and_not1_b32 vcc_lo, exec_lo, s7
	s_cbranch_vccnz .LBB263_654
; %bb.653:
	s_wait_xcnt 0x0
	v_cndmask_b32_e64 v1, 0, 1, s14
	global_store_b16 v[2:3], v1, off
.LBB263_654:
	s_mov_b32 s7, 0
.LBB263_655:
	s_delay_alu instid0(SALU_CYCLE_1)
	s_and_not1_b32 vcc_lo, exec_lo, s7
	s_cbranch_vccnz .LBB263_663
; %bb.656:
	s_wait_xcnt 0x0
	v_cndmask_b32_e64 v4, 0, 1.0, s14
	v_mov_b32_e32 v5, 0x80
	s_mov_b32 s7, exec_lo
	s_delay_alu instid0(VALU_DEP_2)
	v_cmpx_gt_u32_e32 0x43800000, v4
	s_cbranch_execz .LBB263_662
; %bb.657:
	s_mov_b32 s8, 0
	s_mov_b32 s9, exec_lo
                                        ; implicit-def: $vgpr1
	v_cmpx_lt_u32_e32 0x3bffffff, v4
	s_xor_b32 s9, exec_lo, s9
	s_cbranch_execz .LBB263_994
; %bb.658:
	v_bfe_u32 v1, v4, 20, 1
	s_mov_b32 s8, exec_lo
	s_delay_alu instid0(VALU_DEP_1) | instskip(NEXT) | instid1(VALU_DEP_1)
	v_add3_u32 v1, v4, v1, 0x487ffff
                                        ; implicit-def: $vgpr4
	v_lshrrev_b32_e32 v1, 20, v1
	s_and_not1_saveexec_b32 s9, s9
	s_cbranch_execnz .LBB263_995
.LBB263_659:
	s_or_b32 exec_lo, exec_lo, s9
	v_mov_b32_e32 v5, 0
	s_and_saveexec_b32 s9, s8
.LBB263_660:
	v_mov_b32_e32 v5, v1
.LBB263_661:
	s_or_b32 exec_lo, exec_lo, s9
.LBB263_662:
	s_delay_alu instid0(SALU_CYCLE_1)
	s_or_b32 exec_lo, exec_lo, s7
	global_store_b8 v[2:3], v5, off
.LBB263_663:
	s_mov_b32 s7, -1
.LBB263_664:
	s_mov_b32 s8, 0
.LBB263_665:
	s_delay_alu instid0(SALU_CYCLE_1)
	s_and_b32 vcc_lo, exec_lo, s8
	s_cbranch_vccz .LBB263_705
; %bb.666:
	s_cmp_gt_i32 s5, 22
	s_mov_b32 s6, -1
	s_cbranch_scc0 .LBB263_698
; %bb.667:
	s_cmp_lt_i32 s5, 24
	s_cbranch_scc1 .LBB263_687
; %bb.668:
	s_cmp_gt_i32 s5, 24
	s_cbranch_scc0 .LBB263_676
; %bb.669:
	s_wait_xcnt 0x0
	v_cndmask_b32_e64 v4, 0, 1.0, s14
	v_mov_b32_e32 v5, 0x80
	s_mov_b32 s6, exec_lo
	s_delay_alu instid0(VALU_DEP_2)
	v_cmpx_gt_u32_e32 0x47800000, v4
	s_cbranch_execz .LBB263_675
; %bb.670:
	s_mov_b32 s7, 0
	s_mov_b32 s8, exec_lo
                                        ; implicit-def: $vgpr1
	v_cmpx_lt_u32_e32 0x37ffffff, v4
	s_xor_b32 s8, exec_lo, s8
	s_cbranch_execz .LBB263_997
; %bb.671:
	v_bfe_u32 v1, v4, 21, 1
	s_mov_b32 s7, exec_lo
	s_delay_alu instid0(VALU_DEP_1) | instskip(NEXT) | instid1(VALU_DEP_1)
	v_add3_u32 v1, v4, v1, 0x88fffff
                                        ; implicit-def: $vgpr4
	v_lshrrev_b32_e32 v1, 21, v1
	s_and_not1_saveexec_b32 s8, s8
	s_cbranch_execnz .LBB263_998
.LBB263_672:
	s_or_b32 exec_lo, exec_lo, s8
	v_mov_b32_e32 v5, 0
	s_and_saveexec_b32 s8, s7
.LBB263_673:
	v_mov_b32_e32 v5, v1
.LBB263_674:
	s_or_b32 exec_lo, exec_lo, s8
.LBB263_675:
	s_delay_alu instid0(SALU_CYCLE_1)
	s_or_b32 exec_lo, exec_lo, s6
	s_mov_b32 s6, 0
	global_store_b8 v[2:3], v5, off
.LBB263_676:
	s_and_b32 vcc_lo, exec_lo, s6
	s_cbranch_vccz .LBB263_686
; %bb.677:
	s_wait_xcnt 0x0
	v_cndmask_b32_e64 v4, 0, 1.0, s14
	s_mov_b32 s6, exec_lo
                                        ; implicit-def: $vgpr1
	s_delay_alu instid0(VALU_DEP_1)
	v_cmpx_gt_u32_e32 0x43f00000, v4
	s_xor_b32 s6, exec_lo, s6
	s_cbranch_execz .LBB263_683
; %bb.678:
	s_mov_b32 s7, exec_lo
                                        ; implicit-def: $vgpr1
	v_cmpx_lt_u32_e32 0x3c7fffff, v4
	s_xor_b32 s7, exec_lo, s7
; %bb.679:
	v_bfe_u32 v1, v4, 20, 1
	s_delay_alu instid0(VALU_DEP_1) | instskip(NEXT) | instid1(VALU_DEP_1)
	v_add3_u32 v1, v4, v1, 0x407ffff
	v_and_b32_e32 v4, 0xff00000, v1
	v_lshrrev_b32_e32 v1, 20, v1
	s_delay_alu instid0(VALU_DEP_2) | instskip(NEXT) | instid1(VALU_DEP_2)
	v_cmp_ne_u32_e32 vcc_lo, 0x7f00000, v4
                                        ; implicit-def: $vgpr4
	v_cndmask_b32_e32 v1, 0x7e, v1, vcc_lo
; %bb.680:
	s_and_not1_saveexec_b32 s7, s7
; %bb.681:
	v_add_f32_e32 v1, 0x46800000, v4
; %bb.682:
	s_or_b32 exec_lo, exec_lo, s7
                                        ; implicit-def: $vgpr4
.LBB263_683:
	s_and_not1_saveexec_b32 s6, s6
; %bb.684:
	v_mov_b32_e32 v1, 0x7f
	v_cmp_lt_u32_e32 vcc_lo, 0x7f800000, v4
	s_delay_alu instid0(VALU_DEP_2)
	v_cndmask_b32_e32 v1, 0x7e, v1, vcc_lo
; %bb.685:
	s_or_b32 exec_lo, exec_lo, s6
	global_store_b8 v[2:3], v1, off
.LBB263_686:
	s_mov_b32 s6, 0
.LBB263_687:
	s_delay_alu instid0(SALU_CYCLE_1)
	s_and_not1_b32 vcc_lo, exec_lo, s6
	s_cbranch_vccnz .LBB263_697
; %bb.688:
	s_wait_xcnt 0x0
	v_cndmask_b32_e64 v4, 0, 1.0, s14
	s_mov_b32 s6, exec_lo
                                        ; implicit-def: $vgpr1
	s_delay_alu instid0(VALU_DEP_1)
	v_cmpx_gt_u32_e32 0x47800000, v4
	s_xor_b32 s6, exec_lo, s6
	s_cbranch_execz .LBB263_694
; %bb.689:
	s_mov_b32 s7, exec_lo
                                        ; implicit-def: $vgpr1
	v_cmpx_lt_u32_e32 0x387fffff, v4
	s_xor_b32 s7, exec_lo, s7
; %bb.690:
	v_bfe_u32 v1, v4, 21, 1
	s_delay_alu instid0(VALU_DEP_1) | instskip(NEXT) | instid1(VALU_DEP_1)
	v_add3_u32 v1, v4, v1, 0x80fffff
                                        ; implicit-def: $vgpr4
	v_lshrrev_b32_e32 v1, 21, v1
; %bb.691:
	s_and_not1_saveexec_b32 s7, s7
; %bb.692:
	v_add_f32_e32 v1, 0x43000000, v4
; %bb.693:
	s_or_b32 exec_lo, exec_lo, s7
                                        ; implicit-def: $vgpr4
.LBB263_694:
	s_and_not1_saveexec_b32 s6, s6
; %bb.695:
	v_mov_b32_e32 v1, 0x7f
	v_cmp_lt_u32_e32 vcc_lo, 0x7f800000, v4
	s_delay_alu instid0(VALU_DEP_2)
	v_cndmask_b32_e32 v1, 0x7c, v1, vcc_lo
; %bb.696:
	s_or_b32 exec_lo, exec_lo, s6
	global_store_b8 v[2:3], v1, off
.LBB263_697:
	s_mov_b32 s6, 0
	s_mov_b32 s7, -1
.LBB263_698:
	s_and_not1_b32 vcc_lo, exec_lo, s6
	s_mov_b32 s6, 0
	s_cbranch_vccnz .LBB263_705
; %bb.699:
	s_cmp_gt_i32 s5, 14
	s_mov_b32 s6, -1
	s_cbranch_scc0 .LBB263_703
; %bb.700:
	s_cmp_eq_u32 s5, 15
	s_mov_b32 s0, -1
	s_cbranch_scc0 .LBB263_702
; %bb.701:
	s_wait_xcnt 0x0
	v_cndmask_b32_e64 v1, 0, 1.0, s14
	s_mov_b32 s0, 0
	s_mov_b32 s7, -1
	s_delay_alu instid0(VALU_DEP_1) | instskip(NEXT) | instid1(VALU_DEP_1)
	v_bfe_u32 v4, v1, 16, 1
	v_add3_u32 v1, v1, v4, 0x7fff
	global_store_d16_hi_b16 v[2:3], v1, off
.LBB263_702:
	s_mov_b32 s6, 0
.LBB263_703:
	s_delay_alu instid0(SALU_CYCLE_1)
	s_and_b32 vcc_lo, exec_lo, s6
	s_mov_b32 s6, 0
	s_cbranch_vccz .LBB263_705
; %bb.704:
	s_cmp_lg_u32 s5, 11
	s_mov_b32 s6, -1
	s_cselect_b32 s0, -1, 0
.LBB263_705:
	s_delay_alu instid0(SALU_CYCLE_1)
	s_and_b32 vcc_lo, exec_lo, s0
	s_cbranch_vccnz .LBB263_996
; %bb.706:
	s_and_not1_b32 vcc_lo, exec_lo, s6
	s_cbranch_vccnz .LBB263_708
.LBB263_707:
	s_wait_xcnt 0x0
	v_cndmask_b32_e64 v1, 0, 1, s14
	s_mov_b32 s7, -1
	global_store_b8 v[2:3], v1, off
.LBB263_708:
.LBB263_709:
	s_and_not1_b32 vcc_lo, exec_lo, s7
	s_cbranch_vccz .LBB263_749
	s_branch .LBB263_943
.LBB263_710:
	s_mov_b32 s7, 0
	s_cbranch_execz .LBB263_709
; %bb.711:
	s_and_b32 s0, 0xffff, s2
	s_mov_b32 s5, -1
	s_cmp_lt_i32 s0, 5
	s_cbranch_scc1 .LBB263_732
; %bb.712:
	s_cmp_lt_i32 s0, 8
	s_cbranch_scc1 .LBB263_722
; %bb.713:
	;; [unrolled: 3-line block ×3, first 2 shown]
	s_cmp_gt_i32 s0, 9
	s_cbranch_scc0 .LBB263_716
; %bb.715:
	s_wait_xcnt 0x0
	v_cndmask_b32_e64 v1, 0, 1, s14
	v_mov_b32_e32 v6, 0
	s_mov_b32 s5, 0
	s_delay_alu instid0(VALU_DEP_2) | instskip(NEXT) | instid1(VALU_DEP_2)
	v_cvt_f64_u32_e32 v[4:5], v1
	v_mov_b32_e32 v7, v6
	global_store_b128 v[2:3], v[4:7], off
.LBB263_716:
	s_and_not1_b32 vcc_lo, exec_lo, s5
	s_cbranch_vccnz .LBB263_718
; %bb.717:
	s_wait_xcnt 0x0
	v_cndmask_b32_e64 v4, 0, 1.0, s14
	v_mov_b32_e32 v5, 0
	global_store_b64 v[2:3], v[4:5], off
.LBB263_718:
	s_mov_b32 s5, 0
.LBB263_719:
	s_delay_alu instid0(SALU_CYCLE_1)
	s_and_not1_b32 vcc_lo, exec_lo, s5
	s_cbranch_vccnz .LBB263_721
; %bb.720:
	s_wait_xcnt 0x0
	v_cndmask_b32_e64 v1, 0, 1.0, s14
	s_delay_alu instid0(VALU_DEP_1) | instskip(NEXT) | instid1(VALU_DEP_1)
	v_cvt_f16_f32_e32 v1, v1
	v_and_b32_e32 v1, 0xffff, v1
	global_store_b32 v[2:3], v1, off
.LBB263_721:
	s_mov_b32 s5, 0
.LBB263_722:
	s_delay_alu instid0(SALU_CYCLE_1)
	s_and_not1_b32 vcc_lo, exec_lo, s5
	s_cbranch_vccnz .LBB263_731
; %bb.723:
	s_cmp_lt_i32 s0, 6
	s_mov_b32 s5, -1
	s_cbranch_scc1 .LBB263_729
; %bb.724:
	s_cmp_gt_i32 s0, 6
	s_cbranch_scc0 .LBB263_726
; %bb.725:
	s_wait_xcnt 0x0
	v_cndmask_b32_e64 v1, 0, 1, s14
	s_mov_b32 s5, 0
	s_delay_alu instid0(VALU_DEP_1)
	v_cvt_f64_u32_e32 v[4:5], v1
	global_store_b64 v[2:3], v[4:5], off
.LBB263_726:
	s_and_not1_b32 vcc_lo, exec_lo, s5
	s_cbranch_vccnz .LBB263_728
; %bb.727:
	s_wait_xcnt 0x0
	v_cndmask_b32_e64 v1, 0, 1.0, s14
	global_store_b32 v[2:3], v1, off
.LBB263_728:
	s_mov_b32 s5, 0
.LBB263_729:
	s_delay_alu instid0(SALU_CYCLE_1)
	s_and_not1_b32 vcc_lo, exec_lo, s5
	s_cbranch_vccnz .LBB263_731
; %bb.730:
	s_wait_xcnt 0x0
	v_cndmask_b32_e64 v1, 0, 1.0, s14
	s_delay_alu instid0(VALU_DEP_1)
	v_cvt_f16_f32_e32 v1, v1
	global_store_b16 v[2:3], v1, off
.LBB263_731:
	s_mov_b32 s5, 0
.LBB263_732:
	s_delay_alu instid0(SALU_CYCLE_1)
	s_and_not1_b32 vcc_lo, exec_lo, s5
	s_cbranch_vccnz .LBB263_748
; %bb.733:
	s_cmp_lt_i32 s0, 2
	s_mov_b32 s5, -1
	s_cbranch_scc1 .LBB263_743
; %bb.734:
	s_cmp_lt_i32 s0, 3
	s_cbranch_scc1 .LBB263_740
; %bb.735:
	s_cmp_gt_i32 s0, 3
	s_cbranch_scc0 .LBB263_737
; %bb.736:
	s_mov_b32 s5, 0
	s_wait_xcnt 0x0
	v_cndmask_b32_e64 v4, 0, 1, s14
	v_mov_b32_e32 v5, s5
	global_store_b64 v[2:3], v[4:5], off
.LBB263_737:
	s_and_not1_b32 vcc_lo, exec_lo, s5
	s_cbranch_vccnz .LBB263_739
; %bb.738:
	s_wait_xcnt 0x0
	v_cndmask_b32_e64 v1, 0, 1, s14
	global_store_b32 v[2:3], v1, off
.LBB263_739:
	s_mov_b32 s5, 0
.LBB263_740:
	s_delay_alu instid0(SALU_CYCLE_1)
	s_and_not1_b32 vcc_lo, exec_lo, s5
	s_cbranch_vccnz .LBB263_742
; %bb.741:
	s_wait_xcnt 0x0
	v_cndmask_b32_e64 v1, 0, 1, s14
	global_store_b16 v[2:3], v1, off
.LBB263_742:
	s_mov_b32 s5, 0
.LBB263_743:
	s_delay_alu instid0(SALU_CYCLE_1)
	s_and_not1_b32 vcc_lo, exec_lo, s5
	s_cbranch_vccnz .LBB263_748
; %bb.744:
	s_wait_xcnt 0x0
	v_cndmask_b32_e64 v1, 0, 1, s14
	s_cmp_gt_i32 s0, 0
	s_mov_b32 s0, -1
	s_cbranch_scc0 .LBB263_746
; %bb.745:
	s_mov_b32 s0, 0
	global_store_b8 v[2:3], v1, off
.LBB263_746:
	s_and_not1_b32 vcc_lo, exec_lo, s0
	s_cbranch_vccnz .LBB263_748
; %bb.747:
	global_store_b8 v[2:3], v1, off
.LBB263_748:
.LBB263_749:
	v_add_nc_u32_e32 v0, s4, v0
	s_cmp_lt_i32 s2, 11
	s_wait_xcnt 0x0
	s_delay_alu instid0(VALU_DEP_1) | instskip(NEXT) | instid1(VALU_DEP_1)
	v_ashrrev_i32_e32 v1, 31, v0
	v_add_nc_u64_e32 v[2:3], s[16:17], v[0:1]
	s_cbranch_scc1 .LBB263_904
; %bb.750:
	s_and_b32 s5, 0xffff, s2
	s_mov_b32 s8, -1
	s_mov_b32 s6, 0
	s_cmp_gt_i32 s5, 25
	s_mov_b32 s7, 0
	s_mov_b32 s0, 0
	s_cbranch_scc0 .LBB263_783
; %bb.751:
	s_cmp_gt_i32 s5, 28
	s_cbranch_scc0 .LBB263_766
; %bb.752:
	s_cmp_gt_i32 s5, 43
	;; [unrolled: 3-line block ×3, first 2 shown]
	s_cbranch_scc0 .LBB263_756
; %bb.754:
	s_mov_b32 s0, -1
	s_mov_b32 s8, 0
	s_cmp_eq_u32 s5, 46
	s_cbranch_scc0 .LBB263_756
; %bb.755:
	v_cndmask_b32_e64 v1, 0, 1.0, s13
	s_mov_b32 s0, 0
	s_mov_b32 s7, -1
	s_delay_alu instid0(VALU_DEP_1) | instskip(NEXT) | instid1(VALU_DEP_1)
	v_bfe_u32 v4, v1, 16, 1
	v_add3_u32 v1, v1, v4, 0x7fff
	s_delay_alu instid0(VALU_DEP_1)
	v_lshrrev_b32_e32 v1, 16, v1
	global_store_b32 v[2:3], v1, off
.LBB263_756:
	s_and_b32 vcc_lo, exec_lo, s8
	s_cbranch_vccz .LBB263_761
; %bb.757:
	s_cmp_eq_u32 s5, 44
	s_mov_b32 s0, -1
	s_cbranch_scc0 .LBB263_761
; %bb.758:
	v_cndmask_b32_e64 v5, 0, 1.0, s13
	s_mov_b32 s7, exec_lo
	s_wait_xcnt 0x0
	s_delay_alu instid0(VALU_DEP_1) | instskip(NEXT) | instid1(VALU_DEP_1)
	v_dual_mov_b32 v4, 0xff :: v_dual_lshrrev_b32 v1, 23, v5
	v_cmpx_ne_u32_e32 0xff, v1
; %bb.759:
	v_and_b32_e32 v4, 0x400000, v5
	v_and_or_b32 v5, 0x3fffff, v5, v1
	s_delay_alu instid0(VALU_DEP_2) | instskip(NEXT) | instid1(VALU_DEP_2)
	v_cmp_ne_u32_e32 vcc_lo, 0, v4
	v_cmp_ne_u32_e64 s0, 0, v5
	s_and_b32 s0, vcc_lo, s0
	s_delay_alu instid0(SALU_CYCLE_1) | instskip(NEXT) | instid1(VALU_DEP_1)
	v_cndmask_b32_e64 v4, 0, 1, s0
	v_add_nc_u32_e32 v4, v1, v4
; %bb.760:
	s_or_b32 exec_lo, exec_lo, s7
	s_mov_b32 s0, 0
	s_mov_b32 s7, -1
	global_store_b8 v[2:3], v4, off
.LBB263_761:
	s_mov_b32 s8, 0
.LBB263_762:
	s_delay_alu instid0(SALU_CYCLE_1)
	s_and_b32 vcc_lo, exec_lo, s8
	s_cbranch_vccz .LBB263_765
; %bb.763:
	s_cmp_eq_u32 s5, 29
	s_mov_b32 s0, -1
	s_cbranch_scc0 .LBB263_765
; %bb.764:
	s_mov_b32 s0, 0
	s_wait_xcnt 0x0
	v_cndmask_b32_e64 v4, 0, 1, s13
	v_mov_b32_e32 v5, s0
	s_mov_b32 s7, -1
	global_store_b64 v[2:3], v[4:5], off
.LBB263_765:
	s_mov_b32 s8, 0
.LBB263_766:
	s_delay_alu instid0(SALU_CYCLE_1)
	s_and_b32 vcc_lo, exec_lo, s8
	s_cbranch_vccz .LBB263_782
; %bb.767:
	s_cmp_lt_i32 s5, 27
	s_mov_b32 s7, -1
	s_cbranch_scc1 .LBB263_773
; %bb.768:
	s_cmp_gt_i32 s5, 27
	s_cbranch_scc0 .LBB263_770
; %bb.769:
	s_wait_xcnt 0x0
	v_cndmask_b32_e64 v1, 0, 1, s13
	s_mov_b32 s7, 0
	global_store_b32 v[2:3], v1, off
.LBB263_770:
	s_and_not1_b32 vcc_lo, exec_lo, s7
	s_cbranch_vccnz .LBB263_772
; %bb.771:
	s_wait_xcnt 0x0
	v_cndmask_b32_e64 v1, 0, 1, s13
	global_store_b16 v[2:3], v1, off
.LBB263_772:
	s_mov_b32 s7, 0
.LBB263_773:
	s_delay_alu instid0(SALU_CYCLE_1)
	s_and_not1_b32 vcc_lo, exec_lo, s7
	s_cbranch_vccnz .LBB263_781
; %bb.774:
	s_wait_xcnt 0x0
	v_cndmask_b32_e64 v4, 0, 1.0, s13
	v_mov_b32_e32 v5, 0x80
	s_mov_b32 s7, exec_lo
	s_delay_alu instid0(VALU_DEP_2)
	v_cmpx_gt_u32_e32 0x43800000, v4
	s_cbranch_execz .LBB263_780
; %bb.775:
	s_mov_b32 s8, 0
	s_mov_b32 s9, exec_lo
                                        ; implicit-def: $vgpr1
	v_cmpx_lt_u32_e32 0x3bffffff, v4
	s_xor_b32 s9, exec_lo, s9
	s_cbranch_execz .LBB263_999
; %bb.776:
	v_bfe_u32 v1, v4, 20, 1
	s_mov_b32 s8, exec_lo
	s_delay_alu instid0(VALU_DEP_1) | instskip(NEXT) | instid1(VALU_DEP_1)
	v_add3_u32 v1, v4, v1, 0x487ffff
                                        ; implicit-def: $vgpr4
	v_lshrrev_b32_e32 v1, 20, v1
	s_and_not1_saveexec_b32 s9, s9
	s_cbranch_execnz .LBB263_1000
.LBB263_777:
	s_or_b32 exec_lo, exec_lo, s9
	v_mov_b32_e32 v5, 0
	s_and_saveexec_b32 s9, s8
.LBB263_778:
	v_mov_b32_e32 v5, v1
.LBB263_779:
	s_or_b32 exec_lo, exec_lo, s9
.LBB263_780:
	s_delay_alu instid0(SALU_CYCLE_1)
	s_or_b32 exec_lo, exec_lo, s7
	global_store_b8 v[2:3], v5, off
.LBB263_781:
	s_mov_b32 s7, -1
.LBB263_782:
	s_mov_b32 s8, 0
.LBB263_783:
	s_delay_alu instid0(SALU_CYCLE_1)
	s_and_b32 vcc_lo, exec_lo, s8
	s_cbranch_vccz .LBB263_823
; %bb.784:
	s_cmp_gt_i32 s5, 22
	s_mov_b32 s6, -1
	s_cbranch_scc0 .LBB263_816
; %bb.785:
	s_cmp_lt_i32 s5, 24
	s_cbranch_scc1 .LBB263_805
; %bb.786:
	s_cmp_gt_i32 s5, 24
	s_cbranch_scc0 .LBB263_794
; %bb.787:
	s_wait_xcnt 0x0
	v_cndmask_b32_e64 v4, 0, 1.0, s13
	v_mov_b32_e32 v5, 0x80
	s_mov_b32 s6, exec_lo
	s_delay_alu instid0(VALU_DEP_2)
	v_cmpx_gt_u32_e32 0x47800000, v4
	s_cbranch_execz .LBB263_793
; %bb.788:
	s_mov_b32 s7, 0
	s_mov_b32 s8, exec_lo
                                        ; implicit-def: $vgpr1
	v_cmpx_lt_u32_e32 0x37ffffff, v4
	s_xor_b32 s8, exec_lo, s8
	s_cbranch_execz .LBB263_1002
; %bb.789:
	v_bfe_u32 v1, v4, 21, 1
	s_mov_b32 s7, exec_lo
	s_delay_alu instid0(VALU_DEP_1) | instskip(NEXT) | instid1(VALU_DEP_1)
	v_add3_u32 v1, v4, v1, 0x88fffff
                                        ; implicit-def: $vgpr4
	v_lshrrev_b32_e32 v1, 21, v1
	s_and_not1_saveexec_b32 s8, s8
	s_cbranch_execnz .LBB263_1003
.LBB263_790:
	s_or_b32 exec_lo, exec_lo, s8
	v_mov_b32_e32 v5, 0
	s_and_saveexec_b32 s8, s7
.LBB263_791:
	v_mov_b32_e32 v5, v1
.LBB263_792:
	s_or_b32 exec_lo, exec_lo, s8
.LBB263_793:
	s_delay_alu instid0(SALU_CYCLE_1)
	s_or_b32 exec_lo, exec_lo, s6
	s_mov_b32 s6, 0
	global_store_b8 v[2:3], v5, off
.LBB263_794:
	s_and_b32 vcc_lo, exec_lo, s6
	s_cbranch_vccz .LBB263_804
; %bb.795:
	s_wait_xcnt 0x0
	v_cndmask_b32_e64 v4, 0, 1.0, s13
	s_mov_b32 s6, exec_lo
                                        ; implicit-def: $vgpr1
	s_delay_alu instid0(VALU_DEP_1)
	v_cmpx_gt_u32_e32 0x43f00000, v4
	s_xor_b32 s6, exec_lo, s6
	s_cbranch_execz .LBB263_801
; %bb.796:
	s_mov_b32 s7, exec_lo
                                        ; implicit-def: $vgpr1
	v_cmpx_lt_u32_e32 0x3c7fffff, v4
	s_xor_b32 s7, exec_lo, s7
; %bb.797:
	v_bfe_u32 v1, v4, 20, 1
	s_delay_alu instid0(VALU_DEP_1) | instskip(NEXT) | instid1(VALU_DEP_1)
	v_add3_u32 v1, v4, v1, 0x407ffff
	v_and_b32_e32 v4, 0xff00000, v1
	v_lshrrev_b32_e32 v1, 20, v1
	s_delay_alu instid0(VALU_DEP_2) | instskip(NEXT) | instid1(VALU_DEP_2)
	v_cmp_ne_u32_e32 vcc_lo, 0x7f00000, v4
                                        ; implicit-def: $vgpr4
	v_cndmask_b32_e32 v1, 0x7e, v1, vcc_lo
; %bb.798:
	s_and_not1_saveexec_b32 s7, s7
; %bb.799:
	v_add_f32_e32 v1, 0x46800000, v4
; %bb.800:
	s_or_b32 exec_lo, exec_lo, s7
                                        ; implicit-def: $vgpr4
.LBB263_801:
	s_and_not1_saveexec_b32 s6, s6
; %bb.802:
	v_mov_b32_e32 v1, 0x7f
	v_cmp_lt_u32_e32 vcc_lo, 0x7f800000, v4
	s_delay_alu instid0(VALU_DEP_2)
	v_cndmask_b32_e32 v1, 0x7e, v1, vcc_lo
; %bb.803:
	s_or_b32 exec_lo, exec_lo, s6
	global_store_b8 v[2:3], v1, off
.LBB263_804:
	s_mov_b32 s6, 0
.LBB263_805:
	s_delay_alu instid0(SALU_CYCLE_1)
	s_and_not1_b32 vcc_lo, exec_lo, s6
	s_cbranch_vccnz .LBB263_815
; %bb.806:
	s_wait_xcnt 0x0
	v_cndmask_b32_e64 v4, 0, 1.0, s13
	s_mov_b32 s6, exec_lo
                                        ; implicit-def: $vgpr1
	s_delay_alu instid0(VALU_DEP_1)
	v_cmpx_gt_u32_e32 0x47800000, v4
	s_xor_b32 s6, exec_lo, s6
	s_cbranch_execz .LBB263_812
; %bb.807:
	s_mov_b32 s7, exec_lo
                                        ; implicit-def: $vgpr1
	v_cmpx_lt_u32_e32 0x387fffff, v4
	s_xor_b32 s7, exec_lo, s7
; %bb.808:
	v_bfe_u32 v1, v4, 21, 1
	s_delay_alu instid0(VALU_DEP_1) | instskip(NEXT) | instid1(VALU_DEP_1)
	v_add3_u32 v1, v4, v1, 0x80fffff
                                        ; implicit-def: $vgpr4
	v_lshrrev_b32_e32 v1, 21, v1
; %bb.809:
	s_and_not1_saveexec_b32 s7, s7
; %bb.810:
	v_add_f32_e32 v1, 0x43000000, v4
; %bb.811:
	s_or_b32 exec_lo, exec_lo, s7
                                        ; implicit-def: $vgpr4
.LBB263_812:
	s_and_not1_saveexec_b32 s6, s6
; %bb.813:
	v_mov_b32_e32 v1, 0x7f
	v_cmp_lt_u32_e32 vcc_lo, 0x7f800000, v4
	s_delay_alu instid0(VALU_DEP_2)
	v_cndmask_b32_e32 v1, 0x7c, v1, vcc_lo
; %bb.814:
	s_or_b32 exec_lo, exec_lo, s6
	global_store_b8 v[2:3], v1, off
.LBB263_815:
	s_mov_b32 s6, 0
	s_mov_b32 s7, -1
.LBB263_816:
	s_and_not1_b32 vcc_lo, exec_lo, s6
	s_mov_b32 s6, 0
	s_cbranch_vccnz .LBB263_823
; %bb.817:
	s_cmp_gt_i32 s5, 14
	s_mov_b32 s6, -1
	s_cbranch_scc0 .LBB263_821
; %bb.818:
	s_cmp_eq_u32 s5, 15
	s_mov_b32 s0, -1
	s_cbranch_scc0 .LBB263_820
; %bb.819:
	s_wait_xcnt 0x0
	v_cndmask_b32_e64 v1, 0, 1.0, s13
	s_mov_b32 s0, 0
	s_mov_b32 s7, -1
	s_delay_alu instid0(VALU_DEP_1) | instskip(NEXT) | instid1(VALU_DEP_1)
	v_bfe_u32 v4, v1, 16, 1
	v_add3_u32 v1, v1, v4, 0x7fff
	global_store_d16_hi_b16 v[2:3], v1, off
.LBB263_820:
	s_mov_b32 s6, 0
.LBB263_821:
	s_delay_alu instid0(SALU_CYCLE_1)
	s_and_b32 vcc_lo, exec_lo, s6
	s_mov_b32 s6, 0
	s_cbranch_vccz .LBB263_823
; %bb.822:
	s_cmp_lg_u32 s5, 11
	s_mov_b32 s6, -1
	s_cselect_b32 s0, -1, 0
.LBB263_823:
	s_delay_alu instid0(SALU_CYCLE_1)
	s_and_b32 vcc_lo, exec_lo, s0
	s_cbranch_vccnz .LBB263_1001
; %bb.824:
	s_and_not1_b32 vcc_lo, exec_lo, s6
	s_cbranch_vccnz .LBB263_826
.LBB263_825:
	s_wait_xcnt 0x0
	v_cndmask_b32_e64 v1, 0, 1, s13
	s_mov_b32 s7, -1
	global_store_b8 v[2:3], v1, off
.LBB263_826:
.LBB263_827:
	s_and_not1_b32 vcc_lo, exec_lo, s7
	s_cbranch_vccnz .LBB263_943
.LBB263_828:
	v_add_nc_u32_e32 v0, s4, v0
	s_cmp_lt_i32 s2, 11
	s_wait_xcnt 0x0
	s_delay_alu instid0(VALU_DEP_1) | instskip(NEXT) | instid1(VALU_DEP_1)
	v_ashrrev_i32_e32 v1, 31, v0
	v_add_nc_u64_e32 v[0:1], s[16:17], v[0:1]
	s_cbranch_scc1 .LBB263_988
; %bb.829:
	s_and_b32 s4, 0xffff, s2
	s_mov_b32 s6, -1
	s_mov_b32 s5, 0
	s_cmp_gt_i32 s4, 25
	s_mov_b32 s0, 0
	s_cbranch_scc0 .LBB263_862
; %bb.830:
	s_cmp_gt_i32 s4, 28
	s_cbranch_scc0 .LBB263_846
; %bb.831:
	s_cmp_gt_i32 s4, 43
	;; [unrolled: 3-line block ×3, first 2 shown]
	s_cbranch_scc0 .LBB263_836
; %bb.833:
	s_cmp_eq_u32 s4, 46
	s_mov_b32 s0, -1
	s_cbranch_scc0 .LBB263_835
; %bb.834:
	v_cndmask_b32_e64 v2, 0, 1.0, s1
	s_mov_b32 s0, 0
	s_delay_alu instid0(VALU_DEP_1) | instskip(NEXT) | instid1(VALU_DEP_1)
	v_bfe_u32 v3, v2, 16, 1
	v_add3_u32 v2, v2, v3, 0x7fff
	s_delay_alu instid0(VALU_DEP_1)
	v_lshrrev_b32_e32 v2, 16, v2
	global_store_b32 v[0:1], v2, off
.LBB263_835:
	s_mov_b32 s6, 0
.LBB263_836:
	s_delay_alu instid0(SALU_CYCLE_1)
	s_and_b32 vcc_lo, exec_lo, s6
	s_cbranch_vccz .LBB263_841
; %bb.837:
	s_cmp_eq_u32 s4, 44
	s_mov_b32 s0, -1
	s_cbranch_scc0 .LBB263_841
; %bb.838:
	v_cndmask_b32_e64 v4, 0, 1.0, s1
	s_mov_b32 s6, exec_lo
	s_wait_xcnt 0x0
	s_delay_alu instid0(VALU_DEP_1) | instskip(NEXT) | instid1(VALU_DEP_1)
	v_dual_mov_b32 v3, 0xff :: v_dual_lshrrev_b32 v2, 23, v4
	v_cmpx_ne_u32_e32 0xff, v2
; %bb.839:
	v_and_b32_e32 v3, 0x400000, v4
	v_and_or_b32 v4, 0x3fffff, v4, v2
	s_delay_alu instid0(VALU_DEP_2) | instskip(NEXT) | instid1(VALU_DEP_2)
	v_cmp_ne_u32_e32 vcc_lo, 0, v3
	v_cmp_ne_u32_e64 s0, 0, v4
	s_and_b32 s0, vcc_lo, s0
	s_delay_alu instid0(SALU_CYCLE_1) | instskip(NEXT) | instid1(VALU_DEP_1)
	v_cndmask_b32_e64 v3, 0, 1, s0
	v_add_nc_u32_e32 v3, v2, v3
; %bb.840:
	s_or_b32 exec_lo, exec_lo, s6
	s_mov_b32 s0, 0
	global_store_b8 v[0:1], v3, off
.LBB263_841:
	s_mov_b32 s6, 0
.LBB263_842:
	s_delay_alu instid0(SALU_CYCLE_1)
	s_and_b32 vcc_lo, exec_lo, s6
	s_cbranch_vccz .LBB263_845
; %bb.843:
	s_cmp_eq_u32 s4, 29
	s_mov_b32 s0, -1
	s_cbranch_scc0 .LBB263_845
; %bb.844:
	s_mov_b32 s0, 0
	s_wait_xcnt 0x0
	v_cndmask_b32_e64 v2, 0, 1, s1
	v_mov_b32_e32 v3, s0
	global_store_b64 v[0:1], v[2:3], off
.LBB263_845:
	s_mov_b32 s6, 0
.LBB263_846:
	s_delay_alu instid0(SALU_CYCLE_1)
	s_and_b32 vcc_lo, exec_lo, s6
	s_cbranch_vccz .LBB263_861
; %bb.847:
	s_cmp_lt_i32 s4, 27
	s_mov_b32 s6, -1
	s_cbranch_scc1 .LBB263_853
; %bb.848:
	s_wait_xcnt 0x0
	v_cndmask_b32_e64 v2, 0, 1, s1
	s_cmp_gt_i32 s4, 27
	s_cbranch_scc0 .LBB263_850
; %bb.849:
	s_mov_b32 s6, 0
	global_store_b32 v[0:1], v2, off
.LBB263_850:
	s_and_not1_b32 vcc_lo, exec_lo, s6
	s_cbranch_vccnz .LBB263_852
; %bb.851:
	global_store_b16 v[0:1], v2, off
.LBB263_852:
	s_mov_b32 s6, 0
.LBB263_853:
	s_delay_alu instid0(SALU_CYCLE_1)
	s_and_not1_b32 vcc_lo, exec_lo, s6
	s_cbranch_vccnz .LBB263_861
; %bb.854:
	s_wait_xcnt 0x0
	v_cndmask_b32_e64 v3, 0, 1.0, s1
	v_mov_b32_e32 v4, 0x80
	s_mov_b32 s6, exec_lo
	s_delay_alu instid0(VALU_DEP_2)
	v_cmpx_gt_u32_e32 0x43800000, v3
	s_cbranch_execz .LBB263_860
; %bb.855:
	s_mov_b32 s7, 0
	s_mov_b32 s8, exec_lo
                                        ; implicit-def: $vgpr2
	v_cmpx_lt_u32_e32 0x3bffffff, v3
	s_xor_b32 s8, exec_lo, s8
	s_cbranch_execz .LBB263_1004
; %bb.856:
	v_bfe_u32 v2, v3, 20, 1
	s_mov_b32 s7, exec_lo
	s_delay_alu instid0(VALU_DEP_1) | instskip(NEXT) | instid1(VALU_DEP_1)
	v_add3_u32 v2, v3, v2, 0x487ffff
                                        ; implicit-def: $vgpr3
	v_lshrrev_b32_e32 v2, 20, v2
	s_and_not1_saveexec_b32 s8, s8
	s_cbranch_execnz .LBB263_1005
.LBB263_857:
	s_or_b32 exec_lo, exec_lo, s8
	v_mov_b32_e32 v4, 0
	s_and_saveexec_b32 s8, s7
.LBB263_858:
	v_mov_b32_e32 v4, v2
.LBB263_859:
	s_or_b32 exec_lo, exec_lo, s8
.LBB263_860:
	s_delay_alu instid0(SALU_CYCLE_1)
	s_or_b32 exec_lo, exec_lo, s6
	global_store_b8 v[0:1], v4, off
.LBB263_861:
	s_mov_b32 s6, 0
.LBB263_862:
	s_delay_alu instid0(SALU_CYCLE_1)
	s_and_b32 vcc_lo, exec_lo, s6
	s_cbranch_vccz .LBB263_902
; %bb.863:
	s_cmp_gt_i32 s4, 22
	s_mov_b32 s5, -1
	s_cbranch_scc0 .LBB263_895
; %bb.864:
	s_cmp_lt_i32 s4, 24
	s_cbranch_scc1 .LBB263_884
; %bb.865:
	s_cmp_gt_i32 s4, 24
	s_cbranch_scc0 .LBB263_873
; %bb.866:
	s_wait_xcnt 0x0
	v_cndmask_b32_e64 v3, 0, 1.0, s1
	v_mov_b32_e32 v4, 0x80
	s_mov_b32 s5, exec_lo
	s_delay_alu instid0(VALU_DEP_2)
	v_cmpx_gt_u32_e32 0x47800000, v3
	s_cbranch_execz .LBB263_872
; %bb.867:
	s_mov_b32 s6, 0
	s_mov_b32 s7, exec_lo
                                        ; implicit-def: $vgpr2
	v_cmpx_lt_u32_e32 0x37ffffff, v3
	s_xor_b32 s7, exec_lo, s7
	s_cbranch_execz .LBB263_1009
; %bb.868:
	v_bfe_u32 v2, v3, 21, 1
	s_mov_b32 s6, exec_lo
	s_delay_alu instid0(VALU_DEP_1) | instskip(NEXT) | instid1(VALU_DEP_1)
	v_add3_u32 v2, v3, v2, 0x88fffff
                                        ; implicit-def: $vgpr3
	v_lshrrev_b32_e32 v2, 21, v2
	s_and_not1_saveexec_b32 s7, s7
	s_cbranch_execnz .LBB263_1010
.LBB263_869:
	s_or_b32 exec_lo, exec_lo, s7
	v_mov_b32_e32 v4, 0
	s_and_saveexec_b32 s7, s6
.LBB263_870:
	v_mov_b32_e32 v4, v2
.LBB263_871:
	s_or_b32 exec_lo, exec_lo, s7
.LBB263_872:
	s_delay_alu instid0(SALU_CYCLE_1)
	s_or_b32 exec_lo, exec_lo, s5
	s_mov_b32 s5, 0
	global_store_b8 v[0:1], v4, off
.LBB263_873:
	s_and_b32 vcc_lo, exec_lo, s5
	s_cbranch_vccz .LBB263_883
; %bb.874:
	s_wait_xcnt 0x0
	v_cndmask_b32_e64 v3, 0, 1.0, s1
	s_mov_b32 s5, exec_lo
                                        ; implicit-def: $vgpr2
	s_delay_alu instid0(VALU_DEP_1)
	v_cmpx_gt_u32_e32 0x43f00000, v3
	s_xor_b32 s5, exec_lo, s5
	s_cbranch_execz .LBB263_880
; %bb.875:
	s_mov_b32 s6, exec_lo
                                        ; implicit-def: $vgpr2
	v_cmpx_lt_u32_e32 0x3c7fffff, v3
	s_xor_b32 s6, exec_lo, s6
; %bb.876:
	v_bfe_u32 v2, v3, 20, 1
	s_delay_alu instid0(VALU_DEP_1) | instskip(NEXT) | instid1(VALU_DEP_1)
	v_add3_u32 v2, v3, v2, 0x407ffff
	v_and_b32_e32 v3, 0xff00000, v2
	v_lshrrev_b32_e32 v2, 20, v2
	s_delay_alu instid0(VALU_DEP_2) | instskip(NEXT) | instid1(VALU_DEP_2)
	v_cmp_ne_u32_e32 vcc_lo, 0x7f00000, v3
                                        ; implicit-def: $vgpr3
	v_cndmask_b32_e32 v2, 0x7e, v2, vcc_lo
; %bb.877:
	s_and_not1_saveexec_b32 s6, s6
; %bb.878:
	v_add_f32_e32 v2, 0x46800000, v3
; %bb.879:
	s_or_b32 exec_lo, exec_lo, s6
                                        ; implicit-def: $vgpr3
.LBB263_880:
	s_and_not1_saveexec_b32 s5, s5
; %bb.881:
	v_mov_b32_e32 v2, 0x7f
	v_cmp_lt_u32_e32 vcc_lo, 0x7f800000, v3
	s_delay_alu instid0(VALU_DEP_2)
	v_cndmask_b32_e32 v2, 0x7e, v2, vcc_lo
; %bb.882:
	s_or_b32 exec_lo, exec_lo, s5
	global_store_b8 v[0:1], v2, off
.LBB263_883:
	s_mov_b32 s5, 0
.LBB263_884:
	s_delay_alu instid0(SALU_CYCLE_1)
	s_and_not1_b32 vcc_lo, exec_lo, s5
	s_cbranch_vccnz .LBB263_894
; %bb.885:
	s_wait_xcnt 0x0
	v_cndmask_b32_e64 v3, 0, 1.0, s1
	s_mov_b32 s5, exec_lo
                                        ; implicit-def: $vgpr2
	s_delay_alu instid0(VALU_DEP_1)
	v_cmpx_gt_u32_e32 0x47800000, v3
	s_xor_b32 s5, exec_lo, s5
	s_cbranch_execz .LBB263_891
; %bb.886:
	s_mov_b32 s6, exec_lo
                                        ; implicit-def: $vgpr2
	v_cmpx_lt_u32_e32 0x387fffff, v3
	s_xor_b32 s6, exec_lo, s6
; %bb.887:
	v_bfe_u32 v2, v3, 21, 1
	s_delay_alu instid0(VALU_DEP_1) | instskip(NEXT) | instid1(VALU_DEP_1)
	v_add3_u32 v2, v3, v2, 0x80fffff
                                        ; implicit-def: $vgpr3
	v_lshrrev_b32_e32 v2, 21, v2
; %bb.888:
	s_and_not1_saveexec_b32 s6, s6
; %bb.889:
	v_add_f32_e32 v2, 0x43000000, v3
; %bb.890:
	s_or_b32 exec_lo, exec_lo, s6
                                        ; implicit-def: $vgpr3
.LBB263_891:
	s_and_not1_saveexec_b32 s5, s5
; %bb.892:
	v_mov_b32_e32 v2, 0x7f
	v_cmp_lt_u32_e32 vcc_lo, 0x7f800000, v3
	s_delay_alu instid0(VALU_DEP_2)
	v_cndmask_b32_e32 v2, 0x7c, v2, vcc_lo
; %bb.893:
	s_or_b32 exec_lo, exec_lo, s5
	global_store_b8 v[0:1], v2, off
.LBB263_894:
	s_mov_b32 s5, 0
.LBB263_895:
	s_delay_alu instid0(SALU_CYCLE_1)
	s_and_not1_b32 vcc_lo, exec_lo, s5
	s_mov_b32 s5, 0
	s_cbranch_vccnz .LBB263_902
; %bb.896:
	s_cmp_gt_i32 s4, 14
	s_mov_b32 s5, -1
	s_cbranch_scc0 .LBB263_900
; %bb.897:
	s_cmp_eq_u32 s4, 15
	s_mov_b32 s0, -1
	s_cbranch_scc0 .LBB263_899
; %bb.898:
	s_wait_xcnt 0x0
	v_cndmask_b32_e64 v2, 0, 1.0, s1
	s_mov_b32 s0, 0
	s_delay_alu instid0(VALU_DEP_1) | instskip(NEXT) | instid1(VALU_DEP_1)
	v_bfe_u32 v3, v2, 16, 1
	v_add3_u32 v2, v2, v3, 0x7fff
	global_store_d16_hi_b16 v[0:1], v2, off
.LBB263_899:
	s_mov_b32 s5, 0
.LBB263_900:
	s_delay_alu instid0(SALU_CYCLE_1)
	s_and_b32 vcc_lo, exec_lo, s5
	s_mov_b32 s5, 0
	s_cbranch_vccz .LBB263_902
; %bb.901:
	s_cmp_lg_u32 s4, 11
	s_mov_b32 s5, -1
	s_cselect_b32 s0, -1, 0
.LBB263_902:
	s_delay_alu instid0(SALU_CYCLE_1)
	s_and_b32 vcc_lo, exec_lo, s0
	s_cbranch_vccnz .LBB263_1006
.LBB263_903:
	s_mov_b32 s0, 0
	s_branch .LBB263_944
.LBB263_904:
	s_mov_b32 s7, 0
	s_cbranch_execz .LBB263_827
; %bb.905:
	s_and_b32 s0, 0xffff, s2
	s_mov_b32 s5, -1
	s_cmp_lt_i32 s0, 5
	s_cbranch_scc1 .LBB263_926
; %bb.906:
	s_cmp_lt_i32 s0, 8
	s_cbranch_scc1 .LBB263_916
; %bb.907:
	;; [unrolled: 3-line block ×3, first 2 shown]
	s_cmp_gt_i32 s0, 9
	s_cbranch_scc0 .LBB263_910
; %bb.909:
	s_wait_xcnt 0x0
	v_cndmask_b32_e64 v1, 0, 1, s13
	v_mov_b32_e32 v6, 0
	s_mov_b32 s5, 0
	s_delay_alu instid0(VALU_DEP_2) | instskip(NEXT) | instid1(VALU_DEP_2)
	v_cvt_f64_u32_e32 v[4:5], v1
	v_mov_b32_e32 v7, v6
	global_store_b128 v[2:3], v[4:7], off
.LBB263_910:
	s_and_not1_b32 vcc_lo, exec_lo, s5
	s_cbranch_vccnz .LBB263_912
; %bb.911:
	s_wait_xcnt 0x0
	v_cndmask_b32_e64 v4, 0, 1.0, s13
	v_mov_b32_e32 v5, 0
	global_store_b64 v[2:3], v[4:5], off
.LBB263_912:
	s_mov_b32 s5, 0
.LBB263_913:
	s_delay_alu instid0(SALU_CYCLE_1)
	s_and_not1_b32 vcc_lo, exec_lo, s5
	s_cbranch_vccnz .LBB263_915
; %bb.914:
	s_wait_xcnt 0x0
	v_cndmask_b32_e64 v1, 0, 1.0, s13
	s_delay_alu instid0(VALU_DEP_1) | instskip(NEXT) | instid1(VALU_DEP_1)
	v_cvt_f16_f32_e32 v1, v1
	v_and_b32_e32 v1, 0xffff, v1
	global_store_b32 v[2:3], v1, off
.LBB263_915:
	s_mov_b32 s5, 0
.LBB263_916:
	s_delay_alu instid0(SALU_CYCLE_1)
	s_and_not1_b32 vcc_lo, exec_lo, s5
	s_cbranch_vccnz .LBB263_925
; %bb.917:
	s_cmp_lt_i32 s0, 6
	s_mov_b32 s5, -1
	s_cbranch_scc1 .LBB263_923
; %bb.918:
	s_cmp_gt_i32 s0, 6
	s_cbranch_scc0 .LBB263_920
; %bb.919:
	s_wait_xcnt 0x0
	v_cndmask_b32_e64 v1, 0, 1, s13
	s_mov_b32 s5, 0
	s_delay_alu instid0(VALU_DEP_1)
	v_cvt_f64_u32_e32 v[4:5], v1
	global_store_b64 v[2:3], v[4:5], off
.LBB263_920:
	s_and_not1_b32 vcc_lo, exec_lo, s5
	s_cbranch_vccnz .LBB263_922
; %bb.921:
	s_wait_xcnt 0x0
	v_cndmask_b32_e64 v1, 0, 1.0, s13
	global_store_b32 v[2:3], v1, off
.LBB263_922:
	s_mov_b32 s5, 0
.LBB263_923:
	s_delay_alu instid0(SALU_CYCLE_1)
	s_and_not1_b32 vcc_lo, exec_lo, s5
	s_cbranch_vccnz .LBB263_925
; %bb.924:
	s_wait_xcnt 0x0
	v_cndmask_b32_e64 v1, 0, 1.0, s13
	s_delay_alu instid0(VALU_DEP_1)
	v_cvt_f16_f32_e32 v1, v1
	global_store_b16 v[2:3], v1, off
.LBB263_925:
	s_mov_b32 s5, 0
.LBB263_926:
	s_delay_alu instid0(SALU_CYCLE_1)
	s_and_not1_b32 vcc_lo, exec_lo, s5
	s_cbranch_vccnz .LBB263_942
; %bb.927:
	s_cmp_lt_i32 s0, 2
	s_mov_b32 s5, -1
	s_cbranch_scc1 .LBB263_937
; %bb.928:
	s_cmp_lt_i32 s0, 3
	s_cbranch_scc1 .LBB263_934
; %bb.929:
	s_cmp_gt_i32 s0, 3
	s_cbranch_scc0 .LBB263_931
; %bb.930:
	s_mov_b32 s5, 0
	s_wait_xcnt 0x0
	v_cndmask_b32_e64 v4, 0, 1, s13
	v_mov_b32_e32 v5, s5
	global_store_b64 v[2:3], v[4:5], off
.LBB263_931:
	s_and_not1_b32 vcc_lo, exec_lo, s5
	s_cbranch_vccnz .LBB263_933
; %bb.932:
	s_wait_xcnt 0x0
	v_cndmask_b32_e64 v1, 0, 1, s13
	global_store_b32 v[2:3], v1, off
.LBB263_933:
	s_mov_b32 s5, 0
.LBB263_934:
	s_delay_alu instid0(SALU_CYCLE_1)
	s_and_not1_b32 vcc_lo, exec_lo, s5
	s_cbranch_vccnz .LBB263_936
; %bb.935:
	s_wait_xcnt 0x0
	v_cndmask_b32_e64 v1, 0, 1, s13
	global_store_b16 v[2:3], v1, off
.LBB263_936:
	s_mov_b32 s5, 0
.LBB263_937:
	s_delay_alu instid0(SALU_CYCLE_1)
	s_and_not1_b32 vcc_lo, exec_lo, s5
	s_cbranch_vccnz .LBB263_942
; %bb.938:
	s_wait_xcnt 0x0
	v_cndmask_b32_e64 v1, 0, 1, s13
	s_cmp_gt_i32 s0, 0
	s_mov_b32 s0, -1
	s_cbranch_scc0 .LBB263_940
; %bb.939:
	s_mov_b32 s0, 0
	global_store_b8 v[2:3], v1, off
.LBB263_940:
	s_and_not1_b32 vcc_lo, exec_lo, s0
	s_cbranch_vccnz .LBB263_942
; %bb.941:
	global_store_b8 v[2:3], v1, off
.LBB263_942:
	s_branch .LBB263_828
.LBB263_943:
	s_mov_b32 s0, 0
	s_mov_b32 s5, 0
                                        ; implicit-def: $sgpr2
                                        ; implicit-def: $vgpr0_vgpr1
.LBB263_944:
	s_and_not1_b32 s4, s26, exec_lo
	s_and_b32 s3, s3, exec_lo
	s_and_b32 s0, s0, exec_lo
	;; [unrolled: 1-line block ×3, first 2 shown]
	s_or_b32 s26, s4, s3
.LBB263_945:
	s_wait_xcnt 0x0
	s_or_b32 exec_lo, exec_lo, s27
	s_and_saveexec_b32 s3, s26
	s_cbranch_execz .LBB263_948
; %bb.946:
	; divergent unreachable
	s_or_b32 exec_lo, exec_lo, s3
	s_and_saveexec_b32 s3, s13
	s_delay_alu instid0(SALU_CYCLE_1)
	s_xor_b32 s3, exec_lo, s3
	s_cbranch_execnz .LBB263_949
.LBB263_947:
	s_or_b32 exec_lo, exec_lo, s3
	s_and_saveexec_b32 s3, s0
	s_cbranch_execnz .LBB263_950
	s_branch .LBB263_987
.LBB263_948:
	s_or_b32 exec_lo, exec_lo, s3
	s_and_saveexec_b32 s3, s13
	s_delay_alu instid0(SALU_CYCLE_1)
	s_xor_b32 s3, exec_lo, s3
	s_cbranch_execz .LBB263_947
.LBB263_949:
	v_cndmask_b32_e64 v2, 0, 1, s1
	global_store_b8 v[0:1], v2, off
	s_wait_xcnt 0x0
	s_or_b32 exec_lo, exec_lo, s3
	s_and_saveexec_b32 s3, s0
	s_cbranch_execz .LBB263_987
.LBB263_950:
	s_sext_i32_i16 s3, s2
	s_mov_b32 s0, -1
	s_cmp_lt_i32 s3, 5
	s_cbranch_scc1 .LBB263_971
; %bb.951:
	s_cmp_lt_i32 s3, 8
	s_cbranch_scc1 .LBB263_961
; %bb.952:
	s_cmp_lt_i32 s3, 9
	s_cbranch_scc1 .LBB263_958
; %bb.953:
	s_cmp_gt_i32 s3, 9
	s_cbranch_scc0 .LBB263_955
; %bb.954:
	v_cndmask_b32_e64 v2, 0, 1, s1
	v_mov_b32_e32 v4, 0
	s_mov_b32 s0, 0
	s_delay_alu instid0(VALU_DEP_2) | instskip(NEXT) | instid1(VALU_DEP_2)
	v_cvt_f64_u32_e32 v[2:3], v2
	v_mov_b32_e32 v5, v4
	global_store_b128 v[0:1], v[2:5], off
.LBB263_955:
	s_and_not1_b32 vcc_lo, exec_lo, s0
	s_cbranch_vccnz .LBB263_957
; %bb.956:
	s_wait_xcnt 0x0
	v_cndmask_b32_e64 v2, 0, 1.0, s1
	v_mov_b32_e32 v3, 0
	global_store_b64 v[0:1], v[2:3], off
.LBB263_957:
	s_mov_b32 s0, 0
.LBB263_958:
	s_delay_alu instid0(SALU_CYCLE_1)
	s_and_not1_b32 vcc_lo, exec_lo, s0
	s_cbranch_vccnz .LBB263_960
; %bb.959:
	s_wait_xcnt 0x0
	v_cndmask_b32_e64 v2, 0, 1.0, s1
	s_delay_alu instid0(VALU_DEP_1) | instskip(NEXT) | instid1(VALU_DEP_1)
	v_cvt_f16_f32_e32 v2, v2
	v_and_b32_e32 v2, 0xffff, v2
	global_store_b32 v[0:1], v2, off
.LBB263_960:
	s_mov_b32 s0, 0
.LBB263_961:
	s_delay_alu instid0(SALU_CYCLE_1)
	s_and_not1_b32 vcc_lo, exec_lo, s0
	s_cbranch_vccnz .LBB263_970
; %bb.962:
	s_sext_i32_i16 s3, s2
	s_mov_b32 s0, -1
	s_cmp_lt_i32 s3, 6
	s_cbranch_scc1 .LBB263_968
; %bb.963:
	s_cmp_gt_i32 s3, 6
	s_cbranch_scc0 .LBB263_965
; %bb.964:
	s_wait_xcnt 0x0
	v_cndmask_b32_e64 v2, 0, 1, s1
	s_mov_b32 s0, 0
	s_delay_alu instid0(VALU_DEP_1)
	v_cvt_f64_u32_e32 v[2:3], v2
	global_store_b64 v[0:1], v[2:3], off
.LBB263_965:
	s_and_not1_b32 vcc_lo, exec_lo, s0
	s_cbranch_vccnz .LBB263_967
; %bb.966:
	s_wait_xcnt 0x0
	v_cndmask_b32_e64 v2, 0, 1.0, s1
	global_store_b32 v[0:1], v2, off
.LBB263_967:
	s_mov_b32 s0, 0
.LBB263_968:
	s_delay_alu instid0(SALU_CYCLE_1)
	s_and_not1_b32 vcc_lo, exec_lo, s0
	s_cbranch_vccnz .LBB263_970
; %bb.969:
	s_wait_xcnt 0x0
	v_cndmask_b32_e64 v2, 0, 1.0, s1
	s_delay_alu instid0(VALU_DEP_1)
	v_cvt_f16_f32_e32 v2, v2
	global_store_b16 v[0:1], v2, off
.LBB263_970:
	s_mov_b32 s0, 0
.LBB263_971:
	s_delay_alu instid0(SALU_CYCLE_1)
	s_and_not1_b32 vcc_lo, exec_lo, s0
	s_cbranch_vccnz .LBB263_987
; %bb.972:
	s_sext_i32_i16 s3, s2
	s_mov_b32 s0, -1
	s_cmp_lt_i32 s3, 2
	s_cbranch_scc1 .LBB263_982
; %bb.973:
	s_cmp_lt_i32 s3, 3
	s_cbranch_scc1 .LBB263_979
; %bb.974:
	s_cmp_gt_i32 s3, 3
	s_cbranch_scc0 .LBB263_976
; %bb.975:
	s_mov_b32 s0, 0
	s_wait_xcnt 0x0
	v_cndmask_b32_e64 v2, 0, 1, s1
	v_mov_b32_e32 v3, s0
	global_store_b64 v[0:1], v[2:3], off
.LBB263_976:
	s_and_not1_b32 vcc_lo, exec_lo, s0
	s_cbranch_vccnz .LBB263_978
; %bb.977:
	s_wait_xcnt 0x0
	v_cndmask_b32_e64 v2, 0, 1, s1
	global_store_b32 v[0:1], v2, off
.LBB263_978:
	s_mov_b32 s0, 0
.LBB263_979:
	s_delay_alu instid0(SALU_CYCLE_1)
	s_and_not1_b32 vcc_lo, exec_lo, s0
	s_cbranch_vccnz .LBB263_981
; %bb.980:
	s_wait_xcnt 0x0
	v_cndmask_b32_e64 v2, 0, 1, s1
	global_store_b16 v[0:1], v2, off
.LBB263_981:
	s_mov_b32 s0, 0
.LBB263_982:
	s_delay_alu instid0(SALU_CYCLE_1)
	s_and_not1_b32 vcc_lo, exec_lo, s0
	s_cbranch_vccnz .LBB263_987
; %bb.983:
	s_wait_xcnt 0x0
	v_cndmask_b32_e64 v2, 0, 1, s1
	s_sext_i32_i16 s0, s2
	s_delay_alu instid0(SALU_CYCLE_1)
	s_cmp_gt_i32 s0, 0
	s_mov_b32 s0, -1
	s_cbranch_scc0 .LBB263_985
; %bb.984:
	s_mov_b32 s0, 0
	global_store_b8 v[0:1], v2, off
.LBB263_985:
	s_and_not1_b32 vcc_lo, exec_lo, s0
	s_cbranch_vccnz .LBB263_987
; %bb.986:
	global_store_b8 v[0:1], v2, off
	s_endpgm
.LBB263_987:
	s_endpgm
.LBB263_988:
	s_mov_b32 s5, 0
	s_mov_b32 s0, -1
	s_branch .LBB263_944
.LBB263_989:
	s_and_not1_saveexec_b32 s7, s7
	s_cbranch_execz .LBB263_541
.LBB263_990:
	v_add_f32_e32 v1, 0x46000000, v4
	s_and_not1_b32 s6, s6, exec_lo
	s_delay_alu instid0(VALU_DEP_1) | instskip(NEXT) | instid1(VALU_DEP_1)
	v_and_b32_e32 v1, 0xff, v1
	v_cmp_ne_u32_e32 vcc_lo, 0, v1
	s_and_b32 s8, vcc_lo, exec_lo
	s_delay_alu instid0(SALU_CYCLE_1)
	s_or_b32 s6, s6, s8
	s_or_b32 exec_lo, exec_lo, s7
	v_mov_b32_e32 v5, 0
	s_and_saveexec_b32 s7, s6
	s_cbranch_execnz .LBB263_542
	s_branch .LBB263_543
.LBB263_991:
	s_or_b32 s3, s26, exec_lo
	s_trap 2
	s_cbranch_execz .LBB263_589
	s_branch .LBB263_590
.LBB263_992:
	s_and_not1_saveexec_b32 s6, s6
	s_cbranch_execz .LBB263_554
.LBB263_993:
	v_add_f32_e32 v1, 0x42800000, v4
	s_and_not1_b32 s5, s5, exec_lo
	s_delay_alu instid0(VALU_DEP_1) | instskip(NEXT) | instid1(VALU_DEP_1)
	v_and_b32_e32 v1, 0xff, v1
	v_cmp_ne_u32_e32 vcc_lo, 0, v1
	s_and_b32 s7, vcc_lo, exec_lo
	s_delay_alu instid0(SALU_CYCLE_1)
	s_or_b32 s5, s5, s7
	s_or_b32 exec_lo, exec_lo, s6
	v_mov_b32_e32 v5, 0
	s_and_saveexec_b32 s6, s5
	s_cbranch_execnz .LBB263_555
	s_branch .LBB263_556
.LBB263_994:
	s_and_not1_saveexec_b32 s9, s9
	s_cbranch_execz .LBB263_659
.LBB263_995:
	v_add_f32_e32 v1, 0x46000000, v4
	s_and_not1_b32 s8, s8, exec_lo
	s_delay_alu instid0(VALU_DEP_1) | instskip(NEXT) | instid1(VALU_DEP_1)
	v_and_b32_e32 v1, 0xff, v1
	v_cmp_ne_u32_e32 vcc_lo, 0, v1
	s_and_b32 s10, vcc_lo, exec_lo
	s_delay_alu instid0(SALU_CYCLE_1)
	s_or_b32 s8, s8, s10
	s_or_b32 exec_lo, exec_lo, s9
	v_mov_b32_e32 v5, 0
	s_and_saveexec_b32 s9, s8
	s_cbranch_execnz .LBB263_660
	s_branch .LBB263_661
.LBB263_996:
	s_or_b32 s3, s3, exec_lo
	s_trap 2
	s_cbranch_execz .LBB263_707
	s_branch .LBB263_708
.LBB263_997:
	s_and_not1_saveexec_b32 s8, s8
	s_cbranch_execz .LBB263_672
.LBB263_998:
	v_add_f32_e32 v1, 0x42800000, v4
	s_and_not1_b32 s7, s7, exec_lo
	s_delay_alu instid0(VALU_DEP_1) | instskip(NEXT) | instid1(VALU_DEP_1)
	v_and_b32_e32 v1, 0xff, v1
	v_cmp_ne_u32_e32 vcc_lo, 0, v1
	s_and_b32 s9, vcc_lo, exec_lo
	s_delay_alu instid0(SALU_CYCLE_1)
	s_or_b32 s7, s7, s9
	s_or_b32 exec_lo, exec_lo, s8
	v_mov_b32_e32 v5, 0
	s_and_saveexec_b32 s8, s7
	s_cbranch_execnz .LBB263_673
	s_branch .LBB263_674
.LBB263_999:
	s_and_not1_saveexec_b32 s9, s9
	s_cbranch_execz .LBB263_777
.LBB263_1000:
	v_add_f32_e32 v1, 0x46000000, v4
	s_and_not1_b32 s8, s8, exec_lo
	s_delay_alu instid0(VALU_DEP_1) | instskip(NEXT) | instid1(VALU_DEP_1)
	v_and_b32_e32 v1, 0xff, v1
	v_cmp_ne_u32_e32 vcc_lo, 0, v1
	s_and_b32 s10, vcc_lo, exec_lo
	s_delay_alu instid0(SALU_CYCLE_1)
	s_or_b32 s8, s8, s10
	s_or_b32 exec_lo, exec_lo, s9
	v_mov_b32_e32 v5, 0
	s_and_saveexec_b32 s9, s8
	s_cbranch_execnz .LBB263_778
	s_branch .LBB263_779
.LBB263_1001:
	s_or_b32 s3, s3, exec_lo
	s_trap 2
	s_cbranch_execz .LBB263_825
	s_branch .LBB263_826
.LBB263_1002:
	s_and_not1_saveexec_b32 s8, s8
	s_cbranch_execz .LBB263_790
.LBB263_1003:
	v_add_f32_e32 v1, 0x42800000, v4
	s_and_not1_b32 s7, s7, exec_lo
	s_delay_alu instid0(VALU_DEP_1) | instskip(NEXT) | instid1(VALU_DEP_1)
	v_and_b32_e32 v1, 0xff, v1
	v_cmp_ne_u32_e32 vcc_lo, 0, v1
	s_and_b32 s9, vcc_lo, exec_lo
	s_delay_alu instid0(SALU_CYCLE_1)
	s_or_b32 s7, s7, s9
	s_or_b32 exec_lo, exec_lo, s8
	v_mov_b32_e32 v5, 0
	s_and_saveexec_b32 s8, s7
	s_cbranch_execnz .LBB263_791
	s_branch .LBB263_792
.LBB263_1004:
	s_and_not1_saveexec_b32 s8, s8
	s_cbranch_execz .LBB263_857
.LBB263_1005:
	v_add_f32_e32 v2, 0x46000000, v3
	s_and_not1_b32 s7, s7, exec_lo
	s_delay_alu instid0(VALU_DEP_1) | instskip(NEXT) | instid1(VALU_DEP_1)
	v_and_b32_e32 v2, 0xff, v2
	v_cmp_ne_u32_e32 vcc_lo, 0, v2
	s_and_b32 s9, vcc_lo, exec_lo
	s_delay_alu instid0(SALU_CYCLE_1)
	s_or_b32 s7, s7, s9
	s_or_b32 exec_lo, exec_lo, s8
	v_mov_b32_e32 v4, 0
	s_and_saveexec_b32 s8, s7
	s_cbranch_execnz .LBB263_858
	s_branch .LBB263_859
.LBB263_1006:
	s_mov_b32 s5, 0
	s_or_b32 s3, s3, exec_lo
	s_trap 2
	s_branch .LBB263_903
.LBB263_1007:
	s_and_not1_saveexec_b32 s6, s6
	s_cbranch_execz .LBB263_422
.LBB263_1008:
	v_add_f32_e32 v2, 0x46000000, v3
	s_and_not1_b32 s5, s5, exec_lo
	s_delay_alu instid0(VALU_DEP_1) | instskip(NEXT) | instid1(VALU_DEP_1)
	v_and_b32_e32 v2, 0xff, v2
	v_cmp_ne_u32_e32 vcc_lo, 0, v2
	s_and_b32 s7, vcc_lo, exec_lo
	s_delay_alu instid0(SALU_CYCLE_1)
	s_or_b32 s5, s5, s7
	s_or_b32 exec_lo, exec_lo, s6
	v_mov_b32_e32 v4, 0
	s_and_saveexec_b32 s6, s5
	s_cbranch_execnz .LBB263_423
	s_branch .LBB263_424
.LBB263_1009:
	s_and_not1_saveexec_b32 s7, s7
	s_cbranch_execz .LBB263_869
.LBB263_1010:
	v_add_f32_e32 v2, 0x42800000, v3
	s_and_not1_b32 s6, s6, exec_lo
	s_delay_alu instid0(VALU_DEP_1) | instskip(NEXT) | instid1(VALU_DEP_1)
	v_and_b32_e32 v2, 0xff, v2
	v_cmp_ne_u32_e32 vcc_lo, 0, v2
	s_and_b32 s8, vcc_lo, exec_lo
	s_delay_alu instid0(SALU_CYCLE_1)
	s_or_b32 s6, s6, s8
	s_or_b32 exec_lo, exec_lo, s7
	v_mov_b32_e32 v4, 0
	s_and_saveexec_b32 s7, s6
	s_cbranch_execnz .LBB263_870
	s_branch .LBB263_871
.LBB263_1011:
	s_and_not1_saveexec_b32 s7, s7
	s_cbranch_execz .LBB263_434
.LBB263_1012:
	v_add_f32_e32 v2, 0x42800000, v3
	s_and_not1_b32 s6, s6, exec_lo
	s_delay_alu instid0(VALU_DEP_1) | instskip(NEXT) | instid1(VALU_DEP_1)
	v_and_b32_e32 v2, 0xff, v2
	v_cmp_ne_u32_e32 vcc_lo, 0, v2
	s_and_b32 s8, vcc_lo, exec_lo
	s_delay_alu instid0(SALU_CYCLE_1)
	s_or_b32 s6, s6, s8
	s_or_b32 exec_lo, exec_lo, s7
	v_mov_b32_e32 v4, 0
	s_and_saveexec_b32 s7, s6
	s_cbranch_execnz .LBB263_435
	s_branch .LBB263_436
	.section	.rodata,"a",@progbits
	.p2align	6, 0x0
	.amdhsa_kernel _ZN2at6native32elementwise_kernel_manual_unrollILi128ELi4EZNS0_15gpu_kernel_implINS0_13AUnaryFunctorIN3c1015Float8_e5m2fnuzES5_bNS0_12_GLOBAL__N_116CompareEqFunctorIS5_EEEEEEvRNS_18TensorIteratorBaseERKT_EUlibE_EEviT1_
		.amdhsa_group_segment_fixed_size 0
		.amdhsa_private_segment_fixed_size 0
		.amdhsa_kernarg_size 48
		.amdhsa_user_sgpr_count 2
		.amdhsa_user_sgpr_dispatch_ptr 0
		.amdhsa_user_sgpr_queue_ptr 0
		.amdhsa_user_sgpr_kernarg_segment_ptr 1
		.amdhsa_user_sgpr_dispatch_id 0
		.amdhsa_user_sgpr_kernarg_preload_length 0
		.amdhsa_user_sgpr_kernarg_preload_offset 0
		.amdhsa_user_sgpr_private_segment_size 0
		.amdhsa_wavefront_size32 1
		.amdhsa_uses_dynamic_stack 0
		.amdhsa_enable_private_segment 0
		.amdhsa_system_sgpr_workgroup_id_x 1
		.amdhsa_system_sgpr_workgroup_id_y 0
		.amdhsa_system_sgpr_workgroup_id_z 0
		.amdhsa_system_sgpr_workgroup_info 0
		.amdhsa_system_vgpr_workitem_id 0
		.amdhsa_next_free_vgpr 14
		.amdhsa_next_free_sgpr 35
		.amdhsa_named_barrier_count 0
		.amdhsa_reserve_vcc 1
		.amdhsa_float_round_mode_32 0
		.amdhsa_float_round_mode_16_64 0
		.amdhsa_float_denorm_mode_32 3
		.amdhsa_float_denorm_mode_16_64 3
		.amdhsa_fp16_overflow 0
		.amdhsa_memory_ordered 1
		.amdhsa_forward_progress 1
		.amdhsa_inst_pref_size 141
		.amdhsa_round_robin_scheduling 0
		.amdhsa_exception_fp_ieee_invalid_op 0
		.amdhsa_exception_fp_denorm_src 0
		.amdhsa_exception_fp_ieee_div_zero 0
		.amdhsa_exception_fp_ieee_overflow 0
		.amdhsa_exception_fp_ieee_underflow 0
		.amdhsa_exception_fp_ieee_inexact 0
		.amdhsa_exception_int_div_zero 0
	.end_amdhsa_kernel
	.section	.text._ZN2at6native32elementwise_kernel_manual_unrollILi128ELi4EZNS0_15gpu_kernel_implINS0_13AUnaryFunctorIN3c1015Float8_e5m2fnuzES5_bNS0_12_GLOBAL__N_116CompareEqFunctorIS5_EEEEEEvRNS_18TensorIteratorBaseERKT_EUlibE_EEviT1_,"axG",@progbits,_ZN2at6native32elementwise_kernel_manual_unrollILi128ELi4EZNS0_15gpu_kernel_implINS0_13AUnaryFunctorIN3c1015Float8_e5m2fnuzES5_bNS0_12_GLOBAL__N_116CompareEqFunctorIS5_EEEEEEvRNS_18TensorIteratorBaseERKT_EUlibE_EEviT1_,comdat
.Lfunc_end263:
	.size	_ZN2at6native32elementwise_kernel_manual_unrollILi128ELi4EZNS0_15gpu_kernel_implINS0_13AUnaryFunctorIN3c1015Float8_e5m2fnuzES5_bNS0_12_GLOBAL__N_116CompareEqFunctorIS5_EEEEEEvRNS_18TensorIteratorBaseERKT_EUlibE_EEviT1_, .Lfunc_end263-_ZN2at6native32elementwise_kernel_manual_unrollILi128ELi4EZNS0_15gpu_kernel_implINS0_13AUnaryFunctorIN3c1015Float8_e5m2fnuzES5_bNS0_12_GLOBAL__N_116CompareEqFunctorIS5_EEEEEEvRNS_18TensorIteratorBaseERKT_EUlibE_EEviT1_
                                        ; -- End function
	.set _ZN2at6native32elementwise_kernel_manual_unrollILi128ELi4EZNS0_15gpu_kernel_implINS0_13AUnaryFunctorIN3c1015Float8_e5m2fnuzES5_bNS0_12_GLOBAL__N_116CompareEqFunctorIS5_EEEEEEvRNS_18TensorIteratorBaseERKT_EUlibE_EEviT1_.num_vgpr, max(14, .L_ZN2at6native6invokeINS0_13AUnaryFunctorIN3c1015Float8_e5m2fnuzES4_bNS0_12_GLOBAL__N_116CompareEqFunctorIS4_EEEEi15function_traitsIS8_EEENT1_11result_typeERKT_PrKPcPKT0_PKNS3_10ScalarTypeEi.num_vgpr)
	.set _ZN2at6native32elementwise_kernel_manual_unrollILi128ELi4EZNS0_15gpu_kernel_implINS0_13AUnaryFunctorIN3c1015Float8_e5m2fnuzES5_bNS0_12_GLOBAL__N_116CompareEqFunctorIS5_EEEEEEvRNS_18TensorIteratorBaseERKT_EUlibE_EEviT1_.num_agpr, max(0, .L_ZN2at6native6invokeINS0_13AUnaryFunctorIN3c1015Float8_e5m2fnuzES4_bNS0_12_GLOBAL__N_116CompareEqFunctorIS4_EEEEi15function_traitsIS8_EEENT1_11result_typeERKT_PrKPcPKT0_PKNS3_10ScalarTypeEi.num_agpr)
	.set _ZN2at6native32elementwise_kernel_manual_unrollILi128ELi4EZNS0_15gpu_kernel_implINS0_13AUnaryFunctorIN3c1015Float8_e5m2fnuzES5_bNS0_12_GLOBAL__N_116CompareEqFunctorIS5_EEEEEEvRNS_18TensorIteratorBaseERKT_EUlibE_EEviT1_.numbered_sgpr, max(35, .L_ZN2at6native6invokeINS0_13AUnaryFunctorIN3c1015Float8_e5m2fnuzES4_bNS0_12_GLOBAL__N_116CompareEqFunctorIS4_EEEEi15function_traitsIS8_EEENT1_11result_typeERKT_PrKPcPKT0_PKNS3_10ScalarTypeEi.numbered_sgpr)
	.set _ZN2at6native32elementwise_kernel_manual_unrollILi128ELi4EZNS0_15gpu_kernel_implINS0_13AUnaryFunctorIN3c1015Float8_e5m2fnuzES5_bNS0_12_GLOBAL__N_116CompareEqFunctorIS5_EEEEEEvRNS_18TensorIteratorBaseERKT_EUlibE_EEviT1_.num_named_barrier, max(0, .L_ZN2at6native6invokeINS0_13AUnaryFunctorIN3c1015Float8_e5m2fnuzES4_bNS0_12_GLOBAL__N_116CompareEqFunctorIS4_EEEEi15function_traitsIS8_EEENT1_11result_typeERKT_PrKPcPKT0_PKNS3_10ScalarTypeEi.num_named_barrier)
	.set _ZN2at6native32elementwise_kernel_manual_unrollILi128ELi4EZNS0_15gpu_kernel_implINS0_13AUnaryFunctorIN3c1015Float8_e5m2fnuzES5_bNS0_12_GLOBAL__N_116CompareEqFunctorIS5_EEEEEEvRNS_18TensorIteratorBaseERKT_EUlibE_EEviT1_.private_seg_size, 0+max(.L_ZN2at6native6invokeINS0_13AUnaryFunctorIN3c1015Float8_e5m2fnuzES4_bNS0_12_GLOBAL__N_116CompareEqFunctorIS4_EEEEi15function_traitsIS8_EEENT1_11result_typeERKT_PrKPcPKT0_PKNS3_10ScalarTypeEi.private_seg_size)
	.set _ZN2at6native32elementwise_kernel_manual_unrollILi128ELi4EZNS0_15gpu_kernel_implINS0_13AUnaryFunctorIN3c1015Float8_e5m2fnuzES5_bNS0_12_GLOBAL__N_116CompareEqFunctorIS5_EEEEEEvRNS_18TensorIteratorBaseERKT_EUlibE_EEviT1_.uses_vcc, or(1, .L_ZN2at6native6invokeINS0_13AUnaryFunctorIN3c1015Float8_e5m2fnuzES4_bNS0_12_GLOBAL__N_116CompareEqFunctorIS4_EEEEi15function_traitsIS8_EEENT1_11result_typeERKT_PrKPcPKT0_PKNS3_10ScalarTypeEi.uses_vcc)
	.set _ZN2at6native32elementwise_kernel_manual_unrollILi128ELi4EZNS0_15gpu_kernel_implINS0_13AUnaryFunctorIN3c1015Float8_e5m2fnuzES5_bNS0_12_GLOBAL__N_116CompareEqFunctorIS5_EEEEEEvRNS_18TensorIteratorBaseERKT_EUlibE_EEviT1_.uses_flat_scratch, or(0, .L_ZN2at6native6invokeINS0_13AUnaryFunctorIN3c1015Float8_e5m2fnuzES4_bNS0_12_GLOBAL__N_116CompareEqFunctorIS4_EEEEi15function_traitsIS8_EEENT1_11result_typeERKT_PrKPcPKT0_PKNS3_10ScalarTypeEi.uses_flat_scratch)
	.set _ZN2at6native32elementwise_kernel_manual_unrollILi128ELi4EZNS0_15gpu_kernel_implINS0_13AUnaryFunctorIN3c1015Float8_e5m2fnuzES5_bNS0_12_GLOBAL__N_116CompareEqFunctorIS5_EEEEEEvRNS_18TensorIteratorBaseERKT_EUlibE_EEviT1_.has_dyn_sized_stack, or(0, .L_ZN2at6native6invokeINS0_13AUnaryFunctorIN3c1015Float8_e5m2fnuzES4_bNS0_12_GLOBAL__N_116CompareEqFunctorIS4_EEEEi15function_traitsIS8_EEENT1_11result_typeERKT_PrKPcPKT0_PKNS3_10ScalarTypeEi.has_dyn_sized_stack)
	.set _ZN2at6native32elementwise_kernel_manual_unrollILi128ELi4EZNS0_15gpu_kernel_implINS0_13AUnaryFunctorIN3c1015Float8_e5m2fnuzES5_bNS0_12_GLOBAL__N_116CompareEqFunctorIS5_EEEEEEvRNS_18TensorIteratorBaseERKT_EUlibE_EEviT1_.has_recursion, or(0, .L_ZN2at6native6invokeINS0_13AUnaryFunctorIN3c1015Float8_e5m2fnuzES4_bNS0_12_GLOBAL__N_116CompareEqFunctorIS4_EEEEi15function_traitsIS8_EEENT1_11result_typeERKT_PrKPcPKT0_PKNS3_10ScalarTypeEi.has_recursion)
	.set _ZN2at6native32elementwise_kernel_manual_unrollILi128ELi4EZNS0_15gpu_kernel_implINS0_13AUnaryFunctorIN3c1015Float8_e5m2fnuzES5_bNS0_12_GLOBAL__N_116CompareEqFunctorIS5_EEEEEEvRNS_18TensorIteratorBaseERKT_EUlibE_EEviT1_.has_indirect_call, or(0, .L_ZN2at6native6invokeINS0_13AUnaryFunctorIN3c1015Float8_e5m2fnuzES4_bNS0_12_GLOBAL__N_116CompareEqFunctorIS4_EEEEi15function_traitsIS8_EEENT1_11result_typeERKT_PrKPcPKT0_PKNS3_10ScalarTypeEi.has_indirect_call)
	.section	.AMDGPU.csdata,"",@progbits
; Kernel info:
; codeLenInByte = 17928
; TotalNumSgprs: 37
; NumVgprs: 14
; ScratchSize: 0
; MemoryBound: 0
; FloatMode: 240
; IeeeMode: 1
; LDSByteSize: 0 bytes/workgroup (compile time only)
; SGPRBlocks: 0
; VGPRBlocks: 0
; NumSGPRsForWavesPerEU: 37
; NumVGPRsForWavesPerEU: 14
; NamedBarCnt: 0
; Occupancy: 16
; WaveLimiterHint : 0
; COMPUTE_PGM_RSRC2:SCRATCH_EN: 0
; COMPUTE_PGM_RSRC2:USER_SGPR: 2
; COMPUTE_PGM_RSRC2:TRAP_HANDLER: 0
; COMPUTE_PGM_RSRC2:TGID_X_EN: 1
; COMPUTE_PGM_RSRC2:TGID_Y_EN: 0
; COMPUTE_PGM_RSRC2:TGID_Z_EN: 0
; COMPUTE_PGM_RSRC2:TIDIG_COMP_CNT: 0
	.text
	.p2align	2                               ; -- Begin function _ZN2at6native6invokeINS0_13AUnaryFunctorIN3c1015Float8_e5m2fnuzES4_bNS0_12_GLOBAL__N_116CompareEqFunctorIS4_EEEEj15function_traitsIS8_EEENT1_11result_typeERKT_PrKPcPKT0_PKNS3_10ScalarTypeEi
	.type	_ZN2at6native6invokeINS0_13AUnaryFunctorIN3c1015Float8_e5m2fnuzES4_bNS0_12_GLOBAL__N_116CompareEqFunctorIS4_EEEEj15function_traitsIS8_EEENT1_11result_typeERKT_PrKPcPKT0_PKNS3_10ScalarTypeEi,@function
_ZN2at6native6invokeINS0_13AUnaryFunctorIN3c1015Float8_e5m2fnuzES4_bNS0_12_GLOBAL__N_116CompareEqFunctorIS4_EEEEj15function_traitsIS8_EEENT1_11result_typeERKT_PrKPcPKT0_PKNS3_10ScalarTypeEi: ; @_ZN2at6native6invokeINS0_13AUnaryFunctorIN3c1015Float8_e5m2fnuzES4_bNS0_12_GLOBAL__N_116CompareEqFunctorIS4_EEEEj15function_traitsIS8_EEENT1_11result_typeERKT_PrKPcPKT0_PKNS3_10ScalarTypeEi
; %bb.0:
	s_wait_loadcnt_dscnt 0x0
	s_wait_kmcnt 0x0
	v_dual_mov_b32 v6, v5 :: v_dual_mov_b32 v5, 0
	s_mov_b32 s1, 0
	s_mov_b32 s0, exec_lo
	s_delay_alu instid0(VALU_DEP_1) | instskip(NEXT) | instid1(VALU_DEP_2)
	v_and_b32_e32 v6, 0xff, v6
	v_add_nc_u64_e32 v[2:3], v[2:3], v[4:5]
                                        ; implicit-def: $vgpr4
	s_delay_alu instid0(VALU_DEP_2)
	v_cmpx_lt_i16_e32 10, v6
	s_xor_b32 s0, exec_lo, s0
	s_cbranch_execnz .LBB264_4
; %bb.1:
	s_and_not1_saveexec_b32 s0, s0
	s_cbranch_execnz .LBB264_16
.LBB264_2:
	s_or_b32 exec_lo, exec_lo, s0
                                        ; implicit-def: $sgpr2
	s_and_saveexec_b32 s0, s1
	s_cbranch_execnz .LBB264_123
.LBB264_3:
	s_or_b32 exec_lo, exec_lo, s0
	s_delay_alu instid0(VALU_DEP_1)
	v_cndmask_b32_e64 v0, 0, 1, s2
	s_wait_loadcnt_dscnt 0x0
	s_set_pc_i64 s[30:31]
.LBB264_4:
	s_mov_b32 s4, 0
	s_mov_b32 s3, 0
	s_mov_b32 s2, exec_lo
                                        ; implicit-def: $vgpr4
	v_cmpx_lt_i16_e32 25, v6
	s_xor_b32 s2, exec_lo, s2
	s_cbranch_execnz .LBB264_143
; %bb.5:
	s_and_not1_saveexec_b32 s2, s2
	s_cbranch_execnz .LBB264_210
.LBB264_6:
	s_or_b32 exec_lo, exec_lo, s2
	s_and_saveexec_b32 s2, s4
	s_cbranch_execnz .LBB264_247
.LBB264_7:
	s_or_b32 exec_lo, exec_lo, s2
	s_and_saveexec_b32 s2, s1
	s_delay_alu instid0(SALU_CYCLE_1)
	s_xor_b32 s1, exec_lo, s2
	s_cbranch_execz .LBB264_15
.LBB264_8:
	flat_load_u8 v2, v[2:3]
	s_wait_loadcnt_dscnt 0x101
	v_mov_b32_e32 v4, 0x80
	s_mov_b32 s4, 0
	s_mov_b32 s2, exec_lo
	s_wait_loadcnt_dscnt 0x0
	v_cmp_ne_u16_e32 vcc_lo, 0, v2
	s_wait_xcnt 0x0
	v_cndmask_b32_e64 v3, 0, 1.0, vcc_lo
	s_delay_alu instid0(VALU_DEP_1)
	v_cmpx_gt_u32_e32 0x47800000, v3
	s_cbranch_execz .LBB264_14
; %bb.9:
	s_mov_b32 s5, exec_lo
                                        ; implicit-def: $vgpr2
	v_cmpx_lt_u32_e32 0x37ffffff, v3
	s_xor_b32 s5, exec_lo, s5
	s_cbranch_execnz .LBB264_264
; %bb.10:
	s_and_not1_saveexec_b32 s5, s5
	s_cbranch_execnz .LBB264_265
.LBB264_11:
	s_or_b32 exec_lo, exec_lo, s5
	v_mov_b32_e32 v4, 0
	s_and_saveexec_b32 s5, s4
.LBB264_12:
	v_mov_b32_e32 v4, v2
.LBB264_13:
	s_or_b32 exec_lo, exec_lo, s5
.LBB264_14:
	s_delay_alu instid0(SALU_CYCLE_1) | instskip(NEXT) | instid1(SALU_CYCLE_1)
	s_or_b32 exec_lo, exec_lo, s2
	s_or_b32 s3, s3, exec_lo
.LBB264_15:
	s_or_b32 exec_lo, exec_lo, s1
	s_delay_alu instid0(SALU_CYCLE_1)
	s_and_b32 s1, s3, exec_lo
                                        ; implicit-def: $vgpr6
                                        ; implicit-def: $vgpr2_vgpr3
	s_and_not1_saveexec_b32 s0, s0
	s_cbranch_execz .LBB264_2
.LBB264_16:
	s_mov_b32 s2, exec_lo
                                        ; implicit-def: $vgpr4
	v_cmpx_lt_i16_e32 4, v6
	s_xor_b32 s2, exec_lo, s2
	s_cbranch_execz .LBB264_74
; %bb.17:
	s_mov_b32 s3, exec_lo
                                        ; implicit-def: $vgpr4
	v_cmpx_lt_i16_e32 7, v6
	s_xor_b32 s3, exec_lo, s3
	s_cbranch_execz .LBB264_45
; %bb.18:
	;; [unrolled: 6-line block ×4, first 2 shown]
	flat_load_b64 v[2:3], v[2:3]
	s_wait_loadcnt_dscnt 0x101
	v_mov_b32_e32 v4, 0x80
	s_mov_b32 s6, exec_lo
	s_wait_loadcnt_dscnt 0x0
	v_cvt_f32_f64_e32 v2, v[2:3]
	s_delay_alu instid0(VALU_DEP_1) | instskip(NEXT) | instid1(VALU_DEP_1)
	v_and_b32_e32 v3, 0x7fffffff, v2
	v_cmpx_gt_u32_e32 0x47800000, v3
	s_cbranch_execz .LBB264_26
; %bb.21:
	v_cmp_lt_u32_e32 vcc_lo, 0x37ffffff, v3
	s_mov_b32 s7, 0
                                        ; implicit-def: $vgpr3
	s_and_saveexec_b32 s8, vcc_lo
	s_delay_alu instid0(SALU_CYCLE_1)
	s_xor_b32 s8, exec_lo, s8
	s_cbranch_execnz .LBB264_284
; %bb.22:
	s_and_not1_saveexec_b32 s8, s8
	s_cbranch_execnz .LBB264_285
.LBB264_23:
	s_or_b32 exec_lo, exec_lo, s8
	v_mov_b32_e32 v4, 0
	s_and_saveexec_b32 s8, s7
.LBB264_24:
	v_lshrrev_b32_e32 v2, 24, v2
	s_delay_alu instid0(VALU_DEP_1)
	v_and_or_b32 v4, 0x80, v2, v3
.LBB264_25:
	s_or_b32 exec_lo, exec_lo, s8
.LBB264_26:
	s_delay_alu instid0(SALU_CYCLE_1)
	s_or_b32 exec_lo, exec_lo, s6
                                        ; implicit-def: $vgpr2_vgpr3
.LBB264_27:
	s_and_not1_saveexec_b32 s5, s5
	s_cbranch_execz .LBB264_35
; %bb.28:
	flat_load_b32 v2, v[2:3]
	s_wait_loadcnt_dscnt 0x101
	v_mov_b32_e32 v4, 0x80
	s_mov_b32 s6, exec_lo
	s_wait_loadcnt_dscnt 0x0
	v_and_b32_e32 v3, 0x7fffffff, v2
	s_delay_alu instid0(VALU_DEP_1)
	v_cmpx_gt_u32_e32 0x47800000, v3
	s_cbranch_execz .LBB264_34
; %bb.29:
	v_cmp_lt_u32_e32 vcc_lo, 0x37ffffff, v3
	s_mov_b32 s7, 0
                                        ; implicit-def: $vgpr3
	s_and_saveexec_b32 s8, vcc_lo
	s_delay_alu instid0(SALU_CYCLE_1)
	s_xor_b32 s8, exec_lo, s8
	s_cbranch_execnz .LBB264_286
; %bb.30:
	s_and_not1_saveexec_b32 s8, s8
	s_cbranch_execnz .LBB264_287
.LBB264_31:
	s_or_b32 exec_lo, exec_lo, s8
	v_mov_b32_e32 v4, 0
	s_and_saveexec_b32 s8, s7
.LBB264_32:
	v_lshrrev_b32_e32 v2, 24, v2
	s_delay_alu instid0(VALU_DEP_1)
	v_and_or_b32 v4, 0x80, v2, v3
.LBB264_33:
	s_or_b32 exec_lo, exec_lo, s8
.LBB264_34:
	s_delay_alu instid0(SALU_CYCLE_1)
	s_or_b32 exec_lo, exec_lo, s6
.LBB264_35:
	s_delay_alu instid0(SALU_CYCLE_1)
	s_or_b32 exec_lo, exec_lo, s5
                                        ; implicit-def: $vgpr2_vgpr3
.LBB264_36:
	s_and_not1_saveexec_b32 s4, s4
	s_cbranch_execz .LBB264_44
; %bb.37:
	flat_load_b32 v2, v[2:3]
	s_wait_loadcnt_dscnt 0x101
	v_mov_b32_e32 v4, 0x80
	s_mov_b32 s5, exec_lo
	s_wait_loadcnt_dscnt 0x0
	v_cvt_f32_f16_e32 v2, v2
	s_delay_alu instid0(VALU_DEP_1) | instskip(NEXT) | instid1(VALU_DEP_1)
	v_and_b32_e32 v3, 0x7fffffff, v2
	v_cmpx_gt_u32_e32 0x47800000, v3
	s_cbranch_execz .LBB264_43
; %bb.38:
	v_cmp_lt_u32_e32 vcc_lo, 0x37ffffff, v3
	s_mov_b32 s6, 0
                                        ; implicit-def: $vgpr3
	s_and_saveexec_b32 s7, vcc_lo
	s_delay_alu instid0(SALU_CYCLE_1)
	s_xor_b32 s7, exec_lo, s7
	s_cbranch_execnz .LBB264_270
; %bb.39:
	s_and_not1_saveexec_b32 s7, s7
	s_cbranch_execnz .LBB264_271
.LBB264_40:
	s_or_b32 exec_lo, exec_lo, s7
	v_mov_b32_e32 v4, 0
	s_and_saveexec_b32 s7, s6
.LBB264_41:
	v_lshrrev_b32_e32 v2, 24, v2
	s_delay_alu instid0(VALU_DEP_1)
	v_and_or_b32 v4, 0x80, v2, v3
.LBB264_42:
	s_or_b32 exec_lo, exec_lo, s7
.LBB264_43:
	s_delay_alu instid0(SALU_CYCLE_1)
	s_or_b32 exec_lo, exec_lo, s5
.LBB264_44:
	s_delay_alu instid0(SALU_CYCLE_1)
	s_or_b32 exec_lo, exec_lo, s4
                                        ; implicit-def: $vgpr6
                                        ; implicit-def: $vgpr2_vgpr3
.LBB264_45:
	s_and_not1_saveexec_b32 s3, s3
	s_cbranch_execz .LBB264_73
; %bb.46:
	s_mov_b32 s4, exec_lo
                                        ; implicit-def: $vgpr4
	v_cmpx_lt_i16_e32 5, v6
	s_xor_b32 s4, exec_lo, s4
	s_cbranch_execz .LBB264_64
; %bb.47:
	s_mov_b32 s5, exec_lo
                                        ; implicit-def: $vgpr4
	v_cmpx_lt_i16_e32 6, v6
	s_xor_b32 s5, exec_lo, s5
	s_cbranch_execz .LBB264_55
; %bb.48:
	flat_load_b64 v[2:3], v[2:3]
	s_wait_loadcnt_dscnt 0x101
	v_mov_b32_e32 v4, 0x80
	s_mov_b32 s6, exec_lo
	s_wait_loadcnt_dscnt 0x0
	v_cvt_f32_f64_e32 v2, v[2:3]
	s_delay_alu instid0(VALU_DEP_1) | instskip(NEXT) | instid1(VALU_DEP_1)
	v_and_b32_e32 v3, 0x7fffffff, v2
	v_cmpx_gt_u32_e32 0x47800000, v3
	s_cbranch_execz .LBB264_54
; %bb.49:
	v_cmp_lt_u32_e32 vcc_lo, 0x37ffffff, v3
	s_mov_b32 s7, 0
                                        ; implicit-def: $vgpr3
	s_and_saveexec_b32 s8, vcc_lo
	s_delay_alu instid0(SALU_CYCLE_1)
	s_xor_b32 s8, exec_lo, s8
	s_cbranch_execnz .LBB264_288
; %bb.50:
	s_and_not1_saveexec_b32 s8, s8
	s_cbranch_execnz .LBB264_289
.LBB264_51:
	s_or_b32 exec_lo, exec_lo, s8
	v_mov_b32_e32 v4, 0
	s_and_saveexec_b32 s8, s7
.LBB264_52:
	v_lshrrev_b32_e32 v2, 24, v2
	s_delay_alu instid0(VALU_DEP_1)
	v_and_or_b32 v4, 0x80, v2, v3
.LBB264_53:
	s_or_b32 exec_lo, exec_lo, s8
.LBB264_54:
	s_delay_alu instid0(SALU_CYCLE_1)
	s_or_b32 exec_lo, exec_lo, s6
                                        ; implicit-def: $vgpr2_vgpr3
.LBB264_55:
	s_and_not1_saveexec_b32 s5, s5
	s_cbranch_execz .LBB264_63
; %bb.56:
	flat_load_b32 v2, v[2:3]
	s_wait_loadcnt_dscnt 0x101
	v_mov_b32_e32 v4, 0x80
	s_mov_b32 s6, exec_lo
	s_wait_loadcnt_dscnt 0x0
	v_and_b32_e32 v3, 0x7fffffff, v2
	s_delay_alu instid0(VALU_DEP_1)
	v_cmpx_gt_u32_e32 0x47800000, v3
	s_cbranch_execz .LBB264_62
; %bb.57:
	v_cmp_lt_u32_e32 vcc_lo, 0x37ffffff, v3
	s_mov_b32 s7, 0
                                        ; implicit-def: $vgpr3
	s_and_saveexec_b32 s8, vcc_lo
	s_delay_alu instid0(SALU_CYCLE_1)
	s_xor_b32 s8, exec_lo, s8
	s_cbranch_execnz .LBB264_290
; %bb.58:
	s_and_not1_saveexec_b32 s8, s8
	s_cbranch_execnz .LBB264_291
.LBB264_59:
	s_or_b32 exec_lo, exec_lo, s8
	v_mov_b32_e32 v4, 0
	s_and_saveexec_b32 s8, s7
.LBB264_60:
	v_lshrrev_b32_e32 v2, 24, v2
	s_delay_alu instid0(VALU_DEP_1)
	v_and_or_b32 v4, 0x80, v2, v3
.LBB264_61:
	s_or_b32 exec_lo, exec_lo, s8
.LBB264_62:
	s_delay_alu instid0(SALU_CYCLE_1)
	s_or_b32 exec_lo, exec_lo, s6
.LBB264_63:
	s_delay_alu instid0(SALU_CYCLE_1)
	s_or_b32 exec_lo, exec_lo, s5
                                        ; implicit-def: $vgpr2_vgpr3
.LBB264_64:
	s_and_not1_saveexec_b32 s4, s4
	s_cbranch_execz .LBB264_72
; %bb.65:
	flat_load_u16 v2, v[2:3]
	s_wait_loadcnt_dscnt 0x101
	v_mov_b32_e32 v4, 0x80
	s_mov_b32 s5, exec_lo
	s_wait_loadcnt_dscnt 0x0
	v_cvt_f32_f16_e32 v2, v2
	s_delay_alu instid0(VALU_DEP_1) | instskip(NEXT) | instid1(VALU_DEP_1)
	v_and_b32_e32 v3, 0x7fffffff, v2
	v_cmpx_gt_u32_e32 0x47800000, v3
	s_cbranch_execz .LBB264_71
; %bb.66:
	v_cmp_lt_u32_e32 vcc_lo, 0x37ffffff, v3
	s_mov_b32 s6, 0
                                        ; implicit-def: $vgpr3
	s_and_saveexec_b32 s7, vcc_lo
	s_delay_alu instid0(SALU_CYCLE_1)
	s_xor_b32 s7, exec_lo, s7
	s_cbranch_execnz .LBB264_272
; %bb.67:
	s_and_not1_saveexec_b32 s7, s7
	s_cbranch_execnz .LBB264_273
.LBB264_68:
	s_or_b32 exec_lo, exec_lo, s7
	v_mov_b32_e32 v4, 0
	s_and_saveexec_b32 s7, s6
.LBB264_69:
	v_lshrrev_b32_e32 v2, 24, v2
	s_delay_alu instid0(VALU_DEP_1)
	v_and_or_b32 v4, 0x80, v2, v3
.LBB264_70:
	s_or_b32 exec_lo, exec_lo, s7
.LBB264_71:
	s_delay_alu instid0(SALU_CYCLE_1)
	s_or_b32 exec_lo, exec_lo, s5
.LBB264_72:
	s_delay_alu instid0(SALU_CYCLE_1)
	s_or_b32 exec_lo, exec_lo, s4
.LBB264_73:
	s_delay_alu instid0(SALU_CYCLE_1)
	s_or_b32 exec_lo, exec_lo, s3
                                        ; implicit-def: $vgpr6
                                        ; implicit-def: $vgpr2_vgpr3
.LBB264_74:
	s_and_not1_saveexec_b32 s2, s2
	s_cbranch_execz .LBB264_122
; %bb.75:
	s_mov_b32 s3, exec_lo
                                        ; implicit-def: $vgpr4
	v_cmpx_lt_i16_e32 1, v6
	s_xor_b32 s3, exec_lo, s3
	s_cbranch_execz .LBB264_103
; %bb.76:
	s_mov_b32 s4, exec_lo
                                        ; implicit-def: $vgpr4
	v_cmpx_lt_i16_e32 2, v6
	s_xor_b32 s4, exec_lo, s4
	;; [unrolled: 6-line block ×3, first 2 shown]
	s_cbranch_execz .LBB264_85
; %bb.78:
	flat_load_b64 v[2:3], v[2:3]
	s_mov_b32 s6, exec_lo
	s_wait_loadcnt_dscnt 0x0
	v_xor_b32_e32 v4, v2, v3
	v_cls_i32_e32 v5, v3
	s_delay_alu instid0(VALU_DEP_2) | instskip(NEXT) | instid1(VALU_DEP_1)
	v_ashrrev_i32_e32 v4, 31, v4
	v_add_nc_u32_e32 v4, 32, v4
	s_delay_alu instid0(VALU_DEP_1) | instskip(SKIP_1) | instid1(VALU_DEP_1)
	v_add_min_u32_e64 v4, v5, -1, v4
	s_wait_xcnt 0x0
	v_lshlrev_b64_e32 v[2:3], v4, v[2:3]
	s_delay_alu instid0(VALU_DEP_1) | instskip(NEXT) | instid1(VALU_DEP_1)
	v_min_u32_e32 v2, 1, v2
	v_dual_sub_nc_u32 v3, 32, v4 :: v_dual_bitop2_b32 v2, v3, v2 bitop3:0x54
	v_mov_b32_e32 v4, 0x80
	s_delay_alu instid0(VALU_DEP_2) | instskip(NEXT) | instid1(VALU_DEP_1)
	v_cvt_f32_i32_e32 v2, v2
	v_ldexp_f32 v2, v2, v3
	s_delay_alu instid0(VALU_DEP_1) | instskip(NEXT) | instid1(VALU_DEP_1)
	v_and_b32_e32 v3, 0x7fffffff, v2
	v_cmpx_gt_u32_e32 0x47800000, v3
	s_cbranch_execz .LBB264_84
; %bb.79:
	v_cmp_lt_u32_e32 vcc_lo, 0x37ffffff, v3
	s_mov_b32 s7, 0
                                        ; implicit-def: $vgpr3
	s_and_saveexec_b32 s8, vcc_lo
	s_delay_alu instid0(SALU_CYCLE_1)
	s_xor_b32 s8, exec_lo, s8
	s_cbranch_execnz .LBB264_292
; %bb.80:
	s_and_not1_saveexec_b32 s8, s8
	s_cbranch_execnz .LBB264_293
.LBB264_81:
	s_or_b32 exec_lo, exec_lo, s8
	v_mov_b32_e32 v4, 0
	s_and_saveexec_b32 s8, s7
.LBB264_82:
	v_lshrrev_b32_e32 v2, 24, v2
	s_delay_alu instid0(VALU_DEP_1)
	v_and_or_b32 v4, 0x80, v2, v3
.LBB264_83:
	s_or_b32 exec_lo, exec_lo, s8
.LBB264_84:
	s_delay_alu instid0(SALU_CYCLE_1)
	s_or_b32 exec_lo, exec_lo, s6
                                        ; implicit-def: $vgpr2_vgpr3
.LBB264_85:
	s_and_not1_saveexec_b32 s5, s5
	s_cbranch_execz .LBB264_93
; %bb.86:
	flat_load_b32 v2, v[2:3]
	s_wait_loadcnt_dscnt 0x101
	v_mov_b32_e32 v4, 0x80
	s_mov_b32 s6, exec_lo
	s_wait_loadcnt_dscnt 0x0
	v_cvt_f32_i32_e32 v2, v2
	s_delay_alu instid0(VALU_DEP_1) | instskip(NEXT) | instid1(VALU_DEP_1)
	v_and_b32_e32 v3, 0x7fffffff, v2
	v_cmpx_gt_u32_e32 0x47800000, v3
	s_cbranch_execz .LBB264_92
; %bb.87:
	v_cmp_lt_u32_e32 vcc_lo, 0x37ffffff, v3
	s_mov_b32 s7, 0
                                        ; implicit-def: $vgpr3
	s_and_saveexec_b32 s8, vcc_lo
	s_delay_alu instid0(SALU_CYCLE_1)
	s_xor_b32 s8, exec_lo, s8
	s_cbranch_execnz .LBB264_294
; %bb.88:
	s_and_not1_saveexec_b32 s8, s8
	s_cbranch_execnz .LBB264_295
.LBB264_89:
	s_or_b32 exec_lo, exec_lo, s8
	v_mov_b32_e32 v4, 0
	s_and_saveexec_b32 s8, s7
.LBB264_90:
	v_lshrrev_b32_e32 v2, 24, v2
	s_delay_alu instid0(VALU_DEP_1)
	v_and_or_b32 v4, 0x80, v2, v3
.LBB264_91:
	s_or_b32 exec_lo, exec_lo, s8
.LBB264_92:
	s_delay_alu instid0(SALU_CYCLE_1)
	s_or_b32 exec_lo, exec_lo, s6
.LBB264_93:
	s_delay_alu instid0(SALU_CYCLE_1)
	s_or_b32 exec_lo, exec_lo, s5
                                        ; implicit-def: $vgpr2_vgpr3
.LBB264_94:
	s_and_not1_saveexec_b32 s4, s4
	s_cbranch_execz .LBB264_102
; %bb.95:
	flat_load_i16 v2, v[2:3]
	s_wait_loadcnt_dscnt 0x101
	v_mov_b32_e32 v4, 0x80
	s_mov_b32 s5, exec_lo
	s_wait_loadcnt_dscnt 0x0
	v_cvt_f32_i32_e32 v2, v2
	s_delay_alu instid0(VALU_DEP_1) | instskip(NEXT) | instid1(VALU_DEP_1)
	v_and_b32_e32 v3, 0x7fffffff, v2
	v_cmpx_gt_u32_e32 0x47800000, v3
	s_cbranch_execz .LBB264_101
; %bb.96:
	v_cmp_lt_u32_e32 vcc_lo, 0x37ffffff, v3
	s_mov_b32 s6, 0
                                        ; implicit-def: $vgpr3
	s_and_saveexec_b32 s7, vcc_lo
	s_delay_alu instid0(SALU_CYCLE_1)
	s_xor_b32 s7, exec_lo, s7
	s_cbranch_execnz .LBB264_274
; %bb.97:
	s_and_not1_saveexec_b32 s7, s7
	s_cbranch_execnz .LBB264_275
.LBB264_98:
	s_or_b32 exec_lo, exec_lo, s7
	v_mov_b32_e32 v4, 0
	s_and_saveexec_b32 s7, s6
.LBB264_99:
	v_lshrrev_b32_e32 v2, 24, v2
	s_delay_alu instid0(VALU_DEP_1)
	v_and_or_b32 v4, 0x80, v2, v3
.LBB264_100:
	s_or_b32 exec_lo, exec_lo, s7
.LBB264_101:
	s_delay_alu instid0(SALU_CYCLE_1)
	s_or_b32 exec_lo, exec_lo, s5
.LBB264_102:
	s_delay_alu instid0(SALU_CYCLE_1)
	s_or_b32 exec_lo, exec_lo, s4
                                        ; implicit-def: $vgpr6
                                        ; implicit-def: $vgpr2_vgpr3
.LBB264_103:
	s_and_not1_saveexec_b32 s3, s3
	s_cbranch_execz .LBB264_121
; %bb.104:
	s_mov_b32 s4, exec_lo
                                        ; implicit-def: $vgpr4
	v_cmpx_lt_i16_e32 0, v6
	s_xor_b32 s4, exec_lo, s4
	s_cbranch_execz .LBB264_112
; %bb.105:
	flat_load_i8 v2, v[2:3]
	s_wait_loadcnt_dscnt 0x101
	v_mov_b32_e32 v4, 0x80
	s_mov_b32 s5, exec_lo
	s_wait_loadcnt_dscnt 0x0
	v_cvt_f32_i32_e32 v2, v2
	s_delay_alu instid0(VALU_DEP_1) | instskip(NEXT) | instid1(VALU_DEP_1)
	v_and_b32_e32 v3, 0x7fffffff, v2
	v_cmpx_gt_u32_e32 0x47800000, v3
	s_cbranch_execz .LBB264_111
; %bb.106:
	v_cmp_lt_u32_e32 vcc_lo, 0x37ffffff, v3
	s_mov_b32 s6, 0
                                        ; implicit-def: $vgpr3
	s_and_saveexec_b32 s7, vcc_lo
	s_delay_alu instid0(SALU_CYCLE_1)
	s_xor_b32 s7, exec_lo, s7
	s_cbranch_execnz .LBB264_276
; %bb.107:
	s_and_not1_saveexec_b32 s7, s7
	s_cbranch_execnz .LBB264_277
.LBB264_108:
	s_or_b32 exec_lo, exec_lo, s7
	v_mov_b32_e32 v4, 0
	s_and_saveexec_b32 s7, s6
.LBB264_109:
	v_lshrrev_b32_e32 v2, 24, v2
	s_delay_alu instid0(VALU_DEP_1)
	v_and_or_b32 v4, 0x80, v2, v3
.LBB264_110:
	s_or_b32 exec_lo, exec_lo, s7
.LBB264_111:
	s_delay_alu instid0(SALU_CYCLE_1)
	s_or_b32 exec_lo, exec_lo, s5
                                        ; implicit-def: $vgpr2_vgpr3
.LBB264_112:
	s_and_not1_saveexec_b32 s4, s4
	s_cbranch_execz .LBB264_120
; %bb.113:
	flat_load_u8 v2, v[2:3]
	s_wait_loadcnt_dscnt 0x101
	v_mov_b32_e32 v4, 0x80
	s_mov_b32 s5, exec_lo
	s_wait_loadcnt_dscnt 0x0
	v_cvt_f32_ubyte0_e32 v3, v2
	s_delay_alu instid0(VALU_DEP_1)
	v_cmpx_gt_u32_e32 0x47800000, v3
	s_cbranch_execz .LBB264_119
; %bb.114:
	s_mov_b32 s6, 0
	s_mov_b32 s7, exec_lo
                                        ; implicit-def: $vgpr2
	v_cmpx_lt_u32_e32 0x37ffffff, v3
	s_xor_b32 s7, exec_lo, s7
	s_cbranch_execnz .LBB264_278
; %bb.115:
	s_and_not1_saveexec_b32 s7, s7
	s_cbranch_execnz .LBB264_279
.LBB264_116:
	s_or_b32 exec_lo, exec_lo, s7
	v_mov_b32_e32 v4, 0
	s_and_saveexec_b32 s7, s6
.LBB264_117:
	v_mov_b32_e32 v4, v2
.LBB264_118:
	s_or_b32 exec_lo, exec_lo, s7
.LBB264_119:
	s_delay_alu instid0(SALU_CYCLE_1)
	s_or_b32 exec_lo, exec_lo, s5
.LBB264_120:
	s_delay_alu instid0(SALU_CYCLE_1)
	s_or_b32 exec_lo, exec_lo, s4
.LBB264_121:
	s_delay_alu instid0(SALU_CYCLE_1)
	s_or_b32 exec_lo, exec_lo, s3
.LBB264_122:
	s_delay_alu instid0(SALU_CYCLE_1) | instskip(NEXT) | instid1(SALU_CYCLE_1)
	s_or_b32 exec_lo, exec_lo, s2
	s_or_b32 s1, s1, exec_lo
	s_or_b32 exec_lo, exec_lo, s0
                                        ; implicit-def: $sgpr2
	s_and_saveexec_b32 s0, s1
	s_cbranch_execz .LBB264_3
.LBB264_123:
	s_mov_b32 s1, exec_lo
                                        ; implicit-def: $sgpr2
	v_cmpx_ne_u32_e32 0, v0
	s_xor_b32 s1, exec_lo, s1
	s_cbranch_execz .LBB264_133
; %bb.124:
	v_and_b32_e32 v2, 0xff, v1
	s_mov_b32 s2, 0
	s_mov_b32 s3, exec_lo
	s_delay_alu instid0(VALU_DEP_1)
	v_cmpx_lt_i16_e32 0x7f, v2
	s_xor_b32 s3, exec_lo, s3
	s_cbranch_execnz .LBB264_248
; %bb.125:
	s_or_saveexec_b32 s3, s3
	v_mov_b32_e32 v0, 0x7f800001
	s_xor_b32 exec_lo, exec_lo, s3
	s_cbranch_execnz .LBB264_251
.LBB264_126:
	s_or_b32 exec_lo, exec_lo, s3
	s_and_saveexec_b32 s3, s2
	s_cbranch_execz .LBB264_128
.LBB264_127:
	v_and_b32_e32 v0, 3, v1
	v_lshrrev_b16 v3, 2, v1
	s_delay_alu instid0(VALU_DEP_2) | instskip(NEXT) | instid1(VALU_DEP_1)
	v_clz_i32_u32_e32 v2, v0
	v_min_u32_e32 v2, 32, v2
	s_delay_alu instid0(VALU_DEP_3) | instskip(NEXT) | instid1(VALU_DEP_2)
	v_and_b32_e32 v3, 31, v3
	v_subrev_nc_u32_e32 v5, 29, v2
	v_sub_nc_u32_e32 v2, 30, v2
	s_delay_alu instid0(VALU_DEP_3) | instskip(NEXT) | instid1(VALU_DEP_2)
	v_cmp_eq_u32_e32 vcc_lo, 0, v3
	v_dual_cndmask_b32 v2, v3, v2 :: v_dual_lshlrev_b32 v5, v5, v1
	s_delay_alu instid0(VALU_DEP_1) | instskip(NEXT) | instid1(VALU_DEP_2)
	v_and_b32_e32 v5, 3, v5
	v_lshl_add_u32 v2, v2, 23, 0x37800000
	s_delay_alu instid0(VALU_DEP_2) | instskip(NEXT) | instid1(VALU_DEP_1)
	v_cndmask_b32_e32 v0, v0, v5, vcc_lo
	v_dual_lshlrev_b32 v1, 24, v1 :: v_dual_lshlrev_b32 v0, 21, v0
	s_delay_alu instid0(VALU_DEP_1) | instskip(NEXT) | instid1(VALU_DEP_1)
	v_and_b32_e32 v1, 0x80000000, v1
	v_or3_b32 v0, v1, v2, v0
.LBB264_128:
	s_or_b32 exec_lo, exec_lo, s3
	s_wait_loadcnt_dscnt 0x0
	v_and_b32_e32 v2, 0xff, v4
	s_mov_b32 s2, 0
	s_mov_b32 s3, exec_lo
	s_delay_alu instid0(VALU_DEP_1)
	v_cmpx_lt_i16_e32 0x7f, v2
	s_xor_b32 s3, exec_lo, s3
	s_cbranch_execnz .LBB264_252
; %bb.129:
	s_or_saveexec_b32 s3, s3
	v_mov_b32_e32 v1, 0x7f800001
	s_xor_b32 exec_lo, exec_lo, s3
	s_cbranch_execnz .LBB264_255
.LBB264_130:
	s_or_b32 exec_lo, exec_lo, s3
	s_and_saveexec_b32 s3, s2
	s_cbranch_execz .LBB264_132
.LBB264_131:
	v_and_b32_e32 v1, 3, v4
	v_lshrrev_b16 v3, 2, v4
	s_delay_alu instid0(VALU_DEP_2) | instskip(NEXT) | instid1(VALU_DEP_1)
	v_clz_i32_u32_e32 v2, v1
	v_min_u32_e32 v2, 32, v2
	s_delay_alu instid0(VALU_DEP_3) | instskip(NEXT) | instid1(VALU_DEP_2)
	v_and_b32_e32 v3, 31, v3
	v_subrev_nc_u32_e32 v5, 29, v2
	v_sub_nc_u32_e32 v2, 30, v2
	s_delay_alu instid0(VALU_DEP_3) | instskip(NEXT) | instid1(VALU_DEP_3)
	v_cmp_eq_u32_e32 vcc_lo, 0, v3
	v_dual_lshlrev_b32 v5, v5, v4 :: v_dual_lshlrev_b32 v4, 24, v4
	s_delay_alu instid0(VALU_DEP_1) | instskip(NEXT) | instid1(VALU_DEP_2)
	v_dual_cndmask_b32 v2, v3, v2, vcc_lo :: v_dual_bitop2_b32 v5, 3, v5 bitop3:0x40
	v_and_b32_e32 v3, 0x80000000, v4
	s_delay_alu instid0(VALU_DEP_2) | instskip(NEXT) | instid1(VALU_DEP_3)
	v_cndmask_b32_e32 v1, v1, v5, vcc_lo
	v_lshl_add_u32 v2, v2, 23, 0x37800000
	s_delay_alu instid0(VALU_DEP_2) | instskip(NEXT) | instid1(VALU_DEP_1)
	v_lshlrev_b32_e32 v1, 21, v1
	v_or3_b32 v1, v3, v2, v1
.LBB264_132:
	s_or_b32 exec_lo, exec_lo, s3
	s_delay_alu instid0(VALU_DEP_1)
	v_cmp_neq_f32_e64 s2, v0, v1
                                        ; implicit-def: $vgpr4
                                        ; implicit-def: $vgpr1
.LBB264_133:
	s_and_not1_saveexec_b32 s1, s1
	s_cbranch_execz .LBB264_3
; %bb.134:
	v_and_b32_e32 v2, 0xff, v1
	s_mov_b32 s1, 0
	s_mov_b32 s3, exec_lo
	s_delay_alu instid0(VALU_DEP_1)
	v_cmpx_lt_i16_e32 0x7f, v2
	s_xor_b32 s3, exec_lo, s3
	s_cbranch_execnz .LBB264_256
; %bb.135:
	s_or_saveexec_b32 s3, s3
	v_mov_b32_e32 v0, 0x7f800001
	s_xor_b32 exec_lo, exec_lo, s3
	s_cbranch_execnz .LBB264_259
.LBB264_136:
	s_or_b32 exec_lo, exec_lo, s3
	s_and_saveexec_b32 s3, s1
	s_cbranch_execz .LBB264_138
.LBB264_137:
	v_and_b32_e32 v0, 3, v1
	v_lshrrev_b16 v3, 2, v1
	s_delay_alu instid0(VALU_DEP_2) | instskip(NEXT) | instid1(VALU_DEP_1)
	v_clz_i32_u32_e32 v2, v0
	v_min_u32_e32 v2, 32, v2
	s_delay_alu instid0(VALU_DEP_3) | instskip(NEXT) | instid1(VALU_DEP_2)
	v_and_b32_e32 v3, 31, v3
	v_subrev_nc_u32_e32 v5, 29, v2
	v_sub_nc_u32_e32 v2, 30, v2
	s_delay_alu instid0(VALU_DEP_3) | instskip(NEXT) | instid1(VALU_DEP_2)
	v_cmp_eq_u32_e32 vcc_lo, 0, v3
	v_dual_cndmask_b32 v2, v3, v2 :: v_dual_lshlrev_b32 v5, v5, v1
	s_delay_alu instid0(VALU_DEP_1) | instskip(NEXT) | instid1(VALU_DEP_2)
	v_and_b32_e32 v5, 3, v5
	v_lshl_add_u32 v2, v2, 23, 0x37800000
	s_delay_alu instid0(VALU_DEP_2) | instskip(NEXT) | instid1(VALU_DEP_1)
	v_cndmask_b32_e32 v0, v0, v5, vcc_lo
	v_dual_lshlrev_b32 v1, 24, v1 :: v_dual_lshlrev_b32 v0, 21, v0
	s_delay_alu instid0(VALU_DEP_1) | instskip(NEXT) | instid1(VALU_DEP_1)
	v_and_b32_e32 v1, 0x80000000, v1
	v_or3_b32 v0, v1, v2, v0
.LBB264_138:
	s_or_b32 exec_lo, exec_lo, s3
	s_wait_loadcnt_dscnt 0x0
	v_and_b32_e32 v2, 0xff, v4
	s_mov_b32 s1, 0
	s_mov_b32 s3, exec_lo
	s_delay_alu instid0(VALU_DEP_1)
	v_cmpx_lt_i16_e32 0x7f, v2
	s_xor_b32 s3, exec_lo, s3
	s_cbranch_execnz .LBB264_260
; %bb.139:
	s_or_saveexec_b32 s3, s3
	v_mov_b32_e32 v1, 0x7f800001
	s_xor_b32 exec_lo, exec_lo, s3
	s_cbranch_execnz .LBB264_263
.LBB264_140:
	s_or_b32 exec_lo, exec_lo, s3
	s_and_saveexec_b32 s3, s1
	s_cbranch_execz .LBB264_142
.LBB264_141:
	v_and_b32_e32 v1, 3, v4
	v_lshrrev_b16 v3, 2, v4
	s_delay_alu instid0(VALU_DEP_2) | instskip(NEXT) | instid1(VALU_DEP_1)
	v_clz_i32_u32_e32 v2, v1
	v_min_u32_e32 v2, 32, v2
	s_delay_alu instid0(VALU_DEP_3) | instskip(NEXT) | instid1(VALU_DEP_2)
	v_and_b32_e32 v3, 31, v3
	v_subrev_nc_u32_e32 v5, 29, v2
	v_sub_nc_u32_e32 v2, 30, v2
	s_delay_alu instid0(VALU_DEP_3) | instskip(NEXT) | instid1(VALU_DEP_3)
	v_cmp_eq_u32_e32 vcc_lo, 0, v3
	v_dual_lshlrev_b32 v5, v5, v4 :: v_dual_lshlrev_b32 v4, 24, v4
	s_delay_alu instid0(VALU_DEP_1) | instskip(NEXT) | instid1(VALU_DEP_2)
	v_dual_cndmask_b32 v2, v3, v2, vcc_lo :: v_dual_bitop2_b32 v5, 3, v5 bitop3:0x40
	v_and_b32_e32 v3, 0x80000000, v4
	s_delay_alu instid0(VALU_DEP_2) | instskip(NEXT) | instid1(VALU_DEP_3)
	v_cndmask_b32_e32 v1, v1, v5, vcc_lo
	v_lshl_add_u32 v2, v2, 23, 0x37800000
	s_delay_alu instid0(VALU_DEP_2) | instskip(NEXT) | instid1(VALU_DEP_1)
	v_lshlrev_b32_e32 v1, 21, v1
	v_or3_b32 v1, v3, v2, v1
.LBB264_142:
	s_or_b32 exec_lo, exec_lo, s3
	s_delay_alu instid0(VALU_DEP_1) | instskip(SKIP_2) | instid1(SALU_CYCLE_1)
	v_cmp_eq_f32_e32 vcc_lo, v0, v1
	s_and_not1_b32 s1, s2, exec_lo
	s_and_b32 s2, vcc_lo, exec_lo
	s_or_b32 s2, s1, s2
	s_or_b32 exec_lo, exec_lo, s0
	v_cndmask_b32_e64 v0, 0, 1, s2
	s_set_pc_i64 s[30:31]
.LBB264_143:
	s_mov_b32 s5, 0
	s_mov_b32 s3, exec_lo
                                        ; implicit-def: $vgpr4
	v_cmpx_lt_i16_e32 28, v6
	s_xor_b32 s3, exec_lo, s3
	s_cbranch_execz .LBB264_177
; %bb.144:
	s_mov_b32 s6, 0
	s_mov_b32 s7, 0
	s_mov_b32 s4, exec_lo
                                        ; implicit-def: $vgpr4
	v_cmpx_lt_i16_e32 43, v6
	s_xor_b32 s4, exec_lo, s4
	s_cbranch_execz .LBB264_166
; %bb.145:
	s_mov_b32 s7, exec_lo
                                        ; implicit-def: $vgpr4
	v_cmpx_lt_i16_e32 45, v6
	s_xor_b32 s7, exec_lo, s7
	s_cbranch_execz .LBB264_155
; %bb.146:
	s_mov_b32 s8, -1
	s_mov_b32 s5, exec_lo
                                        ; implicit-def: $vgpr4
	v_cmpx_eq_u16_e32 46, v6
	s_cbranch_execz .LBB264_154
; %bb.147:
	flat_load_b32 v4, v[2:3]
	s_mov_b32 s6, exec_lo
	s_wait_loadcnt_dscnt 0x0
	v_dual_mov_b32 v4, 0x80 :: v_dual_lshlrev_b32 v5, 16, v4
	s_delay_alu instid0(VALU_DEP_1) | instskip(SKIP_1) | instid1(VALU_DEP_1)
	v_and_b32_e32 v6, 0x7fffffff, v5
	s_wait_xcnt 0x0
	v_cmpx_gt_u32_e32 0x47800000, v6
	s_cbranch_execz .LBB264_153
; %bb.148:
	v_cmp_lt_u32_e32 vcc_lo, 0x37ffffff, v6
	s_mov_b32 s8, 0
                                        ; implicit-def: $vgpr6
	s_and_saveexec_b32 s9, vcc_lo
	s_delay_alu instid0(SALU_CYCLE_1)
	s_xor_b32 s9, exec_lo, s9
	s_cbranch_execnz .LBB264_306
; %bb.149:
	s_and_not1_saveexec_b32 s9, s9
	s_cbranch_execnz .LBB264_307
.LBB264_150:
	s_or_b32 exec_lo, exec_lo, s9
	v_mov_b32_e32 v4, 0
	s_and_saveexec_b32 s9, s8
.LBB264_151:
	v_lshrrev_b32_e32 v4, 24, v5
	s_delay_alu instid0(VALU_DEP_1)
	v_and_or_b32 v4, 0x80, v4, v6
.LBB264_152:
	s_or_b32 exec_lo, exec_lo, s9
.LBB264_153:
	s_delay_alu instid0(SALU_CYCLE_1) | instskip(NEXT) | instid1(SALU_CYCLE_1)
	s_or_b32 exec_lo, exec_lo, s6
	s_mov_b32 s6, exec_lo
	s_xor_b32 s8, exec_lo, -1
.LBB264_154:
	s_or_b32 exec_lo, exec_lo, s5
	s_delay_alu instid0(SALU_CYCLE_1)
	s_and_b32 s6, s6, exec_lo
	s_and_b32 s5, s8, exec_lo
                                        ; implicit-def: $vgpr6
.LBB264_155:
	s_and_not1_saveexec_b32 s7, s7
	s_cbranch_execz .LBB264_165
; %bb.156:
	s_mov_b32 s9, -1
	s_mov_b32 s10, s6
	s_mov_b32 s8, exec_lo
                                        ; implicit-def: $vgpr4
	v_cmpx_eq_u16_e32 44, v6
	s_cbranch_execz .LBB264_164
; %bb.157:
	flat_load_u8 v4, v[2:3]
	s_mov_b32 s10, 0
	s_mov_b32 s9, exec_lo
	s_wait_loadcnt_dscnt 0x0
	v_lshlrev_b32_e32 v5, 23, v4
	v_cmp_ne_u32_e32 vcc_lo, 0xff, v4
	s_delay_alu instid0(VALU_DEP_2) | instskip(SKIP_2) | instid1(VALU_DEP_3)
	v_cndmask_b32_e32 v5, 0x7f800001, v5, vcc_lo
	v_cmp_ne_u32_e32 vcc_lo, 0, v4
	v_mov_b32_e32 v4, 0x80
	v_cndmask_b32_e32 v6, 0x400000, v5, vcc_lo
	s_wait_xcnt 0x0
	s_delay_alu instid0(VALU_DEP_1)
	v_cmpx_gt_u32_e32 0x47800000, v6
	s_cbranch_execz .LBB264_163
; %bb.158:
	s_mov_b32 s11, exec_lo
                                        ; implicit-def: $vgpr5
	v_cmpx_lt_u32_e32 0x37ffffff, v6
	s_xor_b32 s11, exec_lo, s11
	s_cbranch_execnz .LBB264_308
; %bb.159:
	s_and_not1_saveexec_b32 s11, s11
	s_cbranch_execnz .LBB264_309
.LBB264_160:
	s_or_b32 exec_lo, exec_lo, s11
	v_mov_b32_e32 v4, 0
	s_and_saveexec_b32 s11, s10
.LBB264_161:
	v_mov_b32_e32 v4, v5
.LBB264_162:
	s_or_b32 exec_lo, exec_lo, s11
.LBB264_163:
	s_delay_alu instid0(SALU_CYCLE_1) | instskip(NEXT) | instid1(SALU_CYCLE_1)
	s_or_b32 exec_lo, exec_lo, s9
	s_or_b32 s10, s6, exec_lo
	s_xor_b32 s9, exec_lo, -1
.LBB264_164:
	s_or_b32 exec_lo, exec_lo, s8
	s_delay_alu instid0(SALU_CYCLE_1)
	s_and_not1_b32 s6, s6, exec_lo
	s_and_b32 s8, s10, exec_lo
	s_and_not1_b32 s5, s5, exec_lo
	s_and_b32 s9, s9, exec_lo
	s_or_b32 s6, s6, s8
	s_or_b32 s5, s5, s9
.LBB264_165:
	s_or_b32 exec_lo, exec_lo, s7
	s_delay_alu instid0(SALU_CYCLE_1)
	s_and_b32 s7, s6, exec_lo
	s_and_b32 s6, s5, exec_lo
                                        ; implicit-def: $vgpr6
.LBB264_166:
	s_and_not1_saveexec_b32 s4, s4
	s_cbranch_execz .LBB264_176
; %bb.167:
	s_mov_b32 s8, -1
	s_mov_b32 s9, s7
	s_mov_b32 s5, exec_lo
                                        ; implicit-def: $vgpr4
	v_cmpx_eq_u16_e32 29, v6
	s_cbranch_execz .LBB264_175
; %bb.168:
	flat_load_b64 v[4:5], v[2:3]
	s_mov_b32 s8, exec_lo
	s_wait_loadcnt_dscnt 0x0
	v_clz_i32_u32_e32 v6, v5
	s_delay_alu instid0(VALU_DEP_1) | instskip(NEXT) | instid1(VALU_DEP_1)
	v_min_u32_e32 v6, 32, v6
	v_lshlrev_b64_e32 v[4:5], v6, v[4:5]
	s_delay_alu instid0(VALU_DEP_1) | instskip(NEXT) | instid1(VALU_DEP_1)
	v_min_u32_e32 v4, 1, v4
	v_dual_sub_nc_u32 v5, 32, v6 :: v_dual_bitop2_b32 v4, v5, v4 bitop3:0x54
	s_delay_alu instid0(VALU_DEP_1) | instskip(NEXT) | instid1(VALU_DEP_1)
	v_cvt_f32_u32_e32 v4, v4
	v_ldexp_f32 v6, v4, v5
	v_mov_b32_e32 v4, 0x80
	s_wait_xcnt 0x0
	s_delay_alu instid0(VALU_DEP_2)
	v_cmpx_gt_u32_e32 0x47800000, v6
	s_cbranch_execz .LBB264_174
; %bb.169:
	s_mov_b32 s9, 0
	s_mov_b32 s10, exec_lo
                                        ; implicit-def: $vgpr5
	v_cmpx_lt_u32_e32 0x37ffffff, v6
	s_xor_b32 s10, exec_lo, s10
	s_cbranch_execnz .LBB264_296
; %bb.170:
	s_and_not1_saveexec_b32 s10, s10
	s_cbranch_execnz .LBB264_297
.LBB264_171:
	s_or_b32 exec_lo, exec_lo, s10
	v_mov_b32_e32 v4, 0
	s_and_saveexec_b32 s10, s9
.LBB264_172:
	v_mov_b32_e32 v4, v5
.LBB264_173:
	s_or_b32 exec_lo, exec_lo, s10
.LBB264_174:
	s_delay_alu instid0(SALU_CYCLE_1) | instskip(NEXT) | instid1(SALU_CYCLE_1)
	s_or_b32 exec_lo, exec_lo, s8
	s_or_b32 s9, s7, exec_lo
	s_xor_b32 s8, exec_lo, -1
.LBB264_175:
	s_or_b32 exec_lo, exec_lo, s5
	s_delay_alu instid0(SALU_CYCLE_1)
	s_and_not1_b32 s5, s7, exec_lo
	s_and_b32 s7, s9, exec_lo
	s_and_not1_b32 s6, s6, exec_lo
	s_and_b32 s8, s8, exec_lo
	s_or_b32 s7, s5, s7
	s_or_b32 s6, s6, s8
.LBB264_176:
	s_or_b32 exec_lo, exec_lo, s4
	s_delay_alu instid0(SALU_CYCLE_1)
	s_and_b32 s5, s7, exec_lo
	s_and_b32 s4, s6, exec_lo
                                        ; implicit-def: $vgpr6
.LBB264_177:
	s_and_not1_saveexec_b32 s3, s3
	s_cbranch_execz .LBB264_209
; %bb.178:
	s_mov_b32 s6, exec_lo
                                        ; implicit-def: $vgpr4
	v_cmpx_lt_i16_e32 26, v6
	s_xor_b32 s6, exec_lo, s6
	s_cbranch_execz .LBB264_196
; %bb.179:
	s_mov_b32 s7, exec_lo
                                        ; implicit-def: $vgpr4
	v_cmpx_lt_i16_e32 27, v6
	s_xor_b32 s7, exec_lo, s7
	s_cbranch_execz .LBB264_187
; %bb.180:
	flat_load_b32 v4, v[2:3]
	s_mov_b32 s8, exec_lo
	s_wait_loadcnt_dscnt 0x0
	v_cvt_f32_u32_e32 v6, v4
	v_mov_b32_e32 v4, 0x80
	s_wait_xcnt 0x0
	s_delay_alu instid0(VALU_DEP_2)
	v_cmpx_gt_u32_e32 0x47800000, v6
	s_cbranch_execz .LBB264_186
; %bb.181:
	s_mov_b32 s9, 0
	s_mov_b32 s10, exec_lo
                                        ; implicit-def: $vgpr5
	v_cmpx_lt_u32_e32 0x37ffffff, v6
	s_xor_b32 s10, exec_lo, s10
	s_cbranch_execnz .LBB264_298
; %bb.182:
	s_and_not1_saveexec_b32 s10, s10
	s_cbranch_execnz .LBB264_299
.LBB264_183:
	s_or_b32 exec_lo, exec_lo, s10
	v_mov_b32_e32 v4, 0
	s_and_saveexec_b32 s10, s9
.LBB264_184:
	v_mov_b32_e32 v4, v5
.LBB264_185:
	s_or_b32 exec_lo, exec_lo, s10
.LBB264_186:
	s_delay_alu instid0(SALU_CYCLE_1)
	s_or_b32 exec_lo, exec_lo, s8
.LBB264_187:
	s_and_not1_saveexec_b32 s7, s7
	s_cbranch_execz .LBB264_195
; %bb.188:
	flat_load_u16 v4, v[2:3]
	s_mov_b32 s8, exec_lo
	s_wait_loadcnt_dscnt 0x0
	v_cvt_f32_u32_e32 v6, v4
	v_mov_b32_e32 v4, 0x80
	s_wait_xcnt 0x0
	s_delay_alu instid0(VALU_DEP_2)
	v_cmpx_gt_u32_e32 0x47800000, v6
	s_cbranch_execz .LBB264_194
; %bb.189:
	s_mov_b32 s9, 0
	s_mov_b32 s10, exec_lo
                                        ; implicit-def: $vgpr5
	v_cmpx_lt_u32_e32 0x37ffffff, v6
	s_xor_b32 s10, exec_lo, s10
	s_cbranch_execnz .LBB264_300
; %bb.190:
	s_and_not1_saveexec_b32 s10, s10
	s_cbranch_execnz .LBB264_301
.LBB264_191:
	s_or_b32 exec_lo, exec_lo, s10
	v_mov_b32_e32 v4, 0
	s_and_saveexec_b32 s10, s9
.LBB264_192:
	v_mov_b32_e32 v4, v5
.LBB264_193:
	s_or_b32 exec_lo, exec_lo, s10
.LBB264_194:
	s_delay_alu instid0(SALU_CYCLE_1)
	s_or_b32 exec_lo, exec_lo, s8
.LBB264_195:
	s_delay_alu instid0(SALU_CYCLE_1)
	s_or_b32 exec_lo, exec_lo, s7
.LBB264_196:
	s_and_not1_saveexec_b32 s6, s6
	s_cbranch_execz .LBB264_208
; %bb.197:
	flat_load_u8 v4, v[2:3]
	s_mov_b32 s7, 0
	s_mov_b32 s8, exec_lo
	s_wait_loadcnt_dscnt 0x0
	v_cmpx_lt_i16_e32 0x7f, v4
	s_xor_b32 s8, exec_lo, s8
	s_cbranch_execnz .LBB264_266
; %bb.198:
	s_or_saveexec_b32 s8, s8
	v_mov_b32_e32 v5, 0x7f800001
	s_xor_b32 exec_lo, exec_lo, s8
	s_cbranch_execnz .LBB264_269
.LBB264_199:
	s_or_b32 exec_lo, exec_lo, s8
	s_and_saveexec_b32 s8, s7
	s_cbranch_execz .LBB264_201
.LBB264_200:
	v_and_b32_e32 v5, 0xffff, v4
	s_delay_alu instid0(VALU_DEP_1) | instskip(SKIP_1) | instid1(VALU_DEP_2)
	v_and_b32_e32 v6, 7, v5
	v_bfe_u32 v9, v5, 3, 4
	v_clz_i32_u32_e32 v7, v6
	s_delay_alu instid0(VALU_DEP_2) | instskip(NEXT) | instid1(VALU_DEP_2)
	v_cmp_eq_u32_e32 vcc_lo, 0, v9
	v_min_u32_e32 v7, 32, v7
	s_delay_alu instid0(VALU_DEP_1) | instskip(NEXT) | instid1(VALU_DEP_1)
	v_subrev_nc_u32_e32 v8, 28, v7
	v_dual_lshlrev_b32 v5, v8, v5 :: v_dual_sub_nc_u32 v7, 29, v7
	s_delay_alu instid0(VALU_DEP_1) | instskip(NEXT) | instid1(VALU_DEP_1)
	v_dual_lshlrev_b32 v4, 24, v4 :: v_dual_bitop2_b32 v5, 7, v5 bitop3:0x40
	v_dual_cndmask_b32 v7, v9, v7, vcc_lo :: v_dual_cndmask_b32 v5, v6, v5, vcc_lo
	s_delay_alu instid0(VALU_DEP_2) | instskip(NEXT) | instid1(VALU_DEP_2)
	v_and_b32_e32 v4, 0x80000000, v4
	v_lshl_add_u32 v6, v7, 23, 0x3b800000
	s_delay_alu instid0(VALU_DEP_3) | instskip(NEXT) | instid1(VALU_DEP_1)
	v_lshlrev_b32_e32 v5, 20, v5
	v_or3_b32 v5, v4, v6, v5
.LBB264_201:
	s_or_b32 exec_lo, exec_lo, s8
	s_delay_alu instid0(VALU_DEP_1) | instskip(SKIP_2) | instid1(VALU_DEP_2)
	v_and_b32_e32 v6, 0x7fffffff, v5
	v_mov_b32_e32 v4, 0x80
	s_mov_b32 s7, exec_lo
	v_cmpx_gt_u32_e32 0x47800000, v6
	s_cbranch_execz .LBB264_207
; %bb.202:
	v_cmp_lt_u32_e32 vcc_lo, 0x37ffffff, v6
	s_mov_b32 s8, 0
                                        ; implicit-def: $vgpr6
	s_and_saveexec_b32 s9, vcc_lo
	s_delay_alu instid0(SALU_CYCLE_1)
	s_xor_b32 s9, exec_lo, s9
	s_cbranch_execnz .LBB264_280
; %bb.203:
	s_and_not1_saveexec_b32 s9, s9
	s_cbranch_execnz .LBB264_281
.LBB264_204:
	s_or_b32 exec_lo, exec_lo, s9
	v_mov_b32_e32 v4, 0
	s_and_saveexec_b32 s9, s8
.LBB264_205:
	v_lshrrev_b32_e32 v4, 24, v5
	s_delay_alu instid0(VALU_DEP_1)
	v_and_or_b32 v4, 0x80, v4, v6
.LBB264_206:
	s_or_b32 exec_lo, exec_lo, s9
.LBB264_207:
	s_delay_alu instid0(SALU_CYCLE_1)
	s_or_b32 exec_lo, exec_lo, s7
.LBB264_208:
	s_delay_alu instid0(SALU_CYCLE_1) | instskip(NEXT) | instid1(SALU_CYCLE_1)
	s_or_b32 exec_lo, exec_lo, s6
	s_or_b32 s5, s5, exec_lo
.LBB264_209:
	s_or_b32 exec_lo, exec_lo, s3
	s_delay_alu instid0(SALU_CYCLE_1)
	s_and_b32 s3, s5, exec_lo
	s_and_b32 s4, s4, exec_lo
                                        ; implicit-def: $vgpr6
	s_and_not1_saveexec_b32 s2, s2
	s_cbranch_execz .LBB264_6
.LBB264_210:
	s_mov_b32 s5, s3
	s_mov_b32 s1, exec_lo
                                        ; implicit-def: $vgpr4
	v_cmpx_lt_i16_e32 22, v6
	s_xor_b32 s1, exec_lo, s1
	s_cbranch_execz .LBB264_232
; %bb.211:
	s_mov_b32 s5, exec_lo
                                        ; implicit-def: $vgpr4
	v_cmpx_lt_i16_e32 23, v6
	s_xor_b32 s5, exec_lo, s5
	s_cbranch_execz .LBB264_223
; %bb.212:
	;; [unrolled: 6-line block ×3, first 2 shown]
	flat_load_u8 v4, v[2:3]
.LBB264_214:
	s_wait_xcnt 0x0
	s_and_not1_saveexec_b32 s6, s6
	s_cbranch_execz .LBB264_222
; %bb.215:
	s_wait_loadcnt_dscnt 0x0
	flat_load_u8 v4, v[2:3]
	s_mov_b32 s8, 0
	s_mov_b32 s7, exec_lo
	s_wait_loadcnt_dscnt 0x0
	v_lshlrev_b32_e32 v4, 24, v4
	s_delay_alu instid0(VALU_DEP_1) | instskip(NEXT) | instid1(VALU_DEP_1)
	v_and_b32_e32 v5, 0x7f000000, v4
	v_clz_i32_u32_e32 v6, v5
	v_cmp_ne_u32_e32 vcc_lo, 0, v5
	v_add_nc_u32_e32 v8, 0x1000000, v5
	s_delay_alu instid0(VALU_DEP_3) | instskip(NEXT) | instid1(VALU_DEP_1)
	v_min_u32_e32 v6, 32, v6
	v_sub_nc_u32_e64 v6, v6, 4 clamp
	s_delay_alu instid0(VALU_DEP_1) | instskip(NEXT) | instid1(VALU_DEP_1)
	v_dual_lshlrev_b32 v7, v6, v5 :: v_dual_lshlrev_b32 v6, 23, v6
	v_lshrrev_b32_e32 v7, 4, v7
	s_delay_alu instid0(VALU_DEP_1) | instskip(NEXT) | instid1(VALU_DEP_1)
	v_dual_sub_nc_u32 v6, v7, v6 :: v_dual_ashrrev_i32 v7, 8, v8
	v_add_nc_u32_e32 v6, 0x3c000000, v6
	s_delay_alu instid0(VALU_DEP_1) | instskip(NEXT) | instid1(VALU_DEP_1)
	v_and_or_b32 v6, 0x7f800000, v7, v6
	v_cndmask_b32_e32 v7, 0, v6, vcc_lo
	s_delay_alu instid0(VALU_DEP_1) | instskip(SKIP_1) | instid1(VALU_DEP_2)
	v_and_or_b32 v5, 0x80000000, v4, v7
	v_mov_b32_e32 v4, 0x80
	v_and_b32_e32 v6, 0x7fffffff, v5
	s_wait_xcnt 0x0
	s_delay_alu instid0(VALU_DEP_1)
	v_cmpx_gt_u32_e32 0x47800000, v6
	s_cbranch_execz .LBB264_221
; %bb.216:
	v_cmp_lt_u32_e32 vcc_lo, 0x37ffffff, v6
                                        ; implicit-def: $vgpr6
	s_and_saveexec_b32 s9, vcc_lo
	s_delay_alu instid0(SALU_CYCLE_1)
	s_xor_b32 s9, exec_lo, s9
	s_cbranch_execnz .LBB264_302
; %bb.217:
	s_and_not1_saveexec_b32 s9, s9
	s_cbranch_execnz .LBB264_303
.LBB264_218:
	s_or_b32 exec_lo, exec_lo, s9
	v_mov_b32_e32 v4, 0
	s_and_saveexec_b32 s9, s8
.LBB264_219:
	v_lshrrev_b32_e32 v4, 24, v5
	s_delay_alu instid0(VALU_DEP_1)
	v_and_or_b32 v4, 0x80, v4, v6
.LBB264_220:
	s_or_b32 exec_lo, exec_lo, s9
.LBB264_221:
	s_delay_alu instid0(SALU_CYCLE_1)
	s_or_b32 exec_lo, exec_lo, s7
.LBB264_222:
	s_delay_alu instid0(SALU_CYCLE_1)
	s_or_b32 exec_lo, exec_lo, s6
.LBB264_223:
	s_and_not1_saveexec_b32 s5, s5
	s_cbranch_execz .LBB264_231
; %bb.224:
	s_wait_loadcnt_dscnt 0x0
	flat_load_u8 v4, v[2:3]
	s_mov_b32 s6, exec_lo
	s_wait_loadcnt_dscnt 0x0
	v_lshlrev_b32_e32 v5, 25, v4
	v_lshlrev_b16 v4, 8, v4
	s_delay_alu instid0(VALU_DEP_1) | instskip(SKIP_1) | instid1(VALU_DEP_2)
	v_and_or_b32 v7, 0x7f00, v4, 0.5
	v_bfe_i32 v4, v4, 0, 16
	v_dual_add_f32 v7, -0.5, v7 :: v_dual_lshrrev_b32 v6, 4, v5
	v_cmp_gt_u32_e32 vcc_lo, 0x8000000, v5
	s_delay_alu instid0(VALU_DEP_2) | instskip(NEXT) | instid1(VALU_DEP_1)
	v_or_b32_e32 v6, 0x70000000, v6
	v_mul_f32_e32 v6, 0x7800000, v6
	s_delay_alu instid0(VALU_DEP_1) | instskip(NEXT) | instid1(VALU_DEP_1)
	v_cndmask_b32_e32 v7, v6, v7, vcc_lo
	v_and_or_b32 v5, 0x80000000, v4, v7
	v_mov_b32_e32 v4, 0x80
	s_delay_alu instid0(VALU_DEP_2) | instskip(SKIP_1) | instid1(VALU_DEP_1)
	v_and_b32_e32 v6, 0x7fffffff, v5
	s_wait_xcnt 0x0
	v_cmpx_gt_u32_e32 0x47800000, v6
	s_cbranch_execz .LBB264_230
; %bb.225:
	v_cmp_lt_u32_e32 vcc_lo, 0x37ffffff, v6
	s_mov_b32 s7, 0
                                        ; implicit-def: $vgpr6
	s_and_saveexec_b32 s8, vcc_lo
	s_delay_alu instid0(SALU_CYCLE_1)
	s_xor_b32 s8, exec_lo, s8
	s_cbranch_execnz .LBB264_282
; %bb.226:
	s_and_not1_saveexec_b32 s8, s8
	s_cbranch_execnz .LBB264_283
.LBB264_227:
	s_or_b32 exec_lo, exec_lo, s8
	v_mov_b32_e32 v4, 0
	s_and_saveexec_b32 s8, s7
.LBB264_228:
	v_lshrrev_b32_e32 v4, 24, v5
	s_delay_alu instid0(VALU_DEP_1)
	v_and_or_b32 v4, 0x80, v4, v6
.LBB264_229:
	s_or_b32 exec_lo, exec_lo, s8
.LBB264_230:
	s_delay_alu instid0(SALU_CYCLE_1)
	s_or_b32 exec_lo, exec_lo, s6
.LBB264_231:
	s_delay_alu instid0(SALU_CYCLE_1) | instskip(NEXT) | instid1(SALU_CYCLE_1)
	s_or_b32 exec_lo, exec_lo, s5
	s_or_b32 s5, s3, exec_lo
                                        ; implicit-def: $vgpr6
.LBB264_232:
	s_or_saveexec_b32 s1, s1
	s_mov_b32 s6, 0
	s_mov_b32 s7, s4
	s_xor_b32 exec_lo, exec_lo, s1
	s_cbranch_execz .LBB264_246
; %bb.233:
	s_mov_b32 s7, s4
	s_mov_b32 s8, s5
	s_mov_b32 s6, exec_lo
                                        ; implicit-def: $vgpr4
	v_cmpx_lt_i16_e32 14, v6
	s_xor_b32 s6, exec_lo, s6
	s_cbranch_execz .LBB264_243
; %bb.234:
	s_mov_b32 s8, -1
	s_mov_b32 s9, s5
	s_mov_b32 s7, exec_lo
                                        ; implicit-def: $vgpr4
	v_cmpx_eq_u16_e32 15, v6
	s_cbranch_execz .LBB264_242
; %bb.235:
	flat_load_u16 v5, v[2:3]
	s_mov_b32 s8, exec_lo
	s_wait_loadcnt_dscnt 0x0
	v_dual_mov_b32 v4, 0x80 :: v_dual_lshlrev_b32 v7, 16, v5
	s_delay_alu instid0(VALU_DEP_1) | instskip(SKIP_1) | instid1(VALU_DEP_1)
	v_and_b32_e32 v6, 0x7fffffff, v7
	s_wait_xcnt 0x0
	v_cmpx_gt_u32_e32 0x47800000, v6
	s_cbranch_execz .LBB264_241
; %bb.236:
	v_cmp_lt_u32_e32 vcc_lo, 0x37ffffff, v6
	s_mov_b32 s9, 0
                                        ; implicit-def: $vgpr6
	s_and_saveexec_b32 s10, vcc_lo
	s_delay_alu instid0(SALU_CYCLE_1)
	s_xor_b32 s10, exec_lo, s10
	s_cbranch_execnz .LBB264_304
; %bb.237:
	s_and_not1_saveexec_b32 s10, s10
	s_cbranch_execnz .LBB264_305
.LBB264_238:
	s_or_b32 exec_lo, exec_lo, s10
	v_mov_b32_e32 v4, 0
	s_and_saveexec_b32 s10, s9
.LBB264_239:
	v_lshrrev_b32_e32 v4, 8, v5
	s_delay_alu instid0(VALU_DEP_1)
	v_and_or_b32 v4, 0x80, v4, v6
.LBB264_240:
	s_or_b32 exec_lo, exec_lo, s10
.LBB264_241:
	s_delay_alu instid0(SALU_CYCLE_1) | instskip(NEXT) | instid1(SALU_CYCLE_1)
	s_or_b32 exec_lo, exec_lo, s8
	s_or_b32 s9, s5, exec_lo
	s_xor_b32 s8, exec_lo, -1
.LBB264_242:
	s_or_b32 exec_lo, exec_lo, s7
	s_delay_alu instid0(SALU_CYCLE_1)
	s_and_not1_b32 s7, s5, exec_lo
	s_and_b32 s9, s9, exec_lo
	s_and_not1_b32 s10, s4, exec_lo
	s_and_b32 s11, s8, exec_lo
	s_or_b32 s8, s7, s9
	s_or_b32 s7, s10, s11
                                        ; implicit-def: $vgpr6
.LBB264_243:
	s_or_saveexec_b32 s6, s6
	s_mov_b32 s9, 0
	s_xor_b32 exec_lo, exec_lo, s6
; %bb.244:
	v_cmp_ne_u16_e32 vcc_lo, 11, v6
	s_and_not1_b32 s7, s7, exec_lo
	s_mov_b32 s9, exec_lo
	s_and_b32 s10, vcc_lo, exec_lo
	s_delay_alu instid0(SALU_CYCLE_1)
	s_or_b32 s7, s7, s10
; %bb.245:
	s_or_b32 exec_lo, exec_lo, s6
	s_delay_alu instid0(SALU_CYCLE_1)
	s_and_not1_b32 s5, s5, exec_lo
	s_and_b32 s6, s8, exec_lo
	s_and_not1_b32 s8, s4, exec_lo
	s_and_b32 s7, s7, exec_lo
	s_or_b32 s5, s5, s6
	s_and_b32 s6, s9, exec_lo
	s_or_b32 s7, s8, s7
.LBB264_246:
	s_or_b32 exec_lo, exec_lo, s1
	s_delay_alu instid0(SALU_CYCLE_1)
	s_and_not1_b32 s1, s3, exec_lo
	s_and_b32 s3, s5, exec_lo
	s_and_not1_b32 s4, s4, exec_lo
	s_and_b32 s5, s7, exec_lo
	s_or_b32 s3, s1, s3
	s_and_b32 s1, s6, exec_lo
	s_or_b32 s4, s4, s5
	s_or_b32 exec_lo, exec_lo, s2
	s_and_saveexec_b32 s2, s4
	s_cbranch_execz .LBB264_7
.LBB264_247:
	s_trap 2
	; divergent unreachable
	s_and_not1_b32 s1, s1, exec_lo
	s_or_b32 exec_lo, exec_lo, s2
	s_and_saveexec_b32 s2, s1
	s_delay_alu instid0(SALU_CYCLE_1)
	s_xor_b32 s1, exec_lo, s2
	s_cbranch_execnz .LBB264_8
	s_branch .LBB264_15
.LBB264_248:
	s_mov_b32 s2, -1
	s_mov_b32 s4, exec_lo
	v_cmpx_eq_u16_e32 0x80, v2
; %bb.249:
	s_xor_b32 s2, exec_lo, -1
; %bb.250:
	s_or_b32 exec_lo, exec_lo, s4
	s_delay_alu instid0(SALU_CYCLE_1)
	s_and_b32 s2, s2, exec_lo
                                        ; implicit-def: $vgpr2
	s_or_saveexec_b32 s3, s3
	v_mov_b32_e32 v0, 0x7f800001
	s_xor_b32 exec_lo, exec_lo, s3
	s_cbranch_execz .LBB264_126
.LBB264_251:
	v_cmp_ne_u16_e32 vcc_lo, 0, v2
	v_mov_b32_e32 v0, 0
	s_and_not1_b32 s2, s2, exec_lo
	s_and_b32 s4, vcc_lo, exec_lo
	s_delay_alu instid0(SALU_CYCLE_1)
	s_or_b32 s2, s2, s4
	s_or_b32 exec_lo, exec_lo, s3
	s_and_saveexec_b32 s3, s2
	s_cbranch_execnz .LBB264_127
	s_branch .LBB264_128
.LBB264_252:
	s_mov_b32 s2, -1
	s_mov_b32 s4, exec_lo
	v_cmpx_eq_u16_e32 0x80, v2
; %bb.253:
	s_xor_b32 s2, exec_lo, -1
; %bb.254:
	s_or_b32 exec_lo, exec_lo, s4
	s_delay_alu instid0(SALU_CYCLE_1)
	s_and_b32 s2, s2, exec_lo
                                        ; implicit-def: $vgpr2
	s_or_saveexec_b32 s3, s3
	v_mov_b32_e32 v1, 0x7f800001
	s_xor_b32 exec_lo, exec_lo, s3
	s_cbranch_execz .LBB264_130
.LBB264_255:
	v_cmp_ne_u16_e32 vcc_lo, 0, v2
	v_mov_b32_e32 v1, 0
	s_and_not1_b32 s2, s2, exec_lo
	s_and_b32 s4, vcc_lo, exec_lo
	s_delay_alu instid0(SALU_CYCLE_1)
	s_or_b32 s2, s2, s4
	s_or_b32 exec_lo, exec_lo, s3
	s_and_saveexec_b32 s3, s2
	s_cbranch_execnz .LBB264_131
	s_branch .LBB264_132
.LBB264_256:
	s_mov_b32 s1, -1
	s_mov_b32 s4, exec_lo
	v_cmpx_eq_u16_e32 0x80, v2
; %bb.257:
	s_xor_b32 s1, exec_lo, -1
; %bb.258:
	s_or_b32 exec_lo, exec_lo, s4
	s_delay_alu instid0(SALU_CYCLE_1)
	s_and_b32 s1, s1, exec_lo
                                        ; implicit-def: $vgpr2
	s_or_saveexec_b32 s3, s3
	v_mov_b32_e32 v0, 0x7f800001
	s_xor_b32 exec_lo, exec_lo, s3
	s_cbranch_execz .LBB264_136
.LBB264_259:
	v_cmp_ne_u16_e32 vcc_lo, 0, v2
	v_mov_b32_e32 v0, 0
	s_and_not1_b32 s1, s1, exec_lo
	s_and_b32 s4, vcc_lo, exec_lo
	s_delay_alu instid0(SALU_CYCLE_1)
	s_or_b32 s1, s1, s4
	s_or_b32 exec_lo, exec_lo, s3
	s_and_saveexec_b32 s3, s1
	s_cbranch_execnz .LBB264_137
	s_branch .LBB264_138
.LBB264_260:
	s_mov_b32 s1, -1
	s_mov_b32 s4, exec_lo
	v_cmpx_eq_u16_e32 0x80, v2
; %bb.261:
	s_xor_b32 s1, exec_lo, -1
; %bb.262:
	s_or_b32 exec_lo, exec_lo, s4
	s_delay_alu instid0(SALU_CYCLE_1)
	s_and_b32 s1, s1, exec_lo
                                        ; implicit-def: $vgpr2
	s_or_saveexec_b32 s3, s3
	v_mov_b32_e32 v1, 0x7f800001
	s_xor_b32 exec_lo, exec_lo, s3
	s_cbranch_execz .LBB264_140
.LBB264_263:
	v_cmp_ne_u16_e32 vcc_lo, 0, v2
	v_mov_b32_e32 v1, 0
	s_and_not1_b32 s1, s1, exec_lo
	s_and_b32 s4, vcc_lo, exec_lo
	s_delay_alu instid0(SALU_CYCLE_1)
	s_or_b32 s1, s1, s4
	s_or_b32 exec_lo, exec_lo, s3
	s_and_saveexec_b32 s3, s1
	s_cbranch_execnz .LBB264_141
	s_branch .LBB264_142
.LBB264_264:
	v_bfe_u32 v2, v3, 21, 1
	s_mov_b32 s4, exec_lo
	s_delay_alu instid0(VALU_DEP_1) | instskip(NEXT) | instid1(VALU_DEP_1)
	v_add3_u32 v2, v3, v2, 0x88fffff
                                        ; implicit-def: $vgpr3
	v_lshrrev_b32_e32 v2, 21, v2
	s_and_not1_saveexec_b32 s5, s5
	s_cbranch_execz .LBB264_11
.LBB264_265:
	v_add_f32_e32 v2, 0x42800000, v3
	s_and_not1_b32 s4, s4, exec_lo
	s_delay_alu instid0(VALU_DEP_1) | instskip(NEXT) | instid1(VALU_DEP_1)
	v_and_b32_e32 v2, 0xff, v2
	v_cmp_ne_u32_e32 vcc_lo, 0, v2
	s_and_b32 s6, vcc_lo, exec_lo
	s_delay_alu instid0(SALU_CYCLE_1)
	s_or_b32 s4, s4, s6
	s_or_b32 exec_lo, exec_lo, s5
	v_mov_b32_e32 v4, 0
	s_and_saveexec_b32 s5, s4
	s_cbranch_execnz .LBB264_12
	s_branch .LBB264_13
.LBB264_266:
	s_mov_b32 s7, -1
	s_mov_b32 s9, exec_lo
	v_cmpx_eq_u16_e32 0x80, v4
; %bb.267:
	s_xor_b32 s7, exec_lo, -1
; %bb.268:
	s_or_b32 exec_lo, exec_lo, s9
	s_delay_alu instid0(SALU_CYCLE_1)
	s_and_b32 s7, s7, exec_lo
	s_or_saveexec_b32 s8, s8
	v_mov_b32_e32 v5, 0x7f800001
	s_xor_b32 exec_lo, exec_lo, s8
	s_cbranch_execz .LBB264_199
.LBB264_269:
	v_cmp_ne_u16_e32 vcc_lo, 0, v4
	v_mov_b32_e32 v5, 0
	s_and_not1_b32 s7, s7, exec_lo
	s_and_b32 s9, vcc_lo, exec_lo
	s_delay_alu instid0(SALU_CYCLE_1)
	s_or_b32 s7, s7, s9
	s_or_b32 exec_lo, exec_lo, s8
	s_and_saveexec_b32 s8, s7
	s_cbranch_execnz .LBB264_200
	s_branch .LBB264_201
.LBB264_270:
	v_bfe_u32 v3, v2, 21, 1
	s_mov_b32 s6, exec_lo
	s_delay_alu instid0(VALU_DEP_1) | instskip(NEXT) | instid1(VALU_DEP_1)
	v_add3_u32 v3, v2, v3, 0x88fffff
	v_lshrrev_b32_e32 v3, 21, v3
	s_and_not1_saveexec_b32 s7, s7
	s_cbranch_execz .LBB264_40
.LBB264_271:
	v_add_f32_e64 v3, 0x42800000, |v2|
	s_and_not1_b32 s6, s6, exec_lo
	s_delay_alu instid0(VALU_DEP_1) | instskip(NEXT) | instid1(VALU_DEP_1)
	v_and_b32_e32 v3, 0xff, v3
	v_cmp_ne_u32_e32 vcc_lo, 0, v3
	s_and_b32 s8, vcc_lo, exec_lo
	s_delay_alu instid0(SALU_CYCLE_1)
	s_or_b32 s6, s6, s8
	s_or_b32 exec_lo, exec_lo, s7
	v_mov_b32_e32 v4, 0
	s_and_saveexec_b32 s7, s6
	s_cbranch_execnz .LBB264_41
	s_branch .LBB264_42
.LBB264_272:
	v_bfe_u32 v3, v2, 21, 1
	s_mov_b32 s6, exec_lo
	s_delay_alu instid0(VALU_DEP_1) | instskip(NEXT) | instid1(VALU_DEP_1)
	v_add3_u32 v3, v2, v3, 0x88fffff
	v_lshrrev_b32_e32 v3, 21, v3
	s_and_not1_saveexec_b32 s7, s7
	s_cbranch_execz .LBB264_68
.LBB264_273:
	v_add_f32_e64 v3, 0x42800000, |v2|
	s_and_not1_b32 s6, s6, exec_lo
	s_delay_alu instid0(VALU_DEP_1) | instskip(NEXT) | instid1(VALU_DEP_1)
	v_and_b32_e32 v3, 0xff, v3
	v_cmp_ne_u32_e32 vcc_lo, 0, v3
	s_and_b32 s8, vcc_lo, exec_lo
	s_delay_alu instid0(SALU_CYCLE_1)
	s_or_b32 s6, s6, s8
	s_or_b32 exec_lo, exec_lo, s7
	v_mov_b32_e32 v4, 0
	s_and_saveexec_b32 s7, s6
	s_cbranch_execnz .LBB264_69
	s_branch .LBB264_70
.LBB264_274:
	v_bfe_u32 v3, v2, 21, 1
	s_mov_b32 s6, exec_lo
	s_delay_alu instid0(VALU_DEP_1) | instskip(NEXT) | instid1(VALU_DEP_1)
	v_add3_u32 v3, v2, v3, 0x88fffff
	v_lshrrev_b32_e32 v3, 21, v3
	s_and_not1_saveexec_b32 s7, s7
	s_cbranch_execz .LBB264_98
.LBB264_275:
	v_add_f32_e64 v3, 0x42800000, |v2|
	s_and_not1_b32 s6, s6, exec_lo
	s_delay_alu instid0(VALU_DEP_1) | instskip(NEXT) | instid1(VALU_DEP_1)
	v_and_b32_e32 v3, 0xff, v3
	v_cmp_ne_u32_e32 vcc_lo, 0, v3
	s_and_b32 s8, vcc_lo, exec_lo
	s_delay_alu instid0(SALU_CYCLE_1)
	s_or_b32 s6, s6, s8
	s_or_b32 exec_lo, exec_lo, s7
	v_mov_b32_e32 v4, 0
	s_and_saveexec_b32 s7, s6
	s_cbranch_execnz .LBB264_99
	s_branch .LBB264_100
.LBB264_276:
	v_bfe_u32 v3, v2, 21, 1
	s_mov_b32 s6, exec_lo
	s_delay_alu instid0(VALU_DEP_1) | instskip(NEXT) | instid1(VALU_DEP_1)
	v_add3_u32 v3, v2, v3, 0x88fffff
	v_lshrrev_b32_e32 v3, 21, v3
	s_and_not1_saveexec_b32 s7, s7
	s_cbranch_execz .LBB264_108
.LBB264_277:
	v_add_f32_e64 v3, 0x42800000, |v2|
	s_and_not1_b32 s6, s6, exec_lo
	s_delay_alu instid0(VALU_DEP_1) | instskip(NEXT) | instid1(VALU_DEP_1)
	v_and_b32_e32 v3, 0xff, v3
	v_cmp_ne_u32_e32 vcc_lo, 0, v3
	s_and_b32 s8, vcc_lo, exec_lo
	s_delay_alu instid0(SALU_CYCLE_1)
	s_or_b32 s6, s6, s8
	s_or_b32 exec_lo, exec_lo, s7
	v_mov_b32_e32 v4, 0
	s_and_saveexec_b32 s7, s6
	s_cbranch_execnz .LBB264_109
	s_branch .LBB264_110
.LBB264_278:
	v_bfe_u32 v2, v3, 21, 1
	s_mov_b32 s6, exec_lo
	s_delay_alu instid0(VALU_DEP_1) | instskip(NEXT) | instid1(VALU_DEP_1)
	v_add3_u32 v2, v3, v2, 0x88fffff
                                        ; implicit-def: $vgpr3
	v_lshrrev_b32_e32 v2, 21, v2
	s_and_not1_saveexec_b32 s7, s7
	s_cbranch_execz .LBB264_116
.LBB264_279:
	v_add_f32_e32 v2, 0x42800000, v3
	s_and_not1_b32 s6, s6, exec_lo
	s_delay_alu instid0(VALU_DEP_1) | instskip(NEXT) | instid1(VALU_DEP_1)
	v_and_b32_e32 v2, 0xff, v2
	v_cmp_ne_u32_e32 vcc_lo, 0, v2
	s_and_b32 s8, vcc_lo, exec_lo
	s_delay_alu instid0(SALU_CYCLE_1)
	s_or_b32 s6, s6, s8
	s_or_b32 exec_lo, exec_lo, s7
	v_mov_b32_e32 v4, 0
	s_and_saveexec_b32 s7, s6
	s_cbranch_execnz .LBB264_117
	s_branch .LBB264_118
.LBB264_280:
	v_bfe_u32 v4, v5, 21, 1
	s_mov_b32 s8, exec_lo
	s_delay_alu instid0(VALU_DEP_1) | instskip(NEXT) | instid1(VALU_DEP_1)
	v_add3_u32 v4, v5, v4, 0x88fffff
	v_lshrrev_b32_e32 v6, 21, v4
	s_and_not1_saveexec_b32 s9, s9
	s_cbranch_execz .LBB264_204
.LBB264_281:
	v_add_f32_e64 v4, 0x42800000, |v5|
	s_and_not1_b32 s8, s8, exec_lo
	s_delay_alu instid0(VALU_DEP_1) | instskip(NEXT) | instid1(VALU_DEP_1)
	v_and_b32_e32 v6, 0xff, v4
	v_cmp_ne_u32_e32 vcc_lo, 0, v6
	s_and_b32 s10, vcc_lo, exec_lo
	s_delay_alu instid0(SALU_CYCLE_1)
	s_or_b32 s8, s8, s10
	s_or_b32 exec_lo, exec_lo, s9
	v_mov_b32_e32 v4, 0
	s_and_saveexec_b32 s9, s8
	s_cbranch_execnz .LBB264_205
	s_branch .LBB264_206
.LBB264_282:
	v_bfe_u32 v4, v7, 21, 1
	s_mov_b32 s7, exec_lo
	s_delay_alu instid0(VALU_DEP_1) | instskip(NEXT) | instid1(VALU_DEP_1)
	v_add3_u32 v4, v5, v4, 0x88fffff
	v_lshrrev_b32_e32 v6, 21, v4
	s_and_not1_saveexec_b32 s8, s8
	s_cbranch_execz .LBB264_227
.LBB264_283:
	v_add_f32_e64 v4, 0x42800000, |v5|
	s_and_not1_b32 s7, s7, exec_lo
	s_delay_alu instid0(VALU_DEP_1) | instskip(NEXT) | instid1(VALU_DEP_1)
	v_and_b32_e32 v6, 0xff, v4
	v_cmp_ne_u32_e32 vcc_lo, 0, v6
	s_and_b32 s9, vcc_lo, exec_lo
	s_delay_alu instid0(SALU_CYCLE_1)
	s_or_b32 s7, s7, s9
	s_or_b32 exec_lo, exec_lo, s8
	v_mov_b32_e32 v4, 0
	s_and_saveexec_b32 s8, s7
	s_cbranch_execnz .LBB264_228
	s_branch .LBB264_229
.LBB264_284:
	v_bfe_u32 v3, v2, 21, 1
	s_mov_b32 s7, exec_lo
	s_delay_alu instid0(VALU_DEP_1) | instskip(NEXT) | instid1(VALU_DEP_1)
	v_add3_u32 v3, v2, v3, 0x88fffff
	v_lshrrev_b32_e32 v3, 21, v3
	s_and_not1_saveexec_b32 s8, s8
	s_cbranch_execz .LBB264_23
.LBB264_285:
	v_add_f32_e64 v3, 0x42800000, |v2|
	s_and_not1_b32 s7, s7, exec_lo
	s_delay_alu instid0(VALU_DEP_1) | instskip(NEXT) | instid1(VALU_DEP_1)
	v_and_b32_e32 v3, 0xff, v3
	v_cmp_ne_u32_e32 vcc_lo, 0, v3
	s_and_b32 s9, vcc_lo, exec_lo
	s_delay_alu instid0(SALU_CYCLE_1)
	s_or_b32 s7, s7, s9
	s_or_b32 exec_lo, exec_lo, s8
	v_mov_b32_e32 v4, 0
	s_and_saveexec_b32 s8, s7
	s_cbranch_execnz .LBB264_24
	s_branch .LBB264_25
.LBB264_286:
	v_bfe_u32 v3, v2, 21, 1
	s_mov_b32 s7, exec_lo
	s_delay_alu instid0(VALU_DEP_1) | instskip(NEXT) | instid1(VALU_DEP_1)
	v_add3_u32 v3, v2, v3, 0x88fffff
	v_lshrrev_b32_e32 v3, 21, v3
	s_and_not1_saveexec_b32 s8, s8
	s_cbranch_execz .LBB264_31
.LBB264_287:
	v_add_f32_e64 v3, 0x42800000, |v2|
	s_and_not1_b32 s7, s7, exec_lo
	s_delay_alu instid0(VALU_DEP_1) | instskip(NEXT) | instid1(VALU_DEP_1)
	v_and_b32_e32 v3, 0xff, v3
	v_cmp_ne_u32_e32 vcc_lo, 0, v3
	s_and_b32 s9, vcc_lo, exec_lo
	s_delay_alu instid0(SALU_CYCLE_1)
	s_or_b32 s7, s7, s9
	s_or_b32 exec_lo, exec_lo, s8
	v_mov_b32_e32 v4, 0
	s_and_saveexec_b32 s8, s7
	s_cbranch_execnz .LBB264_32
	s_branch .LBB264_33
.LBB264_288:
	v_bfe_u32 v3, v2, 21, 1
	s_mov_b32 s7, exec_lo
	s_delay_alu instid0(VALU_DEP_1) | instskip(NEXT) | instid1(VALU_DEP_1)
	v_add3_u32 v3, v2, v3, 0x88fffff
	v_lshrrev_b32_e32 v3, 21, v3
	s_and_not1_saveexec_b32 s8, s8
	s_cbranch_execz .LBB264_51
.LBB264_289:
	v_add_f32_e64 v3, 0x42800000, |v2|
	s_and_not1_b32 s7, s7, exec_lo
	s_delay_alu instid0(VALU_DEP_1) | instskip(NEXT) | instid1(VALU_DEP_1)
	v_and_b32_e32 v3, 0xff, v3
	v_cmp_ne_u32_e32 vcc_lo, 0, v3
	s_and_b32 s9, vcc_lo, exec_lo
	s_delay_alu instid0(SALU_CYCLE_1)
	s_or_b32 s7, s7, s9
	s_or_b32 exec_lo, exec_lo, s8
	v_mov_b32_e32 v4, 0
	s_and_saveexec_b32 s8, s7
	s_cbranch_execnz .LBB264_52
	s_branch .LBB264_53
.LBB264_290:
	v_bfe_u32 v3, v2, 21, 1
	s_mov_b32 s7, exec_lo
	s_delay_alu instid0(VALU_DEP_1) | instskip(NEXT) | instid1(VALU_DEP_1)
	v_add3_u32 v3, v2, v3, 0x88fffff
	v_lshrrev_b32_e32 v3, 21, v3
	s_and_not1_saveexec_b32 s8, s8
	s_cbranch_execz .LBB264_59
.LBB264_291:
	v_add_f32_e64 v3, 0x42800000, |v2|
	s_and_not1_b32 s7, s7, exec_lo
	s_delay_alu instid0(VALU_DEP_1) | instskip(NEXT) | instid1(VALU_DEP_1)
	v_and_b32_e32 v3, 0xff, v3
	v_cmp_ne_u32_e32 vcc_lo, 0, v3
	s_and_b32 s9, vcc_lo, exec_lo
	s_delay_alu instid0(SALU_CYCLE_1)
	s_or_b32 s7, s7, s9
	s_or_b32 exec_lo, exec_lo, s8
	v_mov_b32_e32 v4, 0
	s_and_saveexec_b32 s8, s7
	s_cbranch_execnz .LBB264_60
	s_branch .LBB264_61
.LBB264_292:
	v_bfe_u32 v3, v2, 21, 1
	s_mov_b32 s7, exec_lo
	s_delay_alu instid0(VALU_DEP_1) | instskip(NEXT) | instid1(VALU_DEP_1)
	v_add3_u32 v3, v2, v3, 0x88fffff
	v_lshrrev_b32_e32 v3, 21, v3
	s_and_not1_saveexec_b32 s8, s8
	s_cbranch_execz .LBB264_81
.LBB264_293:
	v_add_f32_e64 v3, 0x42800000, |v2|
	s_and_not1_b32 s7, s7, exec_lo
	s_delay_alu instid0(VALU_DEP_1) | instskip(NEXT) | instid1(VALU_DEP_1)
	v_and_b32_e32 v3, 0xff, v3
	v_cmp_ne_u32_e32 vcc_lo, 0, v3
	s_and_b32 s9, vcc_lo, exec_lo
	s_delay_alu instid0(SALU_CYCLE_1)
	s_or_b32 s7, s7, s9
	s_or_b32 exec_lo, exec_lo, s8
	v_mov_b32_e32 v4, 0
	s_and_saveexec_b32 s8, s7
	s_cbranch_execnz .LBB264_82
	s_branch .LBB264_83
.LBB264_294:
	v_bfe_u32 v3, v2, 21, 1
	s_mov_b32 s7, exec_lo
	s_delay_alu instid0(VALU_DEP_1) | instskip(NEXT) | instid1(VALU_DEP_1)
	v_add3_u32 v3, v2, v3, 0x88fffff
	v_lshrrev_b32_e32 v3, 21, v3
	s_and_not1_saveexec_b32 s8, s8
	s_cbranch_execz .LBB264_89
.LBB264_295:
	v_add_f32_e64 v3, 0x42800000, |v2|
	s_and_not1_b32 s7, s7, exec_lo
	s_delay_alu instid0(VALU_DEP_1) | instskip(NEXT) | instid1(VALU_DEP_1)
	v_and_b32_e32 v3, 0xff, v3
	v_cmp_ne_u32_e32 vcc_lo, 0, v3
	s_and_b32 s9, vcc_lo, exec_lo
	s_delay_alu instid0(SALU_CYCLE_1)
	s_or_b32 s7, s7, s9
	s_or_b32 exec_lo, exec_lo, s8
	v_mov_b32_e32 v4, 0
	s_and_saveexec_b32 s8, s7
	s_cbranch_execnz .LBB264_90
	s_branch .LBB264_91
.LBB264_296:
	v_bfe_u32 v4, v6, 21, 1
	s_mov_b32 s9, exec_lo
	s_delay_alu instid0(VALU_DEP_1) | instskip(NEXT) | instid1(VALU_DEP_1)
	v_add3_u32 v4, v6, v4, 0x88fffff
                                        ; implicit-def: $vgpr6
	v_lshrrev_b32_e32 v5, 21, v4
	s_and_not1_saveexec_b32 s10, s10
	s_cbranch_execz .LBB264_171
.LBB264_297:
	v_add_f32_e32 v4, 0x42800000, v6
	s_and_not1_b32 s9, s9, exec_lo
	s_delay_alu instid0(VALU_DEP_1) | instskip(NEXT) | instid1(VALU_DEP_1)
	v_and_b32_e32 v5, 0xff, v4
	v_cmp_ne_u32_e32 vcc_lo, 0, v5
	s_and_b32 s11, vcc_lo, exec_lo
	s_delay_alu instid0(SALU_CYCLE_1)
	s_or_b32 s9, s9, s11
	s_or_b32 exec_lo, exec_lo, s10
	v_mov_b32_e32 v4, 0
	s_and_saveexec_b32 s10, s9
	s_cbranch_execnz .LBB264_172
	s_branch .LBB264_173
.LBB264_298:
	v_bfe_u32 v4, v6, 21, 1
	s_mov_b32 s9, exec_lo
	s_delay_alu instid0(VALU_DEP_1) | instskip(NEXT) | instid1(VALU_DEP_1)
	v_add3_u32 v4, v6, v4, 0x88fffff
                                        ; implicit-def: $vgpr6
	v_lshrrev_b32_e32 v5, 21, v4
	s_and_not1_saveexec_b32 s10, s10
	s_cbranch_execz .LBB264_183
.LBB264_299:
	v_add_f32_e32 v4, 0x42800000, v6
	s_and_not1_b32 s9, s9, exec_lo
	s_delay_alu instid0(VALU_DEP_1) | instskip(NEXT) | instid1(VALU_DEP_1)
	v_and_b32_e32 v5, 0xff, v4
	v_cmp_ne_u32_e32 vcc_lo, 0, v5
	s_and_b32 s11, vcc_lo, exec_lo
	s_delay_alu instid0(SALU_CYCLE_1)
	s_or_b32 s9, s9, s11
	s_or_b32 exec_lo, exec_lo, s10
	v_mov_b32_e32 v4, 0
	s_and_saveexec_b32 s10, s9
	s_cbranch_execnz .LBB264_184
	s_branch .LBB264_185
.LBB264_300:
	v_bfe_u32 v4, v6, 21, 1
	s_mov_b32 s9, exec_lo
	s_delay_alu instid0(VALU_DEP_1) | instskip(NEXT) | instid1(VALU_DEP_1)
	v_add3_u32 v4, v6, v4, 0x88fffff
                                        ; implicit-def: $vgpr6
	v_lshrrev_b32_e32 v5, 21, v4
	s_and_not1_saveexec_b32 s10, s10
	s_cbranch_execz .LBB264_191
.LBB264_301:
	v_add_f32_e32 v4, 0x42800000, v6
	s_and_not1_b32 s9, s9, exec_lo
	s_delay_alu instid0(VALU_DEP_1) | instskip(NEXT) | instid1(VALU_DEP_1)
	v_and_b32_e32 v5, 0xff, v4
	v_cmp_ne_u32_e32 vcc_lo, 0, v5
	s_and_b32 s11, vcc_lo, exec_lo
	s_delay_alu instid0(SALU_CYCLE_1)
	s_or_b32 s9, s9, s11
	s_or_b32 exec_lo, exec_lo, s10
	v_mov_b32_e32 v4, 0
	s_and_saveexec_b32 s10, s9
	s_cbranch_execnz .LBB264_192
	s_branch .LBB264_193
.LBB264_302:
	v_bfe_u32 v4, v7, 21, 1
	s_mov_b32 s8, exec_lo
	s_delay_alu instid0(VALU_DEP_1) | instskip(NEXT) | instid1(VALU_DEP_1)
	v_add3_u32 v4, v5, v4, 0x88fffff
	v_lshrrev_b32_e32 v6, 21, v4
	s_and_not1_saveexec_b32 s9, s9
	s_cbranch_execz .LBB264_218
.LBB264_303:
	v_add_f32_e64 v4, 0x42800000, |v5|
	s_and_not1_b32 s8, s8, exec_lo
	s_delay_alu instid0(VALU_DEP_1) | instskip(NEXT) | instid1(VALU_DEP_1)
	v_and_b32_e32 v6, 0xff, v4
	v_cmp_ne_u32_e32 vcc_lo, 0, v6
	s_and_b32 s10, vcc_lo, exec_lo
	s_delay_alu instid0(SALU_CYCLE_1)
	s_or_b32 s8, s8, s10
	s_or_b32 exec_lo, exec_lo, s9
	v_mov_b32_e32 v4, 0
	s_and_saveexec_b32 s9, s8
	s_cbranch_execnz .LBB264_219
	s_branch .LBB264_220
.LBB264_304:
	v_bfe_u32 v4, v5, 5, 1
	s_mov_b32 s9, exec_lo
	s_delay_alu instid0(VALU_DEP_1) | instskip(NEXT) | instid1(VALU_DEP_1)
	v_add3_u32 v4, v7, v4, 0x88fffff
                                        ; implicit-def: $vgpr7
	v_lshrrev_b32_e32 v6, 21, v4
	s_and_not1_saveexec_b32 s10, s10
	s_cbranch_execz .LBB264_238
.LBB264_305:
	v_add_f32_e64 v4, 0x42800000, |v7|
	s_and_not1_b32 s9, s9, exec_lo
	s_delay_alu instid0(VALU_DEP_1) | instskip(NEXT) | instid1(VALU_DEP_1)
	v_and_b32_e32 v6, 0xff, v4
	v_cmp_ne_u32_e32 vcc_lo, 0, v6
	s_and_b32 s11, vcc_lo, exec_lo
	s_delay_alu instid0(SALU_CYCLE_1)
	s_or_b32 s9, s9, s11
	s_or_b32 exec_lo, exec_lo, s10
	v_mov_b32_e32 v4, 0
	s_and_saveexec_b32 s10, s9
	s_cbranch_execnz .LBB264_239
	s_branch .LBB264_240
.LBB264_306:
	v_bfe_u32 v4, v5, 21, 1
	s_mov_b32 s8, exec_lo
	s_delay_alu instid0(VALU_DEP_1) | instskip(NEXT) | instid1(VALU_DEP_1)
	v_add3_u32 v4, v5, v4, 0x88fffff
	v_lshrrev_b32_e32 v6, 21, v4
	s_and_not1_saveexec_b32 s9, s9
	s_cbranch_execz .LBB264_150
.LBB264_307:
	v_add_f32_e64 v4, 0x42800000, |v5|
	s_and_not1_b32 s8, s8, exec_lo
	s_delay_alu instid0(VALU_DEP_1) | instskip(NEXT) | instid1(VALU_DEP_1)
	v_and_b32_e32 v6, 0xff, v4
	v_cmp_ne_u32_e32 vcc_lo, 0, v6
	s_and_b32 s10, vcc_lo, exec_lo
	s_delay_alu instid0(SALU_CYCLE_1)
	s_or_b32 s8, s8, s10
	s_or_b32 exec_lo, exec_lo, s9
	v_mov_b32_e32 v4, 0
	s_and_saveexec_b32 s9, s8
	s_cbranch_execnz .LBB264_151
	s_branch .LBB264_152
.LBB264_308:
	v_bfe_u32 v4, v6, 21, 1
	s_mov_b32 s10, exec_lo
	s_delay_alu instid0(VALU_DEP_1) | instskip(NEXT) | instid1(VALU_DEP_1)
	v_add3_u32 v4, v6, v4, 0x88fffff
                                        ; implicit-def: $vgpr6
	v_lshrrev_b32_e32 v5, 21, v4
	s_and_not1_saveexec_b32 s11, s11
	s_cbranch_execz .LBB264_160
.LBB264_309:
	v_add_f32_e32 v4, 0x42800000, v6
	s_and_not1_b32 s10, s10, exec_lo
	s_delay_alu instid0(VALU_DEP_1) | instskip(NEXT) | instid1(VALU_DEP_1)
	v_and_b32_e32 v5, 0xff, v4
	v_cmp_ne_u32_e32 vcc_lo, 0, v5
	s_and_b32 s12, vcc_lo, exec_lo
	s_delay_alu instid0(SALU_CYCLE_1)
	s_or_b32 s10, s10, s12
	s_or_b32 exec_lo, exec_lo, s11
	v_mov_b32_e32 v4, 0
	s_and_saveexec_b32 s11, s10
	s_cbranch_execnz .LBB264_161
	s_branch .LBB264_162
.Lfunc_end264:
	.size	_ZN2at6native6invokeINS0_13AUnaryFunctorIN3c1015Float8_e5m2fnuzES4_bNS0_12_GLOBAL__N_116CompareEqFunctorIS4_EEEEj15function_traitsIS8_EEENT1_11result_typeERKT_PrKPcPKT0_PKNS3_10ScalarTypeEi, .Lfunc_end264-_ZN2at6native6invokeINS0_13AUnaryFunctorIN3c1015Float8_e5m2fnuzES4_bNS0_12_GLOBAL__N_116CompareEqFunctorIS4_EEEEj15function_traitsIS8_EEENT1_11result_typeERKT_PrKPcPKT0_PKNS3_10ScalarTypeEi
                                        ; -- End function
	.set .L_ZN2at6native6invokeINS0_13AUnaryFunctorIN3c1015Float8_e5m2fnuzES4_bNS0_12_GLOBAL__N_116CompareEqFunctorIS4_EEEEj15function_traitsIS8_EEENT1_11result_typeERKT_PrKPcPKT0_PKNS3_10ScalarTypeEi.num_vgpr, 10
	.set .L_ZN2at6native6invokeINS0_13AUnaryFunctorIN3c1015Float8_e5m2fnuzES4_bNS0_12_GLOBAL__N_116CompareEqFunctorIS4_EEEEj15function_traitsIS8_EEENT1_11result_typeERKT_PrKPcPKT0_PKNS3_10ScalarTypeEi.num_agpr, 0
	.set .L_ZN2at6native6invokeINS0_13AUnaryFunctorIN3c1015Float8_e5m2fnuzES4_bNS0_12_GLOBAL__N_116CompareEqFunctorIS4_EEEEj15function_traitsIS8_EEENT1_11result_typeERKT_PrKPcPKT0_PKNS3_10ScalarTypeEi.numbered_sgpr, 32
	.set .L_ZN2at6native6invokeINS0_13AUnaryFunctorIN3c1015Float8_e5m2fnuzES4_bNS0_12_GLOBAL__N_116CompareEqFunctorIS4_EEEEj15function_traitsIS8_EEENT1_11result_typeERKT_PrKPcPKT0_PKNS3_10ScalarTypeEi.num_named_barrier, 0
	.set .L_ZN2at6native6invokeINS0_13AUnaryFunctorIN3c1015Float8_e5m2fnuzES4_bNS0_12_GLOBAL__N_116CompareEqFunctorIS4_EEEEj15function_traitsIS8_EEENT1_11result_typeERKT_PrKPcPKT0_PKNS3_10ScalarTypeEi.private_seg_size, 0
	.set .L_ZN2at6native6invokeINS0_13AUnaryFunctorIN3c1015Float8_e5m2fnuzES4_bNS0_12_GLOBAL__N_116CompareEqFunctorIS4_EEEEj15function_traitsIS8_EEENT1_11result_typeERKT_PrKPcPKT0_PKNS3_10ScalarTypeEi.uses_vcc, 1
	.set .L_ZN2at6native6invokeINS0_13AUnaryFunctorIN3c1015Float8_e5m2fnuzES4_bNS0_12_GLOBAL__N_116CompareEqFunctorIS4_EEEEj15function_traitsIS8_EEENT1_11result_typeERKT_PrKPcPKT0_PKNS3_10ScalarTypeEi.uses_flat_scratch, 0
	.set .L_ZN2at6native6invokeINS0_13AUnaryFunctorIN3c1015Float8_e5m2fnuzES4_bNS0_12_GLOBAL__N_116CompareEqFunctorIS4_EEEEj15function_traitsIS8_EEENT1_11result_typeERKT_PrKPcPKT0_PKNS3_10ScalarTypeEi.has_dyn_sized_stack, 0
	.set .L_ZN2at6native6invokeINS0_13AUnaryFunctorIN3c1015Float8_e5m2fnuzES4_bNS0_12_GLOBAL__N_116CompareEqFunctorIS4_EEEEj15function_traitsIS8_EEENT1_11result_typeERKT_PrKPcPKT0_PKNS3_10ScalarTypeEi.has_recursion, 0
	.set .L_ZN2at6native6invokeINS0_13AUnaryFunctorIN3c1015Float8_e5m2fnuzES4_bNS0_12_GLOBAL__N_116CompareEqFunctorIS4_EEEEj15function_traitsIS8_EEENT1_11result_typeERKT_PrKPcPKT0_PKNS3_10ScalarTypeEi.has_indirect_call, 0
	.section	.AMDGPU.csdata,"",@progbits
; Function info:
; codeLenInByte = 8036
; TotalNumSgprs: 34
; NumVgprs: 10
; ScratchSize: 0
; MemoryBound: 0
	.section	.text._ZN2at6native32elementwise_kernel_manual_unrollILi128ELi4EZNS0_15gpu_kernel_implINS0_13AUnaryFunctorIN3c1015Float8_e5m2fnuzES5_bNS0_12_GLOBAL__N_116CompareEqFunctorIS5_EEEEEEvRNS_18TensorIteratorBaseERKT_EUlibE0_EEviT1_,"axG",@progbits,_ZN2at6native32elementwise_kernel_manual_unrollILi128ELi4EZNS0_15gpu_kernel_implINS0_13AUnaryFunctorIN3c1015Float8_e5m2fnuzES5_bNS0_12_GLOBAL__N_116CompareEqFunctorIS5_EEEEEEvRNS_18TensorIteratorBaseERKT_EUlibE0_EEviT1_,comdat
	.globl	_ZN2at6native32elementwise_kernel_manual_unrollILi128ELi4EZNS0_15gpu_kernel_implINS0_13AUnaryFunctorIN3c1015Float8_e5m2fnuzES5_bNS0_12_GLOBAL__N_116CompareEqFunctorIS5_EEEEEEvRNS_18TensorIteratorBaseERKT_EUlibE0_EEviT1_ ; -- Begin function _ZN2at6native32elementwise_kernel_manual_unrollILi128ELi4EZNS0_15gpu_kernel_implINS0_13AUnaryFunctorIN3c1015Float8_e5m2fnuzES5_bNS0_12_GLOBAL__N_116CompareEqFunctorIS5_EEEEEEvRNS_18TensorIteratorBaseERKT_EUlibE0_EEviT1_
	.p2align	8
	.type	_ZN2at6native32elementwise_kernel_manual_unrollILi128ELi4EZNS0_15gpu_kernel_implINS0_13AUnaryFunctorIN3c1015Float8_e5m2fnuzES5_bNS0_12_GLOBAL__N_116CompareEqFunctorIS5_EEEEEEvRNS_18TensorIteratorBaseERKT_EUlibE0_EEviT1_,@function
_ZN2at6native32elementwise_kernel_manual_unrollILi128ELi4EZNS0_15gpu_kernel_implINS0_13AUnaryFunctorIN3c1015Float8_e5m2fnuzES5_bNS0_12_GLOBAL__N_116CompareEqFunctorIS5_EEEEEEvRNS_18TensorIteratorBaseERKT_EUlibE0_EEviT1_: ; @_ZN2at6native32elementwise_kernel_manual_unrollILi128ELi4EZNS0_15gpu_kernel_implINS0_13AUnaryFunctorIN3c1015Float8_e5m2fnuzES5_bNS0_12_GLOBAL__N_116CompareEqFunctorIS5_EEEEEEvRNS_18TensorIteratorBaseERKT_EUlibE0_EEviT1_
; %bb.0:
	s_clause 0x1
	s_load_b32 s13, s[0:1], 0x8
	s_load_b32 s47, s[0:1], 0x0
	s_bfe_u32 s2, ttmp6, 0x4000c
	s_and_b32 s3, ttmp6, 15
	s_add_co_i32 s2, s2, 1
	s_getreg_b32 s4, hwreg(HW_REG_IB_STS2, 6, 4)
	s_mul_i32 s2, ttmp9, s2
	s_mov_b32 s39, 0
	s_add_co_i32 s3, s3, s2
	s_cmp_eq_u32 s4, 0
	s_add_nc_u64 s[28:29], s[0:1], 8
	s_cselect_b32 s2, ttmp9, s3
	s_mov_b32 s3, -1
	v_lshl_or_b32 v10, s2, 9, v0
	s_mov_b32 s20, 0
	s_mov_b32 s32, 0
	s_wait_xcnt 0x0
	s_mov_b32 s0, exec_lo
	v_or_b32_e32 v2, 0x180, v10
	s_wait_kmcnt 0x0
	s_add_co_i32 s33, s13, -1
	s_delay_alu instid0(SALU_CYCLE_1)
	s_cmp_gt_u32 s33, 1
	s_cselect_b32 s44, -1, 0
	v_cmpx_le_i32_e64 s47, v2
	s_xor_b32 s45, exec_lo, s0
	s_cbranch_execz .LBB265_570
; %bb.1:
	s_clause 0x4
	s_load_b128 s[20:23], s[28:29], 0x4
	s_load_b64 s[34:35], s[28:29], 0x14
	s_load_b96 s[36:38], s[28:29], 0x158
	s_load_b128 s[24:27], s[28:29], 0xc4
	s_load_b128 s[16:19], s[28:29], 0x148
	s_cmp_lg_u32 s13, 0
	s_mov_b32 s15, 0
	s_cselect_b32 s49, -1, 0
	s_min_u32 s48, s33, 15
	s_cmp_gt_u32 s13, 1
	s_add_nc_u64 s[42:43], s[28:29], 0xc4
	s_mov_b32 s41, s15
	s_cselect_b32 s46, -1, 0
	s_mov_b32 s50, exec_lo
	s_wait_kmcnt 0x0
	s_mov_b32 s14, s21
	s_mov_b32 s40, s34
	s_bfe_u32 s21, s38, 0x80008
	s_mov_b32 s34, s15
	v_cmpx_gt_i32_e64 s47, v10
	s_cbranch_execz .LBB265_138
; %bb.2:
	s_and_not1_b32 vcc_lo, exec_lo, s44
	s_cbranch_vccnz .LBB265_7
; %bb.3:
	s_and_not1_b32 vcc_lo, exec_lo, s49
	s_cbranch_vccnz .LBB265_8
; %bb.4:
	s_add_co_i32 s1, s48, 1
	s_cmp_eq_u32 s33, 2
	s_cbranch_scc1 .LBB265_9
; %bb.5:
	v_dual_mov_b32 v12, 0 :: v_dual_mov_b32 v13, 0
	v_mov_b32_e32 v0, v10
	s_and_b32 s0, s1, 28
	s_mov_b32 s6, 0
	s_mov_b64 s[2:3], s[28:29]
	s_mov_b64 s[4:5], s[42:43]
.LBB265_6:                              ; =>This Inner Loop Header: Depth=1
	s_clause 0x1
	s_load_b256 s[52:59], s[2:3], 0x4
	s_load_b128 s[8:11], s[2:3], 0x24
	s_load_b256 s[60:67], s[4:5], 0x0
	s_add_co_i32 s6, s6, 4
	s_wait_xcnt 0x0
	s_add_nc_u64 s[2:3], s[2:3], 48
	s_cmp_lg_u32 s0, s6
	s_add_nc_u64 s[4:5], s[4:5], 32
	s_wait_kmcnt 0x0
	v_mul_hi_u32 v1, s53, v0
	s_delay_alu instid0(VALU_DEP_1) | instskip(NEXT) | instid1(VALU_DEP_1)
	v_add_nc_u32_e32 v1, v0, v1
	v_lshrrev_b32_e32 v1, s54, v1
	s_delay_alu instid0(VALU_DEP_1) | instskip(NEXT) | instid1(VALU_DEP_1)
	v_mul_hi_u32 v2, s56, v1
	v_add_nc_u32_e32 v2, v1, v2
	s_delay_alu instid0(VALU_DEP_1) | instskip(NEXT) | instid1(VALU_DEP_1)
	v_lshrrev_b32_e32 v2, s57, v2
	v_mul_hi_u32 v3, s59, v2
	s_delay_alu instid0(VALU_DEP_1) | instskip(SKIP_1) | instid1(VALU_DEP_1)
	v_add_nc_u32_e32 v3, v2, v3
	v_mul_lo_u32 v4, v1, s52
	v_sub_nc_u32_e32 v0, v0, v4
	v_mul_lo_u32 v4, v2, s55
	s_delay_alu instid0(VALU_DEP_4) | instskip(NEXT) | instid1(VALU_DEP_3)
	v_lshrrev_b32_e32 v3, s8, v3
	v_mad_u32 v6, v0, s61, v13
	v_mad_u32 v0, v0, s60, v12
	s_delay_alu instid0(VALU_DEP_4) | instskip(NEXT) | instid1(VALU_DEP_4)
	v_sub_nc_u32_e32 v1, v1, v4
	v_mul_hi_u32 v5, s10, v3
	v_mul_lo_u32 v4, v3, s58
	s_delay_alu instid0(VALU_DEP_3) | instskip(SKIP_1) | instid1(VALU_DEP_3)
	v_mad_u32 v6, v1, s63, v6
	v_mad_u32 v1, v1, s62, v0
	v_dual_add_nc_u32 v5, v3, v5 :: v_dual_sub_nc_u32 v2, v2, v4
	s_delay_alu instid0(VALU_DEP_1) | instskip(NEXT) | instid1(VALU_DEP_2)
	v_lshrrev_b32_e32 v0, s11, v5
	v_mad_u32 v5, v2, s65, v6
	s_delay_alu instid0(VALU_DEP_4) | instskip(NEXT) | instid1(VALU_DEP_3)
	v_mad_u32 v1, v2, s64, v1
	v_mul_lo_u32 v4, v0, s9
	s_delay_alu instid0(VALU_DEP_1) | instskip(NEXT) | instid1(VALU_DEP_1)
	v_sub_nc_u32_e32 v2, v3, v4
	v_mad_u32 v13, v2, s67, v5
	s_delay_alu instid0(VALU_DEP_4)
	v_mad_u32 v12, v2, s66, v1
	s_cbranch_scc1 .LBB265_6
	s_branch .LBB265_10
.LBB265_7:
                                        ; implicit-def: $vgpr13
	s_branch .LBB265_14
.LBB265_8:
	v_dual_mov_b32 v13, 0 :: v_dual_mov_b32 v12, 0
	s_branch .LBB265_13
.LBB265_9:
	v_mov_b64_e32 v[12:13], 0
	v_mov_b32_e32 v0, v10
	s_mov_b32 s0, 0
.LBB265_10:
	s_and_b32 s4, s1, 3
	s_mov_b32 s1, 0
	s_cmp_eq_u32 s4, 0
	s_cbranch_scc1 .LBB265_13
; %bb.11:
	s_lshl_b32 s2, s0, 3
	s_mov_b32 s3, s1
	s_mul_u64 s[6:7], s[0:1], 12
	s_add_nc_u64 s[2:3], s[28:29], s[2:3]
	s_delay_alu instid0(SALU_CYCLE_1)
	s_add_nc_u64 s[0:1], s[2:3], 0xc4
	s_add_nc_u64 s[2:3], s[28:29], s[6:7]
.LBB265_12:                             ; =>This Inner Loop Header: Depth=1
	s_load_b96 s[8:10], s[2:3], 0x4
	s_load_b64 s[6:7], s[0:1], 0x0
	s_add_co_i32 s4, s4, -1
	s_wait_xcnt 0x0
	s_add_nc_u64 s[2:3], s[2:3], 12
	s_cmp_lg_u32 s4, 0
	s_add_nc_u64 s[0:1], s[0:1], 8
	s_wait_kmcnt 0x0
	v_mul_hi_u32 v1, s9, v0
	s_delay_alu instid0(VALU_DEP_1) | instskip(NEXT) | instid1(VALU_DEP_1)
	v_add_nc_u32_e32 v1, v0, v1
	v_lshrrev_b32_e32 v1, s10, v1
	s_delay_alu instid0(VALU_DEP_1) | instskip(NEXT) | instid1(VALU_DEP_1)
	v_mul_lo_u32 v2, v1, s8
	v_sub_nc_u32_e32 v0, v0, v2
	s_delay_alu instid0(VALU_DEP_1)
	v_mad_u32 v13, v0, s7, v13
	v_mad_u32 v12, v0, s6, v12
	v_mov_b32_e32 v0, v1
	s_cbranch_scc1 .LBB265_12
.LBB265_13:
	s_cbranch_execnz .LBB265_16
.LBB265_14:
	v_mov_b32_e32 v11, 0
	s_and_not1_b32 vcc_lo, exec_lo, s46
	s_delay_alu instid0(VALU_DEP_1) | instskip(NEXT) | instid1(VALU_DEP_1)
	v_mul_u64_e32 v[0:1], s[14:15], v[10:11]
	v_add_nc_u32_e32 v0, v10, v1
	s_delay_alu instid0(VALU_DEP_1) | instskip(NEXT) | instid1(VALU_DEP_1)
	v_lshrrev_b32_e32 v0, s22, v0
	v_mul_lo_u32 v1, v0, s20
	s_delay_alu instid0(VALU_DEP_1) | instskip(NEXT) | instid1(VALU_DEP_1)
	v_sub_nc_u32_e32 v1, v10, v1
	v_mul_lo_u32 v13, v1, s25
	v_mul_lo_u32 v12, v1, s24
	s_cbranch_vccnz .LBB265_16
; %bb.15:
	v_mov_b32_e32 v1, v11
	s_delay_alu instid0(VALU_DEP_1) | instskip(NEXT) | instid1(VALU_DEP_1)
	v_mul_u64_e32 v[2:3], s[40:41], v[0:1]
	v_add_nc_u32_e32 v1, v0, v3
	s_delay_alu instid0(VALU_DEP_1) | instskip(NEXT) | instid1(VALU_DEP_1)
	v_lshrrev_b32_e32 v1, s35, v1
	v_mul_lo_u32 v1, v1, s23
	s_delay_alu instid0(VALU_DEP_1) | instskip(NEXT) | instid1(VALU_DEP_1)
	v_sub_nc_u32_e32 v0, v0, v1
	v_mad_u32 v12, v0, s26, v12
	v_mad_u32 v13, v0, s27, v13
.LBB265_16:
	v_dual_mov_b32 v0, s36 :: v_dual_mov_b32 v1, s37
	v_dual_mov_b32 v2, s18 :: v_dual_mov_b32 v3, s19
	s_delay_alu instid0(VALU_DEP_3) | instskip(SKIP_2) | instid1(SALU_CYCLE_1)
	v_dual_mov_b32 v4, v13 :: v_dual_mov_b32 v5, s21
	s_get_pc_i64 s[0:1]
	s_add_nc_u64 s[0:1], s[0:1], _ZN2at6native6invokeINS0_13AUnaryFunctorIN3c1015Float8_e5m2fnuzES4_bNS0_12_GLOBAL__N_116CompareEqFunctorIS4_EEEEj15function_traitsIS8_EEENT1_11result_typeERKT_PrKPcPKT0_PKNS3_10ScalarTypeEi@rel64+4
	s_swap_pc_i64 s[30:31], s[0:1]
	v_dual_mov_b32 v13, 0 :: v_dual_bitop2_b32 v0, 1, v0 bitop3:0x40
	s_and_b32 s2, s38, 0xff
	s_delay_alu instid0(SALU_CYCLE_1) | instskip(NEXT) | instid1(VALU_DEP_1)
	s_cmp_lt_i32 s2, 11
	v_cmp_eq_u32_e64 s0, 1, v0
	s_delay_alu instid0(VALU_DEP_2)
	v_add_nc_u64_e32 v[0:1], s[16:17], v[12:13]
	s_cbranch_scc1 .LBB265_23
; %bb.17:
	s_and_b32 s3, 0xffff, s2
	s_delay_alu instid0(SALU_CYCLE_1)
	s_cmp_gt_i32 s3, 25
	s_cbranch_scc0 .LBB265_26
; %bb.18:
	s_cmp_gt_i32 s3, 28
	s_cbranch_scc0 .LBB265_27
; %bb.19:
	;; [unrolled: 3-line block ×4, first 2 shown]
	s_mov_b32 s5, 0
	s_mov_b32 s1, -1
	s_cmp_eq_u32 s3, 46
	s_mov_b32 s4, 0
	s_cbranch_scc0 .LBB265_30
; %bb.22:
	v_cndmask_b32_e64 v2, 0, 1.0, s0
	s_mov_b32 s4, -1
	s_mov_b32 s1, 0
	s_delay_alu instid0(VALU_DEP_1) | instskip(NEXT) | instid1(VALU_DEP_1)
	v_bfe_u32 v3, v2, 16, 1
	v_add3_u32 v2, v2, v3, 0x7fff
	s_delay_alu instid0(VALU_DEP_1)
	v_lshrrev_b32_e32 v2, 16, v2
	global_store_b32 v[0:1], v2, off
	s_branch .LBB265_30
.LBB265_23:
	s_mov_b32 s1, 0
	s_mov_b32 s4, 0
	s_cbranch_execnz .LBB265_98
.LBB265_24:
	s_and_not1_b32 vcc_lo, exec_lo, s4
	s_cbranch_vccnz .LBB265_136
.LBB265_25:
	v_add_nc_u32_e32 v10, 0x80, v10
	s_mov_b32 s0, -1
	s_branch .LBB265_137
.LBB265_26:
	s_mov_b32 s1, 0
	s_mov_b32 s4, 0
	s_cbranch_execnz .LBB265_57
	s_branch .LBB265_97
.LBB265_27:
	s_mov_b32 s5, -1
	s_mov_b32 s1, 0
	s_mov_b32 s4, 0
	s_branch .LBB265_40
.LBB265_28:
	s_mov_b32 s5, -1
	s_mov_b32 s1, 0
	s_mov_b32 s4, 0
	s_branch .LBB265_36
.LBB265_29:
	s_mov_b32 s5, -1
	s_mov_b32 s1, 0
	s_mov_b32 s4, 0
.LBB265_30:
	s_and_b32 vcc_lo, exec_lo, s5
	s_cbranch_vccz .LBB265_35
; %bb.31:
	s_cmp_eq_u32 s3, 44
	s_mov_b32 s1, -1
	s_cbranch_scc0 .LBB265_35
; %bb.32:
	v_cndmask_b32_e64 v4, 0, 1.0, s0
	s_mov_b32 s4, exec_lo
	s_wait_xcnt 0x0
	s_delay_alu instid0(VALU_DEP_1) | instskip(NEXT) | instid1(VALU_DEP_1)
	v_dual_mov_b32 v3, 0xff :: v_dual_lshrrev_b32 v2, 23, v4
	v_cmpx_ne_u32_e32 0xff, v2
; %bb.33:
	v_and_b32_e32 v3, 0x400000, v4
	v_and_or_b32 v4, 0x3fffff, v4, v2
	s_delay_alu instid0(VALU_DEP_2) | instskip(NEXT) | instid1(VALU_DEP_2)
	v_cmp_ne_u32_e32 vcc_lo, 0, v3
	v_cmp_ne_u32_e64 s1, 0, v4
	s_and_b32 s1, vcc_lo, s1
	s_delay_alu instid0(SALU_CYCLE_1) | instskip(NEXT) | instid1(VALU_DEP_1)
	v_cndmask_b32_e64 v3, 0, 1, s1
	v_add_nc_u32_e32 v3, v2, v3
; %bb.34:
	s_or_b32 exec_lo, exec_lo, s4
	s_mov_b32 s4, -1
	s_mov_b32 s1, 0
	global_store_b8 v[0:1], v3, off
.LBB265_35:
	s_mov_b32 s5, 0
.LBB265_36:
	s_delay_alu instid0(SALU_CYCLE_1)
	s_and_b32 vcc_lo, exec_lo, s5
	s_cbranch_vccz .LBB265_39
; %bb.37:
	s_cmp_eq_u32 s3, 29
	s_mov_b32 s1, -1
	s_cbranch_scc0 .LBB265_39
; %bb.38:
	s_mov_b32 s1, 0
	s_wait_xcnt 0x0
	v_cndmask_b32_e64 v2, 0, 1, s0
	v_mov_b32_e32 v3, s1
	s_mov_b32 s4, -1
	s_mov_b32 s5, 0
	global_store_b64 v[0:1], v[2:3], off
	s_branch .LBB265_40
.LBB265_39:
	s_mov_b32 s5, 0
.LBB265_40:
	s_delay_alu instid0(SALU_CYCLE_1)
	s_and_b32 vcc_lo, exec_lo, s5
	s_cbranch_vccz .LBB265_56
; %bb.41:
	s_cmp_lt_i32 s3, 27
	s_mov_b32 s4, -1
	s_cbranch_scc1 .LBB265_47
; %bb.42:
	s_cmp_gt_i32 s3, 27
	s_cbranch_scc0 .LBB265_44
; %bb.43:
	s_wait_xcnt 0x0
	v_cndmask_b32_e64 v2, 0, 1, s0
	s_mov_b32 s4, 0
	global_store_b32 v[0:1], v2, off
.LBB265_44:
	s_and_not1_b32 vcc_lo, exec_lo, s4
	s_cbranch_vccnz .LBB265_46
; %bb.45:
	s_wait_xcnt 0x0
	v_cndmask_b32_e64 v2, 0, 1, s0
	global_store_b16 v[0:1], v2, off
.LBB265_46:
	s_mov_b32 s4, 0
.LBB265_47:
	s_delay_alu instid0(SALU_CYCLE_1)
	s_and_not1_b32 vcc_lo, exec_lo, s4
	s_cbranch_vccnz .LBB265_55
; %bb.48:
	s_wait_xcnt 0x0
	v_cndmask_b32_e64 v3, 0, 1.0, s0
	v_mov_b32_e32 v4, 0x80
	s_mov_b32 s4, exec_lo
	s_delay_alu instid0(VALU_DEP_2)
	v_cmpx_gt_u32_e32 0x43800000, v3
	s_cbranch_execz .LBB265_54
; %bb.49:
	s_mov_b32 s5, 0
	s_mov_b32 s6, exec_lo
                                        ; implicit-def: $vgpr2
	v_cmpx_lt_u32_e32 0x3bffffff, v3
	s_xor_b32 s6, exec_lo, s6
	s_cbranch_execz .LBB265_169
; %bb.50:
	v_bfe_u32 v2, v3, 20, 1
	s_mov_b32 s5, exec_lo
	s_delay_alu instid0(VALU_DEP_1) | instskip(NEXT) | instid1(VALU_DEP_1)
	v_add3_u32 v2, v3, v2, 0x487ffff
                                        ; implicit-def: $vgpr3
	v_lshrrev_b32_e32 v2, 20, v2
	s_and_not1_saveexec_b32 s6, s6
	s_cbranch_execnz .LBB265_170
.LBB265_51:
	s_or_b32 exec_lo, exec_lo, s6
	v_mov_b32_e32 v4, 0
	s_and_saveexec_b32 s6, s5
.LBB265_52:
	v_mov_b32_e32 v4, v2
.LBB265_53:
	s_or_b32 exec_lo, exec_lo, s6
.LBB265_54:
	s_delay_alu instid0(SALU_CYCLE_1)
	s_or_b32 exec_lo, exec_lo, s4
	global_store_b8 v[0:1], v4, off
.LBB265_55:
	s_mov_b32 s4, -1
.LBB265_56:
	s_branch .LBB265_97
.LBB265_57:
	s_cmp_gt_i32 s3, 22
	s_mov_b32 s5, -1
	s_cbranch_scc0 .LBB265_89
; %bb.58:
	s_cmp_lt_i32 s3, 24
	s_mov_b32 s4, -1
	s_cbranch_scc1 .LBB265_78
; %bb.59:
	s_cmp_gt_i32 s3, 24
	s_cbranch_scc0 .LBB265_67
; %bb.60:
	s_wait_xcnt 0x0
	v_cndmask_b32_e64 v3, 0, 1.0, s0
	v_mov_b32_e32 v4, 0x80
	s_mov_b32 s4, exec_lo
	s_delay_alu instid0(VALU_DEP_2)
	v_cmpx_gt_u32_e32 0x47800000, v3
	s_cbranch_execz .LBB265_66
; %bb.61:
	s_mov_b32 s5, 0
	s_mov_b32 s6, exec_lo
                                        ; implicit-def: $vgpr2
	v_cmpx_lt_u32_e32 0x37ffffff, v3
	s_xor_b32 s6, exec_lo, s6
	s_cbranch_execz .LBB265_172
; %bb.62:
	v_bfe_u32 v2, v3, 21, 1
	s_mov_b32 s5, exec_lo
	s_delay_alu instid0(VALU_DEP_1) | instskip(NEXT) | instid1(VALU_DEP_1)
	v_add3_u32 v2, v3, v2, 0x88fffff
                                        ; implicit-def: $vgpr3
	v_lshrrev_b32_e32 v2, 21, v2
	s_and_not1_saveexec_b32 s6, s6
	s_cbranch_execnz .LBB265_173
.LBB265_63:
	s_or_b32 exec_lo, exec_lo, s6
	v_mov_b32_e32 v4, 0
	s_and_saveexec_b32 s6, s5
.LBB265_64:
	v_mov_b32_e32 v4, v2
.LBB265_65:
	s_or_b32 exec_lo, exec_lo, s6
.LBB265_66:
	s_delay_alu instid0(SALU_CYCLE_1)
	s_or_b32 exec_lo, exec_lo, s4
	s_mov_b32 s4, 0
	global_store_b8 v[0:1], v4, off
.LBB265_67:
	s_and_b32 vcc_lo, exec_lo, s4
	s_cbranch_vccz .LBB265_77
; %bb.68:
	s_wait_xcnt 0x0
	v_cndmask_b32_e64 v3, 0, 1.0, s0
	s_mov_b32 s4, exec_lo
                                        ; implicit-def: $vgpr2
	s_delay_alu instid0(VALU_DEP_1)
	v_cmpx_gt_u32_e32 0x43f00000, v3
	s_xor_b32 s4, exec_lo, s4
	s_cbranch_execz .LBB265_74
; %bb.69:
	s_mov_b32 s5, exec_lo
                                        ; implicit-def: $vgpr2
	v_cmpx_lt_u32_e32 0x3c7fffff, v3
	s_xor_b32 s5, exec_lo, s5
; %bb.70:
	v_bfe_u32 v2, v3, 20, 1
	s_delay_alu instid0(VALU_DEP_1) | instskip(NEXT) | instid1(VALU_DEP_1)
	v_add3_u32 v2, v3, v2, 0x407ffff
	v_and_b32_e32 v3, 0xff00000, v2
	v_lshrrev_b32_e32 v2, 20, v2
	s_delay_alu instid0(VALU_DEP_2) | instskip(NEXT) | instid1(VALU_DEP_2)
	v_cmp_ne_u32_e32 vcc_lo, 0x7f00000, v3
                                        ; implicit-def: $vgpr3
	v_cndmask_b32_e32 v2, 0x7e, v2, vcc_lo
; %bb.71:
	s_and_not1_saveexec_b32 s5, s5
; %bb.72:
	v_add_f32_e32 v2, 0x46800000, v3
; %bb.73:
	s_or_b32 exec_lo, exec_lo, s5
                                        ; implicit-def: $vgpr3
.LBB265_74:
	s_and_not1_saveexec_b32 s4, s4
; %bb.75:
	v_mov_b32_e32 v2, 0x7f
	v_cmp_lt_u32_e32 vcc_lo, 0x7f800000, v3
	s_delay_alu instid0(VALU_DEP_2)
	v_cndmask_b32_e32 v2, 0x7e, v2, vcc_lo
; %bb.76:
	s_or_b32 exec_lo, exec_lo, s4
	global_store_b8 v[0:1], v2, off
.LBB265_77:
	s_mov_b32 s4, 0
.LBB265_78:
	s_delay_alu instid0(SALU_CYCLE_1)
	s_and_not1_b32 vcc_lo, exec_lo, s4
	s_cbranch_vccnz .LBB265_88
; %bb.79:
	s_wait_xcnt 0x0
	v_cndmask_b32_e64 v3, 0, 1.0, s0
	s_mov_b32 s4, exec_lo
                                        ; implicit-def: $vgpr2
	s_delay_alu instid0(VALU_DEP_1)
	v_cmpx_gt_u32_e32 0x47800000, v3
	s_xor_b32 s4, exec_lo, s4
	s_cbranch_execz .LBB265_85
; %bb.80:
	s_mov_b32 s5, exec_lo
                                        ; implicit-def: $vgpr2
	v_cmpx_lt_u32_e32 0x387fffff, v3
	s_xor_b32 s5, exec_lo, s5
; %bb.81:
	v_bfe_u32 v2, v3, 21, 1
	s_delay_alu instid0(VALU_DEP_1) | instskip(NEXT) | instid1(VALU_DEP_1)
	v_add3_u32 v2, v3, v2, 0x80fffff
                                        ; implicit-def: $vgpr3
	v_lshrrev_b32_e32 v2, 21, v2
; %bb.82:
	s_and_not1_saveexec_b32 s5, s5
; %bb.83:
	v_add_f32_e32 v2, 0x43000000, v3
; %bb.84:
	s_or_b32 exec_lo, exec_lo, s5
                                        ; implicit-def: $vgpr3
.LBB265_85:
	s_and_not1_saveexec_b32 s4, s4
; %bb.86:
	v_mov_b32_e32 v2, 0x7f
	v_cmp_lt_u32_e32 vcc_lo, 0x7f800000, v3
	s_delay_alu instid0(VALU_DEP_2)
	v_cndmask_b32_e32 v2, 0x7c, v2, vcc_lo
; %bb.87:
	s_or_b32 exec_lo, exec_lo, s4
	global_store_b8 v[0:1], v2, off
.LBB265_88:
	s_mov_b32 s5, 0
	s_mov_b32 s4, -1
.LBB265_89:
	s_and_not1_b32 vcc_lo, exec_lo, s5
	s_cbranch_vccnz .LBB265_97
; %bb.90:
	s_cmp_gt_i32 s3, 14
	s_mov_b32 s5, -1
	s_cbranch_scc0 .LBB265_94
; %bb.91:
	s_cmp_eq_u32 s3, 15
	s_mov_b32 s1, -1
	s_cbranch_scc0 .LBB265_93
; %bb.92:
	s_wait_xcnt 0x0
	v_cndmask_b32_e64 v2, 0, 1.0, s0
	s_mov_b32 s4, -1
	s_mov_b32 s1, 0
	s_delay_alu instid0(VALU_DEP_1) | instskip(NEXT) | instid1(VALU_DEP_1)
	v_bfe_u32 v3, v2, 16, 1
	v_add3_u32 v2, v2, v3, 0x7fff
	global_store_d16_hi_b16 v[0:1], v2, off
.LBB265_93:
	s_mov_b32 s5, 0
.LBB265_94:
	s_delay_alu instid0(SALU_CYCLE_1)
	s_and_b32 vcc_lo, exec_lo, s5
	s_cbranch_vccz .LBB265_97
; %bb.95:
	s_cmp_eq_u32 s3, 11
	s_mov_b32 s1, -1
	s_cbranch_scc0 .LBB265_97
; %bb.96:
	s_wait_xcnt 0x0
	v_cndmask_b32_e64 v2, 0, 1, s0
	s_mov_b32 s4, -1
	s_mov_b32 s1, 0
	global_store_b8 v[0:1], v2, off
.LBB265_97:
	s_branch .LBB265_24
.LBB265_98:
	s_and_b32 s2, 0xffff, s2
	s_mov_b32 s3, -1
	s_cmp_lt_i32 s2, 5
	s_cbranch_scc1 .LBB265_119
; %bb.99:
	s_cmp_lt_i32 s2, 8
	s_cbranch_scc1 .LBB265_109
; %bb.100:
	;; [unrolled: 3-line block ×3, first 2 shown]
	s_cmp_gt_i32 s2, 9
	s_cbranch_scc0 .LBB265_103
; %bb.102:
	s_wait_xcnt 0x0
	v_cndmask_b32_e64 v2, 0, 1, s0
	v_mov_b32_e32 v4, 0
	s_mov_b32 s3, 0
	s_delay_alu instid0(VALU_DEP_2) | instskip(NEXT) | instid1(VALU_DEP_2)
	v_cvt_f64_u32_e32 v[2:3], v2
	v_mov_b32_e32 v5, v4
	global_store_b128 v[0:1], v[2:5], off
.LBB265_103:
	s_and_not1_b32 vcc_lo, exec_lo, s3
	s_cbranch_vccnz .LBB265_105
; %bb.104:
	s_wait_xcnt 0x0
	v_cndmask_b32_e64 v2, 0, 1.0, s0
	v_mov_b32_e32 v3, 0
	global_store_b64 v[0:1], v[2:3], off
.LBB265_105:
	s_mov_b32 s3, 0
.LBB265_106:
	s_delay_alu instid0(SALU_CYCLE_1)
	s_and_not1_b32 vcc_lo, exec_lo, s3
	s_cbranch_vccnz .LBB265_108
; %bb.107:
	s_wait_xcnt 0x0
	v_cndmask_b32_e64 v2, 0, 1.0, s0
	s_delay_alu instid0(VALU_DEP_1) | instskip(NEXT) | instid1(VALU_DEP_1)
	v_cvt_f16_f32_e32 v2, v2
	v_and_b32_e32 v2, 0xffff, v2
	global_store_b32 v[0:1], v2, off
.LBB265_108:
	s_mov_b32 s3, 0
.LBB265_109:
	s_delay_alu instid0(SALU_CYCLE_1)
	s_and_not1_b32 vcc_lo, exec_lo, s3
	s_cbranch_vccnz .LBB265_118
; %bb.110:
	s_cmp_lt_i32 s2, 6
	s_mov_b32 s3, -1
	s_cbranch_scc1 .LBB265_116
; %bb.111:
	s_cmp_gt_i32 s2, 6
	s_cbranch_scc0 .LBB265_113
; %bb.112:
	s_wait_xcnt 0x0
	v_cndmask_b32_e64 v2, 0, 1, s0
	s_mov_b32 s3, 0
	s_delay_alu instid0(VALU_DEP_1)
	v_cvt_f64_u32_e32 v[2:3], v2
	global_store_b64 v[0:1], v[2:3], off
.LBB265_113:
	s_and_not1_b32 vcc_lo, exec_lo, s3
	s_cbranch_vccnz .LBB265_115
; %bb.114:
	s_wait_xcnt 0x0
	v_cndmask_b32_e64 v2, 0, 1.0, s0
	global_store_b32 v[0:1], v2, off
.LBB265_115:
	s_mov_b32 s3, 0
.LBB265_116:
	s_delay_alu instid0(SALU_CYCLE_1)
	s_and_not1_b32 vcc_lo, exec_lo, s3
	s_cbranch_vccnz .LBB265_118
; %bb.117:
	s_wait_xcnt 0x0
	v_cndmask_b32_e64 v2, 0, 1.0, s0
	s_delay_alu instid0(VALU_DEP_1)
	v_cvt_f16_f32_e32 v2, v2
	global_store_b16 v[0:1], v2, off
.LBB265_118:
	s_mov_b32 s3, 0
.LBB265_119:
	s_delay_alu instid0(SALU_CYCLE_1)
	s_and_not1_b32 vcc_lo, exec_lo, s3
	s_cbranch_vccnz .LBB265_135
; %bb.120:
	s_cmp_lt_i32 s2, 2
	s_mov_b32 s3, -1
	s_cbranch_scc1 .LBB265_130
; %bb.121:
	s_cmp_lt_i32 s2, 3
	s_cbranch_scc1 .LBB265_127
; %bb.122:
	s_cmp_gt_i32 s2, 3
	s_cbranch_scc0 .LBB265_124
; %bb.123:
	s_mov_b32 s3, 0
	s_wait_xcnt 0x0
	v_cndmask_b32_e64 v2, 0, 1, s0
	v_mov_b32_e32 v3, s3
	global_store_b64 v[0:1], v[2:3], off
.LBB265_124:
	s_and_not1_b32 vcc_lo, exec_lo, s3
	s_cbranch_vccnz .LBB265_126
; %bb.125:
	s_wait_xcnt 0x0
	v_cndmask_b32_e64 v2, 0, 1, s0
	global_store_b32 v[0:1], v2, off
.LBB265_126:
	s_mov_b32 s3, 0
.LBB265_127:
	s_delay_alu instid0(SALU_CYCLE_1)
	s_and_not1_b32 vcc_lo, exec_lo, s3
	s_cbranch_vccnz .LBB265_129
; %bb.128:
	s_wait_xcnt 0x0
	v_cndmask_b32_e64 v2, 0, 1, s0
	global_store_b16 v[0:1], v2, off
.LBB265_129:
	s_mov_b32 s3, 0
.LBB265_130:
	s_delay_alu instid0(SALU_CYCLE_1)
	s_and_not1_b32 vcc_lo, exec_lo, s3
	s_cbranch_vccnz .LBB265_135
; %bb.131:
	s_cmp_gt_i32 s2, 0
	s_mov_b32 s2, -1
	s_cbranch_scc0 .LBB265_133
; %bb.132:
	s_wait_xcnt 0x0
	v_cndmask_b32_e64 v2, 0, 1, s0
	s_mov_b32 s2, 0
	global_store_b8 v[0:1], v2, off
.LBB265_133:
	s_and_not1_b32 vcc_lo, exec_lo, s2
	s_cbranch_vccnz .LBB265_135
; %bb.134:
	s_wait_xcnt 0x0
	v_cndmask_b32_e64 v2, 0, 1, s0
	global_store_b8 v[0:1], v2, off
.LBB265_135:
	s_branch .LBB265_25
.LBB265_136:
	s_mov_b32 s0, 0
                                        ; implicit-def: $vgpr10
.LBB265_137:
	s_and_b32 s34, s1, exec_lo
	s_or_not1_b32 s3, s0, exec_lo
.LBB265_138:
	s_wait_xcnt 0x0
	s_or_b32 exec_lo, exec_lo, s50
	s_mov_b32 s4, 0
                                        ; implicit-def: $sgpr1
                                        ; implicit-def: $sgpr2
                                        ; implicit-def: $vgpr0_vgpr1
	s_and_saveexec_b32 s50, s3
	s_cbranch_execz .LBB265_145
; %bb.139:
	s_mov_b32 s4, -1
	s_mov_b32 s51, s34
	s_mov_b32 s52, exec_lo
	v_cmpx_gt_i32_e64 s47, v10
	s_cbranch_execz .LBB265_284
; %bb.140:
	s_and_not1_b32 vcc_lo, exec_lo, s44
	s_cbranch_vccnz .LBB265_148
; %bb.141:
	s_and_not1_b32 vcc_lo, exec_lo, s49
	s_cbranch_vccnz .LBB265_149
; %bb.142:
	s_add_co_i32 s1, s48, 1
	s_cmp_eq_u32 s33, 2
	s_cbranch_scc1 .LBB265_150
; %bb.143:
	v_dual_mov_b32 v12, 0 :: v_dual_mov_b32 v13, 0
	v_mov_b32_e32 v0, v10
	s_and_b32 s0, s1, 28
	s_mov_b32 s6, 0
	s_mov_b64 s[2:3], s[28:29]
	s_mov_b64 s[4:5], s[42:43]
.LBB265_144:                            ; =>This Inner Loop Header: Depth=1
	s_clause 0x1
	s_load_b256 s[56:63], s[2:3], 0x4
	s_load_b128 s[8:11], s[2:3], 0x24
	s_load_b256 s[64:71], s[4:5], 0x0
	s_add_co_i32 s6, s6, 4
	s_wait_xcnt 0x0
	s_add_nc_u64 s[2:3], s[2:3], 48
	s_cmp_eq_u32 s0, s6
	s_add_nc_u64 s[4:5], s[4:5], 32
	s_wait_kmcnt 0x0
	v_mul_hi_u32 v1, s57, v0
	s_delay_alu instid0(VALU_DEP_1) | instskip(NEXT) | instid1(VALU_DEP_1)
	v_add_nc_u32_e32 v1, v0, v1
	v_lshrrev_b32_e32 v1, s58, v1
	s_delay_alu instid0(VALU_DEP_1) | instskip(NEXT) | instid1(VALU_DEP_1)
	v_mul_hi_u32 v2, s60, v1
	v_add_nc_u32_e32 v2, v1, v2
	s_delay_alu instid0(VALU_DEP_1) | instskip(NEXT) | instid1(VALU_DEP_1)
	v_lshrrev_b32_e32 v2, s61, v2
	v_mul_hi_u32 v3, s63, v2
	s_delay_alu instid0(VALU_DEP_1) | instskip(SKIP_1) | instid1(VALU_DEP_1)
	v_add_nc_u32_e32 v3, v2, v3
	v_mul_lo_u32 v4, v1, s56
	v_sub_nc_u32_e32 v0, v0, v4
	v_mul_lo_u32 v4, v2, s59
	s_delay_alu instid0(VALU_DEP_4) | instskip(NEXT) | instid1(VALU_DEP_3)
	v_lshrrev_b32_e32 v3, s8, v3
	v_mad_u32 v6, v0, s65, v13
	v_mad_u32 v0, v0, s64, v12
	s_delay_alu instid0(VALU_DEP_4) | instskip(NEXT) | instid1(VALU_DEP_4)
	v_sub_nc_u32_e32 v1, v1, v4
	v_mul_hi_u32 v5, s10, v3
	v_mul_lo_u32 v4, v3, s62
	s_delay_alu instid0(VALU_DEP_3) | instskip(SKIP_1) | instid1(VALU_DEP_3)
	v_mad_u32 v6, v1, s67, v6
	v_mad_u32 v1, v1, s66, v0
	v_dual_add_nc_u32 v5, v3, v5 :: v_dual_sub_nc_u32 v2, v2, v4
	s_delay_alu instid0(VALU_DEP_1) | instskip(NEXT) | instid1(VALU_DEP_2)
	v_lshrrev_b32_e32 v0, s11, v5
	v_mad_u32 v5, v2, s69, v6
	s_delay_alu instid0(VALU_DEP_4) | instskip(NEXT) | instid1(VALU_DEP_3)
	v_mad_u32 v1, v2, s68, v1
	v_mul_lo_u32 v4, v0, s9
	s_delay_alu instid0(VALU_DEP_1) | instskip(NEXT) | instid1(VALU_DEP_1)
	v_sub_nc_u32_e32 v2, v3, v4
	v_mad_u32 v13, v2, s71, v5
	s_delay_alu instid0(VALU_DEP_4)
	v_mad_u32 v12, v2, s70, v1
	s_cbranch_scc0 .LBB265_144
	s_branch .LBB265_151
.LBB265_145:
	s_or_b32 exec_lo, exec_lo, s50
	s_mov_b32 s0, 0
	s_and_saveexec_b32 s3, s34
	s_cbranch_execnz .LBB265_530
.LBB265_146:
	s_or_b32 exec_lo, exec_lo, s3
	s_and_saveexec_b32 s3, s15
	s_delay_alu instid0(SALU_CYCLE_1)
	s_xor_b32 s3, exec_lo, s3
	s_cbranch_execz .LBB265_531
.LBB265_147:
	v_cndmask_b32_e64 v2, 0, 1, s1
	global_store_b8 v[0:1], v2, off
	s_wait_xcnt 0x0
	s_or_b32 exec_lo, exec_lo, s3
	s_and_saveexec_b32 s3, s4
	s_delay_alu instid0(SALU_CYCLE_1)
	s_xor_b32 s3, exec_lo, s3
	s_cbranch_execz .LBB265_569
	s_branch .LBB265_532
.LBB265_148:
                                        ; implicit-def: $vgpr13
	s_branch .LBB265_155
.LBB265_149:
	v_dual_mov_b32 v13, 0 :: v_dual_mov_b32 v12, 0
	s_branch .LBB265_154
.LBB265_150:
	v_mov_b64_e32 v[12:13], 0
	v_mov_b32_e32 v0, v10
	s_mov_b32 s0, 0
.LBB265_151:
	s_and_b32 s4, s1, 3
	s_mov_b32 s1, 0
	s_cmp_eq_u32 s4, 0
	s_cbranch_scc1 .LBB265_154
; %bb.152:
	s_lshl_b32 s2, s0, 3
	s_mov_b32 s3, s1
	s_mul_u64 s[6:7], s[0:1], 12
	s_add_nc_u64 s[2:3], s[28:29], s[2:3]
	s_delay_alu instid0(SALU_CYCLE_1)
	s_add_nc_u64 s[0:1], s[2:3], 0xc4
	s_add_nc_u64 s[2:3], s[28:29], s[6:7]
.LBB265_153:                            ; =>This Inner Loop Header: Depth=1
	s_load_b96 s[8:10], s[2:3], 0x4
	s_load_b64 s[6:7], s[0:1], 0x0
	s_add_co_i32 s4, s4, -1
	s_wait_xcnt 0x0
	s_add_nc_u64 s[2:3], s[2:3], 12
	s_cmp_lg_u32 s4, 0
	s_add_nc_u64 s[0:1], s[0:1], 8
	s_wait_kmcnt 0x0
	v_mul_hi_u32 v1, s9, v0
	s_delay_alu instid0(VALU_DEP_1) | instskip(NEXT) | instid1(VALU_DEP_1)
	v_add_nc_u32_e32 v1, v0, v1
	v_lshrrev_b32_e32 v1, s10, v1
	s_delay_alu instid0(VALU_DEP_1) | instskip(NEXT) | instid1(VALU_DEP_1)
	v_mul_lo_u32 v2, v1, s8
	v_sub_nc_u32_e32 v0, v0, v2
	s_delay_alu instid0(VALU_DEP_1)
	v_mad_u32 v13, v0, s7, v13
	v_mad_u32 v12, v0, s6, v12
	v_mov_b32_e32 v0, v1
	s_cbranch_scc1 .LBB265_153
.LBB265_154:
	s_cbranch_execnz .LBB265_157
.LBB265_155:
	v_mov_b32_e32 v11, 0
	s_and_not1_b32 vcc_lo, exec_lo, s46
	s_delay_alu instid0(VALU_DEP_1) | instskip(NEXT) | instid1(VALU_DEP_1)
	v_mul_u64_e32 v[0:1], s[14:15], v[10:11]
	v_add_nc_u32_e32 v0, v10, v1
	s_delay_alu instid0(VALU_DEP_1) | instskip(NEXT) | instid1(VALU_DEP_1)
	v_lshrrev_b32_e32 v0, s22, v0
	v_mul_lo_u32 v1, v0, s20
	s_delay_alu instid0(VALU_DEP_1) | instskip(NEXT) | instid1(VALU_DEP_1)
	v_sub_nc_u32_e32 v1, v10, v1
	v_mul_lo_u32 v13, v1, s25
	v_mul_lo_u32 v12, v1, s24
	s_cbranch_vccnz .LBB265_157
; %bb.156:
	v_mov_b32_e32 v1, v11
	s_delay_alu instid0(VALU_DEP_1) | instskip(NEXT) | instid1(VALU_DEP_1)
	v_mul_u64_e32 v[2:3], s[40:41], v[0:1]
	v_add_nc_u32_e32 v1, v0, v3
	s_delay_alu instid0(VALU_DEP_1) | instskip(NEXT) | instid1(VALU_DEP_1)
	v_lshrrev_b32_e32 v1, s35, v1
	v_mul_lo_u32 v1, v1, s23
	s_delay_alu instid0(VALU_DEP_1) | instskip(NEXT) | instid1(VALU_DEP_1)
	v_sub_nc_u32_e32 v0, v0, v1
	v_mad_u32 v12, v0, s26, v12
	v_mad_u32 v13, v0, s27, v13
.LBB265_157:
	v_dual_mov_b32 v0, s36 :: v_dual_mov_b32 v1, s37
	v_dual_mov_b32 v2, s18 :: v_dual_mov_b32 v3, s19
	s_delay_alu instid0(VALU_DEP_3) | instskip(SKIP_2) | instid1(SALU_CYCLE_1)
	v_dual_mov_b32 v4, v13 :: v_dual_mov_b32 v5, s21
	s_get_pc_i64 s[0:1]
	s_add_nc_u64 s[0:1], s[0:1], _ZN2at6native6invokeINS0_13AUnaryFunctorIN3c1015Float8_e5m2fnuzES4_bNS0_12_GLOBAL__N_116CompareEqFunctorIS4_EEEEj15function_traitsIS8_EEENT1_11result_typeERKT_PrKPcPKT0_PKNS3_10ScalarTypeEi@rel64+4
	s_swap_pc_i64 s[30:31], s[0:1]
	v_dual_mov_b32 v13, 0 :: v_dual_bitop2_b32 v0, 1, v0 bitop3:0x40
	s_and_b32 s2, s38, 0xff
	s_delay_alu instid0(SALU_CYCLE_1) | instskip(NEXT) | instid1(VALU_DEP_1)
	s_cmp_lt_i32 s2, 11
	v_cmp_eq_u32_e64 s0, 1, v0
	s_delay_alu instid0(VALU_DEP_2)
	v_add_nc_u64_e32 v[0:1], s[16:17], v[12:13]
	s_cbranch_scc1 .LBB265_164
; %bb.158:
	s_and_b32 s3, 0xffff, s2
	s_delay_alu instid0(SALU_CYCLE_1)
	s_cmp_gt_i32 s3, 25
	s_cbranch_scc0 .LBB265_167
; %bb.159:
	s_cmp_gt_i32 s3, 28
	s_cbranch_scc0 .LBB265_168
; %bb.160:
	;; [unrolled: 3-line block ×4, first 2 shown]
	s_mov_b32 s5, 0
	s_mov_b32 s1, -1
	s_cmp_eq_u32 s3, 46
	s_mov_b32 s4, 0
	s_cbranch_scc0 .LBB265_175
; %bb.163:
	v_cndmask_b32_e64 v2, 0, 1.0, s0
	s_mov_b32 s4, -1
	s_mov_b32 s1, 0
	s_delay_alu instid0(VALU_DEP_1) | instskip(NEXT) | instid1(VALU_DEP_1)
	v_bfe_u32 v3, v2, 16, 1
	v_add3_u32 v2, v2, v3, 0x7fff
	s_delay_alu instid0(VALU_DEP_1)
	v_lshrrev_b32_e32 v2, 16, v2
	global_store_b32 v[0:1], v2, off
	s_branch .LBB265_175
.LBB265_164:
	s_mov_b32 s4, 0
	s_mov_b32 s1, s34
	s_cbranch_execnz .LBB265_244
.LBB265_165:
	s_and_not1_b32 vcc_lo, exec_lo, s4
	s_cbranch_vccnz .LBB265_282
.LBB265_166:
	v_add_nc_u32_e32 v10, 0x80, v10
	s_mov_b32 s0, -1
	s_branch .LBB265_283
.LBB265_167:
	s_mov_b32 s5, -1
	s_mov_b32 s4, 0
	s_mov_b32 s1, s34
	s_branch .LBB265_202
.LBB265_168:
	s_mov_b32 s5, -1
	s_mov_b32 s4, 0
	s_mov_b32 s1, s34
	s_branch .LBB265_185
.LBB265_169:
	s_and_not1_saveexec_b32 s6, s6
	s_cbranch_execz .LBB265_51
.LBB265_170:
	v_add_f32_e32 v2, 0x46000000, v3
	s_and_not1_b32 s5, s5, exec_lo
	s_delay_alu instid0(VALU_DEP_1) | instskip(NEXT) | instid1(VALU_DEP_1)
	v_and_b32_e32 v2, 0xff, v2
	v_cmp_ne_u32_e32 vcc_lo, 0, v2
	s_and_b32 s7, vcc_lo, exec_lo
	s_delay_alu instid0(SALU_CYCLE_1)
	s_or_b32 s5, s5, s7
	s_or_b32 exec_lo, exec_lo, s6
	v_mov_b32_e32 v4, 0
	s_and_saveexec_b32 s6, s5
	s_cbranch_execnz .LBB265_52
	s_branch .LBB265_53
.LBB265_171:
	s_mov_b32 s5, -1
	s_mov_b32 s4, 0
	s_mov_b32 s1, s34
	s_branch .LBB265_181
.LBB265_172:
	s_and_not1_saveexec_b32 s6, s6
	s_cbranch_execz .LBB265_63
.LBB265_173:
	v_add_f32_e32 v2, 0x42800000, v3
	s_and_not1_b32 s5, s5, exec_lo
	s_delay_alu instid0(VALU_DEP_1) | instskip(NEXT) | instid1(VALU_DEP_1)
	v_and_b32_e32 v2, 0xff, v2
	v_cmp_ne_u32_e32 vcc_lo, 0, v2
	s_and_b32 s7, vcc_lo, exec_lo
	s_delay_alu instid0(SALU_CYCLE_1)
	s_or_b32 s5, s5, s7
	s_or_b32 exec_lo, exec_lo, s6
	v_mov_b32_e32 v4, 0
	s_and_saveexec_b32 s6, s5
	s_cbranch_execnz .LBB265_64
	s_branch .LBB265_65
.LBB265_174:
	s_mov_b32 s5, -1
	s_mov_b32 s4, 0
	s_mov_b32 s1, s34
.LBB265_175:
	s_and_b32 vcc_lo, exec_lo, s5
	s_cbranch_vccz .LBB265_180
; %bb.176:
	s_cmp_eq_u32 s3, 44
	s_mov_b32 s1, -1
	s_cbranch_scc0 .LBB265_180
; %bb.177:
	v_cndmask_b32_e64 v4, 0, 1.0, s0
	s_mov_b32 s4, exec_lo
	s_wait_xcnt 0x0
	s_delay_alu instid0(VALU_DEP_1) | instskip(NEXT) | instid1(VALU_DEP_1)
	v_dual_mov_b32 v3, 0xff :: v_dual_lshrrev_b32 v2, 23, v4
	v_cmpx_ne_u32_e32 0xff, v2
; %bb.178:
	v_and_b32_e32 v3, 0x400000, v4
	v_and_or_b32 v4, 0x3fffff, v4, v2
	s_delay_alu instid0(VALU_DEP_2) | instskip(NEXT) | instid1(VALU_DEP_2)
	v_cmp_ne_u32_e32 vcc_lo, 0, v3
	v_cmp_ne_u32_e64 s1, 0, v4
	s_and_b32 s1, vcc_lo, s1
	s_delay_alu instid0(SALU_CYCLE_1) | instskip(NEXT) | instid1(VALU_DEP_1)
	v_cndmask_b32_e64 v3, 0, 1, s1
	v_add_nc_u32_e32 v3, v2, v3
; %bb.179:
	s_or_b32 exec_lo, exec_lo, s4
	s_mov_b32 s4, -1
	s_mov_b32 s1, 0
	global_store_b8 v[0:1], v3, off
.LBB265_180:
	s_mov_b32 s5, 0
.LBB265_181:
	s_delay_alu instid0(SALU_CYCLE_1)
	s_and_b32 vcc_lo, exec_lo, s5
	s_cbranch_vccz .LBB265_184
; %bb.182:
	s_cmp_eq_u32 s3, 29
	s_mov_b32 s1, -1
	s_cbranch_scc0 .LBB265_184
; %bb.183:
	s_mov_b32 s1, 0
	s_wait_xcnt 0x0
	v_cndmask_b32_e64 v2, 0, 1, s0
	v_mov_b32_e32 v3, s1
	s_mov_b32 s4, -1
	s_mov_b32 s5, 0
	global_store_b64 v[0:1], v[2:3], off
	s_branch .LBB265_185
.LBB265_184:
	s_mov_b32 s5, 0
.LBB265_185:
	s_delay_alu instid0(SALU_CYCLE_1)
	s_and_b32 vcc_lo, exec_lo, s5
	s_cbranch_vccz .LBB265_201
; %bb.186:
	s_cmp_lt_i32 s3, 27
	s_mov_b32 s4, -1
	s_cbranch_scc1 .LBB265_192
; %bb.187:
	s_cmp_gt_i32 s3, 27
	s_cbranch_scc0 .LBB265_189
; %bb.188:
	s_wait_xcnt 0x0
	v_cndmask_b32_e64 v2, 0, 1, s0
	s_mov_b32 s4, 0
	global_store_b32 v[0:1], v2, off
.LBB265_189:
	s_and_not1_b32 vcc_lo, exec_lo, s4
	s_cbranch_vccnz .LBB265_191
; %bb.190:
	s_wait_xcnt 0x0
	v_cndmask_b32_e64 v2, 0, 1, s0
	global_store_b16 v[0:1], v2, off
.LBB265_191:
	s_mov_b32 s4, 0
.LBB265_192:
	s_delay_alu instid0(SALU_CYCLE_1)
	s_and_not1_b32 vcc_lo, exec_lo, s4
	s_cbranch_vccnz .LBB265_200
; %bb.193:
	s_wait_xcnt 0x0
	v_cndmask_b32_e64 v3, 0, 1.0, s0
	v_mov_b32_e32 v4, 0x80
	s_mov_b32 s4, exec_lo
	s_delay_alu instid0(VALU_DEP_2)
	v_cmpx_gt_u32_e32 0x43800000, v3
	s_cbranch_execz .LBB265_199
; %bb.194:
	s_mov_b32 s5, 0
	s_mov_b32 s6, exec_lo
                                        ; implicit-def: $vgpr2
	v_cmpx_lt_u32_e32 0x3bffffff, v3
	s_xor_b32 s6, exec_lo, s6
	s_cbranch_execz .LBB265_311
; %bb.195:
	v_bfe_u32 v2, v3, 20, 1
	s_mov_b32 s5, exec_lo
	s_delay_alu instid0(VALU_DEP_1) | instskip(NEXT) | instid1(VALU_DEP_1)
	v_add3_u32 v2, v3, v2, 0x487ffff
                                        ; implicit-def: $vgpr3
	v_lshrrev_b32_e32 v2, 20, v2
	s_and_not1_saveexec_b32 s6, s6
	s_cbranch_execnz .LBB265_312
.LBB265_196:
	s_or_b32 exec_lo, exec_lo, s6
	v_mov_b32_e32 v4, 0
	s_and_saveexec_b32 s6, s5
.LBB265_197:
	v_mov_b32_e32 v4, v2
.LBB265_198:
	s_or_b32 exec_lo, exec_lo, s6
.LBB265_199:
	s_delay_alu instid0(SALU_CYCLE_1)
	s_or_b32 exec_lo, exec_lo, s4
	global_store_b8 v[0:1], v4, off
.LBB265_200:
	s_mov_b32 s4, -1
.LBB265_201:
	s_mov_b32 s5, 0
.LBB265_202:
	s_delay_alu instid0(SALU_CYCLE_1)
	s_and_b32 vcc_lo, exec_lo, s5
	s_cbranch_vccz .LBB265_243
; %bb.203:
	s_cmp_gt_i32 s3, 22
	s_mov_b32 s5, -1
	s_cbranch_scc0 .LBB265_235
; %bb.204:
	s_cmp_lt_i32 s3, 24
	s_mov_b32 s4, -1
	s_cbranch_scc1 .LBB265_224
; %bb.205:
	s_cmp_gt_i32 s3, 24
	s_cbranch_scc0 .LBB265_213
; %bb.206:
	s_wait_xcnt 0x0
	v_cndmask_b32_e64 v3, 0, 1.0, s0
	v_mov_b32_e32 v4, 0x80
	s_mov_b32 s4, exec_lo
	s_delay_alu instid0(VALU_DEP_2)
	v_cmpx_gt_u32_e32 0x47800000, v3
	s_cbranch_execz .LBB265_212
; %bb.207:
	s_mov_b32 s5, 0
	s_mov_b32 s6, exec_lo
                                        ; implicit-def: $vgpr2
	v_cmpx_lt_u32_e32 0x37ffffff, v3
	s_xor_b32 s6, exec_lo, s6
	s_cbranch_execz .LBB265_314
; %bb.208:
	v_bfe_u32 v2, v3, 21, 1
	s_mov_b32 s5, exec_lo
	s_delay_alu instid0(VALU_DEP_1) | instskip(NEXT) | instid1(VALU_DEP_1)
	v_add3_u32 v2, v3, v2, 0x88fffff
                                        ; implicit-def: $vgpr3
	v_lshrrev_b32_e32 v2, 21, v2
	s_and_not1_saveexec_b32 s6, s6
	s_cbranch_execnz .LBB265_315
.LBB265_209:
	s_or_b32 exec_lo, exec_lo, s6
	v_mov_b32_e32 v4, 0
	s_and_saveexec_b32 s6, s5
.LBB265_210:
	v_mov_b32_e32 v4, v2
.LBB265_211:
	s_or_b32 exec_lo, exec_lo, s6
.LBB265_212:
	s_delay_alu instid0(SALU_CYCLE_1)
	s_or_b32 exec_lo, exec_lo, s4
	s_mov_b32 s4, 0
	global_store_b8 v[0:1], v4, off
.LBB265_213:
	s_and_b32 vcc_lo, exec_lo, s4
	s_cbranch_vccz .LBB265_223
; %bb.214:
	s_wait_xcnt 0x0
	v_cndmask_b32_e64 v3, 0, 1.0, s0
	s_mov_b32 s4, exec_lo
                                        ; implicit-def: $vgpr2
	s_delay_alu instid0(VALU_DEP_1)
	v_cmpx_gt_u32_e32 0x43f00000, v3
	s_xor_b32 s4, exec_lo, s4
	s_cbranch_execz .LBB265_220
; %bb.215:
	s_mov_b32 s5, exec_lo
                                        ; implicit-def: $vgpr2
	v_cmpx_lt_u32_e32 0x3c7fffff, v3
	s_xor_b32 s5, exec_lo, s5
; %bb.216:
	v_bfe_u32 v2, v3, 20, 1
	s_delay_alu instid0(VALU_DEP_1) | instskip(NEXT) | instid1(VALU_DEP_1)
	v_add3_u32 v2, v3, v2, 0x407ffff
	v_and_b32_e32 v3, 0xff00000, v2
	v_lshrrev_b32_e32 v2, 20, v2
	s_delay_alu instid0(VALU_DEP_2) | instskip(NEXT) | instid1(VALU_DEP_2)
	v_cmp_ne_u32_e32 vcc_lo, 0x7f00000, v3
                                        ; implicit-def: $vgpr3
	v_cndmask_b32_e32 v2, 0x7e, v2, vcc_lo
; %bb.217:
	s_and_not1_saveexec_b32 s5, s5
; %bb.218:
	v_add_f32_e32 v2, 0x46800000, v3
; %bb.219:
	s_or_b32 exec_lo, exec_lo, s5
                                        ; implicit-def: $vgpr3
.LBB265_220:
	s_and_not1_saveexec_b32 s4, s4
; %bb.221:
	v_mov_b32_e32 v2, 0x7f
	v_cmp_lt_u32_e32 vcc_lo, 0x7f800000, v3
	s_delay_alu instid0(VALU_DEP_2)
	v_cndmask_b32_e32 v2, 0x7e, v2, vcc_lo
; %bb.222:
	s_or_b32 exec_lo, exec_lo, s4
	global_store_b8 v[0:1], v2, off
.LBB265_223:
	s_mov_b32 s4, 0
.LBB265_224:
	s_delay_alu instid0(SALU_CYCLE_1)
	s_and_not1_b32 vcc_lo, exec_lo, s4
	s_cbranch_vccnz .LBB265_234
; %bb.225:
	s_wait_xcnt 0x0
	v_cndmask_b32_e64 v3, 0, 1.0, s0
	s_mov_b32 s4, exec_lo
                                        ; implicit-def: $vgpr2
	s_delay_alu instid0(VALU_DEP_1)
	v_cmpx_gt_u32_e32 0x47800000, v3
	s_xor_b32 s4, exec_lo, s4
	s_cbranch_execz .LBB265_231
; %bb.226:
	s_mov_b32 s5, exec_lo
                                        ; implicit-def: $vgpr2
	v_cmpx_lt_u32_e32 0x387fffff, v3
	s_xor_b32 s5, exec_lo, s5
; %bb.227:
	v_bfe_u32 v2, v3, 21, 1
	s_delay_alu instid0(VALU_DEP_1) | instskip(NEXT) | instid1(VALU_DEP_1)
	v_add3_u32 v2, v3, v2, 0x80fffff
                                        ; implicit-def: $vgpr3
	v_lshrrev_b32_e32 v2, 21, v2
; %bb.228:
	s_and_not1_saveexec_b32 s5, s5
; %bb.229:
	v_add_f32_e32 v2, 0x43000000, v3
; %bb.230:
	s_or_b32 exec_lo, exec_lo, s5
                                        ; implicit-def: $vgpr3
.LBB265_231:
	s_and_not1_saveexec_b32 s4, s4
; %bb.232:
	v_mov_b32_e32 v2, 0x7f
	v_cmp_lt_u32_e32 vcc_lo, 0x7f800000, v3
	s_delay_alu instid0(VALU_DEP_2)
	v_cndmask_b32_e32 v2, 0x7c, v2, vcc_lo
; %bb.233:
	s_or_b32 exec_lo, exec_lo, s4
	global_store_b8 v[0:1], v2, off
.LBB265_234:
	s_mov_b32 s5, 0
	s_mov_b32 s4, -1
.LBB265_235:
	s_and_not1_b32 vcc_lo, exec_lo, s5
	s_cbranch_vccnz .LBB265_243
; %bb.236:
	s_cmp_gt_i32 s3, 14
	s_mov_b32 s5, -1
	s_cbranch_scc0 .LBB265_240
; %bb.237:
	s_cmp_eq_u32 s3, 15
	s_mov_b32 s1, -1
	s_cbranch_scc0 .LBB265_239
; %bb.238:
	s_wait_xcnt 0x0
	v_cndmask_b32_e64 v2, 0, 1.0, s0
	s_mov_b32 s4, -1
	s_mov_b32 s1, 0
	s_delay_alu instid0(VALU_DEP_1) | instskip(NEXT) | instid1(VALU_DEP_1)
	v_bfe_u32 v3, v2, 16, 1
	v_add3_u32 v2, v2, v3, 0x7fff
	global_store_d16_hi_b16 v[0:1], v2, off
.LBB265_239:
	s_mov_b32 s5, 0
.LBB265_240:
	s_delay_alu instid0(SALU_CYCLE_1)
	s_and_b32 vcc_lo, exec_lo, s5
	s_cbranch_vccz .LBB265_243
; %bb.241:
	s_cmp_eq_u32 s3, 11
	s_mov_b32 s1, -1
	s_cbranch_scc0 .LBB265_243
; %bb.242:
	s_wait_xcnt 0x0
	v_cndmask_b32_e64 v2, 0, 1, s0
	s_mov_b32 s4, -1
	s_mov_b32 s1, 0
	global_store_b8 v[0:1], v2, off
.LBB265_243:
	s_branch .LBB265_165
.LBB265_244:
	s_and_b32 s2, 0xffff, s2
	s_mov_b32 s3, -1
	s_cmp_lt_i32 s2, 5
	s_cbranch_scc1 .LBB265_265
; %bb.245:
	s_cmp_lt_i32 s2, 8
	s_cbranch_scc1 .LBB265_255
; %bb.246:
	;; [unrolled: 3-line block ×3, first 2 shown]
	s_cmp_gt_i32 s2, 9
	s_cbranch_scc0 .LBB265_249
; %bb.248:
	s_wait_xcnt 0x0
	v_cndmask_b32_e64 v2, 0, 1, s0
	v_mov_b32_e32 v4, 0
	s_mov_b32 s3, 0
	s_delay_alu instid0(VALU_DEP_2) | instskip(NEXT) | instid1(VALU_DEP_2)
	v_cvt_f64_u32_e32 v[2:3], v2
	v_mov_b32_e32 v5, v4
	global_store_b128 v[0:1], v[2:5], off
.LBB265_249:
	s_and_not1_b32 vcc_lo, exec_lo, s3
	s_cbranch_vccnz .LBB265_251
; %bb.250:
	s_wait_xcnt 0x0
	v_cndmask_b32_e64 v2, 0, 1.0, s0
	v_mov_b32_e32 v3, 0
	global_store_b64 v[0:1], v[2:3], off
.LBB265_251:
	s_mov_b32 s3, 0
.LBB265_252:
	s_delay_alu instid0(SALU_CYCLE_1)
	s_and_not1_b32 vcc_lo, exec_lo, s3
	s_cbranch_vccnz .LBB265_254
; %bb.253:
	s_wait_xcnt 0x0
	v_cndmask_b32_e64 v2, 0, 1.0, s0
	s_delay_alu instid0(VALU_DEP_1) | instskip(NEXT) | instid1(VALU_DEP_1)
	v_cvt_f16_f32_e32 v2, v2
	v_and_b32_e32 v2, 0xffff, v2
	global_store_b32 v[0:1], v2, off
.LBB265_254:
	s_mov_b32 s3, 0
.LBB265_255:
	s_delay_alu instid0(SALU_CYCLE_1)
	s_and_not1_b32 vcc_lo, exec_lo, s3
	s_cbranch_vccnz .LBB265_264
; %bb.256:
	s_cmp_lt_i32 s2, 6
	s_mov_b32 s3, -1
	s_cbranch_scc1 .LBB265_262
; %bb.257:
	s_cmp_gt_i32 s2, 6
	s_cbranch_scc0 .LBB265_259
; %bb.258:
	s_wait_xcnt 0x0
	v_cndmask_b32_e64 v2, 0, 1, s0
	s_mov_b32 s3, 0
	s_delay_alu instid0(VALU_DEP_1)
	v_cvt_f64_u32_e32 v[2:3], v2
	global_store_b64 v[0:1], v[2:3], off
.LBB265_259:
	s_and_not1_b32 vcc_lo, exec_lo, s3
	s_cbranch_vccnz .LBB265_261
; %bb.260:
	s_wait_xcnt 0x0
	v_cndmask_b32_e64 v2, 0, 1.0, s0
	global_store_b32 v[0:1], v2, off
.LBB265_261:
	s_mov_b32 s3, 0
.LBB265_262:
	s_delay_alu instid0(SALU_CYCLE_1)
	s_and_not1_b32 vcc_lo, exec_lo, s3
	s_cbranch_vccnz .LBB265_264
; %bb.263:
	s_wait_xcnt 0x0
	v_cndmask_b32_e64 v2, 0, 1.0, s0
	s_delay_alu instid0(VALU_DEP_1)
	v_cvt_f16_f32_e32 v2, v2
	global_store_b16 v[0:1], v2, off
.LBB265_264:
	s_mov_b32 s3, 0
.LBB265_265:
	s_delay_alu instid0(SALU_CYCLE_1)
	s_and_not1_b32 vcc_lo, exec_lo, s3
	s_cbranch_vccnz .LBB265_281
; %bb.266:
	s_cmp_lt_i32 s2, 2
	s_mov_b32 s3, -1
	s_cbranch_scc1 .LBB265_276
; %bb.267:
	s_cmp_lt_i32 s2, 3
	s_cbranch_scc1 .LBB265_273
; %bb.268:
	s_cmp_gt_i32 s2, 3
	s_cbranch_scc0 .LBB265_270
; %bb.269:
	s_mov_b32 s3, 0
	s_wait_xcnt 0x0
	v_cndmask_b32_e64 v2, 0, 1, s0
	v_mov_b32_e32 v3, s3
	global_store_b64 v[0:1], v[2:3], off
.LBB265_270:
	s_and_not1_b32 vcc_lo, exec_lo, s3
	s_cbranch_vccnz .LBB265_272
; %bb.271:
	s_wait_xcnt 0x0
	v_cndmask_b32_e64 v2, 0, 1, s0
	global_store_b32 v[0:1], v2, off
.LBB265_272:
	s_mov_b32 s3, 0
.LBB265_273:
	s_delay_alu instid0(SALU_CYCLE_1)
	s_and_not1_b32 vcc_lo, exec_lo, s3
	s_cbranch_vccnz .LBB265_275
; %bb.274:
	s_wait_xcnt 0x0
	v_cndmask_b32_e64 v2, 0, 1, s0
	global_store_b16 v[0:1], v2, off
.LBB265_275:
	s_mov_b32 s3, 0
.LBB265_276:
	s_delay_alu instid0(SALU_CYCLE_1)
	s_and_not1_b32 vcc_lo, exec_lo, s3
	s_cbranch_vccnz .LBB265_281
; %bb.277:
	s_cmp_gt_i32 s2, 0
	s_mov_b32 s2, -1
	s_cbranch_scc0 .LBB265_279
; %bb.278:
	s_wait_xcnt 0x0
	v_cndmask_b32_e64 v2, 0, 1, s0
	s_mov_b32 s2, 0
	global_store_b8 v[0:1], v2, off
.LBB265_279:
	s_and_not1_b32 vcc_lo, exec_lo, s2
	s_cbranch_vccnz .LBB265_281
; %bb.280:
	s_wait_xcnt 0x0
	v_cndmask_b32_e64 v2, 0, 1, s0
	global_store_b8 v[0:1], v2, off
.LBB265_281:
	s_branch .LBB265_166
.LBB265_282:
	s_mov_b32 s0, 0
                                        ; implicit-def: $vgpr10
.LBB265_283:
	s_and_not1_b32 s2, s34, exec_lo
	s_and_b32 s1, s1, exec_lo
	s_or_not1_b32 s4, s0, exec_lo
	s_or_b32 s51, s2, s1
.LBB265_284:
	s_wait_xcnt 0x0
	s_or_b32 exec_lo, exec_lo, s52
	s_mov_b32 s0, 0
	s_mov_b32 s3, 0
                                        ; implicit-def: $sgpr1
                                        ; implicit-def: $sgpr2
                                        ; implicit-def: $vgpr0_vgpr1
	s_and_saveexec_b32 s52, s4
	s_cbranch_execz .LBB265_529
; %bb.285:
	s_mov_b32 s4, -1
	s_mov_b32 s54, s51
	s_mov_b32 s53, exec_lo
	v_cmpx_gt_i32_e64 s47, v10
	s_cbranch_execz .LBB265_429
; %bb.286:
	s_and_not1_b32 vcc_lo, exec_lo, s44
	s_cbranch_vccnz .LBB265_291
; %bb.287:
	s_and_not1_b32 vcc_lo, exec_lo, s49
	s_cbranch_vccnz .LBB265_292
; %bb.288:
	s_add_co_i32 s1, s48, 1
	s_cmp_eq_u32 s33, 2
	s_cbranch_scc1 .LBB265_293
; %bb.289:
	v_dual_mov_b32 v12, 0 :: v_dual_mov_b32 v13, 0
	v_mov_b32_e32 v0, v10
	s_and_b32 s0, s1, 28
	s_mov_b32 s6, 0
	s_mov_b64 s[2:3], s[28:29]
	s_mov_b64 s[4:5], s[42:43]
.LBB265_290:                            ; =>This Inner Loop Header: Depth=1
	s_clause 0x1
	s_load_b256 s[56:63], s[2:3], 0x4
	s_load_b128 s[8:11], s[2:3], 0x24
	s_load_b256 s[64:71], s[4:5], 0x0
	s_add_co_i32 s6, s6, 4
	s_wait_xcnt 0x0
	s_add_nc_u64 s[2:3], s[2:3], 48
	s_cmp_eq_u32 s0, s6
	s_add_nc_u64 s[4:5], s[4:5], 32
	s_wait_kmcnt 0x0
	v_mul_hi_u32 v1, s57, v0
	s_delay_alu instid0(VALU_DEP_1) | instskip(NEXT) | instid1(VALU_DEP_1)
	v_add_nc_u32_e32 v1, v0, v1
	v_lshrrev_b32_e32 v1, s58, v1
	s_delay_alu instid0(VALU_DEP_1) | instskip(NEXT) | instid1(VALU_DEP_1)
	v_mul_hi_u32 v2, s60, v1
	v_add_nc_u32_e32 v2, v1, v2
	s_delay_alu instid0(VALU_DEP_1) | instskip(NEXT) | instid1(VALU_DEP_1)
	v_lshrrev_b32_e32 v2, s61, v2
	v_mul_hi_u32 v3, s63, v2
	s_delay_alu instid0(VALU_DEP_1) | instskip(SKIP_1) | instid1(VALU_DEP_1)
	v_add_nc_u32_e32 v3, v2, v3
	v_mul_lo_u32 v4, v1, s56
	v_sub_nc_u32_e32 v0, v0, v4
	v_mul_lo_u32 v4, v2, s59
	s_delay_alu instid0(VALU_DEP_4) | instskip(NEXT) | instid1(VALU_DEP_3)
	v_lshrrev_b32_e32 v3, s8, v3
	v_mad_u32 v6, v0, s65, v13
	v_mad_u32 v0, v0, s64, v12
	s_delay_alu instid0(VALU_DEP_4) | instskip(NEXT) | instid1(VALU_DEP_4)
	v_sub_nc_u32_e32 v1, v1, v4
	v_mul_hi_u32 v5, s10, v3
	v_mul_lo_u32 v4, v3, s62
	s_delay_alu instid0(VALU_DEP_3) | instskip(SKIP_1) | instid1(VALU_DEP_3)
	v_mad_u32 v6, v1, s67, v6
	v_mad_u32 v1, v1, s66, v0
	v_dual_add_nc_u32 v5, v3, v5 :: v_dual_sub_nc_u32 v2, v2, v4
	s_delay_alu instid0(VALU_DEP_1) | instskip(NEXT) | instid1(VALU_DEP_2)
	v_lshrrev_b32_e32 v0, s11, v5
	v_mad_u32 v5, v2, s69, v6
	s_delay_alu instid0(VALU_DEP_4) | instskip(NEXT) | instid1(VALU_DEP_3)
	v_mad_u32 v1, v2, s68, v1
	v_mul_lo_u32 v4, v0, s9
	s_delay_alu instid0(VALU_DEP_1) | instskip(NEXT) | instid1(VALU_DEP_1)
	v_sub_nc_u32_e32 v2, v3, v4
	v_mad_u32 v13, v2, s71, v5
	s_delay_alu instid0(VALU_DEP_4)
	v_mad_u32 v12, v2, s70, v1
	s_cbranch_scc0 .LBB265_290
	s_branch .LBB265_294
.LBB265_291:
	s_mov_b32 s0, -1
                                        ; implicit-def: $vgpr13
	s_branch .LBB265_298
.LBB265_292:
	v_dual_mov_b32 v13, 0 :: v_dual_mov_b32 v12, 0
	s_branch .LBB265_297
.LBB265_293:
	v_mov_b64_e32 v[12:13], 0
	v_mov_b32_e32 v0, v10
.LBB265_294:
	s_and_b32 s4, s1, 3
	s_mov_b32 s1, 0
	s_cmp_eq_u32 s4, 0
	s_cbranch_scc1 .LBB265_297
; %bb.295:
	s_lshl_b32 s2, s0, 3
	s_mov_b32 s3, s1
	s_mul_u64 s[6:7], s[0:1], 12
	s_add_nc_u64 s[2:3], s[28:29], s[2:3]
	s_delay_alu instid0(SALU_CYCLE_1)
	s_add_nc_u64 s[0:1], s[2:3], 0xc4
	s_add_nc_u64 s[2:3], s[28:29], s[6:7]
.LBB265_296:                            ; =>This Inner Loop Header: Depth=1
	s_load_b96 s[8:10], s[2:3], 0x4
	s_load_b64 s[6:7], s[0:1], 0x0
	s_add_co_i32 s4, s4, -1
	s_wait_xcnt 0x0
	s_add_nc_u64 s[2:3], s[2:3], 12
	s_cmp_lg_u32 s4, 0
	s_add_nc_u64 s[0:1], s[0:1], 8
	s_wait_kmcnt 0x0
	v_mul_hi_u32 v1, s9, v0
	s_delay_alu instid0(VALU_DEP_1) | instskip(NEXT) | instid1(VALU_DEP_1)
	v_add_nc_u32_e32 v1, v0, v1
	v_lshrrev_b32_e32 v1, s10, v1
	s_delay_alu instid0(VALU_DEP_1) | instskip(NEXT) | instid1(VALU_DEP_1)
	v_mul_lo_u32 v2, v1, s8
	v_sub_nc_u32_e32 v0, v0, v2
	s_delay_alu instid0(VALU_DEP_1)
	v_mad_u32 v13, v0, s7, v13
	v_mad_u32 v12, v0, s6, v12
	v_mov_b32_e32 v0, v1
	s_cbranch_scc1 .LBB265_296
.LBB265_297:
	s_mov_b32 s0, 0
.LBB265_298:
	s_delay_alu instid0(SALU_CYCLE_1)
	s_and_not1_b32 vcc_lo, exec_lo, s0
	s_cbranch_vccnz .LBB265_301
; %bb.299:
	v_mov_b32_e32 v11, 0
	s_and_not1_b32 vcc_lo, exec_lo, s46
	s_delay_alu instid0(VALU_DEP_1) | instskip(NEXT) | instid1(VALU_DEP_1)
	v_mul_u64_e32 v[0:1], s[14:15], v[10:11]
	v_add_nc_u32_e32 v0, v10, v1
	s_delay_alu instid0(VALU_DEP_1) | instskip(NEXT) | instid1(VALU_DEP_1)
	v_lshrrev_b32_e32 v0, s22, v0
	v_mul_lo_u32 v1, v0, s20
	s_delay_alu instid0(VALU_DEP_1) | instskip(NEXT) | instid1(VALU_DEP_1)
	v_sub_nc_u32_e32 v1, v10, v1
	v_mul_lo_u32 v13, v1, s25
	v_mul_lo_u32 v12, v1, s24
	s_cbranch_vccnz .LBB265_301
; %bb.300:
	v_mov_b32_e32 v1, v11
	s_delay_alu instid0(VALU_DEP_1) | instskip(NEXT) | instid1(VALU_DEP_1)
	v_mul_u64_e32 v[2:3], s[40:41], v[0:1]
	v_add_nc_u32_e32 v1, v0, v3
	s_delay_alu instid0(VALU_DEP_1) | instskip(NEXT) | instid1(VALU_DEP_1)
	v_lshrrev_b32_e32 v1, s35, v1
	v_mul_lo_u32 v1, v1, s23
	s_delay_alu instid0(VALU_DEP_1) | instskip(NEXT) | instid1(VALU_DEP_1)
	v_sub_nc_u32_e32 v0, v0, v1
	v_mad_u32 v12, v0, s26, v12
	v_mad_u32 v13, v0, s27, v13
.LBB265_301:
	v_dual_mov_b32 v0, s36 :: v_dual_mov_b32 v1, s37
	v_dual_mov_b32 v2, s18 :: v_dual_mov_b32 v3, s19
	s_delay_alu instid0(VALU_DEP_3) | instskip(SKIP_2) | instid1(SALU_CYCLE_1)
	v_dual_mov_b32 v4, v13 :: v_dual_mov_b32 v5, s21
	s_get_pc_i64 s[0:1]
	s_add_nc_u64 s[0:1], s[0:1], _ZN2at6native6invokeINS0_13AUnaryFunctorIN3c1015Float8_e5m2fnuzES4_bNS0_12_GLOBAL__N_116CompareEqFunctorIS4_EEEEj15function_traitsIS8_EEENT1_11result_typeERKT_PrKPcPKT0_PKNS3_10ScalarTypeEi@rel64+4
	s_swap_pc_i64 s[30:31], s[0:1]
	v_dual_mov_b32 v13, 0 :: v_dual_bitop2_b32 v0, 1, v0 bitop3:0x40
	s_and_b32 s2, s38, 0xff
	s_delay_alu instid0(SALU_CYCLE_1) | instskip(NEXT) | instid1(VALU_DEP_1)
	s_cmp_lt_i32 s2, 11
	v_cmp_eq_u32_e64 s0, 1, v0
	s_delay_alu instid0(VALU_DEP_2)
	v_add_nc_u64_e32 v[0:1], s[16:17], v[12:13]
	s_cbranch_scc1 .LBB265_308
; %bb.302:
	s_and_b32 s3, 0xffff, s2
	s_delay_alu instid0(SALU_CYCLE_1)
	s_cmp_gt_i32 s3, 25
	s_cbranch_scc0 .LBB265_309
; %bb.303:
	s_cmp_gt_i32 s3, 28
	s_cbranch_scc0 .LBB265_310
; %bb.304:
	;; [unrolled: 3-line block ×4, first 2 shown]
	s_mov_b32 s5, 0
	s_mov_b32 s1, -1
	s_cmp_eq_u32 s3, 46
	s_mov_b32 s4, 0
	s_cbranch_scc0 .LBB265_317
; %bb.307:
	v_cndmask_b32_e64 v2, 0, 1.0, s0
	s_mov_b32 s4, -1
	s_mov_b32 s1, 0
	s_delay_alu instid0(VALU_DEP_1) | instskip(NEXT) | instid1(VALU_DEP_1)
	v_bfe_u32 v3, v2, 16, 1
	v_add3_u32 v2, v2, v3, 0x7fff
	s_delay_alu instid0(VALU_DEP_1)
	v_lshrrev_b32_e32 v2, 16, v2
	global_store_b32 v[0:1], v2, off
	s_branch .LBB265_317
.LBB265_308:
	s_mov_b32 s3, -1
	s_mov_b32 s4, 0
	s_mov_b32 s1, s51
	s_branch .LBB265_386
.LBB265_309:
	s_mov_b32 s5, -1
	s_mov_b32 s4, 0
	s_mov_b32 s1, s51
	s_branch .LBB265_344
.LBB265_310:
	s_mov_b32 s5, -1
	s_mov_b32 s4, 0
	s_mov_b32 s1, s51
	s_branch .LBB265_327
.LBB265_311:
	s_and_not1_saveexec_b32 s6, s6
	s_cbranch_execz .LBB265_196
.LBB265_312:
	v_add_f32_e32 v2, 0x46000000, v3
	s_and_not1_b32 s5, s5, exec_lo
	s_delay_alu instid0(VALU_DEP_1) | instskip(NEXT) | instid1(VALU_DEP_1)
	v_and_b32_e32 v2, 0xff, v2
	v_cmp_ne_u32_e32 vcc_lo, 0, v2
	s_and_b32 s7, vcc_lo, exec_lo
	s_delay_alu instid0(SALU_CYCLE_1)
	s_or_b32 s5, s5, s7
	s_or_b32 exec_lo, exec_lo, s6
	v_mov_b32_e32 v4, 0
	s_and_saveexec_b32 s6, s5
	s_cbranch_execnz .LBB265_197
	s_branch .LBB265_198
.LBB265_313:
	s_mov_b32 s5, -1
	s_mov_b32 s4, 0
	s_mov_b32 s1, s51
	s_branch .LBB265_323
.LBB265_314:
	s_and_not1_saveexec_b32 s6, s6
	s_cbranch_execz .LBB265_209
.LBB265_315:
	v_add_f32_e32 v2, 0x42800000, v3
	s_and_not1_b32 s5, s5, exec_lo
	s_delay_alu instid0(VALU_DEP_1) | instskip(NEXT) | instid1(VALU_DEP_1)
	v_and_b32_e32 v2, 0xff, v2
	v_cmp_ne_u32_e32 vcc_lo, 0, v2
	s_and_b32 s7, vcc_lo, exec_lo
	s_delay_alu instid0(SALU_CYCLE_1)
	s_or_b32 s5, s5, s7
	s_or_b32 exec_lo, exec_lo, s6
	v_mov_b32_e32 v4, 0
	s_and_saveexec_b32 s6, s5
	s_cbranch_execnz .LBB265_210
	s_branch .LBB265_211
.LBB265_316:
	s_mov_b32 s5, -1
	s_mov_b32 s4, 0
	s_mov_b32 s1, s51
.LBB265_317:
	s_and_b32 vcc_lo, exec_lo, s5
	s_cbranch_vccz .LBB265_322
; %bb.318:
	s_cmp_eq_u32 s3, 44
	s_mov_b32 s1, -1
	s_cbranch_scc0 .LBB265_322
; %bb.319:
	v_cndmask_b32_e64 v4, 0, 1.0, s0
	s_mov_b32 s4, exec_lo
	s_wait_xcnt 0x0
	s_delay_alu instid0(VALU_DEP_1) | instskip(NEXT) | instid1(VALU_DEP_1)
	v_dual_mov_b32 v3, 0xff :: v_dual_lshrrev_b32 v2, 23, v4
	v_cmpx_ne_u32_e32 0xff, v2
; %bb.320:
	v_and_b32_e32 v3, 0x400000, v4
	v_and_or_b32 v4, 0x3fffff, v4, v2
	s_delay_alu instid0(VALU_DEP_2) | instskip(NEXT) | instid1(VALU_DEP_2)
	v_cmp_ne_u32_e32 vcc_lo, 0, v3
	v_cmp_ne_u32_e64 s1, 0, v4
	s_and_b32 s1, vcc_lo, s1
	s_delay_alu instid0(SALU_CYCLE_1) | instskip(NEXT) | instid1(VALU_DEP_1)
	v_cndmask_b32_e64 v3, 0, 1, s1
	v_add_nc_u32_e32 v3, v2, v3
; %bb.321:
	s_or_b32 exec_lo, exec_lo, s4
	s_mov_b32 s4, -1
	s_mov_b32 s1, 0
	global_store_b8 v[0:1], v3, off
.LBB265_322:
	s_mov_b32 s5, 0
.LBB265_323:
	s_delay_alu instid0(SALU_CYCLE_1)
	s_and_b32 vcc_lo, exec_lo, s5
	s_cbranch_vccz .LBB265_326
; %bb.324:
	s_cmp_eq_u32 s3, 29
	s_mov_b32 s1, -1
	s_cbranch_scc0 .LBB265_326
; %bb.325:
	s_mov_b32 s1, 0
	s_wait_xcnt 0x0
	v_cndmask_b32_e64 v2, 0, 1, s0
	v_mov_b32_e32 v3, s1
	s_mov_b32 s4, -1
	s_mov_b32 s5, 0
	global_store_b64 v[0:1], v[2:3], off
	s_branch .LBB265_327
.LBB265_326:
	s_mov_b32 s5, 0
.LBB265_327:
	s_delay_alu instid0(SALU_CYCLE_1)
	s_and_b32 vcc_lo, exec_lo, s5
	s_cbranch_vccz .LBB265_343
; %bb.328:
	s_cmp_lt_i32 s3, 27
	s_mov_b32 s4, -1
	s_cbranch_scc1 .LBB265_334
; %bb.329:
	s_cmp_gt_i32 s3, 27
	s_cbranch_scc0 .LBB265_331
; %bb.330:
	s_wait_xcnt 0x0
	v_cndmask_b32_e64 v2, 0, 1, s0
	s_mov_b32 s4, 0
	global_store_b32 v[0:1], v2, off
.LBB265_331:
	s_and_not1_b32 vcc_lo, exec_lo, s4
	s_cbranch_vccnz .LBB265_333
; %bb.332:
	s_wait_xcnt 0x0
	v_cndmask_b32_e64 v2, 0, 1, s0
	global_store_b16 v[0:1], v2, off
.LBB265_333:
	s_mov_b32 s4, 0
.LBB265_334:
	s_delay_alu instid0(SALU_CYCLE_1)
	s_and_not1_b32 vcc_lo, exec_lo, s4
	s_cbranch_vccnz .LBB265_342
; %bb.335:
	s_wait_xcnt 0x0
	v_cndmask_b32_e64 v3, 0, 1.0, s0
	v_mov_b32_e32 v4, 0x80
	s_mov_b32 s4, exec_lo
	s_delay_alu instid0(VALU_DEP_2)
	v_cmpx_gt_u32_e32 0x43800000, v3
	s_cbranch_execz .LBB265_341
; %bb.336:
	s_mov_b32 s5, 0
	s_mov_b32 s6, exec_lo
                                        ; implicit-def: $vgpr2
	v_cmpx_lt_u32_e32 0x3bffffff, v3
	s_xor_b32 s6, exec_lo, s6
	s_cbranch_execz .LBB265_454
; %bb.337:
	v_bfe_u32 v2, v3, 20, 1
	s_mov_b32 s5, exec_lo
	s_delay_alu instid0(VALU_DEP_1) | instskip(NEXT) | instid1(VALU_DEP_1)
	v_add3_u32 v2, v3, v2, 0x487ffff
                                        ; implicit-def: $vgpr3
	v_lshrrev_b32_e32 v2, 20, v2
	s_and_not1_saveexec_b32 s6, s6
	s_cbranch_execnz .LBB265_455
.LBB265_338:
	s_or_b32 exec_lo, exec_lo, s6
	v_mov_b32_e32 v4, 0
	s_and_saveexec_b32 s6, s5
.LBB265_339:
	v_mov_b32_e32 v4, v2
.LBB265_340:
	s_or_b32 exec_lo, exec_lo, s6
.LBB265_341:
	s_delay_alu instid0(SALU_CYCLE_1)
	s_or_b32 exec_lo, exec_lo, s4
	global_store_b8 v[0:1], v4, off
.LBB265_342:
	s_mov_b32 s4, -1
.LBB265_343:
	s_mov_b32 s5, 0
.LBB265_344:
	s_delay_alu instid0(SALU_CYCLE_1)
	s_and_b32 vcc_lo, exec_lo, s5
	s_cbranch_vccz .LBB265_385
; %bb.345:
	s_cmp_gt_i32 s3, 22
	s_mov_b32 s5, -1
	s_cbranch_scc0 .LBB265_377
; %bb.346:
	s_cmp_lt_i32 s3, 24
	s_mov_b32 s4, -1
	s_cbranch_scc1 .LBB265_366
; %bb.347:
	s_cmp_gt_i32 s3, 24
	s_cbranch_scc0 .LBB265_355
; %bb.348:
	s_wait_xcnt 0x0
	v_cndmask_b32_e64 v3, 0, 1.0, s0
	v_mov_b32_e32 v4, 0x80
	s_mov_b32 s4, exec_lo
	s_delay_alu instid0(VALU_DEP_2)
	v_cmpx_gt_u32_e32 0x47800000, v3
	s_cbranch_execz .LBB265_354
; %bb.349:
	s_mov_b32 s5, 0
	s_mov_b32 s6, exec_lo
                                        ; implicit-def: $vgpr2
	v_cmpx_lt_u32_e32 0x37ffffff, v3
	s_xor_b32 s6, exec_lo, s6
	s_cbranch_execz .LBB265_456
; %bb.350:
	v_bfe_u32 v2, v3, 21, 1
	s_mov_b32 s5, exec_lo
	s_delay_alu instid0(VALU_DEP_1) | instskip(NEXT) | instid1(VALU_DEP_1)
	v_add3_u32 v2, v3, v2, 0x88fffff
                                        ; implicit-def: $vgpr3
	v_lshrrev_b32_e32 v2, 21, v2
	s_and_not1_saveexec_b32 s6, s6
	s_cbranch_execnz .LBB265_457
.LBB265_351:
	s_or_b32 exec_lo, exec_lo, s6
	v_mov_b32_e32 v4, 0
	s_and_saveexec_b32 s6, s5
.LBB265_352:
	v_mov_b32_e32 v4, v2
.LBB265_353:
	s_or_b32 exec_lo, exec_lo, s6
.LBB265_354:
	s_delay_alu instid0(SALU_CYCLE_1)
	s_or_b32 exec_lo, exec_lo, s4
	s_mov_b32 s4, 0
	global_store_b8 v[0:1], v4, off
.LBB265_355:
	s_and_b32 vcc_lo, exec_lo, s4
	s_cbranch_vccz .LBB265_365
; %bb.356:
	s_wait_xcnt 0x0
	v_cndmask_b32_e64 v3, 0, 1.0, s0
	s_mov_b32 s4, exec_lo
                                        ; implicit-def: $vgpr2
	s_delay_alu instid0(VALU_DEP_1)
	v_cmpx_gt_u32_e32 0x43f00000, v3
	s_xor_b32 s4, exec_lo, s4
	s_cbranch_execz .LBB265_362
; %bb.357:
	s_mov_b32 s5, exec_lo
                                        ; implicit-def: $vgpr2
	v_cmpx_lt_u32_e32 0x3c7fffff, v3
	s_xor_b32 s5, exec_lo, s5
; %bb.358:
	v_bfe_u32 v2, v3, 20, 1
	s_delay_alu instid0(VALU_DEP_1) | instskip(NEXT) | instid1(VALU_DEP_1)
	v_add3_u32 v2, v3, v2, 0x407ffff
	v_and_b32_e32 v3, 0xff00000, v2
	v_lshrrev_b32_e32 v2, 20, v2
	s_delay_alu instid0(VALU_DEP_2) | instskip(NEXT) | instid1(VALU_DEP_2)
	v_cmp_ne_u32_e32 vcc_lo, 0x7f00000, v3
                                        ; implicit-def: $vgpr3
	v_cndmask_b32_e32 v2, 0x7e, v2, vcc_lo
; %bb.359:
	s_and_not1_saveexec_b32 s5, s5
; %bb.360:
	v_add_f32_e32 v2, 0x46800000, v3
; %bb.361:
	s_or_b32 exec_lo, exec_lo, s5
                                        ; implicit-def: $vgpr3
.LBB265_362:
	s_and_not1_saveexec_b32 s4, s4
; %bb.363:
	v_mov_b32_e32 v2, 0x7f
	v_cmp_lt_u32_e32 vcc_lo, 0x7f800000, v3
	s_delay_alu instid0(VALU_DEP_2)
	v_cndmask_b32_e32 v2, 0x7e, v2, vcc_lo
; %bb.364:
	s_or_b32 exec_lo, exec_lo, s4
	global_store_b8 v[0:1], v2, off
.LBB265_365:
	s_mov_b32 s4, 0
.LBB265_366:
	s_delay_alu instid0(SALU_CYCLE_1)
	s_and_not1_b32 vcc_lo, exec_lo, s4
	s_cbranch_vccnz .LBB265_376
; %bb.367:
	s_wait_xcnt 0x0
	v_cndmask_b32_e64 v3, 0, 1.0, s0
	s_mov_b32 s4, exec_lo
                                        ; implicit-def: $vgpr2
	s_delay_alu instid0(VALU_DEP_1)
	v_cmpx_gt_u32_e32 0x47800000, v3
	s_xor_b32 s4, exec_lo, s4
	s_cbranch_execz .LBB265_373
; %bb.368:
	s_mov_b32 s5, exec_lo
                                        ; implicit-def: $vgpr2
	v_cmpx_lt_u32_e32 0x387fffff, v3
	s_xor_b32 s5, exec_lo, s5
; %bb.369:
	v_bfe_u32 v2, v3, 21, 1
	s_delay_alu instid0(VALU_DEP_1) | instskip(NEXT) | instid1(VALU_DEP_1)
	v_add3_u32 v2, v3, v2, 0x80fffff
                                        ; implicit-def: $vgpr3
	v_lshrrev_b32_e32 v2, 21, v2
; %bb.370:
	s_and_not1_saveexec_b32 s5, s5
; %bb.371:
	v_add_f32_e32 v2, 0x43000000, v3
; %bb.372:
	s_or_b32 exec_lo, exec_lo, s5
                                        ; implicit-def: $vgpr3
.LBB265_373:
	s_and_not1_saveexec_b32 s4, s4
; %bb.374:
	v_mov_b32_e32 v2, 0x7f
	v_cmp_lt_u32_e32 vcc_lo, 0x7f800000, v3
	s_delay_alu instid0(VALU_DEP_2)
	v_cndmask_b32_e32 v2, 0x7c, v2, vcc_lo
; %bb.375:
	s_or_b32 exec_lo, exec_lo, s4
	global_store_b8 v[0:1], v2, off
.LBB265_376:
	s_mov_b32 s5, 0
	s_mov_b32 s4, -1
.LBB265_377:
	s_and_not1_b32 vcc_lo, exec_lo, s5
	s_cbranch_vccnz .LBB265_385
; %bb.378:
	s_cmp_gt_i32 s3, 14
	s_mov_b32 s5, -1
	s_cbranch_scc0 .LBB265_382
; %bb.379:
	s_cmp_eq_u32 s3, 15
	s_mov_b32 s1, -1
	s_cbranch_scc0 .LBB265_381
; %bb.380:
	s_wait_xcnt 0x0
	v_cndmask_b32_e64 v2, 0, 1.0, s0
	s_mov_b32 s4, -1
	s_mov_b32 s1, 0
	s_delay_alu instid0(VALU_DEP_1) | instskip(NEXT) | instid1(VALU_DEP_1)
	v_bfe_u32 v3, v2, 16, 1
	v_add3_u32 v2, v2, v3, 0x7fff
	global_store_d16_hi_b16 v[0:1], v2, off
.LBB265_381:
	s_mov_b32 s5, 0
.LBB265_382:
	s_delay_alu instid0(SALU_CYCLE_1)
	s_and_b32 vcc_lo, exec_lo, s5
	s_cbranch_vccz .LBB265_385
; %bb.383:
	s_cmp_eq_u32 s3, 11
	s_mov_b32 s1, -1
	s_cbranch_scc0 .LBB265_385
; %bb.384:
	s_wait_xcnt 0x0
	v_cndmask_b32_e64 v2, 0, 1, s0
	s_mov_b32 s4, -1
	s_mov_b32 s1, 0
	global_store_b8 v[0:1], v2, off
.LBB265_385:
	s_mov_b32 s3, 0
.LBB265_386:
	s_delay_alu instid0(SALU_CYCLE_1)
	s_and_b32 vcc_lo, exec_lo, s3
	s_cbranch_vccz .LBB265_425
; %bb.387:
	s_and_b32 s2, 0xffff, s2
	s_mov_b32 s3, -1
	s_cmp_lt_i32 s2, 5
	s_cbranch_scc1 .LBB265_408
; %bb.388:
	s_cmp_lt_i32 s2, 8
	s_cbranch_scc1 .LBB265_398
; %bb.389:
	;; [unrolled: 3-line block ×3, first 2 shown]
	s_cmp_gt_i32 s2, 9
	s_cbranch_scc0 .LBB265_392
; %bb.391:
	s_wait_xcnt 0x0
	v_cndmask_b32_e64 v2, 0, 1, s0
	v_mov_b32_e32 v4, 0
	s_mov_b32 s3, 0
	s_delay_alu instid0(VALU_DEP_2) | instskip(NEXT) | instid1(VALU_DEP_2)
	v_cvt_f64_u32_e32 v[2:3], v2
	v_mov_b32_e32 v5, v4
	global_store_b128 v[0:1], v[2:5], off
.LBB265_392:
	s_and_not1_b32 vcc_lo, exec_lo, s3
	s_cbranch_vccnz .LBB265_394
; %bb.393:
	s_wait_xcnt 0x0
	v_cndmask_b32_e64 v2, 0, 1.0, s0
	v_mov_b32_e32 v3, 0
	global_store_b64 v[0:1], v[2:3], off
.LBB265_394:
	s_mov_b32 s3, 0
.LBB265_395:
	s_delay_alu instid0(SALU_CYCLE_1)
	s_and_not1_b32 vcc_lo, exec_lo, s3
	s_cbranch_vccnz .LBB265_397
; %bb.396:
	s_wait_xcnt 0x0
	v_cndmask_b32_e64 v2, 0, 1.0, s0
	s_delay_alu instid0(VALU_DEP_1) | instskip(NEXT) | instid1(VALU_DEP_1)
	v_cvt_f16_f32_e32 v2, v2
	v_and_b32_e32 v2, 0xffff, v2
	global_store_b32 v[0:1], v2, off
.LBB265_397:
	s_mov_b32 s3, 0
.LBB265_398:
	s_delay_alu instid0(SALU_CYCLE_1)
	s_and_not1_b32 vcc_lo, exec_lo, s3
	s_cbranch_vccnz .LBB265_407
; %bb.399:
	s_cmp_lt_i32 s2, 6
	s_mov_b32 s3, -1
	s_cbranch_scc1 .LBB265_405
; %bb.400:
	s_cmp_gt_i32 s2, 6
	s_cbranch_scc0 .LBB265_402
; %bb.401:
	s_wait_xcnt 0x0
	v_cndmask_b32_e64 v2, 0, 1, s0
	s_mov_b32 s3, 0
	s_delay_alu instid0(VALU_DEP_1)
	v_cvt_f64_u32_e32 v[2:3], v2
	global_store_b64 v[0:1], v[2:3], off
.LBB265_402:
	s_and_not1_b32 vcc_lo, exec_lo, s3
	s_cbranch_vccnz .LBB265_404
; %bb.403:
	s_wait_xcnt 0x0
	v_cndmask_b32_e64 v2, 0, 1.0, s0
	global_store_b32 v[0:1], v2, off
.LBB265_404:
	s_mov_b32 s3, 0
.LBB265_405:
	s_delay_alu instid0(SALU_CYCLE_1)
	s_and_not1_b32 vcc_lo, exec_lo, s3
	s_cbranch_vccnz .LBB265_407
; %bb.406:
	s_wait_xcnt 0x0
	v_cndmask_b32_e64 v2, 0, 1.0, s0
	s_delay_alu instid0(VALU_DEP_1)
	v_cvt_f16_f32_e32 v2, v2
	global_store_b16 v[0:1], v2, off
.LBB265_407:
	s_mov_b32 s3, 0
.LBB265_408:
	s_delay_alu instid0(SALU_CYCLE_1)
	s_and_not1_b32 vcc_lo, exec_lo, s3
	s_cbranch_vccnz .LBB265_424
; %bb.409:
	s_cmp_lt_i32 s2, 2
	s_mov_b32 s3, -1
	s_cbranch_scc1 .LBB265_419
; %bb.410:
	s_cmp_lt_i32 s2, 3
	s_cbranch_scc1 .LBB265_416
; %bb.411:
	s_cmp_gt_i32 s2, 3
	s_cbranch_scc0 .LBB265_413
; %bb.412:
	s_mov_b32 s3, 0
	s_wait_xcnt 0x0
	v_cndmask_b32_e64 v2, 0, 1, s0
	v_mov_b32_e32 v3, s3
	global_store_b64 v[0:1], v[2:3], off
.LBB265_413:
	s_and_not1_b32 vcc_lo, exec_lo, s3
	s_cbranch_vccnz .LBB265_415
; %bb.414:
	s_wait_xcnt 0x0
	v_cndmask_b32_e64 v2, 0, 1, s0
	global_store_b32 v[0:1], v2, off
.LBB265_415:
	s_mov_b32 s3, 0
.LBB265_416:
	s_delay_alu instid0(SALU_CYCLE_1)
	s_and_not1_b32 vcc_lo, exec_lo, s3
	s_cbranch_vccnz .LBB265_418
; %bb.417:
	s_wait_xcnt 0x0
	v_cndmask_b32_e64 v2, 0, 1, s0
	global_store_b16 v[0:1], v2, off
.LBB265_418:
	s_mov_b32 s3, 0
.LBB265_419:
	s_delay_alu instid0(SALU_CYCLE_1)
	s_and_not1_b32 vcc_lo, exec_lo, s3
	s_cbranch_vccnz .LBB265_424
; %bb.420:
	s_wait_xcnt 0x0
	v_cndmask_b32_e64 v2, 0, 1, s0
	s_cmp_gt_i32 s2, 0
	s_mov_b32 s0, -1
	s_cbranch_scc0 .LBB265_422
; %bb.421:
	s_mov_b32 s0, 0
	global_store_b8 v[0:1], v2, off
.LBB265_422:
	s_and_not1_b32 vcc_lo, exec_lo, s0
	s_cbranch_vccnz .LBB265_424
; %bb.423:
	global_store_b8 v[0:1], v2, off
.LBB265_424:
	s_mov_b32 s4, -1
.LBB265_425:
	s_delay_alu instid0(SALU_CYCLE_1)
	s_and_not1_b32 vcc_lo, exec_lo, s4
	s_cbranch_vccnz .LBB265_427
; %bb.426:
	v_add_nc_u32_e32 v10, 0x80, v10
	s_mov_b32 s0, -1
	s_branch .LBB265_428
.LBB265_427:
	s_mov_b32 s0, 0
                                        ; implicit-def: $vgpr10
.LBB265_428:
	s_and_not1_b32 s2, s51, exec_lo
	s_and_b32 s1, s1, exec_lo
	s_or_not1_b32 s4, s0, exec_lo
	s_or_b32 s54, s2, s1
.LBB265_429:
	s_wait_xcnt 0x0
	s_or_b32 exec_lo, exec_lo, s53
	s_mov_b32 s0, 0
	s_mov_b32 s3, 0
                                        ; implicit-def: $sgpr1
                                        ; implicit-def: $sgpr2
                                        ; implicit-def: $vgpr0_vgpr1
	s_and_saveexec_b32 s53, s4
	s_cbranch_execz .LBB265_528
; %bb.430:
	v_cmp_gt_i32_e32 vcc_lo, s47, v10
	s_mov_b32 s4, s54
                                        ; implicit-def: $sgpr1
                                        ; implicit-def: $sgpr2
                                        ; implicit-def: $vgpr0_vgpr1
	s_and_saveexec_b32 s47, vcc_lo
	s_cbranch_execz .LBB265_527
; %bb.431:
	s_and_not1_b32 vcc_lo, exec_lo, s44
	s_cbranch_vccnz .LBB265_436
; %bb.432:
	s_and_not1_b32 vcc_lo, exec_lo, s49
	s_cbranch_vccnz .LBB265_437
; %bb.433:
	s_add_co_i32 s48, s48, 1
	s_cmp_eq_u32 s33, 2
	s_cbranch_scc1 .LBB265_438
; %bb.434:
	v_dual_mov_b32 v12, 0 :: v_dual_mov_b32 v13, 0
	v_mov_b32_e32 v0, v10
	s_and_b32 s0, s48, 28
	s_mov_b32 s1, 0
	s_mov_b64 s[2:3], s[28:29]
.LBB265_435:                            ; =>This Inner Loop Header: Depth=1
	s_clause 0x1
	s_load_b256 s[4:11], s[2:3], 0x4
	s_load_b128 s[64:67], s[2:3], 0x24
	s_load_b256 s[56:63], s[42:43], 0x0
	s_add_co_i32 s1, s1, 4
	s_wait_xcnt 0x0
	s_add_nc_u64 s[2:3], s[2:3], 48
	s_cmp_eq_u32 s0, s1
	s_add_nc_u64 s[42:43], s[42:43], 32
	s_wait_kmcnt 0x0
	v_mul_hi_u32 v1, s5, v0
	s_delay_alu instid0(VALU_DEP_1) | instskip(NEXT) | instid1(VALU_DEP_1)
	v_add_nc_u32_e32 v1, v0, v1
	v_lshrrev_b32_e32 v1, s6, v1
	s_delay_alu instid0(VALU_DEP_1) | instskip(NEXT) | instid1(VALU_DEP_1)
	v_mul_hi_u32 v2, s8, v1
	v_add_nc_u32_e32 v2, v1, v2
	s_delay_alu instid0(VALU_DEP_1) | instskip(NEXT) | instid1(VALU_DEP_1)
	v_lshrrev_b32_e32 v2, s9, v2
	v_mul_hi_u32 v3, s11, v2
	s_delay_alu instid0(VALU_DEP_1) | instskip(SKIP_1) | instid1(VALU_DEP_1)
	v_add_nc_u32_e32 v3, v2, v3
	v_mul_lo_u32 v4, v1, s4
	v_sub_nc_u32_e32 v0, v0, v4
	v_mul_lo_u32 v4, v2, s7
	s_delay_alu instid0(VALU_DEP_4) | instskip(NEXT) | instid1(VALU_DEP_3)
	v_lshrrev_b32_e32 v3, s64, v3
	v_mad_u32 v6, v0, s57, v13
	v_mad_u32 v0, v0, s56, v12
	s_delay_alu instid0(VALU_DEP_4) | instskip(NEXT) | instid1(VALU_DEP_4)
	v_sub_nc_u32_e32 v1, v1, v4
	v_mul_hi_u32 v5, s66, v3
	v_mul_lo_u32 v4, v3, s10
	s_delay_alu instid0(VALU_DEP_3) | instskip(SKIP_1) | instid1(VALU_DEP_3)
	v_mad_u32 v6, v1, s59, v6
	v_mad_u32 v1, v1, s58, v0
	v_dual_add_nc_u32 v5, v3, v5 :: v_dual_sub_nc_u32 v2, v2, v4
	s_delay_alu instid0(VALU_DEP_1) | instskip(NEXT) | instid1(VALU_DEP_2)
	v_lshrrev_b32_e32 v0, s67, v5
	v_mad_u32 v5, v2, s61, v6
	s_delay_alu instid0(VALU_DEP_4) | instskip(NEXT) | instid1(VALU_DEP_3)
	v_mad_u32 v1, v2, s60, v1
	v_mul_lo_u32 v4, v0, s65
	s_delay_alu instid0(VALU_DEP_1) | instskip(NEXT) | instid1(VALU_DEP_1)
	v_sub_nc_u32_e32 v2, v3, v4
	v_mad_u32 v13, v2, s63, v5
	s_delay_alu instid0(VALU_DEP_4)
	v_mad_u32 v12, v2, s62, v1
	s_cbranch_scc0 .LBB265_435
	s_branch .LBB265_439
.LBB265_436:
	s_mov_b32 s0, -1
                                        ; implicit-def: $vgpr13
	s_branch .LBB265_443
.LBB265_437:
	v_dual_mov_b32 v13, 0 :: v_dual_mov_b32 v12, 0
	s_branch .LBB265_442
.LBB265_438:
	v_mov_b64_e32 v[12:13], 0
	v_mov_b32_e32 v0, v10
.LBB265_439:
	s_and_b32 s4, s48, 3
	s_mov_b32 s1, 0
	s_cmp_eq_u32 s4, 0
	s_cbranch_scc1 .LBB265_442
; %bb.440:
	s_lshl_b32 s2, s0, 3
	s_mov_b32 s3, s1
	s_mul_u64 s[6:7], s[0:1], 12
	s_add_nc_u64 s[2:3], s[28:29], s[2:3]
	s_delay_alu instid0(SALU_CYCLE_1)
	s_add_nc_u64 s[0:1], s[2:3], 0xc4
	s_add_nc_u64 s[2:3], s[28:29], s[6:7]
.LBB265_441:                            ; =>This Inner Loop Header: Depth=1
	s_load_b96 s[8:10], s[2:3], 0x4
	s_load_b64 s[6:7], s[0:1], 0x0
	s_add_co_i32 s4, s4, -1
	s_wait_xcnt 0x0
	s_add_nc_u64 s[2:3], s[2:3], 12
	s_cmp_lg_u32 s4, 0
	s_add_nc_u64 s[0:1], s[0:1], 8
	s_wait_kmcnt 0x0
	v_mul_hi_u32 v1, s9, v0
	s_delay_alu instid0(VALU_DEP_1) | instskip(NEXT) | instid1(VALU_DEP_1)
	v_add_nc_u32_e32 v1, v0, v1
	v_lshrrev_b32_e32 v1, s10, v1
	s_delay_alu instid0(VALU_DEP_1) | instskip(NEXT) | instid1(VALU_DEP_1)
	v_mul_lo_u32 v2, v1, s8
	v_sub_nc_u32_e32 v0, v0, v2
	s_delay_alu instid0(VALU_DEP_1)
	v_mad_u32 v13, v0, s7, v13
	v_mad_u32 v12, v0, s6, v12
	v_mov_b32_e32 v0, v1
	s_cbranch_scc1 .LBB265_441
.LBB265_442:
	s_mov_b32 s0, 0
.LBB265_443:
	s_delay_alu instid0(SALU_CYCLE_1)
	s_and_not1_b32 vcc_lo, exec_lo, s0
	s_cbranch_vccnz .LBB265_446
; %bb.444:
	v_mov_b32_e32 v11, 0
	s_and_not1_b32 vcc_lo, exec_lo, s46
	s_delay_alu instid0(VALU_DEP_1) | instskip(NEXT) | instid1(VALU_DEP_1)
	v_mul_u64_e32 v[0:1], s[14:15], v[10:11]
	v_add_nc_u32_e32 v0, v10, v1
	s_delay_alu instid0(VALU_DEP_1) | instskip(NEXT) | instid1(VALU_DEP_1)
	v_lshrrev_b32_e32 v0, s22, v0
	v_mul_lo_u32 v1, v0, s20
	s_delay_alu instid0(VALU_DEP_1) | instskip(NEXT) | instid1(VALU_DEP_1)
	v_sub_nc_u32_e32 v1, v10, v1
	v_mul_lo_u32 v13, v1, s25
	v_mul_lo_u32 v12, v1, s24
	s_cbranch_vccnz .LBB265_446
; %bb.445:
	v_mov_b32_e32 v1, v11
	s_delay_alu instid0(VALU_DEP_1) | instskip(NEXT) | instid1(VALU_DEP_1)
	v_mul_u64_e32 v[2:3], s[40:41], v[0:1]
	v_add_nc_u32_e32 v1, v0, v3
	s_delay_alu instid0(VALU_DEP_1) | instskip(NEXT) | instid1(VALU_DEP_1)
	v_lshrrev_b32_e32 v1, s35, v1
	v_mul_lo_u32 v1, v1, s23
	s_delay_alu instid0(VALU_DEP_1) | instskip(NEXT) | instid1(VALU_DEP_1)
	v_sub_nc_u32_e32 v0, v0, v1
	v_mad_u32 v12, v0, s26, v12
	v_mad_u32 v13, v0, s27, v13
.LBB265_446:
	v_dual_mov_b32 v0, s36 :: v_dual_mov_b32 v1, s37
	v_dual_mov_b32 v2, s18 :: v_dual_mov_b32 v3, s19
	s_delay_alu instid0(VALU_DEP_3) | instskip(SKIP_2) | instid1(SALU_CYCLE_1)
	v_dual_mov_b32 v4, v13 :: v_dual_mov_b32 v5, s21
	s_get_pc_i64 s[0:1]
	s_add_nc_u64 s[0:1], s[0:1], _ZN2at6native6invokeINS0_13AUnaryFunctorIN3c1015Float8_e5m2fnuzES4_bNS0_12_GLOBAL__N_116CompareEqFunctorIS4_EEEEj15function_traitsIS8_EEENT1_11result_typeERKT_PrKPcPKT0_PKNS3_10ScalarTypeEi@rel64+4
	s_swap_pc_i64 s[30:31], s[0:1]
	v_dual_mov_b32 v13, 0 :: v_dual_bitop2_b32 v0, 1, v0 bitop3:0x40
	s_and_b32 s2, s38, 0xff
	s_delay_alu instid0(SALU_CYCLE_1) | instskip(NEXT) | instid1(VALU_DEP_1)
	s_cmp_lt_i32 s2, 11
	v_cmp_eq_u32_e64 s1, 1, v0
	s_delay_alu instid0(VALU_DEP_2)
	v_add_nc_u64_e32 v[0:1], s[16:17], v[12:13]
	s_cbranch_scc1 .LBB265_453
; %bb.447:
	s_and_b32 s3, 0xffff, s2
	s_mov_b32 s4, -1
	s_cmp_gt_i32 s3, 25
	s_mov_b32 s0, s54
	s_cbranch_scc0 .LBB265_485
; %bb.448:
	s_cmp_gt_i32 s3, 28
	s_mov_b32 s0, s54
	s_cbranch_scc0 .LBB265_469
; %bb.449:
	;; [unrolled: 4-line block ×4, first 2 shown]
	s_cmp_eq_u32 s3, 46
	s_mov_b32 s0, -1
	s_cbranch_scc0 .LBB265_458
; %bb.452:
	v_cndmask_b32_e64 v2, 0, 1.0, s1
	s_mov_b32 s0, 0
	s_mov_b32 s4, 0
	s_delay_alu instid0(VALU_DEP_1) | instskip(NEXT) | instid1(VALU_DEP_1)
	v_bfe_u32 v3, v2, 16, 1
	v_add3_u32 v2, v2, v3, 0x7fff
	s_delay_alu instid0(VALU_DEP_1)
	v_lshrrev_b32_e32 v2, 16, v2
	global_store_b32 v[0:1], v2, off
	s_branch .LBB265_459
.LBB265_453:
	s_mov_b32 s5, 0
	s_mov_b32 s4, -1
	s_mov_b32 s0, s54
	s_branch .LBB265_526
.LBB265_454:
	s_and_not1_saveexec_b32 s6, s6
	s_cbranch_execz .LBB265_338
.LBB265_455:
	v_add_f32_e32 v2, 0x46000000, v3
	s_and_not1_b32 s5, s5, exec_lo
	s_delay_alu instid0(VALU_DEP_1) | instskip(NEXT) | instid1(VALU_DEP_1)
	v_and_b32_e32 v2, 0xff, v2
	v_cmp_ne_u32_e32 vcc_lo, 0, v2
	s_and_b32 s7, vcc_lo, exec_lo
	s_delay_alu instid0(SALU_CYCLE_1)
	s_or_b32 s5, s5, s7
	s_or_b32 exec_lo, exec_lo, s6
	v_mov_b32_e32 v4, 0
	s_and_saveexec_b32 s6, s5
	s_cbranch_execnz .LBB265_339
	s_branch .LBB265_340
.LBB265_456:
	s_and_not1_saveexec_b32 s6, s6
	s_cbranch_execz .LBB265_351
.LBB265_457:
	v_add_f32_e32 v2, 0x42800000, v3
	s_and_not1_b32 s5, s5, exec_lo
	s_delay_alu instid0(VALU_DEP_1) | instskip(NEXT) | instid1(VALU_DEP_1)
	v_and_b32_e32 v2, 0xff, v2
	v_cmp_ne_u32_e32 vcc_lo, 0, v2
	s_and_b32 s7, vcc_lo, exec_lo
	s_delay_alu instid0(SALU_CYCLE_1)
	s_or_b32 s5, s5, s7
	s_or_b32 exec_lo, exec_lo, s6
	v_mov_b32_e32 v4, 0
	s_and_saveexec_b32 s6, s5
	s_cbranch_execnz .LBB265_352
	s_branch .LBB265_353
.LBB265_458:
	s_mov_b32 s4, 0
.LBB265_459:
	s_delay_alu instid0(SALU_CYCLE_1)
	s_and_b32 vcc_lo, exec_lo, s4
	s_cbranch_vccz .LBB265_464
; %bb.460:
	s_cmp_eq_u32 s3, 44
	s_mov_b32 s0, -1
	s_cbranch_scc0 .LBB265_464
; %bb.461:
	v_cndmask_b32_e64 v4, 0, 1.0, s1
	s_mov_b32 s4, exec_lo
	s_wait_xcnt 0x0
	s_delay_alu instid0(VALU_DEP_1) | instskip(NEXT) | instid1(VALU_DEP_1)
	v_dual_mov_b32 v3, 0xff :: v_dual_lshrrev_b32 v2, 23, v4
	v_cmpx_ne_u32_e32 0xff, v2
; %bb.462:
	v_and_b32_e32 v3, 0x400000, v4
	v_and_or_b32 v4, 0x3fffff, v4, v2
	s_delay_alu instid0(VALU_DEP_2) | instskip(NEXT) | instid1(VALU_DEP_2)
	v_cmp_ne_u32_e32 vcc_lo, 0, v3
	v_cmp_ne_u32_e64 s0, 0, v4
	s_and_b32 s0, vcc_lo, s0
	s_delay_alu instid0(SALU_CYCLE_1) | instskip(NEXT) | instid1(VALU_DEP_1)
	v_cndmask_b32_e64 v3, 0, 1, s0
	v_add_nc_u32_e32 v3, v2, v3
; %bb.463:
	s_or_b32 exec_lo, exec_lo, s4
	s_mov_b32 s0, 0
	global_store_b8 v[0:1], v3, off
.LBB265_464:
	s_mov_b32 s4, 0
.LBB265_465:
	s_delay_alu instid0(SALU_CYCLE_1)
	s_and_b32 vcc_lo, exec_lo, s4
	s_cbranch_vccz .LBB265_468
; %bb.466:
	s_cmp_eq_u32 s3, 29
	s_mov_b32 s0, -1
	s_cbranch_scc0 .LBB265_468
; %bb.467:
	s_mov_b32 s0, 0
	s_wait_xcnt 0x0
	v_cndmask_b32_e64 v2, 0, 1, s1
	v_mov_b32_e32 v3, s0
	s_mov_b32 s4, 0
	global_store_b64 v[0:1], v[2:3], off
	s_branch .LBB265_469
.LBB265_468:
	s_mov_b32 s4, 0
.LBB265_469:
	s_delay_alu instid0(SALU_CYCLE_1)
	s_and_b32 vcc_lo, exec_lo, s4
	s_cbranch_vccz .LBB265_484
; %bb.470:
	s_cmp_lt_i32 s3, 27
	s_mov_b32 s4, -1
	s_cbranch_scc1 .LBB265_476
; %bb.471:
	s_wait_xcnt 0x0
	v_cndmask_b32_e64 v2, 0, 1, s1
	s_cmp_gt_i32 s3, 27
	s_cbranch_scc0 .LBB265_473
; %bb.472:
	s_mov_b32 s4, 0
	global_store_b32 v[0:1], v2, off
.LBB265_473:
	s_and_not1_b32 vcc_lo, exec_lo, s4
	s_cbranch_vccnz .LBB265_475
; %bb.474:
	global_store_b16 v[0:1], v2, off
.LBB265_475:
	s_mov_b32 s4, 0
.LBB265_476:
	s_delay_alu instid0(SALU_CYCLE_1)
	s_and_not1_b32 vcc_lo, exec_lo, s4
	s_cbranch_vccnz .LBB265_484
; %bb.477:
	s_wait_xcnt 0x0
	v_cndmask_b32_e64 v3, 0, 1.0, s1
	v_mov_b32_e32 v4, 0x80
	s_mov_b32 s4, exec_lo
	s_delay_alu instid0(VALU_DEP_2)
	v_cmpx_gt_u32_e32 0x43800000, v3
	s_cbranch_execz .LBB265_483
; %bb.478:
	s_mov_b32 s5, 0
	s_mov_b32 s6, exec_lo
                                        ; implicit-def: $vgpr2
	v_cmpx_lt_u32_e32 0x3bffffff, v3
	s_xor_b32 s6, exec_lo, s6
	s_cbranch_execz .LBB265_1122
; %bb.479:
	v_bfe_u32 v2, v3, 20, 1
	s_mov_b32 s5, exec_lo
	s_delay_alu instid0(VALU_DEP_1) | instskip(NEXT) | instid1(VALU_DEP_1)
	v_add3_u32 v2, v3, v2, 0x487ffff
                                        ; implicit-def: $vgpr3
	v_lshrrev_b32_e32 v2, 20, v2
	s_and_not1_saveexec_b32 s6, s6
	s_cbranch_execnz .LBB265_1123
.LBB265_480:
	s_or_b32 exec_lo, exec_lo, s6
	v_mov_b32_e32 v4, 0
	s_and_saveexec_b32 s6, s5
.LBB265_481:
	v_mov_b32_e32 v4, v2
.LBB265_482:
	s_or_b32 exec_lo, exec_lo, s6
.LBB265_483:
	s_delay_alu instid0(SALU_CYCLE_1)
	s_or_b32 exec_lo, exec_lo, s4
	global_store_b8 v[0:1], v4, off
.LBB265_484:
	s_mov_b32 s4, 0
.LBB265_485:
	s_delay_alu instid0(SALU_CYCLE_1)
	s_and_b32 vcc_lo, exec_lo, s4
	s_mov_b32 s4, 0
	s_cbranch_vccz .LBB265_525
; %bb.486:
	s_cmp_gt_i32 s3, 22
	s_mov_b32 s5, -1
	s_cbranch_scc0 .LBB265_518
; %bb.487:
	s_cmp_lt_i32 s3, 24
	s_cbranch_scc1 .LBB265_507
; %bb.488:
	s_cmp_gt_i32 s3, 24
	s_cbranch_scc0 .LBB265_496
; %bb.489:
	s_wait_xcnt 0x0
	v_cndmask_b32_e64 v3, 0, 1.0, s1
	v_mov_b32_e32 v4, 0x80
	s_mov_b32 s5, exec_lo
	s_delay_alu instid0(VALU_DEP_2)
	v_cmpx_gt_u32_e32 0x47800000, v3
	s_cbranch_execz .LBB265_495
; %bb.490:
	s_mov_b32 s6, 0
	s_mov_b32 s7, exec_lo
                                        ; implicit-def: $vgpr2
	v_cmpx_lt_u32_e32 0x37ffffff, v3
	s_xor_b32 s7, exec_lo, s7
	s_cbranch_execz .LBB265_1126
; %bb.491:
	v_bfe_u32 v2, v3, 21, 1
	s_mov_b32 s6, exec_lo
	s_delay_alu instid0(VALU_DEP_1) | instskip(NEXT) | instid1(VALU_DEP_1)
	v_add3_u32 v2, v3, v2, 0x88fffff
                                        ; implicit-def: $vgpr3
	v_lshrrev_b32_e32 v2, 21, v2
	s_and_not1_saveexec_b32 s7, s7
	s_cbranch_execnz .LBB265_1127
.LBB265_492:
	s_or_b32 exec_lo, exec_lo, s7
	v_mov_b32_e32 v4, 0
	s_and_saveexec_b32 s7, s6
.LBB265_493:
	v_mov_b32_e32 v4, v2
.LBB265_494:
	s_or_b32 exec_lo, exec_lo, s7
.LBB265_495:
	s_delay_alu instid0(SALU_CYCLE_1)
	s_or_b32 exec_lo, exec_lo, s5
	s_mov_b32 s5, 0
	global_store_b8 v[0:1], v4, off
.LBB265_496:
	s_and_b32 vcc_lo, exec_lo, s5
	s_cbranch_vccz .LBB265_506
; %bb.497:
	s_wait_xcnt 0x0
	v_cndmask_b32_e64 v3, 0, 1.0, s1
	s_mov_b32 s5, exec_lo
                                        ; implicit-def: $vgpr2
	s_delay_alu instid0(VALU_DEP_1)
	v_cmpx_gt_u32_e32 0x43f00000, v3
	s_xor_b32 s5, exec_lo, s5
	s_cbranch_execz .LBB265_503
; %bb.498:
	s_mov_b32 s6, exec_lo
                                        ; implicit-def: $vgpr2
	v_cmpx_lt_u32_e32 0x3c7fffff, v3
	s_xor_b32 s6, exec_lo, s6
; %bb.499:
	v_bfe_u32 v2, v3, 20, 1
	s_delay_alu instid0(VALU_DEP_1) | instskip(NEXT) | instid1(VALU_DEP_1)
	v_add3_u32 v2, v3, v2, 0x407ffff
	v_and_b32_e32 v3, 0xff00000, v2
	v_lshrrev_b32_e32 v2, 20, v2
	s_delay_alu instid0(VALU_DEP_2) | instskip(NEXT) | instid1(VALU_DEP_2)
	v_cmp_ne_u32_e32 vcc_lo, 0x7f00000, v3
                                        ; implicit-def: $vgpr3
	v_cndmask_b32_e32 v2, 0x7e, v2, vcc_lo
; %bb.500:
	s_and_not1_saveexec_b32 s6, s6
; %bb.501:
	v_add_f32_e32 v2, 0x46800000, v3
; %bb.502:
	s_or_b32 exec_lo, exec_lo, s6
                                        ; implicit-def: $vgpr3
.LBB265_503:
	s_and_not1_saveexec_b32 s5, s5
; %bb.504:
	v_mov_b32_e32 v2, 0x7f
	v_cmp_lt_u32_e32 vcc_lo, 0x7f800000, v3
	s_delay_alu instid0(VALU_DEP_2)
	v_cndmask_b32_e32 v2, 0x7e, v2, vcc_lo
; %bb.505:
	s_or_b32 exec_lo, exec_lo, s5
	global_store_b8 v[0:1], v2, off
.LBB265_506:
	s_mov_b32 s5, 0
.LBB265_507:
	s_delay_alu instid0(SALU_CYCLE_1)
	s_and_not1_b32 vcc_lo, exec_lo, s5
	s_cbranch_vccnz .LBB265_517
; %bb.508:
	s_wait_xcnt 0x0
	v_cndmask_b32_e64 v3, 0, 1.0, s1
	s_mov_b32 s5, exec_lo
                                        ; implicit-def: $vgpr2
	s_delay_alu instid0(VALU_DEP_1)
	v_cmpx_gt_u32_e32 0x47800000, v3
	s_xor_b32 s5, exec_lo, s5
	s_cbranch_execz .LBB265_514
; %bb.509:
	s_mov_b32 s6, exec_lo
                                        ; implicit-def: $vgpr2
	v_cmpx_lt_u32_e32 0x387fffff, v3
	s_xor_b32 s6, exec_lo, s6
; %bb.510:
	v_bfe_u32 v2, v3, 21, 1
	s_delay_alu instid0(VALU_DEP_1) | instskip(NEXT) | instid1(VALU_DEP_1)
	v_add3_u32 v2, v3, v2, 0x80fffff
                                        ; implicit-def: $vgpr3
	v_lshrrev_b32_e32 v2, 21, v2
; %bb.511:
	s_and_not1_saveexec_b32 s6, s6
; %bb.512:
	v_add_f32_e32 v2, 0x43000000, v3
; %bb.513:
	s_or_b32 exec_lo, exec_lo, s6
                                        ; implicit-def: $vgpr3
.LBB265_514:
	s_and_not1_saveexec_b32 s5, s5
; %bb.515:
	v_mov_b32_e32 v2, 0x7f
	v_cmp_lt_u32_e32 vcc_lo, 0x7f800000, v3
	s_delay_alu instid0(VALU_DEP_2)
	v_cndmask_b32_e32 v2, 0x7c, v2, vcc_lo
; %bb.516:
	s_or_b32 exec_lo, exec_lo, s5
	global_store_b8 v[0:1], v2, off
.LBB265_517:
	s_mov_b32 s5, 0
.LBB265_518:
	s_delay_alu instid0(SALU_CYCLE_1)
	s_and_not1_b32 vcc_lo, exec_lo, s5
	s_mov_b32 s5, 0
	s_cbranch_vccnz .LBB265_526
; %bb.519:
	s_cmp_gt_i32 s3, 14
	s_mov_b32 s5, -1
	s_cbranch_scc0 .LBB265_523
; %bb.520:
	s_cmp_eq_u32 s3, 15
	s_mov_b32 s0, -1
	s_cbranch_scc0 .LBB265_522
; %bb.521:
	s_wait_xcnt 0x0
	v_cndmask_b32_e64 v2, 0, 1.0, s1
	s_mov_b32 s0, 0
	s_delay_alu instid0(VALU_DEP_1) | instskip(NEXT) | instid1(VALU_DEP_1)
	v_bfe_u32 v3, v2, 16, 1
	v_add3_u32 v2, v2, v3, 0x7fff
	global_store_d16_hi_b16 v[0:1], v2, off
.LBB265_522:
	s_mov_b32 s5, 0
.LBB265_523:
	s_delay_alu instid0(SALU_CYCLE_1)
	s_and_b32 vcc_lo, exec_lo, s5
	s_mov_b32 s5, 0
	s_cbranch_vccz .LBB265_526
; %bb.524:
	s_cmp_lg_u32 s3, 11
	s_mov_b32 s5, -1
	s_cselect_b32 s3, -1, 0
	s_and_not1_b32 s0, s0, exec_lo
	s_and_b32 s3, s3, exec_lo
	s_delay_alu instid0(SALU_CYCLE_1)
	s_or_b32 s0, s0, s3
	s_branch .LBB265_526
.LBB265_525:
	s_mov_b32 s5, 0
.LBB265_526:
	s_and_b32 s3, s4, exec_lo
	s_and_not1_b32 s4, s54, exec_lo
	s_and_b32 s6, s0, exec_lo
	s_and_b32 s0, s5, exec_lo
	s_or_b32 s4, s4, s6
.LBB265_527:
	s_wait_xcnt 0x0
	s_or_b32 exec_lo, exec_lo, s47
	s_delay_alu instid0(SALU_CYCLE_1)
	s_and_not1_b32 s5, s54, exec_lo
	s_and_b32 s4, s4, exec_lo
	s_and_b32 s3, s3, exec_lo
	;; [unrolled: 1-line block ×3, first 2 shown]
	s_or_b32 s54, s5, s4
.LBB265_528:
	s_or_b32 exec_lo, exec_lo, s53
	s_delay_alu instid0(SALU_CYCLE_1)
	s_and_not1_b32 s4, s51, exec_lo
	s_and_b32 s5, s54, exec_lo
	s_and_b32 s3, s3, exec_lo
	;; [unrolled: 1-line block ×3, first 2 shown]
	s_or_b32 s51, s4, s5
.LBB265_529:
	s_or_b32 exec_lo, exec_lo, s52
	s_delay_alu instid0(SALU_CYCLE_1)
	s_and_b32 s4, s3, exec_lo
	s_and_not1_b32 s3, s34, exec_lo
	s_and_b32 s5, s51, exec_lo
	s_and_b32 s15, s0, exec_lo
	s_or_b32 s34, s3, s5
	s_or_b32 exec_lo, exec_lo, s50
	s_mov_b32 s0, 0
	s_and_saveexec_b32 s3, s34
	s_cbranch_execz .LBB265_146
.LBB265_530:
	s_mov_b32 s0, exec_lo
	s_and_not1_b32 s15, s15, exec_lo
	s_trap 2
	s_or_b32 exec_lo, exec_lo, s3
	s_and_saveexec_b32 s3, s15
	s_delay_alu instid0(SALU_CYCLE_1)
	s_xor_b32 s3, exec_lo, s3
	s_cbranch_execnz .LBB265_147
.LBB265_531:
	s_or_b32 exec_lo, exec_lo, s3
	s_and_saveexec_b32 s3, s4
	s_delay_alu instid0(SALU_CYCLE_1)
	s_xor_b32 s3, exec_lo, s3
	s_cbranch_execz .LBB265_569
.LBB265_532:
	s_sext_i32_i16 s5, s2
	s_mov_b32 s4, -1
	s_cmp_lt_i32 s5, 5
	s_cbranch_scc1 .LBB265_553
; %bb.533:
	s_cmp_lt_i32 s5, 8
	s_cbranch_scc1 .LBB265_543
; %bb.534:
	;; [unrolled: 3-line block ×3, first 2 shown]
	s_cmp_gt_i32 s5, 9
	s_cbranch_scc0 .LBB265_537
; %bb.536:
	v_cndmask_b32_e64 v2, 0, 1, s1
	v_mov_b32_e32 v4, 0
	s_mov_b32 s4, 0
	s_delay_alu instid0(VALU_DEP_2) | instskip(NEXT) | instid1(VALU_DEP_2)
	v_cvt_f64_u32_e32 v[2:3], v2
	v_mov_b32_e32 v5, v4
	global_store_b128 v[0:1], v[2:5], off
.LBB265_537:
	s_and_not1_b32 vcc_lo, exec_lo, s4
	s_cbranch_vccnz .LBB265_539
; %bb.538:
	s_wait_xcnt 0x0
	v_cndmask_b32_e64 v2, 0, 1.0, s1
	v_mov_b32_e32 v3, 0
	global_store_b64 v[0:1], v[2:3], off
.LBB265_539:
	s_mov_b32 s4, 0
.LBB265_540:
	s_delay_alu instid0(SALU_CYCLE_1)
	s_and_not1_b32 vcc_lo, exec_lo, s4
	s_cbranch_vccnz .LBB265_542
; %bb.541:
	s_wait_xcnt 0x0
	v_cndmask_b32_e64 v2, 0, 1.0, s1
	s_delay_alu instid0(VALU_DEP_1) | instskip(NEXT) | instid1(VALU_DEP_1)
	v_cvt_f16_f32_e32 v2, v2
	v_and_b32_e32 v2, 0xffff, v2
	global_store_b32 v[0:1], v2, off
.LBB265_542:
	s_mov_b32 s4, 0
.LBB265_543:
	s_delay_alu instid0(SALU_CYCLE_1)
	s_and_not1_b32 vcc_lo, exec_lo, s4
	s_cbranch_vccnz .LBB265_552
; %bb.544:
	s_sext_i32_i16 s5, s2
	s_mov_b32 s4, -1
	s_cmp_lt_i32 s5, 6
	s_cbranch_scc1 .LBB265_550
; %bb.545:
	s_cmp_gt_i32 s5, 6
	s_cbranch_scc0 .LBB265_547
; %bb.546:
	s_wait_xcnt 0x0
	v_cndmask_b32_e64 v2, 0, 1, s1
	s_mov_b32 s4, 0
	s_delay_alu instid0(VALU_DEP_1)
	v_cvt_f64_u32_e32 v[2:3], v2
	global_store_b64 v[0:1], v[2:3], off
.LBB265_547:
	s_and_not1_b32 vcc_lo, exec_lo, s4
	s_cbranch_vccnz .LBB265_549
; %bb.548:
	s_wait_xcnt 0x0
	v_cndmask_b32_e64 v2, 0, 1.0, s1
	global_store_b32 v[0:1], v2, off
.LBB265_549:
	s_mov_b32 s4, 0
.LBB265_550:
	s_delay_alu instid0(SALU_CYCLE_1)
	s_and_not1_b32 vcc_lo, exec_lo, s4
	s_cbranch_vccnz .LBB265_552
; %bb.551:
	s_wait_xcnt 0x0
	v_cndmask_b32_e64 v2, 0, 1.0, s1
	s_delay_alu instid0(VALU_DEP_1)
	v_cvt_f16_f32_e32 v2, v2
	global_store_b16 v[0:1], v2, off
.LBB265_552:
	s_mov_b32 s4, 0
.LBB265_553:
	s_delay_alu instid0(SALU_CYCLE_1)
	s_and_not1_b32 vcc_lo, exec_lo, s4
	s_cbranch_vccnz .LBB265_569
; %bb.554:
	s_sext_i32_i16 s5, s2
	s_mov_b32 s4, -1
	s_cmp_lt_i32 s5, 2
	s_cbranch_scc1 .LBB265_564
; %bb.555:
	s_cmp_lt_i32 s5, 3
	s_cbranch_scc1 .LBB265_561
; %bb.556:
	s_cmp_gt_i32 s5, 3
	s_cbranch_scc0 .LBB265_558
; %bb.557:
	s_mov_b32 s4, 0
	s_wait_xcnt 0x0
	v_cndmask_b32_e64 v2, 0, 1, s1
	v_mov_b32_e32 v3, s4
	global_store_b64 v[0:1], v[2:3], off
.LBB265_558:
	s_and_not1_b32 vcc_lo, exec_lo, s4
	s_cbranch_vccnz .LBB265_560
; %bb.559:
	s_wait_xcnt 0x0
	v_cndmask_b32_e64 v2, 0, 1, s1
	global_store_b32 v[0:1], v2, off
.LBB265_560:
	s_mov_b32 s4, 0
.LBB265_561:
	s_delay_alu instid0(SALU_CYCLE_1)
	s_and_not1_b32 vcc_lo, exec_lo, s4
	s_cbranch_vccnz .LBB265_563
; %bb.562:
	s_wait_xcnt 0x0
	v_cndmask_b32_e64 v2, 0, 1, s1
	global_store_b16 v[0:1], v2, off
.LBB265_563:
	s_mov_b32 s4, 0
.LBB265_564:
	s_delay_alu instid0(SALU_CYCLE_1)
	s_and_not1_b32 vcc_lo, exec_lo, s4
	s_cbranch_vccnz .LBB265_569
; %bb.565:
	s_sext_i32_i16 s2, s2
	s_delay_alu instid0(SALU_CYCLE_1)
	s_cmp_gt_i32 s2, 0
	s_mov_b32 s2, -1
	s_cbranch_scc0 .LBB265_567
; %bb.566:
	s_wait_xcnt 0x0
	v_cndmask_b32_e64 v2, 0, 1, s1
	s_mov_b32 s2, 0
	global_store_b8 v[0:1], v2, off
.LBB265_567:
	s_and_not1_b32 vcc_lo, exec_lo, s2
	s_cbranch_vccnz .LBB265_569
; %bb.568:
	s_wait_xcnt 0x0
	v_cndmask_b32_e64 v2, 0, 1, s1
	global_store_b8 v[0:1], v2, off
.LBB265_569:
	s_wait_xcnt 0x0
	s_or_b32 exec_lo, exec_lo, s3
	s_delay_alu instid0(SALU_CYCLE_1)
	s_and_b32 s20, s0, exec_lo
                                        ; implicit-def: $vgpr2
                                        ; implicit-def: $vgpr10
.LBB265_570:
	s_or_saveexec_b32 s21, s45
	s_mov_b32 s0, 0
                                        ; implicit-def: $sgpr1
                                        ; implicit-def: $sgpr2
                                        ; implicit-def: $vgpr0_vgpr1
	s_xor_b32 exec_lo, exec_lo, s21
	s_cbranch_execz .LBB265_1060
; %bb.571:
	v_cndmask_b32_e64 v0, 0, 1, s44
	s_and_not1_b32 vcc_lo, exec_lo, s44
	s_cbranch_vccnz .LBB265_577
; %bb.572:
	s_cmp_lg_u32 s13, 0
	s_mov_b32 s6, 0
	s_cbranch_scc0 .LBB265_578
; %bb.573:
	s_min_u32 s1, s33, 15
	s_delay_alu instid0(SALU_CYCLE_1)
	s_add_co_i32 s1, s1, 1
	s_cmp_eq_u32 s33, 2
	s_cbranch_scc1 .LBB265_579
; %bb.574:
	v_dual_mov_b32 v18, 0 :: v_dual_mov_b32 v4, 0
	v_mov_b32_e32 v1, v10
	s_and_b32 s0, s1, 28
	s_add_nc_u64 s[2:3], s[28:29], 0xc4
	s_mov_b32 s7, 0
	s_mov_b64 s[4:5], s[28:29]
.LBB265_575:                            ; =>This Inner Loop Header: Depth=1
	s_clause 0x1
	s_load_b256 s[36:43], s[4:5], 0x4
	s_load_b128 s[8:11], s[4:5], 0x24
	s_load_b256 s[44:51], s[2:3], 0x0
	s_add_co_i32 s7, s7, 4
	s_wait_xcnt 0x0
	s_add_nc_u64 s[4:5], s[4:5], 48
	s_cmp_lg_u32 s0, s7
	s_add_nc_u64 s[2:3], s[2:3], 32
	s_wait_kmcnt 0x0
	v_mul_hi_u32 v3, s37, v1
	s_delay_alu instid0(VALU_DEP_1) | instskip(NEXT) | instid1(VALU_DEP_1)
	v_add_nc_u32_e32 v3, v1, v3
	v_lshrrev_b32_e32 v3, s38, v3
	s_delay_alu instid0(VALU_DEP_1) | instskip(NEXT) | instid1(VALU_DEP_1)
	v_mul_hi_u32 v5, s40, v3
	v_add_nc_u32_e32 v5, v3, v5
	s_delay_alu instid0(VALU_DEP_1) | instskip(NEXT) | instid1(VALU_DEP_1)
	v_lshrrev_b32_e32 v5, s41, v5
	v_mul_hi_u32 v6, s43, v5
	s_delay_alu instid0(VALU_DEP_1) | instskip(SKIP_1) | instid1(VALU_DEP_1)
	v_add_nc_u32_e32 v6, v5, v6
	v_mul_lo_u32 v7, v3, s36
	v_sub_nc_u32_e32 v1, v1, v7
	v_mul_lo_u32 v7, v5, s39
	s_delay_alu instid0(VALU_DEP_4) | instskip(NEXT) | instid1(VALU_DEP_3)
	v_lshrrev_b32_e32 v6, s8, v6
	v_mad_u32 v4, v1, s45, v4
	v_mad_u32 v1, v1, s44, v18
	s_delay_alu instid0(VALU_DEP_4) | instskip(NEXT) | instid1(VALU_DEP_4)
	v_sub_nc_u32_e32 v3, v3, v7
	v_mul_hi_u32 v8, s10, v6
	v_mul_lo_u32 v7, v6, s42
	s_delay_alu instid0(VALU_DEP_3) | instskip(SKIP_1) | instid1(VALU_DEP_3)
	v_mad_u32 v4, v3, s47, v4
	v_mad_u32 v3, v3, s46, v1
	v_dual_add_nc_u32 v8, v6, v8 :: v_dual_sub_nc_u32 v5, v5, v7
	s_delay_alu instid0(VALU_DEP_1) | instskip(NEXT) | instid1(VALU_DEP_2)
	v_lshrrev_b32_e32 v1, s11, v8
	v_mad_u32 v4, v5, s49, v4
	s_delay_alu instid0(VALU_DEP_4) | instskip(NEXT) | instid1(VALU_DEP_3)
	v_mad_u32 v3, v5, s48, v3
	v_mul_lo_u32 v7, v1, s9
	s_delay_alu instid0(VALU_DEP_1) | instskip(NEXT) | instid1(VALU_DEP_1)
	v_sub_nc_u32_e32 v5, v6, v7
	v_mad_u32 v4, v5, s51, v4
	s_delay_alu instid0(VALU_DEP_4)
	v_mad_u32 v18, v5, s50, v3
	s_cbranch_scc1 .LBB265_575
; %bb.576:
	s_delay_alu instid0(VALU_DEP_2)
	v_mov_b32_e32 v19, v4
	s_and_b32 s4, s1, 3
	s_mov_b32 s1, 0
	s_cmp_eq_u32 s4, 0
	s_cbranch_scc0 .LBB265_580
	s_branch .LBB265_583
.LBB265_577:
	s_mov_b32 s6, -1
                                        ; implicit-def: $vgpr4
                                        ; implicit-def: $vgpr18
	s_branch .LBB265_583
.LBB265_578:
	v_dual_mov_b32 v4, 0 :: v_dual_mov_b32 v18, 0
	s_branch .LBB265_583
.LBB265_579:
	v_mov_b64_e32 v[18:19], 0
	v_mov_b32_e32 v1, v10
                                        ; implicit-def: $vgpr4
	s_and_b32 s4, s1, 3
	s_mov_b32 s1, 0
	s_cmp_eq_u32 s4, 0
	s_cbranch_scc1 .LBB265_583
.LBB265_580:
	s_lshl_b32 s2, s0, 3
	s_mov_b32 s3, s1
	s_mul_u64 s[8:9], s[0:1], 12
	s_add_nc_u64 s[2:3], s[28:29], s[2:3]
	s_delay_alu instid0(SALU_CYCLE_1)
	s_add_nc_u64 s[0:1], s[2:3], 0xc4
	s_add_nc_u64 s[2:3], s[28:29], s[8:9]
.LBB265_581:                            ; =>This Inner Loop Header: Depth=1
	s_load_b96 s[8:10], s[2:3], 0x4
	s_add_co_i32 s4, s4, -1
	s_wait_xcnt 0x0
	s_add_nc_u64 s[2:3], s[2:3], 12
	s_cmp_lg_u32 s4, 0
	s_wait_kmcnt 0x0
	v_mul_hi_u32 v3, s9, v1
	s_delay_alu instid0(VALU_DEP_1) | instskip(NEXT) | instid1(VALU_DEP_1)
	v_add_nc_u32_e32 v3, v1, v3
	v_lshrrev_b32_e32 v3, s10, v3
	s_load_b64 s[10:11], s[0:1], 0x0
	s_wait_xcnt 0x0
	s_add_nc_u64 s[0:1], s[0:1], 8
	s_delay_alu instid0(VALU_DEP_1) | instskip(NEXT) | instid1(VALU_DEP_1)
	v_mul_lo_u32 v4, v3, s8
	v_sub_nc_u32_e32 v1, v1, v4
	s_wait_kmcnt 0x0
	s_delay_alu instid0(VALU_DEP_1)
	v_mad_u32 v19, v1, s11, v19
	v_mad_u32 v18, v1, s10, v18
	v_mov_b32_e32 v1, v3
	s_cbranch_scc1 .LBB265_581
; %bb.582:
	s_delay_alu instid0(VALU_DEP_3)
	v_mov_b32_e32 v4, v19
.LBB265_583:
	s_and_not1_b32 vcc_lo, exec_lo, s6
	s_cbranch_vccnz .LBB265_586
; %bb.584:
	s_clause 0x1
	s_load_b96 s[0:2], s[28:29], 0x4
	s_load_b64 s[4:5], s[28:29], 0xc4
	s_cmp_lt_u32 s13, 2
	s_wait_kmcnt 0x0
	v_mul_hi_u32 v1, s1, v10
	s_delay_alu instid0(VALU_DEP_1) | instskip(NEXT) | instid1(VALU_DEP_1)
	v_add_nc_u32_e32 v1, v10, v1
	v_lshrrev_b32_e32 v1, s2, v1
	s_delay_alu instid0(VALU_DEP_1) | instskip(NEXT) | instid1(VALU_DEP_1)
	v_mul_lo_u32 v3, v1, s0
	v_sub_nc_u32_e32 v3, v10, v3
	s_delay_alu instid0(VALU_DEP_1)
	v_mul_lo_u32 v4, v3, s5
	v_mul_lo_u32 v18, v3, s4
	s_cbranch_scc1 .LBB265_586
; %bb.585:
	s_clause 0x1
	s_load_b96 s[0:2], s[28:29], 0x10
	s_load_b64 s[4:5], s[28:29], 0xcc
	s_wait_kmcnt 0x0
	v_mul_hi_u32 v3, s1, v1
	s_delay_alu instid0(VALU_DEP_1) | instskip(NEXT) | instid1(VALU_DEP_1)
	v_add_nc_u32_e32 v3, v1, v3
	v_lshrrev_b32_e32 v3, s2, v3
	s_delay_alu instid0(VALU_DEP_1) | instskip(NEXT) | instid1(VALU_DEP_1)
	v_mul_lo_u32 v3, v3, s0
	v_sub_nc_u32_e32 v1, v1, v3
	s_delay_alu instid0(VALU_DEP_1)
	v_mad_u32 v18, v1, s4, v18
	v_mad_u32 v4, v1, s5, v4
.LBB265_586:
	v_cmp_ne_u32_e32 vcc_lo, 1, v0
	v_add_nc_u32_e32 v1, 0x80, v10
	s_cbranch_vccnz .LBB265_592
; %bb.587:
	s_cmp_lg_u32 s13, 0
	s_mov_b32 s6, 0
	s_cbranch_scc0 .LBB265_593
; %bb.588:
	s_min_u32 s1, s33, 15
	s_delay_alu instid0(SALU_CYCLE_1)
	s_add_co_i32 s1, s1, 1
	s_cmp_eq_u32 s33, 2
	s_cbranch_scc1 .LBB265_594
; %bb.589:
	v_dual_mov_b32 v16, 0 :: v_dual_mov_b32 v17, 0
	v_mov_b32_e32 v3, v1
	s_and_b32 s0, s1, 28
	s_add_nc_u64 s[2:3], s[28:29], 0xc4
	s_mov_b32 s7, 0
	s_mov_b64 s[4:5], s[28:29]
.LBB265_590:                            ; =>This Inner Loop Header: Depth=1
	s_clause 0x1
	s_load_b256 s[36:43], s[4:5], 0x4
	s_load_b128 s[8:11], s[4:5], 0x24
	s_load_b256 s[44:51], s[2:3], 0x0
	s_add_co_i32 s7, s7, 4
	s_wait_xcnt 0x0
	s_add_nc_u64 s[4:5], s[4:5], 48
	s_cmp_lg_u32 s0, s7
	s_add_nc_u64 s[2:3], s[2:3], 32
	s_wait_kmcnt 0x0
	v_mul_hi_u32 v5, s37, v3
	s_delay_alu instid0(VALU_DEP_1) | instskip(NEXT) | instid1(VALU_DEP_1)
	v_add_nc_u32_e32 v5, v3, v5
	v_lshrrev_b32_e32 v5, s38, v5
	s_delay_alu instid0(VALU_DEP_1) | instskip(NEXT) | instid1(VALU_DEP_1)
	v_mul_hi_u32 v6, s40, v5
	v_add_nc_u32_e32 v6, v5, v6
	s_delay_alu instid0(VALU_DEP_1) | instskip(NEXT) | instid1(VALU_DEP_1)
	v_lshrrev_b32_e32 v6, s41, v6
	v_mul_hi_u32 v7, s43, v6
	s_delay_alu instid0(VALU_DEP_1) | instskip(SKIP_1) | instid1(VALU_DEP_1)
	v_add_nc_u32_e32 v7, v6, v7
	v_mul_lo_u32 v8, v5, s36
	v_sub_nc_u32_e32 v3, v3, v8
	v_mul_lo_u32 v8, v6, s39
	s_delay_alu instid0(VALU_DEP_4) | instskip(NEXT) | instid1(VALU_DEP_3)
	v_lshrrev_b32_e32 v7, s8, v7
	v_mad_u32 v11, v3, s45, v17
	v_mad_u32 v3, v3, s44, v16
	s_delay_alu instid0(VALU_DEP_4) | instskip(NEXT) | instid1(VALU_DEP_4)
	v_sub_nc_u32_e32 v5, v5, v8
	v_mul_hi_u32 v9, s10, v7
	v_mul_lo_u32 v8, v7, s42
	s_delay_alu instid0(VALU_DEP_3) | instskip(SKIP_1) | instid1(VALU_DEP_3)
	v_mad_u32 v11, v5, s47, v11
	v_mad_u32 v5, v5, s46, v3
	v_dual_add_nc_u32 v9, v7, v9 :: v_dual_sub_nc_u32 v6, v6, v8
	s_delay_alu instid0(VALU_DEP_1) | instskip(NEXT) | instid1(VALU_DEP_2)
	v_lshrrev_b32_e32 v3, s11, v9
	v_mad_u32 v9, v6, s49, v11
	s_delay_alu instid0(VALU_DEP_4) | instskip(NEXT) | instid1(VALU_DEP_3)
	v_mad_u32 v5, v6, s48, v5
	v_mul_lo_u32 v8, v3, s9
	s_delay_alu instid0(VALU_DEP_1) | instskip(NEXT) | instid1(VALU_DEP_1)
	v_sub_nc_u32_e32 v6, v7, v8
	v_mad_u32 v17, v6, s51, v9
	s_delay_alu instid0(VALU_DEP_4)
	v_mad_u32 v16, v6, s50, v5
	s_cbranch_scc1 .LBB265_590
; %bb.591:
	s_and_b32 s4, s1, 3
	s_mov_b32 s1, 0
	s_cmp_eq_u32 s4, 0
	s_cbranch_scc0 .LBB265_595
	s_branch .LBB265_597
.LBB265_592:
	s_mov_b32 s6, -1
                                        ; implicit-def: $vgpr17
	s_branch .LBB265_597
.LBB265_593:
	v_dual_mov_b32 v17, 0 :: v_dual_mov_b32 v16, 0
	s_branch .LBB265_597
.LBB265_594:
	v_mov_b64_e32 v[16:17], 0
	v_mov_b32_e32 v3, v1
	s_mov_b32 s0, 0
	s_and_b32 s4, s1, 3
	s_mov_b32 s1, 0
	s_cmp_eq_u32 s4, 0
	s_cbranch_scc1 .LBB265_597
.LBB265_595:
	s_lshl_b32 s2, s0, 3
	s_mov_b32 s3, s1
	s_mul_u64 s[8:9], s[0:1], 12
	s_add_nc_u64 s[2:3], s[28:29], s[2:3]
	s_delay_alu instid0(SALU_CYCLE_1)
	s_add_nc_u64 s[0:1], s[2:3], 0xc4
	s_add_nc_u64 s[2:3], s[28:29], s[8:9]
.LBB265_596:                            ; =>This Inner Loop Header: Depth=1
	s_load_b96 s[8:10], s[2:3], 0x4
	s_add_co_i32 s4, s4, -1
	s_wait_xcnt 0x0
	s_add_nc_u64 s[2:3], s[2:3], 12
	s_cmp_lg_u32 s4, 0
	s_wait_kmcnt 0x0
	v_mul_hi_u32 v5, s9, v3
	s_delay_alu instid0(VALU_DEP_1) | instskip(NEXT) | instid1(VALU_DEP_1)
	v_add_nc_u32_e32 v5, v3, v5
	v_lshrrev_b32_e32 v5, s10, v5
	s_load_b64 s[10:11], s[0:1], 0x0
	s_wait_xcnt 0x0
	s_add_nc_u64 s[0:1], s[0:1], 8
	s_delay_alu instid0(VALU_DEP_1) | instskip(NEXT) | instid1(VALU_DEP_1)
	v_mul_lo_u32 v6, v5, s8
	v_sub_nc_u32_e32 v3, v3, v6
	s_wait_kmcnt 0x0
	s_delay_alu instid0(VALU_DEP_1)
	v_mad_u32 v17, v3, s11, v17
	v_mad_u32 v16, v3, s10, v16
	v_mov_b32_e32 v3, v5
	s_cbranch_scc1 .LBB265_596
.LBB265_597:
	s_and_not1_b32 vcc_lo, exec_lo, s6
	s_cbranch_vccnz .LBB265_600
; %bb.598:
	s_clause 0x1
	s_load_b96 s[0:2], s[28:29], 0x4
	s_load_b64 s[4:5], s[28:29], 0xc4
	s_cmp_lt_u32 s13, 2
	s_wait_kmcnt 0x0
	v_mul_hi_u32 v3, s1, v1
	s_delay_alu instid0(VALU_DEP_1) | instskip(NEXT) | instid1(VALU_DEP_1)
	v_add_nc_u32_e32 v3, v1, v3
	v_lshrrev_b32_e32 v3, s2, v3
	s_delay_alu instid0(VALU_DEP_1) | instskip(NEXT) | instid1(VALU_DEP_1)
	v_mul_lo_u32 v5, v3, s0
	v_sub_nc_u32_e32 v1, v1, v5
	s_delay_alu instid0(VALU_DEP_1)
	v_mul_lo_u32 v17, v1, s5
	v_mul_lo_u32 v16, v1, s4
	s_cbranch_scc1 .LBB265_600
; %bb.599:
	s_clause 0x1
	s_load_b96 s[0:2], s[28:29], 0x10
	s_load_b64 s[4:5], s[28:29], 0xcc
	s_wait_kmcnt 0x0
	v_mul_hi_u32 v1, s1, v3
	s_delay_alu instid0(VALU_DEP_1) | instskip(NEXT) | instid1(VALU_DEP_1)
	v_add_nc_u32_e32 v1, v3, v1
	v_lshrrev_b32_e32 v1, s2, v1
	s_delay_alu instid0(VALU_DEP_1) | instskip(NEXT) | instid1(VALU_DEP_1)
	v_mul_lo_u32 v1, v1, s0
	v_sub_nc_u32_e32 v1, v3, v1
	s_delay_alu instid0(VALU_DEP_1)
	v_mad_u32 v16, v1, s4, v16
	v_mad_u32 v17, v1, s5, v17
.LBB265_600:
	v_cmp_ne_u32_e32 vcc_lo, 1, v0
	v_add_nc_u32_e32 v1, 0x100, v10
	s_cbranch_vccnz .LBB265_606
; %bb.601:
	s_cmp_lg_u32 s13, 0
	s_mov_b32 s6, 0
	s_cbranch_scc0 .LBB265_607
; %bb.602:
	s_min_u32 s1, s33, 15
	s_delay_alu instid0(SALU_CYCLE_1)
	s_add_co_i32 s1, s1, 1
	s_cmp_eq_u32 s33, 2
	s_cbranch_scc1 .LBB265_608
; %bb.603:
	v_dual_mov_b32 v14, 0 :: v_dual_mov_b32 v15, 0
	v_mov_b32_e32 v3, v1
	s_and_b32 s0, s1, 28
	s_add_nc_u64 s[2:3], s[28:29], 0xc4
	s_mov_b32 s7, 0
	s_mov_b64 s[4:5], s[28:29]
.LBB265_604:                            ; =>This Inner Loop Header: Depth=1
	s_clause 0x1
	s_load_b256 s[36:43], s[4:5], 0x4
	s_load_b128 s[8:11], s[4:5], 0x24
	s_load_b256 s[44:51], s[2:3], 0x0
	s_add_co_i32 s7, s7, 4
	s_wait_xcnt 0x0
	s_add_nc_u64 s[4:5], s[4:5], 48
	s_cmp_lg_u32 s0, s7
	s_add_nc_u64 s[2:3], s[2:3], 32
	s_wait_kmcnt 0x0
	v_mul_hi_u32 v5, s37, v3
	s_delay_alu instid0(VALU_DEP_1) | instskip(NEXT) | instid1(VALU_DEP_1)
	v_add_nc_u32_e32 v5, v3, v5
	v_lshrrev_b32_e32 v5, s38, v5
	s_delay_alu instid0(VALU_DEP_1) | instskip(NEXT) | instid1(VALU_DEP_1)
	v_mul_hi_u32 v6, s40, v5
	v_add_nc_u32_e32 v6, v5, v6
	s_delay_alu instid0(VALU_DEP_1) | instskip(NEXT) | instid1(VALU_DEP_1)
	v_lshrrev_b32_e32 v6, s41, v6
	v_mul_hi_u32 v7, s43, v6
	s_delay_alu instid0(VALU_DEP_1) | instskip(SKIP_1) | instid1(VALU_DEP_1)
	v_add_nc_u32_e32 v7, v6, v7
	v_mul_lo_u32 v8, v5, s36
	v_sub_nc_u32_e32 v3, v3, v8
	v_mul_lo_u32 v8, v6, s39
	s_delay_alu instid0(VALU_DEP_4) | instskip(NEXT) | instid1(VALU_DEP_3)
	v_lshrrev_b32_e32 v7, s8, v7
	v_mad_u32 v10, v3, s45, v15
	v_mad_u32 v3, v3, s44, v14
	s_delay_alu instid0(VALU_DEP_4) | instskip(NEXT) | instid1(VALU_DEP_4)
	v_sub_nc_u32_e32 v5, v5, v8
	v_mul_hi_u32 v9, s10, v7
	v_mul_lo_u32 v8, v7, s42
	s_delay_alu instid0(VALU_DEP_3) | instskip(SKIP_1) | instid1(VALU_DEP_3)
	v_mad_u32 v10, v5, s47, v10
	v_mad_u32 v5, v5, s46, v3
	v_dual_add_nc_u32 v9, v7, v9 :: v_dual_sub_nc_u32 v6, v6, v8
	s_delay_alu instid0(VALU_DEP_1) | instskip(NEXT) | instid1(VALU_DEP_2)
	v_lshrrev_b32_e32 v3, s11, v9
	v_mad_u32 v9, v6, s49, v10
	s_delay_alu instid0(VALU_DEP_4) | instskip(NEXT) | instid1(VALU_DEP_3)
	v_mad_u32 v5, v6, s48, v5
	v_mul_lo_u32 v8, v3, s9
	s_delay_alu instid0(VALU_DEP_1) | instskip(NEXT) | instid1(VALU_DEP_1)
	v_sub_nc_u32_e32 v6, v7, v8
	v_mad_u32 v15, v6, s51, v9
	s_delay_alu instid0(VALU_DEP_4)
	v_mad_u32 v14, v6, s50, v5
	s_cbranch_scc1 .LBB265_604
; %bb.605:
	s_and_b32 s4, s1, 3
	s_mov_b32 s1, 0
	s_cmp_eq_u32 s4, 0
	s_cbranch_scc0 .LBB265_609
	s_branch .LBB265_611
.LBB265_606:
	s_mov_b32 s6, -1
                                        ; implicit-def: $vgpr15
	s_branch .LBB265_611
.LBB265_607:
	v_dual_mov_b32 v15, 0 :: v_dual_mov_b32 v14, 0
	s_branch .LBB265_611
.LBB265_608:
	v_mov_b64_e32 v[14:15], 0
	v_mov_b32_e32 v3, v1
	s_mov_b32 s0, 0
	s_and_b32 s4, s1, 3
	s_mov_b32 s1, 0
	s_cmp_eq_u32 s4, 0
	s_cbranch_scc1 .LBB265_611
.LBB265_609:
	s_lshl_b32 s2, s0, 3
	s_mov_b32 s3, s1
	s_mul_u64 s[8:9], s[0:1], 12
	s_add_nc_u64 s[2:3], s[28:29], s[2:3]
	s_delay_alu instid0(SALU_CYCLE_1)
	s_add_nc_u64 s[0:1], s[2:3], 0xc4
	s_add_nc_u64 s[2:3], s[28:29], s[8:9]
.LBB265_610:                            ; =>This Inner Loop Header: Depth=1
	s_load_b96 s[8:10], s[2:3], 0x4
	s_add_co_i32 s4, s4, -1
	s_wait_xcnt 0x0
	s_add_nc_u64 s[2:3], s[2:3], 12
	s_cmp_lg_u32 s4, 0
	s_wait_kmcnt 0x0
	v_mul_hi_u32 v5, s9, v3
	s_delay_alu instid0(VALU_DEP_1) | instskip(NEXT) | instid1(VALU_DEP_1)
	v_add_nc_u32_e32 v5, v3, v5
	v_lshrrev_b32_e32 v5, s10, v5
	s_load_b64 s[10:11], s[0:1], 0x0
	s_wait_xcnt 0x0
	s_add_nc_u64 s[0:1], s[0:1], 8
	s_delay_alu instid0(VALU_DEP_1) | instskip(NEXT) | instid1(VALU_DEP_1)
	v_mul_lo_u32 v6, v5, s8
	v_sub_nc_u32_e32 v3, v3, v6
	s_wait_kmcnt 0x0
	s_delay_alu instid0(VALU_DEP_1)
	v_mad_u32 v15, v3, s11, v15
	v_mad_u32 v14, v3, s10, v14
	v_mov_b32_e32 v3, v5
	s_cbranch_scc1 .LBB265_610
.LBB265_611:
	s_and_not1_b32 vcc_lo, exec_lo, s6
	s_cbranch_vccnz .LBB265_614
; %bb.612:
	s_clause 0x1
	s_load_b96 s[0:2], s[28:29], 0x4
	s_load_b64 s[4:5], s[28:29], 0xc4
	s_cmp_lt_u32 s13, 2
	s_wait_kmcnt 0x0
	v_mul_hi_u32 v3, s1, v1
	s_delay_alu instid0(VALU_DEP_1) | instskip(NEXT) | instid1(VALU_DEP_1)
	v_add_nc_u32_e32 v3, v1, v3
	v_lshrrev_b32_e32 v3, s2, v3
	s_delay_alu instid0(VALU_DEP_1) | instskip(NEXT) | instid1(VALU_DEP_1)
	v_mul_lo_u32 v5, v3, s0
	v_sub_nc_u32_e32 v1, v1, v5
	s_delay_alu instid0(VALU_DEP_1)
	v_mul_lo_u32 v15, v1, s5
	v_mul_lo_u32 v14, v1, s4
	s_cbranch_scc1 .LBB265_614
; %bb.613:
	s_clause 0x1
	s_load_b96 s[0:2], s[28:29], 0x10
	s_load_b64 s[4:5], s[28:29], 0xcc
	s_wait_kmcnt 0x0
	v_mul_hi_u32 v1, s1, v3
	s_delay_alu instid0(VALU_DEP_1) | instskip(NEXT) | instid1(VALU_DEP_1)
	v_add_nc_u32_e32 v1, v3, v1
	v_lshrrev_b32_e32 v1, s2, v1
	s_delay_alu instid0(VALU_DEP_1) | instskip(NEXT) | instid1(VALU_DEP_1)
	v_mul_lo_u32 v1, v1, s0
	v_sub_nc_u32_e32 v1, v3, v1
	s_delay_alu instid0(VALU_DEP_1)
	v_mad_u32 v14, v1, s4, v14
	v_mad_u32 v15, v1, s5, v15
.LBB265_614:
	v_cmp_ne_u32_e32 vcc_lo, 1, v0
	s_cbranch_vccnz .LBB265_620
; %bb.615:
	s_cmp_lg_u32 s13, 0
	s_mov_b32 s6, 0
	s_cbranch_scc0 .LBB265_621
; %bb.616:
	s_min_u32 s1, s33, 15
	s_delay_alu instid0(SALU_CYCLE_1)
	s_add_co_i32 s1, s1, 1
	s_cmp_eq_u32 s33, 2
	s_cbranch_scc1 .LBB265_622
; %bb.617:
	v_dual_mov_b32 v12, 0 :: v_dual_mov_b32 v13, 0
	v_mov_b32_e32 v0, v2
	s_and_b32 s0, s1, 28
	s_add_nc_u64 s[2:3], s[28:29], 0xc4
	s_mov_b32 s7, 0
	s_mov_b64 s[4:5], s[28:29]
.LBB265_618:                            ; =>This Inner Loop Header: Depth=1
	s_clause 0x1
	s_load_b256 s[36:43], s[4:5], 0x4
	s_load_b128 s[8:11], s[4:5], 0x24
	s_load_b256 s[44:51], s[2:3], 0x0
	s_add_co_i32 s7, s7, 4
	s_wait_xcnt 0x0
	s_add_nc_u64 s[4:5], s[4:5], 48
	s_cmp_lg_u32 s0, s7
	s_add_nc_u64 s[2:3], s[2:3], 32
	s_wait_kmcnt 0x0
	v_mul_hi_u32 v1, s37, v0
	s_delay_alu instid0(VALU_DEP_1) | instskip(NEXT) | instid1(VALU_DEP_1)
	v_add_nc_u32_e32 v1, v0, v1
	v_lshrrev_b32_e32 v1, s38, v1
	s_delay_alu instid0(VALU_DEP_1) | instskip(NEXT) | instid1(VALU_DEP_1)
	v_mul_lo_u32 v6, v1, s36
	v_sub_nc_u32_e32 v0, v0, v6
	v_mul_hi_u32 v3, s40, v1
	s_delay_alu instid0(VALU_DEP_2) | instskip(SKIP_1) | instid1(VALU_DEP_3)
	v_mad_u32 v8, v0, s45, v13
	v_mad_u32 v0, v0, s44, v12
	v_add_nc_u32_e32 v3, v1, v3
	s_delay_alu instid0(VALU_DEP_1) | instskip(NEXT) | instid1(VALU_DEP_1)
	v_lshrrev_b32_e32 v3, s41, v3
	v_mul_hi_u32 v5, s43, v3
	v_mul_lo_u32 v6, v3, s39
	s_delay_alu instid0(VALU_DEP_1) | instskip(NEXT) | instid1(VALU_DEP_1)
	v_dual_add_nc_u32 v5, v3, v5 :: v_dual_sub_nc_u32 v1, v1, v6
	v_lshrrev_b32_e32 v5, s8, v5
	s_delay_alu instid0(VALU_DEP_2) | instskip(SKIP_1) | instid1(VALU_DEP_3)
	v_mad_u32 v8, v1, s47, v8
	v_mad_u32 v1, v1, s46, v0
	v_mul_hi_u32 v7, s10, v5
	v_mul_lo_u32 v6, v5, s42
	s_delay_alu instid0(VALU_DEP_1) | instskip(NEXT) | instid1(VALU_DEP_1)
	v_dual_add_nc_u32 v7, v5, v7 :: v_dual_sub_nc_u32 v3, v3, v6
	v_lshrrev_b32_e32 v0, s11, v7
	s_delay_alu instid0(VALU_DEP_2) | instskip(SKIP_1) | instid1(VALU_DEP_3)
	v_mad_u32 v7, v3, s49, v8
	v_mad_u32 v1, v3, s48, v1
	v_mul_lo_u32 v6, v0, s9
	s_delay_alu instid0(VALU_DEP_1) | instskip(NEXT) | instid1(VALU_DEP_1)
	v_sub_nc_u32_e32 v3, v5, v6
	v_mad_u32 v13, v3, s51, v7
	s_delay_alu instid0(VALU_DEP_4)
	v_mad_u32 v12, v3, s50, v1
	s_cbranch_scc1 .LBB265_618
; %bb.619:
	s_and_b32 s4, s1, 3
	s_mov_b32 s1, 0
	s_cmp_eq_u32 s4, 0
	s_cbranch_scc0 .LBB265_623
	s_branch .LBB265_625
.LBB265_620:
	s_mov_b32 s6, -1
                                        ; implicit-def: $vgpr13
	s_branch .LBB265_625
.LBB265_621:
	v_dual_mov_b32 v13, 0 :: v_dual_mov_b32 v12, 0
	s_branch .LBB265_625
.LBB265_622:
	v_mov_b64_e32 v[12:13], 0
	v_mov_b32_e32 v0, v2
	s_mov_b32 s0, 0
	s_and_b32 s4, s1, 3
	s_mov_b32 s1, 0
	s_cmp_eq_u32 s4, 0
	s_cbranch_scc1 .LBB265_625
.LBB265_623:
	s_lshl_b32 s2, s0, 3
	s_mov_b32 s3, s1
	s_mul_u64 s[8:9], s[0:1], 12
	s_add_nc_u64 s[2:3], s[28:29], s[2:3]
	s_delay_alu instid0(SALU_CYCLE_1)
	s_add_nc_u64 s[0:1], s[2:3], 0xc4
	s_add_nc_u64 s[2:3], s[28:29], s[8:9]
.LBB265_624:                            ; =>This Inner Loop Header: Depth=1
	s_load_b96 s[8:10], s[2:3], 0x4
	s_add_co_i32 s4, s4, -1
	s_wait_xcnt 0x0
	s_add_nc_u64 s[2:3], s[2:3], 12
	s_cmp_lg_u32 s4, 0
	s_wait_kmcnt 0x0
	v_mul_hi_u32 v1, s9, v0
	s_delay_alu instid0(VALU_DEP_1) | instskip(NEXT) | instid1(VALU_DEP_1)
	v_add_nc_u32_e32 v1, v0, v1
	v_lshrrev_b32_e32 v1, s10, v1
	s_load_b64 s[10:11], s[0:1], 0x0
	s_wait_xcnt 0x0
	s_add_nc_u64 s[0:1], s[0:1], 8
	s_delay_alu instid0(VALU_DEP_1) | instskip(NEXT) | instid1(VALU_DEP_1)
	v_mul_lo_u32 v3, v1, s8
	v_sub_nc_u32_e32 v0, v0, v3
	s_wait_kmcnt 0x0
	s_delay_alu instid0(VALU_DEP_1)
	v_mad_u32 v13, v0, s11, v13
	v_mad_u32 v12, v0, s10, v12
	v_mov_b32_e32 v0, v1
	s_cbranch_scc1 .LBB265_624
.LBB265_625:
	s_and_not1_b32 vcc_lo, exec_lo, s6
	s_cbranch_vccnz .LBB265_628
; %bb.626:
	s_clause 0x1
	s_load_b96 s[0:2], s[28:29], 0x4
	s_load_b64 s[4:5], s[28:29], 0xc4
	s_cmp_lt_u32 s13, 2
	s_wait_kmcnt 0x0
	v_mul_hi_u32 v0, s1, v2
	s_delay_alu instid0(VALU_DEP_1) | instskip(NEXT) | instid1(VALU_DEP_1)
	v_add_nc_u32_e32 v0, v2, v0
	v_lshrrev_b32_e32 v0, s2, v0
	s_delay_alu instid0(VALU_DEP_1) | instskip(NEXT) | instid1(VALU_DEP_1)
	v_mul_lo_u32 v1, v0, s0
	v_sub_nc_u32_e32 v1, v2, v1
	s_delay_alu instid0(VALU_DEP_1)
	v_mul_lo_u32 v13, v1, s5
	v_mul_lo_u32 v12, v1, s4
	s_cbranch_scc1 .LBB265_628
; %bb.627:
	s_clause 0x1
	s_load_b96 s[0:2], s[28:29], 0x10
	s_load_b64 s[4:5], s[28:29], 0xcc
	s_wait_kmcnt 0x0
	v_mul_hi_u32 v1, s1, v0
	s_delay_alu instid0(VALU_DEP_1) | instskip(NEXT) | instid1(VALU_DEP_1)
	v_add_nc_u32_e32 v1, v0, v1
	v_lshrrev_b32_e32 v1, s2, v1
	s_delay_alu instid0(VALU_DEP_1) | instskip(NEXT) | instid1(VALU_DEP_1)
	v_mul_lo_u32 v1, v1, s0
	v_sub_nc_u32_e32 v0, v0, v1
	s_delay_alu instid0(VALU_DEP_1)
	v_mad_u32 v12, v0, s4, v12
	v_mad_u32 v13, v0, s5, v13
.LBB265_628:
	s_clause 0x1
	s_load_b64 s[22:23], s[28:29], 0x158
	s_load_b128 s[16:19], s[28:29], 0x148
	v_mov_b32_e32 v19, 0
	s_get_pc_i64 s[24:25]
	s_add_nc_u64 s[24:25], s[24:25], _ZN2at6native6invokeINS0_13AUnaryFunctorIN3c1015Float8_e5m2fnuzES4_bNS0_12_GLOBAL__N_116CompareEqFunctorIS4_EEEEj15function_traitsIS8_EEENT1_11result_typeERKT_PrKPcPKT0_PKNS3_10ScalarTypeEi@rel64+4
	s_wait_kmcnt 0x0
	v_mov_b32_e32 v0, s22
	global_load_u8 v10, v19, s[28:29] offset:353
	v_dual_mov_b32 v1, s23 :: v_dual_mov_b32 v2, s18
	s_wait_loadcnt 0x0
	v_dual_mov_b32 v3, s19 :: v_dual_mov_b32 v5, v10
	s_swap_pc_i64 s[30:31], s[24:25]
	v_dual_mov_b32 v1, s23 :: v_dual_bitop2_b32 v0, 1, v0 bitop3:0x40
	v_dual_mov_b32 v3, s19 :: v_dual_mov_b32 v4, v17
	v_mov_b32_e32 v5, v10
	s_delay_alu instid0(VALU_DEP_3) | instskip(SKIP_2) | instid1(VALU_DEP_1)
	v_cmp_eq_u32_e64 s15, 1, v0
	v_dual_mov_b32 v0, s22 :: v_dual_mov_b32 v2, s18
	s_swap_pc_i64 s[30:31], s[24:25]
	v_dual_mov_b32 v1, s23 :: v_dual_bitop2_b32 v0, 1, v0 bitop3:0x40
	v_dual_mov_b32 v3, s19 :: v_dual_mov_b32 v4, v15
	v_mov_b32_e32 v5, v10
	s_delay_alu instid0(VALU_DEP_3) | instskip(SKIP_2) | instid1(VALU_DEP_1)
	v_cmp_eq_u32_e64 s14, 1, v0
	v_dual_mov_b32 v0, s22 :: v_dual_mov_b32 v2, s18
	s_swap_pc_i64 s[30:31], s[24:25]
	v_dual_mov_b32 v1, s23 :: v_dual_bitop2_b32 v0, 1, v0 bitop3:0x40
	v_dual_mov_b32 v3, s19 :: v_dual_mov_b32 v4, v13
	v_mov_b32_e32 v5, v10
	s_delay_alu instid0(VALU_DEP_3) | instskip(SKIP_3) | instid1(VALU_DEP_1)
	v_cmp_eq_u32_e64 s13, 1, v0
	v_dual_mov_b32 v0, s22 :: v_dual_mov_b32 v2, s18
	s_swap_pc_i64 s[30:31], s[24:25]
	s_load_b32 s0, s[28:29], 0x160
	v_and_b32_e32 v0, 1, v0
	s_delay_alu instid0(VALU_DEP_1) | instskip(SKIP_3) | instid1(SALU_CYCLE_1)
	v_cmp_eq_u32_e64 s1, 1, v0
	v_add_nc_u64_e32 v[0:1], s[16:17], v[18:19]
	s_wait_kmcnt 0x0
	s_and_b32 s2, s0, 0xff
	s_cmp_lt_i32 s2, 11
	s_cbranch_scc1 .LBB265_707
; %bb.629:
	s_and_b32 s3, 0xffff, s2
	s_mov_b32 s6, -1
	s_mov_b32 s4, 0
	s_cmp_gt_i32 s3, 25
	s_mov_b32 s5, 0
	s_mov_b32 s0, 0
	s_cbranch_scc0 .LBB265_662
; %bb.630:
	s_cmp_gt_i32 s3, 28
	s_cbranch_scc0 .LBB265_645
; %bb.631:
	s_cmp_gt_i32 s3, 43
	;; [unrolled: 3-line block ×3, first 2 shown]
	s_cbranch_scc0 .LBB265_635
; %bb.633:
	s_mov_b32 s0, -1
	s_mov_b32 s6, 0
	s_cmp_eq_u32 s3, 46
	s_cbranch_scc0 .LBB265_635
; %bb.634:
	v_cndmask_b32_e64 v2, 0, 1.0, s15
	s_mov_b32 s0, 0
	s_mov_b32 s5, -1
	s_delay_alu instid0(VALU_DEP_1) | instskip(NEXT) | instid1(VALU_DEP_1)
	v_bfe_u32 v3, v2, 16, 1
	v_add3_u32 v2, v2, v3, 0x7fff
	s_delay_alu instid0(VALU_DEP_1)
	v_lshrrev_b32_e32 v2, 16, v2
	global_store_b32 v[0:1], v2, off
.LBB265_635:
	s_and_b32 vcc_lo, exec_lo, s6
	s_cbranch_vccz .LBB265_640
; %bb.636:
	s_cmp_eq_u32 s3, 44
	s_mov_b32 s0, -1
	s_cbranch_scc0 .LBB265_640
; %bb.637:
	v_cndmask_b32_e64 v4, 0, 1.0, s15
	s_mov_b32 s5, exec_lo
	s_wait_xcnt 0x0
	s_delay_alu instid0(VALU_DEP_1) | instskip(NEXT) | instid1(VALU_DEP_1)
	v_dual_mov_b32 v3, 0xff :: v_dual_lshrrev_b32 v2, 23, v4
	v_cmpx_ne_u32_e32 0xff, v2
; %bb.638:
	v_and_b32_e32 v3, 0x400000, v4
	v_and_or_b32 v4, 0x3fffff, v4, v2
	s_delay_alu instid0(VALU_DEP_2) | instskip(NEXT) | instid1(VALU_DEP_2)
	v_cmp_ne_u32_e32 vcc_lo, 0, v3
	v_cmp_ne_u32_e64 s0, 0, v4
	s_and_b32 s0, vcc_lo, s0
	s_delay_alu instid0(SALU_CYCLE_1) | instskip(NEXT) | instid1(VALU_DEP_1)
	v_cndmask_b32_e64 v3, 0, 1, s0
	v_add_nc_u32_e32 v3, v2, v3
; %bb.639:
	s_or_b32 exec_lo, exec_lo, s5
	s_mov_b32 s0, 0
	s_mov_b32 s5, -1
	global_store_b8 v[0:1], v3, off
.LBB265_640:
	s_mov_b32 s6, 0
.LBB265_641:
	s_delay_alu instid0(SALU_CYCLE_1)
	s_and_b32 vcc_lo, exec_lo, s6
	s_cbranch_vccz .LBB265_644
; %bb.642:
	s_cmp_eq_u32 s3, 29
	s_mov_b32 s0, -1
	s_cbranch_scc0 .LBB265_644
; %bb.643:
	s_mov_b32 s0, 0
	s_wait_xcnt 0x0
	v_cndmask_b32_e64 v2, 0, 1, s15
	v_mov_b32_e32 v3, s0
	s_mov_b32 s5, -1
	global_store_b64 v[0:1], v[2:3], off
.LBB265_644:
	s_mov_b32 s6, 0
.LBB265_645:
	s_delay_alu instid0(SALU_CYCLE_1)
	s_and_b32 vcc_lo, exec_lo, s6
	s_cbranch_vccz .LBB265_661
; %bb.646:
	s_cmp_lt_i32 s3, 27
	s_mov_b32 s5, -1
	s_cbranch_scc1 .LBB265_652
; %bb.647:
	s_cmp_gt_i32 s3, 27
	s_cbranch_scc0 .LBB265_649
; %bb.648:
	s_wait_xcnt 0x0
	v_cndmask_b32_e64 v2, 0, 1, s15
	s_mov_b32 s5, 0
	global_store_b32 v[0:1], v2, off
.LBB265_649:
	s_and_not1_b32 vcc_lo, exec_lo, s5
	s_cbranch_vccnz .LBB265_651
; %bb.650:
	s_wait_xcnt 0x0
	v_cndmask_b32_e64 v2, 0, 1, s15
	global_store_b16 v[0:1], v2, off
.LBB265_651:
	s_mov_b32 s5, 0
.LBB265_652:
	s_delay_alu instid0(SALU_CYCLE_1)
	s_and_not1_b32 vcc_lo, exec_lo, s5
	s_cbranch_vccnz .LBB265_660
; %bb.653:
	s_wait_xcnt 0x0
	v_cndmask_b32_e64 v3, 0, 1.0, s15
	v_mov_b32_e32 v4, 0x80
	s_mov_b32 s5, exec_lo
	s_delay_alu instid0(VALU_DEP_2)
	v_cmpx_gt_u32_e32 0x43800000, v3
	s_cbranch_execz .LBB265_659
; %bb.654:
	s_mov_b32 s6, 0
	s_mov_b32 s7, exec_lo
                                        ; implicit-def: $vgpr2
	v_cmpx_lt_u32_e32 0x3bffffff, v3
	s_xor_b32 s7, exec_lo, s7
	s_cbranch_execz .LBB265_1104
; %bb.655:
	v_bfe_u32 v2, v3, 20, 1
	s_mov_b32 s6, exec_lo
	s_delay_alu instid0(VALU_DEP_1) | instskip(NEXT) | instid1(VALU_DEP_1)
	v_add3_u32 v2, v3, v2, 0x487ffff
                                        ; implicit-def: $vgpr3
	v_lshrrev_b32_e32 v2, 20, v2
	s_and_not1_saveexec_b32 s7, s7
	s_cbranch_execnz .LBB265_1105
.LBB265_656:
	s_or_b32 exec_lo, exec_lo, s7
	v_mov_b32_e32 v4, 0
	s_and_saveexec_b32 s7, s6
.LBB265_657:
	v_mov_b32_e32 v4, v2
.LBB265_658:
	s_or_b32 exec_lo, exec_lo, s7
.LBB265_659:
	s_delay_alu instid0(SALU_CYCLE_1)
	s_or_b32 exec_lo, exec_lo, s5
	global_store_b8 v[0:1], v4, off
.LBB265_660:
	s_mov_b32 s5, -1
.LBB265_661:
	s_mov_b32 s6, 0
.LBB265_662:
	s_delay_alu instid0(SALU_CYCLE_1)
	s_and_b32 vcc_lo, exec_lo, s6
	s_cbranch_vccz .LBB265_702
; %bb.663:
	s_cmp_gt_i32 s3, 22
	s_mov_b32 s4, -1
	s_cbranch_scc0 .LBB265_695
; %bb.664:
	s_cmp_lt_i32 s3, 24
	s_cbranch_scc1 .LBB265_684
; %bb.665:
	s_cmp_gt_i32 s3, 24
	s_cbranch_scc0 .LBB265_673
; %bb.666:
	s_wait_xcnt 0x0
	v_cndmask_b32_e64 v3, 0, 1.0, s15
	v_mov_b32_e32 v4, 0x80
	s_mov_b32 s4, exec_lo
	s_delay_alu instid0(VALU_DEP_2)
	v_cmpx_gt_u32_e32 0x47800000, v3
	s_cbranch_execz .LBB265_672
; %bb.667:
	s_mov_b32 s5, 0
	s_mov_b32 s6, exec_lo
                                        ; implicit-def: $vgpr2
	v_cmpx_lt_u32_e32 0x37ffffff, v3
	s_xor_b32 s6, exec_lo, s6
	s_cbranch_execz .LBB265_1107
; %bb.668:
	v_bfe_u32 v2, v3, 21, 1
	s_mov_b32 s5, exec_lo
	s_delay_alu instid0(VALU_DEP_1) | instskip(NEXT) | instid1(VALU_DEP_1)
	v_add3_u32 v2, v3, v2, 0x88fffff
                                        ; implicit-def: $vgpr3
	v_lshrrev_b32_e32 v2, 21, v2
	s_and_not1_saveexec_b32 s6, s6
	s_cbranch_execnz .LBB265_1108
.LBB265_669:
	s_or_b32 exec_lo, exec_lo, s6
	v_mov_b32_e32 v4, 0
	s_and_saveexec_b32 s6, s5
.LBB265_670:
	v_mov_b32_e32 v4, v2
.LBB265_671:
	s_or_b32 exec_lo, exec_lo, s6
.LBB265_672:
	s_delay_alu instid0(SALU_CYCLE_1)
	s_or_b32 exec_lo, exec_lo, s4
	s_mov_b32 s4, 0
	global_store_b8 v[0:1], v4, off
.LBB265_673:
	s_and_b32 vcc_lo, exec_lo, s4
	s_cbranch_vccz .LBB265_683
; %bb.674:
	s_wait_xcnt 0x0
	v_cndmask_b32_e64 v3, 0, 1.0, s15
	s_mov_b32 s4, exec_lo
                                        ; implicit-def: $vgpr2
	s_delay_alu instid0(VALU_DEP_1)
	v_cmpx_gt_u32_e32 0x43f00000, v3
	s_xor_b32 s4, exec_lo, s4
	s_cbranch_execz .LBB265_680
; %bb.675:
	s_mov_b32 s5, exec_lo
                                        ; implicit-def: $vgpr2
	v_cmpx_lt_u32_e32 0x3c7fffff, v3
	s_xor_b32 s5, exec_lo, s5
; %bb.676:
	v_bfe_u32 v2, v3, 20, 1
	s_delay_alu instid0(VALU_DEP_1) | instskip(NEXT) | instid1(VALU_DEP_1)
	v_add3_u32 v2, v3, v2, 0x407ffff
	v_and_b32_e32 v3, 0xff00000, v2
	v_lshrrev_b32_e32 v2, 20, v2
	s_delay_alu instid0(VALU_DEP_2) | instskip(NEXT) | instid1(VALU_DEP_2)
	v_cmp_ne_u32_e32 vcc_lo, 0x7f00000, v3
                                        ; implicit-def: $vgpr3
	v_cndmask_b32_e32 v2, 0x7e, v2, vcc_lo
; %bb.677:
	s_and_not1_saveexec_b32 s5, s5
; %bb.678:
	v_add_f32_e32 v2, 0x46800000, v3
; %bb.679:
	s_or_b32 exec_lo, exec_lo, s5
                                        ; implicit-def: $vgpr3
.LBB265_680:
	s_and_not1_saveexec_b32 s4, s4
; %bb.681:
	v_mov_b32_e32 v2, 0x7f
	v_cmp_lt_u32_e32 vcc_lo, 0x7f800000, v3
	s_delay_alu instid0(VALU_DEP_2)
	v_cndmask_b32_e32 v2, 0x7e, v2, vcc_lo
; %bb.682:
	s_or_b32 exec_lo, exec_lo, s4
	global_store_b8 v[0:1], v2, off
.LBB265_683:
	s_mov_b32 s4, 0
.LBB265_684:
	s_delay_alu instid0(SALU_CYCLE_1)
	s_and_not1_b32 vcc_lo, exec_lo, s4
	s_cbranch_vccnz .LBB265_694
; %bb.685:
	s_wait_xcnt 0x0
	v_cndmask_b32_e64 v3, 0, 1.0, s15
	s_mov_b32 s4, exec_lo
                                        ; implicit-def: $vgpr2
	s_delay_alu instid0(VALU_DEP_1)
	v_cmpx_gt_u32_e32 0x47800000, v3
	s_xor_b32 s4, exec_lo, s4
	s_cbranch_execz .LBB265_691
; %bb.686:
	s_mov_b32 s5, exec_lo
                                        ; implicit-def: $vgpr2
	v_cmpx_lt_u32_e32 0x387fffff, v3
	s_xor_b32 s5, exec_lo, s5
; %bb.687:
	v_bfe_u32 v2, v3, 21, 1
	s_delay_alu instid0(VALU_DEP_1) | instskip(NEXT) | instid1(VALU_DEP_1)
	v_add3_u32 v2, v3, v2, 0x80fffff
                                        ; implicit-def: $vgpr3
	v_lshrrev_b32_e32 v2, 21, v2
; %bb.688:
	s_and_not1_saveexec_b32 s5, s5
; %bb.689:
	v_add_f32_e32 v2, 0x43000000, v3
; %bb.690:
	s_or_b32 exec_lo, exec_lo, s5
                                        ; implicit-def: $vgpr3
.LBB265_691:
	s_and_not1_saveexec_b32 s4, s4
; %bb.692:
	v_mov_b32_e32 v2, 0x7f
	v_cmp_lt_u32_e32 vcc_lo, 0x7f800000, v3
	s_delay_alu instid0(VALU_DEP_2)
	v_cndmask_b32_e32 v2, 0x7c, v2, vcc_lo
; %bb.693:
	s_or_b32 exec_lo, exec_lo, s4
	global_store_b8 v[0:1], v2, off
.LBB265_694:
	s_mov_b32 s4, 0
	s_mov_b32 s5, -1
.LBB265_695:
	s_and_not1_b32 vcc_lo, exec_lo, s4
	s_mov_b32 s4, 0
	s_cbranch_vccnz .LBB265_702
; %bb.696:
	s_cmp_gt_i32 s3, 14
	s_mov_b32 s4, -1
	s_cbranch_scc0 .LBB265_700
; %bb.697:
	s_cmp_eq_u32 s3, 15
	s_mov_b32 s0, -1
	s_cbranch_scc0 .LBB265_699
; %bb.698:
	s_wait_xcnt 0x0
	v_cndmask_b32_e64 v2, 0, 1.0, s15
	s_mov_b32 s0, 0
	s_mov_b32 s5, -1
	s_delay_alu instid0(VALU_DEP_1) | instskip(NEXT) | instid1(VALU_DEP_1)
	v_bfe_u32 v3, v2, 16, 1
	v_add3_u32 v2, v2, v3, 0x7fff
	global_store_d16_hi_b16 v[0:1], v2, off
.LBB265_699:
	s_mov_b32 s4, 0
.LBB265_700:
	s_delay_alu instid0(SALU_CYCLE_1)
	s_and_b32 vcc_lo, exec_lo, s4
	s_mov_b32 s4, 0
	s_cbranch_vccz .LBB265_702
; %bb.701:
	s_cmp_lg_u32 s3, 11
	s_mov_b32 s4, -1
	s_cselect_b32 s0, -1, 0
.LBB265_702:
	s_delay_alu instid0(SALU_CYCLE_1)
	s_and_b32 vcc_lo, exec_lo, s0
	s_mov_b32 s3, s20
	s_cbranch_vccnz .LBB265_1106
; %bb.703:
	s_and_not1_b32 vcc_lo, exec_lo, s4
	s_cbranch_vccnz .LBB265_705
.LBB265_704:
	s_wait_xcnt 0x0
	v_cndmask_b32_e64 v2, 0, 1, s15
	s_mov_b32 s5, -1
	global_store_b8 v[0:1], v2, off
.LBB265_705:
.LBB265_706:
	s_and_not1_b32 vcc_lo, exec_lo, s5
	s_cbranch_vccz .LBB265_746
	s_branch .LBB265_1058
.LBB265_707:
	s_mov_b32 s5, 0
	s_mov_b32 s3, s20
	s_cbranch_execz .LBB265_706
; %bb.708:
	s_and_b32 s0, 0xffff, s2
	s_mov_b32 s4, -1
	s_cmp_lt_i32 s0, 5
	s_cbranch_scc1 .LBB265_729
; %bb.709:
	s_cmp_lt_i32 s0, 8
	s_cbranch_scc1 .LBB265_719
; %bb.710:
	;; [unrolled: 3-line block ×3, first 2 shown]
	s_cmp_gt_i32 s0, 9
	s_cbranch_scc0 .LBB265_713
; %bb.712:
	s_wait_xcnt 0x0
	v_cndmask_b32_e64 v2, 0, 1, s15
	v_mov_b32_e32 v4, 0
	s_mov_b32 s4, 0
	s_delay_alu instid0(VALU_DEP_2) | instskip(NEXT) | instid1(VALU_DEP_2)
	v_cvt_f64_u32_e32 v[2:3], v2
	v_mov_b32_e32 v5, v4
	global_store_b128 v[0:1], v[2:5], off
.LBB265_713:
	s_and_not1_b32 vcc_lo, exec_lo, s4
	s_cbranch_vccnz .LBB265_715
; %bb.714:
	s_wait_xcnt 0x0
	v_cndmask_b32_e64 v2, 0, 1.0, s15
	v_mov_b32_e32 v3, 0
	global_store_b64 v[0:1], v[2:3], off
.LBB265_715:
	s_mov_b32 s4, 0
.LBB265_716:
	s_delay_alu instid0(SALU_CYCLE_1)
	s_and_not1_b32 vcc_lo, exec_lo, s4
	s_cbranch_vccnz .LBB265_718
; %bb.717:
	s_wait_xcnt 0x0
	v_cndmask_b32_e64 v2, 0, 1.0, s15
	s_delay_alu instid0(VALU_DEP_1) | instskip(NEXT) | instid1(VALU_DEP_1)
	v_cvt_f16_f32_e32 v2, v2
	v_and_b32_e32 v2, 0xffff, v2
	global_store_b32 v[0:1], v2, off
.LBB265_718:
	s_mov_b32 s4, 0
.LBB265_719:
	s_delay_alu instid0(SALU_CYCLE_1)
	s_and_not1_b32 vcc_lo, exec_lo, s4
	s_cbranch_vccnz .LBB265_728
; %bb.720:
	s_cmp_lt_i32 s0, 6
	s_mov_b32 s4, -1
	s_cbranch_scc1 .LBB265_726
; %bb.721:
	s_cmp_gt_i32 s0, 6
	s_cbranch_scc0 .LBB265_723
; %bb.722:
	s_wait_xcnt 0x0
	v_cndmask_b32_e64 v2, 0, 1, s15
	s_mov_b32 s4, 0
	s_delay_alu instid0(VALU_DEP_1)
	v_cvt_f64_u32_e32 v[2:3], v2
	global_store_b64 v[0:1], v[2:3], off
.LBB265_723:
	s_and_not1_b32 vcc_lo, exec_lo, s4
	s_cbranch_vccnz .LBB265_725
; %bb.724:
	s_wait_xcnt 0x0
	v_cndmask_b32_e64 v2, 0, 1.0, s15
	global_store_b32 v[0:1], v2, off
.LBB265_725:
	s_mov_b32 s4, 0
.LBB265_726:
	s_delay_alu instid0(SALU_CYCLE_1)
	s_and_not1_b32 vcc_lo, exec_lo, s4
	s_cbranch_vccnz .LBB265_728
; %bb.727:
	s_wait_xcnt 0x0
	v_cndmask_b32_e64 v2, 0, 1.0, s15
	s_delay_alu instid0(VALU_DEP_1)
	v_cvt_f16_f32_e32 v2, v2
	global_store_b16 v[0:1], v2, off
.LBB265_728:
	s_mov_b32 s4, 0
.LBB265_729:
	s_delay_alu instid0(SALU_CYCLE_1)
	s_and_not1_b32 vcc_lo, exec_lo, s4
	s_cbranch_vccnz .LBB265_745
; %bb.730:
	s_cmp_lt_i32 s0, 2
	s_mov_b32 s4, -1
	s_cbranch_scc1 .LBB265_740
; %bb.731:
	s_cmp_lt_i32 s0, 3
	s_cbranch_scc1 .LBB265_737
; %bb.732:
	s_cmp_gt_i32 s0, 3
	s_cbranch_scc0 .LBB265_734
; %bb.733:
	s_mov_b32 s4, 0
	s_wait_xcnt 0x0
	v_cndmask_b32_e64 v2, 0, 1, s15
	v_mov_b32_e32 v3, s4
	global_store_b64 v[0:1], v[2:3], off
.LBB265_734:
	s_and_not1_b32 vcc_lo, exec_lo, s4
	s_cbranch_vccnz .LBB265_736
; %bb.735:
	s_wait_xcnt 0x0
	v_cndmask_b32_e64 v2, 0, 1, s15
	global_store_b32 v[0:1], v2, off
.LBB265_736:
	s_mov_b32 s4, 0
.LBB265_737:
	s_delay_alu instid0(SALU_CYCLE_1)
	s_and_not1_b32 vcc_lo, exec_lo, s4
	s_cbranch_vccnz .LBB265_739
; %bb.738:
	s_wait_xcnt 0x0
	v_cndmask_b32_e64 v2, 0, 1, s15
	global_store_b16 v[0:1], v2, off
.LBB265_739:
	s_mov_b32 s4, 0
.LBB265_740:
	s_delay_alu instid0(SALU_CYCLE_1)
	s_and_not1_b32 vcc_lo, exec_lo, s4
	s_cbranch_vccnz .LBB265_745
; %bb.741:
	s_cmp_gt_i32 s0, 0
	s_mov_b32 s0, -1
	s_cbranch_scc0 .LBB265_743
; %bb.742:
	s_wait_xcnt 0x0
	v_cndmask_b32_e64 v2, 0, 1, s15
	s_mov_b32 s0, 0
	global_store_b8 v[0:1], v2, off
.LBB265_743:
	s_and_not1_b32 vcc_lo, exec_lo, s0
	s_cbranch_vccnz .LBB265_745
; %bb.744:
	s_wait_xcnt 0x0
	v_cndmask_b32_e64 v2, 0, 1, s15
	global_store_b8 v[0:1], v2, off
.LBB265_745:
.LBB265_746:
	v_mov_b32_e32 v17, 0
	s_and_b32 s4, 0xffff, s2
	s_delay_alu instid0(SALU_CYCLE_1) | instskip(SKIP_1) | instid1(VALU_DEP_1)
	s_cmp_lt_i32 s4, 11
	s_wait_xcnt 0x0
	v_add_nc_u64_e32 v[0:1], s[16:17], v[16:17]
	s_cbranch_scc1 .LBB265_825
; %bb.747:
	s_mov_b32 s7, -1
	s_mov_b32 s5, 0
	s_cmp_gt_i32 s4, 25
	s_mov_b32 s6, 0
	s_mov_b32 s0, 0
	s_cbranch_scc0 .LBB265_780
; %bb.748:
	s_cmp_gt_i32 s4, 28
	s_cbranch_scc0 .LBB265_763
; %bb.749:
	s_cmp_gt_i32 s4, 43
	;; [unrolled: 3-line block ×3, first 2 shown]
	s_cbranch_scc0 .LBB265_753
; %bb.751:
	s_mov_b32 s0, -1
	s_mov_b32 s7, 0
	s_cmp_eq_u32 s4, 46
	s_cbranch_scc0 .LBB265_753
; %bb.752:
	v_cndmask_b32_e64 v2, 0, 1.0, s14
	s_mov_b32 s0, 0
	s_mov_b32 s6, -1
	s_delay_alu instid0(VALU_DEP_1) | instskip(NEXT) | instid1(VALU_DEP_1)
	v_bfe_u32 v3, v2, 16, 1
	v_add3_u32 v2, v2, v3, 0x7fff
	s_delay_alu instid0(VALU_DEP_1)
	v_lshrrev_b32_e32 v2, 16, v2
	global_store_b32 v[0:1], v2, off
.LBB265_753:
	s_and_b32 vcc_lo, exec_lo, s7
	s_cbranch_vccz .LBB265_758
; %bb.754:
	s_cmp_eq_u32 s4, 44
	s_mov_b32 s0, -1
	s_cbranch_scc0 .LBB265_758
; %bb.755:
	v_cndmask_b32_e64 v4, 0, 1.0, s14
	s_mov_b32 s6, exec_lo
	s_wait_xcnt 0x0
	s_delay_alu instid0(VALU_DEP_1) | instskip(NEXT) | instid1(VALU_DEP_1)
	v_dual_mov_b32 v3, 0xff :: v_dual_lshrrev_b32 v2, 23, v4
	v_cmpx_ne_u32_e32 0xff, v2
; %bb.756:
	v_and_b32_e32 v3, 0x400000, v4
	v_and_or_b32 v4, 0x3fffff, v4, v2
	s_delay_alu instid0(VALU_DEP_2) | instskip(NEXT) | instid1(VALU_DEP_2)
	v_cmp_ne_u32_e32 vcc_lo, 0, v3
	v_cmp_ne_u32_e64 s0, 0, v4
	s_and_b32 s0, vcc_lo, s0
	s_delay_alu instid0(SALU_CYCLE_1) | instskip(NEXT) | instid1(VALU_DEP_1)
	v_cndmask_b32_e64 v3, 0, 1, s0
	v_add_nc_u32_e32 v3, v2, v3
; %bb.757:
	s_or_b32 exec_lo, exec_lo, s6
	s_mov_b32 s0, 0
	s_mov_b32 s6, -1
	global_store_b8 v[0:1], v3, off
.LBB265_758:
	s_mov_b32 s7, 0
.LBB265_759:
	s_delay_alu instid0(SALU_CYCLE_1)
	s_and_b32 vcc_lo, exec_lo, s7
	s_cbranch_vccz .LBB265_762
; %bb.760:
	s_cmp_eq_u32 s4, 29
	s_mov_b32 s0, -1
	s_cbranch_scc0 .LBB265_762
; %bb.761:
	s_mov_b32 s0, 0
	s_wait_xcnt 0x0
	v_cndmask_b32_e64 v2, 0, 1, s14
	v_mov_b32_e32 v3, s0
	s_mov_b32 s6, -1
	global_store_b64 v[0:1], v[2:3], off
.LBB265_762:
	s_mov_b32 s7, 0
.LBB265_763:
	s_delay_alu instid0(SALU_CYCLE_1)
	s_and_b32 vcc_lo, exec_lo, s7
	s_cbranch_vccz .LBB265_779
; %bb.764:
	s_cmp_lt_i32 s4, 27
	s_mov_b32 s6, -1
	s_cbranch_scc1 .LBB265_770
; %bb.765:
	s_cmp_gt_i32 s4, 27
	s_cbranch_scc0 .LBB265_767
; %bb.766:
	s_wait_xcnt 0x0
	v_cndmask_b32_e64 v2, 0, 1, s14
	s_mov_b32 s6, 0
	global_store_b32 v[0:1], v2, off
.LBB265_767:
	s_and_not1_b32 vcc_lo, exec_lo, s6
	s_cbranch_vccnz .LBB265_769
; %bb.768:
	s_wait_xcnt 0x0
	v_cndmask_b32_e64 v2, 0, 1, s14
	global_store_b16 v[0:1], v2, off
.LBB265_769:
	s_mov_b32 s6, 0
.LBB265_770:
	s_delay_alu instid0(SALU_CYCLE_1)
	s_and_not1_b32 vcc_lo, exec_lo, s6
	s_cbranch_vccnz .LBB265_778
; %bb.771:
	s_wait_xcnt 0x0
	v_cndmask_b32_e64 v3, 0, 1.0, s14
	v_mov_b32_e32 v4, 0x80
	s_mov_b32 s6, exec_lo
	s_delay_alu instid0(VALU_DEP_2)
	v_cmpx_gt_u32_e32 0x43800000, v3
	s_cbranch_execz .LBB265_777
; %bb.772:
	s_mov_b32 s7, 0
	s_mov_b32 s8, exec_lo
                                        ; implicit-def: $vgpr2
	v_cmpx_lt_u32_e32 0x3bffffff, v3
	s_xor_b32 s8, exec_lo, s8
	s_cbranch_execz .LBB265_1109
; %bb.773:
	v_bfe_u32 v2, v3, 20, 1
	s_mov_b32 s7, exec_lo
	s_delay_alu instid0(VALU_DEP_1) | instskip(NEXT) | instid1(VALU_DEP_1)
	v_add3_u32 v2, v3, v2, 0x487ffff
                                        ; implicit-def: $vgpr3
	v_lshrrev_b32_e32 v2, 20, v2
	s_and_not1_saveexec_b32 s8, s8
	s_cbranch_execnz .LBB265_1110
.LBB265_774:
	s_or_b32 exec_lo, exec_lo, s8
	v_mov_b32_e32 v4, 0
	s_and_saveexec_b32 s8, s7
.LBB265_775:
	v_mov_b32_e32 v4, v2
.LBB265_776:
	s_or_b32 exec_lo, exec_lo, s8
.LBB265_777:
	s_delay_alu instid0(SALU_CYCLE_1)
	s_or_b32 exec_lo, exec_lo, s6
	global_store_b8 v[0:1], v4, off
.LBB265_778:
	s_mov_b32 s6, -1
.LBB265_779:
	s_mov_b32 s7, 0
.LBB265_780:
	s_delay_alu instid0(SALU_CYCLE_1)
	s_and_b32 vcc_lo, exec_lo, s7
	s_cbranch_vccz .LBB265_820
; %bb.781:
	s_cmp_gt_i32 s4, 22
	s_mov_b32 s5, -1
	s_cbranch_scc0 .LBB265_813
; %bb.782:
	s_cmp_lt_i32 s4, 24
	s_cbranch_scc1 .LBB265_802
; %bb.783:
	s_cmp_gt_i32 s4, 24
	s_cbranch_scc0 .LBB265_791
; %bb.784:
	s_wait_xcnt 0x0
	v_cndmask_b32_e64 v3, 0, 1.0, s14
	v_mov_b32_e32 v4, 0x80
	s_mov_b32 s5, exec_lo
	s_delay_alu instid0(VALU_DEP_2)
	v_cmpx_gt_u32_e32 0x47800000, v3
	s_cbranch_execz .LBB265_790
; %bb.785:
	s_mov_b32 s6, 0
	s_mov_b32 s7, exec_lo
                                        ; implicit-def: $vgpr2
	v_cmpx_lt_u32_e32 0x37ffffff, v3
	s_xor_b32 s7, exec_lo, s7
	s_cbranch_execz .LBB265_1112
; %bb.786:
	v_bfe_u32 v2, v3, 21, 1
	s_mov_b32 s6, exec_lo
	s_delay_alu instid0(VALU_DEP_1) | instskip(NEXT) | instid1(VALU_DEP_1)
	v_add3_u32 v2, v3, v2, 0x88fffff
                                        ; implicit-def: $vgpr3
	v_lshrrev_b32_e32 v2, 21, v2
	s_and_not1_saveexec_b32 s7, s7
	s_cbranch_execnz .LBB265_1113
.LBB265_787:
	s_or_b32 exec_lo, exec_lo, s7
	v_mov_b32_e32 v4, 0
	s_and_saveexec_b32 s7, s6
.LBB265_788:
	v_mov_b32_e32 v4, v2
.LBB265_789:
	s_or_b32 exec_lo, exec_lo, s7
.LBB265_790:
	s_delay_alu instid0(SALU_CYCLE_1)
	s_or_b32 exec_lo, exec_lo, s5
	s_mov_b32 s5, 0
	global_store_b8 v[0:1], v4, off
.LBB265_791:
	s_and_b32 vcc_lo, exec_lo, s5
	s_cbranch_vccz .LBB265_801
; %bb.792:
	s_wait_xcnt 0x0
	v_cndmask_b32_e64 v3, 0, 1.0, s14
	s_mov_b32 s5, exec_lo
                                        ; implicit-def: $vgpr2
	s_delay_alu instid0(VALU_DEP_1)
	v_cmpx_gt_u32_e32 0x43f00000, v3
	s_xor_b32 s5, exec_lo, s5
	s_cbranch_execz .LBB265_798
; %bb.793:
	s_mov_b32 s6, exec_lo
                                        ; implicit-def: $vgpr2
	v_cmpx_lt_u32_e32 0x3c7fffff, v3
	s_xor_b32 s6, exec_lo, s6
; %bb.794:
	v_bfe_u32 v2, v3, 20, 1
	s_delay_alu instid0(VALU_DEP_1) | instskip(NEXT) | instid1(VALU_DEP_1)
	v_add3_u32 v2, v3, v2, 0x407ffff
	v_and_b32_e32 v3, 0xff00000, v2
	v_lshrrev_b32_e32 v2, 20, v2
	s_delay_alu instid0(VALU_DEP_2) | instskip(NEXT) | instid1(VALU_DEP_2)
	v_cmp_ne_u32_e32 vcc_lo, 0x7f00000, v3
                                        ; implicit-def: $vgpr3
	v_cndmask_b32_e32 v2, 0x7e, v2, vcc_lo
; %bb.795:
	s_and_not1_saveexec_b32 s6, s6
; %bb.796:
	v_add_f32_e32 v2, 0x46800000, v3
; %bb.797:
	s_or_b32 exec_lo, exec_lo, s6
                                        ; implicit-def: $vgpr3
.LBB265_798:
	s_and_not1_saveexec_b32 s5, s5
; %bb.799:
	v_mov_b32_e32 v2, 0x7f
	v_cmp_lt_u32_e32 vcc_lo, 0x7f800000, v3
	s_delay_alu instid0(VALU_DEP_2)
	v_cndmask_b32_e32 v2, 0x7e, v2, vcc_lo
; %bb.800:
	s_or_b32 exec_lo, exec_lo, s5
	global_store_b8 v[0:1], v2, off
.LBB265_801:
	s_mov_b32 s5, 0
.LBB265_802:
	s_delay_alu instid0(SALU_CYCLE_1)
	s_and_not1_b32 vcc_lo, exec_lo, s5
	s_cbranch_vccnz .LBB265_812
; %bb.803:
	s_wait_xcnt 0x0
	v_cndmask_b32_e64 v3, 0, 1.0, s14
	s_mov_b32 s5, exec_lo
                                        ; implicit-def: $vgpr2
	s_delay_alu instid0(VALU_DEP_1)
	v_cmpx_gt_u32_e32 0x47800000, v3
	s_xor_b32 s5, exec_lo, s5
	s_cbranch_execz .LBB265_809
; %bb.804:
	s_mov_b32 s6, exec_lo
                                        ; implicit-def: $vgpr2
	v_cmpx_lt_u32_e32 0x387fffff, v3
	s_xor_b32 s6, exec_lo, s6
; %bb.805:
	v_bfe_u32 v2, v3, 21, 1
	s_delay_alu instid0(VALU_DEP_1) | instskip(NEXT) | instid1(VALU_DEP_1)
	v_add3_u32 v2, v3, v2, 0x80fffff
                                        ; implicit-def: $vgpr3
	v_lshrrev_b32_e32 v2, 21, v2
; %bb.806:
	s_and_not1_saveexec_b32 s6, s6
; %bb.807:
	v_add_f32_e32 v2, 0x43000000, v3
; %bb.808:
	s_or_b32 exec_lo, exec_lo, s6
                                        ; implicit-def: $vgpr3
.LBB265_809:
	s_and_not1_saveexec_b32 s5, s5
; %bb.810:
	v_mov_b32_e32 v2, 0x7f
	v_cmp_lt_u32_e32 vcc_lo, 0x7f800000, v3
	s_delay_alu instid0(VALU_DEP_2)
	v_cndmask_b32_e32 v2, 0x7c, v2, vcc_lo
; %bb.811:
	s_or_b32 exec_lo, exec_lo, s5
	global_store_b8 v[0:1], v2, off
.LBB265_812:
	s_mov_b32 s5, 0
	s_mov_b32 s6, -1
.LBB265_813:
	s_and_not1_b32 vcc_lo, exec_lo, s5
	s_mov_b32 s5, 0
	s_cbranch_vccnz .LBB265_820
; %bb.814:
	s_cmp_gt_i32 s4, 14
	s_mov_b32 s5, -1
	s_cbranch_scc0 .LBB265_818
; %bb.815:
	s_cmp_eq_u32 s4, 15
	s_mov_b32 s0, -1
	s_cbranch_scc0 .LBB265_817
; %bb.816:
	s_wait_xcnt 0x0
	v_cndmask_b32_e64 v2, 0, 1.0, s14
	s_mov_b32 s0, 0
	s_mov_b32 s6, -1
	s_delay_alu instid0(VALU_DEP_1) | instskip(NEXT) | instid1(VALU_DEP_1)
	v_bfe_u32 v3, v2, 16, 1
	v_add3_u32 v2, v2, v3, 0x7fff
	global_store_d16_hi_b16 v[0:1], v2, off
.LBB265_817:
	s_mov_b32 s5, 0
.LBB265_818:
	s_delay_alu instid0(SALU_CYCLE_1)
	s_and_b32 vcc_lo, exec_lo, s5
	s_mov_b32 s5, 0
	s_cbranch_vccz .LBB265_820
; %bb.819:
	s_cmp_lg_u32 s4, 11
	s_mov_b32 s5, -1
	s_cselect_b32 s0, -1, 0
.LBB265_820:
	s_delay_alu instid0(SALU_CYCLE_1)
	s_and_b32 vcc_lo, exec_lo, s0
	s_cbranch_vccnz .LBB265_1111
; %bb.821:
	s_and_not1_b32 vcc_lo, exec_lo, s5
	s_cbranch_vccnz .LBB265_823
.LBB265_822:
	s_wait_xcnt 0x0
	v_cndmask_b32_e64 v2, 0, 1, s14
	s_mov_b32 s6, -1
	global_store_b8 v[0:1], v2, off
.LBB265_823:
.LBB265_824:
	s_and_not1_b32 vcc_lo, exec_lo, s6
	s_cbranch_vccz .LBB265_864
	s_branch .LBB265_1058
.LBB265_825:
	s_mov_b32 s6, 0
	s_cbranch_execz .LBB265_824
; %bb.826:
	s_cmp_lt_i32 s4, 5
	s_mov_b32 s0, -1
	s_cbranch_scc1 .LBB265_847
; %bb.827:
	s_cmp_lt_i32 s4, 8
	s_cbranch_scc1 .LBB265_837
; %bb.828:
	s_cmp_lt_i32 s4, 9
	s_cbranch_scc1 .LBB265_834
; %bb.829:
	s_cmp_gt_i32 s4, 9
	s_cbranch_scc0 .LBB265_831
; %bb.830:
	s_wait_xcnt 0x0
	v_cndmask_b32_e64 v2, 0, 1, s14
	v_mov_b32_e32 v4, 0
	s_mov_b32 s0, 0
	s_delay_alu instid0(VALU_DEP_2) | instskip(NEXT) | instid1(VALU_DEP_2)
	v_cvt_f64_u32_e32 v[2:3], v2
	v_mov_b32_e32 v5, v4
	global_store_b128 v[0:1], v[2:5], off
.LBB265_831:
	s_and_not1_b32 vcc_lo, exec_lo, s0
	s_cbranch_vccnz .LBB265_833
; %bb.832:
	s_wait_xcnt 0x0
	v_cndmask_b32_e64 v2, 0, 1.0, s14
	v_mov_b32_e32 v3, 0
	global_store_b64 v[0:1], v[2:3], off
.LBB265_833:
	s_mov_b32 s0, 0
.LBB265_834:
	s_delay_alu instid0(SALU_CYCLE_1)
	s_and_not1_b32 vcc_lo, exec_lo, s0
	s_cbranch_vccnz .LBB265_836
; %bb.835:
	s_wait_xcnt 0x0
	v_cndmask_b32_e64 v2, 0, 1.0, s14
	s_delay_alu instid0(VALU_DEP_1) | instskip(NEXT) | instid1(VALU_DEP_1)
	v_cvt_f16_f32_e32 v2, v2
	v_and_b32_e32 v2, 0xffff, v2
	global_store_b32 v[0:1], v2, off
.LBB265_836:
	s_mov_b32 s0, 0
.LBB265_837:
	s_delay_alu instid0(SALU_CYCLE_1)
	s_and_not1_b32 vcc_lo, exec_lo, s0
	s_cbranch_vccnz .LBB265_846
; %bb.838:
	s_cmp_lt_i32 s4, 6
	s_mov_b32 s0, -1
	s_cbranch_scc1 .LBB265_844
; %bb.839:
	s_cmp_gt_i32 s4, 6
	s_cbranch_scc0 .LBB265_841
; %bb.840:
	s_wait_xcnt 0x0
	v_cndmask_b32_e64 v2, 0, 1, s14
	s_mov_b32 s0, 0
	s_delay_alu instid0(VALU_DEP_1)
	v_cvt_f64_u32_e32 v[2:3], v2
	global_store_b64 v[0:1], v[2:3], off
.LBB265_841:
	s_and_not1_b32 vcc_lo, exec_lo, s0
	s_cbranch_vccnz .LBB265_843
; %bb.842:
	s_wait_xcnt 0x0
	v_cndmask_b32_e64 v2, 0, 1.0, s14
	global_store_b32 v[0:1], v2, off
.LBB265_843:
	s_mov_b32 s0, 0
.LBB265_844:
	s_delay_alu instid0(SALU_CYCLE_1)
	s_and_not1_b32 vcc_lo, exec_lo, s0
	s_cbranch_vccnz .LBB265_846
; %bb.845:
	s_wait_xcnt 0x0
	v_cndmask_b32_e64 v2, 0, 1.0, s14
	s_delay_alu instid0(VALU_DEP_1)
	v_cvt_f16_f32_e32 v2, v2
	global_store_b16 v[0:1], v2, off
.LBB265_846:
	s_mov_b32 s0, 0
.LBB265_847:
	s_delay_alu instid0(SALU_CYCLE_1)
	s_and_not1_b32 vcc_lo, exec_lo, s0
	s_cbranch_vccnz .LBB265_863
; %bb.848:
	s_cmp_lt_i32 s4, 2
	s_mov_b32 s0, -1
	s_cbranch_scc1 .LBB265_858
; %bb.849:
	s_cmp_lt_i32 s4, 3
	s_cbranch_scc1 .LBB265_855
; %bb.850:
	s_cmp_gt_i32 s4, 3
	s_cbranch_scc0 .LBB265_852
; %bb.851:
	s_mov_b32 s0, 0
	s_wait_xcnt 0x0
	v_cndmask_b32_e64 v2, 0, 1, s14
	v_mov_b32_e32 v3, s0
	global_store_b64 v[0:1], v[2:3], off
.LBB265_852:
	s_and_not1_b32 vcc_lo, exec_lo, s0
	s_cbranch_vccnz .LBB265_854
; %bb.853:
	s_wait_xcnt 0x0
	v_cndmask_b32_e64 v2, 0, 1, s14
	global_store_b32 v[0:1], v2, off
.LBB265_854:
	s_mov_b32 s0, 0
.LBB265_855:
	s_delay_alu instid0(SALU_CYCLE_1)
	s_and_not1_b32 vcc_lo, exec_lo, s0
	s_cbranch_vccnz .LBB265_857
; %bb.856:
	s_wait_xcnt 0x0
	v_cndmask_b32_e64 v2, 0, 1, s14
	global_store_b16 v[0:1], v2, off
.LBB265_857:
	s_mov_b32 s0, 0
.LBB265_858:
	s_delay_alu instid0(SALU_CYCLE_1)
	s_and_not1_b32 vcc_lo, exec_lo, s0
	s_cbranch_vccnz .LBB265_863
; %bb.859:
	s_cmp_gt_i32 s4, 0
	s_mov_b32 s0, -1
	s_cbranch_scc0 .LBB265_861
; %bb.860:
	s_wait_xcnt 0x0
	v_cndmask_b32_e64 v2, 0, 1, s14
	s_mov_b32 s0, 0
	global_store_b8 v[0:1], v2, off
.LBB265_861:
	s_and_not1_b32 vcc_lo, exec_lo, s0
	s_cbranch_vccnz .LBB265_863
; %bb.862:
	s_wait_xcnt 0x0
	v_cndmask_b32_e64 v2, 0, 1, s14
	global_store_b8 v[0:1], v2, off
.LBB265_863:
.LBB265_864:
	v_mov_b32_e32 v15, 0
	s_cmp_lt_i32 s4, 11
	s_wait_xcnt 0x0
	s_delay_alu instid0(VALU_DEP_1)
	v_add_nc_u64_e32 v[0:1], s[16:17], v[14:15]
	s_cbranch_scc1 .LBB265_1019
; %bb.865:
	s_mov_b32 s7, -1
	s_mov_b32 s5, 0
	s_cmp_gt_i32 s4, 25
	s_mov_b32 s6, 0
	s_mov_b32 s0, 0
	s_cbranch_scc0 .LBB265_898
; %bb.866:
	s_cmp_gt_i32 s4, 28
	s_cbranch_scc0 .LBB265_881
; %bb.867:
	s_cmp_gt_i32 s4, 43
	;; [unrolled: 3-line block ×3, first 2 shown]
	s_cbranch_scc0 .LBB265_871
; %bb.869:
	s_mov_b32 s0, -1
	s_mov_b32 s7, 0
	s_cmp_eq_u32 s4, 46
	s_cbranch_scc0 .LBB265_871
; %bb.870:
	v_cndmask_b32_e64 v2, 0, 1.0, s13
	s_mov_b32 s0, 0
	s_mov_b32 s6, -1
	s_delay_alu instid0(VALU_DEP_1) | instskip(NEXT) | instid1(VALU_DEP_1)
	v_bfe_u32 v3, v2, 16, 1
	v_add3_u32 v2, v2, v3, 0x7fff
	s_delay_alu instid0(VALU_DEP_1)
	v_lshrrev_b32_e32 v2, 16, v2
	global_store_b32 v[0:1], v2, off
.LBB265_871:
	s_and_b32 vcc_lo, exec_lo, s7
	s_cbranch_vccz .LBB265_876
; %bb.872:
	s_cmp_eq_u32 s4, 44
	s_mov_b32 s0, -1
	s_cbranch_scc0 .LBB265_876
; %bb.873:
	v_cndmask_b32_e64 v4, 0, 1.0, s13
	s_mov_b32 s6, exec_lo
	s_wait_xcnt 0x0
	s_delay_alu instid0(VALU_DEP_1) | instskip(NEXT) | instid1(VALU_DEP_1)
	v_dual_mov_b32 v3, 0xff :: v_dual_lshrrev_b32 v2, 23, v4
	v_cmpx_ne_u32_e32 0xff, v2
; %bb.874:
	v_and_b32_e32 v3, 0x400000, v4
	v_and_or_b32 v4, 0x3fffff, v4, v2
	s_delay_alu instid0(VALU_DEP_2) | instskip(NEXT) | instid1(VALU_DEP_2)
	v_cmp_ne_u32_e32 vcc_lo, 0, v3
	v_cmp_ne_u32_e64 s0, 0, v4
	s_and_b32 s0, vcc_lo, s0
	s_delay_alu instid0(SALU_CYCLE_1) | instskip(NEXT) | instid1(VALU_DEP_1)
	v_cndmask_b32_e64 v3, 0, 1, s0
	v_add_nc_u32_e32 v3, v2, v3
; %bb.875:
	s_or_b32 exec_lo, exec_lo, s6
	s_mov_b32 s0, 0
	s_mov_b32 s6, -1
	global_store_b8 v[0:1], v3, off
.LBB265_876:
	s_mov_b32 s7, 0
.LBB265_877:
	s_delay_alu instid0(SALU_CYCLE_1)
	s_and_b32 vcc_lo, exec_lo, s7
	s_cbranch_vccz .LBB265_880
; %bb.878:
	s_cmp_eq_u32 s4, 29
	s_mov_b32 s0, -1
	s_cbranch_scc0 .LBB265_880
; %bb.879:
	s_mov_b32 s0, 0
	s_wait_xcnt 0x0
	v_cndmask_b32_e64 v2, 0, 1, s13
	v_mov_b32_e32 v3, s0
	s_mov_b32 s6, -1
	global_store_b64 v[0:1], v[2:3], off
.LBB265_880:
	s_mov_b32 s7, 0
.LBB265_881:
	s_delay_alu instid0(SALU_CYCLE_1)
	s_and_b32 vcc_lo, exec_lo, s7
	s_cbranch_vccz .LBB265_897
; %bb.882:
	s_cmp_lt_i32 s4, 27
	s_mov_b32 s6, -1
	s_cbranch_scc1 .LBB265_888
; %bb.883:
	s_cmp_gt_i32 s4, 27
	s_cbranch_scc0 .LBB265_885
; %bb.884:
	s_wait_xcnt 0x0
	v_cndmask_b32_e64 v2, 0, 1, s13
	s_mov_b32 s6, 0
	global_store_b32 v[0:1], v2, off
.LBB265_885:
	s_and_not1_b32 vcc_lo, exec_lo, s6
	s_cbranch_vccnz .LBB265_887
; %bb.886:
	s_wait_xcnt 0x0
	v_cndmask_b32_e64 v2, 0, 1, s13
	global_store_b16 v[0:1], v2, off
.LBB265_887:
	s_mov_b32 s6, 0
.LBB265_888:
	s_delay_alu instid0(SALU_CYCLE_1)
	s_and_not1_b32 vcc_lo, exec_lo, s6
	s_cbranch_vccnz .LBB265_896
; %bb.889:
	s_wait_xcnt 0x0
	v_cndmask_b32_e64 v3, 0, 1.0, s13
	v_mov_b32_e32 v4, 0x80
	s_mov_b32 s6, exec_lo
	s_delay_alu instid0(VALU_DEP_2)
	v_cmpx_gt_u32_e32 0x43800000, v3
	s_cbranch_execz .LBB265_895
; %bb.890:
	s_mov_b32 s7, 0
	s_mov_b32 s8, exec_lo
                                        ; implicit-def: $vgpr2
	v_cmpx_lt_u32_e32 0x3bffffff, v3
	s_xor_b32 s8, exec_lo, s8
	s_cbranch_execz .LBB265_1114
; %bb.891:
	v_bfe_u32 v2, v3, 20, 1
	s_mov_b32 s7, exec_lo
	s_delay_alu instid0(VALU_DEP_1) | instskip(NEXT) | instid1(VALU_DEP_1)
	v_add3_u32 v2, v3, v2, 0x487ffff
                                        ; implicit-def: $vgpr3
	v_lshrrev_b32_e32 v2, 20, v2
	s_and_not1_saveexec_b32 s8, s8
	s_cbranch_execnz .LBB265_1115
.LBB265_892:
	s_or_b32 exec_lo, exec_lo, s8
	v_mov_b32_e32 v4, 0
	s_and_saveexec_b32 s8, s7
.LBB265_893:
	v_mov_b32_e32 v4, v2
.LBB265_894:
	s_or_b32 exec_lo, exec_lo, s8
.LBB265_895:
	s_delay_alu instid0(SALU_CYCLE_1)
	s_or_b32 exec_lo, exec_lo, s6
	global_store_b8 v[0:1], v4, off
.LBB265_896:
	s_mov_b32 s6, -1
.LBB265_897:
	s_mov_b32 s7, 0
.LBB265_898:
	s_delay_alu instid0(SALU_CYCLE_1)
	s_and_b32 vcc_lo, exec_lo, s7
	s_cbranch_vccz .LBB265_938
; %bb.899:
	s_cmp_gt_i32 s4, 22
	s_mov_b32 s5, -1
	s_cbranch_scc0 .LBB265_931
; %bb.900:
	s_cmp_lt_i32 s4, 24
	s_cbranch_scc1 .LBB265_920
; %bb.901:
	s_cmp_gt_i32 s4, 24
	s_cbranch_scc0 .LBB265_909
; %bb.902:
	s_wait_xcnt 0x0
	v_cndmask_b32_e64 v3, 0, 1.0, s13
	v_mov_b32_e32 v4, 0x80
	s_mov_b32 s5, exec_lo
	s_delay_alu instid0(VALU_DEP_2)
	v_cmpx_gt_u32_e32 0x47800000, v3
	s_cbranch_execz .LBB265_908
; %bb.903:
	s_mov_b32 s6, 0
	s_mov_b32 s7, exec_lo
                                        ; implicit-def: $vgpr2
	v_cmpx_lt_u32_e32 0x37ffffff, v3
	s_xor_b32 s7, exec_lo, s7
	s_cbranch_execz .LBB265_1117
; %bb.904:
	v_bfe_u32 v2, v3, 21, 1
	s_mov_b32 s6, exec_lo
	s_delay_alu instid0(VALU_DEP_1) | instskip(NEXT) | instid1(VALU_DEP_1)
	v_add3_u32 v2, v3, v2, 0x88fffff
                                        ; implicit-def: $vgpr3
	v_lshrrev_b32_e32 v2, 21, v2
	s_and_not1_saveexec_b32 s7, s7
	s_cbranch_execnz .LBB265_1118
.LBB265_905:
	s_or_b32 exec_lo, exec_lo, s7
	v_mov_b32_e32 v4, 0
	s_and_saveexec_b32 s7, s6
.LBB265_906:
	v_mov_b32_e32 v4, v2
.LBB265_907:
	s_or_b32 exec_lo, exec_lo, s7
.LBB265_908:
	s_delay_alu instid0(SALU_CYCLE_1)
	s_or_b32 exec_lo, exec_lo, s5
	s_mov_b32 s5, 0
	global_store_b8 v[0:1], v4, off
.LBB265_909:
	s_and_b32 vcc_lo, exec_lo, s5
	s_cbranch_vccz .LBB265_919
; %bb.910:
	s_wait_xcnt 0x0
	v_cndmask_b32_e64 v3, 0, 1.0, s13
	s_mov_b32 s5, exec_lo
                                        ; implicit-def: $vgpr2
	s_delay_alu instid0(VALU_DEP_1)
	v_cmpx_gt_u32_e32 0x43f00000, v3
	s_xor_b32 s5, exec_lo, s5
	s_cbranch_execz .LBB265_916
; %bb.911:
	s_mov_b32 s6, exec_lo
                                        ; implicit-def: $vgpr2
	v_cmpx_lt_u32_e32 0x3c7fffff, v3
	s_xor_b32 s6, exec_lo, s6
; %bb.912:
	v_bfe_u32 v2, v3, 20, 1
	s_delay_alu instid0(VALU_DEP_1) | instskip(NEXT) | instid1(VALU_DEP_1)
	v_add3_u32 v2, v3, v2, 0x407ffff
	v_and_b32_e32 v3, 0xff00000, v2
	v_lshrrev_b32_e32 v2, 20, v2
	s_delay_alu instid0(VALU_DEP_2) | instskip(NEXT) | instid1(VALU_DEP_2)
	v_cmp_ne_u32_e32 vcc_lo, 0x7f00000, v3
                                        ; implicit-def: $vgpr3
	v_cndmask_b32_e32 v2, 0x7e, v2, vcc_lo
; %bb.913:
	s_and_not1_saveexec_b32 s6, s6
; %bb.914:
	v_add_f32_e32 v2, 0x46800000, v3
; %bb.915:
	s_or_b32 exec_lo, exec_lo, s6
                                        ; implicit-def: $vgpr3
.LBB265_916:
	s_and_not1_saveexec_b32 s5, s5
; %bb.917:
	v_mov_b32_e32 v2, 0x7f
	v_cmp_lt_u32_e32 vcc_lo, 0x7f800000, v3
	s_delay_alu instid0(VALU_DEP_2)
	v_cndmask_b32_e32 v2, 0x7e, v2, vcc_lo
; %bb.918:
	s_or_b32 exec_lo, exec_lo, s5
	global_store_b8 v[0:1], v2, off
.LBB265_919:
	s_mov_b32 s5, 0
.LBB265_920:
	s_delay_alu instid0(SALU_CYCLE_1)
	s_and_not1_b32 vcc_lo, exec_lo, s5
	s_cbranch_vccnz .LBB265_930
; %bb.921:
	s_wait_xcnt 0x0
	v_cndmask_b32_e64 v3, 0, 1.0, s13
	s_mov_b32 s5, exec_lo
                                        ; implicit-def: $vgpr2
	s_delay_alu instid0(VALU_DEP_1)
	v_cmpx_gt_u32_e32 0x47800000, v3
	s_xor_b32 s5, exec_lo, s5
	s_cbranch_execz .LBB265_927
; %bb.922:
	s_mov_b32 s6, exec_lo
                                        ; implicit-def: $vgpr2
	v_cmpx_lt_u32_e32 0x387fffff, v3
	s_xor_b32 s6, exec_lo, s6
; %bb.923:
	v_bfe_u32 v2, v3, 21, 1
	s_delay_alu instid0(VALU_DEP_1) | instskip(NEXT) | instid1(VALU_DEP_1)
	v_add3_u32 v2, v3, v2, 0x80fffff
                                        ; implicit-def: $vgpr3
	v_lshrrev_b32_e32 v2, 21, v2
; %bb.924:
	s_and_not1_saveexec_b32 s6, s6
; %bb.925:
	v_add_f32_e32 v2, 0x43000000, v3
; %bb.926:
	s_or_b32 exec_lo, exec_lo, s6
                                        ; implicit-def: $vgpr3
.LBB265_927:
	s_and_not1_saveexec_b32 s5, s5
; %bb.928:
	v_mov_b32_e32 v2, 0x7f
	v_cmp_lt_u32_e32 vcc_lo, 0x7f800000, v3
	s_delay_alu instid0(VALU_DEP_2)
	v_cndmask_b32_e32 v2, 0x7c, v2, vcc_lo
; %bb.929:
	s_or_b32 exec_lo, exec_lo, s5
	global_store_b8 v[0:1], v2, off
.LBB265_930:
	s_mov_b32 s5, 0
	s_mov_b32 s6, -1
.LBB265_931:
	s_and_not1_b32 vcc_lo, exec_lo, s5
	s_mov_b32 s5, 0
	s_cbranch_vccnz .LBB265_938
; %bb.932:
	s_cmp_gt_i32 s4, 14
	s_mov_b32 s5, -1
	s_cbranch_scc0 .LBB265_936
; %bb.933:
	s_cmp_eq_u32 s4, 15
	s_mov_b32 s0, -1
	s_cbranch_scc0 .LBB265_935
; %bb.934:
	s_wait_xcnt 0x0
	v_cndmask_b32_e64 v2, 0, 1.0, s13
	s_mov_b32 s0, 0
	s_mov_b32 s6, -1
	s_delay_alu instid0(VALU_DEP_1) | instskip(NEXT) | instid1(VALU_DEP_1)
	v_bfe_u32 v3, v2, 16, 1
	v_add3_u32 v2, v2, v3, 0x7fff
	global_store_d16_hi_b16 v[0:1], v2, off
.LBB265_935:
	s_mov_b32 s5, 0
.LBB265_936:
	s_delay_alu instid0(SALU_CYCLE_1)
	s_and_b32 vcc_lo, exec_lo, s5
	s_mov_b32 s5, 0
	s_cbranch_vccz .LBB265_938
; %bb.937:
	s_cmp_lg_u32 s4, 11
	s_mov_b32 s5, -1
	s_cselect_b32 s0, -1, 0
.LBB265_938:
	s_delay_alu instid0(SALU_CYCLE_1)
	s_and_b32 vcc_lo, exec_lo, s0
	s_cbranch_vccnz .LBB265_1116
; %bb.939:
	s_and_not1_b32 vcc_lo, exec_lo, s5
	s_cbranch_vccnz .LBB265_941
.LBB265_940:
	s_wait_xcnt 0x0
	v_cndmask_b32_e64 v2, 0, 1, s13
	s_mov_b32 s6, -1
	global_store_b8 v[0:1], v2, off
.LBB265_941:
.LBB265_942:
	s_and_not1_b32 vcc_lo, exec_lo, s6
	s_cbranch_vccnz .LBB265_1058
.LBB265_943:
	v_mov_b32_e32 v13, 0
	s_cmp_lt_i32 s4, 11
	s_wait_xcnt 0x0
	s_delay_alu instid0(VALU_DEP_1)
	v_add_nc_u64_e32 v[0:1], s[16:17], v[12:13]
	s_cbranch_scc1 .LBB265_1103
; %bb.944:
	s_mov_b32 s6, -1
	s_mov_b32 s5, 0
	s_cmp_gt_i32 s4, 25
	s_mov_b32 s0, 0
	s_cbranch_scc0 .LBB265_977
; %bb.945:
	s_cmp_gt_i32 s4, 28
	s_cbranch_scc0 .LBB265_961
; %bb.946:
	s_cmp_gt_i32 s4, 43
	;; [unrolled: 3-line block ×3, first 2 shown]
	s_cbranch_scc0 .LBB265_951
; %bb.948:
	s_cmp_eq_u32 s4, 46
	s_mov_b32 s0, -1
	s_cbranch_scc0 .LBB265_950
; %bb.949:
	v_cndmask_b32_e64 v2, 0, 1.0, s1
	s_mov_b32 s0, 0
	s_delay_alu instid0(VALU_DEP_1) | instskip(NEXT) | instid1(VALU_DEP_1)
	v_bfe_u32 v3, v2, 16, 1
	v_add3_u32 v2, v2, v3, 0x7fff
	s_delay_alu instid0(VALU_DEP_1)
	v_lshrrev_b32_e32 v2, 16, v2
	global_store_b32 v[0:1], v2, off
.LBB265_950:
	s_mov_b32 s6, 0
.LBB265_951:
	s_delay_alu instid0(SALU_CYCLE_1)
	s_and_b32 vcc_lo, exec_lo, s6
	s_cbranch_vccz .LBB265_956
; %bb.952:
	s_cmp_eq_u32 s4, 44
	s_mov_b32 s0, -1
	s_cbranch_scc0 .LBB265_956
; %bb.953:
	v_cndmask_b32_e64 v4, 0, 1.0, s1
	s_mov_b32 s6, exec_lo
	s_wait_xcnt 0x0
	s_delay_alu instid0(VALU_DEP_1) | instskip(NEXT) | instid1(VALU_DEP_1)
	v_dual_mov_b32 v3, 0xff :: v_dual_lshrrev_b32 v2, 23, v4
	v_cmpx_ne_u32_e32 0xff, v2
; %bb.954:
	v_and_b32_e32 v3, 0x400000, v4
	v_and_or_b32 v4, 0x3fffff, v4, v2
	s_delay_alu instid0(VALU_DEP_2) | instskip(NEXT) | instid1(VALU_DEP_2)
	v_cmp_ne_u32_e32 vcc_lo, 0, v3
	v_cmp_ne_u32_e64 s0, 0, v4
	s_and_b32 s0, vcc_lo, s0
	s_delay_alu instid0(SALU_CYCLE_1) | instskip(NEXT) | instid1(VALU_DEP_1)
	v_cndmask_b32_e64 v3, 0, 1, s0
	v_add_nc_u32_e32 v3, v2, v3
; %bb.955:
	s_or_b32 exec_lo, exec_lo, s6
	s_mov_b32 s0, 0
	global_store_b8 v[0:1], v3, off
.LBB265_956:
	s_mov_b32 s6, 0
.LBB265_957:
	s_delay_alu instid0(SALU_CYCLE_1)
	s_and_b32 vcc_lo, exec_lo, s6
	s_cbranch_vccz .LBB265_960
; %bb.958:
	s_cmp_eq_u32 s4, 29
	s_mov_b32 s0, -1
	s_cbranch_scc0 .LBB265_960
; %bb.959:
	s_mov_b32 s0, 0
	s_wait_xcnt 0x0
	v_cndmask_b32_e64 v2, 0, 1, s1
	v_mov_b32_e32 v3, s0
	global_store_b64 v[0:1], v[2:3], off
.LBB265_960:
	s_mov_b32 s6, 0
.LBB265_961:
	s_delay_alu instid0(SALU_CYCLE_1)
	s_and_b32 vcc_lo, exec_lo, s6
	s_cbranch_vccz .LBB265_976
; %bb.962:
	s_cmp_lt_i32 s4, 27
	s_mov_b32 s6, -1
	s_cbranch_scc1 .LBB265_968
; %bb.963:
	s_wait_xcnt 0x0
	v_cndmask_b32_e64 v2, 0, 1, s1
	s_cmp_gt_i32 s4, 27
	s_cbranch_scc0 .LBB265_965
; %bb.964:
	s_mov_b32 s6, 0
	global_store_b32 v[0:1], v2, off
.LBB265_965:
	s_and_not1_b32 vcc_lo, exec_lo, s6
	s_cbranch_vccnz .LBB265_967
; %bb.966:
	global_store_b16 v[0:1], v2, off
.LBB265_967:
	s_mov_b32 s6, 0
.LBB265_968:
	s_delay_alu instid0(SALU_CYCLE_1)
	s_and_not1_b32 vcc_lo, exec_lo, s6
	s_cbranch_vccnz .LBB265_976
; %bb.969:
	s_wait_xcnt 0x0
	v_cndmask_b32_e64 v3, 0, 1.0, s1
	v_mov_b32_e32 v4, 0x80
	s_mov_b32 s6, exec_lo
	s_delay_alu instid0(VALU_DEP_2)
	v_cmpx_gt_u32_e32 0x43800000, v3
	s_cbranch_execz .LBB265_975
; %bb.970:
	s_mov_b32 s7, 0
	s_mov_b32 s8, exec_lo
                                        ; implicit-def: $vgpr2
	v_cmpx_lt_u32_e32 0x3bffffff, v3
	s_xor_b32 s8, exec_lo, s8
	s_cbranch_execz .LBB265_1119
; %bb.971:
	v_bfe_u32 v2, v3, 20, 1
	s_mov_b32 s7, exec_lo
	s_delay_alu instid0(VALU_DEP_1) | instskip(NEXT) | instid1(VALU_DEP_1)
	v_add3_u32 v2, v3, v2, 0x487ffff
                                        ; implicit-def: $vgpr3
	v_lshrrev_b32_e32 v2, 20, v2
	s_and_not1_saveexec_b32 s8, s8
	s_cbranch_execnz .LBB265_1120
.LBB265_972:
	s_or_b32 exec_lo, exec_lo, s8
	v_mov_b32_e32 v4, 0
	s_and_saveexec_b32 s8, s7
.LBB265_973:
	v_mov_b32_e32 v4, v2
.LBB265_974:
	s_or_b32 exec_lo, exec_lo, s8
.LBB265_975:
	s_delay_alu instid0(SALU_CYCLE_1)
	s_or_b32 exec_lo, exec_lo, s6
	global_store_b8 v[0:1], v4, off
.LBB265_976:
	s_mov_b32 s6, 0
.LBB265_977:
	s_delay_alu instid0(SALU_CYCLE_1)
	s_and_b32 vcc_lo, exec_lo, s6
	s_cbranch_vccz .LBB265_1017
; %bb.978:
	s_cmp_gt_i32 s4, 22
	s_mov_b32 s5, -1
	s_cbranch_scc0 .LBB265_1010
; %bb.979:
	s_cmp_lt_i32 s4, 24
	s_cbranch_scc1 .LBB265_999
; %bb.980:
	s_cmp_gt_i32 s4, 24
	s_cbranch_scc0 .LBB265_988
; %bb.981:
	s_wait_xcnt 0x0
	v_cndmask_b32_e64 v3, 0, 1.0, s1
	v_mov_b32_e32 v4, 0x80
	s_mov_b32 s5, exec_lo
	s_delay_alu instid0(VALU_DEP_2)
	v_cmpx_gt_u32_e32 0x47800000, v3
	s_cbranch_execz .LBB265_987
; %bb.982:
	s_mov_b32 s6, 0
	s_mov_b32 s7, exec_lo
                                        ; implicit-def: $vgpr2
	v_cmpx_lt_u32_e32 0x37ffffff, v3
	s_xor_b32 s7, exec_lo, s7
	s_cbranch_execz .LBB265_1124
; %bb.983:
	v_bfe_u32 v2, v3, 21, 1
	s_mov_b32 s6, exec_lo
	s_delay_alu instid0(VALU_DEP_1) | instskip(NEXT) | instid1(VALU_DEP_1)
	v_add3_u32 v2, v3, v2, 0x88fffff
                                        ; implicit-def: $vgpr3
	v_lshrrev_b32_e32 v2, 21, v2
	s_and_not1_saveexec_b32 s7, s7
	s_cbranch_execnz .LBB265_1125
.LBB265_984:
	s_or_b32 exec_lo, exec_lo, s7
	v_mov_b32_e32 v4, 0
	s_and_saveexec_b32 s7, s6
.LBB265_985:
	v_mov_b32_e32 v4, v2
.LBB265_986:
	s_or_b32 exec_lo, exec_lo, s7
.LBB265_987:
	s_delay_alu instid0(SALU_CYCLE_1)
	s_or_b32 exec_lo, exec_lo, s5
	s_mov_b32 s5, 0
	global_store_b8 v[0:1], v4, off
.LBB265_988:
	s_and_b32 vcc_lo, exec_lo, s5
	s_cbranch_vccz .LBB265_998
; %bb.989:
	s_wait_xcnt 0x0
	v_cndmask_b32_e64 v3, 0, 1.0, s1
	s_mov_b32 s5, exec_lo
                                        ; implicit-def: $vgpr2
	s_delay_alu instid0(VALU_DEP_1)
	v_cmpx_gt_u32_e32 0x43f00000, v3
	s_xor_b32 s5, exec_lo, s5
	s_cbranch_execz .LBB265_995
; %bb.990:
	s_mov_b32 s6, exec_lo
                                        ; implicit-def: $vgpr2
	v_cmpx_lt_u32_e32 0x3c7fffff, v3
	s_xor_b32 s6, exec_lo, s6
; %bb.991:
	v_bfe_u32 v2, v3, 20, 1
	s_delay_alu instid0(VALU_DEP_1) | instskip(NEXT) | instid1(VALU_DEP_1)
	v_add3_u32 v2, v3, v2, 0x407ffff
	v_and_b32_e32 v3, 0xff00000, v2
	v_lshrrev_b32_e32 v2, 20, v2
	s_delay_alu instid0(VALU_DEP_2) | instskip(NEXT) | instid1(VALU_DEP_2)
	v_cmp_ne_u32_e32 vcc_lo, 0x7f00000, v3
                                        ; implicit-def: $vgpr3
	v_cndmask_b32_e32 v2, 0x7e, v2, vcc_lo
; %bb.992:
	s_and_not1_saveexec_b32 s6, s6
; %bb.993:
	v_add_f32_e32 v2, 0x46800000, v3
; %bb.994:
	s_or_b32 exec_lo, exec_lo, s6
                                        ; implicit-def: $vgpr3
.LBB265_995:
	s_and_not1_saveexec_b32 s5, s5
; %bb.996:
	v_mov_b32_e32 v2, 0x7f
	v_cmp_lt_u32_e32 vcc_lo, 0x7f800000, v3
	s_delay_alu instid0(VALU_DEP_2)
	v_cndmask_b32_e32 v2, 0x7e, v2, vcc_lo
; %bb.997:
	s_or_b32 exec_lo, exec_lo, s5
	global_store_b8 v[0:1], v2, off
.LBB265_998:
	s_mov_b32 s5, 0
.LBB265_999:
	s_delay_alu instid0(SALU_CYCLE_1)
	s_and_not1_b32 vcc_lo, exec_lo, s5
	s_cbranch_vccnz .LBB265_1009
; %bb.1000:
	s_wait_xcnt 0x0
	v_cndmask_b32_e64 v3, 0, 1.0, s1
	s_mov_b32 s5, exec_lo
                                        ; implicit-def: $vgpr2
	s_delay_alu instid0(VALU_DEP_1)
	v_cmpx_gt_u32_e32 0x47800000, v3
	s_xor_b32 s5, exec_lo, s5
	s_cbranch_execz .LBB265_1006
; %bb.1001:
	s_mov_b32 s6, exec_lo
                                        ; implicit-def: $vgpr2
	v_cmpx_lt_u32_e32 0x387fffff, v3
	s_xor_b32 s6, exec_lo, s6
; %bb.1002:
	v_bfe_u32 v2, v3, 21, 1
	s_delay_alu instid0(VALU_DEP_1) | instskip(NEXT) | instid1(VALU_DEP_1)
	v_add3_u32 v2, v3, v2, 0x80fffff
                                        ; implicit-def: $vgpr3
	v_lshrrev_b32_e32 v2, 21, v2
; %bb.1003:
	s_and_not1_saveexec_b32 s6, s6
; %bb.1004:
	v_add_f32_e32 v2, 0x43000000, v3
; %bb.1005:
	s_or_b32 exec_lo, exec_lo, s6
                                        ; implicit-def: $vgpr3
.LBB265_1006:
	s_and_not1_saveexec_b32 s5, s5
; %bb.1007:
	v_mov_b32_e32 v2, 0x7f
	v_cmp_lt_u32_e32 vcc_lo, 0x7f800000, v3
	s_delay_alu instid0(VALU_DEP_2)
	v_cndmask_b32_e32 v2, 0x7c, v2, vcc_lo
; %bb.1008:
	s_or_b32 exec_lo, exec_lo, s5
	global_store_b8 v[0:1], v2, off
.LBB265_1009:
	s_mov_b32 s5, 0
.LBB265_1010:
	s_delay_alu instid0(SALU_CYCLE_1)
	s_and_not1_b32 vcc_lo, exec_lo, s5
	s_mov_b32 s5, 0
	s_cbranch_vccnz .LBB265_1017
; %bb.1011:
	s_cmp_gt_i32 s4, 14
	s_mov_b32 s5, -1
	s_cbranch_scc0 .LBB265_1015
; %bb.1012:
	s_cmp_eq_u32 s4, 15
	s_mov_b32 s0, -1
	s_cbranch_scc0 .LBB265_1014
; %bb.1013:
	s_wait_xcnt 0x0
	v_cndmask_b32_e64 v2, 0, 1.0, s1
	s_mov_b32 s0, 0
	s_delay_alu instid0(VALU_DEP_1) | instskip(NEXT) | instid1(VALU_DEP_1)
	v_bfe_u32 v3, v2, 16, 1
	v_add3_u32 v2, v2, v3, 0x7fff
	global_store_d16_hi_b16 v[0:1], v2, off
.LBB265_1014:
	s_mov_b32 s5, 0
.LBB265_1015:
	s_delay_alu instid0(SALU_CYCLE_1)
	s_and_b32 vcc_lo, exec_lo, s5
	s_mov_b32 s5, 0
	s_cbranch_vccz .LBB265_1017
; %bb.1016:
	s_cmp_lg_u32 s4, 11
	s_mov_b32 s5, -1
	s_cselect_b32 s0, -1, 0
.LBB265_1017:
	s_delay_alu instid0(SALU_CYCLE_1)
	s_and_b32 vcc_lo, exec_lo, s0
	s_cbranch_vccnz .LBB265_1121
.LBB265_1018:
	s_mov_b32 s0, 0
	s_branch .LBB265_1059
.LBB265_1019:
	s_mov_b32 s6, 0
	s_cbranch_execz .LBB265_942
; %bb.1020:
	s_cmp_lt_i32 s4, 5
	s_mov_b32 s0, -1
	s_cbranch_scc1 .LBB265_1041
; %bb.1021:
	s_cmp_lt_i32 s4, 8
	s_cbranch_scc1 .LBB265_1031
; %bb.1022:
	s_cmp_lt_i32 s4, 9
	s_cbranch_scc1 .LBB265_1028
; %bb.1023:
	s_cmp_gt_i32 s4, 9
	s_cbranch_scc0 .LBB265_1025
; %bb.1024:
	s_wait_xcnt 0x0
	v_cndmask_b32_e64 v2, 0, 1, s13
	v_mov_b32_e32 v4, 0
	s_mov_b32 s0, 0
	s_delay_alu instid0(VALU_DEP_2) | instskip(NEXT) | instid1(VALU_DEP_2)
	v_cvt_f64_u32_e32 v[2:3], v2
	v_mov_b32_e32 v5, v4
	global_store_b128 v[0:1], v[2:5], off
.LBB265_1025:
	s_and_not1_b32 vcc_lo, exec_lo, s0
	s_cbranch_vccnz .LBB265_1027
; %bb.1026:
	s_wait_xcnt 0x0
	v_cndmask_b32_e64 v2, 0, 1.0, s13
	v_mov_b32_e32 v3, 0
	global_store_b64 v[0:1], v[2:3], off
.LBB265_1027:
	s_mov_b32 s0, 0
.LBB265_1028:
	s_delay_alu instid0(SALU_CYCLE_1)
	s_and_not1_b32 vcc_lo, exec_lo, s0
	s_cbranch_vccnz .LBB265_1030
; %bb.1029:
	s_wait_xcnt 0x0
	v_cndmask_b32_e64 v2, 0, 1.0, s13
	s_delay_alu instid0(VALU_DEP_1) | instskip(NEXT) | instid1(VALU_DEP_1)
	v_cvt_f16_f32_e32 v2, v2
	v_and_b32_e32 v2, 0xffff, v2
	global_store_b32 v[0:1], v2, off
.LBB265_1030:
	s_mov_b32 s0, 0
.LBB265_1031:
	s_delay_alu instid0(SALU_CYCLE_1)
	s_and_not1_b32 vcc_lo, exec_lo, s0
	s_cbranch_vccnz .LBB265_1040
; %bb.1032:
	s_cmp_lt_i32 s4, 6
	s_mov_b32 s0, -1
	s_cbranch_scc1 .LBB265_1038
; %bb.1033:
	s_cmp_gt_i32 s4, 6
	s_cbranch_scc0 .LBB265_1035
; %bb.1034:
	s_wait_xcnt 0x0
	v_cndmask_b32_e64 v2, 0, 1, s13
	s_mov_b32 s0, 0
	s_delay_alu instid0(VALU_DEP_1)
	v_cvt_f64_u32_e32 v[2:3], v2
	global_store_b64 v[0:1], v[2:3], off
.LBB265_1035:
	s_and_not1_b32 vcc_lo, exec_lo, s0
	s_cbranch_vccnz .LBB265_1037
; %bb.1036:
	s_wait_xcnt 0x0
	v_cndmask_b32_e64 v2, 0, 1.0, s13
	global_store_b32 v[0:1], v2, off
.LBB265_1037:
	s_mov_b32 s0, 0
.LBB265_1038:
	s_delay_alu instid0(SALU_CYCLE_1)
	s_and_not1_b32 vcc_lo, exec_lo, s0
	s_cbranch_vccnz .LBB265_1040
; %bb.1039:
	s_wait_xcnt 0x0
	v_cndmask_b32_e64 v2, 0, 1.0, s13
	s_delay_alu instid0(VALU_DEP_1)
	v_cvt_f16_f32_e32 v2, v2
	global_store_b16 v[0:1], v2, off
.LBB265_1040:
	s_mov_b32 s0, 0
.LBB265_1041:
	s_delay_alu instid0(SALU_CYCLE_1)
	s_and_not1_b32 vcc_lo, exec_lo, s0
	s_cbranch_vccnz .LBB265_1057
; %bb.1042:
	s_cmp_lt_i32 s4, 2
	s_mov_b32 s0, -1
	s_cbranch_scc1 .LBB265_1052
; %bb.1043:
	s_cmp_lt_i32 s4, 3
	s_cbranch_scc1 .LBB265_1049
; %bb.1044:
	s_cmp_gt_i32 s4, 3
	s_cbranch_scc0 .LBB265_1046
; %bb.1045:
	s_mov_b32 s0, 0
	s_wait_xcnt 0x0
	v_cndmask_b32_e64 v2, 0, 1, s13
	v_mov_b32_e32 v3, s0
	global_store_b64 v[0:1], v[2:3], off
.LBB265_1046:
	s_and_not1_b32 vcc_lo, exec_lo, s0
	s_cbranch_vccnz .LBB265_1048
; %bb.1047:
	s_wait_xcnt 0x0
	v_cndmask_b32_e64 v2, 0, 1, s13
	global_store_b32 v[0:1], v2, off
.LBB265_1048:
	s_mov_b32 s0, 0
.LBB265_1049:
	s_delay_alu instid0(SALU_CYCLE_1)
	s_and_not1_b32 vcc_lo, exec_lo, s0
	s_cbranch_vccnz .LBB265_1051
; %bb.1050:
	s_wait_xcnt 0x0
	v_cndmask_b32_e64 v2, 0, 1, s13
	global_store_b16 v[0:1], v2, off
.LBB265_1051:
	s_mov_b32 s0, 0
.LBB265_1052:
	s_delay_alu instid0(SALU_CYCLE_1)
	s_and_not1_b32 vcc_lo, exec_lo, s0
	s_cbranch_vccnz .LBB265_1057
; %bb.1053:
	s_cmp_gt_i32 s4, 0
	s_mov_b32 s0, -1
	s_cbranch_scc0 .LBB265_1055
; %bb.1054:
	s_wait_xcnt 0x0
	v_cndmask_b32_e64 v2, 0, 1, s13
	s_mov_b32 s0, 0
	global_store_b8 v[0:1], v2, off
.LBB265_1055:
	s_and_not1_b32 vcc_lo, exec_lo, s0
	s_cbranch_vccnz .LBB265_1057
; %bb.1056:
	s_wait_xcnt 0x0
	v_cndmask_b32_e64 v2, 0, 1, s13
	global_store_b8 v[0:1], v2, off
.LBB265_1057:
	s_branch .LBB265_943
.LBB265_1058:
	s_mov_b32 s0, 0
	s_mov_b32 s5, 0
                                        ; implicit-def: $sgpr2
                                        ; implicit-def: $vgpr0_vgpr1
.LBB265_1059:
	s_and_not1_b32 s4, s20, exec_lo
	s_and_b32 s3, s3, exec_lo
	s_and_b32 s0, s0, exec_lo
	;; [unrolled: 1-line block ×3, first 2 shown]
	s_or_b32 s20, s4, s3
.LBB265_1060:
	s_wait_xcnt 0x0
	s_or_b32 exec_lo, exec_lo, s21
	s_and_saveexec_b32 s3, s20
	s_cbranch_execz .LBB265_1063
; %bb.1061:
	; divergent unreachable
	s_or_b32 exec_lo, exec_lo, s3
	s_and_saveexec_b32 s3, s39
	s_delay_alu instid0(SALU_CYCLE_1)
	s_xor_b32 s3, exec_lo, s3
	s_cbranch_execnz .LBB265_1064
.LBB265_1062:
	s_or_b32 exec_lo, exec_lo, s3
	s_and_saveexec_b32 s3, s0
	s_cbranch_execnz .LBB265_1065
	s_branch .LBB265_1102
.LBB265_1063:
	s_or_b32 exec_lo, exec_lo, s3
	s_and_saveexec_b32 s3, s39
	s_delay_alu instid0(SALU_CYCLE_1)
	s_xor_b32 s3, exec_lo, s3
	s_cbranch_execz .LBB265_1062
.LBB265_1064:
	v_cndmask_b32_e64 v2, 0, 1, s1
	global_store_b8 v[0:1], v2, off
	s_wait_xcnt 0x0
	s_or_b32 exec_lo, exec_lo, s3
	s_and_saveexec_b32 s3, s0
	s_cbranch_execz .LBB265_1102
.LBB265_1065:
	s_sext_i32_i16 s3, s2
	s_mov_b32 s0, -1
	s_cmp_lt_i32 s3, 5
	s_cbranch_scc1 .LBB265_1086
; %bb.1066:
	s_cmp_lt_i32 s3, 8
	s_cbranch_scc1 .LBB265_1076
; %bb.1067:
	;; [unrolled: 3-line block ×3, first 2 shown]
	s_cmp_gt_i32 s3, 9
	s_cbranch_scc0 .LBB265_1070
; %bb.1069:
	v_cndmask_b32_e64 v2, 0, 1, s1
	v_mov_b32_e32 v4, 0
	s_mov_b32 s0, 0
	s_delay_alu instid0(VALU_DEP_2) | instskip(NEXT) | instid1(VALU_DEP_2)
	v_cvt_f64_u32_e32 v[2:3], v2
	v_mov_b32_e32 v5, v4
	global_store_b128 v[0:1], v[2:5], off
.LBB265_1070:
	s_and_not1_b32 vcc_lo, exec_lo, s0
	s_cbranch_vccnz .LBB265_1072
; %bb.1071:
	s_wait_xcnt 0x0
	v_cndmask_b32_e64 v2, 0, 1.0, s1
	v_mov_b32_e32 v3, 0
	global_store_b64 v[0:1], v[2:3], off
.LBB265_1072:
	s_mov_b32 s0, 0
.LBB265_1073:
	s_delay_alu instid0(SALU_CYCLE_1)
	s_and_not1_b32 vcc_lo, exec_lo, s0
	s_cbranch_vccnz .LBB265_1075
; %bb.1074:
	s_wait_xcnt 0x0
	v_cndmask_b32_e64 v2, 0, 1.0, s1
	s_delay_alu instid0(VALU_DEP_1) | instskip(NEXT) | instid1(VALU_DEP_1)
	v_cvt_f16_f32_e32 v2, v2
	v_and_b32_e32 v2, 0xffff, v2
	global_store_b32 v[0:1], v2, off
.LBB265_1075:
	s_mov_b32 s0, 0
.LBB265_1076:
	s_delay_alu instid0(SALU_CYCLE_1)
	s_and_not1_b32 vcc_lo, exec_lo, s0
	s_cbranch_vccnz .LBB265_1085
; %bb.1077:
	s_sext_i32_i16 s3, s2
	s_mov_b32 s0, -1
	s_cmp_lt_i32 s3, 6
	s_cbranch_scc1 .LBB265_1083
; %bb.1078:
	s_cmp_gt_i32 s3, 6
	s_cbranch_scc0 .LBB265_1080
; %bb.1079:
	s_wait_xcnt 0x0
	v_cndmask_b32_e64 v2, 0, 1, s1
	s_mov_b32 s0, 0
	s_delay_alu instid0(VALU_DEP_1)
	v_cvt_f64_u32_e32 v[2:3], v2
	global_store_b64 v[0:1], v[2:3], off
.LBB265_1080:
	s_and_not1_b32 vcc_lo, exec_lo, s0
	s_cbranch_vccnz .LBB265_1082
; %bb.1081:
	s_wait_xcnt 0x0
	v_cndmask_b32_e64 v2, 0, 1.0, s1
	global_store_b32 v[0:1], v2, off
.LBB265_1082:
	s_mov_b32 s0, 0
.LBB265_1083:
	s_delay_alu instid0(SALU_CYCLE_1)
	s_and_not1_b32 vcc_lo, exec_lo, s0
	s_cbranch_vccnz .LBB265_1085
; %bb.1084:
	s_wait_xcnt 0x0
	v_cndmask_b32_e64 v2, 0, 1.0, s1
	s_delay_alu instid0(VALU_DEP_1)
	v_cvt_f16_f32_e32 v2, v2
	global_store_b16 v[0:1], v2, off
.LBB265_1085:
	s_mov_b32 s0, 0
.LBB265_1086:
	s_delay_alu instid0(SALU_CYCLE_1)
	s_and_not1_b32 vcc_lo, exec_lo, s0
	s_cbranch_vccnz .LBB265_1102
; %bb.1087:
	s_sext_i32_i16 s3, s2
	s_mov_b32 s0, -1
	s_cmp_lt_i32 s3, 2
	s_cbranch_scc1 .LBB265_1097
; %bb.1088:
	s_cmp_lt_i32 s3, 3
	s_cbranch_scc1 .LBB265_1094
; %bb.1089:
	s_cmp_gt_i32 s3, 3
	s_cbranch_scc0 .LBB265_1091
; %bb.1090:
	s_mov_b32 s0, 0
	s_wait_xcnt 0x0
	v_cndmask_b32_e64 v2, 0, 1, s1
	v_mov_b32_e32 v3, s0
	global_store_b64 v[0:1], v[2:3], off
.LBB265_1091:
	s_and_not1_b32 vcc_lo, exec_lo, s0
	s_cbranch_vccnz .LBB265_1093
; %bb.1092:
	s_wait_xcnt 0x0
	v_cndmask_b32_e64 v2, 0, 1, s1
	global_store_b32 v[0:1], v2, off
.LBB265_1093:
	s_mov_b32 s0, 0
.LBB265_1094:
	s_delay_alu instid0(SALU_CYCLE_1)
	s_and_not1_b32 vcc_lo, exec_lo, s0
	s_cbranch_vccnz .LBB265_1096
; %bb.1095:
	s_wait_xcnt 0x0
	v_cndmask_b32_e64 v2, 0, 1, s1
	global_store_b16 v[0:1], v2, off
.LBB265_1096:
	s_mov_b32 s0, 0
.LBB265_1097:
	s_delay_alu instid0(SALU_CYCLE_1)
	s_and_not1_b32 vcc_lo, exec_lo, s0
	s_cbranch_vccnz .LBB265_1102
; %bb.1098:
	s_sext_i32_i16 s0, s2
	s_delay_alu instid0(SALU_CYCLE_1)
	s_cmp_gt_i32 s0, 0
	s_mov_b32 s0, -1
	s_cbranch_scc0 .LBB265_1100
; %bb.1099:
	s_wait_xcnt 0x0
	v_cndmask_b32_e64 v2, 0, 1, s1
	s_mov_b32 s0, 0
	global_store_b8 v[0:1], v2, off
.LBB265_1100:
	s_and_not1_b32 vcc_lo, exec_lo, s0
	s_cbranch_vccnz .LBB265_1102
; %bb.1101:
	s_wait_xcnt 0x0
	v_cndmask_b32_e64 v2, 0, 1, s1
	global_store_b8 v[0:1], v2, off
	s_endpgm
.LBB265_1102:
	s_endpgm
.LBB265_1103:
	s_mov_b32 s5, 0
	s_mov_b32 s0, -1
	s_branch .LBB265_1059
.LBB265_1104:
	s_and_not1_saveexec_b32 s7, s7
	s_cbranch_execz .LBB265_656
.LBB265_1105:
	v_add_f32_e32 v2, 0x46000000, v3
	s_and_not1_b32 s6, s6, exec_lo
	s_delay_alu instid0(VALU_DEP_1) | instskip(NEXT) | instid1(VALU_DEP_1)
	v_and_b32_e32 v2, 0xff, v2
	v_cmp_ne_u32_e32 vcc_lo, 0, v2
	s_and_b32 s8, vcc_lo, exec_lo
	s_delay_alu instid0(SALU_CYCLE_1)
	s_or_b32 s6, s6, s8
	s_or_b32 exec_lo, exec_lo, s7
	v_mov_b32_e32 v4, 0
	s_and_saveexec_b32 s7, s6
	s_cbranch_execnz .LBB265_657
	s_branch .LBB265_658
.LBB265_1106:
	s_or_b32 s3, s20, exec_lo
	s_trap 2
	s_cbranch_execz .LBB265_704
	s_branch .LBB265_705
.LBB265_1107:
	s_and_not1_saveexec_b32 s6, s6
	s_cbranch_execz .LBB265_669
.LBB265_1108:
	v_add_f32_e32 v2, 0x42800000, v3
	s_and_not1_b32 s5, s5, exec_lo
	s_delay_alu instid0(VALU_DEP_1) | instskip(NEXT) | instid1(VALU_DEP_1)
	v_and_b32_e32 v2, 0xff, v2
	v_cmp_ne_u32_e32 vcc_lo, 0, v2
	s_and_b32 s7, vcc_lo, exec_lo
	s_delay_alu instid0(SALU_CYCLE_1)
	s_or_b32 s5, s5, s7
	s_or_b32 exec_lo, exec_lo, s6
	v_mov_b32_e32 v4, 0
	s_and_saveexec_b32 s6, s5
	s_cbranch_execnz .LBB265_670
	s_branch .LBB265_671
.LBB265_1109:
	s_and_not1_saveexec_b32 s8, s8
	s_cbranch_execz .LBB265_774
.LBB265_1110:
	v_add_f32_e32 v2, 0x46000000, v3
	s_and_not1_b32 s7, s7, exec_lo
	s_delay_alu instid0(VALU_DEP_1) | instskip(NEXT) | instid1(VALU_DEP_1)
	v_and_b32_e32 v2, 0xff, v2
	v_cmp_ne_u32_e32 vcc_lo, 0, v2
	s_and_b32 s9, vcc_lo, exec_lo
	s_delay_alu instid0(SALU_CYCLE_1)
	s_or_b32 s7, s7, s9
	s_or_b32 exec_lo, exec_lo, s8
	v_mov_b32_e32 v4, 0
	s_and_saveexec_b32 s8, s7
	s_cbranch_execnz .LBB265_775
	s_branch .LBB265_776
.LBB265_1111:
	s_or_b32 s3, s3, exec_lo
	s_trap 2
	s_cbranch_execz .LBB265_822
	s_branch .LBB265_823
.LBB265_1112:
	s_and_not1_saveexec_b32 s7, s7
	s_cbranch_execz .LBB265_787
.LBB265_1113:
	v_add_f32_e32 v2, 0x42800000, v3
	s_and_not1_b32 s6, s6, exec_lo
	s_delay_alu instid0(VALU_DEP_1) | instskip(NEXT) | instid1(VALU_DEP_1)
	v_and_b32_e32 v2, 0xff, v2
	v_cmp_ne_u32_e32 vcc_lo, 0, v2
	s_and_b32 s8, vcc_lo, exec_lo
	s_delay_alu instid0(SALU_CYCLE_1)
	s_or_b32 s6, s6, s8
	s_or_b32 exec_lo, exec_lo, s7
	v_mov_b32_e32 v4, 0
	s_and_saveexec_b32 s7, s6
	s_cbranch_execnz .LBB265_788
	s_branch .LBB265_789
.LBB265_1114:
	s_and_not1_saveexec_b32 s8, s8
	s_cbranch_execz .LBB265_892
.LBB265_1115:
	v_add_f32_e32 v2, 0x46000000, v3
	s_and_not1_b32 s7, s7, exec_lo
	s_delay_alu instid0(VALU_DEP_1) | instskip(NEXT) | instid1(VALU_DEP_1)
	v_and_b32_e32 v2, 0xff, v2
	v_cmp_ne_u32_e32 vcc_lo, 0, v2
	s_and_b32 s9, vcc_lo, exec_lo
	s_delay_alu instid0(SALU_CYCLE_1)
	s_or_b32 s7, s7, s9
	s_or_b32 exec_lo, exec_lo, s8
	v_mov_b32_e32 v4, 0
	s_and_saveexec_b32 s8, s7
	s_cbranch_execnz .LBB265_893
	s_branch .LBB265_894
.LBB265_1116:
	s_or_b32 s3, s3, exec_lo
	s_trap 2
	s_cbranch_execz .LBB265_940
	s_branch .LBB265_941
.LBB265_1117:
	s_and_not1_saveexec_b32 s7, s7
	s_cbranch_execz .LBB265_905
.LBB265_1118:
	v_add_f32_e32 v2, 0x42800000, v3
	s_and_not1_b32 s6, s6, exec_lo
	s_delay_alu instid0(VALU_DEP_1) | instskip(NEXT) | instid1(VALU_DEP_1)
	v_and_b32_e32 v2, 0xff, v2
	v_cmp_ne_u32_e32 vcc_lo, 0, v2
	s_and_b32 s8, vcc_lo, exec_lo
	s_delay_alu instid0(SALU_CYCLE_1)
	s_or_b32 s6, s6, s8
	s_or_b32 exec_lo, exec_lo, s7
	v_mov_b32_e32 v4, 0
	s_and_saveexec_b32 s7, s6
	s_cbranch_execnz .LBB265_906
	s_branch .LBB265_907
.LBB265_1119:
	s_and_not1_saveexec_b32 s8, s8
	s_cbranch_execz .LBB265_972
.LBB265_1120:
	v_add_f32_e32 v2, 0x46000000, v3
	s_and_not1_b32 s7, s7, exec_lo
	s_delay_alu instid0(VALU_DEP_1) | instskip(NEXT) | instid1(VALU_DEP_1)
	v_and_b32_e32 v2, 0xff, v2
	v_cmp_ne_u32_e32 vcc_lo, 0, v2
	s_and_b32 s9, vcc_lo, exec_lo
	s_delay_alu instid0(SALU_CYCLE_1)
	s_or_b32 s7, s7, s9
	s_or_b32 exec_lo, exec_lo, s8
	v_mov_b32_e32 v4, 0
	s_and_saveexec_b32 s8, s7
	s_cbranch_execnz .LBB265_973
	s_branch .LBB265_974
.LBB265_1121:
	s_mov_b32 s5, 0
	s_or_b32 s3, s3, exec_lo
	s_trap 2
	s_branch .LBB265_1018
.LBB265_1122:
	s_and_not1_saveexec_b32 s6, s6
	s_cbranch_execz .LBB265_480
.LBB265_1123:
	v_add_f32_e32 v2, 0x46000000, v3
	s_and_not1_b32 s5, s5, exec_lo
	s_delay_alu instid0(VALU_DEP_1) | instskip(NEXT) | instid1(VALU_DEP_1)
	v_and_b32_e32 v2, 0xff, v2
	v_cmp_ne_u32_e32 vcc_lo, 0, v2
	s_and_b32 s7, vcc_lo, exec_lo
	s_delay_alu instid0(SALU_CYCLE_1)
	s_or_b32 s5, s5, s7
	s_or_b32 exec_lo, exec_lo, s6
	v_mov_b32_e32 v4, 0
	s_and_saveexec_b32 s6, s5
	s_cbranch_execnz .LBB265_481
	s_branch .LBB265_482
.LBB265_1124:
	s_and_not1_saveexec_b32 s7, s7
	s_cbranch_execz .LBB265_984
.LBB265_1125:
	v_add_f32_e32 v2, 0x42800000, v3
	s_and_not1_b32 s6, s6, exec_lo
	s_delay_alu instid0(VALU_DEP_1) | instskip(NEXT) | instid1(VALU_DEP_1)
	v_and_b32_e32 v2, 0xff, v2
	v_cmp_ne_u32_e32 vcc_lo, 0, v2
	s_and_b32 s8, vcc_lo, exec_lo
	s_delay_alu instid0(SALU_CYCLE_1)
	s_or_b32 s6, s6, s8
	s_or_b32 exec_lo, exec_lo, s7
	v_mov_b32_e32 v4, 0
	s_and_saveexec_b32 s7, s6
	s_cbranch_execnz .LBB265_985
	s_branch .LBB265_986
.LBB265_1126:
	s_and_not1_saveexec_b32 s7, s7
	s_cbranch_execz .LBB265_492
.LBB265_1127:
	v_add_f32_e32 v2, 0x42800000, v3
	s_and_not1_b32 s6, s6, exec_lo
	s_delay_alu instid0(VALU_DEP_1) | instskip(NEXT) | instid1(VALU_DEP_1)
	v_and_b32_e32 v2, 0xff, v2
	v_cmp_ne_u32_e32 vcc_lo, 0, v2
	s_and_b32 s8, vcc_lo, exec_lo
	s_delay_alu instid0(SALU_CYCLE_1)
	s_or_b32 s6, s6, s8
	s_or_b32 exec_lo, exec_lo, s7
	v_mov_b32_e32 v4, 0
	s_and_saveexec_b32 s7, s6
	s_cbranch_execnz .LBB265_493
	s_branch .LBB265_494
	.section	.rodata,"a",@progbits
	.p2align	6, 0x0
	.amdhsa_kernel _ZN2at6native32elementwise_kernel_manual_unrollILi128ELi4EZNS0_15gpu_kernel_implINS0_13AUnaryFunctorIN3c1015Float8_e5m2fnuzES5_bNS0_12_GLOBAL__N_116CompareEqFunctorIS5_EEEEEEvRNS_18TensorIteratorBaseERKT_EUlibE0_EEviT1_
		.amdhsa_group_segment_fixed_size 0
		.amdhsa_private_segment_fixed_size 0
		.amdhsa_kernarg_size 368
		.amdhsa_user_sgpr_count 2
		.amdhsa_user_sgpr_dispatch_ptr 0
		.amdhsa_user_sgpr_queue_ptr 0
		.amdhsa_user_sgpr_kernarg_segment_ptr 1
		.amdhsa_user_sgpr_dispatch_id 0
		.amdhsa_user_sgpr_kernarg_preload_length 0
		.amdhsa_user_sgpr_kernarg_preload_offset 0
		.amdhsa_user_sgpr_private_segment_size 0
		.amdhsa_wavefront_size32 1
		.amdhsa_uses_dynamic_stack 0
		.amdhsa_enable_private_segment 0
		.amdhsa_system_sgpr_workgroup_id_x 1
		.amdhsa_system_sgpr_workgroup_id_y 0
		.amdhsa_system_sgpr_workgroup_id_z 0
		.amdhsa_system_sgpr_workgroup_info 0
		.amdhsa_system_vgpr_workitem_id 0
		.amdhsa_next_free_vgpr 20
		.amdhsa_next_free_sgpr 72
		.amdhsa_named_barrier_count 0
		.amdhsa_reserve_vcc 1
		.amdhsa_float_round_mode_32 0
		.amdhsa_float_round_mode_16_64 0
		.amdhsa_float_denorm_mode_32 3
		.amdhsa_float_denorm_mode_16_64 3
		.amdhsa_fp16_overflow 0
		.amdhsa_memory_ordered 1
		.amdhsa_forward_progress 1
		.amdhsa_inst_pref_size 185
		.amdhsa_round_robin_scheduling 0
		.amdhsa_exception_fp_ieee_invalid_op 0
		.amdhsa_exception_fp_denorm_src 0
		.amdhsa_exception_fp_ieee_div_zero 0
		.amdhsa_exception_fp_ieee_overflow 0
		.amdhsa_exception_fp_ieee_underflow 0
		.amdhsa_exception_fp_ieee_inexact 0
		.amdhsa_exception_int_div_zero 0
	.end_amdhsa_kernel
	.section	.text._ZN2at6native32elementwise_kernel_manual_unrollILi128ELi4EZNS0_15gpu_kernel_implINS0_13AUnaryFunctorIN3c1015Float8_e5m2fnuzES5_bNS0_12_GLOBAL__N_116CompareEqFunctorIS5_EEEEEEvRNS_18TensorIteratorBaseERKT_EUlibE0_EEviT1_,"axG",@progbits,_ZN2at6native32elementwise_kernel_manual_unrollILi128ELi4EZNS0_15gpu_kernel_implINS0_13AUnaryFunctorIN3c1015Float8_e5m2fnuzES5_bNS0_12_GLOBAL__N_116CompareEqFunctorIS5_EEEEEEvRNS_18TensorIteratorBaseERKT_EUlibE0_EEviT1_,comdat
.Lfunc_end265:
	.size	_ZN2at6native32elementwise_kernel_manual_unrollILi128ELi4EZNS0_15gpu_kernel_implINS0_13AUnaryFunctorIN3c1015Float8_e5m2fnuzES5_bNS0_12_GLOBAL__N_116CompareEqFunctorIS5_EEEEEEvRNS_18TensorIteratorBaseERKT_EUlibE0_EEviT1_, .Lfunc_end265-_ZN2at6native32elementwise_kernel_manual_unrollILi128ELi4EZNS0_15gpu_kernel_implINS0_13AUnaryFunctorIN3c1015Float8_e5m2fnuzES5_bNS0_12_GLOBAL__N_116CompareEqFunctorIS5_EEEEEEvRNS_18TensorIteratorBaseERKT_EUlibE0_EEviT1_
                                        ; -- End function
	.set _ZN2at6native32elementwise_kernel_manual_unrollILi128ELi4EZNS0_15gpu_kernel_implINS0_13AUnaryFunctorIN3c1015Float8_e5m2fnuzES5_bNS0_12_GLOBAL__N_116CompareEqFunctorIS5_EEEEEEvRNS_18TensorIteratorBaseERKT_EUlibE0_EEviT1_.num_vgpr, max(20, .L_ZN2at6native6invokeINS0_13AUnaryFunctorIN3c1015Float8_e5m2fnuzES4_bNS0_12_GLOBAL__N_116CompareEqFunctorIS4_EEEEj15function_traitsIS8_EEENT1_11result_typeERKT_PrKPcPKT0_PKNS3_10ScalarTypeEi.num_vgpr)
	.set _ZN2at6native32elementwise_kernel_manual_unrollILi128ELi4EZNS0_15gpu_kernel_implINS0_13AUnaryFunctorIN3c1015Float8_e5m2fnuzES5_bNS0_12_GLOBAL__N_116CompareEqFunctorIS5_EEEEEEvRNS_18TensorIteratorBaseERKT_EUlibE0_EEviT1_.num_agpr, max(0, .L_ZN2at6native6invokeINS0_13AUnaryFunctorIN3c1015Float8_e5m2fnuzES4_bNS0_12_GLOBAL__N_116CompareEqFunctorIS4_EEEEj15function_traitsIS8_EEENT1_11result_typeERKT_PrKPcPKT0_PKNS3_10ScalarTypeEi.num_agpr)
	.set _ZN2at6native32elementwise_kernel_manual_unrollILi128ELi4EZNS0_15gpu_kernel_implINS0_13AUnaryFunctorIN3c1015Float8_e5m2fnuzES5_bNS0_12_GLOBAL__N_116CompareEqFunctorIS5_EEEEEEvRNS_18TensorIteratorBaseERKT_EUlibE0_EEviT1_.numbered_sgpr, max(72, .L_ZN2at6native6invokeINS0_13AUnaryFunctorIN3c1015Float8_e5m2fnuzES4_bNS0_12_GLOBAL__N_116CompareEqFunctorIS4_EEEEj15function_traitsIS8_EEENT1_11result_typeERKT_PrKPcPKT0_PKNS3_10ScalarTypeEi.numbered_sgpr)
	.set _ZN2at6native32elementwise_kernel_manual_unrollILi128ELi4EZNS0_15gpu_kernel_implINS0_13AUnaryFunctorIN3c1015Float8_e5m2fnuzES5_bNS0_12_GLOBAL__N_116CompareEqFunctorIS5_EEEEEEvRNS_18TensorIteratorBaseERKT_EUlibE0_EEviT1_.num_named_barrier, max(0, .L_ZN2at6native6invokeINS0_13AUnaryFunctorIN3c1015Float8_e5m2fnuzES4_bNS0_12_GLOBAL__N_116CompareEqFunctorIS4_EEEEj15function_traitsIS8_EEENT1_11result_typeERKT_PrKPcPKT0_PKNS3_10ScalarTypeEi.num_named_barrier)
	.set _ZN2at6native32elementwise_kernel_manual_unrollILi128ELi4EZNS0_15gpu_kernel_implINS0_13AUnaryFunctorIN3c1015Float8_e5m2fnuzES5_bNS0_12_GLOBAL__N_116CompareEqFunctorIS5_EEEEEEvRNS_18TensorIteratorBaseERKT_EUlibE0_EEviT1_.private_seg_size, 0+max(.L_ZN2at6native6invokeINS0_13AUnaryFunctorIN3c1015Float8_e5m2fnuzES4_bNS0_12_GLOBAL__N_116CompareEqFunctorIS4_EEEEj15function_traitsIS8_EEENT1_11result_typeERKT_PrKPcPKT0_PKNS3_10ScalarTypeEi.private_seg_size)
	.set _ZN2at6native32elementwise_kernel_manual_unrollILi128ELi4EZNS0_15gpu_kernel_implINS0_13AUnaryFunctorIN3c1015Float8_e5m2fnuzES5_bNS0_12_GLOBAL__N_116CompareEqFunctorIS5_EEEEEEvRNS_18TensorIteratorBaseERKT_EUlibE0_EEviT1_.uses_vcc, or(1, .L_ZN2at6native6invokeINS0_13AUnaryFunctorIN3c1015Float8_e5m2fnuzES4_bNS0_12_GLOBAL__N_116CompareEqFunctorIS4_EEEEj15function_traitsIS8_EEENT1_11result_typeERKT_PrKPcPKT0_PKNS3_10ScalarTypeEi.uses_vcc)
	.set _ZN2at6native32elementwise_kernel_manual_unrollILi128ELi4EZNS0_15gpu_kernel_implINS0_13AUnaryFunctorIN3c1015Float8_e5m2fnuzES5_bNS0_12_GLOBAL__N_116CompareEqFunctorIS5_EEEEEEvRNS_18TensorIteratorBaseERKT_EUlibE0_EEviT1_.uses_flat_scratch, or(0, .L_ZN2at6native6invokeINS0_13AUnaryFunctorIN3c1015Float8_e5m2fnuzES4_bNS0_12_GLOBAL__N_116CompareEqFunctorIS4_EEEEj15function_traitsIS8_EEENT1_11result_typeERKT_PrKPcPKT0_PKNS3_10ScalarTypeEi.uses_flat_scratch)
	.set _ZN2at6native32elementwise_kernel_manual_unrollILi128ELi4EZNS0_15gpu_kernel_implINS0_13AUnaryFunctorIN3c1015Float8_e5m2fnuzES5_bNS0_12_GLOBAL__N_116CompareEqFunctorIS5_EEEEEEvRNS_18TensorIteratorBaseERKT_EUlibE0_EEviT1_.has_dyn_sized_stack, or(0, .L_ZN2at6native6invokeINS0_13AUnaryFunctorIN3c1015Float8_e5m2fnuzES4_bNS0_12_GLOBAL__N_116CompareEqFunctorIS4_EEEEj15function_traitsIS8_EEENT1_11result_typeERKT_PrKPcPKT0_PKNS3_10ScalarTypeEi.has_dyn_sized_stack)
	.set _ZN2at6native32elementwise_kernel_manual_unrollILi128ELi4EZNS0_15gpu_kernel_implINS0_13AUnaryFunctorIN3c1015Float8_e5m2fnuzES5_bNS0_12_GLOBAL__N_116CompareEqFunctorIS5_EEEEEEvRNS_18TensorIteratorBaseERKT_EUlibE0_EEviT1_.has_recursion, or(0, .L_ZN2at6native6invokeINS0_13AUnaryFunctorIN3c1015Float8_e5m2fnuzES4_bNS0_12_GLOBAL__N_116CompareEqFunctorIS4_EEEEj15function_traitsIS8_EEENT1_11result_typeERKT_PrKPcPKT0_PKNS3_10ScalarTypeEi.has_recursion)
	.set _ZN2at6native32elementwise_kernel_manual_unrollILi128ELi4EZNS0_15gpu_kernel_implINS0_13AUnaryFunctorIN3c1015Float8_e5m2fnuzES5_bNS0_12_GLOBAL__N_116CompareEqFunctorIS5_EEEEEEvRNS_18TensorIteratorBaseERKT_EUlibE0_EEviT1_.has_indirect_call, or(0, .L_ZN2at6native6invokeINS0_13AUnaryFunctorIN3c1015Float8_e5m2fnuzES4_bNS0_12_GLOBAL__N_116CompareEqFunctorIS4_EEEEj15function_traitsIS8_EEENT1_11result_typeERKT_PrKPcPKT0_PKNS3_10ScalarTypeEi.has_indirect_call)
	.section	.AMDGPU.csdata,"",@progbits
; Kernel info:
; codeLenInByte = 23636
; TotalNumSgprs: 74
; NumVgprs: 20
; ScratchSize: 0
; MemoryBound: 0
; FloatMode: 240
; IeeeMode: 1
; LDSByteSize: 0 bytes/workgroup (compile time only)
; SGPRBlocks: 0
; VGPRBlocks: 1
; NumSGPRsForWavesPerEU: 74
; NumVGPRsForWavesPerEU: 20
; NamedBarCnt: 0
; Occupancy: 16
; WaveLimiterHint : 1
; COMPUTE_PGM_RSRC2:SCRATCH_EN: 0
; COMPUTE_PGM_RSRC2:USER_SGPR: 2
; COMPUTE_PGM_RSRC2:TRAP_HANDLER: 0
; COMPUTE_PGM_RSRC2:TGID_X_EN: 1
; COMPUTE_PGM_RSRC2:TGID_Y_EN: 0
; COMPUTE_PGM_RSRC2:TGID_Z_EN: 0
; COMPUTE_PGM_RSRC2:TIDIG_COMP_CNT: 0
	.text
	.p2align	2                               ; -- Begin function _ZN2at6native25elementwise_kernel_helperILb0ENS0_13BinaryFunctorIN3c1013Float8_e4m3fnES4_bNS0_12_GLOBAL__N_116CompareEqFunctorIS4_EEEENS0_6memory8policies11unroll_baseILi256ESt5arrayIPcLm3EE23TrivialOffsetCalculatorILi2EjESF_ILi1EjENS9_15LoadWithoutCastENS9_16StoreWithoutCastELi16ELi1EEEEEvT0_T1_
	.type	_ZN2at6native25elementwise_kernel_helperILb0ENS0_13BinaryFunctorIN3c1013Float8_e4m3fnES4_bNS0_12_GLOBAL__N_116CompareEqFunctorIS4_EEEENS0_6memory8policies11unroll_baseILi256ESt5arrayIPcLm3EE23TrivialOffsetCalculatorILi2EjESF_ILi1EjENS9_15LoadWithoutCastENS9_16StoreWithoutCastELi16ELi1EEEEEvT0_T1_,@function
_ZN2at6native25elementwise_kernel_helperILb0ENS0_13BinaryFunctorIN3c1013Float8_e4m3fnES4_bNS0_12_GLOBAL__N_116CompareEqFunctorIS4_EEEENS0_6memory8policies11unroll_baseILi256ESt5arrayIPcLm3EE23TrivialOffsetCalculatorILi2EjESF_ILi1EjENS9_15LoadWithoutCastENS9_16StoreWithoutCastELi16ELi1EEEEEvT0_T1_: ; @_ZN2at6native25elementwise_kernel_helperILb0ENS0_13BinaryFunctorIN3c1013Float8_e4m3fnES4_bNS0_12_GLOBAL__N_116CompareEqFunctorIS4_EEEENS0_6memory8policies11unroll_baseILi256ESt5arrayIPcLm3EE23TrivialOffsetCalculatorILi2EjESF_ILi1EjENS9_15LoadWithoutCastENS9_16StoreWithoutCastELi16ELi1EEEEEvT0_T1_
; %bb.0:
	s_wait_loadcnt_dscnt 0x0
	s_wait_kmcnt 0x0
	s_bfe_u32 s0, ttmp6, 0x4000c
	s_and_b32 s1, ttmp6, 15
	s_add_co_i32 s0, s0, 1
	s_getreg_b32 s2, hwreg(HW_REG_IB_STS2, 6, 4)
	s_mul_i32 s0, ttmp9, s0
	v_dual_mov_b32 v17, v6 :: v_dual_mov_b32 v16, v5
	s_add_co_i32 s1, s1, s0
	s_cmp_eq_u32 s2, 0
	v_and_b32_e32 v6, 0x3ff, v31
	v_mov_b32_e32 v14, 0
	s_cselect_b32 s0, ttmp9, s1
	v_dual_mov_b32 v19, v4 :: v_dual_mov_b32 v18, v3
	s_lshl_b32 s2, s0, 12
	v_dual_mov_b32 v9, v2 :: v_dual_mov_b32 v8, v1
	v_cmp_lt_i32_e32 vcc_lo, v6, v7
	v_dual_mov_b32 v2, 0 :: v_dual_bitop2_b32 v10, s2, v6 bitop3:0x54
	v_mov_b32_e32 v12, 0
	v_dual_mov_b32 v5, 0 :: v_dual_add_nc_u32 v24, 0x100, v6
	v_dual_mov_b32 v13, 0 :: v_dual_mov_b32 v26, 0
	v_dual_mov_b32 v25, 0 :: v_dual_mov_b32 v28, 0
	;; [unrolled: 1-line block ×14, first 2 shown]
	v_mov_b32_e32 v65, 0
	s_and_saveexec_b32 s1, vcc_lo
	s_cbranch_execz .LBB266_32
; %bb.1:
	v_mov_b32_e32 v11, 0
	s_delay_alu instid0(VALU_DEP_1) | instskip(SKIP_2) | instid1(VALU_DEP_3)
	v_dual_mov_b32 v64, v11 :: v_dual_add_nc_u32 v1, 0x100, v6
	v_add_nc_u64_e32 v[4:5], v[18:19], v[10:11]
	v_add_nc_u64_e32 v[12:13], v[16:17], v[10:11]
	v_cmp_lt_u32_e64 s0, v1, v7
	v_dual_mov_b32 v15, v11 :: v_dual_mov_b32 v55, v11
	v_dual_mov_b32 v53, v11 :: v_dual_mov_b32 v54, v11
	flat_load_u8 v66, v[4:5]
	flat_load_u8 v65, v[12:13]
	v_dual_mov_b32 v51, v11 :: v_dual_mov_b32 v52, v11
	v_dual_mov_b32 v49, v11 :: v_dual_mov_b32 v50, v11
	;; [unrolled: 1-line block ×10, first 2 shown]
	s_wait_xcnt 0x0
	v_dual_mov_b32 v13, v11 :: v_dual_mov_b32 v14, v11
	v_dual_mov_b32 v5, v11 :: v_dual_mov_b32 v12, v11
	s_and_saveexec_b32 s3, s0
	s_cbranch_execz .LBB266_31
; %bb.2:
	v_dual_mov_b32 v15, 0 :: v_dual_add_nc_u32 v14, s2, v6
	s_delay_alu instid0(VALU_DEP_1) | instskip(NEXT) | instid1(VALU_DEP_2)
	v_dual_mov_b32 v54, v15 :: v_dual_add_nc_u32 v1, 0x200, v6
	v_add_nc_u64_e32 v[20:21], v[18:19], v[14:15]
	v_add_nc_u64_e32 v[22:23], v[16:17], v[14:15]
	s_delay_alu instid0(VALU_DEP_3)
	v_cmp_lt_u32_e64 s0, v1, v7
	v_dual_mov_b32 v55, v15 :: v_dual_mov_b32 v53, v15
	flat_load_u8 v64, v[20:21] offset:256
	flat_load_u8 v11, v[22:23] offset:256
	v_dual_mov_b32 v51, v15 :: v_dual_mov_b32 v52, v15
	v_dual_mov_b32 v49, v15 :: v_dual_mov_b32 v50, v15
	;; [unrolled: 1-line block ×12, first 2 shown]
	s_wait_xcnt 0x0
	s_and_saveexec_b32 s4, s0
	s_cbranch_execz .LBB266_30
; %bb.3:
	flat_load_u8 v55, v[20:21] offset:512
	flat_load_u8 v15, v[22:23] offset:512
	v_dual_mov_b32 v54, 0 :: v_dual_add_nc_u32 v1, 0x300, v6
	v_dual_mov_b32 v5, 0 :: v_dual_mov_b32 v53, 0
	v_dual_mov_b32 v51, 0 :: v_dual_mov_b32 v52, 0
	s_delay_alu instid0(VALU_DEP_3)
	v_cmp_lt_u32_e64 s0, v1, v7
	v_dual_mov_b32 v49, 0 :: v_dual_mov_b32 v50, 0
	v_dual_mov_b32 v39, 0 :: v_dual_mov_b32 v48, 0
	v_dual_mov_b32 v37, 0 :: v_dual_mov_b32 v38, 0
	v_dual_mov_b32 v35, 0 :: v_dual_mov_b32 v36, 0
	v_dual_mov_b32 v33, 0 :: v_dual_mov_b32 v34, 0
	v_dual_mov_b32 v31, 0 :: v_dual_mov_b32 v32, 0
	v_dual_mov_b32 v29, 0 :: v_dual_mov_b32 v30, 0
	v_dual_mov_b32 v27, 0 :: v_dual_mov_b32 v28, 0
	v_dual_mov_b32 v25, 0 :: v_dual_mov_b32 v26, 0
	v_dual_mov_b32 v13, 0 :: v_dual_mov_b32 v14, 0
	v_mov_b32_e32 v12, 0
	s_wait_xcnt 0x0
	s_and_saveexec_b32 s5, s0
	s_cbranch_execz .LBB266_29
; %bb.4:
	flat_load_u8 v54, v[20:21] offset:768
	flat_load_u8 v53, v[22:23] offset:768
	v_or_b32_e32 v1, 0x400, v6
	v_dual_mov_b32 v5, 0 :: v_dual_mov_b32 v51, 0
	v_dual_mov_b32 v52, 0 :: v_dual_mov_b32 v49, 0
	s_delay_alu instid0(VALU_DEP_3)
	v_cmp_lt_u32_e64 s0, v1, v7
	v_dual_mov_b32 v50, 0 :: v_dual_mov_b32 v39, 0
	v_dual_mov_b32 v48, 0 :: v_dual_mov_b32 v37, 0
	;; [unrolled: 1-line block ×10, first 2 shown]
	s_wait_xcnt 0x0
	s_and_saveexec_b32 s6, s0
	s_cbranch_execz .LBB266_28
; %bb.5:
	flat_load_u8 v52, v[20:21] offset:1024
	flat_load_u8 v51, v[22:23] offset:1024
	v_dual_mov_b32 v50, 0 :: v_dual_add_nc_u32 v1, 0x500, v6
	v_dual_mov_b32 v5, 0 :: v_dual_mov_b32 v49, 0
	v_dual_mov_b32 v39, 0 :: v_dual_mov_b32 v48, 0
	s_delay_alu instid0(VALU_DEP_3)
	v_cmp_lt_u32_e64 s0, v1, v7
	v_dual_mov_b32 v37, 0 :: v_dual_mov_b32 v38, 0
	v_dual_mov_b32 v35, 0 :: v_dual_mov_b32 v36, 0
	;; [unrolled: 1-line block ×8, first 2 shown]
	v_mov_b32_e32 v12, 0
	s_wait_xcnt 0x0
	s_and_saveexec_b32 s7, s0
	s_cbranch_execz .LBB266_27
; %bb.6:
	flat_load_u8 v50, v[20:21] offset:1280
	flat_load_u8 v49, v[22:23] offset:1280
	v_dual_mov_b32 v48, 0 :: v_dual_add_nc_u32 v1, 0x600, v6
	v_dual_mov_b32 v5, 0 :: v_dual_mov_b32 v39, 0
	v_dual_mov_b32 v37, 0 :: v_dual_mov_b32 v38, 0
	s_delay_alu instid0(VALU_DEP_3)
	v_cmp_lt_u32_e64 s0, v1, v7
	v_dual_mov_b32 v35, 0 :: v_dual_mov_b32 v36, 0
	v_dual_mov_b32 v33, 0 :: v_dual_mov_b32 v34, 0
	v_dual_mov_b32 v31, 0 :: v_dual_mov_b32 v32, 0
	v_dual_mov_b32 v29, 0 :: v_dual_mov_b32 v30, 0
	v_dual_mov_b32 v27, 0 :: v_dual_mov_b32 v28, 0
	v_dual_mov_b32 v25, 0 :: v_dual_mov_b32 v26, 0
	v_dual_mov_b32 v13, 0 :: v_dual_mov_b32 v14, 0
	v_mov_b32_e32 v12, 0
	s_wait_xcnt 0x0
	s_and_saveexec_b32 s8, s0
	s_cbranch_execz .LBB266_26
; %bb.7:
	flat_load_u8 v48, v[20:21] offset:1536
	flat_load_u8 v39, v[22:23] offset:1536
	v_dual_mov_b32 v38, 0 :: v_dual_add_nc_u32 v1, 0x700, v6
	v_dual_mov_b32 v5, 0 :: v_dual_mov_b32 v37, 0
	v_dual_mov_b32 v35, 0 :: v_dual_mov_b32 v36, 0
	;; [unrolled: 1-line block ×8, first 2 shown]
	v_mov_b32_e32 v12, 0
	s_mov_b32 s9, exec_lo
	s_wait_xcnt 0x0
	v_cmpx_lt_u32_e64 v1, v7
	s_cbranch_execz .LBB266_25
; %bb.8:
	flat_load_u8 v38, v[20:21] offset:1792
	flat_load_u8 v37, v[22:23] offset:1792
	v_or_b32_e32 v1, 0x800, v6
	v_dual_mov_b32 v5, 0 :: v_dual_mov_b32 v35, 0
	v_dual_mov_b32 v36, 0 :: v_dual_mov_b32 v33, 0
	;; [unrolled: 1-line block ×8, first 2 shown]
	s_mov_b32 s10, exec_lo
	s_wait_xcnt 0x0
	v_cmpx_lt_u32_e64 v1, v7
	s_cbranch_execz .LBB266_24
; %bb.9:
	flat_load_u8 v36, v[20:21] offset:2048
	flat_load_u8 v35, v[22:23] offset:2048
	v_dual_mov_b32 v34, 0 :: v_dual_add_nc_u32 v1, 0x900, v6
	v_dual_mov_b32 v5, 0 :: v_dual_mov_b32 v33, 0
	v_dual_mov_b32 v31, 0 :: v_dual_mov_b32 v32, 0
	v_dual_mov_b32 v29, 0 :: v_dual_mov_b32 v30, 0
	v_dual_mov_b32 v27, 0 :: v_dual_mov_b32 v28, 0
	v_dual_mov_b32 v25, 0 :: v_dual_mov_b32 v26, 0
	v_dual_mov_b32 v13, 0 :: v_dual_mov_b32 v14, 0
	v_mov_b32_e32 v12, 0
	s_mov_b32 s11, exec_lo
	s_wait_xcnt 0x0
	v_cmpx_lt_u32_e64 v1, v7
	s_cbranch_execz .LBB266_23
; %bb.10:
	flat_load_u8 v34, v[20:21] offset:2304
	flat_load_u8 v33, v[22:23] offset:2304
	v_dual_mov_b32 v32, 0 :: v_dual_add_nc_u32 v1, 0xa00, v6
	v_dual_mov_b32 v5, 0 :: v_dual_mov_b32 v31, 0
	v_dual_mov_b32 v29, 0 :: v_dual_mov_b32 v30, 0
	;; [unrolled: 1-line block ×5, first 2 shown]
	v_mov_b32_e32 v12, 0
	s_mov_b32 s12, exec_lo
	s_wait_xcnt 0x0
	v_cmpx_lt_u32_e64 v1, v7
	s_cbranch_execz .LBB266_22
; %bb.11:
	flat_load_u8 v32, v[20:21] offset:2560
	flat_load_u8 v31, v[22:23] offset:2560
	v_dual_mov_b32 v30, 0 :: v_dual_add_nc_u32 v1, 0xb00, v6
	v_dual_mov_b32 v5, 0 :: v_dual_mov_b32 v29, 0
	v_dual_mov_b32 v27, 0 :: v_dual_mov_b32 v28, 0
	;; [unrolled: 1-line block ×4, first 2 shown]
	v_mov_b32_e32 v12, 0
	s_mov_b32 s13, exec_lo
	s_wait_xcnt 0x0
	v_cmpx_lt_u32_e64 v1, v7
	s_cbranch_execz .LBB266_21
; %bb.12:
	flat_load_u8 v30, v[20:21] offset:2816
	flat_load_u8 v29, v[22:23] offset:2816
	v_or_b32_e32 v1, 0xc00, v6
	v_dual_mov_b32 v5, 0 :: v_dual_mov_b32 v27, 0
	v_dual_mov_b32 v28, 0 :: v_dual_mov_b32 v25, 0
	;; [unrolled: 1-line block ×4, first 2 shown]
	s_mov_b32 s14, exec_lo
	s_wait_xcnt 0x0
	v_cmpx_lt_u32_e64 v1, v7
	s_cbranch_execz .LBB266_20
; %bb.13:
	flat_load_u8 v28, v[20:21] offset:3072
	flat_load_u8 v27, v[22:23] offset:3072
	v_dual_mov_b32 v26, 0 :: v_dual_add_nc_u32 v1, 0xd00, v6
	v_dual_mov_b32 v5, 0 :: v_dual_mov_b32 v25, 0
	v_dual_mov_b32 v13, 0 :: v_dual_mov_b32 v14, 0
	v_mov_b32_e32 v12, 0
	s_mov_b32 s15, exec_lo
	s_wait_xcnt 0x0
	v_cmpx_lt_u32_e64 v1, v7
	s_cbranch_execz .LBB266_19
; %bb.14:
	v_dual_mov_b32 v13, 0 :: v_dual_add_nc_u32 v12, s2, v1
	v_add_nc_u32_e32 v1, 0xe00, v6
	s_mov_b32 s16, exec_lo
	s_delay_alu instid0(VALU_DEP_2)
	v_add_nc_u64_e32 v[4:5], v[18:19], v[12:13]
	v_add_nc_u64_e32 v[20:21], v[16:17], v[12:13]
	v_mov_b32_e32 v14, v13
	flat_load_u8 v26, v[4:5]
	flat_load_u8 v25, v[20:21]
	s_wait_xcnt 0x1
	v_dual_mov_b32 v5, v13 :: v_dual_mov_b32 v12, v13
	s_wait_xcnt 0x0
	v_cmpx_lt_u32_e64 v1, v7
	s_cbranch_execz .LBB266_18
; %bb.15:
	v_dual_mov_b32 v5, 0 :: v_dual_add_nc_u32 v4, s2, v1
	v_add_nc_u32_e32 v1, 0xf00, v6
	s_mov_b32 s17, exec_lo
	s_delay_alu instid0(VALU_DEP_2)
	v_add_nc_u64_e32 v[20:21], v[18:19], v[4:5]
	v_add_nc_u64_e32 v[22:23], v[16:17], v[4:5]
	v_mov_b32_e32 v12, v5
	flat_load_u8 v14, v[20:21]
	flat_load_u8 v13, v[22:23]
	s_wait_xcnt 0x0
	v_cmpx_lt_u32_e64 v1, v7
	s_cbranch_execz .LBB266_17
; %bb.16:
	v_dual_mov_b32 v5, 0 :: v_dual_add_nc_u32 v4, s2, v1
	s_delay_alu instid0(VALU_DEP_1)
	v_add_nc_u64_e32 v[18:19], v[18:19], v[4:5]
	v_add_nc_u64_e32 v[4:5], v[16:17], v[4:5]
	flat_load_u8 v1, v[18:19]
	flat_load_u8 v3, v[4:5]
	s_wait_loadcnt_dscnt 0x0
	v_dual_lshlrev_b32 v12, 24, v1 :: v_dual_lshlrev_b32 v5, 24, v3
.LBB266_17:
	s_or_b32 exec_lo, exec_lo, s17
.LBB266_18:
	s_delay_alu instid0(SALU_CYCLE_1)
	s_or_b32 exec_lo, exec_lo, s16
.LBB266_19:
	s_delay_alu instid0(SALU_CYCLE_1)
	s_or_b32 exec_lo, exec_lo, s15
.LBB266_20:
	s_delay_alu instid0(SALU_CYCLE_1)
	s_or_b32 exec_lo, exec_lo, s14
.LBB266_21:
	s_delay_alu instid0(SALU_CYCLE_1)
	s_or_b32 exec_lo, exec_lo, s13
.LBB266_22:
	s_delay_alu instid0(SALU_CYCLE_1)
	s_or_b32 exec_lo, exec_lo, s12
.LBB266_23:
	s_delay_alu instid0(SALU_CYCLE_1)
	s_or_b32 exec_lo, exec_lo, s11
.LBB266_24:
	s_delay_alu instid0(SALU_CYCLE_1)
	s_or_b32 exec_lo, exec_lo, s10
.LBB266_25:
	s_delay_alu instid0(SALU_CYCLE_1)
	s_or_b32 exec_lo, exec_lo, s9
.LBB266_26:
	s_delay_alu instid0(SALU_CYCLE_1)
	s_or_b32 exec_lo, exec_lo, s8
.LBB266_27:
	s_delay_alu instid0(SALU_CYCLE_1)
	s_or_b32 exec_lo, exec_lo, s7
.LBB266_28:
	s_delay_alu instid0(SALU_CYCLE_1)
	s_or_b32 exec_lo, exec_lo, s6
.LBB266_29:
	s_delay_alu instid0(SALU_CYCLE_1)
	s_or_b32 exec_lo, exec_lo, s5
.LBB266_30:
	s_delay_alu instid0(SALU_CYCLE_1)
	s_or_b32 exec_lo, exec_lo, s4
.LBB266_31:
	s_delay_alu instid0(SALU_CYCLE_1)
	s_or_b32 exec_lo, exec_lo, s3
.LBB266_32:
	s_delay_alu instid0(SALU_CYCLE_1)
	s_or_b32 exec_lo, exec_lo, s1
	v_cmp_eq_u32_e64 s0, 0, v0
	v_dual_mov_b32 v1, v2 :: v_dual_mov_b32 v4, v2
	v_mov_b32_e32 v3, v2
	s_and_saveexec_b32 s3, vcc_lo
	s_cbranch_execz .LBB266_34
; %bb.33:
	s_wait_loadcnt_dscnt 0x0
	v_dual_lshlrev_b32 v0, 24, v66 :: v_dual_lshlrev_b32 v1, 24, v65
	s_delay_alu instid0(VALU_DEP_1) | instskip(NEXT) | instid1(VALU_DEP_2)
	v_and_b32_e32 v2, 0x7f000000, v0
	v_and_b32_e32 v3, 0x7f000000, v1
	s_delay_alu instid0(VALU_DEP_2) | instskip(NEXT) | instid1(VALU_DEP_2)
	v_clz_i32_u32_e32 v4, v2
	v_clz_i32_u32_e32 v16, v3
	v_add_nc_u32_e32 v19, 0x1000000, v2
	v_cmp_ne_u32_e64 s1, 0, v2
	s_delay_alu instid0(VALU_DEP_4) | instskip(NEXT) | instid1(VALU_DEP_4)
	v_min_u32_e32 v4, 32, v4
	v_min_u32_e32 v16, 32, v16
	s_delay_alu instid0(VALU_DEP_2) | instskip(NEXT) | instid1(VALU_DEP_2)
	v_sub_nc_u32_e64 v4, v4, 4 clamp
	v_sub_nc_u32_e64 v16, v16, 4 clamp
	s_delay_alu instid0(VALU_DEP_2) | instskip(NEXT) | instid1(VALU_DEP_1)
	v_dual_lshlrev_b32 v17, v4, v2 :: v_dual_lshlrev_b32 v4, 23, v4
	v_dual_lshlrev_b32 v18, v16, v3 :: v_dual_lshrrev_b32 v17, 4, v17
	s_delay_alu instid0(VALU_DEP_1) | instskip(NEXT) | instid1(VALU_DEP_2)
	v_dual_lshlrev_b32 v16, 23, v16 :: v_dual_lshrrev_b32 v18, 4, v18
	v_sub_nc_u32_e32 v4, v17, v4
	v_add_nc_u32_e32 v17, 0x1000000, v3
	s_delay_alu instid0(VALU_DEP_3) | instskip(NEXT) | instid1(VALU_DEP_3)
	v_dual_sub_nc_u32 v16, v18, v16 :: v_dual_ashrrev_i32 v18, 8, v19
	v_add_nc_u32_e32 v4, 0x3c000000, v4
	s_delay_alu instid0(VALU_DEP_3) | instskip(NEXT) | instid1(VALU_DEP_3)
	v_ashrrev_i32_e32 v17, 8, v17
	v_add_nc_u32_e32 v16, 0x3c000000, v16
	s_delay_alu instid0(VALU_DEP_3) | instskip(NEXT) | instid1(VALU_DEP_2)
	v_and_or_b32 v4, 0x7f800000, v18, v4
	v_and_or_b32 v16, 0x7f800000, v17, v16
	s_delay_alu instid0(VALU_DEP_2) | instskip(SKIP_1) | instid1(VALU_DEP_2)
	v_cndmask_b32_e64 v2, 0, v4, s1
	v_cmp_ne_u32_e64 s1, 0, v3
	v_and_or_b32 v0, 0x80000000, v0, v2
	s_delay_alu instid0(VALU_DEP_2) | instskip(NEXT) | instid1(VALU_DEP_1)
	v_cndmask_b32_e64 v3, 0, v16, s1
	v_and_or_b32 v1, 0x80000000, v1, v3
	s_delay_alu instid0(VALU_DEP_1) | instskip(NEXT) | instid1(VALU_DEP_1)
	v_cmp_eq_f32_e64 s1, v0, v1
	v_cndmask_b32_e64 v2, 0, 1, s1
	v_cmp_neq_f32_e64 s1, v0, v1
	v_mov_b32_e32 v1, 0
	s_delay_alu instid0(VALU_DEP_2) | instskip(NEXT) | instid1(VALU_DEP_2)
	v_cndmask_b32_e64 v0, 0, 1, s1
	v_dual_mov_b32 v4, v1 :: v_dual_mov_b32 v3, v1
	s_delay_alu instid0(VALU_DEP_2) | instskip(NEXT) | instid1(VALU_DEP_1)
	v_cndmask_b32_e64 v0, v0, v2, s0
	v_and_b32_e32 v0, 1, v0
	s_delay_alu instid0(VALU_DEP_1)
	v_and_b32_e32 v2, 0xffff, v0
.LBB266_34:
	s_or_b32 exec_lo, exec_lo, s3
	s_delay_alu instid0(SALU_CYCLE_1)
	s_mov_b32 s3, exec_lo
	v_cmpx_lt_i32_e64 v24, v7
	s_cbranch_execz .LBB266_36
; %bb.35:
	s_wait_loadcnt_dscnt 0x0
	v_dual_lshlrev_b32 v0, 24, v64 :: v_dual_lshlrev_b32 v11, 24, v11
	s_delay_alu instid0(VALU_DEP_1) | instskip(NEXT) | instid1(VALU_DEP_2)
	v_and_b32_e32 v16, 0x7f000000, v0
	v_and_b32_e32 v17, 0x7f000000, v11
	s_delay_alu instid0(VALU_DEP_2) | instskip(NEXT) | instid1(VALU_DEP_2)
	v_clz_i32_u32_e32 v18, v16
	v_clz_i32_u32_e32 v19, v17
	v_add_nc_u32_e32 v22, 0x1000000, v16
	v_cmp_ne_u32_e64 s1, 0, v16
	s_delay_alu instid0(VALU_DEP_4) | instskip(NEXT) | instid1(VALU_DEP_4)
	v_min_u32_e32 v18, 32, v18
	v_min_u32_e32 v19, 32, v19
	s_delay_alu instid0(VALU_DEP_2) | instskip(NEXT) | instid1(VALU_DEP_2)
	v_sub_nc_u32_e64 v18, v18, 4 clamp
	v_sub_nc_u32_e64 v19, v19, 4 clamp
	s_delay_alu instid0(VALU_DEP_1) | instskip(SKIP_1) | instid1(VALU_DEP_2)
	v_dual_lshlrev_b32 v20, v18, v16 :: v_dual_lshlrev_b32 v21, v19, v17
	v_dual_lshlrev_b32 v18, 23, v18 :: v_dual_lshlrev_b32 v19, 23, v19
	v_dual_lshrrev_b32 v20, 4, v20 :: v_dual_lshrrev_b32 v21, 4, v21
	s_delay_alu instid0(VALU_DEP_1) | instskip(SKIP_2) | instid1(VALU_DEP_3)
	v_dual_sub_nc_u32 v18, v20, v18 :: v_dual_sub_nc_u32 v19, v21, v19
	v_add_nc_u32_e32 v20, 0x1000000, v17
	v_ashrrev_i32_e32 v21, 8, v22
	v_add_nc_u32_e32 v18, 0x3c000000, v18
	s_delay_alu instid0(VALU_DEP_4) | instskip(NEXT) | instid1(VALU_DEP_4)
	v_add_nc_u32_e32 v19, 0x3c000000, v19
	v_ashrrev_i32_e32 v20, 8, v20
	s_delay_alu instid0(VALU_DEP_3) | instskip(NEXT) | instid1(VALU_DEP_2)
	v_and_or_b32 v18, 0x7f800000, v21, v18
	v_and_or_b32 v19, 0x7f800000, v20, v19
	s_delay_alu instid0(VALU_DEP_2) | instskip(SKIP_1) | instid1(VALU_DEP_1)
	v_cndmask_b32_e64 v16, 0, v18, s1
	v_cmp_ne_u32_e64 s1, 0, v17
	v_cndmask_b32_e64 v17, 0, v19, s1
	s_delay_alu instid0(VALU_DEP_3) | instskip(NEXT) | instid1(VALU_DEP_2)
	v_and_or_b32 v0, 0x80000000, v0, v16
	v_and_or_b32 v11, 0x80000000, v11, v17
	s_delay_alu instid0(VALU_DEP_1) | instskip(NEXT) | instid1(VALU_DEP_1)
	v_cmp_eq_f32_e64 s1, v0, v11
	v_cndmask_b32_e64 v16, 0, 1, s1
	v_cmp_neq_f32_e64 s1, v0, v11
	s_delay_alu instid0(VALU_DEP_1) | instskip(NEXT) | instid1(VALU_DEP_1)
	v_cndmask_b32_e64 v0, 0, 1, s1
	v_cndmask_b32_e64 v0, v0, v16, s0
	s_delay_alu instid0(VALU_DEP_1) | instskip(NEXT) | instid1(VALU_DEP_1)
	v_and_b32_e32 v0, 1, v0
	v_lshlrev_b16 v0, 8, v0
	s_delay_alu instid0(VALU_DEP_1) | instskip(NEXT) | instid1(VALU_DEP_1)
	v_bitop3_b16 v0, v2, v0, 0xff bitop3:0xec
	v_and_b32_e32 v0, 0xffff, v0
	s_delay_alu instid0(VALU_DEP_1)
	v_and_or_b32 v2, 0xffff0000, v2, v0
.LBB266_36:
	s_or_b32 exec_lo, exec_lo, s3
	v_add_nc_u32_e32 v0, 0x200, v6
	s_mov_b32 s3, exec_lo
	s_delay_alu instid0(VALU_DEP_1)
	v_cmpx_lt_i32_e64 v0, v7
	s_cbranch_execz .LBB266_38
; %bb.37:
	s_wait_loadcnt_dscnt 0x0
	v_lshlrev_b32_e32 v11, 24, v15
	s_delay_alu instid0(VALU_DEP_1) | instskip(NEXT) | instid1(VALU_DEP_1)
	v_and_b32_e32 v16, 0x7f000000, v11
	v_clz_i32_u32_e32 v18, v16
	s_delay_alu instid0(VALU_DEP_1) | instskip(NEXT) | instid1(VALU_DEP_1)
	v_min_u32_e32 v18, 32, v18
	v_sub_nc_u32_e64 v18, v18, 4 clamp
	s_delay_alu instid0(VALU_DEP_1) | instskip(NEXT) | instid1(VALU_DEP_1)
	v_dual_lshlrev_b32 v0, 24, v55 :: v_dual_lshlrev_b32 v20, v18, v16
	v_and_b32_e32 v15, 0x7f000000, v0
	s_delay_alu instid0(VALU_DEP_2) | instskip(NEXT) | instid1(VALU_DEP_2)
	v_dual_lshlrev_b32 v18, 23, v18 :: v_dual_lshrrev_b32 v20, 4, v20
	v_clz_i32_u32_e32 v17, v15
	v_add_nc_u32_e32 v21, 0x1000000, v15
	v_cmp_ne_u32_e64 s1, 0, v15
	s_delay_alu instid0(VALU_DEP_4) | instskip(NEXT) | instid1(VALU_DEP_4)
	v_sub_nc_u32_e32 v18, v20, v18
	v_min_u32_e32 v17, 32, v17
	s_delay_alu instid0(VALU_DEP_2) | instskip(NEXT) | instid1(VALU_DEP_2)
	v_add_nc_u32_e32 v18, 0x3c000000, v18
	v_sub_nc_u32_e64 v17, v17, 4 clamp
	s_delay_alu instid0(VALU_DEP_1) | instskip(NEXT) | instid1(VALU_DEP_1)
	v_dual_lshlrev_b32 v19, v17, v15 :: v_dual_lshlrev_b32 v17, 23, v17
	v_lshrrev_b32_e32 v19, 4, v19
	s_delay_alu instid0(VALU_DEP_1) | instskip(SKIP_2) | instid1(VALU_DEP_3)
	v_sub_nc_u32_e32 v17, v19, v17
	v_add_nc_u32_e32 v19, 0x1000000, v16
	v_ashrrev_i32_e32 v20, 8, v21
	v_add_nc_u32_e32 v17, 0x3c000000, v17
	s_delay_alu instid0(VALU_DEP_3) | instskip(NEXT) | instid1(VALU_DEP_2)
	v_ashrrev_i32_e32 v19, 8, v19
	v_and_or_b32 v17, 0x7f800000, v20, v17
	s_delay_alu instid0(VALU_DEP_2) | instskip(NEXT) | instid1(VALU_DEP_2)
	v_and_or_b32 v18, 0x7f800000, v19, v18
	v_cndmask_b32_e64 v15, 0, v17, s1
	v_cmp_ne_u32_e64 s1, 0, v16
	s_delay_alu instid0(VALU_DEP_1) | instskip(NEXT) | instid1(VALU_DEP_3)
	v_cndmask_b32_e64 v16, 0, v18, s1
	v_and_or_b32 v0, 0x80000000, v0, v15
	s_delay_alu instid0(VALU_DEP_2) | instskip(NEXT) | instid1(VALU_DEP_1)
	v_and_or_b32 v11, 0x80000000, v11, v16
	v_cmp_eq_f32_e64 s1, v0, v11
	s_delay_alu instid0(VALU_DEP_1) | instskip(SKIP_1) | instid1(VALU_DEP_1)
	v_cndmask_b32_e64 v16, 0, 1, s1
	v_cmp_neq_f32_e64 s1, v0, v11
	v_cndmask_b32_e64 v0, 0, 1, s1
	s_delay_alu instid0(VALU_DEP_1) | instskip(NEXT) | instid1(VALU_DEP_1)
	v_dual_lshrrev_b32 v15, 16, v2 :: v_dual_cndmask_b32 v0, v0, v16, s0
	v_and_b32_e32 v11, 0xffffff00, v15
	s_delay_alu instid0(VALU_DEP_1) | instskip(NEXT) | instid1(VALU_DEP_1)
	v_bitop3_b16 v0, v0, v11, 1 bitop3:0xec
	v_lshlrev_b32_e32 v0, 16, v0
	s_delay_alu instid0(VALU_DEP_1)
	v_and_or_b32 v2, 0xffff, v2, v0
.LBB266_38:
	s_or_b32 exec_lo, exec_lo, s3
	v_add_nc_u32_e32 v0, 0x300, v6
	s_mov_b32 s3, exec_lo
	s_delay_alu instid0(VALU_DEP_1)
	v_cmpx_lt_i32_e64 v0, v7
	s_cbranch_execz .LBB266_40
; %bb.39:
	s_wait_loadcnt_dscnt 0x0
	v_dual_lshlrev_b32 v0, 24, v54 :: v_dual_lshlrev_b32 v11, 24, v53
	s_delay_alu instid0(VALU_DEP_1) | instskip(NEXT) | instid1(VALU_DEP_2)
	v_and_b32_e32 v15, 0x7f000000, v0
	v_and_b32_e32 v16, 0x7f000000, v11
	s_delay_alu instid0(VALU_DEP_2) | instskip(NEXT) | instid1(VALU_DEP_2)
	v_clz_i32_u32_e32 v17, v15
	v_clz_i32_u32_e32 v18, v16
	v_add_nc_u32_e32 v21, 0x1000000, v15
	v_cmp_ne_u32_e64 s1, 0, v15
	s_delay_alu instid0(VALU_DEP_4) | instskip(NEXT) | instid1(VALU_DEP_4)
	v_min_u32_e32 v17, 32, v17
	v_min_u32_e32 v18, 32, v18
	s_delay_alu instid0(VALU_DEP_2) | instskip(NEXT) | instid1(VALU_DEP_2)
	v_sub_nc_u32_e64 v17, v17, 4 clamp
	v_sub_nc_u32_e64 v18, v18, 4 clamp
	s_delay_alu instid0(VALU_DEP_1) | instskip(SKIP_1) | instid1(VALU_DEP_2)
	v_dual_lshlrev_b32 v19, v17, v15 :: v_dual_lshlrev_b32 v20, v18, v16
	v_dual_lshlrev_b32 v17, 23, v17 :: v_dual_lshlrev_b32 v18, 23, v18
	v_dual_lshrrev_b32 v19, 4, v19 :: v_dual_lshrrev_b32 v20, 4, v20
	s_delay_alu instid0(VALU_DEP_1) | instskip(SKIP_2) | instid1(VALU_DEP_3)
	v_dual_sub_nc_u32 v17, v19, v17 :: v_dual_sub_nc_u32 v18, v20, v18
	v_add_nc_u32_e32 v19, 0x1000000, v16
	v_ashrrev_i32_e32 v20, 8, v21
	v_add_nc_u32_e32 v17, 0x3c000000, v17
	s_delay_alu instid0(VALU_DEP_4) | instskip(NEXT) | instid1(VALU_DEP_4)
	v_add_nc_u32_e32 v18, 0x3c000000, v18
	v_ashrrev_i32_e32 v19, 8, v19
	s_delay_alu instid0(VALU_DEP_3) | instskip(NEXT) | instid1(VALU_DEP_2)
	v_and_or_b32 v17, 0x7f800000, v20, v17
	v_and_or_b32 v18, 0x7f800000, v19, v18
	s_delay_alu instid0(VALU_DEP_2) | instskip(SKIP_1) | instid1(VALU_DEP_1)
	v_cndmask_b32_e64 v15, 0, v17, s1
	v_cmp_ne_u32_e64 s1, 0, v16
	v_cndmask_b32_e64 v16, 0, v18, s1
	s_delay_alu instid0(VALU_DEP_3) | instskip(NEXT) | instid1(VALU_DEP_2)
	v_and_or_b32 v0, 0x80000000, v0, v15
	v_and_or_b32 v11, 0x80000000, v11, v16
	s_delay_alu instid0(VALU_DEP_1) | instskip(NEXT) | instid1(VALU_DEP_1)
	v_cmp_eq_f32_e64 s1, v0, v11
	v_cndmask_b32_e64 v15, 0, 1, s1
	v_cmp_neq_f32_e64 s1, v0, v11
	v_lshrrev_b32_e32 v11, 16, v2
	s_delay_alu instid0(VALU_DEP_2) | instskip(NEXT) | instid1(VALU_DEP_1)
	v_cndmask_b32_e64 v0, 0, 1, s1
	v_cndmask_b32_e64 v0, v0, v15, s0
	s_delay_alu instid0(VALU_DEP_1) | instskip(NEXT) | instid1(VALU_DEP_1)
	v_and_b32_e32 v0, 1, v0
	v_lshlrev_b16 v0, 8, v0
	s_delay_alu instid0(VALU_DEP_1) | instskip(NEXT) | instid1(VALU_DEP_1)
	v_bitop3_b16 v0, v11, v0, 0xff bitop3:0xec
	v_lshlrev_b32_e32 v0, 16, v0
	s_delay_alu instid0(VALU_DEP_1)
	v_and_or_b32 v2, 0xffff, v2, v0
.LBB266_40:
	s_or_b32 exec_lo, exec_lo, s3
	v_or_b32_e32 v0, 0x400, v6
	s_mov_b32 s3, exec_lo
	s_delay_alu instid0(VALU_DEP_1)
	v_cmpx_lt_i32_e64 v0, v7
	s_cbranch_execz .LBB266_42
; %bb.41:
	s_wait_loadcnt_dscnt 0x0
	v_dual_lshlrev_b32 v0, 24, v52 :: v_dual_lshlrev_b32 v11, 24, v51
	s_delay_alu instid0(VALU_DEP_1) | instskip(NEXT) | instid1(VALU_DEP_2)
	v_and_b32_e32 v15, 0x7f000000, v0
	v_and_b32_e32 v16, 0x7f000000, v11
	s_delay_alu instid0(VALU_DEP_2) | instskip(NEXT) | instid1(VALU_DEP_2)
	v_clz_i32_u32_e32 v17, v15
	v_clz_i32_u32_e32 v18, v16
	v_add_nc_u32_e32 v21, 0x1000000, v15
	v_cmp_ne_u32_e64 s1, 0, v15
	s_delay_alu instid0(VALU_DEP_4) | instskip(NEXT) | instid1(VALU_DEP_4)
	v_min_u32_e32 v17, 32, v17
	v_min_u32_e32 v18, 32, v18
	s_delay_alu instid0(VALU_DEP_2) | instskip(NEXT) | instid1(VALU_DEP_2)
	v_sub_nc_u32_e64 v17, v17, 4 clamp
	v_sub_nc_u32_e64 v18, v18, 4 clamp
	s_delay_alu instid0(VALU_DEP_1) | instskip(SKIP_1) | instid1(VALU_DEP_2)
	v_dual_lshlrev_b32 v19, v17, v15 :: v_dual_lshlrev_b32 v20, v18, v16
	v_dual_lshlrev_b32 v17, 23, v17 :: v_dual_lshlrev_b32 v18, 23, v18
	v_dual_lshrrev_b32 v19, 4, v19 :: v_dual_lshrrev_b32 v20, 4, v20
	s_delay_alu instid0(VALU_DEP_1) | instskip(SKIP_2) | instid1(VALU_DEP_3)
	v_dual_sub_nc_u32 v17, v19, v17 :: v_dual_sub_nc_u32 v18, v20, v18
	v_add_nc_u32_e32 v19, 0x1000000, v16
	v_ashrrev_i32_e32 v20, 8, v21
	v_add_nc_u32_e32 v17, 0x3c000000, v17
	s_delay_alu instid0(VALU_DEP_4) | instskip(NEXT) | instid1(VALU_DEP_4)
	v_add_nc_u32_e32 v18, 0x3c000000, v18
	v_ashrrev_i32_e32 v19, 8, v19
	s_delay_alu instid0(VALU_DEP_3) | instskip(NEXT) | instid1(VALU_DEP_2)
	v_and_or_b32 v17, 0x7f800000, v20, v17
	v_and_or_b32 v18, 0x7f800000, v19, v18
	s_delay_alu instid0(VALU_DEP_2) | instskip(SKIP_1) | instid1(VALU_DEP_1)
	v_cndmask_b32_e64 v15, 0, v17, s1
	v_cmp_ne_u32_e64 s1, 0, v16
	v_cndmask_b32_e64 v16, 0, v18, s1
	s_delay_alu instid0(VALU_DEP_3) | instskip(NEXT) | instid1(VALU_DEP_2)
	v_and_or_b32 v0, 0x80000000, v0, v15
	v_and_or_b32 v11, 0x80000000, v11, v16
	s_delay_alu instid0(VALU_DEP_1) | instskip(NEXT) | instid1(VALU_DEP_1)
	v_cmp_eq_f32_e64 s1, v0, v11
	v_cndmask_b32_e64 v15, 0, 1, s1
	v_cmp_neq_f32_e64 s1, v0, v11
	v_and_b32_e32 v11, 0xffffff00, v1
	s_delay_alu instid0(VALU_DEP_2) | instskip(NEXT) | instid1(VALU_DEP_1)
	v_cndmask_b32_e64 v0, 0, 1, s1
	v_cndmask_b32_e64 v0, v0, v15, s0
	s_delay_alu instid0(VALU_DEP_1) | instskip(NEXT) | instid1(VALU_DEP_1)
	v_bitop3_b16 v0, v0, v11, 1 bitop3:0xec
	v_and_b32_e32 v0, 0xffff, v0
	s_delay_alu instid0(VALU_DEP_1)
	v_and_or_b32 v1, 0xffff0000, v1, v0
.LBB266_42:
	s_or_b32 exec_lo, exec_lo, s3
	v_add_nc_u32_e32 v0, 0x500, v6
	s_mov_b32 s3, exec_lo
	s_delay_alu instid0(VALU_DEP_1)
	v_cmpx_lt_i32_e64 v0, v7
	s_cbranch_execz .LBB266_44
; %bb.43:
	s_wait_loadcnt_dscnt 0x0
	v_dual_lshlrev_b32 v0, 24, v50 :: v_dual_lshlrev_b32 v11, 24, v49
	s_delay_alu instid0(VALU_DEP_1) | instskip(NEXT) | instid1(VALU_DEP_2)
	v_and_b32_e32 v15, 0x7f000000, v0
	v_and_b32_e32 v16, 0x7f000000, v11
	s_delay_alu instid0(VALU_DEP_2) | instskip(NEXT) | instid1(VALU_DEP_2)
	v_clz_i32_u32_e32 v17, v15
	v_clz_i32_u32_e32 v18, v16
	v_add_nc_u32_e32 v21, 0x1000000, v15
	v_cmp_ne_u32_e64 s1, 0, v15
	s_delay_alu instid0(VALU_DEP_4) | instskip(NEXT) | instid1(VALU_DEP_4)
	v_min_u32_e32 v17, 32, v17
	v_min_u32_e32 v18, 32, v18
	s_delay_alu instid0(VALU_DEP_2) | instskip(NEXT) | instid1(VALU_DEP_2)
	v_sub_nc_u32_e64 v17, v17, 4 clamp
	v_sub_nc_u32_e64 v18, v18, 4 clamp
	s_delay_alu instid0(VALU_DEP_1) | instskip(SKIP_1) | instid1(VALU_DEP_2)
	v_dual_lshlrev_b32 v19, v17, v15 :: v_dual_lshlrev_b32 v20, v18, v16
	v_dual_lshlrev_b32 v17, 23, v17 :: v_dual_lshlrev_b32 v18, 23, v18
	v_dual_lshrrev_b32 v19, 4, v19 :: v_dual_lshrrev_b32 v20, 4, v20
	s_delay_alu instid0(VALU_DEP_1) | instskip(SKIP_2) | instid1(VALU_DEP_3)
	v_dual_sub_nc_u32 v17, v19, v17 :: v_dual_sub_nc_u32 v18, v20, v18
	v_add_nc_u32_e32 v19, 0x1000000, v16
	v_ashrrev_i32_e32 v20, 8, v21
	v_add_nc_u32_e32 v17, 0x3c000000, v17
	s_delay_alu instid0(VALU_DEP_4) | instskip(NEXT) | instid1(VALU_DEP_4)
	v_add_nc_u32_e32 v18, 0x3c000000, v18
	v_ashrrev_i32_e32 v19, 8, v19
	s_delay_alu instid0(VALU_DEP_3) | instskip(NEXT) | instid1(VALU_DEP_2)
	v_and_or_b32 v17, 0x7f800000, v20, v17
	v_and_or_b32 v18, 0x7f800000, v19, v18
	s_delay_alu instid0(VALU_DEP_2) | instskip(SKIP_1) | instid1(VALU_DEP_1)
	v_cndmask_b32_e64 v15, 0, v17, s1
	v_cmp_ne_u32_e64 s1, 0, v16
	v_cndmask_b32_e64 v16, 0, v18, s1
	s_delay_alu instid0(VALU_DEP_3) | instskip(NEXT) | instid1(VALU_DEP_2)
	v_and_or_b32 v0, 0x80000000, v0, v15
	v_and_or_b32 v11, 0x80000000, v11, v16
	s_delay_alu instid0(VALU_DEP_1) | instskip(NEXT) | instid1(VALU_DEP_1)
	v_cmp_eq_f32_e64 s1, v0, v11
	v_cndmask_b32_e64 v15, 0, 1, s1
	v_cmp_neq_f32_e64 s1, v0, v11
	s_delay_alu instid0(VALU_DEP_1) | instskip(NEXT) | instid1(VALU_DEP_1)
	v_cndmask_b32_e64 v0, 0, 1, s1
	v_cndmask_b32_e64 v0, v0, v15, s0
	s_delay_alu instid0(VALU_DEP_1) | instskip(NEXT) | instid1(VALU_DEP_1)
	v_and_b32_e32 v0, 1, v0
	v_lshlrev_b16 v0, 8, v0
	s_delay_alu instid0(VALU_DEP_1) | instskip(NEXT) | instid1(VALU_DEP_1)
	v_bitop3_b16 v0, v1, v0, 0xff bitop3:0xec
	v_and_b32_e32 v0, 0xffff, v0
	s_delay_alu instid0(VALU_DEP_1)
	v_and_or_b32 v1, 0xffff0000, v1, v0
.LBB266_44:
	s_or_b32 exec_lo, exec_lo, s3
	v_add_nc_u32_e32 v0, 0x600, v6
	s_mov_b32 s3, exec_lo
	s_delay_alu instid0(VALU_DEP_1)
	v_cmpx_lt_i32_e64 v0, v7
	s_cbranch_execz .LBB266_46
; %bb.45:
	s_wait_loadcnt_dscnt 0x0
	v_dual_lshlrev_b32 v0, 24, v48 :: v_dual_lshlrev_b32 v11, 24, v39
	s_delay_alu instid0(VALU_DEP_1) | instskip(NEXT) | instid1(VALU_DEP_2)
	v_and_b32_e32 v15, 0x7f000000, v0
	v_and_b32_e32 v16, 0x7f000000, v11
	s_delay_alu instid0(VALU_DEP_2) | instskip(NEXT) | instid1(VALU_DEP_2)
	v_clz_i32_u32_e32 v17, v15
	v_clz_i32_u32_e32 v18, v16
	v_add_nc_u32_e32 v21, 0x1000000, v15
	v_cmp_ne_u32_e64 s1, 0, v15
	s_delay_alu instid0(VALU_DEP_4) | instskip(NEXT) | instid1(VALU_DEP_4)
	v_min_u32_e32 v17, 32, v17
	v_min_u32_e32 v18, 32, v18
	s_delay_alu instid0(VALU_DEP_2) | instskip(NEXT) | instid1(VALU_DEP_2)
	v_sub_nc_u32_e64 v17, v17, 4 clamp
	v_sub_nc_u32_e64 v18, v18, 4 clamp
	s_delay_alu instid0(VALU_DEP_1) | instskip(SKIP_1) | instid1(VALU_DEP_2)
	v_dual_lshlrev_b32 v19, v17, v15 :: v_dual_lshlrev_b32 v20, v18, v16
	v_dual_lshlrev_b32 v17, 23, v17 :: v_dual_lshlrev_b32 v18, 23, v18
	v_dual_lshrrev_b32 v19, 4, v19 :: v_dual_lshrrev_b32 v20, 4, v20
	s_delay_alu instid0(VALU_DEP_1) | instskip(SKIP_2) | instid1(VALU_DEP_3)
	v_dual_sub_nc_u32 v17, v19, v17 :: v_dual_sub_nc_u32 v18, v20, v18
	v_add_nc_u32_e32 v19, 0x1000000, v16
	v_ashrrev_i32_e32 v20, 8, v21
	v_add_nc_u32_e32 v17, 0x3c000000, v17
	s_delay_alu instid0(VALU_DEP_4) | instskip(NEXT) | instid1(VALU_DEP_4)
	v_add_nc_u32_e32 v18, 0x3c000000, v18
	v_ashrrev_i32_e32 v19, 8, v19
	s_delay_alu instid0(VALU_DEP_3) | instskip(NEXT) | instid1(VALU_DEP_2)
	v_and_or_b32 v17, 0x7f800000, v20, v17
	v_and_or_b32 v18, 0x7f800000, v19, v18
	s_delay_alu instid0(VALU_DEP_2) | instskip(SKIP_1) | instid1(VALU_DEP_1)
	v_cndmask_b32_e64 v15, 0, v17, s1
	v_cmp_ne_u32_e64 s1, 0, v16
	v_cndmask_b32_e64 v16, 0, v18, s1
	s_delay_alu instid0(VALU_DEP_3) | instskip(NEXT) | instid1(VALU_DEP_2)
	v_and_or_b32 v0, 0x80000000, v0, v15
	v_and_or_b32 v11, 0x80000000, v11, v16
	s_delay_alu instid0(VALU_DEP_1) | instskip(NEXT) | instid1(VALU_DEP_1)
	v_cmp_eq_f32_e64 s1, v0, v11
	v_cndmask_b32_e64 v16, 0, 1, s1
	v_cmp_neq_f32_e64 s1, v0, v11
	s_delay_alu instid0(VALU_DEP_1) | instskip(NEXT) | instid1(VALU_DEP_1)
	v_cndmask_b32_e64 v0, 0, 1, s1
	v_dual_lshrrev_b32 v15, 16, v1 :: v_dual_cndmask_b32 v0, v0, v16, s0
	s_delay_alu instid0(VALU_DEP_1) | instskip(NEXT) | instid1(VALU_DEP_1)
	v_and_b32_e32 v11, 0xffffff00, v15
	v_bitop3_b16 v0, v0, v11, 1 bitop3:0xec
	s_delay_alu instid0(VALU_DEP_1) | instskip(NEXT) | instid1(VALU_DEP_1)
	v_lshlrev_b32_e32 v0, 16, v0
	v_and_or_b32 v1, 0xffff, v1, v0
.LBB266_46:
	s_or_b32 exec_lo, exec_lo, s3
	v_add_nc_u32_e32 v0, 0x700, v6
	s_mov_b32 s3, exec_lo
	s_delay_alu instid0(VALU_DEP_1)
	v_cmpx_lt_i32_e64 v0, v7
	s_cbranch_execz .LBB266_48
; %bb.47:
	s_wait_loadcnt_dscnt 0x0
	v_dual_lshlrev_b32 v0, 24, v38 :: v_dual_lshlrev_b32 v11, 24, v37
	s_delay_alu instid0(VALU_DEP_1) | instskip(NEXT) | instid1(VALU_DEP_2)
	v_and_b32_e32 v15, 0x7f000000, v0
	v_and_b32_e32 v16, 0x7f000000, v11
	s_delay_alu instid0(VALU_DEP_2) | instskip(NEXT) | instid1(VALU_DEP_2)
	v_clz_i32_u32_e32 v17, v15
	v_clz_i32_u32_e32 v18, v16
	v_add_nc_u32_e32 v21, 0x1000000, v15
	v_cmp_ne_u32_e64 s1, 0, v15
	s_delay_alu instid0(VALU_DEP_4) | instskip(NEXT) | instid1(VALU_DEP_4)
	v_min_u32_e32 v17, 32, v17
	v_min_u32_e32 v18, 32, v18
	s_delay_alu instid0(VALU_DEP_2) | instskip(NEXT) | instid1(VALU_DEP_2)
	v_sub_nc_u32_e64 v17, v17, 4 clamp
	v_sub_nc_u32_e64 v18, v18, 4 clamp
	s_delay_alu instid0(VALU_DEP_1) | instskip(SKIP_1) | instid1(VALU_DEP_2)
	v_dual_lshlrev_b32 v19, v17, v15 :: v_dual_lshlrev_b32 v20, v18, v16
	v_dual_lshlrev_b32 v17, 23, v17 :: v_dual_lshlrev_b32 v18, 23, v18
	v_dual_lshrrev_b32 v19, 4, v19 :: v_dual_lshrrev_b32 v20, 4, v20
	s_delay_alu instid0(VALU_DEP_1) | instskip(SKIP_2) | instid1(VALU_DEP_3)
	v_dual_sub_nc_u32 v17, v19, v17 :: v_dual_sub_nc_u32 v18, v20, v18
	v_add_nc_u32_e32 v19, 0x1000000, v16
	v_ashrrev_i32_e32 v20, 8, v21
	v_add_nc_u32_e32 v17, 0x3c000000, v17
	s_delay_alu instid0(VALU_DEP_4) | instskip(NEXT) | instid1(VALU_DEP_4)
	v_add_nc_u32_e32 v18, 0x3c000000, v18
	v_ashrrev_i32_e32 v19, 8, v19
	s_delay_alu instid0(VALU_DEP_3) | instskip(NEXT) | instid1(VALU_DEP_2)
	v_and_or_b32 v17, 0x7f800000, v20, v17
	v_and_or_b32 v18, 0x7f800000, v19, v18
	s_delay_alu instid0(VALU_DEP_2) | instskip(SKIP_1) | instid1(VALU_DEP_1)
	v_cndmask_b32_e64 v15, 0, v17, s1
	v_cmp_ne_u32_e64 s1, 0, v16
	v_cndmask_b32_e64 v16, 0, v18, s1
	s_delay_alu instid0(VALU_DEP_3) | instskip(NEXT) | instid1(VALU_DEP_2)
	v_and_or_b32 v0, 0x80000000, v0, v15
	v_and_or_b32 v11, 0x80000000, v11, v16
	s_delay_alu instid0(VALU_DEP_1) | instskip(NEXT) | instid1(VALU_DEP_1)
	v_cmp_eq_f32_e64 s1, v0, v11
	v_cndmask_b32_e64 v15, 0, 1, s1
	v_cmp_neq_f32_e64 s1, v0, v11
	v_lshrrev_b32_e32 v11, 16, v1
	s_delay_alu instid0(VALU_DEP_2) | instskip(NEXT) | instid1(VALU_DEP_1)
	v_cndmask_b32_e64 v0, 0, 1, s1
	v_cndmask_b32_e64 v0, v0, v15, s0
	s_delay_alu instid0(VALU_DEP_1) | instskip(NEXT) | instid1(VALU_DEP_1)
	v_and_b32_e32 v0, 1, v0
	v_lshlrev_b16 v0, 8, v0
	s_delay_alu instid0(VALU_DEP_1) | instskip(NEXT) | instid1(VALU_DEP_1)
	v_bitop3_b16 v0, v11, v0, 0xff bitop3:0xec
	v_lshlrev_b32_e32 v0, 16, v0
	s_delay_alu instid0(VALU_DEP_1)
	v_and_or_b32 v1, 0xffff, v1, v0
.LBB266_48:
	s_or_b32 exec_lo, exec_lo, s3
	v_or_b32_e32 v0, 0x800, v6
	s_mov_b32 s3, exec_lo
	s_delay_alu instid0(VALU_DEP_1)
	v_cmpx_lt_i32_e64 v0, v7
	s_cbranch_execz .LBB266_50
; %bb.49:
	s_wait_loadcnt_dscnt 0x0
	v_dual_lshlrev_b32 v0, 24, v36 :: v_dual_lshlrev_b32 v11, 24, v35
	s_delay_alu instid0(VALU_DEP_1) | instskip(NEXT) | instid1(VALU_DEP_2)
	v_and_b32_e32 v15, 0x7f000000, v0
	v_and_b32_e32 v16, 0x7f000000, v11
	s_delay_alu instid0(VALU_DEP_2) | instskip(NEXT) | instid1(VALU_DEP_2)
	v_clz_i32_u32_e32 v17, v15
	v_clz_i32_u32_e32 v18, v16
	v_add_nc_u32_e32 v21, 0x1000000, v15
	v_cmp_ne_u32_e64 s1, 0, v15
	s_delay_alu instid0(VALU_DEP_4) | instskip(NEXT) | instid1(VALU_DEP_4)
	v_min_u32_e32 v17, 32, v17
	v_min_u32_e32 v18, 32, v18
	s_delay_alu instid0(VALU_DEP_2) | instskip(NEXT) | instid1(VALU_DEP_2)
	v_sub_nc_u32_e64 v17, v17, 4 clamp
	v_sub_nc_u32_e64 v18, v18, 4 clamp
	s_delay_alu instid0(VALU_DEP_1) | instskip(SKIP_1) | instid1(VALU_DEP_2)
	v_dual_lshlrev_b32 v19, v17, v15 :: v_dual_lshlrev_b32 v20, v18, v16
	v_dual_lshlrev_b32 v17, 23, v17 :: v_dual_lshlrev_b32 v18, 23, v18
	v_dual_lshrrev_b32 v19, 4, v19 :: v_dual_lshrrev_b32 v20, 4, v20
	s_delay_alu instid0(VALU_DEP_1) | instskip(SKIP_2) | instid1(VALU_DEP_3)
	v_dual_sub_nc_u32 v17, v19, v17 :: v_dual_sub_nc_u32 v18, v20, v18
	v_add_nc_u32_e32 v19, 0x1000000, v16
	v_ashrrev_i32_e32 v20, 8, v21
	v_add_nc_u32_e32 v17, 0x3c000000, v17
	s_delay_alu instid0(VALU_DEP_4) | instskip(NEXT) | instid1(VALU_DEP_4)
	v_add_nc_u32_e32 v18, 0x3c000000, v18
	v_ashrrev_i32_e32 v19, 8, v19
	s_delay_alu instid0(VALU_DEP_3) | instskip(NEXT) | instid1(VALU_DEP_2)
	v_and_or_b32 v17, 0x7f800000, v20, v17
	v_and_or_b32 v18, 0x7f800000, v19, v18
	s_delay_alu instid0(VALU_DEP_2) | instskip(SKIP_1) | instid1(VALU_DEP_1)
	v_cndmask_b32_e64 v15, 0, v17, s1
	v_cmp_ne_u32_e64 s1, 0, v16
	v_cndmask_b32_e64 v16, 0, v18, s1
	s_delay_alu instid0(VALU_DEP_3) | instskip(NEXT) | instid1(VALU_DEP_2)
	v_and_or_b32 v0, 0x80000000, v0, v15
	v_and_or_b32 v11, 0x80000000, v11, v16
	s_delay_alu instid0(VALU_DEP_1) | instskip(NEXT) | instid1(VALU_DEP_1)
	v_cmp_eq_f32_e64 s1, v0, v11
	v_cndmask_b32_e64 v15, 0, 1, s1
	v_cmp_neq_f32_e64 s1, v0, v11
	v_and_b32_e32 v11, 0xffffff00, v4
	s_delay_alu instid0(VALU_DEP_2) | instskip(NEXT) | instid1(VALU_DEP_1)
	v_cndmask_b32_e64 v0, 0, 1, s1
	v_cndmask_b32_e64 v0, v0, v15, s0
	s_delay_alu instid0(VALU_DEP_1) | instskip(NEXT) | instid1(VALU_DEP_1)
	v_bitop3_b16 v0, v0, v11, 1 bitop3:0xec
	v_and_b32_e32 v0, 0xffff, v0
	s_delay_alu instid0(VALU_DEP_1)
	v_and_or_b32 v4, 0xffff0000, v4, v0
.LBB266_50:
	s_or_b32 exec_lo, exec_lo, s3
	v_add_nc_u32_e32 v0, 0x900, v6
	s_mov_b32 s3, exec_lo
	s_delay_alu instid0(VALU_DEP_1)
	v_cmpx_lt_i32_e64 v0, v7
	s_cbranch_execz .LBB266_52
; %bb.51:
	s_wait_loadcnt_dscnt 0x0
	v_dual_lshlrev_b32 v0, 24, v34 :: v_dual_lshlrev_b32 v11, 24, v33
	s_delay_alu instid0(VALU_DEP_1) | instskip(NEXT) | instid1(VALU_DEP_2)
	v_and_b32_e32 v15, 0x7f000000, v0
	v_and_b32_e32 v16, 0x7f000000, v11
	s_delay_alu instid0(VALU_DEP_2) | instskip(NEXT) | instid1(VALU_DEP_2)
	v_clz_i32_u32_e32 v17, v15
	v_clz_i32_u32_e32 v18, v16
	v_add_nc_u32_e32 v21, 0x1000000, v15
	v_cmp_ne_u32_e64 s1, 0, v15
	s_delay_alu instid0(VALU_DEP_4) | instskip(NEXT) | instid1(VALU_DEP_4)
	v_min_u32_e32 v17, 32, v17
	v_min_u32_e32 v18, 32, v18
	s_delay_alu instid0(VALU_DEP_2) | instskip(NEXT) | instid1(VALU_DEP_2)
	v_sub_nc_u32_e64 v17, v17, 4 clamp
	v_sub_nc_u32_e64 v18, v18, 4 clamp
	s_delay_alu instid0(VALU_DEP_1) | instskip(SKIP_1) | instid1(VALU_DEP_2)
	v_dual_lshlrev_b32 v19, v17, v15 :: v_dual_lshlrev_b32 v20, v18, v16
	v_dual_lshlrev_b32 v17, 23, v17 :: v_dual_lshlrev_b32 v18, 23, v18
	v_dual_lshrrev_b32 v19, 4, v19 :: v_dual_lshrrev_b32 v20, 4, v20
	s_delay_alu instid0(VALU_DEP_1) | instskip(SKIP_2) | instid1(VALU_DEP_3)
	v_dual_sub_nc_u32 v17, v19, v17 :: v_dual_sub_nc_u32 v18, v20, v18
	v_add_nc_u32_e32 v19, 0x1000000, v16
	v_ashrrev_i32_e32 v20, 8, v21
	v_add_nc_u32_e32 v17, 0x3c000000, v17
	s_delay_alu instid0(VALU_DEP_4) | instskip(NEXT) | instid1(VALU_DEP_4)
	v_add_nc_u32_e32 v18, 0x3c000000, v18
	v_ashrrev_i32_e32 v19, 8, v19
	s_delay_alu instid0(VALU_DEP_3) | instskip(NEXT) | instid1(VALU_DEP_2)
	v_and_or_b32 v17, 0x7f800000, v20, v17
	v_and_or_b32 v18, 0x7f800000, v19, v18
	s_delay_alu instid0(VALU_DEP_2) | instskip(SKIP_1) | instid1(VALU_DEP_1)
	v_cndmask_b32_e64 v15, 0, v17, s1
	v_cmp_ne_u32_e64 s1, 0, v16
	v_cndmask_b32_e64 v16, 0, v18, s1
	s_delay_alu instid0(VALU_DEP_3) | instskip(NEXT) | instid1(VALU_DEP_2)
	v_and_or_b32 v0, 0x80000000, v0, v15
	v_and_or_b32 v11, 0x80000000, v11, v16
	s_delay_alu instid0(VALU_DEP_1) | instskip(NEXT) | instid1(VALU_DEP_1)
	v_cmp_eq_f32_e64 s1, v0, v11
	v_cndmask_b32_e64 v15, 0, 1, s1
	v_cmp_neq_f32_e64 s1, v0, v11
	s_delay_alu instid0(VALU_DEP_1) | instskip(NEXT) | instid1(VALU_DEP_1)
	v_cndmask_b32_e64 v0, 0, 1, s1
	v_cndmask_b32_e64 v0, v0, v15, s0
	s_delay_alu instid0(VALU_DEP_1) | instskip(NEXT) | instid1(VALU_DEP_1)
	v_and_b32_e32 v0, 1, v0
	v_lshlrev_b16 v0, 8, v0
	s_delay_alu instid0(VALU_DEP_1) | instskip(NEXT) | instid1(VALU_DEP_1)
	v_bitop3_b16 v0, v4, v0, 0xff bitop3:0xec
	v_and_b32_e32 v0, 0xffff, v0
	s_delay_alu instid0(VALU_DEP_1)
	v_and_or_b32 v4, 0xffff0000, v4, v0
.LBB266_52:
	s_or_b32 exec_lo, exec_lo, s3
	v_add_nc_u32_e32 v0, 0xa00, v6
	s_mov_b32 s3, exec_lo
	s_delay_alu instid0(VALU_DEP_1)
	v_cmpx_lt_i32_e64 v0, v7
	s_cbranch_execz .LBB266_54
; %bb.53:
	s_wait_loadcnt_dscnt 0x0
	v_dual_lshlrev_b32 v0, 24, v32 :: v_dual_lshlrev_b32 v11, 24, v31
	s_delay_alu instid0(VALU_DEP_1) | instskip(NEXT) | instid1(VALU_DEP_2)
	v_and_b32_e32 v15, 0x7f000000, v0
	v_and_b32_e32 v16, 0x7f000000, v11
	s_delay_alu instid0(VALU_DEP_2) | instskip(NEXT) | instid1(VALU_DEP_2)
	v_clz_i32_u32_e32 v17, v15
	v_clz_i32_u32_e32 v18, v16
	v_add_nc_u32_e32 v21, 0x1000000, v15
	v_cmp_ne_u32_e64 s1, 0, v15
	s_delay_alu instid0(VALU_DEP_4) | instskip(NEXT) | instid1(VALU_DEP_4)
	v_min_u32_e32 v17, 32, v17
	v_min_u32_e32 v18, 32, v18
	s_delay_alu instid0(VALU_DEP_2) | instskip(NEXT) | instid1(VALU_DEP_2)
	v_sub_nc_u32_e64 v17, v17, 4 clamp
	v_sub_nc_u32_e64 v18, v18, 4 clamp
	s_delay_alu instid0(VALU_DEP_1) | instskip(SKIP_1) | instid1(VALU_DEP_2)
	v_dual_lshlrev_b32 v19, v17, v15 :: v_dual_lshlrev_b32 v20, v18, v16
	v_dual_lshlrev_b32 v17, 23, v17 :: v_dual_lshlrev_b32 v18, 23, v18
	v_dual_lshrrev_b32 v19, 4, v19 :: v_dual_lshrrev_b32 v20, 4, v20
	s_delay_alu instid0(VALU_DEP_1) | instskip(SKIP_2) | instid1(VALU_DEP_3)
	v_dual_sub_nc_u32 v17, v19, v17 :: v_dual_sub_nc_u32 v18, v20, v18
	v_add_nc_u32_e32 v19, 0x1000000, v16
	v_ashrrev_i32_e32 v20, 8, v21
	v_add_nc_u32_e32 v17, 0x3c000000, v17
	s_delay_alu instid0(VALU_DEP_4) | instskip(NEXT) | instid1(VALU_DEP_4)
	v_add_nc_u32_e32 v18, 0x3c000000, v18
	v_ashrrev_i32_e32 v19, 8, v19
	s_delay_alu instid0(VALU_DEP_3) | instskip(NEXT) | instid1(VALU_DEP_2)
	v_and_or_b32 v17, 0x7f800000, v20, v17
	v_and_or_b32 v18, 0x7f800000, v19, v18
	s_delay_alu instid0(VALU_DEP_2) | instskip(SKIP_1) | instid1(VALU_DEP_1)
	v_cndmask_b32_e64 v15, 0, v17, s1
	v_cmp_ne_u32_e64 s1, 0, v16
	v_cndmask_b32_e64 v16, 0, v18, s1
	s_delay_alu instid0(VALU_DEP_3) | instskip(SKIP_1) | instid1(VALU_DEP_3)
	v_and_or_b32 v0, 0x80000000, v0, v15
	v_lshrrev_b32_e32 v15, 16, v4
	v_and_or_b32 v11, 0x80000000, v11, v16
	s_delay_alu instid0(VALU_DEP_1) | instskip(NEXT) | instid1(VALU_DEP_1)
	v_cmp_eq_f32_e64 s1, v0, v11
	v_cndmask_b32_e64 v16, 0, 1, s1
	v_cmp_neq_f32_e64 s1, v0, v11
	v_and_b32_e32 v11, 0xffffff00, v15
	s_delay_alu instid0(VALU_DEP_2) | instskip(NEXT) | instid1(VALU_DEP_1)
	v_cndmask_b32_e64 v0, 0, 1, s1
	v_cndmask_b32_e64 v0, v0, v16, s0
	s_delay_alu instid0(VALU_DEP_1) | instskip(NEXT) | instid1(VALU_DEP_1)
	v_bitop3_b16 v0, v0, v11, 1 bitop3:0xec
	v_lshlrev_b32_e32 v0, 16, v0
	s_delay_alu instid0(VALU_DEP_1)
	v_and_or_b32 v4, 0xffff, v4, v0
.LBB266_54:
	s_or_b32 exec_lo, exec_lo, s3
	v_add_nc_u32_e32 v0, 0xb00, v6
	s_mov_b32 s3, exec_lo
	s_delay_alu instid0(VALU_DEP_1)
	v_cmpx_lt_i32_e64 v0, v7
	s_cbranch_execz .LBB266_56
; %bb.55:
	s_wait_loadcnt_dscnt 0x0
	v_dual_lshlrev_b32 v0, 24, v30 :: v_dual_lshlrev_b32 v11, 24, v29
	s_delay_alu instid0(VALU_DEP_1) | instskip(NEXT) | instid1(VALU_DEP_2)
	v_and_b32_e32 v15, 0x7f000000, v0
	v_and_b32_e32 v16, 0x7f000000, v11
	s_delay_alu instid0(VALU_DEP_2) | instskip(NEXT) | instid1(VALU_DEP_2)
	v_clz_i32_u32_e32 v17, v15
	v_clz_i32_u32_e32 v18, v16
	v_add_nc_u32_e32 v21, 0x1000000, v15
	v_cmp_ne_u32_e64 s1, 0, v15
	s_delay_alu instid0(VALU_DEP_4) | instskip(NEXT) | instid1(VALU_DEP_4)
	v_min_u32_e32 v17, 32, v17
	v_min_u32_e32 v18, 32, v18
	s_delay_alu instid0(VALU_DEP_2) | instskip(NEXT) | instid1(VALU_DEP_2)
	v_sub_nc_u32_e64 v17, v17, 4 clamp
	v_sub_nc_u32_e64 v18, v18, 4 clamp
	s_delay_alu instid0(VALU_DEP_1) | instskip(SKIP_1) | instid1(VALU_DEP_2)
	v_dual_lshlrev_b32 v19, v17, v15 :: v_dual_lshlrev_b32 v20, v18, v16
	v_dual_lshlrev_b32 v17, 23, v17 :: v_dual_lshlrev_b32 v18, 23, v18
	v_dual_lshrrev_b32 v19, 4, v19 :: v_dual_lshrrev_b32 v20, 4, v20
	s_delay_alu instid0(VALU_DEP_1) | instskip(SKIP_2) | instid1(VALU_DEP_3)
	v_dual_sub_nc_u32 v17, v19, v17 :: v_dual_sub_nc_u32 v18, v20, v18
	v_add_nc_u32_e32 v19, 0x1000000, v16
	v_ashrrev_i32_e32 v20, 8, v21
	v_add_nc_u32_e32 v17, 0x3c000000, v17
	s_delay_alu instid0(VALU_DEP_4) | instskip(NEXT) | instid1(VALU_DEP_4)
	v_add_nc_u32_e32 v18, 0x3c000000, v18
	v_ashrrev_i32_e32 v19, 8, v19
	s_delay_alu instid0(VALU_DEP_3) | instskip(NEXT) | instid1(VALU_DEP_2)
	v_and_or_b32 v17, 0x7f800000, v20, v17
	v_and_or_b32 v18, 0x7f800000, v19, v18
	s_delay_alu instid0(VALU_DEP_2) | instskip(SKIP_1) | instid1(VALU_DEP_1)
	v_cndmask_b32_e64 v15, 0, v17, s1
	v_cmp_ne_u32_e64 s1, 0, v16
	v_cndmask_b32_e64 v16, 0, v18, s1
	s_delay_alu instid0(VALU_DEP_3) | instskip(NEXT) | instid1(VALU_DEP_2)
	v_and_or_b32 v0, 0x80000000, v0, v15
	v_and_or_b32 v11, 0x80000000, v11, v16
	s_delay_alu instid0(VALU_DEP_1) | instskip(NEXT) | instid1(VALU_DEP_1)
	v_cmp_eq_f32_e64 s1, v0, v11
	v_cndmask_b32_e64 v15, 0, 1, s1
	v_cmp_neq_f32_e64 s1, v0, v11
	v_lshrrev_b32_e32 v11, 16, v4
	s_delay_alu instid0(VALU_DEP_2) | instskip(NEXT) | instid1(VALU_DEP_1)
	v_cndmask_b32_e64 v0, 0, 1, s1
	v_cndmask_b32_e64 v0, v0, v15, s0
	s_delay_alu instid0(VALU_DEP_1) | instskip(NEXT) | instid1(VALU_DEP_1)
	v_and_b32_e32 v0, 1, v0
	v_lshlrev_b16 v0, 8, v0
	s_delay_alu instid0(VALU_DEP_1) | instskip(NEXT) | instid1(VALU_DEP_1)
	v_bitop3_b16 v0, v11, v0, 0xff bitop3:0xec
	v_lshlrev_b32_e32 v0, 16, v0
	s_delay_alu instid0(VALU_DEP_1)
	v_and_or_b32 v4, 0xffff, v4, v0
.LBB266_56:
	s_or_b32 exec_lo, exec_lo, s3
	v_or_b32_e32 v0, 0xc00, v6
	s_mov_b32 s3, exec_lo
	s_delay_alu instid0(VALU_DEP_1)
	v_cmpx_lt_i32_e64 v0, v7
	s_cbranch_execz .LBB266_58
; %bb.57:
	s_wait_loadcnt_dscnt 0x0
	v_dual_lshlrev_b32 v0, 24, v28 :: v_dual_lshlrev_b32 v11, 24, v27
	s_delay_alu instid0(VALU_DEP_1) | instskip(NEXT) | instid1(VALU_DEP_2)
	v_and_b32_e32 v15, 0x7f000000, v0
	v_and_b32_e32 v16, 0x7f000000, v11
	s_delay_alu instid0(VALU_DEP_2) | instskip(NEXT) | instid1(VALU_DEP_2)
	v_clz_i32_u32_e32 v17, v15
	v_clz_i32_u32_e32 v18, v16
	v_add_nc_u32_e32 v21, 0x1000000, v15
	v_cmp_ne_u32_e64 s1, 0, v15
	s_delay_alu instid0(VALU_DEP_4) | instskip(NEXT) | instid1(VALU_DEP_4)
	v_min_u32_e32 v17, 32, v17
	v_min_u32_e32 v18, 32, v18
	s_delay_alu instid0(VALU_DEP_2) | instskip(NEXT) | instid1(VALU_DEP_2)
	v_sub_nc_u32_e64 v17, v17, 4 clamp
	v_sub_nc_u32_e64 v18, v18, 4 clamp
	s_delay_alu instid0(VALU_DEP_1) | instskip(SKIP_1) | instid1(VALU_DEP_2)
	v_dual_lshlrev_b32 v19, v17, v15 :: v_dual_lshlrev_b32 v20, v18, v16
	v_dual_lshlrev_b32 v17, 23, v17 :: v_dual_lshlrev_b32 v18, 23, v18
	v_dual_lshrrev_b32 v19, 4, v19 :: v_dual_lshrrev_b32 v20, 4, v20
	s_delay_alu instid0(VALU_DEP_1) | instskip(SKIP_2) | instid1(VALU_DEP_3)
	v_dual_sub_nc_u32 v17, v19, v17 :: v_dual_sub_nc_u32 v18, v20, v18
	v_add_nc_u32_e32 v19, 0x1000000, v16
	v_ashrrev_i32_e32 v20, 8, v21
	v_add_nc_u32_e32 v17, 0x3c000000, v17
	s_delay_alu instid0(VALU_DEP_4) | instskip(NEXT) | instid1(VALU_DEP_4)
	v_add_nc_u32_e32 v18, 0x3c000000, v18
	v_ashrrev_i32_e32 v19, 8, v19
	s_delay_alu instid0(VALU_DEP_3) | instskip(NEXT) | instid1(VALU_DEP_2)
	v_and_or_b32 v17, 0x7f800000, v20, v17
	v_and_or_b32 v18, 0x7f800000, v19, v18
	s_delay_alu instid0(VALU_DEP_2) | instskip(SKIP_1) | instid1(VALU_DEP_1)
	v_cndmask_b32_e64 v15, 0, v17, s1
	v_cmp_ne_u32_e64 s1, 0, v16
	v_cndmask_b32_e64 v16, 0, v18, s1
	s_delay_alu instid0(VALU_DEP_3) | instskip(NEXT) | instid1(VALU_DEP_2)
	v_and_or_b32 v0, 0x80000000, v0, v15
	v_and_or_b32 v11, 0x80000000, v11, v16
	s_delay_alu instid0(VALU_DEP_1) | instskip(NEXT) | instid1(VALU_DEP_1)
	v_cmp_eq_f32_e64 s1, v0, v11
	v_cndmask_b32_e64 v15, 0, 1, s1
	v_cmp_neq_f32_e64 s1, v0, v11
	v_and_b32_e32 v11, 0xffffff00, v3
	s_delay_alu instid0(VALU_DEP_2) | instskip(NEXT) | instid1(VALU_DEP_1)
	v_cndmask_b32_e64 v0, 0, 1, s1
	v_cndmask_b32_e64 v0, v0, v15, s0
	s_delay_alu instid0(VALU_DEP_1) | instskip(NEXT) | instid1(VALU_DEP_1)
	v_bitop3_b16 v0, v0, v11, 1 bitop3:0xec
	v_and_b32_e32 v0, 0xffff, v0
	s_delay_alu instid0(VALU_DEP_1)
	v_and_or_b32 v3, 0xffff0000, v3, v0
.LBB266_58:
	s_or_b32 exec_lo, exec_lo, s3
	v_add_nc_u32_e32 v0, 0xd00, v6
	s_mov_b32 s3, exec_lo
	s_delay_alu instid0(VALU_DEP_1)
	v_cmpx_lt_i32_e64 v0, v7
	s_cbranch_execz .LBB266_60
; %bb.59:
	s_wait_loadcnt_dscnt 0x0
	v_dual_lshlrev_b32 v0, 24, v26 :: v_dual_lshlrev_b32 v11, 24, v25
	s_delay_alu instid0(VALU_DEP_1) | instskip(NEXT) | instid1(VALU_DEP_2)
	v_and_b32_e32 v15, 0x7f000000, v0
	v_and_b32_e32 v16, 0x7f000000, v11
	s_delay_alu instid0(VALU_DEP_2) | instskip(NEXT) | instid1(VALU_DEP_2)
	v_clz_i32_u32_e32 v17, v15
	v_clz_i32_u32_e32 v18, v16
	v_add_nc_u32_e32 v21, 0x1000000, v15
	v_cmp_ne_u32_e64 s1, 0, v15
	s_delay_alu instid0(VALU_DEP_4) | instskip(NEXT) | instid1(VALU_DEP_4)
	v_min_u32_e32 v17, 32, v17
	v_min_u32_e32 v18, 32, v18
	s_delay_alu instid0(VALU_DEP_2) | instskip(NEXT) | instid1(VALU_DEP_2)
	v_sub_nc_u32_e64 v17, v17, 4 clamp
	v_sub_nc_u32_e64 v18, v18, 4 clamp
	s_delay_alu instid0(VALU_DEP_1) | instskip(SKIP_1) | instid1(VALU_DEP_2)
	v_dual_lshlrev_b32 v19, v17, v15 :: v_dual_lshlrev_b32 v20, v18, v16
	v_dual_lshlrev_b32 v17, 23, v17 :: v_dual_lshlrev_b32 v18, 23, v18
	v_dual_lshrrev_b32 v19, 4, v19 :: v_dual_lshrrev_b32 v20, 4, v20
	s_delay_alu instid0(VALU_DEP_1) | instskip(SKIP_2) | instid1(VALU_DEP_3)
	v_dual_sub_nc_u32 v17, v19, v17 :: v_dual_sub_nc_u32 v18, v20, v18
	v_add_nc_u32_e32 v19, 0x1000000, v16
	v_ashrrev_i32_e32 v20, 8, v21
	v_add_nc_u32_e32 v17, 0x3c000000, v17
	s_delay_alu instid0(VALU_DEP_4) | instskip(NEXT) | instid1(VALU_DEP_4)
	v_add_nc_u32_e32 v18, 0x3c000000, v18
	v_ashrrev_i32_e32 v19, 8, v19
	s_delay_alu instid0(VALU_DEP_3) | instskip(NEXT) | instid1(VALU_DEP_2)
	v_and_or_b32 v17, 0x7f800000, v20, v17
	v_and_or_b32 v18, 0x7f800000, v19, v18
	s_delay_alu instid0(VALU_DEP_2) | instskip(SKIP_1) | instid1(VALU_DEP_1)
	v_cndmask_b32_e64 v15, 0, v17, s1
	v_cmp_ne_u32_e64 s1, 0, v16
	v_cndmask_b32_e64 v16, 0, v18, s1
	s_delay_alu instid0(VALU_DEP_3) | instskip(NEXT) | instid1(VALU_DEP_2)
	v_and_or_b32 v0, 0x80000000, v0, v15
	v_and_or_b32 v11, 0x80000000, v11, v16
	s_delay_alu instid0(VALU_DEP_1) | instskip(NEXT) | instid1(VALU_DEP_1)
	v_cmp_eq_f32_e64 s1, v0, v11
	v_cndmask_b32_e64 v15, 0, 1, s1
	v_cmp_neq_f32_e64 s1, v0, v11
	s_delay_alu instid0(VALU_DEP_1) | instskip(NEXT) | instid1(VALU_DEP_1)
	v_cndmask_b32_e64 v0, 0, 1, s1
	v_cndmask_b32_e64 v0, v0, v15, s0
	s_delay_alu instid0(VALU_DEP_1) | instskip(NEXT) | instid1(VALU_DEP_1)
	v_and_b32_e32 v0, 1, v0
	v_lshlrev_b16 v0, 8, v0
	s_delay_alu instid0(VALU_DEP_1) | instskip(NEXT) | instid1(VALU_DEP_1)
	v_bitop3_b16 v0, v3, v0, 0xff bitop3:0xec
	v_and_b32_e32 v0, 0xffff, v0
	s_delay_alu instid0(VALU_DEP_1)
	v_and_or_b32 v3, 0xffff0000, v3, v0
.LBB266_60:
	s_or_b32 exec_lo, exec_lo, s3
	v_add_nc_u32_e32 v0, 0xe00, v6
	s_mov_b32 s3, exec_lo
	s_delay_alu instid0(VALU_DEP_1)
	v_cmpx_lt_i32_e64 v0, v7
	s_cbranch_execz .LBB266_62
; %bb.61:
	s_wait_loadcnt_dscnt 0x0
	v_dual_lshlrev_b32 v0, 24, v14 :: v_dual_lshlrev_b32 v11, 24, v13
	s_delay_alu instid0(VALU_DEP_1) | instskip(NEXT) | instid1(VALU_DEP_2)
	v_and_b32_e32 v13, 0x7f000000, v0
	v_and_b32_e32 v14, 0x7f000000, v11
	s_delay_alu instid0(VALU_DEP_2) | instskip(NEXT) | instid1(VALU_DEP_2)
	v_clz_i32_u32_e32 v15, v13
	v_clz_i32_u32_e32 v16, v14
	v_add_nc_u32_e32 v19, 0x1000000, v13
	v_cmp_ne_u32_e64 s1, 0, v13
	s_delay_alu instid0(VALU_DEP_4) | instskip(NEXT) | instid1(VALU_DEP_4)
	v_min_u32_e32 v15, 32, v15
	v_min_u32_e32 v16, 32, v16
	s_delay_alu instid0(VALU_DEP_2) | instskip(NEXT) | instid1(VALU_DEP_2)
	v_sub_nc_u32_e64 v15, v15, 4 clamp
	v_sub_nc_u32_e64 v16, v16, 4 clamp
	s_delay_alu instid0(VALU_DEP_1) | instskip(SKIP_1) | instid1(VALU_DEP_2)
	v_dual_lshlrev_b32 v17, v15, v13 :: v_dual_lshlrev_b32 v18, v16, v14
	v_dual_lshlrev_b32 v15, 23, v15 :: v_dual_lshlrev_b32 v16, 23, v16
	v_dual_lshrrev_b32 v17, 4, v17 :: v_dual_lshrrev_b32 v18, 4, v18
	s_delay_alu instid0(VALU_DEP_1) | instskip(SKIP_2) | instid1(VALU_DEP_3)
	v_dual_sub_nc_u32 v15, v17, v15 :: v_dual_sub_nc_u32 v16, v18, v16
	v_add_nc_u32_e32 v17, 0x1000000, v14
	v_ashrrev_i32_e32 v18, 8, v19
	v_add_nc_u32_e32 v15, 0x3c000000, v15
	s_delay_alu instid0(VALU_DEP_4) | instskip(NEXT) | instid1(VALU_DEP_4)
	v_add_nc_u32_e32 v16, 0x3c000000, v16
	v_ashrrev_i32_e32 v17, 8, v17
	s_delay_alu instid0(VALU_DEP_3) | instskip(NEXT) | instid1(VALU_DEP_2)
	v_and_or_b32 v15, 0x7f800000, v18, v15
	v_and_or_b32 v16, 0x7f800000, v17, v16
	s_delay_alu instid0(VALU_DEP_2) | instskip(SKIP_1) | instid1(VALU_DEP_1)
	v_cndmask_b32_e64 v13, 0, v15, s1
	v_cmp_ne_u32_e64 s1, 0, v14
	v_cndmask_b32_e64 v14, 0, v16, s1
	s_delay_alu instid0(VALU_DEP_3) | instskip(NEXT) | instid1(VALU_DEP_2)
	v_and_or_b32 v0, 0x80000000, v0, v13
	v_and_or_b32 v11, 0x80000000, v11, v14
	s_delay_alu instid0(VALU_DEP_1) | instskip(NEXT) | instid1(VALU_DEP_1)
	v_cmp_eq_f32_e64 s1, v0, v11
	v_cndmask_b32_e64 v14, 0, 1, s1
	v_cmp_neq_f32_e64 s1, v0, v11
	s_delay_alu instid0(VALU_DEP_1) | instskip(NEXT) | instid1(VALU_DEP_1)
	v_cndmask_b32_e64 v0, 0, 1, s1
	v_dual_lshrrev_b32 v13, 16, v3 :: v_dual_cndmask_b32 v0, v0, v14, s0
	s_delay_alu instid0(VALU_DEP_1) | instskip(NEXT) | instid1(VALU_DEP_1)
	v_and_b32_e32 v11, 0xffffff00, v13
	v_bitop3_b16 v0, v0, v11, 1 bitop3:0xec
	s_delay_alu instid0(VALU_DEP_1) | instskip(NEXT) | instid1(VALU_DEP_1)
	v_lshlrev_b32_e32 v0, 16, v0
	v_and_or_b32 v3, 0xffff, v3, v0
.LBB266_62:
	s_or_b32 exec_lo, exec_lo, s3
	v_add_nc_u32_e32 v0, 0xf00, v6
	s_mov_b32 s3, exec_lo
	s_delay_alu instid0(VALU_DEP_1)
	v_cmpx_lt_i32_e64 v0, v7
	s_cbranch_execnz .LBB266_80
; %bb.63:
	s_or_b32 exec_lo, exec_lo, s3
	s_and_saveexec_b32 s0, vcc_lo
	s_delay_alu instid0(SALU_CYCLE_1)
	s_xor_b32 s0, exec_lo, s0
	s_cbranch_execnz .LBB266_81
.LBB266_64:
	s_or_b32 exec_lo, exec_lo, s0
	s_delay_alu instid0(SALU_CYCLE_1)
	s_mov_b32 s0, exec_lo
	v_cmpx_lt_i32_e64 v6, v7
	s_cbranch_execnz .LBB266_82
.LBB266_65:
	s_or_b32 exec_lo, exec_lo, s0
	s_delay_alu instid0(SALU_CYCLE_1)
	s_mov_b32 s0, exec_lo
	v_cmpx_lt_i32_e64 v6, v7
	s_cbranch_execnz .LBB266_83
.LBB266_66:
	s_or_b32 exec_lo, exec_lo, s0
	s_delay_alu instid0(SALU_CYCLE_1)
	s_mov_b32 s0, exec_lo
	v_cmpx_lt_i32_e64 v6, v7
	s_cbranch_execnz .LBB266_84
.LBB266_67:
	s_or_b32 exec_lo, exec_lo, s0
	s_delay_alu instid0(SALU_CYCLE_1)
	s_mov_b32 s0, exec_lo
	v_cmpx_lt_i32_e64 v6, v7
	s_cbranch_execnz .LBB266_85
.LBB266_68:
	s_or_b32 exec_lo, exec_lo, s0
	s_delay_alu instid0(SALU_CYCLE_1)
	s_mov_b32 s0, exec_lo
	v_cmpx_lt_i32_e64 v6, v7
	s_cbranch_execnz .LBB266_86
.LBB266_69:
	s_or_b32 exec_lo, exec_lo, s0
	s_delay_alu instid0(SALU_CYCLE_1)
	s_mov_b32 s0, exec_lo
	v_cmpx_lt_i32_e64 v6, v7
	s_cbranch_execnz .LBB266_87
.LBB266_70:
	s_or_b32 exec_lo, exec_lo, s0
	s_delay_alu instid0(SALU_CYCLE_1)
	s_mov_b32 s0, exec_lo
	v_cmpx_lt_i32_e64 v6, v7
	s_cbranch_execnz .LBB266_88
.LBB266_71:
	s_or_b32 exec_lo, exec_lo, s0
	s_delay_alu instid0(SALU_CYCLE_1)
	s_mov_b32 s0, exec_lo
	v_cmpx_lt_i32_e64 v6, v7
	s_cbranch_execnz .LBB266_89
.LBB266_72:
	s_or_b32 exec_lo, exec_lo, s0
	s_delay_alu instid0(SALU_CYCLE_1)
	s_mov_b32 s0, exec_lo
	v_cmpx_lt_i32_e64 v6, v7
	s_cbranch_execnz .LBB266_90
.LBB266_73:
	s_or_b32 exec_lo, exec_lo, s0
	s_delay_alu instid0(SALU_CYCLE_1)
	s_mov_b32 s0, exec_lo
	v_cmpx_lt_i32_e64 v6, v7
	s_cbranch_execnz .LBB266_91
.LBB266_74:
	s_or_b32 exec_lo, exec_lo, s0
	s_delay_alu instid0(SALU_CYCLE_1)
	s_mov_b32 s0, exec_lo
	v_cmpx_lt_i32_e64 v6, v7
	s_cbranch_execnz .LBB266_92
.LBB266_75:
	s_or_b32 exec_lo, exec_lo, s0
	s_delay_alu instid0(SALU_CYCLE_1)
	s_mov_b32 s0, exec_lo
	v_cmpx_lt_i32_e64 v6, v7
	s_cbranch_execnz .LBB266_93
.LBB266_76:
	s_or_b32 exec_lo, exec_lo, s0
	s_delay_alu instid0(SALU_CYCLE_1)
	s_mov_b32 s0, exec_lo
	v_cmpx_lt_i32_e64 v6, v7
	s_cbranch_execnz .LBB266_94
.LBB266_77:
	s_or_b32 exec_lo, exec_lo, s0
	s_delay_alu instid0(SALU_CYCLE_1)
	s_mov_b32 s0, exec_lo
	v_cmpx_lt_i32_e64 v6, v7
	s_cbranch_execnz .LBB266_95
.LBB266_78:
	s_or_b32 exec_lo, exec_lo, s0
	s_delay_alu instid0(SALU_CYCLE_1)
	s_mov_b32 s0, exec_lo
	v_cmpx_lt_i32_e64 v6, v7
	s_cbranch_execnz .LBB266_96
.LBB266_79:
	s_or_b32 exec_lo, exec_lo, s0
	s_wait_loadcnt_dscnt 0x0
	s_set_pc_i64 s[30:31]
.LBB266_80:
	v_and_b32_e32 v0, 0x7f000000, v12
	s_wait_loadcnt_dscnt 0x0
	v_and_b32_e32 v11, 0x7f000000, v5
	s_delay_alu instid0(VALU_DEP_2) | instskip(NEXT) | instid1(VALU_DEP_2)
	v_clz_i32_u32_e32 v13, v0
	v_clz_i32_u32_e32 v14, v11
	v_add_nc_u32_e32 v17, 0x1000000, v0
	v_cmp_ne_u32_e64 s1, 0, v0
	s_delay_alu instid0(VALU_DEP_4) | instskip(NEXT) | instid1(VALU_DEP_4)
	v_min_u32_e32 v13, 32, v13
	v_min_u32_e32 v14, 32, v14
	s_delay_alu instid0(VALU_DEP_2) | instskip(NEXT) | instid1(VALU_DEP_2)
	v_sub_nc_u32_e64 v13, v13, 4 clamp
	v_sub_nc_u32_e64 v14, v14, 4 clamp
	s_delay_alu instid0(VALU_DEP_1) | instskip(SKIP_1) | instid1(VALU_DEP_2)
	v_dual_lshlrev_b32 v15, v13, v0 :: v_dual_lshlrev_b32 v16, v14, v11
	v_dual_lshlrev_b32 v13, 23, v13 :: v_dual_lshlrev_b32 v14, 23, v14
	v_dual_lshrrev_b32 v15, 4, v15 :: v_dual_lshrrev_b32 v16, 4, v16
	s_delay_alu instid0(VALU_DEP_1) | instskip(SKIP_2) | instid1(VALU_DEP_3)
	v_dual_sub_nc_u32 v13, v15, v13 :: v_dual_sub_nc_u32 v14, v16, v14
	v_add_nc_u32_e32 v15, 0x1000000, v11
	v_ashrrev_i32_e32 v16, 8, v17
	v_add_nc_u32_e32 v13, 0x3c000000, v13
	s_delay_alu instid0(VALU_DEP_4) | instskip(NEXT) | instid1(VALU_DEP_4)
	v_add_nc_u32_e32 v14, 0x3c000000, v14
	v_ashrrev_i32_e32 v15, 8, v15
	s_delay_alu instid0(VALU_DEP_3) | instskip(NEXT) | instid1(VALU_DEP_2)
	v_and_or_b32 v13, 0x7f800000, v16, v13
	v_and_or_b32 v14, 0x7f800000, v15, v14
	s_delay_alu instid0(VALU_DEP_2) | instskip(SKIP_1) | instid1(VALU_DEP_1)
	v_cndmask_b32_e64 v0, 0, v13, s1
	v_cmp_ne_u32_e64 s1, 0, v11
	v_cndmask_b32_e64 v11, 0, v14, s1
	s_delay_alu instid0(VALU_DEP_3) | instskip(NEXT) | instid1(VALU_DEP_2)
	v_and_or_b32 v0, 0x80000000, v12, v0
	v_and_or_b32 v5, 0x80000000, v5, v11
	s_delay_alu instid0(VALU_DEP_1) | instskip(NEXT) | instid1(VALU_DEP_1)
	v_cmp_eq_f32_e64 s1, v0, v5
	v_cndmask_b32_e64 v11, 0, 1, s1
	v_cmp_neq_f32_e64 s1, v0, v5
	v_lshrrev_b32_e32 v5, 16, v3
	s_delay_alu instid0(VALU_DEP_2) | instskip(NEXT) | instid1(VALU_DEP_1)
	v_cndmask_b32_e64 v0, 0, 1, s1
	v_cndmask_b32_e64 v0, v0, v11, s0
	s_delay_alu instid0(VALU_DEP_1) | instskip(NEXT) | instid1(VALU_DEP_1)
	v_and_b32_e32 v0, 1, v0
	v_lshlrev_b16 v0, 8, v0
	s_delay_alu instid0(VALU_DEP_1) | instskip(NEXT) | instid1(VALU_DEP_1)
	v_bitop3_b16 v0, v5, v0, 0xff bitop3:0xec
	v_lshlrev_b32_e32 v0, 16, v0
	s_delay_alu instid0(VALU_DEP_1) | instskip(SKIP_2) | instid1(SALU_CYCLE_1)
	v_and_or_b32 v3, 0xffff, v3, v0
	s_or_b32 exec_lo, exec_lo, s3
	s_and_saveexec_b32 s0, vcc_lo
	s_xor_b32 s0, exec_lo, s0
	s_cbranch_execz .LBB266_64
.LBB266_81:
	s_wait_loadcnt_dscnt 0x0
	v_dual_mov_b32 v11, 0 :: v_dual_mov_b32 v6, v24
	s_delay_alu instid0(VALU_DEP_1) | instskip(SKIP_3) | instid1(SALU_CYCLE_1)
	v_add_nc_u64_e32 v[10:11], v[8:9], v[10:11]
	flat_store_b8 v[10:11], v2
	s_wait_xcnt 0x0
	s_or_b32 exec_lo, exec_lo, s0
	s_mov_b32 s0, exec_lo
	v_cmpx_lt_i32_e64 v6, v7
	s_cbranch_execz .LBB266_65
.LBB266_82:
	s_wait_loadcnt_dscnt 0x0
	v_dual_mov_b32 v11, 0 :: v_dual_add_nc_u32 v10, s2, v6
	v_lshrrev_b32_e32 v0, 8, v2
	v_add_nc_u32_e32 v6, 0x100, v6
	s_delay_alu instid0(VALU_DEP_3) | instskip(SKIP_3) | instid1(SALU_CYCLE_1)
	v_add_nc_u64_e32 v[10:11], v[8:9], v[10:11]
	flat_store_b8 v[10:11], v0
	s_wait_xcnt 0x0
	s_or_b32 exec_lo, exec_lo, s0
	s_mov_b32 s0, exec_lo
	v_cmpx_lt_i32_e64 v6, v7
	s_cbranch_execz .LBB266_66
.LBB266_83:
	s_wait_loadcnt_dscnt 0x0
	v_dual_mov_b32 v11, 0 :: v_dual_add_nc_u32 v10, s2, v6
	v_add_nc_u32_e32 v6, 0x100, v6
	s_delay_alu instid0(VALU_DEP_2) | instskip(SKIP_3) | instid1(SALU_CYCLE_1)
	v_add_nc_u64_e32 v[10:11], v[8:9], v[10:11]
	flat_store_d16_hi_b8 v[10:11], v2
	s_wait_xcnt 0x0
	s_or_b32 exec_lo, exec_lo, s0
	s_mov_b32 s0, exec_lo
	v_cmpx_lt_i32_e64 v6, v7
	s_cbranch_execz .LBB266_67
.LBB266_84:
	s_wait_loadcnt_dscnt 0x0
	v_dual_mov_b32 v11, 0 :: v_dual_add_nc_u32 v10, s2, v6
	v_lshrrev_b32_e32 v0, 24, v2
	v_add_nc_u32_e32 v6, 0x100, v6
	s_delay_alu instid0(VALU_DEP_3) | instskip(SKIP_3) | instid1(SALU_CYCLE_1)
	v_add_nc_u64_e32 v[10:11], v[8:9], v[10:11]
	flat_store_b8 v[10:11], v0
	s_wait_xcnt 0x0
	s_or_b32 exec_lo, exec_lo, s0
	s_mov_b32 s0, exec_lo
	v_cmpx_lt_i32_e64 v6, v7
	s_cbranch_execz .LBB266_68
.LBB266_85:
	s_wait_loadcnt_dscnt 0x0
	v_dual_mov_b32 v11, 0 :: v_dual_add_nc_u32 v10, s2, v6
	v_add_nc_u32_e32 v6, 0x100, v6
	s_delay_alu instid0(VALU_DEP_2) | instskip(SKIP_3) | instid1(SALU_CYCLE_1)
	v_add_nc_u64_e32 v[10:11], v[8:9], v[10:11]
	flat_store_b8 v[10:11], v1
	s_wait_xcnt 0x0
	s_or_b32 exec_lo, exec_lo, s0
	s_mov_b32 s0, exec_lo
	v_cmpx_lt_i32_e64 v6, v7
	s_cbranch_execz .LBB266_69
.LBB266_86:
	s_wait_loadcnt_dscnt 0x0
	v_dual_mov_b32 v11, 0 :: v_dual_add_nc_u32 v10, s2, v6
	v_lshrrev_b32_e32 v0, 8, v1
	v_add_nc_u32_e32 v6, 0x100, v6
	s_delay_alu instid0(VALU_DEP_3) | instskip(SKIP_3) | instid1(SALU_CYCLE_1)
	v_add_nc_u64_e32 v[10:11], v[8:9], v[10:11]
	flat_store_b8 v[10:11], v0
	s_wait_xcnt 0x0
	s_or_b32 exec_lo, exec_lo, s0
	s_mov_b32 s0, exec_lo
	v_cmpx_lt_i32_e64 v6, v7
	s_cbranch_execz .LBB266_70
.LBB266_87:
	s_wait_loadcnt_dscnt 0x0
	v_dual_mov_b32 v11, 0 :: v_dual_add_nc_u32 v10, s2, v6
	v_add_nc_u32_e32 v6, 0x100, v6
	s_delay_alu instid0(VALU_DEP_2) | instskip(SKIP_3) | instid1(SALU_CYCLE_1)
	v_add_nc_u64_e32 v[10:11], v[8:9], v[10:11]
	flat_store_d16_hi_b8 v[10:11], v1
	s_wait_xcnt 0x0
	s_or_b32 exec_lo, exec_lo, s0
	s_mov_b32 s0, exec_lo
	v_cmpx_lt_i32_e64 v6, v7
	s_cbranch_execz .LBB266_71
.LBB266_88:
	s_wait_loadcnt_dscnt 0x0
	v_dual_mov_b32 v11, 0 :: v_dual_add_nc_u32 v10, s2, v6
	v_lshrrev_b32_e32 v0, 24, v1
	v_add_nc_u32_e32 v6, 0x100, v6
	s_delay_alu instid0(VALU_DEP_3) | instskip(SKIP_3) | instid1(SALU_CYCLE_1)
	v_add_nc_u64_e32 v[10:11], v[8:9], v[10:11]
	flat_store_b8 v[10:11], v0
	s_wait_xcnt 0x0
	s_or_b32 exec_lo, exec_lo, s0
	s_mov_b32 s0, exec_lo
	v_cmpx_lt_i32_e64 v6, v7
	s_cbranch_execz .LBB266_72
.LBB266_89:
	v_dual_mov_b32 v1, 0 :: v_dual_add_nc_u32 v0, s2, v6
	v_add_nc_u32_e32 v6, 0x100, v6
	s_delay_alu instid0(VALU_DEP_2) | instskip(SKIP_3) | instid1(SALU_CYCLE_1)
	v_add_nc_u64_e32 v[0:1], v[8:9], v[0:1]
	flat_store_b8 v[0:1], v4
	s_wait_xcnt 0x0
	s_or_b32 exec_lo, exec_lo, s0
	s_mov_b32 s0, exec_lo
	v_cmpx_lt_i32_e64 v6, v7
	s_cbranch_execz .LBB266_73
.LBB266_90:
	v_dual_mov_b32 v1, 0 :: v_dual_add_nc_u32 v0, s2, v6
	v_lshrrev_b32_e32 v2, 8, v4
	v_add_nc_u32_e32 v6, 0x100, v6
	s_delay_alu instid0(VALU_DEP_3) | instskip(SKIP_3) | instid1(SALU_CYCLE_1)
	v_add_nc_u64_e32 v[0:1], v[8:9], v[0:1]
	flat_store_b8 v[0:1], v2
	s_wait_xcnt 0x0
	s_or_b32 exec_lo, exec_lo, s0
	s_mov_b32 s0, exec_lo
	v_cmpx_lt_i32_e64 v6, v7
	s_cbranch_execz .LBB266_74
.LBB266_91:
	v_dual_mov_b32 v1, 0 :: v_dual_add_nc_u32 v0, s2, v6
	v_add_nc_u32_e32 v6, 0x100, v6
	s_delay_alu instid0(VALU_DEP_2) | instskip(SKIP_3) | instid1(SALU_CYCLE_1)
	v_add_nc_u64_e32 v[0:1], v[8:9], v[0:1]
	flat_store_d16_hi_b8 v[0:1], v4
	s_wait_xcnt 0x0
	s_or_b32 exec_lo, exec_lo, s0
	s_mov_b32 s0, exec_lo
	v_cmpx_lt_i32_e64 v6, v7
	s_cbranch_execz .LBB266_75
.LBB266_92:
	v_dual_mov_b32 v1, 0 :: v_dual_add_nc_u32 v0, s2, v6
	v_lshrrev_b32_e32 v2, 24, v4
	v_add_nc_u32_e32 v6, 0x100, v6
	s_delay_alu instid0(VALU_DEP_3) | instskip(SKIP_3) | instid1(SALU_CYCLE_1)
	v_add_nc_u64_e32 v[0:1], v[8:9], v[0:1]
	flat_store_b8 v[0:1], v2
	s_wait_xcnt 0x0
	s_or_b32 exec_lo, exec_lo, s0
	s_mov_b32 s0, exec_lo
	v_cmpx_lt_i32_e64 v6, v7
	s_cbranch_execz .LBB266_76
.LBB266_93:
	v_dual_mov_b32 v1, 0 :: v_dual_add_nc_u32 v0, s2, v6
	v_add_nc_u32_e32 v6, 0x100, v6
	s_delay_alu instid0(VALU_DEP_2) | instskip(SKIP_3) | instid1(SALU_CYCLE_1)
	v_add_nc_u64_e32 v[0:1], v[8:9], v[0:1]
	flat_store_b8 v[0:1], v3
	s_wait_xcnt 0x0
	s_or_b32 exec_lo, exec_lo, s0
	s_mov_b32 s0, exec_lo
	v_cmpx_lt_i32_e64 v6, v7
	s_cbranch_execz .LBB266_77
.LBB266_94:
	v_dual_mov_b32 v1, 0 :: v_dual_add_nc_u32 v0, s2, v6
	v_lshrrev_b32_e32 v2, 8, v3
	v_add_nc_u32_e32 v6, 0x100, v6
	s_delay_alu instid0(VALU_DEP_3) | instskip(SKIP_3) | instid1(SALU_CYCLE_1)
	v_add_nc_u64_e32 v[0:1], v[8:9], v[0:1]
	flat_store_b8 v[0:1], v2
	s_wait_xcnt 0x0
	s_or_b32 exec_lo, exec_lo, s0
	s_mov_b32 s0, exec_lo
	v_cmpx_lt_i32_e64 v6, v7
	s_cbranch_execz .LBB266_78
.LBB266_95:
	v_dual_mov_b32 v1, 0 :: v_dual_add_nc_u32 v0, s2, v6
	v_add_nc_u32_e32 v6, 0x100, v6
	s_delay_alu instid0(VALU_DEP_2) | instskip(SKIP_3) | instid1(SALU_CYCLE_1)
	v_add_nc_u64_e32 v[0:1], v[8:9], v[0:1]
	flat_store_d16_hi_b8 v[0:1], v3
	s_wait_xcnt 0x0
	s_or_b32 exec_lo, exec_lo, s0
	s_mov_b32 s0, exec_lo
	v_cmpx_lt_i32_e64 v6, v7
	s_cbranch_execz .LBB266_79
.LBB266_96:
	v_dual_mov_b32 v1, 0 :: v_dual_add_nc_u32 v0, s2, v6
	v_lshrrev_b32_e32 v2, 24, v3
	s_delay_alu instid0(VALU_DEP_2)
	v_add_nc_u64_e32 v[0:1], v[8:9], v[0:1]
	flat_store_b8 v[0:1], v2
	s_wait_xcnt 0x0
	s_or_b32 exec_lo, exec_lo, s0
	s_wait_loadcnt_dscnt 0x0
	s_set_pc_i64 s[30:31]
.Lfunc_end266:
	.size	_ZN2at6native25elementwise_kernel_helperILb0ENS0_13BinaryFunctorIN3c1013Float8_e4m3fnES4_bNS0_12_GLOBAL__N_116CompareEqFunctorIS4_EEEENS0_6memory8policies11unroll_baseILi256ESt5arrayIPcLm3EE23TrivialOffsetCalculatorILi2EjESF_ILi1EjENS9_15LoadWithoutCastENS9_16StoreWithoutCastELi16ELi1EEEEEvT0_T1_, .Lfunc_end266-_ZN2at6native25elementwise_kernel_helperILb0ENS0_13BinaryFunctorIN3c1013Float8_e4m3fnES4_bNS0_12_GLOBAL__N_116CompareEqFunctorIS4_EEEENS0_6memory8policies11unroll_baseILi256ESt5arrayIPcLm3EE23TrivialOffsetCalculatorILi2EjESF_ILi1EjENS9_15LoadWithoutCastENS9_16StoreWithoutCastELi16ELi1EEEEEvT0_T1_
                                        ; -- End function
	.set .L_ZN2at6native25elementwise_kernel_helperILb0ENS0_13BinaryFunctorIN3c1013Float8_e4m3fnES4_bNS0_12_GLOBAL__N_116CompareEqFunctorIS4_EEEENS0_6memory8policies11unroll_baseILi256ESt5arrayIPcLm3EE23TrivialOffsetCalculatorILi2EjESF_ILi1EjENS9_15LoadWithoutCastENS9_16StoreWithoutCastELi16ELi1EEEEEvT0_T1_.num_vgpr, 67
	.set .L_ZN2at6native25elementwise_kernel_helperILb0ENS0_13BinaryFunctorIN3c1013Float8_e4m3fnES4_bNS0_12_GLOBAL__N_116CompareEqFunctorIS4_EEEENS0_6memory8policies11unroll_baseILi256ESt5arrayIPcLm3EE23TrivialOffsetCalculatorILi2EjESF_ILi1EjENS9_15LoadWithoutCastENS9_16StoreWithoutCastELi16ELi1EEEEEvT0_T1_.num_agpr, 0
	.set .L_ZN2at6native25elementwise_kernel_helperILb0ENS0_13BinaryFunctorIN3c1013Float8_e4m3fnES4_bNS0_12_GLOBAL__N_116CompareEqFunctorIS4_EEEENS0_6memory8policies11unroll_baseILi256ESt5arrayIPcLm3EE23TrivialOffsetCalculatorILi2EjESF_ILi1EjENS9_15LoadWithoutCastENS9_16StoreWithoutCastELi16ELi1EEEEEvT0_T1_.numbered_sgpr, 32
	.set .L_ZN2at6native25elementwise_kernel_helperILb0ENS0_13BinaryFunctorIN3c1013Float8_e4m3fnES4_bNS0_12_GLOBAL__N_116CompareEqFunctorIS4_EEEENS0_6memory8policies11unroll_baseILi256ESt5arrayIPcLm3EE23TrivialOffsetCalculatorILi2EjESF_ILi1EjENS9_15LoadWithoutCastENS9_16StoreWithoutCastELi16ELi1EEEEEvT0_T1_.num_named_barrier, 0
	.set .L_ZN2at6native25elementwise_kernel_helperILb0ENS0_13BinaryFunctorIN3c1013Float8_e4m3fnES4_bNS0_12_GLOBAL__N_116CompareEqFunctorIS4_EEEENS0_6memory8policies11unroll_baseILi256ESt5arrayIPcLm3EE23TrivialOffsetCalculatorILi2EjESF_ILi1EjENS9_15LoadWithoutCastENS9_16StoreWithoutCastELi16ELi1EEEEEvT0_T1_.private_seg_size, 0
	.set .L_ZN2at6native25elementwise_kernel_helperILb0ENS0_13BinaryFunctorIN3c1013Float8_e4m3fnES4_bNS0_12_GLOBAL__N_116CompareEqFunctorIS4_EEEENS0_6memory8policies11unroll_baseILi256ESt5arrayIPcLm3EE23TrivialOffsetCalculatorILi2EjESF_ILi1EjENS9_15LoadWithoutCastENS9_16StoreWithoutCastELi16ELi1EEEEEvT0_T1_.uses_vcc, 1
	.set .L_ZN2at6native25elementwise_kernel_helperILb0ENS0_13BinaryFunctorIN3c1013Float8_e4m3fnES4_bNS0_12_GLOBAL__N_116CompareEqFunctorIS4_EEEENS0_6memory8policies11unroll_baseILi256ESt5arrayIPcLm3EE23TrivialOffsetCalculatorILi2EjESF_ILi1EjENS9_15LoadWithoutCastENS9_16StoreWithoutCastELi16ELi1EEEEEvT0_T1_.uses_flat_scratch, 0
	.set .L_ZN2at6native25elementwise_kernel_helperILb0ENS0_13BinaryFunctorIN3c1013Float8_e4m3fnES4_bNS0_12_GLOBAL__N_116CompareEqFunctorIS4_EEEENS0_6memory8policies11unroll_baseILi256ESt5arrayIPcLm3EE23TrivialOffsetCalculatorILi2EjESF_ILi1EjENS9_15LoadWithoutCastENS9_16StoreWithoutCastELi16ELi1EEEEEvT0_T1_.has_dyn_sized_stack, 0
	.set .L_ZN2at6native25elementwise_kernel_helperILb0ENS0_13BinaryFunctorIN3c1013Float8_e4m3fnES4_bNS0_12_GLOBAL__N_116CompareEqFunctorIS4_EEEENS0_6memory8policies11unroll_baseILi256ESt5arrayIPcLm3EE23TrivialOffsetCalculatorILi2EjESF_ILi1EjENS9_15LoadWithoutCastENS9_16StoreWithoutCastELi16ELi1EEEEEvT0_T1_.has_recursion, 0
	.set .L_ZN2at6native25elementwise_kernel_helperILb0ENS0_13BinaryFunctorIN3c1013Float8_e4m3fnES4_bNS0_12_GLOBAL__N_116CompareEqFunctorIS4_EEEENS0_6memory8policies11unroll_baseILi256ESt5arrayIPcLm3EE23TrivialOffsetCalculatorILi2EjESF_ILi1EjENS9_15LoadWithoutCastENS9_16StoreWithoutCastELi16ELi1EEEEEvT0_T1_.has_indirect_call, 0
	.section	.AMDGPU.csdata,"",@progbits
; Function info:
; codeLenInByte = 10120
; TotalNumSgprs: 34
; NumVgprs: 67
; ScratchSize: 0
; MemoryBound: 0
	.section	.text._ZN2at6native29vectorized_elementwise_kernelILi16ENS0_13BinaryFunctorIN3c1013Float8_e4m3fnES4_bNS0_12_GLOBAL__N_116CompareEqFunctorIS4_EEEESt5arrayIPcLm3EEEEviT0_T1_,"axG",@progbits,_ZN2at6native29vectorized_elementwise_kernelILi16ENS0_13BinaryFunctorIN3c1013Float8_e4m3fnES4_bNS0_12_GLOBAL__N_116CompareEqFunctorIS4_EEEESt5arrayIPcLm3EEEEviT0_T1_,comdat
	.globl	_ZN2at6native29vectorized_elementwise_kernelILi16ENS0_13BinaryFunctorIN3c1013Float8_e4m3fnES4_bNS0_12_GLOBAL__N_116CompareEqFunctorIS4_EEEESt5arrayIPcLm3EEEEviT0_T1_ ; -- Begin function _ZN2at6native29vectorized_elementwise_kernelILi16ENS0_13BinaryFunctorIN3c1013Float8_e4m3fnES4_bNS0_12_GLOBAL__N_116CompareEqFunctorIS4_EEEESt5arrayIPcLm3EEEEviT0_T1_
	.p2align	8
	.type	_ZN2at6native29vectorized_elementwise_kernelILi16ENS0_13BinaryFunctorIN3c1013Float8_e4m3fnES4_bNS0_12_GLOBAL__N_116CompareEqFunctorIS4_EEEESt5arrayIPcLm3EEEEviT0_T1_,@function
_ZN2at6native29vectorized_elementwise_kernelILi16ENS0_13BinaryFunctorIN3c1013Float8_e4m3fnES4_bNS0_12_GLOBAL__N_116CompareEqFunctorIS4_EEEESt5arrayIPcLm3EEEEviT0_T1_: ; @_ZN2at6native29vectorized_elementwise_kernelILi16ENS0_13BinaryFunctorIN3c1013Float8_e4m3fnES4_bNS0_12_GLOBAL__N_116CompareEqFunctorIS4_EEEESt5arrayIPcLm3EEEEviT0_T1_
; %bb.0:
	s_clause 0x2
	s_load_b64 s[20:21], s[0:1], 0x0
	s_load_b128 s[16:19], s[0:1], 0x8
	s_load_b64 s[14:15], s[0:1], 0x18
	s_wait_xcnt 0x0
	s_bfe_u32 s0, ttmp6, 0x4000c
	s_and_b32 s1, ttmp6, 15
	s_add_co_i32 s0, s0, 1
	s_getreg_b32 s2, hwreg(HW_REG_IB_STS2, 6, 4)
	s_mul_i32 s0, ttmp9, s0
	s_mov_b32 s32, 0
	s_add_co_i32 s1, s1, s0
	s_cmp_eq_u32 s2, 0
	s_cselect_b32 s0, ttmp9, s1
	s_delay_alu instid0(SALU_CYCLE_1) | instskip(SKIP_3) | instid1(SALU_CYCLE_1)
	s_lshl_b32 s22, s0, 12
	s_mov_b32 s0, -1
	s_wait_kmcnt 0x0
	s_sub_co_i32 s20, s20, s22
	s_cmp_gt_i32 s20, 0xfff
	s_cbranch_scc1 .LBB267_3
; %bb.1:
	s_and_not1_b32 vcc_lo, exec_lo, s0
	s_cbranch_vccz .LBB267_4
.LBB267_2:
	s_sendmsg sendmsg(MSG_DEALLOC_VGPRS)
	s_endpgm
.LBB267_3:
	s_ashr_i32 s23, s22, 31
	s_cmp_eq_u32 s21, 0
	s_add_nc_u64 s[0:1], s[18:19], s[22:23]
	global_load_b128 v[6:9], v0, s[0:1] scale_offset
	s_wait_xcnt 0x0
	s_add_nc_u64 s[0:1], s[14:15], s[22:23]
	global_load_b128 v[2:5], v0, s[0:1] scale_offset
	s_wait_loadcnt 0x1
	v_and_b32_e32 v21, 0x7f000000, v7
	v_dual_lshlrev_b32 v19, 24, v7 :: v_dual_lshlrev_b32 v20, 8, v7
	s_wait_loadcnt 0x0
	v_and_b32_e32 v27, 0x7f000000, v3
	v_dual_lshlrev_b32 v25, 24, v3 :: v_dual_lshlrev_b32 v26, 8, v3
	v_clz_i32_u32_e32 v43, v21
	v_and_b32_e32 v41, 0x7f000000, v20
	s_delay_alu instid0(VALU_DEP_4)
	v_clz_i32_u32_e32 v46, v27
	v_add_nc_u32_e32 v57, 0x1000000, v27
	v_and_b32_e32 v22, 0x7f000000, v6
	v_min_u32_e32 v43, 32, v43
	v_and_b32_e32 v42, 0x7f000000, v19
	v_min_u32_e32 v46, 32, v46
	v_and_b32_e32 v47, 0x7f000000, v26
	v_cmp_ne_u32_e32 vcc_lo, 0, v21
	v_sub_nc_u32_e64 v43, v43, 4 clamp
	v_and_b32_e32 v48, 0x7f000000, v25
	v_sub_nc_u32_e64 v46, v46, 4 clamp
	v_clz_i32_u32_e32 v59, v42
	v_lshrrev_b16 v10, 8, v7
	v_dual_lshlrev_b32 v52, v43, v21 :: v_dual_lshlrev_b32 v43, 23, v43
	s_delay_alu instid0(VALU_DEP_4) | instskip(NEXT) | instid1(VALU_DEP_4)
	v_lshlrev_b32_e32 v55, v46, v27
	v_min_u32_e32 v59, 32, v59
	v_lshrrev_b16 v14, 8, v3
	s_delay_alu instid0(VALU_DEP_4) | instskip(NEXT) | instid1(VALU_DEP_4)
	v_dual_lshrrev_b32 v52, 4, v52 :: v_dual_lshlrev_b32 v46, 23, v46
	v_lshrrev_b32_e32 v55, 4, v55
	v_lshrrev_b16 v1, 8, v6
	v_lshrrev_b16 v13, 8, v2
	v_dual_lshlrev_b32 v10, 24, v10 :: v_dual_ashrrev_i32 v57, 8, v57
	s_delay_alu instid0(VALU_DEP_3) | instskip(NEXT) | instid1(VALU_DEP_3)
	v_dual_sub_nc_u32 v46, v55, v46 :: v_dual_lshlrev_b32 v1, 24, v1
	v_dual_lshlrev_b32 v13, 24, v13 :: v_dual_lshlrev_b32 v14, 24, v14
	v_cmp_ne_u32_e64 s1, 0, v41
	s_delay_alu instid0(VALU_DEP_3)
	v_add_nc_u32_e32 v46, 0x3c000000, v46
	v_cmp_ne_u32_e64 s2, 0, v48
	v_cmp_ne_u32_e64 s3, 0, v47
	;; [unrolled: 1-line block ×3, first 2 shown]
	v_and_b32_e32 v28, 0x7f000000, v2
	v_and_or_b32 v46, 0x7f800000, v57, v46
	v_add_nc_u32_e32 v56, 0x1000000, v21
	v_sub_nc_u32_e32 v43, v52, v43
	v_clz_i32_u32_e32 v57, v47
	v_clz_i32_u32_e32 v21, v48
	v_and_b32_e32 v34, 0x7f000000, v8
	v_ashrrev_i32_e32 v56, 8, v56
	v_add_nc_u32_e32 v43, 0x3c000000, v43
	v_clz_i32_u32_e32 v51, v22
	v_min_u32_e32 v21, 32, v21
	v_dual_lshlrev_b32 v17, 24, v6 :: v_dual_lshlrev_b32 v18, 8, v6
	s_delay_alu instid0(VALU_DEP_4)
	v_and_or_b32 v43, 0x7f800000, v56, v43
	v_clz_i32_u32_e32 v56, v41
	v_add_nc_u32_e32 v54, 0x1000000, v22
	v_sub_nc_u32_e64 v21, v21, 4 clamp
	v_and_b32_e32 v33, 0x7f000000, v9
	v_cndmask_b32_e32 v43, 0, v43, vcc_lo
	v_min_u32_e32 v56, 32, v56
	v_cmp_ne_u32_e32 vcc_lo, 0, v27
	v_clz_i32_u32_e32 v53, v28
	v_min_u32_e32 v51, 32, v51
	v_and_or_b32 v7, 0x80000000, v7, v43
	v_sub_nc_u32_e64 v56, v56, 4 clamp
	v_cndmask_b32_e32 v27, 0, v46, vcc_lo
	v_min_u32_e32 v46, 32, v57
	v_dual_lshlrev_b32 v23, 24, v2 :: v_dual_lshlrev_b32 v24, 8, v2
	v_and_b32_e32 v44, 0x7f000000, v18
	s_delay_alu instid0(VALU_DEP_4)
	v_and_or_b32 v3, 0x80000000, v3, v27
	v_sub_nc_u32_e64 v27, v59, 4 clamp
	v_sub_nc_u32_e64 v43, v46, 4 clamp
	v_lshlrev_b32_e32 v46, v56, v41
	v_and_b32_e32 v45, 0x7f000000, v17
	v_cmp_eq_f32_e64 s0, v7, v3
	v_cmp_neq_f32_e32 vcc_lo, v7, v3
	v_dual_lshlrev_b32 v3, v27, v42 :: v_dual_lshlrev_b32 v7, 23, v56
	v_dual_lshlrev_b32 v56, v43, v47 :: v_dual_lshrrev_b32 v46, 4, v46
	v_lshlrev_b32_e32 v27, 23, v27
	s_delay_alu instid0(VALU_DEP_3) | instskip(NEXT) | instid1(VALU_DEP_3)
	v_lshrrev_b32_e32 v3, 4, v3
	v_dual_lshlrev_b32 v43, 23, v43 :: v_dual_lshrrev_b32 v56, 4, v56
	s_delay_alu instid0(VALU_DEP_4) | instskip(NEXT) | instid1(VALU_DEP_3)
	v_dual_sub_nc_u32 v7, v46, v7 :: v_dual_lshlrev_b32 v46, v21, v48
	v_sub_nc_u32_e32 v3, v3, v27
	v_add_nc_u32_e32 v27, 0x1000000, v41
	s_delay_alu instid0(VALU_DEP_4) | instskip(NEXT) | instid1(VALU_DEP_4)
	v_dual_lshlrev_b32 v21, 23, v21 :: v_dual_sub_nc_u32 v43, v56, v43
	v_lshrrev_b32_e32 v46, 4, v46
	v_add_nc_u32_e32 v56, 0x1000000, v42
	s_delay_alu instid0(VALU_DEP_4)
	v_ashrrev_i32_e32 v27, 8, v27
	v_add_nc_u32_e32 v7, 0x3c000000, v7
	v_add_nc_u32_e32 v3, 0x3c000000, v3
	v_sub_nc_u32_e32 v21, v46, v21
	v_add_nc_u32_e32 v46, 0x1000000, v47
	v_ashrrev_i32_e32 v56, 8, v56
	v_and_or_b32 v7, 0x7f800000, v27, v7
	v_add_nc_u32_e32 v27, 0x1000000, v48
	v_add_nc_u32_e32 v43, 0x3c000000, v43
	v_ashrrev_i32_e32 v46, 8, v46
	v_add_nc_u32_e32 v21, 0x3c000000, v21
	v_and_b32_e32 v41, 0x7f000000, v1
	v_ashrrev_i32_e32 v27, 8, v27
	v_and_or_b32 v3, 0x7f800000, v56, v3
	v_and_or_b32 v43, 0x7f800000, v46, v43
	v_and_b32_e32 v46, 0x7f000000, v13
	v_clz_i32_u32_e32 v48, v41
	v_and_or_b32 v21, 0x7f800000, v27, v21
	v_cndmask_b32_e64 v3, 0, v3, s4
	v_clz_i32_u32_e32 v27, v34
	v_clz_i32_u32_e32 v47, v46
	v_min_u32_e32 v48, 32, v48
	v_cndmask_b32_e64 v21, 0, v21, s2
	v_and_or_b32 v3, 0x80000000, v19, v3
	v_cmp_ne_u32_e64 s5, 0, v41
	v_min_u32_e32 v47, 32, v47
	v_sub_nc_u32_e64 v48, v48, 4 clamp
	v_and_or_b32 v21, 0x80000000, v25, v21
	v_cndmask_b32_e64 v7, 0, v7, s1
	v_cmp_ne_u32_e64 s6, 0, v46
	v_sub_nc_u32_e64 v47, v47, 4 clamp
	v_cndmask_b32_e64 v43, 0, v43, s3
	v_cmp_eq_f32_e64 s2, v3, v21
	v_cmp_neq_f32_e64 s1, v3, v21
	v_lshlrev_b32_e32 v21, v48, v41
	v_and_or_b32 v7, 0x80000000, v20, v7
	v_lshlrev_b32_e32 v20, v47, v46
	v_and_or_b32 v26, 0x80000000, v26, v43
	v_dual_lshlrev_b32 v48, 23, v48 :: v_dual_lshlrev_b32 v47, 23, v47
	s_delay_alu instid0(VALU_DEP_3) | instskip(NEXT) | instid1(VALU_DEP_3)
	v_dual_lshrrev_b32 v21, 4, v21 :: v_dual_lshrrev_b32 v20, 4, v20
	v_cmp_eq_f32_e64 s4, v7, v26
	v_cmp_neq_f32_e64 s3, v7, v26
	v_add_nc_u32_e32 v26, 0x1000000, v41
	s_delay_alu instid0(VALU_DEP_4) | instskip(SKIP_2) | instid1(VALU_DEP_4)
	v_dual_sub_nc_u32 v21, v21, v48 :: v_dual_sub_nc_u32 v20, v20, v47
	v_add_nc_u32_e32 v47, 0x1000000, v46
	v_clz_i32_u32_e32 v42, v33
	v_ashrrev_i32_e32 v26, 8, v26
	s_delay_alu instid0(VALU_DEP_4)
	v_add_nc_u32_e32 v21, 0x3c000000, v21
	v_add_nc_u32_e32 v20, 0x3c000000, v20
	v_ashrrev_i32_e32 v47, 8, v47
	v_min_u32_e32 v53, 32, v53
	v_min_u32_e32 v27, 32, v27
	v_and_or_b32 v21, 0x7f800000, v26, v21
	v_sub_nc_u32_e64 v51, v51, 4 clamp
	v_and_or_b32 v20, 0x7f800000, v47, v20
	v_dual_lshlrev_b32 v29, 24, v8 :: v_dual_lshlrev_b32 v30, 8, v8
	s_delay_alu instid0(VALU_DEP_4) | instskip(SKIP_1) | instid1(VALU_DEP_4)
	v_cndmask_b32_e64 v21, 0, v21, s5
	v_and_b32_e32 v49, 0x7f000000, v24
	v_cndmask_b32_e64 v20, 0, v20, s6
	v_clz_i32_u32_e32 v25, v45
	v_clz_i32_u32_e32 v7, v44
	v_min_u32_e32 v42, 32, v42
	v_and_or_b32 v1, 0x80000000, v1, v21
	v_sub_nc_u32_e64 v53, v53, 4 clamp
	v_sub_nc_u32_e64 v27, v27, 4 clamp
	v_and_or_b32 v13, 0x80000000, v13, v20
	v_dual_lshlrev_b32 v20, v51, v22 :: v_dual_lshlrev_b32 v51, 23, v51
	v_and_b32_e32 v50, 0x7f000000, v23
	v_and_b32_e32 v55, 0x7f000000, v30
	v_clz_i32_u32_e32 v48, v49
	v_min_u32_e32 v25, 32, v25
	v_min_u32_e32 v7, 32, v7
	v_sub_nc_u32_e64 v42, v42, 4 clamp
	v_cmp_eq_f32_e64 s5, v1, v13
	v_cmp_neq_f32_e64 s6, v1, v13
	v_dual_lshlrev_b32 v1, v53, v28 :: v_dual_lshlrev_b32 v13, 23, v53
	v_dual_lshrrev_b32 v20, 4, v20 :: v_dual_lshlrev_b32 v53, v27, v34
	v_dual_lshlrev_b32 v31, 24, v9 :: v_dual_lshlrev_b32 v32, 8, v9
	v_and_b32_e32 v56, 0x7f000000, v29
	v_clz_i32_u32_e32 v43, v50
	v_clz_i32_u32_e32 v41, v55
	v_min_u32_e32 v48, 32, v48
	v_sub_nc_u32_e64 v25, v25, 4 clamp
	v_sub_nc_u32_e64 v7, v7, 4 clamp
	v_dual_sub_nc_u32 v20, v20, v51 :: v_dual_lshlrev_b32 v51, v42, v33
	v_dual_lshrrev_b32 v1, 4, v1 :: v_dual_lshlrev_b32 v27, 23, v27
	v_dual_lshrrev_b32 v53, 4, v53 :: v_dual_lshlrev_b32 v42, 23, v42
	v_and_b32_e32 v52, 0x7f000000, v32
	v_and_b32_e32 v58, 0x7f000000, v31
	v_clz_i32_u32_e32 v26, v56
	v_min_u32_e32 v43, 32, v43
	v_min_u32_e32 v41, 32, v41
	v_sub_nc_u32_e64 v48, v48, 4 clamp
	v_dual_sub_nc_u32 v1, v1, v13 :: v_dual_lshlrev_b32 v13, v7, v44
	v_sub_nc_u32_e32 v27, v53, v27
	v_dual_lshlrev_b32 v53, v25, v45 :: v_dual_lshrrev_b32 v51, 4, v51
	v_clz_i32_u32_e32 v47, v58
	v_clz_i32_u32_e32 v46, v52
	v_min_u32_e32 v26, 32, v26
	v_sub_nc_u32_e64 v43, v43, 4 clamp
	v_sub_nc_u32_e64 v41, v41, 4 clamp
	v_dual_lshlrev_b32 v7, 23, v7 :: v_dual_lshlrev_b32 v25, 23, v25
	v_lshrrev_b32_e32 v13, 4, v13
	v_dual_lshrrev_b32 v53, 4, v53 :: v_dual_sub_nc_u32 v42, v51, v42
	v_lshlrev_b32_e32 v51, v48, v49
	v_and_b32_e32 v19, 0x7f000000, v10
	v_min_u32_e32 v47, 32, v47
	v_min_u32_e32 v46, 32, v46
	v_sub_nc_u32_e64 v26, v26, 4 clamp
	v_dual_sub_nc_u32 v7, v13, v7 :: v_dual_lshlrev_b32 v13, v43, v50
	v_dual_lshlrev_b32 v48, 23, v48 :: v_dual_sub_nc_u32 v25, v53, v25
	v_lshrrev_b32_e32 v51, 4, v51
	s_delay_alu instid0(VALU_DEP_3)
	v_dual_lshlrev_b32 v53, v41, v55 :: v_dual_lshrrev_b32 v13, 4, v13
	v_clz_i32_u32_e32 v21, v19
	v_sub_nc_u32_e64 v47, v47, 4 clamp
	v_sub_nc_u32_e64 v46, v46, 4 clamp
	v_dual_lshlrev_b32 v43, 23, v43 :: v_dual_lshlrev_b32 v41, 23, v41
	v_dual_lshrrev_b32 v53, 4, v53 :: v_dual_sub_nc_u32 v48, v51, v48
	s_delay_alu instid0(VALU_DEP_2) | instskip(SKIP_2) | instid1(VALU_DEP_4)
	v_dual_lshlrev_b32 v51, v26, v56 :: v_dual_sub_nc_u32 v13, v13, v43
	v_and_b32_e32 v3, 0x7f000000, v14
	v_min_u32_e32 v21, 32, v21
	v_dual_lshlrev_b32 v43, v46, v52 :: v_dual_sub_nc_u32 v41, v53, v41
	s_delay_alu instid0(VALU_DEP_4) | instskip(NEXT) | instid1(VALU_DEP_2)
	v_dual_lshlrev_b32 v53, v47, v58 :: v_dual_lshrrev_b32 v51, 4, v51
	v_dual_lshlrev_b32 v26, 23, v26 :: v_dual_lshrrev_b32 v43, 4, v43
	s_delay_alu instid0(VALU_DEP_4) | instskip(SKIP_1) | instid1(VALU_DEP_3)
	v_sub_nc_u32_e64 v21, v21, 4 clamp
	v_dual_lshlrev_b32 v46, 23, v46 :: v_dual_lshlrev_b32 v47, 23, v47
	v_dual_lshrrev_b32 v53, 4, v53 :: v_dual_sub_nc_u32 v26, v51, v26
	v_clz_i32_u32_e32 v51, v3
	v_lshrrev_b16 v11, 8, v8
	v_lshrrev_b16 v12, 8, v9
	s_delay_alu instid0(VALU_DEP_4) | instskip(SKIP_4) | instid1(VALU_DEP_4)
	v_dual_sub_nc_u32 v43, v43, v46 :: v_dual_sub_nc_u32 v47, v53, v47
	v_lshlrev_b32_e32 v53, v21, v19
	v_min_u32_e32 v51, 32, v51
	v_lshrrev_b16 v15, 8, v4
	v_dual_lshlrev_b32 v11, 24, v11 :: v_dual_lshlrev_b32 v21, 23, v21
	v_dual_lshlrev_b32 v12, 24, v12 :: v_dual_lshrrev_b32 v53, 4, v53
	v_ashrrev_i32_e32 v54, 8, v54
	v_sub_nc_u32_e64 v51, v51, 4 clamp
	v_lshrrev_b16 v16, 8, v5
	s_delay_alu instid0(VALU_DEP_4) | instskip(SKIP_1) | instid1(VALU_DEP_3)
	v_dual_lshlrev_b32 v15, 24, v15 :: v_dual_sub_nc_u32 v21, v53, v21
	v_add_nc_u32_e32 v46, 0x1000000, v28
	v_dual_lshlrev_b32 v53, v51, v3 :: v_dual_lshlrev_b32 v16, 24, v16
	v_lshlrev_b32_e32 v51, 23, v51
	v_cmp_ne_u32_e64 s7, 0, v22
	v_add_nc_u32_e32 v22, 0x1000000, v44
	s_delay_alu instid0(VALU_DEP_4) | instskip(SKIP_3) | instid1(VALU_DEP_4)
	v_dual_lshrrev_b32 v53, 4, v53 :: v_dual_ashrrev_i32 v46, 8, v46
	v_add_nc_u32_e32 v7, 0x3c000000, v7
	v_add_nc_u32_e32 v25, 0x3c000000, v25
	;; [unrolled: 1-line block ×3, first 2 shown]
	v_sub_nc_u32_e32 v51, v53, v51
	v_add_nc_u32_e32 v53, 0x1000000, v45
	v_ashrrev_i32_e32 v22, 8, v22
	v_add_nc_u32_e32 v20, 0x3c000000, v20
	v_cmp_ne_u32_e64 s10, 0, v44
	v_cmp_ne_u32_e64 s11, 0, v50
	v_ashrrev_i32_e32 v53, 8, v53
	v_and_or_b32 v7, 0x7f800000, v22, v7
	v_add_nc_u32_e32 v22, 0x1000000, v49
	v_and_or_b32 v20, 0x7f800000, v54, v20
	v_add_nc_u32_e32 v21, 0x3c000000, v21
	;; [unrolled: 2-line block ×3, first 2 shown]
	v_ashrrev_i32_e32 v22, 8, v22
	v_add_nc_u32_e32 v50, 0x1000000, v3
	v_cmp_ne_u32_e64 s12, 0, v49
	v_add_nc_u32_e32 v1, 0x3c000000, v1
	v_ashrrev_i32_e32 v53, 8, v53
	v_and_or_b32 v22, 0x7f800000, v22, v48
	v_add_nc_u32_e32 v48, 0x1000000, v19
	v_cmp_ne_u32_e64 s9, 0, v45
	v_add_nc_u32_e32 v13, 0x3c000000, v13
	v_ashrrev_i32_e32 v50, 8, v50
	v_add_nc_u32_e32 v51, 0x3c000000, v51
	v_ashrrev_i32_e32 v48, 8, v48
	v_cmp_ne_u32_e64 s13, 0, v19
	v_dual_cndmask_b32 v7, 0, v7, s10 :: v_dual_cndmask_b32 v25, 0, v25, s9
	v_dual_cndmask_b32 v22, 0, v22, s12 :: v_dual_cndmask_b32 v20, 0, v20, s7
	s_delay_alu instid0(VALU_DEP_4)
	v_and_or_b32 v21, 0x7f800000, v48, v21
	v_and_or_b32 v1, 0x7f800000, v46, v1
	v_cmp_ne_u32_e64 s8, 0, v28
	v_and_or_b32 v13, 0x7f800000, v53, v13
	v_and_or_b32 v50, 0x7f800000, v50, v51
	v_cmp_ne_u32_e64 s10, 0, v3
	v_and_or_b32 v7, 0x80000000, v18, v7
	v_and_or_b32 v22, 0x80000000, v24, v22
	;; [unrolled: 1-line block ×3, first 2 shown]
	v_cndmask_b32_e64 v20, 0, v21, s13
	v_dual_cndmask_b32 v1, 0, v1, s8 :: v_dual_cndmask_b32 v21, 0, v50, s10
	v_cndmask_b32_e64 v13, 0, v13, s11
	v_and_or_b32 v17, 0x80000000, v17, v25
	s_delay_alu instid0(VALU_DEP_4)
	v_and_or_b32 v10, 0x80000000, v10, v20
	v_cndmask_b32_e64 v20, 0, 1, s0
	v_cmp_eq_f32_e64 s0, v7, v22
	v_and_or_b32 v1, 0x80000000, v2, v1
	v_and_or_b32 v2, 0x80000000, v23, v13
	;; [unrolled: 1-line block ×3, first 2 shown]
	v_and_b32_e32 v49, 0x7f000000, v12
	v_cndmask_b32_e64 v21, 0, 1, s0
	v_cmp_neq_f32_e64 s0, v7, v22
	v_cmp_neq_f32_e64 s7, v6, v1
	v_cmp_eq_f32_e64 s8, v6, v1
	v_and_b32_e32 v48, 0x7f000000, v11
	v_dual_lshlrev_b32 v37, 24, v5 :: v_dual_lshlrev_b32 v38, 8, v5
	v_cndmask_b32_e64 v7, 0, 1, s0
	v_cmp_eq_f32_e64 s0, v17, v2
	v_cndmask_b32_e64 v1, 0, 1, s8
	v_cndmask_b32_e64 v6, 0, 1, s7
	v_clz_i32_u32_e32 v13, v48
	v_and_b32_e32 v46, 0x7f000000, v37
	v_cndmask_b32_e64 v22, 0, 1, s0
	v_cmp_neq_f32_e64 s0, v17, v2
	v_cndmask_b32_e64 v17, 0, 1, s4
	v_min_u32_e32 v13, 32, v13
	v_add_nc_u32_e32 v24, 0x1000000, v55
	v_add_nc_u32_e32 v53, 0x1000000, v34
	v_cndmask_b32_e64 v2, 0, 1, s0
	s_cselect_b32 s0, -1, 0
	v_sub_nc_u32_e64 v13, v13, 4 clamp
	v_cndmask_b32_e64 v7, v7, v21, s0
	v_cndmask_b32_e64 v21, 0, 1, s3
	;; [unrolled: 1-line block ×3, first 2 shown]
	v_cndmask_b32_e64 v6, 0, 1, vcc_lo
	v_cndmask_b32_e64 v2, v2, v22, s0
	v_cndmask_b32_e64 v22, 0, 1, s2
	;; [unrolled: 1-line block ×4, first 2 shown]
	v_cmp_neq_f32_e32 vcc_lo, v10, v14
	v_cmp_eq_f32_e64 s1, v10, v14
	v_cndmask_b32_e64 v6, v6, v20, s0
	v_cndmask_b32_e64 v20, 0, 1, s5
	;; [unrolled: 1-line block ×5, first 2 shown]
	v_cndmask_b32_e64 v14, 0, 1, vcc_lo
	v_and_b32_e32 v6, 1, v6
	v_clz_i32_u32_e32 v25, v46
	v_cndmask_b32_e64 v20, v22, v20, s0
	v_clz_i32_u32_e32 v22, v49
	v_cndmask_b32_e64 v10, v14, v10, s0
	v_lshlrev_b16 v6, 8, v6
	v_ashrrev_i32_e32 v24, 8, v24
	v_and_b32_e32 v20, 1, v20
	v_min_u32_e32 v22, 32, v22
	v_and_b32_e32 v10, 1, v10
	v_bitop3_b16 v6, v17, v6, 1 bitop3:0xec
	v_lshlrev_b32_e32 v17, v13, v48
	v_lshlrev_b16 v20, 8, v20
	v_sub_nc_u32_e64 v22, v22, 4 clamp
	s_delay_alu instid0(VALU_DEP_4) | instskip(SKIP_1) | instid1(VALU_DEP_4)
	v_dual_lshlrev_b32 v13, 23, v13 :: v_dual_lshlrev_b32 v6, 16, v6
	v_and_b32_e32 v1, 1, v1
	v_bitop3_b16 v2, v2, v20, 1 bitop3:0xec
	s_delay_alu instid0(VALU_DEP_4) | instskip(SKIP_3) | instid1(VALU_DEP_3)
	v_lshlrev_b32_e32 v20, v22, v49
	v_dual_lshrrev_b32 v17, 4, v17 :: v_dual_lshlrev_b32 v22, 23, v22
	v_min_u32_e32 v23, 32, v25
	v_add_nc_u32_e32 v25, 0x3c000000, v41
	v_dual_lshrrev_b32 v20, 4, v20 :: v_dual_sub_nc_u32 v13, v17, v13
	v_add_nc_u32_e32 v17, 0x1000000, v56
	v_add_nc_u32_e32 v27, 0x3c000000, v27
	;; [unrolled: 1-line block ×3, first 2 shown]
	s_delay_alu instid0(VALU_DEP_4)
	v_sub_nc_u32_e32 v20, v20, v22
	v_add_nc_u32_e32 v22, 0x1000000, v48
	v_ashrrev_i32_e32 v41, 8, v53
	v_ashrrev_i32_e32 v17, 8, v17
	v_add_nc_u32_e32 v13, 0x3c000000, v13
	v_add_nc_u32_e32 v20, 0x3c000000, v20
	v_ashrrev_i32_e32 v22, 8, v22
	v_and_or_b32 v27, 0x7f800000, v41, v27
	v_add_nc_u32_e32 v41, 0x1000000, v49
	v_and_or_b32 v17, 0x7f800000, v17, v26
	v_add_nc_u32_e32 v26, 0x1000000, v58
	;; [unrolled: 2-line block ×3, first 2 shown]
	v_ashrrev_i32_e32 v41, 8, v41
	v_and_or_b32 v24, 0x7f800000, v24, v25
	v_add_nc_u32_e32 v25, 0x1000000, v33
	v_ashrrev_i32_e32 v26, 8, v26
	v_ashrrev_i32_e32 v22, 8, v22
	v_and_or_b32 v20, 0x7f800000, v41, v20
	v_add_nc_u32_e32 v47, 0x3c000000, v47
	v_cmp_ne_u32_e32 vcc_lo, 0, v49
	v_ashrrev_i32_e32 v25, 8, v25
	v_add_nc_u32_e32 v42, 0x3c000000, v42
	v_add_nc_u32_e32 v43, 0x3c000000, v43
	v_and_or_b32 v26, 0x7f800000, v26, v47
	v_cndmask_b32_e32 v20, 0, v20, vcc_lo
	v_cmp_ne_u32_e32 vcc_lo, 0, v58
	v_and_or_b32 v25, 0x7f800000, v25, v42
	v_and_or_b32 v22, 0x7f800000, v22, v43
	v_dual_lshlrev_b32 v35, 24, v4 :: v_dual_lshlrev_b32 v36, 8, v4
	v_cndmask_b32_e32 v26, 0, v26, vcc_lo
	v_cmp_ne_u32_e32 vcc_lo, 0, v33
	v_and_b32_e32 v19, 0x7f000000, v16
	v_lshlrev_b16 v10, 8, v10
	v_and_b32_e32 v28, 0x7f000000, v36
	v_and_b32_e32 v39, 0x7f000000, v5
	v_cndmask_b32_e32 v25, 0, v25, vcc_lo
	v_cmp_ne_u32_e32 vcc_lo, 0, v52
	v_and_b32_e32 v40, 0x7f000000, v4
	v_and_b32_e32 v54, 0x7f000000, v38
	;; [unrolled: 1-line block ×3, first 2 shown]
	v_clz_i32_u32_e32 v18, v28
	v_cndmask_b32_e32 v22, 0, v22, vcc_lo
	v_cmp_ne_u32_e32 vcc_lo, 0, v34
	v_bitop3_b16 v10, v21, v10, 1 bitop3:0xec
	v_clz_i32_u32_e32 v21, v19
	v_clz_i32_u32_e32 v44, v40
	v_and_b32_e32 v51, 0x7f000000, v15
	v_cndmask_b32_e32 v27, 0, v27, vcc_lo
	v_cmp_ne_u32_e32 vcc_lo, 0, v55
	v_clz_i32_u32_e32 v3, v45
	v_min_u32_e32 v18, 32, v18
	v_clz_i32_u32_e32 v41, v54
	v_min_u32_e32 v21, 32, v21
	v_cndmask_b32_e32 v24, 0, v24, vcc_lo
	v_cmp_ne_u32_e32 vcc_lo, 0, v56
	v_and_or_b32 v8, 0x80000000, v8, v27
	v_clz_i32_u32_e32 v27, v39
	v_min_u32_e32 v44, 32, v44
	v_min_u32_e32 v3, 32, v3
	v_cndmask_b32_e32 v17, 0, v17, vcc_lo
	v_cmp_ne_u32_e32 vcc_lo, 0, v48
	v_clz_i32_u32_e32 v14, v51
	v_min_u32_e32 v41, 32, v41
	v_and_or_b32 v12, 0x80000000, v12, v20
	v_sub_nc_u32_e64 v20, v21, 4 clamp
	v_cndmask_b32_e32 v13, 0, v13, vcc_lo
	v_sub_nc_u32_e64 v18, v18, 4 clamp
	v_min_u32_e32 v14, 32, v14
	v_and_or_b32 v9, 0x80000000, v9, v25
	v_and_or_b32 v25, 0x80000000, v31, v26
	;; [unrolled: 1-line block ×4, first 2 shown]
	v_min_u32_e32 v22, 32, v27
	v_add_nc_u32_e32 v27, 0x1000000, v28
	v_sub_nc_u32_e64 v21, v23, 4 clamp
	v_sub_nc_u32_e64 v23, v41, 4 clamp
	;; [unrolled: 1-line block ×5, first 2 shown]
	v_dual_ashrrev_i32 v27, 8, v27 :: v_dual_lshlrev_b32 v42, v18, v28
	v_dual_lshlrev_b32 v47, v20, v19 :: v_dual_lshlrev_b32 v48, v21, v46
	v_sub_nc_u32_e64 v14, v14, 4 clamp
	s_delay_alu instid0(VALU_DEP_4) | instskip(SKIP_1) | instid1(VALU_DEP_4)
	v_dual_lshlrev_b32 v43, v26, v40 :: v_dual_lshlrev_b32 v44, v3, v45
	v_dual_lshlrev_b32 v49, v22, v39 :: v_dual_lshlrev_b32 v50, v23, v54
	v_dual_lshrrev_b32 v47, 4, v47 :: v_dual_lshrrev_b32 v42, 4, v42
	v_dual_lshlrev_b32 v20, 23, v20 :: v_dual_lshlrev_b32 v18, 23, v18
	v_lshlrev_b32_e32 v3, 23, v3
	v_add_nc_u32_e32 v31, 0x1000000, v19
	v_dual_lshlrev_b32 v52, v14, v51 :: v_dual_lshrrev_b32 v48, 4, v48
	v_dual_lshrrev_b32 v49, 4, v49 :: v_dual_lshrrev_b32 v44, 4, v44
	v_dual_lshrrev_b32 v43, 4, v43 :: v_dual_lshlrev_b32 v21, 23, v21
	v_lshlrev_b32_e32 v22, 23, v22
	v_dual_lshlrev_b32 v26, 23, v26 :: v_dual_lshlrev_b32 v23, 23, v23
	v_dual_sub_nc_u32 v18, v42, v18 :: v_dual_sub_nc_u32 v20, v47, v20
	v_add_nc_u32_e32 v32, 0x1000000, v46
	s_delay_alu instid0(VALU_DEP_3) | instskip(SKIP_1) | instid1(VALU_DEP_4)
	v_dual_ashrrev_i32 v31, 8, v31 :: v_dual_sub_nc_u32 v26, v43, v26
	v_sub_nc_u32_e32 v21, v48, v21
	v_add_nc_u32_e32 v20, 0x3c000000, v20
	v_add_nc_u32_e32 v33, 0x1000000, v39
	v_dual_ashrrev_i32 v32, 8, v32 :: v_dual_lshrrev_b32 v50, 4, v50
	v_dual_lshrrev_b32 v52, 4, v52 :: v_dual_lshlrev_b32 v14, 23, v14
	v_dual_sub_nc_u32 v3, v44, v3 :: v_dual_sub_nc_u32 v22, v49, v22
	s_delay_alu instid0(VALU_DEP_3)
	v_sub_nc_u32_e32 v23, v50, v23
	v_add_nc_u32_e32 v21, 0x3c000000, v21
	v_and_or_b32 v20, 0x7f800000, v31, v20
	v_cmp_ne_u32_e32 vcc_lo, 0, v19
	v_add_nc_u32_e32 v34, 0x1000000, v54
	v_add_nc_u32_e32 v41, 0x1000000, v51
	v_dual_ashrrev_i32 v33, 8, v33 :: v_dual_sub_nc_u32 v14, v52, v14
	v_add_nc_u32_e32 v22, 0x3c000000, v22
	v_and_or_b32 v21, 0x7f800000, v32, v21
	v_cndmask_b32_e32 v19, 0, v20, vcc_lo
	v_cmp_ne_u32_e32 vcc_lo, 0, v46
	v_and_or_b32 v24, 0x80000000, v30, v24
	v_and_or_b32 v17, 0x80000000, v29, v17
	v_add_nc_u32_e32 v29, 0x1000000, v40
	v_add_nc_u32_e32 v30, 0x1000000, v45
	v_dual_ashrrev_i32 v34, 8, v34 :: v_dual_ashrrev_i32 v41, 8, v41
	v_add_nc_u32_e32 v14, 0x3c000000, v14
	v_and_or_b32 v22, 0x7f800000, v33, v22
	v_cndmask_b32_e32 v20, 0, v21, vcc_lo
	v_cmp_ne_u32_e32 vcc_lo, 0, v39
	v_dual_ashrrev_i32 v30, 8, v30 :: v_dual_ashrrev_i32 v29, 8, v29
	v_add_nc_u32_e32 v26, 0x3c000000, v26
	v_and_or_b32 v14, 0x7f800000, v41, v14
	v_cndmask_b32_e32 v21, 0, v22, vcc_lo
	v_cmp_ne_u32_e32 vcc_lo, 0, v51
	v_add_nc_u32_e32 v18, 0x3c000000, v18
	v_and_or_b32 v26, 0x7f800000, v29, v26
	v_add_nc_u32_e32 v3, 0x3c000000, v3
	v_dual_cndmask_b32 v14, 0, v14 :: v_dual_add_nc_u32 v23, 0x3c000000, v23
	v_cmp_ne_u32_e32 vcc_lo, 0, v40
	v_and_or_b32 v18, 0x7f800000, v27, v18
	s_delay_alu instid0(VALU_DEP_4) | instskip(NEXT) | instid1(VALU_DEP_4)
	v_and_or_b32 v3, 0x7f800000, v30, v3
	v_and_or_b32 v23, 0x7f800000, v34, v23
	;; [unrolled: 1-line block ×3, first 2 shown]
	v_cndmask_b32_e32 v22, 0, v26, vcc_lo
	v_cmp_ne_u32_e32 vcc_lo, 0, v28
	v_and_or_b32 v16, 0x80000000, v16, v19
	v_and_or_b32 v5, 0x80000000, v5, v21
	v_lshlrev_b16 v1, 8, v1
	v_and_or_b32 v4, 0x80000000, v4, v22
	v_cndmask_b32_e32 v18, 0, v18, vcc_lo
	v_cmp_ne_u32_e32 vcc_lo, 0, v45
	v_and_b32_e32 v10, 0xffff, v10
	v_bitop3_b16 v1, v7, v1, 1 bitop3:0xec
	v_and_b32_e32 v2, 0xffff, v2
	v_and_or_b32 v18, 0x80000000, v36, v18
	v_cndmask_b32_e32 v3, 0, v3, vcc_lo
	v_cmp_ne_u32_e32 vcc_lo, 0, v54
	v_lshlrev_b32_e32 v1, 16, v1
	s_add_nc_u64 s[2:3], s[16:17], s[22:23]
	s_delay_alu instid0(VALU_DEP_3) | instskip(SKIP_3) | instid1(VALU_DEP_3)
	v_and_or_b32 v3, 0x80000000, v35, v3
	v_cndmask_b32_e32 v23, 0, v23, vcc_lo
	v_cmp_eq_f32_e32 vcc_lo, v24, v18
	v_or_b32_e32 v2, v2, v1
	v_and_or_b32 v15, 0x80000000, v38, v23
	v_cndmask_b32_e64 v22, 0, 1, vcc_lo
	v_cmp_neq_f32_e32 vcc_lo, v24, v18
	v_cndmask_b32_e64 v18, 0, 1, vcc_lo
	v_cmp_eq_f32_e32 vcc_lo, v8, v4
	v_cndmask_b32_e64 v23, 0, 1, vcc_lo
	v_cmp_neq_f32_e32 vcc_lo, v8, v4
	v_and_or_b32 v8, 0x80000000, v37, v20
	v_cndmask_b32_e64 v4, 0, 1, vcc_lo
	v_cmp_eq_f32_e32 vcc_lo, v17, v3
	s_delay_alu instid0(VALU_DEP_2) | instskip(SKIP_2) | instid1(VALU_DEP_3)
	v_dual_cndmask_b32 v18, v18, v22, s0 :: v_dual_cndmask_b32 v4, v4, v23, s0
	v_cndmask_b32_e64 v19, 0, 1, vcc_lo
	v_cmp_neq_f32_e32 vcc_lo, v17, v3
	v_and_b32_e32 v4, 1, v4
	v_cndmask_b32_e64 v3, 0, 1, vcc_lo
	v_cmp_eq_f32_e32 vcc_lo, v11, v14
	s_delay_alu instid0(VALU_DEP_3) | instskip(NEXT) | instid1(VALU_DEP_3)
	v_lshlrev_b16 v4, 8, v4
	v_cndmask_b32_e64 v3, v3, v19, s0
	v_cndmask_b32_e64 v17, 0, 1, vcc_lo
	v_cmp_neq_f32_e32 vcc_lo, v11, v14
	s_delay_alu instid0(VALU_DEP_4) | instskip(SKIP_2) | instid1(VALU_DEP_3)
	v_bitop3_b16 v4, v18, v4, 1 bitop3:0xec
	v_cndmask_b32_e64 v11, 0, 1, vcc_lo
	v_cmp_eq_f32_e32 vcc_lo, v13, v15
	v_lshlrev_b32_e32 v4, 16, v4
	v_cndmask_b32_e64 v14, 0, 1, vcc_lo
	v_cmp_neq_f32_e32 vcc_lo, v13, v15
	v_cndmask_b32_e64 v13, 0, 1, vcc_lo
	v_cmp_eq_f32_e32 vcc_lo, v9, v5
	s_delay_alu instid0(VALU_DEP_2) | instskip(SKIP_2) | instid1(VALU_DEP_3)
	v_dual_cndmask_b32 v11, v11, v17, s0 :: v_dual_cndmask_b32 v13, v13, v14, s0
	v_cndmask_b32_e64 v15, 0, 1, vcc_lo
	v_cmp_neq_f32_e32 vcc_lo, v9, v5
	v_and_b32_e32 v11, 1, v11
	v_cndmask_b32_e64 v5, 0, 1, vcc_lo
	v_cmp_eq_f32_e32 vcc_lo, v12, v16
	s_delay_alu instid0(VALU_DEP_3) | instskip(SKIP_2) | instid1(VALU_DEP_3)
	v_lshlrev_b16 v11, 8, v11
	v_cndmask_b32_e64 v9, 0, 1, vcc_lo
	v_cmp_neq_f32_e32 vcc_lo, v12, v16
	v_bitop3_b16 v3, v3, v11, 1 bitop3:0xec
	v_cndmask_b32_e64 v12, 0, 1, vcc_lo
	v_cmp_eq_f32_e32 vcc_lo, v25, v8
	s_delay_alu instid0(VALU_DEP_2) | instskip(SKIP_2) | instid1(VALU_DEP_3)
	v_dual_cndmask_b32 v5, v5, v15, s0 :: v_dual_cndmask_b32 v9, v12, v9, s0
	v_cndmask_b32_e64 v12, 0, 1, vcc_lo
	v_cmp_neq_f32_e32 vcc_lo, v25, v8
	v_and_b32_e32 v5, 1, v5
	v_cndmask_b32_e64 v8, 0, 1, vcc_lo
	v_and_b32_e32 v9, 1, v9
	s_delay_alu instid0(VALU_DEP_3) | instskip(NEXT) | instid1(VALU_DEP_3)
	v_lshlrev_b16 v5, 8, v5
	v_cndmask_b32_e64 v8, v8, v12, s0
	s_delay_alu instid0(VALU_DEP_3) | instskip(NEXT) | instid1(VALU_DEP_3)
	v_lshlrev_b16 v9, 8, v9
	v_bitop3_b16 v5, v13, v5, 1 bitop3:0xec
	s_delay_alu instid0(VALU_DEP_2) | instskip(NEXT) | instid1(VALU_DEP_2)
	v_bitop3_b16 v7, v8, v9, 1 bitop3:0xec
	v_lshlrev_b32_e32 v5, 16, v5
	v_and_b32_e32 v8, 0xffff, v3
	v_or_b32_e32 v3, v10, v6
	s_delay_alu instid0(VALU_DEP_4) | instskip(NEXT) | instid1(VALU_DEP_3)
	v_and_b32_e32 v7, 0xffff, v7
	v_or_b32_e32 v4, v8, v4
	s_delay_alu instid0(VALU_DEP_2)
	v_or_b32_e32 v5, v7, v5
	global_store_b128 v0, v[2:5], s[2:3] scale_offset
	s_cbranch_execnz .LBB267_2
.LBB267_4:
	s_wait_xcnt 0x0
	v_dual_mov_b32 v31, v0 :: v_dual_mov_b32 v0, s21
	v_dual_mov_b32 v1, s16 :: v_dual_mov_b32 v2, s17
	;; [unrolled: 1-line block ×4, first 2 shown]
	v_mov_b32_e32 v7, s20
	s_get_pc_i64 s[0:1]
	s_add_nc_u64 s[0:1], s[0:1], _ZN2at6native25elementwise_kernel_helperILb0ENS0_13BinaryFunctorIN3c1013Float8_e4m3fnES4_bNS0_12_GLOBAL__N_116CompareEqFunctorIS4_EEEENS0_6memory8policies11unroll_baseILi256ESt5arrayIPcLm3EE23TrivialOffsetCalculatorILi2EjESF_ILi1EjENS9_15LoadWithoutCastENS9_16StoreWithoutCastELi16ELi1EEEEEvT0_T1_@rel64+4
	s_delay_alu instid0(SALU_CYCLE_1)
	s_swap_pc_i64 s[30:31], s[0:1]
	s_endpgm
	.section	.rodata,"a",@progbits
	.p2align	6, 0x0
	.amdhsa_kernel _ZN2at6native29vectorized_elementwise_kernelILi16ENS0_13BinaryFunctorIN3c1013Float8_e4m3fnES4_bNS0_12_GLOBAL__N_116CompareEqFunctorIS4_EEEESt5arrayIPcLm3EEEEviT0_T1_
		.amdhsa_group_segment_fixed_size 0
		.amdhsa_private_segment_fixed_size 0
		.amdhsa_kernarg_size 32
		.amdhsa_user_sgpr_count 2
		.amdhsa_user_sgpr_dispatch_ptr 0
		.amdhsa_user_sgpr_queue_ptr 0
		.amdhsa_user_sgpr_kernarg_segment_ptr 1
		.amdhsa_user_sgpr_dispatch_id 0
		.amdhsa_user_sgpr_kernarg_preload_length 0
		.amdhsa_user_sgpr_kernarg_preload_offset 0
		.amdhsa_user_sgpr_private_segment_size 0
		.amdhsa_wavefront_size32 1
		.amdhsa_uses_dynamic_stack 0
		.amdhsa_enable_private_segment 0
		.amdhsa_system_sgpr_workgroup_id_x 1
		.amdhsa_system_sgpr_workgroup_id_y 0
		.amdhsa_system_sgpr_workgroup_id_z 0
		.amdhsa_system_sgpr_workgroup_info 0
		.amdhsa_system_vgpr_workitem_id 0
		.amdhsa_next_free_vgpr 67
		.amdhsa_next_free_sgpr 33
		.amdhsa_named_barrier_count 0
		.amdhsa_reserve_vcc 1
		.amdhsa_float_round_mode_32 0
		.amdhsa_float_round_mode_16_64 0
		.amdhsa_float_denorm_mode_32 3
		.amdhsa_float_denorm_mode_16_64 3
		.amdhsa_fp16_overflow 0
		.amdhsa_memory_ordered 1
		.amdhsa_forward_progress 1
		.amdhsa_inst_pref_size 37
		.amdhsa_round_robin_scheduling 0
		.amdhsa_exception_fp_ieee_invalid_op 0
		.amdhsa_exception_fp_denorm_src 0
		.amdhsa_exception_fp_ieee_div_zero 0
		.amdhsa_exception_fp_ieee_overflow 0
		.amdhsa_exception_fp_ieee_underflow 0
		.amdhsa_exception_fp_ieee_inexact 0
		.amdhsa_exception_int_div_zero 0
	.end_amdhsa_kernel
	.section	.text._ZN2at6native29vectorized_elementwise_kernelILi16ENS0_13BinaryFunctorIN3c1013Float8_e4m3fnES4_bNS0_12_GLOBAL__N_116CompareEqFunctorIS4_EEEESt5arrayIPcLm3EEEEviT0_T1_,"axG",@progbits,_ZN2at6native29vectorized_elementwise_kernelILi16ENS0_13BinaryFunctorIN3c1013Float8_e4m3fnES4_bNS0_12_GLOBAL__N_116CompareEqFunctorIS4_EEEESt5arrayIPcLm3EEEEviT0_T1_,comdat
.Lfunc_end267:
	.size	_ZN2at6native29vectorized_elementwise_kernelILi16ENS0_13BinaryFunctorIN3c1013Float8_e4m3fnES4_bNS0_12_GLOBAL__N_116CompareEqFunctorIS4_EEEESt5arrayIPcLm3EEEEviT0_T1_, .Lfunc_end267-_ZN2at6native29vectorized_elementwise_kernelILi16ENS0_13BinaryFunctorIN3c1013Float8_e4m3fnES4_bNS0_12_GLOBAL__N_116CompareEqFunctorIS4_EEEESt5arrayIPcLm3EEEEviT0_T1_
                                        ; -- End function
	.set _ZN2at6native29vectorized_elementwise_kernelILi16ENS0_13BinaryFunctorIN3c1013Float8_e4m3fnES4_bNS0_12_GLOBAL__N_116CompareEqFunctorIS4_EEEESt5arrayIPcLm3EEEEviT0_T1_.num_vgpr, max(60, .L_ZN2at6native25elementwise_kernel_helperILb0ENS0_13BinaryFunctorIN3c1013Float8_e4m3fnES4_bNS0_12_GLOBAL__N_116CompareEqFunctorIS4_EEEENS0_6memory8policies11unroll_baseILi256ESt5arrayIPcLm3EE23TrivialOffsetCalculatorILi2EjESF_ILi1EjENS9_15LoadWithoutCastENS9_16StoreWithoutCastELi16ELi1EEEEEvT0_T1_.num_vgpr)
	.set _ZN2at6native29vectorized_elementwise_kernelILi16ENS0_13BinaryFunctorIN3c1013Float8_e4m3fnES4_bNS0_12_GLOBAL__N_116CompareEqFunctorIS4_EEEESt5arrayIPcLm3EEEEviT0_T1_.num_agpr, max(0, .L_ZN2at6native25elementwise_kernel_helperILb0ENS0_13BinaryFunctorIN3c1013Float8_e4m3fnES4_bNS0_12_GLOBAL__N_116CompareEqFunctorIS4_EEEENS0_6memory8policies11unroll_baseILi256ESt5arrayIPcLm3EE23TrivialOffsetCalculatorILi2EjESF_ILi1EjENS9_15LoadWithoutCastENS9_16StoreWithoutCastELi16ELi1EEEEEvT0_T1_.num_agpr)
	.set _ZN2at6native29vectorized_elementwise_kernelILi16ENS0_13BinaryFunctorIN3c1013Float8_e4m3fnES4_bNS0_12_GLOBAL__N_116CompareEqFunctorIS4_EEEESt5arrayIPcLm3EEEEviT0_T1_.numbered_sgpr, max(33, .L_ZN2at6native25elementwise_kernel_helperILb0ENS0_13BinaryFunctorIN3c1013Float8_e4m3fnES4_bNS0_12_GLOBAL__N_116CompareEqFunctorIS4_EEEENS0_6memory8policies11unroll_baseILi256ESt5arrayIPcLm3EE23TrivialOffsetCalculatorILi2EjESF_ILi1EjENS9_15LoadWithoutCastENS9_16StoreWithoutCastELi16ELi1EEEEEvT0_T1_.numbered_sgpr)
	.set _ZN2at6native29vectorized_elementwise_kernelILi16ENS0_13BinaryFunctorIN3c1013Float8_e4m3fnES4_bNS0_12_GLOBAL__N_116CompareEqFunctorIS4_EEEESt5arrayIPcLm3EEEEviT0_T1_.num_named_barrier, max(0, .L_ZN2at6native25elementwise_kernel_helperILb0ENS0_13BinaryFunctorIN3c1013Float8_e4m3fnES4_bNS0_12_GLOBAL__N_116CompareEqFunctorIS4_EEEENS0_6memory8policies11unroll_baseILi256ESt5arrayIPcLm3EE23TrivialOffsetCalculatorILi2EjESF_ILi1EjENS9_15LoadWithoutCastENS9_16StoreWithoutCastELi16ELi1EEEEEvT0_T1_.num_named_barrier)
	.set _ZN2at6native29vectorized_elementwise_kernelILi16ENS0_13BinaryFunctorIN3c1013Float8_e4m3fnES4_bNS0_12_GLOBAL__N_116CompareEqFunctorIS4_EEEESt5arrayIPcLm3EEEEviT0_T1_.private_seg_size, 0+max(.L_ZN2at6native25elementwise_kernel_helperILb0ENS0_13BinaryFunctorIN3c1013Float8_e4m3fnES4_bNS0_12_GLOBAL__N_116CompareEqFunctorIS4_EEEENS0_6memory8policies11unroll_baseILi256ESt5arrayIPcLm3EE23TrivialOffsetCalculatorILi2EjESF_ILi1EjENS9_15LoadWithoutCastENS9_16StoreWithoutCastELi16ELi1EEEEEvT0_T1_.private_seg_size)
	.set _ZN2at6native29vectorized_elementwise_kernelILi16ENS0_13BinaryFunctorIN3c1013Float8_e4m3fnES4_bNS0_12_GLOBAL__N_116CompareEqFunctorIS4_EEEESt5arrayIPcLm3EEEEviT0_T1_.uses_vcc, or(1, .L_ZN2at6native25elementwise_kernel_helperILb0ENS0_13BinaryFunctorIN3c1013Float8_e4m3fnES4_bNS0_12_GLOBAL__N_116CompareEqFunctorIS4_EEEENS0_6memory8policies11unroll_baseILi256ESt5arrayIPcLm3EE23TrivialOffsetCalculatorILi2EjESF_ILi1EjENS9_15LoadWithoutCastENS9_16StoreWithoutCastELi16ELi1EEEEEvT0_T1_.uses_vcc)
	.set _ZN2at6native29vectorized_elementwise_kernelILi16ENS0_13BinaryFunctorIN3c1013Float8_e4m3fnES4_bNS0_12_GLOBAL__N_116CompareEqFunctorIS4_EEEESt5arrayIPcLm3EEEEviT0_T1_.uses_flat_scratch, or(0, .L_ZN2at6native25elementwise_kernel_helperILb0ENS0_13BinaryFunctorIN3c1013Float8_e4m3fnES4_bNS0_12_GLOBAL__N_116CompareEqFunctorIS4_EEEENS0_6memory8policies11unroll_baseILi256ESt5arrayIPcLm3EE23TrivialOffsetCalculatorILi2EjESF_ILi1EjENS9_15LoadWithoutCastENS9_16StoreWithoutCastELi16ELi1EEEEEvT0_T1_.uses_flat_scratch)
	.set _ZN2at6native29vectorized_elementwise_kernelILi16ENS0_13BinaryFunctorIN3c1013Float8_e4m3fnES4_bNS0_12_GLOBAL__N_116CompareEqFunctorIS4_EEEESt5arrayIPcLm3EEEEviT0_T1_.has_dyn_sized_stack, or(0, .L_ZN2at6native25elementwise_kernel_helperILb0ENS0_13BinaryFunctorIN3c1013Float8_e4m3fnES4_bNS0_12_GLOBAL__N_116CompareEqFunctorIS4_EEEENS0_6memory8policies11unroll_baseILi256ESt5arrayIPcLm3EE23TrivialOffsetCalculatorILi2EjESF_ILi1EjENS9_15LoadWithoutCastENS9_16StoreWithoutCastELi16ELi1EEEEEvT0_T1_.has_dyn_sized_stack)
	.set _ZN2at6native29vectorized_elementwise_kernelILi16ENS0_13BinaryFunctorIN3c1013Float8_e4m3fnES4_bNS0_12_GLOBAL__N_116CompareEqFunctorIS4_EEEESt5arrayIPcLm3EEEEviT0_T1_.has_recursion, or(0, .L_ZN2at6native25elementwise_kernel_helperILb0ENS0_13BinaryFunctorIN3c1013Float8_e4m3fnES4_bNS0_12_GLOBAL__N_116CompareEqFunctorIS4_EEEENS0_6memory8policies11unroll_baseILi256ESt5arrayIPcLm3EE23TrivialOffsetCalculatorILi2EjESF_ILi1EjENS9_15LoadWithoutCastENS9_16StoreWithoutCastELi16ELi1EEEEEvT0_T1_.has_recursion)
	.set _ZN2at6native29vectorized_elementwise_kernelILi16ENS0_13BinaryFunctorIN3c1013Float8_e4m3fnES4_bNS0_12_GLOBAL__N_116CompareEqFunctorIS4_EEEESt5arrayIPcLm3EEEEviT0_T1_.has_indirect_call, or(0, .L_ZN2at6native25elementwise_kernel_helperILb0ENS0_13BinaryFunctorIN3c1013Float8_e4m3fnES4_bNS0_12_GLOBAL__N_116CompareEqFunctorIS4_EEEENS0_6memory8policies11unroll_baseILi256ESt5arrayIPcLm3EE23TrivialOffsetCalculatorILi2EjESF_ILi1EjENS9_15LoadWithoutCastENS9_16StoreWithoutCastELi16ELi1EEEEEvT0_T1_.has_indirect_call)
	.section	.AMDGPU.csdata,"",@progbits
; Kernel info:
; codeLenInByte = 4696
; TotalNumSgprs: 35
; NumVgprs: 67
; ScratchSize: 0
; MemoryBound: 0
; FloatMode: 240
; IeeeMode: 1
; LDSByteSize: 0 bytes/workgroup (compile time only)
; SGPRBlocks: 0
; VGPRBlocks: 4
; NumSGPRsForWavesPerEU: 35
; NumVGPRsForWavesPerEU: 67
; NamedBarCnt: 0
; Occupancy: 12
; WaveLimiterHint : 0
; COMPUTE_PGM_RSRC2:SCRATCH_EN: 0
; COMPUTE_PGM_RSRC2:USER_SGPR: 2
; COMPUTE_PGM_RSRC2:TRAP_HANDLER: 0
; COMPUTE_PGM_RSRC2:TGID_X_EN: 1
; COMPUTE_PGM_RSRC2:TGID_Y_EN: 0
; COMPUTE_PGM_RSRC2:TGID_Z_EN: 0
; COMPUTE_PGM_RSRC2:TIDIG_COMP_CNT: 0
	.section	.text._ZN2at6native29vectorized_elementwise_kernelILi8ENS0_13BinaryFunctorIN3c1013Float8_e4m3fnES4_bNS0_12_GLOBAL__N_116CompareEqFunctorIS4_EEEESt5arrayIPcLm3EEEEviT0_T1_,"axG",@progbits,_ZN2at6native29vectorized_elementwise_kernelILi8ENS0_13BinaryFunctorIN3c1013Float8_e4m3fnES4_bNS0_12_GLOBAL__N_116CompareEqFunctorIS4_EEEESt5arrayIPcLm3EEEEviT0_T1_,comdat
	.globl	_ZN2at6native29vectorized_elementwise_kernelILi8ENS0_13BinaryFunctorIN3c1013Float8_e4m3fnES4_bNS0_12_GLOBAL__N_116CompareEqFunctorIS4_EEEESt5arrayIPcLm3EEEEviT0_T1_ ; -- Begin function _ZN2at6native29vectorized_elementwise_kernelILi8ENS0_13BinaryFunctorIN3c1013Float8_e4m3fnES4_bNS0_12_GLOBAL__N_116CompareEqFunctorIS4_EEEESt5arrayIPcLm3EEEEviT0_T1_
	.p2align	8
	.type	_ZN2at6native29vectorized_elementwise_kernelILi8ENS0_13BinaryFunctorIN3c1013Float8_e4m3fnES4_bNS0_12_GLOBAL__N_116CompareEqFunctorIS4_EEEESt5arrayIPcLm3EEEEviT0_T1_,@function
_ZN2at6native29vectorized_elementwise_kernelILi8ENS0_13BinaryFunctorIN3c1013Float8_e4m3fnES4_bNS0_12_GLOBAL__N_116CompareEqFunctorIS4_EEEESt5arrayIPcLm3EEEEviT0_T1_: ; @_ZN2at6native29vectorized_elementwise_kernelILi8ENS0_13BinaryFunctorIN3c1013Float8_e4m3fnES4_bNS0_12_GLOBAL__N_116CompareEqFunctorIS4_EEEESt5arrayIPcLm3EEEEviT0_T1_
; %bb.0:
	s_clause 0x2
	s_load_b64 s[8:9], s[0:1], 0x0
	s_load_b128 s[4:7], s[0:1], 0x8
	s_load_b64 s[2:3], s[0:1], 0x18
	s_wait_xcnt 0x0
	s_bfe_u32 s0, ttmp6, 0x4000c
	s_and_b32 s1, ttmp6, 15
	s_add_co_i32 s0, s0, 1
	s_getreg_b32 s10, hwreg(HW_REG_IB_STS2, 6, 4)
	s_mul_i32 s0, ttmp9, s0
	s_mov_b32 s32, 0
	s_add_co_i32 s1, s1, s0
	s_cmp_eq_u32 s10, 0
	s_cselect_b32 s0, ttmp9, s1
	s_delay_alu instid0(SALU_CYCLE_1) | instskip(SKIP_3) | instid1(SALU_CYCLE_1)
	s_lshl_b32 s10, s0, 12
	s_mov_b32 s0, -1
	s_wait_kmcnt 0x0
	s_sub_co_i32 s8, s8, s10
	s_cmp_gt_i32 s8, 0xfff
	s_cbranch_scc1 .LBB268_3
; %bb.1:
	s_and_not1_b32 vcc_lo, exec_lo, s0
	s_cbranch_vccz .LBB268_4
.LBB268_2:
	s_sendmsg sendmsg(MSG_DEALLOC_VGPRS)
	s_endpgm
.LBB268_3:
	s_ashr_i32 s11, s10, 31
	s_cmp_eq_u32 s9, 0
	s_add_nc_u64 s[0:1], s[6:7], s[10:11]
	s_add_nc_u64 s[12:13], s[2:3], s[10:11]
	s_clause 0x3
	global_load_b64 v[6:7], v0, s[0:1] scale_offset
	global_load_b64 v[8:9], v0, s[12:13] scale_offset
	global_load_b64 v[4:5], v0, s[12:13] offset:2048 scale_offset
	global_load_b64 v[2:3], v0, s[0:1] offset:2048 scale_offset
	s_add_nc_u64 s[10:11], s[4:5], s[10:11]
	s_wait_loadcnt 0x3
	v_and_b32_e32 v15, 0x7f000000, v6
	s_wait_loadcnt 0x2
	v_and_b32_e32 v16, 0x7f000000, v8
	v_and_b32_e32 v24, 0x7f000000, v7
	v_dual_lshlrev_b32 v1, 16, v6 :: v_dual_lshlrev_b32 v10, 24, v6
	v_clz_i32_u32_e32 v35, v15
	v_and_b32_e32 v23, 0x7f000000, v9
	v_clz_i32_u32_e32 v36, v16
	v_clz_i32_u32_e32 v43, v24
	v_dual_lshlrev_b32 v11, 16, v8 :: v_dual_lshlrev_b32 v12, 24, v8
	v_min_u32_e32 v35, 32, v35
	v_and_b32_e32 v29, 0x7f000000, v1
	v_and_b32_e32 v30, 0x7f000000, v10
	v_clz_i32_u32_e32 v44, v23
	v_min_u32_e32 v36, 32, v36
	v_min_u32_e32 v43, 32, v43
	v_sub_nc_u32_e64 v35, v35, 4 clamp
	v_dual_lshlrev_b32 v13, 8, v6 :: v_dual_lshlrev_b32 v14, 8, v8
	v_and_b32_e32 v32, 0x7f000000, v12
	v_clz_i32_u32_e32 v53, v30
	v_clz_i32_u32_e32 v55, v29
	v_min_u32_e32 v44, 32, v44
	v_sub_nc_u32_e64 v36, v36, 4 clamp
	v_sub_nc_u32_e64 v43, v43, 4 clamp
	v_lshlrev_b32_e32 v73, v35, v15
	v_and_b32_e32 v31, 0x7f000000, v11
	v_and_b32_e32 v33, 0x7f000000, v13
	v_clz_i32_u32_e32 v54, v32
	v_min_u32_e32 v53, 32, v53
	v_min_u32_e32 v55, 32, v55
	v_sub_nc_u32_e64 v44, v44, 4 clamp
	v_dual_lshlrev_b32 v74, v36, v16 :: v_dual_lshlrev_b32 v35, 23, v35
	v_dual_lshrrev_b32 v73, 4, v73 :: v_dual_lshlrev_b32 v75, v43, v24
	v_dual_lshlrev_b32 v17, 16, v7 :: v_dual_lshlrev_b32 v18, 24, v7
	v_and_b32_e32 v34, 0x7f000000, v14
	v_clz_i32_u32_e32 v56, v31
	v_clz_i32_u32_e32 v57, v33
	v_min_u32_e32 v54, 32, v54
	v_dual_lshlrev_b32 v36, 23, v36 :: v_dual_sub_nc_u32 v35, v73, v35
	v_lshlrev_b32_e32 v73, v44, v23
	v_dual_lshlrev_b32 v43, 23, v43 :: v_dual_lshlrev_b32 v44, 23, v44
	v_sub_nc_u32_e64 v53, v53, 4 clamp
	v_sub_nc_u32_e64 v55, v55, 4 clamp
	v_dual_lshrrev_b32 v74, 4, v74 :: v_dual_lshrrev_b32 v75, 4, v75
	v_dual_lshlrev_b32 v19, 16, v9 :: v_dual_lshlrev_b32 v20, 24, v9
	v_and_b32_e32 v38, 0x7f000000, v18
	v_clz_i32_u32_e32 v58, v34
	v_min_u32_e32 v56, 32, v56
	v_min_u32_e32 v57, 32, v57
	v_sub_nc_u32_e64 v54, v54, 4 clamp
	v_dual_sub_nc_u32 v36, v74, v36 :: v_dual_lshlrev_b32 v74, v53, v30
	v_dual_lshrrev_b32 v73, 4, v73 :: v_dual_sub_nc_u32 v43, v75, v43
	v_lshlrev_b32_e32 v75, v55, v29
	v_and_b32_e32 v37, 0x7f000000, v17
	v_and_b32_e32 v40, 0x7f000000, v20
	v_clz_i32_u32_e32 v59, v38
	v_min_u32_e32 v58, 32, v58
	v_sub_nc_u32_e64 v56, v56, 4 clamp
	v_sub_nc_u32_e64 v57, v57, 4 clamp
	v_dual_lshlrev_b32 v53, 23, v53 :: v_dual_lshlrev_b32 v55, 23, v55
	v_dual_lshrrev_b32 v74, 4, v74 :: v_dual_sub_nc_u32 v44, v73, v44
	v_dual_lshrrev_b32 v75, 4, v75 :: v_dual_lshlrev_b32 v73, v54, v32
	v_dual_lshlrev_b32 v21, 8, v9 :: v_dual_lshlrev_b32 v22, 8, v7
	v_clz_i32_u32_e32 v60, v40
	v_clz_i32_u32_e32 v61, v37
	v_add_nc_u32_e32 v69, 0x1000000, v29
	v_min_u32_e32 v59, 32, v59
	v_sub_nc_u32_e64 v58, v58, 4 clamp
	v_dual_sub_nc_u32 v53, v74, v53 :: v_dual_lshlrev_b32 v54, 23, v54
	v_dual_lshlrev_b32 v74, v56, v31 :: v_dual_lshrrev_b32 v73, 4, v73
	v_dual_lshlrev_b32 v56, 23, v56 :: v_dual_sub_nc_u32 v55, v75, v55
	v_lshlrev_b32_e32 v75, v57, v33
	v_and_b32_e32 v39, 0x7f000000, v19
	v_and_b32_e32 v41, 0x7f000000, v21
	v_and_b32_e32 v42, 0x7f000000, v22
	v_min_u32_e32 v60, 32, v60
	v_min_u32_e32 v61, 32, v61
	v_sub_nc_u32_e64 v59, v59, 4 clamp
	v_dual_lshrrev_b32 v74, 4, v74 :: v_dual_lshlrev_b32 v57, 23, v57
	v_dual_sub_nc_u32 v54, v73, v54 :: v_dual_lshrrev_b32 v75, 4, v75
	v_dual_lshlrev_b32 v73, v58, v34 :: v_dual_ashrrev_i32 v69, 8, v69
	s_wait_loadcnt 0x0
	v_dual_lshlrev_b32 v25, 24, v2 :: v_dual_lshlrev_b32 v26, 16, v2
	v_clz_i32_u32_e32 v62, v39
	v_clz_i32_u32_e32 v63, v42
	;; [unrolled: 1-line block ×3, first 2 shown]
	v_sub_nc_u32_e64 v61, v61, 4 clamp
	v_sub_nc_u32_e64 v60, v60, 4 clamp
	v_dual_lshlrev_b32 v58, 23, v58 :: v_dual_sub_nc_u32 v56, v74, v56
	v_sub_nc_u32_e32 v57, v75, v57
	v_dual_lshlrev_b32 v74, v59, v38 :: v_dual_lshrrev_b32 v73, 4, v73
	v_and_b32_e32 v69, 0x7f800000, v69
	v_add_nc_u32_e32 v55, 0x3c000000, v55
	v_and_b32_e32 v45, 0x7f000000, v25
	v_and_b32_e32 v46, 0x7f000000, v26
	v_min_u32_e32 v62, 32, v62
	v_min_u32_e32 v63, 32, v63
	;; [unrolled: 1-line block ×3, first 2 shown]
	v_dual_lshlrev_b32 v75, v61, v37 :: v_dual_lshlrev_b32 v59, 23, v59
	v_dual_lshrrev_b32 v74, 4, v74 :: v_dual_lshlrev_b32 v61, 23, v61
	v_dual_sub_nc_u32 v58, v73, v58 :: v_dual_lshlrev_b32 v73, v60, v40
	v_or_b32_e32 v55, v55, v69
	v_add_nc_u32_e32 v52, 0x1000000, v24
	v_cmp_ne_u32_e32 vcc_lo, 0, v15
	v_add_nc_u32_e32 v50, 0x1000000, v16
	v_clz_i32_u32_e32 v65, v45
	v_clz_i32_u32_e32 v66, v46
	v_ashrrev_i32_e32 v52, 8, v52
	v_sub_nc_u32_e64 v62, v62, 4 clamp
	v_ashrrev_i32_e32 v50, 8, v50
	v_sub_nc_u32_e64 v63, v63, 4 clamp
	v_sub_nc_u32_e64 v64, v64, 4 clamp
	v_dual_lshrrev_b32 v75, 4, v75 :: v_dual_lshlrev_b32 v60, 23, v60
	v_dual_sub_nc_u32 v59, v74, v59 :: v_dual_lshrrev_b32 v73, 4, v73
	v_add_nc_u32_e32 v70, 0x1000000, v30
	v_min_u32_e32 v65, 32, v65
	v_min_u32_e32 v66, 32, v66
	v_dual_lshlrev_b32 v74, v62, v39 :: v_dual_lshlrev_b32 v62, 23, v62
	v_sub_nc_u32_e32 v61, v75, v61
	v_dual_lshlrev_b32 v75, v63, v42 :: v_dual_sub_nc_u32 v60, v73, v60
	v_dual_lshlrev_b32 v73, v64, v41 :: v_dual_lshlrev_b32 v63, 23, v63
	v_and_b32_e32 v52, 0x7f800000, v52
	v_add_nc_u32_e32 v43, 0x3c000000, v43
	v_sub_nc_u32_e64 v65, v65, 4 clamp
	v_sub_nc_u32_e64 v66, v66, 4 clamp
	v_dual_lshrrev_b32 v74, 4, v74 :: v_dual_lshlrev_b32 v64, 23, v64
	v_dual_lshrrev_b32 v75, 4, v75 :: v_dual_lshrrev_b32 v73, 4, v73
	v_dual_ashrrev_i32 v70, 8, v70 :: v_dual_bitop2_b32 v43, v43, v52 bitop3:0x54
	v_add_nc_u32_e32 v52, 0x1000000, v41
	s_delay_alu instid0(VALU_DEP_4) | instskip(NEXT) | instid1(VALU_DEP_4)
	v_dual_sub_nc_u32 v62, v74, v62 :: v_dual_lshlrev_b32 v74, v65, v45
	v_dual_lshlrev_b32 v65, 23, v65 :: v_dual_sub_nc_u32 v63, v75, v63
	v_lshlrev_b32_e32 v75, v66, v46
	v_dual_lshlrev_b32 v66, 23, v66 :: v_dual_sub_nc_u32 v64, v73, v64
	v_ashrrev_i32_e32 v52, 8, v52
	v_and_b32_e32 v50, 0x7f800000, v50
	v_add_nc_u32_e32 v36, 0x3c000000, v36
	v_and_b32_e32 v70, 0x7f800000, v70
	v_add_nc_u32_e32 v64, 0x3c000000, v64
	v_and_b32_e32 v52, 0x7f800000, v52
	v_add_nc_u32_e32 v53, 0x3c000000, v53
	v_dual_lshlrev_b32 v27, 24, v4 :: v_dual_bitop2_b32 v36, v36, v50 bitop3:0x54
	v_lshlrev_b32_e32 v28, 16, v4
	s_delay_alu instid0(VALU_DEP_4)
	v_or_b32_e32 v52, v64, v52
	v_add_nc_u32_e32 v50, 0x1000000, v39
	v_add_nc_u32_e32 v49, 0x1000000, v15
	v_or_b32_e32 v53, v53, v70
	v_add_nc_u32_e32 v51, 0x1000000, v23
	v_and_b32_e32 v47, 0x7f000000, v27
	s_delay_alu instid0(VALU_DEP_4) | instskip(SKIP_1) | instid1(VALU_DEP_4)
	v_dual_ashrrev_i32 v50, 8, v50 :: v_dual_ashrrev_i32 v49, 8, v49
	v_add_nc_u32_e32 v62, 0x3c000000, v62
	v_ashrrev_i32_e32 v51, 8, v51
	s_delay_alu instid0(VALU_DEP_4) | instskip(NEXT) | instid1(VALU_DEP_4)
	v_clz_i32_u32_e32 v67, v47
	v_and_b32_e32 v50, 0x7f800000, v50
	v_add_nc_u32_e32 v60, 0x3c000000, v60
	v_add_nc_u32_e32 v69, 0x1000000, v42
	v_and_b32_e32 v51, 0x7f800000, v51
	v_min_u32_e32 v67, 32, v67
	v_or_b32_e32 v50, v62, v50
	v_add_nc_u32_e32 v44, 0x3c000000, v44
	v_add_nc_u32_e32 v57, 0x3c000000, v57
	v_ashrrev_i32_e32 v69, 8, v69
	v_sub_nc_u32_e64 v67, v67, 4 clamp
	s_delay_alu instid0(VALU_DEP_4) | instskip(SKIP_2) | instid1(VALU_DEP_4)
	v_dual_lshrrev_b32 v74, 4, v74 :: v_dual_bitop2_b32 v44, v44, v51 bitop3:0x54
	v_add_nc_u32_e32 v51, 0x1000000, v40
	v_and_b32_e32 v49, 0x7f800000, v49
	v_lshlrev_b32_e32 v73, v67, v47
	s_delay_alu instid0(VALU_DEP_4) | instskip(NEXT) | instid1(VALU_DEP_4)
	v_dual_lshrrev_b32 v75, 4, v75 :: v_dual_sub_nc_u32 v65, v74, v65
	v_ashrrev_i32_e32 v51, 8, v51
	v_add_nc_u32_e32 v35, 0x3c000000, v35
	s_delay_alu instid0(VALU_DEP_3) | instskip(SKIP_1) | instid1(VALU_DEP_4)
	v_dual_lshrrev_b32 v73, 4, v73 :: v_dual_sub_nc_u32 v66, v75, v66
	v_add_nc_u32_e32 v54, 0x3c000000, v54
	v_and_b32_e32 v51, 0x7f800000, v51
	v_and_b32_e32 v48, 0x7f000000, v28
	v_add_nc_u32_e32 v56, 0x3c000000, v56
	v_add_nc_u32_e32 v61, 0x3c000000, v61
	;; [unrolled: 1-line block ×3, first 2 shown]
	v_or_b32_e32 v51, v60, v51
	v_add_nc_u32_e32 v75, 0x1000000, v33
	v_clz_i32_u32_e32 v68, v48
	v_and_b32_e32 v6, 0x80000000, v6
	v_and_b32_e32 v8, 0x80000000, v8
	v_add_nc_u32_e32 v59, 0x3c000000, v59
	v_ashrrev_i32_e32 v75, 8, v75
	v_min_u32_e32 v68, 32, v68
	v_and_b32_e32 v69, 0x7f800000, v69
	v_add_nc_u32_e32 v63, 0x3c000000, v63
	v_add_nc_u32_e32 v66, 0x3c000000, v66
	v_and_b32_e32 v75, 0x7f800000, v75
	v_sub_nc_u32_e64 v68, v68, 4 clamp
	v_lshlrev_b32_e32 v67, 23, v67
	v_and_b32_e32 v9, 0x80000000, v9
	v_add_nc_u32_e32 v65, 0x3c000000, v65
	v_or_b32_e32 v57, v57, v75
	v_add_nc_u32_e32 v72, 0x1000000, v32
	v_lshlrev_b32_e32 v74, v68, v48
	v_lshlrev_b32_e32 v68, 23, v68
	v_add_nc_u32_e32 v75, 0x1000000, v47
	v_and_b32_e32 v7, 0x80000000, v7
	s_delay_alu instid0(VALU_DEP_4) | instskip(SKIP_3) | instid1(VALU_DEP_4)
	v_dual_ashrrev_i32 v72, 8, v72 :: v_dual_lshrrev_b32 v74, 4, v74
	v_sub_nc_u32_e32 v67, v73, v67
	v_and_b32_e32 v14, 0x80000000, v14
	v_and_b32_e32 v17, 0x80000000, v17
	;; [unrolled: 1-line block ×3, first 2 shown]
	v_sub_nc_u32_e32 v68, v74, v68
	v_add_nc_u32_e32 v67, 0x3c000000, v67
	v_and_b32_e32 v19, 0x80000000, v19
	v_and_b32_e32 v21, 0x80000000, v21
	v_or_b32_e32 v54, v54, v72
	v_add_nc_u32_e32 v71, 0x1000000, v31
	v_or_b32_e32 v35, v35, v49
	v_add_nc_u32_e32 v49, 0x1000000, v38
	v_add_nc_u32_e32 v72, 0x1000000, v48
	;; [unrolled: 1-line block ×3, first 2 shown]
	v_ashrrev_i32_e32 v71, 8, v71
	v_cndmask_b32_e32 v15, 0, v35, vcc_lo
	v_cmp_ne_u32_e32 vcc_lo, 0, v16
	v_dual_ashrrev_i32 v49, 8, v49 :: v_dual_ashrrev_i32 v72, 8, v72
	s_delay_alu instid0(VALU_DEP_4) | instskip(NEXT) | instid1(VALU_DEP_4)
	v_and_b32_e32 v71, 0x7f800000, v71
	v_dual_cndmask_b32 v16, 0, v36, vcc_lo :: v_dual_bitop2_b32 v6, v15, v6 bitop3:0x54
	v_cmp_ne_u32_e32 vcc_lo, 0, v23
	s_delay_alu instid0(VALU_DEP_4) | instskip(NEXT) | instid1(VALU_DEP_4)
	v_and_b32_e32 v49, 0x7f800000, v49
	v_or_b32_e32 v56, v56, v71
	v_add_nc_u32_e32 v71, 0x1000000, v45
	v_or_b32_e32 v8, v16, v8
	v_cndmask_b32_e32 v23, 0, v44, vcc_lo
	v_cmp_ne_u32_e32 vcc_lo, 0, v24
	s_delay_alu instid0(VALU_DEP_4) | instskip(SKIP_3) | instid1(VALU_DEP_4)
	v_dual_ashrrev_i32 v71, 8, v71 :: v_dual_bitop2_b32 v49, v59, v49 bitop3:0x54
	v_and_b32_e32 v72, 0x7f800000, v72
	v_dual_cndmask_b32 v24, 0, v43, vcc_lo :: v_dual_bitop2_b32 v59, v63, v69 bitop3:0x54
	v_cmp_ne_u32_e32 vcc_lo, 0, v29
	v_and_b32_e32 v71, 0x7f800000, v71
	s_delay_alu instid0(VALU_DEP_4) | instskip(SKIP_3) | instid1(VALU_DEP_3)
	v_or_b32_e32 v63, v68, v72
	v_add_nc_u32_e32 v70, 0x1000000, v46
	v_dual_cndmask_b32 v29, 0, v55, vcc_lo :: v_dual_bitop2_b32 v9, v23, v9 bitop3:0x54
	v_cmp_ne_u32_e32 vcc_lo, 0, v30
	v_dual_ashrrev_i32 v70, 8, v70 :: v_dual_bitop2_b32 v62, v65, v71 bitop3:0x54
	v_or_b32_e32 v7, v24, v7
	v_and_b32_e32 v26, 0x80000000, v26
	v_cndmask_b32_e32 v30, 0, v53, vcc_lo
	v_cmp_ne_u32_e32 vcc_lo, 0, v31
	v_add_nc_u32_e32 v74, 0x1000000, v37
	v_and_b32_e32 v70, 0x7f800000, v70
	v_and_b32_e32 v10, 0x80000000, v10
	;; [unrolled: 1-line block ×3, first 2 shown]
	s_delay_alu instid0(VALU_DEP_4)
	v_dual_cndmask_b32 v31, 0, v56 :: v_dual_ashrrev_i32 v74, 8, v74
	v_cmp_ne_u32_e32 vcc_lo, 0, v32
	v_or_b32_e32 v60, v66, v70
	v_or_b32_e32 v10, v30, v10
	v_and_b32_e32 v1, 0x80000000, v1
	v_and_b32_e32 v74, 0x7f800000, v74
	v_cndmask_b32_e32 v32, 0, v54, vcc_lo
	v_cmp_ne_u32_e32 vcc_lo, 0, v33
	v_and_b32_e32 v11, 0x80000000, v11
	v_or_b32_e32 v1, v29, v1
	v_or_b32_e32 v61, v61, v74
	v_add_nc_u32_e32 v73, 0x1000000, v34
	v_cndmask_b32_e32 v33, 0, v57, vcc_lo
	v_cmp_ne_u32_e32 vcc_lo, 0, v34
	v_or_b32_e32 v12, v32, v12
	s_delay_alu instid0(VALU_DEP_4)
	v_dual_ashrrev_i32 v73, 8, v73 :: v_dual_bitop2_b32 v11, v31, v11 bitop3:0x54
	v_and_b32_e32 v13, 0x80000000, v13
	v_and_b32_e32 v18, 0x80000000, v18
	;; [unrolled: 1-line block ×5, first 2 shown]
	v_dual_ashrrev_i32 v75, 8, v75 :: v_dual_bitop2_b32 v13, v33, v13 bitop3:0x54
	v_and_b32_e32 v28, 0x80000000, v28
	v_and_b32_e32 v25, 0x80000000, v25
	s_delay_alu instid0(VALU_DEP_4) | instskip(NEXT) | instid1(VALU_DEP_4)
	v_or_b32_e32 v58, v58, v73
	v_and_b32_e32 v75, 0x7f800000, v75
	v_and_b32_e32 v27, 0x80000000, v27
	s_delay_alu instid0(VALU_DEP_3) | instskip(SKIP_1) | instid1(VALU_DEP_4)
	v_cndmask_b32_e32 v15, 0, v58, vcc_lo
	v_cmp_ne_u32_e32 vcc_lo, 0, v37
	v_or_b32_e32 v64, v67, v75
	s_delay_alu instid0(VALU_DEP_3) | instskip(SKIP_1) | instid1(VALU_DEP_2)
	v_dual_cndmask_b32 v16, 0, v61, vcc_lo :: v_dual_bitop2_b32 v14, v15, v14 bitop3:0x54
	v_cmp_ne_u32_e32 vcc_lo, 0, v38
	v_or_b32_e32 v15, v16, v17
	v_cndmask_b32_e32 v34, 0, v49, vcc_lo
	v_cmp_ne_u32_e32 vcc_lo, 0, v39
	s_delay_alu instid0(VALU_DEP_2) | instskip(SKIP_2) | instid1(VALU_DEP_2)
	v_or_b32_e32 v16, v34, v18
	v_cndmask_b32_e32 v35, 0, v50, vcc_lo
	v_cmp_ne_u32_e32 vcc_lo, 0, v40
	v_or_b32_e32 v17, v35, v19
	v_cndmask_b32_e32 v36, 0, v51, vcc_lo
	v_cmp_ne_u32_e32 vcc_lo, 0, v41
	s_delay_alu instid0(VALU_DEP_2) | instskip(SKIP_2) | instid1(VALU_DEP_3)
	v_or_b32_e32 v18, v36, v20
	v_cndmask_b32_e32 v37, 0, v52, vcc_lo
	v_cmp_ne_u32_e32 vcc_lo, 0, v42
	v_cmp_neq_f32_e64 s0, v16, v18
	s_delay_alu instid0(VALU_DEP_3) | instskip(SKIP_1) | instid1(VALU_DEP_2)
	v_dual_cndmask_b32 v38, 0, v59, vcc_lo :: v_dual_bitop2_b32 v19, v37, v21 bitop3:0x54
	v_cmp_ne_u32_e32 vcc_lo, 0, v46
	v_dual_cndmask_b32 v23, 0, v60, vcc_lo :: v_dual_bitop2_b32 v20, v38, v22 bitop3:0x54
	v_cmp_ne_u32_e32 vcc_lo, 0, v45
	s_delay_alu instid0(VALU_DEP_2) | instskip(SKIP_4) | instid1(VALU_DEP_2)
	v_or_b32_e32 v21, v23, v26
	v_cndmask_b32_e32 v24, 0, v62, vcc_lo
	v_cmp_ne_u32_e32 vcc_lo, 0, v48
	v_cndmask_b32_e32 v39, 0, v63, vcc_lo
	v_cmp_ne_u32_e32 vcc_lo, 0, v47
	v_or_b32_e32 v22, v39, v28
	v_cndmask_b32_e32 v40, 0, v64, vcc_lo
	v_cmp_eq_f32_e32 vcc_lo, v6, v8
	v_cndmask_b32_e64 v23, 0, 1, vcc_lo
	v_cmp_neq_f32_e32 vcc_lo, v6, v8
	v_cndmask_b32_e64 v6, 0, 1, vcc_lo
	v_cmp_eq_f32_e32 vcc_lo, v7, v9
	v_cndmask_b32_e64 v8, 0, 1, vcc_lo
	v_cmp_neq_f32_e32 vcc_lo, v7, v9
	v_cndmask_b32_e64 v7, 0, 1, vcc_lo
	;; [unrolled: 4-line block ×4, first 2 shown]
	v_cmp_eq_f32_e32 vcc_lo, v13, v14
	v_cndmask_b32_e64 v11, 0, 1, vcc_lo
	v_cmp_eq_f32_e32 vcc_lo, v15, v17
	v_cndmask_b32_e64 v26, 0, 1, vcc_lo
	v_cmp_neq_f32_e32 vcc_lo, v15, v17
	v_or_b32_e32 v17, v40, v27
	v_cndmask_b32_e64 v15, 0, 1, vcc_lo
	v_cmp_neq_f32_e32 vcc_lo, v13, v14
	v_cndmask_b32_e64 v13, 0, 1, vcc_lo
	v_cmp_eq_f32_e32 vcc_lo, v16, v18
	v_cndmask_b32_e64 v14, 0, 1, vcc_lo
	s_cselect_b32 vcc_lo, -1, 0
	v_dual_cndmask_b32 v1, v1, v12 :: v_dual_cndmask_b32 v12, v15, v26
	v_cndmask_b32_e64 v15, 0, 1, s0
	v_cmp_eq_f32_e64 s0, v20, v19
	v_cndmask_b32_e32 v9, v10, v9, vcc_lo
	s_delay_alu instid0(VALU_DEP_4) | instskip(SKIP_1) | instid1(VALU_DEP_4)
	v_and_b32_e32 v1, 1, v1
	v_dual_cndmask_b32 v11, v13, v11, vcc_lo :: v_dual_bitop2_b32 v10, 1, v12 bitop3:0x40
	v_cndmask_b32_e64 v13, 0, 1, s0
	v_cmp_neq_f32_e64 s0, v20, v19
	v_cndmask_b32_e32 v12, v15, v14, vcc_lo
	v_lshlrev_b16 v1, 8, v1
	v_lshlrev_b16 v10, 8, v10
	v_cndmask_b32_e32 v6, v6, v23, vcc_lo
	v_cndmask_b32_e64 v14, 0, 1, s0
	v_cmp_eq_f32_e64 s0, v21, v22
	v_bitop3_b16 v1, v9, v1, 1 bitop3:0xec
	v_bitop3_b16 v9, v12, v10, 1 bitop3:0xec
	v_or_b32_e32 v12, v24, v25
	v_and_b32_e32 v6, 1, v6
	v_cndmask_b32_e64 v15, 0, 1, s0
	v_cmp_neq_f32_e64 s0, v21, v22
	v_lshlrev_b32_e32 v10, 8, v4
	v_dual_cndmask_b32 v7, v7, v8 :: v_dual_cndmask_b32 v8, v14, v13
	v_and_b32_e32 v23, 0x7f000000, v4
	s_delay_alu instid0(VALU_DEP_4)
	v_cndmask_b32_e64 v16, 0, 1, s0
	v_cmp_eq_f32_e64 s0, v12, v17
	v_and_b32_e32 v13, 0x7f000000, v10
	v_and_b32_e32 v24, 0x7f000000, v2
	v_clz_i32_u32_e32 v25, v23
	v_cndmask_b32_e32 v15, v16, v15, vcc_lo
	v_cndmask_b32_e64 v16, 0, 1, s0
	v_cmp_neq_f32_e64 s0, v12, v17
	v_clz_i32_u32_e32 v18, v13
	v_add_nc_u32_e32 v17, 0x1000000, v13
	v_clz_i32_u32_e32 v26, v24
	v_min_u32_e32 v25, 32, v25
	v_cndmask_b32_e64 v12, 0, 1, s0
	v_min_u32_e32 v18, 32, v18
	v_ashrrev_i32_e32 v17, 8, v17
	v_add_nc_u32_e32 v27, 0x1000000, v23
	v_cmp_ne_u32_e64 s0, 0, v13
	v_dual_cndmask_b32 v12, v12, v16, vcc_lo :: v_dual_lshlrev_b32 v16, 16, v3
	v_lshlrev_b16 v6, 8, v6
	v_sub_nc_u32_e64 v18, v18, 4 clamp
	v_and_b32_e32 v17, 0x7f800000, v17
	v_and_b32_e32 v10, 0x80000000, v10
	;; [unrolled: 1-line block ×3, first 2 shown]
	v_bitop3_b16 v6, v11, v6, 1 bitop3:0xec
	v_dual_lshlrev_b32 v11, 8, v2 :: v_dual_lshlrev_b32 v21, v18, v13
	v_lshlrev_b32_e32 v18, 23, v18
	v_and_b32_e32 v2, 0x80000000, v2
	s_delay_alu instid0(VALU_DEP_4) | instskip(NEXT) | instid1(VALU_DEP_4)
	v_lshlrev_b32_e32 v6, 16, v6
	v_and_b32_e32 v14, 0x7f000000, v11
	v_lshrrev_b32_e32 v21, 4, v21
	v_and_b32_e32 v11, 0x80000000, v11
	v_and_b32_e32 v1, 0xffff, v1
	;; [unrolled: 1-line block ×3, first 2 shown]
	v_clz_i32_u32_e32 v19, v14
	v_sub_nc_u32_e32 v18, v21, v18
	v_min_u32_e32 v21, 32, v26
	v_add_nc_u32_e32 v20, 0x1000000, v14
	v_add_nc_u32_e32 v26, 0x1000000, v24
	v_min_u32_e32 v19, 32, v19
	v_add_nc_u32_e32 v18, 0x3c000000, v18
	v_sub_nc_u32_e64 v21, v21, 4 clamp
	v_ashrrev_i32_e32 v20, 8, v20
	s_delay_alu instid0(VALU_DEP_4) | instskip(NEXT) | instid1(VALU_DEP_3)
	v_sub_nc_u32_e64 v19, v19, 4 clamp
	v_dual_lshlrev_b32 v18, v21, v24 :: v_dual_bitop2_b32 v17, v18, v17 bitop3:0x54
	s_delay_alu instid0(VALU_DEP_3) | instskip(NEXT) | instid1(VALU_DEP_3)
	v_and_b32_e32 v20, 0x7f800000, v20
	v_dual_lshlrev_b32 v21, 23, v21 :: v_dual_lshlrev_b32 v22, v19, v14
	s_delay_alu instid0(VALU_DEP_3) | instskip(NEXT) | instid1(VALU_DEP_4)
	v_dual_lshlrev_b32 v19, 23, v19 :: v_dual_lshrrev_b32 v18, 4, v18
	v_cndmask_b32_e64 v13, 0, v17, s0
	v_cmp_ne_u32_e64 s0, 0, v14
	s_delay_alu instid0(VALU_DEP_3) | instskip(NEXT) | instid1(VALU_DEP_1)
	v_dual_lshrrev_b32 v22, 4, v22 :: v_dual_sub_nc_u32 v18, v18, v21
	v_dual_sub_nc_u32 v19, v22, v19 :: v_dual_bitop2_b32 v10, v13, v10 bitop3:0x54
	v_sub_nc_u32_e64 v22, v25, 4 clamp
	s_delay_alu instid0(VALU_DEP_3) | instskip(NEXT) | instid1(VALU_DEP_3)
	v_add_nc_u32_e32 v18, 0x3c000000, v18
	v_add_nc_u32_e32 v19, 0x3c000000, v19
	s_delay_alu instid0(VALU_DEP_3) | instskip(NEXT) | instid1(VALU_DEP_1)
	v_dual_lshlrev_b32 v25, v22, v23 :: v_dual_lshlrev_b32 v22, 23, v22
	v_dual_lshrrev_b32 v25, 4, v25 :: v_dual_bitop2_b32 v19, v19, v20 bitop3:0x54
	v_ashrrev_i32_e32 v20, 8, v27
	s_delay_alu instid0(VALU_DEP_2) | instskip(SKIP_1) | instid1(VALU_DEP_3)
	v_dual_cndmask_b32 v14, 0, v19, s0 :: v_dual_sub_nc_u32 v22, v25, v22
	v_ashrrev_i32_e32 v25, 8, v26
	v_and_b32_e32 v17, 0x7f800000, v20
	v_cmp_ne_u32_e64 s0, 0, v23
	s_delay_alu instid0(VALU_DEP_4) | instskip(SKIP_3) | instid1(VALU_DEP_3)
	v_or_b32_e32 v11, v14, v11
	v_add_nc_u32_e32 v20, 0x3c000000, v22
	v_and_b32_e32 v21, 0x7f800000, v25
	v_lshlrev_b32_e32 v19, 24, v5
	v_or_b32_e32 v13, v20, v17
	s_delay_alu instid0(VALU_DEP_3) | instskip(SKIP_2) | instid1(VALU_DEP_2)
	v_or_b32_e32 v17, v18, v21
	v_and_b32_e32 v18, 0x7f000000, v16
	v_and_b32_e32 v16, 0x80000000, v16
	v_add_nc_u32_e32 v26, 0x1000000, v18
	v_clz_i32_u32_e32 v20, v18
	s_delay_alu instid0(VALU_DEP_2) | instskip(SKIP_1) | instid1(VALU_DEP_2)
	v_dual_ashrrev_i32 v26, 8, v26 :: v_dual_cndmask_b32 v13, 0, v13, s0
	v_cmp_ne_u32_e64 s0, 0, v24
	v_dual_lshlrev_b32 v13, 24, v3 :: v_dual_bitop2_b32 v4, v13, v4 bitop3:0x54
	s_delay_alu instid0(VALU_DEP_2) | instskip(NEXT) | instid1(VALU_DEP_2)
	v_cndmask_b32_e64 v14, 0, v17, s0
	v_and_b32_e32 v17, 0x7f000000, v13
	s_delay_alu instid0(VALU_DEP_2) | instskip(SKIP_1) | instid1(VALU_DEP_3)
	v_or_b32_e32 v2, v14, v2
	v_and_b32_e32 v13, 0x80000000, v13
	v_add_nc_u32_e32 v25, 0x1000000, v17
	v_clz_i32_u32_e32 v21, v17
	s_delay_alu instid0(VALU_DEP_2) | instskip(SKIP_1) | instid1(VALU_DEP_2)
	v_ashrrev_i32_e32 v25, 8, v25
	v_cmp_eq_f32_e64 s0, v11, v10
	v_and_b32_e32 v25, 0x7f800000, v25
	s_delay_alu instid0(VALU_DEP_2) | instskip(SKIP_1) | instid1(VALU_DEP_1)
	v_cndmask_b32_e64 v14, 0, 1, s0
	v_cmp_neq_f32_e64 s0, v11, v10
	v_cndmask_b32_e64 v10, 0, 1, s0
	v_cmp_eq_f32_e64 s0, v2, v4
	s_delay_alu instid0(VALU_DEP_1) | instskip(SKIP_1) | instid1(VALU_DEP_4)
	v_cndmask_b32_e64 v11, 0, 1, s0
	v_cmp_neq_f32_e64 s0, v2, v4
	v_cndmask_b32_e32 v4, v10, v14, vcc_lo
	v_min_u32_e32 v14, 32, v20
	v_min_u32_e32 v20, 32, v21
	v_and_b32_e32 v10, 0x7f000000, v19
	v_cndmask_b32_e64 v2, 0, 1, s0
	v_cmp_ne_u32_e64 s0, 0, v18
	v_sub_nc_u32_e64 v14, v14, 4 clamp
	v_sub_nc_u32_e64 v20, v20, 4 clamp
	v_and_b32_e32 v7, 1, v7
	v_dual_cndmask_b32 v2, v2, v11 :: v_dual_lshlrev_b32 v11, 16, v5
	s_delay_alu instid0(VALU_DEP_4) | instskip(SKIP_2) | instid1(VALU_DEP_4)
	v_lshlrev_b32_e32 v23, v14, v18
	v_clz_i32_u32_e32 v21, v10
	v_dual_lshlrev_b32 v24, v20, v17 :: v_dual_lshlrev_b32 v14, 23, v14
	v_and_b32_e32 v22, 0x7f000000, v11
	s_delay_alu instid0(VALU_DEP_4) | instskip(NEXT) | instid1(VALU_DEP_3)
	v_lshrrev_b32_e32 v23, 4, v23
	v_dual_lshrrev_b32 v24, 4, v24 :: v_dual_bitop2_b32 v15, 1, v15 bitop3:0x40
	v_min_u32_e32 v21, 32, v21
	s_delay_alu instid0(VALU_DEP_4) | instskip(NEXT) | instid1(VALU_DEP_4)
	v_clz_i32_u32_e32 v27, v22
	v_dual_lshlrev_b32 v20, 23, v20 :: v_dual_sub_nc_u32 v14, v23, v14
	v_and_b32_e32 v23, 0x7f800000, v26
	s_delay_alu instid0(VALU_DEP_4) | instskip(NEXT) | instid1(VALU_DEP_4)
	v_sub_nc_u32_e64 v21, v21, 4 clamp
	v_min_u32_e32 v27, 32, v27
	s_delay_alu instid0(VALU_DEP_4) | instskip(SKIP_4) | instid1(VALU_DEP_4)
	v_sub_nc_u32_e32 v20, v24, v20
	v_add_nc_u32_e32 v14, 0x3c000000, v14
	v_add_nc_u32_e32 v28, 0x1000000, v10
	v_and_b32_e32 v11, 0x80000000, v11
	v_sub_nc_u32_e64 v24, v27, 4 clamp
	v_dual_lshlrev_b32 v27, v21, v10 :: v_dual_bitop2_b32 v14, v14, v23 bitop3:0x54
	v_add_nc_u32_e32 v20, 0x3c000000, v20
	v_add_nc_u32_e32 v23, 0x1000000, v22
	s_delay_alu instid0(VALU_DEP_4) | instskip(NEXT) | instid1(VALU_DEP_4)
	v_dual_lshlrev_b32 v26, v24, v22 :: v_dual_lshlrev_b32 v24, 23, v24
	v_dual_lshrrev_b32 v27, 4, v27 :: v_dual_bitop2_b32 v2, 1, v2 bitop3:0x40
	s_delay_alu instid0(VALU_DEP_2) | instskip(SKIP_2) | instid1(VALU_DEP_3)
	v_dual_ashrrev_i32 v23, 8, v23 :: v_dual_lshrrev_b32 v26, 4, v26
	v_lshlrev_b32_e32 v21, 23, v21
	v_dual_ashrrev_i32 v25, 8, v28 :: v_dual_bitop2_b32 v20, v20, v25 bitop3:0x54
	v_and_b32_e32 v23, 0x7f800000, v23
	s_delay_alu instid0(VALU_DEP_3) | instskip(SKIP_1) | instid1(VALU_DEP_4)
	v_dual_sub_nc_u32 v24, v26, v24 :: v_dual_sub_nc_u32 v21, v27, v21
	v_cndmask_b32_e64 v14, 0, v14, s0
	v_and_b32_e32 v18, 0x7f800000, v25
	v_cmp_ne_u32_e64 s0, 0, v17
	s_delay_alu instid0(VALU_DEP_4) | instskip(SKIP_3) | instid1(VALU_DEP_4)
	v_add_nc_u32_e32 v24, 0x3c000000, v24
	v_add_nc_u32_e32 v21, 0x3c000000, v21
	v_or_b32_e32 v14, v14, v16
	v_and_b32_e32 v25, 0x7f000000, v3
	v_dual_cndmask_b32 v17, 0, v20, s0 :: v_dual_bitop2_b32 v23, v24, v23 bitop3:0x54
	s_delay_alu instid0(VALU_DEP_4)
	v_dual_lshlrev_b32 v20, 8, v3 :: v_dual_bitop2_b32 v16, v21, v18 bitop3:0x54
	v_lshlrev_b32_e32 v18, 8, v5
	v_cmp_ne_u32_e64 s0, 0, v22
	v_clz_i32_u32_e32 v28, v25
	v_and_b32_e32 v19, 0x80000000, v19
	v_add_nc_u32_e32 v33, 0x1000000, v25
	v_and_b32_e32 v22, 0x7f000000, v18
	v_cndmask_b32_e64 v21, 0, v23, s0
	v_cmp_ne_u32_e64 s0, 0, v10
	v_and_b32_e32 v23, 0x7f000000, v20
	v_min_u32_e32 v28, 32, v28
	v_add_nc_u32_e32 v24, 0x1000000, v22
	v_lshlrev_b16 v7, 8, v7
	v_dual_cndmask_b32 v10, 0, v16, s0 :: v_dual_bitop2_b32 v11, v21, v11 bitop3:0x54
	v_and_b32_e32 v21, 0x7f000000, v5
	v_add_nc_u32_e32 v26, 0x1000000, v23
	v_or_b32_e32 v13, v17, v13
	v_clz_i32_u32_e32 v17, v23
	v_clz_i32_u32_e32 v16, v22
	;; [unrolled: 1-line block ×3, first 2 shown]
	v_sub_nc_u32_e64 v28, v28, 4 clamp
	v_add_nc_u32_e32 v34, 0x1000000, v21
	v_min_u32_e32 v17, 32, v17
	v_min_u32_e32 v16, 32, v16
	;; [unrolled: 1-line block ×3, first 2 shown]
	v_ashrrev_i32_e32 v24, 8, v24
	v_cmp_eq_f32_e64 s0, v14, v11
	v_sub_nc_u32_e64 v17, v17, 4 clamp
	v_sub_nc_u32_e64 v16, v16, 4 clamp
	v_sub_nc_u32_e64 v27, v27, 4 clamp
	v_or_b32_e32 v10, v10, v19
	v_cndmask_b32_e64 v19, 0, 1, s0
	v_dual_lshlrev_b32 v29, v17, v23 :: v_dual_lshlrev_b32 v17, 23, v17
	s_delay_alu instid0(VALU_DEP_4) | instskip(NEXT) | instid1(VALU_DEP_2)
	v_dual_lshlrev_b32 v31, v27, v21 :: v_dual_lshlrev_b32 v30, v16, v22
	v_dual_lshlrev_b32 v16, 23, v16 :: v_dual_lshrrev_b32 v29, 4, v29
	s_delay_alu instid0(VALU_DEP_2) | instskip(NEXT) | instid1(VALU_DEP_3)
	v_dual_lshlrev_b32 v32, v28, v25 :: v_dual_lshrrev_b32 v31, 4, v31
	v_dual_lshlrev_b32 v27, 23, v27 :: v_dual_lshrrev_b32 v30, 4, v30
	s_delay_alu instid0(VALU_DEP_3) | instskip(NEXT) | instid1(VALU_DEP_3)
	v_dual_lshlrev_b32 v28, 23, v28 :: v_dual_sub_nc_u32 v17, v29, v17
	v_dual_lshrrev_b32 v32, 4, v32 :: v_dual_ashrrev_i32 v29, 8, v34
	s_delay_alu instid0(VALU_DEP_3) | instskip(SKIP_1) | instid1(VALU_DEP_3)
	v_dual_sub_nc_u32 v27, v31, v27 :: v_dual_ashrrev_i32 v31, 8, v33
	v_cmp_ne_u32_e64 s0, 0, v21
	v_sub_nc_u32_e32 v28, v32, v28
	s_delay_alu instid0(VALU_DEP_4) | instskip(NEXT) | instid1(VALU_DEP_4)
	v_and_b32_e32 v29, 0x7f800000, v29
	v_add_nc_u32_e32 v27, 0x3c000000, v27
	v_sub_nc_u32_e32 v16, v30, v16
	v_and_b32_e32 v30, 0x7f800000, v31
	v_add_nc_u32_e32 v28, 0x3c000000, v28
	s_delay_alu instid0(VALU_DEP_4) | instskip(SKIP_2) | instid1(VALU_DEP_4)
	v_dual_ashrrev_i32 v26, 8, v26 :: v_dual_bitop2_b32 v27, v27, v29 bitop3:0x54
	v_and_b32_e32 v24, 0x7f800000, v24
	v_add_nc_u32_e32 v16, 0x3c000000, v16
	v_or_b32_e32 v28, v28, v30
	s_delay_alu instid0(VALU_DEP_4)
	v_and_b32_e32 v26, 0x7f800000, v26
	v_cndmask_b32_e64 v21, 0, v27, s0
	v_cmp_ne_u32_e64 s0, 0, v25
	v_add_nc_u32_e32 v17, 0x3c000000, v17
	v_and_b32_e32 v5, 0x80000000, v5
	v_and_b32_e32 v3, 0x80000000, v3
	v_bitop3_b16 v7, v8, v7, 1 bitop3:0xec
	v_cndmask_b32_e64 v25, 0, v28, s0
	v_cmp_neq_f32_e64 s0, v14, v11
	v_or_b32_e32 v14, v16, v24
	v_or_b32_e32 v16, v17, v26
	v_and_b32_e32 v17, 0x80000000, v18
	v_and_b32_e32 v18, 0x80000000, v20
	v_cndmask_b32_e64 v11, 0, 1, s0
	v_cmp_ne_u32_e64 s0, 0, v22
	v_or_b32_e32 v5, v21, v5
	v_lshlrev_b16 v15, 8, v15
	v_lshlrev_b16 v2, 8, v2
	s_delay_alu instid0(VALU_DEP_4) | instskip(SKIP_3) | instid1(VALU_DEP_4)
	v_dual_cndmask_b32 v11, v11, v19, vcc_lo :: v_dual_cndmask_b32 v14, 0, v14, s0
	v_cmp_ne_u32_e64 s0, 0, v23
	v_or_b32_e32 v3, v25, v3
	v_bitop3_b16 v8, v12, v15, 1 bitop3:0xec
	v_and_b32_e32 v11, 1, v11
	v_bitop3_b16 v2, v4, v2, 1 bitop3:0xec
	v_cndmask_b32_e64 v16, 0, v16, s0
	v_cmp_eq_f32_e64 s0, v3, v5
	v_or_b32_e32 v14, v14, v17
	s_delay_alu instid0(VALU_DEP_3) | instskip(NEXT) | instid1(VALU_DEP_3)
	v_or_b32_e32 v16, v16, v18
	v_cndmask_b32_e64 v20, 0, 1, s0
	v_cmp_neq_f32_e64 s0, v3, v5
	s_delay_alu instid0(VALU_DEP_1) | instskip(SKIP_1) | instid1(VALU_DEP_2)
	v_cndmask_b32_e64 v3, 0, 1, s0
	v_cmp_eq_f32_e64 s0, v13, v10
	v_cndmask_b32_e32 v3, v3, v20, vcc_lo
	s_delay_alu instid0(VALU_DEP_2) | instskip(SKIP_1) | instid1(VALU_DEP_3)
	v_cndmask_b32_e64 v5, 0, 1, s0
	v_cmp_neq_f32_e64 s0, v13, v10
	v_and_b32_e32 v3, 1, v3
	s_delay_alu instid0(VALU_DEP_2) | instskip(NEXT) | instid1(VALU_DEP_2)
	v_cndmask_b32_e64 v10, 0, 1, s0
	v_lshlrev_b16 v3, 8, v3
	s_delay_alu instid0(VALU_DEP_2) | instskip(SKIP_1) | instid1(VALU_DEP_1)
	v_cndmask_b32_e32 v5, v10, v5, vcc_lo
	v_lshlrev_b16 v10, 8, v11
	v_bitop3_b16 v4, v5, v10, 1 bitop3:0xec
	v_lshlrev_b32_e32 v5, 16, v7
	v_and_b32_e32 v7, 0xffff, v8
	v_lshlrev_b32_e32 v8, 16, v2
	v_cmp_eq_f32_e64 s0, v16, v14
	v_and_b32_e32 v10, 0xffff, v4
	v_or_b32_e32 v2, v1, v6
	s_delay_alu instid0(VALU_DEP_4) | instskip(NEXT) | instid1(VALU_DEP_4)
	v_or_b32_e32 v4, v7, v8
	v_cndmask_b32_e64 v13, 0, 1, s0
	v_cmp_neq_f32_e64 s0, v16, v14
	s_delay_alu instid0(VALU_DEP_1) | instskip(NEXT) | instid1(VALU_DEP_1)
	v_cndmask_b32_e64 v14, 0, 1, s0
	v_cndmask_b32_e32 v11, v14, v13, vcc_lo
	s_delay_alu instid0(VALU_DEP_1) | instskip(NEXT) | instid1(VALU_DEP_1)
	v_bitop3_b16 v3, v11, v3, 1 bitop3:0xec
	v_dual_lshlrev_b32 v11, 16, v3 :: v_dual_bitop2_b32 v3, v9, v5 bitop3:0x54
	s_delay_alu instid0(VALU_DEP_1)
	v_or_b32_e32 v5, v10, v11
	s_clause 0x1
	global_store_b64 v0, v[2:3], s[10:11] scale_offset
	global_store_b64 v0, v[4:5], s[10:11] offset:2048 scale_offset
	s_cbranch_execnz .LBB268_2
.LBB268_4:
	s_wait_xcnt 0x0
	v_dual_mov_b32 v31, v0 :: v_dual_mov_b32 v0, s9
	v_dual_mov_b32 v1, s4 :: v_dual_mov_b32 v2, s5
	v_dual_mov_b32 v3, s6 :: v_dual_mov_b32 v4, s7
	v_dual_mov_b32 v5, s2 :: v_dual_mov_b32 v6, s3
	v_mov_b32_e32 v7, s8
	s_get_pc_i64 s[0:1]
	s_add_nc_u64 s[0:1], s[0:1], _ZN2at6native25elementwise_kernel_helperILb0ENS0_13BinaryFunctorIN3c1013Float8_e4m3fnES4_bNS0_12_GLOBAL__N_116CompareEqFunctorIS4_EEEENS0_6memory8policies11unroll_baseILi256ESt5arrayIPcLm3EE23TrivialOffsetCalculatorILi2EjESF_ILi1EjENS9_15LoadWithoutCastENS9_16StoreWithoutCastELi16ELi1EEEEEvT0_T1_@rel64+4
	s_delay_alu instid0(SALU_CYCLE_1)
	s_swap_pc_i64 s[30:31], s[0:1]
	s_endpgm
	.section	.rodata,"a",@progbits
	.p2align	6, 0x0
	.amdhsa_kernel _ZN2at6native29vectorized_elementwise_kernelILi8ENS0_13BinaryFunctorIN3c1013Float8_e4m3fnES4_bNS0_12_GLOBAL__N_116CompareEqFunctorIS4_EEEESt5arrayIPcLm3EEEEviT0_T1_
		.amdhsa_group_segment_fixed_size 0
		.amdhsa_private_segment_fixed_size 0
		.amdhsa_kernarg_size 32
		.amdhsa_user_sgpr_count 2
		.amdhsa_user_sgpr_dispatch_ptr 0
		.amdhsa_user_sgpr_queue_ptr 0
		.amdhsa_user_sgpr_kernarg_segment_ptr 1
		.amdhsa_user_sgpr_dispatch_id 0
		.amdhsa_user_sgpr_kernarg_preload_length 0
		.amdhsa_user_sgpr_kernarg_preload_offset 0
		.amdhsa_user_sgpr_private_segment_size 0
		.amdhsa_wavefront_size32 1
		.amdhsa_uses_dynamic_stack 0
		.amdhsa_enable_private_segment 0
		.amdhsa_system_sgpr_workgroup_id_x 1
		.amdhsa_system_sgpr_workgroup_id_y 0
		.amdhsa_system_sgpr_workgroup_id_z 0
		.amdhsa_system_sgpr_workgroup_info 0
		.amdhsa_system_vgpr_workitem_id 0
		.amdhsa_next_free_vgpr 76
		.amdhsa_next_free_sgpr 33
		.amdhsa_named_barrier_count 0
		.amdhsa_reserve_vcc 1
		.amdhsa_float_round_mode_32 0
		.amdhsa_float_round_mode_16_64 0
		.amdhsa_float_denorm_mode_32 3
		.amdhsa_float_denorm_mode_16_64 3
		.amdhsa_fp16_overflow 0
		.amdhsa_memory_ordered 1
		.amdhsa_forward_progress 1
		.amdhsa_inst_pref_size 38
		.amdhsa_round_robin_scheduling 0
		.amdhsa_exception_fp_ieee_invalid_op 0
		.amdhsa_exception_fp_denorm_src 0
		.amdhsa_exception_fp_ieee_div_zero 0
		.amdhsa_exception_fp_ieee_overflow 0
		.amdhsa_exception_fp_ieee_underflow 0
		.amdhsa_exception_fp_ieee_inexact 0
		.amdhsa_exception_int_div_zero 0
	.end_amdhsa_kernel
	.section	.text._ZN2at6native29vectorized_elementwise_kernelILi8ENS0_13BinaryFunctorIN3c1013Float8_e4m3fnES4_bNS0_12_GLOBAL__N_116CompareEqFunctorIS4_EEEESt5arrayIPcLm3EEEEviT0_T1_,"axG",@progbits,_ZN2at6native29vectorized_elementwise_kernelILi8ENS0_13BinaryFunctorIN3c1013Float8_e4m3fnES4_bNS0_12_GLOBAL__N_116CompareEqFunctorIS4_EEEESt5arrayIPcLm3EEEEviT0_T1_,comdat
.Lfunc_end268:
	.size	_ZN2at6native29vectorized_elementwise_kernelILi8ENS0_13BinaryFunctorIN3c1013Float8_e4m3fnES4_bNS0_12_GLOBAL__N_116CompareEqFunctorIS4_EEEESt5arrayIPcLm3EEEEviT0_T1_, .Lfunc_end268-_ZN2at6native29vectorized_elementwise_kernelILi8ENS0_13BinaryFunctorIN3c1013Float8_e4m3fnES4_bNS0_12_GLOBAL__N_116CompareEqFunctorIS4_EEEESt5arrayIPcLm3EEEEviT0_T1_
                                        ; -- End function
	.set _ZN2at6native29vectorized_elementwise_kernelILi8ENS0_13BinaryFunctorIN3c1013Float8_e4m3fnES4_bNS0_12_GLOBAL__N_116CompareEqFunctorIS4_EEEESt5arrayIPcLm3EEEEviT0_T1_.num_vgpr, max(76, .L_ZN2at6native25elementwise_kernel_helperILb0ENS0_13BinaryFunctorIN3c1013Float8_e4m3fnES4_bNS0_12_GLOBAL__N_116CompareEqFunctorIS4_EEEENS0_6memory8policies11unroll_baseILi256ESt5arrayIPcLm3EE23TrivialOffsetCalculatorILi2EjESF_ILi1EjENS9_15LoadWithoutCastENS9_16StoreWithoutCastELi16ELi1EEEEEvT0_T1_.num_vgpr)
	.set _ZN2at6native29vectorized_elementwise_kernelILi8ENS0_13BinaryFunctorIN3c1013Float8_e4m3fnES4_bNS0_12_GLOBAL__N_116CompareEqFunctorIS4_EEEESt5arrayIPcLm3EEEEviT0_T1_.num_agpr, max(0, .L_ZN2at6native25elementwise_kernel_helperILb0ENS0_13BinaryFunctorIN3c1013Float8_e4m3fnES4_bNS0_12_GLOBAL__N_116CompareEqFunctorIS4_EEEENS0_6memory8policies11unroll_baseILi256ESt5arrayIPcLm3EE23TrivialOffsetCalculatorILi2EjESF_ILi1EjENS9_15LoadWithoutCastENS9_16StoreWithoutCastELi16ELi1EEEEEvT0_T1_.num_agpr)
	.set _ZN2at6native29vectorized_elementwise_kernelILi8ENS0_13BinaryFunctorIN3c1013Float8_e4m3fnES4_bNS0_12_GLOBAL__N_116CompareEqFunctorIS4_EEEESt5arrayIPcLm3EEEEviT0_T1_.numbered_sgpr, max(33, .L_ZN2at6native25elementwise_kernel_helperILb0ENS0_13BinaryFunctorIN3c1013Float8_e4m3fnES4_bNS0_12_GLOBAL__N_116CompareEqFunctorIS4_EEEENS0_6memory8policies11unroll_baseILi256ESt5arrayIPcLm3EE23TrivialOffsetCalculatorILi2EjESF_ILi1EjENS9_15LoadWithoutCastENS9_16StoreWithoutCastELi16ELi1EEEEEvT0_T1_.numbered_sgpr)
	.set _ZN2at6native29vectorized_elementwise_kernelILi8ENS0_13BinaryFunctorIN3c1013Float8_e4m3fnES4_bNS0_12_GLOBAL__N_116CompareEqFunctorIS4_EEEESt5arrayIPcLm3EEEEviT0_T1_.num_named_barrier, max(0, .L_ZN2at6native25elementwise_kernel_helperILb0ENS0_13BinaryFunctorIN3c1013Float8_e4m3fnES4_bNS0_12_GLOBAL__N_116CompareEqFunctorIS4_EEEENS0_6memory8policies11unroll_baseILi256ESt5arrayIPcLm3EE23TrivialOffsetCalculatorILi2EjESF_ILi1EjENS9_15LoadWithoutCastENS9_16StoreWithoutCastELi16ELi1EEEEEvT0_T1_.num_named_barrier)
	.set _ZN2at6native29vectorized_elementwise_kernelILi8ENS0_13BinaryFunctorIN3c1013Float8_e4m3fnES4_bNS0_12_GLOBAL__N_116CompareEqFunctorIS4_EEEESt5arrayIPcLm3EEEEviT0_T1_.private_seg_size, 0+max(.L_ZN2at6native25elementwise_kernel_helperILb0ENS0_13BinaryFunctorIN3c1013Float8_e4m3fnES4_bNS0_12_GLOBAL__N_116CompareEqFunctorIS4_EEEENS0_6memory8policies11unroll_baseILi256ESt5arrayIPcLm3EE23TrivialOffsetCalculatorILi2EjESF_ILi1EjENS9_15LoadWithoutCastENS9_16StoreWithoutCastELi16ELi1EEEEEvT0_T1_.private_seg_size)
	.set _ZN2at6native29vectorized_elementwise_kernelILi8ENS0_13BinaryFunctorIN3c1013Float8_e4m3fnES4_bNS0_12_GLOBAL__N_116CompareEqFunctorIS4_EEEESt5arrayIPcLm3EEEEviT0_T1_.uses_vcc, or(1, .L_ZN2at6native25elementwise_kernel_helperILb0ENS0_13BinaryFunctorIN3c1013Float8_e4m3fnES4_bNS0_12_GLOBAL__N_116CompareEqFunctorIS4_EEEENS0_6memory8policies11unroll_baseILi256ESt5arrayIPcLm3EE23TrivialOffsetCalculatorILi2EjESF_ILi1EjENS9_15LoadWithoutCastENS9_16StoreWithoutCastELi16ELi1EEEEEvT0_T1_.uses_vcc)
	.set _ZN2at6native29vectorized_elementwise_kernelILi8ENS0_13BinaryFunctorIN3c1013Float8_e4m3fnES4_bNS0_12_GLOBAL__N_116CompareEqFunctorIS4_EEEESt5arrayIPcLm3EEEEviT0_T1_.uses_flat_scratch, or(0, .L_ZN2at6native25elementwise_kernel_helperILb0ENS0_13BinaryFunctorIN3c1013Float8_e4m3fnES4_bNS0_12_GLOBAL__N_116CompareEqFunctorIS4_EEEENS0_6memory8policies11unroll_baseILi256ESt5arrayIPcLm3EE23TrivialOffsetCalculatorILi2EjESF_ILi1EjENS9_15LoadWithoutCastENS9_16StoreWithoutCastELi16ELi1EEEEEvT0_T1_.uses_flat_scratch)
	.set _ZN2at6native29vectorized_elementwise_kernelILi8ENS0_13BinaryFunctorIN3c1013Float8_e4m3fnES4_bNS0_12_GLOBAL__N_116CompareEqFunctorIS4_EEEESt5arrayIPcLm3EEEEviT0_T1_.has_dyn_sized_stack, or(0, .L_ZN2at6native25elementwise_kernel_helperILb0ENS0_13BinaryFunctorIN3c1013Float8_e4m3fnES4_bNS0_12_GLOBAL__N_116CompareEqFunctorIS4_EEEENS0_6memory8policies11unroll_baseILi256ESt5arrayIPcLm3EE23TrivialOffsetCalculatorILi2EjESF_ILi1EjENS9_15LoadWithoutCastENS9_16StoreWithoutCastELi16ELi1EEEEEvT0_T1_.has_dyn_sized_stack)
	.set _ZN2at6native29vectorized_elementwise_kernelILi8ENS0_13BinaryFunctorIN3c1013Float8_e4m3fnES4_bNS0_12_GLOBAL__N_116CompareEqFunctorIS4_EEEESt5arrayIPcLm3EEEEviT0_T1_.has_recursion, or(0, .L_ZN2at6native25elementwise_kernel_helperILb0ENS0_13BinaryFunctorIN3c1013Float8_e4m3fnES4_bNS0_12_GLOBAL__N_116CompareEqFunctorIS4_EEEENS0_6memory8policies11unroll_baseILi256ESt5arrayIPcLm3EE23TrivialOffsetCalculatorILi2EjESF_ILi1EjENS9_15LoadWithoutCastENS9_16StoreWithoutCastELi16ELi1EEEEEvT0_T1_.has_recursion)
	.set _ZN2at6native29vectorized_elementwise_kernelILi8ENS0_13BinaryFunctorIN3c1013Float8_e4m3fnES4_bNS0_12_GLOBAL__N_116CompareEqFunctorIS4_EEEESt5arrayIPcLm3EEEEviT0_T1_.has_indirect_call, or(0, .L_ZN2at6native25elementwise_kernel_helperILb0ENS0_13BinaryFunctorIN3c1013Float8_e4m3fnES4_bNS0_12_GLOBAL__N_116CompareEqFunctorIS4_EEEENS0_6memory8policies11unroll_baseILi256ESt5arrayIPcLm3EE23TrivialOffsetCalculatorILi2EjESF_ILi1EjENS9_15LoadWithoutCastENS9_16StoreWithoutCastELi16ELi1EEEEEvT0_T1_.has_indirect_call)
	.section	.AMDGPU.csdata,"",@progbits
; Kernel info:
; codeLenInByte = 4804
; TotalNumSgprs: 35
; NumVgprs: 76
; ScratchSize: 0
; MemoryBound: 0
; FloatMode: 240
; IeeeMode: 1
; LDSByteSize: 0 bytes/workgroup (compile time only)
; SGPRBlocks: 0
; VGPRBlocks: 4
; NumSGPRsForWavesPerEU: 35
; NumVGPRsForWavesPerEU: 76
; NamedBarCnt: 0
; Occupancy: 12
; WaveLimiterHint : 1
; COMPUTE_PGM_RSRC2:SCRATCH_EN: 0
; COMPUTE_PGM_RSRC2:USER_SGPR: 2
; COMPUTE_PGM_RSRC2:TRAP_HANDLER: 0
; COMPUTE_PGM_RSRC2:TGID_X_EN: 1
; COMPUTE_PGM_RSRC2:TGID_Y_EN: 0
; COMPUTE_PGM_RSRC2:TGID_Z_EN: 0
; COMPUTE_PGM_RSRC2:TIDIG_COMP_CNT: 0
	.section	.text._ZN2at6native29vectorized_elementwise_kernelILi4ENS0_13BinaryFunctorIN3c1013Float8_e4m3fnES4_bNS0_12_GLOBAL__N_116CompareEqFunctorIS4_EEEESt5arrayIPcLm3EEEEviT0_T1_,"axG",@progbits,_ZN2at6native29vectorized_elementwise_kernelILi4ENS0_13BinaryFunctorIN3c1013Float8_e4m3fnES4_bNS0_12_GLOBAL__N_116CompareEqFunctorIS4_EEEESt5arrayIPcLm3EEEEviT0_T1_,comdat
	.globl	_ZN2at6native29vectorized_elementwise_kernelILi4ENS0_13BinaryFunctorIN3c1013Float8_e4m3fnES4_bNS0_12_GLOBAL__N_116CompareEqFunctorIS4_EEEESt5arrayIPcLm3EEEEviT0_T1_ ; -- Begin function _ZN2at6native29vectorized_elementwise_kernelILi4ENS0_13BinaryFunctorIN3c1013Float8_e4m3fnES4_bNS0_12_GLOBAL__N_116CompareEqFunctorIS4_EEEESt5arrayIPcLm3EEEEviT0_T1_
	.p2align	8
	.type	_ZN2at6native29vectorized_elementwise_kernelILi4ENS0_13BinaryFunctorIN3c1013Float8_e4m3fnES4_bNS0_12_GLOBAL__N_116CompareEqFunctorIS4_EEEESt5arrayIPcLm3EEEEviT0_T1_,@function
_ZN2at6native29vectorized_elementwise_kernelILi4ENS0_13BinaryFunctorIN3c1013Float8_e4m3fnES4_bNS0_12_GLOBAL__N_116CompareEqFunctorIS4_EEEESt5arrayIPcLm3EEEEviT0_T1_: ; @_ZN2at6native29vectorized_elementwise_kernelILi4ENS0_13BinaryFunctorIN3c1013Float8_e4m3fnES4_bNS0_12_GLOBAL__N_116CompareEqFunctorIS4_EEEESt5arrayIPcLm3EEEEviT0_T1_
; %bb.0:
	s_clause 0x2
	s_load_b64 s[8:9], s[0:1], 0x0
	s_load_b128 s[4:7], s[0:1], 0x8
	s_load_b64 s[2:3], s[0:1], 0x18
	s_wait_xcnt 0x0
	s_bfe_u32 s0, ttmp6, 0x4000c
	s_and_b32 s1, ttmp6, 15
	s_add_co_i32 s0, s0, 1
	s_getreg_b32 s10, hwreg(HW_REG_IB_STS2, 6, 4)
	s_mul_i32 s0, ttmp9, s0
	s_mov_b32 s32, 0
	s_add_co_i32 s1, s1, s0
	s_cmp_eq_u32 s10, 0
	s_cselect_b32 s0, ttmp9, s1
	s_delay_alu instid0(SALU_CYCLE_1) | instskip(SKIP_3) | instid1(SALU_CYCLE_1)
	s_lshl_b32 s10, s0, 12
	s_mov_b32 s0, -1
	s_wait_kmcnt 0x0
	s_sub_co_i32 s8, s8, s10
	s_cmp_gt_i32 s8, 0xfff
	s_cbranch_scc1 .LBB269_3
; %bb.1:
	s_and_not1_b32 vcc_lo, exec_lo, s0
	s_cbranch_vccz .LBB269_4
.LBB269_2:
	s_sendmsg sendmsg(MSG_DEALLOC_VGPRS)
	s_endpgm
.LBB269_3:
	s_ashr_i32 s11, s10, 31
	s_cmp_eq_u32 s9, 0
	s_add_nc_u64 s[0:1], s[6:7], s[10:11]
	s_add_nc_u64 s[12:13], s[2:3], s[10:11]
	s_clause 0x7
	global_load_b32 v4, v0, s[0:1] scale_offset
	global_load_b32 v5, v0, s[12:13] scale_offset
	global_load_b32 v6, v0, s[0:1] offset:1024 scale_offset
	global_load_b32 v7, v0, s[12:13] offset:1024 scale_offset
	;; [unrolled: 1-line block ×6, first 2 shown]
	s_add_nc_u64 s[10:11], s[4:5], s[10:11]
	s_wait_loadcnt 0x7
	v_and_b32_e32 v15, 0x7f000000, v4
	s_wait_loadcnt 0x6
	v_and_b32_e32 v16, 0x7f000000, v5
	;; [unrolled: 2-line block ×3, first 2 shown]
	v_dual_lshlrev_b32 v9, 16, v4 :: v_dual_lshlrev_b32 v10, 24, v4
	v_clz_i32_u32_e32 v35, v15
	s_wait_loadcnt 0x4
	v_and_b32_e32 v23, 0x7f000000, v7
	v_clz_i32_u32_e32 v36, v16
	v_clz_i32_u32_e32 v43, v24
	v_dual_lshlrev_b32 v11, 16, v5 :: v_dual_lshlrev_b32 v12, 24, v5
	v_min_u32_e32 v35, 32, v35
	v_and_b32_e32 v29, 0x7f000000, v9
	v_and_b32_e32 v30, 0x7f000000, v10
	v_clz_i32_u32_e32 v44, v23
	v_min_u32_e32 v36, 32, v36
	v_min_u32_e32 v43, 32, v43
	v_sub_nc_u32_e64 v35, v35, 4 clamp
	v_dual_lshlrev_b32 v13, 8, v4 :: v_dual_lshlrev_b32 v14, 8, v5
	v_and_b32_e32 v32, 0x7f000000, v12
	v_clz_i32_u32_e32 v53, v30
	v_clz_i32_u32_e32 v55, v29
	v_min_u32_e32 v44, 32, v44
	v_sub_nc_u32_e64 v36, v36, 4 clamp
	v_sub_nc_u32_e64 v43, v43, 4 clamp
	v_lshlrev_b32_e32 v73, v35, v15
	v_and_b32_e32 v31, 0x7f000000, v11
	v_and_b32_e32 v33, 0x7f000000, v13
	v_clz_i32_u32_e32 v54, v32
	v_min_u32_e32 v53, 32, v53
	v_min_u32_e32 v55, 32, v55
	v_sub_nc_u32_e64 v44, v44, 4 clamp
	v_dual_lshlrev_b32 v35, 23, v35 :: v_dual_lshlrev_b32 v74, v36, v16
	v_dual_lshrrev_b32 v73, 4, v73 :: v_dual_lshlrev_b32 v75, v43, v24
	v_dual_lshlrev_b32 v17, 16, v6 :: v_dual_lshlrev_b32 v18, 24, v6
	v_and_b32_e32 v34, 0x7f000000, v14
	v_clz_i32_u32_e32 v56, v31
	v_clz_i32_u32_e32 v57, v33
	v_min_u32_e32 v54, 32, v54
	v_sub_nc_u32_e64 v55, v55, 4 clamp
	v_sub_nc_u32_e64 v53, v53, 4 clamp
	v_dual_lshlrev_b32 v36, 23, v36 :: v_dual_sub_nc_u32 v35, v73, v35
	v_dual_lshlrev_b32 v73, v44, v23 :: v_dual_lshrrev_b32 v74, 4, v74
	v_lshlrev_b32_e32 v43, 23, v43
	v_lshrrev_b32_e32 v75, 4, v75
	v_dual_lshlrev_b32 v19, 16, v7 :: v_dual_lshlrev_b32 v20, 24, v7
	v_and_b32_e32 v37, 0x7f000000, v17
	v_and_b32_e32 v38, 0x7f000000, v18
	v_clz_i32_u32_e32 v58, v34
	v_min_u32_e32 v56, 32, v56
	v_min_u32_e32 v57, 32, v57
	v_sub_nc_u32_e64 v54, v54, 4 clamp
	v_lshlrev_b32_e32 v44, 23, v44
	v_dual_sub_nc_u32 v36, v74, v36 :: v_dual_lshlrev_b32 v74, v53, v30
	v_dual_lshrrev_b32 v73, 4, v73 :: v_dual_sub_nc_u32 v43, v75, v43
	v_dual_lshlrev_b32 v75, v55, v29 :: v_dual_lshlrev_b32 v21, 8, v7
	v_lshlrev_b32_e32 v22, 8, v6
	v_and_b32_e32 v40, 0x7f000000, v20
	v_clz_i32_u32_e32 v59, v38
	v_clz_i32_u32_e32 v61, v37
	v_min_u32_e32 v58, 32, v58
	v_sub_nc_u32_e64 v56, v56, 4 clamp
	v_sub_nc_u32_e64 v57, v57, 4 clamp
	v_dual_lshlrev_b32 v53, 23, v53 :: v_dual_lshlrev_b32 v55, 23, v55
	v_dual_lshrrev_b32 v74, 4, v74 :: v_dual_sub_nc_u32 v44, v73, v44
	v_dual_lshrrev_b32 v75, 4, v75 :: v_dual_lshlrev_b32 v73, v54, v32
	v_and_b32_e32 v39, 0x7f000000, v19
	v_and_b32_e32 v42, 0x7f000000, v22
	v_clz_i32_u32_e32 v60, v40
	v_add_nc_u32_e32 v69, 0x1000000, v29
	v_min_u32_e32 v59, 32, v59
	v_min_u32_e32 v61, 32, v61
	v_sub_nc_u32_e64 v58, v58, 4 clamp
	v_dual_sub_nc_u32 v53, v74, v53 :: v_dual_lshlrev_b32 v74, v56, v31
	v_dual_lshlrev_b32 v54, 23, v54 :: v_dual_lshrrev_b32 v73, 4, v73
	v_dual_sub_nc_u32 v55, v75, v55 :: v_dual_lshlrev_b32 v75, v57, v33
	s_wait_loadcnt 0x3
	v_dual_lshlrev_b32 v25, 24, v1 :: v_dual_lshlrev_b32 v26, 16, v1
	v_and_b32_e32 v41, 0x7f000000, v21
	v_clz_i32_u32_e32 v62, v39
	v_clz_i32_u32_e32 v63, v42
	v_min_u32_e32 v60, 32, v60
	v_sub_nc_u32_e64 v61, v61, 4 clamp
	v_sub_nc_u32_e64 v59, v59, 4 clamp
	v_dual_lshlrev_b32 v56, 23, v56 :: v_dual_lshlrev_b32 v57, 23, v57
	v_lshrrev_b32_e32 v74, 4, v74
	v_dual_sub_nc_u32 v54, v73, v54 :: v_dual_lshrrev_b32 v75, 4, v75
	v_lshlrev_b32_e32 v73, v58, v34
	v_add_nc_u32_e32 v44, 0x3c000000, v44
	s_wait_loadcnt 0x2
	v_dual_ashrrev_i32 v69, 8, v69 :: v_dual_lshlrev_b32 v27, 24, v8
	v_lshlrev_b32_e32 v28, 16, v8
	v_and_b32_e32 v45, 0x7f000000, v25
	v_and_b32_e32 v46, 0x7f000000, v26
	v_clz_i32_u32_e32 v64, v41
	v_min_u32_e32 v62, 32, v62
	v_min_u32_e32 v63, 32, v63
	v_sub_nc_u32_e64 v60, v60, 4 clamp
	v_dual_lshlrev_b32 v58, 23, v58 :: v_dual_sub_nc_u32 v56, v74, v56
	v_sub_nc_u32_e32 v57, v75, v57
	v_dual_lshlrev_b32 v74, v59, v38 :: v_dual_lshrrev_b32 v73, 4, v73
	v_dual_lshlrev_b32 v75, v61, v37 :: v_dual_lshlrev_b32 v59, 23, v59
	v_and_b32_e32 v69, 0x7f800000, v69
	v_add_nc_u32_e32 v55, 0x3c000000, v55
	v_cmp_ne_u32_e32 vcc_lo, 0, v15
	v_add_nc_u32_e32 v50, 0x1000000, v16
	v_and_b32_e32 v47, 0x7f000000, v27
	v_clz_i32_u32_e32 v65, v45
	v_clz_i32_u32_e32 v66, v46
	v_min_u32_e32 v64, 32, v64
	v_sub_nc_u32_e64 v62, v62, 4 clamp
	v_sub_nc_u32_e64 v63, v63, 4 clamp
	v_dual_lshrrev_b32 v74, 4, v74 :: v_dual_lshlrev_b32 v61, 23, v61
	v_dual_sub_nc_u32 v58, v73, v58 :: v_dual_lshlrev_b32 v73, v60, v40
	v_dual_lshrrev_b32 v75, 4, v75 :: v_dual_lshlrev_b32 v60, 23, v60
	v_or_b32_e32 v55, v55, v69
	v_add_nc_u32_e32 v52, 0x1000000, v24
	v_ashrrev_i32_e32 v50, 8, v50
	v_clz_i32_u32_e32 v67, v47
	v_min_u32_e32 v65, 32, v65
	v_min_u32_e32 v66, 32, v66
	v_ashrrev_i32_e32 v52, 8, v52
	v_sub_nc_u32_e64 v64, v64, 4 clamp
	v_dual_sub_nc_u32 v59, v74, v59 :: v_dual_lshrrev_b32 v73, 4, v73
	v_dual_lshlrev_b32 v74, v62, v39 :: v_dual_lshlrev_b32 v62, 23, v62
	v_sub_nc_u32_e32 v61, v75, v61
	s_delay_alu instid0(VALU_DEP_3)
	v_dual_lshlrev_b32 v75, v63, v42 :: v_dual_sub_nc_u32 v60, v73, v60
	v_and_b32_e32 v50, 0x7f800000, v50
	v_add_nc_u32_e32 v36, 0x3c000000, v36
	v_min_u32_e32 v67, 32, v67
	v_sub_nc_u32_e64 v65, v65, 4 clamp
	v_sub_nc_u32_e64 v66, v66, 4 clamp
	v_dual_lshrrev_b32 v74, 4, v74 :: v_dual_lshlrev_b32 v73, v64, v41
	v_dual_lshlrev_b32 v63, 23, v63 :: v_dual_lshlrev_b32 v64, 23, v64
	v_dual_lshrrev_b32 v75, 4, v75 :: v_dual_bitop2_b32 v36, v36, v50 bitop3:0x54
	v_add_nc_u32_e32 v50, 0x1000000, v39
	v_sub_nc_u32_e64 v67, v67, 4 clamp
	v_dual_sub_nc_u32 v62, v74, v62 :: v_dual_lshlrev_b32 v74, v65, v45
	s_delay_alu instid0(VALU_DEP_4) | instskip(SKIP_3) | instid1(VALU_DEP_3)
	v_dual_lshlrev_b32 v65, 23, v65 :: v_dual_sub_nc_u32 v63, v75, v63
	v_dual_lshrrev_b32 v73, 4, v73 :: v_dual_lshlrev_b32 v75, v66, v46
	v_ashrrev_i32_e32 v50, 8, v50
	v_lshlrev_b32_e32 v66, 23, v66
	v_dual_lshrrev_b32 v74, 4, v74 :: v_dual_sub_nc_u32 v64, v73, v64
	v_lshlrev_b32_e32 v73, v67, v47
	v_lshrrev_b32_e32 v75, 4, v75
	v_and_b32_e32 v50, 0x7f800000, v50
	v_add_nc_u32_e32 v62, 0x3c000000, v62
	v_sub_nc_u32_e32 v65, v74, v65
	s_delay_alu instid0(VALU_DEP_4) | instskip(SKIP_1) | instid1(VALU_DEP_4)
	v_dual_lshrrev_b32 v73, 4, v73 :: v_dual_sub_nc_u32 v66, v75, v66
	v_add_nc_u32_e32 v70, 0x1000000, v30
	v_or_b32_e32 v50, v62, v50
	v_add_nc_u32_e32 v75, 0x1000000, v33
	v_add_nc_u32_e32 v57, 0x3c000000, v57
	v_and_b32_e32 v52, 0x7f800000, v52
	v_ashrrev_i32_e32 v70, 8, v70
	v_add_nc_u32_e32 v53, 0x3c000000, v53
	v_ashrrev_i32_e32 v75, 8, v75
	v_add_nc_u32_e32 v54, 0x3c000000, v54
	v_add_nc_u32_e32 v35, 0x3c000000, v35
	v_and_b32_e32 v70, 0x7f800000, v70
	v_add_nc_u32_e32 v56, 0x3c000000, v56
	v_and_b32_e32 v75, 0x7f800000, v75
	v_and_b32_e32 v48, 0x7f000000, v28
	v_add_nc_u32_e32 v65, 0x3c000000, v65
	v_or_b32_e32 v53, v53, v70
	v_add_nc_u32_e32 v51, 0x1000000, v23
	v_or_b32_e32 v57, v57, v75
	v_add_nc_u32_e32 v72, 0x1000000, v32
	v_clz_i32_u32_e32 v68, v48
	v_add_nc_u32_e32 v61, 0x3c000000, v61
	v_ashrrev_i32_e32 v51, 8, v51
	v_add_nc_u32_e32 v64, 0x3c000000, v64
	v_ashrrev_i32_e32 v72, 8, v72
	v_add_nc_u32_e32 v49, 0x1000000, v15
	v_min_u32_e32 v68, 32, v68
	v_and_b32_e32 v51, 0x7f800000, v51
	v_add_nc_u32_e32 v69, 0x1000000, v42
	v_and_b32_e32 v72, 0x7f800000, v72
	v_ashrrev_i32_e32 v49, 8, v49
	v_sub_nc_u32_e64 v68, v68, 4 clamp
	v_or_b32_e32 v44, v44, v51
	s_delay_alu instid0(VALU_DEP_4) | instskip(SKIP_4) | instid1(VALU_DEP_4)
	v_dual_lshlrev_b32 v67, 23, v67 :: v_dual_bitop2_b32 v54, v54, v72 bitop3:0x54
	v_add_nc_u32_e32 v71, 0x1000000, v31
	v_and_b32_e32 v49, 0x7f800000, v49
	v_add_nc_u32_e32 v72, 0x1000000, v48
	v_lshlrev_b32_e32 v74, v68, v48
	v_dual_lshlrev_b32 v68, 23, v68 :: v_dual_ashrrev_i32 v71, 8, v71
	s_delay_alu instid0(VALU_DEP_3) | instskip(NEXT) | instid1(VALU_DEP_3)
	v_dual_ashrrev_i32 v72, 8, v72 :: v_dual_bitop2_b32 v35, v35, v49 bitop3:0x54
	v_dual_lshrrev_b32 v74, 4, v74 :: v_dual_sub_nc_u32 v67, v73, v67
	s_delay_alu instid0(VALU_DEP_3) | instskip(NEXT) | instid1(VALU_DEP_3)
	v_and_b32_e32 v71, 0x7f800000, v71
	v_cndmask_b32_e32 v15, 0, v35, vcc_lo
	v_cmp_ne_u32_e32 vcc_lo, 0, v16
	s_delay_alu instid0(VALU_DEP_4) | instskip(SKIP_4) | instid1(VALU_DEP_4)
	v_sub_nc_u32_e32 v68, v74, v68
	v_add_nc_u32_e32 v70, 0x1000000, v46
	v_or_b32_e32 v56, v56, v71
	v_dual_cndmask_b32 v16, 0, v36 :: v_dual_add_nc_u32 v71, 0x1000000, v45
	v_cmp_ne_u32_e32 vcc_lo, 0, v23
	v_dual_ashrrev_i32 v69, 8, v69 :: v_dual_ashrrev_i32 v70, 8, v70
	s_delay_alu instid0(VALU_DEP_3) | instskip(SKIP_3) | instid1(VALU_DEP_4)
	v_ashrrev_i32_e32 v71, 8, v71
	v_dual_cndmask_b32 v23, 0, v44 :: v_dual_add_nc_u32 v58, 0x3c000000, v58
	v_cmp_ne_u32_e32 vcc_lo, 0, v24
	v_and_b32_e32 v4, 0x80000000, v4
	v_and_b32_e32 v71, 0x7f800000, v71
	;; [unrolled: 1-line block ×4, first 2 shown]
	v_add_nc_u32_e32 v59, 0x3c000000, v59
	v_add_nc_u32_e32 v63, 0x3c000000, v63
	v_or_b32_e32 v62, v65, v71
	v_add_nc_u32_e32 v43, 0x3c000000, v43
	v_add_nc_u32_e32 v68, 0x3c000000, v68
	v_and_b32_e32 v5, 0x80000000, v5
	v_or_b32_e32 v4, v15, v4
	v_add_nc_u32_e32 v60, 0x3c000000, v60
	v_or_b32_e32 v43, v43, v52
	v_add_nc_u32_e32 v52, 0x1000000, v41
	v_or_b32_e32 v5, v16, v5
	v_and_b32_e32 v70, 0x7f800000, v70
	v_add_nc_u32_e32 v66, 0x3c000000, v66
	v_cndmask_b32_e32 v24, 0, v43, vcc_lo
	v_cmp_ne_u32_e32 vcc_lo, 0, v29
	v_ashrrev_i32_e32 v52, 8, v52
	v_and_b32_e32 v7, 0x80000000, v7
	v_and_b32_e32 v6, 0x80000000, v6
	v_and_b32_e32 v14, 0x80000000, v14
	v_cndmask_b32_e32 v29, 0, v55, vcc_lo
	v_cmp_ne_u32_e32 vcc_lo, 0, v30
	v_and_b32_e32 v52, 0x7f800000, v52
	v_or_b32_e32 v7, v23, v7
	v_or_b32_e32 v6, v24, v6
	v_and_b32_e32 v17, 0x80000000, v17
	v_cndmask_b32_e32 v30, 0, v53, vcc_lo
	v_cmp_ne_u32_e32 vcc_lo, 0, v31
	v_add_nc_u32_e32 v74, 0x1000000, v37
	v_or_b32_e32 v52, v64, v52
	v_add_nc_u32_e32 v49, 0x1000000, v38
	v_and_b32_e32 v19, 0x80000000, v19
	s_delay_alu instid0(VALU_DEP_4) | instskip(SKIP_1) | instid1(VALU_DEP_4)
	v_dual_cndmask_b32 v31, 0, v56 :: v_dual_ashrrev_i32 v74, 8, v74
	v_cmp_ne_u32_e32 vcc_lo, 0, v32
	v_ashrrev_i32_e32 v49, 8, v49
	v_and_b32_e32 v21, 0x80000000, v21
	v_and_b32_e32 v10, 0x80000000, v10
	;; [unrolled: 1-line block ×3, first 2 shown]
	v_cndmask_b32_e32 v32, 0, v54, vcc_lo
	v_cmp_ne_u32_e32 vcc_lo, 0, v33
	v_and_b32_e32 v49, 0x7f800000, v49
	v_and_b32_e32 v12, 0x80000000, v12
	v_or_b32_e32 v61, v61, v74
	v_add_nc_u32_e32 v73, 0x1000000, v34
	v_cndmask_b32_e32 v33, 0, v57, vcc_lo
	v_cmp_ne_u32_e32 vcc_lo, 0, v34
	v_or_b32_e32 v49, v59, v49
	v_or_b32_e32 v59, v63, v69
	v_dual_ashrrev_i32 v73, 8, v73 :: v_dual_bitop2_b32 v63, v68, v72 bitop3:0x54
	v_add_nc_u32_e32 v51, 0x1000000, v40
	v_or_b32_e32 v10, v30, v10
	v_or_b32_e32 v12, v32, v12
	s_delay_alu instid0(VALU_DEP_4)
	v_and_b32_e32 v73, 0x7f800000, v73
	v_and_b32_e32 v9, 0x80000000, v9
	v_ashrrev_i32_e32 v51, 8, v51
	v_and_b32_e32 v11, 0x80000000, v11
	v_and_b32_e32 v13, 0x80000000, v13
	v_or_b32_e32 v58, v58, v73
	v_or_b32_e32 v9, v29, v9
	v_and_b32_e32 v51, 0x7f800000, v51
	v_or_b32_e32 v11, v31, v11
	s_delay_alu instid0(VALU_DEP_4) | instskip(SKIP_1) | instid1(VALU_DEP_4)
	v_dual_cndmask_b32 v15, 0, v58, vcc_lo :: v_dual_bitop2_b32 v13, v33, v13 bitop3:0x54
	v_cmp_ne_u32_e32 vcc_lo, 0, v37
	v_or_b32_e32 v51, v60, v51
	v_or_b32_e32 v60, v66, v70
	v_and_b32_e32 v18, 0x80000000, v18
	v_dual_cndmask_b32 v16, 0, v61, vcc_lo :: v_dual_bitop2_b32 v14, v15, v14 bitop3:0x54
	v_cmp_ne_u32_e32 vcc_lo, 0, v38
	v_and_b32_e32 v20, 0x80000000, v20
	v_and_b32_e32 v22, 0x80000000, v22
	v_add_nc_u32_e32 v67, 0x3c000000, v67
	v_or_b32_e32 v15, v16, v17
	v_cndmask_b32_e32 v34, 0, v49, vcc_lo
	v_cmp_ne_u32_e32 vcc_lo, 0, v39
	v_and_b32_e32 v26, 0x80000000, v26
	v_and_b32_e32 v28, 0x80000000, v28
	;; [unrolled: 1-line block ×3, first 2 shown]
	v_or_b32_e32 v16, v34, v18
	v_cndmask_b32_e32 v36, 0, v50, vcc_lo
	v_cmp_ne_u32_e32 vcc_lo, 0, v40
	s_delay_alu instid0(VALU_DEP_2) | instskip(SKIP_2) | instid1(VALU_DEP_2)
	v_or_b32_e32 v17, v36, v19
	v_cndmask_b32_e32 v37, 0, v51, vcc_lo
	v_cmp_ne_u32_e32 vcc_lo, 0, v41
	v_or_b32_e32 v18, v37, v20
	v_cndmask_b32_e32 v38, 0, v52, vcc_lo
	v_cmp_ne_u32_e32 vcc_lo, 0, v42
	s_wait_xcnt 0x0
	s_delay_alu instid0(VALU_DEP_3) | instskip(NEXT) | instid1(VALU_DEP_3)
	v_cmp_neq_f32_e64 s0, v16, v18
	v_dual_cndmask_b32 v39, 0, v59, vcc_lo :: v_dual_bitop2_b32 v19, v38, v21 bitop3:0x54
	v_cmp_ne_u32_e32 vcc_lo, 0, v46
	s_delay_alu instid0(VALU_DEP_2)
	v_dual_cndmask_b32 v23, 0, v60, vcc_lo :: v_dual_bitop2_b32 v20, v39, v22 bitop3:0x54
	v_cmp_ne_u32_e32 vcc_lo, 0, v45
	v_cndmask_b32_e32 v24, 0, v62, vcc_lo
	v_cmp_ne_u32_e32 vcc_lo, 0, v48
	v_cndmask_b32_e32 v40, 0, v63, vcc_lo
	v_cmp_eq_f32_e32 vcc_lo, v4, v5
	v_cndmask_b32_e64 v21, 0, 1, vcc_lo
	v_cmp_neq_f32_e32 vcc_lo, v4, v5
	v_cndmask_b32_e64 v4, 0, 1, vcc_lo
	v_cmp_eq_f32_e32 vcc_lo, v6, v7
	v_cndmask_b32_e64 v5, 0, 1, vcc_lo
	v_cmp_neq_f32_e32 vcc_lo, v6, v7
	v_cndmask_b32_e64 v6, 0, 1, vcc_lo
	;; [unrolled: 4-line block ×4, first 2 shown]
	v_cmp_eq_f32_e32 vcc_lo, v13, v14
	v_cndmask_b32_e64 v11, 0, 1, vcc_lo
	v_cmp_eq_f32_e32 vcc_lo, v15, v17
	v_cndmask_b32_e64 v22, 0, 1, vcc_lo
	v_cmp_neq_f32_e32 vcc_lo, v15, v17
	v_cndmask_b32_e64 v15, 0, 1, vcc_lo
	v_cmp_neq_f32_e32 vcc_lo, v13, v14
	v_cndmask_b32_e64 v13, 0, 1, vcc_lo
	v_cmp_eq_f32_e32 vcc_lo, v16, v18
	v_or_b32_e32 v16, v24, v25
	v_and_b32_e32 v24, 0x7f000000, v1
	v_cndmask_b32_e64 v14, 0, 1, vcc_lo
	s_cselect_b32 vcc_lo, -1, 0
	v_add_nc_u32_e32 v75, 0x1000000, v47
	v_dual_cndmask_b32 v9, v9, v12 :: v_dual_cndmask_b32 v12, v15, v22
	v_cndmask_b32_e64 v15, 0, 1, s0
	v_cmp_eq_f32_e64 s0, v20, v19
	s_delay_alu instid0(VALU_DEP_4) | instskip(SKIP_2) | instid1(VALU_DEP_4)
	v_dual_cndmask_b32 v4, v4, v21 :: v_dual_ashrrev_i32 v75, 8, v75
	v_cndmask_b32_e32 v11, v13, v11, vcc_lo
	v_cndmask_b32_e32 v7, v10, v7, vcc_lo
	v_cndmask_b32_e64 v13, 0, 1, s0
	v_cmp_neq_f32_e64 s0, v20, v19
	v_and_b32_e32 v4, 1, v4
	v_and_b32_e32 v75, 0x7f800000, v75
	v_and_b32_e32 v9, 1, v9
	v_dual_cndmask_b32 v12, v15, v14, vcc_lo :: v_dual_bitop2_b32 v10, 1, v12 bitop3:0x40
	v_cndmask_b32_e64 v14, 0, 1, s0
	s_delay_alu instid0(VALU_DEP_4)
	v_or_b32_e32 v35, v67, v75
	v_lshlrev_b16 v4, 8, v4
	v_lshlrev_b16 v9, 8, v9
	;; [unrolled: 1-line block ×3, first 2 shown]
	v_cndmask_b32_e32 v5, v6, v5, vcc_lo
	v_cndmask_b32_e32 v6, v14, v13, vcc_lo
	v_lshlrev_b32_e32 v14, 8, v1
	v_cmp_ne_u32_e64 s0, 0, v47
	v_bitop3_b16 v4, v11, v4, 1 bitop3:0xec
	v_bitop3_b16 v7, v7, v9, 1 bitop3:0xec
	;; [unrolled: 1-line block ×3, first 2 shown]
	v_and_b32_e32 v10, 0x80000000, v27
	v_or_b32_e32 v11, v23, v26
	v_or_b32_e32 v12, v40, v28
	v_dual_lshlrev_b32 v13, 8, v8 :: v_dual_cndmask_b32 v15, 0, v35, s0
	v_and_b32_e32 v18, 0x7f000000, v14
	v_and_b32_e32 v23, 0x7f000000, v8
	s_delay_alu instid0(VALU_DEP_4) | instskip(NEXT) | instid1(VALU_DEP_4)
	v_cmp_eq_f32_e64 s0, v11, v12
	v_and_b32_e32 v17, 0x7f000000, v13
	v_or_b32_e32 v10, v15, v10
	v_clz_i32_u32_e32 v15, v18
	v_clz_i32_u32_e32 v25, v23
	v_cndmask_b32_e64 v19, 0, 1, s0
	v_cmp_neq_f32_e64 s0, v11, v12
	v_clz_i32_u32_e32 v12, v17
	v_min_u32_e32 v15, 32, v15
	v_min_u32_e32 v25, 32, v25
	v_add_nc_u32_e32 v20, 0x1000000, v18
	v_cndmask_b32_e64 v11, 0, 1, s0
	v_min_u32_e32 v12, 32, v12
	v_sub_nc_u32_e64 v15, v15, 4 clamp
	v_cmp_eq_f32_e64 s0, v16, v10
	s_delay_alu instid0(VALU_DEP_4) | instskip(NEXT) | instid1(VALU_DEP_4)
	v_dual_cndmask_b32 v11, v11, v19 :: v_dual_ashrrev_i32 v20, 8, v20
	v_sub_nc_u32_e64 v12, v12, 4 clamp
	s_delay_alu instid0(VALU_DEP_4) | instskip(NEXT) | instid1(VALU_DEP_4)
	v_dual_lshlrev_b32 v22, v15, v18 :: v_dual_lshlrev_b32 v15, 23, v15
	v_cndmask_b32_e64 v19, 0, 1, s0
	v_cmp_neq_f32_e64 s0, v16, v10
	s_delay_alu instid0(VALU_DEP_3) | instskip(SKIP_3) | instid1(VALU_DEP_4)
	v_dual_lshlrev_b32 v21, v12, v17 :: v_dual_lshrrev_b32 v22, 4, v22
	v_add_nc_u32_e32 v16, 0x1000000, v17
	v_lshlrev_b32_e32 v12, 23, v12
	v_clz_i32_u32_e32 v26, v24
	v_dual_lshrrev_b32 v21, 4, v21 :: v_dual_sub_nc_u32 v15, v22, v15
	v_sub_nc_u32_e64 v22, v25, 4 clamp
	v_ashrrev_i32_e32 v16, 8, v16
	v_and_b32_e32 v20, 0x7f800000, v20
	s_delay_alu instid0(VALU_DEP_4)
	v_sub_nc_u32_e32 v12, v21, v12
	v_add_nc_u32_e32 v15, 0x3c000000, v15
	v_lshlrev_b32_e32 v25, v22, v23
	v_and_b32_e32 v16, 0x7f800000, v16
	v_add_nc_u32_e32 v27, 0x1000000, v23
	v_add_nc_u32_e32 v12, 0x3c000000, v12
	s_delay_alu instid0(VALU_DEP_4) | instskip(SKIP_2) | instid1(VALU_DEP_4)
	v_dual_lshlrev_b32 v22, 23, v22 :: v_dual_lshrrev_b32 v25, 4, v25
	v_cndmask_b32_e64 v10, 0, 1, s0
	v_min_u32_e32 v21, 32, v26
	v_or_b32_e32 v12, v12, v16
	v_dual_ashrrev_i32 v20, 8, v27 :: v_dual_bitop2_b32 v15, v15, v20 bitop3:0x54
	v_sub_nc_u32_e32 v22, v25, v22
	v_cmp_ne_u32_e64 s0, 0, v17
	v_sub_nc_u32_e64 v21, v21, 4 clamp
	v_and_b32_e32 v13, 0x80000000, v13
	v_and_b32_e32 v17, 0x7f800000, v20
	v_add_nc_u32_e32 v20, 0x3c000000, v22
	v_cndmask_b32_e64 v12, 0, v12, s0
	v_cmp_ne_u32_e64 s0, 0, v18
	v_lshlrev_b32_e32 v16, v21, v24
	v_add_nc_u32_e32 v26, 0x1000000, v24
	v_lshlrev_b32_e32 v21, 23, v21
	s_delay_alu instid0(VALU_DEP_4)
	v_dual_cndmask_b32 v15, 0, v15, s0 :: v_dual_bitop2_b32 v12, v12, v13 bitop3:0x54
	v_or_b32_e32 v13, v20, v17
	v_cmp_ne_u32_e64 s0, 0, v23
	v_lshrrev_b32_e32 v16, 4, v16
	v_and_b32_e32 v8, 0x80000000, v8
	v_ashrrev_i32_e32 v25, 8, v26
	v_and_b32_e32 v14, 0x80000000, v14
	v_cndmask_b32_e64 v13, 0, v13, s0
	v_sub_nc_u32_e32 v16, v16, v21
	v_cmp_ne_u32_e64 s0, 0, v24
	v_and_b32_e32 v21, 0x7f800000, v25
	v_and_b32_e32 v1, 0x80000000, v1
	s_wait_loadcnt 0x0
	v_dual_lshlrev_b32 v13, 24, v2 :: v_dual_bitop2_b32 v8, v13, v8 bitop3:0x54
	v_add_nc_u32_e32 v16, 0x3c000000, v16
	v_cndmask_b32_e32 v10, v10, v19, vcc_lo
	v_dual_lshlrev_b32 v19, 24, v3 :: v_dual_lshlrev_b32 v4, 16, v4
	s_delay_alu instid0(VALU_DEP_4) | instskip(NEXT) | instid1(VALU_DEP_4)
	v_and_b32_e32 v17, 0x7f000000, v13
	v_or_b32_e32 v16, v16, v21
	v_and_b32_e32 v13, 0x80000000, v13
	v_and_b32_e32 v7, 0xffff, v7
	;; [unrolled: 1-line block ×3, first 2 shown]
	v_add_nc_u32_e32 v25, 0x1000000, v17
	v_dual_cndmask_b32 v15, 0, v16, s0 :: v_dual_bitop2_b32 v14, v15, v14 bitop3:0x54
	v_lshlrev_b32_e32 v16, 16, v2
	v_clz_i32_u32_e32 v21, v17
	s_delay_alu instid0(VALU_DEP_4) | instskip(NEXT) | instid1(VALU_DEP_4)
	v_ashrrev_i32_e32 v25, 8, v25
	v_cmp_eq_f32_e64 s0, v14, v12
	v_or_b32_e32 v1, v15, v1
	v_and_b32_e32 v18, 0x7f000000, v16
	v_and_b32_e32 v16, 0x80000000, v16
	v_and_b32_e32 v25, 0x7f800000, v25
	v_cndmask_b32_e64 v15, 0, 1, s0
	v_cmp_neq_f32_e64 s0, v14, v12
	v_clz_i32_u32_e32 v20, v18
	v_add_nc_u32_e32 v26, 0x1000000, v18
	v_or_b32_e32 v4, v7, v4
	s_delay_alu instid0(VALU_DEP_4) | instskip(SKIP_1) | instid1(VALU_DEP_4)
	v_cndmask_b32_e64 v12, 0, 1, s0
	v_cmp_eq_f32_e64 s0, v1, v8
	v_ashrrev_i32_e32 v26, 8, v26
	s_delay_alu instid0(VALU_DEP_2)
	v_cndmask_b32_e64 v14, 0, 1, s0
	v_cmp_neq_f32_e64 s0, v1, v8
	v_cndmask_b32_e32 v8, v12, v15, vcc_lo
	v_min_u32_e32 v15, 32, v20
	v_min_u32_e32 v20, 32, v21
	v_and_b32_e32 v12, 0x7f000000, v19
	v_cndmask_b32_e64 v1, 0, 1, s0
	v_cmp_ne_u32_e64 s0, 0, v18
	v_sub_nc_u32_e64 v15, v15, 4 clamp
	v_sub_nc_u32_e64 v20, v20, 4 clamp
	s_delay_alu instid0(VALU_DEP_4) | instskip(NEXT) | instid1(VALU_DEP_3)
	v_dual_cndmask_b32 v1, v1, v14, vcc_lo :: v_dual_bitop2_b32 v5, 1, v5 bitop3:0x40
	v_dual_lshlrev_b32 v14, 16, v3 :: v_dual_lshlrev_b32 v23, v15, v18
	s_delay_alu instid0(VALU_DEP_3) | instskip(SKIP_1) | instid1(VALU_DEP_3)
	v_dual_lshlrev_b32 v24, v20, v17 :: v_dual_bitop2_b32 v11, 1, v11 bitop3:0x40
	v_clz_i32_u32_e32 v21, v12
	v_and_b32_e32 v22, 0x7f000000, v14
	s_delay_alu instid0(VALU_DEP_3) | instskip(SKIP_1) | instid1(VALU_DEP_3)
	v_dual_lshrrev_b32 v23, 4, v23 :: v_dual_lshrrev_b32 v24, 4, v24
	v_dual_lshlrev_b32 v15, 23, v15 :: v_dual_lshlrev_b32 v20, 23, v20
	v_clz_i32_u32_e32 v27, v22
	v_min_u32_e32 v21, 32, v21
	v_add_nc_u32_e32 v28, 0x1000000, v12
	s_delay_alu instid0(VALU_DEP_4) | instskip(NEXT) | instid1(VALU_DEP_4)
	v_dual_sub_nc_u32 v15, v23, v15 :: v_dual_sub_nc_u32 v20, v24, v20
	v_min_u32_e32 v27, 32, v27
	v_and_b32_e32 v23, 0x7f800000, v26
	v_sub_nc_u32_e64 v21, v21, 4 clamp
	s_delay_alu instid0(VALU_DEP_4)
	v_add_nc_u32_e32 v15, 0x3c000000, v15
	v_and_b32_e32 v1, 1, v1
	v_sub_nc_u32_e64 v24, v27, 4 clamp
	v_add_nc_u32_e32 v20, 0x3c000000, v20
	v_dual_lshlrev_b32 v27, v21, v12 :: v_dual_lshlrev_b32 v21, 23, v21
	v_and_b32_e32 v14, 0x80000000, v14
	s_delay_alu instid0(VALU_DEP_4) | instskip(SKIP_1) | instid1(VALU_DEP_4)
	v_dual_lshlrev_b32 v26, v24, v22 :: v_dual_bitop2_b32 v15, v15, v23 bitop3:0x54
	v_add_nc_u32_e32 v23, 0x1000000, v22
	v_dual_lshlrev_b32 v24, 23, v24 :: v_dual_lshrrev_b32 v27, 4, v27
	s_delay_alu instid0(VALU_DEP_3) | instskip(NEXT) | instid1(VALU_DEP_3)
	v_dual_lshrrev_b32 v26, 4, v26 :: v_dual_bitop2_b32 v20, v20, v25 bitop3:0x54
	v_dual_ashrrev_i32 v23, 8, v23 :: v_dual_ashrrev_i32 v25, 8, v28
	s_delay_alu instid0(VALU_DEP_2) | instskip(SKIP_1) | instid1(VALU_DEP_3)
	v_dual_sub_nc_u32 v21, v27, v21 :: v_dual_sub_nc_u32 v24, v26, v24
	v_cndmask_b32_e64 v15, 0, v15, s0
	v_and_b32_e32 v23, 0x7f800000, v23
	v_cmp_ne_u32_e64 s0, 0, v17
	v_and_b32_e32 v18, 0x7f800000, v25
	v_add_nc_u32_e32 v24, 0x3c000000, v24
	v_add_nc_u32_e32 v21, 0x3c000000, v21
	v_and_b32_e32 v25, 0x7f000000, v2
	v_cndmask_b32_e64 v17, 0, v20, s0
	v_cmp_ne_u32_e64 s0, 0, v22
	v_dual_lshlrev_b32 v20, 8, v2 :: v_dual_bitop2_b32 v23, v24, v23 bitop3:0x54
	v_or_b32_e32 v15, v15, v16
	v_dual_lshlrev_b32 v18, 8, v3 :: v_dual_bitop2_b32 v16, v21, v18 bitop3:0x54
	s_delay_alu instid0(VALU_DEP_3) | instskip(SKIP_4) | instid1(VALU_DEP_4)
	v_cndmask_b32_e64 v21, 0, v23, s0
	v_cmp_ne_u32_e64 s0, 0, v12
	v_and_b32_e32 v23, 0x7f000000, v20
	v_clz_i32_u32_e32 v28, v25
	v_and_b32_e32 v22, 0x7f000000, v18
	v_dual_cndmask_b32 v12, 0, v16, s0 :: v_dual_bitop2_b32 v14, v21, v14 bitop3:0x54
	v_and_b32_e32 v21, 0x7f000000, v3
	s_delay_alu instid0(VALU_DEP_4) | instskip(NEXT) | instid1(VALU_DEP_4)
	v_min_u32_e32 v28, 32, v28
	v_add_nc_u32_e32 v24, 0x1000000, v22
	v_or_b32_e32 v13, v17, v13
	v_clz_i32_u32_e32 v17, v23
	v_clz_i32_u32_e32 v27, v21
	;; [unrolled: 1-line block ×3, first 2 shown]
	v_sub_nc_u32_e64 v28, v28, 4 clamp
	v_add_nc_u32_e32 v34, 0x1000000, v21
	v_min_u32_e32 v17, 32, v17
	v_min_u32_e32 v27, 32, v27
	;; [unrolled: 1-line block ×3, first 2 shown]
	v_add_nc_u32_e32 v33, 0x1000000, v25
	v_and_b32_e32 v19, 0x80000000, v19
	v_sub_nc_u32_e64 v17, v17, 4 clamp
	v_sub_nc_u32_e64 v27, v27, 4 clamp
	;; [unrolled: 1-line block ×3, first 2 shown]
	v_cmp_eq_f32_e64 s0, v15, v14
	v_add_nc_u32_e32 v26, 0x1000000, v23
	s_delay_alu instid0(VALU_DEP_4) | instskip(NEXT) | instid1(VALU_DEP_4)
	v_dual_lshlrev_b32 v29, v17, v23 :: v_dual_lshlrev_b32 v31, v27, v21
	v_dual_lshlrev_b32 v27, 23, v27 :: v_dual_lshlrev_b32 v30, v16, v22
	;; [unrolled: 1-line block ×3, first 2 shown]
	s_delay_alu instid0(VALU_DEP_3) | instskip(NEXT) | instid1(VALU_DEP_4)
	v_lshrrev_b32_e32 v29, 4, v29
	v_dual_lshlrev_b32 v32, v28, v25 :: v_dual_lshrrev_b32 v31, 4, v31
	s_delay_alu instid0(VALU_DEP_4) | instskip(NEXT) | instid1(VALU_DEP_2)
	v_dual_lshrrev_b32 v30, 4, v30 :: v_dual_lshlrev_b32 v28, 23, v28
	v_dual_sub_nc_u32 v17, v29, v17 :: v_dual_lshrrev_b32 v32, 4, v32
	s_delay_alu instid0(VALU_DEP_3) | instskip(SKIP_2) | instid1(VALU_DEP_3)
	v_dual_ashrrev_i32 v29, 8, v34 :: v_dual_sub_nc_u32 v27, v31, v27
	v_dual_ashrrev_i32 v31, 8, v33 :: v_dual_bitop2_b32 v12, v12, v19 bitop3:0x54
	v_ashrrev_i32_e32 v26, 8, v26
	v_and_b32_e32 v29, 0x7f800000, v29
	s_delay_alu instid0(VALU_DEP_4) | instskip(SKIP_3) | instid1(VALU_DEP_4)
	v_add_nc_u32_e32 v27, 0x3c000000, v27
	v_sub_nc_u32_e32 v28, v32, v28
	v_cndmask_b32_e64 v19, 0, 1, s0
	v_cmp_ne_u32_e64 s0, 0, v21
	v_dual_ashrrev_i32 v24, 8, v24 :: v_dual_bitop2_b32 v27, v27, v29 bitop3:0x54
	s_delay_alu instid0(VALU_DEP_4)
	v_add_nc_u32_e32 v28, 0x3c000000, v28
	v_sub_nc_u32_e32 v16, v30, v16
	v_and_b32_e32 v30, 0x7f800000, v31
	v_lshlrev_b16 v5, 8, v5
	v_and_b32_e32 v24, 0x7f800000, v24
	v_and_b32_e32 v26, 0x7f800000, v26
	v_add_nc_u32_e32 v17, 0x3c000000, v17
	v_dual_cndmask_b32 v21, 0, v27, s0 :: v_dual_bitop2_b32 v28, v28, v30 bitop3:0x54
	v_cmp_ne_u32_e64 s0, 0, v25
	v_add_nc_u32_e32 v16, 0x3c000000, v16
	v_and_b32_e32 v3, 0x80000000, v3
	v_and_b32_e32 v2, 0x80000000, v2
	v_lshlrev_b16 v1, 8, v1
	v_cndmask_b32_e64 v25, 0, v28, s0
	v_cmp_neq_f32_e64 s0, v15, v14
	v_bitop3_b16 v5, v6, v5, 1 bitop3:0xec
	v_or_b32_e32 v15, v16, v24
	v_bitop3_b16 v1, v8, v1, 1 bitop3:0xec
	v_or_b32_e32 v2, v25, v2
	v_cndmask_b32_e64 v14, 0, 1, s0
	v_cmp_ne_u32_e64 s0, 0, v22
	v_dual_lshlrev_b32 v5, 16, v5 :: v_dual_bitop2_b32 v16, v17, v26 bitop3:0x54
	v_lshlrev_b32_e32 v1, 16, v1
	v_and_b32_e32 v17, 0x80000000, v18
	s_delay_alu instid0(VALU_DEP_4) | instskip(SKIP_3) | instid1(VALU_DEP_4)
	v_cndmask_b32_e64 v15, 0, v15, s0
	v_cmp_ne_u32_e64 s0, 0, v23
	v_or_b32_e32 v3, v21, v3
	v_and_b32_e32 v18, 0x80000000, v20
	v_dual_cndmask_b32 v14, v14, v19, vcc_lo :: v_dual_bitop2_b32 v15, v15, v17 bitop3:0x54
	s_delay_alu instid0(VALU_DEP_4) | instskip(NEXT) | instid1(VALU_DEP_4)
	v_cndmask_b32_e64 v16, 0, v16, s0
	v_cmp_eq_f32_e64 s0, v2, v3
	v_lshlrev_b16 v11, 8, v11
	v_or_b32_e32 v5, v9, v5
	s_delay_alu instid0(VALU_DEP_4) | instskip(NEXT) | instid1(VALU_DEP_4)
	v_or_b32_e32 v16, v16, v18
	v_cndmask_b32_e64 v20, 0, 1, s0
	v_cmp_neq_f32_e64 s0, v2, v3
	v_bitop3_b16 v6, v10, v11, 1 bitop3:0xec
	s_delay_alu instid0(VALU_DEP_2) | instskip(SKIP_1) | instid1(VALU_DEP_3)
	v_cndmask_b32_e64 v2, 0, 1, s0
	v_cmp_eq_f32_e64 s0, v13, v12
	v_and_b32_e32 v6, 0xffff, v6
	s_delay_alu instid0(VALU_DEP_3) | instskip(NEXT) | instid1(VALU_DEP_3)
	v_cndmask_b32_e32 v2, v2, v20, vcc_lo
	v_cndmask_b32_e64 v3, 0, 1, s0
	v_cmp_neq_f32_e64 s0, v13, v12
	v_and_b32_e32 v13, 1, v14
	v_or_b32_e32 v1, v6, v1
	v_and_b32_e32 v2, 1, v2
	s_delay_alu instid0(VALU_DEP_4) | instskip(SKIP_1) | instid1(VALU_DEP_3)
	v_cndmask_b32_e64 v12, 0, 1, s0
	v_cmp_eq_f32_e64 s0, v16, v15
	v_lshlrev_b16 v2, 8, v2
	s_delay_alu instid0(VALU_DEP_3) | instskip(NEXT) | instid1(VALU_DEP_3)
	v_cndmask_b32_e32 v3, v12, v3, vcc_lo
	v_cndmask_b32_e64 v14, 0, 1, s0
	v_cmp_neq_f32_e64 s0, v16, v15
	v_lshlrev_b16 v12, 8, v13
	s_delay_alu instid0(VALU_DEP_2) | instskip(NEXT) | instid1(VALU_DEP_2)
	v_cndmask_b32_e64 v15, 0, 1, s0
	v_bitop3_b16 v3, v3, v12, 1 bitop3:0xec
	s_delay_alu instid0(VALU_DEP_2) | instskip(NEXT) | instid1(VALU_DEP_2)
	v_cndmask_b32_e32 v13, v15, v14, vcc_lo
	v_and_b32_e32 v3, 0xffff, v3
	s_delay_alu instid0(VALU_DEP_2) | instskip(NEXT) | instid1(VALU_DEP_1)
	v_bitop3_b16 v2, v13, v2, 1 bitop3:0xec
	v_lshlrev_b32_e32 v2, 16, v2
	s_delay_alu instid0(VALU_DEP_1)
	v_or_b32_e32 v2, v3, v2
	s_clause 0x3
	global_store_b32 v0, v4, s[10:11] scale_offset
	global_store_b32 v0, v5, s[10:11] offset:1024 scale_offset
	global_store_b32 v0, v1, s[10:11] offset:2048 scale_offset
	;; [unrolled: 1-line block ×3, first 2 shown]
	s_cbranch_execnz .LBB269_2
.LBB269_4:
	s_wait_xcnt 0x0
	v_dual_mov_b32 v31, v0 :: v_dual_mov_b32 v0, s9
	v_dual_mov_b32 v1, s4 :: v_dual_mov_b32 v2, s5
	;; [unrolled: 1-line block ×4, first 2 shown]
	v_mov_b32_e32 v7, s8
	s_get_pc_i64 s[0:1]
	s_add_nc_u64 s[0:1], s[0:1], _ZN2at6native25elementwise_kernel_helperILb0ENS0_13BinaryFunctorIN3c1013Float8_e4m3fnES4_bNS0_12_GLOBAL__N_116CompareEqFunctorIS4_EEEENS0_6memory8policies11unroll_baseILi256ESt5arrayIPcLm3EE23TrivialOffsetCalculatorILi2EjESF_ILi1EjENS9_15LoadWithoutCastENS9_16StoreWithoutCastELi16ELi1EEEEEvT0_T1_@rel64+4
	s_delay_alu instid0(SALU_CYCLE_1)
	s_swap_pc_i64 s[30:31], s[0:1]
	s_endpgm
	.section	.rodata,"a",@progbits
	.p2align	6, 0x0
	.amdhsa_kernel _ZN2at6native29vectorized_elementwise_kernelILi4ENS0_13BinaryFunctorIN3c1013Float8_e4m3fnES4_bNS0_12_GLOBAL__N_116CompareEqFunctorIS4_EEEESt5arrayIPcLm3EEEEviT0_T1_
		.amdhsa_group_segment_fixed_size 0
		.amdhsa_private_segment_fixed_size 0
		.amdhsa_kernarg_size 32
		.amdhsa_user_sgpr_count 2
		.amdhsa_user_sgpr_dispatch_ptr 0
		.amdhsa_user_sgpr_queue_ptr 0
		.amdhsa_user_sgpr_kernarg_segment_ptr 1
		.amdhsa_user_sgpr_dispatch_id 0
		.amdhsa_user_sgpr_kernarg_preload_length 0
		.amdhsa_user_sgpr_kernarg_preload_offset 0
		.amdhsa_user_sgpr_private_segment_size 0
		.amdhsa_wavefront_size32 1
		.amdhsa_uses_dynamic_stack 0
		.amdhsa_enable_private_segment 0
		.amdhsa_system_sgpr_workgroup_id_x 1
		.amdhsa_system_sgpr_workgroup_id_y 0
		.amdhsa_system_sgpr_workgroup_id_z 0
		.amdhsa_system_sgpr_workgroup_info 0
		.amdhsa_system_vgpr_workitem_id 0
		.amdhsa_next_free_vgpr 76
		.amdhsa_next_free_sgpr 33
		.amdhsa_named_barrier_count 0
		.amdhsa_reserve_vcc 1
		.amdhsa_float_round_mode_32 0
		.amdhsa_float_round_mode_16_64 0
		.amdhsa_float_denorm_mode_32 3
		.amdhsa_float_denorm_mode_16_64 3
		.amdhsa_fp16_overflow 0
		.amdhsa_memory_ordered 1
		.amdhsa_forward_progress 1
		.amdhsa_inst_pref_size 38
		.amdhsa_round_robin_scheduling 0
		.amdhsa_exception_fp_ieee_invalid_op 0
		.amdhsa_exception_fp_denorm_src 0
		.amdhsa_exception_fp_ieee_div_zero 0
		.amdhsa_exception_fp_ieee_overflow 0
		.amdhsa_exception_fp_ieee_underflow 0
		.amdhsa_exception_fp_ieee_inexact 0
		.amdhsa_exception_int_div_zero 0
	.end_amdhsa_kernel
	.section	.text._ZN2at6native29vectorized_elementwise_kernelILi4ENS0_13BinaryFunctorIN3c1013Float8_e4m3fnES4_bNS0_12_GLOBAL__N_116CompareEqFunctorIS4_EEEESt5arrayIPcLm3EEEEviT0_T1_,"axG",@progbits,_ZN2at6native29vectorized_elementwise_kernelILi4ENS0_13BinaryFunctorIN3c1013Float8_e4m3fnES4_bNS0_12_GLOBAL__N_116CompareEqFunctorIS4_EEEESt5arrayIPcLm3EEEEviT0_T1_,comdat
.Lfunc_end269:
	.size	_ZN2at6native29vectorized_elementwise_kernelILi4ENS0_13BinaryFunctorIN3c1013Float8_e4m3fnES4_bNS0_12_GLOBAL__N_116CompareEqFunctorIS4_EEEESt5arrayIPcLm3EEEEviT0_T1_, .Lfunc_end269-_ZN2at6native29vectorized_elementwise_kernelILi4ENS0_13BinaryFunctorIN3c1013Float8_e4m3fnES4_bNS0_12_GLOBAL__N_116CompareEqFunctorIS4_EEEESt5arrayIPcLm3EEEEviT0_T1_
                                        ; -- End function
	.set _ZN2at6native29vectorized_elementwise_kernelILi4ENS0_13BinaryFunctorIN3c1013Float8_e4m3fnES4_bNS0_12_GLOBAL__N_116CompareEqFunctorIS4_EEEESt5arrayIPcLm3EEEEviT0_T1_.num_vgpr, max(76, .L_ZN2at6native25elementwise_kernel_helperILb0ENS0_13BinaryFunctorIN3c1013Float8_e4m3fnES4_bNS0_12_GLOBAL__N_116CompareEqFunctorIS4_EEEENS0_6memory8policies11unroll_baseILi256ESt5arrayIPcLm3EE23TrivialOffsetCalculatorILi2EjESF_ILi1EjENS9_15LoadWithoutCastENS9_16StoreWithoutCastELi16ELi1EEEEEvT0_T1_.num_vgpr)
	.set _ZN2at6native29vectorized_elementwise_kernelILi4ENS0_13BinaryFunctorIN3c1013Float8_e4m3fnES4_bNS0_12_GLOBAL__N_116CompareEqFunctorIS4_EEEESt5arrayIPcLm3EEEEviT0_T1_.num_agpr, max(0, .L_ZN2at6native25elementwise_kernel_helperILb0ENS0_13BinaryFunctorIN3c1013Float8_e4m3fnES4_bNS0_12_GLOBAL__N_116CompareEqFunctorIS4_EEEENS0_6memory8policies11unroll_baseILi256ESt5arrayIPcLm3EE23TrivialOffsetCalculatorILi2EjESF_ILi1EjENS9_15LoadWithoutCastENS9_16StoreWithoutCastELi16ELi1EEEEEvT0_T1_.num_agpr)
	.set _ZN2at6native29vectorized_elementwise_kernelILi4ENS0_13BinaryFunctorIN3c1013Float8_e4m3fnES4_bNS0_12_GLOBAL__N_116CompareEqFunctorIS4_EEEESt5arrayIPcLm3EEEEviT0_T1_.numbered_sgpr, max(33, .L_ZN2at6native25elementwise_kernel_helperILb0ENS0_13BinaryFunctorIN3c1013Float8_e4m3fnES4_bNS0_12_GLOBAL__N_116CompareEqFunctorIS4_EEEENS0_6memory8policies11unroll_baseILi256ESt5arrayIPcLm3EE23TrivialOffsetCalculatorILi2EjESF_ILi1EjENS9_15LoadWithoutCastENS9_16StoreWithoutCastELi16ELi1EEEEEvT0_T1_.numbered_sgpr)
	.set _ZN2at6native29vectorized_elementwise_kernelILi4ENS0_13BinaryFunctorIN3c1013Float8_e4m3fnES4_bNS0_12_GLOBAL__N_116CompareEqFunctorIS4_EEEESt5arrayIPcLm3EEEEviT0_T1_.num_named_barrier, max(0, .L_ZN2at6native25elementwise_kernel_helperILb0ENS0_13BinaryFunctorIN3c1013Float8_e4m3fnES4_bNS0_12_GLOBAL__N_116CompareEqFunctorIS4_EEEENS0_6memory8policies11unroll_baseILi256ESt5arrayIPcLm3EE23TrivialOffsetCalculatorILi2EjESF_ILi1EjENS9_15LoadWithoutCastENS9_16StoreWithoutCastELi16ELi1EEEEEvT0_T1_.num_named_barrier)
	.set _ZN2at6native29vectorized_elementwise_kernelILi4ENS0_13BinaryFunctorIN3c1013Float8_e4m3fnES4_bNS0_12_GLOBAL__N_116CompareEqFunctorIS4_EEEESt5arrayIPcLm3EEEEviT0_T1_.private_seg_size, 0+max(.L_ZN2at6native25elementwise_kernel_helperILb0ENS0_13BinaryFunctorIN3c1013Float8_e4m3fnES4_bNS0_12_GLOBAL__N_116CompareEqFunctorIS4_EEEENS0_6memory8policies11unroll_baseILi256ESt5arrayIPcLm3EE23TrivialOffsetCalculatorILi2EjESF_ILi1EjENS9_15LoadWithoutCastENS9_16StoreWithoutCastELi16ELi1EEEEEvT0_T1_.private_seg_size)
	.set _ZN2at6native29vectorized_elementwise_kernelILi4ENS0_13BinaryFunctorIN3c1013Float8_e4m3fnES4_bNS0_12_GLOBAL__N_116CompareEqFunctorIS4_EEEESt5arrayIPcLm3EEEEviT0_T1_.uses_vcc, or(1, .L_ZN2at6native25elementwise_kernel_helperILb0ENS0_13BinaryFunctorIN3c1013Float8_e4m3fnES4_bNS0_12_GLOBAL__N_116CompareEqFunctorIS4_EEEENS0_6memory8policies11unroll_baseILi256ESt5arrayIPcLm3EE23TrivialOffsetCalculatorILi2EjESF_ILi1EjENS9_15LoadWithoutCastENS9_16StoreWithoutCastELi16ELi1EEEEEvT0_T1_.uses_vcc)
	.set _ZN2at6native29vectorized_elementwise_kernelILi4ENS0_13BinaryFunctorIN3c1013Float8_e4m3fnES4_bNS0_12_GLOBAL__N_116CompareEqFunctorIS4_EEEESt5arrayIPcLm3EEEEviT0_T1_.uses_flat_scratch, or(0, .L_ZN2at6native25elementwise_kernel_helperILb0ENS0_13BinaryFunctorIN3c1013Float8_e4m3fnES4_bNS0_12_GLOBAL__N_116CompareEqFunctorIS4_EEEENS0_6memory8policies11unroll_baseILi256ESt5arrayIPcLm3EE23TrivialOffsetCalculatorILi2EjESF_ILi1EjENS9_15LoadWithoutCastENS9_16StoreWithoutCastELi16ELi1EEEEEvT0_T1_.uses_flat_scratch)
	.set _ZN2at6native29vectorized_elementwise_kernelILi4ENS0_13BinaryFunctorIN3c1013Float8_e4m3fnES4_bNS0_12_GLOBAL__N_116CompareEqFunctorIS4_EEEESt5arrayIPcLm3EEEEviT0_T1_.has_dyn_sized_stack, or(0, .L_ZN2at6native25elementwise_kernel_helperILb0ENS0_13BinaryFunctorIN3c1013Float8_e4m3fnES4_bNS0_12_GLOBAL__N_116CompareEqFunctorIS4_EEEENS0_6memory8policies11unroll_baseILi256ESt5arrayIPcLm3EE23TrivialOffsetCalculatorILi2EjESF_ILi1EjENS9_15LoadWithoutCastENS9_16StoreWithoutCastELi16ELi1EEEEEvT0_T1_.has_dyn_sized_stack)
	.set _ZN2at6native29vectorized_elementwise_kernelILi4ENS0_13BinaryFunctorIN3c1013Float8_e4m3fnES4_bNS0_12_GLOBAL__N_116CompareEqFunctorIS4_EEEESt5arrayIPcLm3EEEEviT0_T1_.has_recursion, or(0, .L_ZN2at6native25elementwise_kernel_helperILb0ENS0_13BinaryFunctorIN3c1013Float8_e4m3fnES4_bNS0_12_GLOBAL__N_116CompareEqFunctorIS4_EEEENS0_6memory8policies11unroll_baseILi256ESt5arrayIPcLm3EE23TrivialOffsetCalculatorILi2EjESF_ILi1EjENS9_15LoadWithoutCastENS9_16StoreWithoutCastELi16ELi1EEEEEvT0_T1_.has_recursion)
	.set _ZN2at6native29vectorized_elementwise_kernelILi4ENS0_13BinaryFunctorIN3c1013Float8_e4m3fnES4_bNS0_12_GLOBAL__N_116CompareEqFunctorIS4_EEEESt5arrayIPcLm3EEEEviT0_T1_.has_indirect_call, or(0, .L_ZN2at6native25elementwise_kernel_helperILb0ENS0_13BinaryFunctorIN3c1013Float8_e4m3fnES4_bNS0_12_GLOBAL__N_116CompareEqFunctorIS4_EEEENS0_6memory8policies11unroll_baseILi256ESt5arrayIPcLm3EE23TrivialOffsetCalculatorILi2EjESF_ILi1EjENS9_15LoadWithoutCastENS9_16StoreWithoutCastELi16ELi1EEEEEvT0_T1_.has_indirect_call)
	.section	.AMDGPU.csdata,"",@progbits
; Kernel info:
; codeLenInByte = 4836
; TotalNumSgprs: 35
; NumVgprs: 76
; ScratchSize: 0
; MemoryBound: 0
; FloatMode: 240
; IeeeMode: 1
; LDSByteSize: 0 bytes/workgroup (compile time only)
; SGPRBlocks: 0
; VGPRBlocks: 4
; NumSGPRsForWavesPerEU: 35
; NumVGPRsForWavesPerEU: 76
; NamedBarCnt: 0
; Occupancy: 12
; WaveLimiterHint : 1
; COMPUTE_PGM_RSRC2:SCRATCH_EN: 0
; COMPUTE_PGM_RSRC2:USER_SGPR: 2
; COMPUTE_PGM_RSRC2:TRAP_HANDLER: 0
; COMPUTE_PGM_RSRC2:TGID_X_EN: 1
; COMPUTE_PGM_RSRC2:TGID_Y_EN: 0
; COMPUTE_PGM_RSRC2:TGID_Z_EN: 0
; COMPUTE_PGM_RSRC2:TIDIG_COMP_CNT: 0
	.section	.text._ZN2at6native29vectorized_elementwise_kernelILi2ENS0_13BinaryFunctorIN3c1013Float8_e4m3fnES4_bNS0_12_GLOBAL__N_116CompareEqFunctorIS4_EEEESt5arrayIPcLm3EEEEviT0_T1_,"axG",@progbits,_ZN2at6native29vectorized_elementwise_kernelILi2ENS0_13BinaryFunctorIN3c1013Float8_e4m3fnES4_bNS0_12_GLOBAL__N_116CompareEqFunctorIS4_EEEESt5arrayIPcLm3EEEEviT0_T1_,comdat
	.globl	_ZN2at6native29vectorized_elementwise_kernelILi2ENS0_13BinaryFunctorIN3c1013Float8_e4m3fnES4_bNS0_12_GLOBAL__N_116CompareEqFunctorIS4_EEEESt5arrayIPcLm3EEEEviT0_T1_ ; -- Begin function _ZN2at6native29vectorized_elementwise_kernelILi2ENS0_13BinaryFunctorIN3c1013Float8_e4m3fnES4_bNS0_12_GLOBAL__N_116CompareEqFunctorIS4_EEEESt5arrayIPcLm3EEEEviT0_T1_
	.p2align	8
	.type	_ZN2at6native29vectorized_elementwise_kernelILi2ENS0_13BinaryFunctorIN3c1013Float8_e4m3fnES4_bNS0_12_GLOBAL__N_116CompareEqFunctorIS4_EEEESt5arrayIPcLm3EEEEviT0_T1_,@function
_ZN2at6native29vectorized_elementwise_kernelILi2ENS0_13BinaryFunctorIN3c1013Float8_e4m3fnES4_bNS0_12_GLOBAL__N_116CompareEqFunctorIS4_EEEESt5arrayIPcLm3EEEEviT0_T1_: ; @_ZN2at6native29vectorized_elementwise_kernelILi2ENS0_13BinaryFunctorIN3c1013Float8_e4m3fnES4_bNS0_12_GLOBAL__N_116CompareEqFunctorIS4_EEEESt5arrayIPcLm3EEEEviT0_T1_
; %bb.0:
	s_clause 0x2
	s_load_b64 s[6:7], s[0:1], 0x0
	s_load_b128 s[8:11], s[0:1], 0x8
	s_load_b64 s[12:13], s[0:1], 0x18
	s_wait_xcnt 0x0
	s_bfe_u32 s0, ttmp6, 0x4000c
	s_and_b32 s1, ttmp6, 15
	s_add_co_i32 s0, s0, 1
	s_getreg_b32 s2, hwreg(HW_REG_IB_STS2, 6, 4)
	s_mul_i32 s0, ttmp9, s0
	s_mov_b32 s32, 0
	s_add_co_i32 s1, s1, s0
	s_cmp_eq_u32 s2, 0
	s_cselect_b32 s0, ttmp9, s1
	s_delay_alu instid0(SALU_CYCLE_1) | instskip(SKIP_3) | instid1(SALU_CYCLE_1)
	s_lshl_b32 s14, s0, 12
	s_mov_b32 s0, -1
	s_wait_kmcnt 0x0
	s_sub_co_i32 s16, s6, s14
	s_cmp_gt_i32 s16, 0xfff
	s_cbranch_scc1 .LBB270_3
; %bb.1:
	s_and_not1_b32 vcc_lo, exec_lo, s0
	s_cbranch_vccz .LBB270_4
.LBB270_2:
	s_sendmsg sendmsg(MSG_DEALLOC_VGPRS)
	s_endpgm
.LBB270_3:
	s_ashr_i32 s15, s14, 31
	s_cmp_eq_u32 s7, 0
	s_add_nc_u64 s[0:1], s[10:11], s[14:15]
	s_add_nc_u64 s[2:3], s[12:13], s[14:15]
	s_clause 0xf
	global_load_u16 v3, v0, s[0:1] scale_offset
	global_load_u16 v4, v0, s[2:3] scale_offset
	global_load_u16 v5, v0, s[2:3] offset:512 scale_offset
	global_load_u16 v6, v0, s[0:1] offset:512 scale_offset
	;; [unrolled: 1-line block ×14, first 2 shown]
	s_wait_loadcnt 0xe
	v_perm_b32 v17, v4, v3, 0x5040100
	v_dual_lshlrev_b32 v4, 24, v4 :: v_dual_lshlrev_b32 v3, 24, v3
	s_wait_loadcnt 0xc
	v_perm_b32 v18, v5, v6, 0x5040100
	v_dual_lshlrev_b32 v5, 24, v5 :: v_dual_lshlrev_b32 v6, 24, v6
	s_delay_alu instid0(VALU_DEP_3)
	v_and_b32_e32 v22, 0x7f000000, v4
	v_and_b32_e32 v23, 0x7f000000, v3
	s_wait_loadcnt 0xa
	v_perm_b32 v19, v8, v7, 0x5040100
	v_dual_lshlrev_b32 v8, 24, v8 :: v_dual_lshlrev_b32 v7, 24, v7
	v_and_b32_e32 v25, 0x7f000000, v6
	v_clz_i32_u32_e32 v32, v23
	v_clz_i32_u32_e32 v33, v22
	v_and_b32_e32 v24, 0x7f000000, v5
	v_and_b32_e32 v27, 0x7f000000, v7
	v_clz_i32_u32_e32 v37, v25
	v_min_u32_e32 v32, 32, v32
	v_min_u32_e32 v33, 32, v33
	v_clz_i32_u32_e32 v38, v24
	v_clz_i32_u32_e32 v42, v27
	v_min_u32_e32 v37, 32, v37
	v_sub_nc_u32_e64 v32, v32, 4 clamp
	v_sub_nc_u32_e64 v33, v33, 4 clamp
	s_wait_loadcnt 0x8
	v_perm_b32 v20, v9, v10, 0x5040100
	v_dual_lshlrev_b32 v9, 24, v9 :: v_dual_lshlrev_b32 v10, 24, v10
	v_dual_lshlrev_b32 v58, v32, v23 :: v_dual_lshlrev_b32 v32, 23, v32
	v_sub_nc_u32_e64 v37, v37, 4 clamp
	v_add_nc_u32_e32 v35, 0x1000000, v22
	v_min_u32_e32 v38, 32, v38
	s_delay_alu instid0(VALU_DEP_4)
	v_lshrrev_b32_e32 v58, 4, v58
	v_lshlrev_b32_e32 v59, v33, v22
	v_min_u32_e32 v42, 32, v42
	v_pk_lshrrev_b16 v17, 8, v17 op_sel_hi:[0,1]
	v_and_b32_e32 v29, 0x7f000000, v10
	v_dual_sub_nc_u32 v32, v58, v32 :: v_dual_lshlrev_b32 v58, v37, v25
	v_dual_lshrrev_b32 v59, 4, v59 :: v_dual_lshlrev_b32 v33, 23, v33
	v_ashrrev_i32_e32 v35, 8, v35
	v_sub_nc_u32_e64 v38, v38, 4 clamp
	s_delay_alu instid0(VALU_DEP_4)
	v_dual_lshlrev_b32 v37, 23, v37 :: v_dual_lshrrev_b32 v58, 4, v58
	v_sub_nc_u32_e64 v42, v42, 4 clamp
	v_sub_nc_u32_e32 v33, v59, v33
	v_dual_lshlrev_b32 v36, 24, v17 :: v_dual_lshlrev_b32 v17, 8, v17
	v_add_nc_u32_e32 v49, 0x1000000, v29
	v_lshlrev_b32_e32 v59, v38, v24
	v_dual_sub_nc_u32 v37, v58, v37 :: v_dual_lshlrev_b32 v38, 23, v38
	v_lshlrev_b32_e32 v58, v42, v27
	v_and_b32_e32 v35, 0x7f800000, v35
	v_add_nc_u32_e32 v33, 0x3c000000, v33
	v_and_b32_e32 v26, 0x7f000000, v8
	v_and_b32_e32 v57, 0x7f000000, v36
	v_ashrrev_i32_e32 v49, 8, v49
	v_cmp_ne_u32_e32 vcc_lo, 0, v22
	v_or_b32_e32 v33, v33, v35
	v_add_nc_u32_e32 v34, 0x1000000, v23
	v_pk_lshrrev_b16 v20, 8, v20 op_sel_hi:[0,1]
	v_clz_i32_u32_e32 v43, v26
	v_clz_i32_u32_e32 v35, v57
	s_delay_alu instid0(VALU_DEP_4) | instskip(SKIP_3) | instid1(VALU_DEP_4)
	v_dual_cndmask_b32 v33, 0, v33 :: v_dual_ashrrev_i32 v34, 8, v34
	v_clz_i32_u32_e32 v47, v29
	v_dual_lshlrev_b32 v51, 24, v20 :: v_dual_lshlrev_b32 v20, 8, v20
	v_min_u32_e32 v43, 32, v43
	v_and_b32_e32 v34, 0x7f800000, v34
	v_add_nc_u32_e32 v32, 0x3c000000, v32
	v_min_u32_e32 v35, 32, v35
	v_and_b32_e32 v28, 0x7f000000, v9
	v_min_u32_e32 v47, 32, v47
	v_sub_nc_u32_e64 v43, v43, 4 clamp
	v_dual_lshrrev_b32 v59, 4, v59 :: v_dual_lshlrev_b32 v42, 23, v42
	v_sub_nc_u32_e64 v35, v35, 4 clamp
	v_or_b32_e32 v32, v32, v34
	v_and_b32_e32 v34, 0x7f000000, v51
	v_add_nc_u32_e32 v45, 0x1000000, v26
	v_clz_i32_u32_e32 v48, v28
	v_sub_nc_u32_e64 v47, v47, 4 clamp
	v_sub_nc_u32_e32 v38, v59, v38
	v_lshlrev_b32_e32 v59, v43, v26
	s_wait_xcnt 0x0
	v_cmp_ne_u32_e64 s3, 0, v26
	v_clz_i32_u32_e32 v26, v34
	s_wait_loadcnt 0x6
	v_perm_b32 v21, v12, v11, 0x5040100
	v_dual_lshlrev_b32 v12, 24, v12 :: v_dual_lshlrev_b32 v11, 24, v11
	v_min_u32_e32 v48, 32, v48
	v_dual_lshrrev_b32 v58, 4, v58 :: v_dual_lshlrev_b32 v43, 23, v43
	v_min_u32_e32 v26, 32, v26
	s_delay_alu instid0(VALU_DEP_4) | instskip(NEXT) | instid1(VALU_DEP_4)
	v_and_b32_e32 v31, 0x7f000000, v11
	v_sub_nc_u32_e64 v48, v48, 4 clamp
	s_delay_alu instid0(VALU_DEP_4)
	v_dual_sub_nc_u32 v42, v58, v42 :: v_dual_lshlrev_b32 v58, v47, v29
	v_lshlrev_b32_e32 v47, 23, v47
	v_lshrrev_b32_e32 v59, 4, v59
	v_sub_nc_u32_e64 v26, v26, 4 clamp
	v_and_b32_e32 v4, 0x80000000, v4
	v_and_b32_e32 v30, 0x7f000000, v12
	v_add_nc_u32_e32 v50, 0x1000000, v28
	v_clz_i32_u32_e32 v52, v31
	v_dual_lshrrev_b32 v58, 4, v58 :: v_dual_sub_nc_u32 v43, v59, v43
	v_lshlrev_b32_e32 v59, v48, v28
	v_cmp_ne_u32_e64 s0, 0, v23
	v_cmp_ne_u32_e64 s5, 0, v28
	v_lshlrev_b32_e32 v28, v26, v34
	v_and_b32_e32 v3, 0x80000000, v3
	v_clz_i32_u32_e32 v53, v30
	v_min_u32_e32 v52, 32, v52
	v_lshlrev_b32_e32 v23, v35, v57
	v_cmp_ne_u32_e64 s2, 0, v25
	v_dual_lshlrev_b32 v26, 23, v26 :: v_dual_lshrrev_b32 v28, 4, v28
	v_cndmask_b32_e64 v32, 0, v32, s0
	v_or_b32_e32 v4, v33, v4
	v_add_nc_u32_e32 v33, 0x1000000, v34
	v_sub_nc_u32_e64 v52, v52, 4 clamp
	v_min_u32_e32 v53, 32, v53
	v_cmp_ne_u32_e64 s6, 0, v29
	v_sub_nc_u32_e32 v26, v28, v26
	v_dual_ashrrev_i32 v33, 8, v33 :: v_dual_bitop2_b32 v3, v32, v3 bitop3:0x54
	v_sub_nc_u32_e32 v47, v58, v47
	v_dual_lshlrev_b32 v58, v52, v31 :: v_dual_lshlrev_b32 v48, 23, v48
	v_sub_nc_u32_e64 v53, v53, 4 clamp
	v_dual_lshrrev_b32 v59, 4, v59 :: v_dual_lshlrev_b32 v52, 23, v52
	v_and_b32_e32 v33, 0x7f800000, v33
	v_add_nc_u32_e32 v26, 0x3c000000, v26
	v_cmp_eq_f32_e32 vcc_lo, v3, v4
	v_pk_lshrrev_b16 v19, 8, v19 op_sel_hi:[0,1]
	v_dual_sub_nc_u32 v48, v59, v48 :: v_dual_lshlrev_b32 v59, v53, v30
	s_delay_alu instid0(VALU_DEP_4)
	v_or_b32_e32 v26, v26, v33
	v_cndmask_b32_e64 v33, 0, 1, vcc_lo
	v_cmp_neq_f32_e32 vcc_lo, v3, v4
	v_dual_lshlrev_b32 v46, 24, v19 :: v_dual_lshlrev_b32 v19, 8, v19
	v_dual_ashrrev_i32 v45, 8, v45 :: v_dual_lshrrev_b32 v59, 4, v59
	v_cndmask_b32_e64 v3, 0, 1, vcc_lo
	v_add_nc_u32_e32 v44, 0x1000000, v27
	v_lshlrev_b32_e32 v53, 23, v53
	v_add_nc_u32_e32 v55, 0x1000000, v30
	v_cmp_ne_u32_e32 vcc_lo, 0, v57
	v_add_nc_u32_e32 v40, 0x1000000, v24
	s_delay_alu instid0(VALU_DEP_4) | instskip(NEXT) | instid1(VALU_DEP_4)
	v_dual_ashrrev_i32 v44, 8, v44 :: v_dual_sub_nc_u32 v53, v59, v53
	v_ashrrev_i32_e32 v55, 8, v55
	v_and_b32_e32 v59, 0x7f000000, v46
	s_delay_alu instid0(VALU_DEP_4)
	v_ashrrev_i32_e32 v40, 8, v40
	v_cmp_ne_u32_e64 s1, 0, v24
	v_and_b32_e32 v17, 0xff000000, v17
	v_add_nc_u32_e32 v38, 0x3c000000, v38
	v_clz_i32_u32_e32 v24, v59
	v_and_b32_e32 v40, 0x7f800000, v40
	v_lshlrev_b32_e32 v35, 23, v35
	v_and_b32_e32 v45, 0x7f800000, v45
	v_and_b32_e32 v44, 0x7f800000, v44
	v_min_u32_e32 v24, 32, v24
	v_or_b32_e32 v38, v38, v40
	v_and_b32_e32 v40, 0x7f000000, v17
	v_add_nc_u32_e32 v43, 0x3c000000, v43
	v_add_nc_u32_e32 v42, 0x3c000000, v42
	v_sub_nc_u32_e64 v24, v24, 4 clamp
	v_and_b32_e32 v20, 0xff000000, v20
	v_cmp_ne_u32_e64 s4, 0, v27
	v_or_b32_e32 v43, v43, v45
	s_delay_alu instid0(VALU_DEP_4)
	v_dual_lshlrev_b32 v44, v24, v59 :: v_dual_bitop2_b32 v42, v42, v44 bitop3:0x54
	v_clz_i32_u32_e32 v27, v40
	v_and_b32_e32 v49, 0x7f800000, v49
	v_and_b32_e32 v45, 0x7f000000, v20
	v_add_nc_u32_e32 v48, 0x3c000000, v48
	v_lshlrev_b32_e32 v24, 23, v24
	v_lshrrev_b32_e32 v44, 4, v44
	v_add_nc_u32_e32 v47, 0x3c000000, v47
	v_min_u32_e32 v27, 32, v27
	v_pk_lshrrev_b16 v21, 8, v21 op_sel_hi:[0,1]
	v_pk_lshrrev_b16 v18, 8, v18 op_sel_hi:[0,1]
	s_delay_alu instid0(VALU_DEP_4) | instskip(SKIP_3) | instid1(VALU_DEP_4)
	v_dual_sub_nc_u32 v24, v44, v24 :: v_dual_bitop2_b32 v47, v47, v49 bitop3:0x54
	v_clz_i32_u32_e32 v49, v45
	v_sub_nc_u32_e64 v27, v27, 4 clamp
	v_dual_lshlrev_b32 v56, 24, v21 :: v_dual_lshlrev_b32 v21, 8, v21
	v_add_nc_u32_e32 v24, 0x3c000000, v24
	s_delay_alu instid0(VALU_DEP_4) | instskip(NEXT) | instid1(VALU_DEP_4)
	v_min_u32_e32 v49, 32, v49
	v_dual_lshlrev_b32 v29, v27, v40 :: v_dual_lshlrev_b32 v27, 23, v27
	s_delay_alu instid0(VALU_DEP_4) | instskip(SKIP_1) | instid1(VALU_DEP_4)
	v_and_b32_e32 v21, 0xff000000, v21
	v_and_b32_e32 v10, 0x80000000, v10
	v_sub_nc_u32_e64 v49, v49, 4 clamp
	s_delay_alu instid0(VALU_DEP_4) | instskip(NEXT) | instid1(VALU_DEP_4)
	v_dual_lshrrev_b32 v29, 4, v29 :: v_dual_cndmask_b32 v47, 0, v47, s6
	v_and_b32_e32 v32, 0x7f000000, v21
	v_dual_lshlrev_b32 v41, 24, v18 :: v_dual_lshlrev_b32 v18, 8, v18
	s_delay_alu instid0(VALU_DEP_3) | instskip(SKIP_2) | instid1(VALU_DEP_4)
	v_sub_nc_u32_e32 v27, v29, v27
	v_lshlrev_b32_e32 v29, v49, v45
	v_dual_lshlrev_b32 v49, 23, v49 :: v_dual_bitop2_b32 v10, v47, v10 bitop3:0x54
	v_and_b32_e32 v18, 0xff000000, v18
	v_add_nc_u32_e32 v37, 0x3c000000, v37
	s_delay_alu instid0(VALU_DEP_4)
	v_lshrrev_b32_e32 v29, 4, v29
	v_and_b32_e32 v19, 0xff000000, v19
	v_ashrrev_i32_e32 v50, 8, v50
	v_and_b32_e32 v55, 0x7f800000, v55
	v_add_nc_u32_e32 v53, 0x3c000000, v53
	v_dual_sub_nc_u32 v29, v29, v49 :: v_dual_cndmask_b32 v38, 0, v38, s1
	v_add_nc_u32_e32 v49, 0x1000000, v59
	v_and_b32_e32 v50, 0x7f800000, v50
	v_and_b32_e32 v6, 0x80000000, v6
	;; [unrolled: 1-line block ×3, first 2 shown]
	s_delay_alu instid0(VALU_DEP_4) | instskip(NEXT) | instid1(VALU_DEP_4)
	v_dual_cndmask_b32 v42, 0, v42, s4 :: v_dual_ashrrev_i32 v49, 8, v49
	v_or_b32_e32 v48, v48, v50
	v_and_b32_e32 v8, 0x80000000, v8
	s_delay_alu instid0(VALU_DEP_4)
	v_or_b32_e32 v5, v38, v5
	v_and_b32_e32 v7, 0x80000000, v7
	v_and_b32_e32 v49, 0x7f800000, v49
	v_and_b32_e32 v9, 0x80000000, v9
	v_cndmask_b32_e64 v48, 0, v48, s5
	v_add_nc_u32_e32 v29, 0x3c000000, v29
	v_or_b32_e32 v7, v42, v7
	v_or_b32_e32 v24, v24, v49
	v_clz_i32_u32_e32 v49, v32
	v_add_nc_u32_e32 v42, 0x1000000, v45
	v_cmp_ne_u32_e64 s0, 0, v40
	v_and_b32_e32 v36, 0x80000000, v36
	v_and_b32_e32 v17, 0x80000000, v17
	v_min_u32_e32 v49, 32, v49
	v_and_b32_e32 v46, 0x80000000, v46
	v_and_b32_e32 v51, 0x80000000, v51
	;; [unrolled: 1-line block ×4, first 2 shown]
	v_sub_nc_u32_e64 v49, v49, 4 clamp
	v_and_b32_e32 v12, 0x80000000, v12
	v_dual_cndmask_b32 v43, 0, v43, s3 :: v_dual_ashrrev_i32 v42, 8, v42
	s_delay_alu instid0(VALU_DEP_3)
	v_lshlrev_b32_e32 v47, v49, v32
	v_add_nc_u32_e32 v39, 0x1000000, v25
	v_lshrrev_b32_e32 v58, 4, v58
	v_and_b32_e32 v25, 0x7f000000, v18
	v_or_b32_e32 v8, v43, v8
	v_and_b32_e32 v18, 0x80000000, v18
	s_delay_alu instid0(VALU_DEP_4) | instskip(SKIP_3) | instid1(VALU_DEP_4)
	v_dual_ashrrev_i32 v39, 8, v39 :: v_dual_sub_nc_u32 v52, v58, v52
	v_and_b32_e32 v58, 0x7f000000, v41
	v_clz_i32_u32_e32 v44, v25
	v_and_b32_e32 v41, 0x80000000, v41
	v_and_b32_e32 v39, 0x7f800000, v39
	v_add_nc_u32_e32 v52, 0x3c000000, v52
	v_clz_i32_u32_e32 v22, v58
	v_min_u32_e32 v44, 32, v44
	v_and_b32_e32 v42, 0x7f800000, v42
	v_or_b32_e32 v37, v37, v39
	s_delay_alu instid0(VALU_DEP_4) | instskip(NEXT) | instid1(VALU_DEP_4)
	v_min_u32_e32 v22, 32, v22
	v_sub_nc_u32_e64 v44, v44, 4 clamp
	s_delay_alu instid0(VALU_DEP_2) | instskip(NEXT) | instid1(VALU_DEP_2)
	v_sub_nc_u32_e64 v22, v22, 4 clamp
	v_dual_lshrrev_b32 v23, 4, v23 :: v_dual_lshlrev_b32 v28, v44, v25
	v_dual_lshlrev_b32 v44, 23, v44 :: v_dual_bitop2_b32 v53, v53, v55 bitop3:0x54
	s_delay_alu instid0(VALU_DEP_2) | instskip(NEXT) | instid1(VALU_DEP_3)
	v_dual_lshlrev_b32 v39, v22, v58 :: v_dual_sub_nc_u32 v23, v23, v35
	v_dual_lshlrev_b32 v22, 23, v22 :: v_dual_lshrrev_b32 v28, 4, v28
	v_and_b32_e32 v35, 0x7f000000, v56
	s_delay_alu instid0(VALU_DEP_3) | instskip(NEXT) | instid1(VALU_DEP_4)
	v_dual_lshrrev_b32 v39, 4, v39 :: v_dual_cndmask_b32 v37, 0, v37, s2
	v_add_nc_u32_e32 v23, 0x3c000000, v23
	s_delay_alu instid0(VALU_DEP_4) | instskip(SKIP_1) | instid1(VALU_DEP_4)
	v_sub_nc_u32_e32 v28, v28, v44
	v_add_nc_u32_e32 v44, 0x1000000, v57
	v_sub_nc_u32_e32 v22, v39, v22
	v_and_b32_e32 v39, 0x7f000000, v19
	v_or_b32_e32 v6, v37, v6
	v_add_nc_u32_e32 v37, 0x1000000, v40
	v_ashrrev_i32_e32 v44, 8, v44
	v_add_nc_u32_e32 v22, 0x3c000000, v22
	v_clz_i32_u32_e32 v50, v39
	v_add_nc_u32_e32 v27, 0x3c000000, v27
	v_ashrrev_i32_e32 v37, 8, v37
	v_and_b32_e32 v44, 0x7f800000, v44
	v_add_nc_u32_e32 v28, 0x3c000000, v28
	v_min_u32_e32 v50, 32, v50
	v_add_nc_u32_e32 v43, 0x1000000, v39
	v_and_b32_e32 v37, 0x7f800000, v37
	v_or_b32_e32 v23, v23, v44
	v_clz_i32_u32_e32 v44, v35
	v_sub_nc_u32_e64 v50, v50, 4 clamp
	v_add_nc_u32_e32 v38, 0x1000000, v35
	s_delay_alu instid0(VALU_DEP_4) | instskip(SKIP_1) | instid1(VALU_DEP_4)
	v_dual_cndmask_b32 v23, 0, v23, vcc_lo :: v_dual_bitop2_b32 v4, v27, v37 bitop3:0x54
	v_cmp_eq_f32_e32 vcc_lo, v6, v5
	v_dual_lshlrev_b32 v55, v50, v39 :: v_dual_lshlrev_b32 v50, 23, v50
	v_min_u32_e32 v44, 32, v44
	s_delay_alu instid0(VALU_DEP_4) | instskip(NEXT) | instid1(VALU_DEP_3)
	v_dual_cndmask_b32 v4, 0, v4, s0 :: v_dual_bitop2_b32 v9, v48, v9 bitop3:0x54
	v_lshrrev_b32_e32 v55, 4, v55
	v_cndmask_b32_e64 v27, 0, 1, vcc_lo
	v_cmp_neq_f32_e32 vcc_lo, v6, v5
	v_sub_nc_u32_e64 v44, v44, 4 clamp
	v_cmp_ne_u32_e64 s0, 0, v25
	v_sub_nc_u32_e32 v50, v55, v50
	v_add_nc_u32_e32 v55, 0x1000000, v58
	v_cndmask_b32_e64 v5, 0, 1, vcc_lo
	v_cmp_ne_u32_e32 vcc_lo, 0, v58
	v_lshlrev_b32_e32 v48, v44, v35
	v_add_nc_u32_e32 v50, 0x3c000000, v50
	v_ashrrev_i32_e32 v55, 8, v55
	v_dual_ashrrev_i32 v43, 8, v43 :: v_dual_bitop2_b32 v23, v23, v36 bitop3:0x54
	v_or_b32_e32 v4, v4, v17
	v_and_b32_e32 v19, 0x80000000, v19
	s_delay_alu instid0(VALU_DEP_4) | instskip(NEXT) | instid1(VALU_DEP_4)
	v_and_b32_e32 v55, 0x7f800000, v55
	v_and_b32_e32 v43, 0x7f800000, v43
	s_add_nc_u64 s[2:3], s[8:9], s[14:15]
	s_delay_alu instid0(VALU_DEP_2) | instskip(SKIP_1) | instid1(VALU_DEP_1)
	v_or_b32_e32 v22, v22, v55
	v_add_nc_u32_e32 v55, 0x1000000, v25
	v_dual_cndmask_b32 v22, 0, v22 :: v_dual_ashrrev_i32 v55, 8, v55
	v_cmp_eq_f32_e32 vcc_lo, v7, v8
	s_delay_alu instid0(VALU_DEP_2) | instskip(NEXT) | instid1(VALU_DEP_3)
	v_and_b32_e32 v55, 0x7f800000, v55
	v_or_b32_e32 v22, v22, v41
	s_delay_alu instid0(VALU_DEP_2) | instskip(SKIP_2) | instid1(VALU_DEP_3)
	v_or_b32_e32 v6, v28, v55
	v_cndmask_b32_e64 v28, 0, 1, vcc_lo
	v_cmp_neq_f32_e32 vcc_lo, v7, v8
	v_dual_cndmask_b32 v6, 0, v6, s0 :: v_dual_bitop2_b32 v8, v50, v43 bitop3:0x54
	v_cmp_ne_u32_e64 s0, 0, v39
	v_cndmask_b32_e64 v7, 0, 1, vcc_lo
	v_cmp_ne_u32_e32 vcc_lo, 0, v59
	s_delay_alu instid0(VALU_DEP_3) | instskip(SKIP_3) | instid1(VALU_DEP_2)
	v_dual_cndmask_b32 v8, 0, v8, s0 :: v_dual_bitop2_b32 v6, v6, v18 bitop3:0x54
	v_cmp_ne_u32_e64 s0, 0, v45
	v_cndmask_b32_e32 v24, 0, v24, vcc_lo
	v_cmp_eq_f32_e32 vcc_lo, v10, v9
	v_or_b32_e32 v24, v24, v46
	v_cndmask_b32_e64 v37, 0, 1, vcc_lo
	v_cmp_neq_f32_e32 vcc_lo, v10, v9
	v_or_b32_e32 v10, v29, v42
	v_cndmask_b32_e64 v9, 0, 1, vcc_lo
	v_cmp_ne_u32_e32 vcc_lo, 0, v34
	s_delay_alu instid0(VALU_DEP_3)
	v_cndmask_b32_e64 v10, 0, v10, s0
	v_cmp_eq_f32_e64 s0, v23, v4
	v_cndmask_b32_e32 v26, 0, v26, vcc_lo
	s_cselect_b32 vcc_lo, -1, 0
	v_dual_cndmask_b32 v7, v7, v28 :: v_dual_add_nc_u32 v54, 0x1000000, v31
	v_cndmask_b32_e64 v18, 0, 1, s0
	v_cmp_neq_f32_e64 s0, v23, v4
	s_delay_alu instid0(VALU_DEP_3) | instskip(SKIP_2) | instid1(VALU_DEP_4)
	v_dual_cndmask_b32 v5, v5, v27 :: v_dual_ashrrev_i32 v54, 8, v54
	v_cndmask_b32_e32 v3, v3, v33, vcc_lo
	v_cndmask_b32_e32 v9, v9, v37, vcc_lo
	v_cndmask_b32_e64 v4, 0, 1, s0
	v_cmp_eq_f32_e64 s0, v22, v6
	v_and_b32_e32 v54, 0x7f800000, v54
	s_delay_alu instid0(VALU_DEP_3) | instskip(SKIP_1) | instid1(VALU_DEP_4)
	v_dual_cndmask_b32 v4, v4, v18, vcc_lo :: v_dual_lshrrev_b32 v18, 4, v47
	v_or_b32_e32 v8, v8, v19
	v_cndmask_b32_e64 v19, 0, 1, s0
	v_cmp_neq_f32_e64 s0, v22, v6
	v_or_b32_e32 v23, v52, v54
	v_or_b32_e32 v10, v10, v20
	s_delay_alu instid0(VALU_DEP_3) | instskip(SKIP_1) | instid1(VALU_DEP_2)
	v_cndmask_b32_e64 v6, 0, 1, s0
	v_cmp_eq_f32_e64 s0, v24, v8
	v_cndmask_b32_e32 v6, v6, v19, vcc_lo
	s_delay_alu instid0(VALU_DEP_2) | instskip(SKIP_3) | instid1(VALU_DEP_3)
	v_cndmask_b32_e64 v20, 0, 1, s0
	v_cmp_neq_f32_e64 s0, v24, v8
	v_dual_lshrrev_b32 v19, 4, v48 :: v_dual_bitop2_b32 v17, v26, v51 bitop3:0x54
	v_ashrrev_i32_e32 v24, 8, v38
	v_cndmask_b32_e64 v8, 0, 1, s0
	s_delay_alu instid0(VALU_DEP_3) | instskip(NEXT) | instid1(VALU_DEP_2)
	v_cmp_eq_f32_e64 s0, v17, v10
	v_dual_cndmask_b32 v8, v8, v20, vcc_lo :: v_dual_lshlrev_b32 v20, 23, v49
	s_delay_alu instid0(VALU_DEP_2) | instskip(SKIP_2) | instid1(VALU_DEP_4)
	v_cndmask_b32_e64 v22, 0, 1, s0
	v_cmp_neq_f32_e64 s0, v17, v10
	v_add_nc_u32_e32 v17, 0x1000000, v32
	v_and_b32_e32 v8, 1, v8
	v_sub_nc_u32_e32 v18, v18, v20
	s_delay_alu instid0(VALU_DEP_4) | instskip(NEXT) | instid1(VALU_DEP_4)
	v_cndmask_b32_e64 v10, 0, 1, s0
	v_ashrrev_i32_e32 v17, 8, v17
	v_cmp_ne_u32_e64 s0, 0, v30
	s_delay_alu instid0(VALU_DEP_4) | instskip(NEXT) | instid1(VALU_DEP_4)
	v_add_nc_u32_e32 v18, 0x3c000000, v18
	v_dual_cndmask_b32 v10, v10, v22, vcc_lo :: v_dual_lshlrev_b32 v22, 23, v44
	s_delay_alu instid0(VALU_DEP_3) | instskip(SKIP_2) | instid1(VALU_DEP_4)
	v_cndmask_b32_e64 v20, 0, v53, s0
	v_and_b32_e32 v17, 0x7f800000, v17
	v_cmp_ne_u32_e64 s0, 0, v31
	v_and_b32_e32 v10, 1, v10
	v_sub_nc_u32_e32 v19, v19, v22
	v_and_b32_e32 v22, 0x7f800000, v24
	s_delay_alu instid0(VALU_DEP_4) | instskip(SKIP_1) | instid1(VALU_DEP_4)
	v_dual_cndmask_b32 v23, 0, v23, s0 :: v_dual_bitop2_b32 v17, v18, v17 bitop3:0x54
	v_and_b32_e32 v18, 0x80000000, v21
	v_add_nc_u32_e32 v19, 0x3c000000, v19
	v_cmp_ne_u32_e64 s0, 0, v32
	s_wait_loadcnt 0x5
	v_dual_lshlrev_b32 v21, 24, v13 :: v_dual_bitop2_b32 v4, 1, v4 bitop3:0x40
	v_or_b32_e32 v11, v23, v11
	s_delay_alu instid0(VALU_DEP_3) | instskip(SKIP_1) | instid1(VALU_DEP_4)
	v_dual_cndmask_b32 v17, 0, v17, s0 :: v_dual_bitop2_b32 v12, v20, v12 bitop3:0x54
	v_cmp_ne_u32_e64 s0, 0, v35
	v_and_b32_e32 v23, 0x7f000000, v21
	v_or_b32_e32 v19, v19, v22
	v_and_b32_e32 v6, 1, v6
	v_and_b32_e32 v20, 0x80000000, v56
	s_wait_loadcnt 0x2
	v_dual_lshlrev_b32 v18, 24, v15 :: v_dual_bitop2_b32 v17, v17, v18 bitop3:0x54
	v_cndmask_b32_e64 v19, 0, v19, s0
	v_cmp_eq_f32_e64 s0, v11, v12
	v_clz_i32_u32_e32 v25, v23
	v_and_b32_e32 v21, 0x80000000, v21
	v_and_b32_e32 v22, 0x7f000000, v18
	v_or_b32_e32 v19, v19, v20
	v_cndmask_b32_e64 v20, 0, 1, s0
	v_and_b32_e32 v18, 0x80000000, v18
	v_lshlrev_b16 v4, 8, v4
	v_lshlrev_b16 v6, 8, v6
	v_cmp_eq_f32_e64 s0, v19, v17
	v_lshlrev_b16 v8, 8, v8
	v_lshlrev_b16 v10, 8, v10
	v_bitop3_b16 v3, v3, v4, 1 bitop3:0xec
	v_bitop3_b16 v4, v5, v6, 1 bitop3:0xec
	v_cndmask_b32_e64 v24, 0, 1, s0
	v_cmp_neq_f32_e64 s0, v19, v17
	v_clz_i32_u32_e32 v19, v22
	v_bitop3_b16 v5, v7, v8, 1 bitop3:0xec
	v_bitop3_b16 v9, v9, v10, 1 bitop3:0xec
	s_delay_alu instid0(VALU_DEP_4)
	v_cndmask_b32_e64 v17, 0, 1, s0
	v_cmp_neq_f32_e64 s0, v11, v12
	v_perm_b32 v12, v15, v13, 0x5040100
	v_min_u32_e32 v13, 32, v19
	v_add_nc_u32_e32 v19, 0x1000000, v22
	v_cndmask_b32_e32 v15, v17, v24, vcc_lo
	v_min_u32_e32 v17, 32, v25
	v_pk_lshrrev_b16 v12, 8, v12 op_sel_hi:[0,1]
	v_sub_nc_u32_e64 v13, v13, 4 clamp
	v_add_nc_u32_e32 v24, 0x1000000, v23
	v_ashrrev_i32_e32 v19, 8, v19
	v_sub_nc_u32_e64 v17, v17, 4 clamp
	s_delay_alu instid0(VALU_DEP_4) | instskip(NEXT) | instid1(VALU_DEP_4)
	v_dual_lshlrev_b32 v25, 8, v12 :: v_dual_lshlrev_b32 v26, v13, v22
	v_dual_ashrrev_i32 v24, 8, v24 :: v_dual_lshlrev_b32 v13, 23, v13
	s_delay_alu instid0(VALU_DEP_3) | instskip(NEXT) | instid1(VALU_DEP_3)
	v_lshlrev_b32_e32 v27, v17, v23
	v_and_b32_e32 v25, 0xff000000, v25
	s_delay_alu instid0(VALU_DEP_4) | instskip(NEXT) | instid1(VALU_DEP_4)
	v_lshrrev_b32_e32 v26, 4, v26
	v_and_b32_e32 v24, 0x7f800000, v24
	s_delay_alu instid0(VALU_DEP_4) | instskip(NEXT) | instid1(VALU_DEP_4)
	v_dual_lshlrev_b32 v12, 24, v12 :: v_dual_lshrrev_b32 v27, 4, v27
	v_and_b32_e32 v28, 0x7f000000, v25
	s_delay_alu instid0(VALU_DEP_4)
	v_sub_nc_u32_e32 v13, v26, v13
	v_and_b32_e32 v19, 0x7f800000, v19
	v_cndmask_b32_e64 v11, 0, 1, s0
	v_and_b32_e32 v29, 0x7f000000, v12
	v_clz_i32_u32_e32 v26, v28
	v_add_nc_u32_e32 v13, 0x3c000000, v13
	v_lshlrev_b32_e32 v17, 23, v17
	v_cmp_ne_u32_e64 s0, 0, v22
	v_and_b32_e32 v12, 0x80000000, v12
	v_min_u32_e32 v26, 32, v26
	v_or_b32_e32 v13, v13, v19
	v_dual_cndmask_b32 v11, v11, v20, vcc_lo :: v_dual_bitop2_b32 v15, 1, v15 bitop3:0x40
	s_delay_alu instid0(VALU_DEP_3) | instskip(NEXT) | instid1(VALU_DEP_3)
	v_sub_nc_u32_e64 v19, v26, 4 clamp
	v_cndmask_b32_e64 v13, 0, v13, s0
	v_cmp_ne_u32_e64 s0, 0, v23
	v_add_nc_u32_e32 v26, 0x1000000, v29
	s_delay_alu instid0(VALU_DEP_4) | instskip(SKIP_3) | instid1(VALU_DEP_4)
	v_lshlrev_b32_e32 v22, v19, v28
	v_sub_nc_u32_e32 v17, v27, v17
	v_clz_i32_u32_e32 v27, v29
	v_dual_lshlrev_b32 v19, 23, v19 :: v_dual_bitop2_b32 v13, v13, v18 bitop3:0x54
	v_lshrrev_b32_e32 v22, 4, v22
	s_delay_alu instid0(VALU_DEP_4) | instskip(NEXT) | instid1(VALU_DEP_4)
	v_add_nc_u32_e32 v17, 0x3c000000, v17
	v_min_u32_e32 v27, 32, v27
	s_delay_alu instid0(VALU_DEP_2) | instskip(NEXT) | instid1(VALU_DEP_2)
	v_or_b32_e32 v17, v17, v24
	v_sub_nc_u32_e64 v24, v27, 4 clamp
	v_add_nc_u32_e32 v27, 0x1000000, v28
	s_delay_alu instid0(VALU_DEP_3) | instskip(NEXT) | instid1(VALU_DEP_3)
	v_cndmask_b32_e64 v17, 0, v17, s0
	v_dual_lshlrev_b32 v23, v24, v29 :: v_dual_lshlrev_b32 v24, 23, v24
	s_delay_alu instid0(VALU_DEP_3) | instskip(NEXT) | instid1(VALU_DEP_2)
	v_ashrrev_i32_e32 v18, 8, v27
	v_lshrrev_b32_e32 v23, 4, v23
	v_dual_sub_nc_u32 v19, v22, v19 :: v_dual_ashrrev_i32 v22, 8, v26
	s_delay_alu instid0(VALU_DEP_3) | instskip(NEXT) | instid1(VALU_DEP_3)
	v_and_b32_e32 v18, 0x7f800000, v18
	v_sub_nc_u32_e32 v23, v23, v24
	s_delay_alu instid0(VALU_DEP_3) | instskip(NEXT) | instid1(VALU_DEP_1)
	v_add_nc_u32_e32 v19, 0x3c000000, v19
	v_or_b32_e32 v18, v19, v18
	v_or_b32_e32 v17, v17, v21
	v_and_b32_e32 v21, 0x7f800000, v22
	v_add_nc_u32_e32 v22, 0x3c000000, v23
	v_and_b32_e32 v19, 0x80000000, v25
	s_delay_alu instid0(VALU_DEP_4) | instskip(NEXT) | instid1(VALU_DEP_3)
	v_cmp_eq_f32_e64 s0, v17, v13
	v_or_b32_e32 v21, v22, v21
	s_delay_alu instid0(VALU_DEP_2) | instskip(SKIP_1) | instid1(VALU_DEP_1)
	v_cndmask_b32_e64 v23, 0, 1, s0
	v_cmp_ne_u32_e64 s0, 0, v28
	v_cndmask_b32_e64 v18, 0, v18, s0
	v_cmp_ne_u32_e64 s0, 0, v29
	v_lshlrev_b32_e32 v22, 24, v14
	s_wait_loadcnt 0x1
	v_perm_b32 v14, v16, v14, 0x5040100
	s_delay_alu instid0(VALU_DEP_3) | instskip(SKIP_2) | instid1(VALU_DEP_4)
	v_dual_cndmask_b32 v21, 0, v21, s0 :: v_dual_bitop2_b32 v18, v18, v19 bitop3:0x54
	v_cmp_neq_f32_e64 s0, v17, v13
	v_lshlrev_b32_e32 v17, 24, v16
	v_pk_lshrrev_b16 v14, 8, v14 op_sel_hi:[0,1]
	s_delay_alu instid0(VALU_DEP_4) | instskip(NEXT) | instid1(VALU_DEP_4)
	v_or_b32_e32 v12, v21, v12
	v_cndmask_b32_e64 v13, 0, 1, s0
	s_delay_alu instid0(VALU_DEP_4)
	v_and_b32_e32 v19, 0x7f000000, v17
	v_and_b32_e32 v21, 0x7f000000, v22
	v_and_b32_e32 v17, 0x80000000, v17
	v_cmp_eq_f32_e64 s0, v12, v18
	v_cndmask_b32_e32 v13, v13, v23, vcc_lo
	v_clz_i32_u32_e32 v23, v19
	v_clz_i32_u32_e32 v24, v21
	v_add_nc_u32_e32 v25, 0x1000000, v19
	v_cndmask_b32_e64 v16, 0, 1, s0
	v_cmp_neq_f32_e64 s0, v12, v18
	v_min_u32_e32 v18, 32, v23
	v_min_u32_e32 v23, 32, v24
	v_dual_lshlrev_b32 v24, 8, v14 :: v_dual_lshlrev_b32 v14, 24, v14
	v_ashrrev_i32_e32 v25, 8, v25
	s_delay_alu instid0(VALU_DEP_4) | instskip(NEXT) | instid1(VALU_DEP_4)
	v_sub_nc_u32_e64 v18, v18, 4 clamp
	v_sub_nc_u32_e64 v23, v23, 4 clamp
	s_delay_alu instid0(VALU_DEP_4) | instskip(SKIP_3) | instid1(VALU_DEP_4)
	v_and_b32_e32 v24, 0xff000000, v24
	v_add_nc_u32_e32 v26, 0x1000000, v21
	v_and_b32_e32 v29, 0x7f000000, v14
	v_dual_lshlrev_b32 v27, v18, v19 :: v_dual_lshlrev_b32 v18, 23, v18
	v_and_b32_e32 v28, 0x7f000000, v24
	s_delay_alu instid0(VALU_DEP_4) | instskip(NEXT) | instid1(VALU_DEP_3)
	v_dual_ashrrev_i32 v26, 8, v26 :: v_dual_lshlrev_b32 v30, v23, v21
	v_lshrrev_b32_e32 v27, 4, v27
	v_clz_i32_u32_e32 v32, v29
	s_delay_alu instid0(VALU_DEP_4)
	v_clz_i32_u32_e32 v31, v28
	v_lshlrev_b32_e32 v23, 23, v23
	v_and_b32_e32 v25, 0x7f800000, v25
	v_sub_nc_u32_e32 v18, v27, v18
	v_min_u32_e32 v32, 32, v32
	v_min_u32_e32 v31, 32, v31
	v_and_b32_e32 v26, 0x7f800000, v26
	v_add_nc_u32_e32 v33, 0x1000000, v28
	v_cndmask_b32_e64 v12, 0, 1, s0
	v_cmp_ne_u32_e64 s0, 0, v19
	v_sub_nc_u32_e64 v27, v31, 4 clamp
	v_lshrrev_b32_e32 v30, 4, v30
	v_and_b32_e32 v22, 0x80000000, v22
	v_and_b32_e32 v14, 0x80000000, v14
	v_cndmask_b32_e32 v12, v12, v16, vcc_lo
	s_delay_alu instid0(VALU_DEP_4) | instskip(SKIP_3) | instid1(VALU_DEP_4)
	v_dual_lshlrev_b32 v31, v27, v28 :: v_dual_sub_nc_u32 v23, v30, v23
	v_sub_nc_u32_e64 v30, v32, 4 clamp
	v_add_nc_u32_e32 v18, 0x3c000000, v18
	v_lshlrev_b32_e32 v27, 23, v27
	v_lshrrev_b32_e32 v31, 4, v31
	v_add_nc_u32_e32 v23, 0x3c000000, v23
	v_lshlrev_b32_e32 v32, v30, v29
	v_or_b32_e32 v18, v18, v25
	v_add_nc_u32_e32 v25, 0x1000000, v29
	v_lshlrev_b32_e32 v30, 23, v30
	v_dual_ashrrev_i32 v26, 8, v33 :: v_dual_bitop2_b32 v23, v23, v26 bitop3:0x54
	s_delay_alu instid0(VALU_DEP_3) | instskip(SKIP_1) | instid1(VALU_DEP_3)
	v_dual_lshrrev_b32 v32, 4, v32 :: v_dual_ashrrev_i32 v25, 8, v25
	v_dual_sub_nc_u32 v27, v31, v27 :: v_dual_bitop2_b32 v12, 1, v12 bitop3:0x40
	v_and_b32_e32 v19, 0x7f800000, v26
	s_delay_alu instid0(VALU_DEP_3) | instskip(NEXT) | instid1(VALU_DEP_3)
	v_and_b32_e32 v25, 0x7f800000, v25
	v_add_nc_u32_e32 v26, 0x3c000000, v27
	v_cndmask_b32_e64 v18, 0, v18, s0
	v_cmp_ne_u32_e64 s0, 0, v21
	v_sub_nc_u32_e32 v30, v32, v30
	v_lshlrev_b16 v12, 8, v12
	v_or_b32_e32 v19, v26, v19
	s_delay_alu instid0(VALU_DEP_4) | instskip(NEXT) | instid1(VALU_DEP_4)
	v_dual_cndmask_b32 v21, 0, v23, s0 :: v_dual_bitop2_b32 v16, v18, v17 bitop3:0x54
	v_add_nc_u32_e32 v27, 0x3c000000, v30
	v_cmp_ne_u32_e64 s0, 0, v28
	v_and_b32_e32 v23, 0x80000000, v24
	v_bitop3_b16 v12, v13, v12, 1 bitop3:0xec
	v_or_b32_e32 v17, v21, v22
	s_delay_alu instid0(VALU_DEP_4) | instskip(SKIP_4) | instid1(VALU_DEP_3)
	v_dual_cndmask_b32 v19, 0, v19, s0 :: v_dual_bitop2_b32 v24, v27, v25 bitop3:0x54
	v_cmp_ne_u32_e64 s0, 0, v29
	s_wait_loadcnt 0x0
	v_lshlrev_b32_e32 v21, 24, v2
	v_lshlrev_b16 v13, 8, v15
	v_dual_cndmask_b32 v24, 0, v24, s0 :: v_dual_bitop2_b32 v18, v19, v23 bitop3:0x54
	v_lshlrev_b32_e32 v19, 24, v1
	v_perm_b32 v1, v2, v1, 0x5040100
	v_cmp_eq_f32_e64 s0, v17, v16
	v_and_b32_e32 v23, 0x7f000000, v21
	v_and_b32_e32 v21, 0x80000000, v21
	;; [unrolled: 1-line block ×3, first 2 shown]
	v_pk_lshrrev_b16 v1, 8, v1 op_sel_hi:[0,1]
	v_or_b32_e32 v14, v24, v14
	v_cndmask_b32_e64 v2, 0, 1, s0
	v_clz_i32_u32_e32 v26, v23
	v_clz_i32_u32_e32 v25, v22
	v_lshlrev_b32_e32 v27, 8, v1
	v_cmp_eq_f32_e64 s0, v14, v18
	v_add_nc_u32_e32 v29, 0x1000000, v22
	v_and_b32_e32 v19, 0x80000000, v19
	v_bitop3_b16 v11, v11, v13, 1 bitop3:0xec
	s_delay_alu instid0(VALU_DEP_4)
	v_cndmask_b32_e64 v24, 0, 1, s0
	v_cmp_neq_f32_e64 s0, v14, v18
	v_min_u32_e32 v18, 32, v25
	v_min_u32_e32 v25, 32, v26
	v_and_b32_e32 v26, 0xff000000, v27
	v_add_nc_u32_e32 v27, 0x1000000, v23
	v_lshlrev_b32_e32 v1, 24, v1
	v_sub_nc_u32_e64 v18, v18, 4 clamp
	v_sub_nc_u32_e64 v25, v25, 4 clamp
	v_and_b32_e32 v28, 0x7f000000, v26
	v_ashrrev_i32_e32 v27, 8, v27
	v_and_b32_e32 v30, 0x7f000000, v1
	v_dual_ashrrev_i32 v29, 8, v29 :: v_dual_lshlrev_b32 v33, v18, v22
	s_delay_alu instid0(VALU_DEP_4) | instskip(SKIP_1) | instid1(VALU_DEP_4)
	v_clz_i32_u32_e32 v31, v28
	v_lshlrev_b32_e32 v34, v25, v23
	v_clz_i32_u32_e32 v32, v30
	v_dual_lshlrev_b32 v18, 23, v18 :: v_dual_lshlrev_b32 v25, 23, v25
	s_delay_alu instid0(VALU_DEP_4) | instskip(SKIP_1) | instid1(VALU_DEP_4)
	v_min_u32_e32 v31, 32, v31
	v_lshrrev_b32_e32 v33, 4, v33
	v_min_u32_e32 v32, 32, v32
	v_add_nc_u32_e32 v37, 0x1000000, v28
	v_add_nc_u32_e32 v36, 0x1000000, v30
	v_sub_nc_u32_e64 v31, v31, 4 clamp
	v_lshrrev_b32_e32 v34, 4, v34
	v_sub_nc_u32_e64 v32, v32, 4 clamp
	v_and_b32_e32 v27, 0x7f800000, v27
	v_cndmask_b32_e64 v14, 0, 1, s0
	v_dual_lshlrev_b32 v35, v31, v28 :: v_dual_sub_nc_u32 v18, v33, v18
	s_delay_alu instid0(VALU_DEP_4) | instskip(NEXT) | instid1(VALU_DEP_2)
	v_dual_lshlrev_b32 v33, v32, v30 :: v_dual_lshlrev_b32 v31, 23, v31
	v_dual_lshlrev_b32 v32, 23, v32 :: v_dual_lshrrev_b32 v35, 4, v35
	v_sub_nc_u32_e32 v25, v34, v25
	s_delay_alu instid0(VALU_DEP_3)
	v_lshrrev_b32_e32 v33, 4, v33
	v_ashrrev_i32_e32 v34, 8, v37
	v_cmp_ne_u32_e64 s0, 0, v28
	v_dual_sub_nc_u32 v31, v35, v31 :: v_dual_ashrrev_i32 v35, 8, v36
	v_add_nc_u32_e32 v25, 0x3c000000, v25
	v_and_b32_e32 v29, 0x7f800000, v29
	v_add_nc_u32_e32 v18, 0x3c000000, v18
	s_delay_alu instid0(VALU_DEP_4)
	v_add_nc_u32_e32 v31, 0x3c000000, v31
	v_sub_nc_u32_e32 v32, v33, v32
	v_and_b32_e32 v33, 0x7f800000, v34
	v_and_b32_e32 v34, 0x7f800000, v35
	v_or_b32_e32 v25, v25, v27
	v_and_b32_e32 v26, 0x80000000, v26
	v_and_b32_e32 v1, 0x80000000, v1
	v_or_b32_e32 v27, v31, v33
	v_add_nc_u32_e32 v32, 0x3c000000, v32
	v_or_b32_e32 v18, v18, v29
	s_delay_alu instid0(VALU_DEP_3) | instskip(NEXT) | instid1(VALU_DEP_3)
	v_dual_cndmask_b32 v14, v14, v24, vcc_lo :: v_dual_cndmask_b32 v27, 0, v27, s0
	v_or_b32_e32 v31, v32, v34
	v_cmp_ne_u32_e64 s0, 0, v30
	s_delay_alu instid0(VALU_DEP_1) | instskip(SKIP_1) | instid1(VALU_DEP_2)
	v_dual_cndmask_b32 v28, 0, v31, s0 :: v_dual_bitop2_b32 v14, 1, v14 bitop3:0x40
	v_cmp_ne_u32_e64 s0, 0, v23
	v_lshlrev_b16 v14, 8, v14
	s_delay_alu instid0(VALU_DEP_2) | instskip(SKIP_2) | instid1(VALU_DEP_2)
	v_dual_cndmask_b32 v23, 0, v25, s0 :: v_dual_bitop2_b32 v25, v27, v26 bitop3:0x54
	v_cmp_ne_u32_e64 s0, 0, v22
	v_or_b32_e32 v1, v28, v1
	v_dual_cndmask_b32 v18, 0, v18, s0 :: v_dual_bitop2_b32 v21, v23, v21 bitop3:0x54
	s_delay_alu instid0(VALU_DEP_2) | instskip(NEXT) | instid1(VALU_DEP_2)
	v_cmp_eq_f32_e64 s0, v1, v25
	v_or_b32_e32 v18, v18, v19
	s_delay_alu instid0(VALU_DEP_2) | instskip(SKIP_1) | instid1(VALU_DEP_1)
	v_cndmask_b32_e64 v22, 0, 1, s0
	v_cmp_neq_f32_e64 s0, v1, v25
	v_cndmask_b32_e64 v1, 0, 1, s0
	v_cmp_neq_f32_e64 s0, v17, v16
	s_delay_alu instid0(VALU_DEP_2) | instskip(NEXT) | instid1(VALU_DEP_2)
	v_cndmask_b32_e32 v1, v1, v22, vcc_lo
	v_cndmask_b32_e64 v16, 0, 1, s0
	v_cmp_eq_f32_e64 s0, v18, v21
	s_delay_alu instid0(VALU_DEP_2) | instskip(NEXT) | instid1(VALU_DEP_2)
	v_dual_cndmask_b32 v2, v16, v2, vcc_lo :: v_dual_bitop2_b32 v1, 1, v1 bitop3:0x40
	v_cndmask_b32_e64 v17, 0, 1, s0
	v_cmp_neq_f32_e64 s0, v18, v21
	s_delay_alu instid0(VALU_DEP_3) | instskip(NEXT) | instid1(VALU_DEP_4)
	v_lshlrev_b16 v1, 8, v1
	v_bitop3_b16 v2, v2, v14, 1 bitop3:0xec
	s_delay_alu instid0(VALU_DEP_3) | instskip(NEXT) | instid1(VALU_DEP_1)
	v_cndmask_b32_e64 v18, 0, 1, s0
	v_cndmask_b32_e32 v16, v18, v17, vcc_lo
	s_delay_alu instid0(VALU_DEP_1)
	v_bitop3_b16 v1, v16, v1, 1 bitop3:0xec
	s_clause 0x7
	global_store_b16 v0, v3, s[2:3] scale_offset
	global_store_b16 v0, v4, s[2:3] offset:512 scale_offset
	global_store_b16 v0, v5, s[2:3] offset:1024 scale_offset
	;; [unrolled: 1-line block ×7, first 2 shown]
	s_cbranch_execnz .LBB270_2
.LBB270_4:
	s_wait_xcnt 0x0
	v_dual_mov_b32 v31, v0 :: v_dual_mov_b32 v0, s7
	v_dual_mov_b32 v1, s8 :: v_dual_mov_b32 v2, s9
	;; [unrolled: 1-line block ×4, first 2 shown]
	v_mov_b32_e32 v7, s16
	s_get_pc_i64 s[0:1]
	s_add_nc_u64 s[0:1], s[0:1], _ZN2at6native25elementwise_kernel_helperILb0ENS0_13BinaryFunctorIN3c1013Float8_e4m3fnES4_bNS0_12_GLOBAL__N_116CompareEqFunctorIS4_EEEENS0_6memory8policies11unroll_baseILi256ESt5arrayIPcLm3EE23TrivialOffsetCalculatorILi2EjESF_ILi1EjENS9_15LoadWithoutCastENS9_16StoreWithoutCastELi16ELi1EEEEEvT0_T1_@rel64+4
	s_delay_alu instid0(SALU_CYCLE_1)
	s_swap_pc_i64 s[30:31], s[0:1]
	s_endpgm
	.section	.rodata,"a",@progbits
	.p2align	6, 0x0
	.amdhsa_kernel _ZN2at6native29vectorized_elementwise_kernelILi2ENS0_13BinaryFunctorIN3c1013Float8_e4m3fnES4_bNS0_12_GLOBAL__N_116CompareEqFunctorIS4_EEEESt5arrayIPcLm3EEEEviT0_T1_
		.amdhsa_group_segment_fixed_size 0
		.amdhsa_private_segment_fixed_size 0
		.amdhsa_kernarg_size 32
		.amdhsa_user_sgpr_count 2
		.amdhsa_user_sgpr_dispatch_ptr 0
		.amdhsa_user_sgpr_queue_ptr 0
		.amdhsa_user_sgpr_kernarg_segment_ptr 1
		.amdhsa_user_sgpr_dispatch_id 0
		.amdhsa_user_sgpr_kernarg_preload_length 0
		.amdhsa_user_sgpr_kernarg_preload_offset 0
		.amdhsa_user_sgpr_private_segment_size 0
		.amdhsa_wavefront_size32 1
		.amdhsa_uses_dynamic_stack 0
		.amdhsa_enable_private_segment 0
		.amdhsa_system_sgpr_workgroup_id_x 1
		.amdhsa_system_sgpr_workgroup_id_y 0
		.amdhsa_system_sgpr_workgroup_id_z 0
		.amdhsa_system_sgpr_workgroup_info 0
		.amdhsa_system_vgpr_workitem_id 0
		.amdhsa_next_free_vgpr 67
		.amdhsa_next_free_sgpr 33
		.amdhsa_named_barrier_count 0
		.amdhsa_reserve_vcc 1
		.amdhsa_float_round_mode_32 0
		.amdhsa_float_round_mode_16_64 0
		.amdhsa_float_denorm_mode_32 3
		.amdhsa_float_denorm_mode_16_64 3
		.amdhsa_fp16_overflow 0
		.amdhsa_memory_ordered 1
		.amdhsa_forward_progress 1
		.amdhsa_inst_pref_size 43
		.amdhsa_round_robin_scheduling 0
		.amdhsa_exception_fp_ieee_invalid_op 0
		.amdhsa_exception_fp_denorm_src 0
		.amdhsa_exception_fp_ieee_div_zero 0
		.amdhsa_exception_fp_ieee_overflow 0
		.amdhsa_exception_fp_ieee_underflow 0
		.amdhsa_exception_fp_ieee_inexact 0
		.amdhsa_exception_int_div_zero 0
	.end_amdhsa_kernel
	.section	.text._ZN2at6native29vectorized_elementwise_kernelILi2ENS0_13BinaryFunctorIN3c1013Float8_e4m3fnES4_bNS0_12_GLOBAL__N_116CompareEqFunctorIS4_EEEESt5arrayIPcLm3EEEEviT0_T1_,"axG",@progbits,_ZN2at6native29vectorized_elementwise_kernelILi2ENS0_13BinaryFunctorIN3c1013Float8_e4m3fnES4_bNS0_12_GLOBAL__N_116CompareEqFunctorIS4_EEEESt5arrayIPcLm3EEEEviT0_T1_,comdat
.Lfunc_end270:
	.size	_ZN2at6native29vectorized_elementwise_kernelILi2ENS0_13BinaryFunctorIN3c1013Float8_e4m3fnES4_bNS0_12_GLOBAL__N_116CompareEqFunctorIS4_EEEESt5arrayIPcLm3EEEEviT0_T1_, .Lfunc_end270-_ZN2at6native29vectorized_elementwise_kernelILi2ENS0_13BinaryFunctorIN3c1013Float8_e4m3fnES4_bNS0_12_GLOBAL__N_116CompareEqFunctorIS4_EEEESt5arrayIPcLm3EEEEviT0_T1_
                                        ; -- End function
	.set _ZN2at6native29vectorized_elementwise_kernelILi2ENS0_13BinaryFunctorIN3c1013Float8_e4m3fnES4_bNS0_12_GLOBAL__N_116CompareEqFunctorIS4_EEEESt5arrayIPcLm3EEEEviT0_T1_.num_vgpr, max(60, .L_ZN2at6native25elementwise_kernel_helperILb0ENS0_13BinaryFunctorIN3c1013Float8_e4m3fnES4_bNS0_12_GLOBAL__N_116CompareEqFunctorIS4_EEEENS0_6memory8policies11unroll_baseILi256ESt5arrayIPcLm3EE23TrivialOffsetCalculatorILi2EjESF_ILi1EjENS9_15LoadWithoutCastENS9_16StoreWithoutCastELi16ELi1EEEEEvT0_T1_.num_vgpr)
	.set _ZN2at6native29vectorized_elementwise_kernelILi2ENS0_13BinaryFunctorIN3c1013Float8_e4m3fnES4_bNS0_12_GLOBAL__N_116CompareEqFunctorIS4_EEEESt5arrayIPcLm3EEEEviT0_T1_.num_agpr, max(0, .L_ZN2at6native25elementwise_kernel_helperILb0ENS0_13BinaryFunctorIN3c1013Float8_e4m3fnES4_bNS0_12_GLOBAL__N_116CompareEqFunctorIS4_EEEENS0_6memory8policies11unroll_baseILi256ESt5arrayIPcLm3EE23TrivialOffsetCalculatorILi2EjESF_ILi1EjENS9_15LoadWithoutCastENS9_16StoreWithoutCastELi16ELi1EEEEEvT0_T1_.num_agpr)
	.set _ZN2at6native29vectorized_elementwise_kernelILi2ENS0_13BinaryFunctorIN3c1013Float8_e4m3fnES4_bNS0_12_GLOBAL__N_116CompareEqFunctorIS4_EEEESt5arrayIPcLm3EEEEviT0_T1_.numbered_sgpr, max(33, .L_ZN2at6native25elementwise_kernel_helperILb0ENS0_13BinaryFunctorIN3c1013Float8_e4m3fnES4_bNS0_12_GLOBAL__N_116CompareEqFunctorIS4_EEEENS0_6memory8policies11unroll_baseILi256ESt5arrayIPcLm3EE23TrivialOffsetCalculatorILi2EjESF_ILi1EjENS9_15LoadWithoutCastENS9_16StoreWithoutCastELi16ELi1EEEEEvT0_T1_.numbered_sgpr)
	.set _ZN2at6native29vectorized_elementwise_kernelILi2ENS0_13BinaryFunctorIN3c1013Float8_e4m3fnES4_bNS0_12_GLOBAL__N_116CompareEqFunctorIS4_EEEESt5arrayIPcLm3EEEEviT0_T1_.num_named_barrier, max(0, .L_ZN2at6native25elementwise_kernel_helperILb0ENS0_13BinaryFunctorIN3c1013Float8_e4m3fnES4_bNS0_12_GLOBAL__N_116CompareEqFunctorIS4_EEEENS0_6memory8policies11unroll_baseILi256ESt5arrayIPcLm3EE23TrivialOffsetCalculatorILi2EjESF_ILi1EjENS9_15LoadWithoutCastENS9_16StoreWithoutCastELi16ELi1EEEEEvT0_T1_.num_named_barrier)
	.set _ZN2at6native29vectorized_elementwise_kernelILi2ENS0_13BinaryFunctorIN3c1013Float8_e4m3fnES4_bNS0_12_GLOBAL__N_116CompareEqFunctorIS4_EEEESt5arrayIPcLm3EEEEviT0_T1_.private_seg_size, 0+max(.L_ZN2at6native25elementwise_kernel_helperILb0ENS0_13BinaryFunctorIN3c1013Float8_e4m3fnES4_bNS0_12_GLOBAL__N_116CompareEqFunctorIS4_EEEENS0_6memory8policies11unroll_baseILi256ESt5arrayIPcLm3EE23TrivialOffsetCalculatorILi2EjESF_ILi1EjENS9_15LoadWithoutCastENS9_16StoreWithoutCastELi16ELi1EEEEEvT0_T1_.private_seg_size)
	.set _ZN2at6native29vectorized_elementwise_kernelILi2ENS0_13BinaryFunctorIN3c1013Float8_e4m3fnES4_bNS0_12_GLOBAL__N_116CompareEqFunctorIS4_EEEESt5arrayIPcLm3EEEEviT0_T1_.uses_vcc, or(1, .L_ZN2at6native25elementwise_kernel_helperILb0ENS0_13BinaryFunctorIN3c1013Float8_e4m3fnES4_bNS0_12_GLOBAL__N_116CompareEqFunctorIS4_EEEENS0_6memory8policies11unroll_baseILi256ESt5arrayIPcLm3EE23TrivialOffsetCalculatorILi2EjESF_ILi1EjENS9_15LoadWithoutCastENS9_16StoreWithoutCastELi16ELi1EEEEEvT0_T1_.uses_vcc)
	.set _ZN2at6native29vectorized_elementwise_kernelILi2ENS0_13BinaryFunctorIN3c1013Float8_e4m3fnES4_bNS0_12_GLOBAL__N_116CompareEqFunctorIS4_EEEESt5arrayIPcLm3EEEEviT0_T1_.uses_flat_scratch, or(0, .L_ZN2at6native25elementwise_kernel_helperILb0ENS0_13BinaryFunctorIN3c1013Float8_e4m3fnES4_bNS0_12_GLOBAL__N_116CompareEqFunctorIS4_EEEENS0_6memory8policies11unroll_baseILi256ESt5arrayIPcLm3EE23TrivialOffsetCalculatorILi2EjESF_ILi1EjENS9_15LoadWithoutCastENS9_16StoreWithoutCastELi16ELi1EEEEEvT0_T1_.uses_flat_scratch)
	.set _ZN2at6native29vectorized_elementwise_kernelILi2ENS0_13BinaryFunctorIN3c1013Float8_e4m3fnES4_bNS0_12_GLOBAL__N_116CompareEqFunctorIS4_EEEESt5arrayIPcLm3EEEEviT0_T1_.has_dyn_sized_stack, or(0, .L_ZN2at6native25elementwise_kernel_helperILb0ENS0_13BinaryFunctorIN3c1013Float8_e4m3fnES4_bNS0_12_GLOBAL__N_116CompareEqFunctorIS4_EEEENS0_6memory8policies11unroll_baseILi256ESt5arrayIPcLm3EE23TrivialOffsetCalculatorILi2EjESF_ILi1EjENS9_15LoadWithoutCastENS9_16StoreWithoutCastELi16ELi1EEEEEvT0_T1_.has_dyn_sized_stack)
	.set _ZN2at6native29vectorized_elementwise_kernelILi2ENS0_13BinaryFunctorIN3c1013Float8_e4m3fnES4_bNS0_12_GLOBAL__N_116CompareEqFunctorIS4_EEEESt5arrayIPcLm3EEEEviT0_T1_.has_recursion, or(0, .L_ZN2at6native25elementwise_kernel_helperILb0ENS0_13BinaryFunctorIN3c1013Float8_e4m3fnES4_bNS0_12_GLOBAL__N_116CompareEqFunctorIS4_EEEENS0_6memory8policies11unroll_baseILi256ESt5arrayIPcLm3EE23TrivialOffsetCalculatorILi2EjESF_ILi1EjENS9_15LoadWithoutCastENS9_16StoreWithoutCastELi16ELi1EEEEEvT0_T1_.has_recursion)
	.set _ZN2at6native29vectorized_elementwise_kernelILi2ENS0_13BinaryFunctorIN3c1013Float8_e4m3fnES4_bNS0_12_GLOBAL__N_116CompareEqFunctorIS4_EEEESt5arrayIPcLm3EEEEviT0_T1_.has_indirect_call, or(0, .L_ZN2at6native25elementwise_kernel_helperILb0ENS0_13BinaryFunctorIN3c1013Float8_e4m3fnES4_bNS0_12_GLOBAL__N_116CompareEqFunctorIS4_EEEENS0_6memory8policies11unroll_baseILi256ESt5arrayIPcLm3EE23TrivialOffsetCalculatorILi2EjESF_ILi1EjENS9_15LoadWithoutCastENS9_16StoreWithoutCastELi16ELi1EEEEEvT0_T1_.has_indirect_call)
	.section	.AMDGPU.csdata,"",@progbits
; Kernel info:
; codeLenInByte = 5380
; TotalNumSgprs: 35
; NumVgprs: 67
; ScratchSize: 0
; MemoryBound: 0
; FloatMode: 240
; IeeeMode: 1
; LDSByteSize: 0 bytes/workgroup (compile time only)
; SGPRBlocks: 0
; VGPRBlocks: 4
; NumSGPRsForWavesPerEU: 35
; NumVGPRsForWavesPerEU: 67
; NamedBarCnt: 0
; Occupancy: 12
; WaveLimiterHint : 1
; COMPUTE_PGM_RSRC2:SCRATCH_EN: 0
; COMPUTE_PGM_RSRC2:USER_SGPR: 2
; COMPUTE_PGM_RSRC2:TRAP_HANDLER: 0
; COMPUTE_PGM_RSRC2:TGID_X_EN: 1
; COMPUTE_PGM_RSRC2:TGID_Y_EN: 0
; COMPUTE_PGM_RSRC2:TGID_Z_EN: 0
; COMPUTE_PGM_RSRC2:TIDIG_COMP_CNT: 0
	.section	.text._ZN2at6native27unrolled_elementwise_kernelINS0_13BinaryFunctorIN3c1013Float8_e4m3fnES4_bNS0_12_GLOBAL__N_116CompareEqFunctorIS4_EEEESt5arrayIPcLm3EELi4E23TrivialOffsetCalculatorILi2EjESC_ILi1EjENS0_6memory15LoadWithoutCastENSF_16StoreWithoutCastEEEviT_T0_T2_T3_T4_T5_,"axG",@progbits,_ZN2at6native27unrolled_elementwise_kernelINS0_13BinaryFunctorIN3c1013Float8_e4m3fnES4_bNS0_12_GLOBAL__N_116CompareEqFunctorIS4_EEEESt5arrayIPcLm3EELi4E23TrivialOffsetCalculatorILi2EjESC_ILi1EjENS0_6memory15LoadWithoutCastENSF_16StoreWithoutCastEEEviT_T0_T2_T3_T4_T5_,comdat
	.globl	_ZN2at6native27unrolled_elementwise_kernelINS0_13BinaryFunctorIN3c1013Float8_e4m3fnES4_bNS0_12_GLOBAL__N_116CompareEqFunctorIS4_EEEESt5arrayIPcLm3EELi4E23TrivialOffsetCalculatorILi2EjESC_ILi1EjENS0_6memory15LoadWithoutCastENSF_16StoreWithoutCastEEEviT_T0_T2_T3_T4_T5_ ; -- Begin function _ZN2at6native27unrolled_elementwise_kernelINS0_13BinaryFunctorIN3c1013Float8_e4m3fnES4_bNS0_12_GLOBAL__N_116CompareEqFunctorIS4_EEEESt5arrayIPcLm3EELi4E23TrivialOffsetCalculatorILi2EjESC_ILi1EjENS0_6memory15LoadWithoutCastENSF_16StoreWithoutCastEEEviT_T0_T2_T3_T4_T5_
	.p2align	8
	.type	_ZN2at6native27unrolled_elementwise_kernelINS0_13BinaryFunctorIN3c1013Float8_e4m3fnES4_bNS0_12_GLOBAL__N_116CompareEqFunctorIS4_EEEESt5arrayIPcLm3EELi4E23TrivialOffsetCalculatorILi2EjESC_ILi1EjENS0_6memory15LoadWithoutCastENSF_16StoreWithoutCastEEEviT_T0_T2_T3_T4_T5_,@function
_ZN2at6native27unrolled_elementwise_kernelINS0_13BinaryFunctorIN3c1013Float8_e4m3fnES4_bNS0_12_GLOBAL__N_116CompareEqFunctorIS4_EEEESt5arrayIPcLm3EELi4E23TrivialOffsetCalculatorILi2EjESC_ILi1EjENS0_6memory15LoadWithoutCastENSF_16StoreWithoutCastEEEviT_T0_T2_T3_T4_T5_: ; @_ZN2at6native27unrolled_elementwise_kernelINS0_13BinaryFunctorIN3c1013Float8_e4m3fnES4_bNS0_12_GLOBAL__N_116CompareEqFunctorIS4_EEEESt5arrayIPcLm3EELi4E23TrivialOffsetCalculatorILi2EjESC_ILi1EjENS0_6memory15LoadWithoutCastENSF_16StoreWithoutCastEEEviT_T0_T2_T3_T4_T5_
; %bb.0:
	s_load_b64 s[2:3], s[0:1], 0x0
	s_bfe_u32 s11, ttmp6, 0x4000c
	s_clause 0x1
	s_load_b128 s[4:7], s[0:1], 0x8
	s_load_b64 s[8:9], s[0:1], 0x18
	s_add_co_i32 s11, s11, 1
	s_and_b32 s10, ttmp6, 15
	s_wait_xcnt 0x0
	s_mul_i32 s0, ttmp9, s11
	s_getreg_b32 s12, hwreg(HW_REG_IB_STS2, 6, 4)
	s_add_co_i32 s10, s10, s0
	s_cmp_eq_u32 s12, 0
	v_dual_mov_b32 v7, 0 :: v_dual_mov_b32 v1, 0
	s_cselect_b32 s0, ttmp9, s10
	v_dual_mov_b32 v5, 0 :: v_dual_mov_b32 v4, 0
	s_lshl_b32 s10, s0, 10
	v_dual_mov_b32 v6, 0 :: v_dual_mov_b32 v9, 0
	v_dual_mov_b32 v8, 0 :: v_dual_bitop2_b32 v3, s10, v0 bitop3:0x54
	v_or_b32_e32 v2, 0x100, v0
	s_wait_kmcnt 0x0
	s_sub_co_i32 s2, s2, s10
	v_dual_mov_b32 v11, 0 :: v_dual_mov_b32 v10, 0
	v_cmp_gt_i32_e32 vcc_lo, s2, v0
	s_and_saveexec_b32 s1, vcc_lo
	s_cbranch_execz .LBB271_8
; %bb.1:
	s_clause 0x1
	global_load_u8 v11, v3, s[6:7]
	global_load_u8 v10, v3, s[8:9]
	v_or_b32_e32 v12, 0x100, v0
	v_dual_mov_b32 v4, 0 :: v_dual_mov_b32 v8, 0
	v_dual_mov_b32 v9, 0 :: v_dual_mov_b32 v6, 0
	;; [unrolled: 1-line block ×3, first 2 shown]
	s_mov_b32 s11, exec_lo
	s_wait_xcnt 0x0
	v_cmpx_gt_u32_e64 s2, v12
	s_cbranch_execz .LBB271_7
; %bb.2:
	v_dual_add_nc_u32 v4, s10, v12 :: v_dual_mov_b32 v6, 0
	v_or_b32_e32 v12, 0x200, v0
	v_mov_b32_e32 v5, 0
	s_mov_b32 s12, exec_lo
	s_clause 0x1
	global_load_u8 v9, v4, s[6:7]
	global_load_u8 v8, v4, s[8:9]
	s_wait_xcnt 0x0
	v_dual_mov_b32 v4, 0 :: v_dual_mov_b32 v7, 0
	v_cmpx_gt_u32_e64 s2, v12
	s_cbranch_execz .LBB271_6
; %bb.3:
	v_dual_mov_b32 v5, 0 :: v_dual_add_nc_u32 v4, s10, v12
	v_or_b32_e32 v12, 0x300, v0
	s_mov_b32 s13, exec_lo
	s_clause 0x1
	global_load_u8 v7, v4, s[6:7]
	global_load_u8 v6, v4, s[8:9]
	s_wait_xcnt 0x0
	v_mov_b32_e32 v4, 0
	v_cmpx_gt_u32_e64 s2, v12
	s_cbranch_execz .LBB271_5
; %bb.4:
	v_add_nc_u32_e32 v4, s10, v12
	s_clause 0x1
	global_load_u8 v5, v4, s[6:7]
	global_load_u8 v12, v4, s[8:9]
	s_wait_loadcnt 0x0
	v_dual_lshlrev_b32 v5, 24, v5 :: v_dual_lshlrev_b32 v4, 24, v12
.LBB271_5:
	s_or_b32 exec_lo, exec_lo, s13
.LBB271_6:
	s_delay_alu instid0(SALU_CYCLE_1)
	s_or_b32 exec_lo, exec_lo, s12
.LBB271_7:
	s_delay_alu instid0(SALU_CYCLE_1)
	s_or_b32 exec_lo, exec_lo, s11
.LBB271_8:
	s_delay_alu instid0(SALU_CYCLE_1)
	s_or_b32 exec_lo, exec_lo, s1
	s_cmp_eq_u32 s3, 0
	s_cselect_b32 s0, -1, 0
	s_and_saveexec_b32 s3, vcc_lo
	s_cbranch_execz .LBB271_10
; %bb.9:
	s_wait_loadcnt 0x0
	v_dual_lshlrev_b32 v1, 24, v11 :: v_dual_lshlrev_b32 v10, 24, v10
	s_delay_alu instid0(VALU_DEP_1) | instskip(NEXT) | instid1(VALU_DEP_2)
	v_and_b32_e32 v11, 0x7f000000, v1
	v_and_b32_e32 v12, 0x7f000000, v10
	s_delay_alu instid0(VALU_DEP_2) | instskip(NEXT) | instid1(VALU_DEP_2)
	v_clz_i32_u32_e32 v13, v11
	v_clz_i32_u32_e32 v14, v12
	v_add_nc_u32_e32 v17, 0x1000000, v11
	v_cmp_ne_u32_e64 s1, 0, v11
	s_delay_alu instid0(VALU_DEP_4) | instskip(NEXT) | instid1(VALU_DEP_4)
	v_min_u32_e32 v13, 32, v13
	v_min_u32_e32 v14, 32, v14
	s_delay_alu instid0(VALU_DEP_2) | instskip(NEXT) | instid1(VALU_DEP_2)
	v_sub_nc_u32_e64 v13, v13, 4 clamp
	v_sub_nc_u32_e64 v14, v14, 4 clamp
	s_delay_alu instid0(VALU_DEP_1) | instskip(SKIP_1) | instid1(VALU_DEP_2)
	v_dual_lshlrev_b32 v15, v13, v11 :: v_dual_lshlrev_b32 v16, v14, v12
	v_dual_lshlrev_b32 v13, 23, v13 :: v_dual_lshlrev_b32 v14, 23, v14
	v_dual_lshrrev_b32 v15, 4, v15 :: v_dual_lshrrev_b32 v16, 4, v16
	s_delay_alu instid0(VALU_DEP_1) | instskip(SKIP_2) | instid1(VALU_DEP_3)
	v_dual_sub_nc_u32 v13, v15, v13 :: v_dual_sub_nc_u32 v14, v16, v14
	v_add_nc_u32_e32 v15, 0x1000000, v12
	v_ashrrev_i32_e32 v16, 8, v17
	v_add_nc_u32_e32 v13, 0x3c000000, v13
	s_delay_alu instid0(VALU_DEP_4) | instskip(NEXT) | instid1(VALU_DEP_4)
	v_add_nc_u32_e32 v14, 0x3c000000, v14
	v_ashrrev_i32_e32 v15, 8, v15
	s_delay_alu instid0(VALU_DEP_3) | instskip(NEXT) | instid1(VALU_DEP_2)
	v_and_or_b32 v13, 0x7f800000, v16, v13
	v_and_or_b32 v14, 0x7f800000, v15, v14
	s_delay_alu instid0(VALU_DEP_2) | instskip(SKIP_1) | instid1(VALU_DEP_1)
	v_cndmask_b32_e64 v11, 0, v13, s1
	v_cmp_ne_u32_e64 s1, 0, v12
	v_cndmask_b32_e64 v12, 0, v14, s1
	s_delay_alu instid0(VALU_DEP_3) | instskip(NEXT) | instid1(VALU_DEP_2)
	v_and_or_b32 v1, 0x80000000, v1, v11
	v_and_or_b32 v10, 0x80000000, v10, v12
	s_delay_alu instid0(VALU_DEP_1) | instskip(NEXT) | instid1(VALU_DEP_1)
	v_cmp_eq_f32_e64 s1, v1, v10
	v_cndmask_b32_e64 v11, 0, 1, s1
	v_cmp_neq_f32_e64 s1, v1, v10
	s_delay_alu instid0(VALU_DEP_1) | instskip(NEXT) | instid1(VALU_DEP_1)
	v_cndmask_b32_e64 v1, 0, 1, s1
	v_cndmask_b32_e64 v1, v1, v11, s0
	s_delay_alu instid0(VALU_DEP_1)
	v_and_b32_e32 v1, 1, v1
.LBB271_10:
	s_or_b32 exec_lo, exec_lo, s3
	s_delay_alu instid0(SALU_CYCLE_1)
	s_mov_b32 s3, exec_lo
	v_cmpx_gt_i32_e64 s2, v2
	s_cbranch_execz .LBB271_12
; %bb.11:
	s_wait_loadcnt 0x0
	v_dual_lshlrev_b32 v9, 24, v9 :: v_dual_lshlrev_b32 v8, 24, v8
	s_delay_alu instid0(VALU_DEP_1) | instskip(NEXT) | instid1(VALU_DEP_2)
	v_and_b32_e32 v10, 0x7f000000, v9
	v_and_b32_e32 v11, 0x7f000000, v8
	s_delay_alu instid0(VALU_DEP_2) | instskip(NEXT) | instid1(VALU_DEP_2)
	v_clz_i32_u32_e32 v12, v10
	v_clz_i32_u32_e32 v13, v11
	v_add_nc_u32_e32 v16, 0x1000000, v10
	v_cmp_ne_u32_e64 s1, 0, v10
	s_delay_alu instid0(VALU_DEP_4) | instskip(NEXT) | instid1(VALU_DEP_4)
	v_min_u32_e32 v12, 32, v12
	v_min_u32_e32 v13, 32, v13
	s_delay_alu instid0(VALU_DEP_2) | instskip(NEXT) | instid1(VALU_DEP_2)
	v_sub_nc_u32_e64 v12, v12, 4 clamp
	v_sub_nc_u32_e64 v13, v13, 4 clamp
	s_delay_alu instid0(VALU_DEP_1) | instskip(SKIP_1) | instid1(VALU_DEP_2)
	v_dual_lshlrev_b32 v14, v12, v10 :: v_dual_lshlrev_b32 v15, v13, v11
	v_dual_lshlrev_b32 v12, 23, v12 :: v_dual_lshlrev_b32 v13, 23, v13
	v_dual_lshrrev_b32 v14, 4, v14 :: v_dual_lshrrev_b32 v15, 4, v15
	s_delay_alu instid0(VALU_DEP_1) | instskip(SKIP_2) | instid1(VALU_DEP_3)
	v_dual_sub_nc_u32 v12, v14, v12 :: v_dual_sub_nc_u32 v13, v15, v13
	v_add_nc_u32_e32 v14, 0x1000000, v11
	v_ashrrev_i32_e32 v15, 8, v16
	v_add_nc_u32_e32 v12, 0x3c000000, v12
	s_delay_alu instid0(VALU_DEP_4) | instskip(NEXT) | instid1(VALU_DEP_4)
	v_add_nc_u32_e32 v13, 0x3c000000, v13
	v_ashrrev_i32_e32 v14, 8, v14
	s_delay_alu instid0(VALU_DEP_3) | instskip(NEXT) | instid1(VALU_DEP_2)
	v_and_or_b32 v12, 0x7f800000, v15, v12
	v_and_or_b32 v13, 0x7f800000, v14, v13
	s_delay_alu instid0(VALU_DEP_2) | instskip(SKIP_1) | instid1(VALU_DEP_1)
	v_cndmask_b32_e64 v10, 0, v12, s1
	v_cmp_ne_u32_e64 s1, 0, v11
	v_cndmask_b32_e64 v11, 0, v13, s1
	s_delay_alu instid0(VALU_DEP_3) | instskip(NEXT) | instid1(VALU_DEP_2)
	v_and_or_b32 v9, 0x80000000, v9, v10
	v_and_or_b32 v8, 0x80000000, v8, v11
	s_delay_alu instid0(VALU_DEP_1) | instskip(NEXT) | instid1(VALU_DEP_1)
	v_cmp_eq_f32_e64 s1, v9, v8
	v_cndmask_b32_e64 v10, 0, 1, s1
	v_cmp_neq_f32_e64 s1, v9, v8
	s_delay_alu instid0(VALU_DEP_1) | instskip(NEXT) | instid1(VALU_DEP_1)
	v_cndmask_b32_e64 v8, 0, 1, s1
	v_cndmask_b32_e64 v8, v8, v10, s0
	s_delay_alu instid0(VALU_DEP_1) | instskip(NEXT) | instid1(VALU_DEP_1)
	v_and_b32_e32 v8, 1, v8
	v_lshlrev_b16 v8, 8, v8
	s_delay_alu instid0(VALU_DEP_1) | instskip(NEXT) | instid1(VALU_DEP_1)
	v_or_b32_e32 v1, v1, v8
	v_and_b32_e32 v1, 0xffff, v1
.LBB271_12:
	s_or_b32 exec_lo, exec_lo, s3
	s_wait_loadcnt 0x0
	v_or_b32_e32 v8, 0x200, v0
	s_mov_b32 s3, exec_lo
	s_delay_alu instid0(VALU_DEP_1)
	v_cmpx_gt_i32_e64 s2, v8
	s_cbranch_execz .LBB271_14
; %bb.13:
	v_dual_lshlrev_b32 v7, 24, v7 :: v_dual_lshlrev_b32 v6, 24, v6
	s_delay_alu instid0(VALU_DEP_1) | instskip(NEXT) | instid1(VALU_DEP_2)
	v_and_b32_e32 v8, 0x7f000000, v7
	v_and_b32_e32 v9, 0x7f000000, v6
	s_delay_alu instid0(VALU_DEP_2) | instskip(NEXT) | instid1(VALU_DEP_2)
	v_clz_i32_u32_e32 v10, v8
	v_clz_i32_u32_e32 v11, v9
	v_add_nc_u32_e32 v14, 0x1000000, v8
	v_cmp_ne_u32_e64 s1, 0, v8
	s_delay_alu instid0(VALU_DEP_4) | instskip(NEXT) | instid1(VALU_DEP_4)
	v_min_u32_e32 v10, 32, v10
	v_min_u32_e32 v11, 32, v11
	s_delay_alu instid0(VALU_DEP_2) | instskip(NEXT) | instid1(VALU_DEP_2)
	v_sub_nc_u32_e64 v10, v10, 4 clamp
	v_sub_nc_u32_e64 v11, v11, 4 clamp
	s_delay_alu instid0(VALU_DEP_1) | instskip(SKIP_1) | instid1(VALU_DEP_2)
	v_dual_lshlrev_b32 v12, v10, v8 :: v_dual_lshlrev_b32 v13, v11, v9
	v_dual_lshlrev_b32 v10, 23, v10 :: v_dual_lshlrev_b32 v11, 23, v11
	v_dual_lshrrev_b32 v12, 4, v12 :: v_dual_lshrrev_b32 v13, 4, v13
	s_delay_alu instid0(VALU_DEP_1) | instskip(SKIP_2) | instid1(VALU_DEP_3)
	v_dual_sub_nc_u32 v10, v12, v10 :: v_dual_sub_nc_u32 v11, v13, v11
	v_add_nc_u32_e32 v12, 0x1000000, v9
	v_ashrrev_i32_e32 v13, 8, v14
	v_add_nc_u32_e32 v10, 0x3c000000, v10
	s_delay_alu instid0(VALU_DEP_4) | instskip(NEXT) | instid1(VALU_DEP_4)
	v_add_nc_u32_e32 v11, 0x3c000000, v11
	v_ashrrev_i32_e32 v12, 8, v12
	s_delay_alu instid0(VALU_DEP_3) | instskip(NEXT) | instid1(VALU_DEP_2)
	v_and_or_b32 v10, 0x7f800000, v13, v10
	v_and_or_b32 v11, 0x7f800000, v12, v11
	s_delay_alu instid0(VALU_DEP_2) | instskip(SKIP_1) | instid1(VALU_DEP_1)
	v_cndmask_b32_e64 v8, 0, v10, s1
	v_cmp_ne_u32_e64 s1, 0, v9
	v_cndmask_b32_e64 v9, 0, v11, s1
	s_delay_alu instid0(VALU_DEP_3) | instskip(NEXT) | instid1(VALU_DEP_2)
	v_and_or_b32 v7, 0x80000000, v7, v8
	v_and_or_b32 v6, 0x80000000, v6, v9
	s_delay_alu instid0(VALU_DEP_1) | instskip(NEXT) | instid1(VALU_DEP_1)
	v_cmp_eq_f32_e64 s1, v7, v6
	v_cndmask_b32_e64 v8, 0, 1, s1
	v_cmp_neq_f32_e64 s1, v7, v6
	s_delay_alu instid0(VALU_DEP_1) | instskip(NEXT) | instid1(VALU_DEP_1)
	v_cndmask_b32_e64 v6, 0, 1, s1
	v_cndmask_b32_e64 v6, v6, v8, s0
	s_delay_alu instid0(VALU_DEP_1) | instskip(NEXT) | instid1(VALU_DEP_1)
	v_and_b32_e32 v6, 1, v6
	v_lshl_or_b32 v1, v6, 16, v1
.LBB271_14:
	s_or_b32 exec_lo, exec_lo, s3
	v_or_b32_e32 v6, 0x300, v0
	s_mov_b32 s3, exec_lo
	s_delay_alu instid0(VALU_DEP_1)
	v_cmpx_gt_i32_e64 s2, v6
	s_cbranch_execnz .LBB271_20
; %bb.15:
	s_or_b32 exec_lo, exec_lo, s3
	s_and_saveexec_b32 s0, vcc_lo
	s_delay_alu instid0(SALU_CYCLE_1)
	s_xor_b32 s0, exec_lo, s0
	s_cbranch_execnz .LBB271_21
.LBB271_16:
	s_or_b32 exec_lo, exec_lo, s0
	s_delay_alu instid0(SALU_CYCLE_1)
	s_mov_b32 s0, exec_lo
	v_cmpx_gt_i32_e64 s2, v0
	s_cbranch_execnz .LBB271_22
.LBB271_17:
	s_or_b32 exec_lo, exec_lo, s0
	s_delay_alu instid0(SALU_CYCLE_1)
	s_mov_b32 s0, exec_lo
	v_cmpx_gt_i32_e64 s2, v0
	s_cbranch_execnz .LBB271_23
.LBB271_18:
	s_or_b32 exec_lo, exec_lo, s0
	s_delay_alu instid0(SALU_CYCLE_1)
	s_mov_b32 s0, exec_lo
	v_cmpx_gt_i32_e64 s2, v0
	s_cbranch_execnz .LBB271_24
.LBB271_19:
	s_endpgm
.LBB271_20:
	v_and_b32_e32 v6, 0x7f000000, v5
	v_and_b32_e32 v7, 0x7f000000, v4
	s_delay_alu instid0(VALU_DEP_2) | instskip(NEXT) | instid1(VALU_DEP_2)
	v_clz_i32_u32_e32 v8, v6
	v_clz_i32_u32_e32 v9, v7
	v_add_nc_u32_e32 v12, 0x1000000, v6
	v_cmp_ne_u32_e64 s1, 0, v6
	s_delay_alu instid0(VALU_DEP_4) | instskip(NEXT) | instid1(VALU_DEP_4)
	v_min_u32_e32 v8, 32, v8
	v_min_u32_e32 v9, 32, v9
	s_delay_alu instid0(VALU_DEP_2) | instskip(NEXT) | instid1(VALU_DEP_2)
	v_sub_nc_u32_e64 v8, v8, 4 clamp
	v_sub_nc_u32_e64 v9, v9, 4 clamp
	s_delay_alu instid0(VALU_DEP_1) | instskip(SKIP_1) | instid1(VALU_DEP_2)
	v_dual_lshlrev_b32 v10, v8, v6 :: v_dual_lshlrev_b32 v11, v9, v7
	v_dual_lshlrev_b32 v8, 23, v8 :: v_dual_lshlrev_b32 v9, 23, v9
	v_dual_lshrrev_b32 v10, 4, v10 :: v_dual_lshrrev_b32 v11, 4, v11
	s_delay_alu instid0(VALU_DEP_1) | instskip(SKIP_2) | instid1(VALU_DEP_3)
	v_dual_sub_nc_u32 v8, v10, v8 :: v_dual_sub_nc_u32 v9, v11, v9
	v_add_nc_u32_e32 v10, 0x1000000, v7
	v_ashrrev_i32_e32 v11, 8, v12
	v_add_nc_u32_e32 v8, 0x3c000000, v8
	s_delay_alu instid0(VALU_DEP_4) | instskip(NEXT) | instid1(VALU_DEP_4)
	v_add_nc_u32_e32 v9, 0x3c000000, v9
	v_ashrrev_i32_e32 v10, 8, v10
	s_delay_alu instid0(VALU_DEP_3) | instskip(NEXT) | instid1(VALU_DEP_2)
	v_and_or_b32 v8, 0x7f800000, v11, v8
	v_and_or_b32 v9, 0x7f800000, v10, v9
	s_delay_alu instid0(VALU_DEP_2) | instskip(SKIP_1) | instid1(VALU_DEP_1)
	v_cndmask_b32_e64 v6, 0, v8, s1
	v_cmp_ne_u32_e64 s1, 0, v7
	v_cndmask_b32_e64 v7, 0, v9, s1
	s_delay_alu instid0(VALU_DEP_3) | instskip(NEXT) | instid1(VALU_DEP_2)
	v_and_or_b32 v5, 0x80000000, v5, v6
	v_and_or_b32 v4, 0x80000000, v4, v7
	s_delay_alu instid0(VALU_DEP_1) | instskip(NEXT) | instid1(VALU_DEP_1)
	v_cmp_eq_f32_e64 s1, v5, v4
	v_cndmask_b32_e64 v6, 0, 1, s1
	v_cmp_neq_f32_e64 s1, v5, v4
	v_lshrrev_b32_e32 v5, 16, v1
	s_delay_alu instid0(VALU_DEP_2) | instskip(NEXT) | instid1(VALU_DEP_1)
	v_cndmask_b32_e64 v4, 0, 1, s1
	v_cndmask_b32_e64 v4, v4, v6, s0
	s_delay_alu instid0(VALU_DEP_1) | instskip(NEXT) | instid1(VALU_DEP_1)
	v_and_b32_e32 v4, 1, v4
	v_lshlrev_b16 v4, 8, v4
	s_delay_alu instid0(VALU_DEP_1) | instskip(NEXT) | instid1(VALU_DEP_1)
	v_or_b32_e32 v4, v5, v4
	v_lshlrev_b32_e32 v4, 16, v4
	s_delay_alu instid0(VALU_DEP_1) | instskip(SKIP_2) | instid1(SALU_CYCLE_1)
	v_and_or_b32 v1, 0xffff, v1, v4
	s_or_b32 exec_lo, exec_lo, s3
	s_and_saveexec_b32 s0, vcc_lo
	s_xor_b32 s0, exec_lo, s0
	s_cbranch_execz .LBB271_16
.LBB271_21:
	v_mov_b32_e32 v0, v2
	global_store_b8 v3, v1, s[4:5]
	s_wait_xcnt 0x0
	s_or_b32 exec_lo, exec_lo, s0
	s_delay_alu instid0(SALU_CYCLE_1)
	s_mov_b32 s0, exec_lo
	v_cmpx_gt_i32_e64 s2, v0
	s_cbranch_execz .LBB271_17
.LBB271_22:
	v_add_nc_u32_e32 v2, 0x100, v0
	v_dual_add_nc_u32 v3, s10, v0 :: v_dual_lshrrev_b32 v4, 8, v1
	s_delay_alu instid0(VALU_DEP_2) | instskip(SKIP_3) | instid1(SALU_CYCLE_1)
	v_mov_b32_e32 v0, v2
	global_store_b8 v3, v4, s[4:5]
	s_wait_xcnt 0x0
	s_or_b32 exec_lo, exec_lo, s0
	s_mov_b32 s0, exec_lo
	v_cmpx_gt_i32_e64 s2, v0
	s_cbranch_execz .LBB271_18
.LBB271_23:
	v_add_nc_u32_e32 v2, 0x100, v0
	s_delay_alu instid0(VALU_DEP_1) | instskip(SKIP_3) | instid1(SALU_CYCLE_1)
	v_dual_mov_b32 v0, v2 :: v_dual_add_nc_u32 v3, s10, v0
	global_store_d16_hi_b8 v3, v1, s[4:5]
	s_wait_xcnt 0x0
	s_or_b32 exec_lo, exec_lo, s0
	s_mov_b32 s0, exec_lo
	v_cmpx_gt_i32_e64 s2, v0
	s_cbranch_execz .LBB271_19
.LBB271_24:
	v_dual_add_nc_u32 v0, s10, v0 :: v_dual_lshrrev_b32 v1, 24, v1
	global_store_b8 v0, v1, s[4:5]
	s_endpgm
	.section	.rodata,"a",@progbits
	.p2align	6, 0x0
	.amdhsa_kernel _ZN2at6native27unrolled_elementwise_kernelINS0_13BinaryFunctorIN3c1013Float8_e4m3fnES4_bNS0_12_GLOBAL__N_116CompareEqFunctorIS4_EEEESt5arrayIPcLm3EELi4E23TrivialOffsetCalculatorILi2EjESC_ILi1EjENS0_6memory15LoadWithoutCastENSF_16StoreWithoutCastEEEviT_T0_T2_T3_T4_T5_
		.amdhsa_group_segment_fixed_size 0
		.amdhsa_private_segment_fixed_size 0
		.amdhsa_kernarg_size 36
		.amdhsa_user_sgpr_count 2
		.amdhsa_user_sgpr_dispatch_ptr 0
		.amdhsa_user_sgpr_queue_ptr 0
		.amdhsa_user_sgpr_kernarg_segment_ptr 1
		.amdhsa_user_sgpr_dispatch_id 0
		.amdhsa_user_sgpr_kernarg_preload_length 0
		.amdhsa_user_sgpr_kernarg_preload_offset 0
		.amdhsa_user_sgpr_private_segment_size 0
		.amdhsa_wavefront_size32 1
		.amdhsa_uses_dynamic_stack 0
		.amdhsa_enable_private_segment 0
		.amdhsa_system_sgpr_workgroup_id_x 1
		.amdhsa_system_sgpr_workgroup_id_y 0
		.amdhsa_system_sgpr_workgroup_id_z 0
		.amdhsa_system_sgpr_workgroup_info 0
		.amdhsa_system_vgpr_workitem_id 0
		.amdhsa_next_free_vgpr 18
		.amdhsa_next_free_sgpr 14
		.amdhsa_named_barrier_count 0
		.amdhsa_reserve_vcc 1
		.amdhsa_float_round_mode_32 0
		.amdhsa_float_round_mode_16_64 0
		.amdhsa_float_denorm_mode_32 3
		.amdhsa_float_denorm_mode_16_64 3
		.amdhsa_fp16_overflow 0
		.amdhsa_memory_ordered 1
		.amdhsa_forward_progress 1
		.amdhsa_inst_pref_size 18
		.amdhsa_round_robin_scheduling 0
		.amdhsa_exception_fp_ieee_invalid_op 0
		.amdhsa_exception_fp_denorm_src 0
		.amdhsa_exception_fp_ieee_div_zero 0
		.amdhsa_exception_fp_ieee_overflow 0
		.amdhsa_exception_fp_ieee_underflow 0
		.amdhsa_exception_fp_ieee_inexact 0
		.amdhsa_exception_int_div_zero 0
	.end_amdhsa_kernel
	.section	.text._ZN2at6native27unrolled_elementwise_kernelINS0_13BinaryFunctorIN3c1013Float8_e4m3fnES4_bNS0_12_GLOBAL__N_116CompareEqFunctorIS4_EEEESt5arrayIPcLm3EELi4E23TrivialOffsetCalculatorILi2EjESC_ILi1EjENS0_6memory15LoadWithoutCastENSF_16StoreWithoutCastEEEviT_T0_T2_T3_T4_T5_,"axG",@progbits,_ZN2at6native27unrolled_elementwise_kernelINS0_13BinaryFunctorIN3c1013Float8_e4m3fnES4_bNS0_12_GLOBAL__N_116CompareEqFunctorIS4_EEEESt5arrayIPcLm3EELi4E23TrivialOffsetCalculatorILi2EjESC_ILi1EjENS0_6memory15LoadWithoutCastENSF_16StoreWithoutCastEEEviT_T0_T2_T3_T4_T5_,comdat
.Lfunc_end271:
	.size	_ZN2at6native27unrolled_elementwise_kernelINS0_13BinaryFunctorIN3c1013Float8_e4m3fnES4_bNS0_12_GLOBAL__N_116CompareEqFunctorIS4_EEEESt5arrayIPcLm3EELi4E23TrivialOffsetCalculatorILi2EjESC_ILi1EjENS0_6memory15LoadWithoutCastENSF_16StoreWithoutCastEEEviT_T0_T2_T3_T4_T5_, .Lfunc_end271-_ZN2at6native27unrolled_elementwise_kernelINS0_13BinaryFunctorIN3c1013Float8_e4m3fnES4_bNS0_12_GLOBAL__N_116CompareEqFunctorIS4_EEEESt5arrayIPcLm3EELi4E23TrivialOffsetCalculatorILi2EjESC_ILi1EjENS0_6memory15LoadWithoutCastENSF_16StoreWithoutCastEEEviT_T0_T2_T3_T4_T5_
                                        ; -- End function
	.set _ZN2at6native27unrolled_elementwise_kernelINS0_13BinaryFunctorIN3c1013Float8_e4m3fnES4_bNS0_12_GLOBAL__N_116CompareEqFunctorIS4_EEEESt5arrayIPcLm3EELi4E23TrivialOffsetCalculatorILi2EjESC_ILi1EjENS0_6memory15LoadWithoutCastENSF_16StoreWithoutCastEEEviT_T0_T2_T3_T4_T5_.num_vgpr, 18
	.set _ZN2at6native27unrolled_elementwise_kernelINS0_13BinaryFunctorIN3c1013Float8_e4m3fnES4_bNS0_12_GLOBAL__N_116CompareEqFunctorIS4_EEEESt5arrayIPcLm3EELi4E23TrivialOffsetCalculatorILi2EjESC_ILi1EjENS0_6memory15LoadWithoutCastENSF_16StoreWithoutCastEEEviT_T0_T2_T3_T4_T5_.num_agpr, 0
	.set _ZN2at6native27unrolled_elementwise_kernelINS0_13BinaryFunctorIN3c1013Float8_e4m3fnES4_bNS0_12_GLOBAL__N_116CompareEqFunctorIS4_EEEESt5arrayIPcLm3EELi4E23TrivialOffsetCalculatorILi2EjESC_ILi1EjENS0_6memory15LoadWithoutCastENSF_16StoreWithoutCastEEEviT_T0_T2_T3_T4_T5_.numbered_sgpr, 14
	.set _ZN2at6native27unrolled_elementwise_kernelINS0_13BinaryFunctorIN3c1013Float8_e4m3fnES4_bNS0_12_GLOBAL__N_116CompareEqFunctorIS4_EEEESt5arrayIPcLm3EELi4E23TrivialOffsetCalculatorILi2EjESC_ILi1EjENS0_6memory15LoadWithoutCastENSF_16StoreWithoutCastEEEviT_T0_T2_T3_T4_T5_.num_named_barrier, 0
	.set _ZN2at6native27unrolled_elementwise_kernelINS0_13BinaryFunctorIN3c1013Float8_e4m3fnES4_bNS0_12_GLOBAL__N_116CompareEqFunctorIS4_EEEESt5arrayIPcLm3EELi4E23TrivialOffsetCalculatorILi2EjESC_ILi1EjENS0_6memory15LoadWithoutCastENSF_16StoreWithoutCastEEEviT_T0_T2_T3_T4_T5_.private_seg_size, 0
	.set _ZN2at6native27unrolled_elementwise_kernelINS0_13BinaryFunctorIN3c1013Float8_e4m3fnES4_bNS0_12_GLOBAL__N_116CompareEqFunctorIS4_EEEESt5arrayIPcLm3EELi4E23TrivialOffsetCalculatorILi2EjESC_ILi1EjENS0_6memory15LoadWithoutCastENSF_16StoreWithoutCastEEEviT_T0_T2_T3_T4_T5_.uses_vcc, 1
	.set _ZN2at6native27unrolled_elementwise_kernelINS0_13BinaryFunctorIN3c1013Float8_e4m3fnES4_bNS0_12_GLOBAL__N_116CompareEqFunctorIS4_EEEESt5arrayIPcLm3EELi4E23TrivialOffsetCalculatorILi2EjESC_ILi1EjENS0_6memory15LoadWithoutCastENSF_16StoreWithoutCastEEEviT_T0_T2_T3_T4_T5_.uses_flat_scratch, 0
	.set _ZN2at6native27unrolled_elementwise_kernelINS0_13BinaryFunctorIN3c1013Float8_e4m3fnES4_bNS0_12_GLOBAL__N_116CompareEqFunctorIS4_EEEESt5arrayIPcLm3EELi4E23TrivialOffsetCalculatorILi2EjESC_ILi1EjENS0_6memory15LoadWithoutCastENSF_16StoreWithoutCastEEEviT_T0_T2_T3_T4_T5_.has_dyn_sized_stack, 0
	.set _ZN2at6native27unrolled_elementwise_kernelINS0_13BinaryFunctorIN3c1013Float8_e4m3fnES4_bNS0_12_GLOBAL__N_116CompareEqFunctorIS4_EEEESt5arrayIPcLm3EELi4E23TrivialOffsetCalculatorILi2EjESC_ILi1EjENS0_6memory15LoadWithoutCastENSF_16StoreWithoutCastEEEviT_T0_T2_T3_T4_T5_.has_recursion, 0
	.set _ZN2at6native27unrolled_elementwise_kernelINS0_13BinaryFunctorIN3c1013Float8_e4m3fnES4_bNS0_12_GLOBAL__N_116CompareEqFunctorIS4_EEEESt5arrayIPcLm3EELi4E23TrivialOffsetCalculatorILi2EjESC_ILi1EjENS0_6memory15LoadWithoutCastENSF_16StoreWithoutCastEEEviT_T0_T2_T3_T4_T5_.has_indirect_call, 0
	.section	.AMDGPU.csdata,"",@progbits
; Kernel info:
; codeLenInByte = 2232
; TotalNumSgprs: 16
; NumVgprs: 18
; ScratchSize: 0
; MemoryBound: 0
; FloatMode: 240
; IeeeMode: 1
; LDSByteSize: 0 bytes/workgroup (compile time only)
; SGPRBlocks: 0
; VGPRBlocks: 1
; NumSGPRsForWavesPerEU: 16
; NumVGPRsForWavesPerEU: 18
; NamedBarCnt: 0
; Occupancy: 16
; WaveLimiterHint : 0
; COMPUTE_PGM_RSRC2:SCRATCH_EN: 0
; COMPUTE_PGM_RSRC2:USER_SGPR: 2
; COMPUTE_PGM_RSRC2:TRAP_HANDLER: 0
; COMPUTE_PGM_RSRC2:TGID_X_EN: 1
; COMPUTE_PGM_RSRC2:TGID_Y_EN: 0
; COMPUTE_PGM_RSRC2:TGID_Z_EN: 0
; COMPUTE_PGM_RSRC2:TIDIG_COMP_CNT: 0
	.section	.text._ZN2at6native32elementwise_kernel_manual_unrollILi128ELi8EZNS0_22gpu_kernel_impl_nocastINS0_13BinaryFunctorIN3c1013Float8_e4m3fnES5_bNS0_12_GLOBAL__N_116CompareEqFunctorIS5_EEEEEEvRNS_18TensorIteratorBaseERKT_EUlibE_EEviT1_,"axG",@progbits,_ZN2at6native32elementwise_kernel_manual_unrollILi128ELi8EZNS0_22gpu_kernel_impl_nocastINS0_13BinaryFunctorIN3c1013Float8_e4m3fnES5_bNS0_12_GLOBAL__N_116CompareEqFunctorIS5_EEEEEEvRNS_18TensorIteratorBaseERKT_EUlibE_EEviT1_,comdat
	.globl	_ZN2at6native32elementwise_kernel_manual_unrollILi128ELi8EZNS0_22gpu_kernel_impl_nocastINS0_13BinaryFunctorIN3c1013Float8_e4m3fnES5_bNS0_12_GLOBAL__N_116CompareEqFunctorIS5_EEEEEEvRNS_18TensorIteratorBaseERKT_EUlibE_EEviT1_ ; -- Begin function _ZN2at6native32elementwise_kernel_manual_unrollILi128ELi8EZNS0_22gpu_kernel_impl_nocastINS0_13BinaryFunctorIN3c1013Float8_e4m3fnES5_bNS0_12_GLOBAL__N_116CompareEqFunctorIS5_EEEEEEvRNS_18TensorIteratorBaseERKT_EUlibE_EEviT1_
	.p2align	8
	.type	_ZN2at6native32elementwise_kernel_manual_unrollILi128ELi8EZNS0_22gpu_kernel_impl_nocastINS0_13BinaryFunctorIN3c1013Float8_e4m3fnES5_bNS0_12_GLOBAL__N_116CompareEqFunctorIS5_EEEEEEvRNS_18TensorIteratorBaseERKT_EUlibE_EEviT1_,@function
_ZN2at6native32elementwise_kernel_manual_unrollILi128ELi8EZNS0_22gpu_kernel_impl_nocastINS0_13BinaryFunctorIN3c1013Float8_e4m3fnES5_bNS0_12_GLOBAL__N_116CompareEqFunctorIS5_EEEEEEvRNS_18TensorIteratorBaseERKT_EUlibE_EEviT1_: ; @_ZN2at6native32elementwise_kernel_manual_unrollILi128ELi8EZNS0_22gpu_kernel_impl_nocastINS0_13BinaryFunctorIN3c1013Float8_e4m3fnES5_bNS0_12_GLOBAL__N_116CompareEqFunctorIS5_EEEEEEvRNS_18TensorIteratorBaseERKT_EUlibE_EEviT1_
; %bb.0:
	s_clause 0x1
	s_load_b32 s26, s[0:1], 0x8
	s_load_b32 s33, s[0:1], 0x0
	s_bfe_u32 s2, ttmp6, 0x4000c
	s_and_b32 s3, ttmp6, 15
	s_add_co_i32 s2, s2, 1
	s_getreg_b32 s4, hwreg(HW_REG_IB_STS2, 6, 4)
	s_mul_i32 s2, ttmp9, s2
	s_add_nc_u64 s[20:21], s[0:1], 8
	s_add_co_i32 s3, s3, s2
	s_cmp_eq_u32 s4, 0
	s_wait_xcnt 0x0
	s_mov_b32 s0, exec_lo
	s_cselect_b32 s2, ttmp9, s3
	s_mov_b32 s3, 0
	v_lshl_or_b32 v0, s2, 10, v0
	s_delay_alu instid0(VALU_DEP_1) | instskip(SKIP_2) | instid1(SALU_CYCLE_1)
	v_or_b32_e32 v9, 0x380, v0
	s_wait_kmcnt 0x0
	s_add_co_i32 s27, s26, -1
	s_cmp_gt_u32 s27, 1
	s_cselect_b32 s28, -1, 0
	v_cmpx_le_i32_e64 s33, v9
	s_xor_b32 s29, exec_lo, s0
	s_cbranch_execz .LBB272_106
; %bb.1:
	s_clause 0x5
	s_load_b128 s[8:11], s[20:21], 0x4
	s_load_b64 s[0:1], s[20:21], 0x14
	s_load_b96 s[16:18], s[20:21], 0x198
	s_load_b128 s[12:15], s[20:21], 0xc4
	s_load_b64 s[22:23], s[20:21], 0xd4
	s_load_b128 s[4:7], s[20:21], 0x188
	s_cmp_lg_u32 s26, 0
	s_mov_b32 s25, s3
	s_cselect_b32 s34, -1, 0
	s_min_u32 s31, s27, 15
	s_cmp_gt_u32 s26, 1
	s_cselect_b32 s30, -1, 0
	s_wait_kmcnt 0x0
	s_mov_b32 s2, s9
	s_mov_b32 s24, s0
	s_cmp_eq_u32 s18, 0
	s_mov_b32 s9, exec_lo
	s_cselect_b32 s0, -1, 0
	v_cmpx_gt_i32_e64 s33, v0
	s_cbranch_execnz .LBB272_9
; %bb.2:
	s_or_b32 exec_lo, exec_lo, s9
	s_delay_alu instid0(SALU_CYCLE_1)
	s_mov_b32 s9, exec_lo
	v_cmpx_gt_i32_e64 s33, v0
	s_cbranch_execnz .LBB272_21
.LBB272_3:
	s_or_b32 exec_lo, exec_lo, s9
	s_delay_alu instid0(SALU_CYCLE_1)
	s_mov_b32 s9, exec_lo
	v_cmpx_gt_i32_e64 s33, v0
	s_cbranch_execnz .LBB272_33
.LBB272_4:
	s_or_b32 exec_lo, exec_lo, s9
	s_delay_alu instid0(SALU_CYCLE_1)
	s_mov_b32 s9, exec_lo
	v_cmpx_gt_i32_e64 s33, v0
	s_cbranch_execnz .LBB272_45
.LBB272_5:
	s_or_b32 exec_lo, exec_lo, s9
	s_delay_alu instid0(SALU_CYCLE_1)
	s_mov_b32 s9, exec_lo
	v_cmpx_gt_i32_e64 s33, v0
	s_cbranch_execnz .LBB272_57
.LBB272_6:
	s_or_b32 exec_lo, exec_lo, s9
	s_delay_alu instid0(SALU_CYCLE_1)
	s_mov_b32 s9, exec_lo
	v_cmpx_gt_i32_e64 s33, v0
	s_cbranch_execnz .LBB272_69
.LBB272_7:
	s_or_b32 exec_lo, exec_lo, s9
	s_delay_alu instid0(SALU_CYCLE_1)
	s_mov_b32 s9, exec_lo
	v_cmpx_gt_i32_e64 s33, v0
	s_cbranch_execnz .LBB272_81
.LBB272_8:
	s_or_b32 exec_lo, exec_lo, s9
	s_delay_alu instid0(SALU_CYCLE_1)
	s_mov_b32 s9, exec_lo
	v_cmpx_gt_i32_e64 s33, v0
	s_cbranch_execnz .LBB272_93
	s_branch .LBB272_105
.LBB272_9:
	s_and_not1_b32 vcc_lo, exec_lo, s28
	s_cbranch_vccnz .LBB272_15
; %bb.10:
	s_and_not1_b32 vcc_lo, exec_lo, s34
	s_cbranch_vccnz .LBB272_16
; %bb.11:
	v_dual_mov_b32 v4, 0 :: v_dual_mov_b32 v1, v0
	v_dual_mov_b32 v6, 0 :: v_dual_mov_b32 v5, 0
	s_add_co_i32 s35, s31, 1
	s_mov_b64 s[18:19], 0xffffffffffffffe8
	s_and_b32 s35, s35, 30
	s_add_nc_u64 s[18:19], s[20:21], s[18:19]
.LBB272_12:                             ; =>This Inner Loop Header: Depth=1
	s_clause 0x1
	s_load_b128 s[36:39], s[18:19], 0x1c
	s_load_b64 s[44:45], s[18:19], 0x2c
	s_add_co_i32 s35, s35, -2
	s_delay_alu instid0(SALU_CYCLE_1) | instskip(SKIP_2) | instid1(VALU_DEP_1)
	s_cmp_lg_u32 s35, 0
	s_wait_kmcnt 0x0
	v_mul_hi_u32 v2, s37, v1
	v_add_nc_u32_e32 v2, v1, v2
	s_delay_alu instid0(VALU_DEP_1) | instskip(NEXT) | instid1(VALU_DEP_1)
	v_lshrrev_b32_e32 v2, s38, v2
	v_mul_hi_u32 v3, s44, v2
	v_mul_lo_u32 v7, v2, s36
	s_clause 0x1
	s_load_b128 s[40:43], s[18:19], 0xdc
	s_load_b64 s[36:37], s[18:19], 0xec
	s_wait_xcnt 0x0
	s_add_nc_u64 s[18:19], s[18:19], 24
	s_delay_alu instid0(VALU_DEP_2) | instskip(NEXT) | instid1(VALU_DEP_2)
	v_add_nc_u32_e32 v3, v2, v3
	v_sub_nc_u32_e32 v7, v1, v7
	s_delay_alu instid0(VALU_DEP_2) | instskip(SKIP_1) | instid1(VALU_DEP_2)
	v_lshrrev_b32_e32 v1, s45, v3
	s_wait_kmcnt 0x0
	v_mad_u32 v4, v7, s40, v4
	s_delay_alu instid0(VALU_DEP_2) | instskip(SKIP_2) | instid1(VALU_DEP_3)
	v_mul_lo_u32 v3, v1, s39
	v_mad_u32 v5, v7, s42, v5
	v_mad_u32 v6, v7, s41, v6
	v_sub_nc_u32_e32 v2, v2, v3
	s_delay_alu instid0(VALU_DEP_1) | instskip(NEXT) | instid1(VALU_DEP_4)
	v_mad_u32 v4, v2, s43, v4
	v_mad_u32 v5, v2, s37, v5
	s_delay_alu instid0(VALU_DEP_4)
	v_mad_u32 v6, v2, s36, v6
	s_cbranch_scc1 .LBB272_12
; %bb.13:
	s_bitcmp1_b32 s31, 0
	s_cselect_b32 s35, -1, 0
	s_delay_alu instid0(SALU_CYCLE_1)
	s_and_b32 vcc_lo, exec_lo, s35
	s_cbranch_vccnz .LBB272_17
; %bb.14:
	s_clause 0x1
	s_load_b96 s[36:38], s[18:19], 0x1c
	s_load_b96 s[40:42], s[18:19], 0xdc
	s_wait_xcnt 0x0
	s_wait_kmcnt 0x0
	v_mul_hi_u32 v2, s37, v1
	s_delay_alu instid0(VALU_DEP_1) | instskip(NEXT) | instid1(VALU_DEP_1)
	v_add_nc_u32_e32 v2, v1, v2
	v_lshrrev_b32_e32 v2, s38, v2
	s_delay_alu instid0(VALU_DEP_1) | instskip(NEXT) | instid1(VALU_DEP_1)
	v_mul_lo_u32 v2, v2, s36
	v_sub_nc_u32_e32 v1, v1, v2
	s_delay_alu instid0(VALU_DEP_1)
	v_mad_u32 v4, v1, s40, v4
	v_mad_u32 v6, v1, s41, v6
	;; [unrolled: 1-line block ×3, first 2 shown]
	s_cbranch_execz .LBB272_18
	s_branch .LBB272_20
.LBB272_15:
                                        ; implicit-def: $vgpr5
                                        ; implicit-def: $vgpr6
                                        ; implicit-def: $vgpr4
	s_branch .LBB272_18
.LBB272_16:
	v_dual_mov_b32 v5, 0 :: v_dual_mov_b32 v6, 0
	v_mov_b32_e32 v4, 0
.LBB272_17:
	s_cbranch_execnz .LBB272_20
.LBB272_18:
	v_mov_b32_e32 v1, 0
	s_and_not1_b32 vcc_lo, exec_lo, s30
	s_delay_alu instid0(VALU_DEP_1) | instskip(NEXT) | instid1(VALU_DEP_1)
	v_mul_u64_e32 v[2:3], s[2:3], v[0:1]
	v_add_nc_u32_e32 v2, v0, v3
	s_delay_alu instid0(VALU_DEP_1) | instskip(NEXT) | instid1(VALU_DEP_1)
	v_lshrrev_b32_e32 v2, s10, v2
	v_mul_lo_u32 v3, v2, s8
	s_delay_alu instid0(VALU_DEP_1) | instskip(NEXT) | instid1(VALU_DEP_1)
	v_sub_nc_u32_e32 v3, v0, v3
	v_mul_lo_u32 v4, v3, s12
	v_mul_lo_u32 v5, v3, s14
	;; [unrolled: 1-line block ×3, first 2 shown]
	s_cbranch_vccnz .LBB272_20
; %bb.19:
	v_mov_b32_e32 v3, v1
	s_delay_alu instid0(VALU_DEP_1) | instskip(NEXT) | instid1(VALU_DEP_1)
	v_mul_u64_e32 v[8:9], s[24:25], v[2:3]
	v_add_nc_u32_e32 v1, v2, v9
	s_delay_alu instid0(VALU_DEP_1) | instskip(NEXT) | instid1(VALU_DEP_1)
	v_lshrrev_b32_e32 v1, s1, v1
	v_mul_lo_u32 v1, v1, s11
	s_delay_alu instid0(VALU_DEP_1) | instskip(NEXT) | instid1(VALU_DEP_1)
	v_sub_nc_u32_e32 v1, v2, v1
	v_mad_u32 v4, v1, s15, v4
	v_mad_u32 v6, v1, s22, v6
	;; [unrolled: 1-line block ×3, first 2 shown]
.LBB272_20:
	global_load_u8 v1, v6, s[6:7]
	global_load_u8 v2, v5, s[16:17]
	v_add_nc_u32_e32 v0, 0x80, v0
	s_wait_loadcnt 0x0
	v_dual_lshlrev_b32 v1, 24, v1 :: v_dual_lshlrev_b32 v2, 24, v2
	s_delay_alu instid0(VALU_DEP_1) | instskip(NEXT) | instid1(VALU_DEP_2)
	v_and_b32_e32 v3, 0x7f000000, v1
	v_and_b32_e32 v5, 0x7f000000, v2
	s_delay_alu instid0(VALU_DEP_2) | instskip(NEXT) | instid1(VALU_DEP_2)
	v_clz_i32_u32_e32 v6, v3
	v_clz_i32_u32_e32 v7, v5
	v_cmp_ne_u32_e32 vcc_lo, 0, v3
	v_add_nc_u32_e32 v10, 0x1000000, v3
	s_delay_alu instid0(VALU_DEP_4) | instskip(NEXT) | instid1(VALU_DEP_4)
	v_min_u32_e32 v6, 32, v6
	v_min_u32_e32 v7, 32, v7
	s_delay_alu instid0(VALU_DEP_2) | instskip(NEXT) | instid1(VALU_DEP_2)
	v_sub_nc_u32_e64 v6, v6, 4 clamp
	v_sub_nc_u32_e64 v7, v7, 4 clamp
	s_delay_alu instid0(VALU_DEP_1) | instskip(SKIP_1) | instid1(VALU_DEP_2)
	v_dual_lshlrev_b32 v8, v6, v3 :: v_dual_lshlrev_b32 v9, v7, v5
	v_dual_lshlrev_b32 v6, 23, v6 :: v_dual_lshlrev_b32 v7, 23, v7
	v_dual_lshrrev_b32 v8, 4, v8 :: v_dual_lshrrev_b32 v9, 4, v9
	s_delay_alu instid0(VALU_DEP_1) | instskip(SKIP_1) | instid1(VALU_DEP_2)
	v_dual_sub_nc_u32 v6, v8, v6 :: v_dual_sub_nc_u32 v7, v9, v7
	v_ashrrev_i32_e32 v9, 8, v10
	v_add_nc_u32_e32 v6, 0x3c000000, v6
	s_delay_alu instid0(VALU_DEP_3) | instskip(NEXT) | instid1(VALU_DEP_2)
	v_add_nc_u32_e32 v7, 0x3c000000, v7
	v_and_or_b32 v6, 0x7f800000, v9, v6
	s_delay_alu instid0(VALU_DEP_1) | instskip(SKIP_2) | instid1(VALU_DEP_3)
	v_cndmask_b32_e32 v3, 0, v6, vcc_lo
	v_cmp_ne_u32_e32 vcc_lo, 0, v5
	v_add_nc_u32_e32 v8, 0x1000000, v5
	v_and_or_b32 v1, 0x80000000, v1, v3
	s_delay_alu instid0(VALU_DEP_2) | instskip(NEXT) | instid1(VALU_DEP_1)
	v_ashrrev_i32_e32 v8, 8, v8
	v_and_or_b32 v7, 0x7f800000, v8, v7
	s_delay_alu instid0(VALU_DEP_1) | instskip(NEXT) | instid1(VALU_DEP_1)
	v_cndmask_b32_e32 v5, 0, v7, vcc_lo
	v_and_or_b32 v2, 0x80000000, v2, v5
	s_delay_alu instid0(VALU_DEP_1) | instskip(SKIP_3) | instid1(VALU_DEP_1)
	v_cmp_eq_f32_e32 vcc_lo, v1, v2
	v_cndmask_b32_e64 v3, 0, 1, vcc_lo
	v_cmp_neq_f32_e32 vcc_lo, v1, v2
	v_cndmask_b32_e64 v1, 0, 1, vcc_lo
	v_cndmask_b32_e64 v1, v1, v3, s0
	s_delay_alu instid0(VALU_DEP_1) | instskip(SKIP_3) | instid1(SALU_CYCLE_1)
	v_and_b32_e32 v1, 1, v1
	global_store_b8 v4, v1, s[4:5]
	s_wait_xcnt 0x0
	s_or_b32 exec_lo, exec_lo, s9
	s_mov_b32 s9, exec_lo
	v_cmpx_gt_i32_e64 s33, v0
	s_cbranch_execz .LBB272_3
.LBB272_21:
	s_and_not1_b32 vcc_lo, exec_lo, s28
	s_cbranch_vccnz .LBB272_27
; %bb.22:
	s_and_not1_b32 vcc_lo, exec_lo, s34
	s_cbranch_vccnz .LBB272_28
; %bb.23:
	v_dual_mov_b32 v4, 0 :: v_dual_mov_b32 v1, v0
	v_dual_mov_b32 v6, 0 :: v_dual_mov_b32 v5, 0
	s_add_co_i32 s35, s31, 1
	s_mov_b64 s[18:19], 0xffffffffffffffe8
	s_and_b32 s35, s35, 30
	s_add_nc_u64 s[18:19], s[20:21], s[18:19]
.LBB272_24:                             ; =>This Inner Loop Header: Depth=1
	s_clause 0x1
	s_load_b128 s[36:39], s[18:19], 0x1c
	s_load_b64 s[44:45], s[18:19], 0x2c
	s_add_co_i32 s35, s35, -2
	s_delay_alu instid0(SALU_CYCLE_1) | instskip(SKIP_2) | instid1(VALU_DEP_1)
	s_cmp_eq_u32 s35, 0
	s_wait_kmcnt 0x0
	v_mul_hi_u32 v2, s37, v1
	v_add_nc_u32_e32 v2, v1, v2
	s_delay_alu instid0(VALU_DEP_1) | instskip(NEXT) | instid1(VALU_DEP_1)
	v_lshrrev_b32_e32 v2, s38, v2
	v_mul_hi_u32 v3, s44, v2
	v_mul_lo_u32 v7, v2, s36
	s_clause 0x1
	s_load_b128 s[40:43], s[18:19], 0xdc
	s_load_b64 s[36:37], s[18:19], 0xec
	s_wait_xcnt 0x0
	s_add_nc_u64 s[18:19], s[18:19], 24
	s_delay_alu instid0(VALU_DEP_2) | instskip(NEXT) | instid1(VALU_DEP_2)
	v_add_nc_u32_e32 v3, v2, v3
	v_sub_nc_u32_e32 v7, v1, v7
	s_delay_alu instid0(VALU_DEP_2) | instskip(SKIP_1) | instid1(VALU_DEP_2)
	v_lshrrev_b32_e32 v1, s45, v3
	s_wait_kmcnt 0x0
	v_mad_u32 v4, v7, s40, v4
	s_delay_alu instid0(VALU_DEP_2) | instskip(SKIP_2) | instid1(VALU_DEP_3)
	v_mul_lo_u32 v3, v1, s39
	v_mad_u32 v5, v7, s42, v5
	v_mad_u32 v6, v7, s41, v6
	v_sub_nc_u32_e32 v2, v2, v3
	s_delay_alu instid0(VALU_DEP_1) | instskip(NEXT) | instid1(VALU_DEP_4)
	v_mad_u32 v4, v2, s43, v4
	v_mad_u32 v5, v2, s37, v5
	s_delay_alu instid0(VALU_DEP_4)
	v_mad_u32 v6, v2, s36, v6
	s_cbranch_scc0 .LBB272_24
; %bb.25:
	s_bitcmp1_b32 s31, 0
	s_cselect_b32 s35, -1, 0
	s_delay_alu instid0(SALU_CYCLE_1)
	s_and_b32 vcc_lo, exec_lo, s35
	s_cbranch_vccnz .LBB272_29
; %bb.26:
	s_clause 0x1
	s_load_b96 s[36:38], s[18:19], 0x1c
	s_load_b96 s[40:42], s[18:19], 0xdc
	s_wait_kmcnt 0x0
	v_mul_hi_u32 v2, s37, v1
	s_delay_alu instid0(VALU_DEP_1) | instskip(NEXT) | instid1(VALU_DEP_1)
	v_add_nc_u32_e32 v2, v1, v2
	v_lshrrev_b32_e32 v2, s38, v2
	s_delay_alu instid0(VALU_DEP_1) | instskip(NEXT) | instid1(VALU_DEP_1)
	v_mul_lo_u32 v2, v2, s36
	v_sub_nc_u32_e32 v1, v1, v2
	s_delay_alu instid0(VALU_DEP_1)
	v_mad_u32 v4, v1, s40, v4
	v_mad_u32 v6, v1, s41, v6
	;; [unrolled: 1-line block ×3, first 2 shown]
	s_branch .LBB272_29
.LBB272_27:
                                        ; implicit-def: $vgpr5
                                        ; implicit-def: $vgpr6
                                        ; implicit-def: $vgpr4
	s_branch .LBB272_30
.LBB272_28:
	v_dual_mov_b32 v5, 0 :: v_dual_mov_b32 v6, 0
	v_mov_b32_e32 v4, 0
.LBB272_29:
	s_cbranch_execnz .LBB272_32
.LBB272_30:
	v_mov_b32_e32 v1, 0
	s_and_not1_b32 vcc_lo, exec_lo, s30
	s_delay_alu instid0(VALU_DEP_1) | instskip(NEXT) | instid1(VALU_DEP_1)
	v_mul_u64_e32 v[2:3], s[2:3], v[0:1]
	v_add_nc_u32_e32 v2, v0, v3
	s_delay_alu instid0(VALU_DEP_1) | instskip(NEXT) | instid1(VALU_DEP_1)
	v_lshrrev_b32_e32 v2, s10, v2
	v_mul_lo_u32 v3, v2, s8
	s_delay_alu instid0(VALU_DEP_1) | instskip(NEXT) | instid1(VALU_DEP_1)
	v_sub_nc_u32_e32 v3, v0, v3
	v_mul_lo_u32 v4, v3, s12
	v_mul_lo_u32 v5, v3, s14
	;; [unrolled: 1-line block ×3, first 2 shown]
	s_cbranch_vccnz .LBB272_32
; %bb.31:
	v_mov_b32_e32 v3, v1
	s_delay_alu instid0(VALU_DEP_1) | instskip(NEXT) | instid1(VALU_DEP_1)
	v_mul_u64_e32 v[8:9], s[24:25], v[2:3]
	v_add_nc_u32_e32 v1, v2, v9
	s_delay_alu instid0(VALU_DEP_1) | instskip(NEXT) | instid1(VALU_DEP_1)
	v_lshrrev_b32_e32 v1, s1, v1
	v_mul_lo_u32 v1, v1, s11
	s_delay_alu instid0(VALU_DEP_1) | instskip(NEXT) | instid1(VALU_DEP_1)
	v_sub_nc_u32_e32 v1, v2, v1
	v_mad_u32 v4, v1, s15, v4
	v_mad_u32 v6, v1, s22, v6
	;; [unrolled: 1-line block ×3, first 2 shown]
.LBB272_32:
	global_load_u8 v1, v6, s[6:7]
	global_load_u8 v2, v5, s[16:17]
	v_add_nc_u32_e32 v0, 0x80, v0
	s_wait_loadcnt 0x0
	v_dual_lshlrev_b32 v1, 24, v1 :: v_dual_lshlrev_b32 v2, 24, v2
	s_delay_alu instid0(VALU_DEP_1) | instskip(SKIP_1) | instid1(VALU_DEP_2)
	v_and_b32_e32 v3, 0x7f000000, v1
	s_wait_xcnt 0x0
	v_and_b32_e32 v5, 0x7f000000, v2
	s_delay_alu instid0(VALU_DEP_2) | instskip(NEXT) | instid1(VALU_DEP_2)
	v_clz_i32_u32_e32 v6, v3
	v_clz_i32_u32_e32 v7, v5
	v_cmp_ne_u32_e32 vcc_lo, 0, v3
	v_add_nc_u32_e32 v10, 0x1000000, v3
	s_delay_alu instid0(VALU_DEP_4) | instskip(NEXT) | instid1(VALU_DEP_4)
	v_min_u32_e32 v6, 32, v6
	v_min_u32_e32 v7, 32, v7
	s_delay_alu instid0(VALU_DEP_2) | instskip(NEXT) | instid1(VALU_DEP_2)
	v_sub_nc_u32_e64 v6, v6, 4 clamp
	v_sub_nc_u32_e64 v7, v7, 4 clamp
	s_delay_alu instid0(VALU_DEP_1) | instskip(SKIP_1) | instid1(VALU_DEP_2)
	v_dual_lshlrev_b32 v8, v6, v3 :: v_dual_lshlrev_b32 v9, v7, v5
	v_dual_lshlrev_b32 v6, 23, v6 :: v_dual_lshlrev_b32 v7, 23, v7
	v_dual_lshrrev_b32 v8, 4, v8 :: v_dual_lshrrev_b32 v9, 4, v9
	s_delay_alu instid0(VALU_DEP_1) | instskip(SKIP_1) | instid1(VALU_DEP_2)
	v_dual_sub_nc_u32 v6, v8, v6 :: v_dual_sub_nc_u32 v7, v9, v7
	v_ashrrev_i32_e32 v9, 8, v10
	v_add_nc_u32_e32 v6, 0x3c000000, v6
	s_delay_alu instid0(VALU_DEP_3) | instskip(NEXT) | instid1(VALU_DEP_2)
	v_add_nc_u32_e32 v7, 0x3c000000, v7
	v_and_or_b32 v6, 0x7f800000, v9, v6
	s_delay_alu instid0(VALU_DEP_1) | instskip(SKIP_2) | instid1(VALU_DEP_3)
	v_cndmask_b32_e32 v3, 0, v6, vcc_lo
	v_cmp_ne_u32_e32 vcc_lo, 0, v5
	v_add_nc_u32_e32 v8, 0x1000000, v5
	v_and_or_b32 v1, 0x80000000, v1, v3
	s_delay_alu instid0(VALU_DEP_2) | instskip(NEXT) | instid1(VALU_DEP_1)
	v_ashrrev_i32_e32 v8, 8, v8
	v_and_or_b32 v7, 0x7f800000, v8, v7
	s_delay_alu instid0(VALU_DEP_1) | instskip(NEXT) | instid1(VALU_DEP_1)
	v_cndmask_b32_e32 v5, 0, v7, vcc_lo
	v_and_or_b32 v2, 0x80000000, v2, v5
	s_delay_alu instid0(VALU_DEP_1) | instskip(SKIP_3) | instid1(VALU_DEP_1)
	v_cmp_eq_f32_e32 vcc_lo, v1, v2
	v_cndmask_b32_e64 v3, 0, 1, vcc_lo
	v_cmp_neq_f32_e32 vcc_lo, v1, v2
	v_cndmask_b32_e64 v1, 0, 1, vcc_lo
	v_cndmask_b32_e64 v1, v1, v3, s0
	s_delay_alu instid0(VALU_DEP_1) | instskip(SKIP_3) | instid1(SALU_CYCLE_1)
	v_and_b32_e32 v1, 1, v1
	global_store_b8 v4, v1, s[4:5]
	s_wait_xcnt 0x0
	s_or_b32 exec_lo, exec_lo, s9
	s_mov_b32 s9, exec_lo
	v_cmpx_gt_i32_e64 s33, v0
	s_cbranch_execz .LBB272_4
.LBB272_33:
	s_and_not1_b32 vcc_lo, exec_lo, s28
	s_cbranch_vccnz .LBB272_39
; %bb.34:
	s_and_not1_b32 vcc_lo, exec_lo, s34
	s_cbranch_vccnz .LBB272_40
; %bb.35:
	v_dual_mov_b32 v4, 0 :: v_dual_mov_b32 v1, v0
	v_dual_mov_b32 v6, 0 :: v_dual_mov_b32 v5, 0
	s_add_co_i32 s35, s31, 1
	s_mov_b64 s[18:19], 0xffffffffffffffe8
	s_and_b32 s35, s35, 30
	s_add_nc_u64 s[18:19], s[20:21], s[18:19]
.LBB272_36:                             ; =>This Inner Loop Header: Depth=1
	s_clause 0x1
	s_load_b128 s[36:39], s[18:19], 0x1c
	s_load_b64 s[44:45], s[18:19], 0x2c
	s_add_co_i32 s35, s35, -2
	s_delay_alu instid0(SALU_CYCLE_1) | instskip(SKIP_2) | instid1(VALU_DEP_1)
	s_cmp_eq_u32 s35, 0
	s_wait_kmcnt 0x0
	v_mul_hi_u32 v2, s37, v1
	v_add_nc_u32_e32 v2, v1, v2
	s_delay_alu instid0(VALU_DEP_1) | instskip(NEXT) | instid1(VALU_DEP_1)
	v_lshrrev_b32_e32 v2, s38, v2
	v_mul_hi_u32 v3, s44, v2
	v_mul_lo_u32 v7, v2, s36
	s_clause 0x1
	s_load_b128 s[40:43], s[18:19], 0xdc
	s_load_b64 s[36:37], s[18:19], 0xec
	s_wait_xcnt 0x0
	s_add_nc_u64 s[18:19], s[18:19], 24
	s_delay_alu instid0(VALU_DEP_2) | instskip(NEXT) | instid1(VALU_DEP_2)
	v_add_nc_u32_e32 v3, v2, v3
	v_sub_nc_u32_e32 v7, v1, v7
	s_delay_alu instid0(VALU_DEP_2) | instskip(SKIP_1) | instid1(VALU_DEP_2)
	v_lshrrev_b32_e32 v1, s45, v3
	s_wait_kmcnt 0x0
	v_mad_u32 v4, v7, s40, v4
	s_delay_alu instid0(VALU_DEP_2) | instskip(SKIP_2) | instid1(VALU_DEP_3)
	v_mul_lo_u32 v3, v1, s39
	v_mad_u32 v5, v7, s42, v5
	v_mad_u32 v6, v7, s41, v6
	v_sub_nc_u32_e32 v2, v2, v3
	s_delay_alu instid0(VALU_DEP_1) | instskip(NEXT) | instid1(VALU_DEP_4)
	v_mad_u32 v4, v2, s43, v4
	v_mad_u32 v5, v2, s37, v5
	s_delay_alu instid0(VALU_DEP_4)
	v_mad_u32 v6, v2, s36, v6
	s_cbranch_scc0 .LBB272_36
; %bb.37:
	s_bitcmp1_b32 s31, 0
	s_cselect_b32 s35, -1, 0
	s_delay_alu instid0(SALU_CYCLE_1)
	s_and_b32 vcc_lo, exec_lo, s35
	s_cbranch_vccnz .LBB272_41
; %bb.38:
	s_clause 0x1
	s_load_b96 s[36:38], s[18:19], 0x1c
	s_load_b96 s[40:42], s[18:19], 0xdc
	s_wait_kmcnt 0x0
	v_mul_hi_u32 v2, s37, v1
	s_delay_alu instid0(VALU_DEP_1) | instskip(NEXT) | instid1(VALU_DEP_1)
	v_add_nc_u32_e32 v2, v1, v2
	v_lshrrev_b32_e32 v2, s38, v2
	s_delay_alu instid0(VALU_DEP_1) | instskip(NEXT) | instid1(VALU_DEP_1)
	v_mul_lo_u32 v2, v2, s36
	v_sub_nc_u32_e32 v1, v1, v2
	s_delay_alu instid0(VALU_DEP_1)
	v_mad_u32 v4, v1, s40, v4
	v_mad_u32 v6, v1, s41, v6
	;; [unrolled: 1-line block ×3, first 2 shown]
	s_branch .LBB272_41
.LBB272_39:
                                        ; implicit-def: $vgpr5
                                        ; implicit-def: $vgpr6
                                        ; implicit-def: $vgpr4
	s_branch .LBB272_42
.LBB272_40:
	v_dual_mov_b32 v5, 0 :: v_dual_mov_b32 v6, 0
	v_mov_b32_e32 v4, 0
.LBB272_41:
	s_cbranch_execnz .LBB272_44
.LBB272_42:
	v_mov_b32_e32 v1, 0
	s_and_not1_b32 vcc_lo, exec_lo, s30
	s_delay_alu instid0(VALU_DEP_1) | instskip(NEXT) | instid1(VALU_DEP_1)
	v_mul_u64_e32 v[2:3], s[2:3], v[0:1]
	v_add_nc_u32_e32 v2, v0, v3
	s_delay_alu instid0(VALU_DEP_1) | instskip(NEXT) | instid1(VALU_DEP_1)
	v_lshrrev_b32_e32 v2, s10, v2
	v_mul_lo_u32 v3, v2, s8
	s_delay_alu instid0(VALU_DEP_1) | instskip(NEXT) | instid1(VALU_DEP_1)
	v_sub_nc_u32_e32 v3, v0, v3
	v_mul_lo_u32 v4, v3, s12
	v_mul_lo_u32 v5, v3, s14
	;; [unrolled: 1-line block ×3, first 2 shown]
	s_cbranch_vccnz .LBB272_44
; %bb.43:
	v_mov_b32_e32 v3, v1
	s_delay_alu instid0(VALU_DEP_1) | instskip(NEXT) | instid1(VALU_DEP_1)
	v_mul_u64_e32 v[8:9], s[24:25], v[2:3]
	v_add_nc_u32_e32 v1, v2, v9
	s_delay_alu instid0(VALU_DEP_1) | instskip(NEXT) | instid1(VALU_DEP_1)
	v_lshrrev_b32_e32 v1, s1, v1
	v_mul_lo_u32 v1, v1, s11
	s_delay_alu instid0(VALU_DEP_1) | instskip(NEXT) | instid1(VALU_DEP_1)
	v_sub_nc_u32_e32 v1, v2, v1
	v_mad_u32 v4, v1, s15, v4
	v_mad_u32 v6, v1, s22, v6
	;; [unrolled: 1-line block ×3, first 2 shown]
.LBB272_44:
	global_load_u8 v1, v6, s[6:7]
	global_load_u8 v2, v5, s[16:17]
	v_add_nc_u32_e32 v0, 0x80, v0
	s_wait_loadcnt 0x0
	v_dual_lshlrev_b32 v1, 24, v1 :: v_dual_lshlrev_b32 v2, 24, v2
	s_delay_alu instid0(VALU_DEP_1) | instskip(SKIP_1) | instid1(VALU_DEP_2)
	v_and_b32_e32 v3, 0x7f000000, v1
	s_wait_xcnt 0x0
	v_and_b32_e32 v5, 0x7f000000, v2
	s_delay_alu instid0(VALU_DEP_2) | instskip(NEXT) | instid1(VALU_DEP_2)
	v_clz_i32_u32_e32 v6, v3
	v_clz_i32_u32_e32 v7, v5
	v_cmp_ne_u32_e32 vcc_lo, 0, v3
	v_add_nc_u32_e32 v10, 0x1000000, v3
	s_delay_alu instid0(VALU_DEP_4) | instskip(NEXT) | instid1(VALU_DEP_4)
	v_min_u32_e32 v6, 32, v6
	v_min_u32_e32 v7, 32, v7
	s_delay_alu instid0(VALU_DEP_2) | instskip(NEXT) | instid1(VALU_DEP_2)
	v_sub_nc_u32_e64 v6, v6, 4 clamp
	v_sub_nc_u32_e64 v7, v7, 4 clamp
	s_delay_alu instid0(VALU_DEP_1) | instskip(SKIP_1) | instid1(VALU_DEP_2)
	v_dual_lshlrev_b32 v8, v6, v3 :: v_dual_lshlrev_b32 v9, v7, v5
	v_dual_lshlrev_b32 v6, 23, v6 :: v_dual_lshlrev_b32 v7, 23, v7
	v_dual_lshrrev_b32 v8, 4, v8 :: v_dual_lshrrev_b32 v9, 4, v9
	s_delay_alu instid0(VALU_DEP_1) | instskip(SKIP_1) | instid1(VALU_DEP_2)
	v_dual_sub_nc_u32 v6, v8, v6 :: v_dual_sub_nc_u32 v7, v9, v7
	v_ashrrev_i32_e32 v9, 8, v10
	v_add_nc_u32_e32 v6, 0x3c000000, v6
	s_delay_alu instid0(VALU_DEP_3) | instskip(NEXT) | instid1(VALU_DEP_2)
	v_add_nc_u32_e32 v7, 0x3c000000, v7
	v_and_or_b32 v6, 0x7f800000, v9, v6
	s_delay_alu instid0(VALU_DEP_1) | instskip(SKIP_2) | instid1(VALU_DEP_3)
	v_cndmask_b32_e32 v3, 0, v6, vcc_lo
	v_cmp_ne_u32_e32 vcc_lo, 0, v5
	v_add_nc_u32_e32 v8, 0x1000000, v5
	v_and_or_b32 v1, 0x80000000, v1, v3
	s_delay_alu instid0(VALU_DEP_2) | instskip(NEXT) | instid1(VALU_DEP_1)
	v_ashrrev_i32_e32 v8, 8, v8
	v_and_or_b32 v7, 0x7f800000, v8, v7
	s_delay_alu instid0(VALU_DEP_1) | instskip(NEXT) | instid1(VALU_DEP_1)
	v_cndmask_b32_e32 v5, 0, v7, vcc_lo
	v_and_or_b32 v2, 0x80000000, v2, v5
	s_delay_alu instid0(VALU_DEP_1) | instskip(SKIP_3) | instid1(VALU_DEP_1)
	v_cmp_eq_f32_e32 vcc_lo, v1, v2
	v_cndmask_b32_e64 v3, 0, 1, vcc_lo
	v_cmp_neq_f32_e32 vcc_lo, v1, v2
	v_cndmask_b32_e64 v1, 0, 1, vcc_lo
	v_cndmask_b32_e64 v1, v1, v3, s0
	s_delay_alu instid0(VALU_DEP_1) | instskip(SKIP_3) | instid1(SALU_CYCLE_1)
	v_and_b32_e32 v1, 1, v1
	global_store_b8 v4, v1, s[4:5]
	s_wait_xcnt 0x0
	s_or_b32 exec_lo, exec_lo, s9
	s_mov_b32 s9, exec_lo
	v_cmpx_gt_i32_e64 s33, v0
	s_cbranch_execz .LBB272_5
.LBB272_45:
	s_and_not1_b32 vcc_lo, exec_lo, s28
	s_cbranch_vccnz .LBB272_51
; %bb.46:
	s_and_not1_b32 vcc_lo, exec_lo, s34
	s_cbranch_vccnz .LBB272_52
; %bb.47:
	v_dual_mov_b32 v4, 0 :: v_dual_mov_b32 v1, v0
	v_dual_mov_b32 v6, 0 :: v_dual_mov_b32 v5, 0
	s_add_co_i32 s35, s31, 1
	s_mov_b64 s[18:19], 0xffffffffffffffe8
	s_and_b32 s35, s35, 30
	s_add_nc_u64 s[18:19], s[20:21], s[18:19]
.LBB272_48:                             ; =>This Inner Loop Header: Depth=1
	s_clause 0x1
	s_load_b128 s[36:39], s[18:19], 0x1c
	s_load_b64 s[44:45], s[18:19], 0x2c
	s_add_co_i32 s35, s35, -2
	s_delay_alu instid0(SALU_CYCLE_1) | instskip(SKIP_2) | instid1(VALU_DEP_1)
	s_cmp_eq_u32 s35, 0
	s_wait_kmcnt 0x0
	v_mul_hi_u32 v2, s37, v1
	v_add_nc_u32_e32 v2, v1, v2
	s_delay_alu instid0(VALU_DEP_1) | instskip(NEXT) | instid1(VALU_DEP_1)
	v_lshrrev_b32_e32 v2, s38, v2
	v_mul_hi_u32 v3, s44, v2
	v_mul_lo_u32 v7, v2, s36
	s_clause 0x1
	s_load_b128 s[40:43], s[18:19], 0xdc
	s_load_b64 s[36:37], s[18:19], 0xec
	s_wait_xcnt 0x0
	s_add_nc_u64 s[18:19], s[18:19], 24
	s_delay_alu instid0(VALU_DEP_2) | instskip(NEXT) | instid1(VALU_DEP_2)
	v_add_nc_u32_e32 v3, v2, v3
	v_sub_nc_u32_e32 v7, v1, v7
	s_delay_alu instid0(VALU_DEP_2) | instskip(SKIP_1) | instid1(VALU_DEP_2)
	v_lshrrev_b32_e32 v1, s45, v3
	s_wait_kmcnt 0x0
	v_mad_u32 v4, v7, s40, v4
	s_delay_alu instid0(VALU_DEP_2) | instskip(SKIP_2) | instid1(VALU_DEP_3)
	v_mul_lo_u32 v3, v1, s39
	v_mad_u32 v5, v7, s42, v5
	v_mad_u32 v6, v7, s41, v6
	v_sub_nc_u32_e32 v2, v2, v3
	s_delay_alu instid0(VALU_DEP_1) | instskip(NEXT) | instid1(VALU_DEP_4)
	v_mad_u32 v4, v2, s43, v4
	v_mad_u32 v5, v2, s37, v5
	s_delay_alu instid0(VALU_DEP_4)
	v_mad_u32 v6, v2, s36, v6
	s_cbranch_scc0 .LBB272_48
; %bb.49:
	s_bitcmp1_b32 s31, 0
	s_cselect_b32 s35, -1, 0
	s_delay_alu instid0(SALU_CYCLE_1)
	s_and_b32 vcc_lo, exec_lo, s35
	s_cbranch_vccnz .LBB272_53
; %bb.50:
	s_clause 0x1
	s_load_b96 s[36:38], s[18:19], 0x1c
	s_load_b96 s[40:42], s[18:19], 0xdc
	s_wait_kmcnt 0x0
	v_mul_hi_u32 v2, s37, v1
	s_delay_alu instid0(VALU_DEP_1) | instskip(NEXT) | instid1(VALU_DEP_1)
	v_add_nc_u32_e32 v2, v1, v2
	v_lshrrev_b32_e32 v2, s38, v2
	s_delay_alu instid0(VALU_DEP_1) | instskip(NEXT) | instid1(VALU_DEP_1)
	v_mul_lo_u32 v2, v2, s36
	v_sub_nc_u32_e32 v1, v1, v2
	s_delay_alu instid0(VALU_DEP_1)
	v_mad_u32 v4, v1, s40, v4
	v_mad_u32 v6, v1, s41, v6
	;; [unrolled: 1-line block ×3, first 2 shown]
	s_branch .LBB272_53
.LBB272_51:
                                        ; implicit-def: $vgpr5
                                        ; implicit-def: $vgpr6
                                        ; implicit-def: $vgpr4
	s_branch .LBB272_54
.LBB272_52:
	v_dual_mov_b32 v5, 0 :: v_dual_mov_b32 v6, 0
	v_mov_b32_e32 v4, 0
.LBB272_53:
	s_cbranch_execnz .LBB272_56
.LBB272_54:
	v_mov_b32_e32 v1, 0
	s_and_not1_b32 vcc_lo, exec_lo, s30
	s_delay_alu instid0(VALU_DEP_1) | instskip(NEXT) | instid1(VALU_DEP_1)
	v_mul_u64_e32 v[2:3], s[2:3], v[0:1]
	v_add_nc_u32_e32 v2, v0, v3
	s_delay_alu instid0(VALU_DEP_1) | instskip(NEXT) | instid1(VALU_DEP_1)
	v_lshrrev_b32_e32 v2, s10, v2
	v_mul_lo_u32 v3, v2, s8
	s_delay_alu instid0(VALU_DEP_1) | instskip(NEXT) | instid1(VALU_DEP_1)
	v_sub_nc_u32_e32 v3, v0, v3
	v_mul_lo_u32 v4, v3, s12
	v_mul_lo_u32 v5, v3, s14
	;; [unrolled: 1-line block ×3, first 2 shown]
	s_cbranch_vccnz .LBB272_56
; %bb.55:
	v_mov_b32_e32 v3, v1
	s_delay_alu instid0(VALU_DEP_1) | instskip(NEXT) | instid1(VALU_DEP_1)
	v_mul_u64_e32 v[8:9], s[24:25], v[2:3]
	v_add_nc_u32_e32 v1, v2, v9
	s_delay_alu instid0(VALU_DEP_1) | instskip(NEXT) | instid1(VALU_DEP_1)
	v_lshrrev_b32_e32 v1, s1, v1
	v_mul_lo_u32 v1, v1, s11
	s_delay_alu instid0(VALU_DEP_1) | instskip(NEXT) | instid1(VALU_DEP_1)
	v_sub_nc_u32_e32 v1, v2, v1
	v_mad_u32 v4, v1, s15, v4
	v_mad_u32 v6, v1, s22, v6
	;; [unrolled: 1-line block ×3, first 2 shown]
.LBB272_56:
	global_load_u8 v1, v6, s[6:7]
	global_load_u8 v2, v5, s[16:17]
	v_add_nc_u32_e32 v0, 0x80, v0
	s_wait_loadcnt 0x0
	v_dual_lshlrev_b32 v1, 24, v1 :: v_dual_lshlrev_b32 v2, 24, v2
	s_delay_alu instid0(VALU_DEP_1) | instskip(SKIP_1) | instid1(VALU_DEP_2)
	v_and_b32_e32 v3, 0x7f000000, v1
	s_wait_xcnt 0x0
	v_and_b32_e32 v5, 0x7f000000, v2
	s_delay_alu instid0(VALU_DEP_2) | instskip(NEXT) | instid1(VALU_DEP_2)
	v_clz_i32_u32_e32 v6, v3
	v_clz_i32_u32_e32 v7, v5
	v_cmp_ne_u32_e32 vcc_lo, 0, v3
	v_add_nc_u32_e32 v10, 0x1000000, v3
	s_delay_alu instid0(VALU_DEP_4) | instskip(NEXT) | instid1(VALU_DEP_4)
	v_min_u32_e32 v6, 32, v6
	v_min_u32_e32 v7, 32, v7
	s_delay_alu instid0(VALU_DEP_2) | instskip(NEXT) | instid1(VALU_DEP_2)
	v_sub_nc_u32_e64 v6, v6, 4 clamp
	v_sub_nc_u32_e64 v7, v7, 4 clamp
	s_delay_alu instid0(VALU_DEP_1) | instskip(SKIP_1) | instid1(VALU_DEP_2)
	v_dual_lshlrev_b32 v8, v6, v3 :: v_dual_lshlrev_b32 v9, v7, v5
	v_dual_lshlrev_b32 v6, 23, v6 :: v_dual_lshlrev_b32 v7, 23, v7
	v_dual_lshrrev_b32 v8, 4, v8 :: v_dual_lshrrev_b32 v9, 4, v9
	s_delay_alu instid0(VALU_DEP_1) | instskip(SKIP_1) | instid1(VALU_DEP_2)
	v_dual_sub_nc_u32 v6, v8, v6 :: v_dual_sub_nc_u32 v7, v9, v7
	v_ashrrev_i32_e32 v9, 8, v10
	v_add_nc_u32_e32 v6, 0x3c000000, v6
	s_delay_alu instid0(VALU_DEP_3) | instskip(NEXT) | instid1(VALU_DEP_2)
	v_add_nc_u32_e32 v7, 0x3c000000, v7
	v_and_or_b32 v6, 0x7f800000, v9, v6
	s_delay_alu instid0(VALU_DEP_1) | instskip(SKIP_2) | instid1(VALU_DEP_3)
	v_cndmask_b32_e32 v3, 0, v6, vcc_lo
	v_cmp_ne_u32_e32 vcc_lo, 0, v5
	v_add_nc_u32_e32 v8, 0x1000000, v5
	v_and_or_b32 v1, 0x80000000, v1, v3
	s_delay_alu instid0(VALU_DEP_2) | instskip(NEXT) | instid1(VALU_DEP_1)
	v_ashrrev_i32_e32 v8, 8, v8
	v_and_or_b32 v7, 0x7f800000, v8, v7
	s_delay_alu instid0(VALU_DEP_1) | instskip(NEXT) | instid1(VALU_DEP_1)
	v_cndmask_b32_e32 v5, 0, v7, vcc_lo
	v_and_or_b32 v2, 0x80000000, v2, v5
	s_delay_alu instid0(VALU_DEP_1) | instskip(SKIP_3) | instid1(VALU_DEP_1)
	v_cmp_eq_f32_e32 vcc_lo, v1, v2
	v_cndmask_b32_e64 v3, 0, 1, vcc_lo
	v_cmp_neq_f32_e32 vcc_lo, v1, v2
	v_cndmask_b32_e64 v1, 0, 1, vcc_lo
	v_cndmask_b32_e64 v1, v1, v3, s0
	s_delay_alu instid0(VALU_DEP_1) | instskip(SKIP_3) | instid1(SALU_CYCLE_1)
	v_and_b32_e32 v1, 1, v1
	global_store_b8 v4, v1, s[4:5]
	s_wait_xcnt 0x0
	s_or_b32 exec_lo, exec_lo, s9
	s_mov_b32 s9, exec_lo
	v_cmpx_gt_i32_e64 s33, v0
	s_cbranch_execz .LBB272_6
.LBB272_57:
	s_and_not1_b32 vcc_lo, exec_lo, s28
	s_cbranch_vccnz .LBB272_63
; %bb.58:
	s_and_not1_b32 vcc_lo, exec_lo, s34
	s_cbranch_vccnz .LBB272_64
; %bb.59:
	v_dual_mov_b32 v4, 0 :: v_dual_mov_b32 v1, v0
	v_dual_mov_b32 v6, 0 :: v_dual_mov_b32 v5, 0
	s_add_co_i32 s35, s31, 1
	s_mov_b64 s[18:19], 0xffffffffffffffe8
	s_and_b32 s35, s35, 30
	s_add_nc_u64 s[18:19], s[20:21], s[18:19]
.LBB272_60:                             ; =>This Inner Loop Header: Depth=1
	s_clause 0x1
	s_load_b128 s[36:39], s[18:19], 0x1c
	s_load_b64 s[44:45], s[18:19], 0x2c
	s_add_co_i32 s35, s35, -2
	s_delay_alu instid0(SALU_CYCLE_1) | instskip(SKIP_2) | instid1(VALU_DEP_1)
	s_cmp_eq_u32 s35, 0
	s_wait_kmcnt 0x0
	v_mul_hi_u32 v2, s37, v1
	v_add_nc_u32_e32 v2, v1, v2
	s_delay_alu instid0(VALU_DEP_1) | instskip(NEXT) | instid1(VALU_DEP_1)
	v_lshrrev_b32_e32 v2, s38, v2
	v_mul_hi_u32 v3, s44, v2
	v_mul_lo_u32 v7, v2, s36
	s_clause 0x1
	s_load_b128 s[40:43], s[18:19], 0xdc
	s_load_b64 s[36:37], s[18:19], 0xec
	s_wait_xcnt 0x0
	s_add_nc_u64 s[18:19], s[18:19], 24
	s_delay_alu instid0(VALU_DEP_2) | instskip(NEXT) | instid1(VALU_DEP_2)
	v_add_nc_u32_e32 v3, v2, v3
	v_sub_nc_u32_e32 v7, v1, v7
	s_delay_alu instid0(VALU_DEP_2) | instskip(SKIP_1) | instid1(VALU_DEP_2)
	v_lshrrev_b32_e32 v1, s45, v3
	s_wait_kmcnt 0x0
	v_mad_u32 v4, v7, s40, v4
	s_delay_alu instid0(VALU_DEP_2) | instskip(SKIP_2) | instid1(VALU_DEP_3)
	v_mul_lo_u32 v3, v1, s39
	v_mad_u32 v5, v7, s42, v5
	v_mad_u32 v6, v7, s41, v6
	v_sub_nc_u32_e32 v2, v2, v3
	s_delay_alu instid0(VALU_DEP_1) | instskip(NEXT) | instid1(VALU_DEP_4)
	v_mad_u32 v4, v2, s43, v4
	v_mad_u32 v5, v2, s37, v5
	s_delay_alu instid0(VALU_DEP_4)
	v_mad_u32 v6, v2, s36, v6
	s_cbranch_scc0 .LBB272_60
; %bb.61:
	s_bitcmp1_b32 s31, 0
	s_cselect_b32 s35, -1, 0
	s_delay_alu instid0(SALU_CYCLE_1)
	s_and_b32 vcc_lo, exec_lo, s35
	s_cbranch_vccnz .LBB272_65
; %bb.62:
	s_clause 0x1
	s_load_b96 s[36:38], s[18:19], 0x1c
	s_load_b96 s[40:42], s[18:19], 0xdc
	s_wait_kmcnt 0x0
	v_mul_hi_u32 v2, s37, v1
	s_delay_alu instid0(VALU_DEP_1) | instskip(NEXT) | instid1(VALU_DEP_1)
	v_add_nc_u32_e32 v2, v1, v2
	v_lshrrev_b32_e32 v2, s38, v2
	s_delay_alu instid0(VALU_DEP_1) | instskip(NEXT) | instid1(VALU_DEP_1)
	v_mul_lo_u32 v2, v2, s36
	v_sub_nc_u32_e32 v1, v1, v2
	s_delay_alu instid0(VALU_DEP_1)
	v_mad_u32 v4, v1, s40, v4
	v_mad_u32 v6, v1, s41, v6
	;; [unrolled: 1-line block ×3, first 2 shown]
	s_branch .LBB272_65
.LBB272_63:
                                        ; implicit-def: $vgpr5
                                        ; implicit-def: $vgpr6
                                        ; implicit-def: $vgpr4
	s_branch .LBB272_66
.LBB272_64:
	v_dual_mov_b32 v5, 0 :: v_dual_mov_b32 v6, 0
	v_mov_b32_e32 v4, 0
.LBB272_65:
	s_cbranch_execnz .LBB272_68
.LBB272_66:
	v_mov_b32_e32 v1, 0
	s_and_not1_b32 vcc_lo, exec_lo, s30
	s_delay_alu instid0(VALU_DEP_1) | instskip(NEXT) | instid1(VALU_DEP_1)
	v_mul_u64_e32 v[2:3], s[2:3], v[0:1]
	v_add_nc_u32_e32 v2, v0, v3
	s_delay_alu instid0(VALU_DEP_1) | instskip(NEXT) | instid1(VALU_DEP_1)
	v_lshrrev_b32_e32 v2, s10, v2
	v_mul_lo_u32 v3, v2, s8
	s_delay_alu instid0(VALU_DEP_1) | instskip(NEXT) | instid1(VALU_DEP_1)
	v_sub_nc_u32_e32 v3, v0, v3
	v_mul_lo_u32 v4, v3, s12
	v_mul_lo_u32 v5, v3, s14
	;; [unrolled: 1-line block ×3, first 2 shown]
	s_cbranch_vccnz .LBB272_68
; %bb.67:
	v_mov_b32_e32 v3, v1
	s_delay_alu instid0(VALU_DEP_1) | instskip(NEXT) | instid1(VALU_DEP_1)
	v_mul_u64_e32 v[8:9], s[24:25], v[2:3]
	v_add_nc_u32_e32 v1, v2, v9
	s_delay_alu instid0(VALU_DEP_1) | instskip(NEXT) | instid1(VALU_DEP_1)
	v_lshrrev_b32_e32 v1, s1, v1
	v_mul_lo_u32 v1, v1, s11
	s_delay_alu instid0(VALU_DEP_1) | instskip(NEXT) | instid1(VALU_DEP_1)
	v_sub_nc_u32_e32 v1, v2, v1
	v_mad_u32 v4, v1, s15, v4
	v_mad_u32 v6, v1, s22, v6
	;; [unrolled: 1-line block ×3, first 2 shown]
.LBB272_68:
	global_load_u8 v1, v6, s[6:7]
	global_load_u8 v2, v5, s[16:17]
	v_add_nc_u32_e32 v0, 0x80, v0
	s_wait_loadcnt 0x0
	v_dual_lshlrev_b32 v1, 24, v1 :: v_dual_lshlrev_b32 v2, 24, v2
	s_delay_alu instid0(VALU_DEP_1) | instskip(SKIP_1) | instid1(VALU_DEP_2)
	v_and_b32_e32 v3, 0x7f000000, v1
	s_wait_xcnt 0x0
	v_and_b32_e32 v5, 0x7f000000, v2
	s_delay_alu instid0(VALU_DEP_2) | instskip(NEXT) | instid1(VALU_DEP_2)
	v_clz_i32_u32_e32 v6, v3
	v_clz_i32_u32_e32 v7, v5
	v_cmp_ne_u32_e32 vcc_lo, 0, v3
	v_add_nc_u32_e32 v10, 0x1000000, v3
	s_delay_alu instid0(VALU_DEP_4) | instskip(NEXT) | instid1(VALU_DEP_4)
	v_min_u32_e32 v6, 32, v6
	v_min_u32_e32 v7, 32, v7
	s_delay_alu instid0(VALU_DEP_2) | instskip(NEXT) | instid1(VALU_DEP_2)
	v_sub_nc_u32_e64 v6, v6, 4 clamp
	v_sub_nc_u32_e64 v7, v7, 4 clamp
	s_delay_alu instid0(VALU_DEP_1) | instskip(SKIP_1) | instid1(VALU_DEP_2)
	v_dual_lshlrev_b32 v8, v6, v3 :: v_dual_lshlrev_b32 v9, v7, v5
	v_dual_lshlrev_b32 v6, 23, v6 :: v_dual_lshlrev_b32 v7, 23, v7
	v_dual_lshrrev_b32 v8, 4, v8 :: v_dual_lshrrev_b32 v9, 4, v9
	s_delay_alu instid0(VALU_DEP_1) | instskip(SKIP_1) | instid1(VALU_DEP_2)
	v_dual_sub_nc_u32 v6, v8, v6 :: v_dual_sub_nc_u32 v7, v9, v7
	v_ashrrev_i32_e32 v9, 8, v10
	v_add_nc_u32_e32 v6, 0x3c000000, v6
	s_delay_alu instid0(VALU_DEP_3) | instskip(NEXT) | instid1(VALU_DEP_2)
	v_add_nc_u32_e32 v7, 0x3c000000, v7
	v_and_or_b32 v6, 0x7f800000, v9, v6
	s_delay_alu instid0(VALU_DEP_1) | instskip(SKIP_2) | instid1(VALU_DEP_3)
	v_cndmask_b32_e32 v3, 0, v6, vcc_lo
	v_cmp_ne_u32_e32 vcc_lo, 0, v5
	v_add_nc_u32_e32 v8, 0x1000000, v5
	v_and_or_b32 v1, 0x80000000, v1, v3
	s_delay_alu instid0(VALU_DEP_2) | instskip(NEXT) | instid1(VALU_DEP_1)
	v_ashrrev_i32_e32 v8, 8, v8
	v_and_or_b32 v7, 0x7f800000, v8, v7
	s_delay_alu instid0(VALU_DEP_1) | instskip(NEXT) | instid1(VALU_DEP_1)
	v_cndmask_b32_e32 v5, 0, v7, vcc_lo
	v_and_or_b32 v2, 0x80000000, v2, v5
	s_delay_alu instid0(VALU_DEP_1) | instskip(SKIP_3) | instid1(VALU_DEP_1)
	v_cmp_eq_f32_e32 vcc_lo, v1, v2
	v_cndmask_b32_e64 v3, 0, 1, vcc_lo
	v_cmp_neq_f32_e32 vcc_lo, v1, v2
	v_cndmask_b32_e64 v1, 0, 1, vcc_lo
	v_cndmask_b32_e64 v1, v1, v3, s0
	s_delay_alu instid0(VALU_DEP_1) | instskip(SKIP_3) | instid1(SALU_CYCLE_1)
	v_and_b32_e32 v1, 1, v1
	global_store_b8 v4, v1, s[4:5]
	s_wait_xcnt 0x0
	s_or_b32 exec_lo, exec_lo, s9
	s_mov_b32 s9, exec_lo
	v_cmpx_gt_i32_e64 s33, v0
	s_cbranch_execz .LBB272_7
.LBB272_69:
	s_and_not1_b32 vcc_lo, exec_lo, s28
	s_cbranch_vccnz .LBB272_75
; %bb.70:
	s_and_not1_b32 vcc_lo, exec_lo, s34
	s_cbranch_vccnz .LBB272_76
; %bb.71:
	v_dual_mov_b32 v4, 0 :: v_dual_mov_b32 v1, v0
	v_dual_mov_b32 v6, 0 :: v_dual_mov_b32 v5, 0
	s_add_co_i32 s35, s31, 1
	s_mov_b64 s[18:19], 0xffffffffffffffe8
	s_and_b32 s35, s35, 30
	s_add_nc_u64 s[18:19], s[20:21], s[18:19]
.LBB272_72:                             ; =>This Inner Loop Header: Depth=1
	s_clause 0x1
	s_load_b128 s[36:39], s[18:19], 0x1c
	s_load_b64 s[44:45], s[18:19], 0x2c
	s_add_co_i32 s35, s35, -2
	s_delay_alu instid0(SALU_CYCLE_1) | instskip(SKIP_2) | instid1(VALU_DEP_1)
	s_cmp_eq_u32 s35, 0
	s_wait_kmcnt 0x0
	v_mul_hi_u32 v2, s37, v1
	v_add_nc_u32_e32 v2, v1, v2
	s_delay_alu instid0(VALU_DEP_1) | instskip(NEXT) | instid1(VALU_DEP_1)
	v_lshrrev_b32_e32 v2, s38, v2
	v_mul_hi_u32 v3, s44, v2
	v_mul_lo_u32 v7, v2, s36
	s_clause 0x1
	s_load_b128 s[40:43], s[18:19], 0xdc
	s_load_b64 s[36:37], s[18:19], 0xec
	s_wait_xcnt 0x0
	s_add_nc_u64 s[18:19], s[18:19], 24
	s_delay_alu instid0(VALU_DEP_2) | instskip(NEXT) | instid1(VALU_DEP_2)
	v_add_nc_u32_e32 v3, v2, v3
	v_sub_nc_u32_e32 v7, v1, v7
	s_delay_alu instid0(VALU_DEP_2) | instskip(SKIP_1) | instid1(VALU_DEP_2)
	v_lshrrev_b32_e32 v1, s45, v3
	s_wait_kmcnt 0x0
	v_mad_u32 v4, v7, s40, v4
	s_delay_alu instid0(VALU_DEP_2) | instskip(SKIP_2) | instid1(VALU_DEP_3)
	v_mul_lo_u32 v3, v1, s39
	v_mad_u32 v5, v7, s42, v5
	v_mad_u32 v6, v7, s41, v6
	v_sub_nc_u32_e32 v2, v2, v3
	s_delay_alu instid0(VALU_DEP_1) | instskip(NEXT) | instid1(VALU_DEP_4)
	v_mad_u32 v4, v2, s43, v4
	v_mad_u32 v5, v2, s37, v5
	s_delay_alu instid0(VALU_DEP_4)
	v_mad_u32 v6, v2, s36, v6
	s_cbranch_scc0 .LBB272_72
; %bb.73:
	s_bitcmp1_b32 s31, 0
	s_cselect_b32 s35, -1, 0
	s_delay_alu instid0(SALU_CYCLE_1)
	s_and_b32 vcc_lo, exec_lo, s35
	s_cbranch_vccnz .LBB272_77
; %bb.74:
	s_clause 0x1
	s_load_b96 s[36:38], s[18:19], 0x1c
	s_load_b96 s[40:42], s[18:19], 0xdc
	s_wait_kmcnt 0x0
	v_mul_hi_u32 v2, s37, v1
	s_delay_alu instid0(VALU_DEP_1) | instskip(NEXT) | instid1(VALU_DEP_1)
	v_add_nc_u32_e32 v2, v1, v2
	v_lshrrev_b32_e32 v2, s38, v2
	s_delay_alu instid0(VALU_DEP_1) | instskip(NEXT) | instid1(VALU_DEP_1)
	v_mul_lo_u32 v2, v2, s36
	v_sub_nc_u32_e32 v1, v1, v2
	s_delay_alu instid0(VALU_DEP_1)
	v_mad_u32 v4, v1, s40, v4
	v_mad_u32 v6, v1, s41, v6
	;; [unrolled: 1-line block ×3, first 2 shown]
	s_branch .LBB272_77
.LBB272_75:
                                        ; implicit-def: $vgpr5
                                        ; implicit-def: $vgpr6
                                        ; implicit-def: $vgpr4
	s_branch .LBB272_78
.LBB272_76:
	v_dual_mov_b32 v5, 0 :: v_dual_mov_b32 v6, 0
	v_mov_b32_e32 v4, 0
.LBB272_77:
	s_cbranch_execnz .LBB272_80
.LBB272_78:
	v_mov_b32_e32 v1, 0
	s_and_not1_b32 vcc_lo, exec_lo, s30
	s_delay_alu instid0(VALU_DEP_1) | instskip(NEXT) | instid1(VALU_DEP_1)
	v_mul_u64_e32 v[2:3], s[2:3], v[0:1]
	v_add_nc_u32_e32 v2, v0, v3
	s_delay_alu instid0(VALU_DEP_1) | instskip(NEXT) | instid1(VALU_DEP_1)
	v_lshrrev_b32_e32 v2, s10, v2
	v_mul_lo_u32 v3, v2, s8
	s_delay_alu instid0(VALU_DEP_1) | instskip(NEXT) | instid1(VALU_DEP_1)
	v_sub_nc_u32_e32 v3, v0, v3
	v_mul_lo_u32 v4, v3, s12
	v_mul_lo_u32 v5, v3, s14
	v_mul_lo_u32 v6, v3, s13
	s_cbranch_vccnz .LBB272_80
; %bb.79:
	v_mov_b32_e32 v3, v1
	s_delay_alu instid0(VALU_DEP_1) | instskip(NEXT) | instid1(VALU_DEP_1)
	v_mul_u64_e32 v[8:9], s[24:25], v[2:3]
	v_add_nc_u32_e32 v1, v2, v9
	s_delay_alu instid0(VALU_DEP_1) | instskip(NEXT) | instid1(VALU_DEP_1)
	v_lshrrev_b32_e32 v1, s1, v1
	v_mul_lo_u32 v1, v1, s11
	s_delay_alu instid0(VALU_DEP_1) | instskip(NEXT) | instid1(VALU_DEP_1)
	v_sub_nc_u32_e32 v1, v2, v1
	v_mad_u32 v4, v1, s15, v4
	v_mad_u32 v6, v1, s22, v6
	;; [unrolled: 1-line block ×3, first 2 shown]
.LBB272_80:
	global_load_u8 v1, v6, s[6:7]
	global_load_u8 v2, v5, s[16:17]
	v_add_nc_u32_e32 v0, 0x80, v0
	s_wait_loadcnt 0x0
	v_dual_lshlrev_b32 v1, 24, v1 :: v_dual_lshlrev_b32 v2, 24, v2
	s_delay_alu instid0(VALU_DEP_1) | instskip(SKIP_1) | instid1(VALU_DEP_2)
	v_and_b32_e32 v3, 0x7f000000, v1
	s_wait_xcnt 0x0
	v_and_b32_e32 v5, 0x7f000000, v2
	s_delay_alu instid0(VALU_DEP_2) | instskip(NEXT) | instid1(VALU_DEP_2)
	v_clz_i32_u32_e32 v6, v3
	v_clz_i32_u32_e32 v7, v5
	v_cmp_ne_u32_e32 vcc_lo, 0, v3
	v_add_nc_u32_e32 v10, 0x1000000, v3
	s_delay_alu instid0(VALU_DEP_4) | instskip(NEXT) | instid1(VALU_DEP_4)
	v_min_u32_e32 v6, 32, v6
	v_min_u32_e32 v7, 32, v7
	s_delay_alu instid0(VALU_DEP_2) | instskip(NEXT) | instid1(VALU_DEP_2)
	v_sub_nc_u32_e64 v6, v6, 4 clamp
	v_sub_nc_u32_e64 v7, v7, 4 clamp
	s_delay_alu instid0(VALU_DEP_1) | instskip(SKIP_1) | instid1(VALU_DEP_2)
	v_dual_lshlrev_b32 v8, v6, v3 :: v_dual_lshlrev_b32 v9, v7, v5
	v_dual_lshlrev_b32 v6, 23, v6 :: v_dual_lshlrev_b32 v7, 23, v7
	v_dual_lshrrev_b32 v8, 4, v8 :: v_dual_lshrrev_b32 v9, 4, v9
	s_delay_alu instid0(VALU_DEP_1) | instskip(SKIP_1) | instid1(VALU_DEP_2)
	v_dual_sub_nc_u32 v6, v8, v6 :: v_dual_sub_nc_u32 v7, v9, v7
	v_ashrrev_i32_e32 v9, 8, v10
	v_add_nc_u32_e32 v6, 0x3c000000, v6
	s_delay_alu instid0(VALU_DEP_3) | instskip(NEXT) | instid1(VALU_DEP_2)
	v_add_nc_u32_e32 v7, 0x3c000000, v7
	v_and_or_b32 v6, 0x7f800000, v9, v6
	s_delay_alu instid0(VALU_DEP_1) | instskip(SKIP_2) | instid1(VALU_DEP_3)
	v_cndmask_b32_e32 v3, 0, v6, vcc_lo
	v_cmp_ne_u32_e32 vcc_lo, 0, v5
	v_add_nc_u32_e32 v8, 0x1000000, v5
	v_and_or_b32 v1, 0x80000000, v1, v3
	s_delay_alu instid0(VALU_DEP_2) | instskip(NEXT) | instid1(VALU_DEP_1)
	v_ashrrev_i32_e32 v8, 8, v8
	v_and_or_b32 v7, 0x7f800000, v8, v7
	s_delay_alu instid0(VALU_DEP_1) | instskip(NEXT) | instid1(VALU_DEP_1)
	v_cndmask_b32_e32 v5, 0, v7, vcc_lo
	v_and_or_b32 v2, 0x80000000, v2, v5
	s_delay_alu instid0(VALU_DEP_1) | instskip(SKIP_3) | instid1(VALU_DEP_1)
	v_cmp_eq_f32_e32 vcc_lo, v1, v2
	v_cndmask_b32_e64 v3, 0, 1, vcc_lo
	v_cmp_neq_f32_e32 vcc_lo, v1, v2
	v_cndmask_b32_e64 v1, 0, 1, vcc_lo
	v_cndmask_b32_e64 v1, v1, v3, s0
	s_delay_alu instid0(VALU_DEP_1) | instskip(SKIP_3) | instid1(SALU_CYCLE_1)
	v_and_b32_e32 v1, 1, v1
	global_store_b8 v4, v1, s[4:5]
	s_wait_xcnt 0x0
	s_or_b32 exec_lo, exec_lo, s9
	s_mov_b32 s9, exec_lo
	v_cmpx_gt_i32_e64 s33, v0
	s_cbranch_execz .LBB272_8
.LBB272_81:
	s_and_not1_b32 vcc_lo, exec_lo, s28
	s_cbranch_vccnz .LBB272_87
; %bb.82:
	s_and_not1_b32 vcc_lo, exec_lo, s34
	s_cbranch_vccnz .LBB272_88
; %bb.83:
	v_dual_mov_b32 v4, 0 :: v_dual_mov_b32 v1, v0
	v_dual_mov_b32 v6, 0 :: v_dual_mov_b32 v5, 0
	s_add_co_i32 s35, s31, 1
	s_mov_b64 s[18:19], 0xffffffffffffffe8
	s_and_b32 s35, s35, 30
	s_add_nc_u64 s[18:19], s[20:21], s[18:19]
.LBB272_84:                             ; =>This Inner Loop Header: Depth=1
	s_clause 0x1
	s_load_b128 s[36:39], s[18:19], 0x1c
	s_load_b64 s[44:45], s[18:19], 0x2c
	s_add_co_i32 s35, s35, -2
	s_delay_alu instid0(SALU_CYCLE_1) | instskip(SKIP_2) | instid1(VALU_DEP_1)
	s_cmp_eq_u32 s35, 0
	s_wait_kmcnt 0x0
	v_mul_hi_u32 v2, s37, v1
	v_add_nc_u32_e32 v2, v1, v2
	s_delay_alu instid0(VALU_DEP_1) | instskip(NEXT) | instid1(VALU_DEP_1)
	v_lshrrev_b32_e32 v2, s38, v2
	v_mul_hi_u32 v3, s44, v2
	v_mul_lo_u32 v7, v2, s36
	s_clause 0x1
	s_load_b128 s[40:43], s[18:19], 0xdc
	s_load_b64 s[36:37], s[18:19], 0xec
	s_wait_xcnt 0x0
	s_add_nc_u64 s[18:19], s[18:19], 24
	s_delay_alu instid0(VALU_DEP_2) | instskip(NEXT) | instid1(VALU_DEP_2)
	v_add_nc_u32_e32 v3, v2, v3
	v_sub_nc_u32_e32 v7, v1, v7
	s_delay_alu instid0(VALU_DEP_2) | instskip(SKIP_1) | instid1(VALU_DEP_2)
	v_lshrrev_b32_e32 v1, s45, v3
	s_wait_kmcnt 0x0
	v_mad_u32 v4, v7, s40, v4
	s_delay_alu instid0(VALU_DEP_2) | instskip(SKIP_2) | instid1(VALU_DEP_3)
	v_mul_lo_u32 v3, v1, s39
	v_mad_u32 v5, v7, s42, v5
	v_mad_u32 v6, v7, s41, v6
	v_sub_nc_u32_e32 v2, v2, v3
	s_delay_alu instid0(VALU_DEP_1) | instskip(NEXT) | instid1(VALU_DEP_4)
	v_mad_u32 v4, v2, s43, v4
	v_mad_u32 v5, v2, s37, v5
	s_delay_alu instid0(VALU_DEP_4)
	v_mad_u32 v6, v2, s36, v6
	s_cbranch_scc0 .LBB272_84
; %bb.85:
	s_bitcmp1_b32 s31, 0
	s_cselect_b32 s35, -1, 0
	s_delay_alu instid0(SALU_CYCLE_1)
	s_and_b32 vcc_lo, exec_lo, s35
	s_cbranch_vccnz .LBB272_89
; %bb.86:
	s_clause 0x1
	s_load_b96 s[36:38], s[18:19], 0x1c
	s_load_b96 s[40:42], s[18:19], 0xdc
	s_wait_kmcnt 0x0
	v_mul_hi_u32 v2, s37, v1
	s_delay_alu instid0(VALU_DEP_1) | instskip(NEXT) | instid1(VALU_DEP_1)
	v_add_nc_u32_e32 v2, v1, v2
	v_lshrrev_b32_e32 v2, s38, v2
	s_delay_alu instid0(VALU_DEP_1) | instskip(NEXT) | instid1(VALU_DEP_1)
	v_mul_lo_u32 v2, v2, s36
	v_sub_nc_u32_e32 v1, v1, v2
	s_delay_alu instid0(VALU_DEP_1)
	v_mad_u32 v4, v1, s40, v4
	v_mad_u32 v6, v1, s41, v6
	;; [unrolled: 1-line block ×3, first 2 shown]
	s_branch .LBB272_89
.LBB272_87:
                                        ; implicit-def: $vgpr5
                                        ; implicit-def: $vgpr6
                                        ; implicit-def: $vgpr4
	s_branch .LBB272_90
.LBB272_88:
	v_dual_mov_b32 v5, 0 :: v_dual_mov_b32 v6, 0
	v_mov_b32_e32 v4, 0
.LBB272_89:
	s_cbranch_execnz .LBB272_92
.LBB272_90:
	v_mov_b32_e32 v1, 0
	s_and_not1_b32 vcc_lo, exec_lo, s30
	s_delay_alu instid0(VALU_DEP_1) | instskip(NEXT) | instid1(VALU_DEP_1)
	v_mul_u64_e32 v[2:3], s[2:3], v[0:1]
	v_add_nc_u32_e32 v2, v0, v3
	s_delay_alu instid0(VALU_DEP_1) | instskip(NEXT) | instid1(VALU_DEP_1)
	v_lshrrev_b32_e32 v2, s10, v2
	v_mul_lo_u32 v3, v2, s8
	s_delay_alu instid0(VALU_DEP_1) | instskip(NEXT) | instid1(VALU_DEP_1)
	v_sub_nc_u32_e32 v3, v0, v3
	v_mul_lo_u32 v4, v3, s12
	v_mul_lo_u32 v5, v3, s14
	v_mul_lo_u32 v6, v3, s13
	s_cbranch_vccnz .LBB272_92
; %bb.91:
	v_mov_b32_e32 v3, v1
	s_delay_alu instid0(VALU_DEP_1) | instskip(NEXT) | instid1(VALU_DEP_1)
	v_mul_u64_e32 v[8:9], s[24:25], v[2:3]
	v_add_nc_u32_e32 v1, v2, v9
	s_delay_alu instid0(VALU_DEP_1) | instskip(NEXT) | instid1(VALU_DEP_1)
	v_lshrrev_b32_e32 v1, s1, v1
	v_mul_lo_u32 v1, v1, s11
	s_delay_alu instid0(VALU_DEP_1) | instskip(NEXT) | instid1(VALU_DEP_1)
	v_sub_nc_u32_e32 v1, v2, v1
	v_mad_u32 v4, v1, s15, v4
	v_mad_u32 v6, v1, s22, v6
	;; [unrolled: 1-line block ×3, first 2 shown]
.LBB272_92:
	global_load_u8 v1, v6, s[6:7]
	global_load_u8 v2, v5, s[16:17]
	v_add_nc_u32_e32 v0, 0x80, v0
	s_wait_loadcnt 0x0
	v_dual_lshlrev_b32 v1, 24, v1 :: v_dual_lshlrev_b32 v2, 24, v2
	s_delay_alu instid0(VALU_DEP_1) | instskip(SKIP_1) | instid1(VALU_DEP_2)
	v_and_b32_e32 v3, 0x7f000000, v1
	s_wait_xcnt 0x0
	v_and_b32_e32 v5, 0x7f000000, v2
	s_delay_alu instid0(VALU_DEP_2) | instskip(NEXT) | instid1(VALU_DEP_2)
	v_clz_i32_u32_e32 v6, v3
	v_clz_i32_u32_e32 v7, v5
	v_cmp_ne_u32_e32 vcc_lo, 0, v3
	v_add_nc_u32_e32 v10, 0x1000000, v3
	s_delay_alu instid0(VALU_DEP_4) | instskip(NEXT) | instid1(VALU_DEP_4)
	v_min_u32_e32 v6, 32, v6
	v_min_u32_e32 v7, 32, v7
	s_delay_alu instid0(VALU_DEP_2) | instskip(NEXT) | instid1(VALU_DEP_2)
	v_sub_nc_u32_e64 v6, v6, 4 clamp
	v_sub_nc_u32_e64 v7, v7, 4 clamp
	s_delay_alu instid0(VALU_DEP_1) | instskip(SKIP_1) | instid1(VALU_DEP_2)
	v_dual_lshlrev_b32 v8, v6, v3 :: v_dual_lshlrev_b32 v9, v7, v5
	v_dual_lshlrev_b32 v6, 23, v6 :: v_dual_lshlrev_b32 v7, 23, v7
	v_dual_lshrrev_b32 v8, 4, v8 :: v_dual_lshrrev_b32 v9, 4, v9
	s_delay_alu instid0(VALU_DEP_1) | instskip(SKIP_1) | instid1(VALU_DEP_2)
	v_dual_sub_nc_u32 v6, v8, v6 :: v_dual_sub_nc_u32 v7, v9, v7
	v_ashrrev_i32_e32 v9, 8, v10
	v_add_nc_u32_e32 v6, 0x3c000000, v6
	s_delay_alu instid0(VALU_DEP_3) | instskip(NEXT) | instid1(VALU_DEP_2)
	v_add_nc_u32_e32 v7, 0x3c000000, v7
	v_and_or_b32 v6, 0x7f800000, v9, v6
	s_delay_alu instid0(VALU_DEP_1) | instskip(SKIP_2) | instid1(VALU_DEP_3)
	v_cndmask_b32_e32 v3, 0, v6, vcc_lo
	v_cmp_ne_u32_e32 vcc_lo, 0, v5
	v_add_nc_u32_e32 v8, 0x1000000, v5
	v_and_or_b32 v1, 0x80000000, v1, v3
	s_delay_alu instid0(VALU_DEP_2) | instskip(NEXT) | instid1(VALU_DEP_1)
	v_ashrrev_i32_e32 v8, 8, v8
	v_and_or_b32 v7, 0x7f800000, v8, v7
	s_delay_alu instid0(VALU_DEP_1) | instskip(NEXT) | instid1(VALU_DEP_1)
	v_cndmask_b32_e32 v5, 0, v7, vcc_lo
	v_and_or_b32 v2, 0x80000000, v2, v5
	s_delay_alu instid0(VALU_DEP_1) | instskip(SKIP_3) | instid1(VALU_DEP_1)
	v_cmp_eq_f32_e32 vcc_lo, v1, v2
	v_cndmask_b32_e64 v3, 0, 1, vcc_lo
	v_cmp_neq_f32_e32 vcc_lo, v1, v2
	v_cndmask_b32_e64 v1, 0, 1, vcc_lo
	v_cndmask_b32_e64 v1, v1, v3, s0
	s_delay_alu instid0(VALU_DEP_1) | instskip(SKIP_3) | instid1(SALU_CYCLE_1)
	v_and_b32_e32 v1, 1, v1
	global_store_b8 v4, v1, s[4:5]
	s_wait_xcnt 0x0
	s_or_b32 exec_lo, exec_lo, s9
	s_mov_b32 s9, exec_lo
	v_cmpx_gt_i32_e64 s33, v0
	s_cbranch_execz .LBB272_105
.LBB272_93:
	s_and_not1_b32 vcc_lo, exec_lo, s28
	s_cbranch_vccnz .LBB272_99
; %bb.94:
	s_and_not1_b32 vcc_lo, exec_lo, s34
	s_cbranch_vccnz .LBB272_100
; %bb.95:
	v_dual_mov_b32 v4, 0 :: v_dual_mov_b32 v1, v0
	v_dual_mov_b32 v6, 0 :: v_dual_mov_b32 v5, 0
	s_add_co_i32 s33, s31, 1
	s_mov_b64 s[18:19], 0xffffffffffffffe8
	s_and_b32 s33, s33, 30
	s_add_nc_u64 s[18:19], s[20:21], s[18:19]
.LBB272_96:                             ; =>This Inner Loop Header: Depth=1
	s_clause 0x1
	s_load_b128 s[36:39], s[18:19], 0x1c
	s_load_b64 s[34:35], s[18:19], 0x2c
	s_add_co_i32 s33, s33, -2
	s_delay_alu instid0(SALU_CYCLE_1) | instskip(SKIP_2) | instid1(VALU_DEP_1)
	s_cmp_eq_u32 s33, 0
	s_wait_kmcnt 0x0
	v_mul_hi_u32 v2, s37, v1
	v_add_nc_u32_e32 v2, v1, v2
	s_delay_alu instid0(VALU_DEP_1) | instskip(NEXT) | instid1(VALU_DEP_1)
	v_lshrrev_b32_e32 v2, s38, v2
	v_mul_hi_u32 v3, s34, v2
	v_mul_lo_u32 v7, v2, s36
	s_clause 0x1
	s_load_b128 s[40:43], s[18:19], 0xdc
	s_load_b64 s[36:37], s[18:19], 0xec
	s_wait_xcnt 0x0
	s_add_nc_u64 s[18:19], s[18:19], 24
	s_delay_alu instid0(VALU_DEP_2) | instskip(NEXT) | instid1(VALU_DEP_2)
	v_add_nc_u32_e32 v3, v2, v3
	v_sub_nc_u32_e32 v7, v1, v7
	s_delay_alu instid0(VALU_DEP_2) | instskip(SKIP_1) | instid1(VALU_DEP_2)
	v_lshrrev_b32_e32 v1, s35, v3
	s_wait_kmcnt 0x0
	v_mad_u32 v4, v7, s40, v4
	s_delay_alu instid0(VALU_DEP_2) | instskip(SKIP_2) | instid1(VALU_DEP_3)
	v_mul_lo_u32 v3, v1, s39
	v_mad_u32 v5, v7, s42, v5
	v_mad_u32 v6, v7, s41, v6
	v_sub_nc_u32_e32 v2, v2, v3
	s_delay_alu instid0(VALU_DEP_1) | instskip(NEXT) | instid1(VALU_DEP_4)
	v_mad_u32 v4, v2, s43, v4
	v_mad_u32 v5, v2, s37, v5
	s_delay_alu instid0(VALU_DEP_4)
	v_mad_u32 v6, v2, s36, v6
	s_cbranch_scc0 .LBB272_96
; %bb.97:
	s_bitcmp1_b32 s31, 0
	s_cselect_b32 s31, -1, 0
	s_delay_alu instid0(SALU_CYCLE_1)
	s_and_b32 vcc_lo, exec_lo, s31
	s_cbranch_vccnz .LBB272_101
; %bb.98:
	s_clause 0x1
	s_load_b96 s[36:38], s[18:19], 0x1c
	s_load_b96 s[40:42], s[18:19], 0xdc
	s_wait_kmcnt 0x0
	v_mul_hi_u32 v2, s37, v1
	s_delay_alu instid0(VALU_DEP_1) | instskip(NEXT) | instid1(VALU_DEP_1)
	v_add_nc_u32_e32 v2, v1, v2
	v_lshrrev_b32_e32 v2, s38, v2
	s_delay_alu instid0(VALU_DEP_1) | instskip(NEXT) | instid1(VALU_DEP_1)
	v_mul_lo_u32 v2, v2, s36
	v_sub_nc_u32_e32 v1, v1, v2
	s_delay_alu instid0(VALU_DEP_1)
	v_mad_u32 v4, v1, s40, v4
	v_mad_u32 v6, v1, s41, v6
	;; [unrolled: 1-line block ×3, first 2 shown]
	s_branch .LBB272_101
.LBB272_99:
                                        ; implicit-def: $vgpr5
                                        ; implicit-def: $vgpr6
                                        ; implicit-def: $vgpr4
	s_branch .LBB272_102
.LBB272_100:
	v_dual_mov_b32 v5, 0 :: v_dual_mov_b32 v6, 0
	v_mov_b32_e32 v4, 0
.LBB272_101:
	s_cbranch_execnz .LBB272_104
.LBB272_102:
	v_mov_b32_e32 v1, 0
	s_and_not1_b32 vcc_lo, exec_lo, s30
	s_delay_alu instid0(VALU_DEP_1) | instskip(NEXT) | instid1(VALU_DEP_1)
	v_mul_u64_e32 v[2:3], s[2:3], v[0:1]
	v_add_nc_u32_e32 v2, v0, v3
	s_delay_alu instid0(VALU_DEP_1) | instskip(NEXT) | instid1(VALU_DEP_1)
	v_lshrrev_b32_e32 v2, s10, v2
	v_mul_lo_u32 v3, v2, s8
	s_delay_alu instid0(VALU_DEP_1) | instskip(NEXT) | instid1(VALU_DEP_1)
	v_sub_nc_u32_e32 v0, v0, v3
	v_mul_lo_u32 v4, v0, s12
	v_mul_lo_u32 v5, v0, s14
	;; [unrolled: 1-line block ×3, first 2 shown]
	s_cbranch_vccnz .LBB272_104
; %bb.103:
	v_mov_b32_e32 v3, v1
	s_delay_alu instid0(VALU_DEP_1) | instskip(NEXT) | instid1(VALU_DEP_1)
	v_mul_u64_e32 v[0:1], s[24:25], v[2:3]
	v_add_nc_u32_e32 v0, v2, v1
	s_delay_alu instid0(VALU_DEP_1) | instskip(NEXT) | instid1(VALU_DEP_1)
	v_lshrrev_b32_e32 v0, s1, v0
	v_mul_lo_u32 v0, v0, s11
	s_delay_alu instid0(VALU_DEP_1) | instskip(NEXT) | instid1(VALU_DEP_1)
	v_sub_nc_u32_e32 v0, v2, v0
	v_mad_u32 v4, v0, s15, v4
	v_mad_u32 v6, v0, s22, v6
	v_mad_u32 v5, v0, s23, v5
.LBB272_104:
	global_load_u8 v0, v6, s[6:7]
	global_load_u8 v1, v5, s[16:17]
	s_wait_loadcnt 0x0
	v_dual_lshlrev_b32 v0, 24, v0 :: v_dual_lshlrev_b32 v1, 24, v1
	s_delay_alu instid0(VALU_DEP_1) | instskip(NEXT) | instid1(VALU_DEP_2)
	v_and_b32_e32 v2, 0x7f000000, v0
	v_and_b32_e32 v3, 0x7f000000, v1
	s_wait_xcnt 0x0
	s_delay_alu instid0(VALU_DEP_2) | instskip(NEXT) | instid1(VALU_DEP_2)
	v_clz_i32_u32_e32 v5, v2
	v_clz_i32_u32_e32 v6, v3
	v_cmp_ne_u32_e32 vcc_lo, 0, v2
	v_add_nc_u32_e32 v9, 0x1000000, v2
	s_delay_alu instid0(VALU_DEP_4) | instskip(NEXT) | instid1(VALU_DEP_4)
	v_min_u32_e32 v5, 32, v5
	v_min_u32_e32 v6, 32, v6
	s_delay_alu instid0(VALU_DEP_2) | instskip(NEXT) | instid1(VALU_DEP_2)
	v_sub_nc_u32_e64 v5, v5, 4 clamp
	v_sub_nc_u32_e64 v6, v6, 4 clamp
	s_delay_alu instid0(VALU_DEP_1) | instskip(SKIP_1) | instid1(VALU_DEP_2)
	v_dual_lshlrev_b32 v7, v5, v2 :: v_dual_lshlrev_b32 v8, v6, v3
	v_dual_lshlrev_b32 v5, 23, v5 :: v_dual_lshlrev_b32 v6, 23, v6
	v_dual_lshrrev_b32 v7, 4, v7 :: v_dual_lshrrev_b32 v8, 4, v8
	s_delay_alu instid0(VALU_DEP_1) | instskip(SKIP_2) | instid1(VALU_DEP_3)
	v_dual_sub_nc_u32 v5, v7, v5 :: v_dual_sub_nc_u32 v6, v8, v6
	v_add_nc_u32_e32 v7, 0x1000000, v3
	v_ashrrev_i32_e32 v8, 8, v9
	v_add_nc_u32_e32 v5, 0x3c000000, v5
	s_delay_alu instid0(VALU_DEP_4) | instskip(NEXT) | instid1(VALU_DEP_4)
	v_add_nc_u32_e32 v6, 0x3c000000, v6
	v_ashrrev_i32_e32 v7, 8, v7
	s_delay_alu instid0(VALU_DEP_3) | instskip(NEXT) | instid1(VALU_DEP_2)
	v_and_or_b32 v5, 0x7f800000, v8, v5
	v_and_or_b32 v6, 0x7f800000, v7, v6
	s_delay_alu instid0(VALU_DEP_2) | instskip(SKIP_1) | instid1(VALU_DEP_2)
	v_cndmask_b32_e32 v2, 0, v5, vcc_lo
	v_cmp_ne_u32_e32 vcc_lo, 0, v3
	v_and_or_b32 v0, 0x80000000, v0, v2
	s_delay_alu instid0(VALU_DEP_4) | instskip(NEXT) | instid1(VALU_DEP_1)
	v_cndmask_b32_e32 v3, 0, v6, vcc_lo
	v_and_or_b32 v1, 0x80000000, v1, v3
	s_delay_alu instid0(VALU_DEP_1) | instskip(SKIP_3) | instid1(VALU_DEP_1)
	v_cmp_eq_f32_e32 vcc_lo, v0, v1
	v_cndmask_b32_e64 v2, 0, 1, vcc_lo
	v_cmp_neq_f32_e32 vcc_lo, v0, v1
	v_cndmask_b32_e64 v0, 0, 1, vcc_lo
	v_cndmask_b32_e64 v0, v0, v2, s0
	s_delay_alu instid0(VALU_DEP_1)
	v_and_b32_e32 v0, 1, v0
	global_store_b8 v4, v0, s[4:5]
.LBB272_105:
	s_wait_xcnt 0x0
	s_or_b32 exec_lo, exec_lo, s9
                                        ; implicit-def: $vgpr9
                                        ; implicit-def: $vgpr0
.LBB272_106:
	s_and_not1_saveexec_b32 s0, s29
	s_cbranch_execz .LBB272_113
; %bb.107:
	v_cndmask_b32_e64 v12, 0, 1, s28
	s_and_not1_b32 vcc_lo, exec_lo, s28
	s_cbranch_vccnz .LBB272_114
; %bb.108:
	s_cmp_lg_u32 s26, 0
	s_mov_b32 s2, 0
	s_cbranch_scc0 .LBB272_118
; %bb.109:
	s_min_u32 s3, s27, 15
	v_dual_mov_b32 v1, 0 :: v_dual_mov_b32 v2, v0
	v_dual_mov_b32 v3, 0 :: v_dual_mov_b32 v4, 0
	s_add_co_i32 s4, s3, 1
	s_mov_b64 s[0:1], 0xffffffffffffffe8
	s_and_b32 s4, s4, 30
	s_add_nc_u64 s[0:1], s[20:21], s[0:1]
.LBB272_110:                            ; =>This Inner Loop Header: Depth=1
	s_clause 0x1
	s_load_b128 s[8:11], s[0:1], 0x1c
	s_load_b64 s[6:7], s[0:1], 0x2c
	s_add_co_i32 s4, s4, -2
	s_delay_alu instid0(SALU_CYCLE_1) | instskip(SKIP_2) | instid1(VALU_DEP_1)
	s_cmp_lg_u32 s4, 0
	s_wait_kmcnt 0x0
	v_mul_hi_u32 v5, s9, v2
	v_add_nc_u32_e32 v5, v2, v5
	s_delay_alu instid0(VALU_DEP_1) | instskip(NEXT) | instid1(VALU_DEP_1)
	v_lshrrev_b32_e32 v5, s10, v5
	v_mul_hi_u32 v6, s6, v5
	v_mul_lo_u32 v7, v5, s8
	s_clause 0x1
	s_load_b128 s[12:15], s[0:1], 0xdc
	s_load_b64 s[8:9], s[0:1], 0xec
	s_wait_xcnt 0x0
	s_add_nc_u64 s[0:1], s[0:1], 24
	s_delay_alu instid0(VALU_DEP_1) | instskip(NEXT) | instid1(VALU_DEP_1)
	v_dual_add_nc_u32 v6, v5, v6 :: v_dual_sub_nc_u32 v7, v2, v7
	v_lshrrev_b32_e32 v2, s7, v6
	s_wait_kmcnt 0x0
	s_delay_alu instid0(VALU_DEP_2) | instskip(NEXT) | instid1(VALU_DEP_2)
	v_mad_u32 v1, v7, s12, v1
	v_mul_lo_u32 v6, v2, s11
	v_mad_u32 v4, v7, s14, v4
	v_mad_u32 v3, v7, s13, v3
	s_delay_alu instid0(VALU_DEP_3) | instskip(NEXT) | instid1(VALU_DEP_1)
	v_sub_nc_u32_e32 v5, v5, v6
	v_mad_u32 v1, v5, s15, v1
	s_delay_alu instid0(VALU_DEP_4) | instskip(NEXT) | instid1(VALU_DEP_4)
	v_mad_u32 v4, v5, s9, v4
	v_mad_u32 v3, v5, s8, v3
	s_cbranch_scc1 .LBB272_110
; %bb.111:
	s_bitcmp1_b32 s3, 0
	s_cselect_b32 s3, -1, 0
	s_delay_alu instid0(SALU_CYCLE_1)
	s_and_b32 vcc_lo, exec_lo, s3
	s_cbranch_vccnz .LBB272_115
; %bb.112:
	s_clause 0x1
	s_load_b96 s[4:6], s[0:1], 0x1c
	s_load_b96 s[8:10], s[0:1], 0xdc
	s_wait_kmcnt 0x0
	v_mul_hi_u32 v5, s5, v2
	s_delay_alu instid0(VALU_DEP_1) | instskip(NEXT) | instid1(VALU_DEP_1)
	v_add_nc_u32_e32 v5, v2, v5
	v_lshrrev_b32_e32 v5, s6, v5
	s_delay_alu instid0(VALU_DEP_1) | instskip(NEXT) | instid1(VALU_DEP_1)
	v_mul_lo_u32 v5, v5, s4
	v_sub_nc_u32_e32 v2, v2, v5
	s_delay_alu instid0(VALU_DEP_1)
	v_mad_u32 v1, v2, s8, v1
	v_mad_u32 v3, v2, s9, v3
	;; [unrolled: 1-line block ×3, first 2 shown]
	s_and_not1_b32 vcc_lo, exec_lo, s2
	s_cbranch_vccz .LBB272_116
	s_branch .LBB272_119
.LBB272_113:
	s_endpgm
.LBB272_114:
	s_mov_b32 s2, -1
                                        ; implicit-def: $vgpr4
                                        ; implicit-def: $vgpr3
                                        ; implicit-def: $vgpr1
.LBB272_115:
	s_delay_alu instid0(SALU_CYCLE_1)
	s_and_not1_b32 vcc_lo, exec_lo, s2
	s_cbranch_vccnz .LBB272_119
.LBB272_116:
	s_clause 0x1
	s_load_b96 s[0:2], s[20:21], 0x4
	s_load_b96 s[4:6], s[20:21], 0xc4
	s_cmp_lt_u32 s26, 2
	s_wait_kmcnt 0x0
	v_mul_hi_u32 v1, s1, v0
	s_delay_alu instid0(VALU_DEP_1) | instskip(NEXT) | instid1(VALU_DEP_1)
	v_add_nc_u32_e32 v1, v0, v1
	v_lshrrev_b32_e32 v2, s2, v1
	s_delay_alu instid0(VALU_DEP_1) | instskip(NEXT) | instid1(VALU_DEP_1)
	v_mul_lo_u32 v1, v2, s0
	v_sub_nc_u32_e32 v3, v0, v1
	s_delay_alu instid0(VALU_DEP_1)
	v_mul_lo_u32 v1, v3, s4
	v_mul_lo_u32 v4, v3, s6
	;; [unrolled: 1-line block ×3, first 2 shown]
	s_cbranch_scc1 .LBB272_119
; %bb.117:
	s_clause 0x1
	s_load_b96 s[0:2], s[20:21], 0x10
	s_load_b96 s[4:6], s[20:21], 0xd0
	s_wait_kmcnt 0x0
	v_mul_hi_u32 v5, s1, v2
	s_delay_alu instid0(VALU_DEP_1) | instskip(NEXT) | instid1(VALU_DEP_1)
	v_add_nc_u32_e32 v5, v2, v5
	v_lshrrev_b32_e32 v5, s2, v5
	s_delay_alu instid0(VALU_DEP_1) | instskip(NEXT) | instid1(VALU_DEP_1)
	v_mul_lo_u32 v5, v5, s0
	v_sub_nc_u32_e32 v2, v2, v5
	s_delay_alu instid0(VALU_DEP_1)
	v_mad_u32 v1, v2, s4, v1
	v_mad_u32 v3, v2, s5, v3
	;; [unrolled: 1-line block ×3, first 2 shown]
	s_branch .LBB272_119
.LBB272_118:
	v_dual_mov_b32 v4, 0 :: v_dual_mov_b32 v3, 0
	v_mov_b32_e32 v1, 0
	s_and_not1_b32 vcc_lo, exec_lo, s2
	s_cbranch_vccz .LBB272_116
.LBB272_119:
	v_cmp_ne_u32_e32 vcc_lo, 1, v12
	v_add_nc_u32_e32 v5, 0x80, v0
	s_cbranch_vccnz .LBB272_125
; %bb.120:
	s_cmp_lg_u32 s26, 0
	s_mov_b32 s2, 0
	s_cbranch_scc0 .LBB272_129
; %bb.121:
	s_min_u32 s3, s27, 15
	v_dual_mov_b32 v2, 0 :: v_dual_mov_b32 v8, v5
	v_dual_mov_b32 v7, 0 :: v_dual_mov_b32 v6, 0
	s_add_co_i32 s4, s3, 1
	s_mov_b64 s[0:1], 0xffffffffffffffe8
	s_and_b32 s4, s4, 30
	s_add_nc_u64 s[0:1], s[20:21], s[0:1]
.LBB272_122:                            ; =>This Inner Loop Header: Depth=1
	s_clause 0x1
	s_load_b128 s[8:11], s[0:1], 0x1c
	s_load_b64 s[6:7], s[0:1], 0x2c
	s_add_co_i32 s4, s4, -2
	s_delay_alu instid0(SALU_CYCLE_1) | instskip(SKIP_2) | instid1(VALU_DEP_1)
	s_cmp_lg_u32 s4, 0
	s_wait_kmcnt 0x0
	v_mul_hi_u32 v10, s9, v8
	v_add_nc_u32_e32 v10, v8, v10
	s_delay_alu instid0(VALU_DEP_1) | instskip(NEXT) | instid1(VALU_DEP_1)
	v_lshrrev_b32_e32 v10, s10, v10
	v_mul_hi_u32 v11, s6, v10
	v_mul_lo_u32 v13, v10, s8
	s_clause 0x1
	s_load_b128 s[12:15], s[0:1], 0xdc
	s_load_b64 s[8:9], s[0:1], 0xec
	s_wait_xcnt 0x0
	s_add_nc_u64 s[0:1], s[0:1], 24
	s_delay_alu instid0(VALU_DEP_1) | instskip(NEXT) | instid1(VALU_DEP_1)
	v_dual_add_nc_u32 v11, v10, v11 :: v_dual_sub_nc_u32 v13, v8, v13
	v_lshrrev_b32_e32 v8, s7, v11
	s_wait_kmcnt 0x0
	s_delay_alu instid0(VALU_DEP_2) | instskip(NEXT) | instid1(VALU_DEP_2)
	v_mad_u32 v2, v13, s12, v2
	v_mul_lo_u32 v11, v8, s11
	v_mad_u32 v6, v13, s14, v6
	v_mad_u32 v7, v13, s13, v7
	s_delay_alu instid0(VALU_DEP_3) | instskip(NEXT) | instid1(VALU_DEP_1)
	v_sub_nc_u32_e32 v10, v10, v11
	v_mad_u32 v2, v10, s15, v2
	s_delay_alu instid0(VALU_DEP_4) | instskip(NEXT) | instid1(VALU_DEP_4)
	v_mad_u32 v6, v10, s9, v6
	v_mad_u32 v7, v10, s8, v7
	s_cbranch_scc1 .LBB272_122
; %bb.123:
	s_bitcmp1_b32 s3, 0
	s_cselect_b32 s3, -1, 0
	s_delay_alu instid0(SALU_CYCLE_1)
	s_and_b32 vcc_lo, exec_lo, s3
	s_cbranch_vccnz .LBB272_126
; %bb.124:
	s_clause 0x1
	s_load_b96 s[4:6], s[0:1], 0x1c
	s_load_b96 s[8:10], s[0:1], 0xdc
	s_wait_kmcnt 0x0
	v_mul_hi_u32 v10, s5, v8
	s_delay_alu instid0(VALU_DEP_1) | instskip(NEXT) | instid1(VALU_DEP_1)
	v_add_nc_u32_e32 v10, v8, v10
	v_lshrrev_b32_e32 v10, s6, v10
	s_delay_alu instid0(VALU_DEP_1) | instskip(NEXT) | instid1(VALU_DEP_1)
	v_mul_lo_u32 v10, v10, s4
	v_sub_nc_u32_e32 v8, v8, v10
	s_delay_alu instid0(VALU_DEP_1)
	v_mad_u32 v2, v8, s8, v2
	v_mad_u32 v7, v8, s9, v7
	;; [unrolled: 1-line block ×3, first 2 shown]
	s_and_not1_b32 vcc_lo, exec_lo, s2
	s_cbranch_vccz .LBB272_127
	s_branch .LBB272_130
.LBB272_125:
	s_mov_b32 s2, -1
                                        ; implicit-def: $vgpr6
                                        ; implicit-def: $vgpr7
                                        ; implicit-def: $vgpr2
.LBB272_126:
	s_delay_alu instid0(SALU_CYCLE_1)
	s_and_not1_b32 vcc_lo, exec_lo, s2
	s_cbranch_vccnz .LBB272_130
.LBB272_127:
	s_clause 0x1
	s_load_b96 s[0:2], s[20:21], 0x4
	s_load_b96 s[4:6], s[20:21], 0xc4
	s_cmp_lt_u32 s26, 2
	s_wait_kmcnt 0x0
	v_mul_hi_u32 v2, s1, v5
	s_delay_alu instid0(VALU_DEP_1) | instskip(NEXT) | instid1(VALU_DEP_1)
	v_add_nc_u32_e32 v2, v5, v2
	v_lshrrev_b32_e32 v8, s2, v2
	s_delay_alu instid0(VALU_DEP_1) | instskip(NEXT) | instid1(VALU_DEP_1)
	v_mul_lo_u32 v2, v8, s0
	v_sub_nc_u32_e32 v5, v5, v2
	s_delay_alu instid0(VALU_DEP_1)
	v_mul_lo_u32 v2, v5, s4
	v_mul_lo_u32 v6, v5, s6
	;; [unrolled: 1-line block ×3, first 2 shown]
	s_cbranch_scc1 .LBB272_130
; %bb.128:
	s_clause 0x1
	s_load_b96 s[0:2], s[20:21], 0x10
	s_load_b96 s[4:6], s[20:21], 0xd0
	s_wait_kmcnt 0x0
	v_mul_hi_u32 v5, s1, v8
	s_delay_alu instid0(VALU_DEP_1) | instskip(NEXT) | instid1(VALU_DEP_1)
	v_add_nc_u32_e32 v5, v8, v5
	v_lshrrev_b32_e32 v5, s2, v5
	s_delay_alu instid0(VALU_DEP_1) | instskip(NEXT) | instid1(VALU_DEP_1)
	v_mul_lo_u32 v5, v5, s0
	v_sub_nc_u32_e32 v5, v8, v5
	s_delay_alu instid0(VALU_DEP_1)
	v_mad_u32 v2, v5, s4, v2
	v_mad_u32 v7, v5, s5, v7
	;; [unrolled: 1-line block ×3, first 2 shown]
	s_branch .LBB272_130
.LBB272_129:
	v_dual_mov_b32 v6, 0 :: v_dual_mov_b32 v7, 0
	v_mov_b32_e32 v2, 0
	s_and_not1_b32 vcc_lo, exec_lo, s2
	s_cbranch_vccz .LBB272_127
.LBB272_130:
	v_cmp_ne_u32_e32 vcc_lo, 1, v12
	v_add_nc_u32_e32 v8, 0x100, v0
	s_cbranch_vccnz .LBB272_136
; %bb.131:
	s_cmp_lg_u32 s26, 0
	s_mov_b32 s2, 0
	s_cbranch_scc0 .LBB272_140
; %bb.132:
	s_min_u32 s3, s27, 15
	v_dual_mov_b32 v5, 0 :: v_dual_mov_b32 v13, v8
	v_dual_mov_b32 v11, 0 :: v_dual_mov_b32 v10, 0
	s_add_co_i32 s4, s3, 1
	s_mov_b64 s[0:1], 0xffffffffffffffe8
	s_and_b32 s4, s4, 30
	s_add_nc_u64 s[0:1], s[20:21], s[0:1]
.LBB272_133:                            ; =>This Inner Loop Header: Depth=1
	s_clause 0x1
	s_load_b128 s[8:11], s[0:1], 0x1c
	s_load_b64 s[6:7], s[0:1], 0x2c
	s_add_co_i32 s4, s4, -2
	s_delay_alu instid0(SALU_CYCLE_1) | instskip(SKIP_2) | instid1(VALU_DEP_1)
	s_cmp_lg_u32 s4, 0
	s_wait_kmcnt 0x0
	v_mul_hi_u32 v14, s9, v13
	v_add_nc_u32_e32 v14, v13, v14
	s_delay_alu instid0(VALU_DEP_1) | instskip(NEXT) | instid1(VALU_DEP_1)
	v_lshrrev_b32_e32 v14, s10, v14
	v_mul_hi_u32 v15, s6, v14
	v_mul_lo_u32 v16, v14, s8
	s_clause 0x1
	s_load_b128 s[12:15], s[0:1], 0xdc
	s_load_b64 s[8:9], s[0:1], 0xec
	s_wait_xcnt 0x0
	s_add_nc_u64 s[0:1], s[0:1], 24
	s_delay_alu instid0(VALU_DEP_1) | instskip(NEXT) | instid1(VALU_DEP_1)
	v_dual_add_nc_u32 v15, v14, v15 :: v_dual_sub_nc_u32 v16, v13, v16
	v_lshrrev_b32_e32 v13, s7, v15
	s_wait_kmcnt 0x0
	s_delay_alu instid0(VALU_DEP_2) | instskip(NEXT) | instid1(VALU_DEP_2)
	v_mad_u32 v5, v16, s12, v5
	v_mul_lo_u32 v15, v13, s11
	v_mad_u32 v10, v16, s14, v10
	v_mad_u32 v11, v16, s13, v11
	s_delay_alu instid0(VALU_DEP_3) | instskip(NEXT) | instid1(VALU_DEP_1)
	v_sub_nc_u32_e32 v14, v14, v15
	v_mad_u32 v5, v14, s15, v5
	s_delay_alu instid0(VALU_DEP_4) | instskip(NEXT) | instid1(VALU_DEP_4)
	v_mad_u32 v10, v14, s9, v10
	v_mad_u32 v11, v14, s8, v11
	s_cbranch_scc1 .LBB272_133
; %bb.134:
	s_bitcmp1_b32 s3, 0
	s_cselect_b32 s3, -1, 0
	s_delay_alu instid0(SALU_CYCLE_1)
	s_and_b32 vcc_lo, exec_lo, s3
	s_cbranch_vccnz .LBB272_137
; %bb.135:
	s_clause 0x1
	s_load_b96 s[4:6], s[0:1], 0x1c
	s_load_b96 s[8:10], s[0:1], 0xdc
	s_wait_kmcnt 0x0
	v_mul_hi_u32 v14, s5, v13
	s_delay_alu instid0(VALU_DEP_1) | instskip(NEXT) | instid1(VALU_DEP_1)
	v_add_nc_u32_e32 v14, v13, v14
	v_lshrrev_b32_e32 v14, s6, v14
	s_delay_alu instid0(VALU_DEP_1) | instskip(NEXT) | instid1(VALU_DEP_1)
	v_mul_lo_u32 v14, v14, s4
	v_sub_nc_u32_e32 v13, v13, v14
	s_delay_alu instid0(VALU_DEP_1)
	v_mad_u32 v5, v13, s8, v5
	v_mad_u32 v11, v13, s9, v11
	v_mad_u32 v10, v13, s10, v10
	s_and_not1_b32 vcc_lo, exec_lo, s2
	s_cbranch_vccz .LBB272_138
	s_branch .LBB272_141
.LBB272_136:
	s_mov_b32 s2, -1
                                        ; implicit-def: $vgpr10
                                        ; implicit-def: $vgpr11
                                        ; implicit-def: $vgpr5
.LBB272_137:
	s_delay_alu instid0(SALU_CYCLE_1)
	s_and_not1_b32 vcc_lo, exec_lo, s2
	s_cbranch_vccnz .LBB272_141
.LBB272_138:
	s_clause 0x1
	s_load_b96 s[0:2], s[20:21], 0x4
	s_load_b96 s[4:6], s[20:21], 0xc4
	s_cmp_lt_u32 s26, 2
	s_wait_kmcnt 0x0
	v_mul_hi_u32 v5, s1, v8
	s_delay_alu instid0(VALU_DEP_1) | instskip(NEXT) | instid1(VALU_DEP_1)
	v_add_nc_u32_e32 v5, v8, v5
	v_lshrrev_b32_e32 v13, s2, v5
	s_delay_alu instid0(VALU_DEP_1) | instskip(NEXT) | instid1(VALU_DEP_1)
	v_mul_lo_u32 v5, v13, s0
	v_sub_nc_u32_e32 v8, v8, v5
	s_delay_alu instid0(VALU_DEP_1)
	v_mul_lo_u32 v5, v8, s4
	v_mul_lo_u32 v10, v8, s6
	;; [unrolled: 1-line block ×3, first 2 shown]
	s_cbranch_scc1 .LBB272_141
; %bb.139:
	s_clause 0x1
	s_load_b96 s[0:2], s[20:21], 0x10
	s_load_b96 s[4:6], s[20:21], 0xd0
	s_wait_kmcnt 0x0
	v_mul_hi_u32 v8, s1, v13
	s_delay_alu instid0(VALU_DEP_1) | instskip(NEXT) | instid1(VALU_DEP_1)
	v_add_nc_u32_e32 v8, v13, v8
	v_lshrrev_b32_e32 v8, s2, v8
	s_delay_alu instid0(VALU_DEP_1) | instskip(NEXT) | instid1(VALU_DEP_1)
	v_mul_lo_u32 v8, v8, s0
	v_sub_nc_u32_e32 v8, v13, v8
	s_delay_alu instid0(VALU_DEP_1)
	v_mad_u32 v5, v8, s4, v5
	v_mad_u32 v11, v8, s5, v11
	;; [unrolled: 1-line block ×3, first 2 shown]
	s_branch .LBB272_141
.LBB272_140:
	v_dual_mov_b32 v10, 0 :: v_dual_mov_b32 v11, 0
	v_mov_b32_e32 v5, 0
	s_and_not1_b32 vcc_lo, exec_lo, s2
	s_cbranch_vccz .LBB272_138
.LBB272_141:
	v_cmp_ne_u32_e32 vcc_lo, 1, v12
	v_add_nc_u32_e32 v13, 0x180, v0
	s_cbranch_vccnz .LBB272_147
; %bb.142:
	s_cmp_lg_u32 s26, 0
	s_mov_b32 s2, 0
	s_cbranch_scc0 .LBB272_151
; %bb.143:
	s_min_u32 s3, s27, 15
	v_dual_mov_b32 v8, 0 :: v_dual_mov_b32 v16, v13
	v_dual_mov_b32 v14, 0 :: v_dual_mov_b32 v15, 0
	s_add_co_i32 s4, s3, 1
	s_mov_b64 s[0:1], 0xffffffffffffffe8
	s_and_b32 s4, s4, 30
	s_add_nc_u64 s[0:1], s[20:21], s[0:1]
.LBB272_144:                            ; =>This Inner Loop Header: Depth=1
	s_clause 0x1
	s_load_b128 s[8:11], s[0:1], 0x1c
	s_load_b64 s[6:7], s[0:1], 0x2c
	s_add_co_i32 s4, s4, -2
	s_delay_alu instid0(SALU_CYCLE_1) | instskip(SKIP_2) | instid1(VALU_DEP_1)
	s_cmp_lg_u32 s4, 0
	s_wait_kmcnt 0x0
	v_mul_hi_u32 v17, s9, v16
	v_add_nc_u32_e32 v17, v16, v17
	s_delay_alu instid0(VALU_DEP_1) | instskip(NEXT) | instid1(VALU_DEP_1)
	v_lshrrev_b32_e32 v17, s10, v17
	v_mul_hi_u32 v18, s6, v17
	v_mul_lo_u32 v19, v17, s8
	s_clause 0x1
	s_load_b128 s[12:15], s[0:1], 0xdc
	s_load_b64 s[8:9], s[0:1], 0xec
	s_wait_xcnt 0x0
	s_add_nc_u64 s[0:1], s[0:1], 24
	s_delay_alu instid0(VALU_DEP_1) | instskip(NEXT) | instid1(VALU_DEP_1)
	v_dual_add_nc_u32 v18, v17, v18 :: v_dual_sub_nc_u32 v19, v16, v19
	v_lshrrev_b32_e32 v16, s7, v18
	s_wait_kmcnt 0x0
	s_delay_alu instid0(VALU_DEP_2) | instskip(NEXT) | instid1(VALU_DEP_2)
	v_mad_u32 v8, v19, s12, v8
	v_mul_lo_u32 v18, v16, s11
	v_mad_u32 v15, v19, s14, v15
	v_mad_u32 v14, v19, s13, v14
	s_delay_alu instid0(VALU_DEP_3) | instskip(NEXT) | instid1(VALU_DEP_1)
	v_sub_nc_u32_e32 v17, v17, v18
	v_mad_u32 v8, v17, s15, v8
	s_delay_alu instid0(VALU_DEP_4) | instskip(NEXT) | instid1(VALU_DEP_4)
	v_mad_u32 v15, v17, s9, v15
	v_mad_u32 v14, v17, s8, v14
	s_cbranch_scc1 .LBB272_144
; %bb.145:
	s_bitcmp1_b32 s3, 0
	s_cselect_b32 s3, -1, 0
	s_delay_alu instid0(SALU_CYCLE_1)
	s_and_b32 vcc_lo, exec_lo, s3
	s_cbranch_vccnz .LBB272_148
; %bb.146:
	s_clause 0x1
	s_load_b96 s[4:6], s[0:1], 0x1c
	s_load_b96 s[8:10], s[0:1], 0xdc
	s_wait_kmcnt 0x0
	v_mul_hi_u32 v17, s5, v16
	s_delay_alu instid0(VALU_DEP_1) | instskip(NEXT) | instid1(VALU_DEP_1)
	v_add_nc_u32_e32 v17, v16, v17
	v_lshrrev_b32_e32 v17, s6, v17
	s_delay_alu instid0(VALU_DEP_1) | instskip(NEXT) | instid1(VALU_DEP_1)
	v_mul_lo_u32 v17, v17, s4
	v_sub_nc_u32_e32 v16, v16, v17
	s_delay_alu instid0(VALU_DEP_1)
	v_mad_u32 v8, v16, s8, v8
	v_mad_u32 v14, v16, s9, v14
	;; [unrolled: 1-line block ×3, first 2 shown]
	s_and_not1_b32 vcc_lo, exec_lo, s2
	s_cbranch_vccz .LBB272_149
	s_branch .LBB272_152
.LBB272_147:
	s_mov_b32 s2, -1
                                        ; implicit-def: $vgpr15
                                        ; implicit-def: $vgpr14
                                        ; implicit-def: $vgpr8
.LBB272_148:
	s_delay_alu instid0(SALU_CYCLE_1)
	s_and_not1_b32 vcc_lo, exec_lo, s2
	s_cbranch_vccnz .LBB272_152
.LBB272_149:
	s_clause 0x1
	s_load_b96 s[0:2], s[20:21], 0x4
	s_load_b96 s[4:6], s[20:21], 0xc4
	s_cmp_lt_u32 s26, 2
	s_wait_kmcnt 0x0
	v_mul_hi_u32 v8, s1, v13
	s_delay_alu instid0(VALU_DEP_1) | instskip(NEXT) | instid1(VALU_DEP_1)
	v_add_nc_u32_e32 v8, v13, v8
	v_lshrrev_b32_e32 v16, s2, v8
	s_delay_alu instid0(VALU_DEP_1) | instskip(NEXT) | instid1(VALU_DEP_1)
	v_mul_lo_u32 v8, v16, s0
	v_sub_nc_u32_e32 v13, v13, v8
	s_delay_alu instid0(VALU_DEP_1)
	v_mul_lo_u32 v8, v13, s4
	v_mul_lo_u32 v15, v13, s6
	;; [unrolled: 1-line block ×3, first 2 shown]
	s_cbranch_scc1 .LBB272_152
; %bb.150:
	s_clause 0x1
	s_load_b96 s[0:2], s[20:21], 0x10
	s_load_b96 s[4:6], s[20:21], 0xd0
	s_wait_kmcnt 0x0
	v_mul_hi_u32 v13, s1, v16
	s_delay_alu instid0(VALU_DEP_1) | instskip(NEXT) | instid1(VALU_DEP_1)
	v_add_nc_u32_e32 v13, v16, v13
	v_lshrrev_b32_e32 v13, s2, v13
	s_delay_alu instid0(VALU_DEP_1) | instskip(NEXT) | instid1(VALU_DEP_1)
	v_mul_lo_u32 v13, v13, s0
	v_sub_nc_u32_e32 v13, v16, v13
	s_delay_alu instid0(VALU_DEP_1)
	v_mad_u32 v8, v13, s4, v8
	v_mad_u32 v14, v13, s5, v14
	;; [unrolled: 1-line block ×3, first 2 shown]
	s_branch .LBB272_152
.LBB272_151:
	v_dual_mov_b32 v15, 0 :: v_dual_mov_b32 v14, 0
	v_mov_b32_e32 v8, 0
	s_and_not1_b32 vcc_lo, exec_lo, s2
	s_cbranch_vccz .LBB272_149
.LBB272_152:
	v_cmp_ne_u32_e32 vcc_lo, 1, v12
	v_add_nc_u32_e32 v16, 0x200, v0
	s_cbranch_vccnz .LBB272_158
; %bb.153:
	s_cmp_lg_u32 s26, 0
	s_mov_b32 s2, 0
	s_cbranch_scc0 .LBB272_162
; %bb.154:
	s_min_u32 s3, s27, 15
	v_dual_mov_b32 v13, 0 :: v_dual_mov_b32 v19, v16
	v_dual_mov_b32 v18, 0 :: v_dual_mov_b32 v17, 0
	s_add_co_i32 s4, s3, 1
	s_mov_b64 s[0:1], 0xffffffffffffffe8
	s_and_b32 s4, s4, 30
	s_add_nc_u64 s[0:1], s[20:21], s[0:1]
.LBB272_155:                            ; =>This Inner Loop Header: Depth=1
	s_clause 0x1
	s_load_b128 s[8:11], s[0:1], 0x1c
	s_load_b64 s[6:7], s[0:1], 0x2c
	s_add_co_i32 s4, s4, -2
	s_delay_alu instid0(SALU_CYCLE_1) | instskip(SKIP_2) | instid1(VALU_DEP_1)
	s_cmp_lg_u32 s4, 0
	s_wait_kmcnt 0x0
	v_mul_hi_u32 v20, s9, v19
	v_add_nc_u32_e32 v20, v19, v20
	s_delay_alu instid0(VALU_DEP_1) | instskip(NEXT) | instid1(VALU_DEP_1)
	v_lshrrev_b32_e32 v20, s10, v20
	v_mul_hi_u32 v21, s6, v20
	v_mul_lo_u32 v22, v20, s8
	s_clause 0x1
	s_load_b128 s[12:15], s[0:1], 0xdc
	s_load_b64 s[8:9], s[0:1], 0xec
	s_wait_xcnt 0x0
	s_add_nc_u64 s[0:1], s[0:1], 24
	s_delay_alu instid0(VALU_DEP_1) | instskip(NEXT) | instid1(VALU_DEP_1)
	v_dual_add_nc_u32 v21, v20, v21 :: v_dual_sub_nc_u32 v22, v19, v22
	v_lshrrev_b32_e32 v19, s7, v21
	s_wait_kmcnt 0x0
	s_delay_alu instid0(VALU_DEP_2) | instskip(NEXT) | instid1(VALU_DEP_2)
	v_mad_u32 v13, v22, s12, v13
	v_mul_lo_u32 v21, v19, s11
	v_mad_u32 v17, v22, s14, v17
	v_mad_u32 v18, v22, s13, v18
	s_delay_alu instid0(VALU_DEP_3) | instskip(NEXT) | instid1(VALU_DEP_1)
	v_sub_nc_u32_e32 v20, v20, v21
	v_mad_u32 v13, v20, s15, v13
	s_delay_alu instid0(VALU_DEP_4) | instskip(NEXT) | instid1(VALU_DEP_4)
	v_mad_u32 v17, v20, s9, v17
	v_mad_u32 v18, v20, s8, v18
	s_cbranch_scc1 .LBB272_155
; %bb.156:
	s_bitcmp1_b32 s3, 0
	s_cselect_b32 s3, -1, 0
	s_delay_alu instid0(SALU_CYCLE_1)
	s_and_b32 vcc_lo, exec_lo, s3
	s_cbranch_vccnz .LBB272_159
; %bb.157:
	s_clause 0x1
	s_load_b96 s[4:6], s[0:1], 0x1c
	s_load_b96 s[8:10], s[0:1], 0xdc
	s_wait_kmcnt 0x0
	v_mul_hi_u32 v20, s5, v19
	s_delay_alu instid0(VALU_DEP_1) | instskip(NEXT) | instid1(VALU_DEP_1)
	v_add_nc_u32_e32 v20, v19, v20
	v_lshrrev_b32_e32 v20, s6, v20
	s_delay_alu instid0(VALU_DEP_1) | instskip(NEXT) | instid1(VALU_DEP_1)
	v_mul_lo_u32 v20, v20, s4
	v_sub_nc_u32_e32 v19, v19, v20
	s_delay_alu instid0(VALU_DEP_1)
	v_mad_u32 v13, v19, s8, v13
	v_mad_u32 v18, v19, s9, v18
	;; [unrolled: 1-line block ×3, first 2 shown]
	s_and_not1_b32 vcc_lo, exec_lo, s2
	s_cbranch_vccz .LBB272_160
	s_branch .LBB272_163
.LBB272_158:
	s_mov_b32 s2, -1
                                        ; implicit-def: $vgpr17
                                        ; implicit-def: $vgpr18
                                        ; implicit-def: $vgpr13
.LBB272_159:
	s_delay_alu instid0(SALU_CYCLE_1)
	s_and_not1_b32 vcc_lo, exec_lo, s2
	s_cbranch_vccnz .LBB272_163
.LBB272_160:
	s_clause 0x1
	s_load_b96 s[0:2], s[20:21], 0x4
	s_load_b96 s[4:6], s[20:21], 0xc4
	s_cmp_lt_u32 s26, 2
	s_wait_kmcnt 0x0
	v_mul_hi_u32 v13, s1, v16
	s_delay_alu instid0(VALU_DEP_1) | instskip(NEXT) | instid1(VALU_DEP_1)
	v_add_nc_u32_e32 v13, v16, v13
	v_lshrrev_b32_e32 v19, s2, v13
	s_delay_alu instid0(VALU_DEP_1) | instskip(NEXT) | instid1(VALU_DEP_1)
	v_mul_lo_u32 v13, v19, s0
	v_sub_nc_u32_e32 v16, v16, v13
	s_delay_alu instid0(VALU_DEP_1)
	v_mul_lo_u32 v13, v16, s4
	v_mul_lo_u32 v17, v16, s6
	;; [unrolled: 1-line block ×3, first 2 shown]
	s_cbranch_scc1 .LBB272_163
; %bb.161:
	s_clause 0x1
	s_load_b96 s[0:2], s[20:21], 0x10
	s_load_b96 s[4:6], s[20:21], 0xd0
	s_wait_kmcnt 0x0
	v_mul_hi_u32 v16, s1, v19
	s_delay_alu instid0(VALU_DEP_1) | instskip(NEXT) | instid1(VALU_DEP_1)
	v_add_nc_u32_e32 v16, v19, v16
	v_lshrrev_b32_e32 v16, s2, v16
	s_delay_alu instid0(VALU_DEP_1) | instskip(NEXT) | instid1(VALU_DEP_1)
	v_mul_lo_u32 v16, v16, s0
	v_sub_nc_u32_e32 v16, v19, v16
	s_delay_alu instid0(VALU_DEP_1)
	v_mad_u32 v13, v16, s4, v13
	v_mad_u32 v18, v16, s5, v18
	v_mad_u32 v17, v16, s6, v17
	s_branch .LBB272_163
.LBB272_162:
	v_dual_mov_b32 v17, 0 :: v_dual_mov_b32 v18, 0
	v_mov_b32_e32 v13, 0
	s_and_not1_b32 vcc_lo, exec_lo, s2
	s_cbranch_vccz .LBB272_160
.LBB272_163:
	v_cmp_ne_u32_e32 vcc_lo, 1, v12
	v_add_nc_u32_e32 v21, 0x280, v0
	s_cbranch_vccnz .LBB272_169
; %bb.164:
	s_cmp_lg_u32 s26, 0
	s_mov_b32 s2, 0
	s_cbranch_scc0 .LBB272_173
; %bb.165:
	s_min_u32 s3, s27, 15
	v_dual_mov_b32 v16, 0 :: v_dual_mov_b32 v22, v21
	v_dual_mov_b32 v20, 0 :: v_dual_mov_b32 v19, 0
	s_add_co_i32 s4, s3, 1
	s_mov_b64 s[0:1], 0xffffffffffffffe8
	s_and_b32 s4, s4, 30
	s_add_nc_u64 s[0:1], s[20:21], s[0:1]
.LBB272_166:                            ; =>This Inner Loop Header: Depth=1
	s_clause 0x1
	s_load_b128 s[8:11], s[0:1], 0x1c
	s_load_b64 s[6:7], s[0:1], 0x2c
	s_add_co_i32 s4, s4, -2
	s_delay_alu instid0(SALU_CYCLE_1) | instskip(SKIP_2) | instid1(VALU_DEP_1)
	s_cmp_lg_u32 s4, 0
	s_wait_kmcnt 0x0
	v_mul_hi_u32 v23, s9, v22
	v_add_nc_u32_e32 v23, v22, v23
	s_delay_alu instid0(VALU_DEP_1) | instskip(NEXT) | instid1(VALU_DEP_1)
	v_lshrrev_b32_e32 v23, s10, v23
	v_mul_hi_u32 v24, s6, v23
	v_mul_lo_u32 v25, v23, s8
	s_clause 0x1
	s_load_b128 s[12:15], s[0:1], 0xdc
	s_load_b64 s[8:9], s[0:1], 0xec
	s_wait_xcnt 0x0
	s_add_nc_u64 s[0:1], s[0:1], 24
	s_delay_alu instid0(VALU_DEP_1) | instskip(NEXT) | instid1(VALU_DEP_1)
	v_dual_add_nc_u32 v24, v23, v24 :: v_dual_sub_nc_u32 v25, v22, v25
	v_lshrrev_b32_e32 v22, s7, v24
	s_wait_kmcnt 0x0
	s_delay_alu instid0(VALU_DEP_2) | instskip(NEXT) | instid1(VALU_DEP_2)
	v_mad_u32 v16, v25, s12, v16
	v_mul_lo_u32 v24, v22, s11
	v_mad_u32 v19, v25, s14, v19
	v_mad_u32 v20, v25, s13, v20
	s_delay_alu instid0(VALU_DEP_3) | instskip(NEXT) | instid1(VALU_DEP_1)
	v_sub_nc_u32_e32 v23, v23, v24
	v_mad_u32 v16, v23, s15, v16
	s_delay_alu instid0(VALU_DEP_4) | instskip(NEXT) | instid1(VALU_DEP_4)
	v_mad_u32 v19, v23, s9, v19
	v_mad_u32 v20, v23, s8, v20
	s_cbranch_scc1 .LBB272_166
; %bb.167:
	s_bitcmp1_b32 s3, 0
	s_cselect_b32 s3, -1, 0
	s_delay_alu instid0(SALU_CYCLE_1)
	s_and_b32 vcc_lo, exec_lo, s3
	s_cbranch_vccnz .LBB272_170
; %bb.168:
	s_clause 0x1
	s_load_b96 s[4:6], s[0:1], 0x1c
	s_load_b96 s[8:10], s[0:1], 0xdc
	s_wait_kmcnt 0x0
	v_mul_hi_u32 v23, s5, v22
	s_delay_alu instid0(VALU_DEP_1) | instskip(NEXT) | instid1(VALU_DEP_1)
	v_add_nc_u32_e32 v23, v22, v23
	v_lshrrev_b32_e32 v23, s6, v23
	s_delay_alu instid0(VALU_DEP_1) | instskip(NEXT) | instid1(VALU_DEP_1)
	v_mul_lo_u32 v23, v23, s4
	v_sub_nc_u32_e32 v22, v22, v23
	s_delay_alu instid0(VALU_DEP_1)
	v_mad_u32 v16, v22, s8, v16
	v_mad_u32 v20, v22, s9, v20
	;; [unrolled: 1-line block ×3, first 2 shown]
	s_and_not1_b32 vcc_lo, exec_lo, s2
	s_cbranch_vccz .LBB272_171
	s_branch .LBB272_174
.LBB272_169:
	s_mov_b32 s2, -1
                                        ; implicit-def: $vgpr19
                                        ; implicit-def: $vgpr20
                                        ; implicit-def: $vgpr16
.LBB272_170:
	s_delay_alu instid0(SALU_CYCLE_1)
	s_and_not1_b32 vcc_lo, exec_lo, s2
	s_cbranch_vccnz .LBB272_174
.LBB272_171:
	s_clause 0x1
	s_load_b96 s[0:2], s[20:21], 0x4
	s_load_b96 s[4:6], s[20:21], 0xc4
	s_cmp_lt_u32 s26, 2
	s_wait_kmcnt 0x0
	v_mul_hi_u32 v16, s1, v21
	s_delay_alu instid0(VALU_DEP_1) | instskip(NEXT) | instid1(VALU_DEP_1)
	v_add_nc_u32_e32 v16, v21, v16
	v_lshrrev_b32_e32 v22, s2, v16
	s_delay_alu instid0(VALU_DEP_1) | instskip(NEXT) | instid1(VALU_DEP_1)
	v_mul_lo_u32 v16, v22, s0
	v_sub_nc_u32_e32 v20, v21, v16
	s_delay_alu instid0(VALU_DEP_1)
	v_mul_lo_u32 v16, v20, s4
	v_mul_lo_u32 v19, v20, s6
	;; [unrolled: 1-line block ×3, first 2 shown]
	s_cbranch_scc1 .LBB272_174
; %bb.172:
	s_clause 0x1
	s_load_b96 s[0:2], s[20:21], 0x10
	s_load_b96 s[4:6], s[20:21], 0xd0
	s_wait_kmcnt 0x0
	v_mul_hi_u32 v21, s1, v22
	s_delay_alu instid0(VALU_DEP_1) | instskip(NEXT) | instid1(VALU_DEP_1)
	v_add_nc_u32_e32 v21, v22, v21
	v_lshrrev_b32_e32 v21, s2, v21
	s_delay_alu instid0(VALU_DEP_1) | instskip(NEXT) | instid1(VALU_DEP_1)
	v_mul_lo_u32 v21, v21, s0
	v_sub_nc_u32_e32 v21, v22, v21
	s_delay_alu instid0(VALU_DEP_1)
	v_mad_u32 v16, v21, s4, v16
	v_mad_u32 v20, v21, s5, v20
	;; [unrolled: 1-line block ×3, first 2 shown]
	s_branch .LBB272_174
.LBB272_173:
	v_dual_mov_b32 v19, 0 :: v_dual_mov_b32 v20, 0
	v_mov_b32_e32 v16, 0
	s_and_not1_b32 vcc_lo, exec_lo, s2
	s_cbranch_vccz .LBB272_171
.LBB272_174:
	v_cmp_ne_u32_e32 vcc_lo, 1, v12
	v_add_nc_u32_e32 v23, 0x300, v0
	s_cbranch_vccnz .LBB272_180
; %bb.175:
	s_cmp_lg_u32 s26, 0
	s_mov_b32 s2, 0
	s_cbranch_scc0 .LBB272_184
; %bb.176:
	s_min_u32 s3, s27, 15
	v_dual_mov_b32 v0, 0 :: v_dual_mov_b32 v24, v23
	v_dual_mov_b32 v21, 0 :: v_dual_mov_b32 v22, 0
	s_add_co_i32 s4, s3, 1
	s_mov_b64 s[0:1], 0xffffffffffffffe8
	s_and_b32 s4, s4, 30
	s_add_nc_u64 s[0:1], s[20:21], s[0:1]
.LBB272_177:                            ; =>This Inner Loop Header: Depth=1
	s_clause 0x1
	s_load_b128 s[8:11], s[0:1], 0x1c
	s_load_b64 s[6:7], s[0:1], 0x2c
	s_add_co_i32 s4, s4, -2
	s_delay_alu instid0(SALU_CYCLE_1) | instskip(SKIP_2) | instid1(VALU_DEP_1)
	s_cmp_lg_u32 s4, 0
	s_wait_kmcnt 0x0
	v_mul_hi_u32 v25, s9, v24
	v_add_nc_u32_e32 v25, v24, v25
	s_delay_alu instid0(VALU_DEP_1) | instskip(NEXT) | instid1(VALU_DEP_1)
	v_lshrrev_b32_e32 v25, s10, v25
	v_mul_hi_u32 v26, s6, v25
	v_mul_lo_u32 v27, v25, s8
	s_clause 0x1
	s_load_b128 s[12:15], s[0:1], 0xdc
	s_load_b64 s[8:9], s[0:1], 0xec
	s_wait_xcnt 0x0
	s_add_nc_u64 s[0:1], s[0:1], 24
	s_delay_alu instid0(VALU_DEP_1) | instskip(NEXT) | instid1(VALU_DEP_1)
	v_dual_add_nc_u32 v26, v25, v26 :: v_dual_sub_nc_u32 v27, v24, v27
	v_lshrrev_b32_e32 v24, s7, v26
	s_wait_kmcnt 0x0
	s_delay_alu instid0(VALU_DEP_2) | instskip(NEXT) | instid1(VALU_DEP_2)
	v_mad_u32 v0, v27, s12, v0
	v_mul_lo_u32 v26, v24, s11
	v_mad_u32 v22, v27, s14, v22
	v_mad_u32 v21, v27, s13, v21
	s_delay_alu instid0(VALU_DEP_3) | instskip(NEXT) | instid1(VALU_DEP_1)
	v_sub_nc_u32_e32 v25, v25, v26
	v_mad_u32 v0, v25, s15, v0
	s_delay_alu instid0(VALU_DEP_4) | instskip(NEXT) | instid1(VALU_DEP_4)
	v_mad_u32 v22, v25, s9, v22
	v_mad_u32 v21, v25, s8, v21
	s_cbranch_scc1 .LBB272_177
; %bb.178:
	s_bitcmp1_b32 s3, 0
	s_cselect_b32 s3, -1, 0
	s_delay_alu instid0(SALU_CYCLE_1)
	s_and_b32 vcc_lo, exec_lo, s3
	s_cbranch_vccnz .LBB272_181
; %bb.179:
	s_clause 0x1
	s_load_b96 s[4:6], s[0:1], 0x1c
	s_load_b96 s[8:10], s[0:1], 0xdc
	s_wait_kmcnt 0x0
	v_mul_hi_u32 v25, s5, v24
	s_delay_alu instid0(VALU_DEP_1) | instskip(NEXT) | instid1(VALU_DEP_1)
	v_add_nc_u32_e32 v25, v24, v25
	v_lshrrev_b32_e32 v25, s6, v25
	s_delay_alu instid0(VALU_DEP_1) | instskip(NEXT) | instid1(VALU_DEP_1)
	v_mul_lo_u32 v25, v25, s4
	v_sub_nc_u32_e32 v24, v24, v25
	s_delay_alu instid0(VALU_DEP_1)
	v_mad_u32 v0, v24, s8, v0
	v_mad_u32 v21, v24, s9, v21
	;; [unrolled: 1-line block ×3, first 2 shown]
	s_and_not1_b32 vcc_lo, exec_lo, s2
	s_cbranch_vccz .LBB272_182
	s_branch .LBB272_185
.LBB272_180:
	s_mov_b32 s2, -1
                                        ; implicit-def: $vgpr22
                                        ; implicit-def: $vgpr21
                                        ; implicit-def: $vgpr0
.LBB272_181:
	s_delay_alu instid0(SALU_CYCLE_1)
	s_and_not1_b32 vcc_lo, exec_lo, s2
	s_cbranch_vccnz .LBB272_185
.LBB272_182:
	s_clause 0x1
	s_load_b96 s[0:2], s[20:21], 0x4
	s_load_b96 s[4:6], s[20:21], 0xc4
	s_cmp_lt_u32 s26, 2
	s_wait_kmcnt 0x0
	v_mul_hi_u32 v0, s1, v23
	s_delay_alu instid0(VALU_DEP_1) | instskip(NEXT) | instid1(VALU_DEP_1)
	v_add_nc_u32_e32 v0, v23, v0
	v_lshrrev_b32_e32 v24, s2, v0
	s_delay_alu instid0(VALU_DEP_1) | instskip(NEXT) | instid1(VALU_DEP_1)
	v_mul_lo_u32 v0, v24, s0
	v_sub_nc_u32_e32 v21, v23, v0
	s_delay_alu instid0(VALU_DEP_1)
	v_mul_lo_u32 v0, v21, s4
	v_mul_lo_u32 v22, v21, s6
	;; [unrolled: 1-line block ×3, first 2 shown]
	s_cbranch_scc1 .LBB272_185
; %bb.183:
	s_clause 0x1
	s_load_b96 s[0:2], s[20:21], 0x10
	s_load_b96 s[4:6], s[20:21], 0xd0
	s_wait_kmcnt 0x0
	v_mul_hi_u32 v23, s1, v24
	s_delay_alu instid0(VALU_DEP_1) | instskip(NEXT) | instid1(VALU_DEP_1)
	v_add_nc_u32_e32 v23, v24, v23
	v_lshrrev_b32_e32 v23, s2, v23
	s_delay_alu instid0(VALU_DEP_1) | instskip(NEXT) | instid1(VALU_DEP_1)
	v_mul_lo_u32 v23, v23, s0
	v_sub_nc_u32_e32 v23, v24, v23
	s_delay_alu instid0(VALU_DEP_1)
	v_mad_u32 v0, v23, s4, v0
	v_mad_u32 v21, v23, s5, v21
	;; [unrolled: 1-line block ×3, first 2 shown]
	s_branch .LBB272_185
.LBB272_184:
	v_dual_mov_b32 v22, 0 :: v_dual_mov_b32 v21, 0
	v_mov_b32_e32 v0, 0
	s_and_not1_b32 vcc_lo, exec_lo, s2
	s_cbranch_vccz .LBB272_182
.LBB272_185:
	v_cmp_ne_u32_e32 vcc_lo, 1, v12
	s_cbranch_vccnz .LBB272_191
; %bb.186:
	s_cmp_lg_u32 s26, 0
	s_mov_b32 s2, 0
	s_cbranch_scc0 .LBB272_195
; %bb.187:
	s_min_u32 s3, s27, 15
	v_dual_mov_b32 v12, 0 :: v_dual_mov_b32 v25, v9
	v_dual_mov_b32 v24, 0 :: v_dual_mov_b32 v23, 0
	s_add_co_i32 s4, s3, 1
	s_mov_b64 s[0:1], 0xffffffffffffffe8
	s_and_b32 s4, s4, 30
	s_add_nc_u64 s[0:1], s[20:21], s[0:1]
.LBB272_188:                            ; =>This Inner Loop Header: Depth=1
	s_clause 0x1
	s_load_b128 s[8:11], s[0:1], 0x1c
	s_load_b64 s[6:7], s[0:1], 0x2c
	s_add_co_i32 s4, s4, -2
	s_delay_alu instid0(SALU_CYCLE_1) | instskip(SKIP_2) | instid1(VALU_DEP_1)
	s_cmp_lg_u32 s4, 0
	s_wait_kmcnt 0x0
	v_mul_hi_u32 v26, s9, v25
	v_add_nc_u32_e32 v26, v25, v26
	s_delay_alu instid0(VALU_DEP_1) | instskip(NEXT) | instid1(VALU_DEP_1)
	v_lshrrev_b32_e32 v26, s10, v26
	v_mul_hi_u32 v27, s6, v26
	v_mul_lo_u32 v28, v26, s8
	s_clause 0x1
	s_load_b128 s[12:15], s[0:1], 0xdc
	s_load_b64 s[8:9], s[0:1], 0xec
	s_wait_xcnt 0x0
	s_add_nc_u64 s[0:1], s[0:1], 24
	s_delay_alu instid0(VALU_DEP_1) | instskip(NEXT) | instid1(VALU_DEP_1)
	v_dual_add_nc_u32 v27, v26, v27 :: v_dual_sub_nc_u32 v28, v25, v28
	v_lshrrev_b32_e32 v25, s7, v27
	s_wait_kmcnt 0x0
	s_delay_alu instid0(VALU_DEP_2) | instskip(NEXT) | instid1(VALU_DEP_2)
	v_mad_u32 v12, v28, s12, v12
	v_mul_lo_u32 v27, v25, s11
	v_mad_u32 v23, v28, s14, v23
	v_mad_u32 v24, v28, s13, v24
	s_delay_alu instid0(VALU_DEP_3) | instskip(NEXT) | instid1(VALU_DEP_1)
	v_sub_nc_u32_e32 v26, v26, v27
	v_mad_u32 v12, v26, s15, v12
	s_delay_alu instid0(VALU_DEP_4) | instskip(NEXT) | instid1(VALU_DEP_4)
	v_mad_u32 v23, v26, s9, v23
	v_mad_u32 v24, v26, s8, v24
	s_cbranch_scc1 .LBB272_188
; %bb.189:
	s_bitcmp1_b32 s3, 0
	s_cselect_b32 s3, -1, 0
	s_delay_alu instid0(SALU_CYCLE_1)
	s_and_b32 vcc_lo, exec_lo, s3
	s_cbranch_vccnz .LBB272_192
; %bb.190:
	s_clause 0x1
	s_load_b96 s[4:6], s[0:1], 0x1c
	s_load_b96 s[8:10], s[0:1], 0xdc
	s_wait_kmcnt 0x0
	v_mul_hi_u32 v26, s5, v25
	s_delay_alu instid0(VALU_DEP_1) | instskip(NEXT) | instid1(VALU_DEP_1)
	v_add_nc_u32_e32 v26, v25, v26
	v_lshrrev_b32_e32 v26, s6, v26
	s_delay_alu instid0(VALU_DEP_1) | instskip(NEXT) | instid1(VALU_DEP_1)
	v_mul_lo_u32 v26, v26, s4
	v_sub_nc_u32_e32 v25, v25, v26
	s_delay_alu instid0(VALU_DEP_1)
	v_mad_u32 v12, v25, s8, v12
	v_mad_u32 v24, v25, s9, v24
	v_mad_u32 v23, v25, s10, v23
	s_and_not1_b32 vcc_lo, exec_lo, s2
	s_cbranch_vccz .LBB272_193
	s_branch .LBB272_196
.LBB272_191:
	s_mov_b32 s2, -1
                                        ; implicit-def: $vgpr23
                                        ; implicit-def: $vgpr24
                                        ; implicit-def: $vgpr12
.LBB272_192:
	s_delay_alu instid0(SALU_CYCLE_1)
	s_and_not1_b32 vcc_lo, exec_lo, s2
	s_cbranch_vccnz .LBB272_196
.LBB272_193:
	s_clause 0x1
	s_load_b96 s[0:2], s[20:21], 0x4
	s_load_b96 s[4:6], s[20:21], 0xc4
	s_cmp_lt_u32 s26, 2
	s_wait_kmcnt 0x0
	v_mul_hi_u32 v12, s1, v9
	s_delay_alu instid0(VALU_DEP_1) | instskip(NEXT) | instid1(VALU_DEP_1)
	v_add_nc_u32_e32 v12, v9, v12
	v_lshrrev_b32_e32 v25, s2, v12
	s_delay_alu instid0(VALU_DEP_1) | instskip(NEXT) | instid1(VALU_DEP_1)
	v_mul_lo_u32 v12, v25, s0
	v_sub_nc_u32_e32 v9, v9, v12
	s_delay_alu instid0(VALU_DEP_1)
	v_mul_lo_u32 v12, v9, s4
	v_mul_lo_u32 v23, v9, s6
	;; [unrolled: 1-line block ×3, first 2 shown]
	s_cbranch_scc1 .LBB272_196
; %bb.194:
	s_clause 0x1
	s_load_b96 s[0:2], s[20:21], 0x10
	s_load_b96 s[4:6], s[20:21], 0xd0
	s_wait_kmcnt 0x0
	v_mul_hi_u32 v9, s1, v25
	s_delay_alu instid0(VALU_DEP_1) | instskip(NEXT) | instid1(VALU_DEP_1)
	v_add_nc_u32_e32 v9, v25, v9
	v_lshrrev_b32_e32 v9, s2, v9
	s_delay_alu instid0(VALU_DEP_1) | instskip(NEXT) | instid1(VALU_DEP_1)
	v_mul_lo_u32 v9, v9, s0
	v_sub_nc_u32_e32 v9, v25, v9
	s_delay_alu instid0(VALU_DEP_1)
	v_mad_u32 v12, v9, s4, v12
	v_mad_u32 v24, v9, s5, v24
	;; [unrolled: 1-line block ×3, first 2 shown]
	s_branch .LBB272_196
.LBB272_195:
	v_dual_mov_b32 v23, 0 :: v_dual_mov_b32 v24, 0
	v_mov_b32_e32 v12, 0
	s_and_not1_b32 vcc_lo, exec_lo, s2
	s_cbranch_vccz .LBB272_193
.LBB272_196:
	s_clause 0x1
	s_load_b128 s[0:3], s[20:21], 0x188
	s_load_b96 s[4:6], s[20:21], 0x198
	s_wait_kmcnt 0x0
	global_load_u8 v9, v3, s[2:3]
	global_load_u8 v25, v4, s[4:5]
	;; [unrolled: 1-line block ×15, first 2 shown]
                                        ; kill: killed $vgpr22
                                        ; kill: killed $vgpr18
                                        ; kill: killed $vgpr15
                                        ; kill: killed $vgpr7
                                        ; kill: killed $vgpr20
                                        ; kill: killed $vgpr4
                                        ; kill: killed $vgpr17
                                        ; kill: killed $vgpr11
                                        ; kill: killed $sgpr2_sgpr3
                                        ; kill: killed $vgpr21
                                        ; kill: killed $vgpr6
                                        ; kill: killed $vgpr19
                                        ; kill: killed $vgpr14
                                        ; kill: killed $vgpr24
                                        ; kill: killed $vgpr10
                                        ; kill: killed $vgpr3
	global_load_u8 v3, v23, s[4:5]
	s_cmp_eq_u32 s6, 0
	s_wait_loadcnt 0xf
	s_wait_xcnt 0xe
	v_lshlrev_b32_e32 v4, 24, v9
	s_wait_loadcnt 0xd
	s_wait_xcnt 0xc
	v_dual_lshlrev_b32 v6, 24, v25 :: v_dual_lshlrev_b32 v7, 24, v26
	s_wait_loadcnt 0xb
	s_wait_xcnt 0xa
	v_dual_lshlrev_b32 v9, 24, v27 :: v_dual_lshlrev_b32 v10, 24, v28
	s_wait_loadcnt 0xa
	v_lshlrev_b32_e32 v11, 24, v29
	s_wait_xcnt 0x1
	v_and_b32_e32 v24, 0x7f000000, v4
	v_and_b32_e32 v25, 0x7f000000, v6
	;; [unrolled: 1-line block ×4, first 2 shown]
	s_wait_loadcnt 0x8
	v_dual_lshlrev_b32 v14, 24, v30 :: v_dual_lshlrev_b32 v15, 24, v31
	v_clz_i32_u32_e32 v40, v24
	v_clz_i32_u32_e32 v42, v25
	v_clz_i32_u32_e32 v43, v26
	v_and_b32_e32 v28, 0x7f000000, v10
	v_and_b32_e32 v29, 0x7f000000, v11
	v_min_u32_e32 v40, 32, v40
	v_clz_i32_u32_e32 v44, v27
	v_min_u32_e32 v42, 32, v42
	v_min_u32_e32 v43, 32, v43
	s_wait_loadcnt 0x6
	v_dual_lshlrev_b32 v17, 24, v32 :: v_dual_lshlrev_b32 v18, 24, v33
	v_sub_nc_u32_e64 v40, v40, 4 clamp
	v_and_b32_e32 v30, 0x7f000000, v14
	v_clz_i32_u32_e32 v45, v28
	v_clz_i32_u32_e32 v46, v29
	v_min_u32_e32 v44, 32, v44
	v_sub_nc_u32_e64 v42, v42, 4 clamp
	v_sub_nc_u32_e64 v43, v43, 4 clamp
	v_lshlrev_b32_e32 v57, v40, v24
	v_and_b32_e32 v31, 0x7f000000, v15
	v_and_b32_e32 v32, 0x7f000000, v17
	v_clz_i32_u32_e32 v47, v30
	v_min_u32_e32 v45, 32, v45
	v_min_u32_e32 v46, 32, v46
	v_sub_nc_u32_e64 v44, v44, 4 clamp
	v_dual_lshlrev_b32 v58, v42, v25 :: v_dual_lshlrev_b32 v40, 23, v40
	v_dual_lshrrev_b32 v57, 4, v57 :: v_dual_lshlrev_b32 v59, v43, v26
	s_wait_loadcnt 0x4
	v_dual_lshlrev_b32 v19, 24, v34 :: v_dual_lshlrev_b32 v20, 24, v35
	v_and_b32_e32 v33, 0x7f000000, v18
	v_clz_i32_u32_e32 v48, v31
	v_clz_i32_u32_e32 v49, v32
	v_min_u32_e32 v47, 32, v47
	v_sub_nc_u32_e64 v45, v45, 4 clamp
	v_sub_nc_u32_e64 v46, v46, 4 clamp
	v_dual_lshlrev_b32 v42, 23, v42 :: v_dual_sub_nc_u32 v40, v57, v40
	v_dual_lshlrev_b32 v57, v44, v27 :: v_dual_lshrrev_b32 v58, 4, v58
	v_dual_lshlrev_b32 v43, 23, v43 :: v_dual_lshlrev_b32 v44, 23, v44
	s_wait_loadcnt 0x3
	v_dual_lshrrev_b32 v59, 4, v59 :: v_dual_lshlrev_b32 v21, 24, v36
	s_wait_loadcnt 0x2
	v_lshlrev_b32_e32 v22, 24, v37
	v_and_b32_e32 v34, 0x7f000000, v19
	v_and_b32_e32 v35, 0x7f000000, v20
	v_clz_i32_u32_e32 v50, v33
	v_min_u32_e32 v48, 32, v48
	v_min_u32_e32 v49, 32, v49
	v_sub_nc_u32_e64 v47, v47, 4 clamp
	v_dual_lshrrev_b32 v57, 4, v57 :: v_dual_sub_nc_u32 v42, v58, v42
	v_dual_lshlrev_b32 v58, v45, v28 :: v_dual_lshlrev_b32 v45, 23, v45
	v_dual_sub_nc_u32 v43, v59, v43 :: v_dual_lshlrev_b32 v59, v46, v29
	s_wait_loadcnt 0x0
	v_dual_lshlrev_b32 v23, 24, v38 :: v_dual_lshlrev_b32 v3, 24, v3
	v_and_b32_e32 v36, 0x7f000000, v21
	v_clz_i32_u32_e32 v51, v34
	v_clz_i32_u32_e32 v52, v35
	v_min_u32_e32 v50, 32, v50
	v_sub_nc_u32_e64 v48, v48, 4 clamp
	v_sub_nc_u32_e64 v49, v49, 4 clamp
	v_dual_sub_nc_u32 v44, v57, v44 :: v_dual_lshlrev_b32 v57, v47, v30
	v_dual_lshrrev_b32 v58, 4, v58 :: v_dual_lshlrev_b32 v47, 23, v47
	v_dual_lshlrev_b32 v46, 23, v46 :: v_dual_lshrrev_b32 v59, 4, v59
	v_and_b32_e32 v37, 0x7f000000, v22
	v_and_b32_e32 v38, 0x7f000000, v23
	v_clz_i32_u32_e32 v53, v36
	v_min_u32_e32 v51, 32, v51
	v_min_u32_e32 v52, 32, v52
	v_sub_nc_u32_e64 v50, v50, 4 clamp
	v_lshrrev_b32_e32 v57, 4, v57
	v_dual_sub_nc_u32 v45, v58, v45 :: v_dual_lshlrev_b32 v58, v48, v31
	v_dual_sub_nc_u32 v46, v59, v46 :: v_dual_lshlrev_b32 v59, v49, v32
	v_and_b32_e32 v39, 0x7f000000, v3
	v_clz_i32_u32_e32 v54, v37
	v_clz_i32_u32_e32 v55, v38
	v_min_u32_e32 v53, 32, v53
	v_sub_nc_u32_e64 v51, v51, 4 clamp
	v_sub_nc_u32_e64 v52, v52, 4 clamp
	v_dual_lshlrev_b32 v48, 23, v48 :: v_dual_sub_nc_u32 v47, v57, v47
	v_dual_lshlrev_b32 v57, v50, v33 :: v_dual_lshrrev_b32 v58, 4, v58
	v_dual_lshlrev_b32 v49, 23, v49 :: v_dual_lshlrev_b32 v50, 23, v50
	v_lshrrev_b32_e32 v59, 4, v59
	v_clz_i32_u32_e32 v56, v39
	v_min_u32_e32 v54, 32, v54
	v_min_u32_e32 v55, 32, v55
	v_sub_nc_u32_e64 v53, v53, 4 clamp
	v_dual_lshrrev_b32 v57, 4, v57 :: v_dual_sub_nc_u32 v48, v58, v48
	v_dual_lshlrev_b32 v58, v51, v34 :: v_dual_lshlrev_b32 v51, 23, v51
	v_dual_sub_nc_u32 v49, v59, v49 :: v_dual_lshlrev_b32 v59, v52, v35
	v_min_u32_e32 v56, 32, v56
	v_sub_nc_u32_e64 v54, v54, 4 clamp
	v_sub_nc_u32_e64 v55, v55, 4 clamp
	v_dual_sub_nc_u32 v50, v57, v50 :: v_dual_lshlrev_b32 v52, 23, v52
	v_dual_lshlrev_b32 v57, v53, v36 :: v_dual_lshrrev_b32 v58, 4, v58
	v_dual_lshlrev_b32 v53, 23, v53 :: v_dual_lshrrev_b32 v59, 4, v59
	v_sub_nc_u32_e64 v56, v56, 4 clamp
	s_delay_alu instid0(VALU_DEP_3) | instskip(SKIP_1) | instid1(VALU_DEP_2)
	v_dual_lshrrev_b32 v57, 4, v57 :: v_dual_sub_nc_u32 v51, v58, v51
	v_dual_lshlrev_b32 v58, v54, v37 :: v_dual_lshlrev_b32 v54, 23, v54
	v_dual_sub_nc_u32 v52, v59, v52 :: v_dual_sub_nc_u32 v53, v57, v53
	s_delay_alu instid0(VALU_DEP_4) | instskip(NEXT) | instid1(VALU_DEP_3)
	v_dual_lshlrev_b32 v59, v55, v38 :: v_dual_lshlrev_b32 v57, v56, v39
	v_dual_lshrrev_b32 v58, 4, v58 :: v_dual_lshlrev_b32 v55, 23, v55
	s_delay_alu instid0(VALU_DEP_2) | instskip(NEXT) | instid1(VALU_DEP_2)
	v_dual_lshlrev_b32 v56, 23, v56 :: v_dual_lshrrev_b32 v59, 4, v59
	v_dual_lshrrev_b32 v57, 4, v57 :: v_dual_sub_nc_u32 v54, v58, v54
	v_cmp_ne_u32_e32 vcc_lo, 0, v24
	v_add_nc_u32_e32 v43, 0x3c000000, v43
	s_delay_alu instid0(VALU_DEP_3)
	v_dual_sub_nc_u32 v55, v59, v55 :: v_dual_sub_nc_u32 v56, v57, v56
	v_add_nc_u32_e32 v59, 0x1000000, v26
	v_add_nc_u32_e32 v40, 0x3c000000, v40
	;; [unrolled: 1-line block ×5, first 2 shown]
	v_ashrrev_i32_e32 v59, 8, v59
	v_add_nc_u32_e32 v44, 0x3c000000, v44
	v_add_nc_u32_e32 v53, 0x3c000000, v53
	;; [unrolled: 1-line block ×4, first 2 shown]
	v_and_or_b32 v43, 0x7f800000, v59, v43
	v_add_nc_u32_e32 v41, 0x1000000, v24
	v_add_nc_u32_e32 v59, 0x1000000, v30
	;; [unrolled: 1-line block ×5, first 2 shown]
	s_delay_alu instid0(VALU_DEP_4) | instskip(SKIP_2) | instid1(VALU_DEP_3)
	v_dual_ashrrev_i32 v41, 8, v41 :: v_dual_ashrrev_i32 v59, 8, v59
	v_add_nc_u32_e32 v55, 0x3c000000, v55
	v_add_nc_u32_e32 v56, 0x3c000000, v56
	v_and_or_b32 v40, 0x7f800000, v41, v40
	s_delay_alu instid0(VALU_DEP_4) | instskip(SKIP_1) | instid1(VALU_DEP_3)
	v_and_or_b32 v47, 0x7f800000, v59, v47
	v_add_nc_u32_e32 v41, 0x1000000, v28
	v_dual_cndmask_b32 v24, 0, v40 :: v_dual_add_nc_u32 v59, 0x1000000, v34
	v_cmp_ne_u32_e32 vcc_lo, 0, v25
	s_delay_alu instid0(VALU_DEP_3) | instskip(SKIP_1) | instid1(VALU_DEP_4)
	v_ashrrev_i32_e32 v41, 8, v41
	v_add_nc_u32_e32 v58, 0x1000000, v25
	v_and_or_b32 v4, 0x80000000, v4, v24
	s_delay_alu instid0(VALU_DEP_3) | instskip(SKIP_2) | instid1(VALU_DEP_2)
	v_and_or_b32 v41, 0x7f800000, v41, v45
	v_add_nc_u32_e32 v45, 0x1000000, v32
	v_add_nc_u32_e32 v57, 0x1000000, v27
	v_dual_ashrrev_i32 v58, 8, v58 :: v_dual_ashrrev_i32 v45, 8, v45
	s_delay_alu instid0(VALU_DEP_2) | instskip(NEXT) | instid1(VALU_DEP_2)
	v_ashrrev_i32_e32 v57, 8, v57
	v_and_or_b32 v45, 0x7f800000, v45, v49
	v_add_nc_u32_e32 v49, 0x1000000, v36
	s_delay_alu instid0(VALU_DEP_3) | instskip(SKIP_1) | instid1(VALU_DEP_3)
	v_and_or_b32 v44, 0x7f800000, v57, v44
	v_add_nc_u32_e32 v42, 0x3c000000, v42
	v_ashrrev_i32_e32 v49, 8, v49
	s_delay_alu instid0(VALU_DEP_2) | instskip(NEXT) | instid1(VALU_DEP_2)
	v_and_or_b32 v42, 0x7f800000, v58, v42
	v_and_or_b32 v49, 0x7f800000, v49, v53
	v_add_nc_u32_e32 v57, 0x1000000, v31
	s_delay_alu instid0(VALU_DEP_3) | instskip(SKIP_1) | instid1(VALU_DEP_3)
	v_cndmask_b32_e32 v25, 0, v42, vcc_lo
	v_cmp_ne_u32_e32 vcc_lo, 0, v26
	v_ashrrev_i32_e32 v57, 8, v57
	s_delay_alu instid0(VALU_DEP_3) | instskip(SKIP_2) | instid1(VALU_DEP_4)
	v_and_or_b32 v6, 0x80000000, v6, v25
	v_cndmask_b32_e32 v26, 0, v43, vcc_lo
	v_cmp_ne_u32_e32 vcc_lo, 0, v27
	v_and_or_b32 v48, 0x7f800000, v57, v48
	v_add_nc_u32_e32 v57, 0x1000000, v35
	v_add_nc_u32_e32 v58, 0x1000000, v29
	v_dual_ashrrev_i32 v59, 8, v59 :: v_dual_cndmask_b32 v27, 0, v44, vcc_lo
	v_cmp_ne_u32_e32 vcc_lo, 0, v28
	s_delay_alu instid0(VALU_DEP_3) | instskip(NEXT) | instid1(VALU_DEP_3)
	v_dual_ashrrev_i32 v57, 8, v57 :: v_dual_ashrrev_i32 v58, 8, v58
	v_and_or_b32 v51, 0x7f800000, v59, v51
	v_dual_cndmask_b32 v28, 0, v41 :: v_dual_add_nc_u32 v59, 0x1000000, v38
	s_delay_alu instid0(VALU_DEP_3)
	v_and_or_b32 v52, 0x7f800000, v57, v52
	v_add_nc_u32_e32 v46, 0x3c000000, v46
	v_cmp_ne_u32_e32 vcc_lo, 0, v29
	v_add_nc_u32_e32 v57, 0x1000000, v39
	v_ashrrev_i32_e32 v59, 8, v59
	v_and_or_b32 v7, 0x80000000, v7, v26
	v_and_or_b32 v46, 0x7f800000, v58, v46
	v_add_nc_u32_e32 v58, 0x1000000, v33
	v_ashrrev_i32_e32 v57, 8, v57
	v_and_or_b32 v9, 0x80000000, v9, v27
	v_and_or_b32 v10, 0x80000000, v10, v28
	v_cndmask_b32_e32 v29, 0, v46, vcc_lo
	v_cmp_ne_u32_e32 vcc_lo, 0, v30
	v_ashrrev_i32_e32 v58, 8, v58
	s_delay_alu instid0(VALU_DEP_3) | instskip(SKIP_2) | instid1(VALU_DEP_4)
	v_and_or_b32 v11, 0x80000000, v11, v29
	v_cndmask_b32_e32 v30, 0, v47, vcc_lo
	v_cmp_ne_u32_e32 vcc_lo, 0, v31
	v_and_or_b32 v50, 0x7f800000, v58, v50
	v_add_nc_u32_e32 v58, 0x1000000, v37
	s_delay_alu instid0(VALU_DEP_4) | instskip(SKIP_2) | instid1(VALU_DEP_4)
	v_and_or_b32 v14, 0x80000000, v14, v30
	v_cndmask_b32_e32 v31, 0, v48, vcc_lo
	v_cmp_ne_u32_e32 vcc_lo, 0, v32
	v_ashrrev_i32_e32 v58, 8, v58
	s_delay_alu instid0(VALU_DEP_3) | instskip(SKIP_2) | instid1(VALU_DEP_4)
	v_and_or_b32 v15, 0x80000000, v15, v31
	v_cndmask_b32_e32 v32, 0, v45, vcc_lo
	v_cmp_ne_u32_e32 vcc_lo, 0, v33
	v_and_or_b32 v53, 0x7f800000, v58, v54
	v_and_or_b32 v54, 0x7f800000, v59, v55
	;; [unrolled: 1-line block ×4, first 2 shown]
	v_cndmask_b32_e32 v33, 0, v50, vcc_lo
	v_cmp_ne_u32_e32 vcc_lo, 0, v34
	s_delay_alu instid0(VALU_DEP_2) | instskip(SKIP_2) | instid1(VALU_DEP_2)
	v_and_or_b32 v18, 0x80000000, v18, v33
	v_cndmask_b32_e32 v34, 0, v51, vcc_lo
	v_cmp_ne_u32_e32 vcc_lo, 0, v35
	v_and_or_b32 v19, 0x80000000, v19, v34
	v_cndmask_b32_e32 v35, 0, v52, vcc_lo
	v_cmp_ne_u32_e32 vcc_lo, 0, v36
	s_delay_alu instid0(VALU_DEP_2) | instskip(SKIP_2) | instid1(VALU_DEP_2)
	v_and_or_b32 v20, 0x80000000, v20, v35
	v_cndmask_b32_e32 v36, 0, v49, vcc_lo
	v_cmp_ne_u32_e32 vcc_lo, 0, v37
	v_and_or_b32 v21, 0x80000000, v21, v36
	v_cndmask_b32_e32 v37, 0, v53, vcc_lo
	v_cmp_ne_u32_e32 vcc_lo, 0, v38
	s_delay_alu instid0(VALU_DEP_2) | instskip(SKIP_2) | instid1(VALU_DEP_2)
	v_and_or_b32 v22, 0x80000000, v22, v37
	v_cndmask_b32_e32 v38, 0, v54, vcc_lo
	v_cmp_ne_u32_e32 vcc_lo, 0, v39
	v_and_or_b32 v23, 0x80000000, v23, v38
	v_cndmask_b32_e32 v39, 0, v55, vcc_lo
	v_cmp_eq_f32_e32 vcc_lo, v4, v6
	s_delay_alu instid0(VALU_DEP_2)
	v_and_or_b32 v3, 0x80000000, v3, v39
	v_cndmask_b32_e64 v24, 0, 1, vcc_lo
	v_cmp_neq_f32_e32 vcc_lo, v4, v6
	v_cndmask_b32_e64 v4, 0, 1, vcc_lo
	v_cmp_eq_f32_e32 vcc_lo, v7, v9
	v_cndmask_b32_e64 v6, 0, 1, vcc_lo
	v_cmp_neq_f32_e32 vcc_lo, v7, v9
	v_cndmask_b32_e64 v7, 0, 1, vcc_lo
	v_cmp_eq_f32_e32 vcc_lo, v10, v11
	;; [unrolled: 4-line block ×7, first 2 shown]
	v_cndmask_b32_e64 v22, 0, 1, vcc_lo
	v_cmp_neq_f32_e32 vcc_lo, v23, v3
	v_cndmask_b32_e64 v3, 0, 1, vcc_lo
	s_cselect_b32 vcc_lo, -1, 0
	s_delay_alu instid0(SALU_CYCLE_1)
	v_dual_cndmask_b32 v4, v4, v24, vcc_lo :: v_dual_cndmask_b32 v6, v7, v6, vcc_lo
	v_cndmask_b32_e32 v7, v10, v9, vcc_lo
	v_cndmask_b32_e32 v9, v14, v11, vcc_lo
	v_dual_cndmask_b32 v10, v17, v15 :: v_dual_cndmask_b32 v11, v19, v18
	v_dual_cndmask_b32 v14, v21, v20 :: v_dual_cndmask_b32 v3, v3, v22
	v_and_b32_e32 v4, 1, v4
	v_and_b32_e32 v6, 1, v6
	;; [unrolled: 1-line block ×8, first 2 shown]
	s_clause 0x7
	global_store_b8 v1, v4, s[0:1]
	global_store_b8 v2, v6, s[0:1]
	;; [unrolled: 1-line block ×8, first 2 shown]
	s_endpgm
	.section	.rodata,"a",@progbits
	.p2align	6, 0x0
	.amdhsa_kernel _ZN2at6native32elementwise_kernel_manual_unrollILi128ELi8EZNS0_22gpu_kernel_impl_nocastINS0_13BinaryFunctorIN3c1013Float8_e4m3fnES5_bNS0_12_GLOBAL__N_116CompareEqFunctorIS5_EEEEEEvRNS_18TensorIteratorBaseERKT_EUlibE_EEviT1_
		.amdhsa_group_segment_fixed_size 0
		.amdhsa_private_segment_fixed_size 0
		.amdhsa_kernarg_size 432
		.amdhsa_user_sgpr_count 2
		.amdhsa_user_sgpr_dispatch_ptr 0
		.amdhsa_user_sgpr_queue_ptr 0
		.amdhsa_user_sgpr_kernarg_segment_ptr 1
		.amdhsa_user_sgpr_dispatch_id 0
		.amdhsa_user_sgpr_kernarg_preload_length 0
		.amdhsa_user_sgpr_kernarg_preload_offset 0
		.amdhsa_user_sgpr_private_segment_size 0
		.amdhsa_wavefront_size32 1
		.amdhsa_uses_dynamic_stack 0
		.amdhsa_enable_private_segment 0
		.amdhsa_system_sgpr_workgroup_id_x 1
		.amdhsa_system_sgpr_workgroup_id_y 0
		.amdhsa_system_sgpr_workgroup_id_z 0
		.amdhsa_system_sgpr_workgroup_info 0
		.amdhsa_system_vgpr_workitem_id 0
		.amdhsa_next_free_vgpr 60
		.amdhsa_next_free_sgpr 46
		.amdhsa_named_barrier_count 0
		.amdhsa_reserve_vcc 1
		.amdhsa_float_round_mode_32 0
		.amdhsa_float_round_mode_16_64 0
		.amdhsa_float_denorm_mode_32 3
		.amdhsa_float_denorm_mode_16_64 3
		.amdhsa_fp16_overflow 0
		.amdhsa_memory_ordered 1
		.amdhsa_forward_progress 1
		.amdhsa_inst_pref_size 117
		.amdhsa_round_robin_scheduling 0
		.amdhsa_exception_fp_ieee_invalid_op 0
		.amdhsa_exception_fp_denorm_src 0
		.amdhsa_exception_fp_ieee_div_zero 0
		.amdhsa_exception_fp_ieee_overflow 0
		.amdhsa_exception_fp_ieee_underflow 0
		.amdhsa_exception_fp_ieee_inexact 0
		.amdhsa_exception_int_div_zero 0
	.end_amdhsa_kernel
	.section	.text._ZN2at6native32elementwise_kernel_manual_unrollILi128ELi8EZNS0_22gpu_kernel_impl_nocastINS0_13BinaryFunctorIN3c1013Float8_e4m3fnES5_bNS0_12_GLOBAL__N_116CompareEqFunctorIS5_EEEEEEvRNS_18TensorIteratorBaseERKT_EUlibE_EEviT1_,"axG",@progbits,_ZN2at6native32elementwise_kernel_manual_unrollILi128ELi8EZNS0_22gpu_kernel_impl_nocastINS0_13BinaryFunctorIN3c1013Float8_e4m3fnES5_bNS0_12_GLOBAL__N_116CompareEqFunctorIS5_EEEEEEvRNS_18TensorIteratorBaseERKT_EUlibE_EEviT1_,comdat
.Lfunc_end272:
	.size	_ZN2at6native32elementwise_kernel_manual_unrollILi128ELi8EZNS0_22gpu_kernel_impl_nocastINS0_13BinaryFunctorIN3c1013Float8_e4m3fnES5_bNS0_12_GLOBAL__N_116CompareEqFunctorIS5_EEEEEEvRNS_18TensorIteratorBaseERKT_EUlibE_EEviT1_, .Lfunc_end272-_ZN2at6native32elementwise_kernel_manual_unrollILi128ELi8EZNS0_22gpu_kernel_impl_nocastINS0_13BinaryFunctorIN3c1013Float8_e4m3fnES5_bNS0_12_GLOBAL__N_116CompareEqFunctorIS5_EEEEEEvRNS_18TensorIteratorBaseERKT_EUlibE_EEviT1_
                                        ; -- End function
	.set _ZN2at6native32elementwise_kernel_manual_unrollILi128ELi8EZNS0_22gpu_kernel_impl_nocastINS0_13BinaryFunctorIN3c1013Float8_e4m3fnES5_bNS0_12_GLOBAL__N_116CompareEqFunctorIS5_EEEEEEvRNS_18TensorIteratorBaseERKT_EUlibE_EEviT1_.num_vgpr, 60
	.set _ZN2at6native32elementwise_kernel_manual_unrollILi128ELi8EZNS0_22gpu_kernel_impl_nocastINS0_13BinaryFunctorIN3c1013Float8_e4m3fnES5_bNS0_12_GLOBAL__N_116CompareEqFunctorIS5_EEEEEEvRNS_18TensorIteratorBaseERKT_EUlibE_EEviT1_.num_agpr, 0
	.set _ZN2at6native32elementwise_kernel_manual_unrollILi128ELi8EZNS0_22gpu_kernel_impl_nocastINS0_13BinaryFunctorIN3c1013Float8_e4m3fnES5_bNS0_12_GLOBAL__N_116CompareEqFunctorIS5_EEEEEEvRNS_18TensorIteratorBaseERKT_EUlibE_EEviT1_.numbered_sgpr, 46
	.set _ZN2at6native32elementwise_kernel_manual_unrollILi128ELi8EZNS0_22gpu_kernel_impl_nocastINS0_13BinaryFunctorIN3c1013Float8_e4m3fnES5_bNS0_12_GLOBAL__N_116CompareEqFunctorIS5_EEEEEEvRNS_18TensorIteratorBaseERKT_EUlibE_EEviT1_.num_named_barrier, 0
	.set _ZN2at6native32elementwise_kernel_manual_unrollILi128ELi8EZNS0_22gpu_kernel_impl_nocastINS0_13BinaryFunctorIN3c1013Float8_e4m3fnES5_bNS0_12_GLOBAL__N_116CompareEqFunctorIS5_EEEEEEvRNS_18TensorIteratorBaseERKT_EUlibE_EEviT1_.private_seg_size, 0
	.set _ZN2at6native32elementwise_kernel_manual_unrollILi128ELi8EZNS0_22gpu_kernel_impl_nocastINS0_13BinaryFunctorIN3c1013Float8_e4m3fnES5_bNS0_12_GLOBAL__N_116CompareEqFunctorIS5_EEEEEEvRNS_18TensorIteratorBaseERKT_EUlibE_EEviT1_.uses_vcc, 1
	.set _ZN2at6native32elementwise_kernel_manual_unrollILi128ELi8EZNS0_22gpu_kernel_impl_nocastINS0_13BinaryFunctorIN3c1013Float8_e4m3fnES5_bNS0_12_GLOBAL__N_116CompareEqFunctorIS5_EEEEEEvRNS_18TensorIteratorBaseERKT_EUlibE_EEviT1_.uses_flat_scratch, 0
	.set _ZN2at6native32elementwise_kernel_manual_unrollILi128ELi8EZNS0_22gpu_kernel_impl_nocastINS0_13BinaryFunctorIN3c1013Float8_e4m3fnES5_bNS0_12_GLOBAL__N_116CompareEqFunctorIS5_EEEEEEvRNS_18TensorIteratorBaseERKT_EUlibE_EEviT1_.has_dyn_sized_stack, 0
	.set _ZN2at6native32elementwise_kernel_manual_unrollILi128ELi8EZNS0_22gpu_kernel_impl_nocastINS0_13BinaryFunctorIN3c1013Float8_e4m3fnES5_bNS0_12_GLOBAL__N_116CompareEqFunctorIS5_EEEEEEvRNS_18TensorIteratorBaseERKT_EUlibE_EEviT1_.has_recursion, 0
	.set _ZN2at6native32elementwise_kernel_manual_unrollILi128ELi8EZNS0_22gpu_kernel_impl_nocastINS0_13BinaryFunctorIN3c1013Float8_e4m3fnES5_bNS0_12_GLOBAL__N_116CompareEqFunctorIS5_EEEEEEvRNS_18TensorIteratorBaseERKT_EUlibE_EEviT1_.has_indirect_call, 0
	.section	.AMDGPU.csdata,"",@progbits
; Kernel info:
; codeLenInByte = 14884
; TotalNumSgprs: 48
; NumVgprs: 60
; ScratchSize: 0
; MemoryBound: 0
; FloatMode: 240
; IeeeMode: 1
; LDSByteSize: 0 bytes/workgroup (compile time only)
; SGPRBlocks: 0
; VGPRBlocks: 3
; NumSGPRsForWavesPerEU: 48
; NumVGPRsForWavesPerEU: 60
; NamedBarCnt: 0
; Occupancy: 16
; WaveLimiterHint : 1
; COMPUTE_PGM_RSRC2:SCRATCH_EN: 0
; COMPUTE_PGM_RSRC2:USER_SGPR: 2
; COMPUTE_PGM_RSRC2:TRAP_HANDLER: 0
; COMPUTE_PGM_RSRC2:TGID_X_EN: 1
; COMPUTE_PGM_RSRC2:TGID_Y_EN: 0
; COMPUTE_PGM_RSRC2:TGID_Z_EN: 0
; COMPUTE_PGM_RSRC2:TIDIG_COMP_CNT: 0
	.text
	.p2align	2                               ; -- Begin function _ZN2at6native6invokeINS0_13BinaryFunctorIN3c1013Float8_e4m3fnES4_bNS0_12_GLOBAL__N_116CompareEqFunctorIS4_EEEEi15function_traitsIS8_EEENT1_11result_typeERKT_PrKPcPKT0_PKNS3_10ScalarTypeEi
	.type	_ZN2at6native6invokeINS0_13BinaryFunctorIN3c1013Float8_e4m3fnES4_bNS0_12_GLOBAL__N_116CompareEqFunctorIS4_EEEEi15function_traitsIS8_EEENT1_11result_typeERKT_PrKPcPKT0_PKNS3_10ScalarTypeEi,@function
_ZN2at6native6invokeINS0_13BinaryFunctorIN3c1013Float8_e4m3fnES4_bNS0_12_GLOBAL__N_116CompareEqFunctorIS4_EEEEi15function_traitsIS8_EEENT1_11result_typeERKT_PrKPcPKT0_PKNS3_10ScalarTypeEi: ; @_ZN2at6native6invokeINS0_13BinaryFunctorIN3c1013Float8_e4m3fnES4_bNS0_12_GLOBAL__N_116CompareEqFunctorIS4_EEEEi15function_traitsIS8_EEENT1_11result_typeERKT_PrKPcPKT0_PKNS3_10ScalarTypeEi
; %bb.0:
	s_wait_loadcnt_dscnt 0x0
	s_wait_kmcnt 0x0
	v_dual_mov_b32 v9, v6 :: v_dual_mov_b32 v8, v5
	v_dual_mov_b32 v5, v4 :: v_dual_mov_b32 v4, v3
	;; [unrolled: 1-line block ×3, first 2 shown]
	flat_load_b32 v1, v[4:5]
	flat_load_b64 v[10:11], v[2:3]
	flat_load_u8 v6, v[8:9]
	s_mov_b32 s3, 0
	s_mov_b32 s0, 0
	s_mov_b32 s1, exec_lo
	s_wait_loadcnt_dscnt 0x202
	v_mul_lo_u32 v12, v1, v7
                                        ; implicit-def: $vgpr1
	s_delay_alu instid0(VALU_DEP_1) | instskip(SKIP_1) | instid1(VALU_DEP_1)
	v_ashrrev_i32_e32 v13, 31, v12
	s_wait_loadcnt_dscnt 0x101
	v_add_nc_u64_e32 v[10:11], v[10:11], v[12:13]
	s_wait_loadcnt_dscnt 0x0
	v_cmpx_lt_i16_e32 10, v6
	s_xor_b32 s1, exec_lo, s1
	s_cbranch_execz .LBB273_95
; %bb.1:
	s_mov_b32 s4, 0
	s_mov_b32 s2, exec_lo
                                        ; implicit-def: $vgpr1
	v_cmpx_lt_i16_e32 25, v6
	s_xor_b32 s2, exec_lo, s2
	s_cbranch_execz .LBB273_457
; %bb.2:
	s_mov_b32 s5, 0
	s_mov_b32 s3, exec_lo
                                        ; implicit-def: $vgpr1
	v_cmpx_lt_i16_e32 28, v6
	s_xor_b32 s3, exec_lo, s3
	s_cbranch_execz .LBB273_42
; %bb.3:
	s_mov_b32 s6, 0
	s_mov_b32 s7, 0
	s_mov_b32 s4, exec_lo
                                        ; implicit-def: $vgpr1
	v_cmpx_lt_i16_e32 43, v6
	s_xor_b32 s4, exec_lo, s4
	s_cbranch_execz .LBB273_29
; %bb.4:
	s_mov_b32 s7, exec_lo
                                        ; implicit-def: $vgpr1
	v_cmpx_lt_i16_e32 45, v6
	s_xor_b32 s7, exec_lo, s7
	s_cbranch_execz .LBB273_16
; %bb.5:
	s_mov_b32 s8, -1
	s_mov_b32 s5, exec_lo
                                        ; implicit-def: $vgpr1
	v_cmpx_eq_u16_e32 46, v6
	s_cbranch_execz .LBB273_15
; %bb.6:
	flat_load_b32 v1, v[10:11]
	s_mov_b32 s6, exec_lo
                                        ; implicit-def: $vgpr6
	s_wait_loadcnt_dscnt 0x0
	v_lshlrev_b32_e32 v1, 16, v1
	s_delay_alu instid0(VALU_DEP_1) | instskip(SKIP_1) | instid1(VALU_DEP_1)
	v_and_b32_e32 v12, 0x7fffffff, v1
	s_wait_xcnt 0x0
	v_cmpx_gt_u32_e32 0x43f00000, v12
	s_xor_b32 s6, exec_lo, s6
	s_cbranch_execz .LBB273_12
; %bb.7:
	s_mov_b32 s8, exec_lo
                                        ; implicit-def: $vgpr6
	v_cmpx_lt_u32_e32 0x3c7fffff, v12
	s_xor_b32 s8, exec_lo, s8
; %bb.8:
	v_bfe_u32 v6, v1, 20, 1
	s_delay_alu instid0(VALU_DEP_1) | instskip(NEXT) | instid1(VALU_DEP_1)
	v_add3_u32 v6, v1, v6, 0x407ffff
	v_and_b32_e32 v12, 0xff00000, v6
	v_lshrrev_b32_e32 v6, 20, v6
	s_delay_alu instid0(VALU_DEP_2) | instskip(NEXT) | instid1(VALU_DEP_2)
	v_cmp_ne_u32_e32 vcc_lo, 0x7f00000, v12
	v_cndmask_b32_e32 v6, 0x7e, v6, vcc_lo
; %bb.9:
	s_and_not1_saveexec_b32 s8, s8
; %bb.10:
	v_add_f32_e64 v6, 0x46800000, |v1|
; %bb.11:
	s_or_b32 exec_lo, exec_lo, s8
                                        ; implicit-def: $vgpr12
.LBB273_12:
	s_and_not1_saveexec_b32 s6, s6
; %bb.13:
	v_mov_b32_e32 v6, 0x7f
	v_cmp_lt_u32_e32 vcc_lo, 0x7f800000, v12
	s_delay_alu instid0(VALU_DEP_2)
	v_cndmask_b32_e32 v6, 0x7e, v6, vcc_lo
; %bb.14:
	s_or_b32 exec_lo, exec_lo, s6
	v_lshrrev_b32_e32 v1, 24, v1
	s_mov_b32 s6, exec_lo
	s_xor_b32 s8, exec_lo, -1
	s_delay_alu instid0(VALU_DEP_1)
	v_and_or_b32 v1, 0x80, v1, v6
.LBB273_15:
	s_or_b32 exec_lo, exec_lo, s5
	s_delay_alu instid0(SALU_CYCLE_1)
	s_and_b32 s6, s6, exec_lo
	s_and_b32 s5, s8, exec_lo
                                        ; implicit-def: $vgpr6
.LBB273_16:
	s_and_not1_saveexec_b32 s7, s7
	s_cbranch_execz .LBB273_28
; %bb.17:
	s_mov_b32 s9, -1
	s_mov_b32 s10, s6
	s_mov_b32 s8, exec_lo
                                        ; implicit-def: $vgpr1
	v_cmpx_eq_u16_e32 44, v6
	s_cbranch_execz .LBB273_27
; %bb.18:
	flat_load_u8 v1, v[10:11]
	s_mov_b32 s9, exec_lo
	s_wait_loadcnt_dscnt 0x0
	v_lshlrev_b32_e32 v6, 23, v1
	v_cmp_ne_u32_e32 vcc_lo, 0xff, v1
	s_delay_alu instid0(VALU_DEP_2) | instskip(SKIP_1) | instid1(VALU_DEP_2)
	v_cndmask_b32_e32 v6, 0x7f800001, v6, vcc_lo
	v_cmp_ne_u32_e32 vcc_lo, 0, v1
                                        ; implicit-def: $vgpr1
	v_cndmask_b32_e32 v6, 0x400000, v6, vcc_lo
	s_wait_xcnt 0x0
	s_delay_alu instid0(VALU_DEP_1)
	v_cmpx_gt_u32_e32 0x43f00000, v6
	s_xor_b32 s9, exec_lo, s9
	s_cbranch_execz .LBB273_24
; %bb.19:
	s_mov_b32 s10, exec_lo
                                        ; implicit-def: $vgpr1
	v_cmpx_lt_u32_e32 0x3c7fffff, v6
	s_xor_b32 s10, exec_lo, s10
; %bb.20:
	v_bfe_u32 v1, v6, 20, 1
	s_delay_alu instid0(VALU_DEP_1) | instskip(NEXT) | instid1(VALU_DEP_1)
	v_add3_u32 v1, v6, v1, 0x407ffff
	v_and_b32_e32 v6, 0xff00000, v1
	v_lshrrev_b32_e32 v1, 20, v1
	s_delay_alu instid0(VALU_DEP_2) | instskip(NEXT) | instid1(VALU_DEP_2)
	v_cmp_ne_u32_e32 vcc_lo, 0x7f00000, v6
                                        ; implicit-def: $vgpr6
	v_cndmask_b32_e32 v1, 0x7e, v1, vcc_lo
; %bb.21:
	s_and_not1_saveexec_b32 s10, s10
; %bb.22:
	v_add_f32_e32 v1, 0x46800000, v6
; %bb.23:
	s_or_b32 exec_lo, exec_lo, s10
                                        ; implicit-def: $vgpr6
.LBB273_24:
	s_and_not1_saveexec_b32 s9, s9
; %bb.25:
	v_mov_b32_e32 v1, 0x7f
	v_cmp_lt_u32_e32 vcc_lo, 0x7f800000, v6
	s_delay_alu instid0(VALU_DEP_2)
	v_cndmask_b32_e32 v1, 0x7e, v1, vcc_lo
; %bb.26:
	s_or_b32 exec_lo, exec_lo, s9
	s_delay_alu instid0(SALU_CYCLE_1)
	s_or_b32 s10, s6, exec_lo
	s_xor_b32 s9, exec_lo, -1
.LBB273_27:
	s_or_b32 exec_lo, exec_lo, s8
	s_delay_alu instid0(SALU_CYCLE_1)
	s_and_not1_b32 s6, s6, exec_lo
	s_and_b32 s8, s10, exec_lo
	s_and_not1_b32 s5, s5, exec_lo
	s_and_b32 s9, s9, exec_lo
	s_or_b32 s6, s6, s8
	s_or_b32 s5, s5, s9
.LBB273_28:
	s_or_b32 exec_lo, exec_lo, s7
	s_delay_alu instid0(SALU_CYCLE_1)
	s_and_b32 s7, s6, exec_lo
	s_and_b32 s6, s5, exec_lo
                                        ; implicit-def: $vgpr6
.LBB273_29:
	s_and_not1_saveexec_b32 s4, s4
	s_cbranch_execz .LBB273_41
; %bb.30:
	s_mov_b32 s8, -1
	s_mov_b32 s9, s7
	s_mov_b32 s5, exec_lo
                                        ; implicit-def: $vgpr1
	v_cmpx_eq_u16_e32 29, v6
	s_cbranch_execz .LBB273_40
; %bb.31:
	flat_load_b64 v[12:13], v[10:11]
	s_mov_b32 s8, exec_lo
	s_wait_loadcnt_dscnt 0x0
	v_clz_i32_u32_e32 v1, v13
	s_delay_alu instid0(VALU_DEP_1) | instskip(NEXT) | instid1(VALU_DEP_1)
	v_min_u32_e32 v1, 32, v1
	v_lshlrev_b64_e32 v[12:13], v1, v[12:13]
	v_sub_nc_u32_e32 v1, 32, v1
	s_delay_alu instid0(VALU_DEP_2) | instskip(NEXT) | instid1(VALU_DEP_1)
	v_min_u32_e32 v6, 1, v12
	v_or_b32_e32 v6, v13, v6
	s_delay_alu instid0(VALU_DEP_1) | instskip(NEXT) | instid1(VALU_DEP_1)
	v_cvt_f32_u32_e32 v6, v6
	v_ldexp_f32 v6, v6, v1
                                        ; implicit-def: $vgpr1
	s_wait_xcnt 0x0
	s_delay_alu instid0(VALU_DEP_1)
	v_cmpx_gt_u32_e32 0x43f00000, v6
	s_xor_b32 s8, exec_lo, s8
	s_cbranch_execz .LBB273_37
; %bb.32:
	s_mov_b32 s9, exec_lo
                                        ; implicit-def: $vgpr1
	v_cmpx_lt_u32_e32 0x3c7fffff, v6
	s_xor_b32 s9, exec_lo, s9
; %bb.33:
	v_bfe_u32 v1, v6, 20, 1
	s_delay_alu instid0(VALU_DEP_1) | instskip(NEXT) | instid1(VALU_DEP_1)
	v_add3_u32 v1, v6, v1, 0x407ffff
	v_and_b32_e32 v6, 0xff00000, v1
	v_lshrrev_b32_e32 v1, 20, v1
	s_delay_alu instid0(VALU_DEP_2) | instskip(NEXT) | instid1(VALU_DEP_2)
	v_cmp_ne_u32_e32 vcc_lo, 0x7f00000, v6
                                        ; implicit-def: $vgpr6
	v_cndmask_b32_e32 v1, 0x7e, v1, vcc_lo
; %bb.34:
	s_and_not1_saveexec_b32 s9, s9
; %bb.35:
	v_add_f32_e32 v1, 0x46800000, v6
; %bb.36:
	s_or_b32 exec_lo, exec_lo, s9
                                        ; implicit-def: $vgpr6
.LBB273_37:
	s_and_not1_saveexec_b32 s8, s8
; %bb.38:
	v_mov_b32_e32 v1, 0x7f
	v_cmp_lt_u32_e32 vcc_lo, 0x7f800000, v6
	s_delay_alu instid0(VALU_DEP_2)
	v_cndmask_b32_e32 v1, 0x7e, v1, vcc_lo
; %bb.39:
	s_or_b32 exec_lo, exec_lo, s8
	s_delay_alu instid0(SALU_CYCLE_1)
	s_or_b32 s9, s7, exec_lo
	s_xor_b32 s8, exec_lo, -1
.LBB273_40:
	s_or_b32 exec_lo, exec_lo, s5
	s_delay_alu instid0(SALU_CYCLE_1)
	s_and_not1_b32 s5, s7, exec_lo
	s_and_b32 s7, s9, exec_lo
	s_and_not1_b32 s6, s6, exec_lo
	s_and_b32 s8, s8, exec_lo
	s_or_b32 s7, s5, s7
	s_or_b32 s6, s6, s8
.LBB273_41:
	s_or_b32 exec_lo, exec_lo, s4
	s_delay_alu instid0(SALU_CYCLE_1)
	s_and_b32 s5, s7, exec_lo
	s_and_b32 s4, s6, exec_lo
                                        ; implicit-def: $vgpr6
.LBB273_42:
	s_and_not1_saveexec_b32 s3, s3
	s_cbranch_execz .LBB273_82
; %bb.43:
	s_mov_b32 s6, exec_lo
                                        ; implicit-def: $vgpr1
	v_cmpx_lt_i16_e32 26, v6
	s_xor_b32 s6, exec_lo, s6
	s_cbranch_execz .LBB273_65
; %bb.44:
	s_mov_b32 s7, exec_lo
                                        ; implicit-def: $vgpr1
	v_cmpx_lt_i16_e32 27, v6
	s_xor_b32 s7, exec_lo, s7
	s_cbranch_execz .LBB273_54
; %bb.45:
	flat_load_b32 v1, v[10:11]
	s_mov_b32 s8, exec_lo
	s_wait_loadcnt_dscnt 0x0
	v_cvt_f32_u32_e32 v6, v1
                                        ; implicit-def: $vgpr1
	s_wait_xcnt 0x0
	s_delay_alu instid0(VALU_DEP_1)
	v_cmpx_gt_u32_e32 0x43f00000, v6
	s_xor_b32 s8, exec_lo, s8
	s_cbranch_execz .LBB273_51
; %bb.46:
	s_mov_b32 s9, exec_lo
                                        ; implicit-def: $vgpr1
	v_cmpx_lt_u32_e32 0x3c7fffff, v6
	s_xor_b32 s9, exec_lo, s9
; %bb.47:
	v_bfe_u32 v1, v6, 20, 1
	s_delay_alu instid0(VALU_DEP_1) | instskip(NEXT) | instid1(VALU_DEP_1)
	v_add3_u32 v1, v6, v1, 0x407ffff
	v_and_b32_e32 v6, 0xff00000, v1
	v_lshrrev_b32_e32 v1, 20, v1
	s_delay_alu instid0(VALU_DEP_2) | instskip(NEXT) | instid1(VALU_DEP_2)
	v_cmp_ne_u32_e32 vcc_lo, 0x7f00000, v6
                                        ; implicit-def: $vgpr6
	v_cndmask_b32_e32 v1, 0x7e, v1, vcc_lo
; %bb.48:
	s_and_not1_saveexec_b32 s9, s9
; %bb.49:
	v_add_f32_e32 v1, 0x46800000, v6
; %bb.50:
	s_or_b32 exec_lo, exec_lo, s9
                                        ; implicit-def: $vgpr6
.LBB273_51:
	s_and_not1_saveexec_b32 s8, s8
; %bb.52:
	v_mov_b32_e32 v1, 0x7f
	v_cmp_lt_u32_e32 vcc_lo, 0x7f800000, v6
	s_delay_alu instid0(VALU_DEP_2)
	v_cndmask_b32_e32 v1, 0x7e, v1, vcc_lo
; %bb.53:
	s_or_b32 exec_lo, exec_lo, s8
.LBB273_54:
	s_and_not1_saveexec_b32 s7, s7
	s_cbranch_execz .LBB273_64
; %bb.55:
	flat_load_u16 v1, v[10:11]
	s_mov_b32 s8, exec_lo
	s_wait_loadcnt_dscnt 0x0
	v_cvt_f32_u32_e32 v6, v1
                                        ; implicit-def: $vgpr1
	s_wait_xcnt 0x0
	s_delay_alu instid0(VALU_DEP_1)
	v_cmpx_gt_u32_e32 0x43f00000, v6
	s_xor_b32 s8, exec_lo, s8
	s_cbranch_execz .LBB273_61
; %bb.56:
	s_mov_b32 s9, exec_lo
                                        ; implicit-def: $vgpr1
	v_cmpx_lt_u32_e32 0x3c7fffff, v6
	s_xor_b32 s9, exec_lo, s9
; %bb.57:
	v_bfe_u32 v1, v6, 20, 1
	s_delay_alu instid0(VALU_DEP_1) | instskip(NEXT) | instid1(VALU_DEP_1)
	v_add3_u32 v1, v6, v1, 0x407ffff
	v_and_b32_e32 v6, 0xff00000, v1
	v_lshrrev_b32_e32 v1, 20, v1
	s_delay_alu instid0(VALU_DEP_2) | instskip(NEXT) | instid1(VALU_DEP_2)
	v_cmp_ne_u32_e32 vcc_lo, 0x7f00000, v6
                                        ; implicit-def: $vgpr6
	v_cndmask_b32_e32 v1, 0x7e, v1, vcc_lo
; %bb.58:
	s_and_not1_saveexec_b32 s9, s9
; %bb.59:
	v_add_f32_e32 v1, 0x46800000, v6
; %bb.60:
	s_or_b32 exec_lo, exec_lo, s9
                                        ; implicit-def: $vgpr6
.LBB273_61:
	s_and_not1_saveexec_b32 s8, s8
; %bb.62:
	v_mov_b32_e32 v1, 0x7f
	v_cmp_lt_u32_e32 vcc_lo, 0x7f800000, v6
	s_delay_alu instid0(VALU_DEP_2)
	v_cndmask_b32_e32 v1, 0x7e, v1, vcc_lo
; %bb.63:
	s_or_b32 exec_lo, exec_lo, s8
.LBB273_64:
	s_delay_alu instid0(SALU_CYCLE_1)
	s_or_b32 exec_lo, exec_lo, s7
.LBB273_65:
	s_and_not1_saveexec_b32 s6, s6
	s_cbranch_execz .LBB273_81
; %bb.66:
	flat_load_u8 v6, v[10:11]
	s_mov_b32 s7, 0
	s_mov_b32 s8, exec_lo
	s_wait_loadcnt_dscnt 0x0
	v_cmpx_lt_i16_e32 0x7f, v6
	s_xor_b32 s8, exec_lo, s8
	s_cbranch_execz .LBB273_559
; %bb.67:
	s_mov_b32 s7, -1
	s_mov_b32 s9, exec_lo
	v_cmpx_eq_u16_e32 0x80, v6
; %bb.68:
	s_xor_b32 s7, exec_lo, -1
; %bb.69:
	s_or_b32 exec_lo, exec_lo, s9
	s_delay_alu instid0(SALU_CYCLE_1)
	s_and_b32 s7, s7, exec_lo
	s_or_saveexec_b32 s8, s8
	v_mov_b32_e32 v1, 0x7f800001
	s_xor_b32 exec_lo, exec_lo, s8
	s_cbranch_execnz .LBB273_560
.LBB273_70:
	s_or_b32 exec_lo, exec_lo, s8
	s_and_saveexec_b32 s8, s7
	s_cbranch_execz .LBB273_72
.LBB273_71:
	v_and_b32_e32 v1, 0xffff, v6
	s_delay_alu instid0(VALU_DEP_1) | instskip(SKIP_1) | instid1(VALU_DEP_2)
	v_dual_lshlrev_b32 v6, 24, v6 :: v_dual_bitop2_b32 v12, 7, v1 bitop3:0x40
	v_bfe_u32 v15, v1, 3, 4
	v_and_b32_e32 v6, 0x80000000, v6
	s_delay_alu instid0(VALU_DEP_3) | instskip(NEXT) | instid1(VALU_DEP_3)
	v_clz_i32_u32_e32 v13, v12
	v_cmp_eq_u32_e32 vcc_lo, 0, v15
	s_delay_alu instid0(VALU_DEP_2) | instskip(NEXT) | instid1(VALU_DEP_1)
	v_min_u32_e32 v13, 32, v13
	v_subrev_nc_u32_e32 v14, 28, v13
	v_sub_nc_u32_e32 v13, 29, v13
	s_delay_alu instid0(VALU_DEP_2) | instskip(NEXT) | instid1(VALU_DEP_2)
	v_lshlrev_b32_e32 v1, v14, v1
	v_cndmask_b32_e32 v13, v15, v13, vcc_lo
	s_delay_alu instid0(VALU_DEP_2) | instskip(NEXT) | instid1(VALU_DEP_1)
	v_and_b32_e32 v1, 7, v1
	v_cndmask_b32_e32 v1, v12, v1, vcc_lo
	s_delay_alu instid0(VALU_DEP_3) | instskip(NEXT) | instid1(VALU_DEP_2)
	v_lshl_add_u32 v12, v13, 23, 0x3b800000
	v_lshlrev_b32_e32 v1, 20, v1
	s_delay_alu instid0(VALU_DEP_1)
	v_or3_b32 v1, v6, v12, v1
.LBB273_72:
	s_or_b32 exec_lo, exec_lo, s8
	s_delay_alu instid0(VALU_DEP_1) | instskip(SKIP_1) | instid1(VALU_DEP_1)
	v_and_b32_e32 v12, 0x7fffffff, v1
	s_mov_b32 s7, exec_lo
                                        ; implicit-def: $vgpr6
	v_cmpx_gt_u32_e32 0x43f00000, v12
	s_xor_b32 s7, exec_lo, s7
	s_cbranch_execz .LBB273_78
; %bb.73:
	s_mov_b32 s8, exec_lo
                                        ; implicit-def: $vgpr6
	v_cmpx_lt_u32_e32 0x3c7fffff, v12
	s_xor_b32 s8, exec_lo, s8
; %bb.74:
	v_bfe_u32 v6, v1, 20, 1
	s_delay_alu instid0(VALU_DEP_1) | instskip(NEXT) | instid1(VALU_DEP_1)
	v_add3_u32 v6, v1, v6, 0x407ffff
	v_and_b32_e32 v12, 0xff00000, v6
	v_lshrrev_b32_e32 v6, 20, v6
	s_delay_alu instid0(VALU_DEP_2) | instskip(NEXT) | instid1(VALU_DEP_2)
	v_cmp_ne_u32_e32 vcc_lo, 0x7f00000, v12
	v_cndmask_b32_e32 v6, 0x7e, v6, vcc_lo
; %bb.75:
	s_and_not1_saveexec_b32 s8, s8
; %bb.76:
	v_add_f32_e64 v6, 0x46800000, |v1|
; %bb.77:
	s_or_b32 exec_lo, exec_lo, s8
                                        ; implicit-def: $vgpr12
.LBB273_78:
	s_and_not1_saveexec_b32 s7, s7
; %bb.79:
	v_mov_b32_e32 v6, 0x7f
	v_cmp_lt_u32_e32 vcc_lo, 0x7f800000, v12
	s_delay_alu instid0(VALU_DEP_2)
	v_cndmask_b32_e32 v6, 0x7e, v6, vcc_lo
; %bb.80:
	s_or_b32 exec_lo, exec_lo, s7
	v_lshrrev_b32_e32 v1, 24, v1
	s_delay_alu instid0(VALU_DEP_1)
	v_and_or_b32 v1, 0x80, v1, v6
.LBB273_81:
	s_or_b32 exec_lo, exec_lo, s6
	s_delay_alu instid0(SALU_CYCLE_1)
	s_or_b32 s5, s5, exec_lo
.LBB273_82:
	s_or_b32 exec_lo, exec_lo, s3
	s_delay_alu instid0(SALU_CYCLE_1)
	s_and_b32 s3, s5, exec_lo
	s_and_b32 s4, s4, exec_lo
                                        ; implicit-def: $vgpr6
	s_and_not1_saveexec_b32 s2, s2
	s_cbranch_execnz .LBB273_458
.LBB273_83:
	s_or_b32 exec_lo, exec_lo, s2
	s_mov_b32 s2, 0
	s_and_saveexec_b32 s5, s4
	s_cbranch_execnz .LBB273_507
.LBB273_84:
	s_or_b32 exec_lo, exec_lo, s5
	s_and_saveexec_b32 s4, s0
	s_cbranch_execz .LBB273_94
.LBB273_85:
	s_wait_loadcnt_dscnt 0x0
	flat_load_u8 v1, v[10:11]
	s_mov_b32 s0, exec_lo
	s_wait_loadcnt_dscnt 0x0
	v_cmp_ne_u16_e32 vcc_lo, 0, v1
                                        ; implicit-def: $vgpr1
	v_cndmask_b32_e64 v6, 0, 1.0, vcc_lo
	s_wait_xcnt 0x0
	s_delay_alu instid0(VALU_DEP_1)
	v_cmpx_gt_u32_e32 0x43f00000, v6
	s_xor_b32 s0, exec_lo, s0
	s_cbranch_execz .LBB273_91
; %bb.86:
	s_mov_b32 s5, exec_lo
                                        ; implicit-def: $vgpr1
	v_cmpx_lt_u32_e32 0x3c7fffff, v6
	s_xor_b32 s5, exec_lo, s5
; %bb.87:
	v_bfe_u32 v1, v6, 20, 1
	s_delay_alu instid0(VALU_DEP_1) | instskip(NEXT) | instid1(VALU_DEP_1)
	v_add3_u32 v1, v6, v1, 0x407ffff
	v_and_b32_e32 v6, 0xff00000, v1
	v_lshrrev_b32_e32 v1, 20, v1
	s_delay_alu instid0(VALU_DEP_2) | instskip(NEXT) | instid1(VALU_DEP_2)
	v_cmp_ne_u32_e32 vcc_lo, 0x7f00000, v6
                                        ; implicit-def: $vgpr6
	v_cndmask_b32_e32 v1, 0x7e, v1, vcc_lo
; %bb.88:
	s_and_not1_saveexec_b32 s5, s5
; %bb.89:
	v_add_f32_e32 v1, 0x46800000, v6
; %bb.90:
	s_or_b32 exec_lo, exec_lo, s5
                                        ; implicit-def: $vgpr6
.LBB273_91:
	s_and_not1_saveexec_b32 s0, s0
; %bb.92:
	v_mov_b32_e32 v1, 0x7f
	v_cmp_lt_u32_e32 vcc_lo, 0x7f800000, v6
	s_delay_alu instid0(VALU_DEP_2)
	v_cndmask_b32_e32 v1, 0x7e, v1, vcc_lo
; %bb.93:
	s_or_b32 exec_lo, exec_lo, s0
	s_delay_alu instid0(SALU_CYCLE_1)
	s_or_b32 s3, s3, exec_lo
.LBB273_94:
	s_or_b32 exec_lo, exec_lo, s4
	s_delay_alu instid0(SALU_CYCLE_1)
	s_and_b32 s0, s2, exec_lo
	s_and_b32 s3, s3, exec_lo
                                        ; implicit-def: $vgpr6
                                        ; implicit-def: $vgpr10_vgpr11
.LBB273_95:
	s_and_not1_saveexec_b32 s1, s1
	s_cbranch_execz .LBB273_225
; %bb.96:
	s_mov_b32 s2, exec_lo
                                        ; implicit-def: $vgpr1
	v_cmpx_lt_i16_e32 4, v6
	s_xor_b32 s2, exec_lo, s2
	s_cbranch_execz .LBB273_166
; %bb.97:
	s_mov_b32 s4, exec_lo
                                        ; implicit-def: $vgpr1
	v_cmpx_lt_i16_e32 7, v6
	s_xor_b32 s4, exec_lo, s4
	;; [unrolled: 6-line block ×4, first 2 shown]
	s_cbranch_execz .LBB273_109
; %bb.100:
	flat_load_b64 v[10:11], v[10:11]
	s_mov_b32 s7, exec_lo
                                        ; implicit-def: $vgpr6
	s_wait_loadcnt_dscnt 0x0
	v_cvt_f32_f64_e32 v1, v[10:11]
	s_wait_xcnt 0x0
	s_delay_alu instid0(VALU_DEP_1) | instskip(NEXT) | instid1(VALU_DEP_1)
	v_and_b32_e32 v10, 0x7fffffff, v1
	v_cmpx_gt_u32_e32 0x43f00000, v10
	s_xor_b32 s7, exec_lo, s7
	s_cbranch_execz .LBB273_106
; %bb.101:
	s_mov_b32 s8, exec_lo
                                        ; implicit-def: $vgpr6
	v_cmpx_lt_u32_e32 0x3c7fffff, v10
	s_xor_b32 s8, exec_lo, s8
; %bb.102:
	v_bfe_u32 v6, v1, 20, 1
	s_delay_alu instid0(VALU_DEP_1) | instskip(NEXT) | instid1(VALU_DEP_1)
	v_add3_u32 v6, v1, v6, 0x407ffff
	v_and_b32_e32 v10, 0xff00000, v6
	v_lshrrev_b32_e32 v6, 20, v6
	s_delay_alu instid0(VALU_DEP_2) | instskip(NEXT) | instid1(VALU_DEP_2)
	v_cmp_ne_u32_e32 vcc_lo, 0x7f00000, v10
	v_cndmask_b32_e32 v6, 0x7e, v6, vcc_lo
; %bb.103:
	s_and_not1_saveexec_b32 s8, s8
; %bb.104:
	v_add_f32_e64 v6, 0x46800000, |v1|
; %bb.105:
	s_or_b32 exec_lo, exec_lo, s8
                                        ; implicit-def: $vgpr10
.LBB273_106:
	s_and_not1_saveexec_b32 s7, s7
; %bb.107:
	v_mov_b32_e32 v6, 0x7f
	v_cmp_lt_u32_e32 vcc_lo, 0x7f800000, v10
	s_delay_alu instid0(VALU_DEP_2)
	v_cndmask_b32_e32 v6, 0x7e, v6, vcc_lo
; %bb.108:
	s_or_b32 exec_lo, exec_lo, s7
	v_lshrrev_b32_e32 v1, 24, v1
                                        ; implicit-def: $vgpr10_vgpr11
	s_delay_alu instid0(VALU_DEP_1)
	v_and_or_b32 v1, 0x80, v1, v6
.LBB273_109:
	s_and_not1_saveexec_b32 s6, s6
	s_cbranch_execz .LBB273_119
; %bb.110:
	s_wait_loadcnt_dscnt 0x0
	flat_load_b32 v1, v[10:11]
	s_mov_b32 s7, exec_lo
                                        ; implicit-def: $vgpr6
	s_wait_loadcnt_dscnt 0x0
	v_and_b32_e32 v10, 0x7fffffff, v1
	s_delay_alu instid0(VALU_DEP_1)
	v_cmpx_gt_u32_e32 0x43f00000, v10
	s_xor_b32 s7, exec_lo, s7
	s_cbranch_execz .LBB273_116
; %bb.111:
	s_mov_b32 s8, exec_lo
                                        ; implicit-def: $vgpr6
	v_cmpx_lt_u32_e32 0x3c7fffff, v10
	s_xor_b32 s8, exec_lo, s8
; %bb.112:
	v_bfe_u32 v6, v1, 20, 1
	s_delay_alu instid0(VALU_DEP_1) | instskip(NEXT) | instid1(VALU_DEP_1)
	v_add3_u32 v6, v1, v6, 0x407ffff
	v_and_b32_e32 v10, 0xff00000, v6
	v_lshrrev_b32_e32 v6, 20, v6
	s_delay_alu instid0(VALU_DEP_2) | instskip(NEXT) | instid1(VALU_DEP_2)
	v_cmp_ne_u32_e32 vcc_lo, 0x7f00000, v10
	v_cndmask_b32_e32 v6, 0x7e, v6, vcc_lo
; %bb.113:
	s_and_not1_saveexec_b32 s8, s8
; %bb.114:
	v_add_f32_e64 v6, 0x46800000, |v1|
; %bb.115:
	s_or_b32 exec_lo, exec_lo, s8
                                        ; implicit-def: $vgpr10
.LBB273_116:
	s_and_not1_saveexec_b32 s7, s7
; %bb.117:
	v_mov_b32_e32 v6, 0x7f
	v_cmp_lt_u32_e32 vcc_lo, 0x7f800000, v10
	s_delay_alu instid0(VALU_DEP_2)
	v_cndmask_b32_e32 v6, 0x7e, v6, vcc_lo
; %bb.118:
	s_or_b32 exec_lo, exec_lo, s7
	v_lshrrev_b32_e32 v1, 24, v1
	s_delay_alu instid0(VALU_DEP_1)
	v_and_or_b32 v1, 0x80, v1, v6
.LBB273_119:
	s_or_b32 exec_lo, exec_lo, s6
                                        ; implicit-def: $vgpr10_vgpr11
.LBB273_120:
	s_and_not1_saveexec_b32 s5, s5
	s_cbranch_execz .LBB273_130
; %bb.121:
	s_wait_loadcnt_dscnt 0x0
	flat_load_b32 v1, v[10:11]
	s_mov_b32 s6, exec_lo
                                        ; implicit-def: $vgpr6
	s_wait_loadcnt_dscnt 0x0
	v_cvt_f32_f16_e32 v1, v1
	s_wait_xcnt 0x0
	s_delay_alu instid0(VALU_DEP_1) | instskip(NEXT) | instid1(VALU_DEP_1)
	v_and_b32_e32 v10, 0x7fffffff, v1
	v_cmpx_gt_u32_e32 0x43f00000, v10
	s_xor_b32 s6, exec_lo, s6
	s_cbranch_execz .LBB273_127
; %bb.122:
	s_mov_b32 s7, exec_lo
                                        ; implicit-def: $vgpr6
	v_cmpx_lt_u32_e32 0x3c7fffff, v10
	s_xor_b32 s7, exec_lo, s7
; %bb.123:
	v_bfe_u32 v6, v1, 20, 1
	s_delay_alu instid0(VALU_DEP_1) | instskip(NEXT) | instid1(VALU_DEP_1)
	v_add3_u32 v6, v1, v6, 0x407ffff
	v_and_b32_e32 v10, 0xff00000, v6
	v_lshrrev_b32_e32 v6, 20, v6
	s_delay_alu instid0(VALU_DEP_2) | instskip(NEXT) | instid1(VALU_DEP_2)
	v_cmp_ne_u32_e32 vcc_lo, 0x7f00000, v10
	v_cndmask_b32_e32 v6, 0x7e, v6, vcc_lo
; %bb.124:
	s_and_not1_saveexec_b32 s7, s7
; %bb.125:
	v_add_f32_e64 v6, 0x46800000, |v1|
; %bb.126:
	s_or_b32 exec_lo, exec_lo, s7
                                        ; implicit-def: $vgpr10
.LBB273_127:
	s_and_not1_saveexec_b32 s6, s6
; %bb.128:
	v_mov_b32_e32 v6, 0x7f
	v_cmp_lt_u32_e32 vcc_lo, 0x7f800000, v10
	s_delay_alu instid0(VALU_DEP_2)
	v_cndmask_b32_e32 v6, 0x7e, v6, vcc_lo
; %bb.129:
	s_or_b32 exec_lo, exec_lo, s6
	v_lshrrev_b32_e32 v1, 24, v1
	s_delay_alu instid0(VALU_DEP_1)
	v_and_or_b32 v1, 0x80, v1, v6
.LBB273_130:
	s_or_b32 exec_lo, exec_lo, s5
                                        ; implicit-def: $vgpr6
                                        ; implicit-def: $vgpr10_vgpr11
.LBB273_131:
	s_and_not1_saveexec_b32 s4, s4
	s_cbranch_execz .LBB273_165
; %bb.132:
	s_mov_b32 s5, exec_lo
                                        ; implicit-def: $vgpr1
	v_cmpx_lt_i16_e32 5, v6
	s_xor_b32 s5, exec_lo, s5
	s_cbranch_execz .LBB273_154
; %bb.133:
	s_mov_b32 s6, exec_lo
                                        ; implicit-def: $vgpr1
	v_cmpx_lt_i16_e32 6, v6
	s_xor_b32 s6, exec_lo, s6
	s_cbranch_execz .LBB273_143
; %bb.134:
	flat_load_b64 v[10:11], v[10:11]
	s_mov_b32 s7, exec_lo
                                        ; implicit-def: $vgpr6
	s_wait_loadcnt_dscnt 0x0
	v_cvt_f32_f64_e32 v1, v[10:11]
	s_wait_xcnt 0x0
	s_delay_alu instid0(VALU_DEP_1) | instskip(NEXT) | instid1(VALU_DEP_1)
	v_and_b32_e32 v10, 0x7fffffff, v1
	v_cmpx_gt_u32_e32 0x43f00000, v10
	s_xor_b32 s7, exec_lo, s7
	s_cbranch_execz .LBB273_140
; %bb.135:
	s_mov_b32 s8, exec_lo
                                        ; implicit-def: $vgpr6
	v_cmpx_lt_u32_e32 0x3c7fffff, v10
	s_xor_b32 s8, exec_lo, s8
; %bb.136:
	v_bfe_u32 v6, v1, 20, 1
	s_delay_alu instid0(VALU_DEP_1) | instskip(NEXT) | instid1(VALU_DEP_1)
	v_add3_u32 v6, v1, v6, 0x407ffff
	v_and_b32_e32 v10, 0xff00000, v6
	v_lshrrev_b32_e32 v6, 20, v6
	s_delay_alu instid0(VALU_DEP_2) | instskip(NEXT) | instid1(VALU_DEP_2)
	v_cmp_ne_u32_e32 vcc_lo, 0x7f00000, v10
	v_cndmask_b32_e32 v6, 0x7e, v6, vcc_lo
; %bb.137:
	s_and_not1_saveexec_b32 s8, s8
; %bb.138:
	v_add_f32_e64 v6, 0x46800000, |v1|
; %bb.139:
	s_or_b32 exec_lo, exec_lo, s8
                                        ; implicit-def: $vgpr10
.LBB273_140:
	s_and_not1_saveexec_b32 s7, s7
; %bb.141:
	v_mov_b32_e32 v6, 0x7f
	v_cmp_lt_u32_e32 vcc_lo, 0x7f800000, v10
	s_delay_alu instid0(VALU_DEP_2)
	v_cndmask_b32_e32 v6, 0x7e, v6, vcc_lo
; %bb.142:
	s_or_b32 exec_lo, exec_lo, s7
	v_lshrrev_b32_e32 v1, 24, v1
                                        ; implicit-def: $vgpr10_vgpr11
	s_delay_alu instid0(VALU_DEP_1)
	v_and_or_b32 v1, 0x80, v1, v6
.LBB273_143:
	s_and_not1_saveexec_b32 s6, s6
	s_cbranch_execz .LBB273_153
; %bb.144:
	s_wait_loadcnt_dscnt 0x0
	flat_load_b32 v1, v[10:11]
	s_mov_b32 s7, exec_lo
                                        ; implicit-def: $vgpr6
	s_wait_loadcnt_dscnt 0x0
	v_and_b32_e32 v10, 0x7fffffff, v1
	s_delay_alu instid0(VALU_DEP_1)
	v_cmpx_gt_u32_e32 0x43f00000, v10
	s_xor_b32 s7, exec_lo, s7
	s_cbranch_execz .LBB273_150
; %bb.145:
	s_mov_b32 s8, exec_lo
                                        ; implicit-def: $vgpr6
	v_cmpx_lt_u32_e32 0x3c7fffff, v10
	s_xor_b32 s8, exec_lo, s8
; %bb.146:
	v_bfe_u32 v6, v1, 20, 1
	s_delay_alu instid0(VALU_DEP_1) | instskip(NEXT) | instid1(VALU_DEP_1)
	v_add3_u32 v6, v1, v6, 0x407ffff
	v_and_b32_e32 v10, 0xff00000, v6
	v_lshrrev_b32_e32 v6, 20, v6
	s_delay_alu instid0(VALU_DEP_2) | instskip(NEXT) | instid1(VALU_DEP_2)
	v_cmp_ne_u32_e32 vcc_lo, 0x7f00000, v10
	v_cndmask_b32_e32 v6, 0x7e, v6, vcc_lo
; %bb.147:
	s_and_not1_saveexec_b32 s8, s8
; %bb.148:
	v_add_f32_e64 v6, 0x46800000, |v1|
; %bb.149:
	s_or_b32 exec_lo, exec_lo, s8
                                        ; implicit-def: $vgpr10
.LBB273_150:
	s_and_not1_saveexec_b32 s7, s7
; %bb.151:
	v_mov_b32_e32 v6, 0x7f
	v_cmp_lt_u32_e32 vcc_lo, 0x7f800000, v10
	s_delay_alu instid0(VALU_DEP_2)
	v_cndmask_b32_e32 v6, 0x7e, v6, vcc_lo
; %bb.152:
	s_or_b32 exec_lo, exec_lo, s7
	v_lshrrev_b32_e32 v1, 24, v1
	s_delay_alu instid0(VALU_DEP_1)
	v_and_or_b32 v1, 0x80, v1, v6
.LBB273_153:
	s_or_b32 exec_lo, exec_lo, s6
                                        ; implicit-def: $vgpr10_vgpr11
.LBB273_154:
	s_and_not1_saveexec_b32 s5, s5
	s_cbranch_execz .LBB273_164
; %bb.155:
	s_wait_loadcnt_dscnt 0x0
	flat_load_u16 v1, v[10:11]
	s_mov_b32 s6, exec_lo
                                        ; implicit-def: $vgpr6
	s_wait_loadcnt_dscnt 0x0
	v_cvt_f32_f16_e32 v1, v1
	s_wait_xcnt 0x0
	s_delay_alu instid0(VALU_DEP_1) | instskip(NEXT) | instid1(VALU_DEP_1)
	v_and_b32_e32 v10, 0x7fffffff, v1
	v_cmpx_gt_u32_e32 0x43f00000, v10
	s_xor_b32 s6, exec_lo, s6
	s_cbranch_execz .LBB273_161
; %bb.156:
	s_mov_b32 s7, exec_lo
                                        ; implicit-def: $vgpr6
	v_cmpx_lt_u32_e32 0x3c7fffff, v10
	s_xor_b32 s7, exec_lo, s7
; %bb.157:
	v_bfe_u32 v6, v1, 20, 1
	s_delay_alu instid0(VALU_DEP_1) | instskip(NEXT) | instid1(VALU_DEP_1)
	v_add3_u32 v6, v1, v6, 0x407ffff
	v_and_b32_e32 v10, 0xff00000, v6
	v_lshrrev_b32_e32 v6, 20, v6
	s_delay_alu instid0(VALU_DEP_2) | instskip(NEXT) | instid1(VALU_DEP_2)
	v_cmp_ne_u32_e32 vcc_lo, 0x7f00000, v10
	v_cndmask_b32_e32 v6, 0x7e, v6, vcc_lo
; %bb.158:
	s_and_not1_saveexec_b32 s7, s7
; %bb.159:
	v_add_f32_e64 v6, 0x46800000, |v1|
; %bb.160:
	s_or_b32 exec_lo, exec_lo, s7
                                        ; implicit-def: $vgpr10
.LBB273_161:
	s_and_not1_saveexec_b32 s6, s6
; %bb.162:
	v_mov_b32_e32 v6, 0x7f
	v_cmp_lt_u32_e32 vcc_lo, 0x7f800000, v10
	s_delay_alu instid0(VALU_DEP_2)
	v_cndmask_b32_e32 v6, 0x7e, v6, vcc_lo
; %bb.163:
	s_or_b32 exec_lo, exec_lo, s6
	v_lshrrev_b32_e32 v1, 24, v1
	s_delay_alu instid0(VALU_DEP_1)
	v_and_or_b32 v1, 0x80, v1, v6
.LBB273_164:
	s_or_b32 exec_lo, exec_lo, s5
.LBB273_165:
	s_delay_alu instid0(SALU_CYCLE_1)
	s_or_b32 exec_lo, exec_lo, s4
                                        ; implicit-def: $vgpr6
                                        ; implicit-def: $vgpr10_vgpr11
.LBB273_166:
	s_and_not1_saveexec_b32 s2, s2
	s_cbranch_execz .LBB273_224
; %bb.167:
	s_mov_b32 s4, exec_lo
                                        ; implicit-def: $vgpr1
	v_cmpx_lt_i16_e32 1, v6
	s_xor_b32 s4, exec_lo, s4
	s_cbranch_execz .LBB273_201
; %bb.168:
	s_mov_b32 s5, exec_lo
                                        ; implicit-def: $vgpr1
	v_cmpx_lt_i16_e32 2, v6
	s_xor_b32 s5, exec_lo, s5
	;; [unrolled: 6-line block ×3, first 2 shown]
	s_cbranch_execz .LBB273_179
; %bb.170:
	flat_load_b64 v[10:11], v[10:11]
	s_mov_b32 s7, exec_lo
	s_wait_loadcnt_dscnt 0x0
	v_xor_b32_e32 v1, v10, v11
	v_cls_i32_e32 v6, v11
	s_delay_alu instid0(VALU_DEP_2) | instskip(NEXT) | instid1(VALU_DEP_1)
	v_ashrrev_i32_e32 v1, 31, v1
	v_add_nc_u32_e32 v1, 32, v1
	s_delay_alu instid0(VALU_DEP_1) | instskip(SKIP_1) | instid1(VALU_DEP_1)
	v_add_min_u32_e64 v1, v6, -1, v1
	s_wait_xcnt 0x0
	v_lshlrev_b64_e32 v[10:11], v1, v[10:11]
	v_sub_nc_u32_e32 v1, 32, v1
	s_delay_alu instid0(VALU_DEP_2) | instskip(NEXT) | instid1(VALU_DEP_1)
	v_min_u32_e32 v6, 1, v10
	v_or_b32_e32 v6, v11, v6
	s_delay_alu instid0(VALU_DEP_1) | instskip(NEXT) | instid1(VALU_DEP_1)
	v_cvt_f32_i32_e32 v6, v6
	v_ldexp_f32 v1, v6, v1
                                        ; implicit-def: $vgpr6
	s_delay_alu instid0(VALU_DEP_1) | instskip(NEXT) | instid1(VALU_DEP_1)
	v_and_b32_e32 v10, 0x7fffffff, v1
	v_cmpx_gt_u32_e32 0x43f00000, v10
	s_xor_b32 s7, exec_lo, s7
	s_cbranch_execz .LBB273_176
; %bb.171:
	s_mov_b32 s8, exec_lo
                                        ; implicit-def: $vgpr6
	v_cmpx_lt_u32_e32 0x3c7fffff, v10
	s_xor_b32 s8, exec_lo, s8
; %bb.172:
	v_bfe_u32 v6, v1, 20, 1
	s_delay_alu instid0(VALU_DEP_1) | instskip(NEXT) | instid1(VALU_DEP_1)
	v_add3_u32 v6, v1, v6, 0x407ffff
	v_and_b32_e32 v10, 0xff00000, v6
	v_lshrrev_b32_e32 v6, 20, v6
	s_delay_alu instid0(VALU_DEP_2) | instskip(NEXT) | instid1(VALU_DEP_2)
	v_cmp_ne_u32_e32 vcc_lo, 0x7f00000, v10
	v_cndmask_b32_e32 v6, 0x7e, v6, vcc_lo
; %bb.173:
	s_and_not1_saveexec_b32 s8, s8
; %bb.174:
	v_add_f32_e64 v6, 0x46800000, |v1|
; %bb.175:
	s_or_b32 exec_lo, exec_lo, s8
                                        ; implicit-def: $vgpr10
.LBB273_176:
	s_and_not1_saveexec_b32 s7, s7
; %bb.177:
	v_mov_b32_e32 v6, 0x7f
	v_cmp_lt_u32_e32 vcc_lo, 0x7f800000, v10
	s_delay_alu instid0(VALU_DEP_2)
	v_cndmask_b32_e32 v6, 0x7e, v6, vcc_lo
; %bb.178:
	s_or_b32 exec_lo, exec_lo, s7
	v_lshrrev_b32_e32 v1, 24, v1
                                        ; implicit-def: $vgpr10_vgpr11
	s_delay_alu instid0(VALU_DEP_1)
	v_and_or_b32 v1, 0x80, v1, v6
.LBB273_179:
	s_and_not1_saveexec_b32 s6, s6
	s_cbranch_execz .LBB273_189
; %bb.180:
	s_wait_loadcnt_dscnt 0x0
	flat_load_b32 v1, v[10:11]
	s_mov_b32 s7, exec_lo
                                        ; implicit-def: $vgpr6
	s_wait_loadcnt_dscnt 0x0
	v_cvt_f32_i32_e32 v1, v1
	s_wait_xcnt 0x0
	s_delay_alu instid0(VALU_DEP_1) | instskip(NEXT) | instid1(VALU_DEP_1)
	v_and_b32_e32 v10, 0x7fffffff, v1
	v_cmpx_gt_u32_e32 0x43f00000, v10
	s_xor_b32 s7, exec_lo, s7
	s_cbranch_execz .LBB273_186
; %bb.181:
	s_mov_b32 s8, exec_lo
                                        ; implicit-def: $vgpr6
	v_cmpx_lt_u32_e32 0x3c7fffff, v10
	s_xor_b32 s8, exec_lo, s8
; %bb.182:
	v_bfe_u32 v6, v1, 20, 1
	s_delay_alu instid0(VALU_DEP_1) | instskip(NEXT) | instid1(VALU_DEP_1)
	v_add3_u32 v6, v1, v6, 0x407ffff
	v_and_b32_e32 v10, 0xff00000, v6
	v_lshrrev_b32_e32 v6, 20, v6
	s_delay_alu instid0(VALU_DEP_2) | instskip(NEXT) | instid1(VALU_DEP_2)
	v_cmp_ne_u32_e32 vcc_lo, 0x7f00000, v10
	v_cndmask_b32_e32 v6, 0x7e, v6, vcc_lo
; %bb.183:
	s_and_not1_saveexec_b32 s8, s8
; %bb.184:
	v_add_f32_e64 v6, 0x46800000, |v1|
; %bb.185:
	s_or_b32 exec_lo, exec_lo, s8
                                        ; implicit-def: $vgpr10
.LBB273_186:
	s_and_not1_saveexec_b32 s7, s7
; %bb.187:
	v_mov_b32_e32 v6, 0x7f
	v_cmp_lt_u32_e32 vcc_lo, 0x7f800000, v10
	s_delay_alu instid0(VALU_DEP_2)
	v_cndmask_b32_e32 v6, 0x7e, v6, vcc_lo
; %bb.188:
	s_or_b32 exec_lo, exec_lo, s7
	v_lshrrev_b32_e32 v1, 24, v1
	s_delay_alu instid0(VALU_DEP_1)
	v_and_or_b32 v1, 0x80, v1, v6
.LBB273_189:
	s_or_b32 exec_lo, exec_lo, s6
                                        ; implicit-def: $vgpr10_vgpr11
.LBB273_190:
	s_and_not1_saveexec_b32 s5, s5
	s_cbranch_execz .LBB273_200
; %bb.191:
	s_wait_loadcnt_dscnt 0x0
	flat_load_i16 v1, v[10:11]
	s_mov_b32 s6, exec_lo
                                        ; implicit-def: $vgpr6
	s_wait_loadcnt_dscnt 0x0
	v_cvt_f32_i32_e32 v1, v1
	s_wait_xcnt 0x0
	s_delay_alu instid0(VALU_DEP_1) | instskip(NEXT) | instid1(VALU_DEP_1)
	v_and_b32_e32 v10, 0x7fffffff, v1
	v_cmpx_gt_u32_e32 0x43f00000, v10
	s_xor_b32 s6, exec_lo, s6
	s_cbranch_execz .LBB273_197
; %bb.192:
	s_mov_b32 s7, exec_lo
                                        ; implicit-def: $vgpr6
	v_cmpx_lt_u32_e32 0x3c7fffff, v10
	s_xor_b32 s7, exec_lo, s7
; %bb.193:
	v_bfe_u32 v6, v1, 20, 1
	s_delay_alu instid0(VALU_DEP_1) | instskip(NEXT) | instid1(VALU_DEP_1)
	v_add3_u32 v6, v1, v6, 0x407ffff
	v_and_b32_e32 v10, 0xff00000, v6
	v_lshrrev_b32_e32 v6, 20, v6
	s_delay_alu instid0(VALU_DEP_2) | instskip(NEXT) | instid1(VALU_DEP_2)
	v_cmp_ne_u32_e32 vcc_lo, 0x7f00000, v10
	v_cndmask_b32_e32 v6, 0x7e, v6, vcc_lo
; %bb.194:
	s_and_not1_saveexec_b32 s7, s7
; %bb.195:
	v_add_f32_e64 v6, 0x46800000, |v1|
; %bb.196:
	s_or_b32 exec_lo, exec_lo, s7
                                        ; implicit-def: $vgpr10
.LBB273_197:
	s_and_not1_saveexec_b32 s6, s6
; %bb.198:
	v_mov_b32_e32 v6, 0x7f
	v_cmp_lt_u32_e32 vcc_lo, 0x7f800000, v10
	s_delay_alu instid0(VALU_DEP_2)
	v_cndmask_b32_e32 v6, 0x7e, v6, vcc_lo
; %bb.199:
	s_or_b32 exec_lo, exec_lo, s6
	v_lshrrev_b32_e32 v1, 24, v1
	s_delay_alu instid0(VALU_DEP_1)
	v_and_or_b32 v1, 0x80, v1, v6
.LBB273_200:
	s_or_b32 exec_lo, exec_lo, s5
                                        ; implicit-def: $vgpr6
                                        ; implicit-def: $vgpr10_vgpr11
.LBB273_201:
	s_and_not1_saveexec_b32 s4, s4
	s_cbranch_execz .LBB273_223
; %bb.202:
	s_mov_b32 s5, exec_lo
                                        ; implicit-def: $vgpr1
	v_cmpx_lt_i16_e32 0, v6
	s_xor_b32 s5, exec_lo, s5
	s_cbranch_execz .LBB273_212
; %bb.203:
	s_wait_loadcnt_dscnt 0x0
	flat_load_i8 v1, v[10:11]
	s_mov_b32 s6, exec_lo
                                        ; implicit-def: $vgpr6
	s_wait_loadcnt_dscnt 0x0
	v_cvt_f32_i32_e32 v1, v1
	s_wait_xcnt 0x0
	s_delay_alu instid0(VALU_DEP_1) | instskip(NEXT) | instid1(VALU_DEP_1)
	v_and_b32_e32 v10, 0x7fffffff, v1
	v_cmpx_gt_u32_e32 0x43f00000, v10
	s_xor_b32 s6, exec_lo, s6
	s_cbranch_execz .LBB273_209
; %bb.204:
	s_mov_b32 s7, exec_lo
                                        ; implicit-def: $vgpr6
	v_cmpx_lt_u32_e32 0x3c7fffff, v10
	s_xor_b32 s7, exec_lo, s7
; %bb.205:
	v_bfe_u32 v6, v1, 20, 1
	s_delay_alu instid0(VALU_DEP_1) | instskip(NEXT) | instid1(VALU_DEP_1)
	v_add3_u32 v6, v1, v6, 0x407ffff
	v_and_b32_e32 v10, 0xff00000, v6
	v_lshrrev_b32_e32 v6, 20, v6
	s_delay_alu instid0(VALU_DEP_2) | instskip(NEXT) | instid1(VALU_DEP_2)
	v_cmp_ne_u32_e32 vcc_lo, 0x7f00000, v10
	v_cndmask_b32_e32 v6, 0x7e, v6, vcc_lo
; %bb.206:
	s_and_not1_saveexec_b32 s7, s7
; %bb.207:
	v_add_f32_e64 v6, 0x46800000, |v1|
; %bb.208:
	s_or_b32 exec_lo, exec_lo, s7
                                        ; implicit-def: $vgpr10
.LBB273_209:
	s_and_not1_saveexec_b32 s6, s6
; %bb.210:
	v_mov_b32_e32 v6, 0x7f
	v_cmp_lt_u32_e32 vcc_lo, 0x7f800000, v10
	s_delay_alu instid0(VALU_DEP_2)
	v_cndmask_b32_e32 v6, 0x7e, v6, vcc_lo
; %bb.211:
	s_or_b32 exec_lo, exec_lo, s6
	v_lshrrev_b32_e32 v1, 24, v1
                                        ; implicit-def: $vgpr10_vgpr11
	s_delay_alu instid0(VALU_DEP_1)
	v_and_or_b32 v1, 0x80, v1, v6
.LBB273_212:
	s_and_not1_saveexec_b32 s5, s5
	s_cbranch_execz .LBB273_222
; %bb.213:
	s_wait_loadcnt_dscnt 0x0
	flat_load_u8 v1, v[10:11]
	s_mov_b32 s6, exec_lo
	s_wait_loadcnt_dscnt 0x0
	v_cvt_f32_ubyte0_e32 v6, v1
                                        ; implicit-def: $vgpr1
	s_wait_xcnt 0x0
	s_delay_alu instid0(VALU_DEP_1)
	v_cmpx_gt_u32_e32 0x43f00000, v6
	s_xor_b32 s6, exec_lo, s6
	s_cbranch_execz .LBB273_219
; %bb.214:
	s_mov_b32 s7, exec_lo
                                        ; implicit-def: $vgpr1
	v_cmpx_lt_u32_e32 0x3c7fffff, v6
	s_xor_b32 s7, exec_lo, s7
; %bb.215:
	v_bfe_u32 v1, v6, 20, 1
	s_delay_alu instid0(VALU_DEP_1) | instskip(NEXT) | instid1(VALU_DEP_1)
	v_add3_u32 v1, v6, v1, 0x407ffff
	v_and_b32_e32 v6, 0xff00000, v1
	v_lshrrev_b32_e32 v1, 20, v1
	s_delay_alu instid0(VALU_DEP_2) | instskip(NEXT) | instid1(VALU_DEP_2)
	v_cmp_ne_u32_e32 vcc_lo, 0x7f00000, v6
                                        ; implicit-def: $vgpr6
	v_cndmask_b32_e32 v1, 0x7e, v1, vcc_lo
; %bb.216:
	s_and_not1_saveexec_b32 s7, s7
; %bb.217:
	v_add_f32_e32 v1, 0x46800000, v6
; %bb.218:
	s_or_b32 exec_lo, exec_lo, s7
                                        ; implicit-def: $vgpr6
.LBB273_219:
	s_and_not1_saveexec_b32 s6, s6
; %bb.220:
	v_mov_b32_e32 v1, 0x7f
	v_cmp_lt_u32_e32 vcc_lo, 0x7f800000, v6
	s_delay_alu instid0(VALU_DEP_2)
	v_cndmask_b32_e32 v1, 0x7e, v1, vcc_lo
; %bb.221:
	s_or_b32 exec_lo, exec_lo, s6
.LBB273_222:
	s_delay_alu instid0(SALU_CYCLE_1)
	s_or_b32 exec_lo, exec_lo, s5
.LBB273_223:
	s_delay_alu instid0(SALU_CYCLE_1)
	s_or_b32 exec_lo, exec_lo, s4
.LBB273_224:
	s_delay_alu instid0(SALU_CYCLE_1) | instskip(NEXT) | instid1(SALU_CYCLE_1)
	s_or_b32 exec_lo, exec_lo, s2
	s_or_b32 s3, s3, exec_lo
.LBB273_225:
	s_or_b32 exec_lo, exec_lo, s1
	s_mov_b32 s5, 0
	s_mov_b32 s4, 0
	;; [unrolled: 1-line block ×3, first 2 shown]
                                        ; implicit-def: $vgpr6
                                        ; implicit-def: $vgpr10_vgpr11
                                        ; implicit-def: $vgpr12
	s_and_saveexec_b32 s1, s3
	s_cbranch_execz .LBB273_324
; %bb.226:
	flat_load_b32 v12, v[4:5] offset:4
	flat_load_b64 v[10:11], v[2:3] offset:8
	flat_load_u8 v6, v[8:9] offset:1
	s_mov_b32 s4, -1
	s_mov_b32 s3, 0
	s_mov_b32 s5, s0
	s_mov_b32 s6, 0
	s_mov_b32 s2, exec_lo
	s_wait_loadcnt_dscnt 0x202
	s_wait_xcnt 0x1
	v_mul_lo_u32 v2, v12, v7
                                        ; implicit-def: $vgpr12
	s_delay_alu instid0(VALU_DEP_1) | instskip(SKIP_1) | instid1(VALU_DEP_1)
	v_ashrrev_i32_e32 v3, 31, v2
	s_wait_loadcnt_dscnt 0x101
	v_add_nc_u64_e32 v[10:11], v[10:11], v[2:3]
	s_wait_loadcnt_dscnt 0x0
	v_cmpx_lt_i16_e32 10, v6
	s_cbranch_execz .LBB273_311
; %bb.227:
	s_mov_b32 s5, 0
	s_mov_b32 s4, exec_lo
                                        ; implicit-def: $vgpr12
	v_cmpx_lt_i16_e32 25, v6
	s_xor_b32 s4, exec_lo, s4
	s_cbranch_execz .LBB273_508
; %bb.228:
	s_mov_b32 s7, 0
	s_mov_b32 s5, exec_lo
                                        ; implicit-def: $vgpr12
	v_cmpx_lt_i16_e32 28, v6
	s_xor_b32 s5, exec_lo, s5
	s_cbranch_execz .LBB273_268
; %bb.229:
	s_mov_b32 s8, 0
	s_mov_b32 s9, 0
	s_mov_b32 s6, exec_lo
                                        ; implicit-def: $vgpr12
	v_cmpx_lt_i16_e32 43, v6
	s_xor_b32 s6, exec_lo, s6
	s_cbranch_execz .LBB273_255
; %bb.230:
	s_mov_b32 s9, exec_lo
                                        ; implicit-def: $vgpr12
	v_cmpx_lt_i16_e32 45, v6
	s_xor_b32 s9, exec_lo, s9
	s_cbranch_execz .LBB273_242
; %bb.231:
	s_mov_b32 s10, -1
	s_mov_b32 s7, exec_lo
                                        ; implicit-def: $vgpr12
	v_cmpx_eq_u16_e32 46, v6
	s_cbranch_execz .LBB273_241
; %bb.232:
	flat_load_b32 v2, v[10:11]
	s_mov_b32 s8, exec_lo
                                        ; implicit-def: $vgpr3
	s_wait_loadcnt_dscnt 0x0
	v_lshlrev_b32_e32 v2, 16, v2
	s_delay_alu instid0(VALU_DEP_1) | instskip(SKIP_1) | instid1(VALU_DEP_1)
	v_and_b32_e32 v4, 0x7fffffff, v2
	s_wait_xcnt 0x0
	v_cmpx_gt_u32_e32 0x43f00000, v4
	s_xor_b32 s8, exec_lo, s8
	s_cbranch_execz .LBB273_238
; %bb.233:
	s_mov_b32 s10, exec_lo
                                        ; implicit-def: $vgpr3
	v_cmpx_lt_u32_e32 0x3c7fffff, v4
	s_xor_b32 s10, exec_lo, s10
; %bb.234:
	v_bfe_u32 v3, v2, 20, 1
	s_delay_alu instid0(VALU_DEP_1) | instskip(NEXT) | instid1(VALU_DEP_1)
	v_add3_u32 v3, v2, v3, 0x407ffff
	v_and_b32_e32 v4, 0xff00000, v3
	v_lshrrev_b32_e32 v3, 20, v3
	s_delay_alu instid0(VALU_DEP_2) | instskip(NEXT) | instid1(VALU_DEP_2)
	v_cmp_ne_u32_e32 vcc_lo, 0x7f00000, v4
	v_cndmask_b32_e32 v3, 0x7e, v3, vcc_lo
; %bb.235:
	s_and_not1_saveexec_b32 s10, s10
; %bb.236:
	v_add_f32_e64 v3, 0x46800000, |v2|
; %bb.237:
	s_or_b32 exec_lo, exec_lo, s10
                                        ; implicit-def: $vgpr4
.LBB273_238:
	s_and_not1_saveexec_b32 s8, s8
; %bb.239:
	v_mov_b32_e32 v3, 0x7f
	v_cmp_lt_u32_e32 vcc_lo, 0x7f800000, v4
	s_delay_alu instid0(VALU_DEP_2)
	v_cndmask_b32_e32 v3, 0x7e, v3, vcc_lo
; %bb.240:
	s_or_b32 exec_lo, exec_lo, s8
	v_lshrrev_b32_e32 v2, 24, v2
	s_mov_b32 s8, exec_lo
	s_xor_b32 s10, exec_lo, -1
	s_delay_alu instid0(VALU_DEP_1)
	v_and_or_b32 v12, 0x80, v2, v3
.LBB273_241:
	s_or_b32 exec_lo, exec_lo, s7
	s_delay_alu instid0(SALU_CYCLE_1)
	s_and_b32 s8, s8, exec_lo
	s_and_b32 s7, s10, exec_lo
.LBB273_242:
	s_and_not1_saveexec_b32 s9, s9
	s_cbranch_execz .LBB273_254
; %bb.243:
	s_mov_b32 s11, -1
	s_mov_b32 s12, s8
	s_mov_b32 s10, exec_lo
                                        ; implicit-def: $vgpr12
	v_cmpx_eq_u16_e32 44, v6
	s_cbranch_execz .LBB273_253
; %bb.244:
	flat_load_u8 v2, v[10:11]
	s_mov_b32 s11, exec_lo
                                        ; implicit-def: $vgpr12
	s_wait_loadcnt_dscnt 0x0
	v_lshlrev_b32_e32 v3, 23, v2
	v_cmp_ne_u32_e32 vcc_lo, 0xff, v2
	s_delay_alu instid0(VALU_DEP_2) | instskip(SKIP_1) | instid1(VALU_DEP_2)
	v_cndmask_b32_e32 v3, 0x7f800001, v3, vcc_lo
	v_cmp_ne_u32_e32 vcc_lo, 0, v2
	v_cndmask_b32_e32 v2, 0x400000, v3, vcc_lo
	s_wait_xcnt 0x0
	s_delay_alu instid0(VALU_DEP_1)
	v_cmpx_gt_u32_e32 0x43f00000, v2
	s_xor_b32 s11, exec_lo, s11
	s_cbranch_execz .LBB273_250
; %bb.245:
	s_mov_b32 s12, exec_lo
                                        ; implicit-def: $vgpr12
	v_cmpx_lt_u32_e32 0x3c7fffff, v2
	s_xor_b32 s12, exec_lo, s12
; %bb.246:
	v_bfe_u32 v3, v2, 20, 1
	s_delay_alu instid0(VALU_DEP_1) | instskip(NEXT) | instid1(VALU_DEP_1)
	v_add3_u32 v2, v2, v3, 0x407ffff
	v_and_b32_e32 v3, 0xff00000, v2
	v_lshrrev_b32_e32 v2, 20, v2
	s_delay_alu instid0(VALU_DEP_2) | instskip(NEXT) | instid1(VALU_DEP_2)
	v_cmp_ne_u32_e32 vcc_lo, 0x7f00000, v3
	v_cndmask_b32_e32 v12, 0x7e, v2, vcc_lo
                                        ; implicit-def: $vgpr2
; %bb.247:
	s_and_not1_saveexec_b32 s12, s12
; %bb.248:
	v_add_f32_e32 v12, 0x46800000, v2
; %bb.249:
	s_or_b32 exec_lo, exec_lo, s12
                                        ; implicit-def: $vgpr2
.LBB273_250:
	s_and_not1_saveexec_b32 s11, s11
; %bb.251:
	v_mov_b32_e32 v3, 0x7f
	v_cmp_lt_u32_e32 vcc_lo, 0x7f800000, v2
	s_delay_alu instid0(VALU_DEP_2)
	v_cndmask_b32_e32 v12, 0x7e, v3, vcc_lo
; %bb.252:
	s_or_b32 exec_lo, exec_lo, s11
	s_delay_alu instid0(SALU_CYCLE_1)
	s_or_b32 s12, s8, exec_lo
	s_xor_b32 s11, exec_lo, -1
.LBB273_253:
	s_or_b32 exec_lo, exec_lo, s10
	s_delay_alu instid0(SALU_CYCLE_1)
	s_and_not1_b32 s8, s8, exec_lo
	s_and_b32 s10, s12, exec_lo
	s_and_not1_b32 s7, s7, exec_lo
	s_and_b32 s11, s11, exec_lo
	s_or_b32 s8, s8, s10
	s_or_b32 s7, s7, s11
.LBB273_254:
	s_or_b32 exec_lo, exec_lo, s9
	s_delay_alu instid0(SALU_CYCLE_1)
	s_and_b32 s9, s8, exec_lo
	s_and_b32 s8, s7, exec_lo
.LBB273_255:
	s_and_not1_saveexec_b32 s6, s6
	s_cbranch_execz .LBB273_267
; %bb.256:
	s_mov_b32 s10, -1
	s_mov_b32 s11, s9
	s_mov_b32 s7, exec_lo
                                        ; implicit-def: $vgpr12
	v_cmpx_eq_u16_e32 29, v6
	s_cbranch_execz .LBB273_266
; %bb.257:
	flat_load_b64 v[2:3], v[10:11]
	s_mov_b32 s10, exec_lo
                                        ; implicit-def: $vgpr12
	s_wait_loadcnt_dscnt 0x0
	v_clz_i32_u32_e32 v4, v3
	s_delay_alu instid0(VALU_DEP_1) | instskip(NEXT) | instid1(VALU_DEP_1)
	v_min_u32_e32 v4, 32, v4
	v_lshlrev_b64_e32 v[2:3], v4, v[2:3]
	s_delay_alu instid0(VALU_DEP_1) | instskip(NEXT) | instid1(VALU_DEP_1)
	v_min_u32_e32 v2, 1, v2
	v_dual_sub_nc_u32 v3, 32, v4 :: v_dual_bitop2_b32 v2, v3, v2 bitop3:0x54
	s_delay_alu instid0(VALU_DEP_1) | instskip(NEXT) | instid1(VALU_DEP_1)
	v_cvt_f32_u32_e32 v2, v2
	v_ldexp_f32 v2, v2, v3
	s_wait_xcnt 0x0
	s_delay_alu instid0(VALU_DEP_1)
	v_cmpx_gt_u32_e32 0x43f00000, v2
	s_xor_b32 s10, exec_lo, s10
	s_cbranch_execz .LBB273_263
; %bb.258:
	s_mov_b32 s11, exec_lo
                                        ; implicit-def: $vgpr12
	v_cmpx_lt_u32_e32 0x3c7fffff, v2
	s_xor_b32 s11, exec_lo, s11
; %bb.259:
	v_bfe_u32 v3, v2, 20, 1
	s_delay_alu instid0(VALU_DEP_1) | instskip(NEXT) | instid1(VALU_DEP_1)
	v_add3_u32 v2, v2, v3, 0x407ffff
	v_and_b32_e32 v3, 0xff00000, v2
	v_lshrrev_b32_e32 v2, 20, v2
	s_delay_alu instid0(VALU_DEP_2) | instskip(NEXT) | instid1(VALU_DEP_2)
	v_cmp_ne_u32_e32 vcc_lo, 0x7f00000, v3
	v_cndmask_b32_e32 v12, 0x7e, v2, vcc_lo
                                        ; implicit-def: $vgpr2
; %bb.260:
	s_and_not1_saveexec_b32 s11, s11
; %bb.261:
	v_add_f32_e32 v12, 0x46800000, v2
; %bb.262:
	s_or_b32 exec_lo, exec_lo, s11
                                        ; implicit-def: $vgpr2
.LBB273_263:
	s_and_not1_saveexec_b32 s10, s10
; %bb.264:
	v_mov_b32_e32 v3, 0x7f
	v_cmp_lt_u32_e32 vcc_lo, 0x7f800000, v2
	s_delay_alu instid0(VALU_DEP_2)
	v_cndmask_b32_e32 v12, 0x7e, v3, vcc_lo
; %bb.265:
	s_or_b32 exec_lo, exec_lo, s10
	s_delay_alu instid0(SALU_CYCLE_1)
	s_or_b32 s11, s9, exec_lo
	s_xor_b32 s10, exec_lo, -1
.LBB273_266:
	s_or_b32 exec_lo, exec_lo, s7
	s_delay_alu instid0(SALU_CYCLE_1)
	s_and_not1_b32 s7, s9, exec_lo
	s_and_b32 s9, s11, exec_lo
	s_and_not1_b32 s8, s8, exec_lo
	s_and_b32 s10, s10, exec_lo
	s_or_b32 s9, s7, s9
	s_or_b32 s8, s8, s10
.LBB273_267:
	s_or_b32 exec_lo, exec_lo, s6
	s_delay_alu instid0(SALU_CYCLE_1)
	s_and_b32 s7, s9, exec_lo
	s_and_b32 s6, s8, exec_lo
.LBB273_268:
	s_and_not1_saveexec_b32 s5, s5
	s_cbranch_execz .LBB273_308
; %bb.269:
	s_mov_b32 s8, exec_lo
                                        ; implicit-def: $vgpr12
	v_cmpx_lt_i16_e32 26, v6
	s_xor_b32 s8, exec_lo, s8
	s_cbranch_execz .LBB273_291
; %bb.270:
	s_mov_b32 s9, exec_lo
                                        ; implicit-def: $vgpr12
	v_cmpx_lt_i16_e32 27, v6
	s_xor_b32 s9, exec_lo, s9
	s_cbranch_execz .LBB273_280
; %bb.271:
	flat_load_b32 v2, v[10:11]
	s_mov_b32 s10, exec_lo
                                        ; implicit-def: $vgpr12
	s_wait_loadcnt_dscnt 0x0
	v_cvt_f32_u32_e32 v2, v2
	s_wait_xcnt 0x0
	s_delay_alu instid0(VALU_DEP_1)
	v_cmpx_gt_u32_e32 0x43f00000, v2
	s_xor_b32 s10, exec_lo, s10
	s_cbranch_execz .LBB273_277
; %bb.272:
	s_mov_b32 s11, exec_lo
                                        ; implicit-def: $vgpr12
	v_cmpx_lt_u32_e32 0x3c7fffff, v2
	s_xor_b32 s11, exec_lo, s11
; %bb.273:
	v_bfe_u32 v3, v2, 20, 1
	s_delay_alu instid0(VALU_DEP_1) | instskip(NEXT) | instid1(VALU_DEP_1)
	v_add3_u32 v2, v2, v3, 0x407ffff
	v_and_b32_e32 v3, 0xff00000, v2
	v_lshrrev_b32_e32 v2, 20, v2
	s_delay_alu instid0(VALU_DEP_2) | instskip(NEXT) | instid1(VALU_DEP_2)
	v_cmp_ne_u32_e32 vcc_lo, 0x7f00000, v3
	v_cndmask_b32_e32 v12, 0x7e, v2, vcc_lo
                                        ; implicit-def: $vgpr2
; %bb.274:
	s_and_not1_saveexec_b32 s11, s11
; %bb.275:
	v_add_f32_e32 v12, 0x46800000, v2
; %bb.276:
	s_or_b32 exec_lo, exec_lo, s11
                                        ; implicit-def: $vgpr2
.LBB273_277:
	s_and_not1_saveexec_b32 s10, s10
; %bb.278:
	v_mov_b32_e32 v3, 0x7f
	v_cmp_lt_u32_e32 vcc_lo, 0x7f800000, v2
	s_delay_alu instid0(VALU_DEP_2)
	v_cndmask_b32_e32 v12, 0x7e, v3, vcc_lo
; %bb.279:
	s_or_b32 exec_lo, exec_lo, s10
.LBB273_280:
	s_and_not1_saveexec_b32 s9, s9
	s_cbranch_execz .LBB273_290
; %bb.281:
	flat_load_u16 v2, v[10:11]
	s_mov_b32 s10, exec_lo
                                        ; implicit-def: $vgpr12
	s_wait_loadcnt_dscnt 0x0
	v_cvt_f32_u32_e32 v2, v2
	s_wait_xcnt 0x0
	s_delay_alu instid0(VALU_DEP_1)
	v_cmpx_gt_u32_e32 0x43f00000, v2
	s_xor_b32 s10, exec_lo, s10
	s_cbranch_execz .LBB273_287
; %bb.282:
	s_mov_b32 s11, exec_lo
                                        ; implicit-def: $vgpr12
	v_cmpx_lt_u32_e32 0x3c7fffff, v2
	s_xor_b32 s11, exec_lo, s11
; %bb.283:
	v_bfe_u32 v3, v2, 20, 1
	s_delay_alu instid0(VALU_DEP_1) | instskip(NEXT) | instid1(VALU_DEP_1)
	v_add3_u32 v2, v2, v3, 0x407ffff
	v_and_b32_e32 v3, 0xff00000, v2
	v_lshrrev_b32_e32 v2, 20, v2
	s_delay_alu instid0(VALU_DEP_2) | instskip(NEXT) | instid1(VALU_DEP_2)
	v_cmp_ne_u32_e32 vcc_lo, 0x7f00000, v3
	v_cndmask_b32_e32 v12, 0x7e, v2, vcc_lo
                                        ; implicit-def: $vgpr2
; %bb.284:
	s_and_not1_saveexec_b32 s11, s11
; %bb.285:
	v_add_f32_e32 v12, 0x46800000, v2
; %bb.286:
	s_or_b32 exec_lo, exec_lo, s11
                                        ; implicit-def: $vgpr2
.LBB273_287:
	s_and_not1_saveexec_b32 s10, s10
; %bb.288:
	v_mov_b32_e32 v3, 0x7f
	v_cmp_lt_u32_e32 vcc_lo, 0x7f800000, v2
	s_delay_alu instid0(VALU_DEP_2)
	v_cndmask_b32_e32 v12, 0x7e, v3, vcc_lo
; %bb.289:
	s_or_b32 exec_lo, exec_lo, s10
.LBB273_290:
	s_delay_alu instid0(SALU_CYCLE_1)
	s_or_b32 exec_lo, exec_lo, s9
.LBB273_291:
	s_and_not1_saveexec_b32 s8, s8
	s_cbranch_execz .LBB273_307
; %bb.292:
	flat_load_u8 v3, v[10:11]
	s_mov_b32 s9, 0
	s_mov_b32 s10, exec_lo
	s_wait_loadcnt_dscnt 0x0
	v_cmpx_lt_i16_e32 0x7f, v3
	s_xor_b32 s10, exec_lo, s10
	s_cbranch_execz .LBB273_561
; %bb.293:
	s_mov_b32 s9, -1
	s_mov_b32 s11, exec_lo
	v_cmpx_eq_u16_e32 0x80, v3
; %bb.294:
	s_xor_b32 s9, exec_lo, -1
; %bb.295:
	s_or_b32 exec_lo, exec_lo, s11
	s_delay_alu instid0(SALU_CYCLE_1)
	s_and_b32 s9, s9, exec_lo
	s_or_saveexec_b32 s10, s10
	v_mov_b32_e32 v2, 0x7f800001
	s_xor_b32 exec_lo, exec_lo, s10
	s_cbranch_execnz .LBB273_562
.LBB273_296:
	s_or_b32 exec_lo, exec_lo, s10
	s_and_saveexec_b32 s10, s9
	s_cbranch_execz .LBB273_298
.LBB273_297:
	v_and_b32_e32 v2, 0xffff, v3
	s_delay_alu instid0(VALU_DEP_1) | instskip(SKIP_1) | instid1(VALU_DEP_2)
	v_and_b32_e32 v4, 7, v2
	v_bfe_u32 v8, v2, 3, 4
	v_clz_i32_u32_e32 v5, v4
	s_delay_alu instid0(VALU_DEP_2) | instskip(NEXT) | instid1(VALU_DEP_2)
	v_cmp_eq_u32_e32 vcc_lo, 0, v8
	v_min_u32_e32 v5, 32, v5
	s_delay_alu instid0(VALU_DEP_1) | instskip(NEXT) | instid1(VALU_DEP_1)
	v_subrev_nc_u32_e32 v7, 28, v5
	v_dual_lshlrev_b32 v2, v7, v2 :: v_dual_sub_nc_u32 v5, 29, v5
	s_delay_alu instid0(VALU_DEP_1) | instskip(NEXT) | instid1(VALU_DEP_2)
	v_dual_lshlrev_b32 v3, 24, v3 :: v_dual_bitop2_b32 v2, 7, v2 bitop3:0x40
	v_cndmask_b32_e32 v5, v8, v5, vcc_lo
	s_delay_alu instid0(VALU_DEP_2) | instskip(NEXT) | instid1(VALU_DEP_3)
	v_cndmask_b32_e32 v2, v4, v2, vcc_lo
	v_and_b32_e32 v3, 0x80000000, v3
	s_delay_alu instid0(VALU_DEP_3) | instskip(NEXT) | instid1(VALU_DEP_3)
	v_lshl_add_u32 v4, v5, 23, 0x3b800000
	v_lshlrev_b32_e32 v2, 20, v2
	s_delay_alu instid0(VALU_DEP_1)
	v_or3_b32 v2, v3, v4, v2
.LBB273_298:
	s_or_b32 exec_lo, exec_lo, s10
	s_delay_alu instid0(VALU_DEP_1) | instskip(SKIP_1) | instid1(VALU_DEP_1)
	v_and_b32_e32 v4, 0x7fffffff, v2
	s_mov_b32 s9, exec_lo
                                        ; implicit-def: $vgpr3
	v_cmpx_gt_u32_e32 0x43f00000, v4
	s_xor_b32 s9, exec_lo, s9
	s_cbranch_execz .LBB273_304
; %bb.299:
	s_mov_b32 s10, exec_lo
                                        ; implicit-def: $vgpr3
	v_cmpx_lt_u32_e32 0x3c7fffff, v4
	s_xor_b32 s10, exec_lo, s10
; %bb.300:
	v_bfe_u32 v3, v2, 20, 1
	s_delay_alu instid0(VALU_DEP_1) | instskip(NEXT) | instid1(VALU_DEP_1)
	v_add3_u32 v3, v2, v3, 0x407ffff
	v_and_b32_e32 v4, 0xff00000, v3
	v_lshrrev_b32_e32 v3, 20, v3
	s_delay_alu instid0(VALU_DEP_2) | instskip(NEXT) | instid1(VALU_DEP_2)
	v_cmp_ne_u32_e32 vcc_lo, 0x7f00000, v4
	v_cndmask_b32_e32 v3, 0x7e, v3, vcc_lo
; %bb.301:
	s_and_not1_saveexec_b32 s10, s10
; %bb.302:
	v_add_f32_e64 v3, 0x46800000, |v2|
; %bb.303:
	s_or_b32 exec_lo, exec_lo, s10
                                        ; implicit-def: $vgpr4
.LBB273_304:
	s_and_not1_saveexec_b32 s9, s9
; %bb.305:
	v_mov_b32_e32 v3, 0x7f
	v_cmp_lt_u32_e32 vcc_lo, 0x7f800000, v4
	s_delay_alu instid0(VALU_DEP_2)
	v_cndmask_b32_e32 v3, 0x7e, v3, vcc_lo
; %bb.306:
	s_or_b32 exec_lo, exec_lo, s9
	v_lshrrev_b32_e32 v2, 24, v2
	s_delay_alu instid0(VALU_DEP_1)
	v_and_or_b32 v12, 0x80, v2, v3
.LBB273_307:
	s_or_b32 exec_lo, exec_lo, s8
	s_delay_alu instid0(SALU_CYCLE_1)
	s_or_b32 s7, s7, exec_lo
.LBB273_308:
	s_or_b32 exec_lo, exec_lo, s5
	s_delay_alu instid0(SALU_CYCLE_1)
	s_and_b32 s5, s7, exec_lo
	s_and_b32 s6, s6, exec_lo
	s_and_not1_saveexec_b32 s4, s4
	s_cbranch_execnz .LBB273_509
.LBB273_309:
	s_or_b32 exec_lo, exec_lo, s4
	s_mov_b32 s7, s0
	s_and_saveexec_b32 s4, s6
	s_cbranch_execnz .LBB273_558
.LBB273_310:
	s_or_b32 exec_lo, exec_lo, s4
	s_delay_alu instid0(SALU_CYCLE_1)
	s_and_b32 s6, s5, exec_lo
	s_and_not1_b32 s5, s0, exec_lo
	s_and_b32 s7, s7, exec_lo
	s_xor_b32 s4, exec_lo, -1
	s_and_b32 s3, s3, exec_lo
	s_or_b32 s5, s5, s7
.LBB273_311:
	s_or_b32 exec_lo, exec_lo, s2
	s_delay_alu instid0(SALU_CYCLE_1)
	s_and_b32 s2, s6, exec_lo
	s_and_not1_b32 s0, s0, exec_lo
	s_and_b32 s6, s5, exec_lo
	s_and_b32 s4, s4, exec_lo
	;; [unrolled: 1-line block ×3, first 2 shown]
	s_or_b32 s0, s0, s6
	s_or_b32 exec_lo, exec_lo, s1
	s_and_saveexec_b32 s1, s0
	s_cbranch_execnz .LBB273_325
.LBB273_312:
	s_or_b32 exec_lo, exec_lo, s1
	s_and_saveexec_b32 s0, s5
	s_cbranch_execz .LBB273_326
.LBB273_313:
	flat_load_u8 v2, v[10:11]
	s_mov_b32 s1, exec_lo
                                        ; implicit-def: $vgpr12
	s_wait_loadcnt_dscnt 0x0
	v_cmp_ne_u16_e32 vcc_lo, 0, v2
	v_cndmask_b32_e64 v2, 0, 1.0, vcc_lo
	s_wait_xcnt 0x0
	s_delay_alu instid0(VALU_DEP_1)
	v_cmpx_gt_u32_e32 0x43f00000, v2
	s_xor_b32 s1, exec_lo, s1
	s_cbranch_execz .LBB273_319
; %bb.314:
	s_mov_b32 s3, exec_lo
                                        ; implicit-def: $vgpr12
	v_cmpx_lt_u32_e32 0x3c7fffff, v2
	s_xor_b32 s3, exec_lo, s3
; %bb.315:
	v_bfe_u32 v3, v2, 20, 1
	s_delay_alu instid0(VALU_DEP_1) | instskip(NEXT) | instid1(VALU_DEP_1)
	v_add3_u32 v2, v2, v3, 0x407ffff
	v_and_b32_e32 v3, 0xff00000, v2
	v_lshrrev_b32_e32 v2, 20, v2
	s_delay_alu instid0(VALU_DEP_2) | instskip(NEXT) | instid1(VALU_DEP_2)
	v_cmp_ne_u32_e32 vcc_lo, 0x7f00000, v3
	v_cndmask_b32_e32 v12, 0x7e, v2, vcc_lo
                                        ; implicit-def: $vgpr2
; %bb.316:
	s_and_not1_saveexec_b32 s3, s3
; %bb.317:
	v_add_f32_e32 v12, 0x46800000, v2
; %bb.318:
	s_or_b32 exec_lo, exec_lo, s3
                                        ; implicit-def: $vgpr2
.LBB273_319:
	s_and_not1_saveexec_b32 s1, s1
; %bb.320:
	v_mov_b32_e32 v3, 0x7f
	v_cmp_lt_u32_e32 vcc_lo, 0x7f800000, v2
	s_delay_alu instid0(VALU_DEP_2)
	v_cndmask_b32_e32 v12, 0x7e, v3, vcc_lo
; %bb.321:
	s_or_b32 exec_lo, exec_lo, s1
	s_delay_alu instid0(SALU_CYCLE_1)
	s_or_b32 s2, s2, exec_lo
	s_or_b32 exec_lo, exec_lo, s0
	s_and_saveexec_b32 s0, s4
	s_cbranch_execnz .LBB273_327
.LBB273_322:
	s_or_b32 exec_lo, exec_lo, s0
                                        ; implicit-def: $sgpr1
	s_and_saveexec_b32 s0, s2
	s_cbranch_execz .LBB273_456
.LBB273_323:
	s_wait_loadcnt_dscnt 0x0
	v_dual_lshlrev_b32 v1, 24, v1 :: v_dual_lshlrev_b32 v2, 24, v12
	s_delay_alu instid0(VALU_DEP_1) | instskip(NEXT) | instid1(VALU_DEP_2)
	v_and_b32_e32 v3, 0x7f000000, v1
	v_and_b32_e32 v4, 0x7f000000, v2
	s_delay_alu instid0(VALU_DEP_2) | instskip(NEXT) | instid1(VALU_DEP_2)
	v_clz_i32_u32_e32 v5, v3
	v_clz_i32_u32_e32 v6, v4
	v_cmp_ne_u32_e32 vcc_lo, 0, v3
	s_delay_alu instid0(VALU_DEP_3) | instskip(NEXT) | instid1(VALU_DEP_3)
	v_min_u32_e32 v5, 32, v5
	v_min_u32_e32 v6, 32, v6
	s_delay_alu instid0(VALU_DEP_2) | instskip(NEXT) | instid1(VALU_DEP_2)
	v_sub_nc_u32_e64 v5, v5, 4 clamp
	v_sub_nc_u32_e64 v6, v6, 4 clamp
	s_delay_alu instid0(VALU_DEP_1) | instskip(SKIP_1) | instid1(VALU_DEP_2)
	v_dual_lshlrev_b32 v7, v5, v3 :: v_dual_lshlrev_b32 v8, v6, v4
	v_dual_lshlrev_b32 v5, 23, v5 :: v_dual_lshlrev_b32 v6, 23, v6
	v_dual_lshrrev_b32 v7, 4, v7 :: v_dual_lshrrev_b32 v8, 4, v8
	s_delay_alu instid0(VALU_DEP_1) | instskip(SKIP_1) | instid1(VALU_DEP_2)
	v_dual_sub_nc_u32 v5, v7, v5 :: v_dual_sub_nc_u32 v6, v8, v6
	v_add_nc_u32_e32 v7, 0x1000000, v4
	v_add_nc_u32_e32 v5, 0x3c000000, v5
	s_delay_alu instid0(VALU_DEP_3) | instskip(NEXT) | instid1(VALU_DEP_3)
	v_add_nc_u32_e32 v6, 0x3c000000, v6
	v_ashrrev_i32_e32 v7, 8, v7
	s_delay_alu instid0(VALU_DEP_1) | instskip(SKIP_1) | instid1(VALU_DEP_1)
	v_and_or_b32 v6, 0x7f800000, v7, v6
	v_add_nc_u32_e32 v9, 0x1000000, v3
	v_ashrrev_i32_e32 v8, 8, v9
	s_delay_alu instid0(VALU_DEP_1) | instskip(NEXT) | instid1(VALU_DEP_1)
	v_and_or_b32 v5, 0x7f800000, v8, v5
	v_cndmask_b32_e32 v3, 0, v5, vcc_lo
	v_cmp_ne_u32_e32 vcc_lo, 0, v4
	s_delay_alu instid0(VALU_DEP_2) | instskip(SKIP_1) | instid1(VALU_DEP_1)
	v_and_or_b32 v1, 0x80000000, v1, v3
	v_cndmask_b32_e32 v4, 0, v6, vcc_lo
	v_and_or_b32 v2, 0x80000000, v2, v4
	s_delay_alu instid0(VALU_DEP_1) | instskip(SKIP_4) | instid1(VALU_DEP_2)
	v_cmp_eq_f32_e32 vcc_lo, v1, v2
	v_cndmask_b32_e64 v3, 0, 1, vcc_lo
	v_cmp_neq_f32_e32 vcc_lo, v1, v2
	v_cndmask_b32_e64 v1, 0, 1, vcc_lo
	v_cmp_eq_u32_e32 vcc_lo, 0, v0
	v_cndmask_b32_e32 v0, v1, v3, vcc_lo
	s_delay_alu instid0(VALU_DEP_1) | instskip(NEXT) | instid1(VALU_DEP_1)
	v_and_b32_e32 v0, 1, v0
	v_cmp_eq_u32_e64 s1, 1, v0
	s_or_b32 exec_lo, exec_lo, s0
	v_cndmask_b32_e64 v0, 0, 1, s1
	s_set_pc_i64 s[30:31]
.LBB273_324:
	s_or_b32 exec_lo, exec_lo, s1
	s_and_saveexec_b32 s1, s0
	s_cbranch_execz .LBB273_312
.LBB273_325:
	; divergent unreachable
	s_or_b32 exec_lo, exec_lo, s1
	s_and_saveexec_b32 s0, s5
	s_cbranch_execnz .LBB273_313
.LBB273_326:
	s_or_b32 exec_lo, exec_lo, s0
	s_and_saveexec_b32 s0, s4
	s_cbranch_execz .LBB273_322
.LBB273_327:
	s_mov_b32 s1, exec_lo
                                        ; implicit-def: $vgpr12
	v_cmpx_lt_i16_e32 4, v6
	s_xor_b32 s1, exec_lo, s1
	s_cbranch_execz .LBB273_397
; %bb.328:
	s_mov_b32 s3, exec_lo
                                        ; implicit-def: $vgpr12
	v_cmpx_lt_i16_e32 7, v6
	s_xor_b32 s3, exec_lo, s3
	s_cbranch_execz .LBB273_362
; %bb.329:
	;; [unrolled: 6-line block ×4, first 2 shown]
	flat_load_b64 v[2:3], v[10:11]
	s_mov_b32 s6, exec_lo
	s_wait_loadcnt_dscnt 0x0
	v_cvt_f32_f64_e32 v2, v[2:3]
                                        ; implicit-def: $vgpr3
	s_delay_alu instid0(VALU_DEP_1) | instskip(SKIP_1) | instid1(VALU_DEP_1)
	v_and_b32_e32 v4, 0x7fffffff, v2
	s_wait_xcnt 0x0
	v_cmpx_gt_u32_e32 0x43f00000, v4
	s_xor_b32 s6, exec_lo, s6
	s_cbranch_execz .LBB273_337
; %bb.332:
	s_mov_b32 s7, exec_lo
                                        ; implicit-def: $vgpr3
	v_cmpx_lt_u32_e32 0x3c7fffff, v4
	s_xor_b32 s7, exec_lo, s7
; %bb.333:
	v_bfe_u32 v3, v2, 20, 1
	s_delay_alu instid0(VALU_DEP_1) | instskip(NEXT) | instid1(VALU_DEP_1)
	v_add3_u32 v3, v2, v3, 0x407ffff
	v_and_b32_e32 v4, 0xff00000, v3
	v_lshrrev_b32_e32 v3, 20, v3
	s_delay_alu instid0(VALU_DEP_2) | instskip(NEXT) | instid1(VALU_DEP_2)
	v_cmp_ne_u32_e32 vcc_lo, 0x7f00000, v4
	v_cndmask_b32_e32 v3, 0x7e, v3, vcc_lo
; %bb.334:
	s_and_not1_saveexec_b32 s7, s7
; %bb.335:
	v_add_f32_e64 v3, 0x46800000, |v2|
; %bb.336:
	s_or_b32 exec_lo, exec_lo, s7
                                        ; implicit-def: $vgpr4
.LBB273_337:
	s_and_not1_saveexec_b32 s6, s6
; %bb.338:
	v_mov_b32_e32 v3, 0x7f
	v_cmp_lt_u32_e32 vcc_lo, 0x7f800000, v4
	s_delay_alu instid0(VALU_DEP_2)
	v_cndmask_b32_e32 v3, 0x7e, v3, vcc_lo
; %bb.339:
	s_or_b32 exec_lo, exec_lo, s6
	v_lshrrev_b32_e32 v2, 24, v2
                                        ; implicit-def: $vgpr10_vgpr11
	s_delay_alu instid0(VALU_DEP_1)
	v_and_or_b32 v12, 0x80, v2, v3
.LBB273_340:
	s_and_not1_saveexec_b32 s5, s5
	s_cbranch_execz .LBB273_350
; %bb.341:
	flat_load_b32 v2, v[10:11]
	s_mov_b32 s6, exec_lo
                                        ; implicit-def: $vgpr3
	s_wait_loadcnt_dscnt 0x0
	v_and_b32_e32 v4, 0x7fffffff, v2
	s_wait_xcnt 0x0
	s_delay_alu instid0(VALU_DEP_1)
	v_cmpx_gt_u32_e32 0x43f00000, v4
	s_xor_b32 s6, exec_lo, s6
	s_cbranch_execz .LBB273_347
; %bb.342:
	s_mov_b32 s7, exec_lo
                                        ; implicit-def: $vgpr3
	v_cmpx_lt_u32_e32 0x3c7fffff, v4
	s_xor_b32 s7, exec_lo, s7
; %bb.343:
	v_bfe_u32 v3, v2, 20, 1
	s_delay_alu instid0(VALU_DEP_1) | instskip(NEXT) | instid1(VALU_DEP_1)
	v_add3_u32 v3, v2, v3, 0x407ffff
	v_and_b32_e32 v4, 0xff00000, v3
	v_lshrrev_b32_e32 v3, 20, v3
	s_delay_alu instid0(VALU_DEP_2) | instskip(NEXT) | instid1(VALU_DEP_2)
	v_cmp_ne_u32_e32 vcc_lo, 0x7f00000, v4
	v_cndmask_b32_e32 v3, 0x7e, v3, vcc_lo
; %bb.344:
	s_and_not1_saveexec_b32 s7, s7
; %bb.345:
	v_add_f32_e64 v3, 0x46800000, |v2|
; %bb.346:
	s_or_b32 exec_lo, exec_lo, s7
                                        ; implicit-def: $vgpr4
.LBB273_347:
	s_and_not1_saveexec_b32 s6, s6
; %bb.348:
	v_mov_b32_e32 v3, 0x7f
	v_cmp_lt_u32_e32 vcc_lo, 0x7f800000, v4
	s_delay_alu instid0(VALU_DEP_2)
	v_cndmask_b32_e32 v3, 0x7e, v3, vcc_lo
; %bb.349:
	s_or_b32 exec_lo, exec_lo, s6
	v_lshrrev_b32_e32 v2, 24, v2
	s_delay_alu instid0(VALU_DEP_1)
	v_and_or_b32 v12, 0x80, v2, v3
.LBB273_350:
	s_or_b32 exec_lo, exec_lo, s5
                                        ; implicit-def: $vgpr10_vgpr11
.LBB273_351:
	s_and_not1_saveexec_b32 s4, s4
	s_cbranch_execz .LBB273_361
; %bb.352:
	flat_load_b32 v2, v[10:11]
	s_mov_b32 s5, exec_lo
                                        ; implicit-def: $vgpr3
	s_wait_loadcnt_dscnt 0x0
	v_cvt_f32_f16_e32 v2, v2
	s_delay_alu instid0(VALU_DEP_1) | instskip(SKIP_1) | instid1(VALU_DEP_1)
	v_and_b32_e32 v4, 0x7fffffff, v2
	s_wait_xcnt 0x0
	v_cmpx_gt_u32_e32 0x43f00000, v4
	s_xor_b32 s5, exec_lo, s5
	s_cbranch_execz .LBB273_358
; %bb.353:
	s_mov_b32 s6, exec_lo
                                        ; implicit-def: $vgpr3
	v_cmpx_lt_u32_e32 0x3c7fffff, v4
	s_xor_b32 s6, exec_lo, s6
; %bb.354:
	v_bfe_u32 v3, v2, 20, 1
	s_delay_alu instid0(VALU_DEP_1) | instskip(NEXT) | instid1(VALU_DEP_1)
	v_add3_u32 v3, v2, v3, 0x407ffff
	v_and_b32_e32 v4, 0xff00000, v3
	v_lshrrev_b32_e32 v3, 20, v3
	s_delay_alu instid0(VALU_DEP_2) | instskip(NEXT) | instid1(VALU_DEP_2)
	v_cmp_ne_u32_e32 vcc_lo, 0x7f00000, v4
	v_cndmask_b32_e32 v3, 0x7e, v3, vcc_lo
; %bb.355:
	s_and_not1_saveexec_b32 s6, s6
; %bb.356:
	v_add_f32_e64 v3, 0x46800000, |v2|
; %bb.357:
	s_or_b32 exec_lo, exec_lo, s6
                                        ; implicit-def: $vgpr4
.LBB273_358:
	s_and_not1_saveexec_b32 s5, s5
; %bb.359:
	v_mov_b32_e32 v3, 0x7f
	v_cmp_lt_u32_e32 vcc_lo, 0x7f800000, v4
	s_delay_alu instid0(VALU_DEP_2)
	v_cndmask_b32_e32 v3, 0x7e, v3, vcc_lo
; %bb.360:
	s_or_b32 exec_lo, exec_lo, s5
	v_lshrrev_b32_e32 v2, 24, v2
	s_delay_alu instid0(VALU_DEP_1)
	v_and_or_b32 v12, 0x80, v2, v3
.LBB273_361:
	s_or_b32 exec_lo, exec_lo, s4
                                        ; implicit-def: $vgpr10_vgpr11
.LBB273_362:
	s_and_not1_saveexec_b32 s3, s3
	s_cbranch_execz .LBB273_396
; %bb.363:
	s_mov_b32 s4, exec_lo
                                        ; implicit-def: $vgpr12
	v_cmpx_lt_i16_e32 5, v6
	s_xor_b32 s4, exec_lo, s4
	s_cbranch_execz .LBB273_385
; %bb.364:
	s_mov_b32 s5, exec_lo
                                        ; implicit-def: $vgpr12
	v_cmpx_lt_i16_e32 6, v6
	s_xor_b32 s5, exec_lo, s5
	s_cbranch_execz .LBB273_374
; %bb.365:
	flat_load_b64 v[2:3], v[10:11]
	s_mov_b32 s6, exec_lo
	s_wait_loadcnt_dscnt 0x0
	v_cvt_f32_f64_e32 v2, v[2:3]
                                        ; implicit-def: $vgpr3
	s_delay_alu instid0(VALU_DEP_1) | instskip(SKIP_1) | instid1(VALU_DEP_1)
	v_and_b32_e32 v4, 0x7fffffff, v2
	s_wait_xcnt 0x0
	v_cmpx_gt_u32_e32 0x43f00000, v4
	s_xor_b32 s6, exec_lo, s6
	s_cbranch_execz .LBB273_371
; %bb.366:
	s_mov_b32 s7, exec_lo
                                        ; implicit-def: $vgpr3
	v_cmpx_lt_u32_e32 0x3c7fffff, v4
	s_xor_b32 s7, exec_lo, s7
; %bb.367:
	v_bfe_u32 v3, v2, 20, 1
	s_delay_alu instid0(VALU_DEP_1) | instskip(NEXT) | instid1(VALU_DEP_1)
	v_add3_u32 v3, v2, v3, 0x407ffff
	v_and_b32_e32 v4, 0xff00000, v3
	v_lshrrev_b32_e32 v3, 20, v3
	s_delay_alu instid0(VALU_DEP_2) | instskip(NEXT) | instid1(VALU_DEP_2)
	v_cmp_ne_u32_e32 vcc_lo, 0x7f00000, v4
	v_cndmask_b32_e32 v3, 0x7e, v3, vcc_lo
; %bb.368:
	s_and_not1_saveexec_b32 s7, s7
; %bb.369:
	v_add_f32_e64 v3, 0x46800000, |v2|
; %bb.370:
	s_or_b32 exec_lo, exec_lo, s7
                                        ; implicit-def: $vgpr4
.LBB273_371:
	s_and_not1_saveexec_b32 s6, s6
; %bb.372:
	v_mov_b32_e32 v3, 0x7f
	v_cmp_lt_u32_e32 vcc_lo, 0x7f800000, v4
	s_delay_alu instid0(VALU_DEP_2)
	v_cndmask_b32_e32 v3, 0x7e, v3, vcc_lo
; %bb.373:
	s_or_b32 exec_lo, exec_lo, s6
	v_lshrrev_b32_e32 v2, 24, v2
                                        ; implicit-def: $vgpr10_vgpr11
	s_delay_alu instid0(VALU_DEP_1)
	v_and_or_b32 v12, 0x80, v2, v3
.LBB273_374:
	s_and_not1_saveexec_b32 s5, s5
	s_cbranch_execz .LBB273_384
; %bb.375:
	flat_load_b32 v2, v[10:11]
	s_mov_b32 s6, exec_lo
                                        ; implicit-def: $vgpr3
	s_wait_loadcnt_dscnt 0x0
	v_and_b32_e32 v4, 0x7fffffff, v2
	s_wait_xcnt 0x0
	s_delay_alu instid0(VALU_DEP_1)
	v_cmpx_gt_u32_e32 0x43f00000, v4
	s_xor_b32 s6, exec_lo, s6
	s_cbranch_execz .LBB273_381
; %bb.376:
	s_mov_b32 s7, exec_lo
                                        ; implicit-def: $vgpr3
	v_cmpx_lt_u32_e32 0x3c7fffff, v4
	s_xor_b32 s7, exec_lo, s7
; %bb.377:
	v_bfe_u32 v3, v2, 20, 1
	s_delay_alu instid0(VALU_DEP_1) | instskip(NEXT) | instid1(VALU_DEP_1)
	v_add3_u32 v3, v2, v3, 0x407ffff
	v_and_b32_e32 v4, 0xff00000, v3
	v_lshrrev_b32_e32 v3, 20, v3
	s_delay_alu instid0(VALU_DEP_2) | instskip(NEXT) | instid1(VALU_DEP_2)
	v_cmp_ne_u32_e32 vcc_lo, 0x7f00000, v4
	v_cndmask_b32_e32 v3, 0x7e, v3, vcc_lo
; %bb.378:
	s_and_not1_saveexec_b32 s7, s7
; %bb.379:
	v_add_f32_e64 v3, 0x46800000, |v2|
; %bb.380:
	s_or_b32 exec_lo, exec_lo, s7
                                        ; implicit-def: $vgpr4
.LBB273_381:
	s_and_not1_saveexec_b32 s6, s6
; %bb.382:
	v_mov_b32_e32 v3, 0x7f
	v_cmp_lt_u32_e32 vcc_lo, 0x7f800000, v4
	s_delay_alu instid0(VALU_DEP_2)
	v_cndmask_b32_e32 v3, 0x7e, v3, vcc_lo
; %bb.383:
	s_or_b32 exec_lo, exec_lo, s6
	v_lshrrev_b32_e32 v2, 24, v2
	s_delay_alu instid0(VALU_DEP_1)
	v_and_or_b32 v12, 0x80, v2, v3
.LBB273_384:
	s_or_b32 exec_lo, exec_lo, s5
                                        ; implicit-def: $vgpr10_vgpr11
.LBB273_385:
	s_and_not1_saveexec_b32 s4, s4
	s_cbranch_execz .LBB273_395
; %bb.386:
	flat_load_u16 v2, v[10:11]
	s_mov_b32 s5, exec_lo
                                        ; implicit-def: $vgpr3
	s_wait_loadcnt_dscnt 0x0
	v_cvt_f32_f16_e32 v2, v2
	s_delay_alu instid0(VALU_DEP_1) | instskip(SKIP_1) | instid1(VALU_DEP_1)
	v_and_b32_e32 v4, 0x7fffffff, v2
	s_wait_xcnt 0x0
	v_cmpx_gt_u32_e32 0x43f00000, v4
	s_xor_b32 s5, exec_lo, s5
	s_cbranch_execz .LBB273_392
; %bb.387:
	s_mov_b32 s6, exec_lo
                                        ; implicit-def: $vgpr3
	v_cmpx_lt_u32_e32 0x3c7fffff, v4
	s_xor_b32 s6, exec_lo, s6
; %bb.388:
	v_bfe_u32 v3, v2, 20, 1
	s_delay_alu instid0(VALU_DEP_1) | instskip(NEXT) | instid1(VALU_DEP_1)
	v_add3_u32 v3, v2, v3, 0x407ffff
	v_and_b32_e32 v4, 0xff00000, v3
	v_lshrrev_b32_e32 v3, 20, v3
	s_delay_alu instid0(VALU_DEP_2) | instskip(NEXT) | instid1(VALU_DEP_2)
	v_cmp_ne_u32_e32 vcc_lo, 0x7f00000, v4
	v_cndmask_b32_e32 v3, 0x7e, v3, vcc_lo
; %bb.389:
	s_and_not1_saveexec_b32 s6, s6
; %bb.390:
	v_add_f32_e64 v3, 0x46800000, |v2|
; %bb.391:
	s_or_b32 exec_lo, exec_lo, s6
                                        ; implicit-def: $vgpr4
.LBB273_392:
	s_and_not1_saveexec_b32 s5, s5
; %bb.393:
	v_mov_b32_e32 v3, 0x7f
	v_cmp_lt_u32_e32 vcc_lo, 0x7f800000, v4
	s_delay_alu instid0(VALU_DEP_2)
	v_cndmask_b32_e32 v3, 0x7e, v3, vcc_lo
; %bb.394:
	s_or_b32 exec_lo, exec_lo, s5
	v_lshrrev_b32_e32 v2, 24, v2
	s_delay_alu instid0(VALU_DEP_1)
	v_and_or_b32 v12, 0x80, v2, v3
.LBB273_395:
	s_or_b32 exec_lo, exec_lo, s4
.LBB273_396:
	s_delay_alu instid0(SALU_CYCLE_1)
	s_or_b32 exec_lo, exec_lo, s3
                                        ; implicit-def: $vgpr10_vgpr11
.LBB273_397:
	s_and_not1_saveexec_b32 s1, s1
	s_cbranch_execz .LBB273_455
; %bb.398:
	s_mov_b32 s3, exec_lo
                                        ; implicit-def: $vgpr12
	v_cmpx_lt_i16_e32 1, v6
	s_xor_b32 s3, exec_lo, s3
	s_cbranch_execz .LBB273_432
; %bb.399:
	s_mov_b32 s4, exec_lo
                                        ; implicit-def: $vgpr12
	v_cmpx_lt_i16_e32 2, v6
	s_xor_b32 s4, exec_lo, s4
	;; [unrolled: 6-line block ×3, first 2 shown]
	s_cbranch_execz .LBB273_410
; %bb.401:
	flat_load_b64 v[2:3], v[10:11]
	s_mov_b32 s6, exec_lo
	s_wait_loadcnt_dscnt 0x0
	v_xor_b32_e32 v4, v2, v3
	v_cls_i32_e32 v5, v3
	s_delay_alu instid0(VALU_DEP_2) | instskip(NEXT) | instid1(VALU_DEP_1)
	v_ashrrev_i32_e32 v4, 31, v4
	v_add_nc_u32_e32 v4, 32, v4
	s_delay_alu instid0(VALU_DEP_1) | instskip(NEXT) | instid1(VALU_DEP_1)
	v_add_min_u32_e64 v4, v5, -1, v4
	v_lshlrev_b64_e32 v[2:3], v4, v[2:3]
	s_delay_alu instid0(VALU_DEP_1) | instskip(NEXT) | instid1(VALU_DEP_1)
	v_min_u32_e32 v2, 1, v2
	v_dual_sub_nc_u32 v3, 32, v4 :: v_dual_bitop2_b32 v2, v3, v2 bitop3:0x54
	s_delay_alu instid0(VALU_DEP_1) | instskip(NEXT) | instid1(VALU_DEP_1)
	v_cvt_f32_i32_e32 v2, v2
	v_ldexp_f32 v2, v2, v3
                                        ; implicit-def: $vgpr3
	s_delay_alu instid0(VALU_DEP_1) | instskip(SKIP_1) | instid1(VALU_DEP_1)
	v_and_b32_e32 v4, 0x7fffffff, v2
	s_wait_xcnt 0x0
	v_cmpx_gt_u32_e32 0x43f00000, v4
	s_xor_b32 s6, exec_lo, s6
	s_cbranch_execz .LBB273_407
; %bb.402:
	s_mov_b32 s7, exec_lo
                                        ; implicit-def: $vgpr3
	v_cmpx_lt_u32_e32 0x3c7fffff, v4
	s_xor_b32 s7, exec_lo, s7
; %bb.403:
	v_bfe_u32 v3, v2, 20, 1
	s_delay_alu instid0(VALU_DEP_1) | instskip(NEXT) | instid1(VALU_DEP_1)
	v_add3_u32 v3, v2, v3, 0x407ffff
	v_and_b32_e32 v4, 0xff00000, v3
	v_lshrrev_b32_e32 v3, 20, v3
	s_delay_alu instid0(VALU_DEP_2) | instskip(NEXT) | instid1(VALU_DEP_2)
	v_cmp_ne_u32_e32 vcc_lo, 0x7f00000, v4
	v_cndmask_b32_e32 v3, 0x7e, v3, vcc_lo
; %bb.404:
	s_and_not1_saveexec_b32 s7, s7
; %bb.405:
	v_add_f32_e64 v3, 0x46800000, |v2|
; %bb.406:
	s_or_b32 exec_lo, exec_lo, s7
                                        ; implicit-def: $vgpr4
.LBB273_407:
	s_and_not1_saveexec_b32 s6, s6
; %bb.408:
	v_mov_b32_e32 v3, 0x7f
	v_cmp_lt_u32_e32 vcc_lo, 0x7f800000, v4
	s_delay_alu instid0(VALU_DEP_2)
	v_cndmask_b32_e32 v3, 0x7e, v3, vcc_lo
; %bb.409:
	s_or_b32 exec_lo, exec_lo, s6
	v_lshrrev_b32_e32 v2, 24, v2
                                        ; implicit-def: $vgpr10_vgpr11
	s_delay_alu instid0(VALU_DEP_1)
	v_and_or_b32 v12, 0x80, v2, v3
.LBB273_410:
	s_and_not1_saveexec_b32 s5, s5
	s_cbranch_execz .LBB273_420
; %bb.411:
	flat_load_b32 v2, v[10:11]
	s_mov_b32 s6, exec_lo
                                        ; implicit-def: $vgpr3
	s_wait_loadcnt_dscnt 0x0
	v_cvt_f32_i32_e32 v2, v2
	s_delay_alu instid0(VALU_DEP_1) | instskip(SKIP_1) | instid1(VALU_DEP_1)
	v_and_b32_e32 v4, 0x7fffffff, v2
	s_wait_xcnt 0x0
	v_cmpx_gt_u32_e32 0x43f00000, v4
	s_xor_b32 s6, exec_lo, s6
	s_cbranch_execz .LBB273_417
; %bb.412:
	s_mov_b32 s7, exec_lo
                                        ; implicit-def: $vgpr3
	v_cmpx_lt_u32_e32 0x3c7fffff, v4
	s_xor_b32 s7, exec_lo, s7
; %bb.413:
	v_bfe_u32 v3, v2, 20, 1
	s_delay_alu instid0(VALU_DEP_1) | instskip(NEXT) | instid1(VALU_DEP_1)
	v_add3_u32 v3, v2, v3, 0x407ffff
	v_and_b32_e32 v4, 0xff00000, v3
	v_lshrrev_b32_e32 v3, 20, v3
	s_delay_alu instid0(VALU_DEP_2) | instskip(NEXT) | instid1(VALU_DEP_2)
	v_cmp_ne_u32_e32 vcc_lo, 0x7f00000, v4
	v_cndmask_b32_e32 v3, 0x7e, v3, vcc_lo
; %bb.414:
	s_and_not1_saveexec_b32 s7, s7
; %bb.415:
	v_add_f32_e64 v3, 0x46800000, |v2|
; %bb.416:
	s_or_b32 exec_lo, exec_lo, s7
                                        ; implicit-def: $vgpr4
.LBB273_417:
	s_and_not1_saveexec_b32 s6, s6
; %bb.418:
	v_mov_b32_e32 v3, 0x7f
	v_cmp_lt_u32_e32 vcc_lo, 0x7f800000, v4
	s_delay_alu instid0(VALU_DEP_2)
	v_cndmask_b32_e32 v3, 0x7e, v3, vcc_lo
; %bb.419:
	s_or_b32 exec_lo, exec_lo, s6
	v_lshrrev_b32_e32 v2, 24, v2
	s_delay_alu instid0(VALU_DEP_1)
	v_and_or_b32 v12, 0x80, v2, v3
.LBB273_420:
	s_or_b32 exec_lo, exec_lo, s5
                                        ; implicit-def: $vgpr10_vgpr11
.LBB273_421:
	s_and_not1_saveexec_b32 s4, s4
	s_cbranch_execz .LBB273_431
; %bb.422:
	flat_load_i16 v2, v[10:11]
	s_mov_b32 s5, exec_lo
                                        ; implicit-def: $vgpr3
	s_wait_loadcnt_dscnt 0x0
	v_cvt_f32_i32_e32 v2, v2
	s_delay_alu instid0(VALU_DEP_1) | instskip(SKIP_1) | instid1(VALU_DEP_1)
	v_and_b32_e32 v4, 0x7fffffff, v2
	s_wait_xcnt 0x0
	v_cmpx_gt_u32_e32 0x43f00000, v4
	s_xor_b32 s5, exec_lo, s5
	s_cbranch_execz .LBB273_428
; %bb.423:
	s_mov_b32 s6, exec_lo
                                        ; implicit-def: $vgpr3
	v_cmpx_lt_u32_e32 0x3c7fffff, v4
	s_xor_b32 s6, exec_lo, s6
; %bb.424:
	v_bfe_u32 v3, v2, 20, 1
	s_delay_alu instid0(VALU_DEP_1) | instskip(NEXT) | instid1(VALU_DEP_1)
	v_add3_u32 v3, v2, v3, 0x407ffff
	v_and_b32_e32 v4, 0xff00000, v3
	v_lshrrev_b32_e32 v3, 20, v3
	s_delay_alu instid0(VALU_DEP_2) | instskip(NEXT) | instid1(VALU_DEP_2)
	v_cmp_ne_u32_e32 vcc_lo, 0x7f00000, v4
	v_cndmask_b32_e32 v3, 0x7e, v3, vcc_lo
; %bb.425:
	s_and_not1_saveexec_b32 s6, s6
; %bb.426:
	v_add_f32_e64 v3, 0x46800000, |v2|
; %bb.427:
	s_or_b32 exec_lo, exec_lo, s6
                                        ; implicit-def: $vgpr4
.LBB273_428:
	s_and_not1_saveexec_b32 s5, s5
; %bb.429:
	v_mov_b32_e32 v3, 0x7f
	v_cmp_lt_u32_e32 vcc_lo, 0x7f800000, v4
	s_delay_alu instid0(VALU_DEP_2)
	v_cndmask_b32_e32 v3, 0x7e, v3, vcc_lo
; %bb.430:
	s_or_b32 exec_lo, exec_lo, s5
	v_lshrrev_b32_e32 v2, 24, v2
	s_delay_alu instid0(VALU_DEP_1)
	v_and_or_b32 v12, 0x80, v2, v3
.LBB273_431:
	s_or_b32 exec_lo, exec_lo, s4
                                        ; implicit-def: $vgpr10_vgpr11
.LBB273_432:
	s_and_not1_saveexec_b32 s3, s3
	s_cbranch_execz .LBB273_454
; %bb.433:
	s_mov_b32 s4, exec_lo
                                        ; implicit-def: $vgpr12
	v_cmpx_lt_i16_e32 0, v6
	s_xor_b32 s4, exec_lo, s4
	s_cbranch_execz .LBB273_443
; %bb.434:
	flat_load_i8 v2, v[10:11]
	s_mov_b32 s5, exec_lo
                                        ; implicit-def: $vgpr3
	s_wait_loadcnt_dscnt 0x0
	v_cvt_f32_i32_e32 v2, v2
	s_delay_alu instid0(VALU_DEP_1) | instskip(SKIP_1) | instid1(VALU_DEP_1)
	v_and_b32_e32 v4, 0x7fffffff, v2
	s_wait_xcnt 0x0
	v_cmpx_gt_u32_e32 0x43f00000, v4
	s_xor_b32 s5, exec_lo, s5
	s_cbranch_execz .LBB273_440
; %bb.435:
	s_mov_b32 s6, exec_lo
                                        ; implicit-def: $vgpr3
	v_cmpx_lt_u32_e32 0x3c7fffff, v4
	s_xor_b32 s6, exec_lo, s6
; %bb.436:
	v_bfe_u32 v3, v2, 20, 1
	s_delay_alu instid0(VALU_DEP_1) | instskip(NEXT) | instid1(VALU_DEP_1)
	v_add3_u32 v3, v2, v3, 0x407ffff
	v_and_b32_e32 v4, 0xff00000, v3
	v_lshrrev_b32_e32 v3, 20, v3
	s_delay_alu instid0(VALU_DEP_2) | instskip(NEXT) | instid1(VALU_DEP_2)
	v_cmp_ne_u32_e32 vcc_lo, 0x7f00000, v4
	v_cndmask_b32_e32 v3, 0x7e, v3, vcc_lo
; %bb.437:
	s_and_not1_saveexec_b32 s6, s6
; %bb.438:
	v_add_f32_e64 v3, 0x46800000, |v2|
; %bb.439:
	s_or_b32 exec_lo, exec_lo, s6
                                        ; implicit-def: $vgpr4
.LBB273_440:
	s_and_not1_saveexec_b32 s5, s5
; %bb.441:
	v_mov_b32_e32 v3, 0x7f
	v_cmp_lt_u32_e32 vcc_lo, 0x7f800000, v4
	s_delay_alu instid0(VALU_DEP_2)
	v_cndmask_b32_e32 v3, 0x7e, v3, vcc_lo
; %bb.442:
	s_or_b32 exec_lo, exec_lo, s5
	v_lshrrev_b32_e32 v2, 24, v2
                                        ; implicit-def: $vgpr10_vgpr11
	s_delay_alu instid0(VALU_DEP_1)
	v_and_or_b32 v12, 0x80, v2, v3
.LBB273_443:
	s_and_not1_saveexec_b32 s4, s4
	s_cbranch_execz .LBB273_453
; %bb.444:
	flat_load_u8 v2, v[10:11]
	s_mov_b32 s5, exec_lo
                                        ; implicit-def: $vgpr12
	s_wait_loadcnt_dscnt 0x0
	v_cvt_f32_ubyte0_e32 v2, v2
	s_wait_xcnt 0x0
	s_delay_alu instid0(VALU_DEP_1)
	v_cmpx_gt_u32_e32 0x43f00000, v2
	s_xor_b32 s5, exec_lo, s5
	s_cbranch_execz .LBB273_450
; %bb.445:
	s_mov_b32 s6, exec_lo
                                        ; implicit-def: $vgpr12
	v_cmpx_lt_u32_e32 0x3c7fffff, v2
	s_xor_b32 s6, exec_lo, s6
; %bb.446:
	v_bfe_u32 v3, v2, 20, 1
	s_delay_alu instid0(VALU_DEP_1) | instskip(NEXT) | instid1(VALU_DEP_1)
	v_add3_u32 v2, v2, v3, 0x407ffff
	v_and_b32_e32 v3, 0xff00000, v2
	v_lshrrev_b32_e32 v2, 20, v2
	s_delay_alu instid0(VALU_DEP_2) | instskip(NEXT) | instid1(VALU_DEP_2)
	v_cmp_ne_u32_e32 vcc_lo, 0x7f00000, v3
	v_cndmask_b32_e32 v12, 0x7e, v2, vcc_lo
                                        ; implicit-def: $vgpr2
; %bb.447:
	s_and_not1_saveexec_b32 s6, s6
; %bb.448:
	v_add_f32_e32 v12, 0x46800000, v2
; %bb.449:
	s_or_b32 exec_lo, exec_lo, s6
                                        ; implicit-def: $vgpr2
.LBB273_450:
	s_and_not1_saveexec_b32 s5, s5
; %bb.451:
	v_mov_b32_e32 v3, 0x7f
	v_cmp_lt_u32_e32 vcc_lo, 0x7f800000, v2
	s_delay_alu instid0(VALU_DEP_2)
	v_cndmask_b32_e32 v12, 0x7e, v3, vcc_lo
; %bb.452:
	s_or_b32 exec_lo, exec_lo, s5
.LBB273_453:
	s_delay_alu instid0(SALU_CYCLE_1)
	s_or_b32 exec_lo, exec_lo, s4
.LBB273_454:
	s_delay_alu instid0(SALU_CYCLE_1)
	s_or_b32 exec_lo, exec_lo, s3
.LBB273_455:
	s_delay_alu instid0(SALU_CYCLE_1) | instskip(NEXT) | instid1(SALU_CYCLE_1)
	s_or_b32 exec_lo, exec_lo, s1
	s_or_b32 s2, s2, exec_lo
	s_or_b32 exec_lo, exec_lo, s0
                                        ; implicit-def: $sgpr1
	s_and_saveexec_b32 s0, s2
	s_cbranch_execnz .LBB273_323
.LBB273_456:
	s_or_b32 exec_lo, exec_lo, s0
	v_cndmask_b32_e64 v0, 0, 1, s1
	s_wait_loadcnt_dscnt 0x0
	s_set_pc_i64 s[30:31]
.LBB273_457:
	s_and_not1_saveexec_b32 s2, s2
	s_cbranch_execz .LBB273_83
.LBB273_458:
	s_mov_b32 s5, s3
	s_mov_b32 s0, exec_lo
                                        ; implicit-def: $vgpr1
	v_cmpx_lt_i16_e32 22, v6
	s_xor_b32 s0, exec_lo, s0
	s_cbranch_execz .LBB273_490
; %bb.459:
	s_mov_b32 s5, exec_lo
                                        ; implicit-def: $vgpr1
	v_cmpx_lt_i16_e32 23, v6
	s_xor_b32 s5, exec_lo, s5
	s_cbranch_execz .LBB273_479
; %bb.460:
	;; [unrolled: 6-line block ×3, first 2 shown]
	flat_load_u8 v6, v[10:11]
	s_mov_b32 s7, 0
	s_mov_b32 s8, exec_lo
	s_wait_loadcnt_dscnt 0x0
	v_cmpx_lt_i16_e32 0x7f, v6
	s_xor_b32 s8, exec_lo, s8
	s_cbranch_execz .LBB273_563
; %bb.462:
	s_mov_b32 s7, -1
	s_mov_b32 s9, exec_lo
	v_cmpx_eq_u16_e32 0x80, v6
; %bb.463:
	s_xor_b32 s7, exec_lo, -1
; %bb.464:
	s_or_b32 exec_lo, exec_lo, s9
	s_delay_alu instid0(SALU_CYCLE_1)
	s_and_b32 s7, s7, exec_lo
	s_or_saveexec_b32 s8, s8
	v_mov_b32_e32 v1, 0x7f800001
	s_xor_b32 exec_lo, exec_lo, s8
	s_cbranch_execnz .LBB273_564
.LBB273_465:
	s_or_b32 exec_lo, exec_lo, s8
	s_and_saveexec_b32 s8, s7
	s_cbranch_execz .LBB273_467
.LBB273_466:
	v_and_b32_e32 v1, 0xffff, v6
	s_delay_alu instid0(VALU_DEP_1) | instskip(SKIP_1) | instid1(VALU_DEP_2)
	v_dual_lshlrev_b32 v6, 24, v6 :: v_dual_bitop2_b32 v12, 3, v1 bitop3:0x40
	v_bfe_u32 v15, v1, 2, 5
	v_and_b32_e32 v6, 0x80000000, v6
	s_delay_alu instid0(VALU_DEP_3) | instskip(NEXT) | instid1(VALU_DEP_3)
	v_clz_i32_u32_e32 v13, v12
	v_cmp_eq_u32_e32 vcc_lo, 0, v15
	s_delay_alu instid0(VALU_DEP_2) | instskip(NEXT) | instid1(VALU_DEP_1)
	v_min_u32_e32 v13, 32, v13
	v_subrev_nc_u32_e32 v14, 29, v13
	v_sub_nc_u32_e32 v13, 30, v13
	s_delay_alu instid0(VALU_DEP_2) | instskip(NEXT) | instid1(VALU_DEP_2)
	v_lshlrev_b32_e32 v1, v14, v1
	v_cndmask_b32_e32 v13, v15, v13, vcc_lo
	s_delay_alu instid0(VALU_DEP_2) | instskip(NEXT) | instid1(VALU_DEP_1)
	v_and_b32_e32 v1, 3, v1
	v_cndmask_b32_e32 v1, v12, v1, vcc_lo
	s_delay_alu instid0(VALU_DEP_3) | instskip(NEXT) | instid1(VALU_DEP_2)
	v_lshl_add_u32 v12, v13, 23, 0x37800000
	v_lshlrev_b32_e32 v1, 21, v1
	s_delay_alu instid0(VALU_DEP_1)
	v_or3_b32 v1, v6, v12, v1
.LBB273_467:
	s_or_b32 exec_lo, exec_lo, s8
	s_delay_alu instid0(VALU_DEP_1) | instskip(SKIP_1) | instid1(VALU_DEP_1)
	v_and_b32_e32 v12, 0x7fffffff, v1
	s_mov_b32 s7, exec_lo
                                        ; implicit-def: $vgpr6
	v_cmpx_gt_u32_e32 0x43f00000, v12
	s_xor_b32 s7, exec_lo, s7
	s_cbranch_execz .LBB273_473
; %bb.468:
	s_mov_b32 s8, exec_lo
                                        ; implicit-def: $vgpr6
	v_cmpx_lt_u32_e32 0x3c7fffff, v12
	s_xor_b32 s8, exec_lo, s8
; %bb.469:
	v_bfe_u32 v6, v1, 20, 1
	s_delay_alu instid0(VALU_DEP_1) | instskip(NEXT) | instid1(VALU_DEP_1)
	v_add3_u32 v6, v1, v6, 0x407ffff
	v_and_b32_e32 v12, 0xff00000, v6
	v_lshrrev_b32_e32 v6, 20, v6
	s_delay_alu instid0(VALU_DEP_2) | instskip(NEXT) | instid1(VALU_DEP_2)
	v_cmp_ne_u32_e32 vcc_lo, 0x7f00000, v12
	v_cndmask_b32_e32 v6, 0x7e, v6, vcc_lo
; %bb.470:
	s_and_not1_saveexec_b32 s8, s8
; %bb.471:
	v_add_f32_e64 v6, 0x46800000, |v1|
; %bb.472:
	s_or_b32 exec_lo, exec_lo, s8
                                        ; implicit-def: $vgpr12
.LBB273_473:
	s_and_not1_saveexec_b32 s7, s7
; %bb.474:
	v_mov_b32_e32 v6, 0x7f
	v_cmp_lt_u32_e32 vcc_lo, 0x7f800000, v12
	s_delay_alu instid0(VALU_DEP_2)
	v_cndmask_b32_e32 v6, 0x7e, v6, vcc_lo
; %bb.475:
	s_or_b32 exec_lo, exec_lo, s7
	v_lshrrev_b32_e32 v1, 24, v1
	s_delay_alu instid0(VALU_DEP_1)
	v_and_or_b32 v1, 0x80, v1, v6
.LBB273_476:
	s_and_not1_saveexec_b32 s6, s6
	s_cbranch_execz .LBB273_478
; %bb.477:
	flat_load_u8 v1, v[10:11]
.LBB273_478:
	s_wait_xcnt 0x0
	s_or_b32 exec_lo, exec_lo, s6
.LBB273_479:
	s_and_not1_saveexec_b32 s5, s5
	s_cbranch_execz .LBB273_489
; %bb.480:
	s_wait_loadcnt_dscnt 0x0
	flat_load_u8 v1, v[10:11]
	s_mov_b32 s6, exec_lo
	s_wait_loadcnt_dscnt 0x0
	v_lshlrev_b32_e32 v6, 25, v1
	v_lshlrev_b16 v1, 8, v1
	s_delay_alu instid0(VALU_DEP_2) | instskip(NEXT) | instid1(VALU_DEP_2)
	v_cmp_gt_u32_e32 vcc_lo, 0x8000000, v6
	v_and_or_b32 v13, 0x7f00, v1, 0.5
	v_lshrrev_b32_e32 v12, 4, v6
	v_bfe_i32 v1, v1, 0, 16
                                        ; implicit-def: $vgpr6
	s_delay_alu instid0(VALU_DEP_3) | instskip(NEXT) | instid1(VALU_DEP_3)
	v_add_f32_e32 v13, -0.5, v13
	v_or_b32_e32 v12, 0x70000000, v12
	s_delay_alu instid0(VALU_DEP_1) | instskip(NEXT) | instid1(VALU_DEP_1)
	v_mul_f32_e32 v12, 0x7800000, v12
	v_cndmask_b32_e32 v13, v12, v13, vcc_lo
	s_delay_alu instid0(VALU_DEP_1) | instskip(NEXT) | instid1(VALU_DEP_1)
	v_and_or_b32 v1, 0x80000000, v1, v13
	v_and_b32_e32 v12, 0x7fffffff, v1
	s_wait_xcnt 0x0
	s_delay_alu instid0(VALU_DEP_1)
	v_cmpx_gt_u32_e32 0x43f00000, v12
	s_xor_b32 s6, exec_lo, s6
	s_cbranch_execz .LBB273_486
; %bb.481:
	s_mov_b32 s7, exec_lo
                                        ; implicit-def: $vgpr6
	v_cmpx_lt_u32_e32 0x3c7fffff, v12
	s_xor_b32 s7, exec_lo, s7
; %bb.482:
	v_bfe_u32 v6, v13, 20, 1
	s_delay_alu instid0(VALU_DEP_1) | instskip(NEXT) | instid1(VALU_DEP_1)
	v_add3_u32 v6, v1, v6, 0x407ffff
	v_and_b32_e32 v12, 0xff00000, v6
	v_lshrrev_b32_e32 v6, 20, v6
	s_delay_alu instid0(VALU_DEP_2) | instskip(NEXT) | instid1(VALU_DEP_2)
	v_cmp_ne_u32_e32 vcc_lo, 0x7f00000, v12
	v_cndmask_b32_e32 v6, 0x7e, v6, vcc_lo
; %bb.483:
	s_and_not1_saveexec_b32 s7, s7
; %bb.484:
	v_add_f32_e64 v6, 0x46800000, |v1|
; %bb.485:
	s_or_b32 exec_lo, exec_lo, s7
                                        ; implicit-def: $vgpr12
.LBB273_486:
	s_and_not1_saveexec_b32 s6, s6
; %bb.487:
	v_mov_b32_e32 v6, 0x7f
	v_cmp_lt_u32_e32 vcc_lo, 0x7f800000, v12
	s_delay_alu instid0(VALU_DEP_2)
	v_cndmask_b32_e32 v6, 0x7e, v6, vcc_lo
; %bb.488:
	s_or_b32 exec_lo, exec_lo, s6
	v_lshrrev_b32_e32 v1, 24, v1
	s_delay_alu instid0(VALU_DEP_1)
	v_and_or_b32 v1, 0x80, v1, v6
.LBB273_489:
	s_or_b32 exec_lo, exec_lo, s5
	s_delay_alu instid0(SALU_CYCLE_1)
	s_or_b32 s5, s3, exec_lo
                                        ; implicit-def: $vgpr6
.LBB273_490:
	s_or_saveexec_b32 s0, s0
	s_mov_b32 s6, 0
	s_mov_b32 s7, s4
	s_xor_b32 exec_lo, exec_lo, s0
	s_cbranch_execz .LBB273_506
; %bb.491:
	s_mov_b32 s7, s4
	s_mov_b32 s8, s5
	s_mov_b32 s6, exec_lo
                                        ; implicit-def: $vgpr1
	v_cmpx_lt_i16_e32 14, v6
	s_xor_b32 s6, exec_lo, s6
	s_cbranch_execz .LBB273_503
; %bb.492:
	s_mov_b32 s8, -1
	s_mov_b32 s9, s5
	s_mov_b32 s7, exec_lo
                                        ; implicit-def: $vgpr1
	v_cmpx_eq_u16_e32 15, v6
	s_cbranch_execz .LBB273_502
; %bb.493:
	s_wait_loadcnt_dscnt 0x0
	flat_load_u16 v1, v[10:11]
	s_mov_b32 s8, exec_lo
                                        ; implicit-def: $vgpr6
	s_wait_loadcnt_dscnt 0x0
	v_lshlrev_b32_e32 v12, 16, v1
	s_delay_alu instid0(VALU_DEP_1) | instskip(SKIP_1) | instid1(VALU_DEP_1)
	v_and_b32_e32 v13, 0x7fffffff, v12
	s_wait_xcnt 0x0
	v_cmpx_gt_u32_e32 0x43f00000, v13
	s_xor_b32 s8, exec_lo, s8
	s_cbranch_execz .LBB273_499
; %bb.494:
	s_mov_b32 s9, exec_lo
                                        ; implicit-def: $vgpr6
	v_cmpx_lt_u32_e32 0x3c7fffff, v13
	s_xor_b32 s9, exec_lo, s9
; %bb.495:
	v_bfe_u32 v6, v1, 4, 1
	s_delay_alu instid0(VALU_DEP_1) | instskip(NEXT) | instid1(VALU_DEP_1)
	v_add3_u32 v6, v12, v6, 0x407ffff
	v_and_b32_e32 v12, 0xff00000, v6
	v_lshrrev_b32_e32 v6, 20, v6
	s_delay_alu instid0(VALU_DEP_2) | instskip(NEXT) | instid1(VALU_DEP_2)
	v_cmp_ne_u32_e32 vcc_lo, 0x7f00000, v12
                                        ; implicit-def: $vgpr12
	v_cndmask_b32_e32 v6, 0x7e, v6, vcc_lo
; %bb.496:
	s_and_not1_saveexec_b32 s9, s9
; %bb.497:
	v_add_f32_e64 v6, 0x46800000, |v12|
; %bb.498:
	s_or_b32 exec_lo, exec_lo, s9
                                        ; implicit-def: $vgpr13
.LBB273_499:
	s_and_not1_saveexec_b32 s8, s8
; %bb.500:
	v_mov_b32_e32 v6, 0x7f
	v_cmp_lt_u32_e32 vcc_lo, 0x7f800000, v13
	s_delay_alu instid0(VALU_DEP_2)
	v_cndmask_b32_e32 v6, 0x7e, v6, vcc_lo
; %bb.501:
	s_or_b32 exec_lo, exec_lo, s8
	v_lshrrev_b32_e32 v1, 8, v1
	s_or_b32 s9, s5, exec_lo
	s_xor_b32 s8, exec_lo, -1
	s_delay_alu instid0(VALU_DEP_1)
	v_and_or_b32 v1, 0x80, v1, v6
.LBB273_502:
	s_or_b32 exec_lo, exec_lo, s7
	s_delay_alu instid0(SALU_CYCLE_1)
	s_and_not1_b32 s7, s5, exec_lo
	s_and_b32 s9, s9, exec_lo
	s_and_not1_b32 s10, s4, exec_lo
	s_and_b32 s11, s8, exec_lo
	s_or_b32 s8, s7, s9
	s_or_b32 s7, s10, s11
                                        ; implicit-def: $vgpr6
.LBB273_503:
	s_or_saveexec_b32 s6, s6
	s_mov_b32 s9, 0
	s_xor_b32 exec_lo, exec_lo, s6
; %bb.504:
	v_cmp_ne_u16_e32 vcc_lo, 11, v6
	s_and_not1_b32 s7, s7, exec_lo
	s_mov_b32 s9, exec_lo
	s_and_b32 s10, vcc_lo, exec_lo
	s_delay_alu instid0(SALU_CYCLE_1)
	s_or_b32 s7, s7, s10
; %bb.505:
	s_or_b32 exec_lo, exec_lo, s6
	s_delay_alu instid0(SALU_CYCLE_1)
	s_and_not1_b32 s5, s5, exec_lo
	s_and_b32 s6, s8, exec_lo
	s_and_not1_b32 s8, s4, exec_lo
	s_and_b32 s7, s7, exec_lo
	s_or_b32 s5, s5, s6
	s_and_b32 s6, s9, exec_lo
	s_or_b32 s7, s8, s7
.LBB273_506:
	s_or_b32 exec_lo, exec_lo, s0
	s_delay_alu instid0(SALU_CYCLE_1)
	s_and_not1_b32 s0, s3, exec_lo
	s_and_b32 s3, s5, exec_lo
	s_and_not1_b32 s4, s4, exec_lo
	s_and_b32 s5, s7, exec_lo
	s_or_b32 s3, s0, s3
	s_and_b32 s0, s6, exec_lo
	s_or_b32 s4, s4, s5
	s_or_b32 exec_lo, exec_lo, s2
	s_mov_b32 s2, 0
	s_and_saveexec_b32 s5, s4
	s_cbranch_execz .LBB273_84
.LBB273_507:
	s_mov_b32 s2, exec_lo
	s_and_not1_b32 s0, s0, exec_lo
	s_trap 2
	s_or_b32 exec_lo, exec_lo, s5
	s_and_saveexec_b32 s4, s0
	s_cbranch_execnz .LBB273_85
	s_branch .LBB273_94
.LBB273_508:
	s_and_not1_saveexec_b32 s4, s4
	s_cbranch_execz .LBB273_309
.LBB273_509:
	s_mov_b32 s7, s5
	s_mov_b32 s3, exec_lo
                                        ; implicit-def: $vgpr12
	v_cmpx_lt_i16_e32 22, v6
	s_xor_b32 s3, exec_lo, s3
	s_cbranch_execz .LBB273_541
; %bb.510:
	s_mov_b32 s7, exec_lo
                                        ; implicit-def: $vgpr12
	v_cmpx_lt_i16_e32 23, v6
	s_xor_b32 s7, exec_lo, s7
	s_cbranch_execz .LBB273_530
; %bb.511:
	;; [unrolled: 6-line block ×3, first 2 shown]
	flat_load_u8 v3, v[10:11]
	s_mov_b32 s9, 0
	s_mov_b32 s10, exec_lo
	s_wait_loadcnt_dscnt 0x0
	v_cmpx_lt_i16_e32 0x7f, v3
	s_xor_b32 s10, exec_lo, s10
	s_cbranch_execz .LBB273_565
; %bb.513:
	s_mov_b32 s9, -1
	s_mov_b32 s11, exec_lo
	v_cmpx_eq_u16_e32 0x80, v3
; %bb.514:
	s_xor_b32 s9, exec_lo, -1
; %bb.515:
	s_or_b32 exec_lo, exec_lo, s11
	s_delay_alu instid0(SALU_CYCLE_1)
	s_and_b32 s9, s9, exec_lo
	s_or_saveexec_b32 s10, s10
	v_mov_b32_e32 v2, 0x7f800001
	s_xor_b32 exec_lo, exec_lo, s10
	s_cbranch_execnz .LBB273_566
.LBB273_516:
	s_or_b32 exec_lo, exec_lo, s10
	s_and_saveexec_b32 s10, s9
	s_cbranch_execz .LBB273_518
.LBB273_517:
	v_and_b32_e32 v2, 0xffff, v3
	s_delay_alu instid0(VALU_DEP_1) | instskip(SKIP_1) | instid1(VALU_DEP_2)
	v_and_b32_e32 v4, 3, v2
	v_bfe_u32 v8, v2, 2, 5
	v_clz_i32_u32_e32 v5, v4
	s_delay_alu instid0(VALU_DEP_2) | instskip(NEXT) | instid1(VALU_DEP_2)
	v_cmp_eq_u32_e32 vcc_lo, 0, v8
	v_min_u32_e32 v5, 32, v5
	s_delay_alu instid0(VALU_DEP_1) | instskip(NEXT) | instid1(VALU_DEP_1)
	v_subrev_nc_u32_e32 v7, 29, v5
	v_dual_lshlrev_b32 v2, v7, v2 :: v_dual_sub_nc_u32 v5, 30, v5
	s_delay_alu instid0(VALU_DEP_1) | instskip(NEXT) | instid1(VALU_DEP_2)
	v_dual_lshlrev_b32 v3, 24, v3 :: v_dual_bitop2_b32 v2, 3, v2 bitop3:0x40
	v_cndmask_b32_e32 v5, v8, v5, vcc_lo
	s_delay_alu instid0(VALU_DEP_2) | instskip(NEXT) | instid1(VALU_DEP_3)
	v_cndmask_b32_e32 v2, v4, v2, vcc_lo
	v_and_b32_e32 v3, 0x80000000, v3
	s_delay_alu instid0(VALU_DEP_3) | instskip(NEXT) | instid1(VALU_DEP_3)
	v_lshl_add_u32 v4, v5, 23, 0x37800000
	v_lshlrev_b32_e32 v2, 21, v2
	s_delay_alu instid0(VALU_DEP_1)
	v_or3_b32 v2, v3, v4, v2
.LBB273_518:
	s_or_b32 exec_lo, exec_lo, s10
	s_delay_alu instid0(VALU_DEP_1) | instskip(SKIP_1) | instid1(VALU_DEP_1)
	v_and_b32_e32 v4, 0x7fffffff, v2
	s_mov_b32 s9, exec_lo
                                        ; implicit-def: $vgpr3
	v_cmpx_gt_u32_e32 0x43f00000, v4
	s_xor_b32 s9, exec_lo, s9
	s_cbranch_execz .LBB273_524
; %bb.519:
	s_mov_b32 s10, exec_lo
                                        ; implicit-def: $vgpr3
	v_cmpx_lt_u32_e32 0x3c7fffff, v4
	s_xor_b32 s10, exec_lo, s10
; %bb.520:
	v_bfe_u32 v3, v2, 20, 1
	s_delay_alu instid0(VALU_DEP_1) | instskip(NEXT) | instid1(VALU_DEP_1)
	v_add3_u32 v3, v2, v3, 0x407ffff
	v_and_b32_e32 v4, 0xff00000, v3
	v_lshrrev_b32_e32 v3, 20, v3
	s_delay_alu instid0(VALU_DEP_2) | instskip(NEXT) | instid1(VALU_DEP_2)
	v_cmp_ne_u32_e32 vcc_lo, 0x7f00000, v4
	v_cndmask_b32_e32 v3, 0x7e, v3, vcc_lo
; %bb.521:
	s_and_not1_saveexec_b32 s10, s10
; %bb.522:
	v_add_f32_e64 v3, 0x46800000, |v2|
; %bb.523:
	s_or_b32 exec_lo, exec_lo, s10
                                        ; implicit-def: $vgpr4
.LBB273_524:
	s_and_not1_saveexec_b32 s9, s9
; %bb.525:
	v_mov_b32_e32 v3, 0x7f
	v_cmp_lt_u32_e32 vcc_lo, 0x7f800000, v4
	s_delay_alu instid0(VALU_DEP_2)
	v_cndmask_b32_e32 v3, 0x7e, v3, vcc_lo
; %bb.526:
	s_or_b32 exec_lo, exec_lo, s9
	v_lshrrev_b32_e32 v2, 24, v2
	s_delay_alu instid0(VALU_DEP_1)
	v_and_or_b32 v12, 0x80, v2, v3
.LBB273_527:
	s_and_not1_saveexec_b32 s8, s8
	s_cbranch_execz .LBB273_529
; %bb.528:
	flat_load_u8 v12, v[10:11]
.LBB273_529:
	s_wait_xcnt 0x0
	s_or_b32 exec_lo, exec_lo, s8
.LBB273_530:
	s_and_not1_saveexec_b32 s7, s7
	s_cbranch_execz .LBB273_540
; %bb.531:
	flat_load_u8 v2, v[10:11]
	s_mov_b32 s8, exec_lo
	s_wait_loadcnt_dscnt 0x0
	v_lshlrev_b32_e32 v3, 25, v2
	v_lshlrev_b16 v2, 8, v2
	s_delay_alu instid0(VALU_DEP_1) | instskip(SKIP_1) | instid1(VALU_DEP_2)
	v_and_or_b32 v5, 0x7f00, v2, 0.5
	v_bfe_i32 v2, v2, 0, 16
	v_dual_add_f32 v5, -0.5, v5 :: v_dual_lshrrev_b32 v4, 4, v3
	v_cmp_gt_u32_e32 vcc_lo, 0x8000000, v3
                                        ; implicit-def: $vgpr3
	s_delay_alu instid0(VALU_DEP_2) | instskip(NEXT) | instid1(VALU_DEP_1)
	v_or_b32_e32 v4, 0x70000000, v4
	v_mul_f32_e32 v4, 0x7800000, v4
	s_delay_alu instid0(VALU_DEP_1) | instskip(NEXT) | instid1(VALU_DEP_1)
	v_cndmask_b32_e32 v5, v4, v5, vcc_lo
	v_and_or_b32 v2, 0x80000000, v2, v5
	s_delay_alu instid0(VALU_DEP_1) | instskip(SKIP_1) | instid1(VALU_DEP_1)
	v_and_b32_e32 v4, 0x7fffffff, v2
	s_wait_xcnt 0x0
	v_cmpx_gt_u32_e32 0x43f00000, v4
	s_xor_b32 s8, exec_lo, s8
	s_cbranch_execz .LBB273_537
; %bb.532:
	s_mov_b32 s9, exec_lo
                                        ; implicit-def: $vgpr3
	v_cmpx_lt_u32_e32 0x3c7fffff, v4
	s_xor_b32 s9, exec_lo, s9
; %bb.533:
	v_bfe_u32 v3, v5, 20, 1
	s_delay_alu instid0(VALU_DEP_1) | instskip(NEXT) | instid1(VALU_DEP_1)
	v_add3_u32 v3, v2, v3, 0x407ffff
	v_and_b32_e32 v4, 0xff00000, v3
	v_lshrrev_b32_e32 v3, 20, v3
	s_delay_alu instid0(VALU_DEP_2) | instskip(NEXT) | instid1(VALU_DEP_2)
	v_cmp_ne_u32_e32 vcc_lo, 0x7f00000, v4
	v_cndmask_b32_e32 v3, 0x7e, v3, vcc_lo
; %bb.534:
	s_and_not1_saveexec_b32 s9, s9
; %bb.535:
	v_add_f32_e64 v3, 0x46800000, |v2|
; %bb.536:
	s_or_b32 exec_lo, exec_lo, s9
                                        ; implicit-def: $vgpr4
.LBB273_537:
	s_and_not1_saveexec_b32 s8, s8
; %bb.538:
	v_mov_b32_e32 v3, 0x7f
	v_cmp_lt_u32_e32 vcc_lo, 0x7f800000, v4
	s_delay_alu instid0(VALU_DEP_2)
	v_cndmask_b32_e32 v3, 0x7e, v3, vcc_lo
; %bb.539:
	s_or_b32 exec_lo, exec_lo, s8
	v_lshrrev_b32_e32 v2, 24, v2
	s_delay_alu instid0(VALU_DEP_1)
	v_and_or_b32 v12, 0x80, v2, v3
.LBB273_540:
	s_or_b32 exec_lo, exec_lo, s7
	s_delay_alu instid0(SALU_CYCLE_1)
	s_or_b32 s7, s5, exec_lo
.LBB273_541:
	s_or_saveexec_b32 s3, s3
	s_mov_b32 s8, 0
	s_mov_b32 s9, s6
	s_xor_b32 exec_lo, exec_lo, s3
	s_cbranch_execz .LBB273_557
; %bb.542:
	s_mov_b32 s9, s6
	s_mov_b32 s10, s7
	s_mov_b32 s8, exec_lo
                                        ; implicit-def: $vgpr12
	v_cmpx_lt_i16_e32 14, v6
	s_xor_b32 s8, exec_lo, s8
	s_cbranch_execz .LBB273_554
; %bb.543:
	s_mov_b32 s10, -1
	s_mov_b32 s11, s7
	s_mov_b32 s9, exec_lo
                                        ; implicit-def: $vgpr12
	v_cmpx_eq_u16_e32 15, v6
	s_cbranch_execz .LBB273_553
; %bb.544:
	flat_load_u16 v2, v[10:11]
	s_mov_b32 s10, exec_lo
                                        ; implicit-def: $vgpr3
	s_wait_loadcnt_dscnt 0x0
	v_lshlrev_b32_e32 v4, 16, v2
	s_delay_alu instid0(VALU_DEP_1) | instskip(SKIP_1) | instid1(VALU_DEP_1)
	v_and_b32_e32 v5, 0x7fffffff, v4
	s_wait_xcnt 0x0
	v_cmpx_gt_u32_e32 0x43f00000, v5
	s_xor_b32 s10, exec_lo, s10
	s_cbranch_execz .LBB273_550
; %bb.545:
	s_mov_b32 s11, exec_lo
                                        ; implicit-def: $vgpr3
	v_cmpx_lt_u32_e32 0x3c7fffff, v5
	s_xor_b32 s11, exec_lo, s11
; %bb.546:
	v_bfe_u32 v3, v2, 4, 1
	s_delay_alu instid0(VALU_DEP_1) | instskip(NEXT) | instid1(VALU_DEP_1)
	v_add3_u32 v3, v4, v3, 0x407ffff
	v_and_b32_e32 v4, 0xff00000, v3
	v_lshrrev_b32_e32 v3, 20, v3
	s_delay_alu instid0(VALU_DEP_2) | instskip(NEXT) | instid1(VALU_DEP_2)
	v_cmp_ne_u32_e32 vcc_lo, 0x7f00000, v4
                                        ; implicit-def: $vgpr4
	v_cndmask_b32_e32 v3, 0x7e, v3, vcc_lo
; %bb.547:
	s_and_not1_saveexec_b32 s11, s11
; %bb.548:
	v_add_f32_e64 v3, 0x46800000, |v4|
; %bb.549:
	s_or_b32 exec_lo, exec_lo, s11
                                        ; implicit-def: $vgpr5
.LBB273_550:
	s_and_not1_saveexec_b32 s10, s10
; %bb.551:
	v_mov_b32_e32 v3, 0x7f
	v_cmp_lt_u32_e32 vcc_lo, 0x7f800000, v5
	s_delay_alu instid0(VALU_DEP_2)
	v_cndmask_b32_e32 v3, 0x7e, v3, vcc_lo
; %bb.552:
	s_or_b32 exec_lo, exec_lo, s10
	v_lshrrev_b32_e32 v2, 8, v2
	s_or_b32 s11, s7, exec_lo
	s_xor_b32 s10, exec_lo, -1
	s_delay_alu instid0(VALU_DEP_1)
	v_and_or_b32 v12, 0x80, v2, v3
.LBB273_553:
	s_or_b32 exec_lo, exec_lo, s9
	s_delay_alu instid0(SALU_CYCLE_1)
	s_and_not1_b32 s9, s7, exec_lo
	s_and_b32 s11, s11, exec_lo
	s_and_not1_b32 s12, s6, exec_lo
	s_and_b32 s13, s10, exec_lo
	s_or_b32 s10, s9, s11
	s_or_b32 s9, s12, s13
.LBB273_554:
	s_or_saveexec_b32 s11, s8
	s_mov_b32 s8, 0
	s_xor_b32 exec_lo, exec_lo, s11
; %bb.555:
	v_cmp_ne_u16_e32 vcc_lo, 11, v6
	s_and_not1_b32 s9, s9, exec_lo
	s_mov_b32 s8, exec_lo
	s_and_b32 s12, vcc_lo, exec_lo
	s_delay_alu instid0(SALU_CYCLE_1)
	s_or_b32 s9, s9, s12
; %bb.556:
	s_or_b32 exec_lo, exec_lo, s11
	s_delay_alu instid0(SALU_CYCLE_1)
	s_and_not1_b32 s7, s7, exec_lo
	s_and_b32 s10, s10, exec_lo
	s_and_b32 s9, s9, exec_lo
	s_or_b32 s7, s7, s10
	s_and_not1_b32 s10, s6, exec_lo
	s_and_b32 s8, s8, exec_lo
	s_or_b32 s9, s10, s9
.LBB273_557:
	s_or_b32 exec_lo, exec_lo, s3
	s_delay_alu instid0(SALU_CYCLE_1)
	s_and_not1_b32 s3, s5, exec_lo
	s_and_b32 s5, s7, exec_lo
	s_and_not1_b32 s6, s6, exec_lo
	s_and_b32 s7, s9, exec_lo
	s_or_b32 s5, s3, s5
	s_and_b32 s3, s8, exec_lo
	s_or_b32 s6, s6, s7
	s_or_b32 exec_lo, exec_lo, s4
	s_mov_b32 s7, s0
	s_and_saveexec_b32 s4, s6
	s_cbranch_execz .LBB273_310
.LBB273_558:
	s_and_not1_b32 s3, s3, exec_lo
	s_or_b32 s7, s0, exec_lo
	s_trap 2
	s_branch .LBB273_310
.LBB273_559:
	s_or_saveexec_b32 s8, s8
	v_mov_b32_e32 v1, 0x7f800001
	s_xor_b32 exec_lo, exec_lo, s8
	s_cbranch_execz .LBB273_70
.LBB273_560:
	v_cmp_ne_u16_e32 vcc_lo, 0, v6
	v_mov_b32_e32 v1, 0
	s_and_not1_b32 s7, s7, exec_lo
	s_and_b32 s9, vcc_lo, exec_lo
	s_delay_alu instid0(SALU_CYCLE_1)
	s_or_b32 s7, s7, s9
	s_or_b32 exec_lo, exec_lo, s8
	s_and_saveexec_b32 s8, s7
	s_cbranch_execnz .LBB273_71
	s_branch .LBB273_72
.LBB273_561:
	s_or_saveexec_b32 s10, s10
	v_mov_b32_e32 v2, 0x7f800001
	s_xor_b32 exec_lo, exec_lo, s10
	s_cbranch_execz .LBB273_296
.LBB273_562:
	v_cmp_ne_u16_e32 vcc_lo, 0, v3
	v_mov_b32_e32 v2, 0
	s_and_not1_b32 s9, s9, exec_lo
	s_and_b32 s11, vcc_lo, exec_lo
	s_delay_alu instid0(SALU_CYCLE_1)
	s_or_b32 s9, s9, s11
	s_or_b32 exec_lo, exec_lo, s10
	s_and_saveexec_b32 s10, s9
	s_cbranch_execnz .LBB273_297
	s_branch .LBB273_298
.LBB273_563:
	s_or_saveexec_b32 s8, s8
	v_mov_b32_e32 v1, 0x7f800001
	s_xor_b32 exec_lo, exec_lo, s8
	s_cbranch_execz .LBB273_465
.LBB273_564:
	v_cmp_ne_u16_e32 vcc_lo, 0, v6
	v_mov_b32_e32 v1, 0
	s_and_not1_b32 s7, s7, exec_lo
	s_and_b32 s9, vcc_lo, exec_lo
	s_delay_alu instid0(SALU_CYCLE_1)
	s_or_b32 s7, s7, s9
	s_or_b32 exec_lo, exec_lo, s8
	s_and_saveexec_b32 s8, s7
	s_cbranch_execnz .LBB273_466
	s_branch .LBB273_467
.LBB273_565:
	s_or_saveexec_b32 s10, s10
	v_mov_b32_e32 v2, 0x7f800001
	s_xor_b32 exec_lo, exec_lo, s10
	s_cbranch_execz .LBB273_516
.LBB273_566:
	v_cmp_ne_u16_e32 vcc_lo, 0, v3
	v_mov_b32_e32 v2, 0
	s_and_not1_b32 s9, s9, exec_lo
	s_and_b32 s11, vcc_lo, exec_lo
	s_delay_alu instid0(SALU_CYCLE_1)
	s_or_b32 s9, s9, s11
	s_or_b32 exec_lo, exec_lo, s10
	s_and_saveexec_b32 s10, s9
	s_cbranch_execnz .LBB273_517
	s_branch .LBB273_518
.Lfunc_end273:
	.size	_ZN2at6native6invokeINS0_13BinaryFunctorIN3c1013Float8_e4m3fnES4_bNS0_12_GLOBAL__N_116CompareEqFunctorIS4_EEEEi15function_traitsIS8_EEENT1_11result_typeERKT_PrKPcPKT0_PKNS3_10ScalarTypeEi, .Lfunc_end273-_ZN2at6native6invokeINS0_13BinaryFunctorIN3c1013Float8_e4m3fnES4_bNS0_12_GLOBAL__N_116CompareEqFunctorIS4_EEEEi15function_traitsIS8_EEENT1_11result_typeERKT_PrKPcPKT0_PKNS3_10ScalarTypeEi
                                        ; -- End function
	.set .L_ZN2at6native6invokeINS0_13BinaryFunctorIN3c1013Float8_e4m3fnES4_bNS0_12_GLOBAL__N_116CompareEqFunctorIS4_EEEEi15function_traitsIS8_EEENT1_11result_typeERKT_PrKPcPKT0_PKNS3_10ScalarTypeEi.num_vgpr, 16
	.set .L_ZN2at6native6invokeINS0_13BinaryFunctorIN3c1013Float8_e4m3fnES4_bNS0_12_GLOBAL__N_116CompareEqFunctorIS4_EEEEi15function_traitsIS8_EEENT1_11result_typeERKT_PrKPcPKT0_PKNS3_10ScalarTypeEi.num_agpr, 0
	.set .L_ZN2at6native6invokeINS0_13BinaryFunctorIN3c1013Float8_e4m3fnES4_bNS0_12_GLOBAL__N_116CompareEqFunctorIS4_EEEEi15function_traitsIS8_EEENT1_11result_typeERKT_PrKPcPKT0_PKNS3_10ScalarTypeEi.numbered_sgpr, 32
	.set .L_ZN2at6native6invokeINS0_13BinaryFunctorIN3c1013Float8_e4m3fnES4_bNS0_12_GLOBAL__N_116CompareEqFunctorIS4_EEEEi15function_traitsIS8_EEENT1_11result_typeERKT_PrKPcPKT0_PKNS3_10ScalarTypeEi.num_named_barrier, 0
	.set .L_ZN2at6native6invokeINS0_13BinaryFunctorIN3c1013Float8_e4m3fnES4_bNS0_12_GLOBAL__N_116CompareEqFunctorIS4_EEEEi15function_traitsIS8_EEENT1_11result_typeERKT_PrKPcPKT0_PKNS3_10ScalarTypeEi.private_seg_size, 0
	.set .L_ZN2at6native6invokeINS0_13BinaryFunctorIN3c1013Float8_e4m3fnES4_bNS0_12_GLOBAL__N_116CompareEqFunctorIS4_EEEEi15function_traitsIS8_EEENT1_11result_typeERKT_PrKPcPKT0_PKNS3_10ScalarTypeEi.uses_vcc, 1
	.set .L_ZN2at6native6invokeINS0_13BinaryFunctorIN3c1013Float8_e4m3fnES4_bNS0_12_GLOBAL__N_116CompareEqFunctorIS4_EEEEi15function_traitsIS8_EEENT1_11result_typeERKT_PrKPcPKT0_PKNS3_10ScalarTypeEi.uses_flat_scratch, 0
	.set .L_ZN2at6native6invokeINS0_13BinaryFunctorIN3c1013Float8_e4m3fnES4_bNS0_12_GLOBAL__N_116CompareEqFunctorIS4_EEEEi15function_traitsIS8_EEENT1_11result_typeERKT_PrKPcPKT0_PKNS3_10ScalarTypeEi.has_dyn_sized_stack, 0
	.set .L_ZN2at6native6invokeINS0_13BinaryFunctorIN3c1013Float8_e4m3fnES4_bNS0_12_GLOBAL__N_116CompareEqFunctorIS4_EEEEi15function_traitsIS8_EEENT1_11result_typeERKT_PrKPcPKT0_PKNS3_10ScalarTypeEi.has_recursion, 0
	.set .L_ZN2at6native6invokeINS0_13BinaryFunctorIN3c1013Float8_e4m3fnES4_bNS0_12_GLOBAL__N_116CompareEqFunctorIS4_EEEEi15function_traitsIS8_EEENT1_11result_typeERKT_PrKPcPKT0_PKNS3_10ScalarTypeEi.has_indirect_call, 0
	.section	.AMDGPU.csdata,"",@progbits
; Function info:
; codeLenInByte = 12712
; TotalNumSgprs: 34
; NumVgprs: 16
; ScratchSize: 0
; MemoryBound: 0
	.section	.text._ZN2at6native32elementwise_kernel_manual_unrollILi128ELi4EZNS0_15gpu_kernel_implINS0_13BinaryFunctorIN3c1013Float8_e4m3fnES5_bNS0_12_GLOBAL__N_116CompareEqFunctorIS5_EEEEEEvRNS_18TensorIteratorBaseERKT_EUlibE_EEviT1_,"axG",@progbits,_ZN2at6native32elementwise_kernel_manual_unrollILi128ELi4EZNS0_15gpu_kernel_implINS0_13BinaryFunctorIN3c1013Float8_e4m3fnES5_bNS0_12_GLOBAL__N_116CompareEqFunctorIS5_EEEEEEvRNS_18TensorIteratorBaseERKT_EUlibE_EEviT1_,comdat
	.globl	_ZN2at6native32elementwise_kernel_manual_unrollILi128ELi4EZNS0_15gpu_kernel_implINS0_13BinaryFunctorIN3c1013Float8_e4m3fnES5_bNS0_12_GLOBAL__N_116CompareEqFunctorIS5_EEEEEEvRNS_18TensorIteratorBaseERKT_EUlibE_EEviT1_ ; -- Begin function _ZN2at6native32elementwise_kernel_manual_unrollILi128ELi4EZNS0_15gpu_kernel_implINS0_13BinaryFunctorIN3c1013Float8_e4m3fnES5_bNS0_12_GLOBAL__N_116CompareEqFunctorIS5_EEEEEEvRNS_18TensorIteratorBaseERKT_EUlibE_EEviT1_
	.p2align	8
	.type	_ZN2at6native32elementwise_kernel_manual_unrollILi128ELi4EZNS0_15gpu_kernel_implINS0_13BinaryFunctorIN3c1013Float8_e4m3fnES5_bNS0_12_GLOBAL__N_116CompareEqFunctorIS5_EEEEEEvRNS_18TensorIteratorBaseERKT_EUlibE_EEviT1_,@function
_ZN2at6native32elementwise_kernel_manual_unrollILi128ELi4EZNS0_15gpu_kernel_implINS0_13BinaryFunctorIN3c1013Float8_e4m3fnES5_bNS0_12_GLOBAL__N_116CompareEqFunctorIS5_EEEEEEvRNS_18TensorIteratorBaseERKT_EUlibE_EEviT1_: ; @_ZN2at6native32elementwise_kernel_manual_unrollILi128ELi4EZNS0_15gpu_kernel_implINS0_13BinaryFunctorIN3c1013Float8_e4m3fnES5_bNS0_12_GLOBAL__N_116CompareEqFunctorIS5_EEEEEEvRNS_18TensorIteratorBaseERKT_EUlibE_EEviT1_
; %bb.0:
	s_clause 0x2
	s_load_b256 s[4:11], s[0:1], 0x8
	s_load_b128 s[12:15], s[0:1], 0x28
	s_load_b32 s17, s[0:1], 0x0
	s_bfe_u32 s2, ttmp6, 0x4000c
	s_wait_xcnt 0x0
	s_and_b32 s0, ttmp6, 15
	s_add_co_i32 s2, s2, 1
	s_mov_b32 s16, 0
	s_mul_i32 s1, ttmp9, s2
	s_getreg_b32 s2, hwreg(HW_REG_IB_STS2, 6, 4)
	s_add_co_i32 s0, s0, s1
	s_cmp_eq_u32 s2, 0
	s_mov_b32 s32, 64
	s_cselect_b32 s0, ttmp9, s0
	s_delay_alu instid0(SALU_CYCLE_1) | instskip(SKIP_2) | instid1(VALU_DEP_2)
	v_lshl_or_b32 v16, s0, 9, v0
	v_mbcnt_lo_u32_b32 v0, -1, 0
	s_mov_b32 s0, exec_lo
	v_or_b32_e32 v1, 0x180, v16
	s_wait_kmcnt 0x0
	v_mov_b64_e32 v[10:11], s[12:13]
	v_mov_b64_e32 v[2:3], s[4:5]
	;; [unrolled: 1-line block ×6, first 2 shown]
	s_mov_b32 s14, 0
	s_clause 0x2
	scratch_store_b128 off, v[2:5], off
	scratch_store_b128 off, v[6:9], off offset:16
	scratch_store_b128 off, v[10:13], off offset:32
	s_wait_xcnt 0x0
	v_cmpx_le_i32_e64 s17, v1
	s_xor_b32 s15, exec_lo, s0
	s_cbranch_execz .LBB274_394
; %bb.1:
	s_clause 0x3
	scratch_load_b64 v[18:19], off, off
	scratch_load_b32 v26, off, off offset:24
	scratch_load_b32 v17, off, off offset:36
	scratch_load_u8 v27, off, off offset:40
	v_dual_mov_b32 v0, 0 :: v_dual_lshlrev_b32 v1, 20, v0
	s_mov_b32 s19, 0
	s_mov_b32 s0, -1
	s_mov_b32 s18, exec_lo
	s_delay_alu instid0(VALU_DEP_1) | instskip(NEXT) | instid1(VALU_DEP_1)
	v_add_nc_u64_e32 v[0:1], src_flat_scratch_base_lo, v[0:1]
	v_add_nc_u64_e32 v[24:25], 8, v[0:1]
	v_add_nc_u64_e32 v[22:23], 28, v[0:1]
	;; [unrolled: 1-line block ×3, first 2 shown]
	s_wait_xcnt 0x0
	v_cmpx_gt_i32_e64 s17, v16
	s_cbranch_execz .LBB274_87
; %bb.2:
	s_wait_loadcnt 0x1
	v_dual_mov_b32 v0, v17 :: v_dual_mov_b32 v1, v24
	v_dual_mov_b32 v2, v25 :: v_dual_mov_b32 v3, v22
	;; [unrolled: 1-line block ×4, first 2 shown]
	s_get_pc_i64 s[0:1]
	s_add_nc_u64 s[0:1], s[0:1], _ZN2at6native6invokeINS0_13BinaryFunctorIN3c1013Float8_e4m3fnES4_bNS0_12_GLOBAL__N_116CompareEqFunctorIS4_EEEEi15function_traitsIS8_EEENT1_11result_typeERKT_PrKPcPKT0_PKNS3_10ScalarTypeEi@rel64+4
	s_delay_alu instid0(SALU_CYCLE_1)
	s_swap_pc_i64 s[30:31], s[0:1]
	v_and_b32_e32 v0, 1, v0
	v_and_b32_e32 v2, 0xff, v27
	s_mov_b32 s1, 0
	s_mov_b32 s3, 0
	s_mov_b32 s2, exec_lo
	v_cmp_eq_u32_e32 vcc_lo, 1, v0
	v_mul_lo_u32 v0, v26, v16
	s_delay_alu instid0(VALU_DEP_1) | instskip(NEXT) | instid1(VALU_DEP_1)
	v_ashrrev_i32_e32 v1, 31, v0
	v_add_nc_u64_e32 v[0:1], v[18:19], v[0:1]
	v_cmpx_lt_i16_e32 10, v2
	s_xor_b32 s2, exec_lo, s2
	s_cbranch_execz .LBB274_2096
; %bb.3:
	s_mov_b32 s4, exec_lo
	v_cmpx_lt_i16_e32 25, v2
	s_xor_b32 s4, exec_lo, s4
	s_cbranch_execz .LBB274_39
; %bb.4:
	s_mov_b32 s5, 0
	s_mov_b32 s3, exec_lo
	v_cmpx_lt_i16_e32 28, v2
	s_xor_b32 s3, exec_lo, s3
	s_cbranch_execz .LBB274_22
; %bb.5:
	s_mov_b32 s7, 0
	;; [unrolled: 6-line block ×3, first 2 shown]
	s_mov_b32 s1, exec_lo
	v_cmpx_lt_i16_e32 45, v2
	s_xor_b32 s1, exec_lo, s1
	s_cbranch_execz .LBB274_10
; %bb.7:
	s_mov_b32 s8, -1
	s_mov_b32 s7, exec_lo
	v_cmpx_eq_u16_e32 46, v2
	s_cbranch_execz .LBB274_9
; %bb.8:
	v_cndmask_b32_e64 v2, 0, 1.0, vcc_lo
	s_mov_b32 s6, exec_lo
	s_xor_b32 s8, exec_lo, -1
	s_delay_alu instid0(VALU_DEP_1) | instskip(NEXT) | instid1(VALU_DEP_1)
	v_bfe_u32 v3, v2, 16, 1
	v_add3_u32 v2, v2, v3, 0x7fff
	s_delay_alu instid0(VALU_DEP_1)
	v_lshrrev_b32_e32 v2, 16, v2
	flat_store_b32 v[0:1], v2
.LBB274_9:
	s_wait_xcnt 0x0
	s_or_b32 exec_lo, exec_lo, s7
	s_delay_alu instid0(SALU_CYCLE_1)
	s_and_b32 s7, s8, exec_lo
	s_and_b32 s6, s6, exec_lo
                                        ; implicit-def: $vgpr2
                                        ; implicit-def: $vgpr0_vgpr1
.LBB274_10:
	s_and_not1_saveexec_b32 s8, s1
	s_cbranch_execz .LBB274_16
; %bb.11:
	s_mov_b32 s10, -1
	s_mov_b32 s1, s6
	s_mov_b32 s9, exec_lo
	v_cmpx_eq_u16_e32 44, v2
	s_cbranch_execz .LBB274_15
; %bb.12:
	v_cndmask_b32_e64 v4, 0, 1.0, vcc_lo
	s_mov_b32 s10, exec_lo
	s_delay_alu instid0(VALU_DEP_1) | instskip(NEXT) | instid1(VALU_DEP_1)
	v_dual_mov_b32 v3, 0xff :: v_dual_lshrrev_b32 v2, 23, v4
	v_cmpx_ne_u32_e32 0xff, v2
; %bb.13:
	v_and_b32_e32 v3, 0x400000, v4
	v_and_or_b32 v4, 0x3fffff, v4, v2
	s_delay_alu instid0(VALU_DEP_2) | instskip(NEXT) | instid1(VALU_DEP_2)
	v_cmp_ne_u32_e64 s0, 0, v3
	v_cmp_ne_u32_e64 s1, 0, v4
	s_and_b32 s0, s0, s1
	s_delay_alu instid0(SALU_CYCLE_1) | instskip(NEXT) | instid1(VALU_DEP_1)
	v_cndmask_b32_e64 v3, 0, 1, s0
	v_add_nc_u32_e32 v3, v2, v3
; %bb.14:
	s_or_b32 exec_lo, exec_lo, s10
	s_delay_alu instid0(SALU_CYCLE_1)
	s_xor_b32 s10, exec_lo, -1
	s_or_b32 s1, s6, exec_lo
	flat_store_b8 v[0:1], v3
.LBB274_15:
	s_wait_xcnt 0x0
	s_or_b32 exec_lo, exec_lo, s9
	s_delay_alu instid0(SALU_CYCLE_1)
	s_and_not1_b32 s0, s7, exec_lo
	s_and_b32 s7, s10, exec_lo
	s_and_not1_b32 s6, s6, exec_lo
	s_and_b32 s1, s1, exec_lo
	s_or_b32 s7, s0, s7
	s_or_b32 s6, s6, s1
.LBB274_16:
	s_or_b32 exec_lo, exec_lo, s8
	s_delay_alu instid0(SALU_CYCLE_1)
	s_and_b32 s7, s7, exec_lo
	s_and_b32 s1, s6, exec_lo
                                        ; implicit-def: $vgpr2
                                        ; implicit-def: $vgpr0_vgpr1
.LBB274_17:
	s_and_not1_saveexec_b32 s5, s5
	s_cbranch_execz .LBB274_21
; %bb.18:
	s_mov_b32 s9, -1
	s_mov_b32 s6, s1
	s_mov_b32 s8, exec_lo
	v_cmpx_eq_u16_e32 29, v2
	s_cbranch_execz .LBB274_20
; %bb.19:
	s_mov_b32 s0, 0
	v_cndmask_b32_e64 v2, 0, 1, vcc_lo
	v_mov_b32_e32 v3, s0
	s_xor_b32 s9, exec_lo, -1
	s_or_b32 s6, s1, exec_lo
	flat_store_b64 v[0:1], v[2:3]
.LBB274_20:
	s_wait_xcnt 0x0
	s_or_b32 exec_lo, exec_lo, s8
	s_delay_alu instid0(SALU_CYCLE_1)
	s_and_not1_b32 s0, s7, exec_lo
	s_and_b32 s7, s9, exec_lo
	s_and_not1_b32 s1, s1, exec_lo
	s_and_b32 s6, s6, exec_lo
	s_or_b32 s7, s0, s7
	s_or_b32 s1, s1, s6
.LBB274_21:
	s_or_b32 exec_lo, exec_lo, s5
	s_delay_alu instid0(SALU_CYCLE_1)
	s_and_b32 s5, s7, exec_lo
	s_and_b32 s1, s1, exec_lo
                                        ; implicit-def: $vgpr0_vgpr1
                                        ; implicit-def: $vgpr2
.LBB274_22:
	s_and_not1_saveexec_b32 s3, s3
	s_cbranch_execz .LBB274_38
; %bb.23:
	s_mov_b32 s6, exec_lo
	v_cmpx_lt_i16_e32 26, v2
	s_xor_b32 s6, exec_lo, s6
	s_cbranch_execz .LBB274_29
; %bb.24:
	v_cmp_lt_i16_e64 s0, 27, v2
	s_and_saveexec_b32 s7, s0
	s_delay_alu instid0(SALU_CYCLE_1)
	s_xor_b32 s0, exec_lo, s7
	s_cbranch_execz .LBB274_26
; %bb.25:
	v_cndmask_b32_e64 v2, 0, 1, vcc_lo
	flat_store_b32 v[0:1], v2
                                        ; implicit-def: $vgpr0_vgpr1
.LBB274_26:
	s_wait_xcnt 0x0
	s_and_not1_saveexec_b32 s0, s0
	s_cbranch_execz .LBB274_28
; %bb.27:
	v_cndmask_b32_e64 v2, 0, 1, vcc_lo
	flat_store_b16 v[0:1], v2
.LBB274_28:
	s_wait_xcnt 0x0
	s_or_b32 exec_lo, exec_lo, s0
                                        ; implicit-def: $vgpr0_vgpr1
.LBB274_29:
	s_and_not1_saveexec_b32 s6, s6
	s_cbranch_execz .LBB274_37
; %bb.30:
	v_cndmask_b32_e64 v3, 0, 1.0, vcc_lo
	v_mov_b32_e32 v4, 0x80
	s_mov_b32 s7, exec_lo
	s_delay_alu instid0(VALU_DEP_2)
	v_cmpx_gt_u32_e32 0x43800000, v3
	s_cbranch_execz .LBB274_36
; %bb.31:
	v_cmp_lt_u32_e64 s0, 0x3bffffff, v3
	s_mov_b32 s8, 0
                                        ; implicit-def: $vgpr2
	s_and_saveexec_b32 s9, s0
	s_delay_alu instid0(SALU_CYCLE_1)
	s_xor_b32 s0, exec_lo, s9
	s_cbranch_execz .LBB274_2483
; %bb.32:
	v_bfe_u32 v2, v3, 20, 1
	s_mov_b32 s8, exec_lo
	s_delay_alu instid0(VALU_DEP_1) | instskip(NEXT) | instid1(VALU_DEP_1)
	v_add3_u32 v2, v3, v2, 0x487ffff
                                        ; implicit-def: $vgpr3
	v_lshrrev_b32_e32 v2, 20, v2
	s_and_not1_saveexec_b32 s9, s0
	s_cbranch_execnz .LBB274_2484
.LBB274_33:
	s_or_b32 exec_lo, exec_lo, s9
	v_mov_b32_e32 v4, 0
	s_and_saveexec_b32 s0, s8
.LBB274_34:
	v_mov_b32_e32 v4, v2
.LBB274_35:
	s_or_b32 exec_lo, exec_lo, s0
.LBB274_36:
	s_delay_alu instid0(SALU_CYCLE_1)
	s_or_b32 exec_lo, exec_lo, s7
	flat_store_b8 v[0:1], v4
.LBB274_37:
	s_wait_xcnt 0x0
	s_or_b32 exec_lo, exec_lo, s6
	s_delay_alu instid0(SALU_CYCLE_1)
	s_or_b32 s1, s1, exec_lo
.LBB274_38:
	s_or_b32 exec_lo, exec_lo, s3
	s_delay_alu instid0(SALU_CYCLE_1)
	s_and_b32 s3, s5, exec_lo
	s_and_b32 s1, s1, exec_lo
                                        ; implicit-def: $vgpr2
                                        ; implicit-def: $vgpr0_vgpr1
.LBB274_39:
	s_and_not1_saveexec_b32 s4, s4
	s_cbranch_execz .LBB274_83
; %bb.40:
	s_mov_b32 s6, s1
	s_mov_b32 s5, exec_lo
	v_cmpx_lt_i16_e32 22, v2
	s_xor_b32 s5, exec_lo, s5
	s_cbranch_execz .LBB274_72
; %bb.41:
	s_mov_b32 s6, exec_lo
	v_cmpx_lt_i16_e32 23, v2
	s_xor_b32 s6, exec_lo, s6
	s_cbranch_execz .LBB274_61
; %bb.42:
	;; [unrolled: 5-line block ×3, first 2 shown]
	v_cndmask_b32_e64 v3, 0, 1.0, vcc_lo
	v_mov_b32_e32 v4, 0x80
	s_mov_b32 s8, exec_lo
	s_delay_alu instid0(VALU_DEP_2)
	v_cmpx_gt_u32_e32 0x47800000, v3
	s_cbranch_execz .LBB274_49
; %bb.44:
	v_cmp_lt_u32_e64 s0, 0x37ffffff, v3
	s_mov_b32 s9, 0
                                        ; implicit-def: $vgpr2
	s_and_saveexec_b32 s10, s0
	s_delay_alu instid0(SALU_CYCLE_1)
	s_xor_b32 s0, exec_lo, s10
	s_cbranch_execz .LBB274_2540
; %bb.45:
	v_bfe_u32 v2, v3, 21, 1
	s_mov_b32 s9, exec_lo
	s_delay_alu instid0(VALU_DEP_1) | instskip(NEXT) | instid1(VALU_DEP_1)
	v_add3_u32 v2, v3, v2, 0x88fffff
                                        ; implicit-def: $vgpr3
	v_lshrrev_b32_e32 v2, 21, v2
	s_and_not1_saveexec_b32 s10, s0
	s_cbranch_execnz .LBB274_2541
.LBB274_46:
	s_or_b32 exec_lo, exec_lo, s10
	v_mov_b32_e32 v4, 0
	s_and_saveexec_b32 s0, s9
.LBB274_47:
	v_mov_b32_e32 v4, v2
.LBB274_48:
	s_or_b32 exec_lo, exec_lo, s0
.LBB274_49:
	s_delay_alu instid0(SALU_CYCLE_1)
	s_or_b32 exec_lo, exec_lo, s8
	flat_store_b8 v[0:1], v4
                                        ; implicit-def: $vgpr0_vgpr1
.LBB274_50:
	s_wait_xcnt 0x0
	s_and_not1_saveexec_b32 s7, s7
	s_cbranch_execz .LBB274_60
; %bb.51:
	v_cndmask_b32_e64 v3, 0, 1.0, vcc_lo
	s_mov_b32 s8, exec_lo
                                        ; implicit-def: $vgpr2
	s_delay_alu instid0(VALU_DEP_1)
	v_cmpx_gt_u32_e32 0x43f00000, v3
	s_xor_b32 s8, exec_lo, s8
	s_cbranch_execz .LBB274_57
; %bb.52:
	s_mov_b32 s9, exec_lo
                                        ; implicit-def: $vgpr2
	v_cmpx_lt_u32_e32 0x3c7fffff, v3
	s_xor_b32 s9, exec_lo, s9
; %bb.53:
	v_bfe_u32 v2, v3, 20, 1
	s_delay_alu instid0(VALU_DEP_1) | instskip(NEXT) | instid1(VALU_DEP_1)
	v_add3_u32 v2, v3, v2, 0x407ffff
	v_and_b32_e32 v3, 0xff00000, v2
	v_lshrrev_b32_e32 v2, 20, v2
	s_delay_alu instid0(VALU_DEP_2) | instskip(NEXT) | instid1(VALU_DEP_1)
	v_cmp_ne_u32_e64 s0, 0x7f00000, v3
                                        ; implicit-def: $vgpr3
	v_cndmask_b32_e64 v2, 0x7e, v2, s0
; %bb.54:
	s_and_not1_saveexec_b32 s0, s9
; %bb.55:
	v_add_f32_e32 v2, 0x46800000, v3
; %bb.56:
	s_or_b32 exec_lo, exec_lo, s0
                                        ; implicit-def: $vgpr3
.LBB274_57:
	s_and_not1_saveexec_b32 s8, s8
; %bb.58:
	v_mov_b32_e32 v2, 0x7f
	v_cmp_lt_u32_e64 s0, 0x7f800000, v3
	s_delay_alu instid0(VALU_DEP_1)
	v_cndmask_b32_e64 v2, 0x7e, v2, s0
; %bb.59:
	s_or_b32 exec_lo, exec_lo, s8
	flat_store_b8 v[0:1], v2
.LBB274_60:
	s_wait_xcnt 0x0
	s_or_b32 exec_lo, exec_lo, s7
                                        ; implicit-def: $vgpr0_vgpr1
.LBB274_61:
	s_and_not1_saveexec_b32 s6, s6
	s_cbranch_execz .LBB274_71
; %bb.62:
	v_cndmask_b32_e64 v3, 0, 1.0, vcc_lo
	s_mov_b32 s7, exec_lo
                                        ; implicit-def: $vgpr2
	s_delay_alu instid0(VALU_DEP_1)
	v_cmpx_gt_u32_e32 0x47800000, v3
	s_xor_b32 s7, exec_lo, s7
	s_cbranch_execz .LBB274_68
; %bb.63:
	v_cmp_lt_u32_e64 s0, 0x387fffff, v3
                                        ; implicit-def: $vgpr2
	s_and_saveexec_b32 s8, s0
	s_delay_alu instid0(SALU_CYCLE_1)
	s_xor_b32 s0, exec_lo, s8
; %bb.64:
	v_bfe_u32 v2, v3, 21, 1
	s_delay_alu instid0(VALU_DEP_1) | instskip(NEXT) | instid1(VALU_DEP_1)
	v_add3_u32 v2, v3, v2, 0x80fffff
                                        ; implicit-def: $vgpr3
	v_lshrrev_b32_e32 v2, 21, v2
; %bb.65:
	s_and_not1_saveexec_b32 s0, s0
; %bb.66:
	v_add_f32_e32 v2, 0x43000000, v3
; %bb.67:
	s_or_b32 exec_lo, exec_lo, s0
                                        ; implicit-def: $vgpr3
.LBB274_68:
	s_and_not1_saveexec_b32 s7, s7
; %bb.69:
	v_mov_b32_e32 v2, 0x7f
	v_cmp_lt_u32_e64 s0, 0x7f800000, v3
	s_delay_alu instid0(VALU_DEP_1)
	v_cndmask_b32_e64 v2, 0x7c, v2, s0
; %bb.70:
	s_or_b32 exec_lo, exec_lo, s7
	flat_store_b8 v[0:1], v2
.LBB274_71:
	s_wait_xcnt 0x0
	s_or_b32 exec_lo, exec_lo, s6
	s_delay_alu instid0(SALU_CYCLE_1)
	s_or_b32 s6, s1, exec_lo
                                        ; implicit-def: $vgpr2
                                        ; implicit-def: $vgpr0_vgpr1
.LBB274_72:
	s_or_saveexec_b32 s5, s5
	s_mov_b32 s0, s3
	s_xor_b32 exec_lo, exec_lo, s5
	s_cbranch_execz .LBB274_82
; %bb.73:
	s_mov_b32 s7, s6
	s_mov_b32 s8, s3
	s_mov_b32 s9, exec_lo
	v_cmpx_lt_i16_e32 14, v2
	s_xor_b32 s9, exec_lo, s9
	s_cbranch_execz .LBB274_77
; %bb.74:
	s_mov_b32 s8, -1
	s_mov_b32 s7, s6
	s_mov_b32 s10, exec_lo
	v_cmpx_eq_u16_e32 15, v2
	s_cbranch_execz .LBB274_76
; %bb.75:
	v_cndmask_b32_e64 v2, 0, 1.0, vcc_lo
	s_xor_b32 s8, exec_lo, -1
	s_or_b32 s7, s6, exec_lo
	s_delay_alu instid0(VALU_DEP_1) | instskip(NEXT) | instid1(VALU_DEP_1)
	v_bfe_u32 v3, v2, 16, 1
	v_add3_u32 v2, v2, v3, 0x7fff
	flat_store_d16_hi_b16 v[0:1], v2
.LBB274_76:
	s_wait_xcnt 0x0
	s_or_b32 exec_lo, exec_lo, s10
	s_delay_alu instid0(SALU_CYCLE_1)
	s_and_not1_b32 s0, s3, exec_lo
	s_and_b32 s8, s8, exec_lo
	s_and_not1_b32 s10, s6, exec_lo
	s_and_b32 s7, s7, exec_lo
	s_or_b32 s8, s0, s8
	s_or_b32 s7, s10, s7
                                        ; implicit-def: $vgpr2
                                        ; implicit-def: $vgpr0_vgpr1
.LBB274_77:
	s_and_not1_saveexec_b32 s9, s9
	s_cbranch_execz .LBB274_81
; %bb.78:
	s_mov_b32 s11, -1
	s_mov_b32 s10, s7
	s_mov_b32 s12, exec_lo
	v_cmpx_eq_u16_e32 11, v2
	s_cbranch_execz .LBB274_80
; %bb.79:
	v_cndmask_b32_e64 v2, 0, 1, vcc_lo
	s_xor_b32 s11, exec_lo, -1
	s_or_b32 s10, s7, exec_lo
	flat_store_b8 v[0:1], v2
.LBB274_80:
	s_wait_xcnt 0x0
	s_or_b32 exec_lo, exec_lo, s12
	s_delay_alu instid0(SALU_CYCLE_1)
	s_and_not1_b32 s0, s8, exec_lo
	s_and_b32 s8, s11, exec_lo
	s_and_not1_b32 s7, s7, exec_lo
	s_and_b32 s10, s10, exec_lo
	s_or_b32 s8, s0, s8
	s_or_b32 s7, s7, s10
.LBB274_81:
	s_or_b32 exec_lo, exec_lo, s9
	s_delay_alu instid0(SALU_CYCLE_1)
	s_and_not1_b32 s0, s3, exec_lo
	s_and_b32 s8, s8, exec_lo
	s_and_not1_b32 s6, s6, exec_lo
	s_and_b32 s7, s7, exec_lo
	s_or_b32 s0, s0, s8
	s_or_b32 s6, s6, s7
.LBB274_82:
	s_or_b32 exec_lo, exec_lo, s5
	s_delay_alu instid0(SALU_CYCLE_1)
	s_and_not1_b32 s3, s3, exec_lo
	s_and_b32 s0, s0, exec_lo
	s_and_not1_b32 s1, s1, exec_lo
	s_and_b32 s5, s6, exec_lo
	s_or_b32 s3, s3, s0
	s_or_b32 s1, s1, s5
.LBB274_83:
	s_or_b32 exec_lo, exec_lo, s4
	s_delay_alu instid0(SALU_CYCLE_1)
	s_and_b32 s3, s3, exec_lo
	s_and_b32 s1, s1, exec_lo
                                        ; implicit-def: $vgpr2
                                        ; implicit-def: $vgpr0_vgpr1
	s_and_not1_saveexec_b32 s2, s2
	s_cbranch_execnz .LBB274_2097
.LBB274_84:
	s_or_b32 exec_lo, exec_lo, s2
	s_mov_b32 s0, 0
	s_and_saveexec_b32 s2, s1
.LBB274_85:
	v_add_nc_u32_e32 v16, 0x80, v16
	s_mov_b32 s0, exec_lo
.LBB274_86:
	s_or_b32 exec_lo, exec_lo, s2
	s_delay_alu instid0(SALU_CYCLE_1)
	s_and_b32 s14, s3, exec_lo
	s_or_not1_b32 s0, s0, exec_lo
.LBB274_87:
	s_or_b32 exec_lo, exec_lo, s18
	s_mov_b32 s2, 0
                                        ; implicit-def: $sgpr1
                                        ; implicit-def: $vgpr2
                                        ; implicit-def: $vgpr0_vgpr1
	s_and_saveexec_b32 s18, s0
	s_cbranch_execz .LBB274_349
; %bb.88:
	s_mov_b32 s3, -1
	s_mov_b32 s19, s14
	s_mov_b32 s20, exec_lo
	v_cmpx_gt_i32_e64 s17, v16
	s_cbranch_execz .LBB274_174
; %bb.89:
	s_wait_loadcnt 0x1
	v_dual_mov_b32 v0, v17 :: v_dual_mov_b32 v1, v24
	v_dual_mov_b32 v2, v25 :: v_dual_mov_b32 v3, v22
	;; [unrolled: 1-line block ×4, first 2 shown]
	s_get_pc_i64 s[0:1]
	s_add_nc_u64 s[0:1], s[0:1], _ZN2at6native6invokeINS0_13BinaryFunctorIN3c1013Float8_e4m3fnES4_bNS0_12_GLOBAL__N_116CompareEqFunctorIS4_EEEEi15function_traitsIS8_EEENT1_11result_typeERKT_PrKPcPKT0_PKNS3_10ScalarTypeEi@rel64+4
	s_delay_alu instid0(SALU_CYCLE_1)
	s_swap_pc_i64 s[30:31], s[0:1]
	v_and_b32_e32 v0, 1, v0
	v_and_b32_e32 v2, 0xff, v27
	s_mov_b32 s1, 0
	s_mov_b32 s3, s14
	s_mov_b32 s2, exec_lo
	v_cmp_eq_u32_e32 vcc_lo, 1, v0
	v_mul_lo_u32 v0, v26, v16
	s_delay_alu instid0(VALU_DEP_1) | instskip(NEXT) | instid1(VALU_DEP_1)
	v_ashrrev_i32_e32 v1, 31, v0
	v_add_nc_u64_e32 v[0:1], v[18:19], v[0:1]
	v_cmpx_lt_i16_e32 10, v2
	s_xor_b32 s2, exec_lo, s2
	s_cbranch_execz .LBB274_2189
; %bb.90:
	s_mov_b32 s3, s14
	s_mov_b32 s4, exec_lo
	v_cmpx_lt_i16_e32 25, v2
	s_xor_b32 s4, exec_lo, s4
	s_cbranch_execz .LBB274_126
; %bb.91:
	s_mov_b32 s5, s14
	s_mov_b32 s3, exec_lo
	;; [unrolled: 6-line block ×3, first 2 shown]
	v_cmpx_lt_i16_e32 43, v2
	s_xor_b32 s5, exec_lo, s5
	s_cbranch_execz .LBB274_104
; %bb.93:
	s_mov_b32 s6, 0
	s_mov_b32 s7, s14
	s_mov_b32 s1, exec_lo
	v_cmpx_lt_i16_e32 45, v2
	s_xor_b32 s1, exec_lo, s1
	s_cbranch_execz .LBB274_97
; %bb.94:
	s_mov_b32 s8, -1
	s_mov_b32 s7, exec_lo
	v_cmpx_eq_u16_e32 46, v2
	s_cbranch_execz .LBB274_96
; %bb.95:
	v_cndmask_b32_e64 v2, 0, 1.0, vcc_lo
	s_mov_b32 s6, exec_lo
	s_xor_b32 s8, exec_lo, -1
	s_delay_alu instid0(VALU_DEP_1) | instskip(NEXT) | instid1(VALU_DEP_1)
	v_bfe_u32 v3, v2, 16, 1
	v_add3_u32 v2, v2, v3, 0x7fff
	s_delay_alu instid0(VALU_DEP_1)
	v_lshrrev_b32_e32 v2, 16, v2
	flat_store_b32 v[0:1], v2
.LBB274_96:
	s_wait_xcnt 0x0
	s_or_b32 exec_lo, exec_lo, s7
	s_delay_alu instid0(SALU_CYCLE_1)
	s_and_not1_b32 s0, s14, exec_lo
	s_and_b32 s7, s8, exec_lo
	s_and_b32 s6, s6, exec_lo
	s_or_b32 s7, s0, s7
                                        ; implicit-def: $vgpr2
                                        ; implicit-def: $vgpr0_vgpr1
.LBB274_97:
	s_and_not1_saveexec_b32 s8, s1
	s_cbranch_execz .LBB274_103
; %bb.98:
	s_mov_b32 s10, -1
	s_mov_b32 s1, s6
	s_mov_b32 s9, exec_lo
	v_cmpx_eq_u16_e32 44, v2
	s_cbranch_execz .LBB274_102
; %bb.99:
	v_cndmask_b32_e64 v4, 0, 1.0, vcc_lo
	s_mov_b32 s10, exec_lo
	s_delay_alu instid0(VALU_DEP_1) | instskip(NEXT) | instid1(VALU_DEP_1)
	v_dual_mov_b32 v3, 0xff :: v_dual_lshrrev_b32 v2, 23, v4
	v_cmpx_ne_u32_e32 0xff, v2
; %bb.100:
	v_and_b32_e32 v3, 0x400000, v4
	v_and_or_b32 v4, 0x3fffff, v4, v2
	s_delay_alu instid0(VALU_DEP_2) | instskip(NEXT) | instid1(VALU_DEP_2)
	v_cmp_ne_u32_e64 s0, 0, v3
	v_cmp_ne_u32_e64 s1, 0, v4
	s_and_b32 s0, s0, s1
	s_delay_alu instid0(SALU_CYCLE_1) | instskip(NEXT) | instid1(VALU_DEP_1)
	v_cndmask_b32_e64 v3, 0, 1, s0
	v_add_nc_u32_e32 v3, v2, v3
; %bb.101:
	s_or_b32 exec_lo, exec_lo, s10
	s_delay_alu instid0(SALU_CYCLE_1)
	s_xor_b32 s10, exec_lo, -1
	s_or_b32 s1, s6, exec_lo
	flat_store_b8 v[0:1], v3
.LBB274_102:
	s_wait_xcnt 0x0
	s_or_b32 exec_lo, exec_lo, s9
	s_delay_alu instid0(SALU_CYCLE_1)
	s_and_not1_b32 s0, s7, exec_lo
	s_and_b32 s7, s10, exec_lo
	s_and_not1_b32 s6, s6, exec_lo
	s_and_b32 s1, s1, exec_lo
	s_or_b32 s7, s0, s7
	s_or_b32 s6, s6, s1
.LBB274_103:
	s_or_b32 exec_lo, exec_lo, s8
	s_delay_alu instid0(SALU_CYCLE_1) | instskip(SKIP_1) | instid1(SALU_CYCLE_1)
	s_and_not1_b32 s0, s14, exec_lo
	s_and_b32 s1, s7, exec_lo
                                        ; implicit-def: $vgpr2
                                        ; implicit-def: $vgpr0_vgpr1
	s_or_b32 s7, s0, s1
	s_and_b32 s1, s6, exec_lo
.LBB274_104:
	s_and_not1_saveexec_b32 s5, s5
	s_cbranch_execz .LBB274_108
; %bb.105:
	s_mov_b32 s9, -1
	s_mov_b32 s6, s1
	s_mov_b32 s8, exec_lo
	v_cmpx_eq_u16_e32 29, v2
	s_cbranch_execz .LBB274_107
; %bb.106:
	s_mov_b32 s0, 0
	v_cndmask_b32_e64 v2, 0, 1, vcc_lo
	v_mov_b32_e32 v3, s0
	s_xor_b32 s9, exec_lo, -1
	s_or_b32 s6, s1, exec_lo
	flat_store_b64 v[0:1], v[2:3]
.LBB274_107:
	s_wait_xcnt 0x0
	s_or_b32 exec_lo, exec_lo, s8
	s_delay_alu instid0(SALU_CYCLE_1)
	s_and_not1_b32 s0, s7, exec_lo
	s_and_b32 s7, s9, exec_lo
	s_and_not1_b32 s1, s1, exec_lo
	s_and_b32 s6, s6, exec_lo
	s_or_b32 s7, s0, s7
	s_or_b32 s1, s1, s6
.LBB274_108:
	s_or_b32 exec_lo, exec_lo, s5
	s_delay_alu instid0(SALU_CYCLE_1)
	s_and_not1_b32 s0, s14, exec_lo
	s_and_b32 s5, s7, exec_lo
	s_and_b32 s1, s1, exec_lo
	s_or_b32 s5, s0, s5
                                        ; implicit-def: $vgpr0_vgpr1
                                        ; implicit-def: $vgpr2
.LBB274_109:
	s_and_not1_saveexec_b32 s3, s3
	s_cbranch_execz .LBB274_125
; %bb.110:
	s_mov_b32 s6, exec_lo
	v_cmpx_lt_i16_e32 26, v2
	s_xor_b32 s6, exec_lo, s6
	s_cbranch_execz .LBB274_116
; %bb.111:
	v_cmp_lt_i16_e64 s0, 27, v2
	s_and_saveexec_b32 s7, s0
	s_delay_alu instid0(SALU_CYCLE_1)
	s_xor_b32 s0, exec_lo, s7
	s_cbranch_execz .LBB274_113
; %bb.112:
	v_cndmask_b32_e64 v2, 0, 1, vcc_lo
	flat_store_b32 v[0:1], v2
                                        ; implicit-def: $vgpr0_vgpr1
.LBB274_113:
	s_wait_xcnt 0x0
	s_and_not1_saveexec_b32 s0, s0
	s_cbranch_execz .LBB274_115
; %bb.114:
	v_cndmask_b32_e64 v2, 0, 1, vcc_lo
	flat_store_b16 v[0:1], v2
.LBB274_115:
	s_wait_xcnt 0x0
	s_or_b32 exec_lo, exec_lo, s0
                                        ; implicit-def: $vgpr0_vgpr1
.LBB274_116:
	s_and_not1_saveexec_b32 s6, s6
	s_cbranch_execz .LBB274_124
; %bb.117:
	v_cndmask_b32_e64 v3, 0, 1.0, vcc_lo
	v_mov_b32_e32 v4, 0x80
	s_mov_b32 s7, exec_lo
	s_delay_alu instid0(VALU_DEP_2)
	v_cmpx_gt_u32_e32 0x43800000, v3
	s_cbranch_execz .LBB274_123
; %bb.118:
	v_cmp_lt_u32_e64 s0, 0x3bffffff, v3
	s_mov_b32 s8, 0
                                        ; implicit-def: $vgpr2
	s_and_saveexec_b32 s9, s0
	s_delay_alu instid0(SALU_CYCLE_1)
	s_xor_b32 s0, exec_lo, s9
	s_cbranch_execz .LBB274_2542
; %bb.119:
	v_bfe_u32 v2, v3, 20, 1
	s_mov_b32 s8, exec_lo
	s_delay_alu instid0(VALU_DEP_1) | instskip(NEXT) | instid1(VALU_DEP_1)
	v_add3_u32 v2, v3, v2, 0x487ffff
                                        ; implicit-def: $vgpr3
	v_lshrrev_b32_e32 v2, 20, v2
	s_and_not1_saveexec_b32 s9, s0
	s_cbranch_execnz .LBB274_2543
.LBB274_120:
	s_or_b32 exec_lo, exec_lo, s9
	v_mov_b32_e32 v4, 0
	s_and_saveexec_b32 s0, s8
.LBB274_121:
	v_mov_b32_e32 v4, v2
.LBB274_122:
	s_or_b32 exec_lo, exec_lo, s0
.LBB274_123:
	s_delay_alu instid0(SALU_CYCLE_1)
	s_or_b32 exec_lo, exec_lo, s7
	flat_store_b8 v[0:1], v4
.LBB274_124:
	s_wait_xcnt 0x0
	s_or_b32 exec_lo, exec_lo, s6
	s_delay_alu instid0(SALU_CYCLE_1)
	s_or_b32 s1, s1, exec_lo
.LBB274_125:
	s_or_b32 exec_lo, exec_lo, s3
	s_delay_alu instid0(SALU_CYCLE_1)
	s_and_not1_b32 s0, s14, exec_lo
	s_and_b32 s3, s5, exec_lo
	s_and_b32 s1, s1, exec_lo
	s_or_b32 s3, s0, s3
                                        ; implicit-def: $vgpr2
                                        ; implicit-def: $vgpr0_vgpr1
.LBB274_126:
	s_and_not1_saveexec_b32 s4, s4
	s_cbranch_execz .LBB274_170
; %bb.127:
	s_mov_b32 s6, s1
	s_mov_b32 s5, exec_lo
	v_cmpx_lt_i16_e32 22, v2
	s_xor_b32 s5, exec_lo, s5
	s_cbranch_execz .LBB274_159
; %bb.128:
	s_mov_b32 s6, exec_lo
	v_cmpx_lt_i16_e32 23, v2
	s_xor_b32 s6, exec_lo, s6
	s_cbranch_execz .LBB274_148
; %bb.129:
	s_mov_b32 s7, exec_lo
	v_cmpx_lt_i16_e32 24, v2
	s_xor_b32 s7, exec_lo, s7
	s_cbranch_execz .LBB274_137
; %bb.130:
	v_cndmask_b32_e64 v3, 0, 1.0, vcc_lo
	v_mov_b32_e32 v4, 0x80
	s_mov_b32 s8, exec_lo
	s_delay_alu instid0(VALU_DEP_2)
	v_cmpx_gt_u32_e32 0x47800000, v3
	s_cbranch_execz .LBB274_136
; %bb.131:
	v_cmp_lt_u32_e64 s0, 0x37ffffff, v3
	s_mov_b32 s9, 0
                                        ; implicit-def: $vgpr2
	s_and_saveexec_b32 s10, s0
	s_delay_alu instid0(SALU_CYCLE_1)
	s_xor_b32 s0, exec_lo, s10
	s_cbranch_execz .LBB274_2591
; %bb.132:
	v_bfe_u32 v2, v3, 21, 1
	s_mov_b32 s9, exec_lo
	s_delay_alu instid0(VALU_DEP_1) | instskip(NEXT) | instid1(VALU_DEP_1)
	v_add3_u32 v2, v3, v2, 0x88fffff
                                        ; implicit-def: $vgpr3
	v_lshrrev_b32_e32 v2, 21, v2
	s_and_not1_saveexec_b32 s10, s0
	s_cbranch_execnz .LBB274_2592
.LBB274_133:
	s_or_b32 exec_lo, exec_lo, s10
	v_mov_b32_e32 v4, 0
	s_and_saveexec_b32 s0, s9
.LBB274_134:
	v_mov_b32_e32 v4, v2
.LBB274_135:
	s_or_b32 exec_lo, exec_lo, s0
.LBB274_136:
	s_delay_alu instid0(SALU_CYCLE_1)
	s_or_b32 exec_lo, exec_lo, s8
	flat_store_b8 v[0:1], v4
                                        ; implicit-def: $vgpr0_vgpr1
.LBB274_137:
	s_wait_xcnt 0x0
	s_and_not1_saveexec_b32 s7, s7
	s_cbranch_execz .LBB274_147
; %bb.138:
	v_cndmask_b32_e64 v3, 0, 1.0, vcc_lo
	s_mov_b32 s8, exec_lo
                                        ; implicit-def: $vgpr2
	s_delay_alu instid0(VALU_DEP_1)
	v_cmpx_gt_u32_e32 0x43f00000, v3
	s_xor_b32 s8, exec_lo, s8
	s_cbranch_execz .LBB274_144
; %bb.139:
	s_mov_b32 s9, exec_lo
                                        ; implicit-def: $vgpr2
	v_cmpx_lt_u32_e32 0x3c7fffff, v3
	s_xor_b32 s9, exec_lo, s9
; %bb.140:
	v_bfe_u32 v2, v3, 20, 1
	s_delay_alu instid0(VALU_DEP_1) | instskip(NEXT) | instid1(VALU_DEP_1)
	v_add3_u32 v2, v3, v2, 0x407ffff
	v_and_b32_e32 v3, 0xff00000, v2
	v_lshrrev_b32_e32 v2, 20, v2
	s_delay_alu instid0(VALU_DEP_2) | instskip(NEXT) | instid1(VALU_DEP_1)
	v_cmp_ne_u32_e64 s0, 0x7f00000, v3
                                        ; implicit-def: $vgpr3
	v_cndmask_b32_e64 v2, 0x7e, v2, s0
; %bb.141:
	s_and_not1_saveexec_b32 s0, s9
; %bb.142:
	v_add_f32_e32 v2, 0x46800000, v3
; %bb.143:
	s_or_b32 exec_lo, exec_lo, s0
                                        ; implicit-def: $vgpr3
.LBB274_144:
	s_and_not1_saveexec_b32 s8, s8
; %bb.145:
	v_mov_b32_e32 v2, 0x7f
	v_cmp_lt_u32_e64 s0, 0x7f800000, v3
	s_delay_alu instid0(VALU_DEP_1)
	v_cndmask_b32_e64 v2, 0x7e, v2, s0
; %bb.146:
	s_or_b32 exec_lo, exec_lo, s8
	flat_store_b8 v[0:1], v2
.LBB274_147:
	s_wait_xcnt 0x0
	s_or_b32 exec_lo, exec_lo, s7
                                        ; implicit-def: $vgpr0_vgpr1
.LBB274_148:
	s_and_not1_saveexec_b32 s6, s6
	s_cbranch_execz .LBB274_158
; %bb.149:
	v_cndmask_b32_e64 v3, 0, 1.0, vcc_lo
	s_mov_b32 s7, exec_lo
                                        ; implicit-def: $vgpr2
	s_delay_alu instid0(VALU_DEP_1)
	v_cmpx_gt_u32_e32 0x47800000, v3
	s_xor_b32 s7, exec_lo, s7
	s_cbranch_execz .LBB274_155
; %bb.150:
	v_cmp_lt_u32_e64 s0, 0x387fffff, v3
                                        ; implicit-def: $vgpr2
	s_and_saveexec_b32 s8, s0
	s_delay_alu instid0(SALU_CYCLE_1)
	s_xor_b32 s0, exec_lo, s8
; %bb.151:
	v_bfe_u32 v2, v3, 21, 1
	s_delay_alu instid0(VALU_DEP_1) | instskip(NEXT) | instid1(VALU_DEP_1)
	v_add3_u32 v2, v3, v2, 0x80fffff
                                        ; implicit-def: $vgpr3
	v_lshrrev_b32_e32 v2, 21, v2
; %bb.152:
	s_and_not1_saveexec_b32 s0, s0
; %bb.153:
	v_add_f32_e32 v2, 0x43000000, v3
; %bb.154:
	s_or_b32 exec_lo, exec_lo, s0
                                        ; implicit-def: $vgpr3
.LBB274_155:
	s_and_not1_saveexec_b32 s7, s7
; %bb.156:
	v_mov_b32_e32 v2, 0x7f
	v_cmp_lt_u32_e64 s0, 0x7f800000, v3
	s_delay_alu instid0(VALU_DEP_1)
	v_cndmask_b32_e64 v2, 0x7c, v2, s0
; %bb.157:
	s_or_b32 exec_lo, exec_lo, s7
	flat_store_b8 v[0:1], v2
.LBB274_158:
	s_wait_xcnt 0x0
	s_or_b32 exec_lo, exec_lo, s6
	s_delay_alu instid0(SALU_CYCLE_1)
	s_or_b32 s6, s1, exec_lo
                                        ; implicit-def: $vgpr2
                                        ; implicit-def: $vgpr0_vgpr1
.LBB274_159:
	s_or_saveexec_b32 s5, s5
	s_mov_b32 s0, s3
	s_xor_b32 exec_lo, exec_lo, s5
	s_cbranch_execz .LBB274_169
; %bb.160:
	s_mov_b32 s7, s6
	s_mov_b32 s8, s3
	s_mov_b32 s9, exec_lo
	v_cmpx_lt_i16_e32 14, v2
	s_xor_b32 s9, exec_lo, s9
	s_cbranch_execz .LBB274_164
; %bb.161:
	s_mov_b32 s8, -1
	s_mov_b32 s7, s6
	s_mov_b32 s10, exec_lo
	v_cmpx_eq_u16_e32 15, v2
	s_cbranch_execz .LBB274_163
; %bb.162:
	v_cndmask_b32_e64 v2, 0, 1.0, vcc_lo
	s_xor_b32 s8, exec_lo, -1
	s_or_b32 s7, s6, exec_lo
	s_delay_alu instid0(VALU_DEP_1) | instskip(NEXT) | instid1(VALU_DEP_1)
	v_bfe_u32 v3, v2, 16, 1
	v_add3_u32 v2, v2, v3, 0x7fff
	flat_store_d16_hi_b16 v[0:1], v2
.LBB274_163:
	s_wait_xcnt 0x0
	s_or_b32 exec_lo, exec_lo, s10
	s_delay_alu instid0(SALU_CYCLE_1)
	s_and_not1_b32 s0, s3, exec_lo
	s_and_b32 s8, s8, exec_lo
	s_and_not1_b32 s10, s6, exec_lo
	s_and_b32 s7, s7, exec_lo
	s_or_b32 s8, s0, s8
	s_or_b32 s7, s10, s7
                                        ; implicit-def: $vgpr2
                                        ; implicit-def: $vgpr0_vgpr1
.LBB274_164:
	s_and_not1_saveexec_b32 s9, s9
	s_cbranch_execz .LBB274_168
; %bb.165:
	s_mov_b32 s11, -1
	s_mov_b32 s10, s7
	s_mov_b32 s12, exec_lo
	v_cmpx_eq_u16_e32 11, v2
	s_cbranch_execz .LBB274_167
; %bb.166:
	v_cndmask_b32_e64 v2, 0, 1, vcc_lo
	s_xor_b32 s11, exec_lo, -1
	s_or_b32 s10, s7, exec_lo
	flat_store_b8 v[0:1], v2
.LBB274_167:
	s_wait_xcnt 0x0
	s_or_b32 exec_lo, exec_lo, s12
	s_delay_alu instid0(SALU_CYCLE_1)
	s_and_not1_b32 s0, s8, exec_lo
	s_and_b32 s8, s11, exec_lo
	s_and_not1_b32 s7, s7, exec_lo
	s_and_b32 s10, s10, exec_lo
	s_or_b32 s8, s0, s8
	s_or_b32 s7, s7, s10
.LBB274_168:
	s_or_b32 exec_lo, exec_lo, s9
	s_delay_alu instid0(SALU_CYCLE_1)
	s_and_not1_b32 s0, s3, exec_lo
	s_and_b32 s8, s8, exec_lo
	s_and_not1_b32 s6, s6, exec_lo
	s_and_b32 s7, s7, exec_lo
	s_or_b32 s0, s0, s8
	s_or_b32 s6, s6, s7
.LBB274_169:
	s_or_b32 exec_lo, exec_lo, s5
	s_delay_alu instid0(SALU_CYCLE_1)
	s_and_not1_b32 s3, s3, exec_lo
	s_and_b32 s0, s0, exec_lo
	s_and_not1_b32 s1, s1, exec_lo
	s_and_b32 s5, s6, exec_lo
	s_or_b32 s3, s3, s0
	s_or_b32 s1, s1, s5
.LBB274_170:
	s_or_b32 exec_lo, exec_lo, s4
	s_delay_alu instid0(SALU_CYCLE_1)
	s_and_not1_b32 s0, s14, exec_lo
	s_and_b32 s3, s3, exec_lo
	s_and_b32 s1, s1, exec_lo
	s_or_b32 s3, s0, s3
                                        ; implicit-def: $vgpr2
                                        ; implicit-def: $vgpr0_vgpr1
	s_and_not1_saveexec_b32 s2, s2
	s_cbranch_execnz .LBB274_2190
.LBB274_171:
	s_or_b32 exec_lo, exec_lo, s2
	s_mov_b32 s0, 0
	s_and_saveexec_b32 s2, s1
.LBB274_172:
	v_add_nc_u32_e32 v16, 0x80, v16
	s_mov_b32 s0, exec_lo
.LBB274_173:
	s_or_b32 exec_lo, exec_lo, s2
	s_delay_alu instid0(SALU_CYCLE_1)
	s_and_not1_b32 s1, s14, exec_lo
	s_and_b32 s2, s3, exec_lo
	s_or_not1_b32 s3, s0, exec_lo
	s_or_b32 s19, s1, s2
.LBB274_174:
	s_or_b32 exec_lo, exec_lo, s20
	s_mov_b32 s0, 0
	s_mov_b32 s2, 0
                                        ; implicit-def: $sgpr1
                                        ; implicit-def: $vgpr2
                                        ; implicit-def: $vgpr0_vgpr1
	s_and_saveexec_b32 s20, s3
	s_cbranch_execz .LBB274_346
; %bb.175:
	s_mov_b32 s3, -1
	s_mov_b32 s22, s19
	s_mov_b32 s21, exec_lo
	v_cmpx_gt_i32_e64 s17, v16
	s_cbranch_execz .LBB274_261
; %bb.176:
	s_wait_loadcnt 0x1
	v_dual_mov_b32 v0, v17 :: v_dual_mov_b32 v1, v24
	v_dual_mov_b32 v2, v25 :: v_dual_mov_b32 v3, v22
	v_dual_mov_b32 v4, v23 :: v_dual_mov_b32 v5, v20
	v_dual_mov_b32 v6, v21 :: v_dual_mov_b32 v7, v16
	s_get_pc_i64 s[0:1]
	s_add_nc_u64 s[0:1], s[0:1], _ZN2at6native6invokeINS0_13BinaryFunctorIN3c1013Float8_e4m3fnES4_bNS0_12_GLOBAL__N_116CompareEqFunctorIS4_EEEEi15function_traitsIS8_EEENT1_11result_typeERKT_PrKPcPKT0_PKNS3_10ScalarTypeEi@rel64+4
	s_delay_alu instid0(SALU_CYCLE_1)
	s_swap_pc_i64 s[30:31], s[0:1]
	v_and_b32_e32 v0, 1, v0
	v_and_b32_e32 v2, 0xff, v27
	s_mov_b32 s1, 0
	s_mov_b32 s3, s19
	s_mov_b32 s2, exec_lo
	v_cmp_eq_u32_e32 vcc_lo, 1, v0
	v_mul_lo_u32 v0, v26, v16
	s_delay_alu instid0(VALU_DEP_1) | instskip(NEXT) | instid1(VALU_DEP_1)
	v_ashrrev_i32_e32 v1, 31, v0
	v_add_nc_u64_e32 v[0:1], v[18:19], v[0:1]
	v_cmpx_lt_i16_e32 10, v2
	s_xor_b32 s2, exec_lo, s2
	s_cbranch_execz .LBB274_2282
; %bb.177:
	s_mov_b32 s3, s19
	s_mov_b32 s4, exec_lo
	v_cmpx_lt_i16_e32 25, v2
	s_xor_b32 s4, exec_lo, s4
	s_cbranch_execz .LBB274_213
; %bb.178:
	s_mov_b32 s5, s19
	s_mov_b32 s3, exec_lo
	;; [unrolled: 6-line block ×3, first 2 shown]
	v_cmpx_lt_i16_e32 43, v2
	s_xor_b32 s5, exec_lo, s5
	s_cbranch_execz .LBB274_191
; %bb.180:
	s_mov_b32 s6, 0
	s_mov_b32 s7, s19
	s_mov_b32 s1, exec_lo
	v_cmpx_lt_i16_e32 45, v2
	s_xor_b32 s1, exec_lo, s1
	s_cbranch_execz .LBB274_184
; %bb.181:
	s_mov_b32 s8, -1
	s_mov_b32 s7, exec_lo
	v_cmpx_eq_u16_e32 46, v2
	s_cbranch_execz .LBB274_183
; %bb.182:
	v_cndmask_b32_e64 v2, 0, 1.0, vcc_lo
	s_mov_b32 s6, exec_lo
	s_xor_b32 s8, exec_lo, -1
	s_delay_alu instid0(VALU_DEP_1) | instskip(NEXT) | instid1(VALU_DEP_1)
	v_bfe_u32 v3, v2, 16, 1
	v_add3_u32 v2, v2, v3, 0x7fff
	s_delay_alu instid0(VALU_DEP_1)
	v_lshrrev_b32_e32 v2, 16, v2
	flat_store_b32 v[0:1], v2
.LBB274_183:
	s_wait_xcnt 0x0
	s_or_b32 exec_lo, exec_lo, s7
	s_delay_alu instid0(SALU_CYCLE_1)
	s_and_not1_b32 s0, s19, exec_lo
	s_and_b32 s7, s8, exec_lo
	s_and_b32 s6, s6, exec_lo
	s_or_b32 s7, s0, s7
                                        ; implicit-def: $vgpr2
                                        ; implicit-def: $vgpr0_vgpr1
.LBB274_184:
	s_and_not1_saveexec_b32 s8, s1
	s_cbranch_execz .LBB274_190
; %bb.185:
	s_mov_b32 s10, -1
	s_mov_b32 s1, s6
	s_mov_b32 s9, exec_lo
	v_cmpx_eq_u16_e32 44, v2
	s_cbranch_execz .LBB274_189
; %bb.186:
	v_cndmask_b32_e64 v4, 0, 1.0, vcc_lo
	s_mov_b32 s10, exec_lo
	s_delay_alu instid0(VALU_DEP_1) | instskip(NEXT) | instid1(VALU_DEP_1)
	v_dual_mov_b32 v3, 0xff :: v_dual_lshrrev_b32 v2, 23, v4
	v_cmpx_ne_u32_e32 0xff, v2
; %bb.187:
	v_and_b32_e32 v3, 0x400000, v4
	v_and_or_b32 v4, 0x3fffff, v4, v2
	s_delay_alu instid0(VALU_DEP_2) | instskip(NEXT) | instid1(VALU_DEP_2)
	v_cmp_ne_u32_e64 s0, 0, v3
	v_cmp_ne_u32_e64 s1, 0, v4
	s_and_b32 s0, s0, s1
	s_delay_alu instid0(SALU_CYCLE_1) | instskip(NEXT) | instid1(VALU_DEP_1)
	v_cndmask_b32_e64 v3, 0, 1, s0
	v_add_nc_u32_e32 v3, v2, v3
; %bb.188:
	s_or_b32 exec_lo, exec_lo, s10
	s_delay_alu instid0(SALU_CYCLE_1)
	s_xor_b32 s10, exec_lo, -1
	s_or_b32 s1, s6, exec_lo
	flat_store_b8 v[0:1], v3
.LBB274_189:
	s_wait_xcnt 0x0
	s_or_b32 exec_lo, exec_lo, s9
	s_delay_alu instid0(SALU_CYCLE_1)
	s_and_not1_b32 s0, s7, exec_lo
	s_and_b32 s7, s10, exec_lo
	s_and_not1_b32 s6, s6, exec_lo
	s_and_b32 s1, s1, exec_lo
	s_or_b32 s7, s0, s7
	s_or_b32 s6, s6, s1
.LBB274_190:
	s_or_b32 exec_lo, exec_lo, s8
	s_delay_alu instid0(SALU_CYCLE_1) | instskip(SKIP_1) | instid1(SALU_CYCLE_1)
	s_and_not1_b32 s0, s19, exec_lo
	s_and_b32 s1, s7, exec_lo
                                        ; implicit-def: $vgpr2
                                        ; implicit-def: $vgpr0_vgpr1
	s_or_b32 s7, s0, s1
	s_and_b32 s1, s6, exec_lo
.LBB274_191:
	s_and_not1_saveexec_b32 s5, s5
	s_cbranch_execz .LBB274_195
; %bb.192:
	s_mov_b32 s9, -1
	s_mov_b32 s6, s1
	s_mov_b32 s8, exec_lo
	v_cmpx_eq_u16_e32 29, v2
	s_cbranch_execz .LBB274_194
; %bb.193:
	s_mov_b32 s0, 0
	v_cndmask_b32_e64 v2, 0, 1, vcc_lo
	v_mov_b32_e32 v3, s0
	s_xor_b32 s9, exec_lo, -1
	s_or_b32 s6, s1, exec_lo
	flat_store_b64 v[0:1], v[2:3]
.LBB274_194:
	s_wait_xcnt 0x0
	s_or_b32 exec_lo, exec_lo, s8
	s_delay_alu instid0(SALU_CYCLE_1)
	s_and_not1_b32 s0, s7, exec_lo
	s_and_b32 s7, s9, exec_lo
	s_and_not1_b32 s1, s1, exec_lo
	s_and_b32 s6, s6, exec_lo
	s_or_b32 s7, s0, s7
	s_or_b32 s1, s1, s6
.LBB274_195:
	s_or_b32 exec_lo, exec_lo, s5
	s_delay_alu instid0(SALU_CYCLE_1)
	s_and_not1_b32 s0, s19, exec_lo
	s_and_b32 s5, s7, exec_lo
	s_and_b32 s1, s1, exec_lo
	s_or_b32 s5, s0, s5
                                        ; implicit-def: $vgpr0_vgpr1
                                        ; implicit-def: $vgpr2
.LBB274_196:
	s_and_not1_saveexec_b32 s3, s3
	s_cbranch_execz .LBB274_212
; %bb.197:
	s_mov_b32 s6, exec_lo
	v_cmpx_lt_i16_e32 26, v2
	s_xor_b32 s6, exec_lo, s6
	s_cbranch_execz .LBB274_203
; %bb.198:
	v_cmp_lt_i16_e64 s0, 27, v2
	s_and_saveexec_b32 s7, s0
	s_delay_alu instid0(SALU_CYCLE_1)
	s_xor_b32 s0, exec_lo, s7
	s_cbranch_execz .LBB274_200
; %bb.199:
	v_cndmask_b32_e64 v2, 0, 1, vcc_lo
	flat_store_b32 v[0:1], v2
                                        ; implicit-def: $vgpr0_vgpr1
.LBB274_200:
	s_wait_xcnt 0x0
	s_and_not1_saveexec_b32 s0, s0
	s_cbranch_execz .LBB274_202
; %bb.201:
	v_cndmask_b32_e64 v2, 0, 1, vcc_lo
	flat_store_b16 v[0:1], v2
.LBB274_202:
	s_wait_xcnt 0x0
	s_or_b32 exec_lo, exec_lo, s0
                                        ; implicit-def: $vgpr0_vgpr1
.LBB274_203:
	s_and_not1_saveexec_b32 s6, s6
	s_cbranch_execz .LBB274_211
; %bb.204:
	v_cndmask_b32_e64 v3, 0, 1.0, vcc_lo
	v_mov_b32_e32 v4, 0x80
	s_mov_b32 s7, exec_lo
	s_delay_alu instid0(VALU_DEP_2)
	v_cmpx_gt_u32_e32 0x43800000, v3
	s_cbranch_execz .LBB274_210
; %bb.205:
	v_cmp_lt_u32_e64 s0, 0x3bffffff, v3
	s_mov_b32 s8, 0
                                        ; implicit-def: $vgpr2
	s_and_saveexec_b32 s9, s0
	s_delay_alu instid0(SALU_CYCLE_1)
	s_xor_b32 s0, exec_lo, s9
	s_cbranch_execz .LBB274_2593
; %bb.206:
	v_bfe_u32 v2, v3, 20, 1
	s_mov_b32 s8, exec_lo
	s_delay_alu instid0(VALU_DEP_1) | instskip(NEXT) | instid1(VALU_DEP_1)
	v_add3_u32 v2, v3, v2, 0x487ffff
                                        ; implicit-def: $vgpr3
	v_lshrrev_b32_e32 v2, 20, v2
	s_and_not1_saveexec_b32 s9, s0
	s_cbranch_execnz .LBB274_2594
.LBB274_207:
	s_or_b32 exec_lo, exec_lo, s9
	v_mov_b32_e32 v4, 0
	s_and_saveexec_b32 s0, s8
.LBB274_208:
	v_mov_b32_e32 v4, v2
.LBB274_209:
	s_or_b32 exec_lo, exec_lo, s0
.LBB274_210:
	s_delay_alu instid0(SALU_CYCLE_1)
	s_or_b32 exec_lo, exec_lo, s7
	flat_store_b8 v[0:1], v4
.LBB274_211:
	s_wait_xcnt 0x0
	s_or_b32 exec_lo, exec_lo, s6
	s_delay_alu instid0(SALU_CYCLE_1)
	s_or_b32 s1, s1, exec_lo
.LBB274_212:
	s_or_b32 exec_lo, exec_lo, s3
	s_delay_alu instid0(SALU_CYCLE_1)
	s_and_not1_b32 s0, s19, exec_lo
	s_and_b32 s3, s5, exec_lo
	s_and_b32 s1, s1, exec_lo
	s_or_b32 s3, s0, s3
                                        ; implicit-def: $vgpr2
                                        ; implicit-def: $vgpr0_vgpr1
.LBB274_213:
	s_and_not1_saveexec_b32 s4, s4
	s_cbranch_execz .LBB274_257
; %bb.214:
	s_mov_b32 s6, s1
	s_mov_b32 s5, exec_lo
	v_cmpx_lt_i16_e32 22, v2
	s_xor_b32 s5, exec_lo, s5
	s_cbranch_execz .LBB274_246
; %bb.215:
	s_mov_b32 s6, exec_lo
	v_cmpx_lt_i16_e32 23, v2
	s_xor_b32 s6, exec_lo, s6
	s_cbranch_execz .LBB274_235
; %bb.216:
	;; [unrolled: 5-line block ×3, first 2 shown]
	v_cndmask_b32_e64 v3, 0, 1.0, vcc_lo
	v_mov_b32_e32 v4, 0x80
	s_mov_b32 s8, exec_lo
	s_delay_alu instid0(VALU_DEP_2)
	v_cmpx_gt_u32_e32 0x47800000, v3
	s_cbranch_execz .LBB274_223
; %bb.218:
	v_cmp_lt_u32_e64 s0, 0x37ffffff, v3
	s_mov_b32 s9, 0
                                        ; implicit-def: $vgpr2
	s_and_saveexec_b32 s10, s0
	s_delay_alu instid0(SALU_CYCLE_1)
	s_xor_b32 s0, exec_lo, s10
	s_cbranch_execz .LBB274_2642
; %bb.219:
	v_bfe_u32 v2, v3, 21, 1
	s_mov_b32 s9, exec_lo
	s_delay_alu instid0(VALU_DEP_1) | instskip(NEXT) | instid1(VALU_DEP_1)
	v_add3_u32 v2, v3, v2, 0x88fffff
                                        ; implicit-def: $vgpr3
	v_lshrrev_b32_e32 v2, 21, v2
	s_and_not1_saveexec_b32 s10, s0
	s_cbranch_execnz .LBB274_2643
.LBB274_220:
	s_or_b32 exec_lo, exec_lo, s10
	v_mov_b32_e32 v4, 0
	s_and_saveexec_b32 s0, s9
.LBB274_221:
	v_mov_b32_e32 v4, v2
.LBB274_222:
	s_or_b32 exec_lo, exec_lo, s0
.LBB274_223:
	s_delay_alu instid0(SALU_CYCLE_1)
	s_or_b32 exec_lo, exec_lo, s8
	flat_store_b8 v[0:1], v4
                                        ; implicit-def: $vgpr0_vgpr1
.LBB274_224:
	s_wait_xcnt 0x0
	s_and_not1_saveexec_b32 s7, s7
	s_cbranch_execz .LBB274_234
; %bb.225:
	v_cndmask_b32_e64 v3, 0, 1.0, vcc_lo
	s_mov_b32 s8, exec_lo
                                        ; implicit-def: $vgpr2
	s_delay_alu instid0(VALU_DEP_1)
	v_cmpx_gt_u32_e32 0x43f00000, v3
	s_xor_b32 s8, exec_lo, s8
	s_cbranch_execz .LBB274_231
; %bb.226:
	s_mov_b32 s9, exec_lo
                                        ; implicit-def: $vgpr2
	v_cmpx_lt_u32_e32 0x3c7fffff, v3
	s_xor_b32 s9, exec_lo, s9
; %bb.227:
	v_bfe_u32 v2, v3, 20, 1
	s_delay_alu instid0(VALU_DEP_1) | instskip(NEXT) | instid1(VALU_DEP_1)
	v_add3_u32 v2, v3, v2, 0x407ffff
	v_and_b32_e32 v3, 0xff00000, v2
	v_lshrrev_b32_e32 v2, 20, v2
	s_delay_alu instid0(VALU_DEP_2) | instskip(NEXT) | instid1(VALU_DEP_1)
	v_cmp_ne_u32_e64 s0, 0x7f00000, v3
                                        ; implicit-def: $vgpr3
	v_cndmask_b32_e64 v2, 0x7e, v2, s0
; %bb.228:
	s_and_not1_saveexec_b32 s0, s9
; %bb.229:
	v_add_f32_e32 v2, 0x46800000, v3
; %bb.230:
	s_or_b32 exec_lo, exec_lo, s0
                                        ; implicit-def: $vgpr3
.LBB274_231:
	s_and_not1_saveexec_b32 s8, s8
; %bb.232:
	v_mov_b32_e32 v2, 0x7f
	v_cmp_lt_u32_e64 s0, 0x7f800000, v3
	s_delay_alu instid0(VALU_DEP_1)
	v_cndmask_b32_e64 v2, 0x7e, v2, s0
; %bb.233:
	s_or_b32 exec_lo, exec_lo, s8
	flat_store_b8 v[0:1], v2
.LBB274_234:
	s_wait_xcnt 0x0
	s_or_b32 exec_lo, exec_lo, s7
                                        ; implicit-def: $vgpr0_vgpr1
.LBB274_235:
	s_and_not1_saveexec_b32 s6, s6
	s_cbranch_execz .LBB274_245
; %bb.236:
	v_cndmask_b32_e64 v3, 0, 1.0, vcc_lo
	s_mov_b32 s7, exec_lo
                                        ; implicit-def: $vgpr2
	s_delay_alu instid0(VALU_DEP_1)
	v_cmpx_gt_u32_e32 0x47800000, v3
	s_xor_b32 s7, exec_lo, s7
	s_cbranch_execz .LBB274_242
; %bb.237:
	v_cmp_lt_u32_e64 s0, 0x387fffff, v3
                                        ; implicit-def: $vgpr2
	s_and_saveexec_b32 s8, s0
	s_delay_alu instid0(SALU_CYCLE_1)
	s_xor_b32 s0, exec_lo, s8
; %bb.238:
	v_bfe_u32 v2, v3, 21, 1
	s_delay_alu instid0(VALU_DEP_1) | instskip(NEXT) | instid1(VALU_DEP_1)
	v_add3_u32 v2, v3, v2, 0x80fffff
                                        ; implicit-def: $vgpr3
	v_lshrrev_b32_e32 v2, 21, v2
; %bb.239:
	s_and_not1_saveexec_b32 s0, s0
; %bb.240:
	v_add_f32_e32 v2, 0x43000000, v3
; %bb.241:
	s_or_b32 exec_lo, exec_lo, s0
                                        ; implicit-def: $vgpr3
.LBB274_242:
	s_and_not1_saveexec_b32 s7, s7
; %bb.243:
	v_mov_b32_e32 v2, 0x7f
	v_cmp_lt_u32_e64 s0, 0x7f800000, v3
	s_delay_alu instid0(VALU_DEP_1)
	v_cndmask_b32_e64 v2, 0x7c, v2, s0
; %bb.244:
	s_or_b32 exec_lo, exec_lo, s7
	flat_store_b8 v[0:1], v2
.LBB274_245:
	s_wait_xcnt 0x0
	s_or_b32 exec_lo, exec_lo, s6
	s_delay_alu instid0(SALU_CYCLE_1)
	s_or_b32 s6, s1, exec_lo
                                        ; implicit-def: $vgpr2
                                        ; implicit-def: $vgpr0_vgpr1
.LBB274_246:
	s_or_saveexec_b32 s5, s5
	s_mov_b32 s0, s3
	s_xor_b32 exec_lo, exec_lo, s5
	s_cbranch_execz .LBB274_256
; %bb.247:
	s_mov_b32 s7, s6
	s_mov_b32 s8, s3
	s_mov_b32 s9, exec_lo
	v_cmpx_lt_i16_e32 14, v2
	s_xor_b32 s9, exec_lo, s9
	s_cbranch_execz .LBB274_251
; %bb.248:
	s_mov_b32 s8, -1
	s_mov_b32 s7, s6
	s_mov_b32 s10, exec_lo
	v_cmpx_eq_u16_e32 15, v2
	s_cbranch_execz .LBB274_250
; %bb.249:
	v_cndmask_b32_e64 v2, 0, 1.0, vcc_lo
	s_xor_b32 s8, exec_lo, -1
	s_or_b32 s7, s6, exec_lo
	s_delay_alu instid0(VALU_DEP_1) | instskip(NEXT) | instid1(VALU_DEP_1)
	v_bfe_u32 v3, v2, 16, 1
	v_add3_u32 v2, v2, v3, 0x7fff
	flat_store_d16_hi_b16 v[0:1], v2
.LBB274_250:
	s_wait_xcnt 0x0
	s_or_b32 exec_lo, exec_lo, s10
	s_delay_alu instid0(SALU_CYCLE_1)
	s_and_not1_b32 s0, s3, exec_lo
	s_and_b32 s8, s8, exec_lo
	s_and_not1_b32 s10, s6, exec_lo
	s_and_b32 s7, s7, exec_lo
	s_or_b32 s8, s0, s8
	s_or_b32 s7, s10, s7
                                        ; implicit-def: $vgpr2
                                        ; implicit-def: $vgpr0_vgpr1
.LBB274_251:
	s_and_not1_saveexec_b32 s9, s9
	s_cbranch_execz .LBB274_255
; %bb.252:
	s_mov_b32 s11, -1
	s_mov_b32 s10, s7
	s_mov_b32 s12, exec_lo
	v_cmpx_eq_u16_e32 11, v2
	s_cbranch_execz .LBB274_254
; %bb.253:
	v_cndmask_b32_e64 v2, 0, 1, vcc_lo
	s_xor_b32 s11, exec_lo, -1
	s_or_b32 s10, s7, exec_lo
	flat_store_b8 v[0:1], v2
.LBB274_254:
	s_wait_xcnt 0x0
	s_or_b32 exec_lo, exec_lo, s12
	s_delay_alu instid0(SALU_CYCLE_1)
	s_and_not1_b32 s0, s8, exec_lo
	s_and_b32 s8, s11, exec_lo
	s_and_not1_b32 s7, s7, exec_lo
	s_and_b32 s10, s10, exec_lo
	s_or_b32 s8, s0, s8
	s_or_b32 s7, s7, s10
.LBB274_255:
	s_or_b32 exec_lo, exec_lo, s9
	s_delay_alu instid0(SALU_CYCLE_1)
	s_and_not1_b32 s0, s3, exec_lo
	s_and_b32 s8, s8, exec_lo
	s_and_not1_b32 s6, s6, exec_lo
	s_and_b32 s7, s7, exec_lo
	s_or_b32 s0, s0, s8
	s_or_b32 s6, s6, s7
.LBB274_256:
	s_or_b32 exec_lo, exec_lo, s5
	s_delay_alu instid0(SALU_CYCLE_1)
	s_and_not1_b32 s3, s3, exec_lo
	s_and_b32 s0, s0, exec_lo
	s_and_not1_b32 s1, s1, exec_lo
	s_and_b32 s5, s6, exec_lo
	s_or_b32 s3, s3, s0
	s_or_b32 s1, s1, s5
.LBB274_257:
	s_or_b32 exec_lo, exec_lo, s4
	s_delay_alu instid0(SALU_CYCLE_1)
	s_and_not1_b32 s0, s19, exec_lo
	s_and_b32 s3, s3, exec_lo
	s_and_b32 s1, s1, exec_lo
	s_or_b32 s3, s0, s3
                                        ; implicit-def: $vgpr2
                                        ; implicit-def: $vgpr0_vgpr1
	s_and_not1_saveexec_b32 s2, s2
	s_cbranch_execnz .LBB274_2283
.LBB274_258:
	s_or_b32 exec_lo, exec_lo, s2
	s_mov_b32 s0, 0
	s_and_saveexec_b32 s2, s1
.LBB274_259:
	v_add_nc_u32_e32 v16, 0x80, v16
	s_mov_b32 s0, exec_lo
.LBB274_260:
	s_or_b32 exec_lo, exec_lo, s2
	s_delay_alu instid0(SALU_CYCLE_1)
	s_and_not1_b32 s1, s19, exec_lo
	s_and_b32 s2, s3, exec_lo
	s_or_not1_b32 s3, s0, exec_lo
	s_or_b32 s22, s1, s2
.LBB274_261:
	s_or_b32 exec_lo, exec_lo, s21
	s_mov_b32 s0, 0
	s_mov_b32 s2, 0
                                        ; implicit-def: $sgpr1
                                        ; implicit-def: $vgpr2
                                        ; implicit-def: $vgpr0_vgpr1
	s_and_saveexec_b32 s21, s3
	s_cbranch_execz .LBB274_345
; %bb.262:
	v_cmp_gt_i32_e32 vcc_lo, s17, v16
	s_mov_b32 s3, s22
                                        ; implicit-def: $sgpr1
                                        ; implicit-def: $vgpr2
                                        ; implicit-def: $vgpr0_vgpr1
	s_and_saveexec_b32 s17, vcc_lo
	s_cbranch_execz .LBB274_344
; %bb.263:
	s_wait_loadcnt 0x1
	v_dual_mov_b32 v0, v17 :: v_dual_mov_b32 v1, v24
	v_dual_mov_b32 v2, v25 :: v_dual_mov_b32 v3, v22
	;; [unrolled: 1-line block ×4, first 2 shown]
	s_get_pc_i64 s[0:1]
	s_add_nc_u64 s[0:1], s[0:1], _ZN2at6native6invokeINS0_13BinaryFunctorIN3c1013Float8_e4m3fnES4_bNS0_12_GLOBAL__N_116CompareEqFunctorIS4_EEEEi15function_traitsIS8_EEENT1_11result_typeERKT_PrKPcPKT0_PKNS3_10ScalarTypeEi@rel64+4
	s_delay_alu instid0(SALU_CYCLE_1)
	s_swap_pc_i64 s[30:31], s[0:1]
	v_and_b32_e32 v0, 1, v0
	v_and_b32_e32 v2, 0xff, v27
	s_mov_b32 s0, 0
	s_mov_b32 s3, -1
	s_mov_b32 s4, s22
	v_cmp_eq_u32_e64 s1, 1, v0
	v_mul_lo_u32 v0, v26, v16
	s_mov_b32 s2, exec_lo
	s_delay_alu instid0(VALU_DEP_1) | instskip(NEXT) | instid1(VALU_DEP_1)
	v_ashrrev_i32_e32 v1, 31, v0
	v_add_nc_u64_e32 v[0:1], v[18:19], v[0:1]
	v_cmpx_lt_i16_e32 10, v2
	s_cbranch_execz .LBB274_343
; %bb.264:
	s_mov_b32 s0, s22
	s_mov_b32 s3, exec_lo
	v_cmpx_lt_i16_e32 25, v2
	s_xor_b32 s3, exec_lo, s3
	s_cbranch_execz .LBB274_300
; %bb.265:
	s_mov_b32 s0, s22
	s_mov_b32 s4, exec_lo
	v_cmpx_lt_i16_e32 28, v2
	s_xor_b32 s4, exec_lo, s4
	;; [unrolled: 6-line block ×4, first 2 shown]
	s_cbranch_execz .LBB274_271
; %bb.268:
	s_mov_b32 s7, -1
	s_mov_b32 s6, exec_lo
	v_cmpx_eq_u16_e32 46, v2
	s_cbranch_execz .LBB274_270
; %bb.269:
	v_cndmask_b32_e64 v3, 0, 1.0, s1
	s_xor_b32 s7, exec_lo, -1
	s_delay_alu instid0(VALU_DEP_1) | instskip(NEXT) | instid1(VALU_DEP_1)
	v_bfe_u32 v4, v3, 16, 1
	v_add3_u32 v3, v3, v4, 0x7fff
	s_delay_alu instid0(VALU_DEP_1)
	v_lshrrev_b32_e32 v3, 16, v3
	flat_store_b32 v[0:1], v3
.LBB274_270:
	s_wait_xcnt 0x0
	s_or_b32 exec_lo, exec_lo, s6
	s_delay_alu instid0(SALU_CYCLE_1) | instskip(SKIP_1) | instid1(SALU_CYCLE_1)
	s_and_not1_b32 s6, s22, exec_lo
	s_and_b32 s7, s7, exec_lo
	s_or_b32 s6, s6, s7
.LBB274_271:
	s_and_not1_saveexec_b32 s7, s0
	s_cbranch_execz .LBB274_277
; %bb.272:
	s_mov_b32 s0, -1
	s_mov_b32 s8, exec_lo
	v_cmpx_eq_u16_e32 44, v2
	s_cbranch_execz .LBB274_276
; %bb.273:
	v_cndmask_b32_e64 v5, 0, 1.0, s1
	s_mov_b32 s9, exec_lo
	s_delay_alu instid0(VALU_DEP_1) | instskip(NEXT) | instid1(VALU_DEP_1)
	v_dual_mov_b32 v4, 0xff :: v_dual_lshrrev_b32 v3, 23, v5
	v_cmpx_ne_u32_e32 0xff, v3
; %bb.274:
	v_and_b32_e32 v4, 0x400000, v5
	v_and_or_b32 v5, 0x3fffff, v5, v3
	s_delay_alu instid0(VALU_DEP_2) | instskip(NEXT) | instid1(VALU_DEP_2)
	v_cmp_ne_u32_e32 vcc_lo, 0, v4
	v_cmp_ne_u32_e64 s0, 0, v5
	s_and_b32 s0, vcc_lo, s0
	s_delay_alu instid0(SALU_CYCLE_1) | instskip(NEXT) | instid1(VALU_DEP_1)
	v_cndmask_b32_e64 v4, 0, 1, s0
	v_add_nc_u32_e32 v4, v3, v4
; %bb.275:
	s_or_b32 exec_lo, exec_lo, s9
	s_delay_alu instid0(SALU_CYCLE_1)
	s_xor_b32 s0, exec_lo, -1
	flat_store_b8 v[0:1], v4
.LBB274_276:
	s_wait_xcnt 0x0
	s_or_b32 exec_lo, exec_lo, s8
	s_delay_alu instid0(SALU_CYCLE_1) | instskip(SKIP_1) | instid1(SALU_CYCLE_1)
	s_and_not1_b32 s6, s6, exec_lo
	s_and_b32 s0, s0, exec_lo
	s_or_b32 s6, s6, s0
.LBB274_277:
	s_or_b32 exec_lo, exec_lo, s7
	s_delay_alu instid0(SALU_CYCLE_1) | instskip(SKIP_1) | instid1(SALU_CYCLE_1)
	s_and_not1_b32 s0, s22, exec_lo
	s_and_b32 s6, s6, exec_lo
	s_or_b32 s0, s0, s6
.LBB274_278:
	s_and_not1_saveexec_b32 s5, s5
	s_cbranch_execz .LBB274_282
; %bb.279:
	s_mov_b32 s7, -1
	s_mov_b32 s6, exec_lo
	v_cmpx_eq_u16_e32 29, v2
	s_cbranch_execz .LBB274_281
; %bb.280:
	s_mov_b32 s7, 0
	v_cndmask_b32_e64 v4, 0, 1, s1
	v_mov_b32_e32 v5, s7
	s_xor_b32 s7, exec_lo, -1
	flat_store_b64 v[0:1], v[4:5]
.LBB274_281:
	s_wait_xcnt 0x0
	s_or_b32 exec_lo, exec_lo, s6
	s_delay_alu instid0(SALU_CYCLE_1) | instskip(SKIP_1) | instid1(SALU_CYCLE_1)
	s_and_not1_b32 s0, s0, exec_lo
	s_and_b32 s6, s7, exec_lo
	s_or_b32 s0, s0, s6
.LBB274_282:
	s_or_b32 exec_lo, exec_lo, s5
	s_delay_alu instid0(SALU_CYCLE_1) | instskip(SKIP_1) | instid1(SALU_CYCLE_1)
	s_and_not1_b32 s5, s22, exec_lo
	s_and_b32 s0, s0, exec_lo
	s_or_b32 s0, s5, s0
.LBB274_283:
	s_and_not1_saveexec_b32 s4, s4
	s_cbranch_execz .LBB274_299
; %bb.284:
	s_mov_b32 s5, exec_lo
	v_cmpx_lt_i16_e32 26, v2
	s_xor_b32 s5, exec_lo, s5
	s_cbranch_execz .LBB274_290
; %bb.285:
	v_cndmask_b32_e64 v3, 0, 1, s1
	s_mov_b32 s6, exec_lo
	v_cmpx_lt_i16_e32 27, v2
	s_xor_b32 s6, exec_lo, s6
	s_cbranch_execz .LBB274_287
; %bb.286:
	flat_store_b32 v[0:1], v3
                                        ; implicit-def: $vgpr3
.LBB274_287:
	s_wait_xcnt 0x0
	s_and_not1_saveexec_b32 s6, s6
	s_cbranch_execz .LBB274_289
; %bb.288:
	flat_store_b16 v[0:1], v3
.LBB274_289:
	s_wait_xcnt 0x0
	s_or_b32 exec_lo, exec_lo, s6
.LBB274_290:
	s_and_not1_saveexec_b32 s5, s5
	s_cbranch_execz .LBB274_298
; %bb.291:
	v_cndmask_b32_e64 v4, 0, 1.0, s1
	v_mov_b32_e32 v5, 0x80
	s_mov_b32 s6, exec_lo
	s_delay_alu instid0(VALU_DEP_2)
	v_cmpx_gt_u32_e32 0x43800000, v4
	s_cbranch_execz .LBB274_297
; %bb.292:
	s_mov_b32 s7, 0
	s_mov_b32 s8, exec_lo
                                        ; implicit-def: $vgpr3
	v_cmpx_lt_u32_e32 0x3bffffff, v4
	s_xor_b32 s8, exec_lo, s8
	s_cbranch_execz .LBB274_2644
; %bb.293:
	v_bfe_u32 v3, v4, 20, 1
	s_mov_b32 s7, exec_lo
	s_delay_alu instid0(VALU_DEP_1) | instskip(NEXT) | instid1(VALU_DEP_1)
	v_add3_u32 v3, v4, v3, 0x487ffff
                                        ; implicit-def: $vgpr4
	v_lshrrev_b32_e32 v3, 20, v3
	s_and_not1_saveexec_b32 s8, s8
	s_cbranch_execnz .LBB274_2645
.LBB274_294:
	s_or_b32 exec_lo, exec_lo, s8
	v_mov_b32_e32 v5, 0
	s_and_saveexec_b32 s8, s7
.LBB274_295:
	v_mov_b32_e32 v5, v3
.LBB274_296:
	s_or_b32 exec_lo, exec_lo, s8
.LBB274_297:
	s_delay_alu instid0(SALU_CYCLE_1)
	s_or_b32 exec_lo, exec_lo, s6
	flat_store_b8 v[0:1], v5
.LBB274_298:
	s_wait_xcnt 0x0
	s_or_b32 exec_lo, exec_lo, s5
.LBB274_299:
	s_delay_alu instid0(SALU_CYCLE_1) | instskip(NEXT) | instid1(SALU_CYCLE_1)
	s_or_b32 exec_lo, exec_lo, s4
	s_and_not1_b32 s4, s22, exec_lo
	s_and_b32 s0, s0, exec_lo
	s_delay_alu instid0(SALU_CYCLE_1)
	s_or_b32 s0, s4, s0
.LBB274_300:
	s_or_saveexec_b32 s3, s3
	s_mov_b32 s4, 0
	s_xor_b32 exec_lo, exec_lo, s3
	s_cbranch_execz .LBB274_342
; %bb.301:
	s_mov_b32 s4, exec_lo
	v_cmpx_lt_i16_e32 22, v2
	s_xor_b32 s4, exec_lo, s4
	s_cbranch_execz .LBB274_333
; %bb.302:
	s_mov_b32 s5, exec_lo
	v_cmpx_lt_i16_e32 23, v2
	s_xor_b32 s5, exec_lo, s5
	;; [unrolled: 5-line block ×3, first 2 shown]
	s_cbranch_execz .LBB274_311
; %bb.304:
	v_cndmask_b32_e64 v4, 0, 1.0, s1
	v_mov_b32_e32 v5, 0x80
	s_mov_b32 s7, exec_lo
	s_delay_alu instid0(VALU_DEP_2)
	v_cmpx_gt_u32_e32 0x47800000, v4
	s_cbranch_execz .LBB274_310
; %bb.305:
	s_mov_b32 s8, 0
	s_mov_b32 s9, exec_lo
                                        ; implicit-def: $vgpr3
	v_cmpx_lt_u32_e32 0x37ffffff, v4
	s_xor_b32 s9, exec_lo, s9
	s_cbranch_execz .LBB274_2693
; %bb.306:
	v_bfe_u32 v3, v4, 21, 1
	s_mov_b32 s8, exec_lo
	s_delay_alu instid0(VALU_DEP_1) | instskip(NEXT) | instid1(VALU_DEP_1)
	v_add3_u32 v3, v4, v3, 0x88fffff
                                        ; implicit-def: $vgpr4
	v_lshrrev_b32_e32 v3, 21, v3
	s_and_not1_saveexec_b32 s9, s9
	s_cbranch_execnz .LBB274_2694
.LBB274_307:
	s_or_b32 exec_lo, exec_lo, s9
	v_mov_b32_e32 v5, 0
	s_and_saveexec_b32 s9, s8
.LBB274_308:
	v_mov_b32_e32 v5, v3
.LBB274_309:
	s_or_b32 exec_lo, exec_lo, s9
.LBB274_310:
	s_delay_alu instid0(SALU_CYCLE_1)
	s_or_b32 exec_lo, exec_lo, s7
	flat_store_b8 v[0:1], v5
.LBB274_311:
	s_wait_xcnt 0x0
	s_and_not1_saveexec_b32 s6, s6
	s_cbranch_execz .LBB274_321
; %bb.312:
	v_cndmask_b32_e64 v4, 0, 1.0, s1
	s_mov_b32 s7, exec_lo
                                        ; implicit-def: $vgpr3
	s_delay_alu instid0(VALU_DEP_1)
	v_cmpx_gt_u32_e32 0x43f00000, v4
	s_xor_b32 s7, exec_lo, s7
	s_cbranch_execz .LBB274_318
; %bb.313:
	s_mov_b32 s8, exec_lo
                                        ; implicit-def: $vgpr3
	v_cmpx_lt_u32_e32 0x3c7fffff, v4
	s_xor_b32 s8, exec_lo, s8
; %bb.314:
	v_bfe_u32 v3, v4, 20, 1
	s_delay_alu instid0(VALU_DEP_1) | instskip(NEXT) | instid1(VALU_DEP_1)
	v_add3_u32 v3, v4, v3, 0x407ffff
	v_and_b32_e32 v4, 0xff00000, v3
	v_lshrrev_b32_e32 v3, 20, v3
	s_delay_alu instid0(VALU_DEP_2) | instskip(NEXT) | instid1(VALU_DEP_2)
	v_cmp_ne_u32_e32 vcc_lo, 0x7f00000, v4
                                        ; implicit-def: $vgpr4
	v_cndmask_b32_e32 v3, 0x7e, v3, vcc_lo
; %bb.315:
	s_and_not1_saveexec_b32 s8, s8
; %bb.316:
	v_add_f32_e32 v3, 0x46800000, v4
; %bb.317:
	s_or_b32 exec_lo, exec_lo, s8
                                        ; implicit-def: $vgpr4
.LBB274_318:
	s_and_not1_saveexec_b32 s7, s7
; %bb.319:
	v_mov_b32_e32 v3, 0x7f
	v_cmp_lt_u32_e32 vcc_lo, 0x7f800000, v4
	s_delay_alu instid0(VALU_DEP_2)
	v_cndmask_b32_e32 v3, 0x7e, v3, vcc_lo
; %bb.320:
	s_or_b32 exec_lo, exec_lo, s7
	flat_store_b8 v[0:1], v3
.LBB274_321:
	s_wait_xcnt 0x0
	s_or_b32 exec_lo, exec_lo, s6
.LBB274_322:
	s_and_not1_saveexec_b32 s5, s5
	s_cbranch_execz .LBB274_332
; %bb.323:
	v_cndmask_b32_e64 v4, 0, 1.0, s1
	s_mov_b32 s6, exec_lo
                                        ; implicit-def: $vgpr3
	s_delay_alu instid0(VALU_DEP_1)
	v_cmpx_gt_u32_e32 0x47800000, v4
	s_xor_b32 s6, exec_lo, s6
	s_cbranch_execz .LBB274_329
; %bb.324:
	s_mov_b32 s7, exec_lo
                                        ; implicit-def: $vgpr3
	v_cmpx_lt_u32_e32 0x387fffff, v4
	s_xor_b32 s7, exec_lo, s7
; %bb.325:
	v_bfe_u32 v3, v4, 21, 1
	s_delay_alu instid0(VALU_DEP_1) | instskip(NEXT) | instid1(VALU_DEP_1)
	v_add3_u32 v3, v4, v3, 0x80fffff
                                        ; implicit-def: $vgpr4
	v_lshrrev_b32_e32 v3, 21, v3
; %bb.326:
	s_and_not1_saveexec_b32 s7, s7
; %bb.327:
	v_add_f32_e32 v3, 0x43000000, v4
; %bb.328:
	s_or_b32 exec_lo, exec_lo, s7
                                        ; implicit-def: $vgpr4
.LBB274_329:
	s_and_not1_saveexec_b32 s6, s6
; %bb.330:
	v_mov_b32_e32 v3, 0x7f
	v_cmp_lt_u32_e32 vcc_lo, 0x7f800000, v4
	s_delay_alu instid0(VALU_DEP_2)
	v_cndmask_b32_e32 v3, 0x7c, v3, vcc_lo
; %bb.331:
	s_or_b32 exec_lo, exec_lo, s6
	flat_store_b8 v[0:1], v3
.LBB274_332:
	s_wait_xcnt 0x0
	s_or_b32 exec_lo, exec_lo, s5
.LBB274_333:
	s_or_saveexec_b32 s4, s4
	s_mov_b32 s5, 0
	s_mov_b32 s6, s0
	s_xor_b32 exec_lo, exec_lo, s4
	s_cbranch_execz .LBB274_341
; %bb.334:
	s_mov_b32 s5, s0
	s_mov_b32 s6, exec_lo
	v_cmpx_lt_i16_e32 14, v2
	s_xor_b32 s6, exec_lo, s6
	s_cbranch_execz .LBB274_338
; %bb.335:
	s_mov_b32 s7, -1
	s_mov_b32 s5, exec_lo
	v_cmpx_eq_u16_e32 15, v2
	s_cbranch_execz .LBB274_337
; %bb.336:
	v_cndmask_b32_e64 v3, 0, 1.0, s1
	s_xor_b32 s7, exec_lo, -1
	s_delay_alu instid0(VALU_DEP_1) | instskip(NEXT) | instid1(VALU_DEP_1)
	v_bfe_u32 v4, v3, 16, 1
	v_add3_u32 v3, v3, v4, 0x7fff
	flat_store_d16_hi_b16 v[0:1], v3
.LBB274_337:
	s_wait_xcnt 0x0
	s_or_b32 exec_lo, exec_lo, s5
	s_delay_alu instid0(SALU_CYCLE_1) | instskip(SKIP_1) | instid1(SALU_CYCLE_1)
	s_and_not1_b32 s5, s0, exec_lo
	s_and_b32 s7, s7, exec_lo
	s_or_b32 s5, s5, s7
.LBB274_338:
	s_or_saveexec_b32 s6, s6
	s_mov_b32 s7, 0
	s_xor_b32 exec_lo, exec_lo, s6
; %bb.339:
	v_cmp_ne_u16_e32 vcc_lo, 11, v2
	s_and_not1_b32 s5, s5, exec_lo
	s_mov_b32 s7, exec_lo
	s_and_b32 s8, vcc_lo, exec_lo
	s_delay_alu instid0(SALU_CYCLE_1)
	s_or_b32 s5, s5, s8
; %bb.340:
	s_or_b32 exec_lo, exec_lo, s6
	s_delay_alu instid0(SALU_CYCLE_1)
	s_and_not1_b32 s6, s0, exec_lo
	s_and_b32 s8, s5, exec_lo
	s_and_b32 s5, s7, exec_lo
	s_or_b32 s6, s6, s8
.LBB274_341:
	s_or_b32 exec_lo, exec_lo, s4
	s_delay_alu instid0(SALU_CYCLE_1)
	s_and_not1_b32 s0, s0, exec_lo
	s_and_b32 s6, s6, exec_lo
	s_and_b32 s4, s5, exec_lo
	s_or_b32 s0, s0, s6
.LBB274_342:
	s_or_b32 exec_lo, exec_lo, s3
	s_delay_alu instid0(SALU_CYCLE_1)
	s_and_not1_b32 s5, s22, exec_lo
	s_and_b32 s6, s0, exec_lo
	s_xor_b32 s3, exec_lo, -1
	s_and_b32 s0, s4, exec_lo
	s_or_b32 s4, s5, s6
.LBB274_343:
	s_or_b32 exec_lo, exec_lo, s2
	s_delay_alu instid0(SALU_CYCLE_1)
	s_and_b32 s2, s3, exec_lo
	s_and_not1_b32 s3, s22, exec_lo
	s_and_b32 s4, s4, exec_lo
	s_and_b32 s0, s0, exec_lo
	s_or_b32 s3, s3, s4
.LBB274_344:
	s_or_b32 exec_lo, exec_lo, s17
	s_delay_alu instid0(SALU_CYCLE_1)
	s_and_not1_b32 s4, s22, exec_lo
	s_and_b32 s3, s3, exec_lo
	s_and_b32 s2, s2, exec_lo
	;; [unrolled: 1-line block ×3, first 2 shown]
	s_or_b32 s22, s4, s3
.LBB274_345:
	s_or_b32 exec_lo, exec_lo, s21
	s_delay_alu instid0(SALU_CYCLE_1)
	s_and_not1_b32 s3, s19, exec_lo
	s_and_b32 s4, s22, exec_lo
	s_and_b32 s2, s2, exec_lo
	;; [unrolled: 1-line block ×3, first 2 shown]
	s_or_b32 s19, s3, s4
.LBB274_346:
	s_or_b32 exec_lo, exec_lo, s20
	s_delay_alu instid0(SALU_CYCLE_1)
	s_and_not1_b32 s3, s14, exec_lo
	s_and_b32 s4, s19, exec_lo
	s_and_b32 s2, s2, exec_lo
	;; [unrolled: 1-line block ×3, first 2 shown]
	s_or_b32 s14, s3, s4
	s_or_b32 exec_lo, exec_lo, s18
	s_mov_b32 s0, 0
	s_and_saveexec_b32 s3, s14
	s_cbranch_execz .LBB274_350
.LBB274_347:
	s_mov_b32 s0, exec_lo
	s_and_not1_b32 s19, s19, exec_lo
	s_trap 2
	s_or_b32 exec_lo, exec_lo, s3
	s_and_saveexec_b32 s3, s19
	s_delay_alu instid0(SALU_CYCLE_1)
	s_xor_b32 s3, exec_lo, s3
	s_cbranch_execnz .LBB274_351
.LBB274_348:
	s_or_b32 exec_lo, exec_lo, s3
	s_and_saveexec_b32 s3, s2
	s_delay_alu instid0(SALU_CYCLE_1)
	s_xor_b32 s2, exec_lo, s3
	s_cbranch_execnz .LBB274_352
	s_branch .LBB274_393
.LBB274_349:
	s_or_b32 exec_lo, exec_lo, s18
	s_mov_b32 s0, 0
	s_and_saveexec_b32 s3, s14
	s_cbranch_execnz .LBB274_347
.LBB274_350:
	s_or_b32 exec_lo, exec_lo, s3
	s_and_saveexec_b32 s3, s19
	s_delay_alu instid0(SALU_CYCLE_1)
	s_xor_b32 s3, exec_lo, s3
	s_cbranch_execz .LBB274_348
.LBB274_351:
	v_cndmask_b32_e64 v3, 0, 1, s1
	flat_store_b8 v[0:1], v3
	s_wait_xcnt 0x0
	s_or_b32 exec_lo, exec_lo, s3
	s_and_saveexec_b32 s3, s2
	s_delay_alu instid0(SALU_CYCLE_1)
	s_xor_b32 s2, exec_lo, s3
	s_cbranch_execz .LBB274_393
.LBB274_352:
	s_mov_b32 s3, exec_lo
	v_cmpx_lt_i16_e32 4, v2
	s_xor_b32 s3, exec_lo, s3
	s_cbranch_execz .LBB274_374
; %bb.353:
	s_mov_b32 s4, exec_lo
	v_cmpx_lt_i16_e32 7, v2
	s_xor_b32 s4, exec_lo, s4
	s_cbranch_execz .LBB274_363
; %bb.354:
	;; [unrolled: 5-line block ×4, first 2 shown]
	v_cndmask_b32_e64 v3, 0, 1, s1
	v_mov_b32_e32 v6, 0
	s_delay_alu instid0(VALU_DEP_2) | instskip(NEXT) | instid1(VALU_DEP_2)
	v_cvt_f64_u32_e32 v[4:5], v3
	v_mov_b32_e32 v7, v6
	flat_store_b128 v[0:1], v[4:7]
.LBB274_357:
	s_wait_xcnt 0x0
	s_and_not1_saveexec_b32 s6, s6
	s_cbranch_execz .LBB274_359
; %bb.358:
	v_cndmask_b32_e64 v4, 0, 1.0, s1
	v_mov_b32_e32 v5, 0
	flat_store_b64 v[0:1], v[4:5]
.LBB274_359:
	s_wait_xcnt 0x0
	s_or_b32 exec_lo, exec_lo, s6
.LBB274_360:
	s_and_not1_saveexec_b32 s5, s5
	s_cbranch_execz .LBB274_362
; %bb.361:
	v_cndmask_b32_e64 v3, 0, 1.0, s1
	s_delay_alu instid0(VALU_DEP_1) | instskip(NEXT) | instid1(VALU_DEP_1)
	v_cvt_f16_f32_e32 v3, v3
	v_and_b32_e32 v3, 0xffff, v3
	flat_store_b32 v[0:1], v3
.LBB274_362:
	s_wait_xcnt 0x0
	s_or_b32 exec_lo, exec_lo, s5
.LBB274_363:
	s_and_not1_saveexec_b32 s4, s4
	s_cbranch_execz .LBB274_373
; %bb.364:
	s_mov_b32 s5, exec_lo
	v_cmpx_lt_i16_e32 5, v2
	s_xor_b32 s5, exec_lo, s5
	s_cbranch_execz .LBB274_370
; %bb.365:
	s_mov_b32 s6, exec_lo
	v_cmpx_lt_i16_e32 6, v2
	s_xor_b32 s6, exec_lo, s6
	s_cbranch_execz .LBB274_367
; %bb.366:
	v_cndmask_b32_e64 v3, 0, 1, s1
	s_delay_alu instid0(VALU_DEP_1)
	v_cvt_f64_u32_e32 v[4:5], v3
	flat_store_b64 v[0:1], v[4:5]
.LBB274_367:
	s_wait_xcnt 0x0
	s_and_not1_saveexec_b32 s6, s6
	s_cbranch_execz .LBB274_369
; %bb.368:
	v_cndmask_b32_e64 v3, 0, 1.0, s1
	flat_store_b32 v[0:1], v3
.LBB274_369:
	s_wait_xcnt 0x0
	s_or_b32 exec_lo, exec_lo, s6
.LBB274_370:
	s_and_not1_saveexec_b32 s5, s5
	s_cbranch_execz .LBB274_372
; %bb.371:
	v_cndmask_b32_e64 v3, 0, 1.0, s1
	s_delay_alu instid0(VALU_DEP_1)
	v_cvt_f16_f32_e32 v3, v3
	flat_store_b16 v[0:1], v3
.LBB274_372:
	s_wait_xcnt 0x0
	s_or_b32 exec_lo, exec_lo, s5
.LBB274_373:
	s_delay_alu instid0(SALU_CYCLE_1)
	s_or_b32 exec_lo, exec_lo, s4
.LBB274_374:
	s_and_not1_saveexec_b32 s3, s3
	s_cbranch_execz .LBB274_392
; %bb.375:
	s_mov_b32 s4, exec_lo
	v_cmpx_lt_i16_e32 1, v2
	s_xor_b32 s4, exec_lo, s4
	s_cbranch_execz .LBB274_385
; %bb.376:
	s_mov_b32 s5, exec_lo
	v_cmpx_lt_i16_e32 2, v2
	s_xor_b32 s5, exec_lo, s5
	;; [unrolled: 5-line block ×3, first 2 shown]
	s_cbranch_execz .LBB274_379
; %bb.378:
	s_mov_b32 s7, 0
	v_cndmask_b32_e64 v4, 0, 1, s1
	v_mov_b32_e32 v5, s7
	flat_store_b64 v[0:1], v[4:5]
                                        ; implicit-def: $vgpr0_vgpr1
.LBB274_379:
	s_wait_xcnt 0x0
	s_and_not1_saveexec_b32 s6, s6
	s_cbranch_execz .LBB274_381
; %bb.380:
	v_cndmask_b32_e64 v3, 0, 1, s1
	flat_store_b32 v[0:1], v3
.LBB274_381:
	s_wait_xcnt 0x0
	s_or_b32 exec_lo, exec_lo, s6
                                        ; implicit-def: $vgpr0_vgpr1
.LBB274_382:
	s_and_not1_saveexec_b32 s5, s5
	s_cbranch_execz .LBB274_384
; %bb.383:
	v_cndmask_b32_e64 v3, 0, 1, s1
	flat_store_b16 v[0:1], v3
.LBB274_384:
	s_wait_xcnt 0x0
	s_or_b32 exec_lo, exec_lo, s5
                                        ; implicit-def: $vgpr0_vgpr1
.LBB274_385:
	s_and_not1_saveexec_b32 s4, s4
	s_cbranch_execz .LBB274_391
; %bb.386:
	v_cmp_lt_i16_e32 vcc_lo, 0, v2
	v_cndmask_b32_e64 v2, 0, 1, s1
	s_and_saveexec_b32 s1, vcc_lo
	s_delay_alu instid0(SALU_CYCLE_1)
	s_xor_b32 s1, exec_lo, s1
	s_cbranch_execz .LBB274_388
; %bb.387:
	flat_store_b8 v[0:1], v2
                                        ; implicit-def: $vgpr0_vgpr1
                                        ; implicit-def: $vgpr2
.LBB274_388:
	s_wait_xcnt 0x0
	s_and_not1_saveexec_b32 s1, s1
	s_cbranch_execz .LBB274_390
; %bb.389:
	flat_store_b8 v[0:1], v2
.LBB274_390:
	s_wait_xcnt 0x0
	s_or_b32 exec_lo, exec_lo, s1
.LBB274_391:
	s_delay_alu instid0(SALU_CYCLE_1)
	s_or_b32 exec_lo, exec_lo, s4
.LBB274_392:
	s_delay_alu instid0(SALU_CYCLE_1)
	s_or_b32 exec_lo, exec_lo, s3
.LBB274_393:
	s_delay_alu instid0(SALU_CYCLE_1) | instskip(NEXT) | instid1(SALU_CYCLE_1)
	s_or_b32 exec_lo, exec_lo, s2
	s_and_b32 s14, s0, exec_lo
                                        ; implicit-def: $vgpr16
                                        ; implicit-def: $vgpr0
.LBB274_394:
	s_or_saveexec_b32 s15, s15
	s_mov_b32 s0, 0
                                        ; implicit-def: $sgpr1
                                        ; implicit-def: $vgpr12_vgpr13
                                        ; implicit-def: $vgpr9
	s_xor_b32 exec_lo, exec_lo, s15
	s_cbranch_execz .LBB274_2054
; %bb.395:
	s_wait_loadcnt 0x1
	scratch_load_b32 v17, off, off offset:36
	s_mov_b32 s17, 8
	s_delay_alu instid0(SALU_CYCLE_1)
	v_dual_mov_b32 v0, s17 :: v_dual_lshlrev_b32 v1, 20, v0
	s_mov_b32 s18, 28
	s_mov_b32 s19, 41
	s_get_pc_i64 s[0:1]
	s_add_nc_u64 s[0:1], s[0:1], _ZN2at6native6invokeINS0_13BinaryFunctorIN3c1013Float8_e4m3fnES4_bNS0_12_GLOBAL__N_116CompareEqFunctorIS4_EEEEi15function_traitsIS8_EEENT1_11result_typeERKT_PrKPcPKT0_PKNS3_10ScalarTypeEi@rel64+4
	v_add_nc_u64_e32 v[2:3], src_flat_scratch_base_lo, v[0:1]
	v_mov_b32_e32 v0, s18
	s_delay_alu instid0(VALU_DEP_1) | instskip(SKIP_1) | instid1(VALU_DEP_1)
	v_add_nc_u64_e32 v[4:5], src_flat_scratch_base_lo, v[0:1]
	v_mov_b32_e32 v0, s19
	v_add_nc_u64_e32 v[6:7], src_flat_scratch_base_lo, v[0:1]
	v_dual_mov_b32 v1, v2 :: v_dual_mov_b32 v2, v3
	s_delay_alu instid0(VALU_DEP_4) | instskip(NEXT) | instid1(VALU_DEP_3)
	v_dual_mov_b32 v3, v4 :: v_dual_mov_b32 v4, v5
	v_dual_mov_b32 v5, v6 :: v_dual_mov_b32 v6, v7
	s_wait_loadcnt 0x0
	v_dual_mov_b32 v7, v16 :: v_dual_mov_b32 v0, v17
	s_swap_pc_i64 s[30:31], s[0:1]
	s_delay_alu instid0(VALU_DEP_1) | instskip(SKIP_3) | instid1(VALU_DEP_2)
	v_and_b32_e32 v0, 1, v0
	v_add_nc_u32_e32 v8, 0x80, v16
	s_mov_b32 s3, s14
	s_mov_b32 s1, exec_lo
                                        ; implicit-def: $vgpr15
	v_cmp_eq_u32_e32 vcc_lo, 1, v0
	s_clause 0x2
	scratch_load_b32 v21, off, s18
	scratch_load_b64 v[4:5], off, s17
	scratch_load_u8 v20, off, s19
                                        ; kill: killed $sgpr18
                                        ; kill: killed $sgpr19
                                        ; kill: killed $sgpr17
	s_clause 0x1
	scratch_load_b64 v[0:1], off, off
	scratch_load_b32 v14, off, off offset:24
	s_wait_loadcnt 0x4
	v_mul_lo_u32 v6, v21, v8
	s_delay_alu instid0(VALU_DEP_1) | instskip(SKIP_1) | instid1(VALU_DEP_1)
	v_ashrrev_i32_e32 v7, 31, v6
	s_wait_loadcnt 0x3
	v_add_nc_u64_e32 v[2:3], v[4:5], v[6:7]
	s_wait_loadcnt 0x2
	s_wait_xcnt 0x0
	v_cmpx_lt_i16_e32 10, v20
	s_xor_b32 s1, exec_lo, s1
	s_cbranch_execz .LBB274_490
; %bb.396:
	s_mov_b32 s2, 0
	s_mov_b32 s5, 0
	s_mov_b32 s4, 0
	s_mov_b32 s3, exec_lo
                                        ; implicit-def: $vgpr15
	v_cmpx_lt_i16_e32 25, v20
	s_xor_b32 s3, exec_lo, s3
	s_cbranch_execz .LBB274_2138
; %bb.397:
	s_mov_b32 s6, 0
	s_mov_b32 s4, exec_lo
                                        ; implicit-def: $vgpr15
	v_cmpx_lt_i16_e32 28, v20
	s_xor_b32 s4, exec_lo, s4
	s_cbranch_execz .LBB274_437
; %bb.398:
	s_mov_b32 s7, 0
	s_mov_b32 s8, 0
	s_mov_b32 s5, exec_lo
                                        ; implicit-def: $vgpr15
	v_cmpx_lt_i16_e32 43, v20
	s_xor_b32 s5, exec_lo, s5
	s_cbranch_execz .LBB274_424
; %bb.399:
	s_mov_b32 s8, exec_lo
                                        ; implicit-def: $vgpr15
	v_cmpx_lt_i16_e32 45, v20
	s_xor_b32 s8, exec_lo, s8
	s_cbranch_execz .LBB274_411
; %bb.400:
	s_mov_b32 s9, -1
	s_mov_b32 s6, exec_lo
                                        ; implicit-def: $vgpr15
	v_cmpx_eq_u16_e32 46, v20
	s_cbranch_execz .LBB274_410
; %bb.401:
	flat_load_b32 v7, v[2:3]
	s_mov_b32 s7, exec_lo
                                        ; implicit-def: $vgpr9
	s_wait_loadcnt_dscnt 0x0
	v_lshlrev_b32_e32 v7, 16, v7
	s_delay_alu instid0(VALU_DEP_1) | instskip(SKIP_1) | instid1(VALU_DEP_1)
	v_and_b32_e32 v10, 0x7fffffff, v7
	s_wait_xcnt 0x0
	v_cmpx_gt_u32_e32 0x43f00000, v10
	s_xor_b32 s7, exec_lo, s7
	s_cbranch_execz .LBB274_407
; %bb.402:
	s_mov_b32 s9, exec_lo
                                        ; implicit-def: $vgpr9
	v_cmpx_lt_u32_e32 0x3c7fffff, v10
	s_xor_b32 s9, exec_lo, s9
; %bb.403:
	v_bfe_u32 v9, v7, 20, 1
	s_delay_alu instid0(VALU_DEP_1) | instskip(NEXT) | instid1(VALU_DEP_1)
	v_add3_u32 v9, v7, v9, 0x407ffff
	v_and_b32_e32 v10, 0xff00000, v9
	v_lshrrev_b32_e32 v9, 20, v9
	s_delay_alu instid0(VALU_DEP_2) | instskip(NEXT) | instid1(VALU_DEP_1)
	v_cmp_ne_u32_e64 s0, 0x7f00000, v10
	v_cndmask_b32_e64 v9, 0x7e, v9, s0
; %bb.404:
	s_and_not1_saveexec_b32 s0, s9
; %bb.405:
	v_add_f32_e64 v9, 0x46800000, |v7|
; %bb.406:
	s_or_b32 exec_lo, exec_lo, s0
                                        ; implicit-def: $vgpr10
.LBB274_407:
	s_and_not1_saveexec_b32 s7, s7
; %bb.408:
	v_mov_b32_e32 v9, 0x7f
	v_cmp_lt_u32_e64 s0, 0x7f800000, v10
	s_delay_alu instid0(VALU_DEP_1)
	v_cndmask_b32_e64 v9, 0x7e, v9, s0
; %bb.409:
	s_or_b32 exec_lo, exec_lo, s7
	v_lshrrev_b32_e32 v7, 24, v7
	s_mov_b32 s7, exec_lo
	s_xor_b32 s9, exec_lo, -1
	s_delay_alu instid0(VALU_DEP_1)
	v_and_or_b32 v15, 0x80, v7, v9
.LBB274_410:
	s_or_b32 exec_lo, exec_lo, s6
	s_delay_alu instid0(SALU_CYCLE_1)
	s_and_b32 s7, s7, exec_lo
	s_and_b32 s6, s9, exec_lo
.LBB274_411:
	s_and_not1_saveexec_b32 s8, s8
	s_cbranch_execz .LBB274_423
; %bb.412:
	s_mov_b32 s10, -1
	s_mov_b32 s11, s7
	s_mov_b32 s9, exec_lo
                                        ; implicit-def: $vgpr15
	v_cmpx_eq_u16_e32 44, v20
	s_cbranch_execz .LBB274_422
; %bb.413:
	flat_load_u8 v7, v[2:3]
	s_mov_b32 s10, exec_lo
                                        ; implicit-def: $vgpr15
	s_wait_loadcnt_dscnt 0x0
	v_lshlrev_b32_e32 v9, 23, v7
	v_cmp_ne_u32_e64 s0, 0xff, v7
	s_delay_alu instid0(VALU_DEP_1) | instskip(SKIP_1) | instid1(VALU_DEP_1)
	v_cndmask_b32_e64 v9, 0x7f800001, v9, s0
	v_cmp_ne_u32_e64 s0, 0, v7
	v_cndmask_b32_e64 v7, 0x400000, v9, s0
	s_wait_xcnt 0x0
	s_delay_alu instid0(VALU_DEP_1)
	v_cmpx_gt_u32_e32 0x43f00000, v7
	s_xor_b32 s10, exec_lo, s10
	s_cbranch_execz .LBB274_419
; %bb.414:
	s_mov_b32 s11, exec_lo
                                        ; implicit-def: $vgpr15
	v_cmpx_lt_u32_e32 0x3c7fffff, v7
	s_xor_b32 s11, exec_lo, s11
; %bb.415:
	v_bfe_u32 v9, v7, 20, 1
	s_delay_alu instid0(VALU_DEP_1) | instskip(NEXT) | instid1(VALU_DEP_1)
	v_add3_u32 v7, v7, v9, 0x407ffff
	v_and_b32_e32 v9, 0xff00000, v7
	v_lshrrev_b32_e32 v7, 20, v7
	s_delay_alu instid0(VALU_DEP_2) | instskip(NEXT) | instid1(VALU_DEP_1)
	v_cmp_ne_u32_e64 s0, 0x7f00000, v9
	v_cndmask_b32_e64 v15, 0x7e, v7, s0
                                        ; implicit-def: $vgpr7
; %bb.416:
	s_and_not1_saveexec_b32 s0, s11
; %bb.417:
	v_add_f32_e32 v15, 0x46800000, v7
; %bb.418:
	s_or_b32 exec_lo, exec_lo, s0
                                        ; implicit-def: $vgpr7
.LBB274_419:
	s_and_not1_saveexec_b32 s10, s10
; %bb.420:
	v_mov_b32_e32 v9, 0x7f
	v_cmp_lt_u32_e64 s0, 0x7f800000, v7
	s_delay_alu instid0(VALU_DEP_1)
	v_cndmask_b32_e64 v15, 0x7e, v9, s0
; %bb.421:
	s_or_b32 exec_lo, exec_lo, s10
	s_delay_alu instid0(SALU_CYCLE_1)
	s_or_b32 s11, s7, exec_lo
	s_xor_b32 s10, exec_lo, -1
.LBB274_422:
	s_or_b32 exec_lo, exec_lo, s9
	s_delay_alu instid0(SALU_CYCLE_1)
	s_and_not1_b32 s0, s7, exec_lo
	s_and_b32 s7, s11, exec_lo
	s_and_not1_b32 s6, s6, exec_lo
	s_and_b32 s9, s10, exec_lo
	s_or_b32 s7, s0, s7
	s_or_b32 s6, s6, s9
.LBB274_423:
	s_or_b32 exec_lo, exec_lo, s8
	s_delay_alu instid0(SALU_CYCLE_1)
	s_and_b32 s8, s7, exec_lo
	s_and_b32 s7, s6, exec_lo
.LBB274_424:
	s_and_not1_saveexec_b32 s5, s5
	s_cbranch_execz .LBB274_436
; %bb.425:
	s_mov_b32 s9, -1
	s_mov_b32 s10, s8
	s_mov_b32 s6, exec_lo
                                        ; implicit-def: $vgpr15
	v_cmpx_eq_u16_e32 29, v20
	s_cbranch_execz .LBB274_435
; %bb.426:
	flat_load_b64 v[10:11], v[2:3]
	s_mov_b32 s9, exec_lo
                                        ; implicit-def: $vgpr15
	s_wait_loadcnt_dscnt 0x0
	v_clz_i32_u32_e32 v7, v11
	s_delay_alu instid0(VALU_DEP_1) | instskip(NEXT) | instid1(VALU_DEP_1)
	v_min_u32_e32 v7, 32, v7
	v_lshlrev_b64_e32 v[10:11], v7, v[10:11]
	v_sub_nc_u32_e32 v7, 32, v7
	s_delay_alu instid0(VALU_DEP_2) | instskip(NEXT) | instid1(VALU_DEP_1)
	v_min_u32_e32 v9, 1, v10
	v_or_b32_e32 v9, v11, v9
	s_delay_alu instid0(VALU_DEP_1) | instskip(NEXT) | instid1(VALU_DEP_1)
	v_cvt_f32_u32_e32 v9, v9
	v_ldexp_f32 v7, v9, v7
	s_wait_xcnt 0x0
	s_delay_alu instid0(VALU_DEP_1)
	v_cmpx_gt_u32_e32 0x43f00000, v7
	s_xor_b32 s9, exec_lo, s9
	s_cbranch_execz .LBB274_432
; %bb.427:
	s_mov_b32 s10, exec_lo
                                        ; implicit-def: $vgpr15
	v_cmpx_lt_u32_e32 0x3c7fffff, v7
	s_xor_b32 s10, exec_lo, s10
; %bb.428:
	v_bfe_u32 v9, v7, 20, 1
	s_delay_alu instid0(VALU_DEP_1) | instskip(NEXT) | instid1(VALU_DEP_1)
	v_add3_u32 v7, v7, v9, 0x407ffff
	v_and_b32_e32 v9, 0xff00000, v7
	v_lshrrev_b32_e32 v7, 20, v7
	s_delay_alu instid0(VALU_DEP_2) | instskip(NEXT) | instid1(VALU_DEP_1)
	v_cmp_ne_u32_e64 s0, 0x7f00000, v9
	v_cndmask_b32_e64 v15, 0x7e, v7, s0
                                        ; implicit-def: $vgpr7
; %bb.429:
	s_and_not1_saveexec_b32 s0, s10
; %bb.430:
	v_add_f32_e32 v15, 0x46800000, v7
; %bb.431:
	s_or_b32 exec_lo, exec_lo, s0
                                        ; implicit-def: $vgpr7
.LBB274_432:
	s_and_not1_saveexec_b32 s9, s9
; %bb.433:
	v_mov_b32_e32 v9, 0x7f
	v_cmp_lt_u32_e64 s0, 0x7f800000, v7
	s_delay_alu instid0(VALU_DEP_1)
	v_cndmask_b32_e64 v15, 0x7e, v9, s0
; %bb.434:
	s_or_b32 exec_lo, exec_lo, s9
	s_delay_alu instid0(SALU_CYCLE_1)
	s_or_b32 s10, s8, exec_lo
	s_xor_b32 s9, exec_lo, -1
.LBB274_435:
	s_or_b32 exec_lo, exec_lo, s6
	s_delay_alu instid0(SALU_CYCLE_1)
	s_and_not1_b32 s0, s8, exec_lo
	s_and_b32 s6, s10, exec_lo
	s_and_not1_b32 s7, s7, exec_lo
	s_and_b32 s9, s9, exec_lo
	s_or_b32 s8, s0, s6
	s_or_b32 s7, s7, s9
.LBB274_436:
	s_or_b32 exec_lo, exec_lo, s5
	s_delay_alu instid0(SALU_CYCLE_1)
	s_and_b32 s6, s8, exec_lo
	s_and_b32 s5, s7, exec_lo
.LBB274_437:
	s_and_not1_saveexec_b32 s4, s4
	s_cbranch_execz .LBB274_477
; %bb.438:
	s_mov_b32 s7, exec_lo
                                        ; implicit-def: $vgpr15
	v_cmpx_lt_i16_e32 26, v20
	s_xor_b32 s7, exec_lo, s7
	s_cbranch_execz .LBB274_460
; %bb.439:
	s_mov_b32 s8, exec_lo
                                        ; implicit-def: $vgpr15
	v_cmpx_lt_i16_e32 27, v20
	s_xor_b32 s8, exec_lo, s8
	s_cbranch_execz .LBB274_449
; %bb.440:
	flat_load_b32 v7, v[2:3]
	s_mov_b32 s9, exec_lo
                                        ; implicit-def: $vgpr15
	s_wait_loadcnt_dscnt 0x0
	v_cvt_f32_u32_e32 v7, v7
	s_wait_xcnt 0x0
	s_delay_alu instid0(VALU_DEP_1)
	v_cmpx_gt_u32_e32 0x43f00000, v7
	s_xor_b32 s9, exec_lo, s9
	s_cbranch_execz .LBB274_446
; %bb.441:
	s_mov_b32 s10, exec_lo
                                        ; implicit-def: $vgpr15
	v_cmpx_lt_u32_e32 0x3c7fffff, v7
	s_xor_b32 s10, exec_lo, s10
; %bb.442:
	v_bfe_u32 v9, v7, 20, 1
	s_delay_alu instid0(VALU_DEP_1) | instskip(NEXT) | instid1(VALU_DEP_1)
	v_add3_u32 v7, v7, v9, 0x407ffff
	v_and_b32_e32 v9, 0xff00000, v7
	v_lshrrev_b32_e32 v7, 20, v7
	s_delay_alu instid0(VALU_DEP_2) | instskip(NEXT) | instid1(VALU_DEP_1)
	v_cmp_ne_u32_e64 s0, 0x7f00000, v9
	v_cndmask_b32_e64 v15, 0x7e, v7, s0
                                        ; implicit-def: $vgpr7
; %bb.443:
	s_and_not1_saveexec_b32 s0, s10
; %bb.444:
	v_add_f32_e32 v15, 0x46800000, v7
; %bb.445:
	s_or_b32 exec_lo, exec_lo, s0
                                        ; implicit-def: $vgpr7
.LBB274_446:
	s_and_not1_saveexec_b32 s9, s9
; %bb.447:
	v_mov_b32_e32 v9, 0x7f
	v_cmp_lt_u32_e64 s0, 0x7f800000, v7
	s_delay_alu instid0(VALU_DEP_1)
	v_cndmask_b32_e64 v15, 0x7e, v9, s0
; %bb.448:
	s_or_b32 exec_lo, exec_lo, s9
.LBB274_449:
	s_and_not1_saveexec_b32 s8, s8
	s_cbranch_execz .LBB274_459
; %bb.450:
	flat_load_u16 v7, v[2:3]
	s_mov_b32 s9, exec_lo
                                        ; implicit-def: $vgpr15
	s_wait_loadcnt_dscnt 0x0
	v_cvt_f32_u32_e32 v7, v7
	s_wait_xcnt 0x0
	s_delay_alu instid0(VALU_DEP_1)
	v_cmpx_gt_u32_e32 0x43f00000, v7
	s_xor_b32 s9, exec_lo, s9
	s_cbranch_execz .LBB274_456
; %bb.451:
	s_mov_b32 s10, exec_lo
                                        ; implicit-def: $vgpr15
	v_cmpx_lt_u32_e32 0x3c7fffff, v7
	s_xor_b32 s10, exec_lo, s10
; %bb.452:
	v_bfe_u32 v9, v7, 20, 1
	s_delay_alu instid0(VALU_DEP_1) | instskip(NEXT) | instid1(VALU_DEP_1)
	v_add3_u32 v7, v7, v9, 0x407ffff
	v_and_b32_e32 v9, 0xff00000, v7
	v_lshrrev_b32_e32 v7, 20, v7
	s_delay_alu instid0(VALU_DEP_2) | instskip(NEXT) | instid1(VALU_DEP_1)
	v_cmp_ne_u32_e64 s0, 0x7f00000, v9
	v_cndmask_b32_e64 v15, 0x7e, v7, s0
                                        ; implicit-def: $vgpr7
; %bb.453:
	s_and_not1_saveexec_b32 s0, s10
; %bb.454:
	v_add_f32_e32 v15, 0x46800000, v7
; %bb.455:
	s_or_b32 exec_lo, exec_lo, s0
                                        ; implicit-def: $vgpr7
.LBB274_456:
	s_and_not1_saveexec_b32 s9, s9
; %bb.457:
	v_mov_b32_e32 v9, 0x7f
	v_cmp_lt_u32_e64 s0, 0x7f800000, v7
	s_delay_alu instid0(VALU_DEP_1)
	v_cndmask_b32_e64 v15, 0x7e, v9, s0
; %bb.458:
	s_or_b32 exec_lo, exec_lo, s9
.LBB274_459:
	s_delay_alu instid0(SALU_CYCLE_1)
	s_or_b32 exec_lo, exec_lo, s8
.LBB274_460:
	s_and_not1_saveexec_b32 s7, s7
	s_cbranch_execz .LBB274_476
; %bb.461:
	flat_load_u8 v9, v[2:3]
	s_mov_b32 s8, 0
	s_mov_b32 s9, exec_lo
	s_wait_loadcnt_dscnt 0x0
	v_cmpx_lt_i16_e32 0x7f, v9
	s_xor_b32 s9, exec_lo, s9
	s_cbranch_execz .LBB274_2375
; %bb.462:
	s_mov_b32 s8, -1
	s_mov_b32 s10, exec_lo
	v_cmpx_eq_u16_e32 0x80, v9
; %bb.463:
	s_xor_b32 s8, exec_lo, -1
; %bb.464:
	s_or_b32 exec_lo, exec_lo, s10
	s_delay_alu instid0(SALU_CYCLE_1)
	s_and_b32 s8, s8, exec_lo
	s_or_saveexec_b32 s9, s9
	v_mov_b32_e32 v7, 0x7f800001
	s_xor_b32 exec_lo, exec_lo, s9
	s_cbranch_execnz .LBB274_2376
.LBB274_465:
	s_or_b32 exec_lo, exec_lo, s9
	s_and_saveexec_b32 s9, s8
	s_cbranch_execz .LBB274_467
.LBB274_466:
	v_and_b32_e32 v7, 0xffff, v9
	s_delay_alu instid0(VALU_DEP_1) | instskip(SKIP_1) | instid1(VALU_DEP_2)
	v_dual_lshlrev_b32 v9, 24, v9 :: v_dual_bitop2_b32 v10, 7, v7 bitop3:0x40
	v_bfe_u32 v13, v7, 3, 4
	v_and_b32_e32 v9, 0x80000000, v9
	s_delay_alu instid0(VALU_DEP_3) | instskip(NEXT) | instid1(VALU_DEP_3)
	v_clz_i32_u32_e32 v11, v10
	v_cmp_eq_u32_e64 s0, 0, v13
	s_delay_alu instid0(VALU_DEP_2) | instskip(NEXT) | instid1(VALU_DEP_1)
	v_min_u32_e32 v11, 32, v11
	v_subrev_nc_u32_e32 v12, 28, v11
	v_sub_nc_u32_e32 v11, 29, v11
	s_delay_alu instid0(VALU_DEP_2) | instskip(NEXT) | instid1(VALU_DEP_2)
	v_lshlrev_b32_e32 v7, v12, v7
	v_cndmask_b32_e64 v11, v13, v11, s0
	s_delay_alu instid0(VALU_DEP_2) | instskip(NEXT) | instid1(VALU_DEP_1)
	v_and_b32_e32 v7, 7, v7
	v_cndmask_b32_e64 v7, v10, v7, s0
	s_delay_alu instid0(VALU_DEP_3) | instskip(NEXT) | instid1(VALU_DEP_2)
	v_lshl_add_u32 v10, v11, 23, 0x3b800000
	v_lshlrev_b32_e32 v7, 20, v7
	s_delay_alu instid0(VALU_DEP_1)
	v_or3_b32 v7, v9, v10, v7
.LBB274_467:
	s_or_b32 exec_lo, exec_lo, s9
	s_delay_alu instid0(VALU_DEP_1) | instskip(SKIP_1) | instid1(VALU_DEP_1)
	v_and_b32_e32 v10, 0x7fffffff, v7
	s_mov_b32 s8, exec_lo
                                        ; implicit-def: $vgpr9
	v_cmpx_gt_u32_e32 0x43f00000, v10
	s_xor_b32 s8, exec_lo, s8
	s_cbranch_execz .LBB274_473
; %bb.468:
	s_mov_b32 s9, exec_lo
                                        ; implicit-def: $vgpr9
	v_cmpx_lt_u32_e32 0x3c7fffff, v10
	s_xor_b32 s9, exec_lo, s9
; %bb.469:
	v_bfe_u32 v9, v7, 20, 1
	s_delay_alu instid0(VALU_DEP_1) | instskip(NEXT) | instid1(VALU_DEP_1)
	v_add3_u32 v9, v7, v9, 0x407ffff
	v_and_b32_e32 v10, 0xff00000, v9
	v_lshrrev_b32_e32 v9, 20, v9
	s_delay_alu instid0(VALU_DEP_2) | instskip(NEXT) | instid1(VALU_DEP_1)
	v_cmp_ne_u32_e64 s0, 0x7f00000, v10
	v_cndmask_b32_e64 v9, 0x7e, v9, s0
; %bb.470:
	s_and_not1_saveexec_b32 s0, s9
; %bb.471:
	v_add_f32_e64 v9, 0x46800000, |v7|
; %bb.472:
	s_or_b32 exec_lo, exec_lo, s0
                                        ; implicit-def: $vgpr10
.LBB274_473:
	s_and_not1_saveexec_b32 s8, s8
; %bb.474:
	v_mov_b32_e32 v9, 0x7f
	v_cmp_lt_u32_e64 s0, 0x7f800000, v10
	s_delay_alu instid0(VALU_DEP_1)
	v_cndmask_b32_e64 v9, 0x7e, v9, s0
; %bb.475:
	s_or_b32 exec_lo, exec_lo, s8
	v_lshrrev_b32_e32 v7, 24, v7
	s_delay_alu instid0(VALU_DEP_1)
	v_and_or_b32 v15, 0x80, v7, v9
.LBB274_476:
	s_or_b32 exec_lo, exec_lo, s7
	s_delay_alu instid0(SALU_CYCLE_1)
	s_or_b32 s6, s6, exec_lo
.LBB274_477:
	s_or_b32 exec_lo, exec_lo, s4
	s_delay_alu instid0(SALU_CYCLE_1)
	s_and_b32 s4, s6, exec_lo
	s_and_b32 s5, s5, exec_lo
	s_and_not1_saveexec_b32 s3, s3
	s_cbranch_execnz .LBB274_2139
.LBB274_478:
	s_or_b32 exec_lo, exec_lo, s3
	s_mov_b32 s3, s14
	s_and_saveexec_b32 s0, s5
	s_cbranch_execnz .LBB274_2188
.LBB274_479:
	s_or_b32 exec_lo, exec_lo, s0
	s_and_saveexec_b32 s5, s2
	s_cbranch_execz .LBB274_489
.LBB274_480:
	flat_load_u8 v2, v[2:3]
	s_mov_b32 s2, exec_lo
                                        ; implicit-def: $vgpr15
	s_wait_loadcnt_dscnt 0x0
	v_cmp_ne_u16_e64 s0, 0, v2
	s_wait_xcnt 0x0
	s_delay_alu instid0(VALU_DEP_1) | instskip(NEXT) | instid1(VALU_DEP_1)
	v_cndmask_b32_e64 v2, 0, 1.0, s0
	v_cmpx_gt_u32_e32 0x43f00000, v2
	s_xor_b32 s2, exec_lo, s2
	s_cbranch_execz .LBB274_486
; %bb.481:
	s_mov_b32 s6, exec_lo
                                        ; implicit-def: $vgpr15
	v_cmpx_lt_u32_e32 0x3c7fffff, v2
	s_xor_b32 s6, exec_lo, s6
; %bb.482:
	v_bfe_u32 v3, v2, 20, 1
	s_delay_alu instid0(VALU_DEP_1) | instskip(NEXT) | instid1(VALU_DEP_1)
	v_add3_u32 v2, v2, v3, 0x407ffff
	v_and_b32_e32 v3, 0xff00000, v2
	v_lshrrev_b32_e32 v2, 20, v2
	s_delay_alu instid0(VALU_DEP_2) | instskip(NEXT) | instid1(VALU_DEP_1)
	v_cmp_ne_u32_e64 s0, 0x7f00000, v3
	v_cndmask_b32_e64 v15, 0x7e, v2, s0
                                        ; implicit-def: $vgpr2
; %bb.483:
	s_and_not1_saveexec_b32 s0, s6
; %bb.484:
	v_add_f32_e32 v15, 0x46800000, v2
; %bb.485:
	s_or_b32 exec_lo, exec_lo, s0
                                        ; implicit-def: $vgpr2
.LBB274_486:
	s_and_not1_saveexec_b32 s2, s2
; %bb.487:
	v_mov_b32_e32 v3, 0x7f
	v_cmp_lt_u32_e64 s0, 0x7f800000, v2
	s_delay_alu instid0(VALU_DEP_1)
	v_cndmask_b32_e64 v15, 0x7e, v3, s0
; %bb.488:
	s_or_b32 exec_lo, exec_lo, s2
	s_delay_alu instid0(SALU_CYCLE_1)
	s_or_b32 s4, s4, exec_lo
.LBB274_489:
	s_or_b32 exec_lo, exec_lo, s5
	s_delay_alu instid0(SALU_CYCLE_1)
	s_and_not1_b32 s0, s14, exec_lo
	s_and_b32 s2, s3, exec_lo
	s_and_b32 s16, s4, exec_lo
	s_or_b32 s3, s0, s2
                                        ; implicit-def: $vgpr2_vgpr3
.LBB274_490:
	s_and_not1_saveexec_b32 s1, s1
	s_cbranch_execz .LBB274_620
; %bb.491:
	s_mov_b32 s2, exec_lo
                                        ; implicit-def: $vgpr15
	v_cmpx_lt_i16_e32 4, v20
	s_xor_b32 s2, exec_lo, s2
	s_cbranch_execz .LBB274_561
; %bb.492:
	s_mov_b32 s4, exec_lo
                                        ; implicit-def: $vgpr15
	v_cmpx_lt_i16_e32 7, v20
	s_xor_b32 s4, exec_lo, s4
	;; [unrolled: 6-line block ×4, first 2 shown]
	s_cbranch_execz .LBB274_504
; %bb.495:
	flat_load_b64 v[2:3], v[2:3]
	s_mov_b32 s7, exec_lo
	s_wait_loadcnt_dscnt 0x0
	v_cvt_f32_f64_e32 v2, v[2:3]
                                        ; implicit-def: $vgpr3
	s_delay_alu instid0(VALU_DEP_1) | instskip(NEXT) | instid1(VALU_DEP_1)
	v_and_b32_e32 v7, 0x7fffffff, v2
	v_cmpx_gt_u32_e32 0x43f00000, v7
	s_xor_b32 s7, exec_lo, s7
	s_cbranch_execz .LBB274_501
; %bb.496:
	s_mov_b32 s8, exec_lo
                                        ; implicit-def: $vgpr3
	v_cmpx_lt_u32_e32 0x3c7fffff, v7
	s_xor_b32 s8, exec_lo, s8
; %bb.497:
	v_bfe_u32 v3, v2, 20, 1
	s_delay_alu instid0(VALU_DEP_1) | instskip(NEXT) | instid1(VALU_DEP_1)
	v_add3_u32 v3, v2, v3, 0x407ffff
	v_and_b32_e32 v7, 0xff00000, v3
	v_lshrrev_b32_e32 v3, 20, v3
	s_delay_alu instid0(VALU_DEP_2) | instskip(NEXT) | instid1(VALU_DEP_1)
	v_cmp_ne_u32_e64 s0, 0x7f00000, v7
	v_cndmask_b32_e64 v3, 0x7e, v3, s0
; %bb.498:
	s_and_not1_saveexec_b32 s0, s8
; %bb.499:
	v_add_f32_e64 v3, 0x46800000, |v2|
; %bb.500:
	s_or_b32 exec_lo, exec_lo, s0
                                        ; implicit-def: $vgpr7
.LBB274_501:
	s_and_not1_saveexec_b32 s7, s7
; %bb.502:
	v_mov_b32_e32 v3, 0x7f
	v_cmp_lt_u32_e64 s0, 0x7f800000, v7
	s_delay_alu instid0(VALU_DEP_1)
	v_cndmask_b32_e64 v3, 0x7e, v3, s0
; %bb.503:
	s_or_b32 exec_lo, exec_lo, s7
	v_lshrrev_b32_e32 v2, 24, v2
	s_delay_alu instid0(VALU_DEP_1)
	v_and_or_b32 v15, 0x80, v2, v3
                                        ; implicit-def: $vgpr2_vgpr3
.LBB274_504:
	s_and_not1_saveexec_b32 s6, s6
	s_cbranch_execz .LBB274_514
; %bb.505:
	flat_load_b32 v2, v[2:3]
	s_mov_b32 s7, exec_lo
                                        ; implicit-def: $vgpr3
	s_wait_loadcnt_dscnt 0x0
	v_and_b32_e32 v7, 0x7fffffff, v2
	s_wait_xcnt 0x0
	s_delay_alu instid0(VALU_DEP_1)
	v_cmpx_gt_u32_e32 0x43f00000, v7
	s_xor_b32 s7, exec_lo, s7
	s_cbranch_execz .LBB274_511
; %bb.506:
	s_mov_b32 s8, exec_lo
                                        ; implicit-def: $vgpr3
	v_cmpx_lt_u32_e32 0x3c7fffff, v7
	s_xor_b32 s8, exec_lo, s8
; %bb.507:
	v_bfe_u32 v3, v2, 20, 1
	s_delay_alu instid0(VALU_DEP_1) | instskip(NEXT) | instid1(VALU_DEP_1)
	v_add3_u32 v3, v2, v3, 0x407ffff
	v_and_b32_e32 v7, 0xff00000, v3
	v_lshrrev_b32_e32 v3, 20, v3
	s_delay_alu instid0(VALU_DEP_2) | instskip(NEXT) | instid1(VALU_DEP_1)
	v_cmp_ne_u32_e64 s0, 0x7f00000, v7
	v_cndmask_b32_e64 v3, 0x7e, v3, s0
; %bb.508:
	s_and_not1_saveexec_b32 s0, s8
; %bb.509:
	v_add_f32_e64 v3, 0x46800000, |v2|
; %bb.510:
	s_or_b32 exec_lo, exec_lo, s0
                                        ; implicit-def: $vgpr7
.LBB274_511:
	s_and_not1_saveexec_b32 s7, s7
; %bb.512:
	v_mov_b32_e32 v3, 0x7f
	v_cmp_lt_u32_e64 s0, 0x7f800000, v7
	s_delay_alu instid0(VALU_DEP_1)
	v_cndmask_b32_e64 v3, 0x7e, v3, s0
; %bb.513:
	s_or_b32 exec_lo, exec_lo, s7
	v_lshrrev_b32_e32 v2, 24, v2
	s_delay_alu instid0(VALU_DEP_1)
	v_and_or_b32 v15, 0x80, v2, v3
.LBB274_514:
	s_or_b32 exec_lo, exec_lo, s6
                                        ; implicit-def: $vgpr2_vgpr3
.LBB274_515:
	s_and_not1_saveexec_b32 s5, s5
	s_cbranch_execz .LBB274_525
; %bb.516:
	flat_load_b32 v2, v[2:3]
	s_mov_b32 s6, exec_lo
                                        ; implicit-def: $vgpr3
	s_wait_loadcnt_dscnt 0x0
	v_cvt_f32_f16_e32 v2, v2
	s_delay_alu instid0(VALU_DEP_1) | instskip(NEXT) | instid1(VALU_DEP_1)
	v_and_b32_e32 v7, 0x7fffffff, v2
	v_cmpx_gt_u32_e32 0x43f00000, v7
	s_xor_b32 s6, exec_lo, s6
	s_cbranch_execz .LBB274_522
; %bb.517:
	s_mov_b32 s7, exec_lo
                                        ; implicit-def: $vgpr3
	v_cmpx_lt_u32_e32 0x3c7fffff, v7
	s_xor_b32 s7, exec_lo, s7
; %bb.518:
	v_bfe_u32 v3, v2, 20, 1
	s_delay_alu instid0(VALU_DEP_1) | instskip(NEXT) | instid1(VALU_DEP_1)
	v_add3_u32 v3, v2, v3, 0x407ffff
	v_and_b32_e32 v7, 0xff00000, v3
	v_lshrrev_b32_e32 v3, 20, v3
	s_delay_alu instid0(VALU_DEP_2) | instskip(NEXT) | instid1(VALU_DEP_1)
	v_cmp_ne_u32_e64 s0, 0x7f00000, v7
	v_cndmask_b32_e64 v3, 0x7e, v3, s0
; %bb.519:
	s_and_not1_saveexec_b32 s0, s7
; %bb.520:
	v_add_f32_e64 v3, 0x46800000, |v2|
; %bb.521:
	s_or_b32 exec_lo, exec_lo, s0
                                        ; implicit-def: $vgpr7
.LBB274_522:
	s_and_not1_saveexec_b32 s6, s6
; %bb.523:
	v_mov_b32_e32 v3, 0x7f
	v_cmp_lt_u32_e64 s0, 0x7f800000, v7
	s_delay_alu instid0(VALU_DEP_1)
	v_cndmask_b32_e64 v3, 0x7e, v3, s0
; %bb.524:
	s_or_b32 exec_lo, exec_lo, s6
	v_lshrrev_b32_e32 v2, 24, v2
	s_delay_alu instid0(VALU_DEP_1)
	v_and_or_b32 v15, 0x80, v2, v3
.LBB274_525:
	s_or_b32 exec_lo, exec_lo, s5
                                        ; implicit-def: $vgpr2_vgpr3
.LBB274_526:
	s_and_not1_saveexec_b32 s4, s4
	s_cbranch_execz .LBB274_560
; %bb.527:
	s_mov_b32 s5, exec_lo
                                        ; implicit-def: $vgpr15
	v_cmpx_lt_i16_e32 5, v20
	s_xor_b32 s5, exec_lo, s5
	s_cbranch_execz .LBB274_549
; %bb.528:
	s_mov_b32 s6, exec_lo
                                        ; implicit-def: $vgpr15
	v_cmpx_lt_i16_e32 6, v20
	s_xor_b32 s6, exec_lo, s6
	s_cbranch_execz .LBB274_538
; %bb.529:
	flat_load_b64 v[2:3], v[2:3]
	s_mov_b32 s7, exec_lo
	s_wait_loadcnt_dscnt 0x0
	v_cvt_f32_f64_e32 v2, v[2:3]
                                        ; implicit-def: $vgpr3
	s_delay_alu instid0(VALU_DEP_1) | instskip(NEXT) | instid1(VALU_DEP_1)
	v_and_b32_e32 v7, 0x7fffffff, v2
	v_cmpx_gt_u32_e32 0x43f00000, v7
	s_xor_b32 s7, exec_lo, s7
	s_cbranch_execz .LBB274_535
; %bb.530:
	s_mov_b32 s8, exec_lo
                                        ; implicit-def: $vgpr3
	v_cmpx_lt_u32_e32 0x3c7fffff, v7
	s_xor_b32 s8, exec_lo, s8
; %bb.531:
	v_bfe_u32 v3, v2, 20, 1
	s_delay_alu instid0(VALU_DEP_1) | instskip(NEXT) | instid1(VALU_DEP_1)
	v_add3_u32 v3, v2, v3, 0x407ffff
	v_and_b32_e32 v7, 0xff00000, v3
	v_lshrrev_b32_e32 v3, 20, v3
	s_delay_alu instid0(VALU_DEP_2) | instskip(NEXT) | instid1(VALU_DEP_1)
	v_cmp_ne_u32_e64 s0, 0x7f00000, v7
	v_cndmask_b32_e64 v3, 0x7e, v3, s0
; %bb.532:
	s_and_not1_saveexec_b32 s0, s8
; %bb.533:
	v_add_f32_e64 v3, 0x46800000, |v2|
; %bb.534:
	s_or_b32 exec_lo, exec_lo, s0
                                        ; implicit-def: $vgpr7
.LBB274_535:
	s_and_not1_saveexec_b32 s7, s7
; %bb.536:
	v_mov_b32_e32 v3, 0x7f
	v_cmp_lt_u32_e64 s0, 0x7f800000, v7
	s_delay_alu instid0(VALU_DEP_1)
	v_cndmask_b32_e64 v3, 0x7e, v3, s0
; %bb.537:
	s_or_b32 exec_lo, exec_lo, s7
	v_lshrrev_b32_e32 v2, 24, v2
	s_delay_alu instid0(VALU_DEP_1)
	v_and_or_b32 v15, 0x80, v2, v3
                                        ; implicit-def: $vgpr2_vgpr3
.LBB274_538:
	s_and_not1_saveexec_b32 s6, s6
	s_cbranch_execz .LBB274_548
; %bb.539:
	flat_load_b32 v2, v[2:3]
	s_mov_b32 s7, exec_lo
                                        ; implicit-def: $vgpr3
	s_wait_loadcnt_dscnt 0x0
	v_and_b32_e32 v7, 0x7fffffff, v2
	s_wait_xcnt 0x0
	s_delay_alu instid0(VALU_DEP_1)
	v_cmpx_gt_u32_e32 0x43f00000, v7
	s_xor_b32 s7, exec_lo, s7
	s_cbranch_execz .LBB274_545
; %bb.540:
	s_mov_b32 s8, exec_lo
                                        ; implicit-def: $vgpr3
	v_cmpx_lt_u32_e32 0x3c7fffff, v7
	s_xor_b32 s8, exec_lo, s8
; %bb.541:
	v_bfe_u32 v3, v2, 20, 1
	s_delay_alu instid0(VALU_DEP_1) | instskip(NEXT) | instid1(VALU_DEP_1)
	v_add3_u32 v3, v2, v3, 0x407ffff
	v_and_b32_e32 v7, 0xff00000, v3
	v_lshrrev_b32_e32 v3, 20, v3
	s_delay_alu instid0(VALU_DEP_2) | instskip(NEXT) | instid1(VALU_DEP_1)
	v_cmp_ne_u32_e64 s0, 0x7f00000, v7
	v_cndmask_b32_e64 v3, 0x7e, v3, s0
; %bb.542:
	s_and_not1_saveexec_b32 s0, s8
; %bb.543:
	v_add_f32_e64 v3, 0x46800000, |v2|
; %bb.544:
	s_or_b32 exec_lo, exec_lo, s0
                                        ; implicit-def: $vgpr7
.LBB274_545:
	s_and_not1_saveexec_b32 s7, s7
; %bb.546:
	v_mov_b32_e32 v3, 0x7f
	v_cmp_lt_u32_e64 s0, 0x7f800000, v7
	s_delay_alu instid0(VALU_DEP_1)
	v_cndmask_b32_e64 v3, 0x7e, v3, s0
; %bb.547:
	s_or_b32 exec_lo, exec_lo, s7
	v_lshrrev_b32_e32 v2, 24, v2
	s_delay_alu instid0(VALU_DEP_1)
	v_and_or_b32 v15, 0x80, v2, v3
.LBB274_548:
	s_or_b32 exec_lo, exec_lo, s6
                                        ; implicit-def: $vgpr2_vgpr3
.LBB274_549:
	s_and_not1_saveexec_b32 s5, s5
	s_cbranch_execz .LBB274_559
; %bb.550:
	flat_load_u16 v2, v[2:3]
	s_mov_b32 s6, exec_lo
                                        ; implicit-def: $vgpr3
	s_wait_loadcnt_dscnt 0x0
	v_cvt_f32_f16_e32 v2, v2
	s_delay_alu instid0(VALU_DEP_1) | instskip(NEXT) | instid1(VALU_DEP_1)
	v_and_b32_e32 v7, 0x7fffffff, v2
	v_cmpx_gt_u32_e32 0x43f00000, v7
	s_xor_b32 s6, exec_lo, s6
	s_cbranch_execz .LBB274_556
; %bb.551:
	s_mov_b32 s7, exec_lo
                                        ; implicit-def: $vgpr3
	v_cmpx_lt_u32_e32 0x3c7fffff, v7
	s_xor_b32 s7, exec_lo, s7
; %bb.552:
	v_bfe_u32 v3, v2, 20, 1
	s_delay_alu instid0(VALU_DEP_1) | instskip(NEXT) | instid1(VALU_DEP_1)
	v_add3_u32 v3, v2, v3, 0x407ffff
	v_and_b32_e32 v7, 0xff00000, v3
	v_lshrrev_b32_e32 v3, 20, v3
	s_delay_alu instid0(VALU_DEP_2) | instskip(NEXT) | instid1(VALU_DEP_1)
	v_cmp_ne_u32_e64 s0, 0x7f00000, v7
	v_cndmask_b32_e64 v3, 0x7e, v3, s0
; %bb.553:
	s_and_not1_saveexec_b32 s0, s7
; %bb.554:
	v_add_f32_e64 v3, 0x46800000, |v2|
; %bb.555:
	s_or_b32 exec_lo, exec_lo, s0
                                        ; implicit-def: $vgpr7
.LBB274_556:
	s_and_not1_saveexec_b32 s6, s6
; %bb.557:
	v_mov_b32_e32 v3, 0x7f
	v_cmp_lt_u32_e64 s0, 0x7f800000, v7
	s_delay_alu instid0(VALU_DEP_1)
	v_cndmask_b32_e64 v3, 0x7e, v3, s0
; %bb.558:
	s_or_b32 exec_lo, exec_lo, s6
	v_lshrrev_b32_e32 v2, 24, v2
	s_delay_alu instid0(VALU_DEP_1)
	v_and_or_b32 v15, 0x80, v2, v3
.LBB274_559:
	s_or_b32 exec_lo, exec_lo, s5
.LBB274_560:
	s_delay_alu instid0(SALU_CYCLE_1)
	s_or_b32 exec_lo, exec_lo, s4
                                        ; implicit-def: $vgpr2_vgpr3
.LBB274_561:
	s_and_not1_saveexec_b32 s2, s2
	s_cbranch_execz .LBB274_619
; %bb.562:
	s_mov_b32 s4, exec_lo
                                        ; implicit-def: $vgpr15
	v_cmpx_lt_i16_e32 1, v20
	s_xor_b32 s4, exec_lo, s4
	s_cbranch_execz .LBB274_596
; %bb.563:
	s_mov_b32 s5, exec_lo
                                        ; implicit-def: $vgpr15
	v_cmpx_lt_i16_e32 2, v20
	s_xor_b32 s5, exec_lo, s5
	;; [unrolled: 6-line block ×3, first 2 shown]
	s_cbranch_execz .LBB274_574
; %bb.565:
	flat_load_b64 v[2:3], v[2:3]
	s_mov_b32 s7, exec_lo
	s_wait_loadcnt_dscnt 0x0
	v_xor_b32_e32 v7, v2, v3
	v_cls_i32_e32 v9, v3
	s_delay_alu instid0(VALU_DEP_2) | instskip(NEXT) | instid1(VALU_DEP_1)
	v_ashrrev_i32_e32 v7, 31, v7
	v_add_nc_u32_e32 v7, 32, v7
	s_delay_alu instid0(VALU_DEP_1) | instskip(SKIP_1) | instid1(VALU_DEP_1)
	v_add_min_u32_e64 v7, v9, -1, v7
	s_wait_xcnt 0x0
	v_lshlrev_b64_e32 v[2:3], v7, v[2:3]
	s_delay_alu instid0(VALU_DEP_1) | instskip(NEXT) | instid1(VALU_DEP_1)
	v_min_u32_e32 v2, 1, v2
	v_dual_sub_nc_u32 v3, 32, v7 :: v_dual_bitop2_b32 v2, v3, v2 bitop3:0x54
	s_delay_alu instid0(VALU_DEP_1) | instskip(NEXT) | instid1(VALU_DEP_1)
	v_cvt_f32_i32_e32 v2, v2
	v_ldexp_f32 v2, v2, v3
                                        ; implicit-def: $vgpr3
	s_delay_alu instid0(VALU_DEP_1) | instskip(NEXT) | instid1(VALU_DEP_1)
	v_and_b32_e32 v7, 0x7fffffff, v2
	v_cmpx_gt_u32_e32 0x43f00000, v7
	s_xor_b32 s7, exec_lo, s7
	s_cbranch_execz .LBB274_571
; %bb.566:
	s_mov_b32 s8, exec_lo
                                        ; implicit-def: $vgpr3
	v_cmpx_lt_u32_e32 0x3c7fffff, v7
	s_xor_b32 s8, exec_lo, s8
; %bb.567:
	v_bfe_u32 v3, v2, 20, 1
	s_delay_alu instid0(VALU_DEP_1) | instskip(NEXT) | instid1(VALU_DEP_1)
	v_add3_u32 v3, v2, v3, 0x407ffff
	v_and_b32_e32 v7, 0xff00000, v3
	v_lshrrev_b32_e32 v3, 20, v3
	s_delay_alu instid0(VALU_DEP_2) | instskip(NEXT) | instid1(VALU_DEP_1)
	v_cmp_ne_u32_e64 s0, 0x7f00000, v7
	v_cndmask_b32_e64 v3, 0x7e, v3, s0
; %bb.568:
	s_and_not1_saveexec_b32 s0, s8
; %bb.569:
	v_add_f32_e64 v3, 0x46800000, |v2|
; %bb.570:
	s_or_b32 exec_lo, exec_lo, s0
                                        ; implicit-def: $vgpr7
.LBB274_571:
	s_and_not1_saveexec_b32 s7, s7
; %bb.572:
	v_mov_b32_e32 v3, 0x7f
	v_cmp_lt_u32_e64 s0, 0x7f800000, v7
	s_delay_alu instid0(VALU_DEP_1)
	v_cndmask_b32_e64 v3, 0x7e, v3, s0
; %bb.573:
	s_or_b32 exec_lo, exec_lo, s7
	v_lshrrev_b32_e32 v2, 24, v2
	s_delay_alu instid0(VALU_DEP_1)
	v_and_or_b32 v15, 0x80, v2, v3
                                        ; implicit-def: $vgpr2_vgpr3
.LBB274_574:
	s_and_not1_saveexec_b32 s6, s6
	s_cbranch_execz .LBB274_584
; %bb.575:
	flat_load_b32 v2, v[2:3]
	s_mov_b32 s7, exec_lo
                                        ; implicit-def: $vgpr3
	s_wait_loadcnt_dscnt 0x0
	v_cvt_f32_i32_e32 v2, v2
	s_delay_alu instid0(VALU_DEP_1) | instskip(NEXT) | instid1(VALU_DEP_1)
	v_and_b32_e32 v7, 0x7fffffff, v2
	v_cmpx_gt_u32_e32 0x43f00000, v7
	s_xor_b32 s7, exec_lo, s7
	s_cbranch_execz .LBB274_581
; %bb.576:
	s_mov_b32 s8, exec_lo
                                        ; implicit-def: $vgpr3
	v_cmpx_lt_u32_e32 0x3c7fffff, v7
	s_xor_b32 s8, exec_lo, s8
; %bb.577:
	v_bfe_u32 v3, v2, 20, 1
	s_delay_alu instid0(VALU_DEP_1) | instskip(NEXT) | instid1(VALU_DEP_1)
	v_add3_u32 v3, v2, v3, 0x407ffff
	v_and_b32_e32 v7, 0xff00000, v3
	v_lshrrev_b32_e32 v3, 20, v3
	s_delay_alu instid0(VALU_DEP_2) | instskip(NEXT) | instid1(VALU_DEP_1)
	v_cmp_ne_u32_e64 s0, 0x7f00000, v7
	v_cndmask_b32_e64 v3, 0x7e, v3, s0
; %bb.578:
	s_and_not1_saveexec_b32 s0, s8
; %bb.579:
	v_add_f32_e64 v3, 0x46800000, |v2|
; %bb.580:
	s_or_b32 exec_lo, exec_lo, s0
                                        ; implicit-def: $vgpr7
.LBB274_581:
	s_and_not1_saveexec_b32 s7, s7
; %bb.582:
	v_mov_b32_e32 v3, 0x7f
	v_cmp_lt_u32_e64 s0, 0x7f800000, v7
	s_delay_alu instid0(VALU_DEP_1)
	v_cndmask_b32_e64 v3, 0x7e, v3, s0
; %bb.583:
	s_or_b32 exec_lo, exec_lo, s7
	v_lshrrev_b32_e32 v2, 24, v2
	s_delay_alu instid0(VALU_DEP_1)
	v_and_or_b32 v15, 0x80, v2, v3
.LBB274_584:
	s_or_b32 exec_lo, exec_lo, s6
                                        ; implicit-def: $vgpr2_vgpr3
.LBB274_585:
	s_and_not1_saveexec_b32 s5, s5
	s_cbranch_execz .LBB274_595
; %bb.586:
	flat_load_i16 v2, v[2:3]
	s_mov_b32 s6, exec_lo
                                        ; implicit-def: $vgpr3
	s_wait_loadcnt_dscnt 0x0
	v_cvt_f32_i32_e32 v2, v2
	s_delay_alu instid0(VALU_DEP_1) | instskip(NEXT) | instid1(VALU_DEP_1)
	v_and_b32_e32 v7, 0x7fffffff, v2
	v_cmpx_gt_u32_e32 0x43f00000, v7
	s_xor_b32 s6, exec_lo, s6
	s_cbranch_execz .LBB274_592
; %bb.587:
	s_mov_b32 s7, exec_lo
                                        ; implicit-def: $vgpr3
	v_cmpx_lt_u32_e32 0x3c7fffff, v7
	s_xor_b32 s7, exec_lo, s7
; %bb.588:
	v_bfe_u32 v3, v2, 20, 1
	s_delay_alu instid0(VALU_DEP_1) | instskip(NEXT) | instid1(VALU_DEP_1)
	v_add3_u32 v3, v2, v3, 0x407ffff
	v_and_b32_e32 v7, 0xff00000, v3
	v_lshrrev_b32_e32 v3, 20, v3
	s_delay_alu instid0(VALU_DEP_2) | instskip(NEXT) | instid1(VALU_DEP_1)
	v_cmp_ne_u32_e64 s0, 0x7f00000, v7
	v_cndmask_b32_e64 v3, 0x7e, v3, s0
; %bb.589:
	s_and_not1_saveexec_b32 s0, s7
; %bb.590:
	v_add_f32_e64 v3, 0x46800000, |v2|
; %bb.591:
	s_or_b32 exec_lo, exec_lo, s0
                                        ; implicit-def: $vgpr7
.LBB274_592:
	s_and_not1_saveexec_b32 s6, s6
; %bb.593:
	v_mov_b32_e32 v3, 0x7f
	v_cmp_lt_u32_e64 s0, 0x7f800000, v7
	s_delay_alu instid0(VALU_DEP_1)
	v_cndmask_b32_e64 v3, 0x7e, v3, s0
; %bb.594:
	s_or_b32 exec_lo, exec_lo, s6
	v_lshrrev_b32_e32 v2, 24, v2
	s_delay_alu instid0(VALU_DEP_1)
	v_and_or_b32 v15, 0x80, v2, v3
.LBB274_595:
	s_or_b32 exec_lo, exec_lo, s5
                                        ; implicit-def: $vgpr2_vgpr3
.LBB274_596:
	s_and_not1_saveexec_b32 s4, s4
	s_cbranch_execz .LBB274_618
; %bb.597:
	s_mov_b32 s5, exec_lo
                                        ; implicit-def: $vgpr15
	v_cmpx_lt_i16_e32 0, v20
	s_xor_b32 s5, exec_lo, s5
	s_cbranch_execz .LBB274_607
; %bb.598:
	flat_load_i8 v2, v[2:3]
	s_mov_b32 s6, exec_lo
                                        ; implicit-def: $vgpr3
	s_wait_loadcnt_dscnt 0x0
	v_cvt_f32_i32_e32 v2, v2
	s_delay_alu instid0(VALU_DEP_1) | instskip(NEXT) | instid1(VALU_DEP_1)
	v_and_b32_e32 v7, 0x7fffffff, v2
	v_cmpx_gt_u32_e32 0x43f00000, v7
	s_xor_b32 s6, exec_lo, s6
	s_cbranch_execz .LBB274_604
; %bb.599:
	s_mov_b32 s7, exec_lo
                                        ; implicit-def: $vgpr3
	v_cmpx_lt_u32_e32 0x3c7fffff, v7
	s_xor_b32 s7, exec_lo, s7
; %bb.600:
	v_bfe_u32 v3, v2, 20, 1
	s_delay_alu instid0(VALU_DEP_1) | instskip(NEXT) | instid1(VALU_DEP_1)
	v_add3_u32 v3, v2, v3, 0x407ffff
	v_and_b32_e32 v7, 0xff00000, v3
	v_lshrrev_b32_e32 v3, 20, v3
	s_delay_alu instid0(VALU_DEP_2) | instskip(NEXT) | instid1(VALU_DEP_1)
	v_cmp_ne_u32_e64 s0, 0x7f00000, v7
	v_cndmask_b32_e64 v3, 0x7e, v3, s0
; %bb.601:
	s_and_not1_saveexec_b32 s0, s7
; %bb.602:
	v_add_f32_e64 v3, 0x46800000, |v2|
; %bb.603:
	s_or_b32 exec_lo, exec_lo, s0
                                        ; implicit-def: $vgpr7
.LBB274_604:
	s_and_not1_saveexec_b32 s6, s6
; %bb.605:
	v_mov_b32_e32 v3, 0x7f
	v_cmp_lt_u32_e64 s0, 0x7f800000, v7
	s_delay_alu instid0(VALU_DEP_1)
	v_cndmask_b32_e64 v3, 0x7e, v3, s0
; %bb.606:
	s_or_b32 exec_lo, exec_lo, s6
	v_lshrrev_b32_e32 v2, 24, v2
	s_delay_alu instid0(VALU_DEP_1)
	v_and_or_b32 v15, 0x80, v2, v3
                                        ; implicit-def: $vgpr2_vgpr3
.LBB274_607:
	s_and_not1_saveexec_b32 s5, s5
	s_cbranch_execz .LBB274_617
; %bb.608:
	flat_load_u8 v2, v[2:3]
	s_mov_b32 s6, exec_lo
                                        ; implicit-def: $vgpr15
	s_wait_loadcnt_dscnt 0x0
	v_cvt_f32_ubyte0_e32 v2, v2
	s_delay_alu instid0(VALU_DEP_1)
	v_cmpx_gt_u32_e32 0x43f00000, v2
	s_xor_b32 s6, exec_lo, s6
	s_cbranch_execz .LBB274_614
; %bb.609:
	s_mov_b32 s7, exec_lo
                                        ; implicit-def: $vgpr15
	v_cmpx_lt_u32_e32 0x3c7fffff, v2
	s_xor_b32 s7, exec_lo, s7
; %bb.610:
	v_bfe_u32 v3, v2, 20, 1
	s_delay_alu instid0(VALU_DEP_1) | instskip(NEXT) | instid1(VALU_DEP_1)
	v_add3_u32 v2, v2, v3, 0x407ffff
	v_and_b32_e32 v3, 0xff00000, v2
	v_lshrrev_b32_e32 v2, 20, v2
	s_delay_alu instid0(VALU_DEP_2) | instskip(NEXT) | instid1(VALU_DEP_1)
	v_cmp_ne_u32_e64 s0, 0x7f00000, v3
	v_cndmask_b32_e64 v15, 0x7e, v2, s0
                                        ; implicit-def: $vgpr2
; %bb.611:
	s_and_not1_saveexec_b32 s0, s7
; %bb.612:
	v_add_f32_e32 v15, 0x46800000, v2
; %bb.613:
	s_or_b32 exec_lo, exec_lo, s0
                                        ; implicit-def: $vgpr2
.LBB274_614:
	s_and_not1_saveexec_b32 s6, s6
; %bb.615:
	v_mov_b32_e32 v3, 0x7f
	v_cmp_lt_u32_e64 s0, 0x7f800000, v2
	s_delay_alu instid0(VALU_DEP_1)
	v_cndmask_b32_e64 v15, 0x7e, v3, s0
; %bb.616:
	s_or_b32 exec_lo, exec_lo, s6
.LBB274_617:
	s_delay_alu instid0(SALU_CYCLE_1)
	s_or_b32 exec_lo, exec_lo, s5
.LBB274_618:
	s_delay_alu instid0(SALU_CYCLE_1)
	s_or_b32 exec_lo, exec_lo, s4
.LBB274_619:
	s_delay_alu instid0(SALU_CYCLE_1) | instskip(NEXT) | instid1(SALU_CYCLE_1)
	s_or_b32 exec_lo, exec_lo, s2
	s_or_b32 s16, s16, exec_lo
.LBB274_620:
	s_or_b32 exec_lo, exec_lo, s1
	s_mov_b32 s2, 0
	s_mov_b32 s6, 0
                                        ; implicit-def: $sgpr1
                                        ; implicit-def: $vgpr12_vgpr13
                                        ; implicit-def: $vgpr9
	s_and_saveexec_b32 s4, s16
	s_cbranch_execz .LBB274_2051
; %bb.621:
	s_clause 0x2
	scratch_load_b32 v22, off, off offset:32
	scratch_load_b64 v[2:3], off, off offset:16
	scratch_load_u8 v19, off, off offset:42
	s_mov_b32 s5, s3
	s_mov_b32 s1, exec_lo
                                        ; implicit-def: $vgpr18
	s_wait_loadcnt 0x2
	v_mul_lo_u32 v8, v22, v8
	s_delay_alu instid0(VALU_DEP_1) | instskip(SKIP_1) | instid1(VALU_DEP_1)
	v_ashrrev_i32_e32 v9, 31, v8
	s_wait_loadcnt 0x1
	v_add_nc_u64_e32 v[10:11], v[2:3], v[8:9]
	s_wait_loadcnt 0x0
	v_cmpx_lt_i16_e32 10, v19
	s_xor_b32 s1, exec_lo, s1
	s_cbranch_execz .LBB274_716
; %bb.622:
	s_mov_b32 s7, 0
	s_mov_b32 s5, exec_lo
                                        ; implicit-def: $vgpr18
	v_cmpx_lt_i16_e32 25, v19
	s_xor_b32 s5, exec_lo, s5
	s_cbranch_execz .LBB274_2231
; %bb.623:
	s_mov_b32 s8, 0
	s_mov_b32 s6, exec_lo
                                        ; implicit-def: $vgpr18
	v_cmpx_lt_i16_e32 28, v19
	s_xor_b32 s6, exec_lo, s6
	s_cbranch_execz .LBB274_663
; %bb.624:
	s_mov_b32 s9, 0
	s_mov_b32 s10, 0
	s_mov_b32 s7, exec_lo
                                        ; implicit-def: $vgpr18
	v_cmpx_lt_i16_e32 43, v19
	s_xor_b32 s7, exec_lo, s7
	s_cbranch_execz .LBB274_650
; %bb.625:
	s_mov_b32 s10, exec_lo
                                        ; implicit-def: $vgpr18
	v_cmpx_lt_i16_e32 45, v19
	s_xor_b32 s10, exec_lo, s10
	s_cbranch_execz .LBB274_637
; %bb.626:
	s_mov_b32 s11, -1
	s_mov_b32 s8, exec_lo
                                        ; implicit-def: $vgpr18
	v_cmpx_eq_u16_e32 46, v19
	s_cbranch_execz .LBB274_636
; %bb.627:
	flat_load_b32 v7, v[10:11]
	s_mov_b32 s9, exec_lo
                                        ; implicit-def: $vgpr9
	s_wait_loadcnt_dscnt 0x0
	v_lshlrev_b32_e32 v7, 16, v7
	s_delay_alu instid0(VALU_DEP_1) | instskip(SKIP_1) | instid1(VALU_DEP_1)
	v_and_b32_e32 v12, 0x7fffffff, v7
	s_wait_xcnt 0x0
	v_cmpx_gt_u32_e32 0x43f00000, v12
	s_xor_b32 s9, exec_lo, s9
	s_cbranch_execz .LBB274_633
; %bb.628:
	s_mov_b32 s11, exec_lo
                                        ; implicit-def: $vgpr9
	v_cmpx_lt_u32_e32 0x3c7fffff, v12
	s_xor_b32 s11, exec_lo, s11
; %bb.629:
	v_bfe_u32 v9, v7, 20, 1
	s_delay_alu instid0(VALU_DEP_1) | instskip(NEXT) | instid1(VALU_DEP_1)
	v_add3_u32 v9, v7, v9, 0x407ffff
	v_and_b32_e32 v12, 0xff00000, v9
	v_lshrrev_b32_e32 v9, 20, v9
	s_delay_alu instid0(VALU_DEP_2) | instskip(NEXT) | instid1(VALU_DEP_1)
	v_cmp_ne_u32_e64 s0, 0x7f00000, v12
	v_cndmask_b32_e64 v9, 0x7e, v9, s0
; %bb.630:
	s_and_not1_saveexec_b32 s0, s11
; %bb.631:
	v_add_f32_e64 v9, 0x46800000, |v7|
; %bb.632:
	s_or_b32 exec_lo, exec_lo, s0
                                        ; implicit-def: $vgpr12
.LBB274_633:
	s_and_not1_saveexec_b32 s9, s9
; %bb.634:
	v_mov_b32_e32 v9, 0x7f
	v_cmp_lt_u32_e64 s0, 0x7f800000, v12
	s_delay_alu instid0(VALU_DEP_1)
	v_cndmask_b32_e64 v9, 0x7e, v9, s0
; %bb.635:
	s_or_b32 exec_lo, exec_lo, s9
	v_lshrrev_b32_e32 v7, 24, v7
	s_mov_b32 s9, exec_lo
	s_xor_b32 s11, exec_lo, -1
	s_delay_alu instid0(VALU_DEP_1)
	v_and_or_b32 v18, 0x80, v7, v9
.LBB274_636:
	s_or_b32 exec_lo, exec_lo, s8
	s_delay_alu instid0(SALU_CYCLE_1)
	s_and_b32 s9, s9, exec_lo
	s_and_b32 s8, s11, exec_lo
.LBB274_637:
	s_and_not1_saveexec_b32 s10, s10
	s_cbranch_execz .LBB274_649
; %bb.638:
	s_mov_b32 s12, -1
	s_mov_b32 s13, s9
	s_mov_b32 s11, exec_lo
                                        ; implicit-def: $vgpr18
	v_cmpx_eq_u16_e32 44, v19
	s_cbranch_execz .LBB274_648
; %bb.639:
	flat_load_u8 v7, v[10:11]
	s_mov_b32 s12, exec_lo
                                        ; implicit-def: $vgpr18
	s_wait_loadcnt_dscnt 0x0
	v_lshlrev_b32_e32 v9, 23, v7
	v_cmp_ne_u32_e64 s0, 0xff, v7
	s_delay_alu instid0(VALU_DEP_1) | instskip(SKIP_1) | instid1(VALU_DEP_1)
	v_cndmask_b32_e64 v9, 0x7f800001, v9, s0
	v_cmp_ne_u32_e64 s0, 0, v7
	v_cndmask_b32_e64 v7, 0x400000, v9, s0
	s_wait_xcnt 0x0
	s_delay_alu instid0(VALU_DEP_1)
	v_cmpx_gt_u32_e32 0x43f00000, v7
	s_xor_b32 s12, exec_lo, s12
	s_cbranch_execz .LBB274_645
; %bb.640:
	s_mov_b32 s13, exec_lo
                                        ; implicit-def: $vgpr18
	v_cmpx_lt_u32_e32 0x3c7fffff, v7
	s_xor_b32 s13, exec_lo, s13
; %bb.641:
	v_bfe_u32 v9, v7, 20, 1
	s_delay_alu instid0(VALU_DEP_1) | instskip(NEXT) | instid1(VALU_DEP_1)
	v_add3_u32 v7, v7, v9, 0x407ffff
	v_and_b32_e32 v9, 0xff00000, v7
	v_lshrrev_b32_e32 v7, 20, v7
	s_delay_alu instid0(VALU_DEP_2) | instskip(NEXT) | instid1(VALU_DEP_1)
	v_cmp_ne_u32_e64 s0, 0x7f00000, v9
	v_cndmask_b32_e64 v18, 0x7e, v7, s0
                                        ; implicit-def: $vgpr7
; %bb.642:
	s_and_not1_saveexec_b32 s0, s13
; %bb.643:
	v_add_f32_e32 v18, 0x46800000, v7
; %bb.644:
	s_or_b32 exec_lo, exec_lo, s0
                                        ; implicit-def: $vgpr7
.LBB274_645:
	s_and_not1_saveexec_b32 s12, s12
; %bb.646:
	v_mov_b32_e32 v9, 0x7f
	v_cmp_lt_u32_e64 s0, 0x7f800000, v7
	s_delay_alu instid0(VALU_DEP_1)
	v_cndmask_b32_e64 v18, 0x7e, v9, s0
; %bb.647:
	s_or_b32 exec_lo, exec_lo, s12
	s_delay_alu instid0(SALU_CYCLE_1)
	s_or_b32 s13, s9, exec_lo
	s_xor_b32 s12, exec_lo, -1
.LBB274_648:
	s_or_b32 exec_lo, exec_lo, s11
	s_delay_alu instid0(SALU_CYCLE_1)
	s_and_not1_b32 s0, s9, exec_lo
	s_and_b32 s9, s13, exec_lo
	s_and_not1_b32 s8, s8, exec_lo
	s_and_b32 s11, s12, exec_lo
	s_or_b32 s9, s0, s9
	s_or_b32 s8, s8, s11
.LBB274_649:
	s_or_b32 exec_lo, exec_lo, s10
	s_delay_alu instid0(SALU_CYCLE_1)
	s_and_b32 s10, s9, exec_lo
	s_and_b32 s9, s8, exec_lo
.LBB274_650:
	s_and_not1_saveexec_b32 s7, s7
	s_cbranch_execz .LBB274_662
; %bb.651:
	s_mov_b32 s11, -1
	s_mov_b32 s12, s10
	s_mov_b32 s8, exec_lo
                                        ; implicit-def: $vgpr18
	v_cmpx_eq_u16_e32 29, v19
	s_cbranch_execz .LBB274_661
; %bb.652:
	flat_load_b64 v[12:13], v[10:11]
	s_mov_b32 s11, exec_lo
                                        ; implicit-def: $vgpr18
	s_wait_loadcnt_dscnt 0x0
	v_clz_i32_u32_e32 v7, v13
	s_delay_alu instid0(VALU_DEP_1) | instskip(NEXT) | instid1(VALU_DEP_1)
	v_min_u32_e32 v7, 32, v7
	v_lshlrev_b64_e32 v[12:13], v7, v[12:13]
	v_sub_nc_u32_e32 v7, 32, v7
	s_delay_alu instid0(VALU_DEP_2) | instskip(NEXT) | instid1(VALU_DEP_1)
	v_min_u32_e32 v9, 1, v12
	v_or_b32_e32 v9, v13, v9
	s_delay_alu instid0(VALU_DEP_1) | instskip(NEXT) | instid1(VALU_DEP_1)
	v_cvt_f32_u32_e32 v9, v9
	v_ldexp_f32 v7, v9, v7
	s_wait_xcnt 0x0
	s_delay_alu instid0(VALU_DEP_1)
	v_cmpx_gt_u32_e32 0x43f00000, v7
	s_xor_b32 s11, exec_lo, s11
	s_cbranch_execz .LBB274_658
; %bb.653:
	s_mov_b32 s12, exec_lo
                                        ; implicit-def: $vgpr18
	v_cmpx_lt_u32_e32 0x3c7fffff, v7
	s_xor_b32 s12, exec_lo, s12
; %bb.654:
	v_bfe_u32 v9, v7, 20, 1
	s_delay_alu instid0(VALU_DEP_1) | instskip(NEXT) | instid1(VALU_DEP_1)
	v_add3_u32 v7, v7, v9, 0x407ffff
	v_and_b32_e32 v9, 0xff00000, v7
	v_lshrrev_b32_e32 v7, 20, v7
	s_delay_alu instid0(VALU_DEP_2) | instskip(NEXT) | instid1(VALU_DEP_1)
	v_cmp_ne_u32_e64 s0, 0x7f00000, v9
	v_cndmask_b32_e64 v18, 0x7e, v7, s0
                                        ; implicit-def: $vgpr7
; %bb.655:
	s_and_not1_saveexec_b32 s0, s12
; %bb.656:
	v_add_f32_e32 v18, 0x46800000, v7
; %bb.657:
	s_or_b32 exec_lo, exec_lo, s0
                                        ; implicit-def: $vgpr7
.LBB274_658:
	s_and_not1_saveexec_b32 s11, s11
; %bb.659:
	v_mov_b32_e32 v9, 0x7f
	v_cmp_lt_u32_e64 s0, 0x7f800000, v7
	s_delay_alu instid0(VALU_DEP_1)
	v_cndmask_b32_e64 v18, 0x7e, v9, s0
; %bb.660:
	s_or_b32 exec_lo, exec_lo, s11
	s_delay_alu instid0(SALU_CYCLE_1)
	s_or_b32 s12, s10, exec_lo
	s_xor_b32 s11, exec_lo, -1
.LBB274_661:
	s_or_b32 exec_lo, exec_lo, s8
	s_delay_alu instid0(SALU_CYCLE_1)
	s_and_not1_b32 s0, s10, exec_lo
	s_and_b32 s8, s12, exec_lo
	s_and_not1_b32 s9, s9, exec_lo
	s_and_b32 s11, s11, exec_lo
	s_or_b32 s10, s0, s8
	s_or_b32 s9, s9, s11
.LBB274_662:
	s_or_b32 exec_lo, exec_lo, s7
	s_delay_alu instid0(SALU_CYCLE_1)
	s_and_b32 s8, s10, exec_lo
	s_and_b32 s7, s9, exec_lo
.LBB274_663:
	s_and_not1_saveexec_b32 s6, s6
	s_cbranch_execz .LBB274_703
; %bb.664:
	s_mov_b32 s9, exec_lo
                                        ; implicit-def: $vgpr18
	v_cmpx_lt_i16_e32 26, v19
	s_xor_b32 s9, exec_lo, s9
	s_cbranch_execz .LBB274_686
; %bb.665:
	s_mov_b32 s10, exec_lo
                                        ; implicit-def: $vgpr18
	v_cmpx_lt_i16_e32 27, v19
	s_xor_b32 s10, exec_lo, s10
	s_cbranch_execz .LBB274_675
; %bb.666:
	flat_load_b32 v7, v[10:11]
	s_mov_b32 s11, exec_lo
                                        ; implicit-def: $vgpr18
	s_wait_loadcnt_dscnt 0x0
	v_cvt_f32_u32_e32 v7, v7
	s_wait_xcnt 0x0
	s_delay_alu instid0(VALU_DEP_1)
	v_cmpx_gt_u32_e32 0x43f00000, v7
	s_xor_b32 s11, exec_lo, s11
	s_cbranch_execz .LBB274_672
; %bb.667:
	s_mov_b32 s12, exec_lo
                                        ; implicit-def: $vgpr18
	v_cmpx_lt_u32_e32 0x3c7fffff, v7
	s_xor_b32 s12, exec_lo, s12
; %bb.668:
	v_bfe_u32 v9, v7, 20, 1
	s_delay_alu instid0(VALU_DEP_1) | instskip(NEXT) | instid1(VALU_DEP_1)
	v_add3_u32 v7, v7, v9, 0x407ffff
	v_and_b32_e32 v9, 0xff00000, v7
	v_lshrrev_b32_e32 v7, 20, v7
	s_delay_alu instid0(VALU_DEP_2) | instskip(NEXT) | instid1(VALU_DEP_1)
	v_cmp_ne_u32_e64 s0, 0x7f00000, v9
	v_cndmask_b32_e64 v18, 0x7e, v7, s0
                                        ; implicit-def: $vgpr7
; %bb.669:
	s_and_not1_saveexec_b32 s0, s12
; %bb.670:
	v_add_f32_e32 v18, 0x46800000, v7
; %bb.671:
	s_or_b32 exec_lo, exec_lo, s0
                                        ; implicit-def: $vgpr7
.LBB274_672:
	s_and_not1_saveexec_b32 s11, s11
; %bb.673:
	v_mov_b32_e32 v9, 0x7f
	v_cmp_lt_u32_e64 s0, 0x7f800000, v7
	s_delay_alu instid0(VALU_DEP_1)
	v_cndmask_b32_e64 v18, 0x7e, v9, s0
; %bb.674:
	s_or_b32 exec_lo, exec_lo, s11
.LBB274_675:
	s_and_not1_saveexec_b32 s10, s10
	s_cbranch_execz .LBB274_685
; %bb.676:
	flat_load_u16 v7, v[10:11]
	s_mov_b32 s11, exec_lo
                                        ; implicit-def: $vgpr18
	s_wait_loadcnt_dscnt 0x0
	v_cvt_f32_u32_e32 v7, v7
	s_wait_xcnt 0x0
	s_delay_alu instid0(VALU_DEP_1)
	v_cmpx_gt_u32_e32 0x43f00000, v7
	s_xor_b32 s11, exec_lo, s11
	s_cbranch_execz .LBB274_682
; %bb.677:
	s_mov_b32 s12, exec_lo
                                        ; implicit-def: $vgpr18
	v_cmpx_lt_u32_e32 0x3c7fffff, v7
	s_xor_b32 s12, exec_lo, s12
; %bb.678:
	v_bfe_u32 v9, v7, 20, 1
	s_delay_alu instid0(VALU_DEP_1) | instskip(NEXT) | instid1(VALU_DEP_1)
	v_add3_u32 v7, v7, v9, 0x407ffff
	v_and_b32_e32 v9, 0xff00000, v7
	v_lshrrev_b32_e32 v7, 20, v7
	s_delay_alu instid0(VALU_DEP_2) | instskip(NEXT) | instid1(VALU_DEP_1)
	v_cmp_ne_u32_e64 s0, 0x7f00000, v9
	v_cndmask_b32_e64 v18, 0x7e, v7, s0
                                        ; implicit-def: $vgpr7
; %bb.679:
	s_and_not1_saveexec_b32 s0, s12
; %bb.680:
	v_add_f32_e32 v18, 0x46800000, v7
; %bb.681:
	s_or_b32 exec_lo, exec_lo, s0
                                        ; implicit-def: $vgpr7
.LBB274_682:
	s_and_not1_saveexec_b32 s11, s11
; %bb.683:
	v_mov_b32_e32 v9, 0x7f
	v_cmp_lt_u32_e64 s0, 0x7f800000, v7
	s_delay_alu instid0(VALU_DEP_1)
	v_cndmask_b32_e64 v18, 0x7e, v9, s0
; %bb.684:
	s_or_b32 exec_lo, exec_lo, s11
.LBB274_685:
	s_delay_alu instid0(SALU_CYCLE_1)
	s_or_b32 exec_lo, exec_lo, s10
.LBB274_686:
	s_and_not1_saveexec_b32 s9, s9
	s_cbranch_execz .LBB274_702
; %bb.687:
	flat_load_u8 v9, v[10:11]
	s_mov_b32 s10, 0
	s_mov_b32 s11, exec_lo
	s_wait_loadcnt_dscnt 0x0
	v_cmpx_lt_i16_e32 0x7f, v9
	s_xor_b32 s11, exec_lo, s11
	s_cbranch_execz .LBB274_2428
; %bb.688:
	s_mov_b32 s10, -1
	s_mov_b32 s12, exec_lo
	v_cmpx_eq_u16_e32 0x80, v9
; %bb.689:
	s_xor_b32 s10, exec_lo, -1
; %bb.690:
	s_or_b32 exec_lo, exec_lo, s12
	s_delay_alu instid0(SALU_CYCLE_1)
	s_and_b32 s10, s10, exec_lo
	s_or_saveexec_b32 s11, s11
	v_mov_b32_e32 v7, 0x7f800001
	s_xor_b32 exec_lo, exec_lo, s11
	s_cbranch_execnz .LBB274_2429
.LBB274_691:
	s_or_b32 exec_lo, exec_lo, s11
	s_and_saveexec_b32 s11, s10
	s_cbranch_execz .LBB274_693
.LBB274_692:
	v_and_b32_e32 v7, 0xffff, v9
	s_delay_alu instid0(VALU_DEP_1) | instskip(SKIP_1) | instid1(VALU_DEP_2)
	v_and_b32_e32 v12, 7, v7
	v_bfe_u32 v23, v7, 3, 4
	v_clz_i32_u32_e32 v13, v12
	s_delay_alu instid0(VALU_DEP_2) | instskip(NEXT) | instid1(VALU_DEP_2)
	v_cmp_eq_u32_e64 s0, 0, v23
	v_min_u32_e32 v13, 32, v13
	s_delay_alu instid0(VALU_DEP_1) | instskip(NEXT) | instid1(VALU_DEP_1)
	v_subrev_nc_u32_e32 v18, 28, v13
	v_dual_lshlrev_b32 v7, v18, v7 :: v_dual_sub_nc_u32 v13, 29, v13
	s_delay_alu instid0(VALU_DEP_1) | instskip(NEXT) | instid1(VALU_DEP_1)
	v_dual_lshlrev_b32 v9, 24, v9 :: v_dual_bitop2_b32 v7, 7, v7 bitop3:0x40
	v_dual_cndmask_b32 v7, v12, v7, s0 :: v_dual_cndmask_b32 v13, v23, v13, s0
	s_delay_alu instid0(VALU_DEP_2) | instskip(NEXT) | instid1(VALU_DEP_2)
	v_and_b32_e32 v9, 0x80000000, v9
	v_lshlrev_b32_e32 v7, 20, v7
	s_delay_alu instid0(VALU_DEP_3) | instskip(NEXT) | instid1(VALU_DEP_1)
	v_lshl_add_u32 v12, v13, 23, 0x3b800000
	v_or3_b32 v7, v9, v12, v7
.LBB274_693:
	s_or_b32 exec_lo, exec_lo, s11
	s_delay_alu instid0(VALU_DEP_1) | instskip(SKIP_1) | instid1(VALU_DEP_1)
	v_and_b32_e32 v12, 0x7fffffff, v7
	s_mov_b32 s10, exec_lo
                                        ; implicit-def: $vgpr9
	v_cmpx_gt_u32_e32 0x43f00000, v12
	s_xor_b32 s10, exec_lo, s10
	s_cbranch_execz .LBB274_699
; %bb.694:
	s_mov_b32 s11, exec_lo
                                        ; implicit-def: $vgpr9
	v_cmpx_lt_u32_e32 0x3c7fffff, v12
	s_xor_b32 s11, exec_lo, s11
; %bb.695:
	v_bfe_u32 v9, v7, 20, 1
	s_delay_alu instid0(VALU_DEP_1) | instskip(NEXT) | instid1(VALU_DEP_1)
	v_add3_u32 v9, v7, v9, 0x407ffff
	v_and_b32_e32 v12, 0xff00000, v9
	v_lshrrev_b32_e32 v9, 20, v9
	s_delay_alu instid0(VALU_DEP_2) | instskip(NEXT) | instid1(VALU_DEP_1)
	v_cmp_ne_u32_e64 s0, 0x7f00000, v12
	v_cndmask_b32_e64 v9, 0x7e, v9, s0
; %bb.696:
	s_and_not1_saveexec_b32 s0, s11
; %bb.697:
	v_add_f32_e64 v9, 0x46800000, |v7|
; %bb.698:
	s_or_b32 exec_lo, exec_lo, s0
                                        ; implicit-def: $vgpr12
.LBB274_699:
	s_and_not1_saveexec_b32 s10, s10
; %bb.700:
	v_mov_b32_e32 v9, 0x7f
	v_cmp_lt_u32_e64 s0, 0x7f800000, v12
	s_delay_alu instid0(VALU_DEP_1)
	v_cndmask_b32_e64 v9, 0x7e, v9, s0
; %bb.701:
	s_or_b32 exec_lo, exec_lo, s10
	v_lshrrev_b32_e32 v7, 24, v7
	s_delay_alu instid0(VALU_DEP_1)
	v_and_or_b32 v18, 0x80, v7, v9
.LBB274_702:
	s_or_b32 exec_lo, exec_lo, s9
	s_delay_alu instid0(SALU_CYCLE_1)
	s_or_b32 s8, s8, exec_lo
.LBB274_703:
	s_or_b32 exec_lo, exec_lo, s6
	s_delay_alu instid0(SALU_CYCLE_1)
	s_and_b32 s6, s8, exec_lo
	s_and_b32 s7, s7, exec_lo
	s_and_not1_saveexec_b32 s5, s5
	s_cbranch_execnz .LBB274_2232
.LBB274_704:
	s_or_b32 exec_lo, exec_lo, s5
	s_mov_b32 s5, s3
	s_and_saveexec_b32 s0, s7
	s_cbranch_execnz .LBB274_2281
.LBB274_705:
	s_or_b32 exec_lo, exec_lo, s0
	s_and_saveexec_b32 s7, s2
	s_cbranch_execz .LBB274_715
.LBB274_706:
	flat_load_u8 v7, v[10:11]
	s_mov_b32 s2, exec_lo
                                        ; implicit-def: $vgpr18
	s_wait_loadcnt_dscnt 0x0
	v_cmp_ne_u16_e64 s0, 0, v7
	s_delay_alu instid0(VALU_DEP_1) | instskip(SKIP_1) | instid1(VALU_DEP_1)
	v_cndmask_b32_e64 v7, 0, 1.0, s0
	s_wait_xcnt 0x0
	v_cmpx_gt_u32_e32 0x43f00000, v7
	s_xor_b32 s2, exec_lo, s2
	s_cbranch_execz .LBB274_712
; %bb.707:
	s_mov_b32 s8, exec_lo
                                        ; implicit-def: $vgpr18
	v_cmpx_lt_u32_e32 0x3c7fffff, v7
	s_xor_b32 s8, exec_lo, s8
; %bb.708:
	v_bfe_u32 v9, v7, 20, 1
	s_delay_alu instid0(VALU_DEP_1) | instskip(NEXT) | instid1(VALU_DEP_1)
	v_add3_u32 v7, v7, v9, 0x407ffff
	v_and_b32_e32 v9, 0xff00000, v7
	v_lshrrev_b32_e32 v7, 20, v7
	s_delay_alu instid0(VALU_DEP_2) | instskip(NEXT) | instid1(VALU_DEP_1)
	v_cmp_ne_u32_e64 s0, 0x7f00000, v9
	v_cndmask_b32_e64 v18, 0x7e, v7, s0
                                        ; implicit-def: $vgpr7
; %bb.709:
	s_and_not1_saveexec_b32 s0, s8
; %bb.710:
	v_add_f32_e32 v18, 0x46800000, v7
; %bb.711:
	s_or_b32 exec_lo, exec_lo, s0
                                        ; implicit-def: $vgpr7
.LBB274_712:
	s_and_not1_saveexec_b32 s2, s2
; %bb.713:
	v_mov_b32_e32 v9, 0x7f
	v_cmp_lt_u32_e64 s0, 0x7f800000, v7
	s_delay_alu instid0(VALU_DEP_1)
	v_cndmask_b32_e64 v18, 0x7e, v9, s0
; %bb.714:
	s_or_b32 exec_lo, exec_lo, s2
	s_delay_alu instid0(SALU_CYCLE_1)
	s_or_b32 s6, s6, exec_lo
.LBB274_715:
	s_or_b32 exec_lo, exec_lo, s7
	s_delay_alu instid0(SALU_CYCLE_1) | instskip(SKIP_1) | instid1(SALU_CYCLE_1)
	s_and_not1_b32 s0, s3, exec_lo
	s_and_b32 s2, s5, exec_lo
                                        ; implicit-def: $vgpr10_vgpr11
	s_or_b32 s5, s0, s2
	s_and_b32 s2, s6, exec_lo
.LBB274_716:
	s_and_not1_saveexec_b32 s1, s1
	s_cbranch_execz .LBB274_846
; %bb.717:
	s_mov_b32 s6, exec_lo
                                        ; implicit-def: $vgpr18
	v_cmpx_lt_i16_e32 4, v19
	s_xor_b32 s6, exec_lo, s6
	s_cbranch_execz .LBB274_787
; %bb.718:
	s_mov_b32 s7, exec_lo
                                        ; implicit-def: $vgpr18
	v_cmpx_lt_i16_e32 7, v19
	s_xor_b32 s7, exec_lo, s7
	;; [unrolled: 6-line block ×4, first 2 shown]
	s_cbranch_execz .LBB274_730
; %bb.721:
	flat_load_b64 v[10:11], v[10:11]
	s_mov_b32 s10, exec_lo
                                        ; implicit-def: $vgpr9
	s_wait_loadcnt_dscnt 0x0
	v_cvt_f32_f64_e32 v7, v[10:11]
	s_wait_xcnt 0x0
	s_delay_alu instid0(VALU_DEP_1) | instskip(NEXT) | instid1(VALU_DEP_1)
	v_and_b32_e32 v10, 0x7fffffff, v7
	v_cmpx_gt_u32_e32 0x43f00000, v10
	s_xor_b32 s10, exec_lo, s10
	s_cbranch_execz .LBB274_727
; %bb.722:
	s_mov_b32 s11, exec_lo
                                        ; implicit-def: $vgpr9
	v_cmpx_lt_u32_e32 0x3c7fffff, v10
	s_xor_b32 s11, exec_lo, s11
; %bb.723:
	v_bfe_u32 v9, v7, 20, 1
	s_delay_alu instid0(VALU_DEP_1) | instskip(NEXT) | instid1(VALU_DEP_1)
	v_add3_u32 v9, v7, v9, 0x407ffff
	v_and_b32_e32 v10, 0xff00000, v9
	v_lshrrev_b32_e32 v9, 20, v9
	s_delay_alu instid0(VALU_DEP_2) | instskip(NEXT) | instid1(VALU_DEP_1)
	v_cmp_ne_u32_e64 s0, 0x7f00000, v10
	v_cndmask_b32_e64 v9, 0x7e, v9, s0
; %bb.724:
	s_and_not1_saveexec_b32 s0, s11
; %bb.725:
	v_add_f32_e64 v9, 0x46800000, |v7|
; %bb.726:
	s_or_b32 exec_lo, exec_lo, s0
                                        ; implicit-def: $vgpr10
.LBB274_727:
	s_and_not1_saveexec_b32 s10, s10
; %bb.728:
	v_mov_b32_e32 v9, 0x7f
	v_cmp_lt_u32_e64 s0, 0x7f800000, v10
	s_delay_alu instid0(VALU_DEP_1)
	v_cndmask_b32_e64 v9, 0x7e, v9, s0
; %bb.729:
	s_or_b32 exec_lo, exec_lo, s10
	v_lshrrev_b32_e32 v7, 24, v7
                                        ; implicit-def: $vgpr10_vgpr11
	s_delay_alu instid0(VALU_DEP_1)
	v_and_or_b32 v18, 0x80, v7, v9
.LBB274_730:
	s_and_not1_saveexec_b32 s9, s9
	s_cbranch_execz .LBB274_740
; %bb.731:
	flat_load_b32 v7, v[10:11]
	s_mov_b32 s10, exec_lo
                                        ; implicit-def: $vgpr9
	s_wait_loadcnt_dscnt 0x0
	v_and_b32_e32 v10, 0x7fffffff, v7
	s_delay_alu instid0(VALU_DEP_1)
	v_cmpx_gt_u32_e32 0x43f00000, v10
	s_xor_b32 s10, exec_lo, s10
	s_cbranch_execz .LBB274_737
; %bb.732:
	s_mov_b32 s11, exec_lo
                                        ; implicit-def: $vgpr9
	v_cmpx_lt_u32_e32 0x3c7fffff, v10
	s_xor_b32 s11, exec_lo, s11
; %bb.733:
	v_bfe_u32 v9, v7, 20, 1
	s_delay_alu instid0(VALU_DEP_1) | instskip(NEXT) | instid1(VALU_DEP_1)
	v_add3_u32 v9, v7, v9, 0x407ffff
	v_and_b32_e32 v10, 0xff00000, v9
	v_lshrrev_b32_e32 v9, 20, v9
	s_delay_alu instid0(VALU_DEP_2) | instskip(NEXT) | instid1(VALU_DEP_1)
	v_cmp_ne_u32_e64 s0, 0x7f00000, v10
	v_cndmask_b32_e64 v9, 0x7e, v9, s0
; %bb.734:
	s_and_not1_saveexec_b32 s0, s11
; %bb.735:
	v_add_f32_e64 v9, 0x46800000, |v7|
; %bb.736:
	s_or_b32 exec_lo, exec_lo, s0
                                        ; implicit-def: $vgpr10
.LBB274_737:
	s_and_not1_saveexec_b32 s10, s10
; %bb.738:
	v_mov_b32_e32 v9, 0x7f
	v_cmp_lt_u32_e64 s0, 0x7f800000, v10
	s_delay_alu instid0(VALU_DEP_1)
	v_cndmask_b32_e64 v9, 0x7e, v9, s0
; %bb.739:
	s_or_b32 exec_lo, exec_lo, s10
	v_lshrrev_b32_e32 v7, 24, v7
	s_delay_alu instid0(VALU_DEP_1)
	v_and_or_b32 v18, 0x80, v7, v9
.LBB274_740:
	s_or_b32 exec_lo, exec_lo, s9
                                        ; implicit-def: $vgpr10_vgpr11
.LBB274_741:
	s_and_not1_saveexec_b32 s8, s8
	s_cbranch_execz .LBB274_751
; %bb.742:
	flat_load_b32 v7, v[10:11]
	s_mov_b32 s9, exec_lo
                                        ; implicit-def: $vgpr9
	s_wait_loadcnt_dscnt 0x0
	v_cvt_f32_f16_e32 v7, v7
	s_wait_xcnt 0x0
	s_delay_alu instid0(VALU_DEP_1) | instskip(NEXT) | instid1(VALU_DEP_1)
	v_and_b32_e32 v10, 0x7fffffff, v7
	v_cmpx_gt_u32_e32 0x43f00000, v10
	s_xor_b32 s9, exec_lo, s9
	s_cbranch_execz .LBB274_748
; %bb.743:
	s_mov_b32 s10, exec_lo
                                        ; implicit-def: $vgpr9
	v_cmpx_lt_u32_e32 0x3c7fffff, v10
	s_xor_b32 s10, exec_lo, s10
; %bb.744:
	v_bfe_u32 v9, v7, 20, 1
	s_delay_alu instid0(VALU_DEP_1) | instskip(NEXT) | instid1(VALU_DEP_1)
	v_add3_u32 v9, v7, v9, 0x407ffff
	v_and_b32_e32 v10, 0xff00000, v9
	v_lshrrev_b32_e32 v9, 20, v9
	s_delay_alu instid0(VALU_DEP_2) | instskip(NEXT) | instid1(VALU_DEP_1)
	v_cmp_ne_u32_e64 s0, 0x7f00000, v10
	v_cndmask_b32_e64 v9, 0x7e, v9, s0
; %bb.745:
	s_and_not1_saveexec_b32 s0, s10
; %bb.746:
	v_add_f32_e64 v9, 0x46800000, |v7|
; %bb.747:
	s_or_b32 exec_lo, exec_lo, s0
                                        ; implicit-def: $vgpr10
.LBB274_748:
	s_and_not1_saveexec_b32 s9, s9
; %bb.749:
	v_mov_b32_e32 v9, 0x7f
	v_cmp_lt_u32_e64 s0, 0x7f800000, v10
	s_delay_alu instid0(VALU_DEP_1)
	v_cndmask_b32_e64 v9, 0x7e, v9, s0
; %bb.750:
	s_or_b32 exec_lo, exec_lo, s9
	v_lshrrev_b32_e32 v7, 24, v7
	s_delay_alu instid0(VALU_DEP_1)
	v_and_or_b32 v18, 0x80, v7, v9
.LBB274_751:
	s_or_b32 exec_lo, exec_lo, s8
                                        ; implicit-def: $vgpr10_vgpr11
.LBB274_752:
	s_and_not1_saveexec_b32 s7, s7
	s_cbranch_execz .LBB274_786
; %bb.753:
	s_mov_b32 s8, exec_lo
                                        ; implicit-def: $vgpr18
	v_cmpx_lt_i16_e32 5, v19
	s_xor_b32 s8, exec_lo, s8
	s_cbranch_execz .LBB274_775
; %bb.754:
	s_mov_b32 s9, exec_lo
                                        ; implicit-def: $vgpr18
	v_cmpx_lt_i16_e32 6, v19
	s_xor_b32 s9, exec_lo, s9
	s_cbranch_execz .LBB274_764
; %bb.755:
	flat_load_b64 v[10:11], v[10:11]
	s_mov_b32 s10, exec_lo
                                        ; implicit-def: $vgpr9
	s_wait_loadcnt_dscnt 0x0
	v_cvt_f32_f64_e32 v7, v[10:11]
	s_wait_xcnt 0x0
	s_delay_alu instid0(VALU_DEP_1) | instskip(NEXT) | instid1(VALU_DEP_1)
	v_and_b32_e32 v10, 0x7fffffff, v7
	v_cmpx_gt_u32_e32 0x43f00000, v10
	s_xor_b32 s10, exec_lo, s10
	s_cbranch_execz .LBB274_761
; %bb.756:
	s_mov_b32 s11, exec_lo
                                        ; implicit-def: $vgpr9
	v_cmpx_lt_u32_e32 0x3c7fffff, v10
	s_xor_b32 s11, exec_lo, s11
; %bb.757:
	v_bfe_u32 v9, v7, 20, 1
	s_delay_alu instid0(VALU_DEP_1) | instskip(NEXT) | instid1(VALU_DEP_1)
	v_add3_u32 v9, v7, v9, 0x407ffff
	v_and_b32_e32 v10, 0xff00000, v9
	v_lshrrev_b32_e32 v9, 20, v9
	s_delay_alu instid0(VALU_DEP_2) | instskip(NEXT) | instid1(VALU_DEP_1)
	v_cmp_ne_u32_e64 s0, 0x7f00000, v10
	v_cndmask_b32_e64 v9, 0x7e, v9, s0
; %bb.758:
	s_and_not1_saveexec_b32 s0, s11
; %bb.759:
	v_add_f32_e64 v9, 0x46800000, |v7|
; %bb.760:
	s_or_b32 exec_lo, exec_lo, s0
                                        ; implicit-def: $vgpr10
.LBB274_761:
	s_and_not1_saveexec_b32 s10, s10
; %bb.762:
	v_mov_b32_e32 v9, 0x7f
	v_cmp_lt_u32_e64 s0, 0x7f800000, v10
	s_delay_alu instid0(VALU_DEP_1)
	v_cndmask_b32_e64 v9, 0x7e, v9, s0
; %bb.763:
	s_or_b32 exec_lo, exec_lo, s10
	v_lshrrev_b32_e32 v7, 24, v7
                                        ; implicit-def: $vgpr10_vgpr11
	s_delay_alu instid0(VALU_DEP_1)
	v_and_or_b32 v18, 0x80, v7, v9
.LBB274_764:
	s_and_not1_saveexec_b32 s9, s9
	s_cbranch_execz .LBB274_774
; %bb.765:
	flat_load_b32 v7, v[10:11]
	s_mov_b32 s10, exec_lo
                                        ; implicit-def: $vgpr9
	s_wait_loadcnt_dscnt 0x0
	v_and_b32_e32 v10, 0x7fffffff, v7
	s_delay_alu instid0(VALU_DEP_1)
	v_cmpx_gt_u32_e32 0x43f00000, v10
	s_xor_b32 s10, exec_lo, s10
	s_cbranch_execz .LBB274_771
; %bb.766:
	s_mov_b32 s11, exec_lo
                                        ; implicit-def: $vgpr9
	v_cmpx_lt_u32_e32 0x3c7fffff, v10
	s_xor_b32 s11, exec_lo, s11
; %bb.767:
	v_bfe_u32 v9, v7, 20, 1
	s_delay_alu instid0(VALU_DEP_1) | instskip(NEXT) | instid1(VALU_DEP_1)
	v_add3_u32 v9, v7, v9, 0x407ffff
	v_and_b32_e32 v10, 0xff00000, v9
	v_lshrrev_b32_e32 v9, 20, v9
	s_delay_alu instid0(VALU_DEP_2) | instskip(NEXT) | instid1(VALU_DEP_1)
	v_cmp_ne_u32_e64 s0, 0x7f00000, v10
	v_cndmask_b32_e64 v9, 0x7e, v9, s0
; %bb.768:
	s_and_not1_saveexec_b32 s0, s11
; %bb.769:
	v_add_f32_e64 v9, 0x46800000, |v7|
; %bb.770:
	s_or_b32 exec_lo, exec_lo, s0
                                        ; implicit-def: $vgpr10
.LBB274_771:
	s_and_not1_saveexec_b32 s10, s10
; %bb.772:
	v_mov_b32_e32 v9, 0x7f
	v_cmp_lt_u32_e64 s0, 0x7f800000, v10
	s_delay_alu instid0(VALU_DEP_1)
	v_cndmask_b32_e64 v9, 0x7e, v9, s0
; %bb.773:
	s_or_b32 exec_lo, exec_lo, s10
	v_lshrrev_b32_e32 v7, 24, v7
	s_delay_alu instid0(VALU_DEP_1)
	v_and_or_b32 v18, 0x80, v7, v9
.LBB274_774:
	s_or_b32 exec_lo, exec_lo, s9
                                        ; implicit-def: $vgpr10_vgpr11
.LBB274_775:
	s_and_not1_saveexec_b32 s8, s8
	s_cbranch_execz .LBB274_785
; %bb.776:
	flat_load_u16 v7, v[10:11]
	s_mov_b32 s9, exec_lo
                                        ; implicit-def: $vgpr9
	s_wait_loadcnt_dscnt 0x0
	v_cvt_f32_f16_e32 v7, v7
	s_wait_xcnt 0x0
	s_delay_alu instid0(VALU_DEP_1) | instskip(NEXT) | instid1(VALU_DEP_1)
	v_and_b32_e32 v10, 0x7fffffff, v7
	v_cmpx_gt_u32_e32 0x43f00000, v10
	s_xor_b32 s9, exec_lo, s9
	s_cbranch_execz .LBB274_782
; %bb.777:
	s_mov_b32 s10, exec_lo
                                        ; implicit-def: $vgpr9
	v_cmpx_lt_u32_e32 0x3c7fffff, v10
	s_xor_b32 s10, exec_lo, s10
; %bb.778:
	v_bfe_u32 v9, v7, 20, 1
	s_delay_alu instid0(VALU_DEP_1) | instskip(NEXT) | instid1(VALU_DEP_1)
	v_add3_u32 v9, v7, v9, 0x407ffff
	v_and_b32_e32 v10, 0xff00000, v9
	v_lshrrev_b32_e32 v9, 20, v9
	s_delay_alu instid0(VALU_DEP_2) | instskip(NEXT) | instid1(VALU_DEP_1)
	v_cmp_ne_u32_e64 s0, 0x7f00000, v10
	v_cndmask_b32_e64 v9, 0x7e, v9, s0
; %bb.779:
	s_and_not1_saveexec_b32 s0, s10
; %bb.780:
	v_add_f32_e64 v9, 0x46800000, |v7|
; %bb.781:
	s_or_b32 exec_lo, exec_lo, s0
                                        ; implicit-def: $vgpr10
.LBB274_782:
	s_and_not1_saveexec_b32 s9, s9
; %bb.783:
	v_mov_b32_e32 v9, 0x7f
	v_cmp_lt_u32_e64 s0, 0x7f800000, v10
	s_delay_alu instid0(VALU_DEP_1)
	v_cndmask_b32_e64 v9, 0x7e, v9, s0
; %bb.784:
	s_or_b32 exec_lo, exec_lo, s9
	v_lshrrev_b32_e32 v7, 24, v7
	s_delay_alu instid0(VALU_DEP_1)
	v_and_or_b32 v18, 0x80, v7, v9
.LBB274_785:
	s_or_b32 exec_lo, exec_lo, s8
.LBB274_786:
	s_delay_alu instid0(SALU_CYCLE_1)
	s_or_b32 exec_lo, exec_lo, s7
                                        ; implicit-def: $vgpr10_vgpr11
.LBB274_787:
	s_and_not1_saveexec_b32 s6, s6
	s_cbranch_execz .LBB274_845
; %bb.788:
	s_mov_b32 s7, exec_lo
                                        ; implicit-def: $vgpr18
	v_cmpx_lt_i16_e32 1, v19
	s_xor_b32 s7, exec_lo, s7
	s_cbranch_execz .LBB274_822
; %bb.789:
	s_mov_b32 s8, exec_lo
                                        ; implicit-def: $vgpr18
	v_cmpx_lt_i16_e32 2, v19
	s_xor_b32 s8, exec_lo, s8
	s_cbranch_execz .LBB274_811
; %bb.790:
	s_mov_b32 s9, exec_lo
                                        ; implicit-def: $vgpr18
	v_cmpx_lt_i16_e32 3, v19
	s_xor_b32 s9, exec_lo, s9
	s_cbranch_execz .LBB274_800
; %bb.791:
	flat_load_b64 v[10:11], v[10:11]
	s_mov_b32 s10, exec_lo
	s_wait_loadcnt_dscnt 0x0
	v_xor_b32_e32 v7, v10, v11
	v_cls_i32_e32 v9, v11
	s_delay_alu instid0(VALU_DEP_2) | instskip(NEXT) | instid1(VALU_DEP_1)
	v_ashrrev_i32_e32 v7, 31, v7
	v_add_nc_u32_e32 v7, 32, v7
	s_delay_alu instid0(VALU_DEP_1) | instskip(SKIP_1) | instid1(VALU_DEP_1)
	v_add_min_u32_e64 v7, v9, -1, v7
	s_wait_xcnt 0x0
	v_lshlrev_b64_e32 v[10:11], v7, v[10:11]
	v_sub_nc_u32_e32 v7, 32, v7
	s_delay_alu instid0(VALU_DEP_2) | instskip(NEXT) | instid1(VALU_DEP_1)
	v_min_u32_e32 v9, 1, v10
	v_or_b32_e32 v9, v11, v9
	s_delay_alu instid0(VALU_DEP_1) | instskip(NEXT) | instid1(VALU_DEP_1)
	v_cvt_f32_i32_e32 v9, v9
	v_ldexp_f32 v7, v9, v7
                                        ; implicit-def: $vgpr9
	s_delay_alu instid0(VALU_DEP_1) | instskip(NEXT) | instid1(VALU_DEP_1)
	v_and_b32_e32 v10, 0x7fffffff, v7
	v_cmpx_gt_u32_e32 0x43f00000, v10
	s_xor_b32 s10, exec_lo, s10
	s_cbranch_execz .LBB274_797
; %bb.792:
	s_mov_b32 s11, exec_lo
                                        ; implicit-def: $vgpr9
	v_cmpx_lt_u32_e32 0x3c7fffff, v10
	s_xor_b32 s11, exec_lo, s11
; %bb.793:
	v_bfe_u32 v9, v7, 20, 1
	s_delay_alu instid0(VALU_DEP_1) | instskip(NEXT) | instid1(VALU_DEP_1)
	v_add3_u32 v9, v7, v9, 0x407ffff
	v_and_b32_e32 v10, 0xff00000, v9
	v_lshrrev_b32_e32 v9, 20, v9
	s_delay_alu instid0(VALU_DEP_2) | instskip(NEXT) | instid1(VALU_DEP_1)
	v_cmp_ne_u32_e64 s0, 0x7f00000, v10
	v_cndmask_b32_e64 v9, 0x7e, v9, s0
; %bb.794:
	s_and_not1_saveexec_b32 s0, s11
; %bb.795:
	v_add_f32_e64 v9, 0x46800000, |v7|
; %bb.796:
	s_or_b32 exec_lo, exec_lo, s0
                                        ; implicit-def: $vgpr10
.LBB274_797:
	s_and_not1_saveexec_b32 s10, s10
; %bb.798:
	v_mov_b32_e32 v9, 0x7f
	v_cmp_lt_u32_e64 s0, 0x7f800000, v10
	s_delay_alu instid0(VALU_DEP_1)
	v_cndmask_b32_e64 v9, 0x7e, v9, s0
; %bb.799:
	s_or_b32 exec_lo, exec_lo, s10
	v_lshrrev_b32_e32 v7, 24, v7
                                        ; implicit-def: $vgpr10_vgpr11
	s_delay_alu instid0(VALU_DEP_1)
	v_and_or_b32 v18, 0x80, v7, v9
.LBB274_800:
	s_and_not1_saveexec_b32 s9, s9
	s_cbranch_execz .LBB274_810
; %bb.801:
	flat_load_b32 v7, v[10:11]
	s_mov_b32 s10, exec_lo
                                        ; implicit-def: $vgpr9
	s_wait_loadcnt_dscnt 0x0
	v_cvt_f32_i32_e32 v7, v7
	s_wait_xcnt 0x0
	s_delay_alu instid0(VALU_DEP_1) | instskip(NEXT) | instid1(VALU_DEP_1)
	v_and_b32_e32 v10, 0x7fffffff, v7
	v_cmpx_gt_u32_e32 0x43f00000, v10
	s_xor_b32 s10, exec_lo, s10
	s_cbranch_execz .LBB274_807
; %bb.802:
	s_mov_b32 s11, exec_lo
                                        ; implicit-def: $vgpr9
	v_cmpx_lt_u32_e32 0x3c7fffff, v10
	s_xor_b32 s11, exec_lo, s11
; %bb.803:
	v_bfe_u32 v9, v7, 20, 1
	s_delay_alu instid0(VALU_DEP_1) | instskip(NEXT) | instid1(VALU_DEP_1)
	v_add3_u32 v9, v7, v9, 0x407ffff
	v_and_b32_e32 v10, 0xff00000, v9
	v_lshrrev_b32_e32 v9, 20, v9
	s_delay_alu instid0(VALU_DEP_2) | instskip(NEXT) | instid1(VALU_DEP_1)
	v_cmp_ne_u32_e64 s0, 0x7f00000, v10
	v_cndmask_b32_e64 v9, 0x7e, v9, s0
; %bb.804:
	s_and_not1_saveexec_b32 s0, s11
; %bb.805:
	v_add_f32_e64 v9, 0x46800000, |v7|
; %bb.806:
	s_or_b32 exec_lo, exec_lo, s0
                                        ; implicit-def: $vgpr10
.LBB274_807:
	s_and_not1_saveexec_b32 s10, s10
; %bb.808:
	v_mov_b32_e32 v9, 0x7f
	v_cmp_lt_u32_e64 s0, 0x7f800000, v10
	s_delay_alu instid0(VALU_DEP_1)
	v_cndmask_b32_e64 v9, 0x7e, v9, s0
; %bb.809:
	s_or_b32 exec_lo, exec_lo, s10
	v_lshrrev_b32_e32 v7, 24, v7
	s_delay_alu instid0(VALU_DEP_1)
	v_and_or_b32 v18, 0x80, v7, v9
.LBB274_810:
	s_or_b32 exec_lo, exec_lo, s9
                                        ; implicit-def: $vgpr10_vgpr11
.LBB274_811:
	s_and_not1_saveexec_b32 s8, s8
	s_cbranch_execz .LBB274_821
; %bb.812:
	flat_load_i16 v7, v[10:11]
	s_mov_b32 s9, exec_lo
                                        ; implicit-def: $vgpr9
	s_wait_loadcnt_dscnt 0x0
	v_cvt_f32_i32_e32 v7, v7
	s_wait_xcnt 0x0
	s_delay_alu instid0(VALU_DEP_1) | instskip(NEXT) | instid1(VALU_DEP_1)
	v_and_b32_e32 v10, 0x7fffffff, v7
	v_cmpx_gt_u32_e32 0x43f00000, v10
	s_xor_b32 s9, exec_lo, s9
	s_cbranch_execz .LBB274_818
; %bb.813:
	s_mov_b32 s10, exec_lo
                                        ; implicit-def: $vgpr9
	v_cmpx_lt_u32_e32 0x3c7fffff, v10
	s_xor_b32 s10, exec_lo, s10
; %bb.814:
	v_bfe_u32 v9, v7, 20, 1
	s_delay_alu instid0(VALU_DEP_1) | instskip(NEXT) | instid1(VALU_DEP_1)
	v_add3_u32 v9, v7, v9, 0x407ffff
	v_and_b32_e32 v10, 0xff00000, v9
	v_lshrrev_b32_e32 v9, 20, v9
	s_delay_alu instid0(VALU_DEP_2) | instskip(NEXT) | instid1(VALU_DEP_1)
	v_cmp_ne_u32_e64 s0, 0x7f00000, v10
	v_cndmask_b32_e64 v9, 0x7e, v9, s0
; %bb.815:
	s_and_not1_saveexec_b32 s0, s10
; %bb.816:
	v_add_f32_e64 v9, 0x46800000, |v7|
; %bb.817:
	s_or_b32 exec_lo, exec_lo, s0
                                        ; implicit-def: $vgpr10
.LBB274_818:
	s_and_not1_saveexec_b32 s9, s9
; %bb.819:
	v_mov_b32_e32 v9, 0x7f
	v_cmp_lt_u32_e64 s0, 0x7f800000, v10
	s_delay_alu instid0(VALU_DEP_1)
	v_cndmask_b32_e64 v9, 0x7e, v9, s0
; %bb.820:
	s_or_b32 exec_lo, exec_lo, s9
	v_lshrrev_b32_e32 v7, 24, v7
	s_delay_alu instid0(VALU_DEP_1)
	v_and_or_b32 v18, 0x80, v7, v9
.LBB274_821:
	s_or_b32 exec_lo, exec_lo, s8
                                        ; implicit-def: $vgpr10_vgpr11
.LBB274_822:
	s_and_not1_saveexec_b32 s7, s7
	s_cbranch_execz .LBB274_844
; %bb.823:
	s_mov_b32 s8, exec_lo
                                        ; implicit-def: $vgpr18
	v_cmpx_lt_i16_e32 0, v19
	s_xor_b32 s8, exec_lo, s8
	s_cbranch_execz .LBB274_833
; %bb.824:
	flat_load_i8 v7, v[10:11]
	s_mov_b32 s9, exec_lo
                                        ; implicit-def: $vgpr9
	s_wait_loadcnt_dscnt 0x0
	v_cvt_f32_i32_e32 v7, v7
	s_wait_xcnt 0x0
	s_delay_alu instid0(VALU_DEP_1) | instskip(NEXT) | instid1(VALU_DEP_1)
	v_and_b32_e32 v10, 0x7fffffff, v7
	v_cmpx_gt_u32_e32 0x43f00000, v10
	s_xor_b32 s9, exec_lo, s9
	s_cbranch_execz .LBB274_830
; %bb.825:
	s_mov_b32 s10, exec_lo
                                        ; implicit-def: $vgpr9
	v_cmpx_lt_u32_e32 0x3c7fffff, v10
	s_xor_b32 s10, exec_lo, s10
; %bb.826:
	v_bfe_u32 v9, v7, 20, 1
	s_delay_alu instid0(VALU_DEP_1) | instskip(NEXT) | instid1(VALU_DEP_1)
	v_add3_u32 v9, v7, v9, 0x407ffff
	v_and_b32_e32 v10, 0xff00000, v9
	v_lshrrev_b32_e32 v9, 20, v9
	s_delay_alu instid0(VALU_DEP_2) | instskip(NEXT) | instid1(VALU_DEP_1)
	v_cmp_ne_u32_e64 s0, 0x7f00000, v10
	v_cndmask_b32_e64 v9, 0x7e, v9, s0
; %bb.827:
	s_and_not1_saveexec_b32 s0, s10
; %bb.828:
	v_add_f32_e64 v9, 0x46800000, |v7|
; %bb.829:
	s_or_b32 exec_lo, exec_lo, s0
                                        ; implicit-def: $vgpr10
.LBB274_830:
	s_and_not1_saveexec_b32 s9, s9
; %bb.831:
	v_mov_b32_e32 v9, 0x7f
	v_cmp_lt_u32_e64 s0, 0x7f800000, v10
	s_delay_alu instid0(VALU_DEP_1)
	v_cndmask_b32_e64 v9, 0x7e, v9, s0
; %bb.832:
	s_or_b32 exec_lo, exec_lo, s9
	v_lshrrev_b32_e32 v7, 24, v7
                                        ; implicit-def: $vgpr10_vgpr11
	s_delay_alu instid0(VALU_DEP_1)
	v_and_or_b32 v18, 0x80, v7, v9
.LBB274_833:
	s_and_not1_saveexec_b32 s8, s8
	s_cbranch_execz .LBB274_843
; %bb.834:
	flat_load_u8 v7, v[10:11]
	s_mov_b32 s9, exec_lo
                                        ; implicit-def: $vgpr18
	s_wait_loadcnt_dscnt 0x0
	v_cvt_f32_ubyte0_e32 v7, v7
	s_wait_xcnt 0x0
	s_delay_alu instid0(VALU_DEP_1)
	v_cmpx_gt_u32_e32 0x43f00000, v7
	s_xor_b32 s9, exec_lo, s9
	s_cbranch_execz .LBB274_840
; %bb.835:
	s_mov_b32 s10, exec_lo
                                        ; implicit-def: $vgpr18
	v_cmpx_lt_u32_e32 0x3c7fffff, v7
	s_xor_b32 s10, exec_lo, s10
; %bb.836:
	v_bfe_u32 v9, v7, 20, 1
	s_delay_alu instid0(VALU_DEP_1) | instskip(NEXT) | instid1(VALU_DEP_1)
	v_add3_u32 v7, v7, v9, 0x407ffff
	v_and_b32_e32 v9, 0xff00000, v7
	v_lshrrev_b32_e32 v7, 20, v7
	s_delay_alu instid0(VALU_DEP_2) | instskip(NEXT) | instid1(VALU_DEP_1)
	v_cmp_ne_u32_e64 s0, 0x7f00000, v9
	v_cndmask_b32_e64 v18, 0x7e, v7, s0
                                        ; implicit-def: $vgpr7
; %bb.837:
	s_and_not1_saveexec_b32 s0, s10
; %bb.838:
	v_add_f32_e32 v18, 0x46800000, v7
; %bb.839:
	s_or_b32 exec_lo, exec_lo, s0
                                        ; implicit-def: $vgpr7
.LBB274_840:
	s_and_not1_saveexec_b32 s9, s9
; %bb.841:
	v_mov_b32_e32 v9, 0x7f
	v_cmp_lt_u32_e64 s0, 0x7f800000, v7
	s_delay_alu instid0(VALU_DEP_1)
	v_cndmask_b32_e64 v18, 0x7e, v9, s0
; %bb.842:
	s_or_b32 exec_lo, exec_lo, s9
.LBB274_843:
	s_delay_alu instid0(SALU_CYCLE_1)
	s_or_b32 exec_lo, exec_lo, s8
.LBB274_844:
	s_delay_alu instid0(SALU_CYCLE_1)
	s_or_b32 exec_lo, exec_lo, s7
.LBB274_845:
	s_delay_alu instid0(SALU_CYCLE_1) | instskip(NEXT) | instid1(SALU_CYCLE_1)
	s_or_b32 exec_lo, exec_lo, s6
	s_or_b32 s2, s2, exec_lo
.LBB274_846:
	s_or_b32 exec_lo, exec_lo, s1
	s_mov_b32 s0, 0
	s_mov_b32 s8, 0
                                        ; implicit-def: $sgpr1
                                        ; implicit-def: $vgpr12_vgpr13
                                        ; implicit-def: $vgpr9
	s_and_saveexec_b32 s6, s2
	s_cbranch_execz .LBB274_2050
; %bb.847:
	v_lshlrev_b32_e32 v23, 7, v21
	s_mov_b32 s2, 0
	s_mov_b32 s7, s5
	s_mov_b32 s1, exec_lo
	s_delay_alu instid0(VALU_DEP_1) | instskip(NEXT) | instid1(VALU_DEP_1)
	v_add_nc_u32_e32 v10, v6, v23
	v_ashrrev_i32_e32 v11, 31, v10
	s_delay_alu instid0(VALU_DEP_1)
	v_add_nc_u64_e32 v[6:7], v[4:5], v[10:11]
                                        ; implicit-def: $vgpr11
	v_cmpx_lt_i16_e32 10, v20
	s_xor_b32 s1, exec_lo, s1
	s_cbranch_execz .LBB274_942
; %bb.848:
	s_mov_b32 s9, 0
	s_mov_b32 s7, exec_lo
                                        ; implicit-def: $vgpr11
	v_cmpx_lt_i16_e32 25, v20
	s_xor_b32 s7, exec_lo, s7
	s_cbranch_execz .LBB274_2324
; %bb.849:
	s_mov_b32 s10, 0
	s_mov_b32 s8, exec_lo
                                        ; implicit-def: $vgpr11
	v_cmpx_lt_i16_e32 28, v20
	s_xor_b32 s8, exec_lo, s8
	s_cbranch_execz .LBB274_889
; %bb.850:
	s_mov_b32 s11, 0
	s_mov_b32 s12, 0
	s_mov_b32 s9, exec_lo
                                        ; implicit-def: $vgpr11
	v_cmpx_lt_i16_e32 43, v20
	s_xor_b32 s9, exec_lo, s9
	s_cbranch_execz .LBB274_876
; %bb.851:
	s_mov_b32 s12, exec_lo
                                        ; implicit-def: $vgpr11
	v_cmpx_lt_i16_e32 45, v20
	s_xor_b32 s12, exec_lo, s12
	s_cbranch_execz .LBB274_863
; %bb.852:
	s_mov_b32 s13, -1
	s_mov_b32 s10, exec_lo
                                        ; implicit-def: $vgpr11
	v_cmpx_eq_u16_e32 46, v20
	s_cbranch_execz .LBB274_862
; %bb.853:
	flat_load_b32 v9, v[6:7]
	s_mov_b32 s11, exec_lo
                                        ; implicit-def: $vgpr11
	s_wait_loadcnt_dscnt 0x0
	v_lshlrev_b32_e32 v9, 16, v9
	s_delay_alu instid0(VALU_DEP_1) | instskip(SKIP_1) | instid1(VALU_DEP_1)
	v_and_b32_e32 v12, 0x7fffffff, v9
	s_wait_xcnt 0x0
	v_cmpx_gt_u32_e32 0x43f00000, v12
	s_xor_b32 s11, exec_lo, s11
	s_cbranch_execz .LBB274_859
; %bb.854:
	s_mov_b32 s13, exec_lo
                                        ; implicit-def: $vgpr11
	v_cmpx_lt_u32_e32 0x3c7fffff, v12
	s_xor_b32 s13, exec_lo, s13
; %bb.855:
	v_bfe_u32 v11, v9, 20, 1
	s_delay_alu instid0(VALU_DEP_1) | instskip(NEXT) | instid1(VALU_DEP_1)
	v_add3_u32 v11, v9, v11, 0x407ffff
	v_and_b32_e32 v12, 0xff00000, v11
	v_lshrrev_b32_e32 v11, 20, v11
	s_delay_alu instid0(VALU_DEP_2) | instskip(NEXT) | instid1(VALU_DEP_1)
	v_cmp_ne_u32_e64 s0, 0x7f00000, v12
	v_cndmask_b32_e64 v11, 0x7e, v11, s0
; %bb.856:
	s_and_not1_saveexec_b32 s0, s13
; %bb.857:
	v_add_f32_e64 v11, 0x46800000, |v9|
; %bb.858:
	s_or_b32 exec_lo, exec_lo, s0
                                        ; implicit-def: $vgpr12
.LBB274_859:
	s_and_not1_saveexec_b32 s11, s11
; %bb.860:
	v_mov_b32_e32 v11, 0x7f
	v_cmp_lt_u32_e64 s0, 0x7f800000, v12
	s_delay_alu instid0(VALU_DEP_1)
	v_cndmask_b32_e64 v11, 0x7e, v11, s0
; %bb.861:
	s_or_b32 exec_lo, exec_lo, s11
	v_lshrrev_b32_e32 v9, 24, v9
	s_mov_b32 s11, exec_lo
	s_xor_b32 s13, exec_lo, -1
	s_delay_alu instid0(VALU_DEP_1)
	v_and_or_b32 v11, 0x80, v9, v11
.LBB274_862:
	s_or_b32 exec_lo, exec_lo, s10
	s_delay_alu instid0(SALU_CYCLE_1)
	s_and_b32 s11, s11, exec_lo
	s_and_b32 s10, s13, exec_lo
.LBB274_863:
	s_and_not1_saveexec_b32 s12, s12
	s_cbranch_execz .LBB274_875
; %bb.864:
	s_mov_b32 s16, -1
	s_mov_b32 s17, s11
	s_mov_b32 s13, exec_lo
                                        ; implicit-def: $vgpr11
	v_cmpx_eq_u16_e32 44, v20
	s_cbranch_execz .LBB274_874
; %bb.865:
	flat_load_u8 v9, v[6:7]
	s_mov_b32 s16, exec_lo
	s_wait_loadcnt_dscnt 0x0
	v_lshlrev_b32_e32 v11, 23, v9
	v_cmp_ne_u32_e64 s0, 0xff, v9
	s_delay_alu instid0(VALU_DEP_1) | instskip(SKIP_1) | instid1(VALU_DEP_1)
	v_cndmask_b32_e64 v11, 0x7f800001, v11, s0
	v_cmp_ne_u32_e64 s0, 0, v9
	v_cndmask_b32_e64 v9, 0x400000, v11, s0
                                        ; implicit-def: $vgpr11
	s_wait_xcnt 0x0
	s_delay_alu instid0(VALU_DEP_1)
	v_cmpx_gt_u32_e32 0x43f00000, v9
	s_xor_b32 s16, exec_lo, s16
	s_cbranch_execz .LBB274_871
; %bb.866:
	s_mov_b32 s17, exec_lo
                                        ; implicit-def: $vgpr11
	v_cmpx_lt_u32_e32 0x3c7fffff, v9
	s_xor_b32 s17, exec_lo, s17
; %bb.867:
	v_bfe_u32 v11, v9, 20, 1
	s_delay_alu instid0(VALU_DEP_1) | instskip(NEXT) | instid1(VALU_DEP_1)
	v_add3_u32 v9, v9, v11, 0x407ffff
	v_and_b32_e32 v11, 0xff00000, v9
	v_lshrrev_b32_e32 v9, 20, v9
	s_delay_alu instid0(VALU_DEP_2) | instskip(NEXT) | instid1(VALU_DEP_1)
	v_cmp_ne_u32_e64 s0, 0x7f00000, v11
	v_cndmask_b32_e64 v11, 0x7e, v9, s0
                                        ; implicit-def: $vgpr9
; %bb.868:
	s_and_not1_saveexec_b32 s0, s17
; %bb.869:
	v_add_f32_e32 v11, 0x46800000, v9
; %bb.870:
	s_or_b32 exec_lo, exec_lo, s0
                                        ; implicit-def: $vgpr9
.LBB274_871:
	s_and_not1_saveexec_b32 s16, s16
; %bb.872:
	v_mov_b32_e32 v11, 0x7f
	v_cmp_lt_u32_e64 s0, 0x7f800000, v9
	s_delay_alu instid0(VALU_DEP_1)
	v_cndmask_b32_e64 v11, 0x7e, v11, s0
; %bb.873:
	s_or_b32 exec_lo, exec_lo, s16
	s_delay_alu instid0(SALU_CYCLE_1)
	s_or_b32 s17, s11, exec_lo
	s_xor_b32 s16, exec_lo, -1
.LBB274_874:
	s_or_b32 exec_lo, exec_lo, s13
	s_delay_alu instid0(SALU_CYCLE_1)
	s_and_not1_b32 s0, s11, exec_lo
	s_and_b32 s11, s17, exec_lo
	s_and_not1_b32 s10, s10, exec_lo
	s_and_b32 s13, s16, exec_lo
	s_or_b32 s11, s0, s11
	s_or_b32 s10, s10, s13
.LBB274_875:
	s_or_b32 exec_lo, exec_lo, s12
	s_delay_alu instid0(SALU_CYCLE_1)
	s_and_b32 s12, s11, exec_lo
	s_and_b32 s11, s10, exec_lo
.LBB274_876:
	s_and_not1_saveexec_b32 s9, s9
	s_cbranch_execz .LBB274_888
; %bb.877:
	s_mov_b32 s13, -1
	s_mov_b32 s16, s12
	s_mov_b32 s10, exec_lo
                                        ; implicit-def: $vgpr11
	v_cmpx_eq_u16_e32 29, v20
	s_cbranch_execz .LBB274_887
; %bb.878:
	flat_load_b64 v[12:13], v[6:7]
	s_mov_b32 s13, exec_lo
	s_wait_loadcnt_dscnt 0x0
	v_clz_i32_u32_e32 v9, v13
	s_delay_alu instid0(VALU_DEP_1) | instskip(NEXT) | instid1(VALU_DEP_1)
	v_min_u32_e32 v9, 32, v9
	v_lshlrev_b64_e32 v[12:13], v9, v[12:13]
	v_sub_nc_u32_e32 v9, 32, v9
	s_delay_alu instid0(VALU_DEP_2) | instskip(NEXT) | instid1(VALU_DEP_1)
	v_min_u32_e32 v11, 1, v12
	v_or_b32_e32 v11, v13, v11
	s_delay_alu instid0(VALU_DEP_1) | instskip(NEXT) | instid1(VALU_DEP_1)
	v_cvt_f32_u32_e32 v11, v11
	v_ldexp_f32 v9, v11, v9
                                        ; implicit-def: $vgpr11
	s_wait_xcnt 0x0
	s_delay_alu instid0(VALU_DEP_1)
	v_cmpx_gt_u32_e32 0x43f00000, v9
	s_xor_b32 s13, exec_lo, s13
	s_cbranch_execz .LBB274_884
; %bb.879:
	s_mov_b32 s16, exec_lo
                                        ; implicit-def: $vgpr11
	v_cmpx_lt_u32_e32 0x3c7fffff, v9
	s_xor_b32 s16, exec_lo, s16
; %bb.880:
	v_bfe_u32 v11, v9, 20, 1
	s_delay_alu instid0(VALU_DEP_1) | instskip(NEXT) | instid1(VALU_DEP_1)
	v_add3_u32 v9, v9, v11, 0x407ffff
	v_and_b32_e32 v11, 0xff00000, v9
	v_lshrrev_b32_e32 v9, 20, v9
	s_delay_alu instid0(VALU_DEP_2) | instskip(NEXT) | instid1(VALU_DEP_1)
	v_cmp_ne_u32_e64 s0, 0x7f00000, v11
	v_cndmask_b32_e64 v11, 0x7e, v9, s0
                                        ; implicit-def: $vgpr9
; %bb.881:
	s_and_not1_saveexec_b32 s0, s16
; %bb.882:
	v_add_f32_e32 v11, 0x46800000, v9
; %bb.883:
	s_or_b32 exec_lo, exec_lo, s0
                                        ; implicit-def: $vgpr9
.LBB274_884:
	s_and_not1_saveexec_b32 s13, s13
; %bb.885:
	v_mov_b32_e32 v11, 0x7f
	v_cmp_lt_u32_e64 s0, 0x7f800000, v9
	s_delay_alu instid0(VALU_DEP_1)
	v_cndmask_b32_e64 v11, 0x7e, v11, s0
; %bb.886:
	s_or_b32 exec_lo, exec_lo, s13
	s_delay_alu instid0(SALU_CYCLE_1)
	s_or_b32 s16, s12, exec_lo
	s_xor_b32 s13, exec_lo, -1
.LBB274_887:
	s_or_b32 exec_lo, exec_lo, s10
	s_delay_alu instid0(SALU_CYCLE_1)
	s_and_not1_b32 s0, s12, exec_lo
	s_and_b32 s10, s16, exec_lo
	s_and_not1_b32 s11, s11, exec_lo
	s_and_b32 s13, s13, exec_lo
	s_or_b32 s12, s0, s10
	s_or_b32 s11, s11, s13
.LBB274_888:
	s_or_b32 exec_lo, exec_lo, s9
	s_delay_alu instid0(SALU_CYCLE_1)
	s_and_b32 s10, s12, exec_lo
	s_and_b32 s9, s11, exec_lo
.LBB274_889:
	s_and_not1_saveexec_b32 s8, s8
	s_cbranch_execz .LBB274_929
; %bb.890:
	s_mov_b32 s11, exec_lo
                                        ; implicit-def: $vgpr11
	v_cmpx_lt_i16_e32 26, v20
	s_xor_b32 s11, exec_lo, s11
	s_cbranch_execz .LBB274_912
; %bb.891:
	s_mov_b32 s12, exec_lo
                                        ; implicit-def: $vgpr11
	v_cmpx_lt_i16_e32 27, v20
	s_xor_b32 s12, exec_lo, s12
	s_cbranch_execz .LBB274_901
; %bb.892:
	flat_load_b32 v9, v[6:7]
	s_mov_b32 s13, exec_lo
                                        ; implicit-def: $vgpr11
	s_wait_loadcnt_dscnt 0x0
	v_cvt_f32_u32_e32 v9, v9
	s_wait_xcnt 0x0
	s_delay_alu instid0(VALU_DEP_1)
	v_cmpx_gt_u32_e32 0x43f00000, v9
	s_xor_b32 s13, exec_lo, s13
	s_cbranch_execz .LBB274_898
; %bb.893:
	s_mov_b32 s16, exec_lo
                                        ; implicit-def: $vgpr11
	v_cmpx_lt_u32_e32 0x3c7fffff, v9
	s_xor_b32 s16, exec_lo, s16
; %bb.894:
	v_bfe_u32 v11, v9, 20, 1
	s_delay_alu instid0(VALU_DEP_1) | instskip(NEXT) | instid1(VALU_DEP_1)
	v_add3_u32 v9, v9, v11, 0x407ffff
	v_and_b32_e32 v11, 0xff00000, v9
	v_lshrrev_b32_e32 v9, 20, v9
	s_delay_alu instid0(VALU_DEP_2) | instskip(NEXT) | instid1(VALU_DEP_1)
	v_cmp_ne_u32_e64 s0, 0x7f00000, v11
	v_cndmask_b32_e64 v11, 0x7e, v9, s0
                                        ; implicit-def: $vgpr9
; %bb.895:
	s_and_not1_saveexec_b32 s0, s16
; %bb.896:
	v_add_f32_e32 v11, 0x46800000, v9
; %bb.897:
	s_or_b32 exec_lo, exec_lo, s0
                                        ; implicit-def: $vgpr9
.LBB274_898:
	s_and_not1_saveexec_b32 s13, s13
; %bb.899:
	v_mov_b32_e32 v11, 0x7f
	v_cmp_lt_u32_e64 s0, 0x7f800000, v9
	s_delay_alu instid0(VALU_DEP_1)
	v_cndmask_b32_e64 v11, 0x7e, v11, s0
; %bb.900:
	s_or_b32 exec_lo, exec_lo, s13
.LBB274_901:
	s_and_not1_saveexec_b32 s12, s12
	s_cbranch_execz .LBB274_911
; %bb.902:
	flat_load_u16 v9, v[6:7]
	s_mov_b32 s13, exec_lo
                                        ; implicit-def: $vgpr11
	s_wait_loadcnt_dscnt 0x0
	v_cvt_f32_u32_e32 v9, v9
	s_wait_xcnt 0x0
	s_delay_alu instid0(VALU_DEP_1)
	v_cmpx_gt_u32_e32 0x43f00000, v9
	s_xor_b32 s13, exec_lo, s13
	s_cbranch_execz .LBB274_908
; %bb.903:
	s_mov_b32 s16, exec_lo
                                        ; implicit-def: $vgpr11
	v_cmpx_lt_u32_e32 0x3c7fffff, v9
	s_xor_b32 s16, exec_lo, s16
; %bb.904:
	v_bfe_u32 v11, v9, 20, 1
	s_delay_alu instid0(VALU_DEP_1) | instskip(NEXT) | instid1(VALU_DEP_1)
	v_add3_u32 v9, v9, v11, 0x407ffff
	v_and_b32_e32 v11, 0xff00000, v9
	v_lshrrev_b32_e32 v9, 20, v9
	s_delay_alu instid0(VALU_DEP_2) | instskip(NEXT) | instid1(VALU_DEP_1)
	v_cmp_ne_u32_e64 s0, 0x7f00000, v11
	v_cndmask_b32_e64 v11, 0x7e, v9, s0
                                        ; implicit-def: $vgpr9
; %bb.905:
	s_and_not1_saveexec_b32 s0, s16
; %bb.906:
	v_add_f32_e32 v11, 0x46800000, v9
; %bb.907:
	s_or_b32 exec_lo, exec_lo, s0
                                        ; implicit-def: $vgpr9
.LBB274_908:
	s_and_not1_saveexec_b32 s13, s13
; %bb.909:
	v_mov_b32_e32 v11, 0x7f
	v_cmp_lt_u32_e64 s0, 0x7f800000, v9
	s_delay_alu instid0(VALU_DEP_1)
	v_cndmask_b32_e64 v11, 0x7e, v11, s0
; %bb.910:
	s_or_b32 exec_lo, exec_lo, s13
.LBB274_911:
	s_delay_alu instid0(SALU_CYCLE_1)
	s_or_b32 exec_lo, exec_lo, s12
.LBB274_912:
	s_and_not1_saveexec_b32 s11, s11
	s_cbranch_execz .LBB274_928
; %bb.913:
	flat_load_u8 v11, v[6:7]
	s_mov_b32 s12, 0
	s_mov_b32 s13, exec_lo
	s_wait_loadcnt_dscnt 0x0
	v_cmpx_lt_i16_e32 0x7f, v11
	s_xor_b32 s13, exec_lo, s13
	s_cbranch_execz .LBB274_2485
; %bb.914:
	s_mov_b32 s12, -1
	s_mov_b32 s16, exec_lo
	v_cmpx_eq_u16_e32 0x80, v11
; %bb.915:
	s_xor_b32 s12, exec_lo, -1
; %bb.916:
	s_or_b32 exec_lo, exec_lo, s16
	s_delay_alu instid0(SALU_CYCLE_1)
	s_and_b32 s12, s12, exec_lo
	s_or_saveexec_b32 s13, s13
	v_mov_b32_e32 v9, 0x7f800001
	s_xor_b32 exec_lo, exec_lo, s13
	s_cbranch_execnz .LBB274_2486
.LBB274_917:
	s_or_b32 exec_lo, exec_lo, s13
	s_and_saveexec_b32 s13, s12
	s_cbranch_execz .LBB274_919
.LBB274_918:
	v_and_b32_e32 v9, 0xffff, v11
	s_delay_alu instid0(VALU_DEP_1) | instskip(SKIP_1) | instid1(VALU_DEP_2)
	v_dual_lshlrev_b32 v11, 24, v11 :: v_dual_bitop2_b32 v12, 7, v9 bitop3:0x40
	v_bfe_u32 v24, v9, 3, 4
	v_and_b32_e32 v11, 0x80000000, v11
	s_delay_alu instid0(VALU_DEP_3) | instskip(NEXT) | instid1(VALU_DEP_3)
	v_clz_i32_u32_e32 v13, v12
	v_cmp_eq_u32_e64 s0, 0, v24
	s_delay_alu instid0(VALU_DEP_2) | instskip(NEXT) | instid1(VALU_DEP_1)
	v_min_u32_e32 v13, 32, v13
	v_subrev_nc_u32_e32 v21, 28, v13
	v_sub_nc_u32_e32 v13, 29, v13
	s_delay_alu instid0(VALU_DEP_2) | instskip(NEXT) | instid1(VALU_DEP_2)
	v_lshlrev_b32_e32 v9, v21, v9
	v_cndmask_b32_e64 v13, v24, v13, s0
	s_delay_alu instid0(VALU_DEP_2) | instskip(NEXT) | instid1(VALU_DEP_1)
	v_and_b32_e32 v9, 7, v9
	v_cndmask_b32_e64 v9, v12, v9, s0
	s_delay_alu instid0(VALU_DEP_3) | instskip(NEXT) | instid1(VALU_DEP_2)
	v_lshl_add_u32 v12, v13, 23, 0x3b800000
	v_lshlrev_b32_e32 v9, 20, v9
	s_delay_alu instid0(VALU_DEP_1)
	v_or3_b32 v9, v11, v12, v9
.LBB274_919:
	s_or_b32 exec_lo, exec_lo, s13
	s_delay_alu instid0(VALU_DEP_1) | instskip(SKIP_1) | instid1(VALU_DEP_1)
	v_and_b32_e32 v12, 0x7fffffff, v9
	s_mov_b32 s12, exec_lo
                                        ; implicit-def: $vgpr11
	v_cmpx_gt_u32_e32 0x43f00000, v12
	s_xor_b32 s12, exec_lo, s12
	s_cbranch_execz .LBB274_925
; %bb.920:
	s_mov_b32 s13, exec_lo
                                        ; implicit-def: $vgpr11
	v_cmpx_lt_u32_e32 0x3c7fffff, v12
	s_xor_b32 s13, exec_lo, s13
; %bb.921:
	v_bfe_u32 v11, v9, 20, 1
	s_delay_alu instid0(VALU_DEP_1) | instskip(NEXT) | instid1(VALU_DEP_1)
	v_add3_u32 v11, v9, v11, 0x407ffff
	v_and_b32_e32 v12, 0xff00000, v11
	v_lshrrev_b32_e32 v11, 20, v11
	s_delay_alu instid0(VALU_DEP_2) | instskip(NEXT) | instid1(VALU_DEP_1)
	v_cmp_ne_u32_e64 s0, 0x7f00000, v12
	v_cndmask_b32_e64 v11, 0x7e, v11, s0
; %bb.922:
	s_and_not1_saveexec_b32 s0, s13
; %bb.923:
	v_add_f32_e64 v11, 0x46800000, |v9|
; %bb.924:
	s_or_b32 exec_lo, exec_lo, s0
                                        ; implicit-def: $vgpr12
.LBB274_925:
	s_and_not1_saveexec_b32 s12, s12
; %bb.926:
	v_mov_b32_e32 v11, 0x7f
	v_cmp_lt_u32_e64 s0, 0x7f800000, v12
	s_delay_alu instid0(VALU_DEP_1)
	v_cndmask_b32_e64 v11, 0x7e, v11, s0
; %bb.927:
	s_or_b32 exec_lo, exec_lo, s12
	v_lshrrev_b32_e32 v9, 24, v9
	s_delay_alu instid0(VALU_DEP_1)
	v_and_or_b32 v11, 0x80, v9, v11
.LBB274_928:
	s_or_b32 exec_lo, exec_lo, s11
	s_delay_alu instid0(SALU_CYCLE_1)
	s_or_b32 s10, s10, exec_lo
.LBB274_929:
	s_or_b32 exec_lo, exec_lo, s8
	s_delay_alu instid0(SALU_CYCLE_1)
	s_and_b32 s8, s10, exec_lo
	s_and_b32 s9, s9, exec_lo
	s_and_not1_saveexec_b32 s7, s7
	s_cbranch_execnz .LBB274_2325
.LBB274_930:
	s_or_b32 exec_lo, exec_lo, s7
	s_mov_b32 s7, s5
	s_and_saveexec_b32 s0, s9
	s_cbranch_execnz .LBB274_2374
.LBB274_931:
	s_or_b32 exec_lo, exec_lo, s0
	s_and_saveexec_b32 s9, s2
	s_cbranch_execz .LBB274_941
.LBB274_932:
	flat_load_u8 v6, v[6:7]
	s_mov_b32 s2, exec_lo
                                        ; implicit-def: $vgpr11
	s_wait_loadcnt_dscnt 0x0
	v_cmp_ne_u16_e64 s0, 0, v6
	s_wait_xcnt 0x0
	s_delay_alu instid0(VALU_DEP_1) | instskip(NEXT) | instid1(VALU_DEP_1)
	v_cndmask_b32_e64 v6, 0, 1.0, s0
	v_cmpx_gt_u32_e32 0x43f00000, v6
	s_xor_b32 s2, exec_lo, s2
	s_cbranch_execz .LBB274_938
; %bb.933:
	s_mov_b32 s10, exec_lo
                                        ; implicit-def: $vgpr11
	v_cmpx_lt_u32_e32 0x3c7fffff, v6
	s_xor_b32 s10, exec_lo, s10
; %bb.934:
	v_bfe_u32 v7, v6, 20, 1
	s_delay_alu instid0(VALU_DEP_1) | instskip(NEXT) | instid1(VALU_DEP_1)
	v_add3_u32 v6, v6, v7, 0x407ffff
	v_and_b32_e32 v7, 0xff00000, v6
	v_lshrrev_b32_e32 v6, 20, v6
	s_delay_alu instid0(VALU_DEP_2) | instskip(NEXT) | instid1(VALU_DEP_1)
	v_cmp_ne_u32_e64 s0, 0x7f00000, v7
	v_cndmask_b32_e64 v11, 0x7e, v6, s0
                                        ; implicit-def: $vgpr6
; %bb.935:
	s_and_not1_saveexec_b32 s0, s10
; %bb.936:
	v_add_f32_e32 v11, 0x46800000, v6
; %bb.937:
	s_or_b32 exec_lo, exec_lo, s0
                                        ; implicit-def: $vgpr6
.LBB274_938:
	s_and_not1_saveexec_b32 s2, s2
; %bb.939:
	v_mov_b32_e32 v7, 0x7f
	v_cmp_lt_u32_e64 s0, 0x7f800000, v6
	s_delay_alu instid0(VALU_DEP_1)
	v_cndmask_b32_e64 v11, 0x7e, v7, s0
; %bb.940:
	s_or_b32 exec_lo, exec_lo, s2
	s_delay_alu instid0(SALU_CYCLE_1)
	s_or_b32 s8, s8, exec_lo
.LBB274_941:
	s_or_b32 exec_lo, exec_lo, s9
	s_delay_alu instid0(SALU_CYCLE_1) | instskip(SKIP_1) | instid1(SALU_CYCLE_1)
	s_and_not1_b32 s0, s5, exec_lo
	s_and_b32 s2, s7, exec_lo
                                        ; implicit-def: $vgpr6_vgpr7
	s_or_b32 s7, s0, s2
	s_and_b32 s2, s8, exec_lo
.LBB274_942:
	s_and_not1_saveexec_b32 s1, s1
	s_cbranch_execz .LBB274_1072
; %bb.943:
	s_mov_b32 s8, exec_lo
                                        ; implicit-def: $vgpr11
	v_cmpx_lt_i16_e32 4, v20
	s_xor_b32 s8, exec_lo, s8
	s_cbranch_execz .LBB274_1013
; %bb.944:
	s_mov_b32 s9, exec_lo
                                        ; implicit-def: $vgpr11
	v_cmpx_lt_i16_e32 7, v20
	s_xor_b32 s9, exec_lo, s9
	;; [unrolled: 6-line block ×4, first 2 shown]
	s_cbranch_execz .LBB274_956
; %bb.947:
	flat_load_b64 v[6:7], v[6:7]
	s_mov_b32 s12, exec_lo
	s_wait_loadcnt_dscnt 0x0
	v_cvt_f32_f64_e32 v6, v[6:7]
                                        ; implicit-def: $vgpr7
	s_delay_alu instid0(VALU_DEP_1) | instskip(NEXT) | instid1(VALU_DEP_1)
	v_and_b32_e32 v9, 0x7fffffff, v6
	v_cmpx_gt_u32_e32 0x43f00000, v9
	s_xor_b32 s12, exec_lo, s12
	s_cbranch_execz .LBB274_953
; %bb.948:
	s_mov_b32 s13, exec_lo
                                        ; implicit-def: $vgpr7
	v_cmpx_lt_u32_e32 0x3c7fffff, v9
	s_xor_b32 s13, exec_lo, s13
; %bb.949:
	v_bfe_u32 v7, v6, 20, 1
	s_delay_alu instid0(VALU_DEP_1) | instskip(NEXT) | instid1(VALU_DEP_1)
	v_add3_u32 v7, v6, v7, 0x407ffff
	v_and_b32_e32 v9, 0xff00000, v7
	v_lshrrev_b32_e32 v7, 20, v7
	s_delay_alu instid0(VALU_DEP_2) | instskip(NEXT) | instid1(VALU_DEP_1)
	v_cmp_ne_u32_e64 s0, 0x7f00000, v9
	v_cndmask_b32_e64 v7, 0x7e, v7, s0
; %bb.950:
	s_and_not1_saveexec_b32 s0, s13
; %bb.951:
	v_add_f32_e64 v7, 0x46800000, |v6|
; %bb.952:
	s_or_b32 exec_lo, exec_lo, s0
                                        ; implicit-def: $vgpr9
.LBB274_953:
	s_and_not1_saveexec_b32 s12, s12
; %bb.954:
	v_mov_b32_e32 v7, 0x7f
	v_cmp_lt_u32_e64 s0, 0x7f800000, v9
	s_delay_alu instid0(VALU_DEP_1)
	v_cndmask_b32_e64 v7, 0x7e, v7, s0
; %bb.955:
	s_or_b32 exec_lo, exec_lo, s12
	v_lshrrev_b32_e32 v6, 24, v6
	s_delay_alu instid0(VALU_DEP_1)
	v_and_or_b32 v11, 0x80, v6, v7
                                        ; implicit-def: $vgpr6_vgpr7
.LBB274_956:
	s_and_not1_saveexec_b32 s11, s11
	s_cbranch_execz .LBB274_966
; %bb.957:
	flat_load_b32 v6, v[6:7]
	s_mov_b32 s12, exec_lo
                                        ; implicit-def: $vgpr7
	s_wait_loadcnt_dscnt 0x0
	v_and_b32_e32 v9, 0x7fffffff, v6
	s_wait_xcnt 0x0
	s_delay_alu instid0(VALU_DEP_1)
	v_cmpx_gt_u32_e32 0x43f00000, v9
	s_xor_b32 s12, exec_lo, s12
	s_cbranch_execz .LBB274_963
; %bb.958:
	s_mov_b32 s13, exec_lo
                                        ; implicit-def: $vgpr7
	v_cmpx_lt_u32_e32 0x3c7fffff, v9
	s_xor_b32 s13, exec_lo, s13
; %bb.959:
	v_bfe_u32 v7, v6, 20, 1
	s_delay_alu instid0(VALU_DEP_1) | instskip(NEXT) | instid1(VALU_DEP_1)
	v_add3_u32 v7, v6, v7, 0x407ffff
	v_and_b32_e32 v9, 0xff00000, v7
	v_lshrrev_b32_e32 v7, 20, v7
	s_delay_alu instid0(VALU_DEP_2) | instskip(NEXT) | instid1(VALU_DEP_1)
	v_cmp_ne_u32_e64 s0, 0x7f00000, v9
	v_cndmask_b32_e64 v7, 0x7e, v7, s0
; %bb.960:
	s_and_not1_saveexec_b32 s0, s13
; %bb.961:
	v_add_f32_e64 v7, 0x46800000, |v6|
; %bb.962:
	s_or_b32 exec_lo, exec_lo, s0
                                        ; implicit-def: $vgpr9
.LBB274_963:
	s_and_not1_saveexec_b32 s12, s12
; %bb.964:
	v_mov_b32_e32 v7, 0x7f
	v_cmp_lt_u32_e64 s0, 0x7f800000, v9
	s_delay_alu instid0(VALU_DEP_1)
	v_cndmask_b32_e64 v7, 0x7e, v7, s0
; %bb.965:
	s_or_b32 exec_lo, exec_lo, s12
	v_lshrrev_b32_e32 v6, 24, v6
	s_delay_alu instid0(VALU_DEP_1)
	v_and_or_b32 v11, 0x80, v6, v7
.LBB274_966:
	s_or_b32 exec_lo, exec_lo, s11
                                        ; implicit-def: $vgpr6_vgpr7
.LBB274_967:
	s_and_not1_saveexec_b32 s10, s10
	s_cbranch_execz .LBB274_977
; %bb.968:
	flat_load_b32 v6, v[6:7]
	s_mov_b32 s11, exec_lo
                                        ; implicit-def: $vgpr7
	s_wait_loadcnt_dscnt 0x0
	v_cvt_f32_f16_e32 v6, v6
	s_delay_alu instid0(VALU_DEP_1) | instskip(NEXT) | instid1(VALU_DEP_1)
	v_and_b32_e32 v9, 0x7fffffff, v6
	v_cmpx_gt_u32_e32 0x43f00000, v9
	s_xor_b32 s11, exec_lo, s11
	s_cbranch_execz .LBB274_974
; %bb.969:
	s_mov_b32 s12, exec_lo
                                        ; implicit-def: $vgpr7
	v_cmpx_lt_u32_e32 0x3c7fffff, v9
	s_xor_b32 s12, exec_lo, s12
; %bb.970:
	v_bfe_u32 v7, v6, 20, 1
	s_delay_alu instid0(VALU_DEP_1) | instskip(NEXT) | instid1(VALU_DEP_1)
	v_add3_u32 v7, v6, v7, 0x407ffff
	v_and_b32_e32 v9, 0xff00000, v7
	v_lshrrev_b32_e32 v7, 20, v7
	s_delay_alu instid0(VALU_DEP_2) | instskip(NEXT) | instid1(VALU_DEP_1)
	v_cmp_ne_u32_e64 s0, 0x7f00000, v9
	v_cndmask_b32_e64 v7, 0x7e, v7, s0
; %bb.971:
	s_and_not1_saveexec_b32 s0, s12
; %bb.972:
	v_add_f32_e64 v7, 0x46800000, |v6|
; %bb.973:
	s_or_b32 exec_lo, exec_lo, s0
                                        ; implicit-def: $vgpr9
.LBB274_974:
	s_and_not1_saveexec_b32 s11, s11
; %bb.975:
	v_mov_b32_e32 v7, 0x7f
	v_cmp_lt_u32_e64 s0, 0x7f800000, v9
	s_delay_alu instid0(VALU_DEP_1)
	v_cndmask_b32_e64 v7, 0x7e, v7, s0
; %bb.976:
	s_or_b32 exec_lo, exec_lo, s11
	v_lshrrev_b32_e32 v6, 24, v6
	s_delay_alu instid0(VALU_DEP_1)
	v_and_or_b32 v11, 0x80, v6, v7
.LBB274_977:
	s_or_b32 exec_lo, exec_lo, s10
                                        ; implicit-def: $vgpr6_vgpr7
.LBB274_978:
	s_and_not1_saveexec_b32 s9, s9
	s_cbranch_execz .LBB274_1012
; %bb.979:
	s_mov_b32 s10, exec_lo
                                        ; implicit-def: $vgpr11
	v_cmpx_lt_i16_e32 5, v20
	s_xor_b32 s10, exec_lo, s10
	s_cbranch_execz .LBB274_1001
; %bb.980:
	s_mov_b32 s11, exec_lo
                                        ; implicit-def: $vgpr11
	v_cmpx_lt_i16_e32 6, v20
	s_xor_b32 s11, exec_lo, s11
	s_cbranch_execz .LBB274_990
; %bb.981:
	flat_load_b64 v[6:7], v[6:7]
	s_mov_b32 s12, exec_lo
	s_wait_loadcnt_dscnt 0x0
	v_cvt_f32_f64_e32 v6, v[6:7]
                                        ; implicit-def: $vgpr7
	s_delay_alu instid0(VALU_DEP_1) | instskip(NEXT) | instid1(VALU_DEP_1)
	v_and_b32_e32 v9, 0x7fffffff, v6
	v_cmpx_gt_u32_e32 0x43f00000, v9
	s_xor_b32 s12, exec_lo, s12
	s_cbranch_execz .LBB274_987
; %bb.982:
	s_mov_b32 s13, exec_lo
                                        ; implicit-def: $vgpr7
	v_cmpx_lt_u32_e32 0x3c7fffff, v9
	s_xor_b32 s13, exec_lo, s13
; %bb.983:
	v_bfe_u32 v7, v6, 20, 1
	s_delay_alu instid0(VALU_DEP_1) | instskip(NEXT) | instid1(VALU_DEP_1)
	v_add3_u32 v7, v6, v7, 0x407ffff
	v_and_b32_e32 v9, 0xff00000, v7
	v_lshrrev_b32_e32 v7, 20, v7
	s_delay_alu instid0(VALU_DEP_2) | instskip(NEXT) | instid1(VALU_DEP_1)
	v_cmp_ne_u32_e64 s0, 0x7f00000, v9
	v_cndmask_b32_e64 v7, 0x7e, v7, s0
; %bb.984:
	s_and_not1_saveexec_b32 s0, s13
; %bb.985:
	v_add_f32_e64 v7, 0x46800000, |v6|
; %bb.986:
	s_or_b32 exec_lo, exec_lo, s0
                                        ; implicit-def: $vgpr9
.LBB274_987:
	s_and_not1_saveexec_b32 s12, s12
; %bb.988:
	v_mov_b32_e32 v7, 0x7f
	v_cmp_lt_u32_e64 s0, 0x7f800000, v9
	s_delay_alu instid0(VALU_DEP_1)
	v_cndmask_b32_e64 v7, 0x7e, v7, s0
; %bb.989:
	s_or_b32 exec_lo, exec_lo, s12
	v_lshrrev_b32_e32 v6, 24, v6
	s_delay_alu instid0(VALU_DEP_1)
	v_and_or_b32 v11, 0x80, v6, v7
                                        ; implicit-def: $vgpr6_vgpr7
.LBB274_990:
	s_and_not1_saveexec_b32 s11, s11
	s_cbranch_execz .LBB274_1000
; %bb.991:
	flat_load_b32 v6, v[6:7]
	s_mov_b32 s12, exec_lo
                                        ; implicit-def: $vgpr7
	s_wait_loadcnt_dscnt 0x0
	v_and_b32_e32 v9, 0x7fffffff, v6
	s_wait_xcnt 0x0
	s_delay_alu instid0(VALU_DEP_1)
	v_cmpx_gt_u32_e32 0x43f00000, v9
	s_xor_b32 s12, exec_lo, s12
	s_cbranch_execz .LBB274_997
; %bb.992:
	s_mov_b32 s13, exec_lo
                                        ; implicit-def: $vgpr7
	v_cmpx_lt_u32_e32 0x3c7fffff, v9
	s_xor_b32 s13, exec_lo, s13
; %bb.993:
	v_bfe_u32 v7, v6, 20, 1
	s_delay_alu instid0(VALU_DEP_1) | instskip(NEXT) | instid1(VALU_DEP_1)
	v_add3_u32 v7, v6, v7, 0x407ffff
	v_and_b32_e32 v9, 0xff00000, v7
	v_lshrrev_b32_e32 v7, 20, v7
	s_delay_alu instid0(VALU_DEP_2) | instskip(NEXT) | instid1(VALU_DEP_1)
	v_cmp_ne_u32_e64 s0, 0x7f00000, v9
	v_cndmask_b32_e64 v7, 0x7e, v7, s0
; %bb.994:
	s_and_not1_saveexec_b32 s0, s13
; %bb.995:
	v_add_f32_e64 v7, 0x46800000, |v6|
; %bb.996:
	s_or_b32 exec_lo, exec_lo, s0
                                        ; implicit-def: $vgpr9
.LBB274_997:
	s_and_not1_saveexec_b32 s12, s12
; %bb.998:
	v_mov_b32_e32 v7, 0x7f
	v_cmp_lt_u32_e64 s0, 0x7f800000, v9
	s_delay_alu instid0(VALU_DEP_1)
	v_cndmask_b32_e64 v7, 0x7e, v7, s0
; %bb.999:
	s_or_b32 exec_lo, exec_lo, s12
	v_lshrrev_b32_e32 v6, 24, v6
	s_delay_alu instid0(VALU_DEP_1)
	v_and_or_b32 v11, 0x80, v6, v7
.LBB274_1000:
	s_or_b32 exec_lo, exec_lo, s11
                                        ; implicit-def: $vgpr6_vgpr7
.LBB274_1001:
	s_and_not1_saveexec_b32 s10, s10
	s_cbranch_execz .LBB274_1011
; %bb.1002:
	flat_load_u16 v6, v[6:7]
	s_mov_b32 s11, exec_lo
                                        ; implicit-def: $vgpr7
	s_wait_loadcnt_dscnt 0x0
	v_cvt_f32_f16_e32 v6, v6
	s_delay_alu instid0(VALU_DEP_1) | instskip(NEXT) | instid1(VALU_DEP_1)
	v_and_b32_e32 v9, 0x7fffffff, v6
	v_cmpx_gt_u32_e32 0x43f00000, v9
	s_xor_b32 s11, exec_lo, s11
	s_cbranch_execz .LBB274_1008
; %bb.1003:
	s_mov_b32 s12, exec_lo
                                        ; implicit-def: $vgpr7
	v_cmpx_lt_u32_e32 0x3c7fffff, v9
	s_xor_b32 s12, exec_lo, s12
; %bb.1004:
	v_bfe_u32 v7, v6, 20, 1
	s_delay_alu instid0(VALU_DEP_1) | instskip(NEXT) | instid1(VALU_DEP_1)
	v_add3_u32 v7, v6, v7, 0x407ffff
	v_and_b32_e32 v9, 0xff00000, v7
	v_lshrrev_b32_e32 v7, 20, v7
	s_delay_alu instid0(VALU_DEP_2) | instskip(NEXT) | instid1(VALU_DEP_1)
	v_cmp_ne_u32_e64 s0, 0x7f00000, v9
	v_cndmask_b32_e64 v7, 0x7e, v7, s0
; %bb.1005:
	s_and_not1_saveexec_b32 s0, s12
; %bb.1006:
	v_add_f32_e64 v7, 0x46800000, |v6|
; %bb.1007:
	s_or_b32 exec_lo, exec_lo, s0
                                        ; implicit-def: $vgpr9
.LBB274_1008:
	s_and_not1_saveexec_b32 s11, s11
; %bb.1009:
	v_mov_b32_e32 v7, 0x7f
	v_cmp_lt_u32_e64 s0, 0x7f800000, v9
	s_delay_alu instid0(VALU_DEP_1)
	v_cndmask_b32_e64 v7, 0x7e, v7, s0
; %bb.1010:
	s_or_b32 exec_lo, exec_lo, s11
	v_lshrrev_b32_e32 v6, 24, v6
	s_delay_alu instid0(VALU_DEP_1)
	v_and_or_b32 v11, 0x80, v6, v7
.LBB274_1011:
	s_or_b32 exec_lo, exec_lo, s10
.LBB274_1012:
	s_delay_alu instid0(SALU_CYCLE_1)
	s_or_b32 exec_lo, exec_lo, s9
                                        ; implicit-def: $vgpr6_vgpr7
.LBB274_1013:
	s_and_not1_saveexec_b32 s8, s8
	s_cbranch_execz .LBB274_1071
; %bb.1014:
	s_mov_b32 s9, exec_lo
                                        ; implicit-def: $vgpr11
	v_cmpx_lt_i16_e32 1, v20
	s_xor_b32 s9, exec_lo, s9
	s_cbranch_execz .LBB274_1048
; %bb.1015:
	s_mov_b32 s10, exec_lo
                                        ; implicit-def: $vgpr11
	v_cmpx_lt_i16_e32 2, v20
	s_xor_b32 s10, exec_lo, s10
	;; [unrolled: 6-line block ×3, first 2 shown]
	s_cbranch_execz .LBB274_1026
; %bb.1017:
	flat_load_b64 v[6:7], v[6:7]
	s_mov_b32 s12, exec_lo
	s_wait_loadcnt_dscnt 0x0
	v_xor_b32_e32 v9, v6, v7
	v_cls_i32_e32 v11, v7
	s_delay_alu instid0(VALU_DEP_2) | instskip(NEXT) | instid1(VALU_DEP_1)
	v_ashrrev_i32_e32 v9, 31, v9
	v_add_nc_u32_e32 v9, 32, v9
	s_delay_alu instid0(VALU_DEP_1) | instskip(SKIP_1) | instid1(VALU_DEP_1)
	v_add_min_u32_e64 v9, v11, -1, v9
	s_wait_xcnt 0x0
	v_lshlrev_b64_e32 v[6:7], v9, v[6:7]
	s_delay_alu instid0(VALU_DEP_1) | instskip(NEXT) | instid1(VALU_DEP_1)
	v_min_u32_e32 v6, 1, v6
	v_dual_sub_nc_u32 v7, 32, v9 :: v_dual_bitop2_b32 v6, v7, v6 bitop3:0x54
	s_delay_alu instid0(VALU_DEP_1) | instskip(NEXT) | instid1(VALU_DEP_1)
	v_cvt_f32_i32_e32 v6, v6
	v_ldexp_f32 v6, v6, v7
                                        ; implicit-def: $vgpr7
	s_delay_alu instid0(VALU_DEP_1) | instskip(NEXT) | instid1(VALU_DEP_1)
	v_and_b32_e32 v9, 0x7fffffff, v6
	v_cmpx_gt_u32_e32 0x43f00000, v9
	s_xor_b32 s12, exec_lo, s12
	s_cbranch_execz .LBB274_1023
; %bb.1018:
	s_mov_b32 s13, exec_lo
                                        ; implicit-def: $vgpr7
	v_cmpx_lt_u32_e32 0x3c7fffff, v9
	s_xor_b32 s13, exec_lo, s13
; %bb.1019:
	v_bfe_u32 v7, v6, 20, 1
	s_delay_alu instid0(VALU_DEP_1) | instskip(NEXT) | instid1(VALU_DEP_1)
	v_add3_u32 v7, v6, v7, 0x407ffff
	v_and_b32_e32 v9, 0xff00000, v7
	v_lshrrev_b32_e32 v7, 20, v7
	s_delay_alu instid0(VALU_DEP_2) | instskip(NEXT) | instid1(VALU_DEP_1)
	v_cmp_ne_u32_e64 s0, 0x7f00000, v9
	v_cndmask_b32_e64 v7, 0x7e, v7, s0
; %bb.1020:
	s_and_not1_saveexec_b32 s0, s13
; %bb.1021:
	v_add_f32_e64 v7, 0x46800000, |v6|
; %bb.1022:
	s_or_b32 exec_lo, exec_lo, s0
                                        ; implicit-def: $vgpr9
.LBB274_1023:
	s_and_not1_saveexec_b32 s12, s12
; %bb.1024:
	v_mov_b32_e32 v7, 0x7f
	v_cmp_lt_u32_e64 s0, 0x7f800000, v9
	s_delay_alu instid0(VALU_DEP_1)
	v_cndmask_b32_e64 v7, 0x7e, v7, s0
; %bb.1025:
	s_or_b32 exec_lo, exec_lo, s12
	v_lshrrev_b32_e32 v6, 24, v6
	s_delay_alu instid0(VALU_DEP_1)
	v_and_or_b32 v11, 0x80, v6, v7
                                        ; implicit-def: $vgpr6_vgpr7
.LBB274_1026:
	s_and_not1_saveexec_b32 s11, s11
	s_cbranch_execz .LBB274_1036
; %bb.1027:
	flat_load_b32 v6, v[6:7]
	s_mov_b32 s12, exec_lo
                                        ; implicit-def: $vgpr7
	s_wait_loadcnt_dscnt 0x0
	v_cvt_f32_i32_e32 v6, v6
	s_delay_alu instid0(VALU_DEP_1) | instskip(NEXT) | instid1(VALU_DEP_1)
	v_and_b32_e32 v9, 0x7fffffff, v6
	v_cmpx_gt_u32_e32 0x43f00000, v9
	s_xor_b32 s12, exec_lo, s12
	s_cbranch_execz .LBB274_1033
; %bb.1028:
	s_mov_b32 s13, exec_lo
                                        ; implicit-def: $vgpr7
	v_cmpx_lt_u32_e32 0x3c7fffff, v9
	s_xor_b32 s13, exec_lo, s13
; %bb.1029:
	v_bfe_u32 v7, v6, 20, 1
	s_delay_alu instid0(VALU_DEP_1) | instskip(NEXT) | instid1(VALU_DEP_1)
	v_add3_u32 v7, v6, v7, 0x407ffff
	v_and_b32_e32 v9, 0xff00000, v7
	v_lshrrev_b32_e32 v7, 20, v7
	s_delay_alu instid0(VALU_DEP_2) | instskip(NEXT) | instid1(VALU_DEP_1)
	v_cmp_ne_u32_e64 s0, 0x7f00000, v9
	v_cndmask_b32_e64 v7, 0x7e, v7, s0
; %bb.1030:
	s_and_not1_saveexec_b32 s0, s13
; %bb.1031:
	v_add_f32_e64 v7, 0x46800000, |v6|
; %bb.1032:
	s_or_b32 exec_lo, exec_lo, s0
                                        ; implicit-def: $vgpr9
.LBB274_1033:
	s_and_not1_saveexec_b32 s12, s12
; %bb.1034:
	v_mov_b32_e32 v7, 0x7f
	v_cmp_lt_u32_e64 s0, 0x7f800000, v9
	s_delay_alu instid0(VALU_DEP_1)
	v_cndmask_b32_e64 v7, 0x7e, v7, s0
; %bb.1035:
	s_or_b32 exec_lo, exec_lo, s12
	v_lshrrev_b32_e32 v6, 24, v6
	s_delay_alu instid0(VALU_DEP_1)
	v_and_or_b32 v11, 0x80, v6, v7
.LBB274_1036:
	s_or_b32 exec_lo, exec_lo, s11
                                        ; implicit-def: $vgpr6_vgpr7
.LBB274_1037:
	s_and_not1_saveexec_b32 s10, s10
	s_cbranch_execz .LBB274_1047
; %bb.1038:
	flat_load_i16 v6, v[6:7]
	s_mov_b32 s11, exec_lo
                                        ; implicit-def: $vgpr7
	s_wait_loadcnt_dscnt 0x0
	v_cvt_f32_i32_e32 v6, v6
	s_delay_alu instid0(VALU_DEP_1) | instskip(NEXT) | instid1(VALU_DEP_1)
	v_and_b32_e32 v9, 0x7fffffff, v6
	v_cmpx_gt_u32_e32 0x43f00000, v9
	s_xor_b32 s11, exec_lo, s11
	s_cbranch_execz .LBB274_1044
; %bb.1039:
	s_mov_b32 s12, exec_lo
                                        ; implicit-def: $vgpr7
	v_cmpx_lt_u32_e32 0x3c7fffff, v9
	s_xor_b32 s12, exec_lo, s12
; %bb.1040:
	v_bfe_u32 v7, v6, 20, 1
	s_delay_alu instid0(VALU_DEP_1) | instskip(NEXT) | instid1(VALU_DEP_1)
	v_add3_u32 v7, v6, v7, 0x407ffff
	v_and_b32_e32 v9, 0xff00000, v7
	v_lshrrev_b32_e32 v7, 20, v7
	s_delay_alu instid0(VALU_DEP_2) | instskip(NEXT) | instid1(VALU_DEP_1)
	v_cmp_ne_u32_e64 s0, 0x7f00000, v9
	v_cndmask_b32_e64 v7, 0x7e, v7, s0
; %bb.1041:
	s_and_not1_saveexec_b32 s0, s12
; %bb.1042:
	v_add_f32_e64 v7, 0x46800000, |v6|
; %bb.1043:
	s_or_b32 exec_lo, exec_lo, s0
                                        ; implicit-def: $vgpr9
.LBB274_1044:
	s_and_not1_saveexec_b32 s11, s11
; %bb.1045:
	v_mov_b32_e32 v7, 0x7f
	v_cmp_lt_u32_e64 s0, 0x7f800000, v9
	s_delay_alu instid0(VALU_DEP_1)
	v_cndmask_b32_e64 v7, 0x7e, v7, s0
; %bb.1046:
	s_or_b32 exec_lo, exec_lo, s11
	v_lshrrev_b32_e32 v6, 24, v6
	s_delay_alu instid0(VALU_DEP_1)
	v_and_or_b32 v11, 0x80, v6, v7
.LBB274_1047:
	s_or_b32 exec_lo, exec_lo, s10
                                        ; implicit-def: $vgpr6_vgpr7
.LBB274_1048:
	s_and_not1_saveexec_b32 s9, s9
	s_cbranch_execz .LBB274_1070
; %bb.1049:
	s_mov_b32 s10, exec_lo
                                        ; implicit-def: $vgpr11
	v_cmpx_lt_i16_e32 0, v20
	s_xor_b32 s10, exec_lo, s10
	s_cbranch_execz .LBB274_1059
; %bb.1050:
	flat_load_i8 v6, v[6:7]
	s_mov_b32 s11, exec_lo
                                        ; implicit-def: $vgpr7
	s_wait_loadcnt_dscnt 0x0
	v_cvt_f32_i32_e32 v6, v6
	s_delay_alu instid0(VALU_DEP_1) | instskip(NEXT) | instid1(VALU_DEP_1)
	v_and_b32_e32 v9, 0x7fffffff, v6
	v_cmpx_gt_u32_e32 0x43f00000, v9
	s_xor_b32 s11, exec_lo, s11
	s_cbranch_execz .LBB274_1056
; %bb.1051:
	s_mov_b32 s12, exec_lo
                                        ; implicit-def: $vgpr7
	v_cmpx_lt_u32_e32 0x3c7fffff, v9
	s_xor_b32 s12, exec_lo, s12
; %bb.1052:
	v_bfe_u32 v7, v6, 20, 1
	s_delay_alu instid0(VALU_DEP_1) | instskip(NEXT) | instid1(VALU_DEP_1)
	v_add3_u32 v7, v6, v7, 0x407ffff
	v_and_b32_e32 v9, 0xff00000, v7
	v_lshrrev_b32_e32 v7, 20, v7
	s_delay_alu instid0(VALU_DEP_2) | instskip(NEXT) | instid1(VALU_DEP_1)
	v_cmp_ne_u32_e64 s0, 0x7f00000, v9
	v_cndmask_b32_e64 v7, 0x7e, v7, s0
; %bb.1053:
	s_and_not1_saveexec_b32 s0, s12
; %bb.1054:
	v_add_f32_e64 v7, 0x46800000, |v6|
; %bb.1055:
	s_or_b32 exec_lo, exec_lo, s0
                                        ; implicit-def: $vgpr9
.LBB274_1056:
	s_and_not1_saveexec_b32 s11, s11
; %bb.1057:
	v_mov_b32_e32 v7, 0x7f
	v_cmp_lt_u32_e64 s0, 0x7f800000, v9
	s_delay_alu instid0(VALU_DEP_1)
	v_cndmask_b32_e64 v7, 0x7e, v7, s0
; %bb.1058:
	s_or_b32 exec_lo, exec_lo, s11
	v_lshrrev_b32_e32 v6, 24, v6
	s_delay_alu instid0(VALU_DEP_1)
	v_and_or_b32 v11, 0x80, v6, v7
                                        ; implicit-def: $vgpr6_vgpr7
.LBB274_1059:
	s_and_not1_saveexec_b32 s10, s10
	s_cbranch_execz .LBB274_1069
; %bb.1060:
	flat_load_u8 v6, v[6:7]
	s_mov_b32 s11, exec_lo
                                        ; implicit-def: $vgpr11
	s_wait_loadcnt_dscnt 0x0
	v_cvt_f32_ubyte0_e32 v6, v6
	s_delay_alu instid0(VALU_DEP_1)
	v_cmpx_gt_u32_e32 0x43f00000, v6
	s_xor_b32 s11, exec_lo, s11
	s_cbranch_execz .LBB274_1066
; %bb.1061:
	s_mov_b32 s12, exec_lo
                                        ; implicit-def: $vgpr11
	v_cmpx_lt_u32_e32 0x3c7fffff, v6
	s_xor_b32 s12, exec_lo, s12
; %bb.1062:
	v_bfe_u32 v7, v6, 20, 1
	s_delay_alu instid0(VALU_DEP_1) | instskip(NEXT) | instid1(VALU_DEP_1)
	v_add3_u32 v6, v6, v7, 0x407ffff
	v_and_b32_e32 v7, 0xff00000, v6
	v_lshrrev_b32_e32 v6, 20, v6
	s_delay_alu instid0(VALU_DEP_2) | instskip(NEXT) | instid1(VALU_DEP_1)
	v_cmp_ne_u32_e64 s0, 0x7f00000, v7
	v_cndmask_b32_e64 v11, 0x7e, v6, s0
                                        ; implicit-def: $vgpr6
; %bb.1063:
	s_and_not1_saveexec_b32 s0, s12
; %bb.1064:
	v_add_f32_e32 v11, 0x46800000, v6
; %bb.1065:
	s_or_b32 exec_lo, exec_lo, s0
                                        ; implicit-def: $vgpr6
.LBB274_1066:
	s_and_not1_saveexec_b32 s11, s11
; %bb.1067:
	v_mov_b32_e32 v7, 0x7f
	v_cmp_lt_u32_e64 s0, 0x7f800000, v6
	s_delay_alu instid0(VALU_DEP_1)
	v_cndmask_b32_e64 v11, 0x7e, v7, s0
; %bb.1068:
	s_or_b32 exec_lo, exec_lo, s11
.LBB274_1069:
	s_delay_alu instid0(SALU_CYCLE_1)
	s_or_b32 exec_lo, exec_lo, s10
.LBB274_1070:
	s_delay_alu instid0(SALU_CYCLE_1)
	s_or_b32 exec_lo, exec_lo, s9
.LBB274_1071:
	s_delay_alu instid0(SALU_CYCLE_1) | instskip(NEXT) | instid1(SALU_CYCLE_1)
	s_or_b32 exec_lo, exec_lo, s8
	s_or_b32 s2, s2, exec_lo
.LBB274_1072:
	s_or_b32 exec_lo, exec_lo, s1
	s_mov_b32 s0, 0
	s_mov_b32 s10, 0
                                        ; implicit-def: $sgpr1
                                        ; implicit-def: $vgpr12_vgpr13
                                        ; implicit-def: $vgpr9
	s_and_saveexec_b32 s8, s2
	s_cbranch_execz .LBB274_2049
; %bb.1073:
	v_lshlrev_b32_e32 v21, 7, v22
	s_mov_b32 s2, 0
	s_mov_b32 s9, s7
	s_mov_b32 s1, exec_lo
	s_delay_alu instid0(VALU_DEP_1) | instskip(NEXT) | instid1(VALU_DEP_1)
	v_add_nc_u32_e32 v6, v8, v21
	v_ashrrev_i32_e32 v7, 31, v6
	s_delay_alu instid0(VALU_DEP_1)
	v_add_nc_u64_e32 v[8:9], v[2:3], v[6:7]
                                        ; implicit-def: $vgpr7
	v_cmpx_lt_i16_e32 10, v19
	s_xor_b32 s1, exec_lo, s1
	s_cbranch_execz .LBB274_1168
; %bb.1074:
	s_mov_b32 s11, 0
	s_mov_b32 s9, exec_lo
                                        ; implicit-def: $vgpr7
	v_cmpx_lt_i16_e32 25, v19
	s_xor_b32 s9, exec_lo, s9
	s_cbranch_execz .LBB274_2377
; %bb.1075:
	s_mov_b32 s12, 0
	s_mov_b32 s10, exec_lo
                                        ; implicit-def: $vgpr7
	v_cmpx_lt_i16_e32 28, v19
	s_xor_b32 s10, exec_lo, s10
	s_cbranch_execz .LBB274_1115
; %bb.1076:
	s_mov_b32 s13, 0
	s_mov_b32 s16, 0
	s_mov_b32 s11, exec_lo
                                        ; implicit-def: $vgpr7
	v_cmpx_lt_i16_e32 43, v19
	s_xor_b32 s11, exec_lo, s11
	s_cbranch_execz .LBB274_1102
; %bb.1077:
	s_mov_b32 s16, exec_lo
                                        ; implicit-def: $vgpr7
	v_cmpx_lt_i16_e32 45, v19
	s_xor_b32 s16, exec_lo, s16
	s_cbranch_execz .LBB274_1089
; %bb.1078:
	s_mov_b32 s17, -1
	s_mov_b32 s12, exec_lo
                                        ; implicit-def: $vgpr7
	v_cmpx_eq_u16_e32 46, v19
	s_cbranch_execz .LBB274_1088
; %bb.1079:
	flat_load_b32 v7, v[8:9]
	s_mov_b32 s13, exec_lo
                                        ; implicit-def: $vgpr12
	s_wait_loadcnt_dscnt 0x0
	v_lshlrev_b32_e32 v7, 16, v7
	s_delay_alu instid0(VALU_DEP_1) | instskip(SKIP_1) | instid1(VALU_DEP_1)
	v_and_b32_e32 v13, 0x7fffffff, v7
	s_wait_xcnt 0x0
	v_cmpx_gt_u32_e32 0x43f00000, v13
	s_xor_b32 s13, exec_lo, s13
	s_cbranch_execz .LBB274_1085
; %bb.1080:
	s_mov_b32 s17, exec_lo
                                        ; implicit-def: $vgpr12
	v_cmpx_lt_u32_e32 0x3c7fffff, v13
	s_xor_b32 s17, exec_lo, s17
; %bb.1081:
	v_bfe_u32 v12, v7, 20, 1
	s_delay_alu instid0(VALU_DEP_1) | instskip(NEXT) | instid1(VALU_DEP_1)
	v_add3_u32 v12, v7, v12, 0x407ffff
	v_and_b32_e32 v13, 0xff00000, v12
	v_lshrrev_b32_e32 v12, 20, v12
	s_delay_alu instid0(VALU_DEP_2) | instskip(NEXT) | instid1(VALU_DEP_1)
	v_cmp_ne_u32_e64 s0, 0x7f00000, v13
	v_cndmask_b32_e64 v12, 0x7e, v12, s0
; %bb.1082:
	s_and_not1_saveexec_b32 s0, s17
; %bb.1083:
	v_add_f32_e64 v12, 0x46800000, |v7|
; %bb.1084:
	s_or_b32 exec_lo, exec_lo, s0
                                        ; implicit-def: $vgpr13
.LBB274_1085:
	s_and_not1_saveexec_b32 s13, s13
; %bb.1086:
	v_mov_b32_e32 v12, 0x7f
	v_cmp_lt_u32_e64 s0, 0x7f800000, v13
	s_delay_alu instid0(VALU_DEP_1)
	v_cndmask_b32_e64 v12, 0x7e, v12, s0
; %bb.1087:
	s_or_b32 exec_lo, exec_lo, s13
	v_lshrrev_b32_e32 v7, 24, v7
	s_mov_b32 s13, exec_lo
	s_xor_b32 s17, exec_lo, -1
	s_delay_alu instid0(VALU_DEP_1)
	v_and_or_b32 v7, 0x80, v7, v12
.LBB274_1088:
	s_or_b32 exec_lo, exec_lo, s12
	s_delay_alu instid0(SALU_CYCLE_1)
	s_and_b32 s13, s13, exec_lo
	s_and_b32 s12, s17, exec_lo
.LBB274_1089:
	s_and_not1_saveexec_b32 s16, s16
	s_cbranch_execz .LBB274_1101
; %bb.1090:
	s_mov_b32 s18, -1
	s_mov_b32 s19, s13
	s_mov_b32 s17, exec_lo
                                        ; implicit-def: $vgpr7
	v_cmpx_eq_u16_e32 44, v19
	s_cbranch_execz .LBB274_1100
; %bb.1091:
	flat_load_u8 v7, v[8:9]
	s_mov_b32 s18, exec_lo
	s_wait_loadcnt_dscnt 0x0
	v_lshlrev_b32_e32 v12, 23, v7
	v_cmp_ne_u32_e64 s0, 0xff, v7
	s_delay_alu instid0(VALU_DEP_1) | instskip(SKIP_1) | instid1(VALU_DEP_1)
	v_cndmask_b32_e64 v12, 0x7f800001, v12, s0
	v_cmp_ne_u32_e64 s0, 0, v7
                                        ; implicit-def: $vgpr7
	v_cndmask_b32_e64 v12, 0x400000, v12, s0
	s_wait_xcnt 0x0
	s_delay_alu instid0(VALU_DEP_1)
	v_cmpx_gt_u32_e32 0x43f00000, v12
	s_xor_b32 s18, exec_lo, s18
	s_cbranch_execz .LBB274_1097
; %bb.1092:
	s_mov_b32 s19, exec_lo
                                        ; implicit-def: $vgpr7
	v_cmpx_lt_u32_e32 0x3c7fffff, v12
	s_xor_b32 s19, exec_lo, s19
; %bb.1093:
	v_bfe_u32 v7, v12, 20, 1
	s_delay_alu instid0(VALU_DEP_1) | instskip(NEXT) | instid1(VALU_DEP_1)
	v_add3_u32 v7, v12, v7, 0x407ffff
	v_and_b32_e32 v12, 0xff00000, v7
	v_lshrrev_b32_e32 v7, 20, v7
	s_delay_alu instid0(VALU_DEP_2) | instskip(NEXT) | instid1(VALU_DEP_1)
	v_cmp_ne_u32_e64 s0, 0x7f00000, v12
                                        ; implicit-def: $vgpr12
	v_cndmask_b32_e64 v7, 0x7e, v7, s0
; %bb.1094:
	s_and_not1_saveexec_b32 s0, s19
; %bb.1095:
	v_add_f32_e32 v7, 0x46800000, v12
; %bb.1096:
	s_or_b32 exec_lo, exec_lo, s0
                                        ; implicit-def: $vgpr12
.LBB274_1097:
	s_and_not1_saveexec_b32 s18, s18
; %bb.1098:
	v_mov_b32_e32 v7, 0x7f
	v_cmp_lt_u32_e64 s0, 0x7f800000, v12
	s_delay_alu instid0(VALU_DEP_1)
	v_cndmask_b32_e64 v7, 0x7e, v7, s0
; %bb.1099:
	s_or_b32 exec_lo, exec_lo, s18
	s_delay_alu instid0(SALU_CYCLE_1)
	s_or_b32 s19, s13, exec_lo
	s_xor_b32 s18, exec_lo, -1
.LBB274_1100:
	s_or_b32 exec_lo, exec_lo, s17
	s_delay_alu instid0(SALU_CYCLE_1)
	s_and_not1_b32 s0, s13, exec_lo
	s_and_b32 s13, s19, exec_lo
	s_and_not1_b32 s12, s12, exec_lo
	s_and_b32 s17, s18, exec_lo
	s_or_b32 s13, s0, s13
	s_or_b32 s12, s12, s17
.LBB274_1101:
	s_or_b32 exec_lo, exec_lo, s16
	s_delay_alu instid0(SALU_CYCLE_1)
	s_and_b32 s16, s13, exec_lo
	s_and_b32 s13, s12, exec_lo
.LBB274_1102:
	s_and_not1_saveexec_b32 s11, s11
	s_cbranch_execz .LBB274_1114
; %bb.1103:
	s_mov_b32 s17, -1
	s_mov_b32 s18, s16
	s_mov_b32 s12, exec_lo
                                        ; implicit-def: $vgpr7
	v_cmpx_eq_u16_e32 29, v19
	s_cbranch_execz .LBB274_1113
; %bb.1104:
	flat_load_b64 v[12:13], v[8:9]
	s_mov_b32 s17, exec_lo
	s_wait_loadcnt_dscnt 0x0
	v_clz_i32_u32_e32 v7, v13
	s_delay_alu instid0(VALU_DEP_1) | instskip(NEXT) | instid1(VALU_DEP_1)
	v_min_u32_e32 v7, 32, v7
	v_lshlrev_b64_e32 v[12:13], v7, v[12:13]
	v_sub_nc_u32_e32 v7, 32, v7
	s_delay_alu instid0(VALU_DEP_2) | instskip(NEXT) | instid1(VALU_DEP_1)
	v_min_u32_e32 v12, 1, v12
	v_or_b32_e32 v12, v13, v12
	s_delay_alu instid0(VALU_DEP_1) | instskip(NEXT) | instid1(VALU_DEP_1)
	v_cvt_f32_u32_e32 v12, v12
	v_ldexp_f32 v12, v12, v7
                                        ; implicit-def: $vgpr7
	s_wait_xcnt 0x0
	s_delay_alu instid0(VALU_DEP_1)
	v_cmpx_gt_u32_e32 0x43f00000, v12
	s_xor_b32 s17, exec_lo, s17
	s_cbranch_execz .LBB274_1110
; %bb.1105:
	s_mov_b32 s18, exec_lo
                                        ; implicit-def: $vgpr7
	v_cmpx_lt_u32_e32 0x3c7fffff, v12
	s_xor_b32 s18, exec_lo, s18
; %bb.1106:
	v_bfe_u32 v7, v12, 20, 1
	s_delay_alu instid0(VALU_DEP_1) | instskip(NEXT) | instid1(VALU_DEP_1)
	v_add3_u32 v7, v12, v7, 0x407ffff
	v_and_b32_e32 v12, 0xff00000, v7
	v_lshrrev_b32_e32 v7, 20, v7
	s_delay_alu instid0(VALU_DEP_2) | instskip(NEXT) | instid1(VALU_DEP_1)
	v_cmp_ne_u32_e64 s0, 0x7f00000, v12
                                        ; implicit-def: $vgpr12
	v_cndmask_b32_e64 v7, 0x7e, v7, s0
; %bb.1107:
	s_and_not1_saveexec_b32 s0, s18
; %bb.1108:
	v_add_f32_e32 v7, 0x46800000, v12
; %bb.1109:
	s_or_b32 exec_lo, exec_lo, s0
                                        ; implicit-def: $vgpr12
.LBB274_1110:
	s_and_not1_saveexec_b32 s17, s17
; %bb.1111:
	v_mov_b32_e32 v7, 0x7f
	v_cmp_lt_u32_e64 s0, 0x7f800000, v12
	s_delay_alu instid0(VALU_DEP_1)
	v_cndmask_b32_e64 v7, 0x7e, v7, s0
; %bb.1112:
	s_or_b32 exec_lo, exec_lo, s17
	s_delay_alu instid0(SALU_CYCLE_1)
	s_or_b32 s18, s16, exec_lo
	s_xor_b32 s17, exec_lo, -1
.LBB274_1113:
	s_or_b32 exec_lo, exec_lo, s12
	s_delay_alu instid0(SALU_CYCLE_1)
	s_and_not1_b32 s0, s16, exec_lo
	s_and_b32 s12, s18, exec_lo
	s_and_not1_b32 s13, s13, exec_lo
	s_and_b32 s17, s17, exec_lo
	s_or_b32 s16, s0, s12
	s_or_b32 s13, s13, s17
.LBB274_1114:
	s_or_b32 exec_lo, exec_lo, s11
	s_delay_alu instid0(SALU_CYCLE_1)
	s_and_b32 s12, s16, exec_lo
	s_and_b32 s11, s13, exec_lo
.LBB274_1115:
	s_and_not1_saveexec_b32 s10, s10
	s_cbranch_execz .LBB274_1155
; %bb.1116:
	s_mov_b32 s13, exec_lo
                                        ; implicit-def: $vgpr7
	v_cmpx_lt_i16_e32 26, v19
	s_xor_b32 s13, exec_lo, s13
	s_cbranch_execz .LBB274_1138
; %bb.1117:
	s_mov_b32 s16, exec_lo
                                        ; implicit-def: $vgpr7
	v_cmpx_lt_i16_e32 27, v19
	s_xor_b32 s16, exec_lo, s16
	s_cbranch_execz .LBB274_1127
; %bb.1118:
	flat_load_b32 v7, v[8:9]
	s_mov_b32 s17, exec_lo
	s_wait_loadcnt_dscnt 0x0
	v_cvt_f32_u32_e32 v12, v7
                                        ; implicit-def: $vgpr7
	s_wait_xcnt 0x0
	s_delay_alu instid0(VALU_DEP_1)
	v_cmpx_gt_u32_e32 0x43f00000, v12
	s_xor_b32 s17, exec_lo, s17
	s_cbranch_execz .LBB274_1124
; %bb.1119:
	s_mov_b32 s18, exec_lo
                                        ; implicit-def: $vgpr7
	v_cmpx_lt_u32_e32 0x3c7fffff, v12
	s_xor_b32 s18, exec_lo, s18
; %bb.1120:
	v_bfe_u32 v7, v12, 20, 1
	s_delay_alu instid0(VALU_DEP_1) | instskip(NEXT) | instid1(VALU_DEP_1)
	v_add3_u32 v7, v12, v7, 0x407ffff
	v_and_b32_e32 v12, 0xff00000, v7
	v_lshrrev_b32_e32 v7, 20, v7
	s_delay_alu instid0(VALU_DEP_2) | instskip(NEXT) | instid1(VALU_DEP_1)
	v_cmp_ne_u32_e64 s0, 0x7f00000, v12
                                        ; implicit-def: $vgpr12
	v_cndmask_b32_e64 v7, 0x7e, v7, s0
; %bb.1121:
	s_and_not1_saveexec_b32 s0, s18
; %bb.1122:
	v_add_f32_e32 v7, 0x46800000, v12
; %bb.1123:
	s_or_b32 exec_lo, exec_lo, s0
                                        ; implicit-def: $vgpr12
.LBB274_1124:
	s_and_not1_saveexec_b32 s17, s17
; %bb.1125:
	v_mov_b32_e32 v7, 0x7f
	v_cmp_lt_u32_e64 s0, 0x7f800000, v12
	s_delay_alu instid0(VALU_DEP_1)
	v_cndmask_b32_e64 v7, 0x7e, v7, s0
; %bb.1126:
	s_or_b32 exec_lo, exec_lo, s17
.LBB274_1127:
	s_and_not1_saveexec_b32 s16, s16
	s_cbranch_execz .LBB274_1137
; %bb.1128:
	flat_load_u16 v7, v[8:9]
	s_mov_b32 s17, exec_lo
	s_wait_loadcnt_dscnt 0x0
	v_cvt_f32_u32_e32 v12, v7
                                        ; implicit-def: $vgpr7
	s_wait_xcnt 0x0
	s_delay_alu instid0(VALU_DEP_1)
	v_cmpx_gt_u32_e32 0x43f00000, v12
	s_xor_b32 s17, exec_lo, s17
	s_cbranch_execz .LBB274_1134
; %bb.1129:
	s_mov_b32 s18, exec_lo
                                        ; implicit-def: $vgpr7
	v_cmpx_lt_u32_e32 0x3c7fffff, v12
	s_xor_b32 s18, exec_lo, s18
; %bb.1130:
	v_bfe_u32 v7, v12, 20, 1
	s_delay_alu instid0(VALU_DEP_1) | instskip(NEXT) | instid1(VALU_DEP_1)
	v_add3_u32 v7, v12, v7, 0x407ffff
	v_and_b32_e32 v12, 0xff00000, v7
	v_lshrrev_b32_e32 v7, 20, v7
	s_delay_alu instid0(VALU_DEP_2) | instskip(NEXT) | instid1(VALU_DEP_1)
	v_cmp_ne_u32_e64 s0, 0x7f00000, v12
                                        ; implicit-def: $vgpr12
	v_cndmask_b32_e64 v7, 0x7e, v7, s0
; %bb.1131:
	s_and_not1_saveexec_b32 s0, s18
; %bb.1132:
	v_add_f32_e32 v7, 0x46800000, v12
; %bb.1133:
	s_or_b32 exec_lo, exec_lo, s0
                                        ; implicit-def: $vgpr12
.LBB274_1134:
	s_and_not1_saveexec_b32 s17, s17
; %bb.1135:
	v_mov_b32_e32 v7, 0x7f
	v_cmp_lt_u32_e64 s0, 0x7f800000, v12
	s_delay_alu instid0(VALU_DEP_1)
	v_cndmask_b32_e64 v7, 0x7e, v7, s0
; %bb.1136:
	s_or_b32 exec_lo, exec_lo, s17
.LBB274_1137:
	s_delay_alu instid0(SALU_CYCLE_1)
	s_or_b32 exec_lo, exec_lo, s16
.LBB274_1138:
	s_and_not1_saveexec_b32 s13, s13
	s_cbranch_execz .LBB274_1154
; %bb.1139:
	flat_load_u8 v12, v[8:9]
	s_mov_b32 s16, 0
	s_mov_b32 s17, exec_lo
	s_wait_loadcnt_dscnt 0x0
	v_cmpx_lt_i16_e32 0x7f, v12
	s_xor_b32 s17, exec_lo, s17
	s_cbranch_execz .LBB274_2544
; %bb.1140:
	s_mov_b32 s16, -1
	s_mov_b32 s18, exec_lo
	v_cmpx_eq_u16_e32 0x80, v12
; %bb.1141:
	s_xor_b32 s16, exec_lo, -1
; %bb.1142:
	s_or_b32 exec_lo, exec_lo, s18
	s_delay_alu instid0(SALU_CYCLE_1)
	s_and_b32 s16, s16, exec_lo
	s_or_saveexec_b32 s17, s17
	v_mov_b32_e32 v7, 0x7f800001
	s_xor_b32 exec_lo, exec_lo, s17
	s_cbranch_execnz .LBB274_2545
.LBB274_1143:
	s_or_b32 exec_lo, exec_lo, s17
	s_and_saveexec_b32 s17, s16
	s_cbranch_execz .LBB274_1145
.LBB274_1144:
	v_and_b32_e32 v7, 0xffff, v12
	s_delay_alu instid0(VALU_DEP_1) | instskip(SKIP_1) | instid1(VALU_DEP_2)
	v_and_b32_e32 v13, 7, v7
	v_bfe_u32 v25, v7, 3, 4
	v_clz_i32_u32_e32 v22, v13
	s_delay_alu instid0(VALU_DEP_2) | instskip(NEXT) | instid1(VALU_DEP_2)
	v_cmp_eq_u32_e64 s0, 0, v25
	v_min_u32_e32 v22, 32, v22
	s_delay_alu instid0(VALU_DEP_1) | instskip(NEXT) | instid1(VALU_DEP_1)
	v_subrev_nc_u32_e32 v24, 28, v22
	v_dual_lshlrev_b32 v7, v24, v7 :: v_dual_sub_nc_u32 v22, 29, v22
	s_delay_alu instid0(VALU_DEP_1) | instskip(NEXT) | instid1(VALU_DEP_2)
	v_dual_lshlrev_b32 v12, 24, v12 :: v_dual_bitop2_b32 v7, 7, v7 bitop3:0x40
	v_cndmask_b32_e64 v22, v25, v22, s0
	s_delay_alu instid0(VALU_DEP_2) | instskip(NEXT) | instid1(VALU_DEP_3)
	v_cndmask_b32_e64 v7, v13, v7, s0
	v_and_b32_e32 v12, 0x80000000, v12
	s_delay_alu instid0(VALU_DEP_3) | instskip(NEXT) | instid1(VALU_DEP_3)
	v_lshl_add_u32 v13, v22, 23, 0x3b800000
	v_lshlrev_b32_e32 v7, 20, v7
	s_delay_alu instid0(VALU_DEP_1)
	v_or3_b32 v7, v12, v13, v7
.LBB274_1145:
	s_or_b32 exec_lo, exec_lo, s17
	s_delay_alu instid0(VALU_DEP_1) | instskip(SKIP_1) | instid1(VALU_DEP_1)
	v_and_b32_e32 v13, 0x7fffffff, v7
	s_mov_b32 s16, exec_lo
                                        ; implicit-def: $vgpr12
	v_cmpx_gt_u32_e32 0x43f00000, v13
	s_xor_b32 s16, exec_lo, s16
	s_cbranch_execz .LBB274_1151
; %bb.1146:
	s_mov_b32 s17, exec_lo
                                        ; implicit-def: $vgpr12
	v_cmpx_lt_u32_e32 0x3c7fffff, v13
	s_xor_b32 s17, exec_lo, s17
; %bb.1147:
	v_bfe_u32 v12, v7, 20, 1
	s_delay_alu instid0(VALU_DEP_1) | instskip(NEXT) | instid1(VALU_DEP_1)
	v_add3_u32 v12, v7, v12, 0x407ffff
	v_and_b32_e32 v13, 0xff00000, v12
	v_lshrrev_b32_e32 v12, 20, v12
	s_delay_alu instid0(VALU_DEP_2) | instskip(NEXT) | instid1(VALU_DEP_1)
	v_cmp_ne_u32_e64 s0, 0x7f00000, v13
	v_cndmask_b32_e64 v12, 0x7e, v12, s0
; %bb.1148:
	s_and_not1_saveexec_b32 s0, s17
; %bb.1149:
	v_add_f32_e64 v12, 0x46800000, |v7|
; %bb.1150:
	s_or_b32 exec_lo, exec_lo, s0
                                        ; implicit-def: $vgpr13
.LBB274_1151:
	s_and_not1_saveexec_b32 s16, s16
; %bb.1152:
	v_mov_b32_e32 v12, 0x7f
	v_cmp_lt_u32_e64 s0, 0x7f800000, v13
	s_delay_alu instid0(VALU_DEP_1)
	v_cndmask_b32_e64 v12, 0x7e, v12, s0
; %bb.1153:
	s_or_b32 exec_lo, exec_lo, s16
	v_lshrrev_b32_e32 v7, 24, v7
	s_delay_alu instid0(VALU_DEP_1)
	v_and_or_b32 v7, 0x80, v7, v12
.LBB274_1154:
	s_or_b32 exec_lo, exec_lo, s13
	s_delay_alu instid0(SALU_CYCLE_1)
	s_or_b32 s12, s12, exec_lo
.LBB274_1155:
	s_or_b32 exec_lo, exec_lo, s10
	s_delay_alu instid0(SALU_CYCLE_1)
	s_and_b32 s10, s12, exec_lo
	s_and_b32 s11, s11, exec_lo
	s_and_not1_saveexec_b32 s9, s9
	s_cbranch_execnz .LBB274_2378
.LBB274_1156:
	s_or_b32 exec_lo, exec_lo, s9
	s_mov_b32 s9, s7
	s_and_saveexec_b32 s0, s11
	s_cbranch_execnz .LBB274_2427
.LBB274_1157:
	s_or_b32 exec_lo, exec_lo, s0
	s_and_saveexec_b32 s11, s2
	s_cbranch_execz .LBB274_1167
.LBB274_1158:
	s_wait_loadcnt_dscnt 0x0
	flat_load_u8 v7, v[8:9]
	s_mov_b32 s2, exec_lo
	s_wait_loadcnt_dscnt 0x0
	v_cmp_ne_u16_e64 s0, 0, v7
                                        ; implicit-def: $vgpr7
	s_wait_xcnt 0x0
	s_delay_alu instid0(VALU_DEP_1) | instskip(NEXT) | instid1(VALU_DEP_1)
	v_cndmask_b32_e64 v8, 0, 1.0, s0
	v_cmpx_gt_u32_e32 0x43f00000, v8
	s_xor_b32 s2, exec_lo, s2
	s_cbranch_execz .LBB274_1164
; %bb.1159:
	s_mov_b32 s12, exec_lo
                                        ; implicit-def: $vgpr7
	v_cmpx_lt_u32_e32 0x3c7fffff, v8
	s_xor_b32 s12, exec_lo, s12
; %bb.1160:
	v_bfe_u32 v7, v8, 20, 1
	s_delay_alu instid0(VALU_DEP_1) | instskip(NEXT) | instid1(VALU_DEP_1)
	v_add3_u32 v7, v8, v7, 0x407ffff
	v_and_b32_e32 v8, 0xff00000, v7
	v_lshrrev_b32_e32 v7, 20, v7
	s_delay_alu instid0(VALU_DEP_2) | instskip(NEXT) | instid1(VALU_DEP_1)
	v_cmp_ne_u32_e64 s0, 0x7f00000, v8
                                        ; implicit-def: $vgpr8
	v_cndmask_b32_e64 v7, 0x7e, v7, s0
; %bb.1161:
	s_and_not1_saveexec_b32 s0, s12
; %bb.1162:
	v_add_f32_e32 v7, 0x46800000, v8
; %bb.1163:
	s_or_b32 exec_lo, exec_lo, s0
                                        ; implicit-def: $vgpr8
.LBB274_1164:
	s_and_not1_saveexec_b32 s2, s2
; %bb.1165:
	v_mov_b32_e32 v7, 0x7f
	v_cmp_lt_u32_e64 s0, 0x7f800000, v8
	s_delay_alu instid0(VALU_DEP_1)
	v_cndmask_b32_e64 v7, 0x7e, v7, s0
; %bb.1166:
	s_or_b32 exec_lo, exec_lo, s2
	s_delay_alu instid0(SALU_CYCLE_1)
	s_or_b32 s10, s10, exec_lo
.LBB274_1167:
	s_or_b32 exec_lo, exec_lo, s11
	s_delay_alu instid0(SALU_CYCLE_1) | instskip(SKIP_1) | instid1(SALU_CYCLE_1)
	s_and_not1_b32 s0, s7, exec_lo
	s_and_b32 s2, s9, exec_lo
                                        ; implicit-def: $vgpr8_vgpr9
	s_or_b32 s9, s0, s2
	s_and_b32 s2, s10, exec_lo
.LBB274_1168:
	s_and_not1_saveexec_b32 s1, s1
	s_cbranch_execz .LBB274_1298
; %bb.1169:
	s_mov_b32 s10, exec_lo
                                        ; implicit-def: $vgpr7
	v_cmpx_lt_i16_e32 4, v19
	s_xor_b32 s10, exec_lo, s10
	s_cbranch_execz .LBB274_1239
; %bb.1170:
	s_mov_b32 s11, exec_lo
                                        ; implicit-def: $vgpr7
	v_cmpx_lt_i16_e32 7, v19
	s_xor_b32 s11, exec_lo, s11
	s_cbranch_execz .LBB274_1204
; %bb.1171:
	s_mov_b32 s12, exec_lo
                                        ; implicit-def: $vgpr7
	v_cmpx_lt_i16_e32 8, v19
	s_xor_b32 s12, exec_lo, s12
	s_cbranch_execz .LBB274_1193
; %bb.1172:
	s_mov_b32 s13, exec_lo
                                        ; implicit-def: $vgpr7
	v_cmpx_lt_i16_e32 9, v19
	s_xor_b32 s13, exec_lo, s13
	s_cbranch_execz .LBB274_1182
; %bb.1173:
	flat_load_b64 v[8:9], v[8:9]
	s_mov_b32 s16, exec_lo
	s_wait_loadcnt_dscnt 0x0
	v_cvt_f32_f64_e32 v7, v[8:9]
                                        ; implicit-def: $vgpr8
	s_wait_xcnt 0x0
	s_delay_alu instid0(VALU_DEP_1) | instskip(NEXT) | instid1(VALU_DEP_1)
	v_and_b32_e32 v9, 0x7fffffff, v7
	v_cmpx_gt_u32_e32 0x43f00000, v9
	s_xor_b32 s16, exec_lo, s16
	s_cbranch_execz .LBB274_1179
; %bb.1174:
	s_mov_b32 s17, exec_lo
                                        ; implicit-def: $vgpr8
	v_cmpx_lt_u32_e32 0x3c7fffff, v9
	s_xor_b32 s17, exec_lo, s17
; %bb.1175:
	v_bfe_u32 v8, v7, 20, 1
	s_delay_alu instid0(VALU_DEP_1) | instskip(NEXT) | instid1(VALU_DEP_1)
	v_add3_u32 v8, v7, v8, 0x407ffff
	v_and_b32_e32 v9, 0xff00000, v8
	v_lshrrev_b32_e32 v8, 20, v8
	s_delay_alu instid0(VALU_DEP_2) | instskip(NEXT) | instid1(VALU_DEP_1)
	v_cmp_ne_u32_e64 s0, 0x7f00000, v9
	v_cndmask_b32_e64 v8, 0x7e, v8, s0
; %bb.1176:
	s_and_not1_saveexec_b32 s0, s17
; %bb.1177:
	v_add_f32_e64 v8, 0x46800000, |v7|
; %bb.1178:
	s_or_b32 exec_lo, exec_lo, s0
                                        ; implicit-def: $vgpr9
.LBB274_1179:
	s_and_not1_saveexec_b32 s16, s16
; %bb.1180:
	v_mov_b32_e32 v8, 0x7f
	v_cmp_lt_u32_e64 s0, 0x7f800000, v9
	s_delay_alu instid0(VALU_DEP_1)
	v_cndmask_b32_e64 v8, 0x7e, v8, s0
; %bb.1181:
	s_or_b32 exec_lo, exec_lo, s16
	v_lshrrev_b32_e32 v7, 24, v7
	s_delay_alu instid0(VALU_DEP_1)
	v_and_or_b32 v7, 0x80, v7, v8
                                        ; implicit-def: $vgpr8_vgpr9
.LBB274_1182:
	s_and_not1_saveexec_b32 s13, s13
	s_cbranch_execz .LBB274_1192
; %bb.1183:
	s_wait_loadcnt_dscnt 0x0
	flat_load_b32 v7, v[8:9]
	s_mov_b32 s16, exec_lo
                                        ; implicit-def: $vgpr8
	s_wait_loadcnt_dscnt 0x0
	v_and_b32_e32 v9, 0x7fffffff, v7
	s_delay_alu instid0(VALU_DEP_1)
	v_cmpx_gt_u32_e32 0x43f00000, v9
	s_xor_b32 s16, exec_lo, s16
	s_cbranch_execz .LBB274_1189
; %bb.1184:
	s_mov_b32 s17, exec_lo
                                        ; implicit-def: $vgpr8
	v_cmpx_lt_u32_e32 0x3c7fffff, v9
	s_xor_b32 s17, exec_lo, s17
; %bb.1185:
	v_bfe_u32 v8, v7, 20, 1
	s_delay_alu instid0(VALU_DEP_1) | instskip(NEXT) | instid1(VALU_DEP_1)
	v_add3_u32 v8, v7, v8, 0x407ffff
	v_and_b32_e32 v9, 0xff00000, v8
	v_lshrrev_b32_e32 v8, 20, v8
	s_delay_alu instid0(VALU_DEP_2) | instskip(NEXT) | instid1(VALU_DEP_1)
	v_cmp_ne_u32_e64 s0, 0x7f00000, v9
	v_cndmask_b32_e64 v8, 0x7e, v8, s0
; %bb.1186:
	s_and_not1_saveexec_b32 s0, s17
; %bb.1187:
	v_add_f32_e64 v8, 0x46800000, |v7|
; %bb.1188:
	s_or_b32 exec_lo, exec_lo, s0
                                        ; implicit-def: $vgpr9
.LBB274_1189:
	s_and_not1_saveexec_b32 s16, s16
; %bb.1190:
	v_mov_b32_e32 v8, 0x7f
	v_cmp_lt_u32_e64 s0, 0x7f800000, v9
	s_delay_alu instid0(VALU_DEP_1)
	v_cndmask_b32_e64 v8, 0x7e, v8, s0
; %bb.1191:
	s_or_b32 exec_lo, exec_lo, s16
	v_lshrrev_b32_e32 v7, 24, v7
	s_delay_alu instid0(VALU_DEP_1)
	v_and_or_b32 v7, 0x80, v7, v8
.LBB274_1192:
	s_or_b32 exec_lo, exec_lo, s13
                                        ; implicit-def: $vgpr8_vgpr9
.LBB274_1193:
	s_and_not1_saveexec_b32 s12, s12
	s_cbranch_execz .LBB274_1203
; %bb.1194:
	s_wait_loadcnt_dscnt 0x0
	flat_load_b32 v7, v[8:9]
	s_mov_b32 s13, exec_lo
                                        ; implicit-def: $vgpr8
	s_wait_loadcnt_dscnt 0x0
	v_cvt_f32_f16_e32 v7, v7
	s_wait_xcnt 0x0
	s_delay_alu instid0(VALU_DEP_1) | instskip(NEXT) | instid1(VALU_DEP_1)
	v_and_b32_e32 v9, 0x7fffffff, v7
	v_cmpx_gt_u32_e32 0x43f00000, v9
	s_xor_b32 s13, exec_lo, s13
	s_cbranch_execz .LBB274_1200
; %bb.1195:
	s_mov_b32 s16, exec_lo
                                        ; implicit-def: $vgpr8
	v_cmpx_lt_u32_e32 0x3c7fffff, v9
	s_xor_b32 s16, exec_lo, s16
; %bb.1196:
	v_bfe_u32 v8, v7, 20, 1
	s_delay_alu instid0(VALU_DEP_1) | instskip(NEXT) | instid1(VALU_DEP_1)
	v_add3_u32 v8, v7, v8, 0x407ffff
	v_and_b32_e32 v9, 0xff00000, v8
	v_lshrrev_b32_e32 v8, 20, v8
	s_delay_alu instid0(VALU_DEP_2) | instskip(NEXT) | instid1(VALU_DEP_1)
	v_cmp_ne_u32_e64 s0, 0x7f00000, v9
	v_cndmask_b32_e64 v8, 0x7e, v8, s0
; %bb.1197:
	s_and_not1_saveexec_b32 s0, s16
; %bb.1198:
	v_add_f32_e64 v8, 0x46800000, |v7|
; %bb.1199:
	s_or_b32 exec_lo, exec_lo, s0
                                        ; implicit-def: $vgpr9
.LBB274_1200:
	s_and_not1_saveexec_b32 s13, s13
; %bb.1201:
	v_mov_b32_e32 v8, 0x7f
	v_cmp_lt_u32_e64 s0, 0x7f800000, v9
	s_delay_alu instid0(VALU_DEP_1)
	v_cndmask_b32_e64 v8, 0x7e, v8, s0
; %bb.1202:
	s_or_b32 exec_lo, exec_lo, s13
	v_lshrrev_b32_e32 v7, 24, v7
	s_delay_alu instid0(VALU_DEP_1)
	v_and_or_b32 v7, 0x80, v7, v8
.LBB274_1203:
	s_or_b32 exec_lo, exec_lo, s12
                                        ; implicit-def: $vgpr8_vgpr9
.LBB274_1204:
	s_and_not1_saveexec_b32 s11, s11
	s_cbranch_execz .LBB274_1238
; %bb.1205:
	s_mov_b32 s12, exec_lo
                                        ; implicit-def: $vgpr7
	v_cmpx_lt_i16_e32 5, v19
	s_xor_b32 s12, exec_lo, s12
	s_cbranch_execz .LBB274_1227
; %bb.1206:
	s_mov_b32 s13, exec_lo
                                        ; implicit-def: $vgpr7
	v_cmpx_lt_i16_e32 6, v19
	s_xor_b32 s13, exec_lo, s13
	s_cbranch_execz .LBB274_1216
; %bb.1207:
	flat_load_b64 v[8:9], v[8:9]
	s_mov_b32 s16, exec_lo
	s_wait_loadcnt_dscnt 0x0
	v_cvt_f32_f64_e32 v7, v[8:9]
                                        ; implicit-def: $vgpr8
	s_wait_xcnt 0x0
	s_delay_alu instid0(VALU_DEP_1) | instskip(NEXT) | instid1(VALU_DEP_1)
	v_and_b32_e32 v9, 0x7fffffff, v7
	v_cmpx_gt_u32_e32 0x43f00000, v9
	s_xor_b32 s16, exec_lo, s16
	s_cbranch_execz .LBB274_1213
; %bb.1208:
	s_mov_b32 s17, exec_lo
                                        ; implicit-def: $vgpr8
	v_cmpx_lt_u32_e32 0x3c7fffff, v9
	s_xor_b32 s17, exec_lo, s17
; %bb.1209:
	v_bfe_u32 v8, v7, 20, 1
	s_delay_alu instid0(VALU_DEP_1) | instskip(NEXT) | instid1(VALU_DEP_1)
	v_add3_u32 v8, v7, v8, 0x407ffff
	v_and_b32_e32 v9, 0xff00000, v8
	v_lshrrev_b32_e32 v8, 20, v8
	s_delay_alu instid0(VALU_DEP_2) | instskip(NEXT) | instid1(VALU_DEP_1)
	v_cmp_ne_u32_e64 s0, 0x7f00000, v9
	v_cndmask_b32_e64 v8, 0x7e, v8, s0
; %bb.1210:
	s_and_not1_saveexec_b32 s0, s17
; %bb.1211:
	v_add_f32_e64 v8, 0x46800000, |v7|
; %bb.1212:
	s_or_b32 exec_lo, exec_lo, s0
                                        ; implicit-def: $vgpr9
.LBB274_1213:
	s_and_not1_saveexec_b32 s16, s16
; %bb.1214:
	v_mov_b32_e32 v8, 0x7f
	v_cmp_lt_u32_e64 s0, 0x7f800000, v9
	s_delay_alu instid0(VALU_DEP_1)
	v_cndmask_b32_e64 v8, 0x7e, v8, s0
; %bb.1215:
	s_or_b32 exec_lo, exec_lo, s16
	v_lshrrev_b32_e32 v7, 24, v7
	s_delay_alu instid0(VALU_DEP_1)
	v_and_or_b32 v7, 0x80, v7, v8
                                        ; implicit-def: $vgpr8_vgpr9
.LBB274_1216:
	s_and_not1_saveexec_b32 s13, s13
	s_cbranch_execz .LBB274_1226
; %bb.1217:
	s_wait_loadcnt_dscnt 0x0
	flat_load_b32 v7, v[8:9]
	s_mov_b32 s16, exec_lo
                                        ; implicit-def: $vgpr8
	s_wait_loadcnt_dscnt 0x0
	v_and_b32_e32 v9, 0x7fffffff, v7
	s_delay_alu instid0(VALU_DEP_1)
	v_cmpx_gt_u32_e32 0x43f00000, v9
	s_xor_b32 s16, exec_lo, s16
	s_cbranch_execz .LBB274_1223
; %bb.1218:
	s_mov_b32 s17, exec_lo
                                        ; implicit-def: $vgpr8
	v_cmpx_lt_u32_e32 0x3c7fffff, v9
	s_xor_b32 s17, exec_lo, s17
; %bb.1219:
	v_bfe_u32 v8, v7, 20, 1
	s_delay_alu instid0(VALU_DEP_1) | instskip(NEXT) | instid1(VALU_DEP_1)
	v_add3_u32 v8, v7, v8, 0x407ffff
	v_and_b32_e32 v9, 0xff00000, v8
	v_lshrrev_b32_e32 v8, 20, v8
	s_delay_alu instid0(VALU_DEP_2) | instskip(NEXT) | instid1(VALU_DEP_1)
	v_cmp_ne_u32_e64 s0, 0x7f00000, v9
	v_cndmask_b32_e64 v8, 0x7e, v8, s0
; %bb.1220:
	s_and_not1_saveexec_b32 s0, s17
; %bb.1221:
	v_add_f32_e64 v8, 0x46800000, |v7|
; %bb.1222:
	s_or_b32 exec_lo, exec_lo, s0
                                        ; implicit-def: $vgpr9
.LBB274_1223:
	s_and_not1_saveexec_b32 s16, s16
; %bb.1224:
	v_mov_b32_e32 v8, 0x7f
	v_cmp_lt_u32_e64 s0, 0x7f800000, v9
	s_delay_alu instid0(VALU_DEP_1)
	v_cndmask_b32_e64 v8, 0x7e, v8, s0
; %bb.1225:
	s_or_b32 exec_lo, exec_lo, s16
	v_lshrrev_b32_e32 v7, 24, v7
	s_delay_alu instid0(VALU_DEP_1)
	v_and_or_b32 v7, 0x80, v7, v8
.LBB274_1226:
	s_or_b32 exec_lo, exec_lo, s13
                                        ; implicit-def: $vgpr8_vgpr9
.LBB274_1227:
	s_and_not1_saveexec_b32 s12, s12
	s_cbranch_execz .LBB274_1237
; %bb.1228:
	s_wait_loadcnt_dscnt 0x0
	flat_load_u16 v7, v[8:9]
	s_mov_b32 s13, exec_lo
                                        ; implicit-def: $vgpr8
	s_wait_loadcnt_dscnt 0x0
	v_cvt_f32_f16_e32 v7, v7
	s_wait_xcnt 0x0
	s_delay_alu instid0(VALU_DEP_1) | instskip(NEXT) | instid1(VALU_DEP_1)
	v_and_b32_e32 v9, 0x7fffffff, v7
	v_cmpx_gt_u32_e32 0x43f00000, v9
	s_xor_b32 s13, exec_lo, s13
	s_cbranch_execz .LBB274_1234
; %bb.1229:
	s_mov_b32 s16, exec_lo
                                        ; implicit-def: $vgpr8
	v_cmpx_lt_u32_e32 0x3c7fffff, v9
	s_xor_b32 s16, exec_lo, s16
; %bb.1230:
	v_bfe_u32 v8, v7, 20, 1
	s_delay_alu instid0(VALU_DEP_1) | instskip(NEXT) | instid1(VALU_DEP_1)
	v_add3_u32 v8, v7, v8, 0x407ffff
	v_and_b32_e32 v9, 0xff00000, v8
	v_lshrrev_b32_e32 v8, 20, v8
	s_delay_alu instid0(VALU_DEP_2) | instskip(NEXT) | instid1(VALU_DEP_1)
	v_cmp_ne_u32_e64 s0, 0x7f00000, v9
	v_cndmask_b32_e64 v8, 0x7e, v8, s0
; %bb.1231:
	s_and_not1_saveexec_b32 s0, s16
; %bb.1232:
	v_add_f32_e64 v8, 0x46800000, |v7|
; %bb.1233:
	s_or_b32 exec_lo, exec_lo, s0
                                        ; implicit-def: $vgpr9
.LBB274_1234:
	s_and_not1_saveexec_b32 s13, s13
; %bb.1235:
	v_mov_b32_e32 v8, 0x7f
	v_cmp_lt_u32_e64 s0, 0x7f800000, v9
	s_delay_alu instid0(VALU_DEP_1)
	v_cndmask_b32_e64 v8, 0x7e, v8, s0
; %bb.1236:
	s_or_b32 exec_lo, exec_lo, s13
	v_lshrrev_b32_e32 v7, 24, v7
	s_delay_alu instid0(VALU_DEP_1)
	v_and_or_b32 v7, 0x80, v7, v8
.LBB274_1237:
	s_or_b32 exec_lo, exec_lo, s12
.LBB274_1238:
	s_delay_alu instid0(SALU_CYCLE_1)
	s_or_b32 exec_lo, exec_lo, s11
                                        ; implicit-def: $vgpr8_vgpr9
.LBB274_1239:
	s_and_not1_saveexec_b32 s10, s10
	s_cbranch_execz .LBB274_1297
; %bb.1240:
	s_mov_b32 s11, exec_lo
                                        ; implicit-def: $vgpr7
	v_cmpx_lt_i16_e32 1, v19
	s_xor_b32 s11, exec_lo, s11
	s_cbranch_execz .LBB274_1274
; %bb.1241:
	s_mov_b32 s12, exec_lo
                                        ; implicit-def: $vgpr7
	v_cmpx_lt_i16_e32 2, v19
	s_xor_b32 s12, exec_lo, s12
	;; [unrolled: 6-line block ×3, first 2 shown]
	s_cbranch_execz .LBB274_1252
; %bb.1243:
	flat_load_b64 v[8:9], v[8:9]
	s_mov_b32 s16, exec_lo
	s_wait_loadcnt_dscnt 0x0
	v_xor_b32_e32 v7, v8, v9
	v_cls_i32_e32 v12, v9
	s_delay_alu instid0(VALU_DEP_2) | instskip(NEXT) | instid1(VALU_DEP_1)
	v_ashrrev_i32_e32 v7, 31, v7
	v_add_nc_u32_e32 v7, 32, v7
	s_delay_alu instid0(VALU_DEP_1) | instskip(SKIP_1) | instid1(VALU_DEP_1)
	v_add_min_u32_e64 v7, v12, -1, v7
	s_wait_xcnt 0x0
	v_lshlrev_b64_e32 v[8:9], v7, v[8:9]
	v_sub_nc_u32_e32 v7, 32, v7
	s_delay_alu instid0(VALU_DEP_2) | instskip(NEXT) | instid1(VALU_DEP_1)
	v_min_u32_e32 v8, 1, v8
	v_or_b32_e32 v8, v9, v8
	s_delay_alu instid0(VALU_DEP_1) | instskip(NEXT) | instid1(VALU_DEP_1)
	v_cvt_f32_i32_e32 v8, v8
	v_ldexp_f32 v7, v8, v7
                                        ; implicit-def: $vgpr8
	s_delay_alu instid0(VALU_DEP_1) | instskip(NEXT) | instid1(VALU_DEP_1)
	v_and_b32_e32 v9, 0x7fffffff, v7
	v_cmpx_gt_u32_e32 0x43f00000, v9
	s_xor_b32 s16, exec_lo, s16
	s_cbranch_execz .LBB274_1249
; %bb.1244:
	s_mov_b32 s17, exec_lo
                                        ; implicit-def: $vgpr8
	v_cmpx_lt_u32_e32 0x3c7fffff, v9
	s_xor_b32 s17, exec_lo, s17
; %bb.1245:
	v_bfe_u32 v8, v7, 20, 1
	s_delay_alu instid0(VALU_DEP_1) | instskip(NEXT) | instid1(VALU_DEP_1)
	v_add3_u32 v8, v7, v8, 0x407ffff
	v_and_b32_e32 v9, 0xff00000, v8
	v_lshrrev_b32_e32 v8, 20, v8
	s_delay_alu instid0(VALU_DEP_2) | instskip(NEXT) | instid1(VALU_DEP_1)
	v_cmp_ne_u32_e64 s0, 0x7f00000, v9
	v_cndmask_b32_e64 v8, 0x7e, v8, s0
; %bb.1246:
	s_and_not1_saveexec_b32 s0, s17
; %bb.1247:
	v_add_f32_e64 v8, 0x46800000, |v7|
; %bb.1248:
	s_or_b32 exec_lo, exec_lo, s0
                                        ; implicit-def: $vgpr9
.LBB274_1249:
	s_and_not1_saveexec_b32 s16, s16
; %bb.1250:
	v_mov_b32_e32 v8, 0x7f
	v_cmp_lt_u32_e64 s0, 0x7f800000, v9
	s_delay_alu instid0(VALU_DEP_1)
	v_cndmask_b32_e64 v8, 0x7e, v8, s0
; %bb.1251:
	s_or_b32 exec_lo, exec_lo, s16
	v_lshrrev_b32_e32 v7, 24, v7
	s_delay_alu instid0(VALU_DEP_1)
	v_and_or_b32 v7, 0x80, v7, v8
                                        ; implicit-def: $vgpr8_vgpr9
.LBB274_1252:
	s_and_not1_saveexec_b32 s13, s13
	s_cbranch_execz .LBB274_1262
; %bb.1253:
	s_wait_loadcnt_dscnt 0x0
	flat_load_b32 v7, v[8:9]
	s_mov_b32 s16, exec_lo
                                        ; implicit-def: $vgpr8
	s_wait_loadcnt_dscnt 0x0
	v_cvt_f32_i32_e32 v7, v7
	s_wait_xcnt 0x0
	s_delay_alu instid0(VALU_DEP_1) | instskip(NEXT) | instid1(VALU_DEP_1)
	v_and_b32_e32 v9, 0x7fffffff, v7
	v_cmpx_gt_u32_e32 0x43f00000, v9
	s_xor_b32 s16, exec_lo, s16
	s_cbranch_execz .LBB274_1259
; %bb.1254:
	s_mov_b32 s17, exec_lo
                                        ; implicit-def: $vgpr8
	v_cmpx_lt_u32_e32 0x3c7fffff, v9
	s_xor_b32 s17, exec_lo, s17
; %bb.1255:
	v_bfe_u32 v8, v7, 20, 1
	s_delay_alu instid0(VALU_DEP_1) | instskip(NEXT) | instid1(VALU_DEP_1)
	v_add3_u32 v8, v7, v8, 0x407ffff
	v_and_b32_e32 v9, 0xff00000, v8
	v_lshrrev_b32_e32 v8, 20, v8
	s_delay_alu instid0(VALU_DEP_2) | instskip(NEXT) | instid1(VALU_DEP_1)
	v_cmp_ne_u32_e64 s0, 0x7f00000, v9
	v_cndmask_b32_e64 v8, 0x7e, v8, s0
; %bb.1256:
	s_and_not1_saveexec_b32 s0, s17
; %bb.1257:
	v_add_f32_e64 v8, 0x46800000, |v7|
; %bb.1258:
	s_or_b32 exec_lo, exec_lo, s0
                                        ; implicit-def: $vgpr9
.LBB274_1259:
	s_and_not1_saveexec_b32 s16, s16
; %bb.1260:
	v_mov_b32_e32 v8, 0x7f
	v_cmp_lt_u32_e64 s0, 0x7f800000, v9
	s_delay_alu instid0(VALU_DEP_1)
	v_cndmask_b32_e64 v8, 0x7e, v8, s0
; %bb.1261:
	s_or_b32 exec_lo, exec_lo, s16
	v_lshrrev_b32_e32 v7, 24, v7
	s_delay_alu instid0(VALU_DEP_1)
	v_and_or_b32 v7, 0x80, v7, v8
.LBB274_1262:
	s_or_b32 exec_lo, exec_lo, s13
                                        ; implicit-def: $vgpr8_vgpr9
.LBB274_1263:
	s_and_not1_saveexec_b32 s12, s12
	s_cbranch_execz .LBB274_1273
; %bb.1264:
	s_wait_loadcnt_dscnt 0x0
	flat_load_i16 v7, v[8:9]
	s_mov_b32 s13, exec_lo
                                        ; implicit-def: $vgpr8
	s_wait_loadcnt_dscnt 0x0
	v_cvt_f32_i32_e32 v7, v7
	s_wait_xcnt 0x0
	s_delay_alu instid0(VALU_DEP_1) | instskip(NEXT) | instid1(VALU_DEP_1)
	v_and_b32_e32 v9, 0x7fffffff, v7
	v_cmpx_gt_u32_e32 0x43f00000, v9
	s_xor_b32 s13, exec_lo, s13
	s_cbranch_execz .LBB274_1270
; %bb.1265:
	s_mov_b32 s16, exec_lo
                                        ; implicit-def: $vgpr8
	v_cmpx_lt_u32_e32 0x3c7fffff, v9
	s_xor_b32 s16, exec_lo, s16
; %bb.1266:
	v_bfe_u32 v8, v7, 20, 1
	s_delay_alu instid0(VALU_DEP_1) | instskip(NEXT) | instid1(VALU_DEP_1)
	v_add3_u32 v8, v7, v8, 0x407ffff
	v_and_b32_e32 v9, 0xff00000, v8
	v_lshrrev_b32_e32 v8, 20, v8
	s_delay_alu instid0(VALU_DEP_2) | instskip(NEXT) | instid1(VALU_DEP_1)
	v_cmp_ne_u32_e64 s0, 0x7f00000, v9
	v_cndmask_b32_e64 v8, 0x7e, v8, s0
; %bb.1267:
	s_and_not1_saveexec_b32 s0, s16
; %bb.1268:
	v_add_f32_e64 v8, 0x46800000, |v7|
; %bb.1269:
	s_or_b32 exec_lo, exec_lo, s0
                                        ; implicit-def: $vgpr9
.LBB274_1270:
	s_and_not1_saveexec_b32 s13, s13
; %bb.1271:
	v_mov_b32_e32 v8, 0x7f
	v_cmp_lt_u32_e64 s0, 0x7f800000, v9
	s_delay_alu instid0(VALU_DEP_1)
	v_cndmask_b32_e64 v8, 0x7e, v8, s0
; %bb.1272:
	s_or_b32 exec_lo, exec_lo, s13
	v_lshrrev_b32_e32 v7, 24, v7
	s_delay_alu instid0(VALU_DEP_1)
	v_and_or_b32 v7, 0x80, v7, v8
.LBB274_1273:
	s_or_b32 exec_lo, exec_lo, s12
                                        ; implicit-def: $vgpr8_vgpr9
.LBB274_1274:
	s_and_not1_saveexec_b32 s11, s11
	s_cbranch_execz .LBB274_1296
; %bb.1275:
	s_mov_b32 s12, exec_lo
                                        ; implicit-def: $vgpr7
	v_cmpx_lt_i16_e32 0, v19
	s_xor_b32 s12, exec_lo, s12
	s_cbranch_execz .LBB274_1285
; %bb.1276:
	s_wait_loadcnt_dscnt 0x0
	flat_load_i8 v7, v[8:9]
	s_mov_b32 s13, exec_lo
                                        ; implicit-def: $vgpr8
	s_wait_loadcnt_dscnt 0x0
	v_cvt_f32_i32_e32 v7, v7
	s_wait_xcnt 0x0
	s_delay_alu instid0(VALU_DEP_1) | instskip(NEXT) | instid1(VALU_DEP_1)
	v_and_b32_e32 v9, 0x7fffffff, v7
	v_cmpx_gt_u32_e32 0x43f00000, v9
	s_xor_b32 s13, exec_lo, s13
	s_cbranch_execz .LBB274_1282
; %bb.1277:
	s_mov_b32 s16, exec_lo
                                        ; implicit-def: $vgpr8
	v_cmpx_lt_u32_e32 0x3c7fffff, v9
	s_xor_b32 s16, exec_lo, s16
; %bb.1278:
	v_bfe_u32 v8, v7, 20, 1
	s_delay_alu instid0(VALU_DEP_1) | instskip(NEXT) | instid1(VALU_DEP_1)
	v_add3_u32 v8, v7, v8, 0x407ffff
	v_and_b32_e32 v9, 0xff00000, v8
	v_lshrrev_b32_e32 v8, 20, v8
	s_delay_alu instid0(VALU_DEP_2) | instskip(NEXT) | instid1(VALU_DEP_1)
	v_cmp_ne_u32_e64 s0, 0x7f00000, v9
	v_cndmask_b32_e64 v8, 0x7e, v8, s0
; %bb.1279:
	s_and_not1_saveexec_b32 s0, s16
; %bb.1280:
	v_add_f32_e64 v8, 0x46800000, |v7|
; %bb.1281:
	s_or_b32 exec_lo, exec_lo, s0
                                        ; implicit-def: $vgpr9
.LBB274_1282:
	s_and_not1_saveexec_b32 s13, s13
; %bb.1283:
	v_mov_b32_e32 v8, 0x7f
	v_cmp_lt_u32_e64 s0, 0x7f800000, v9
	s_delay_alu instid0(VALU_DEP_1)
	v_cndmask_b32_e64 v8, 0x7e, v8, s0
; %bb.1284:
	s_or_b32 exec_lo, exec_lo, s13
	v_lshrrev_b32_e32 v7, 24, v7
	s_delay_alu instid0(VALU_DEP_1)
	v_and_or_b32 v7, 0x80, v7, v8
                                        ; implicit-def: $vgpr8_vgpr9
.LBB274_1285:
	s_and_not1_saveexec_b32 s12, s12
	s_cbranch_execz .LBB274_1295
; %bb.1286:
	s_wait_loadcnt_dscnt 0x0
	flat_load_u8 v7, v[8:9]
	s_mov_b32 s13, exec_lo
	s_wait_loadcnt_dscnt 0x0
	v_cvt_f32_ubyte0_e32 v8, v7
                                        ; implicit-def: $vgpr7
	s_delay_alu instid0(VALU_DEP_1)
	v_cmpx_gt_u32_e32 0x43f00000, v8
	s_xor_b32 s13, exec_lo, s13
	s_cbranch_execz .LBB274_1292
; %bb.1287:
	s_mov_b32 s16, exec_lo
                                        ; implicit-def: $vgpr7
	v_cmpx_lt_u32_e32 0x3c7fffff, v8
	s_xor_b32 s16, exec_lo, s16
; %bb.1288:
	v_bfe_u32 v7, v8, 20, 1
	s_delay_alu instid0(VALU_DEP_1) | instskip(NEXT) | instid1(VALU_DEP_1)
	v_add3_u32 v7, v8, v7, 0x407ffff
	v_and_b32_e32 v8, 0xff00000, v7
	v_lshrrev_b32_e32 v7, 20, v7
	s_delay_alu instid0(VALU_DEP_2) | instskip(NEXT) | instid1(VALU_DEP_1)
	v_cmp_ne_u32_e64 s0, 0x7f00000, v8
                                        ; implicit-def: $vgpr8
	v_cndmask_b32_e64 v7, 0x7e, v7, s0
; %bb.1289:
	s_and_not1_saveexec_b32 s0, s16
; %bb.1290:
	v_add_f32_e32 v7, 0x46800000, v8
; %bb.1291:
	s_or_b32 exec_lo, exec_lo, s0
                                        ; implicit-def: $vgpr8
.LBB274_1292:
	s_and_not1_saveexec_b32 s13, s13
; %bb.1293:
	v_mov_b32_e32 v7, 0x7f
	v_cmp_lt_u32_e64 s0, 0x7f800000, v8
	s_delay_alu instid0(VALU_DEP_1)
	v_cndmask_b32_e64 v7, 0x7e, v7, s0
; %bb.1294:
	s_or_b32 exec_lo, exec_lo, s13
.LBB274_1295:
	s_delay_alu instid0(SALU_CYCLE_1)
	s_or_b32 exec_lo, exec_lo, s12
.LBB274_1296:
	s_delay_alu instid0(SALU_CYCLE_1)
	s_or_b32 exec_lo, exec_lo, s11
.LBB274_1297:
	s_delay_alu instid0(SALU_CYCLE_1) | instskip(NEXT) | instid1(SALU_CYCLE_1)
	s_or_b32 exec_lo, exec_lo, s10
	s_or_b32 s2, s2, exec_lo
.LBB274_1298:
	s_or_b32 exec_lo, exec_lo, s1
	s_mov_b32 s0, 0
	s_mov_b32 s12, 0
                                        ; implicit-def: $sgpr1
                                        ; implicit-def: $vgpr12_vgpr13
                                        ; implicit-def: $vgpr9
	s_and_saveexec_b32 s10, s2
	s_cbranch_execz .LBB274_2048
; %bb.1299:
	v_add_nc_u32_e32 v8, v10, v23
	s_mov_b32 s2, 0
	s_mov_b32 s11, s9
	s_mov_b32 s1, exec_lo
	s_delay_alu instid0(VALU_DEP_1) | instskip(NEXT) | instid1(VALU_DEP_1)
	v_ashrrev_i32_e32 v9, 31, v8
	v_add_nc_u64_e32 v[4:5], v[4:5], v[8:9]
                                        ; implicit-def: $vgpr8
	v_cmpx_lt_i16_e32 10, v20
	s_xor_b32 s1, exec_lo, s1
	s_cbranch_execz .LBB274_1394
; %bb.1300:
	s_mov_b32 s13, 0
	s_mov_b32 s11, exec_lo
                                        ; implicit-def: $vgpr8
	v_cmpx_lt_i16_e32 25, v20
	s_xor_b32 s11, exec_lo, s11
	s_cbranch_execz .LBB274_2430
; %bb.1301:
	s_mov_b32 s16, 0
	s_mov_b32 s12, exec_lo
                                        ; implicit-def: $vgpr8
	v_cmpx_lt_i16_e32 28, v20
	s_xor_b32 s12, exec_lo, s12
	s_cbranch_execz .LBB274_1341
; %bb.1302:
	s_mov_b32 s17, 0
	s_mov_b32 s18, 0
	s_mov_b32 s13, exec_lo
                                        ; implicit-def: $vgpr8
	v_cmpx_lt_i16_e32 43, v20
	s_xor_b32 s13, exec_lo, s13
	s_cbranch_execz .LBB274_1328
; %bb.1303:
	s_mov_b32 s18, exec_lo
                                        ; implicit-def: $vgpr8
	v_cmpx_lt_i16_e32 45, v20
	s_xor_b32 s18, exec_lo, s18
	s_cbranch_execz .LBB274_1315
; %bb.1304:
	s_mov_b32 s19, -1
	s_mov_b32 s16, exec_lo
                                        ; implicit-def: $vgpr8
	v_cmpx_eq_u16_e32 46, v20
	s_cbranch_execz .LBB274_1314
; %bb.1305:
	flat_load_b32 v8, v[4:5]
	s_mov_b32 s17, exec_lo
                                        ; implicit-def: $vgpr9
	s_wait_loadcnt_dscnt 0x0
	v_lshlrev_b32_e32 v8, 16, v8
	s_delay_alu instid0(VALU_DEP_1) | instskip(SKIP_1) | instid1(VALU_DEP_1)
	v_and_b32_e32 v10, 0x7fffffff, v8
	s_wait_xcnt 0x0
	v_cmpx_gt_u32_e32 0x43f00000, v10
	s_xor_b32 s17, exec_lo, s17
	s_cbranch_execz .LBB274_1311
; %bb.1306:
	s_mov_b32 s19, exec_lo
                                        ; implicit-def: $vgpr9
	v_cmpx_lt_u32_e32 0x3c7fffff, v10
	s_xor_b32 s19, exec_lo, s19
; %bb.1307:
	v_bfe_u32 v9, v8, 20, 1
	s_delay_alu instid0(VALU_DEP_1) | instskip(NEXT) | instid1(VALU_DEP_1)
	v_add3_u32 v9, v8, v9, 0x407ffff
	v_and_b32_e32 v10, 0xff00000, v9
	v_lshrrev_b32_e32 v9, 20, v9
	s_delay_alu instid0(VALU_DEP_2) | instskip(NEXT) | instid1(VALU_DEP_1)
	v_cmp_ne_u32_e64 s0, 0x7f00000, v10
	v_cndmask_b32_e64 v9, 0x7e, v9, s0
; %bb.1308:
	s_and_not1_saveexec_b32 s0, s19
; %bb.1309:
	v_add_f32_e64 v9, 0x46800000, |v8|
; %bb.1310:
	s_or_b32 exec_lo, exec_lo, s0
                                        ; implicit-def: $vgpr10
.LBB274_1311:
	s_and_not1_saveexec_b32 s17, s17
; %bb.1312:
	v_mov_b32_e32 v9, 0x7f
	v_cmp_lt_u32_e64 s0, 0x7f800000, v10
	s_delay_alu instid0(VALU_DEP_1)
	v_cndmask_b32_e64 v9, 0x7e, v9, s0
; %bb.1313:
	s_or_b32 exec_lo, exec_lo, s17
	v_lshrrev_b32_e32 v8, 24, v8
	s_mov_b32 s17, exec_lo
	s_xor_b32 s19, exec_lo, -1
	s_delay_alu instid0(VALU_DEP_1)
	v_and_or_b32 v8, 0x80, v8, v9
.LBB274_1314:
	s_or_b32 exec_lo, exec_lo, s16
	s_delay_alu instid0(SALU_CYCLE_1)
	s_and_b32 s17, s17, exec_lo
	s_and_b32 s16, s19, exec_lo
                                        ; implicit-def: $vgpr20
.LBB274_1315:
	s_and_not1_saveexec_b32 s18, s18
	s_cbranch_execz .LBB274_1327
; %bb.1316:
	s_mov_b32 s20, -1
	s_mov_b32 s21, s17
	s_mov_b32 s19, exec_lo
                                        ; implicit-def: $vgpr8
	v_cmpx_eq_u16_e32 44, v20
	s_cbranch_execz .LBB274_1326
; %bb.1317:
	flat_load_u8 v8, v[4:5]
	s_mov_b32 s20, exec_lo
	s_wait_loadcnt_dscnt 0x0
	v_lshlrev_b32_e32 v9, 23, v8
	v_cmp_ne_u32_e64 s0, 0xff, v8
	s_delay_alu instid0(VALU_DEP_1) | instskip(SKIP_1) | instid1(VALU_DEP_1)
	v_cndmask_b32_e64 v9, 0x7f800001, v9, s0
	v_cmp_ne_u32_e64 s0, 0, v8
                                        ; implicit-def: $vgpr8
	v_cndmask_b32_e64 v9, 0x400000, v9, s0
	s_wait_xcnt 0x0
	s_delay_alu instid0(VALU_DEP_1)
	v_cmpx_gt_u32_e32 0x43f00000, v9
	s_xor_b32 s20, exec_lo, s20
	s_cbranch_execz .LBB274_1323
; %bb.1318:
	s_mov_b32 s21, exec_lo
                                        ; implicit-def: $vgpr8
	v_cmpx_lt_u32_e32 0x3c7fffff, v9
	s_xor_b32 s21, exec_lo, s21
; %bb.1319:
	v_bfe_u32 v8, v9, 20, 1
	s_delay_alu instid0(VALU_DEP_1) | instskip(NEXT) | instid1(VALU_DEP_1)
	v_add3_u32 v8, v9, v8, 0x407ffff
	v_and_b32_e32 v9, 0xff00000, v8
	v_lshrrev_b32_e32 v8, 20, v8
	s_delay_alu instid0(VALU_DEP_2) | instskip(NEXT) | instid1(VALU_DEP_1)
	v_cmp_ne_u32_e64 s0, 0x7f00000, v9
                                        ; implicit-def: $vgpr9
	v_cndmask_b32_e64 v8, 0x7e, v8, s0
; %bb.1320:
	s_and_not1_saveexec_b32 s0, s21
; %bb.1321:
	v_add_f32_e32 v8, 0x46800000, v9
; %bb.1322:
	s_or_b32 exec_lo, exec_lo, s0
                                        ; implicit-def: $vgpr9
.LBB274_1323:
	s_and_not1_saveexec_b32 s20, s20
; %bb.1324:
	v_mov_b32_e32 v8, 0x7f
	v_cmp_lt_u32_e64 s0, 0x7f800000, v9
	s_delay_alu instid0(VALU_DEP_1)
	v_cndmask_b32_e64 v8, 0x7e, v8, s0
; %bb.1325:
	s_or_b32 exec_lo, exec_lo, s20
	s_delay_alu instid0(SALU_CYCLE_1)
	s_or_b32 s21, s17, exec_lo
	s_xor_b32 s20, exec_lo, -1
.LBB274_1326:
	s_or_b32 exec_lo, exec_lo, s19
	s_delay_alu instid0(SALU_CYCLE_1)
	s_and_not1_b32 s0, s17, exec_lo
	s_and_b32 s17, s21, exec_lo
	s_and_not1_b32 s16, s16, exec_lo
	s_and_b32 s19, s20, exec_lo
	s_or_b32 s17, s0, s17
	s_or_b32 s16, s16, s19
.LBB274_1327:
	s_or_b32 exec_lo, exec_lo, s18
	s_delay_alu instid0(SALU_CYCLE_1)
	s_and_b32 s18, s17, exec_lo
	s_and_b32 s17, s16, exec_lo
                                        ; implicit-def: $vgpr20
.LBB274_1328:
	s_and_not1_saveexec_b32 s13, s13
	s_cbranch_execz .LBB274_1340
; %bb.1329:
	s_mov_b32 s19, -1
	s_mov_b32 s20, s18
	s_mov_b32 s16, exec_lo
                                        ; implicit-def: $vgpr8
	v_cmpx_eq_u16_e32 29, v20
	s_cbranch_execz .LBB274_1339
; %bb.1330:
	flat_load_b64 v[8:9], v[4:5]
	s_mov_b32 s19, exec_lo
	s_wait_loadcnt_dscnt 0x0
	v_clz_i32_u32_e32 v10, v9
	s_delay_alu instid0(VALU_DEP_1) | instskip(NEXT) | instid1(VALU_DEP_1)
	v_min_u32_e32 v10, 32, v10
	v_lshlrev_b64_e32 v[8:9], v10, v[8:9]
	s_delay_alu instid0(VALU_DEP_1) | instskip(NEXT) | instid1(VALU_DEP_1)
	v_min_u32_e32 v8, 1, v8
	v_dual_sub_nc_u32 v9, 32, v10 :: v_dual_bitop2_b32 v8, v9, v8 bitop3:0x54
	s_delay_alu instid0(VALU_DEP_1) | instskip(NEXT) | instid1(VALU_DEP_1)
	v_cvt_f32_u32_e32 v8, v8
	v_ldexp_f32 v9, v8, v9
                                        ; implicit-def: $vgpr8
	s_wait_xcnt 0x0
	s_delay_alu instid0(VALU_DEP_1)
	v_cmpx_gt_u32_e32 0x43f00000, v9
	s_xor_b32 s19, exec_lo, s19
	s_cbranch_execz .LBB274_1336
; %bb.1331:
	s_mov_b32 s20, exec_lo
                                        ; implicit-def: $vgpr8
	v_cmpx_lt_u32_e32 0x3c7fffff, v9
	s_xor_b32 s20, exec_lo, s20
; %bb.1332:
	v_bfe_u32 v8, v9, 20, 1
	s_delay_alu instid0(VALU_DEP_1) | instskip(NEXT) | instid1(VALU_DEP_1)
	v_add3_u32 v8, v9, v8, 0x407ffff
	v_and_b32_e32 v9, 0xff00000, v8
	v_lshrrev_b32_e32 v8, 20, v8
	s_delay_alu instid0(VALU_DEP_2) | instskip(NEXT) | instid1(VALU_DEP_1)
	v_cmp_ne_u32_e64 s0, 0x7f00000, v9
                                        ; implicit-def: $vgpr9
	v_cndmask_b32_e64 v8, 0x7e, v8, s0
; %bb.1333:
	s_and_not1_saveexec_b32 s0, s20
; %bb.1334:
	v_add_f32_e32 v8, 0x46800000, v9
; %bb.1335:
	s_or_b32 exec_lo, exec_lo, s0
                                        ; implicit-def: $vgpr9
.LBB274_1336:
	s_and_not1_saveexec_b32 s19, s19
; %bb.1337:
	v_mov_b32_e32 v8, 0x7f
	v_cmp_lt_u32_e64 s0, 0x7f800000, v9
	s_delay_alu instid0(VALU_DEP_1)
	v_cndmask_b32_e64 v8, 0x7e, v8, s0
; %bb.1338:
	s_or_b32 exec_lo, exec_lo, s19
	s_delay_alu instid0(SALU_CYCLE_1)
	s_or_b32 s20, s18, exec_lo
	s_xor_b32 s19, exec_lo, -1
.LBB274_1339:
	s_or_b32 exec_lo, exec_lo, s16
	s_delay_alu instid0(SALU_CYCLE_1)
	s_and_not1_b32 s0, s18, exec_lo
	s_and_b32 s16, s20, exec_lo
	s_and_not1_b32 s17, s17, exec_lo
	s_and_b32 s19, s19, exec_lo
	s_or_b32 s18, s0, s16
	s_or_b32 s17, s17, s19
.LBB274_1340:
	s_or_b32 exec_lo, exec_lo, s13
	s_delay_alu instid0(SALU_CYCLE_1)
	s_and_b32 s16, s18, exec_lo
	s_and_b32 s13, s17, exec_lo
                                        ; implicit-def: $vgpr20
.LBB274_1341:
	s_and_not1_saveexec_b32 s12, s12
	s_cbranch_execz .LBB274_1381
; %bb.1342:
	s_mov_b32 s17, exec_lo
                                        ; implicit-def: $vgpr8
	v_cmpx_lt_i16_e32 26, v20
	s_xor_b32 s17, exec_lo, s17
	s_cbranch_execz .LBB274_1364
; %bb.1343:
	s_mov_b32 s18, exec_lo
                                        ; implicit-def: $vgpr8
	v_cmpx_lt_i16_e32 27, v20
	s_xor_b32 s18, exec_lo, s18
	s_cbranch_execz .LBB274_1353
; %bb.1344:
	flat_load_b32 v8, v[4:5]
	s_mov_b32 s19, exec_lo
	s_wait_loadcnt_dscnt 0x0
	v_cvt_f32_u32_e32 v9, v8
                                        ; implicit-def: $vgpr8
	s_wait_xcnt 0x0
	s_delay_alu instid0(VALU_DEP_1)
	v_cmpx_gt_u32_e32 0x43f00000, v9
	s_xor_b32 s19, exec_lo, s19
	s_cbranch_execz .LBB274_1350
; %bb.1345:
	s_mov_b32 s20, exec_lo
                                        ; implicit-def: $vgpr8
	v_cmpx_lt_u32_e32 0x3c7fffff, v9
	s_xor_b32 s20, exec_lo, s20
; %bb.1346:
	v_bfe_u32 v8, v9, 20, 1
	s_delay_alu instid0(VALU_DEP_1) | instskip(NEXT) | instid1(VALU_DEP_1)
	v_add3_u32 v8, v9, v8, 0x407ffff
	v_and_b32_e32 v9, 0xff00000, v8
	v_lshrrev_b32_e32 v8, 20, v8
	s_delay_alu instid0(VALU_DEP_2) | instskip(NEXT) | instid1(VALU_DEP_1)
	v_cmp_ne_u32_e64 s0, 0x7f00000, v9
                                        ; implicit-def: $vgpr9
	v_cndmask_b32_e64 v8, 0x7e, v8, s0
; %bb.1347:
	s_and_not1_saveexec_b32 s0, s20
; %bb.1348:
	v_add_f32_e32 v8, 0x46800000, v9
; %bb.1349:
	s_or_b32 exec_lo, exec_lo, s0
                                        ; implicit-def: $vgpr9
.LBB274_1350:
	s_and_not1_saveexec_b32 s19, s19
; %bb.1351:
	v_mov_b32_e32 v8, 0x7f
	v_cmp_lt_u32_e64 s0, 0x7f800000, v9
	s_delay_alu instid0(VALU_DEP_1)
	v_cndmask_b32_e64 v8, 0x7e, v8, s0
; %bb.1352:
	s_or_b32 exec_lo, exec_lo, s19
.LBB274_1353:
	s_and_not1_saveexec_b32 s18, s18
	s_cbranch_execz .LBB274_1363
; %bb.1354:
	flat_load_u16 v8, v[4:5]
	s_mov_b32 s19, exec_lo
	s_wait_loadcnt_dscnt 0x0
	v_cvt_f32_u32_e32 v9, v8
                                        ; implicit-def: $vgpr8
	s_wait_xcnt 0x0
	s_delay_alu instid0(VALU_DEP_1)
	v_cmpx_gt_u32_e32 0x43f00000, v9
	s_xor_b32 s19, exec_lo, s19
	s_cbranch_execz .LBB274_1360
; %bb.1355:
	s_mov_b32 s20, exec_lo
                                        ; implicit-def: $vgpr8
	v_cmpx_lt_u32_e32 0x3c7fffff, v9
	s_xor_b32 s20, exec_lo, s20
; %bb.1356:
	v_bfe_u32 v8, v9, 20, 1
	s_delay_alu instid0(VALU_DEP_1) | instskip(NEXT) | instid1(VALU_DEP_1)
	v_add3_u32 v8, v9, v8, 0x407ffff
	v_and_b32_e32 v9, 0xff00000, v8
	v_lshrrev_b32_e32 v8, 20, v8
	s_delay_alu instid0(VALU_DEP_2) | instskip(NEXT) | instid1(VALU_DEP_1)
	v_cmp_ne_u32_e64 s0, 0x7f00000, v9
                                        ; implicit-def: $vgpr9
	v_cndmask_b32_e64 v8, 0x7e, v8, s0
; %bb.1357:
	s_and_not1_saveexec_b32 s0, s20
; %bb.1358:
	v_add_f32_e32 v8, 0x46800000, v9
; %bb.1359:
	s_or_b32 exec_lo, exec_lo, s0
                                        ; implicit-def: $vgpr9
.LBB274_1360:
	s_and_not1_saveexec_b32 s19, s19
; %bb.1361:
	v_mov_b32_e32 v8, 0x7f
	v_cmp_lt_u32_e64 s0, 0x7f800000, v9
	s_delay_alu instid0(VALU_DEP_1)
	v_cndmask_b32_e64 v8, 0x7e, v8, s0
; %bb.1362:
	s_or_b32 exec_lo, exec_lo, s19
.LBB274_1363:
	s_delay_alu instid0(SALU_CYCLE_1)
	s_or_b32 exec_lo, exec_lo, s18
.LBB274_1364:
	s_and_not1_saveexec_b32 s17, s17
	s_cbranch_execz .LBB274_1380
; %bb.1365:
	flat_load_u8 v9, v[4:5]
	s_mov_b32 s18, 0
	s_mov_b32 s19, exec_lo
	s_wait_loadcnt_dscnt 0x0
	v_cmpx_lt_i16_e32 0x7f, v9
	s_xor_b32 s19, exec_lo, s19
	s_cbranch_execz .LBB274_2595
; %bb.1366:
	s_mov_b32 s18, -1
	s_mov_b32 s20, exec_lo
	v_cmpx_eq_u16_e32 0x80, v9
; %bb.1367:
	s_xor_b32 s18, exec_lo, -1
; %bb.1368:
	s_or_b32 exec_lo, exec_lo, s20
	s_delay_alu instid0(SALU_CYCLE_1)
	s_and_b32 s18, s18, exec_lo
	s_or_saveexec_b32 s19, s19
	v_mov_b32_e32 v8, 0x7f800001
	s_xor_b32 exec_lo, exec_lo, s19
	s_cbranch_execnz .LBB274_2596
.LBB274_1369:
	s_or_b32 exec_lo, exec_lo, s19
	s_and_saveexec_b32 s19, s18
	s_cbranch_execz .LBB274_1371
.LBB274_1370:
	v_and_b32_e32 v8, 0xffff, v9
	s_delay_alu instid0(VALU_DEP_1) | instskip(SKIP_1) | instid1(VALU_DEP_2)
	v_dual_lshlrev_b32 v9, 24, v9 :: v_dual_bitop2_b32 v10, 7, v8 bitop3:0x40
	v_bfe_u32 v20, v8, 3, 4
	v_and_b32_e32 v9, 0x80000000, v9
	s_delay_alu instid0(VALU_DEP_3) | instskip(NEXT) | instid1(VALU_DEP_3)
	v_clz_i32_u32_e32 v12, v10
	v_cmp_eq_u32_e64 s0, 0, v20
	s_delay_alu instid0(VALU_DEP_2) | instskip(NEXT) | instid1(VALU_DEP_1)
	v_min_u32_e32 v12, 32, v12
	v_subrev_nc_u32_e32 v13, 28, v12
	v_sub_nc_u32_e32 v12, 29, v12
	s_delay_alu instid0(VALU_DEP_2) | instskip(NEXT) | instid1(VALU_DEP_2)
	v_lshlrev_b32_e32 v8, v13, v8
	v_cndmask_b32_e64 v12, v20, v12, s0
	s_delay_alu instid0(VALU_DEP_2) | instskip(NEXT) | instid1(VALU_DEP_1)
	v_and_b32_e32 v8, 7, v8
	v_cndmask_b32_e64 v8, v10, v8, s0
	s_delay_alu instid0(VALU_DEP_3) | instskip(NEXT) | instid1(VALU_DEP_2)
	v_lshl_add_u32 v10, v12, 23, 0x3b800000
	v_lshlrev_b32_e32 v8, 20, v8
	s_delay_alu instid0(VALU_DEP_1)
	v_or3_b32 v8, v9, v10, v8
.LBB274_1371:
	s_or_b32 exec_lo, exec_lo, s19
	s_delay_alu instid0(VALU_DEP_1) | instskip(SKIP_1) | instid1(VALU_DEP_1)
	v_and_b32_e32 v10, 0x7fffffff, v8
	s_mov_b32 s18, exec_lo
                                        ; implicit-def: $vgpr9
	v_cmpx_gt_u32_e32 0x43f00000, v10
	s_xor_b32 s18, exec_lo, s18
	s_cbranch_execz .LBB274_1377
; %bb.1372:
	s_mov_b32 s19, exec_lo
                                        ; implicit-def: $vgpr9
	v_cmpx_lt_u32_e32 0x3c7fffff, v10
	s_xor_b32 s19, exec_lo, s19
; %bb.1373:
	v_bfe_u32 v9, v8, 20, 1
	s_delay_alu instid0(VALU_DEP_1) | instskip(NEXT) | instid1(VALU_DEP_1)
	v_add3_u32 v9, v8, v9, 0x407ffff
	v_and_b32_e32 v10, 0xff00000, v9
	v_lshrrev_b32_e32 v9, 20, v9
	s_delay_alu instid0(VALU_DEP_2) | instskip(NEXT) | instid1(VALU_DEP_1)
	v_cmp_ne_u32_e64 s0, 0x7f00000, v10
	v_cndmask_b32_e64 v9, 0x7e, v9, s0
; %bb.1374:
	s_and_not1_saveexec_b32 s0, s19
; %bb.1375:
	v_add_f32_e64 v9, 0x46800000, |v8|
; %bb.1376:
	s_or_b32 exec_lo, exec_lo, s0
                                        ; implicit-def: $vgpr10
.LBB274_1377:
	s_and_not1_saveexec_b32 s18, s18
; %bb.1378:
	v_mov_b32_e32 v9, 0x7f
	v_cmp_lt_u32_e64 s0, 0x7f800000, v10
	s_delay_alu instid0(VALU_DEP_1)
	v_cndmask_b32_e64 v9, 0x7e, v9, s0
; %bb.1379:
	s_or_b32 exec_lo, exec_lo, s18
	v_lshrrev_b32_e32 v8, 24, v8
	s_delay_alu instid0(VALU_DEP_1)
	v_and_or_b32 v8, 0x80, v8, v9
.LBB274_1380:
	s_or_b32 exec_lo, exec_lo, s17
	s_delay_alu instid0(SALU_CYCLE_1)
	s_or_b32 s16, s16, exec_lo
.LBB274_1381:
	s_or_b32 exec_lo, exec_lo, s12
	s_delay_alu instid0(SALU_CYCLE_1)
	s_and_b32 s12, s16, exec_lo
	s_and_b32 s13, s13, exec_lo
                                        ; implicit-def: $vgpr20
	s_and_not1_saveexec_b32 s11, s11
	s_cbranch_execnz .LBB274_2431
.LBB274_1382:
	s_or_b32 exec_lo, exec_lo, s11
	s_mov_b32 s11, s9
	s_and_saveexec_b32 s0, s13
	s_cbranch_execnz .LBB274_2480
.LBB274_1383:
	s_or_b32 exec_lo, exec_lo, s0
	s_and_saveexec_b32 s13, s2
	s_cbranch_execz .LBB274_1393
.LBB274_1384:
	flat_load_u8 v4, v[4:5]
	s_mov_b32 s2, exec_lo
                                        ; implicit-def: $vgpr8
	s_wait_loadcnt_dscnt 0x0
	v_cmp_ne_u16_e64 s0, 0, v4
	s_wait_xcnt 0x0
	s_delay_alu instid0(VALU_DEP_1) | instskip(NEXT) | instid1(VALU_DEP_1)
	v_cndmask_b32_e64 v4, 0, 1.0, s0
	v_cmpx_gt_u32_e32 0x43f00000, v4
	s_xor_b32 s2, exec_lo, s2
	s_cbranch_execz .LBB274_1390
; %bb.1385:
	s_mov_b32 s16, exec_lo
                                        ; implicit-def: $vgpr8
	v_cmpx_lt_u32_e32 0x3c7fffff, v4
	s_xor_b32 s16, exec_lo, s16
; %bb.1386:
	v_bfe_u32 v5, v4, 20, 1
	s_delay_alu instid0(VALU_DEP_1) | instskip(NEXT) | instid1(VALU_DEP_1)
	v_add3_u32 v4, v4, v5, 0x407ffff
	v_and_b32_e32 v5, 0xff00000, v4
	v_lshrrev_b32_e32 v4, 20, v4
	s_delay_alu instid0(VALU_DEP_2) | instskip(NEXT) | instid1(VALU_DEP_1)
	v_cmp_ne_u32_e64 s0, 0x7f00000, v5
	v_cndmask_b32_e64 v8, 0x7e, v4, s0
                                        ; implicit-def: $vgpr4
; %bb.1387:
	s_and_not1_saveexec_b32 s0, s16
; %bb.1388:
	v_add_f32_e32 v8, 0x46800000, v4
; %bb.1389:
	s_or_b32 exec_lo, exec_lo, s0
                                        ; implicit-def: $vgpr4
.LBB274_1390:
	s_and_not1_saveexec_b32 s2, s2
; %bb.1391:
	v_mov_b32_e32 v5, 0x7f
	v_cmp_lt_u32_e64 s0, 0x7f800000, v4
	s_delay_alu instid0(VALU_DEP_1)
	v_cndmask_b32_e64 v8, 0x7e, v5, s0
; %bb.1392:
	s_or_b32 exec_lo, exec_lo, s2
	s_delay_alu instid0(SALU_CYCLE_1)
	s_or_b32 s12, s12, exec_lo
.LBB274_1393:
	s_or_b32 exec_lo, exec_lo, s13
	s_delay_alu instid0(SALU_CYCLE_1) | instskip(SKIP_1) | instid1(SALU_CYCLE_1)
	s_and_not1_b32 s0, s9, exec_lo
	s_and_b32 s2, s11, exec_lo
                                        ; implicit-def: $vgpr20
                                        ; implicit-def: $vgpr4_vgpr5
	s_or_b32 s11, s0, s2
	s_and_b32 s2, s12, exec_lo
.LBB274_1394:
	s_and_not1_saveexec_b32 s1, s1
	s_cbranch_execz .LBB274_1524
; %bb.1395:
	s_mov_b32 s12, exec_lo
                                        ; implicit-def: $vgpr8
	v_cmpx_lt_i16_e32 4, v20
	s_xor_b32 s12, exec_lo, s12
	s_cbranch_execz .LBB274_1465
; %bb.1396:
	s_mov_b32 s13, exec_lo
                                        ; implicit-def: $vgpr8
	v_cmpx_lt_i16_e32 7, v20
	s_xor_b32 s13, exec_lo, s13
	;; [unrolled: 6-line block ×4, first 2 shown]
	s_cbranch_execz .LBB274_1408
; %bb.1399:
	flat_load_b64 v[4:5], v[4:5]
	s_mov_b32 s18, exec_lo
	s_wait_loadcnt_dscnt 0x0
	v_cvt_f32_f64_e32 v4, v[4:5]
                                        ; implicit-def: $vgpr5
	s_delay_alu instid0(VALU_DEP_1) | instskip(NEXT) | instid1(VALU_DEP_1)
	v_and_b32_e32 v8, 0x7fffffff, v4
	v_cmpx_gt_u32_e32 0x43f00000, v8
	s_xor_b32 s18, exec_lo, s18
	s_cbranch_execz .LBB274_1405
; %bb.1400:
	s_mov_b32 s19, exec_lo
                                        ; implicit-def: $vgpr5
	v_cmpx_lt_u32_e32 0x3c7fffff, v8
	s_xor_b32 s19, exec_lo, s19
; %bb.1401:
	v_bfe_u32 v5, v4, 20, 1
	s_delay_alu instid0(VALU_DEP_1) | instskip(NEXT) | instid1(VALU_DEP_1)
	v_add3_u32 v5, v4, v5, 0x407ffff
	v_and_b32_e32 v8, 0xff00000, v5
	v_lshrrev_b32_e32 v5, 20, v5
	s_delay_alu instid0(VALU_DEP_2) | instskip(NEXT) | instid1(VALU_DEP_1)
	v_cmp_ne_u32_e64 s0, 0x7f00000, v8
	v_cndmask_b32_e64 v5, 0x7e, v5, s0
; %bb.1402:
	s_and_not1_saveexec_b32 s0, s19
; %bb.1403:
	v_add_f32_e64 v5, 0x46800000, |v4|
; %bb.1404:
	s_or_b32 exec_lo, exec_lo, s0
                                        ; implicit-def: $vgpr8
.LBB274_1405:
	s_and_not1_saveexec_b32 s18, s18
; %bb.1406:
	v_mov_b32_e32 v5, 0x7f
	v_cmp_lt_u32_e64 s0, 0x7f800000, v8
	s_delay_alu instid0(VALU_DEP_1)
	v_cndmask_b32_e64 v5, 0x7e, v5, s0
; %bb.1407:
	s_or_b32 exec_lo, exec_lo, s18
	v_lshrrev_b32_e32 v4, 24, v4
	s_delay_alu instid0(VALU_DEP_1)
	v_and_or_b32 v8, 0x80, v4, v5
                                        ; implicit-def: $vgpr4_vgpr5
.LBB274_1408:
	s_and_not1_saveexec_b32 s17, s17
	s_cbranch_execz .LBB274_1418
; %bb.1409:
	flat_load_b32 v4, v[4:5]
	s_mov_b32 s18, exec_lo
                                        ; implicit-def: $vgpr5
	s_wait_loadcnt_dscnt 0x0
	v_and_b32_e32 v8, 0x7fffffff, v4
	s_wait_xcnt 0x0
	s_delay_alu instid0(VALU_DEP_1)
	v_cmpx_gt_u32_e32 0x43f00000, v8
	s_xor_b32 s18, exec_lo, s18
	s_cbranch_execz .LBB274_1415
; %bb.1410:
	s_mov_b32 s19, exec_lo
                                        ; implicit-def: $vgpr5
	v_cmpx_lt_u32_e32 0x3c7fffff, v8
	s_xor_b32 s19, exec_lo, s19
; %bb.1411:
	v_bfe_u32 v5, v4, 20, 1
	s_delay_alu instid0(VALU_DEP_1) | instskip(NEXT) | instid1(VALU_DEP_1)
	v_add3_u32 v5, v4, v5, 0x407ffff
	v_and_b32_e32 v8, 0xff00000, v5
	v_lshrrev_b32_e32 v5, 20, v5
	s_delay_alu instid0(VALU_DEP_2) | instskip(NEXT) | instid1(VALU_DEP_1)
	v_cmp_ne_u32_e64 s0, 0x7f00000, v8
	v_cndmask_b32_e64 v5, 0x7e, v5, s0
; %bb.1412:
	s_and_not1_saveexec_b32 s0, s19
; %bb.1413:
	v_add_f32_e64 v5, 0x46800000, |v4|
; %bb.1414:
	s_or_b32 exec_lo, exec_lo, s0
                                        ; implicit-def: $vgpr8
.LBB274_1415:
	s_and_not1_saveexec_b32 s18, s18
; %bb.1416:
	v_mov_b32_e32 v5, 0x7f
	v_cmp_lt_u32_e64 s0, 0x7f800000, v8
	s_delay_alu instid0(VALU_DEP_1)
	v_cndmask_b32_e64 v5, 0x7e, v5, s0
; %bb.1417:
	s_or_b32 exec_lo, exec_lo, s18
	v_lshrrev_b32_e32 v4, 24, v4
	s_delay_alu instid0(VALU_DEP_1)
	v_and_or_b32 v8, 0x80, v4, v5
.LBB274_1418:
	s_or_b32 exec_lo, exec_lo, s17
                                        ; implicit-def: $vgpr4_vgpr5
.LBB274_1419:
	s_and_not1_saveexec_b32 s16, s16
	s_cbranch_execz .LBB274_1429
; %bb.1420:
	flat_load_b32 v4, v[4:5]
	s_mov_b32 s17, exec_lo
                                        ; implicit-def: $vgpr5
	s_wait_loadcnt_dscnt 0x0
	v_cvt_f32_f16_e32 v4, v4
	s_delay_alu instid0(VALU_DEP_1) | instskip(NEXT) | instid1(VALU_DEP_1)
	v_and_b32_e32 v8, 0x7fffffff, v4
	v_cmpx_gt_u32_e32 0x43f00000, v8
	s_xor_b32 s17, exec_lo, s17
	s_cbranch_execz .LBB274_1426
; %bb.1421:
	s_mov_b32 s18, exec_lo
                                        ; implicit-def: $vgpr5
	v_cmpx_lt_u32_e32 0x3c7fffff, v8
	s_xor_b32 s18, exec_lo, s18
; %bb.1422:
	v_bfe_u32 v5, v4, 20, 1
	s_delay_alu instid0(VALU_DEP_1) | instskip(NEXT) | instid1(VALU_DEP_1)
	v_add3_u32 v5, v4, v5, 0x407ffff
	v_and_b32_e32 v8, 0xff00000, v5
	v_lshrrev_b32_e32 v5, 20, v5
	s_delay_alu instid0(VALU_DEP_2) | instskip(NEXT) | instid1(VALU_DEP_1)
	v_cmp_ne_u32_e64 s0, 0x7f00000, v8
	v_cndmask_b32_e64 v5, 0x7e, v5, s0
; %bb.1423:
	s_and_not1_saveexec_b32 s0, s18
; %bb.1424:
	v_add_f32_e64 v5, 0x46800000, |v4|
; %bb.1425:
	s_or_b32 exec_lo, exec_lo, s0
                                        ; implicit-def: $vgpr8
.LBB274_1426:
	s_and_not1_saveexec_b32 s17, s17
; %bb.1427:
	v_mov_b32_e32 v5, 0x7f
	v_cmp_lt_u32_e64 s0, 0x7f800000, v8
	s_delay_alu instid0(VALU_DEP_1)
	v_cndmask_b32_e64 v5, 0x7e, v5, s0
; %bb.1428:
	s_or_b32 exec_lo, exec_lo, s17
	v_lshrrev_b32_e32 v4, 24, v4
	s_delay_alu instid0(VALU_DEP_1)
	v_and_or_b32 v8, 0x80, v4, v5
.LBB274_1429:
	s_or_b32 exec_lo, exec_lo, s16
                                        ; implicit-def: $vgpr20
                                        ; implicit-def: $vgpr4_vgpr5
.LBB274_1430:
	s_and_not1_saveexec_b32 s13, s13
	s_cbranch_execz .LBB274_1464
; %bb.1431:
	s_mov_b32 s16, exec_lo
                                        ; implicit-def: $vgpr8
	v_cmpx_lt_i16_e32 5, v20
	s_xor_b32 s16, exec_lo, s16
	s_cbranch_execz .LBB274_1453
; %bb.1432:
	s_mov_b32 s17, exec_lo
                                        ; implicit-def: $vgpr8
	v_cmpx_lt_i16_e32 6, v20
	s_xor_b32 s17, exec_lo, s17
	s_cbranch_execz .LBB274_1442
; %bb.1433:
	flat_load_b64 v[4:5], v[4:5]
	s_mov_b32 s18, exec_lo
	s_wait_loadcnt_dscnt 0x0
	v_cvt_f32_f64_e32 v4, v[4:5]
                                        ; implicit-def: $vgpr5
	s_delay_alu instid0(VALU_DEP_1) | instskip(NEXT) | instid1(VALU_DEP_1)
	v_and_b32_e32 v8, 0x7fffffff, v4
	v_cmpx_gt_u32_e32 0x43f00000, v8
	s_xor_b32 s18, exec_lo, s18
	s_cbranch_execz .LBB274_1439
; %bb.1434:
	s_mov_b32 s19, exec_lo
                                        ; implicit-def: $vgpr5
	v_cmpx_lt_u32_e32 0x3c7fffff, v8
	s_xor_b32 s19, exec_lo, s19
; %bb.1435:
	v_bfe_u32 v5, v4, 20, 1
	s_delay_alu instid0(VALU_DEP_1) | instskip(NEXT) | instid1(VALU_DEP_1)
	v_add3_u32 v5, v4, v5, 0x407ffff
	v_and_b32_e32 v8, 0xff00000, v5
	v_lshrrev_b32_e32 v5, 20, v5
	s_delay_alu instid0(VALU_DEP_2) | instskip(NEXT) | instid1(VALU_DEP_1)
	v_cmp_ne_u32_e64 s0, 0x7f00000, v8
	v_cndmask_b32_e64 v5, 0x7e, v5, s0
; %bb.1436:
	s_and_not1_saveexec_b32 s0, s19
; %bb.1437:
	v_add_f32_e64 v5, 0x46800000, |v4|
; %bb.1438:
	s_or_b32 exec_lo, exec_lo, s0
                                        ; implicit-def: $vgpr8
.LBB274_1439:
	s_and_not1_saveexec_b32 s18, s18
; %bb.1440:
	v_mov_b32_e32 v5, 0x7f
	v_cmp_lt_u32_e64 s0, 0x7f800000, v8
	s_delay_alu instid0(VALU_DEP_1)
	v_cndmask_b32_e64 v5, 0x7e, v5, s0
; %bb.1441:
	s_or_b32 exec_lo, exec_lo, s18
	v_lshrrev_b32_e32 v4, 24, v4
	s_delay_alu instid0(VALU_DEP_1)
	v_and_or_b32 v8, 0x80, v4, v5
                                        ; implicit-def: $vgpr4_vgpr5
.LBB274_1442:
	s_and_not1_saveexec_b32 s17, s17
	s_cbranch_execz .LBB274_1452
; %bb.1443:
	flat_load_b32 v4, v[4:5]
	s_mov_b32 s18, exec_lo
                                        ; implicit-def: $vgpr5
	s_wait_loadcnt_dscnt 0x0
	v_and_b32_e32 v8, 0x7fffffff, v4
	s_wait_xcnt 0x0
	s_delay_alu instid0(VALU_DEP_1)
	v_cmpx_gt_u32_e32 0x43f00000, v8
	s_xor_b32 s18, exec_lo, s18
	s_cbranch_execz .LBB274_1449
; %bb.1444:
	s_mov_b32 s19, exec_lo
                                        ; implicit-def: $vgpr5
	v_cmpx_lt_u32_e32 0x3c7fffff, v8
	s_xor_b32 s19, exec_lo, s19
; %bb.1445:
	v_bfe_u32 v5, v4, 20, 1
	s_delay_alu instid0(VALU_DEP_1) | instskip(NEXT) | instid1(VALU_DEP_1)
	v_add3_u32 v5, v4, v5, 0x407ffff
	v_and_b32_e32 v8, 0xff00000, v5
	v_lshrrev_b32_e32 v5, 20, v5
	s_delay_alu instid0(VALU_DEP_2) | instskip(NEXT) | instid1(VALU_DEP_1)
	v_cmp_ne_u32_e64 s0, 0x7f00000, v8
	v_cndmask_b32_e64 v5, 0x7e, v5, s0
; %bb.1446:
	s_and_not1_saveexec_b32 s0, s19
; %bb.1447:
	v_add_f32_e64 v5, 0x46800000, |v4|
; %bb.1448:
	s_or_b32 exec_lo, exec_lo, s0
                                        ; implicit-def: $vgpr8
.LBB274_1449:
	s_and_not1_saveexec_b32 s18, s18
; %bb.1450:
	v_mov_b32_e32 v5, 0x7f
	v_cmp_lt_u32_e64 s0, 0x7f800000, v8
	s_delay_alu instid0(VALU_DEP_1)
	v_cndmask_b32_e64 v5, 0x7e, v5, s0
; %bb.1451:
	s_or_b32 exec_lo, exec_lo, s18
	v_lshrrev_b32_e32 v4, 24, v4
	s_delay_alu instid0(VALU_DEP_1)
	v_and_or_b32 v8, 0x80, v4, v5
.LBB274_1452:
	s_or_b32 exec_lo, exec_lo, s17
                                        ; implicit-def: $vgpr4_vgpr5
.LBB274_1453:
	s_and_not1_saveexec_b32 s16, s16
	s_cbranch_execz .LBB274_1463
; %bb.1454:
	flat_load_u16 v4, v[4:5]
	s_mov_b32 s17, exec_lo
                                        ; implicit-def: $vgpr5
	s_wait_loadcnt_dscnt 0x0
	v_cvt_f32_f16_e32 v4, v4
	s_delay_alu instid0(VALU_DEP_1) | instskip(NEXT) | instid1(VALU_DEP_1)
	v_and_b32_e32 v8, 0x7fffffff, v4
	v_cmpx_gt_u32_e32 0x43f00000, v8
	s_xor_b32 s17, exec_lo, s17
	s_cbranch_execz .LBB274_1460
; %bb.1455:
	s_mov_b32 s18, exec_lo
                                        ; implicit-def: $vgpr5
	v_cmpx_lt_u32_e32 0x3c7fffff, v8
	s_xor_b32 s18, exec_lo, s18
; %bb.1456:
	v_bfe_u32 v5, v4, 20, 1
	s_delay_alu instid0(VALU_DEP_1) | instskip(NEXT) | instid1(VALU_DEP_1)
	v_add3_u32 v5, v4, v5, 0x407ffff
	v_and_b32_e32 v8, 0xff00000, v5
	v_lshrrev_b32_e32 v5, 20, v5
	s_delay_alu instid0(VALU_DEP_2) | instskip(NEXT) | instid1(VALU_DEP_1)
	v_cmp_ne_u32_e64 s0, 0x7f00000, v8
	v_cndmask_b32_e64 v5, 0x7e, v5, s0
; %bb.1457:
	s_and_not1_saveexec_b32 s0, s18
; %bb.1458:
	v_add_f32_e64 v5, 0x46800000, |v4|
; %bb.1459:
	s_or_b32 exec_lo, exec_lo, s0
                                        ; implicit-def: $vgpr8
.LBB274_1460:
	s_and_not1_saveexec_b32 s17, s17
; %bb.1461:
	v_mov_b32_e32 v5, 0x7f
	v_cmp_lt_u32_e64 s0, 0x7f800000, v8
	s_delay_alu instid0(VALU_DEP_1)
	v_cndmask_b32_e64 v5, 0x7e, v5, s0
; %bb.1462:
	s_or_b32 exec_lo, exec_lo, s17
	v_lshrrev_b32_e32 v4, 24, v4
	s_delay_alu instid0(VALU_DEP_1)
	v_and_or_b32 v8, 0x80, v4, v5
.LBB274_1463:
	s_or_b32 exec_lo, exec_lo, s16
.LBB274_1464:
	s_delay_alu instid0(SALU_CYCLE_1)
	s_or_b32 exec_lo, exec_lo, s13
                                        ; implicit-def: $vgpr20
                                        ; implicit-def: $vgpr4_vgpr5
.LBB274_1465:
	s_and_not1_saveexec_b32 s12, s12
	s_cbranch_execz .LBB274_1523
; %bb.1466:
	s_mov_b32 s13, exec_lo
                                        ; implicit-def: $vgpr8
	v_cmpx_lt_i16_e32 1, v20
	s_xor_b32 s13, exec_lo, s13
	s_cbranch_execz .LBB274_1500
; %bb.1467:
	s_mov_b32 s16, exec_lo
                                        ; implicit-def: $vgpr8
	v_cmpx_lt_i16_e32 2, v20
	s_xor_b32 s16, exec_lo, s16
	;; [unrolled: 6-line block ×3, first 2 shown]
	s_cbranch_execz .LBB274_1478
; %bb.1469:
	flat_load_b64 v[4:5], v[4:5]
	s_mov_b32 s18, exec_lo
	s_wait_loadcnt_dscnt 0x0
	v_xor_b32_e32 v8, v4, v5
	v_cls_i32_e32 v9, v5
	s_delay_alu instid0(VALU_DEP_2) | instskip(NEXT) | instid1(VALU_DEP_1)
	v_ashrrev_i32_e32 v8, 31, v8
	v_add_nc_u32_e32 v8, 32, v8
	s_delay_alu instid0(VALU_DEP_1) | instskip(SKIP_1) | instid1(VALU_DEP_1)
	v_add_min_u32_e64 v8, v9, -1, v8
	s_wait_xcnt 0x0
	v_lshlrev_b64_e32 v[4:5], v8, v[4:5]
	s_delay_alu instid0(VALU_DEP_1) | instskip(NEXT) | instid1(VALU_DEP_1)
	v_min_u32_e32 v4, 1, v4
	v_or_b32_e32 v4, v5, v4
	v_sub_nc_u32_e32 v5, 32, v8
	s_delay_alu instid0(VALU_DEP_2) | instskip(NEXT) | instid1(VALU_DEP_1)
	v_cvt_f32_i32_e32 v4, v4
	v_ldexp_f32 v4, v4, v5
                                        ; implicit-def: $vgpr5
	s_delay_alu instid0(VALU_DEP_1) | instskip(NEXT) | instid1(VALU_DEP_1)
	v_and_b32_e32 v8, 0x7fffffff, v4
	v_cmpx_gt_u32_e32 0x43f00000, v8
	s_xor_b32 s18, exec_lo, s18
	s_cbranch_execz .LBB274_1475
; %bb.1470:
	s_mov_b32 s19, exec_lo
                                        ; implicit-def: $vgpr5
	v_cmpx_lt_u32_e32 0x3c7fffff, v8
	s_xor_b32 s19, exec_lo, s19
; %bb.1471:
	v_bfe_u32 v5, v4, 20, 1
	s_delay_alu instid0(VALU_DEP_1) | instskip(NEXT) | instid1(VALU_DEP_1)
	v_add3_u32 v5, v4, v5, 0x407ffff
	v_and_b32_e32 v8, 0xff00000, v5
	v_lshrrev_b32_e32 v5, 20, v5
	s_delay_alu instid0(VALU_DEP_2) | instskip(NEXT) | instid1(VALU_DEP_1)
	v_cmp_ne_u32_e64 s0, 0x7f00000, v8
	v_cndmask_b32_e64 v5, 0x7e, v5, s0
; %bb.1472:
	s_and_not1_saveexec_b32 s0, s19
; %bb.1473:
	v_add_f32_e64 v5, 0x46800000, |v4|
; %bb.1474:
	s_or_b32 exec_lo, exec_lo, s0
                                        ; implicit-def: $vgpr8
.LBB274_1475:
	s_and_not1_saveexec_b32 s18, s18
; %bb.1476:
	v_mov_b32_e32 v5, 0x7f
	v_cmp_lt_u32_e64 s0, 0x7f800000, v8
	s_delay_alu instid0(VALU_DEP_1)
	v_cndmask_b32_e64 v5, 0x7e, v5, s0
; %bb.1477:
	s_or_b32 exec_lo, exec_lo, s18
	v_lshrrev_b32_e32 v4, 24, v4
	s_delay_alu instid0(VALU_DEP_1)
	v_and_or_b32 v8, 0x80, v4, v5
                                        ; implicit-def: $vgpr4_vgpr5
.LBB274_1478:
	s_and_not1_saveexec_b32 s17, s17
	s_cbranch_execz .LBB274_1488
; %bb.1479:
	flat_load_b32 v4, v[4:5]
	s_mov_b32 s18, exec_lo
                                        ; implicit-def: $vgpr5
	s_wait_loadcnt_dscnt 0x0
	v_cvt_f32_i32_e32 v4, v4
	s_delay_alu instid0(VALU_DEP_1) | instskip(NEXT) | instid1(VALU_DEP_1)
	v_and_b32_e32 v8, 0x7fffffff, v4
	v_cmpx_gt_u32_e32 0x43f00000, v8
	s_xor_b32 s18, exec_lo, s18
	s_cbranch_execz .LBB274_1485
; %bb.1480:
	s_mov_b32 s19, exec_lo
                                        ; implicit-def: $vgpr5
	v_cmpx_lt_u32_e32 0x3c7fffff, v8
	s_xor_b32 s19, exec_lo, s19
; %bb.1481:
	v_bfe_u32 v5, v4, 20, 1
	s_delay_alu instid0(VALU_DEP_1) | instskip(NEXT) | instid1(VALU_DEP_1)
	v_add3_u32 v5, v4, v5, 0x407ffff
	v_and_b32_e32 v8, 0xff00000, v5
	v_lshrrev_b32_e32 v5, 20, v5
	s_delay_alu instid0(VALU_DEP_2) | instskip(NEXT) | instid1(VALU_DEP_1)
	v_cmp_ne_u32_e64 s0, 0x7f00000, v8
	v_cndmask_b32_e64 v5, 0x7e, v5, s0
; %bb.1482:
	s_and_not1_saveexec_b32 s0, s19
; %bb.1483:
	v_add_f32_e64 v5, 0x46800000, |v4|
; %bb.1484:
	s_or_b32 exec_lo, exec_lo, s0
                                        ; implicit-def: $vgpr8
.LBB274_1485:
	s_and_not1_saveexec_b32 s18, s18
; %bb.1486:
	v_mov_b32_e32 v5, 0x7f
	v_cmp_lt_u32_e64 s0, 0x7f800000, v8
	s_delay_alu instid0(VALU_DEP_1)
	v_cndmask_b32_e64 v5, 0x7e, v5, s0
; %bb.1487:
	s_or_b32 exec_lo, exec_lo, s18
	v_lshrrev_b32_e32 v4, 24, v4
	s_delay_alu instid0(VALU_DEP_1)
	v_and_or_b32 v8, 0x80, v4, v5
.LBB274_1488:
	s_or_b32 exec_lo, exec_lo, s17
                                        ; implicit-def: $vgpr4_vgpr5
.LBB274_1489:
	s_and_not1_saveexec_b32 s16, s16
	s_cbranch_execz .LBB274_1499
; %bb.1490:
	flat_load_i16 v4, v[4:5]
	s_mov_b32 s17, exec_lo
                                        ; implicit-def: $vgpr5
	s_wait_loadcnt_dscnt 0x0
	v_cvt_f32_i32_e32 v4, v4
	s_delay_alu instid0(VALU_DEP_1) | instskip(NEXT) | instid1(VALU_DEP_1)
	v_and_b32_e32 v8, 0x7fffffff, v4
	v_cmpx_gt_u32_e32 0x43f00000, v8
	s_xor_b32 s17, exec_lo, s17
	s_cbranch_execz .LBB274_1496
; %bb.1491:
	s_mov_b32 s18, exec_lo
                                        ; implicit-def: $vgpr5
	v_cmpx_lt_u32_e32 0x3c7fffff, v8
	s_xor_b32 s18, exec_lo, s18
; %bb.1492:
	v_bfe_u32 v5, v4, 20, 1
	s_delay_alu instid0(VALU_DEP_1) | instskip(NEXT) | instid1(VALU_DEP_1)
	v_add3_u32 v5, v4, v5, 0x407ffff
	v_and_b32_e32 v8, 0xff00000, v5
	v_lshrrev_b32_e32 v5, 20, v5
	s_delay_alu instid0(VALU_DEP_2) | instskip(NEXT) | instid1(VALU_DEP_1)
	v_cmp_ne_u32_e64 s0, 0x7f00000, v8
	v_cndmask_b32_e64 v5, 0x7e, v5, s0
; %bb.1493:
	s_and_not1_saveexec_b32 s0, s18
; %bb.1494:
	v_add_f32_e64 v5, 0x46800000, |v4|
; %bb.1495:
	s_or_b32 exec_lo, exec_lo, s0
                                        ; implicit-def: $vgpr8
.LBB274_1496:
	s_and_not1_saveexec_b32 s17, s17
; %bb.1497:
	v_mov_b32_e32 v5, 0x7f
	v_cmp_lt_u32_e64 s0, 0x7f800000, v8
	s_delay_alu instid0(VALU_DEP_1)
	v_cndmask_b32_e64 v5, 0x7e, v5, s0
; %bb.1498:
	s_or_b32 exec_lo, exec_lo, s17
	v_lshrrev_b32_e32 v4, 24, v4
	s_delay_alu instid0(VALU_DEP_1)
	v_and_or_b32 v8, 0x80, v4, v5
.LBB274_1499:
	s_or_b32 exec_lo, exec_lo, s16
                                        ; implicit-def: $vgpr20
                                        ; implicit-def: $vgpr4_vgpr5
.LBB274_1500:
	s_and_not1_saveexec_b32 s13, s13
	s_cbranch_execz .LBB274_1522
; %bb.1501:
	s_mov_b32 s16, exec_lo
                                        ; implicit-def: $vgpr8
	v_cmpx_lt_i16_e32 0, v20
	s_xor_b32 s16, exec_lo, s16
	s_cbranch_execz .LBB274_1511
; %bb.1502:
	flat_load_i8 v4, v[4:5]
	s_mov_b32 s17, exec_lo
                                        ; implicit-def: $vgpr5
	s_wait_loadcnt_dscnt 0x0
	v_cvt_f32_i32_e32 v4, v4
	s_delay_alu instid0(VALU_DEP_1) | instskip(NEXT) | instid1(VALU_DEP_1)
	v_and_b32_e32 v8, 0x7fffffff, v4
	v_cmpx_gt_u32_e32 0x43f00000, v8
	s_xor_b32 s17, exec_lo, s17
	s_cbranch_execz .LBB274_1508
; %bb.1503:
	s_mov_b32 s18, exec_lo
                                        ; implicit-def: $vgpr5
	v_cmpx_lt_u32_e32 0x3c7fffff, v8
	s_xor_b32 s18, exec_lo, s18
; %bb.1504:
	v_bfe_u32 v5, v4, 20, 1
	s_delay_alu instid0(VALU_DEP_1) | instskip(NEXT) | instid1(VALU_DEP_1)
	v_add3_u32 v5, v4, v5, 0x407ffff
	v_and_b32_e32 v8, 0xff00000, v5
	v_lshrrev_b32_e32 v5, 20, v5
	s_delay_alu instid0(VALU_DEP_2) | instskip(NEXT) | instid1(VALU_DEP_1)
	v_cmp_ne_u32_e64 s0, 0x7f00000, v8
	v_cndmask_b32_e64 v5, 0x7e, v5, s0
; %bb.1505:
	s_and_not1_saveexec_b32 s0, s18
; %bb.1506:
	v_add_f32_e64 v5, 0x46800000, |v4|
; %bb.1507:
	s_or_b32 exec_lo, exec_lo, s0
                                        ; implicit-def: $vgpr8
.LBB274_1508:
	s_and_not1_saveexec_b32 s17, s17
; %bb.1509:
	v_mov_b32_e32 v5, 0x7f
	v_cmp_lt_u32_e64 s0, 0x7f800000, v8
	s_delay_alu instid0(VALU_DEP_1)
	v_cndmask_b32_e64 v5, 0x7e, v5, s0
; %bb.1510:
	s_or_b32 exec_lo, exec_lo, s17
	v_lshrrev_b32_e32 v4, 24, v4
	s_delay_alu instid0(VALU_DEP_1)
	v_and_or_b32 v8, 0x80, v4, v5
                                        ; implicit-def: $vgpr4_vgpr5
.LBB274_1511:
	s_and_not1_saveexec_b32 s16, s16
	s_cbranch_execz .LBB274_1521
; %bb.1512:
	flat_load_u8 v4, v[4:5]
	s_mov_b32 s17, exec_lo
                                        ; implicit-def: $vgpr8
	s_wait_loadcnt_dscnt 0x0
	v_cvt_f32_ubyte0_e32 v4, v4
	s_delay_alu instid0(VALU_DEP_1)
	v_cmpx_gt_u32_e32 0x43f00000, v4
	s_xor_b32 s17, exec_lo, s17
	s_cbranch_execz .LBB274_1518
; %bb.1513:
	s_mov_b32 s18, exec_lo
                                        ; implicit-def: $vgpr8
	v_cmpx_lt_u32_e32 0x3c7fffff, v4
	s_xor_b32 s18, exec_lo, s18
; %bb.1514:
	v_bfe_u32 v5, v4, 20, 1
	s_delay_alu instid0(VALU_DEP_1) | instskip(NEXT) | instid1(VALU_DEP_1)
	v_add3_u32 v4, v4, v5, 0x407ffff
	v_and_b32_e32 v5, 0xff00000, v4
	v_lshrrev_b32_e32 v4, 20, v4
	s_delay_alu instid0(VALU_DEP_2) | instskip(NEXT) | instid1(VALU_DEP_1)
	v_cmp_ne_u32_e64 s0, 0x7f00000, v5
	v_cndmask_b32_e64 v8, 0x7e, v4, s0
                                        ; implicit-def: $vgpr4
; %bb.1515:
	s_and_not1_saveexec_b32 s0, s18
; %bb.1516:
	v_add_f32_e32 v8, 0x46800000, v4
; %bb.1517:
	s_or_b32 exec_lo, exec_lo, s0
                                        ; implicit-def: $vgpr4
.LBB274_1518:
	s_and_not1_saveexec_b32 s17, s17
; %bb.1519:
	v_mov_b32_e32 v5, 0x7f
	v_cmp_lt_u32_e64 s0, 0x7f800000, v4
	s_delay_alu instid0(VALU_DEP_1)
	v_cndmask_b32_e64 v8, 0x7e, v5, s0
; %bb.1520:
	s_or_b32 exec_lo, exec_lo, s17
.LBB274_1521:
	s_delay_alu instid0(SALU_CYCLE_1)
	s_or_b32 exec_lo, exec_lo, s16
.LBB274_1522:
	s_delay_alu instid0(SALU_CYCLE_1)
	s_or_b32 exec_lo, exec_lo, s13
.LBB274_1523:
	s_delay_alu instid0(SALU_CYCLE_1) | instskip(NEXT) | instid1(SALU_CYCLE_1)
	s_or_b32 exec_lo, exec_lo, s12
	s_or_b32 s2, s2, exec_lo
.LBB274_1524:
	s_or_b32 exec_lo, exec_lo, s1
	s_mov_b32 s0, 0
	s_mov_b32 s16, 0
                                        ; implicit-def: $sgpr1
                                        ; implicit-def: $vgpr12_vgpr13
                                        ; implicit-def: $vgpr9
	s_and_saveexec_b32 s12, s2
	s_cbranch_execz .LBB274_2047
; %bb.1525:
	v_add_nc_u32_e32 v4, v6, v21
	s_mov_b32 s2, 0
	s_mov_b32 s13, s11
	s_mov_b32 s1, exec_lo
                                        ; implicit-def: $vgpr6
	s_delay_alu instid0(VALU_DEP_1) | instskip(NEXT) | instid1(VALU_DEP_1)
	v_ashrrev_i32_e32 v5, 31, v4
	v_add_nc_u64_e32 v[2:3], v[2:3], v[4:5]
	v_cmpx_lt_i16_e32 10, v19
	s_xor_b32 s1, exec_lo, s1
	s_cbranch_execz .LBB274_1620
; %bb.1526:
	s_mov_b32 s17, 0
	s_mov_b32 s13, exec_lo
                                        ; implicit-def: $vgpr6
	v_cmpx_lt_i16_e32 25, v19
	s_xor_b32 s13, exec_lo, s13
	s_cbranch_execz .LBB274_2487
; %bb.1527:
	s_mov_b32 s18, 0
	s_mov_b32 s16, exec_lo
                                        ; implicit-def: $vgpr6
	v_cmpx_lt_i16_e32 28, v19
	s_xor_b32 s16, exec_lo, s16
	s_cbranch_execz .LBB274_1567
; %bb.1528:
	s_mov_b32 s19, 0
	s_mov_b32 s20, 0
	s_mov_b32 s17, exec_lo
                                        ; implicit-def: $vgpr6
	v_cmpx_lt_i16_e32 43, v19
	s_xor_b32 s17, exec_lo, s17
	s_cbranch_execz .LBB274_1554
; %bb.1529:
	s_mov_b32 s20, exec_lo
                                        ; implicit-def: $vgpr6
	v_cmpx_lt_i16_e32 45, v19
	s_xor_b32 s20, exec_lo, s20
	s_cbranch_execz .LBB274_1541
; %bb.1530:
	s_mov_b32 s21, -1
	s_mov_b32 s18, exec_lo
                                        ; implicit-def: $vgpr6
	v_cmpx_eq_u16_e32 46, v19
	s_cbranch_execz .LBB274_1540
; %bb.1531:
	flat_load_b32 v4, v[2:3]
	s_mov_b32 s19, exec_lo
                                        ; implicit-def: $vgpr5
	s_wait_loadcnt_dscnt 0x0
	v_lshlrev_b32_e32 v4, 16, v4
	s_delay_alu instid0(VALU_DEP_1) | instskip(SKIP_1) | instid1(VALU_DEP_1)
	v_and_b32_e32 v6, 0x7fffffff, v4
	s_wait_xcnt 0x0
	v_cmpx_gt_u32_e32 0x43f00000, v6
	s_xor_b32 s19, exec_lo, s19
	s_cbranch_execz .LBB274_1537
; %bb.1532:
	s_mov_b32 s21, exec_lo
                                        ; implicit-def: $vgpr5
	v_cmpx_lt_u32_e32 0x3c7fffff, v6
	s_xor_b32 s21, exec_lo, s21
; %bb.1533:
	v_bfe_u32 v5, v4, 20, 1
	s_delay_alu instid0(VALU_DEP_1) | instskip(NEXT) | instid1(VALU_DEP_1)
	v_add3_u32 v5, v4, v5, 0x407ffff
	v_and_b32_e32 v6, 0xff00000, v5
	v_lshrrev_b32_e32 v5, 20, v5
	s_delay_alu instid0(VALU_DEP_2) | instskip(NEXT) | instid1(VALU_DEP_1)
	v_cmp_ne_u32_e64 s0, 0x7f00000, v6
	v_cndmask_b32_e64 v5, 0x7e, v5, s0
; %bb.1534:
	s_and_not1_saveexec_b32 s0, s21
; %bb.1535:
	v_add_f32_e64 v5, 0x46800000, |v4|
; %bb.1536:
	s_or_b32 exec_lo, exec_lo, s0
                                        ; implicit-def: $vgpr6
.LBB274_1537:
	s_and_not1_saveexec_b32 s19, s19
; %bb.1538:
	v_mov_b32_e32 v5, 0x7f
	v_cmp_lt_u32_e64 s0, 0x7f800000, v6
	s_delay_alu instid0(VALU_DEP_1)
	v_cndmask_b32_e64 v5, 0x7e, v5, s0
; %bb.1539:
	s_or_b32 exec_lo, exec_lo, s19
	v_lshrrev_b32_e32 v4, 24, v4
	s_mov_b32 s19, exec_lo
	s_xor_b32 s21, exec_lo, -1
	s_delay_alu instid0(VALU_DEP_1)
	v_and_or_b32 v6, 0x80, v4, v5
.LBB274_1540:
	s_or_b32 exec_lo, exec_lo, s18
	s_delay_alu instid0(SALU_CYCLE_1)
	s_and_b32 s19, s19, exec_lo
	s_and_b32 s18, s21, exec_lo
                                        ; implicit-def: $vgpr19
.LBB274_1541:
	s_and_not1_saveexec_b32 s20, s20
	s_cbranch_execz .LBB274_1553
; %bb.1542:
	s_mov_b32 s22, -1
	s_mov_b32 s23, s19
	s_mov_b32 s21, exec_lo
                                        ; implicit-def: $vgpr6
	v_cmpx_eq_u16_e32 44, v19
	s_cbranch_execz .LBB274_1552
; %bb.1543:
	flat_load_u8 v4, v[2:3]
	s_mov_b32 s22, exec_lo
                                        ; implicit-def: $vgpr6
	s_wait_loadcnt_dscnt 0x0
	v_lshlrev_b32_e32 v5, 23, v4
	v_cmp_ne_u32_e64 s0, 0xff, v4
	s_delay_alu instid0(VALU_DEP_1) | instskip(SKIP_1) | instid1(VALU_DEP_1)
	v_cndmask_b32_e64 v5, 0x7f800001, v5, s0
	v_cmp_ne_u32_e64 s0, 0, v4
	v_cndmask_b32_e64 v4, 0x400000, v5, s0
	s_wait_xcnt 0x0
	s_delay_alu instid0(VALU_DEP_1)
	v_cmpx_gt_u32_e32 0x43f00000, v4
	s_xor_b32 s22, exec_lo, s22
	s_cbranch_execz .LBB274_1549
; %bb.1544:
	s_mov_b32 s23, exec_lo
                                        ; implicit-def: $vgpr6
	v_cmpx_lt_u32_e32 0x3c7fffff, v4
	s_xor_b32 s23, exec_lo, s23
; %bb.1545:
	v_bfe_u32 v5, v4, 20, 1
	s_delay_alu instid0(VALU_DEP_1) | instskip(NEXT) | instid1(VALU_DEP_1)
	v_add3_u32 v4, v4, v5, 0x407ffff
	v_and_b32_e32 v5, 0xff00000, v4
	v_lshrrev_b32_e32 v4, 20, v4
	s_delay_alu instid0(VALU_DEP_2) | instskip(NEXT) | instid1(VALU_DEP_1)
	v_cmp_ne_u32_e64 s0, 0x7f00000, v5
	v_cndmask_b32_e64 v6, 0x7e, v4, s0
                                        ; implicit-def: $vgpr4
; %bb.1546:
	s_and_not1_saveexec_b32 s0, s23
; %bb.1547:
	v_add_f32_e32 v6, 0x46800000, v4
; %bb.1548:
	s_or_b32 exec_lo, exec_lo, s0
                                        ; implicit-def: $vgpr4
.LBB274_1549:
	s_and_not1_saveexec_b32 s22, s22
; %bb.1550:
	v_mov_b32_e32 v5, 0x7f
	v_cmp_lt_u32_e64 s0, 0x7f800000, v4
	s_delay_alu instid0(VALU_DEP_1)
	v_cndmask_b32_e64 v6, 0x7e, v5, s0
; %bb.1551:
	s_or_b32 exec_lo, exec_lo, s22
	s_delay_alu instid0(SALU_CYCLE_1)
	s_or_b32 s23, s19, exec_lo
	s_xor_b32 s22, exec_lo, -1
.LBB274_1552:
	s_or_b32 exec_lo, exec_lo, s21
	s_delay_alu instid0(SALU_CYCLE_1)
	s_and_not1_b32 s0, s19, exec_lo
	s_and_b32 s19, s23, exec_lo
	s_and_not1_b32 s18, s18, exec_lo
	s_and_b32 s21, s22, exec_lo
	s_or_b32 s19, s0, s19
	s_or_b32 s18, s18, s21
.LBB274_1553:
	s_or_b32 exec_lo, exec_lo, s20
	s_delay_alu instid0(SALU_CYCLE_1)
	s_and_b32 s20, s19, exec_lo
	s_and_b32 s19, s18, exec_lo
                                        ; implicit-def: $vgpr19
.LBB274_1554:
	s_and_not1_saveexec_b32 s17, s17
	s_cbranch_execz .LBB274_1566
; %bb.1555:
	s_mov_b32 s21, -1
	s_mov_b32 s22, s20
	s_mov_b32 s18, exec_lo
                                        ; implicit-def: $vgpr6
	v_cmpx_eq_u16_e32 29, v19
	s_cbranch_execz .LBB274_1565
; %bb.1556:
	flat_load_b64 v[4:5], v[2:3]
	s_mov_b32 s21, exec_lo
	s_wait_loadcnt_dscnt 0x0
	v_clz_i32_u32_e32 v6, v5
	s_delay_alu instid0(VALU_DEP_1) | instskip(NEXT) | instid1(VALU_DEP_1)
	v_min_u32_e32 v6, 32, v6
	v_lshlrev_b64_e32 v[4:5], v6, v[4:5]
	s_delay_alu instid0(VALU_DEP_1) | instskip(NEXT) | instid1(VALU_DEP_1)
	v_min_u32_e32 v4, 1, v4
	v_dual_sub_nc_u32 v5, 32, v6 :: v_dual_bitop2_b32 v4, v5, v4 bitop3:0x54
                                        ; implicit-def: $vgpr6
	s_delay_alu instid0(VALU_DEP_1) | instskip(NEXT) | instid1(VALU_DEP_1)
	v_cvt_f32_u32_e32 v4, v4
	v_ldexp_f32 v4, v4, v5
	s_wait_xcnt 0x0
	s_delay_alu instid0(VALU_DEP_1)
	v_cmpx_gt_u32_e32 0x43f00000, v4
	s_xor_b32 s21, exec_lo, s21
	s_cbranch_execz .LBB274_1562
; %bb.1557:
	s_mov_b32 s22, exec_lo
                                        ; implicit-def: $vgpr6
	v_cmpx_lt_u32_e32 0x3c7fffff, v4
	s_xor_b32 s22, exec_lo, s22
; %bb.1558:
	v_bfe_u32 v5, v4, 20, 1
	s_delay_alu instid0(VALU_DEP_1) | instskip(NEXT) | instid1(VALU_DEP_1)
	v_add3_u32 v4, v4, v5, 0x407ffff
	v_and_b32_e32 v5, 0xff00000, v4
	v_lshrrev_b32_e32 v4, 20, v4
	s_delay_alu instid0(VALU_DEP_2) | instskip(NEXT) | instid1(VALU_DEP_1)
	v_cmp_ne_u32_e64 s0, 0x7f00000, v5
	v_cndmask_b32_e64 v6, 0x7e, v4, s0
                                        ; implicit-def: $vgpr4
; %bb.1559:
	s_and_not1_saveexec_b32 s0, s22
; %bb.1560:
	v_add_f32_e32 v6, 0x46800000, v4
; %bb.1561:
	s_or_b32 exec_lo, exec_lo, s0
                                        ; implicit-def: $vgpr4
.LBB274_1562:
	s_and_not1_saveexec_b32 s21, s21
; %bb.1563:
	v_mov_b32_e32 v5, 0x7f
	v_cmp_lt_u32_e64 s0, 0x7f800000, v4
	s_delay_alu instid0(VALU_DEP_1)
	v_cndmask_b32_e64 v6, 0x7e, v5, s0
; %bb.1564:
	s_or_b32 exec_lo, exec_lo, s21
	s_delay_alu instid0(SALU_CYCLE_1)
	s_or_b32 s22, s20, exec_lo
	s_xor_b32 s21, exec_lo, -1
.LBB274_1565:
	s_or_b32 exec_lo, exec_lo, s18
	s_delay_alu instid0(SALU_CYCLE_1)
	s_and_not1_b32 s0, s20, exec_lo
	s_and_b32 s18, s22, exec_lo
	s_and_not1_b32 s19, s19, exec_lo
	s_and_b32 s21, s21, exec_lo
	s_or_b32 s20, s0, s18
	s_or_b32 s19, s19, s21
.LBB274_1566:
	s_or_b32 exec_lo, exec_lo, s17
	s_delay_alu instid0(SALU_CYCLE_1)
	s_and_b32 s18, s20, exec_lo
	s_and_b32 s17, s19, exec_lo
                                        ; implicit-def: $vgpr19
.LBB274_1567:
	s_and_not1_saveexec_b32 s16, s16
	s_cbranch_execz .LBB274_1607
; %bb.1568:
	s_mov_b32 s19, exec_lo
                                        ; implicit-def: $vgpr6
	v_cmpx_lt_i16_e32 26, v19
	s_xor_b32 s19, exec_lo, s19
	s_cbranch_execz .LBB274_1590
; %bb.1569:
	s_mov_b32 s20, exec_lo
                                        ; implicit-def: $vgpr6
	v_cmpx_lt_i16_e32 27, v19
	s_xor_b32 s20, exec_lo, s20
	s_cbranch_execz .LBB274_1579
; %bb.1570:
	flat_load_b32 v4, v[2:3]
	s_mov_b32 s21, exec_lo
                                        ; implicit-def: $vgpr6
	s_wait_loadcnt_dscnt 0x0
	v_cvt_f32_u32_e32 v4, v4
	s_wait_xcnt 0x0
	s_delay_alu instid0(VALU_DEP_1)
	v_cmpx_gt_u32_e32 0x43f00000, v4
	s_xor_b32 s21, exec_lo, s21
	s_cbranch_execz .LBB274_1576
; %bb.1571:
	s_mov_b32 s22, exec_lo
                                        ; implicit-def: $vgpr6
	v_cmpx_lt_u32_e32 0x3c7fffff, v4
	s_xor_b32 s22, exec_lo, s22
; %bb.1572:
	v_bfe_u32 v5, v4, 20, 1
	s_delay_alu instid0(VALU_DEP_1) | instskip(NEXT) | instid1(VALU_DEP_1)
	v_add3_u32 v4, v4, v5, 0x407ffff
	v_and_b32_e32 v5, 0xff00000, v4
	v_lshrrev_b32_e32 v4, 20, v4
	s_delay_alu instid0(VALU_DEP_2) | instskip(NEXT) | instid1(VALU_DEP_1)
	v_cmp_ne_u32_e64 s0, 0x7f00000, v5
	v_cndmask_b32_e64 v6, 0x7e, v4, s0
                                        ; implicit-def: $vgpr4
; %bb.1573:
	s_and_not1_saveexec_b32 s0, s22
; %bb.1574:
	v_add_f32_e32 v6, 0x46800000, v4
; %bb.1575:
	s_or_b32 exec_lo, exec_lo, s0
                                        ; implicit-def: $vgpr4
.LBB274_1576:
	s_and_not1_saveexec_b32 s21, s21
; %bb.1577:
	v_mov_b32_e32 v5, 0x7f
	v_cmp_lt_u32_e64 s0, 0x7f800000, v4
	s_delay_alu instid0(VALU_DEP_1)
	v_cndmask_b32_e64 v6, 0x7e, v5, s0
; %bb.1578:
	s_or_b32 exec_lo, exec_lo, s21
.LBB274_1579:
	s_and_not1_saveexec_b32 s20, s20
	s_cbranch_execz .LBB274_1589
; %bb.1580:
	flat_load_u16 v4, v[2:3]
	s_mov_b32 s21, exec_lo
                                        ; implicit-def: $vgpr6
	s_wait_loadcnt_dscnt 0x0
	v_cvt_f32_u32_e32 v4, v4
	s_wait_xcnt 0x0
	s_delay_alu instid0(VALU_DEP_1)
	v_cmpx_gt_u32_e32 0x43f00000, v4
	s_xor_b32 s21, exec_lo, s21
	s_cbranch_execz .LBB274_1586
; %bb.1581:
	s_mov_b32 s22, exec_lo
                                        ; implicit-def: $vgpr6
	v_cmpx_lt_u32_e32 0x3c7fffff, v4
	s_xor_b32 s22, exec_lo, s22
; %bb.1582:
	v_bfe_u32 v5, v4, 20, 1
	s_delay_alu instid0(VALU_DEP_1) | instskip(NEXT) | instid1(VALU_DEP_1)
	v_add3_u32 v4, v4, v5, 0x407ffff
	v_and_b32_e32 v5, 0xff00000, v4
	v_lshrrev_b32_e32 v4, 20, v4
	s_delay_alu instid0(VALU_DEP_2) | instskip(NEXT) | instid1(VALU_DEP_1)
	v_cmp_ne_u32_e64 s0, 0x7f00000, v5
	v_cndmask_b32_e64 v6, 0x7e, v4, s0
                                        ; implicit-def: $vgpr4
; %bb.1583:
	s_and_not1_saveexec_b32 s0, s22
; %bb.1584:
	v_add_f32_e32 v6, 0x46800000, v4
; %bb.1585:
	s_or_b32 exec_lo, exec_lo, s0
                                        ; implicit-def: $vgpr4
.LBB274_1586:
	s_and_not1_saveexec_b32 s21, s21
; %bb.1587:
	v_mov_b32_e32 v5, 0x7f
	v_cmp_lt_u32_e64 s0, 0x7f800000, v4
	s_delay_alu instid0(VALU_DEP_1)
	v_cndmask_b32_e64 v6, 0x7e, v5, s0
; %bb.1588:
	s_or_b32 exec_lo, exec_lo, s21
.LBB274_1589:
	s_delay_alu instid0(SALU_CYCLE_1)
	s_or_b32 exec_lo, exec_lo, s20
.LBB274_1590:
	s_and_not1_saveexec_b32 s19, s19
	s_cbranch_execz .LBB274_1606
; %bb.1591:
	flat_load_u8 v5, v[2:3]
	s_mov_b32 s20, 0
	s_mov_b32 s21, exec_lo
	s_wait_loadcnt_dscnt 0x0
	v_cmpx_lt_i16_e32 0x7f, v5
	s_xor_b32 s21, exec_lo, s21
	s_cbranch_execz .LBB274_2646
; %bb.1592:
	s_mov_b32 s20, -1
	s_mov_b32 s22, exec_lo
	v_cmpx_eq_u16_e32 0x80, v5
; %bb.1593:
	s_xor_b32 s20, exec_lo, -1
; %bb.1594:
	s_or_b32 exec_lo, exec_lo, s22
	s_delay_alu instid0(SALU_CYCLE_1)
	s_and_b32 s20, s20, exec_lo
	s_or_saveexec_b32 s21, s21
	v_mov_b32_e32 v4, 0x7f800001
	s_xor_b32 exec_lo, exec_lo, s21
	s_cbranch_execnz .LBB274_2647
.LBB274_1595:
	s_or_b32 exec_lo, exec_lo, s21
	s_and_saveexec_b32 s21, s20
	s_cbranch_execz .LBB274_1597
.LBB274_1596:
	v_and_b32_e32 v4, 0xffff, v5
	s_delay_alu instid0(VALU_DEP_1) | instskip(SKIP_1) | instid1(VALU_DEP_2)
	v_and_b32_e32 v6, 7, v4
	v_bfe_u32 v12, v4, 3, 4
	v_clz_i32_u32_e32 v9, v6
	s_delay_alu instid0(VALU_DEP_2) | instskip(NEXT) | instid1(VALU_DEP_2)
	v_cmp_eq_u32_e64 s0, 0, v12
	v_min_u32_e32 v9, 32, v9
	s_delay_alu instid0(VALU_DEP_1) | instskip(NEXT) | instid1(VALU_DEP_1)
	v_subrev_nc_u32_e32 v10, 28, v9
	v_dual_lshlrev_b32 v4, v10, v4 :: v_dual_sub_nc_u32 v9, 29, v9
	s_delay_alu instid0(VALU_DEP_1) | instskip(NEXT) | instid1(VALU_DEP_1)
	v_dual_lshlrev_b32 v5, 24, v5 :: v_dual_bitop2_b32 v4, 7, v4 bitop3:0x40
	v_dual_cndmask_b32 v4, v6, v4, s0 :: v_dual_cndmask_b32 v9, v12, v9, s0
	s_delay_alu instid0(VALU_DEP_2) | instskip(NEXT) | instid1(VALU_DEP_2)
	v_and_b32_e32 v5, 0x80000000, v5
	v_lshlrev_b32_e32 v4, 20, v4
	s_delay_alu instid0(VALU_DEP_3) | instskip(NEXT) | instid1(VALU_DEP_1)
	v_lshl_add_u32 v6, v9, 23, 0x3b800000
	v_or3_b32 v4, v5, v6, v4
.LBB274_1597:
	s_or_b32 exec_lo, exec_lo, s21
	s_delay_alu instid0(VALU_DEP_1) | instskip(SKIP_1) | instid1(VALU_DEP_1)
	v_and_b32_e32 v6, 0x7fffffff, v4
	s_mov_b32 s20, exec_lo
                                        ; implicit-def: $vgpr5
	v_cmpx_gt_u32_e32 0x43f00000, v6
	s_xor_b32 s20, exec_lo, s20
	s_cbranch_execz .LBB274_1603
; %bb.1598:
	s_mov_b32 s21, exec_lo
                                        ; implicit-def: $vgpr5
	v_cmpx_lt_u32_e32 0x3c7fffff, v6
	s_xor_b32 s21, exec_lo, s21
; %bb.1599:
	v_bfe_u32 v5, v4, 20, 1
	s_delay_alu instid0(VALU_DEP_1) | instskip(NEXT) | instid1(VALU_DEP_1)
	v_add3_u32 v5, v4, v5, 0x407ffff
	v_and_b32_e32 v6, 0xff00000, v5
	v_lshrrev_b32_e32 v5, 20, v5
	s_delay_alu instid0(VALU_DEP_2) | instskip(NEXT) | instid1(VALU_DEP_1)
	v_cmp_ne_u32_e64 s0, 0x7f00000, v6
	v_cndmask_b32_e64 v5, 0x7e, v5, s0
; %bb.1600:
	s_and_not1_saveexec_b32 s0, s21
; %bb.1601:
	v_add_f32_e64 v5, 0x46800000, |v4|
; %bb.1602:
	s_or_b32 exec_lo, exec_lo, s0
                                        ; implicit-def: $vgpr6
.LBB274_1603:
	s_and_not1_saveexec_b32 s20, s20
; %bb.1604:
	v_mov_b32_e32 v5, 0x7f
	v_cmp_lt_u32_e64 s0, 0x7f800000, v6
	s_delay_alu instid0(VALU_DEP_1)
	v_cndmask_b32_e64 v5, 0x7e, v5, s0
; %bb.1605:
	s_or_b32 exec_lo, exec_lo, s20
	v_lshrrev_b32_e32 v4, 24, v4
	s_delay_alu instid0(VALU_DEP_1)
	v_and_or_b32 v6, 0x80, v4, v5
.LBB274_1606:
	s_or_b32 exec_lo, exec_lo, s19
	s_delay_alu instid0(SALU_CYCLE_1)
	s_or_b32 s18, s18, exec_lo
.LBB274_1607:
	s_or_b32 exec_lo, exec_lo, s16
	s_delay_alu instid0(SALU_CYCLE_1)
	s_and_b32 s16, s18, exec_lo
	s_and_b32 s17, s17, exec_lo
                                        ; implicit-def: $vgpr19
	s_and_not1_saveexec_b32 s13, s13
	s_cbranch_execnz .LBB274_2488
.LBB274_1608:
	s_or_b32 exec_lo, exec_lo, s13
	s_mov_b32 s13, s11
	s_and_saveexec_b32 s0, s17
	s_cbranch_execnz .LBB274_2537
.LBB274_1609:
	s_or_b32 exec_lo, exec_lo, s0
	s_and_saveexec_b32 s17, s2
	s_cbranch_execz .LBB274_1619
.LBB274_1610:
	flat_load_u8 v2, v[2:3]
	s_mov_b32 s2, exec_lo
                                        ; implicit-def: $vgpr6
	s_wait_loadcnt_dscnt 0x0
	v_cmp_ne_u16_e64 s0, 0, v2
	s_wait_xcnt 0x0
	s_delay_alu instid0(VALU_DEP_1) | instskip(NEXT) | instid1(VALU_DEP_1)
	v_cndmask_b32_e64 v2, 0, 1.0, s0
	v_cmpx_gt_u32_e32 0x43f00000, v2
	s_xor_b32 s2, exec_lo, s2
	s_cbranch_execz .LBB274_1616
; %bb.1611:
	s_mov_b32 s18, exec_lo
                                        ; implicit-def: $vgpr6
	v_cmpx_lt_u32_e32 0x3c7fffff, v2
	s_xor_b32 s18, exec_lo, s18
; %bb.1612:
	v_bfe_u32 v3, v2, 20, 1
	s_delay_alu instid0(VALU_DEP_1) | instskip(NEXT) | instid1(VALU_DEP_1)
	v_add3_u32 v2, v2, v3, 0x407ffff
	v_and_b32_e32 v3, 0xff00000, v2
	v_lshrrev_b32_e32 v2, 20, v2
	s_delay_alu instid0(VALU_DEP_2) | instskip(NEXT) | instid1(VALU_DEP_1)
	v_cmp_ne_u32_e64 s0, 0x7f00000, v3
	v_cndmask_b32_e64 v6, 0x7e, v2, s0
                                        ; implicit-def: $vgpr2
; %bb.1613:
	s_and_not1_saveexec_b32 s0, s18
; %bb.1614:
	v_add_f32_e32 v6, 0x46800000, v2
; %bb.1615:
	s_or_b32 exec_lo, exec_lo, s0
                                        ; implicit-def: $vgpr2
.LBB274_1616:
	s_and_not1_saveexec_b32 s2, s2
; %bb.1617:
	v_mov_b32_e32 v3, 0x7f
	v_cmp_lt_u32_e64 s0, 0x7f800000, v2
	s_delay_alu instid0(VALU_DEP_1)
	v_cndmask_b32_e64 v6, 0x7e, v3, s0
; %bb.1618:
	s_or_b32 exec_lo, exec_lo, s2
	s_delay_alu instid0(SALU_CYCLE_1)
	s_or_b32 s16, s16, exec_lo
.LBB274_1619:
	s_or_b32 exec_lo, exec_lo, s17
	s_delay_alu instid0(SALU_CYCLE_1) | instskip(SKIP_1) | instid1(SALU_CYCLE_1)
	s_and_not1_b32 s0, s11, exec_lo
	s_and_b32 s2, s13, exec_lo
                                        ; implicit-def: $vgpr19
                                        ; implicit-def: $vgpr2_vgpr3
	s_or_b32 s13, s0, s2
	s_and_b32 s2, s16, exec_lo
.LBB274_1620:
	s_and_not1_saveexec_b32 s1, s1
	s_cbranch_execz .LBB274_1750
; %bb.1621:
	s_mov_b32 s16, exec_lo
                                        ; implicit-def: $vgpr6
	v_cmpx_lt_i16_e32 4, v19
	s_xor_b32 s16, exec_lo, s16
	s_cbranch_execz .LBB274_1691
; %bb.1622:
	s_mov_b32 s17, exec_lo
                                        ; implicit-def: $vgpr6
	v_cmpx_lt_i16_e32 7, v19
	s_xor_b32 s17, exec_lo, s17
	;; [unrolled: 6-line block ×4, first 2 shown]
	s_cbranch_execz .LBB274_1634
; %bb.1625:
	flat_load_b64 v[2:3], v[2:3]
	s_mov_b32 s20, exec_lo
	s_wait_loadcnt_dscnt 0x0
	v_cvt_f32_f64_e32 v2, v[2:3]
                                        ; implicit-def: $vgpr3
	s_delay_alu instid0(VALU_DEP_1) | instskip(NEXT) | instid1(VALU_DEP_1)
	v_and_b32_e32 v4, 0x7fffffff, v2
	v_cmpx_gt_u32_e32 0x43f00000, v4
	s_xor_b32 s20, exec_lo, s20
	s_cbranch_execz .LBB274_1631
; %bb.1626:
	s_mov_b32 s21, exec_lo
                                        ; implicit-def: $vgpr3
	v_cmpx_lt_u32_e32 0x3c7fffff, v4
	s_xor_b32 s21, exec_lo, s21
; %bb.1627:
	v_bfe_u32 v3, v2, 20, 1
	s_delay_alu instid0(VALU_DEP_1) | instskip(NEXT) | instid1(VALU_DEP_1)
	v_add3_u32 v3, v2, v3, 0x407ffff
	v_and_b32_e32 v4, 0xff00000, v3
	v_lshrrev_b32_e32 v3, 20, v3
	s_delay_alu instid0(VALU_DEP_2) | instskip(NEXT) | instid1(VALU_DEP_1)
	v_cmp_ne_u32_e64 s0, 0x7f00000, v4
	v_cndmask_b32_e64 v3, 0x7e, v3, s0
; %bb.1628:
	s_and_not1_saveexec_b32 s0, s21
; %bb.1629:
	v_add_f32_e64 v3, 0x46800000, |v2|
; %bb.1630:
	s_or_b32 exec_lo, exec_lo, s0
                                        ; implicit-def: $vgpr4
.LBB274_1631:
	s_and_not1_saveexec_b32 s20, s20
; %bb.1632:
	v_mov_b32_e32 v3, 0x7f
	v_cmp_lt_u32_e64 s0, 0x7f800000, v4
	s_delay_alu instid0(VALU_DEP_1)
	v_cndmask_b32_e64 v3, 0x7e, v3, s0
; %bb.1633:
	s_or_b32 exec_lo, exec_lo, s20
	v_lshrrev_b32_e32 v2, 24, v2
	s_delay_alu instid0(VALU_DEP_1)
	v_and_or_b32 v6, 0x80, v2, v3
                                        ; implicit-def: $vgpr2_vgpr3
.LBB274_1634:
	s_and_not1_saveexec_b32 s19, s19
	s_cbranch_execz .LBB274_1644
; %bb.1635:
	flat_load_b32 v2, v[2:3]
	s_mov_b32 s20, exec_lo
                                        ; implicit-def: $vgpr3
	s_wait_loadcnt_dscnt 0x0
	v_and_b32_e32 v4, 0x7fffffff, v2
	s_wait_xcnt 0x0
	s_delay_alu instid0(VALU_DEP_1)
	v_cmpx_gt_u32_e32 0x43f00000, v4
	s_xor_b32 s20, exec_lo, s20
	s_cbranch_execz .LBB274_1641
; %bb.1636:
	s_mov_b32 s21, exec_lo
                                        ; implicit-def: $vgpr3
	v_cmpx_lt_u32_e32 0x3c7fffff, v4
	s_xor_b32 s21, exec_lo, s21
; %bb.1637:
	v_bfe_u32 v3, v2, 20, 1
	s_delay_alu instid0(VALU_DEP_1) | instskip(NEXT) | instid1(VALU_DEP_1)
	v_add3_u32 v3, v2, v3, 0x407ffff
	v_and_b32_e32 v4, 0xff00000, v3
	v_lshrrev_b32_e32 v3, 20, v3
	s_delay_alu instid0(VALU_DEP_2) | instskip(NEXT) | instid1(VALU_DEP_1)
	v_cmp_ne_u32_e64 s0, 0x7f00000, v4
	v_cndmask_b32_e64 v3, 0x7e, v3, s0
; %bb.1638:
	s_and_not1_saveexec_b32 s0, s21
; %bb.1639:
	v_add_f32_e64 v3, 0x46800000, |v2|
; %bb.1640:
	s_or_b32 exec_lo, exec_lo, s0
                                        ; implicit-def: $vgpr4
.LBB274_1641:
	s_and_not1_saveexec_b32 s20, s20
; %bb.1642:
	v_mov_b32_e32 v3, 0x7f
	v_cmp_lt_u32_e64 s0, 0x7f800000, v4
	s_delay_alu instid0(VALU_DEP_1)
	v_cndmask_b32_e64 v3, 0x7e, v3, s0
; %bb.1643:
	s_or_b32 exec_lo, exec_lo, s20
	v_lshrrev_b32_e32 v2, 24, v2
	s_delay_alu instid0(VALU_DEP_1)
	v_and_or_b32 v6, 0x80, v2, v3
.LBB274_1644:
	s_or_b32 exec_lo, exec_lo, s19
                                        ; implicit-def: $vgpr2_vgpr3
.LBB274_1645:
	s_and_not1_saveexec_b32 s18, s18
	s_cbranch_execz .LBB274_1655
; %bb.1646:
	flat_load_b32 v2, v[2:3]
	s_mov_b32 s19, exec_lo
                                        ; implicit-def: $vgpr3
	s_wait_loadcnt_dscnt 0x0
	v_cvt_f32_f16_e32 v2, v2
	s_delay_alu instid0(VALU_DEP_1) | instskip(NEXT) | instid1(VALU_DEP_1)
	v_and_b32_e32 v4, 0x7fffffff, v2
	v_cmpx_gt_u32_e32 0x43f00000, v4
	s_xor_b32 s19, exec_lo, s19
	s_cbranch_execz .LBB274_1652
; %bb.1647:
	s_mov_b32 s20, exec_lo
                                        ; implicit-def: $vgpr3
	v_cmpx_lt_u32_e32 0x3c7fffff, v4
	s_xor_b32 s20, exec_lo, s20
; %bb.1648:
	v_bfe_u32 v3, v2, 20, 1
	s_delay_alu instid0(VALU_DEP_1) | instskip(NEXT) | instid1(VALU_DEP_1)
	v_add3_u32 v3, v2, v3, 0x407ffff
	v_and_b32_e32 v4, 0xff00000, v3
	v_lshrrev_b32_e32 v3, 20, v3
	s_delay_alu instid0(VALU_DEP_2) | instskip(NEXT) | instid1(VALU_DEP_1)
	v_cmp_ne_u32_e64 s0, 0x7f00000, v4
	v_cndmask_b32_e64 v3, 0x7e, v3, s0
; %bb.1649:
	s_and_not1_saveexec_b32 s0, s20
; %bb.1650:
	v_add_f32_e64 v3, 0x46800000, |v2|
; %bb.1651:
	s_or_b32 exec_lo, exec_lo, s0
                                        ; implicit-def: $vgpr4
.LBB274_1652:
	s_and_not1_saveexec_b32 s19, s19
; %bb.1653:
	v_mov_b32_e32 v3, 0x7f
	v_cmp_lt_u32_e64 s0, 0x7f800000, v4
	s_delay_alu instid0(VALU_DEP_1)
	v_cndmask_b32_e64 v3, 0x7e, v3, s0
; %bb.1654:
	s_or_b32 exec_lo, exec_lo, s19
	v_lshrrev_b32_e32 v2, 24, v2
	s_delay_alu instid0(VALU_DEP_1)
	v_and_or_b32 v6, 0x80, v2, v3
.LBB274_1655:
	s_or_b32 exec_lo, exec_lo, s18
                                        ; implicit-def: $vgpr19
                                        ; implicit-def: $vgpr2_vgpr3
.LBB274_1656:
	s_and_not1_saveexec_b32 s17, s17
	s_cbranch_execz .LBB274_1690
; %bb.1657:
	s_mov_b32 s18, exec_lo
                                        ; implicit-def: $vgpr6
	v_cmpx_lt_i16_e32 5, v19
	s_xor_b32 s18, exec_lo, s18
	s_cbranch_execz .LBB274_1679
; %bb.1658:
	s_mov_b32 s19, exec_lo
                                        ; implicit-def: $vgpr6
	v_cmpx_lt_i16_e32 6, v19
	s_xor_b32 s19, exec_lo, s19
	s_cbranch_execz .LBB274_1668
; %bb.1659:
	flat_load_b64 v[2:3], v[2:3]
	s_mov_b32 s20, exec_lo
	s_wait_loadcnt_dscnt 0x0
	v_cvt_f32_f64_e32 v2, v[2:3]
                                        ; implicit-def: $vgpr3
	s_delay_alu instid0(VALU_DEP_1) | instskip(NEXT) | instid1(VALU_DEP_1)
	v_and_b32_e32 v4, 0x7fffffff, v2
	v_cmpx_gt_u32_e32 0x43f00000, v4
	s_xor_b32 s20, exec_lo, s20
	s_cbranch_execz .LBB274_1665
; %bb.1660:
	s_mov_b32 s21, exec_lo
                                        ; implicit-def: $vgpr3
	v_cmpx_lt_u32_e32 0x3c7fffff, v4
	s_xor_b32 s21, exec_lo, s21
; %bb.1661:
	v_bfe_u32 v3, v2, 20, 1
	s_delay_alu instid0(VALU_DEP_1) | instskip(NEXT) | instid1(VALU_DEP_1)
	v_add3_u32 v3, v2, v3, 0x407ffff
	v_and_b32_e32 v4, 0xff00000, v3
	v_lshrrev_b32_e32 v3, 20, v3
	s_delay_alu instid0(VALU_DEP_2) | instskip(NEXT) | instid1(VALU_DEP_1)
	v_cmp_ne_u32_e64 s0, 0x7f00000, v4
	v_cndmask_b32_e64 v3, 0x7e, v3, s0
; %bb.1662:
	s_and_not1_saveexec_b32 s0, s21
; %bb.1663:
	v_add_f32_e64 v3, 0x46800000, |v2|
; %bb.1664:
	s_or_b32 exec_lo, exec_lo, s0
                                        ; implicit-def: $vgpr4
.LBB274_1665:
	s_and_not1_saveexec_b32 s20, s20
; %bb.1666:
	v_mov_b32_e32 v3, 0x7f
	v_cmp_lt_u32_e64 s0, 0x7f800000, v4
	s_delay_alu instid0(VALU_DEP_1)
	v_cndmask_b32_e64 v3, 0x7e, v3, s0
; %bb.1667:
	s_or_b32 exec_lo, exec_lo, s20
	v_lshrrev_b32_e32 v2, 24, v2
	s_delay_alu instid0(VALU_DEP_1)
	v_and_or_b32 v6, 0x80, v2, v3
                                        ; implicit-def: $vgpr2_vgpr3
.LBB274_1668:
	s_and_not1_saveexec_b32 s19, s19
	s_cbranch_execz .LBB274_1678
; %bb.1669:
	flat_load_b32 v2, v[2:3]
	s_mov_b32 s20, exec_lo
                                        ; implicit-def: $vgpr3
	s_wait_loadcnt_dscnt 0x0
	v_and_b32_e32 v4, 0x7fffffff, v2
	s_wait_xcnt 0x0
	s_delay_alu instid0(VALU_DEP_1)
	v_cmpx_gt_u32_e32 0x43f00000, v4
	s_xor_b32 s20, exec_lo, s20
	s_cbranch_execz .LBB274_1675
; %bb.1670:
	s_mov_b32 s21, exec_lo
                                        ; implicit-def: $vgpr3
	v_cmpx_lt_u32_e32 0x3c7fffff, v4
	s_xor_b32 s21, exec_lo, s21
; %bb.1671:
	v_bfe_u32 v3, v2, 20, 1
	s_delay_alu instid0(VALU_DEP_1) | instskip(NEXT) | instid1(VALU_DEP_1)
	v_add3_u32 v3, v2, v3, 0x407ffff
	v_and_b32_e32 v4, 0xff00000, v3
	v_lshrrev_b32_e32 v3, 20, v3
	s_delay_alu instid0(VALU_DEP_2) | instskip(NEXT) | instid1(VALU_DEP_1)
	v_cmp_ne_u32_e64 s0, 0x7f00000, v4
	v_cndmask_b32_e64 v3, 0x7e, v3, s0
; %bb.1672:
	s_and_not1_saveexec_b32 s0, s21
; %bb.1673:
	v_add_f32_e64 v3, 0x46800000, |v2|
; %bb.1674:
	s_or_b32 exec_lo, exec_lo, s0
                                        ; implicit-def: $vgpr4
.LBB274_1675:
	s_and_not1_saveexec_b32 s20, s20
; %bb.1676:
	v_mov_b32_e32 v3, 0x7f
	v_cmp_lt_u32_e64 s0, 0x7f800000, v4
	s_delay_alu instid0(VALU_DEP_1)
	v_cndmask_b32_e64 v3, 0x7e, v3, s0
; %bb.1677:
	s_or_b32 exec_lo, exec_lo, s20
	v_lshrrev_b32_e32 v2, 24, v2
	s_delay_alu instid0(VALU_DEP_1)
	v_and_or_b32 v6, 0x80, v2, v3
.LBB274_1678:
	s_or_b32 exec_lo, exec_lo, s19
                                        ; implicit-def: $vgpr2_vgpr3
.LBB274_1679:
	s_and_not1_saveexec_b32 s18, s18
	s_cbranch_execz .LBB274_1689
; %bb.1680:
	flat_load_u16 v2, v[2:3]
	s_mov_b32 s19, exec_lo
                                        ; implicit-def: $vgpr3
	s_wait_loadcnt_dscnt 0x0
	v_cvt_f32_f16_e32 v2, v2
	s_delay_alu instid0(VALU_DEP_1) | instskip(NEXT) | instid1(VALU_DEP_1)
	v_and_b32_e32 v4, 0x7fffffff, v2
	v_cmpx_gt_u32_e32 0x43f00000, v4
	s_xor_b32 s19, exec_lo, s19
	s_cbranch_execz .LBB274_1686
; %bb.1681:
	s_mov_b32 s20, exec_lo
                                        ; implicit-def: $vgpr3
	v_cmpx_lt_u32_e32 0x3c7fffff, v4
	s_xor_b32 s20, exec_lo, s20
; %bb.1682:
	v_bfe_u32 v3, v2, 20, 1
	s_delay_alu instid0(VALU_DEP_1) | instskip(NEXT) | instid1(VALU_DEP_1)
	v_add3_u32 v3, v2, v3, 0x407ffff
	v_and_b32_e32 v4, 0xff00000, v3
	v_lshrrev_b32_e32 v3, 20, v3
	s_delay_alu instid0(VALU_DEP_2) | instskip(NEXT) | instid1(VALU_DEP_1)
	v_cmp_ne_u32_e64 s0, 0x7f00000, v4
	v_cndmask_b32_e64 v3, 0x7e, v3, s0
; %bb.1683:
	s_and_not1_saveexec_b32 s0, s20
; %bb.1684:
	v_add_f32_e64 v3, 0x46800000, |v2|
; %bb.1685:
	s_or_b32 exec_lo, exec_lo, s0
                                        ; implicit-def: $vgpr4
.LBB274_1686:
	s_and_not1_saveexec_b32 s19, s19
; %bb.1687:
	v_mov_b32_e32 v3, 0x7f
	v_cmp_lt_u32_e64 s0, 0x7f800000, v4
	s_delay_alu instid0(VALU_DEP_1)
	v_cndmask_b32_e64 v3, 0x7e, v3, s0
; %bb.1688:
	s_or_b32 exec_lo, exec_lo, s19
	v_lshrrev_b32_e32 v2, 24, v2
	s_delay_alu instid0(VALU_DEP_1)
	v_and_or_b32 v6, 0x80, v2, v3
.LBB274_1689:
	s_or_b32 exec_lo, exec_lo, s18
.LBB274_1690:
	s_delay_alu instid0(SALU_CYCLE_1)
	s_or_b32 exec_lo, exec_lo, s17
                                        ; implicit-def: $vgpr19
                                        ; implicit-def: $vgpr2_vgpr3
.LBB274_1691:
	s_and_not1_saveexec_b32 s16, s16
	s_cbranch_execz .LBB274_1749
; %bb.1692:
	s_mov_b32 s17, exec_lo
                                        ; implicit-def: $vgpr6
	v_cmpx_lt_i16_e32 1, v19
	s_xor_b32 s17, exec_lo, s17
	s_cbranch_execz .LBB274_1726
; %bb.1693:
	s_mov_b32 s18, exec_lo
                                        ; implicit-def: $vgpr6
	v_cmpx_lt_i16_e32 2, v19
	s_xor_b32 s18, exec_lo, s18
	;; [unrolled: 6-line block ×3, first 2 shown]
	s_cbranch_execz .LBB274_1704
; %bb.1695:
	flat_load_b64 v[2:3], v[2:3]
	s_mov_b32 s20, exec_lo
	s_wait_loadcnt_dscnt 0x0
	v_xor_b32_e32 v4, v2, v3
	v_cls_i32_e32 v5, v3
	s_delay_alu instid0(VALU_DEP_2) | instskip(NEXT) | instid1(VALU_DEP_1)
	v_ashrrev_i32_e32 v4, 31, v4
	v_add_nc_u32_e32 v4, 32, v4
	s_delay_alu instid0(VALU_DEP_1) | instskip(SKIP_1) | instid1(VALU_DEP_1)
	v_add_min_u32_e64 v4, v5, -1, v4
	s_wait_xcnt 0x0
	v_lshlrev_b64_e32 v[2:3], v4, v[2:3]
	s_delay_alu instid0(VALU_DEP_1) | instskip(NEXT) | instid1(VALU_DEP_1)
	v_min_u32_e32 v2, 1, v2
	v_dual_sub_nc_u32 v3, 32, v4 :: v_dual_bitop2_b32 v2, v3, v2 bitop3:0x54
	s_delay_alu instid0(VALU_DEP_1) | instskip(NEXT) | instid1(VALU_DEP_1)
	v_cvt_f32_i32_e32 v2, v2
	v_ldexp_f32 v2, v2, v3
                                        ; implicit-def: $vgpr3
	s_delay_alu instid0(VALU_DEP_1) | instskip(NEXT) | instid1(VALU_DEP_1)
	v_and_b32_e32 v4, 0x7fffffff, v2
	v_cmpx_gt_u32_e32 0x43f00000, v4
	s_xor_b32 s20, exec_lo, s20
	s_cbranch_execz .LBB274_1701
; %bb.1696:
	s_mov_b32 s21, exec_lo
                                        ; implicit-def: $vgpr3
	v_cmpx_lt_u32_e32 0x3c7fffff, v4
	s_xor_b32 s21, exec_lo, s21
; %bb.1697:
	v_bfe_u32 v3, v2, 20, 1
	s_delay_alu instid0(VALU_DEP_1) | instskip(NEXT) | instid1(VALU_DEP_1)
	v_add3_u32 v3, v2, v3, 0x407ffff
	v_and_b32_e32 v4, 0xff00000, v3
	v_lshrrev_b32_e32 v3, 20, v3
	s_delay_alu instid0(VALU_DEP_2) | instskip(NEXT) | instid1(VALU_DEP_1)
	v_cmp_ne_u32_e64 s0, 0x7f00000, v4
	v_cndmask_b32_e64 v3, 0x7e, v3, s0
; %bb.1698:
	s_and_not1_saveexec_b32 s0, s21
; %bb.1699:
	v_add_f32_e64 v3, 0x46800000, |v2|
; %bb.1700:
	s_or_b32 exec_lo, exec_lo, s0
                                        ; implicit-def: $vgpr4
.LBB274_1701:
	s_and_not1_saveexec_b32 s20, s20
; %bb.1702:
	v_mov_b32_e32 v3, 0x7f
	v_cmp_lt_u32_e64 s0, 0x7f800000, v4
	s_delay_alu instid0(VALU_DEP_1)
	v_cndmask_b32_e64 v3, 0x7e, v3, s0
; %bb.1703:
	s_or_b32 exec_lo, exec_lo, s20
	v_lshrrev_b32_e32 v2, 24, v2
	s_delay_alu instid0(VALU_DEP_1)
	v_and_or_b32 v6, 0x80, v2, v3
                                        ; implicit-def: $vgpr2_vgpr3
.LBB274_1704:
	s_and_not1_saveexec_b32 s19, s19
	s_cbranch_execz .LBB274_1714
; %bb.1705:
	flat_load_b32 v2, v[2:3]
	s_mov_b32 s20, exec_lo
                                        ; implicit-def: $vgpr3
	s_wait_loadcnt_dscnt 0x0
	v_cvt_f32_i32_e32 v2, v2
	s_delay_alu instid0(VALU_DEP_1) | instskip(NEXT) | instid1(VALU_DEP_1)
	v_and_b32_e32 v4, 0x7fffffff, v2
	v_cmpx_gt_u32_e32 0x43f00000, v4
	s_xor_b32 s20, exec_lo, s20
	s_cbranch_execz .LBB274_1711
; %bb.1706:
	s_mov_b32 s21, exec_lo
                                        ; implicit-def: $vgpr3
	v_cmpx_lt_u32_e32 0x3c7fffff, v4
	s_xor_b32 s21, exec_lo, s21
; %bb.1707:
	v_bfe_u32 v3, v2, 20, 1
	s_delay_alu instid0(VALU_DEP_1) | instskip(NEXT) | instid1(VALU_DEP_1)
	v_add3_u32 v3, v2, v3, 0x407ffff
	v_and_b32_e32 v4, 0xff00000, v3
	v_lshrrev_b32_e32 v3, 20, v3
	s_delay_alu instid0(VALU_DEP_2) | instskip(NEXT) | instid1(VALU_DEP_1)
	v_cmp_ne_u32_e64 s0, 0x7f00000, v4
	v_cndmask_b32_e64 v3, 0x7e, v3, s0
; %bb.1708:
	s_and_not1_saveexec_b32 s0, s21
; %bb.1709:
	v_add_f32_e64 v3, 0x46800000, |v2|
; %bb.1710:
	s_or_b32 exec_lo, exec_lo, s0
                                        ; implicit-def: $vgpr4
.LBB274_1711:
	s_and_not1_saveexec_b32 s20, s20
; %bb.1712:
	v_mov_b32_e32 v3, 0x7f
	v_cmp_lt_u32_e64 s0, 0x7f800000, v4
	s_delay_alu instid0(VALU_DEP_1)
	v_cndmask_b32_e64 v3, 0x7e, v3, s0
; %bb.1713:
	s_or_b32 exec_lo, exec_lo, s20
	v_lshrrev_b32_e32 v2, 24, v2
	s_delay_alu instid0(VALU_DEP_1)
	v_and_or_b32 v6, 0x80, v2, v3
.LBB274_1714:
	s_or_b32 exec_lo, exec_lo, s19
                                        ; implicit-def: $vgpr2_vgpr3
.LBB274_1715:
	s_and_not1_saveexec_b32 s18, s18
	s_cbranch_execz .LBB274_1725
; %bb.1716:
	flat_load_i16 v2, v[2:3]
	s_mov_b32 s19, exec_lo
                                        ; implicit-def: $vgpr3
	s_wait_loadcnt_dscnt 0x0
	v_cvt_f32_i32_e32 v2, v2
	s_delay_alu instid0(VALU_DEP_1) | instskip(NEXT) | instid1(VALU_DEP_1)
	v_and_b32_e32 v4, 0x7fffffff, v2
	v_cmpx_gt_u32_e32 0x43f00000, v4
	s_xor_b32 s19, exec_lo, s19
	s_cbranch_execz .LBB274_1722
; %bb.1717:
	s_mov_b32 s20, exec_lo
                                        ; implicit-def: $vgpr3
	v_cmpx_lt_u32_e32 0x3c7fffff, v4
	s_xor_b32 s20, exec_lo, s20
; %bb.1718:
	v_bfe_u32 v3, v2, 20, 1
	s_delay_alu instid0(VALU_DEP_1) | instskip(NEXT) | instid1(VALU_DEP_1)
	v_add3_u32 v3, v2, v3, 0x407ffff
	v_and_b32_e32 v4, 0xff00000, v3
	v_lshrrev_b32_e32 v3, 20, v3
	s_delay_alu instid0(VALU_DEP_2) | instskip(NEXT) | instid1(VALU_DEP_1)
	v_cmp_ne_u32_e64 s0, 0x7f00000, v4
	v_cndmask_b32_e64 v3, 0x7e, v3, s0
; %bb.1719:
	s_and_not1_saveexec_b32 s0, s20
; %bb.1720:
	v_add_f32_e64 v3, 0x46800000, |v2|
; %bb.1721:
	s_or_b32 exec_lo, exec_lo, s0
                                        ; implicit-def: $vgpr4
.LBB274_1722:
	s_and_not1_saveexec_b32 s19, s19
; %bb.1723:
	v_mov_b32_e32 v3, 0x7f
	v_cmp_lt_u32_e64 s0, 0x7f800000, v4
	s_delay_alu instid0(VALU_DEP_1)
	v_cndmask_b32_e64 v3, 0x7e, v3, s0
; %bb.1724:
	s_or_b32 exec_lo, exec_lo, s19
	v_lshrrev_b32_e32 v2, 24, v2
	s_delay_alu instid0(VALU_DEP_1)
	v_and_or_b32 v6, 0x80, v2, v3
.LBB274_1725:
	s_or_b32 exec_lo, exec_lo, s18
                                        ; implicit-def: $vgpr19
                                        ; implicit-def: $vgpr2_vgpr3
.LBB274_1726:
	s_and_not1_saveexec_b32 s17, s17
	s_cbranch_execz .LBB274_1748
; %bb.1727:
	s_mov_b32 s18, exec_lo
                                        ; implicit-def: $vgpr6
	v_cmpx_lt_i16_e32 0, v19
	s_xor_b32 s18, exec_lo, s18
	s_cbranch_execz .LBB274_1737
; %bb.1728:
	flat_load_i8 v2, v[2:3]
	s_mov_b32 s19, exec_lo
                                        ; implicit-def: $vgpr3
	s_wait_loadcnt_dscnt 0x0
	v_cvt_f32_i32_e32 v2, v2
	s_delay_alu instid0(VALU_DEP_1) | instskip(NEXT) | instid1(VALU_DEP_1)
	v_and_b32_e32 v4, 0x7fffffff, v2
	v_cmpx_gt_u32_e32 0x43f00000, v4
	s_xor_b32 s19, exec_lo, s19
	s_cbranch_execz .LBB274_1734
; %bb.1729:
	s_mov_b32 s20, exec_lo
                                        ; implicit-def: $vgpr3
	v_cmpx_lt_u32_e32 0x3c7fffff, v4
	s_xor_b32 s20, exec_lo, s20
; %bb.1730:
	v_bfe_u32 v3, v2, 20, 1
	s_delay_alu instid0(VALU_DEP_1) | instskip(NEXT) | instid1(VALU_DEP_1)
	v_add3_u32 v3, v2, v3, 0x407ffff
	v_and_b32_e32 v4, 0xff00000, v3
	v_lshrrev_b32_e32 v3, 20, v3
	s_delay_alu instid0(VALU_DEP_2) | instskip(NEXT) | instid1(VALU_DEP_1)
	v_cmp_ne_u32_e64 s0, 0x7f00000, v4
	v_cndmask_b32_e64 v3, 0x7e, v3, s0
; %bb.1731:
	s_and_not1_saveexec_b32 s0, s20
; %bb.1732:
	v_add_f32_e64 v3, 0x46800000, |v2|
; %bb.1733:
	s_or_b32 exec_lo, exec_lo, s0
                                        ; implicit-def: $vgpr4
.LBB274_1734:
	s_and_not1_saveexec_b32 s19, s19
; %bb.1735:
	v_mov_b32_e32 v3, 0x7f
	v_cmp_lt_u32_e64 s0, 0x7f800000, v4
	s_delay_alu instid0(VALU_DEP_1)
	v_cndmask_b32_e64 v3, 0x7e, v3, s0
; %bb.1736:
	s_or_b32 exec_lo, exec_lo, s19
	v_lshrrev_b32_e32 v2, 24, v2
	s_delay_alu instid0(VALU_DEP_1)
	v_and_or_b32 v6, 0x80, v2, v3
                                        ; implicit-def: $vgpr2_vgpr3
.LBB274_1737:
	s_and_not1_saveexec_b32 s18, s18
	s_cbranch_execz .LBB274_1747
; %bb.1738:
	flat_load_u8 v2, v[2:3]
	s_mov_b32 s19, exec_lo
                                        ; implicit-def: $vgpr6
	s_wait_loadcnt_dscnt 0x0
	v_cvt_f32_ubyte0_e32 v2, v2
	s_delay_alu instid0(VALU_DEP_1)
	v_cmpx_gt_u32_e32 0x43f00000, v2
	s_xor_b32 s19, exec_lo, s19
	s_cbranch_execz .LBB274_1744
; %bb.1739:
	s_mov_b32 s20, exec_lo
                                        ; implicit-def: $vgpr6
	v_cmpx_lt_u32_e32 0x3c7fffff, v2
	s_xor_b32 s20, exec_lo, s20
; %bb.1740:
	v_bfe_u32 v3, v2, 20, 1
	s_delay_alu instid0(VALU_DEP_1) | instskip(NEXT) | instid1(VALU_DEP_1)
	v_add3_u32 v2, v2, v3, 0x407ffff
	v_and_b32_e32 v3, 0xff00000, v2
	v_lshrrev_b32_e32 v2, 20, v2
	s_delay_alu instid0(VALU_DEP_2) | instskip(NEXT) | instid1(VALU_DEP_1)
	v_cmp_ne_u32_e64 s0, 0x7f00000, v3
	v_cndmask_b32_e64 v6, 0x7e, v2, s0
                                        ; implicit-def: $vgpr2
; %bb.1741:
	s_and_not1_saveexec_b32 s0, s20
; %bb.1742:
	v_add_f32_e32 v6, 0x46800000, v2
; %bb.1743:
	s_or_b32 exec_lo, exec_lo, s0
                                        ; implicit-def: $vgpr2
.LBB274_1744:
	s_and_not1_saveexec_b32 s19, s19
; %bb.1745:
	v_mov_b32_e32 v3, 0x7f
	v_cmp_lt_u32_e64 s0, 0x7f800000, v2
	s_delay_alu instid0(VALU_DEP_1)
	v_cndmask_b32_e64 v6, 0x7e, v3, s0
; %bb.1746:
	s_or_b32 exec_lo, exec_lo, s19
.LBB274_1747:
	s_delay_alu instid0(SALU_CYCLE_1)
	s_or_b32 exec_lo, exec_lo, s18
.LBB274_1748:
	s_delay_alu instid0(SALU_CYCLE_1)
	s_or_b32 exec_lo, exec_lo, s17
.LBB274_1749:
	s_delay_alu instid0(SALU_CYCLE_1) | instskip(NEXT) | instid1(SALU_CYCLE_1)
	s_or_b32 exec_lo, exec_lo, s16
	s_or_b32 s2, s2, exec_lo
.LBB274_1750:
	s_or_b32 exec_lo, exec_lo, s1
	s_mov_b32 s0, 0
	s_mov_b32 s18, 0
                                        ; implicit-def: $sgpr1
                                        ; implicit-def: $vgpr12_vgpr13
                                        ; implicit-def: $vgpr9
	s_and_saveexec_b32 s16, s2
	s_cbranch_execz .LBB274_2046
; %bb.1751:
	scratch_load_u8 v9, off, off offset:40
	v_mul_lo_u32 v2, v14, v16
	s_mov_b32 s19, 0
	s_mov_b32 s17, s13
	s_mov_b32 s1, exec_lo
	s_delay_alu instid0(VALU_DEP_1) | instskip(NEXT) | instid1(VALU_DEP_1)
	v_ashrrev_i32_e32 v3, 31, v2
	v_add_nc_u64_e32 v[4:5], v[0:1], v[2:3]
	s_wait_loadcnt 0x0
	v_cmpx_lt_i16_e32 10, v9
	s_xor_b32 s2, exec_lo, s1
	s_cbranch_execz .LBB274_1792
; %bb.1752:
	s_mov_b32 s17, 0
	s_mov_b32 s1, 0
	s_mov_b32 s19, exec_lo
	v_cmpx_lt_i16_e32 25, v9
	s_xor_b32 s19, exec_lo, s19
	s_cbranch_execz .LBB274_2546
; %bb.1753:
	s_mov_b32 s20, 0
	s_mov_b32 s17, exec_lo
	v_cmpx_lt_i16_e32 28, v9
	s_xor_b32 s17, exec_lo, s17
	s_cbranch_execz .LBB274_1771
; %bb.1754:
	;; [unrolled: 6-line block ×4, first 2 shown]
	s_mov_b32 s23, -1
	s_mov_b32 s22, exec_lo
	v_cmpx_eq_u16_e32 46, v9
	s_cbranch_execz .LBB274_1758
; %bb.1757:
	v_cndmask_b32_e64 v3, 0, 1.0, vcc_lo
	s_mov_b32 s21, exec_lo
	s_xor_b32 s23, exec_lo, -1
	s_delay_alu instid0(VALU_DEP_1) | instskip(NEXT) | instid1(VALU_DEP_1)
	v_bfe_u32 v10, v3, 16, 1
	v_add3_u32 v3, v3, v10, 0x7fff
	s_delay_alu instid0(VALU_DEP_1)
	v_lshrrev_b32_e32 v3, 16, v3
	flat_store_b32 v[4:5], v3
.LBB274_1758:
	s_wait_xcnt 0x0
	s_or_b32 exec_lo, exec_lo, s22
	s_delay_alu instid0(SALU_CYCLE_1)
	s_and_b32 s22, s21, exec_lo
	s_and_b32 s21, s23, exec_lo
.LBB274_1759:
	s_and_not1_saveexec_b32 s23, s1
	s_cbranch_execz .LBB274_1765
; %bb.1760:
	s_mov_b32 s1, -1
	s_mov_b32 s25, s22
	s_mov_b32 s24, exec_lo
	v_cmpx_eq_u16_e32 44, v9
	s_cbranch_execz .LBB274_1764
; %bb.1761:
	v_cndmask_b32_e64 v12, 0, 1.0, vcc_lo
	s_mov_b32 s25, exec_lo
	s_delay_alu instid0(VALU_DEP_1) | instskip(NEXT) | instid1(VALU_DEP_1)
	v_dual_mov_b32 v10, 0xff :: v_dual_lshrrev_b32 v3, 23, v12
	v_cmpx_ne_u32_e32 0xff, v3
; %bb.1762:
	v_and_b32_e32 v10, 0x400000, v12
	v_and_or_b32 v12, 0x3fffff, v12, v3
	s_delay_alu instid0(VALU_DEP_2) | instskip(NEXT) | instid1(VALU_DEP_2)
	v_cmp_ne_u32_e64 s0, 0, v10
	v_cmp_ne_u32_e64 s1, 0, v12
	s_and_b32 s0, s0, s1
	s_delay_alu instid0(SALU_CYCLE_1) | instskip(NEXT) | instid1(VALU_DEP_1)
	v_cndmask_b32_e64 v10, 0, 1, s0
	v_add_nc_u32_e32 v10, v3, v10
; %bb.1763:
	s_or_b32 exec_lo, exec_lo, s25
	s_delay_alu instid0(SALU_CYCLE_1)
	s_or_b32 s25, s22, exec_lo
	s_xor_b32 s1, exec_lo, -1
	flat_store_b8 v[4:5], v10
.LBB274_1764:
	s_wait_xcnt 0x0
	s_or_b32 exec_lo, exec_lo, s24
	s_delay_alu instid0(SALU_CYCLE_1)
	s_and_not1_b32 s0, s22, exec_lo
	s_and_b32 s22, s25, exec_lo
	s_and_not1_b32 s21, s21, exec_lo
	s_and_b32 s1, s1, exec_lo
	s_or_b32 s22, s0, s22
	s_or_b32 s21, s21, s1
.LBB274_1765:
	s_or_b32 exec_lo, exec_lo, s23
	s_delay_alu instid0(SALU_CYCLE_1)
	s_and_b32 s1, s22, exec_lo
	s_and_b32 s21, s21, exec_lo
.LBB274_1766:
	s_and_not1_saveexec_b32 s20, s20
	s_cbranch_execz .LBB274_1770
; %bb.1767:
	s_mov_b32 s22, -1
	s_mov_b32 s24, s1
	s_mov_b32 s23, exec_lo
	v_cmpx_eq_u16_e32 29, v9
	s_cbranch_execz .LBB274_1769
; %bb.1768:
	s_mov_b32 s0, 0
	v_cndmask_b32_e64 v12, 0, 1, vcc_lo
	v_mov_b32_e32 v13, s0
	s_or_b32 s24, s1, exec_lo
	s_xor_b32 s22, exec_lo, -1
	flat_store_b64 v[4:5], v[12:13]
.LBB274_1769:
	s_wait_xcnt 0x0
	s_or_b32 exec_lo, exec_lo, s23
	s_delay_alu instid0(SALU_CYCLE_1)
	s_and_not1_b32 s0, s1, exec_lo
	s_and_b32 s1, s24, exec_lo
	s_and_not1_b32 s21, s21, exec_lo
	s_and_b32 s22, s22, exec_lo
	s_or_b32 s1, s0, s1
	s_or_b32 s21, s21, s22
.LBB274_1770:
	s_or_b32 exec_lo, exec_lo, s20
	s_delay_alu instid0(SALU_CYCLE_1)
	s_and_b32 s1, s1, exec_lo
	s_and_b32 s20, s21, exec_lo
.LBB274_1771:
	s_and_not1_saveexec_b32 s17, s17
	s_cbranch_execz .LBB274_1787
; %bb.1772:
	s_mov_b32 s21, exec_lo
	v_cmpx_lt_i16_e32 26, v9
	s_xor_b32 s21, exec_lo, s21
	s_cbranch_execz .LBB274_1778
; %bb.1773:
	v_cmp_lt_i16_e64 s0, 27, v9
	s_and_saveexec_b32 s22, s0
	s_delay_alu instid0(SALU_CYCLE_1)
	s_xor_b32 s0, exec_lo, s22
	s_cbranch_execz .LBB274_1775
; %bb.1774:
	v_cndmask_b32_e64 v3, 0, 1, vcc_lo
	flat_store_b32 v[4:5], v3
.LBB274_1775:
	s_wait_xcnt 0x0
	s_and_not1_saveexec_b32 s0, s0
	s_cbranch_execz .LBB274_1777
; %bb.1776:
	v_cndmask_b32_e64 v3, 0, 1, vcc_lo
	flat_store_b16 v[4:5], v3
.LBB274_1777:
	s_wait_xcnt 0x0
	s_or_b32 exec_lo, exec_lo, s0
.LBB274_1778:
	s_and_not1_saveexec_b32 s21, s21
	s_cbranch_execz .LBB274_1786
; %bb.1779:
	v_cndmask_b32_e64 v10, 0, 1.0, vcc_lo
	v_mov_b32_e32 v12, 0x80
	s_mov_b32 s22, exec_lo
	s_delay_alu instid0(VALU_DEP_2)
	v_cmpx_gt_u32_e32 0x43800000, v10
	s_cbranch_execz .LBB274_1785
; %bb.1780:
	v_cmp_lt_u32_e64 s0, 0x3bffffff, v10
	s_mov_b32 s23, 0
                                        ; implicit-def: $vgpr3
	s_and_saveexec_b32 s24, s0
	s_delay_alu instid0(SALU_CYCLE_1)
	s_xor_b32 s0, exec_lo, s24
	s_cbranch_execz .LBB274_2740
; %bb.1781:
	v_bfe_u32 v3, v10, 20, 1
	s_mov_b32 s23, exec_lo
	s_delay_alu instid0(VALU_DEP_1) | instskip(NEXT) | instid1(VALU_DEP_1)
	v_add3_u32 v3, v10, v3, 0x487ffff
                                        ; implicit-def: $vgpr10
	v_lshrrev_b32_e32 v3, 20, v3
	s_and_not1_saveexec_b32 s24, s0
	s_cbranch_execnz .LBB274_2741
.LBB274_1782:
	s_or_b32 exec_lo, exec_lo, s24
	v_mov_b32_e32 v12, 0
	s_and_saveexec_b32 s0, s23
.LBB274_1783:
	v_mov_b32_e32 v12, v3
.LBB274_1784:
	s_or_b32 exec_lo, exec_lo, s0
.LBB274_1785:
	s_delay_alu instid0(SALU_CYCLE_1)
	s_or_b32 exec_lo, exec_lo, s22
	flat_store_b8 v[4:5], v12
.LBB274_1786:
	s_wait_xcnt 0x0
	s_or_b32 exec_lo, exec_lo, s21
	s_delay_alu instid0(SALU_CYCLE_1)
	s_or_b32 s1, s1, exec_lo
.LBB274_1787:
	s_or_b32 exec_lo, exec_lo, s17
	s_delay_alu instid0(SALU_CYCLE_1)
	s_and_b32 s1, s1, exec_lo
	s_and_b32 s17, s20, exec_lo
	s_and_not1_saveexec_b32 s19, s19
	s_cbranch_execnz .LBB274_2547
.LBB274_1788:
	s_or_b32 exec_lo, exec_lo, s19
	s_mov_b32 s0, s13
	s_and_saveexec_b32 s19, s17
	s_cbranch_execnz .LBB274_2588
.LBB274_1789:
	s_or_b32 exec_lo, exec_lo, s19
	s_and_saveexec_b32 s17, s18
	s_delay_alu instid0(SALU_CYCLE_1)
	s_xor_b32 s17, exec_lo, s17
	s_cbranch_execz .LBB274_1791
.LBB274_1790:
	v_cndmask_b32_e64 v3, 0, 1, vcc_lo
	s_or_b32 s1, s1, exec_lo
	flat_store_b8 v[4:5], v3
.LBB274_1791:
	s_wait_xcnt 0x0
	s_or_b32 exec_lo, exec_lo, s17
	s_delay_alu instid0(SALU_CYCLE_1)
	s_and_not1_b32 s17, s13, exec_lo
	s_and_b32 s0, s0, exec_lo
	s_and_b32 s19, s1, exec_lo
	s_or_b32 s17, s17, s0
                                        ; implicit-def: $vgpr4_vgpr5
.LBB274_1792:
	s_and_not1_saveexec_b32 s1, s2
	s_cbranch_execz .LBB274_1834
; %bb.1793:
	s_mov_b32 s2, exec_lo
	v_cmpx_lt_i16_e32 4, v9
	s_xor_b32 s2, exec_lo, s2
	s_cbranch_execz .LBB274_1815
; %bb.1794:
	s_mov_b32 s18, exec_lo
	v_cmpx_lt_i16_e32 7, v9
	s_xor_b32 s18, exec_lo, s18
	;; [unrolled: 5-line block ×3, first 2 shown]
	s_cbranch_execz .LBB274_1801
; %bb.1796:
	v_cmp_lt_i16_e64 s0, 9, v9
	s_and_saveexec_b32 s21, s0
	s_delay_alu instid0(SALU_CYCLE_1)
	s_xor_b32 s0, exec_lo, s21
	s_cbranch_execz .LBB274_1798
; %bb.1797:
	v_cndmask_b32_e64 v3, 0, 1, vcc_lo
	v_mov_b32_e32 v22, 0
	s_delay_alu instid0(VALU_DEP_2) | instskip(NEXT) | instid1(VALU_DEP_2)
	v_cvt_f64_u32_e32 v[20:21], v3
	v_mov_b32_e32 v23, v22
	flat_store_b128 v[4:5], v[20:23]
                                        ; implicit-def: $vgpr4_vgpr5
.LBB274_1798:
	s_wait_xcnt 0x0
	s_and_not1_saveexec_b32 s0, s0
	s_cbranch_execz .LBB274_1800
; %bb.1799:
	v_cndmask_b32_e64 v12, 0, 1.0, vcc_lo
	v_mov_b32_e32 v13, 0
	flat_store_b64 v[4:5], v[12:13]
.LBB274_1800:
	s_wait_xcnt 0x0
	s_or_b32 exec_lo, exec_lo, s0
                                        ; implicit-def: $vgpr4_vgpr5
.LBB274_1801:
	s_and_not1_saveexec_b32 s0, s20
	s_cbranch_execz .LBB274_1803
; %bb.1802:
	v_cndmask_b32_e64 v3, 0, 1.0, vcc_lo
	s_delay_alu instid0(VALU_DEP_1) | instskip(NEXT) | instid1(VALU_DEP_1)
	v_cvt_f16_f32_e32 v3, v3
	v_and_b32_e32 v3, 0xffff, v3
	flat_store_b32 v[4:5], v3
.LBB274_1803:
	s_wait_xcnt 0x0
	s_or_b32 exec_lo, exec_lo, s0
                                        ; implicit-def: $vgpr4_vgpr5
.LBB274_1804:
	s_and_not1_saveexec_b32 s18, s18
	s_cbranch_execz .LBB274_1814
; %bb.1805:
	s_mov_b32 s20, exec_lo
	v_cmpx_lt_i16_e32 5, v9
	s_xor_b32 s20, exec_lo, s20
	s_cbranch_execz .LBB274_1811
; %bb.1806:
	v_cmp_lt_i16_e64 s0, 6, v9
	s_and_saveexec_b32 s21, s0
	s_delay_alu instid0(SALU_CYCLE_1)
	s_xor_b32 s0, exec_lo, s21
	s_cbranch_execz .LBB274_1808
; %bb.1807:
	v_cndmask_b32_e64 v3, 0, 1, vcc_lo
	s_delay_alu instid0(VALU_DEP_1)
	v_cvt_f64_u32_e32 v[12:13], v3
	flat_store_b64 v[4:5], v[12:13]
                                        ; implicit-def: $vgpr4_vgpr5
.LBB274_1808:
	s_wait_xcnt 0x0
	s_and_not1_saveexec_b32 s0, s0
	s_cbranch_execz .LBB274_1810
; %bb.1809:
	v_cndmask_b32_e64 v3, 0, 1.0, vcc_lo
	flat_store_b32 v[4:5], v3
.LBB274_1810:
	s_wait_xcnt 0x0
	s_or_b32 exec_lo, exec_lo, s0
                                        ; implicit-def: $vgpr4_vgpr5
.LBB274_1811:
	s_and_not1_saveexec_b32 s0, s20
	s_cbranch_execz .LBB274_1813
; %bb.1812:
	v_cndmask_b32_e64 v3, 0, 1.0, vcc_lo
	s_delay_alu instid0(VALU_DEP_1)
	v_cvt_f16_f32_e32 v3, v3
	flat_store_b16 v[4:5], v3
.LBB274_1813:
	s_wait_xcnt 0x0
	s_or_b32 exec_lo, exec_lo, s0
.LBB274_1814:
	s_delay_alu instid0(SALU_CYCLE_1)
	s_or_b32 exec_lo, exec_lo, s18
                                        ; implicit-def: $vgpr4_vgpr5
.LBB274_1815:
	s_and_not1_saveexec_b32 s2, s2
	s_cbranch_execz .LBB274_1833
; %bb.1816:
	s_mov_b32 s18, exec_lo
	v_cmpx_lt_i16_e32 1, v9
	s_xor_b32 s18, exec_lo, s18
	s_cbranch_execz .LBB274_1826
; %bb.1817:
	s_mov_b32 s20, exec_lo
	v_cmpx_lt_i16_e32 2, v9
	s_xor_b32 s20, exec_lo, s20
	s_cbranch_execz .LBB274_1823
; %bb.1818:
	v_cmp_lt_i16_e64 s0, 3, v9
	s_and_saveexec_b32 s21, s0
	s_delay_alu instid0(SALU_CYCLE_1)
	s_xor_b32 s0, exec_lo, s21
	s_cbranch_execz .LBB274_1820
; %bb.1819:
	s_mov_b32 s21, 0
	v_cndmask_b32_e64 v12, 0, 1, vcc_lo
	v_mov_b32_e32 v13, s21
	flat_store_b64 v[4:5], v[12:13]
                                        ; implicit-def: $vgpr4_vgpr5
.LBB274_1820:
	s_wait_xcnt 0x0
	s_and_not1_saveexec_b32 s0, s0
	s_cbranch_execz .LBB274_1822
; %bb.1821:
	v_cndmask_b32_e64 v3, 0, 1, vcc_lo
	flat_store_b32 v[4:5], v3
.LBB274_1822:
	s_wait_xcnt 0x0
	s_or_b32 exec_lo, exec_lo, s0
                                        ; implicit-def: $vgpr4_vgpr5
.LBB274_1823:
	s_and_not1_saveexec_b32 s0, s20
	s_cbranch_execz .LBB274_1825
; %bb.1824:
	v_cndmask_b32_e64 v3, 0, 1, vcc_lo
	flat_store_b16 v[4:5], v3
.LBB274_1825:
	s_wait_xcnt 0x0
	s_or_b32 exec_lo, exec_lo, s0
                                        ; implicit-def: $vgpr4_vgpr5
.LBB274_1826:
	s_and_not1_saveexec_b32 s18, s18
	s_cbranch_execz .LBB274_1832
; %bb.1827:
	v_cmp_lt_i16_e64 s0, 0, v9
	v_cndmask_b32_e64 v3, 0, 1, vcc_lo
	s_and_saveexec_b32 s20, s0
	s_delay_alu instid0(SALU_CYCLE_1)
	s_xor_b32 s0, exec_lo, s20
	s_cbranch_execz .LBB274_1829
; %bb.1828:
	flat_store_b8 v[4:5], v3
                                        ; implicit-def: $vgpr4_vgpr5
                                        ; implicit-def: $vgpr3
.LBB274_1829:
	s_wait_xcnt 0x0
	s_and_not1_saveexec_b32 s0, s0
	s_cbranch_execz .LBB274_1831
; %bb.1830:
	flat_store_b8 v[4:5], v3
.LBB274_1831:
	s_wait_xcnt 0x0
	s_or_b32 exec_lo, exec_lo, s0
.LBB274_1832:
	s_delay_alu instid0(SALU_CYCLE_1)
	s_or_b32 exec_lo, exec_lo, s18
.LBB274_1833:
	s_delay_alu instid0(SALU_CYCLE_1) | instskip(NEXT) | instid1(SALU_CYCLE_1)
	s_or_b32 exec_lo, exec_lo, s2
	s_or_b32 s19, s19, exec_lo
.LBB274_1834:
	s_or_b32 exec_lo, exec_lo, s1
	s_mov_b32 s0, 0
	s_mov_b32 s2, 0
                                        ; implicit-def: $sgpr1
                                        ; implicit-def: $vgpr12_vgpr13
	s_and_saveexec_b32 s18, s19
	s_cbranch_execz .LBB274_2045
; %bb.1835:
	s_wait_dscnt 0x0
	v_dual_lshlrev_b32 v3, 24, v15 :: v_dual_lshlrev_b32 v4, 24, v18
	s_mov_b32 s19, s17
	s_mov_b32 s20, exec_lo
	s_delay_alu instid0(VALU_DEP_1) | instskip(NEXT) | instid1(VALU_DEP_2)
	v_and_b32_e32 v5, 0x7f000000, v3
	v_and_b32_e32 v10, 0x7f000000, v4
	s_delay_alu instid0(VALU_DEP_2) | instskip(NEXT) | instid1(VALU_DEP_2)
	v_clz_i32_u32_e32 v12, v5
	v_clz_i32_u32_e32 v13, v10
	v_cmp_ne_u32_e32 vcc_lo, 0, v5
	v_add_nc_u32_e32 v18, 0x1000000, v5
	s_delay_alu instid0(VALU_DEP_4) | instskip(NEXT) | instid1(VALU_DEP_4)
	v_min_u32_e32 v12, 32, v12
	v_min_u32_e32 v13, 32, v13
	s_delay_alu instid0(VALU_DEP_2) | instskip(NEXT) | instid1(VALU_DEP_2)
	v_sub_nc_u32_e64 v12, v12, 4 clamp
	v_sub_nc_u32_e64 v13, v13, 4 clamp
	s_delay_alu instid0(VALU_DEP_1) | instskip(SKIP_1) | instid1(VALU_DEP_2)
	v_dual_lshlrev_b32 v15, v12, v5 :: v_dual_lshlrev_b32 v16, v13, v10
	v_dual_lshlrev_b32 v12, 23, v12 :: v_dual_lshlrev_b32 v13, 23, v13
	v_dual_lshrrev_b32 v15, 4, v15 :: v_dual_lshrrev_b32 v16, 4, v16
	s_delay_alu instid0(VALU_DEP_1) | instskip(SKIP_1) | instid1(VALU_DEP_2)
	v_dual_sub_nc_u32 v12, v15, v12 :: v_dual_sub_nc_u32 v13, v16, v13
	v_ashrrev_i32_e32 v16, 8, v18
	v_add_nc_u32_e32 v12, 0x3c000000, v12
	s_delay_alu instid0(VALU_DEP_3) | instskip(NEXT) | instid1(VALU_DEP_2)
	v_add_nc_u32_e32 v13, 0x3c000000, v13
	v_and_or_b32 v12, 0x7f800000, v16, v12
	s_delay_alu instid0(VALU_DEP_1) | instskip(SKIP_2) | instid1(VALU_DEP_3)
	v_cndmask_b32_e32 v5, 0, v12, vcc_lo
	v_cmp_ne_u32_e32 vcc_lo, 0, v10
	v_add_nc_u32_e32 v15, 0x1000000, v10
	v_and_or_b32 v3, 0x80000000, v3, v5
	s_delay_alu instid0(VALU_DEP_2) | instskip(NEXT) | instid1(VALU_DEP_1)
	v_ashrrev_i32_e32 v15, 8, v15
	v_and_or_b32 v13, 0x7f800000, v15, v13
	s_delay_alu instid0(VALU_DEP_1) | instskip(NEXT) | instid1(VALU_DEP_1)
	v_cndmask_b32_e32 v10, 0, v13, vcc_lo
	v_and_or_b32 v4, 0x80000000, v4, v10
	s_delay_alu instid0(VALU_DEP_1) | instskip(SKIP_4) | instid1(VALU_DEP_2)
	v_cmp_eq_f32_e32 vcc_lo, v3, v4
	v_cndmask_b32_e64 v5, 0, 1, vcc_lo
	v_cmp_neq_f32_e32 vcc_lo, v3, v4
	v_cndmask_b32_e64 v3, 0, 1, vcc_lo
	v_cmp_eq_u32_e32 vcc_lo, 0, v17
	v_dual_lshlrev_b32 v10, 7, v14 :: v_dual_cndmask_b32 v4, v3, v5, vcc_lo
	s_delay_alu instid0(VALU_DEP_1) | instskip(NEXT) | instid1(VALU_DEP_1)
	v_dual_add_nc_u32 v2, v2, v10 :: v_dual_bitop2_b32 v12, 1, v4 bitop3:0x40
	v_ashrrev_i32_e32 v3, 31, v2
	s_delay_alu instid0(VALU_DEP_2) | instskip(NEXT) | instid1(VALU_DEP_2)
	v_cmp_eq_u32_e64 s0, 1, v12
	v_add_nc_u64_e32 v[4:5], v[0:1], v[2:3]
	v_cmpx_lt_i16_e32 10, v9
	s_xor_b32 s20, exec_lo, s20
	s_cbranch_execz .LBB274_1876
; %bb.1836:
	s_mov_b32 s21, 0
	s_mov_b32 s19, 0
	s_mov_b32 s22, exec_lo
	v_cmpx_lt_i16_e32 25, v9
	s_xor_b32 s22, exec_lo, s22
	s_cbranch_execz .LBB274_2597
; %bb.1837:
	s_mov_b32 s23, 0
	s_mov_b32 s19, exec_lo
	v_cmpx_lt_i16_e32 28, v9
	s_xor_b32 s19, exec_lo, s19
	s_cbranch_execz .LBB274_1855
; %bb.1838:
	s_mov_b32 s24, 0
	s_mov_b32 s23, exec_lo
	v_cmpx_lt_i16_e32 43, v9
	s_xor_b32 s23, exec_lo, s23
	s_cbranch_execz .LBB274_1850
; %bb.1839:
	s_mov_b32 s25, 0
	s_mov_b32 s2, exec_lo
	v_cmpx_lt_i16_e32 45, v9
	s_xor_b32 s2, exec_lo, s2
	s_cbranch_execz .LBB274_1843
; %bb.1840:
	s_mov_b32 s26, -1
	s_mov_b32 s25, exec_lo
	v_cmpx_eq_u16_e32 46, v9
	s_cbranch_execz .LBB274_1842
; %bb.1841:
	v_cndmask_b32_e64 v3, 0, 1.0, s0
	s_mov_b32 s24, exec_lo
	s_xor_b32 s26, exec_lo, -1
	s_delay_alu instid0(VALU_DEP_1) | instskip(NEXT) | instid1(VALU_DEP_1)
	v_bfe_u32 v12, v3, 16, 1
	v_add3_u32 v3, v3, v12, 0x7fff
	s_delay_alu instid0(VALU_DEP_1)
	v_lshrrev_b32_e32 v3, 16, v3
	flat_store_b32 v[4:5], v3
.LBB274_1842:
	s_wait_xcnt 0x0
	s_or_b32 exec_lo, exec_lo, s25
	s_delay_alu instid0(SALU_CYCLE_1)
	s_and_b32 s25, s24, exec_lo
	s_and_b32 s24, s26, exec_lo
.LBB274_1843:
	s_and_not1_saveexec_b32 s26, s2
	s_cbranch_execz .LBB274_1849
; %bb.1844:
	s_mov_b32 s2, -1
	s_mov_b32 s28, s25
	s_mov_b32 s27, exec_lo
	v_cmpx_eq_u16_e32 44, v9
	s_cbranch_execz .LBB274_1848
; %bb.1845:
	v_cndmask_b32_e64 v13, 0, 1.0, s0
	s_mov_b32 s28, exec_lo
	s_delay_alu instid0(VALU_DEP_1) | instskip(NEXT) | instid1(VALU_DEP_1)
	v_dual_mov_b32 v12, 0xff :: v_dual_lshrrev_b32 v3, 23, v13
	v_cmpx_ne_u32_e32 0xff, v3
; %bb.1846:
	v_and_b32_e32 v12, 0x400000, v13
	v_and_or_b32 v13, 0x3fffff, v13, v3
	s_delay_alu instid0(VALU_DEP_2) | instskip(NEXT) | instid1(VALU_DEP_2)
	v_cmp_ne_u32_e64 s1, 0, v12
	v_cmp_ne_u32_e64 s2, 0, v13
	s_and_b32 s1, s1, s2
	s_delay_alu instid0(SALU_CYCLE_1) | instskip(NEXT) | instid1(VALU_DEP_1)
	v_cndmask_b32_e64 v12, 0, 1, s1
	v_add_nc_u32_e32 v12, v3, v12
; %bb.1847:
	s_or_b32 exec_lo, exec_lo, s28
	s_delay_alu instid0(SALU_CYCLE_1)
	s_or_b32 s28, s25, exec_lo
	s_xor_b32 s2, exec_lo, -1
	flat_store_b8 v[4:5], v12
.LBB274_1848:
	s_wait_xcnt 0x0
	s_or_b32 exec_lo, exec_lo, s27
	s_delay_alu instid0(SALU_CYCLE_1)
	s_and_not1_b32 s1, s25, exec_lo
	s_and_b32 s25, s28, exec_lo
	s_and_not1_b32 s24, s24, exec_lo
	s_and_b32 s2, s2, exec_lo
	s_or_b32 s25, s1, s25
	s_or_b32 s24, s24, s2
.LBB274_1849:
	s_or_b32 exec_lo, exec_lo, s26
	s_delay_alu instid0(SALU_CYCLE_1)
	s_and_b32 s2, s25, exec_lo
	s_and_b32 s24, s24, exec_lo
.LBB274_1850:
	s_and_not1_saveexec_b32 s23, s23
	s_cbranch_execz .LBB274_1854
; %bb.1851:
	s_mov_b32 s25, -1
	s_mov_b32 s27, s2
	s_mov_b32 s26, exec_lo
	v_cmpx_eq_u16_e32 29, v9
	s_cbranch_execz .LBB274_1853
; %bb.1852:
	s_mov_b32 s1, 0
	v_cndmask_b32_e64 v12, 0, 1, s0
	v_mov_b32_e32 v13, s1
	s_or_b32 s27, s2, exec_lo
	s_xor_b32 s25, exec_lo, -1
	flat_store_b64 v[4:5], v[12:13]
.LBB274_1853:
	s_wait_xcnt 0x0
	s_or_b32 exec_lo, exec_lo, s26
	s_delay_alu instid0(SALU_CYCLE_1)
	s_and_not1_b32 s1, s2, exec_lo
	s_and_b32 s2, s27, exec_lo
	s_and_not1_b32 s24, s24, exec_lo
	s_and_b32 s25, s25, exec_lo
	s_or_b32 s2, s1, s2
	s_or_b32 s24, s24, s25
.LBB274_1854:
	s_or_b32 exec_lo, exec_lo, s23
	s_delay_alu instid0(SALU_CYCLE_1)
	s_and_b32 s2, s2, exec_lo
	s_and_b32 s23, s24, exec_lo
.LBB274_1855:
	s_and_not1_saveexec_b32 s19, s19
	s_cbranch_execz .LBB274_1871
; %bb.1856:
	s_mov_b32 s24, exec_lo
	v_cmpx_lt_i16_e32 26, v9
	s_xor_b32 s24, exec_lo, s24
	s_cbranch_execz .LBB274_1862
; %bb.1857:
	v_cmp_lt_i16_e64 s1, 27, v9
	s_and_saveexec_b32 s25, s1
	s_delay_alu instid0(SALU_CYCLE_1)
	s_xor_b32 s1, exec_lo, s25
	s_cbranch_execz .LBB274_1859
; %bb.1858:
	v_cndmask_b32_e64 v3, 0, 1, s0
	flat_store_b32 v[4:5], v3
.LBB274_1859:
	s_wait_xcnt 0x0
	s_and_not1_saveexec_b32 s1, s1
	s_cbranch_execz .LBB274_1861
; %bb.1860:
	v_cndmask_b32_e64 v3, 0, 1, s0
	flat_store_b16 v[4:5], v3
.LBB274_1861:
	s_wait_xcnt 0x0
	s_or_b32 exec_lo, exec_lo, s1
.LBB274_1862:
	s_and_not1_saveexec_b32 s24, s24
	s_cbranch_execz .LBB274_1870
; %bb.1863:
	v_cndmask_b32_e64 v12, 0, 1.0, s0
	v_mov_b32_e32 v13, 0x80
	s_mov_b32 s25, exec_lo
	s_delay_alu instid0(VALU_DEP_2)
	v_cmpx_gt_u32_e32 0x43800000, v12
	s_cbranch_execz .LBB274_1869
; %bb.1864:
	v_cmp_lt_u32_e64 s1, 0x3bffffff, v12
	s_mov_b32 s26, 0
                                        ; implicit-def: $vgpr3
	s_and_saveexec_b32 s27, s1
	s_delay_alu instid0(SALU_CYCLE_1)
	s_xor_b32 s1, exec_lo, s27
	s_cbranch_execz .LBB274_2742
; %bb.1865:
	v_bfe_u32 v3, v12, 20, 1
	s_mov_b32 s26, exec_lo
	s_delay_alu instid0(VALU_DEP_1) | instskip(NEXT) | instid1(VALU_DEP_1)
	v_add3_u32 v3, v12, v3, 0x487ffff
                                        ; implicit-def: $vgpr12
	v_lshrrev_b32_e32 v3, 20, v3
	s_and_not1_saveexec_b32 s27, s1
	s_cbranch_execnz .LBB274_2743
.LBB274_1866:
	s_or_b32 exec_lo, exec_lo, s27
	v_mov_b32_e32 v13, 0
	s_and_saveexec_b32 s1, s26
.LBB274_1867:
	v_mov_b32_e32 v13, v3
.LBB274_1868:
	s_or_b32 exec_lo, exec_lo, s1
.LBB274_1869:
	s_delay_alu instid0(SALU_CYCLE_1)
	s_or_b32 exec_lo, exec_lo, s25
	flat_store_b8 v[4:5], v13
.LBB274_1870:
	s_wait_xcnt 0x0
	s_or_b32 exec_lo, exec_lo, s24
	s_delay_alu instid0(SALU_CYCLE_1)
	s_or_b32 s2, s2, exec_lo
.LBB274_1871:
	s_or_b32 exec_lo, exec_lo, s19
	s_delay_alu instid0(SALU_CYCLE_1)
	s_and_b32 s2, s2, exec_lo
	s_and_b32 s19, s23, exec_lo
	s_and_not1_saveexec_b32 s22, s22
	s_cbranch_execnz .LBB274_2598
.LBB274_1872:
	s_or_b32 exec_lo, exec_lo, s22
	s_mov_b32 s1, s17
	s_and_saveexec_b32 s22, s19
	s_cbranch_execnz .LBB274_2639
.LBB274_1873:
	s_or_b32 exec_lo, exec_lo, s22
	s_and_saveexec_b32 s19, s21
	s_delay_alu instid0(SALU_CYCLE_1)
	s_xor_b32 s19, exec_lo, s19
	s_cbranch_execz .LBB274_1875
.LBB274_1874:
	v_cndmask_b32_e64 v3, 0, 1, s0
	s_or_b32 s2, s2, exec_lo
	flat_store_b8 v[4:5], v3
.LBB274_1875:
	s_wait_xcnt 0x0
	s_or_b32 exec_lo, exec_lo, s19
	s_delay_alu instid0(SALU_CYCLE_1)
	s_and_not1_b32 s19, s17, exec_lo
	s_and_b32 s1, s1, exec_lo
	s_and_b32 s2, s2, exec_lo
	s_or_b32 s19, s19, s1
                                        ; implicit-def: $vgpr4_vgpr5
.LBB274_1876:
	s_and_not1_saveexec_b32 s20, s20
	s_cbranch_execz .LBB274_1918
; %bb.1877:
	s_mov_b32 s21, exec_lo
	v_cmpx_lt_i16_e32 4, v9
	s_xor_b32 s21, exec_lo, s21
	s_cbranch_execz .LBB274_1899
; %bb.1878:
	s_mov_b32 s22, exec_lo
	v_cmpx_lt_i16_e32 7, v9
	s_xor_b32 s22, exec_lo, s22
	;; [unrolled: 5-line block ×3, first 2 shown]
	s_cbranch_execz .LBB274_1885
; %bb.1880:
	v_cmp_lt_i16_e64 s1, 9, v9
	s_and_saveexec_b32 s24, s1
	s_delay_alu instid0(SALU_CYCLE_1)
	s_xor_b32 s1, exec_lo, s24
	s_cbranch_execz .LBB274_1882
; %bb.1881:
	v_cndmask_b32_e64 v3, 0, 1, s0
	v_mov_b32_e32 v14, 0
	s_delay_alu instid0(VALU_DEP_2) | instskip(NEXT) | instid1(VALU_DEP_2)
	v_cvt_f64_u32_e32 v[12:13], v3
	v_mov_b32_e32 v15, v14
	flat_store_b128 v[4:5], v[12:15]
                                        ; implicit-def: $vgpr4_vgpr5
.LBB274_1882:
	s_wait_xcnt 0x0
	s_and_not1_saveexec_b32 s1, s1
	s_cbranch_execz .LBB274_1884
; %bb.1883:
	v_cndmask_b32_e64 v12, 0, 1.0, s0
	v_mov_b32_e32 v13, 0
	flat_store_b64 v[4:5], v[12:13]
.LBB274_1884:
	s_wait_xcnt 0x0
	s_or_b32 exec_lo, exec_lo, s1
                                        ; implicit-def: $vgpr4_vgpr5
.LBB274_1885:
	s_and_not1_saveexec_b32 s1, s23
	s_cbranch_execz .LBB274_1887
; %bb.1886:
	v_cndmask_b32_e64 v3, 0, 1.0, s0
	s_delay_alu instid0(VALU_DEP_1) | instskip(NEXT) | instid1(VALU_DEP_1)
	v_cvt_f16_f32_e32 v3, v3
	v_and_b32_e32 v3, 0xffff, v3
	flat_store_b32 v[4:5], v3
.LBB274_1887:
	s_wait_xcnt 0x0
	s_or_b32 exec_lo, exec_lo, s1
                                        ; implicit-def: $vgpr4_vgpr5
.LBB274_1888:
	s_and_not1_saveexec_b32 s22, s22
	s_cbranch_execz .LBB274_1898
; %bb.1889:
	s_mov_b32 s23, exec_lo
	v_cmpx_lt_i16_e32 5, v9
	s_xor_b32 s23, exec_lo, s23
	s_cbranch_execz .LBB274_1895
; %bb.1890:
	v_cmp_lt_i16_e64 s1, 6, v9
	s_and_saveexec_b32 s24, s1
	s_delay_alu instid0(SALU_CYCLE_1)
	s_xor_b32 s1, exec_lo, s24
	s_cbranch_execz .LBB274_1892
; %bb.1891:
	v_cndmask_b32_e64 v3, 0, 1, s0
	s_delay_alu instid0(VALU_DEP_1)
	v_cvt_f64_u32_e32 v[12:13], v3
	flat_store_b64 v[4:5], v[12:13]
                                        ; implicit-def: $vgpr4_vgpr5
.LBB274_1892:
	s_wait_xcnt 0x0
	s_and_not1_saveexec_b32 s1, s1
	s_cbranch_execz .LBB274_1894
; %bb.1893:
	v_cndmask_b32_e64 v3, 0, 1.0, s0
	flat_store_b32 v[4:5], v3
.LBB274_1894:
	s_wait_xcnt 0x0
	s_or_b32 exec_lo, exec_lo, s1
                                        ; implicit-def: $vgpr4_vgpr5
.LBB274_1895:
	s_and_not1_saveexec_b32 s1, s23
	s_cbranch_execz .LBB274_1897
; %bb.1896:
	v_cndmask_b32_e64 v3, 0, 1.0, s0
	s_delay_alu instid0(VALU_DEP_1)
	v_cvt_f16_f32_e32 v3, v3
	flat_store_b16 v[4:5], v3
.LBB274_1897:
	s_wait_xcnt 0x0
	s_or_b32 exec_lo, exec_lo, s1
.LBB274_1898:
	s_delay_alu instid0(SALU_CYCLE_1)
	s_or_b32 exec_lo, exec_lo, s22
                                        ; implicit-def: $vgpr4_vgpr5
.LBB274_1899:
	s_and_not1_saveexec_b32 s21, s21
	s_cbranch_execz .LBB274_1917
; %bb.1900:
	s_mov_b32 s22, exec_lo
	v_cmpx_lt_i16_e32 1, v9
	s_xor_b32 s22, exec_lo, s22
	s_cbranch_execz .LBB274_1910
; %bb.1901:
	s_mov_b32 s23, exec_lo
	v_cmpx_lt_i16_e32 2, v9
	s_xor_b32 s23, exec_lo, s23
	s_cbranch_execz .LBB274_1907
; %bb.1902:
	v_cmp_lt_i16_e64 s1, 3, v9
	s_and_saveexec_b32 s24, s1
	s_delay_alu instid0(SALU_CYCLE_1)
	s_xor_b32 s1, exec_lo, s24
	s_cbranch_execz .LBB274_1904
; %bb.1903:
	s_mov_b32 s24, 0
	v_cndmask_b32_e64 v12, 0, 1, s0
	v_mov_b32_e32 v13, s24
	flat_store_b64 v[4:5], v[12:13]
                                        ; implicit-def: $vgpr4_vgpr5
.LBB274_1904:
	s_wait_xcnt 0x0
	s_and_not1_saveexec_b32 s1, s1
	s_cbranch_execz .LBB274_1906
; %bb.1905:
	v_cndmask_b32_e64 v3, 0, 1, s0
	flat_store_b32 v[4:5], v3
.LBB274_1906:
	s_wait_xcnt 0x0
	s_or_b32 exec_lo, exec_lo, s1
                                        ; implicit-def: $vgpr4_vgpr5
.LBB274_1907:
	s_and_not1_saveexec_b32 s1, s23
	s_cbranch_execz .LBB274_1909
; %bb.1908:
	v_cndmask_b32_e64 v3, 0, 1, s0
	flat_store_b16 v[4:5], v3
.LBB274_1909:
	s_wait_xcnt 0x0
	s_or_b32 exec_lo, exec_lo, s1
                                        ; implicit-def: $vgpr4_vgpr5
.LBB274_1910:
	s_and_not1_saveexec_b32 s22, s22
	s_cbranch_execz .LBB274_1916
; %bb.1911:
	v_cndmask_b32_e64 v3, 0, 1, s0
	s_mov_b32 s0, exec_lo
	v_cmpx_lt_i16_e32 0, v9
	s_xor_b32 s0, exec_lo, s0
	s_cbranch_execz .LBB274_1913
; %bb.1912:
	flat_store_b8 v[4:5], v3
                                        ; implicit-def: $vgpr4_vgpr5
                                        ; implicit-def: $vgpr3
.LBB274_1913:
	s_wait_xcnt 0x0
	s_and_not1_saveexec_b32 s0, s0
	s_cbranch_execz .LBB274_1915
; %bb.1914:
	flat_store_b8 v[4:5], v3
.LBB274_1915:
	s_wait_xcnt 0x0
	s_or_b32 exec_lo, exec_lo, s0
.LBB274_1916:
	s_delay_alu instid0(SALU_CYCLE_1)
	s_or_b32 exec_lo, exec_lo, s22
.LBB274_1917:
	s_delay_alu instid0(SALU_CYCLE_1) | instskip(NEXT) | instid1(SALU_CYCLE_1)
	s_or_b32 exec_lo, exec_lo, s21
	s_or_b32 s2, s2, exec_lo
.LBB274_1918:
	s_or_b32 exec_lo, exec_lo, s20
	s_mov_b32 s0, 0
	s_mov_b32 s21, 0
                                        ; implicit-def: $sgpr1
                                        ; implicit-def: $vgpr12_vgpr13
	s_and_saveexec_b32 s20, s2
	s_cbranch_execz .LBB274_2044
; %bb.1919:
	v_lshlrev_b32_e32 v3, 24, v11
	v_lshlrev_b32_e32 v4, 24, v7
	s_mov_b32 s22, 0
	s_mov_b32 s2, s19
	s_mov_b32 s21, exec_lo
	v_and_b32_e32 v5, 0x7f000000, v3
	v_and_b32_e32 v7, 0x7f000000, v4
	s_delay_alu instid0(VALU_DEP_2) | instskip(NEXT) | instid1(VALU_DEP_2)
	v_clz_i32_u32_e32 v11, v5
	v_clz_i32_u32_e32 v12, v7
	v_add_nc_u32_e32 v15, 0x1000000, v5
	v_cmp_ne_u32_e64 s0, 0, v5
	s_delay_alu instid0(VALU_DEP_4) | instskip(NEXT) | instid1(VALU_DEP_4)
	v_min_u32_e32 v11, 32, v11
	v_min_u32_e32 v12, 32, v12
	s_delay_alu instid0(VALU_DEP_2) | instskip(NEXT) | instid1(VALU_DEP_2)
	v_sub_nc_u32_e64 v11, v11, 4 clamp
	v_sub_nc_u32_e64 v12, v12, 4 clamp
	s_delay_alu instid0(VALU_DEP_1) | instskip(SKIP_1) | instid1(VALU_DEP_2)
	v_dual_lshlrev_b32 v13, v11, v5 :: v_dual_lshlrev_b32 v14, v12, v7
	v_dual_lshlrev_b32 v11, 23, v11 :: v_dual_lshlrev_b32 v12, 23, v12
	v_dual_lshrrev_b32 v13, 4, v13 :: v_dual_lshrrev_b32 v14, 4, v14
	s_delay_alu instid0(VALU_DEP_1) | instskip(SKIP_2) | instid1(VALU_DEP_3)
	v_dual_sub_nc_u32 v11, v13, v11 :: v_dual_sub_nc_u32 v12, v14, v12
	v_add_nc_u32_e32 v13, 0x1000000, v7
	v_ashrrev_i32_e32 v14, 8, v15
	v_add_nc_u32_e32 v11, 0x3c000000, v11
	s_delay_alu instid0(VALU_DEP_4) | instskip(NEXT) | instid1(VALU_DEP_4)
	v_add_nc_u32_e32 v12, 0x3c000000, v12
	v_ashrrev_i32_e32 v13, 8, v13
	s_delay_alu instid0(VALU_DEP_3) | instskip(NEXT) | instid1(VALU_DEP_2)
	v_and_or_b32 v11, 0x7f800000, v14, v11
	v_and_or_b32 v12, 0x7f800000, v13, v12
	s_delay_alu instid0(VALU_DEP_2) | instskip(SKIP_1) | instid1(VALU_DEP_1)
	v_cndmask_b32_e64 v5, 0, v11, s0
	v_cmp_ne_u32_e64 s0, 0, v7
	v_cndmask_b32_e64 v7, 0, v12, s0
	s_delay_alu instid0(VALU_DEP_3) | instskip(NEXT) | instid1(VALU_DEP_2)
	v_and_or_b32 v3, 0x80000000, v3, v5
	v_and_or_b32 v4, 0x80000000, v4, v7
	s_delay_alu instid0(VALU_DEP_1) | instskip(NEXT) | instid1(VALU_DEP_1)
	v_cmp_eq_f32_e64 s0, v3, v4
	v_cndmask_b32_e64 v5, 0, 1, s0
	v_cmp_neq_f32_e64 s0, v3, v4
	s_delay_alu instid0(VALU_DEP_1) | instskip(NEXT) | instid1(VALU_DEP_1)
	v_cndmask_b32_e64 v3, 0, 1, s0
	v_dual_cndmask_b32 v4, v3, v5, vcc_lo :: v_dual_add_nc_u32 v2, v2, v10
	s_delay_alu instid0(VALU_DEP_1) | instskip(NEXT) | instid1(VALU_DEP_1)
	v_dual_ashrrev_i32 v3, 31, v2 :: v_dual_bitop2_b32 v7, 1, v4 bitop3:0x40
	v_cmp_eq_u32_e64 s0, 1, v7
	s_delay_alu instid0(VALU_DEP_2)
	v_add_nc_u64_e32 v[4:5], v[0:1], v[2:3]
	v_cmpx_lt_i16_e32 10, v9
	s_xor_b32 s21, exec_lo, s21
	s_cbranch_execz .LBB274_1960
; %bb.1920:
	s_mov_b32 s23, 0
	s_mov_b32 s2, 0
	s_mov_b32 s24, exec_lo
	v_cmpx_lt_i16_e32 25, v9
	s_xor_b32 s24, exec_lo, s24
	s_cbranch_execz .LBB274_2648
; %bb.1921:
	s_mov_b32 s25, 0
	s_mov_b32 s22, exec_lo
	v_cmpx_lt_i16_e32 28, v9
	s_xor_b32 s22, exec_lo, s22
	s_cbranch_execz .LBB274_1939
; %bb.1922:
	;; [unrolled: 6-line block ×4, first 2 shown]
	s_mov_b32 s28, -1
	s_mov_b32 s27, exec_lo
	v_cmpx_eq_u16_e32 46, v9
	s_cbranch_execz .LBB274_1926
; %bb.1925:
	v_cndmask_b32_e64 v3, 0, 1.0, s0
	s_mov_b32 s26, exec_lo
	s_xor_b32 s28, exec_lo, -1
	s_delay_alu instid0(VALU_DEP_1) | instskip(NEXT) | instid1(VALU_DEP_1)
	v_bfe_u32 v7, v3, 16, 1
	v_add3_u32 v3, v3, v7, 0x7fff
	s_delay_alu instid0(VALU_DEP_1)
	v_lshrrev_b32_e32 v3, 16, v3
	flat_store_b32 v[4:5], v3
.LBB274_1926:
	s_wait_xcnt 0x0
	s_or_b32 exec_lo, exec_lo, s27
	s_delay_alu instid0(SALU_CYCLE_1)
	s_and_b32 s27, s26, exec_lo
	s_and_b32 s26, s28, exec_lo
.LBB274_1927:
	s_and_not1_saveexec_b32 s28, s2
	s_cbranch_execz .LBB274_1933
; %bb.1928:
	s_mov_b32 s2, -1
	s_mov_b32 s30, s27
	s_mov_b32 s29, exec_lo
	v_cmpx_eq_u16_e32 44, v9
	s_cbranch_execz .LBB274_1932
; %bb.1929:
	v_cndmask_b32_e64 v11, 0, 1.0, s0
	v_mov_b32_e32 v7, 0xff
	s_mov_b32 s30, exec_lo
	s_delay_alu instid0(VALU_DEP_2) | instskip(NEXT) | instid1(VALU_DEP_1)
	v_lshrrev_b32_e32 v3, 23, v11
	v_cmpx_ne_u32_e32 0xff, v3
; %bb.1930:
	v_and_b32_e32 v7, 0x400000, v11
	v_and_or_b32 v11, 0x3fffff, v11, v3
	s_delay_alu instid0(VALU_DEP_2) | instskip(NEXT) | instid1(VALU_DEP_2)
	v_cmp_ne_u32_e64 s1, 0, v7
	v_cmp_ne_u32_e64 s2, 0, v11
	s_and_b32 s1, s1, s2
	s_delay_alu instid0(SALU_CYCLE_1) | instskip(NEXT) | instid1(VALU_DEP_1)
	v_cndmask_b32_e64 v7, 0, 1, s1
	v_add_nc_u32_e32 v7, v3, v7
; %bb.1931:
	s_or_b32 exec_lo, exec_lo, s30
	s_delay_alu instid0(SALU_CYCLE_1)
	s_or_b32 s30, s27, exec_lo
	s_xor_b32 s2, exec_lo, -1
	flat_store_b8 v[4:5], v7
.LBB274_1932:
	s_wait_xcnt 0x0
	s_or_b32 exec_lo, exec_lo, s29
	s_delay_alu instid0(SALU_CYCLE_1)
	s_and_not1_b32 s1, s27, exec_lo
	s_and_b32 s27, s30, exec_lo
	s_and_not1_b32 s26, s26, exec_lo
	s_and_b32 s2, s2, exec_lo
	s_or_b32 s27, s1, s27
	s_or_b32 s26, s26, s2
.LBB274_1933:
	s_or_b32 exec_lo, exec_lo, s28
	s_delay_alu instid0(SALU_CYCLE_1)
	s_and_b32 s27, s27, exec_lo
	s_and_b32 s2, s26, exec_lo
.LBB274_1934:
	s_and_not1_saveexec_b32 s25, s25
	s_cbranch_execz .LBB274_1938
; %bb.1935:
	s_mov_b32 s26, -1
	s_mov_b32 s29, s27
	s_mov_b32 s28, exec_lo
	v_cmpx_eq_u16_e32 29, v9
	s_cbranch_execz .LBB274_1937
; %bb.1936:
	s_mov_b32 s1, 0
	v_cndmask_b32_e64 v12, 0, 1, s0
	v_mov_b32_e32 v13, s1
	s_or_b32 s29, s27, exec_lo
	s_xor_b32 s26, exec_lo, -1
	flat_store_b64 v[4:5], v[12:13]
.LBB274_1937:
	s_wait_xcnt 0x0
	s_or_b32 exec_lo, exec_lo, s28
	s_delay_alu instid0(SALU_CYCLE_1)
	s_and_not1_b32 s1, s27, exec_lo
	s_and_b32 s27, s29, exec_lo
	s_and_not1_b32 s2, s2, exec_lo
	s_and_b32 s26, s26, exec_lo
	s_or_b32 s27, s1, s27
	s_or_b32 s2, s2, s26
.LBB274_1938:
	s_or_b32 exec_lo, exec_lo, s25
	s_delay_alu instid0(SALU_CYCLE_1)
	s_and_b32 s25, s27, exec_lo
	s_and_b32 s2, s2, exec_lo
.LBB274_1939:
	s_and_not1_saveexec_b32 s22, s22
	s_cbranch_execz .LBB274_1955
; %bb.1940:
	s_mov_b32 s26, exec_lo
	v_cmpx_lt_i16_e32 26, v9
	s_xor_b32 s26, exec_lo, s26
	s_cbranch_execz .LBB274_1946
; %bb.1941:
	v_cmp_lt_i16_e64 s1, 27, v9
	s_and_saveexec_b32 s27, s1
	s_delay_alu instid0(SALU_CYCLE_1)
	s_xor_b32 s1, exec_lo, s27
	s_cbranch_execz .LBB274_1943
; %bb.1942:
	v_cndmask_b32_e64 v3, 0, 1, s0
	flat_store_b32 v[4:5], v3
.LBB274_1943:
	s_wait_xcnt 0x0
	s_and_not1_saveexec_b32 s1, s1
	s_cbranch_execz .LBB274_1945
; %bb.1944:
	v_cndmask_b32_e64 v3, 0, 1, s0
	flat_store_b16 v[4:5], v3
.LBB274_1945:
	s_wait_xcnt 0x0
	s_or_b32 exec_lo, exec_lo, s1
.LBB274_1946:
	s_and_not1_saveexec_b32 s26, s26
	s_cbranch_execz .LBB274_1954
; %bb.1947:
	v_cndmask_b32_e64 v7, 0, 1.0, s0
	v_mov_b32_e32 v11, 0x80
	s_mov_b32 s27, exec_lo
	s_delay_alu instid0(VALU_DEP_2)
	v_cmpx_gt_u32_e32 0x43800000, v7
	s_cbranch_execz .LBB274_1953
; %bb.1948:
	v_cmp_lt_u32_e64 s1, 0x3bffffff, v7
	s_mov_b32 s28, 0
                                        ; implicit-def: $vgpr3
	s_and_saveexec_b32 s29, s1
	s_delay_alu instid0(SALU_CYCLE_1)
	s_xor_b32 s1, exec_lo, s29
	s_cbranch_execz .LBB274_2746
; %bb.1949:
	v_bfe_u32 v3, v7, 20, 1
	s_mov_b32 s28, exec_lo
	s_delay_alu instid0(VALU_DEP_1) | instskip(NEXT) | instid1(VALU_DEP_1)
	v_add3_u32 v3, v7, v3, 0x487ffff
                                        ; implicit-def: $vgpr7
	v_lshrrev_b32_e32 v3, 20, v3
	s_and_not1_saveexec_b32 s29, s1
	s_cbranch_execnz .LBB274_2747
.LBB274_1950:
	s_or_b32 exec_lo, exec_lo, s29
	v_mov_b32_e32 v11, 0
	s_and_saveexec_b32 s1, s28
.LBB274_1951:
	v_mov_b32_e32 v11, v3
.LBB274_1952:
	s_or_b32 exec_lo, exec_lo, s1
.LBB274_1953:
	s_delay_alu instid0(SALU_CYCLE_1)
	s_or_b32 exec_lo, exec_lo, s27
	flat_store_b8 v[4:5], v11
.LBB274_1954:
	s_wait_xcnt 0x0
	s_or_b32 exec_lo, exec_lo, s26
	s_delay_alu instid0(SALU_CYCLE_1)
	s_or_b32 s25, s25, exec_lo
.LBB274_1955:
	s_or_b32 exec_lo, exec_lo, s22
	s_delay_alu instid0(SALU_CYCLE_1)
	s_and_b32 s22, s25, exec_lo
	s_and_b32 s2, s2, exec_lo
	s_and_not1_saveexec_b32 s24, s24
	s_cbranch_execnz .LBB274_2649
.LBB274_1956:
	s_or_b32 exec_lo, exec_lo, s24
	s_mov_b32 s1, s19
	s_and_saveexec_b32 s24, s2
	s_cbranch_execnz .LBB274_2690
.LBB274_1957:
	s_or_b32 exec_lo, exec_lo, s24
	s_and_saveexec_b32 s2, s23
	s_delay_alu instid0(SALU_CYCLE_1)
	s_xor_b32 s2, exec_lo, s2
	s_cbranch_execz .LBB274_1959
.LBB274_1958:
	v_cndmask_b32_e64 v3, 0, 1, s0
	s_or_b32 s22, s22, exec_lo
	flat_store_b8 v[4:5], v3
.LBB274_1959:
	s_wait_xcnt 0x0
	s_or_b32 exec_lo, exec_lo, s2
	s_delay_alu instid0(SALU_CYCLE_1)
	s_and_not1_b32 s2, s19, exec_lo
	s_and_b32 s1, s1, exec_lo
	s_and_b32 s22, s22, exec_lo
	s_or_b32 s2, s2, s1
                                        ; implicit-def: $vgpr4_vgpr5
.LBB274_1960:
	s_and_not1_saveexec_b32 s21, s21
	s_cbranch_execz .LBB274_2002
; %bb.1961:
	s_mov_b32 s23, exec_lo
	v_cmpx_lt_i16_e32 4, v9
	s_xor_b32 s23, exec_lo, s23
	s_cbranch_execz .LBB274_1983
; %bb.1962:
	s_mov_b32 s24, exec_lo
	v_cmpx_lt_i16_e32 7, v9
	s_xor_b32 s24, exec_lo, s24
	;; [unrolled: 5-line block ×3, first 2 shown]
	s_cbranch_execz .LBB274_1969
; %bb.1964:
	v_cmp_lt_i16_e64 s1, 9, v9
	s_and_saveexec_b32 s26, s1
	s_delay_alu instid0(SALU_CYCLE_1)
	s_xor_b32 s1, exec_lo, s26
	s_cbranch_execz .LBB274_1966
; %bb.1965:
	v_cndmask_b32_e64 v3, 0, 1, s0
	v_mov_b32_e32 v14, 0
	s_delay_alu instid0(VALU_DEP_2) | instskip(NEXT) | instid1(VALU_DEP_2)
	v_cvt_f64_u32_e32 v[12:13], v3
	v_mov_b32_e32 v15, v14
	flat_store_b128 v[4:5], v[12:15]
                                        ; implicit-def: $vgpr4_vgpr5
.LBB274_1966:
	s_wait_xcnt 0x0
	s_and_not1_saveexec_b32 s1, s1
	s_cbranch_execz .LBB274_1968
; %bb.1967:
	v_cndmask_b32_e64 v12, 0, 1.0, s0
	v_mov_b32_e32 v13, 0
	flat_store_b64 v[4:5], v[12:13]
.LBB274_1968:
	s_wait_xcnt 0x0
	s_or_b32 exec_lo, exec_lo, s1
                                        ; implicit-def: $vgpr4_vgpr5
.LBB274_1969:
	s_and_not1_saveexec_b32 s1, s25
	s_cbranch_execz .LBB274_1971
; %bb.1970:
	v_cndmask_b32_e64 v3, 0, 1.0, s0
	s_delay_alu instid0(VALU_DEP_1) | instskip(NEXT) | instid1(VALU_DEP_1)
	v_cvt_f16_f32_e32 v3, v3
	v_and_b32_e32 v3, 0xffff, v3
	flat_store_b32 v[4:5], v3
.LBB274_1971:
	s_wait_xcnt 0x0
	s_or_b32 exec_lo, exec_lo, s1
                                        ; implicit-def: $vgpr4_vgpr5
.LBB274_1972:
	s_and_not1_saveexec_b32 s24, s24
	s_cbranch_execz .LBB274_1982
; %bb.1973:
	s_mov_b32 s25, exec_lo
	v_cmpx_lt_i16_e32 5, v9
	s_xor_b32 s25, exec_lo, s25
	s_cbranch_execz .LBB274_1979
; %bb.1974:
	v_cmp_lt_i16_e64 s1, 6, v9
	s_and_saveexec_b32 s26, s1
	s_delay_alu instid0(SALU_CYCLE_1)
	s_xor_b32 s1, exec_lo, s26
	s_cbranch_execz .LBB274_1976
; %bb.1975:
	v_cndmask_b32_e64 v3, 0, 1, s0
	s_delay_alu instid0(VALU_DEP_1)
	v_cvt_f64_u32_e32 v[12:13], v3
	flat_store_b64 v[4:5], v[12:13]
                                        ; implicit-def: $vgpr4_vgpr5
.LBB274_1976:
	s_wait_xcnt 0x0
	s_and_not1_saveexec_b32 s1, s1
	s_cbranch_execz .LBB274_1978
; %bb.1977:
	v_cndmask_b32_e64 v3, 0, 1.0, s0
	flat_store_b32 v[4:5], v3
.LBB274_1978:
	s_wait_xcnt 0x0
	s_or_b32 exec_lo, exec_lo, s1
                                        ; implicit-def: $vgpr4_vgpr5
.LBB274_1979:
	s_and_not1_saveexec_b32 s1, s25
	s_cbranch_execz .LBB274_1981
; %bb.1980:
	v_cndmask_b32_e64 v3, 0, 1.0, s0
	s_delay_alu instid0(VALU_DEP_1)
	v_cvt_f16_f32_e32 v3, v3
	flat_store_b16 v[4:5], v3
.LBB274_1981:
	s_wait_xcnt 0x0
	s_or_b32 exec_lo, exec_lo, s1
.LBB274_1982:
	s_delay_alu instid0(SALU_CYCLE_1)
	s_or_b32 exec_lo, exec_lo, s24
                                        ; implicit-def: $vgpr4_vgpr5
.LBB274_1983:
	s_and_not1_saveexec_b32 s23, s23
	s_cbranch_execz .LBB274_2001
; %bb.1984:
	s_mov_b32 s24, exec_lo
	v_cmpx_lt_i16_e32 1, v9
	s_xor_b32 s24, exec_lo, s24
	s_cbranch_execz .LBB274_1994
; %bb.1985:
	s_mov_b32 s25, exec_lo
	v_cmpx_lt_i16_e32 2, v9
	s_xor_b32 s25, exec_lo, s25
	s_cbranch_execz .LBB274_1991
; %bb.1986:
	v_cmp_lt_i16_e64 s1, 3, v9
	s_and_saveexec_b32 s26, s1
	s_delay_alu instid0(SALU_CYCLE_1)
	s_xor_b32 s1, exec_lo, s26
	s_cbranch_execz .LBB274_1988
; %bb.1987:
	s_mov_b32 s26, 0
	v_cndmask_b32_e64 v12, 0, 1, s0
	v_mov_b32_e32 v13, s26
	flat_store_b64 v[4:5], v[12:13]
                                        ; implicit-def: $vgpr4_vgpr5
.LBB274_1988:
	s_wait_xcnt 0x0
	s_and_not1_saveexec_b32 s1, s1
	s_cbranch_execz .LBB274_1990
; %bb.1989:
	v_cndmask_b32_e64 v3, 0, 1, s0
	flat_store_b32 v[4:5], v3
.LBB274_1990:
	s_wait_xcnt 0x0
	s_or_b32 exec_lo, exec_lo, s1
                                        ; implicit-def: $vgpr4_vgpr5
.LBB274_1991:
	s_and_not1_saveexec_b32 s1, s25
	s_cbranch_execz .LBB274_1993
; %bb.1992:
	v_cndmask_b32_e64 v3, 0, 1, s0
	flat_store_b16 v[4:5], v3
.LBB274_1993:
	s_wait_xcnt 0x0
	s_or_b32 exec_lo, exec_lo, s1
                                        ; implicit-def: $vgpr4_vgpr5
.LBB274_1994:
	s_and_not1_saveexec_b32 s24, s24
	s_cbranch_execz .LBB274_2000
; %bb.1995:
	v_cndmask_b32_e64 v3, 0, 1, s0
	s_mov_b32 s0, exec_lo
	v_cmpx_lt_i16_e32 0, v9
	s_xor_b32 s0, exec_lo, s0
	s_cbranch_execz .LBB274_1997
; %bb.1996:
	flat_store_b8 v[4:5], v3
                                        ; implicit-def: $vgpr4_vgpr5
                                        ; implicit-def: $vgpr3
.LBB274_1997:
	s_wait_xcnt 0x0
	s_and_not1_saveexec_b32 s0, s0
	s_cbranch_execz .LBB274_1999
; %bb.1998:
	flat_store_b8 v[4:5], v3
.LBB274_1999:
	s_wait_xcnt 0x0
	s_or_b32 exec_lo, exec_lo, s0
.LBB274_2000:
	s_delay_alu instid0(SALU_CYCLE_1)
	s_or_b32 exec_lo, exec_lo, s24
.LBB274_2001:
	s_delay_alu instid0(SALU_CYCLE_1) | instskip(NEXT) | instid1(SALU_CYCLE_1)
	s_or_b32 exec_lo, exec_lo, s23
	s_or_b32 s22, s22, exec_lo
.LBB274_2002:
	s_or_b32 exec_lo, exec_lo, s21
	s_mov_b32 s0, 0
	s_mov_b32 s23, 0
                                        ; implicit-def: $sgpr1
                                        ; implicit-def: $vgpr12_vgpr13
	s_and_saveexec_b32 s21, s22
	s_cbranch_execz .LBB274_2043
; %bb.2003:
	v_dual_lshlrev_b32 v3, 24, v8 :: v_dual_lshlrev_b32 v4, 24, v6
	s_mov_b32 s23, -1
	s_mov_b32 s24, s2
	s_mov_b32 s22, exec_lo
	s_delay_alu instid0(VALU_DEP_1) | instskip(SKIP_1) | instid1(VALU_DEP_2)
	v_and_b32_e32 v5, 0x7f000000, v3
	v_and_b32_e32 v6, 0x7f000000, v4
	v_clz_i32_u32_e32 v7, v5
	s_delay_alu instid0(VALU_DEP_2) | instskip(SKIP_2) | instid1(VALU_DEP_4)
	v_clz_i32_u32_e32 v8, v6
	v_add_nc_u32_e32 v13, 0x1000000, v5
	v_cmp_ne_u32_e64 s0, 0, v5
	v_min_u32_e32 v7, 32, v7
	s_delay_alu instid0(VALU_DEP_4) | instskip(NEXT) | instid1(VALU_DEP_2)
	v_min_u32_e32 v8, 32, v8
	v_sub_nc_u32_e64 v7, v7, 4 clamp
	s_delay_alu instid0(VALU_DEP_2) | instskip(NEXT) | instid1(VALU_DEP_1)
	v_sub_nc_u32_e64 v8, v8, 4 clamp
	v_dual_lshlrev_b32 v11, v7, v5 :: v_dual_lshlrev_b32 v12, v8, v6
	v_dual_lshlrev_b32 v7, 23, v7 :: v_dual_lshlrev_b32 v8, 23, v8
	s_delay_alu instid0(VALU_DEP_2) | instskip(NEXT) | instid1(VALU_DEP_1)
	v_dual_lshrrev_b32 v11, 4, v11 :: v_dual_lshrrev_b32 v12, 4, v12
	v_dual_sub_nc_u32 v7, v11, v7 :: v_dual_sub_nc_u32 v8, v12, v8
	v_add_nc_u32_e32 v11, 0x1000000, v6
	v_ashrrev_i32_e32 v12, 8, v13
	s_delay_alu instid0(VALU_DEP_3) | instskip(NEXT) | instid1(VALU_DEP_4)
	v_add_nc_u32_e32 v7, 0x3c000000, v7
	v_add_nc_u32_e32 v8, 0x3c000000, v8
	s_delay_alu instid0(VALU_DEP_4) | instskip(NEXT) | instid1(VALU_DEP_3)
	v_ashrrev_i32_e32 v11, 8, v11
	v_and_or_b32 v7, 0x7f800000, v12, v7
	s_delay_alu instid0(VALU_DEP_2) | instskip(NEXT) | instid1(VALU_DEP_2)
	v_and_or_b32 v8, 0x7f800000, v11, v8
	v_cndmask_b32_e64 v5, 0, v7, s0
	v_cmp_ne_u32_e64 s0, 0, v6
	s_delay_alu instid0(VALU_DEP_1) | instskip(NEXT) | instid1(VALU_DEP_3)
	v_cndmask_b32_e64 v6, 0, v8, s0
	v_and_or_b32 v3, 0x80000000, v3, v5
	s_delay_alu instid0(VALU_DEP_2) | instskip(NEXT) | instid1(VALU_DEP_1)
	v_and_or_b32 v4, 0x80000000, v4, v6
	v_cmp_eq_f32_e64 s0, v3, v4
	s_delay_alu instid0(VALU_DEP_1) | instskip(SKIP_1) | instid1(VALU_DEP_1)
	v_cndmask_b32_e64 v5, 0, 1, s0
	v_cmp_neq_f32_e64 s0, v3, v4
	v_cndmask_b32_e64 v3, 0, 1, s0
	s_mov_b32 s0, 0
	s_delay_alu instid0(VALU_DEP_1) | instskip(NEXT) | instid1(VALU_DEP_1)
	v_dual_cndmask_b32 v4, v3, v5, vcc_lo :: v_dual_add_nc_u32 v2, v2, v10
	v_dual_ashrrev_i32 v3, 31, v2 :: v_dual_bitop2_b32 v4, 1, v4 bitop3:0x40
	s_delay_alu instid0(VALU_DEP_1) | instskip(NEXT) | instid1(VALU_DEP_2)
	v_cmp_eq_u32_e64 s1, 1, v4
	v_add_nc_u64_e32 v[12:13], v[0:1], v[2:3]
	v_cmpx_lt_i16_e32 10, v9
	s_cbranch_execz .LBB274_2042
; %bb.2004:
	s_mov_b32 s24, 0
	s_mov_b32 s23, exec_lo
	v_cmpx_lt_i16_e32 25, v9
	s_xor_b32 s23, exec_lo, s23
	s_cbranch_execz .LBB274_2695
; %bb.2005:
	s_mov_b32 s25, exec_lo
	v_cmpx_lt_i16_e32 28, v9
	s_xor_b32 s25, exec_lo, s25
	s_cbranch_execz .LBB274_2023
; %bb.2006:
	;; [unrolled: 5-line block ×3, first 2 shown]
	s_mov_b32 s27, 0
	s_mov_b32 s0, exec_lo
	v_cmpx_lt_i16_e32 45, v9
	s_xor_b32 s0, exec_lo, s0
	s_cbranch_execz .LBB274_2011
; %bb.2008:
	s_mov_b32 s28, -1
	s_mov_b32 s27, exec_lo
	v_cmpx_eq_u16_e32 46, v9
	s_cbranch_execz .LBB274_2010
; %bb.2009:
	v_cndmask_b32_e64 v0, 0, 1.0, s1
	s_xor_b32 s28, exec_lo, -1
	s_delay_alu instid0(VALU_DEP_1) | instskip(NEXT) | instid1(VALU_DEP_1)
	v_bfe_u32 v1, v0, 16, 1
	v_add3_u32 v0, v0, v1, 0x7fff
	s_delay_alu instid0(VALU_DEP_1)
	v_lshrrev_b32_e32 v0, 16, v0
	flat_store_b32 v[12:13], v0
.LBB274_2010:
	s_wait_xcnt 0x0
	s_or_b32 exec_lo, exec_lo, s27
	s_delay_alu instid0(SALU_CYCLE_1)
	s_and_b32 s27, s28, exec_lo
.LBB274_2011:
	s_and_not1_saveexec_b32 s28, s0
	s_cbranch_execz .LBB274_2017
; %bb.2012:
	s_mov_b32 s0, -1
	s_mov_b32 s29, exec_lo
	v_cmpx_eq_u16_e32 44, v9
	s_cbranch_execz .LBB274_2016
; %bb.2013:
	v_cndmask_b32_e64 v2, 0, 1.0, s1
	s_mov_b32 s30, exec_lo
	s_delay_alu instid0(VALU_DEP_1) | instskip(NEXT) | instid1(VALU_DEP_1)
	v_dual_mov_b32 v1, 0xff :: v_dual_lshrrev_b32 v0, 23, v2
	v_cmpx_ne_u32_e32 0xff, v0
; %bb.2014:
	v_and_b32_e32 v1, 0x400000, v2
	v_and_or_b32 v2, 0x3fffff, v2, v0
	s_delay_alu instid0(VALU_DEP_2) | instskip(NEXT) | instid1(VALU_DEP_2)
	v_cmp_ne_u32_e32 vcc_lo, 0, v1
	v_cmp_ne_u32_e64 s0, 0, v2
	s_and_b32 s0, vcc_lo, s0
	s_delay_alu instid0(SALU_CYCLE_1) | instskip(NEXT) | instid1(VALU_DEP_1)
	v_cndmask_b32_e64 v1, 0, 1, s0
	v_add_nc_u32_e32 v1, v0, v1
; %bb.2015:
	s_or_b32 exec_lo, exec_lo, s30
	s_delay_alu instid0(SALU_CYCLE_1)
	s_xor_b32 s0, exec_lo, -1
	flat_store_b8 v[12:13], v1
.LBB274_2016:
	s_wait_xcnt 0x0
	s_or_b32 exec_lo, exec_lo, s29
	s_delay_alu instid0(SALU_CYCLE_1) | instskip(SKIP_1) | instid1(SALU_CYCLE_1)
	s_and_not1_b32 s27, s27, exec_lo
	s_and_b32 s0, s0, exec_lo
	s_or_b32 s27, s27, s0
.LBB274_2017:
	s_or_b32 exec_lo, exec_lo, s28
	s_delay_alu instid0(SALU_CYCLE_1)
	s_and_b32 s0, s27, exec_lo
.LBB274_2018:
	s_and_not1_saveexec_b32 s26, s26
	s_cbranch_execz .LBB274_2022
; %bb.2019:
	s_mov_b32 s28, -1
	s_mov_b32 s27, exec_lo
	v_cmpx_eq_u16_e32 29, v9
	s_cbranch_execz .LBB274_2021
; %bb.2020:
	s_mov_b32 s28, 0
	v_cndmask_b32_e64 v0, 0, 1, s1
	v_mov_b32_e32 v1, s28
	s_xor_b32 s28, exec_lo, -1
	flat_store_b64 v[12:13], v[0:1]
.LBB274_2021:
	s_wait_xcnt 0x0
	s_or_b32 exec_lo, exec_lo, s27
	s_delay_alu instid0(SALU_CYCLE_1) | instskip(SKIP_1) | instid1(SALU_CYCLE_1)
	s_and_not1_b32 s0, s0, exec_lo
	s_and_b32 s27, s28, exec_lo
	s_or_b32 s0, s0, s27
.LBB274_2022:
	s_or_b32 exec_lo, exec_lo, s26
	s_delay_alu instid0(SALU_CYCLE_1)
	s_and_b32 s0, s0, exec_lo
.LBB274_2023:
	s_and_not1_saveexec_b32 s25, s25
	s_cbranch_execz .LBB274_2039
; %bb.2024:
	s_mov_b32 s26, exec_lo
	v_cmpx_lt_i16_e32 26, v9
	s_xor_b32 s26, exec_lo, s26
	s_cbranch_execz .LBB274_2030
; %bb.2025:
	v_cndmask_b32_e64 v0, 0, 1, s1
	s_mov_b32 s27, exec_lo
	v_cmpx_lt_i16_e32 27, v9
	s_xor_b32 s27, exec_lo, s27
	s_cbranch_execz .LBB274_2027
; %bb.2026:
	flat_store_b32 v[12:13], v0
                                        ; implicit-def: $vgpr0
.LBB274_2027:
	s_wait_xcnt 0x0
	s_and_not1_saveexec_b32 s27, s27
	s_cbranch_execz .LBB274_2029
; %bb.2028:
	flat_store_b16 v[12:13], v0
.LBB274_2029:
	s_wait_xcnt 0x0
	s_or_b32 exec_lo, exec_lo, s27
.LBB274_2030:
	s_and_not1_saveexec_b32 s26, s26
	s_cbranch_execz .LBB274_2038
; %bb.2031:
	v_cndmask_b32_e64 v1, 0, 1.0, s1
	v_mov_b32_e32 v2, 0x80
	s_mov_b32 s27, exec_lo
	s_delay_alu instid0(VALU_DEP_2)
	v_cmpx_gt_u32_e32 0x43800000, v1
	s_cbranch_execz .LBB274_2037
; %bb.2032:
	s_mov_b32 s28, 0
	s_mov_b32 s29, exec_lo
                                        ; implicit-def: $vgpr0
	v_cmpx_lt_u32_e32 0x3bffffff, v1
	s_xor_b32 s29, exec_lo, s29
	s_cbranch_execz .LBB274_2750
; %bb.2033:
	v_bfe_u32 v0, v1, 20, 1
	s_mov_b32 s28, exec_lo
	s_delay_alu instid0(VALU_DEP_1) | instskip(NEXT) | instid1(VALU_DEP_1)
	v_add3_u32 v0, v1, v0, 0x487ffff
                                        ; implicit-def: $vgpr1
	v_lshrrev_b32_e32 v0, 20, v0
	s_and_not1_saveexec_b32 s29, s29
	s_cbranch_execnz .LBB274_2751
.LBB274_2034:
	s_or_b32 exec_lo, exec_lo, s29
	v_mov_b32_e32 v2, 0
	s_and_saveexec_b32 s29, s28
.LBB274_2035:
	v_mov_b32_e32 v2, v0
.LBB274_2036:
	s_or_b32 exec_lo, exec_lo, s29
.LBB274_2037:
	s_delay_alu instid0(SALU_CYCLE_1)
	s_or_b32 exec_lo, exec_lo, s27
	flat_store_b8 v[12:13], v2
.LBB274_2038:
	s_wait_xcnt 0x0
	s_or_b32 exec_lo, exec_lo, s26
.LBB274_2039:
	s_delay_alu instid0(SALU_CYCLE_1) | instskip(NEXT) | instid1(SALU_CYCLE_1)
	s_or_b32 exec_lo, exec_lo, s25
	s_and_b32 s0, s0, exec_lo
	s_and_not1_saveexec_b32 s23, s23
	s_cbranch_execnz .LBB274_2696
.LBB274_2040:
	s_or_b32 exec_lo, exec_lo, s23
	s_mov_b32 s25, s2
	s_and_saveexec_b32 s23, s0
	s_cbranch_execnz .LBB274_2737
.LBB274_2041:
	s_or_b32 exec_lo, exec_lo, s23
	s_delay_alu instid0(SALU_CYCLE_1)
	s_and_not1_b32 s26, s2, exec_lo
	s_and_b32 s25, s25, exec_lo
	s_xor_b32 s23, exec_lo, -1
	s_and_b32 s0, s24, exec_lo
	s_or_b32 s24, s26, s25
.LBB274_2042:
	s_or_b32 exec_lo, exec_lo, s22
	s_delay_alu instid0(SALU_CYCLE_1)
	s_and_not1_b32 s2, s2, exec_lo
	s_and_b32 s22, s24, exec_lo
	s_and_b32 s23, s23, exec_lo
	;; [unrolled: 1-line block ×3, first 2 shown]
	s_or_b32 s2, s2, s22
.LBB274_2043:
	s_or_b32 exec_lo, exec_lo, s21
	s_delay_alu instid0(SALU_CYCLE_1)
	s_and_not1_b32 s19, s19, exec_lo
	s_and_b32 s2, s2, exec_lo
	s_and_b32 s21, s23, exec_lo
	;; [unrolled: 1-line block ×3, first 2 shown]
	s_or_b32 s19, s19, s2
.LBB274_2044:
	s_or_b32 exec_lo, exec_lo, s20
	s_delay_alu instid0(SALU_CYCLE_1)
	s_and_not1_b32 s17, s17, exec_lo
	s_and_b32 s19, s19, exec_lo
	s_and_b32 s2, s21, exec_lo
	s_and_b32 s0, s0, exec_lo
	s_or_b32 s17, s17, s19
.LBB274_2045:
	s_or_b32 exec_lo, exec_lo, s18
	s_delay_alu instid0(SALU_CYCLE_1)
	s_and_b32 s18, s2, exec_lo
	s_and_not1_b32 s2, s13, exec_lo
	s_and_b32 s13, s17, exec_lo
	s_and_b32 s0, s0, exec_lo
	s_or_b32 s13, s2, s13
.LBB274_2046:
	s_or_b32 exec_lo, exec_lo, s16
	s_delay_alu instid0(SALU_CYCLE_1)
	s_and_not1_b32 s2, s11, exec_lo
	s_and_b32 s11, s13, exec_lo
	s_and_b32 s16, s18, exec_lo
	;; [unrolled: 1-line block ×3, first 2 shown]
	s_or_b32 s11, s2, s11
.LBB274_2047:
	s_or_b32 exec_lo, exec_lo, s12
	s_delay_alu instid0(SALU_CYCLE_1)
	s_and_not1_b32 s2, s9, exec_lo
	s_and_b32 s9, s11, exec_lo
	s_and_b32 s12, s16, exec_lo
	;; [unrolled: 1-line block ×3, first 2 shown]
	s_or_b32 s9, s2, s9
.LBB274_2048:
	s_or_b32 exec_lo, exec_lo, s10
	s_delay_alu instid0(SALU_CYCLE_1)
	s_and_not1_b32 s2, s7, exec_lo
	s_and_b32 s7, s9, exec_lo
	s_and_b32 s10, s12, exec_lo
	;; [unrolled: 1-line block ×3, first 2 shown]
	s_or_b32 s7, s2, s7
.LBB274_2049:
	s_or_b32 exec_lo, exec_lo, s8
	s_delay_alu instid0(SALU_CYCLE_1)
	s_and_not1_b32 s2, s5, exec_lo
	s_and_b32 s5, s7, exec_lo
	s_and_b32 s8, s10, exec_lo
	;; [unrolled: 1-line block ×3, first 2 shown]
	s_or_b32 s5, s2, s5
.LBB274_2050:
	s_or_b32 exec_lo, exec_lo, s6
	s_delay_alu instid0(SALU_CYCLE_1)
	s_and_not1_b32 s3, s3, exec_lo
	s_and_b32 s5, s5, exec_lo
	s_and_b32 s6, s8, exec_lo
	;; [unrolled: 1-line block ×3, first 2 shown]
	s_or_b32 s3, s3, s5
.LBB274_2051:
	s_or_b32 exec_lo, exec_lo, s4
	s_delay_alu instid0(SALU_CYCLE_1)
	s_and_not1_b32 s4, s14, exec_lo
	s_and_b32 s3, s3, exec_lo
	s_and_b32 s0, s6, exec_lo
	;; [unrolled: 1-line block ×3, first 2 shown]
	s_or_b32 s14, s4, s3
	s_or_b32 exec_lo, exec_lo, s15
	s_and_saveexec_b32 s2, s14
	s_cbranch_execnz .LBB274_2055
.LBB274_2052:
	s_or_b32 exec_lo, exec_lo, s2
	s_and_saveexec_b32 s2, s16
	s_delay_alu instid0(SALU_CYCLE_1)
	s_xor_b32 s2, exec_lo, s2
	s_cbranch_execz .LBB274_2056
.LBB274_2053:
	s_wait_loadcnt 0x1
	v_cndmask_b32_e64 v0, 0, 1, s1
	flat_store_b8 v[12:13], v0
	s_wait_xcnt 0x0
	s_or_b32 exec_lo, exec_lo, s2
	s_and_saveexec_b32 s2, s0
	s_cbranch_execz .LBB274_2095
	s_branch .LBB274_2057
.LBB274_2054:
	s_or_b32 exec_lo, exec_lo, s15
	s_and_saveexec_b32 s2, s14
	s_cbranch_execz .LBB274_2052
.LBB274_2055:
	; divergent unreachable
	s_or_b32 exec_lo, exec_lo, s2
	s_and_saveexec_b32 s2, s16
	s_delay_alu instid0(SALU_CYCLE_1)
	s_xor_b32 s2, exec_lo, s2
	s_cbranch_execnz .LBB274_2053
.LBB274_2056:
	s_or_b32 exec_lo, exec_lo, s2
	s_and_saveexec_b32 s2, s0
	s_cbranch_execz .LBB274_2095
.LBB274_2057:
	s_mov_b32 s0, exec_lo
	v_cmpx_lt_i16_e32 4, v9
	s_xor_b32 s0, exec_lo, s0
	s_cbranch_execz .LBB274_2079
; %bb.2058:
	s_mov_b32 s2, s1
	s_mov_b32 s3, exec_lo
	v_cmpx_lt_i16_e32 7, v9
	s_xor_b32 s3, exec_lo, s3
	s_cbranch_execz .LBB274_2068
; %bb.2059:
	s_mov_b32 s4, s1
	s_mov_b32 s2, exec_lo
	v_cmpx_lt_i16_e32 8, v9
	s_xor_b32 s2, exec_lo, s2
	s_cbranch_execz .LBB274_2065
; %bb.2060:
	s_mov_b32 s4, exec_lo
	v_cmpx_lt_i16_e32 9, v9
	s_xor_b32 s4, exec_lo, s4
	s_cbranch_execz .LBB274_2062
; %bb.2061:
	s_wait_loadcnt 0x1
	v_cndmask_b32_e64 v0, 0, 1, s1
	v_mov_b32_e32 v2, 0
	s_delay_alu instid0(VALU_DEP_2) | instskip(NEXT) | instid1(VALU_DEP_2)
	v_cvt_f64_u32_e32 v[0:1], v0
	v_mov_b32_e32 v3, v2
	flat_store_b128 v[12:13], v[0:3]
.LBB274_2062:
	s_wait_xcnt 0x0
	s_and_not1_saveexec_b32 s4, s4
	s_cbranch_execz .LBB274_2064
; %bb.2063:
	s_wait_loadcnt 0x1
	v_cndmask_b32_e64 v0, 0, 1.0, s1
	v_mov_b32_e32 v1, 0
	flat_store_b64 v[12:13], v[0:1]
.LBB274_2064:
	s_wait_xcnt 0x0
	s_or_b32 exec_lo, exec_lo, s4
	s_delay_alu instid0(SALU_CYCLE_1) | instskip(SKIP_1) | instid1(SALU_CYCLE_1)
	s_and_not1_b32 s4, s1, exec_lo
	s_and_b32 s5, s1, exec_lo
	s_or_b32 s4, s4, s5
.LBB274_2065:
	s_and_not1_saveexec_b32 s2, s2
	s_cbranch_execz .LBB274_2067
; %bb.2066:
	s_wait_loadcnt 0x1
	v_cndmask_b32_e64 v0, 0, 1.0, s4
	s_delay_alu instid0(VALU_DEP_1) | instskip(NEXT) | instid1(VALU_DEP_1)
	v_cvt_f16_f32_e32 v0, v0
	v_and_b32_e32 v0, 0xffff, v0
	flat_store_b32 v[12:13], v0
.LBB274_2067:
	s_wait_xcnt 0x0
	s_or_b32 exec_lo, exec_lo, s2
	s_delay_alu instid0(SALU_CYCLE_1) | instskip(SKIP_1) | instid1(SALU_CYCLE_1)
	s_and_not1_b32 s2, s1, exec_lo
	s_and_b32 s4, s4, exec_lo
	s_or_b32 s2, s2, s4
.LBB274_2068:
	s_and_not1_saveexec_b32 s3, s3
	s_cbranch_execz .LBB274_2078
; %bb.2069:
	s_mov_b32 s5, s2
	s_mov_b32 s4, exec_lo
	v_cmpx_lt_i16_e32 5, v9
	s_xor_b32 s4, exec_lo, s4
	s_cbranch_execz .LBB274_2075
; %bb.2070:
	s_mov_b32 s5, exec_lo
	v_cmpx_lt_i16_e32 6, v9
	s_xor_b32 s5, exec_lo, s5
	s_cbranch_execz .LBB274_2072
; %bb.2071:
	s_wait_loadcnt 0x1
	v_cndmask_b32_e64 v0, 0, 1, s2
	s_delay_alu instid0(VALU_DEP_1)
	v_cvt_f64_u32_e32 v[0:1], v0
	flat_store_b64 v[12:13], v[0:1]
.LBB274_2072:
	s_wait_xcnt 0x0
	s_and_not1_saveexec_b32 s5, s5
	s_cbranch_execz .LBB274_2074
; %bb.2073:
	s_wait_loadcnt 0x1
	v_cndmask_b32_e64 v0, 0, 1.0, s2
	flat_store_b32 v[12:13], v0
.LBB274_2074:
	s_wait_xcnt 0x0
	s_or_b32 exec_lo, exec_lo, s5
	s_delay_alu instid0(SALU_CYCLE_1) | instskip(SKIP_1) | instid1(SALU_CYCLE_1)
	s_and_not1_b32 s5, s2, exec_lo
	s_and_b32 s6, s2, exec_lo
	s_or_b32 s5, s5, s6
.LBB274_2075:
	s_and_not1_saveexec_b32 s4, s4
	s_cbranch_execz .LBB274_2077
; %bb.2076:
	s_wait_loadcnt 0x1
	v_cndmask_b32_e64 v0, 0, 1.0, s5
	s_delay_alu instid0(VALU_DEP_1)
	v_cvt_f16_f32_e32 v0, v0
	flat_store_b16 v[12:13], v0
.LBB274_2077:
	s_wait_xcnt 0x0
	s_or_b32 exec_lo, exec_lo, s4
	s_delay_alu instid0(SALU_CYCLE_1) | instskip(SKIP_1) | instid1(SALU_CYCLE_1)
	s_and_not1_b32 s2, s2, exec_lo
	s_and_b32 s4, s5, exec_lo
	s_or_b32 s2, s2, s4
.LBB274_2078:
	s_or_b32 exec_lo, exec_lo, s3
	s_delay_alu instid0(SALU_CYCLE_1) | instskip(SKIP_1) | instid1(SALU_CYCLE_1)
	s_and_not1_b32 s1, s1, exec_lo
	s_and_b32 s2, s2, exec_lo
	s_or_b32 s1, s1, s2
.LBB274_2079:
	s_and_not1_saveexec_b32 s0, s0
	s_cbranch_execz .LBB274_2095
; %bb.2080:
	s_mov_b32 s0, exec_lo
	v_cmpx_lt_i16_e32 1, v9
	s_xor_b32 s0, exec_lo, s0
	s_cbranch_execz .LBB274_2090
; %bb.2081:
	s_mov_b32 s3, s1
	s_mov_b32 s2, exec_lo
	v_cmpx_lt_i16_e32 2, v9
	s_xor_b32 s2, exec_lo, s2
	s_cbranch_execz .LBB274_2087
; %bb.2082:
	s_wait_loadcnt 0x1
	v_cndmask_b32_e64 v0, 0, 1, s1
	s_mov_b32 s3, exec_lo
	v_cmpx_lt_i16_e32 3, v9
	s_xor_b32 s3, exec_lo, s3
	s_cbranch_execz .LBB274_2084
; %bb.2083:
	s_mov_b32 s4, 0
	s_delay_alu instid0(SALU_CYCLE_1)
	v_mov_b32_e32 v1, s4
	flat_store_b64 v[12:13], v[0:1]
                                        ; implicit-def: $vgpr12_vgpr13
                                        ; implicit-def: $vgpr0
.LBB274_2084:
	s_wait_xcnt 0x0
	s_and_not1_saveexec_b32 s3, s3
	s_cbranch_execz .LBB274_2086
; %bb.2085:
	flat_store_b32 v[12:13], v0
.LBB274_2086:
	s_wait_xcnt 0x0
	s_or_b32 exec_lo, exec_lo, s3
	s_delay_alu instid0(SALU_CYCLE_1) | instskip(SKIP_1) | instid1(SALU_CYCLE_1)
	s_and_not1_b32 s3, s1, exec_lo
	s_and_b32 s4, s1, exec_lo
                                        ; implicit-def: $vgpr12_vgpr13
	s_or_b32 s3, s3, s4
.LBB274_2087:
	s_and_not1_saveexec_b32 s2, s2
	s_cbranch_execz .LBB274_2089
; %bb.2088:
	s_wait_loadcnt 0x1
	v_cndmask_b32_e64 v0, 0, 1, s3
	flat_store_b16 v[12:13], v0
.LBB274_2089:
	s_wait_xcnt 0x0
	s_or_b32 exec_lo, exec_lo, s2
	s_delay_alu instid0(SALU_CYCLE_1) | instskip(SKIP_1) | instid1(SALU_CYCLE_1)
	s_and_not1_b32 s1, s1, exec_lo
	s_and_b32 s2, s3, exec_lo
                                        ; implicit-def: $vgpr12_vgpr13
	s_or_b32 s1, s1, s2
.LBB274_2090:
	s_and_not1_saveexec_b32 s0, s0
	s_cbranch_execz .LBB274_2095
; %bb.2091:
	s_wait_loadcnt 0x1
	v_cndmask_b32_e64 v0, 0, 1, s1
	s_mov_b32 s0, exec_lo
	v_cmpx_lt_i16_e32 0, v9
	s_xor_b32 s0, exec_lo, s0
	s_cbranch_execz .LBB274_2093
; %bb.2092:
	flat_store_b8 v[12:13], v0
                                        ; implicit-def: $vgpr12_vgpr13
                                        ; implicit-def: $vgpr0
.LBB274_2093:
	s_wait_xcnt 0x0
	s_and_not1_saveexec_b32 s0, s0
	s_cbranch_execz .LBB274_2095
; %bb.2094:
	flat_store_b8 v[12:13], v0
	s_endpgm
.LBB274_2095:
	s_endpgm
.LBB274_2096:
	s_and_not1_saveexec_b32 s2, s2
	s_cbranch_execz .LBB274_84
.LBB274_2097:
	s_mov_b32 s4, exec_lo
	v_cmpx_lt_i16_e32 4, v2
	s_xor_b32 s4, exec_lo, s4
	s_cbranch_execz .LBB274_2119
; %bb.2098:
	s_mov_b32 s5, exec_lo
	v_cmpx_lt_i16_e32 7, v2
	s_xor_b32 s5, exec_lo, s5
	s_cbranch_execz .LBB274_2108
; %bb.2099:
	;; [unrolled: 5-line block ×3, first 2 shown]
	v_cmp_lt_i16_e64 s0, 9, v2
	s_and_saveexec_b32 s7, s0
	s_delay_alu instid0(SALU_CYCLE_1)
	s_xor_b32 s0, exec_lo, s7
	s_cbranch_execz .LBB274_2102
; %bb.2101:
	v_cndmask_b32_e64 v2, 0, 1, vcc_lo
	v_mov_b32_e32 v4, 0
	s_delay_alu instid0(VALU_DEP_2) | instskip(NEXT) | instid1(VALU_DEP_2)
	v_cvt_f64_u32_e32 v[2:3], v2
	v_mov_b32_e32 v5, v4
	flat_store_b128 v[0:1], v[2:5]
                                        ; implicit-def: $vgpr0_vgpr1
.LBB274_2102:
	s_wait_xcnt 0x0
	s_and_not1_saveexec_b32 s0, s0
	s_cbranch_execz .LBB274_2104
; %bb.2103:
	v_cndmask_b32_e64 v2, 0, 1.0, vcc_lo
	v_mov_b32_e32 v3, 0
	flat_store_b64 v[0:1], v[2:3]
.LBB274_2104:
	s_wait_xcnt 0x0
	s_or_b32 exec_lo, exec_lo, s0
                                        ; implicit-def: $vgpr0_vgpr1
.LBB274_2105:
	s_and_not1_saveexec_b32 s0, s6
	s_cbranch_execz .LBB274_2107
; %bb.2106:
	v_cndmask_b32_e64 v2, 0, 1.0, vcc_lo
	s_delay_alu instid0(VALU_DEP_1) | instskip(NEXT) | instid1(VALU_DEP_1)
	v_cvt_f16_f32_e32 v2, v2
	v_and_b32_e32 v2, 0xffff, v2
	flat_store_b32 v[0:1], v2
.LBB274_2107:
	s_wait_xcnt 0x0
	s_or_b32 exec_lo, exec_lo, s0
                                        ; implicit-def: $vgpr0_vgpr1
                                        ; implicit-def: $vgpr2
.LBB274_2108:
	s_and_not1_saveexec_b32 s5, s5
	s_cbranch_execz .LBB274_2118
; %bb.2109:
	s_mov_b32 s6, exec_lo
	v_cmpx_lt_i16_e32 5, v2
	s_xor_b32 s6, exec_lo, s6
	s_cbranch_execz .LBB274_2115
; %bb.2110:
	v_cmp_lt_i16_e64 s0, 6, v2
	s_and_saveexec_b32 s7, s0
	s_delay_alu instid0(SALU_CYCLE_1)
	s_xor_b32 s0, exec_lo, s7
	s_cbranch_execz .LBB274_2112
; %bb.2111:
	v_cndmask_b32_e64 v2, 0, 1, vcc_lo
	s_delay_alu instid0(VALU_DEP_1)
	v_cvt_f64_u32_e32 v[2:3], v2
	flat_store_b64 v[0:1], v[2:3]
                                        ; implicit-def: $vgpr0_vgpr1
.LBB274_2112:
	s_wait_xcnt 0x0
	s_and_not1_saveexec_b32 s0, s0
	s_cbranch_execz .LBB274_2114
; %bb.2113:
	v_cndmask_b32_e64 v2, 0, 1.0, vcc_lo
	flat_store_b32 v[0:1], v2
.LBB274_2114:
	s_wait_xcnt 0x0
	s_or_b32 exec_lo, exec_lo, s0
                                        ; implicit-def: $vgpr0_vgpr1
.LBB274_2115:
	s_and_not1_saveexec_b32 s0, s6
	s_cbranch_execz .LBB274_2117
; %bb.2116:
	v_cndmask_b32_e64 v2, 0, 1.0, vcc_lo
	s_delay_alu instid0(VALU_DEP_1)
	v_cvt_f16_f32_e32 v2, v2
	flat_store_b16 v[0:1], v2
.LBB274_2117:
	s_wait_xcnt 0x0
	s_or_b32 exec_lo, exec_lo, s0
.LBB274_2118:
	s_delay_alu instid0(SALU_CYCLE_1)
	s_or_b32 exec_lo, exec_lo, s5
                                        ; implicit-def: $vgpr2
                                        ; implicit-def: $vgpr0_vgpr1
.LBB274_2119:
	s_and_not1_saveexec_b32 s4, s4
	s_cbranch_execz .LBB274_2137
; %bb.2120:
	s_mov_b32 s5, exec_lo
	v_cmpx_lt_i16_e32 1, v2
	s_xor_b32 s5, exec_lo, s5
	s_cbranch_execz .LBB274_2130
; %bb.2121:
	s_mov_b32 s6, exec_lo
	v_cmpx_lt_i16_e32 2, v2
	s_xor_b32 s6, exec_lo, s6
	s_cbranch_execz .LBB274_2127
; %bb.2122:
	v_cmp_lt_i16_e64 s0, 3, v2
	s_and_saveexec_b32 s7, s0
	s_delay_alu instid0(SALU_CYCLE_1)
	s_xor_b32 s0, exec_lo, s7
	s_cbranch_execz .LBB274_2124
; %bb.2123:
	s_mov_b32 s7, 0
	v_cndmask_b32_e64 v2, 0, 1, vcc_lo
	v_mov_b32_e32 v3, s7
	flat_store_b64 v[0:1], v[2:3]
                                        ; implicit-def: $vgpr0_vgpr1
.LBB274_2124:
	s_wait_xcnt 0x0
	s_and_not1_saveexec_b32 s0, s0
	s_cbranch_execz .LBB274_2126
; %bb.2125:
	v_cndmask_b32_e64 v2, 0, 1, vcc_lo
	flat_store_b32 v[0:1], v2
.LBB274_2126:
	s_wait_xcnt 0x0
	s_or_b32 exec_lo, exec_lo, s0
                                        ; implicit-def: $vgpr0_vgpr1
.LBB274_2127:
	s_and_not1_saveexec_b32 s0, s6
	s_cbranch_execz .LBB274_2129
; %bb.2128:
	v_cndmask_b32_e64 v2, 0, 1, vcc_lo
	flat_store_b16 v[0:1], v2
.LBB274_2129:
	s_wait_xcnt 0x0
	s_or_b32 exec_lo, exec_lo, s0
                                        ; implicit-def: $vgpr0_vgpr1
                                        ; implicit-def: $vgpr2
.LBB274_2130:
	s_and_not1_saveexec_b32 s5, s5
	s_cbranch_execz .LBB274_2136
; %bb.2131:
	v_cmp_lt_i16_e64 s0, 0, v2
	v_cndmask_b32_e64 v2, 0, 1, vcc_lo
	s_and_saveexec_b32 s6, s0
	s_delay_alu instid0(SALU_CYCLE_1)
	s_xor_b32 s0, exec_lo, s6
	s_cbranch_execz .LBB274_2133
; %bb.2132:
	flat_store_b8 v[0:1], v2
                                        ; implicit-def: $vgpr0_vgpr1
                                        ; implicit-def: $vgpr2
.LBB274_2133:
	s_wait_xcnt 0x0
	s_and_not1_saveexec_b32 s0, s0
	s_cbranch_execz .LBB274_2135
; %bb.2134:
	flat_store_b8 v[0:1], v2
.LBB274_2135:
	s_wait_xcnt 0x0
	s_or_b32 exec_lo, exec_lo, s0
.LBB274_2136:
	s_delay_alu instid0(SALU_CYCLE_1)
	s_or_b32 exec_lo, exec_lo, s5
.LBB274_2137:
	s_delay_alu instid0(SALU_CYCLE_1) | instskip(NEXT) | instid1(SALU_CYCLE_1)
	s_or_b32 exec_lo, exec_lo, s4
	s_or_b32 s1, s1, exec_lo
	s_or_b32 exec_lo, exec_lo, s2
	s_mov_b32 s0, 0
	s_and_saveexec_b32 s2, s1
	s_cbranch_execnz .LBB274_85
	s_branch .LBB274_86
.LBB274_2138:
	s_and_not1_saveexec_b32 s3, s3
	s_cbranch_execz .LBB274_478
.LBB274_2139:
	s_mov_b32 s6, s4
	s_mov_b32 s2, exec_lo
                                        ; implicit-def: $vgpr15
	v_cmpx_lt_i16_e32 22, v20
	s_xor_b32 s2, exec_lo, s2
	s_cbranch_execz .LBB274_2171
; %bb.2140:
	s_mov_b32 s6, exec_lo
                                        ; implicit-def: $vgpr15
	v_cmpx_lt_i16_e32 23, v20
	s_xor_b32 s6, exec_lo, s6
	s_cbranch_execz .LBB274_2160
; %bb.2141:
	;; [unrolled: 6-line block ×3, first 2 shown]
	flat_load_u8 v9, v[2:3]
	s_mov_b32 s8, 0
	s_mov_b32 s9, exec_lo
	s_wait_loadcnt_dscnt 0x0
	v_cmpx_lt_i16_e32 0x7f, v9
	s_xor_b32 s9, exec_lo, s9
	s_cbranch_execz .LBB274_2481
; %bb.2143:
	s_mov_b32 s8, -1
	s_mov_b32 s10, exec_lo
	v_cmpx_eq_u16_e32 0x80, v9
; %bb.2144:
	s_xor_b32 s8, exec_lo, -1
; %bb.2145:
	s_or_b32 exec_lo, exec_lo, s10
	s_delay_alu instid0(SALU_CYCLE_1)
	s_and_b32 s8, s8, exec_lo
	s_or_saveexec_b32 s9, s9
	v_mov_b32_e32 v7, 0x7f800001
	s_xor_b32 exec_lo, exec_lo, s9
	s_cbranch_execnz .LBB274_2482
.LBB274_2146:
	s_or_b32 exec_lo, exec_lo, s9
	s_and_saveexec_b32 s9, s8
	s_cbranch_execz .LBB274_2148
.LBB274_2147:
	v_and_b32_e32 v7, 0xffff, v9
	s_delay_alu instid0(VALU_DEP_1) | instskip(SKIP_1) | instid1(VALU_DEP_2)
	v_dual_lshlrev_b32 v9, 24, v9 :: v_dual_bitop2_b32 v10, 3, v7 bitop3:0x40
	v_bfe_u32 v13, v7, 2, 5
	v_and_b32_e32 v9, 0x80000000, v9
	s_delay_alu instid0(VALU_DEP_3) | instskip(NEXT) | instid1(VALU_DEP_3)
	v_clz_i32_u32_e32 v11, v10
	v_cmp_eq_u32_e64 s0, 0, v13
	s_delay_alu instid0(VALU_DEP_2) | instskip(NEXT) | instid1(VALU_DEP_1)
	v_min_u32_e32 v11, 32, v11
	v_subrev_nc_u32_e32 v12, 29, v11
	v_sub_nc_u32_e32 v11, 30, v11
	s_delay_alu instid0(VALU_DEP_2) | instskip(NEXT) | instid1(VALU_DEP_2)
	v_lshlrev_b32_e32 v7, v12, v7
	v_cndmask_b32_e64 v11, v13, v11, s0
	s_delay_alu instid0(VALU_DEP_2) | instskip(NEXT) | instid1(VALU_DEP_1)
	v_and_b32_e32 v7, 3, v7
	v_cndmask_b32_e64 v7, v10, v7, s0
	s_delay_alu instid0(VALU_DEP_3) | instskip(NEXT) | instid1(VALU_DEP_2)
	v_lshl_add_u32 v10, v11, 23, 0x37800000
	v_lshlrev_b32_e32 v7, 21, v7
	s_delay_alu instid0(VALU_DEP_1)
	v_or3_b32 v7, v9, v10, v7
.LBB274_2148:
	s_or_b32 exec_lo, exec_lo, s9
	s_delay_alu instid0(VALU_DEP_1) | instskip(SKIP_1) | instid1(VALU_DEP_1)
	v_and_b32_e32 v10, 0x7fffffff, v7
	s_mov_b32 s8, exec_lo
                                        ; implicit-def: $vgpr9
	v_cmpx_gt_u32_e32 0x43f00000, v10
	s_xor_b32 s8, exec_lo, s8
	s_cbranch_execz .LBB274_2154
; %bb.2149:
	s_mov_b32 s9, exec_lo
                                        ; implicit-def: $vgpr9
	v_cmpx_lt_u32_e32 0x3c7fffff, v10
	s_xor_b32 s9, exec_lo, s9
; %bb.2150:
	v_bfe_u32 v9, v7, 20, 1
	s_delay_alu instid0(VALU_DEP_1) | instskip(NEXT) | instid1(VALU_DEP_1)
	v_add3_u32 v9, v7, v9, 0x407ffff
	v_and_b32_e32 v10, 0xff00000, v9
	v_lshrrev_b32_e32 v9, 20, v9
	s_delay_alu instid0(VALU_DEP_2) | instskip(NEXT) | instid1(VALU_DEP_1)
	v_cmp_ne_u32_e64 s0, 0x7f00000, v10
	v_cndmask_b32_e64 v9, 0x7e, v9, s0
; %bb.2151:
	s_and_not1_saveexec_b32 s0, s9
; %bb.2152:
	v_add_f32_e64 v9, 0x46800000, |v7|
; %bb.2153:
	s_or_b32 exec_lo, exec_lo, s0
                                        ; implicit-def: $vgpr10
.LBB274_2154:
	s_and_not1_saveexec_b32 s8, s8
; %bb.2155:
	v_mov_b32_e32 v9, 0x7f
	v_cmp_lt_u32_e64 s0, 0x7f800000, v10
	s_delay_alu instid0(VALU_DEP_1)
	v_cndmask_b32_e64 v9, 0x7e, v9, s0
; %bb.2156:
	s_or_b32 exec_lo, exec_lo, s8
	v_lshrrev_b32_e32 v7, 24, v7
	s_delay_alu instid0(VALU_DEP_1)
	v_and_or_b32 v15, 0x80, v7, v9
.LBB274_2157:
	s_and_not1_saveexec_b32 s0, s7
	s_cbranch_execz .LBB274_2159
; %bb.2158:
	flat_load_u8 v15, v[2:3]
.LBB274_2159:
	s_wait_xcnt 0x0
	s_or_b32 exec_lo, exec_lo, s0
.LBB274_2160:
	s_and_not1_saveexec_b32 s6, s6
	s_cbranch_execz .LBB274_2170
; %bb.2161:
	flat_load_u8 v7, v[2:3]
	s_mov_b32 s7, exec_lo
	s_wait_loadcnt_dscnt 0x0
	v_lshlrev_b32_e32 v9, 25, v7
	v_lshlrev_b16 v7, 8, v7
	s_delay_alu instid0(VALU_DEP_1) | instskip(NEXT) | instid1(VALU_DEP_3)
	v_and_or_b32 v11, 0x7f00, v7, 0.5
	v_lshrrev_b32_e32 v10, 4, v9
	v_bfe_i32 v7, v7, 0, 16
	s_delay_alu instid0(VALU_DEP_3) | instskip(NEXT) | instid1(VALU_DEP_3)
	v_add_f32_e32 v11, -0.5, v11
	v_or_b32_e32 v10, 0x70000000, v10
	s_delay_alu instid0(VALU_DEP_1) | instskip(SKIP_1) | instid1(VALU_DEP_1)
	v_mul_f32_e32 v10, 0x7800000, v10
	v_cmp_gt_u32_e64 s0, 0x8000000, v9
                                        ; implicit-def: $vgpr9
	v_cndmask_b32_e64 v11, v10, v11, s0
	s_delay_alu instid0(VALU_DEP_1) | instskip(NEXT) | instid1(VALU_DEP_1)
	v_and_or_b32 v7, 0x80000000, v7, v11
	v_and_b32_e32 v10, 0x7fffffff, v7
	s_wait_xcnt 0x0
	s_delay_alu instid0(VALU_DEP_1)
	v_cmpx_gt_u32_e32 0x43f00000, v10
	s_xor_b32 s7, exec_lo, s7
	s_cbranch_execz .LBB274_2167
; %bb.2162:
	s_mov_b32 s8, exec_lo
                                        ; implicit-def: $vgpr9
	v_cmpx_lt_u32_e32 0x3c7fffff, v10
	s_xor_b32 s8, exec_lo, s8
; %bb.2163:
	v_bfe_u32 v9, v11, 20, 1
	s_delay_alu instid0(VALU_DEP_1) | instskip(NEXT) | instid1(VALU_DEP_1)
	v_add3_u32 v9, v7, v9, 0x407ffff
	v_and_b32_e32 v10, 0xff00000, v9
	v_lshrrev_b32_e32 v9, 20, v9
	s_delay_alu instid0(VALU_DEP_2) | instskip(NEXT) | instid1(VALU_DEP_1)
	v_cmp_ne_u32_e64 s0, 0x7f00000, v10
	v_cndmask_b32_e64 v9, 0x7e, v9, s0
; %bb.2164:
	s_and_not1_saveexec_b32 s0, s8
; %bb.2165:
	v_add_f32_e64 v9, 0x46800000, |v7|
; %bb.2166:
	s_or_b32 exec_lo, exec_lo, s0
                                        ; implicit-def: $vgpr10
.LBB274_2167:
	s_and_not1_saveexec_b32 s7, s7
; %bb.2168:
	v_mov_b32_e32 v9, 0x7f
	v_cmp_lt_u32_e64 s0, 0x7f800000, v10
	s_delay_alu instid0(VALU_DEP_1)
	v_cndmask_b32_e64 v9, 0x7e, v9, s0
; %bb.2169:
	s_or_b32 exec_lo, exec_lo, s7
	v_lshrrev_b32_e32 v7, 24, v7
	s_delay_alu instid0(VALU_DEP_1)
	v_and_or_b32 v15, 0x80, v7, v9
.LBB274_2170:
	s_or_b32 exec_lo, exec_lo, s6
	s_delay_alu instid0(SALU_CYCLE_1)
	s_or_b32 s6, s4, exec_lo
.LBB274_2171:
	s_or_saveexec_b32 s2, s2
	s_mov_b32 s0, 0
	s_mov_b32 s7, s5
	s_xor_b32 exec_lo, exec_lo, s2
	s_cbranch_execz .LBB274_2187
; %bb.2172:
	s_mov_b32 s8, s5
	s_mov_b32 s9, s6
	s_mov_b32 s7, exec_lo
                                        ; implicit-def: $vgpr15
	v_cmpx_lt_i16_e32 14, v20
	s_xor_b32 s7, exec_lo, s7
	s_cbranch_execz .LBB274_2184
; %bb.2173:
	s_mov_b32 s9, -1
	s_mov_b32 s10, s6
	s_mov_b32 s8, exec_lo
                                        ; implicit-def: $vgpr15
	v_cmpx_eq_u16_e32 15, v20
	s_cbranch_execz .LBB274_2183
; %bb.2174:
	flat_load_u16 v7, v[2:3]
	s_mov_b32 s9, exec_lo
                                        ; implicit-def: $vgpr9
	s_wait_loadcnt_dscnt 0x0
	v_lshlrev_b32_e32 v10, 16, v7
	s_delay_alu instid0(VALU_DEP_1) | instskip(SKIP_1) | instid1(VALU_DEP_1)
	v_and_b32_e32 v11, 0x7fffffff, v10
	s_wait_xcnt 0x0
	v_cmpx_gt_u32_e32 0x43f00000, v11
	s_xor_b32 s9, exec_lo, s9
	s_cbranch_execz .LBB274_2180
; %bb.2175:
	s_mov_b32 s10, exec_lo
                                        ; implicit-def: $vgpr9
	v_cmpx_lt_u32_e32 0x3c7fffff, v11
	s_xor_b32 s10, exec_lo, s10
; %bb.2176:
	v_bfe_u32 v9, v7, 4, 1
	s_delay_alu instid0(VALU_DEP_1) | instskip(NEXT) | instid1(VALU_DEP_1)
	v_add3_u32 v9, v10, v9, 0x407ffff
	v_and_b32_e32 v10, 0xff00000, v9
	v_lshrrev_b32_e32 v9, 20, v9
	s_delay_alu instid0(VALU_DEP_2) | instskip(NEXT) | instid1(VALU_DEP_1)
	v_cmp_ne_u32_e64 s0, 0x7f00000, v10
                                        ; implicit-def: $vgpr10
	v_cndmask_b32_e64 v9, 0x7e, v9, s0
; %bb.2177:
	s_and_not1_saveexec_b32 s0, s10
; %bb.2178:
	v_add_f32_e64 v9, 0x46800000, |v10|
; %bb.2179:
	s_or_b32 exec_lo, exec_lo, s0
                                        ; implicit-def: $vgpr11
.LBB274_2180:
	s_and_not1_saveexec_b32 s9, s9
; %bb.2181:
	v_mov_b32_e32 v9, 0x7f
	v_cmp_lt_u32_e64 s0, 0x7f800000, v11
	s_delay_alu instid0(VALU_DEP_1)
	v_cndmask_b32_e64 v9, 0x7e, v9, s0
; %bb.2182:
	s_or_b32 exec_lo, exec_lo, s9
	v_lshrrev_b32_e32 v7, 8, v7
	s_or_b32 s10, s6, exec_lo
	s_xor_b32 s9, exec_lo, -1
	s_delay_alu instid0(VALU_DEP_1)
	v_and_or_b32 v15, 0x80, v7, v9
.LBB274_2183:
	s_or_b32 exec_lo, exec_lo, s8
	s_delay_alu instid0(SALU_CYCLE_1)
	s_and_not1_b32 s0, s6, exec_lo
	s_and_b32 s8, s10, exec_lo
	s_and_not1_b32 s10, s5, exec_lo
	s_and_b32 s11, s9, exec_lo
	s_or_b32 s9, s0, s8
	s_or_b32 s8, s10, s11
.LBB274_2184:
	s_or_saveexec_b32 s10, s7
	s_mov_b32 s7, 0
	s_xor_b32 exec_lo, exec_lo, s10
; %bb.2185:
	v_cmp_ne_u16_e64 s0, 11, v20
	s_and_not1_b32 s8, s8, exec_lo
	s_mov_b32 s7, exec_lo
	s_and_b32 s0, s0, exec_lo
	s_delay_alu instid0(SALU_CYCLE_1)
	s_or_b32 s8, s8, s0
; %bb.2186:
	s_or_b32 exec_lo, exec_lo, s10
	s_delay_alu instid0(SALU_CYCLE_1)
	s_and_not1_b32 s0, s6, exec_lo
	s_and_b32 s6, s9, exec_lo
	s_and_not1_b32 s9, s5, exec_lo
	s_and_b32 s8, s8, exec_lo
	s_or_b32 s6, s0, s6
	s_and_b32 s0, s7, exec_lo
	s_or_b32 s7, s9, s8
.LBB274_2187:
	s_or_b32 exec_lo, exec_lo, s2
	s_delay_alu instid0(SALU_CYCLE_1)
	s_and_not1_b32 s2, s4, exec_lo
	s_and_b32 s4, s6, exec_lo
	s_and_not1_b32 s5, s5, exec_lo
	s_and_b32 s6, s7, exec_lo
	s_or_b32 s4, s2, s4
	s_and_b32 s2, s0, exec_lo
	s_or_b32 s5, s5, s6
	s_or_b32 exec_lo, exec_lo, s3
	s_mov_b32 s3, s14
	s_and_saveexec_b32 s0, s5
	s_cbranch_execz .LBB274_479
.LBB274_2188:
	s_or_b32 s3, s14, exec_lo
	s_and_not1_b32 s2, s2, exec_lo
	s_trap 2
	s_or_b32 exec_lo, exec_lo, s0
	s_and_saveexec_b32 s5, s2
	s_cbranch_execnz .LBB274_480
	s_branch .LBB274_489
.LBB274_2189:
	s_and_not1_saveexec_b32 s2, s2
	s_cbranch_execz .LBB274_171
.LBB274_2190:
	s_mov_b32 s4, exec_lo
	v_cmpx_lt_i16_e32 4, v2
	s_xor_b32 s4, exec_lo, s4
	s_cbranch_execz .LBB274_2212
; %bb.2191:
	s_mov_b32 s5, exec_lo
	v_cmpx_lt_i16_e32 7, v2
	s_xor_b32 s5, exec_lo, s5
	s_cbranch_execz .LBB274_2201
; %bb.2192:
	;; [unrolled: 5-line block ×3, first 2 shown]
	v_cmp_lt_i16_e64 s0, 9, v2
	s_and_saveexec_b32 s7, s0
	s_delay_alu instid0(SALU_CYCLE_1)
	s_xor_b32 s0, exec_lo, s7
	s_cbranch_execz .LBB274_2195
; %bb.2194:
	v_cndmask_b32_e64 v2, 0, 1, vcc_lo
	v_mov_b32_e32 v4, 0
	s_delay_alu instid0(VALU_DEP_2) | instskip(NEXT) | instid1(VALU_DEP_2)
	v_cvt_f64_u32_e32 v[2:3], v2
	v_mov_b32_e32 v5, v4
	flat_store_b128 v[0:1], v[2:5]
                                        ; implicit-def: $vgpr0_vgpr1
.LBB274_2195:
	s_wait_xcnt 0x0
	s_and_not1_saveexec_b32 s0, s0
	s_cbranch_execz .LBB274_2197
; %bb.2196:
	v_cndmask_b32_e64 v2, 0, 1.0, vcc_lo
	v_mov_b32_e32 v3, 0
	flat_store_b64 v[0:1], v[2:3]
.LBB274_2197:
	s_wait_xcnt 0x0
	s_or_b32 exec_lo, exec_lo, s0
                                        ; implicit-def: $vgpr0_vgpr1
.LBB274_2198:
	s_and_not1_saveexec_b32 s0, s6
	s_cbranch_execz .LBB274_2200
; %bb.2199:
	v_cndmask_b32_e64 v2, 0, 1.0, vcc_lo
	s_delay_alu instid0(VALU_DEP_1) | instskip(NEXT) | instid1(VALU_DEP_1)
	v_cvt_f16_f32_e32 v2, v2
	v_and_b32_e32 v2, 0xffff, v2
	flat_store_b32 v[0:1], v2
.LBB274_2200:
	s_wait_xcnt 0x0
	s_or_b32 exec_lo, exec_lo, s0
                                        ; implicit-def: $vgpr0_vgpr1
                                        ; implicit-def: $vgpr2
.LBB274_2201:
	s_and_not1_saveexec_b32 s5, s5
	s_cbranch_execz .LBB274_2211
; %bb.2202:
	s_mov_b32 s6, exec_lo
	v_cmpx_lt_i16_e32 5, v2
	s_xor_b32 s6, exec_lo, s6
	s_cbranch_execz .LBB274_2208
; %bb.2203:
	v_cmp_lt_i16_e64 s0, 6, v2
	s_and_saveexec_b32 s7, s0
	s_delay_alu instid0(SALU_CYCLE_1)
	s_xor_b32 s0, exec_lo, s7
	s_cbranch_execz .LBB274_2205
; %bb.2204:
	v_cndmask_b32_e64 v2, 0, 1, vcc_lo
	s_delay_alu instid0(VALU_DEP_1)
	v_cvt_f64_u32_e32 v[2:3], v2
	flat_store_b64 v[0:1], v[2:3]
                                        ; implicit-def: $vgpr0_vgpr1
.LBB274_2205:
	s_wait_xcnt 0x0
	s_and_not1_saveexec_b32 s0, s0
	s_cbranch_execz .LBB274_2207
; %bb.2206:
	v_cndmask_b32_e64 v2, 0, 1.0, vcc_lo
	flat_store_b32 v[0:1], v2
.LBB274_2207:
	s_wait_xcnt 0x0
	s_or_b32 exec_lo, exec_lo, s0
                                        ; implicit-def: $vgpr0_vgpr1
.LBB274_2208:
	s_and_not1_saveexec_b32 s0, s6
	s_cbranch_execz .LBB274_2210
; %bb.2209:
	v_cndmask_b32_e64 v2, 0, 1.0, vcc_lo
	s_delay_alu instid0(VALU_DEP_1)
	v_cvt_f16_f32_e32 v2, v2
	flat_store_b16 v[0:1], v2
.LBB274_2210:
	s_wait_xcnt 0x0
	s_or_b32 exec_lo, exec_lo, s0
.LBB274_2211:
	s_delay_alu instid0(SALU_CYCLE_1)
	s_or_b32 exec_lo, exec_lo, s5
                                        ; implicit-def: $vgpr2
                                        ; implicit-def: $vgpr0_vgpr1
.LBB274_2212:
	s_and_not1_saveexec_b32 s4, s4
	s_cbranch_execz .LBB274_2230
; %bb.2213:
	s_mov_b32 s5, exec_lo
	v_cmpx_lt_i16_e32 1, v2
	s_xor_b32 s5, exec_lo, s5
	s_cbranch_execz .LBB274_2223
; %bb.2214:
	s_mov_b32 s6, exec_lo
	v_cmpx_lt_i16_e32 2, v2
	s_xor_b32 s6, exec_lo, s6
	s_cbranch_execz .LBB274_2220
; %bb.2215:
	v_cmp_lt_i16_e64 s0, 3, v2
	s_and_saveexec_b32 s7, s0
	s_delay_alu instid0(SALU_CYCLE_1)
	s_xor_b32 s0, exec_lo, s7
	s_cbranch_execz .LBB274_2217
; %bb.2216:
	s_mov_b32 s7, 0
	v_cndmask_b32_e64 v2, 0, 1, vcc_lo
	v_mov_b32_e32 v3, s7
	flat_store_b64 v[0:1], v[2:3]
                                        ; implicit-def: $vgpr0_vgpr1
.LBB274_2217:
	s_wait_xcnt 0x0
	s_and_not1_saveexec_b32 s0, s0
	s_cbranch_execz .LBB274_2219
; %bb.2218:
	v_cndmask_b32_e64 v2, 0, 1, vcc_lo
	flat_store_b32 v[0:1], v2
.LBB274_2219:
	s_wait_xcnt 0x0
	s_or_b32 exec_lo, exec_lo, s0
                                        ; implicit-def: $vgpr0_vgpr1
.LBB274_2220:
	s_and_not1_saveexec_b32 s0, s6
	s_cbranch_execz .LBB274_2222
; %bb.2221:
	v_cndmask_b32_e64 v2, 0, 1, vcc_lo
	flat_store_b16 v[0:1], v2
.LBB274_2222:
	s_wait_xcnt 0x0
	s_or_b32 exec_lo, exec_lo, s0
                                        ; implicit-def: $vgpr0_vgpr1
                                        ; implicit-def: $vgpr2
.LBB274_2223:
	s_and_not1_saveexec_b32 s5, s5
	s_cbranch_execz .LBB274_2229
; %bb.2224:
	v_cmp_lt_i16_e64 s0, 0, v2
	v_cndmask_b32_e64 v2, 0, 1, vcc_lo
	s_and_saveexec_b32 s6, s0
	s_delay_alu instid0(SALU_CYCLE_1)
	s_xor_b32 s0, exec_lo, s6
	s_cbranch_execz .LBB274_2226
; %bb.2225:
	flat_store_b8 v[0:1], v2
                                        ; implicit-def: $vgpr0_vgpr1
                                        ; implicit-def: $vgpr2
.LBB274_2226:
	s_wait_xcnt 0x0
	s_and_not1_saveexec_b32 s0, s0
	s_cbranch_execz .LBB274_2228
; %bb.2227:
	flat_store_b8 v[0:1], v2
.LBB274_2228:
	s_wait_xcnt 0x0
	s_or_b32 exec_lo, exec_lo, s0
.LBB274_2229:
	s_delay_alu instid0(SALU_CYCLE_1)
	s_or_b32 exec_lo, exec_lo, s5
.LBB274_2230:
	s_delay_alu instid0(SALU_CYCLE_1) | instskip(NEXT) | instid1(SALU_CYCLE_1)
	s_or_b32 exec_lo, exec_lo, s4
	s_or_b32 s1, s1, exec_lo
	s_or_b32 exec_lo, exec_lo, s2
	s_mov_b32 s0, 0
	s_and_saveexec_b32 s2, s1
	s_cbranch_execnz .LBB274_172
	s_branch .LBB274_173
.LBB274_2231:
	s_and_not1_saveexec_b32 s5, s5
	s_cbranch_execz .LBB274_704
.LBB274_2232:
	s_mov_b32 s8, s6
	s_mov_b32 s2, exec_lo
                                        ; implicit-def: $vgpr18
	v_cmpx_lt_i16_e32 22, v19
	s_xor_b32 s2, exec_lo, s2
	s_cbranch_execz .LBB274_2264
; %bb.2233:
	s_mov_b32 s8, exec_lo
                                        ; implicit-def: $vgpr18
	v_cmpx_lt_i16_e32 23, v19
	s_xor_b32 s8, exec_lo, s8
	s_cbranch_execz .LBB274_2253
; %bb.2234:
	;; [unrolled: 6-line block ×3, first 2 shown]
	flat_load_u8 v9, v[10:11]
	s_mov_b32 s10, 0
	s_mov_b32 s11, exec_lo
	s_wait_loadcnt_dscnt 0x0
	v_cmpx_lt_i16_e32 0x7f, v9
	s_xor_b32 s11, exec_lo, s11
	s_cbranch_execz .LBB274_2538
; %bb.2236:
	s_mov_b32 s10, -1
	s_mov_b32 s12, exec_lo
	v_cmpx_eq_u16_e32 0x80, v9
; %bb.2237:
	s_xor_b32 s10, exec_lo, -1
; %bb.2238:
	s_or_b32 exec_lo, exec_lo, s12
	s_delay_alu instid0(SALU_CYCLE_1)
	s_and_b32 s10, s10, exec_lo
	s_or_saveexec_b32 s11, s11
	v_mov_b32_e32 v7, 0x7f800001
	s_xor_b32 exec_lo, exec_lo, s11
	s_cbranch_execnz .LBB274_2539
.LBB274_2239:
	s_or_b32 exec_lo, exec_lo, s11
	s_and_saveexec_b32 s11, s10
	s_cbranch_execz .LBB274_2241
.LBB274_2240:
	v_and_b32_e32 v7, 0xffff, v9
	s_delay_alu instid0(VALU_DEP_1) | instskip(SKIP_1) | instid1(VALU_DEP_2)
	v_and_b32_e32 v12, 3, v7
	v_bfe_u32 v23, v7, 2, 5
	v_clz_i32_u32_e32 v13, v12
	s_delay_alu instid0(VALU_DEP_2) | instskip(NEXT) | instid1(VALU_DEP_2)
	v_cmp_eq_u32_e64 s0, 0, v23
	v_min_u32_e32 v13, 32, v13
	s_delay_alu instid0(VALU_DEP_1) | instskip(NEXT) | instid1(VALU_DEP_1)
	v_subrev_nc_u32_e32 v18, 29, v13
	v_dual_lshlrev_b32 v7, v18, v7 :: v_dual_sub_nc_u32 v13, 30, v13
	s_delay_alu instid0(VALU_DEP_1) | instskip(NEXT) | instid1(VALU_DEP_1)
	v_dual_lshlrev_b32 v9, 24, v9 :: v_dual_bitop2_b32 v7, 3, v7 bitop3:0x40
	v_dual_cndmask_b32 v7, v12, v7, s0 :: v_dual_cndmask_b32 v13, v23, v13, s0
	s_delay_alu instid0(VALU_DEP_2) | instskip(NEXT) | instid1(VALU_DEP_2)
	v_and_b32_e32 v9, 0x80000000, v9
	v_lshlrev_b32_e32 v7, 21, v7
	s_delay_alu instid0(VALU_DEP_3) | instskip(NEXT) | instid1(VALU_DEP_1)
	v_lshl_add_u32 v12, v13, 23, 0x37800000
	v_or3_b32 v7, v9, v12, v7
.LBB274_2241:
	s_or_b32 exec_lo, exec_lo, s11
	s_delay_alu instid0(VALU_DEP_1) | instskip(SKIP_1) | instid1(VALU_DEP_1)
	v_and_b32_e32 v12, 0x7fffffff, v7
	s_mov_b32 s10, exec_lo
                                        ; implicit-def: $vgpr9
	v_cmpx_gt_u32_e32 0x43f00000, v12
	s_xor_b32 s10, exec_lo, s10
	s_cbranch_execz .LBB274_2247
; %bb.2242:
	s_mov_b32 s11, exec_lo
                                        ; implicit-def: $vgpr9
	v_cmpx_lt_u32_e32 0x3c7fffff, v12
	s_xor_b32 s11, exec_lo, s11
; %bb.2243:
	v_bfe_u32 v9, v7, 20, 1
	s_delay_alu instid0(VALU_DEP_1) | instskip(NEXT) | instid1(VALU_DEP_1)
	v_add3_u32 v9, v7, v9, 0x407ffff
	v_and_b32_e32 v12, 0xff00000, v9
	v_lshrrev_b32_e32 v9, 20, v9
	s_delay_alu instid0(VALU_DEP_2) | instskip(NEXT) | instid1(VALU_DEP_1)
	v_cmp_ne_u32_e64 s0, 0x7f00000, v12
	v_cndmask_b32_e64 v9, 0x7e, v9, s0
; %bb.2244:
	s_and_not1_saveexec_b32 s0, s11
; %bb.2245:
	v_add_f32_e64 v9, 0x46800000, |v7|
; %bb.2246:
	s_or_b32 exec_lo, exec_lo, s0
                                        ; implicit-def: $vgpr12
.LBB274_2247:
	s_and_not1_saveexec_b32 s10, s10
; %bb.2248:
	v_mov_b32_e32 v9, 0x7f
	v_cmp_lt_u32_e64 s0, 0x7f800000, v12
	s_delay_alu instid0(VALU_DEP_1)
	v_cndmask_b32_e64 v9, 0x7e, v9, s0
; %bb.2249:
	s_or_b32 exec_lo, exec_lo, s10
	v_lshrrev_b32_e32 v7, 24, v7
	s_delay_alu instid0(VALU_DEP_1)
	v_and_or_b32 v18, 0x80, v7, v9
.LBB274_2250:
	s_and_not1_saveexec_b32 s0, s9
	s_cbranch_execz .LBB274_2252
; %bb.2251:
	flat_load_u8 v18, v[10:11]
.LBB274_2252:
	s_wait_xcnt 0x0
	s_or_b32 exec_lo, exec_lo, s0
.LBB274_2253:
	s_and_not1_saveexec_b32 s8, s8
	s_cbranch_execz .LBB274_2263
; %bb.2254:
	flat_load_u8 v7, v[10:11]
	s_mov_b32 s9, exec_lo
	s_wait_loadcnt_dscnt 0x0
	v_lshlrev_b32_e32 v9, 25, v7
	v_lshlrev_b16 v7, 8, v7
	s_delay_alu instid0(VALU_DEP_1) | instskip(SKIP_1) | instid1(VALU_DEP_2)
	v_and_or_b32 v13, 0x7f00, v7, 0.5
	v_bfe_i32 v7, v7, 0, 16
	v_add_f32_e32 v13, -0.5, v13
	v_lshrrev_b32_e32 v12, 4, v9
	v_cmp_gt_u32_e64 s0, 0x8000000, v9
                                        ; implicit-def: $vgpr9
	s_delay_alu instid0(VALU_DEP_2) | instskip(NEXT) | instid1(VALU_DEP_1)
	v_or_b32_e32 v12, 0x70000000, v12
	v_mul_f32_e32 v12, 0x7800000, v12
	s_delay_alu instid0(VALU_DEP_1) | instskip(NEXT) | instid1(VALU_DEP_1)
	v_cndmask_b32_e64 v13, v12, v13, s0
	v_and_or_b32 v7, 0x80000000, v7, v13
	s_delay_alu instid0(VALU_DEP_1) | instskip(SKIP_1) | instid1(VALU_DEP_1)
	v_and_b32_e32 v12, 0x7fffffff, v7
	s_wait_xcnt 0x0
	v_cmpx_gt_u32_e32 0x43f00000, v12
	s_xor_b32 s9, exec_lo, s9
	s_cbranch_execz .LBB274_2260
; %bb.2255:
	s_mov_b32 s10, exec_lo
                                        ; implicit-def: $vgpr9
	v_cmpx_lt_u32_e32 0x3c7fffff, v12
	s_xor_b32 s10, exec_lo, s10
; %bb.2256:
	v_bfe_u32 v9, v13, 20, 1
	s_delay_alu instid0(VALU_DEP_1) | instskip(NEXT) | instid1(VALU_DEP_1)
	v_add3_u32 v9, v7, v9, 0x407ffff
	v_and_b32_e32 v12, 0xff00000, v9
	v_lshrrev_b32_e32 v9, 20, v9
	s_delay_alu instid0(VALU_DEP_2) | instskip(NEXT) | instid1(VALU_DEP_1)
	v_cmp_ne_u32_e64 s0, 0x7f00000, v12
	v_cndmask_b32_e64 v9, 0x7e, v9, s0
; %bb.2257:
	s_and_not1_saveexec_b32 s0, s10
; %bb.2258:
	v_add_f32_e64 v9, 0x46800000, |v7|
; %bb.2259:
	s_or_b32 exec_lo, exec_lo, s0
                                        ; implicit-def: $vgpr12
.LBB274_2260:
	s_and_not1_saveexec_b32 s9, s9
; %bb.2261:
	v_mov_b32_e32 v9, 0x7f
	v_cmp_lt_u32_e64 s0, 0x7f800000, v12
	s_delay_alu instid0(VALU_DEP_1)
	v_cndmask_b32_e64 v9, 0x7e, v9, s0
; %bb.2262:
	s_or_b32 exec_lo, exec_lo, s9
	v_lshrrev_b32_e32 v7, 24, v7
	s_delay_alu instid0(VALU_DEP_1)
	v_and_or_b32 v18, 0x80, v7, v9
.LBB274_2263:
	s_or_b32 exec_lo, exec_lo, s8
	s_delay_alu instid0(SALU_CYCLE_1)
	s_or_b32 s8, s6, exec_lo
.LBB274_2264:
	s_or_saveexec_b32 s2, s2
	s_mov_b32 s0, 0
	s_mov_b32 s9, s7
	s_xor_b32 exec_lo, exec_lo, s2
	s_cbranch_execz .LBB274_2280
; %bb.2265:
	s_mov_b32 s10, s7
	s_mov_b32 s11, s8
	s_mov_b32 s9, exec_lo
                                        ; implicit-def: $vgpr18
	v_cmpx_lt_i16_e32 14, v19
	s_xor_b32 s9, exec_lo, s9
	s_cbranch_execz .LBB274_2277
; %bb.2266:
	s_mov_b32 s11, -1
	s_mov_b32 s12, s8
	s_mov_b32 s10, exec_lo
                                        ; implicit-def: $vgpr18
	v_cmpx_eq_u16_e32 15, v19
	s_cbranch_execz .LBB274_2276
; %bb.2267:
	flat_load_u16 v7, v[10:11]
	s_mov_b32 s11, exec_lo
                                        ; implicit-def: $vgpr9
	s_wait_loadcnt_dscnt 0x0
	v_lshlrev_b32_e32 v12, 16, v7
	s_delay_alu instid0(VALU_DEP_1) | instskip(SKIP_1) | instid1(VALU_DEP_1)
	v_and_b32_e32 v13, 0x7fffffff, v12
	s_wait_xcnt 0x0
	v_cmpx_gt_u32_e32 0x43f00000, v13
	s_xor_b32 s11, exec_lo, s11
	s_cbranch_execz .LBB274_2273
; %bb.2268:
	s_mov_b32 s12, exec_lo
                                        ; implicit-def: $vgpr9
	v_cmpx_lt_u32_e32 0x3c7fffff, v13
	s_xor_b32 s12, exec_lo, s12
; %bb.2269:
	v_bfe_u32 v9, v7, 4, 1
	s_delay_alu instid0(VALU_DEP_1) | instskip(NEXT) | instid1(VALU_DEP_1)
	v_add3_u32 v9, v12, v9, 0x407ffff
	v_and_b32_e32 v12, 0xff00000, v9
	v_lshrrev_b32_e32 v9, 20, v9
	s_delay_alu instid0(VALU_DEP_2) | instskip(NEXT) | instid1(VALU_DEP_1)
	v_cmp_ne_u32_e64 s0, 0x7f00000, v12
                                        ; implicit-def: $vgpr12
	v_cndmask_b32_e64 v9, 0x7e, v9, s0
; %bb.2270:
	s_and_not1_saveexec_b32 s0, s12
; %bb.2271:
	v_add_f32_e64 v9, 0x46800000, |v12|
; %bb.2272:
	s_or_b32 exec_lo, exec_lo, s0
                                        ; implicit-def: $vgpr13
.LBB274_2273:
	s_and_not1_saveexec_b32 s11, s11
; %bb.2274:
	v_mov_b32_e32 v9, 0x7f
	v_cmp_lt_u32_e64 s0, 0x7f800000, v13
	s_delay_alu instid0(VALU_DEP_1)
	v_cndmask_b32_e64 v9, 0x7e, v9, s0
; %bb.2275:
	s_or_b32 exec_lo, exec_lo, s11
	v_lshrrev_b32_e32 v7, 8, v7
	s_or_b32 s12, s8, exec_lo
	s_xor_b32 s11, exec_lo, -1
	s_delay_alu instid0(VALU_DEP_1)
	v_and_or_b32 v18, 0x80, v7, v9
.LBB274_2276:
	s_or_b32 exec_lo, exec_lo, s10
	s_delay_alu instid0(SALU_CYCLE_1)
	s_and_not1_b32 s0, s8, exec_lo
	s_and_b32 s10, s12, exec_lo
	s_and_not1_b32 s12, s7, exec_lo
	s_and_b32 s13, s11, exec_lo
	s_or_b32 s11, s0, s10
	s_or_b32 s10, s12, s13
.LBB274_2277:
	s_or_saveexec_b32 s12, s9
	s_mov_b32 s9, 0
	s_xor_b32 exec_lo, exec_lo, s12
; %bb.2278:
	v_cmp_ne_u16_e64 s0, 11, v19
	s_and_not1_b32 s10, s10, exec_lo
	s_mov_b32 s9, exec_lo
	s_and_b32 s0, s0, exec_lo
	s_delay_alu instid0(SALU_CYCLE_1)
	s_or_b32 s10, s10, s0
; %bb.2279:
	s_or_b32 exec_lo, exec_lo, s12
	s_delay_alu instid0(SALU_CYCLE_1)
	s_and_not1_b32 s0, s8, exec_lo
	s_and_b32 s8, s11, exec_lo
	s_and_not1_b32 s11, s7, exec_lo
	s_and_b32 s10, s10, exec_lo
	s_or_b32 s8, s0, s8
	s_and_b32 s0, s9, exec_lo
	s_or_b32 s9, s11, s10
.LBB274_2280:
	s_or_b32 exec_lo, exec_lo, s2
	s_delay_alu instid0(SALU_CYCLE_1)
	s_and_not1_b32 s2, s6, exec_lo
	s_and_b32 s6, s8, exec_lo
	s_and_not1_b32 s7, s7, exec_lo
	s_and_b32 s8, s9, exec_lo
	s_or_b32 s6, s2, s6
	s_and_b32 s2, s0, exec_lo
	s_or_b32 s7, s7, s8
	s_or_b32 exec_lo, exec_lo, s5
	s_mov_b32 s5, s3
	s_and_saveexec_b32 s0, s7
	s_cbranch_execz .LBB274_705
.LBB274_2281:
	s_or_b32 s5, s3, exec_lo
	s_and_not1_b32 s2, s2, exec_lo
	s_trap 2
	s_or_b32 exec_lo, exec_lo, s0
	s_and_saveexec_b32 s7, s2
	s_cbranch_execnz .LBB274_706
	s_branch .LBB274_715
.LBB274_2282:
	s_and_not1_saveexec_b32 s2, s2
	s_cbranch_execz .LBB274_258
.LBB274_2283:
	s_mov_b32 s4, exec_lo
	v_cmpx_lt_i16_e32 4, v2
	s_xor_b32 s4, exec_lo, s4
	s_cbranch_execz .LBB274_2305
; %bb.2284:
	s_mov_b32 s5, exec_lo
	v_cmpx_lt_i16_e32 7, v2
	s_xor_b32 s5, exec_lo, s5
	s_cbranch_execz .LBB274_2294
; %bb.2285:
	;; [unrolled: 5-line block ×3, first 2 shown]
	v_cmp_lt_i16_e64 s0, 9, v2
	s_and_saveexec_b32 s7, s0
	s_delay_alu instid0(SALU_CYCLE_1)
	s_xor_b32 s0, exec_lo, s7
	s_cbranch_execz .LBB274_2288
; %bb.2287:
	v_cndmask_b32_e64 v2, 0, 1, vcc_lo
	v_mov_b32_e32 v4, 0
	s_delay_alu instid0(VALU_DEP_2) | instskip(NEXT) | instid1(VALU_DEP_2)
	v_cvt_f64_u32_e32 v[2:3], v2
	v_mov_b32_e32 v5, v4
	flat_store_b128 v[0:1], v[2:5]
                                        ; implicit-def: $vgpr0_vgpr1
.LBB274_2288:
	s_wait_xcnt 0x0
	s_and_not1_saveexec_b32 s0, s0
	s_cbranch_execz .LBB274_2290
; %bb.2289:
	v_cndmask_b32_e64 v2, 0, 1.0, vcc_lo
	v_mov_b32_e32 v3, 0
	flat_store_b64 v[0:1], v[2:3]
.LBB274_2290:
	s_wait_xcnt 0x0
	s_or_b32 exec_lo, exec_lo, s0
                                        ; implicit-def: $vgpr0_vgpr1
.LBB274_2291:
	s_and_not1_saveexec_b32 s0, s6
	s_cbranch_execz .LBB274_2293
; %bb.2292:
	v_cndmask_b32_e64 v2, 0, 1.0, vcc_lo
	s_delay_alu instid0(VALU_DEP_1) | instskip(NEXT) | instid1(VALU_DEP_1)
	v_cvt_f16_f32_e32 v2, v2
	v_and_b32_e32 v2, 0xffff, v2
	flat_store_b32 v[0:1], v2
.LBB274_2293:
	s_wait_xcnt 0x0
	s_or_b32 exec_lo, exec_lo, s0
                                        ; implicit-def: $vgpr0_vgpr1
                                        ; implicit-def: $vgpr2
.LBB274_2294:
	s_and_not1_saveexec_b32 s5, s5
	s_cbranch_execz .LBB274_2304
; %bb.2295:
	s_mov_b32 s6, exec_lo
	v_cmpx_lt_i16_e32 5, v2
	s_xor_b32 s6, exec_lo, s6
	s_cbranch_execz .LBB274_2301
; %bb.2296:
	v_cmp_lt_i16_e64 s0, 6, v2
	s_and_saveexec_b32 s7, s0
	s_delay_alu instid0(SALU_CYCLE_1)
	s_xor_b32 s0, exec_lo, s7
	s_cbranch_execz .LBB274_2298
; %bb.2297:
	v_cndmask_b32_e64 v2, 0, 1, vcc_lo
	s_delay_alu instid0(VALU_DEP_1)
	v_cvt_f64_u32_e32 v[2:3], v2
	flat_store_b64 v[0:1], v[2:3]
                                        ; implicit-def: $vgpr0_vgpr1
.LBB274_2298:
	s_wait_xcnt 0x0
	s_and_not1_saveexec_b32 s0, s0
	s_cbranch_execz .LBB274_2300
; %bb.2299:
	v_cndmask_b32_e64 v2, 0, 1.0, vcc_lo
	flat_store_b32 v[0:1], v2
.LBB274_2300:
	s_wait_xcnt 0x0
	s_or_b32 exec_lo, exec_lo, s0
                                        ; implicit-def: $vgpr0_vgpr1
.LBB274_2301:
	s_and_not1_saveexec_b32 s0, s6
	s_cbranch_execz .LBB274_2303
; %bb.2302:
	v_cndmask_b32_e64 v2, 0, 1.0, vcc_lo
	s_delay_alu instid0(VALU_DEP_1)
	v_cvt_f16_f32_e32 v2, v2
	flat_store_b16 v[0:1], v2
.LBB274_2303:
	s_wait_xcnt 0x0
	s_or_b32 exec_lo, exec_lo, s0
.LBB274_2304:
	s_delay_alu instid0(SALU_CYCLE_1)
	s_or_b32 exec_lo, exec_lo, s5
                                        ; implicit-def: $vgpr2
                                        ; implicit-def: $vgpr0_vgpr1
.LBB274_2305:
	s_and_not1_saveexec_b32 s4, s4
	s_cbranch_execz .LBB274_2323
; %bb.2306:
	s_mov_b32 s5, exec_lo
	v_cmpx_lt_i16_e32 1, v2
	s_xor_b32 s5, exec_lo, s5
	s_cbranch_execz .LBB274_2316
; %bb.2307:
	s_mov_b32 s6, exec_lo
	v_cmpx_lt_i16_e32 2, v2
	s_xor_b32 s6, exec_lo, s6
	s_cbranch_execz .LBB274_2313
; %bb.2308:
	v_cmp_lt_i16_e64 s0, 3, v2
	s_and_saveexec_b32 s7, s0
	s_delay_alu instid0(SALU_CYCLE_1)
	s_xor_b32 s0, exec_lo, s7
	s_cbranch_execz .LBB274_2310
; %bb.2309:
	s_mov_b32 s7, 0
	v_cndmask_b32_e64 v2, 0, 1, vcc_lo
	v_mov_b32_e32 v3, s7
	flat_store_b64 v[0:1], v[2:3]
                                        ; implicit-def: $vgpr0_vgpr1
.LBB274_2310:
	s_wait_xcnt 0x0
	s_and_not1_saveexec_b32 s0, s0
	s_cbranch_execz .LBB274_2312
; %bb.2311:
	v_cndmask_b32_e64 v2, 0, 1, vcc_lo
	flat_store_b32 v[0:1], v2
.LBB274_2312:
	s_wait_xcnt 0x0
	s_or_b32 exec_lo, exec_lo, s0
                                        ; implicit-def: $vgpr0_vgpr1
.LBB274_2313:
	s_and_not1_saveexec_b32 s0, s6
	s_cbranch_execz .LBB274_2315
; %bb.2314:
	v_cndmask_b32_e64 v2, 0, 1, vcc_lo
	flat_store_b16 v[0:1], v2
.LBB274_2315:
	s_wait_xcnt 0x0
	s_or_b32 exec_lo, exec_lo, s0
                                        ; implicit-def: $vgpr0_vgpr1
                                        ; implicit-def: $vgpr2
.LBB274_2316:
	s_and_not1_saveexec_b32 s5, s5
	s_cbranch_execz .LBB274_2322
; %bb.2317:
	v_cmp_lt_i16_e64 s0, 0, v2
	v_cndmask_b32_e64 v2, 0, 1, vcc_lo
	s_and_saveexec_b32 s6, s0
	s_delay_alu instid0(SALU_CYCLE_1)
	s_xor_b32 s0, exec_lo, s6
	s_cbranch_execz .LBB274_2319
; %bb.2318:
	flat_store_b8 v[0:1], v2
                                        ; implicit-def: $vgpr0_vgpr1
                                        ; implicit-def: $vgpr2
.LBB274_2319:
	s_wait_xcnt 0x0
	s_and_not1_saveexec_b32 s0, s0
	s_cbranch_execz .LBB274_2321
; %bb.2320:
	flat_store_b8 v[0:1], v2
.LBB274_2321:
	s_wait_xcnt 0x0
	s_or_b32 exec_lo, exec_lo, s0
.LBB274_2322:
	s_delay_alu instid0(SALU_CYCLE_1)
	s_or_b32 exec_lo, exec_lo, s5
.LBB274_2323:
	s_delay_alu instid0(SALU_CYCLE_1) | instskip(NEXT) | instid1(SALU_CYCLE_1)
	s_or_b32 exec_lo, exec_lo, s4
	s_or_b32 s1, s1, exec_lo
	s_or_b32 exec_lo, exec_lo, s2
	s_mov_b32 s0, 0
	s_and_saveexec_b32 s2, s1
	s_cbranch_execnz .LBB274_259
	s_branch .LBB274_260
.LBB274_2324:
	s_and_not1_saveexec_b32 s7, s7
	s_cbranch_execz .LBB274_930
.LBB274_2325:
	s_mov_b32 s10, s8
	s_mov_b32 s2, exec_lo
                                        ; implicit-def: $vgpr11
	v_cmpx_lt_i16_e32 22, v20
	s_xor_b32 s2, exec_lo, s2
	s_cbranch_execz .LBB274_2357
; %bb.2326:
	s_mov_b32 s10, exec_lo
                                        ; implicit-def: $vgpr11
	v_cmpx_lt_i16_e32 23, v20
	s_xor_b32 s10, exec_lo, s10
	s_cbranch_execz .LBB274_2346
; %bb.2327:
	;; [unrolled: 6-line block ×3, first 2 shown]
	flat_load_u8 v11, v[6:7]
	s_mov_b32 s12, 0
	s_mov_b32 s13, exec_lo
	s_wait_loadcnt_dscnt 0x0
	v_cmpx_lt_i16_e32 0x7f, v11
	s_xor_b32 s13, exec_lo, s13
	s_cbranch_execz .LBB274_2589
; %bb.2329:
	s_mov_b32 s12, -1
	s_mov_b32 s16, exec_lo
	v_cmpx_eq_u16_e32 0x80, v11
; %bb.2330:
	s_xor_b32 s12, exec_lo, -1
; %bb.2331:
	s_or_b32 exec_lo, exec_lo, s16
	s_delay_alu instid0(SALU_CYCLE_1)
	s_and_b32 s12, s12, exec_lo
	s_or_saveexec_b32 s13, s13
	v_mov_b32_e32 v9, 0x7f800001
	s_xor_b32 exec_lo, exec_lo, s13
	s_cbranch_execnz .LBB274_2590
.LBB274_2332:
	s_or_b32 exec_lo, exec_lo, s13
	s_and_saveexec_b32 s13, s12
	s_cbranch_execz .LBB274_2334
.LBB274_2333:
	v_and_b32_e32 v9, 0xffff, v11
	s_delay_alu instid0(VALU_DEP_1) | instskip(SKIP_1) | instid1(VALU_DEP_2)
	v_dual_lshlrev_b32 v11, 24, v11 :: v_dual_bitop2_b32 v12, 3, v9 bitop3:0x40
	v_bfe_u32 v24, v9, 2, 5
	v_and_b32_e32 v11, 0x80000000, v11
	s_delay_alu instid0(VALU_DEP_3) | instskip(NEXT) | instid1(VALU_DEP_3)
	v_clz_i32_u32_e32 v13, v12
	v_cmp_eq_u32_e64 s0, 0, v24
	s_delay_alu instid0(VALU_DEP_2) | instskip(NEXT) | instid1(VALU_DEP_1)
	v_min_u32_e32 v13, 32, v13
	v_subrev_nc_u32_e32 v21, 29, v13
	v_sub_nc_u32_e32 v13, 30, v13
	s_delay_alu instid0(VALU_DEP_2) | instskip(NEXT) | instid1(VALU_DEP_2)
	v_lshlrev_b32_e32 v9, v21, v9
	v_cndmask_b32_e64 v13, v24, v13, s0
	s_delay_alu instid0(VALU_DEP_2) | instskip(NEXT) | instid1(VALU_DEP_1)
	v_and_b32_e32 v9, 3, v9
	v_cndmask_b32_e64 v9, v12, v9, s0
	s_delay_alu instid0(VALU_DEP_3) | instskip(NEXT) | instid1(VALU_DEP_2)
	v_lshl_add_u32 v12, v13, 23, 0x37800000
	v_lshlrev_b32_e32 v9, 21, v9
	s_delay_alu instid0(VALU_DEP_1)
	v_or3_b32 v9, v11, v12, v9
.LBB274_2334:
	s_or_b32 exec_lo, exec_lo, s13
	s_delay_alu instid0(VALU_DEP_1) | instskip(SKIP_1) | instid1(VALU_DEP_1)
	v_and_b32_e32 v12, 0x7fffffff, v9
	s_mov_b32 s12, exec_lo
                                        ; implicit-def: $vgpr11
	v_cmpx_gt_u32_e32 0x43f00000, v12
	s_xor_b32 s12, exec_lo, s12
	s_cbranch_execz .LBB274_2340
; %bb.2335:
	s_mov_b32 s13, exec_lo
                                        ; implicit-def: $vgpr11
	v_cmpx_lt_u32_e32 0x3c7fffff, v12
	s_xor_b32 s13, exec_lo, s13
; %bb.2336:
	v_bfe_u32 v11, v9, 20, 1
	s_delay_alu instid0(VALU_DEP_1) | instskip(NEXT) | instid1(VALU_DEP_1)
	v_add3_u32 v11, v9, v11, 0x407ffff
	v_and_b32_e32 v12, 0xff00000, v11
	v_lshrrev_b32_e32 v11, 20, v11
	s_delay_alu instid0(VALU_DEP_2) | instskip(NEXT) | instid1(VALU_DEP_1)
	v_cmp_ne_u32_e64 s0, 0x7f00000, v12
	v_cndmask_b32_e64 v11, 0x7e, v11, s0
; %bb.2337:
	s_and_not1_saveexec_b32 s0, s13
; %bb.2338:
	v_add_f32_e64 v11, 0x46800000, |v9|
; %bb.2339:
	s_or_b32 exec_lo, exec_lo, s0
                                        ; implicit-def: $vgpr12
.LBB274_2340:
	s_and_not1_saveexec_b32 s12, s12
; %bb.2341:
	v_mov_b32_e32 v11, 0x7f
	v_cmp_lt_u32_e64 s0, 0x7f800000, v12
	s_delay_alu instid0(VALU_DEP_1)
	v_cndmask_b32_e64 v11, 0x7e, v11, s0
; %bb.2342:
	s_or_b32 exec_lo, exec_lo, s12
	v_lshrrev_b32_e32 v9, 24, v9
	s_delay_alu instid0(VALU_DEP_1)
	v_and_or_b32 v11, 0x80, v9, v11
.LBB274_2343:
	s_and_not1_saveexec_b32 s0, s11
	s_cbranch_execz .LBB274_2345
; %bb.2344:
	flat_load_u8 v11, v[6:7]
.LBB274_2345:
	s_wait_xcnt 0x0
	s_or_b32 exec_lo, exec_lo, s0
.LBB274_2346:
	s_and_not1_saveexec_b32 s10, s10
	s_cbranch_execz .LBB274_2356
; %bb.2347:
	flat_load_u8 v9, v[6:7]
	s_mov_b32 s11, exec_lo
	s_wait_loadcnt_dscnt 0x0
	v_lshlrev_b32_e32 v11, 25, v9
	v_lshlrev_b16 v9, 8, v9
	s_delay_alu instid0(VALU_DEP_1) | instskip(NEXT) | instid1(VALU_DEP_3)
	v_and_or_b32 v13, 0x7f00, v9, 0.5
	v_lshrrev_b32_e32 v12, 4, v11
	v_bfe_i32 v9, v9, 0, 16
	s_delay_alu instid0(VALU_DEP_3) | instskip(NEXT) | instid1(VALU_DEP_3)
	v_add_f32_e32 v13, -0.5, v13
	v_or_b32_e32 v12, 0x70000000, v12
	s_delay_alu instid0(VALU_DEP_1) | instskip(SKIP_1) | instid1(VALU_DEP_1)
	v_mul_f32_e32 v12, 0x7800000, v12
	v_cmp_gt_u32_e64 s0, 0x8000000, v11
                                        ; implicit-def: $vgpr11
	v_cndmask_b32_e64 v13, v12, v13, s0
	s_delay_alu instid0(VALU_DEP_1) | instskip(NEXT) | instid1(VALU_DEP_1)
	v_and_or_b32 v9, 0x80000000, v9, v13
	v_and_b32_e32 v12, 0x7fffffff, v9
	s_wait_xcnt 0x0
	s_delay_alu instid0(VALU_DEP_1)
	v_cmpx_gt_u32_e32 0x43f00000, v12
	s_xor_b32 s11, exec_lo, s11
	s_cbranch_execz .LBB274_2353
; %bb.2348:
	s_mov_b32 s12, exec_lo
                                        ; implicit-def: $vgpr11
	v_cmpx_lt_u32_e32 0x3c7fffff, v12
	s_xor_b32 s12, exec_lo, s12
; %bb.2349:
	v_bfe_u32 v11, v13, 20, 1
	s_delay_alu instid0(VALU_DEP_1) | instskip(NEXT) | instid1(VALU_DEP_1)
	v_add3_u32 v11, v9, v11, 0x407ffff
	v_and_b32_e32 v12, 0xff00000, v11
	v_lshrrev_b32_e32 v11, 20, v11
	s_delay_alu instid0(VALU_DEP_2) | instskip(NEXT) | instid1(VALU_DEP_1)
	v_cmp_ne_u32_e64 s0, 0x7f00000, v12
	v_cndmask_b32_e64 v11, 0x7e, v11, s0
; %bb.2350:
	s_and_not1_saveexec_b32 s0, s12
; %bb.2351:
	v_add_f32_e64 v11, 0x46800000, |v9|
; %bb.2352:
	s_or_b32 exec_lo, exec_lo, s0
                                        ; implicit-def: $vgpr12
.LBB274_2353:
	s_and_not1_saveexec_b32 s11, s11
; %bb.2354:
	v_mov_b32_e32 v11, 0x7f
	v_cmp_lt_u32_e64 s0, 0x7f800000, v12
	s_delay_alu instid0(VALU_DEP_1)
	v_cndmask_b32_e64 v11, 0x7e, v11, s0
; %bb.2355:
	s_or_b32 exec_lo, exec_lo, s11
	v_lshrrev_b32_e32 v9, 24, v9
	s_delay_alu instid0(VALU_DEP_1)
	v_and_or_b32 v11, 0x80, v9, v11
.LBB274_2356:
	s_or_b32 exec_lo, exec_lo, s10
	s_delay_alu instid0(SALU_CYCLE_1)
	s_or_b32 s10, s8, exec_lo
.LBB274_2357:
	s_or_saveexec_b32 s2, s2
	s_mov_b32 s0, 0
	s_mov_b32 s11, s9
	s_xor_b32 exec_lo, exec_lo, s2
	s_cbranch_execz .LBB274_2373
; %bb.2358:
	s_mov_b32 s12, s9
	s_mov_b32 s13, s10
	s_mov_b32 s11, exec_lo
                                        ; implicit-def: $vgpr11
	v_cmpx_lt_i16_e32 14, v20
	s_xor_b32 s11, exec_lo, s11
	s_cbranch_execz .LBB274_2370
; %bb.2359:
	s_mov_b32 s13, -1
	s_mov_b32 s16, s10
	s_mov_b32 s12, exec_lo
                                        ; implicit-def: $vgpr11
	v_cmpx_eq_u16_e32 15, v20
	s_cbranch_execz .LBB274_2369
; %bb.2360:
	flat_load_u16 v9, v[6:7]
	s_mov_b32 s13, exec_lo
                                        ; implicit-def: $vgpr11
	s_wait_loadcnt_dscnt 0x0
	v_lshlrev_b32_e32 v12, 16, v9
	s_delay_alu instid0(VALU_DEP_1) | instskip(SKIP_1) | instid1(VALU_DEP_1)
	v_and_b32_e32 v13, 0x7fffffff, v12
	s_wait_xcnt 0x0
	v_cmpx_gt_u32_e32 0x43f00000, v13
	s_xor_b32 s13, exec_lo, s13
	s_cbranch_execz .LBB274_2366
; %bb.2361:
	s_mov_b32 s16, exec_lo
                                        ; implicit-def: $vgpr11
	v_cmpx_lt_u32_e32 0x3c7fffff, v13
	s_xor_b32 s16, exec_lo, s16
; %bb.2362:
	v_bfe_u32 v11, v9, 4, 1
	s_delay_alu instid0(VALU_DEP_1) | instskip(NEXT) | instid1(VALU_DEP_1)
	v_add3_u32 v11, v12, v11, 0x407ffff
	v_and_b32_e32 v12, 0xff00000, v11
	v_lshrrev_b32_e32 v11, 20, v11
	s_delay_alu instid0(VALU_DEP_2) | instskip(NEXT) | instid1(VALU_DEP_1)
	v_cmp_ne_u32_e64 s0, 0x7f00000, v12
                                        ; implicit-def: $vgpr12
	v_cndmask_b32_e64 v11, 0x7e, v11, s0
; %bb.2363:
	s_and_not1_saveexec_b32 s0, s16
; %bb.2364:
	v_add_f32_e64 v11, 0x46800000, |v12|
; %bb.2365:
	s_or_b32 exec_lo, exec_lo, s0
                                        ; implicit-def: $vgpr13
.LBB274_2366:
	s_and_not1_saveexec_b32 s13, s13
; %bb.2367:
	v_mov_b32_e32 v11, 0x7f
	v_cmp_lt_u32_e64 s0, 0x7f800000, v13
	s_delay_alu instid0(VALU_DEP_1)
	v_cndmask_b32_e64 v11, 0x7e, v11, s0
; %bb.2368:
	s_or_b32 exec_lo, exec_lo, s13
	v_lshrrev_b32_e32 v9, 8, v9
	s_or_b32 s16, s10, exec_lo
	s_xor_b32 s13, exec_lo, -1
	s_delay_alu instid0(VALU_DEP_1)
	v_and_or_b32 v11, 0x80, v9, v11
.LBB274_2369:
	s_or_b32 exec_lo, exec_lo, s12
	s_delay_alu instid0(SALU_CYCLE_1)
	s_and_not1_b32 s0, s10, exec_lo
	s_and_b32 s12, s16, exec_lo
	s_and_not1_b32 s16, s9, exec_lo
	s_and_b32 s17, s13, exec_lo
	s_or_b32 s13, s0, s12
	s_or_b32 s12, s16, s17
.LBB274_2370:
	s_or_saveexec_b32 s16, s11
	s_mov_b32 s11, 0
	s_xor_b32 exec_lo, exec_lo, s16
; %bb.2371:
	v_cmp_ne_u16_e64 s0, 11, v20
	s_and_not1_b32 s12, s12, exec_lo
	s_mov_b32 s11, exec_lo
	s_and_b32 s0, s0, exec_lo
	s_delay_alu instid0(SALU_CYCLE_1)
	s_or_b32 s12, s12, s0
; %bb.2372:
	s_or_b32 exec_lo, exec_lo, s16
	s_delay_alu instid0(SALU_CYCLE_1)
	s_and_not1_b32 s0, s10, exec_lo
	s_and_b32 s10, s13, exec_lo
	s_and_not1_b32 s13, s9, exec_lo
	s_and_b32 s12, s12, exec_lo
	s_or_b32 s10, s0, s10
	s_and_b32 s0, s11, exec_lo
	s_or_b32 s11, s13, s12
.LBB274_2373:
	s_or_b32 exec_lo, exec_lo, s2
	s_delay_alu instid0(SALU_CYCLE_1)
	s_and_not1_b32 s2, s8, exec_lo
	s_and_b32 s8, s10, exec_lo
	s_and_not1_b32 s9, s9, exec_lo
	s_and_b32 s10, s11, exec_lo
	s_or_b32 s8, s2, s8
	s_and_b32 s2, s0, exec_lo
	s_or_b32 s9, s9, s10
	s_or_b32 exec_lo, exec_lo, s7
	s_mov_b32 s7, s5
	s_and_saveexec_b32 s0, s9
	s_cbranch_execz .LBB274_931
.LBB274_2374:
	s_or_b32 s7, s5, exec_lo
	s_and_not1_b32 s2, s2, exec_lo
	s_trap 2
	s_or_b32 exec_lo, exec_lo, s0
	s_and_saveexec_b32 s9, s2
	s_cbranch_execnz .LBB274_932
	s_branch .LBB274_941
.LBB274_2375:
	s_or_saveexec_b32 s9, s9
	v_mov_b32_e32 v7, 0x7f800001
	s_xor_b32 exec_lo, exec_lo, s9
	s_cbranch_execz .LBB274_465
.LBB274_2376:
	v_cmp_ne_u16_e64 s0, 0, v9
	v_mov_b32_e32 v7, 0
	s_and_not1_b32 s8, s8, exec_lo
	s_and_b32 s0, s0, exec_lo
	s_delay_alu instid0(SALU_CYCLE_1)
	s_or_b32 s8, s8, s0
	s_or_b32 exec_lo, exec_lo, s9
	s_and_saveexec_b32 s9, s8
	s_cbranch_execnz .LBB274_466
	s_branch .LBB274_467
.LBB274_2377:
	s_and_not1_saveexec_b32 s9, s9
	s_cbranch_execz .LBB274_1156
.LBB274_2378:
	s_mov_b32 s12, s10
	s_mov_b32 s2, exec_lo
                                        ; implicit-def: $vgpr7
	v_cmpx_lt_i16_e32 22, v19
	s_xor_b32 s2, exec_lo, s2
	s_cbranch_execz .LBB274_2410
; %bb.2379:
	s_mov_b32 s12, exec_lo
                                        ; implicit-def: $vgpr7
	v_cmpx_lt_i16_e32 23, v19
	s_xor_b32 s12, exec_lo, s12
	s_cbranch_execz .LBB274_2399
; %bb.2380:
	;; [unrolled: 6-line block ×3, first 2 shown]
	flat_load_u8 v12, v[8:9]
	s_mov_b32 s16, 0
	s_mov_b32 s17, exec_lo
	s_wait_loadcnt_dscnt 0x0
	v_cmpx_lt_i16_e32 0x7f, v12
	s_xor_b32 s17, exec_lo, s17
	s_cbranch_execz .LBB274_2640
; %bb.2382:
	s_mov_b32 s16, -1
	s_mov_b32 s18, exec_lo
	v_cmpx_eq_u16_e32 0x80, v12
; %bb.2383:
	s_xor_b32 s16, exec_lo, -1
; %bb.2384:
	s_or_b32 exec_lo, exec_lo, s18
	s_delay_alu instid0(SALU_CYCLE_1)
	s_and_b32 s16, s16, exec_lo
	s_or_saveexec_b32 s17, s17
	v_mov_b32_e32 v7, 0x7f800001
	s_xor_b32 exec_lo, exec_lo, s17
	s_cbranch_execnz .LBB274_2641
.LBB274_2385:
	s_or_b32 exec_lo, exec_lo, s17
	s_and_saveexec_b32 s17, s16
	s_cbranch_execz .LBB274_2387
.LBB274_2386:
	v_and_b32_e32 v7, 0xffff, v12
	s_delay_alu instid0(VALU_DEP_1) | instskip(SKIP_1) | instid1(VALU_DEP_2)
	v_and_b32_e32 v13, 3, v7
	v_bfe_u32 v25, v7, 2, 5
	v_clz_i32_u32_e32 v22, v13
	s_delay_alu instid0(VALU_DEP_2) | instskip(NEXT) | instid1(VALU_DEP_2)
	v_cmp_eq_u32_e64 s0, 0, v25
	v_min_u32_e32 v22, 32, v22
	s_delay_alu instid0(VALU_DEP_1) | instskip(NEXT) | instid1(VALU_DEP_1)
	v_subrev_nc_u32_e32 v24, 29, v22
	v_dual_lshlrev_b32 v7, v24, v7 :: v_dual_sub_nc_u32 v22, 30, v22
	s_delay_alu instid0(VALU_DEP_1) | instskip(NEXT) | instid1(VALU_DEP_2)
	v_dual_lshlrev_b32 v12, 24, v12 :: v_dual_bitop2_b32 v7, 3, v7 bitop3:0x40
	v_cndmask_b32_e64 v22, v25, v22, s0
	s_delay_alu instid0(VALU_DEP_2) | instskip(NEXT) | instid1(VALU_DEP_3)
	v_cndmask_b32_e64 v7, v13, v7, s0
	v_and_b32_e32 v12, 0x80000000, v12
	s_delay_alu instid0(VALU_DEP_3) | instskip(NEXT) | instid1(VALU_DEP_3)
	v_lshl_add_u32 v13, v22, 23, 0x37800000
	v_lshlrev_b32_e32 v7, 21, v7
	s_delay_alu instid0(VALU_DEP_1)
	v_or3_b32 v7, v12, v13, v7
.LBB274_2387:
	s_or_b32 exec_lo, exec_lo, s17
	s_delay_alu instid0(VALU_DEP_1) | instskip(SKIP_1) | instid1(VALU_DEP_1)
	v_and_b32_e32 v13, 0x7fffffff, v7
	s_mov_b32 s16, exec_lo
                                        ; implicit-def: $vgpr12
	v_cmpx_gt_u32_e32 0x43f00000, v13
	s_xor_b32 s16, exec_lo, s16
	s_cbranch_execz .LBB274_2393
; %bb.2388:
	s_mov_b32 s17, exec_lo
                                        ; implicit-def: $vgpr12
	v_cmpx_lt_u32_e32 0x3c7fffff, v13
	s_xor_b32 s17, exec_lo, s17
; %bb.2389:
	v_bfe_u32 v12, v7, 20, 1
	s_delay_alu instid0(VALU_DEP_1) | instskip(NEXT) | instid1(VALU_DEP_1)
	v_add3_u32 v12, v7, v12, 0x407ffff
	v_and_b32_e32 v13, 0xff00000, v12
	v_lshrrev_b32_e32 v12, 20, v12
	s_delay_alu instid0(VALU_DEP_2) | instskip(NEXT) | instid1(VALU_DEP_1)
	v_cmp_ne_u32_e64 s0, 0x7f00000, v13
	v_cndmask_b32_e64 v12, 0x7e, v12, s0
; %bb.2390:
	s_and_not1_saveexec_b32 s0, s17
; %bb.2391:
	v_add_f32_e64 v12, 0x46800000, |v7|
; %bb.2392:
	s_or_b32 exec_lo, exec_lo, s0
                                        ; implicit-def: $vgpr13
.LBB274_2393:
	s_and_not1_saveexec_b32 s16, s16
; %bb.2394:
	v_mov_b32_e32 v12, 0x7f
	v_cmp_lt_u32_e64 s0, 0x7f800000, v13
	s_delay_alu instid0(VALU_DEP_1)
	v_cndmask_b32_e64 v12, 0x7e, v12, s0
; %bb.2395:
	s_or_b32 exec_lo, exec_lo, s16
	v_lshrrev_b32_e32 v7, 24, v7
	s_delay_alu instid0(VALU_DEP_1)
	v_and_or_b32 v7, 0x80, v7, v12
.LBB274_2396:
	s_and_not1_saveexec_b32 s0, s13
	s_cbranch_execz .LBB274_2398
; %bb.2397:
	flat_load_u8 v7, v[8:9]
.LBB274_2398:
	s_wait_xcnt 0x0
	s_or_b32 exec_lo, exec_lo, s0
.LBB274_2399:
	s_and_not1_saveexec_b32 s12, s12
	s_cbranch_execz .LBB274_2409
; %bb.2400:
	s_wait_loadcnt_dscnt 0x0
	flat_load_u8 v7, v[8:9]
	s_mov_b32 s13, exec_lo
	s_wait_loadcnt_dscnt 0x0
	v_lshlrev_b32_e32 v12, 25, v7
	v_lshlrev_b16 v7, 8, v7
	s_delay_alu instid0(VALU_DEP_1) | instskip(SKIP_1) | instid1(VALU_DEP_2)
	v_and_or_b32 v22, 0x7f00, v7, 0.5
	v_bfe_i32 v7, v7, 0, 16
	v_dual_add_f32 v22, -0.5, v22 :: v_dual_lshrrev_b32 v13, 4, v12
	v_cmp_gt_u32_e64 s0, 0x8000000, v12
                                        ; implicit-def: $vgpr12
	s_delay_alu instid0(VALU_DEP_2) | instskip(NEXT) | instid1(VALU_DEP_1)
	v_or_b32_e32 v13, 0x70000000, v13
	v_mul_f32_e32 v13, 0x7800000, v13
	s_delay_alu instid0(VALU_DEP_1) | instskip(NEXT) | instid1(VALU_DEP_1)
	v_cndmask_b32_e64 v22, v13, v22, s0
	v_and_or_b32 v7, 0x80000000, v7, v22
	s_delay_alu instid0(VALU_DEP_1) | instskip(SKIP_1) | instid1(VALU_DEP_1)
	v_and_b32_e32 v13, 0x7fffffff, v7
	s_wait_xcnt 0x0
	v_cmpx_gt_u32_e32 0x43f00000, v13
	s_xor_b32 s13, exec_lo, s13
	s_cbranch_execz .LBB274_2406
; %bb.2401:
	s_mov_b32 s16, exec_lo
                                        ; implicit-def: $vgpr12
	v_cmpx_lt_u32_e32 0x3c7fffff, v13
	s_xor_b32 s16, exec_lo, s16
; %bb.2402:
	v_bfe_u32 v12, v22, 20, 1
	s_delay_alu instid0(VALU_DEP_1) | instskip(NEXT) | instid1(VALU_DEP_1)
	v_add3_u32 v12, v7, v12, 0x407ffff
	v_and_b32_e32 v13, 0xff00000, v12
	v_lshrrev_b32_e32 v12, 20, v12
	s_delay_alu instid0(VALU_DEP_2) | instskip(NEXT) | instid1(VALU_DEP_1)
	v_cmp_ne_u32_e64 s0, 0x7f00000, v13
	v_cndmask_b32_e64 v12, 0x7e, v12, s0
; %bb.2403:
	s_and_not1_saveexec_b32 s0, s16
; %bb.2404:
	v_add_f32_e64 v12, 0x46800000, |v7|
; %bb.2405:
	s_or_b32 exec_lo, exec_lo, s0
                                        ; implicit-def: $vgpr13
.LBB274_2406:
	s_and_not1_saveexec_b32 s13, s13
; %bb.2407:
	v_mov_b32_e32 v12, 0x7f
	v_cmp_lt_u32_e64 s0, 0x7f800000, v13
	s_delay_alu instid0(VALU_DEP_1)
	v_cndmask_b32_e64 v12, 0x7e, v12, s0
; %bb.2408:
	s_or_b32 exec_lo, exec_lo, s13
	v_lshrrev_b32_e32 v7, 24, v7
	s_delay_alu instid0(VALU_DEP_1)
	v_and_or_b32 v7, 0x80, v7, v12
.LBB274_2409:
	s_or_b32 exec_lo, exec_lo, s12
	s_delay_alu instid0(SALU_CYCLE_1)
	s_or_b32 s12, s10, exec_lo
.LBB274_2410:
	s_or_saveexec_b32 s2, s2
	s_mov_b32 s0, 0
	s_mov_b32 s13, s11
	s_xor_b32 exec_lo, exec_lo, s2
	s_cbranch_execz .LBB274_2426
; %bb.2411:
	s_mov_b32 s16, s11
	s_mov_b32 s17, s12
	s_mov_b32 s13, exec_lo
                                        ; implicit-def: $vgpr7
	v_cmpx_lt_i16_e32 14, v19
	s_xor_b32 s13, exec_lo, s13
	s_cbranch_execz .LBB274_2423
; %bb.2412:
	s_mov_b32 s17, -1
	s_mov_b32 s18, s12
	s_mov_b32 s16, exec_lo
                                        ; implicit-def: $vgpr7
	v_cmpx_eq_u16_e32 15, v19
	s_cbranch_execz .LBB274_2422
; %bb.2413:
	s_wait_loadcnt_dscnt 0x0
	flat_load_u16 v7, v[8:9]
	s_mov_b32 s17, exec_lo
                                        ; implicit-def: $vgpr12
	s_wait_loadcnt_dscnt 0x0
	v_lshlrev_b32_e32 v13, 16, v7
	s_delay_alu instid0(VALU_DEP_1) | instskip(SKIP_1) | instid1(VALU_DEP_1)
	v_and_b32_e32 v22, 0x7fffffff, v13
	s_wait_xcnt 0x0
	v_cmpx_gt_u32_e32 0x43f00000, v22
	s_xor_b32 s17, exec_lo, s17
	s_cbranch_execz .LBB274_2419
; %bb.2414:
	s_mov_b32 s18, exec_lo
                                        ; implicit-def: $vgpr12
	v_cmpx_lt_u32_e32 0x3c7fffff, v22
	s_xor_b32 s18, exec_lo, s18
; %bb.2415:
	v_bfe_u32 v12, v7, 4, 1
	s_delay_alu instid0(VALU_DEP_1) | instskip(NEXT) | instid1(VALU_DEP_1)
	v_add3_u32 v12, v13, v12, 0x407ffff
	v_and_b32_e32 v13, 0xff00000, v12
	v_lshrrev_b32_e32 v12, 20, v12
	s_delay_alu instid0(VALU_DEP_2) | instskip(NEXT) | instid1(VALU_DEP_1)
	v_cmp_ne_u32_e64 s0, 0x7f00000, v13
                                        ; implicit-def: $vgpr13
	v_cndmask_b32_e64 v12, 0x7e, v12, s0
; %bb.2416:
	s_and_not1_saveexec_b32 s0, s18
; %bb.2417:
	v_add_f32_e64 v12, 0x46800000, |v13|
; %bb.2418:
	s_or_b32 exec_lo, exec_lo, s0
                                        ; implicit-def: $vgpr22
.LBB274_2419:
	s_and_not1_saveexec_b32 s17, s17
; %bb.2420:
	v_mov_b32_e32 v12, 0x7f
	v_cmp_lt_u32_e64 s0, 0x7f800000, v22
	s_delay_alu instid0(VALU_DEP_1)
	v_cndmask_b32_e64 v12, 0x7e, v12, s0
; %bb.2421:
	s_or_b32 exec_lo, exec_lo, s17
	v_lshrrev_b32_e32 v7, 8, v7
	s_or_b32 s18, s12, exec_lo
	s_xor_b32 s17, exec_lo, -1
	s_delay_alu instid0(VALU_DEP_1)
	v_and_or_b32 v7, 0x80, v7, v12
.LBB274_2422:
	s_or_b32 exec_lo, exec_lo, s16
	s_delay_alu instid0(SALU_CYCLE_1)
	s_and_not1_b32 s0, s12, exec_lo
	s_and_b32 s16, s18, exec_lo
	s_and_not1_b32 s18, s11, exec_lo
	s_and_b32 s19, s17, exec_lo
	s_or_b32 s17, s0, s16
	s_or_b32 s16, s18, s19
.LBB274_2423:
	s_or_saveexec_b32 s18, s13
	s_mov_b32 s13, 0
	s_xor_b32 exec_lo, exec_lo, s18
; %bb.2424:
	v_cmp_ne_u16_e64 s0, 11, v19
	s_and_not1_b32 s16, s16, exec_lo
	s_mov_b32 s13, exec_lo
	s_and_b32 s0, s0, exec_lo
	s_delay_alu instid0(SALU_CYCLE_1)
	s_or_b32 s16, s16, s0
; %bb.2425:
	s_or_b32 exec_lo, exec_lo, s18
	s_delay_alu instid0(SALU_CYCLE_1)
	s_and_not1_b32 s0, s12, exec_lo
	s_and_b32 s12, s17, exec_lo
	s_and_not1_b32 s17, s11, exec_lo
	s_and_b32 s16, s16, exec_lo
	s_or_b32 s12, s0, s12
	s_and_b32 s0, s13, exec_lo
	s_or_b32 s13, s17, s16
.LBB274_2426:
	s_or_b32 exec_lo, exec_lo, s2
	s_delay_alu instid0(SALU_CYCLE_1)
	s_and_not1_b32 s2, s10, exec_lo
	s_and_b32 s10, s12, exec_lo
	s_and_not1_b32 s11, s11, exec_lo
	s_and_b32 s12, s13, exec_lo
	s_or_b32 s10, s2, s10
	s_and_b32 s2, s0, exec_lo
	s_or_b32 s11, s11, s12
	s_or_b32 exec_lo, exec_lo, s9
	s_mov_b32 s9, s7
	s_and_saveexec_b32 s0, s11
	s_cbranch_execz .LBB274_1157
.LBB274_2427:
	s_or_b32 s9, s7, exec_lo
	s_and_not1_b32 s2, s2, exec_lo
	s_trap 2
	s_or_b32 exec_lo, exec_lo, s0
	s_and_saveexec_b32 s11, s2
	s_cbranch_execnz .LBB274_1158
	s_branch .LBB274_1167
.LBB274_2428:
	s_or_saveexec_b32 s11, s11
	v_mov_b32_e32 v7, 0x7f800001
	s_xor_b32 exec_lo, exec_lo, s11
	s_cbranch_execz .LBB274_691
.LBB274_2429:
	v_cmp_ne_u16_e64 s0, 0, v9
	v_mov_b32_e32 v7, 0
	s_and_not1_b32 s10, s10, exec_lo
	s_and_b32 s0, s0, exec_lo
	s_delay_alu instid0(SALU_CYCLE_1)
	s_or_b32 s10, s10, s0
	s_or_b32 exec_lo, exec_lo, s11
	s_and_saveexec_b32 s11, s10
	s_cbranch_execnz .LBB274_692
	s_branch .LBB274_693
.LBB274_2430:
	s_and_not1_saveexec_b32 s11, s11
	s_cbranch_execz .LBB274_1382
.LBB274_2431:
	s_mov_b32 s16, s12
	s_mov_b32 s2, exec_lo
                                        ; implicit-def: $vgpr8
	v_cmpx_lt_i16_e32 22, v20
	s_xor_b32 s2, exec_lo, s2
	s_cbranch_execz .LBB274_2463
; %bb.2432:
	s_mov_b32 s16, exec_lo
                                        ; implicit-def: $vgpr8
	v_cmpx_lt_i16_e32 23, v20
	s_xor_b32 s16, exec_lo, s16
	s_cbranch_execz .LBB274_2452
; %bb.2433:
	;; [unrolled: 6-line block ×3, first 2 shown]
	flat_load_u8 v9, v[4:5]
	s_mov_b32 s18, 0
	s_mov_b32 s19, exec_lo
	s_wait_loadcnt_dscnt 0x0
	v_cmpx_lt_i16_e32 0x7f, v9
	s_xor_b32 s19, exec_lo, s19
	s_cbranch_execz .LBB274_2691
; %bb.2435:
	s_mov_b32 s18, -1
	s_mov_b32 s20, exec_lo
	v_cmpx_eq_u16_e32 0x80, v9
; %bb.2436:
	s_xor_b32 s18, exec_lo, -1
; %bb.2437:
	s_or_b32 exec_lo, exec_lo, s20
	s_delay_alu instid0(SALU_CYCLE_1)
	s_and_b32 s18, s18, exec_lo
	s_or_saveexec_b32 s19, s19
	v_mov_b32_e32 v8, 0x7f800001
	s_xor_b32 exec_lo, exec_lo, s19
	s_cbranch_execnz .LBB274_2692
.LBB274_2438:
	s_or_b32 exec_lo, exec_lo, s19
	s_and_saveexec_b32 s19, s18
	s_cbranch_execz .LBB274_2440
.LBB274_2439:
	v_and_b32_e32 v8, 0xffff, v9
	s_delay_alu instid0(VALU_DEP_1) | instskip(SKIP_1) | instid1(VALU_DEP_2)
	v_dual_lshlrev_b32 v9, 24, v9 :: v_dual_bitop2_b32 v10, 3, v8 bitop3:0x40
	v_bfe_u32 v20, v8, 2, 5
	v_and_b32_e32 v9, 0x80000000, v9
	s_delay_alu instid0(VALU_DEP_3) | instskip(NEXT) | instid1(VALU_DEP_3)
	v_clz_i32_u32_e32 v12, v10
	v_cmp_eq_u32_e64 s0, 0, v20
	s_delay_alu instid0(VALU_DEP_2) | instskip(NEXT) | instid1(VALU_DEP_1)
	v_min_u32_e32 v12, 32, v12
	v_subrev_nc_u32_e32 v13, 29, v12
	v_sub_nc_u32_e32 v12, 30, v12
	s_delay_alu instid0(VALU_DEP_2) | instskip(NEXT) | instid1(VALU_DEP_2)
	v_lshlrev_b32_e32 v8, v13, v8
	v_cndmask_b32_e64 v12, v20, v12, s0
	s_delay_alu instid0(VALU_DEP_2) | instskip(NEXT) | instid1(VALU_DEP_1)
	v_and_b32_e32 v8, 3, v8
	v_cndmask_b32_e64 v8, v10, v8, s0
	s_delay_alu instid0(VALU_DEP_3) | instskip(NEXT) | instid1(VALU_DEP_2)
	v_lshl_add_u32 v10, v12, 23, 0x37800000
	v_lshlrev_b32_e32 v8, 21, v8
	s_delay_alu instid0(VALU_DEP_1)
	v_or3_b32 v8, v9, v10, v8
.LBB274_2440:
	s_or_b32 exec_lo, exec_lo, s19
	s_delay_alu instid0(VALU_DEP_1) | instskip(SKIP_1) | instid1(VALU_DEP_1)
	v_and_b32_e32 v10, 0x7fffffff, v8
	s_mov_b32 s18, exec_lo
                                        ; implicit-def: $vgpr9
	v_cmpx_gt_u32_e32 0x43f00000, v10
	s_xor_b32 s18, exec_lo, s18
	s_cbranch_execz .LBB274_2446
; %bb.2441:
	s_mov_b32 s19, exec_lo
                                        ; implicit-def: $vgpr9
	v_cmpx_lt_u32_e32 0x3c7fffff, v10
	s_xor_b32 s19, exec_lo, s19
; %bb.2442:
	v_bfe_u32 v9, v8, 20, 1
	s_delay_alu instid0(VALU_DEP_1) | instskip(NEXT) | instid1(VALU_DEP_1)
	v_add3_u32 v9, v8, v9, 0x407ffff
	v_and_b32_e32 v10, 0xff00000, v9
	v_lshrrev_b32_e32 v9, 20, v9
	s_delay_alu instid0(VALU_DEP_2) | instskip(NEXT) | instid1(VALU_DEP_1)
	v_cmp_ne_u32_e64 s0, 0x7f00000, v10
	v_cndmask_b32_e64 v9, 0x7e, v9, s0
; %bb.2443:
	s_and_not1_saveexec_b32 s0, s19
; %bb.2444:
	v_add_f32_e64 v9, 0x46800000, |v8|
; %bb.2445:
	s_or_b32 exec_lo, exec_lo, s0
                                        ; implicit-def: $vgpr10
.LBB274_2446:
	s_and_not1_saveexec_b32 s18, s18
; %bb.2447:
	v_mov_b32_e32 v9, 0x7f
	v_cmp_lt_u32_e64 s0, 0x7f800000, v10
	s_delay_alu instid0(VALU_DEP_1)
	v_cndmask_b32_e64 v9, 0x7e, v9, s0
; %bb.2448:
	s_or_b32 exec_lo, exec_lo, s18
	v_lshrrev_b32_e32 v8, 24, v8
	s_delay_alu instid0(VALU_DEP_1)
	v_and_or_b32 v8, 0x80, v8, v9
.LBB274_2449:
	s_and_not1_saveexec_b32 s0, s17
	s_cbranch_execz .LBB274_2451
; %bb.2450:
	flat_load_u8 v8, v[4:5]
.LBB274_2451:
	s_wait_xcnt 0x0
	s_or_b32 exec_lo, exec_lo, s0
.LBB274_2452:
	s_and_not1_saveexec_b32 s16, s16
	s_cbranch_execz .LBB274_2462
; %bb.2453:
	s_wait_loadcnt_dscnt 0x0
	flat_load_u8 v8, v[4:5]
	s_mov_b32 s17, exec_lo
	s_wait_loadcnt_dscnt 0x0
	v_lshlrev_b32_e32 v9, 25, v8
	v_lshlrev_b16 v8, 8, v8
	s_delay_alu instid0(VALU_DEP_1) | instskip(NEXT) | instid1(VALU_DEP_3)
	v_and_or_b32 v12, 0x7f00, v8, 0.5
	v_lshrrev_b32_e32 v10, 4, v9
	v_bfe_i32 v8, v8, 0, 16
	s_delay_alu instid0(VALU_DEP_3) | instskip(NEXT) | instid1(VALU_DEP_3)
	v_add_f32_e32 v12, -0.5, v12
	v_or_b32_e32 v10, 0x70000000, v10
	s_delay_alu instid0(VALU_DEP_1) | instskip(SKIP_1) | instid1(VALU_DEP_1)
	v_mul_f32_e32 v10, 0x7800000, v10
	v_cmp_gt_u32_e64 s0, 0x8000000, v9
                                        ; implicit-def: $vgpr9
	v_cndmask_b32_e64 v12, v10, v12, s0
	s_delay_alu instid0(VALU_DEP_1) | instskip(NEXT) | instid1(VALU_DEP_1)
	v_and_or_b32 v8, 0x80000000, v8, v12
	v_and_b32_e32 v10, 0x7fffffff, v8
	s_wait_xcnt 0x0
	s_delay_alu instid0(VALU_DEP_1)
	v_cmpx_gt_u32_e32 0x43f00000, v10
	s_xor_b32 s17, exec_lo, s17
	s_cbranch_execz .LBB274_2459
; %bb.2454:
	s_mov_b32 s18, exec_lo
                                        ; implicit-def: $vgpr9
	v_cmpx_lt_u32_e32 0x3c7fffff, v10
	s_xor_b32 s18, exec_lo, s18
; %bb.2455:
	v_bfe_u32 v9, v12, 20, 1
	s_delay_alu instid0(VALU_DEP_1) | instskip(NEXT) | instid1(VALU_DEP_1)
	v_add3_u32 v9, v8, v9, 0x407ffff
	v_and_b32_e32 v10, 0xff00000, v9
	v_lshrrev_b32_e32 v9, 20, v9
	s_delay_alu instid0(VALU_DEP_2) | instskip(NEXT) | instid1(VALU_DEP_1)
	v_cmp_ne_u32_e64 s0, 0x7f00000, v10
	v_cndmask_b32_e64 v9, 0x7e, v9, s0
; %bb.2456:
	s_and_not1_saveexec_b32 s0, s18
; %bb.2457:
	v_add_f32_e64 v9, 0x46800000, |v8|
; %bb.2458:
	s_or_b32 exec_lo, exec_lo, s0
                                        ; implicit-def: $vgpr10
.LBB274_2459:
	s_and_not1_saveexec_b32 s17, s17
; %bb.2460:
	v_mov_b32_e32 v9, 0x7f
	v_cmp_lt_u32_e64 s0, 0x7f800000, v10
	s_delay_alu instid0(VALU_DEP_1)
	v_cndmask_b32_e64 v9, 0x7e, v9, s0
; %bb.2461:
	s_or_b32 exec_lo, exec_lo, s17
	v_lshrrev_b32_e32 v8, 24, v8
	s_delay_alu instid0(VALU_DEP_1)
	v_and_or_b32 v8, 0x80, v8, v9
.LBB274_2462:
	s_or_b32 exec_lo, exec_lo, s16
	s_delay_alu instid0(SALU_CYCLE_1)
	s_or_b32 s16, s12, exec_lo
                                        ; implicit-def: $vgpr20
.LBB274_2463:
	s_or_saveexec_b32 s2, s2
	s_mov_b32 s0, 0
	s_mov_b32 s17, s13
	s_xor_b32 exec_lo, exec_lo, s2
	s_cbranch_execz .LBB274_2479
; %bb.2464:
	s_mov_b32 s18, s13
	s_mov_b32 s19, s16
	s_mov_b32 s17, exec_lo
                                        ; implicit-def: $vgpr8
	v_cmpx_lt_i16_e32 14, v20
	s_xor_b32 s17, exec_lo, s17
	s_cbranch_execz .LBB274_2476
; %bb.2465:
	s_mov_b32 s19, -1
	s_mov_b32 s20, s16
	s_mov_b32 s18, exec_lo
                                        ; implicit-def: $vgpr8
	v_cmpx_eq_u16_e32 15, v20
	s_cbranch_execz .LBB274_2475
; %bb.2466:
	s_wait_loadcnt_dscnt 0x0
	flat_load_u16 v8, v[4:5]
	s_mov_b32 s19, exec_lo
                                        ; implicit-def: $vgpr9
	s_wait_loadcnt_dscnt 0x0
	v_lshlrev_b32_e32 v10, 16, v8
	s_delay_alu instid0(VALU_DEP_1) | instskip(SKIP_1) | instid1(VALU_DEP_1)
	v_and_b32_e32 v12, 0x7fffffff, v10
	s_wait_xcnt 0x0
	v_cmpx_gt_u32_e32 0x43f00000, v12
	s_xor_b32 s19, exec_lo, s19
	s_cbranch_execz .LBB274_2472
; %bb.2467:
	s_mov_b32 s20, exec_lo
                                        ; implicit-def: $vgpr9
	v_cmpx_lt_u32_e32 0x3c7fffff, v12
	s_xor_b32 s20, exec_lo, s20
; %bb.2468:
	v_bfe_u32 v9, v8, 4, 1
	s_delay_alu instid0(VALU_DEP_1) | instskip(NEXT) | instid1(VALU_DEP_1)
	v_add3_u32 v9, v10, v9, 0x407ffff
	v_and_b32_e32 v10, 0xff00000, v9
	v_lshrrev_b32_e32 v9, 20, v9
	s_delay_alu instid0(VALU_DEP_2) | instskip(NEXT) | instid1(VALU_DEP_1)
	v_cmp_ne_u32_e64 s0, 0x7f00000, v10
                                        ; implicit-def: $vgpr10
	v_cndmask_b32_e64 v9, 0x7e, v9, s0
; %bb.2469:
	s_and_not1_saveexec_b32 s0, s20
; %bb.2470:
	v_add_f32_e64 v9, 0x46800000, |v10|
; %bb.2471:
	s_or_b32 exec_lo, exec_lo, s0
                                        ; implicit-def: $vgpr12
.LBB274_2472:
	s_and_not1_saveexec_b32 s19, s19
; %bb.2473:
	v_mov_b32_e32 v9, 0x7f
	v_cmp_lt_u32_e64 s0, 0x7f800000, v12
	s_delay_alu instid0(VALU_DEP_1)
	v_cndmask_b32_e64 v9, 0x7e, v9, s0
; %bb.2474:
	s_or_b32 exec_lo, exec_lo, s19
	v_lshrrev_b32_e32 v8, 8, v8
	s_or_b32 s20, s16, exec_lo
	s_xor_b32 s19, exec_lo, -1
	s_delay_alu instid0(VALU_DEP_1)
	v_and_or_b32 v8, 0x80, v8, v9
.LBB274_2475:
	s_or_b32 exec_lo, exec_lo, s18
	s_delay_alu instid0(SALU_CYCLE_1)
	s_and_not1_b32 s0, s16, exec_lo
	s_and_b32 s18, s20, exec_lo
	s_and_not1_b32 s20, s13, exec_lo
	s_and_b32 s21, s19, exec_lo
	s_or_b32 s19, s0, s18
	s_or_b32 s18, s20, s21
                                        ; implicit-def: $vgpr20
.LBB274_2476:
	s_or_saveexec_b32 s17, s17
	s_mov_b32 s20, 0
	s_xor_b32 exec_lo, exec_lo, s17
; %bb.2477:
	v_cmp_ne_u16_e64 s0, 11, v20
	s_and_not1_b32 s18, s18, exec_lo
	s_mov_b32 s20, exec_lo
	s_and_b32 s0, s0, exec_lo
	s_delay_alu instid0(SALU_CYCLE_1)
	s_or_b32 s18, s18, s0
; %bb.2478:
	s_or_b32 exec_lo, exec_lo, s17
	s_delay_alu instid0(SALU_CYCLE_1)
	s_and_not1_b32 s0, s16, exec_lo
	s_and_b32 s16, s19, exec_lo
	s_and_not1_b32 s17, s13, exec_lo
	s_and_b32 s18, s18, exec_lo
	s_or_b32 s16, s0, s16
	s_and_b32 s0, s20, exec_lo
	s_or_b32 s17, s17, s18
.LBB274_2479:
	s_or_b32 exec_lo, exec_lo, s2
	s_delay_alu instid0(SALU_CYCLE_1)
	s_and_not1_b32 s2, s12, exec_lo
	s_and_b32 s12, s16, exec_lo
	s_and_not1_b32 s13, s13, exec_lo
	s_and_b32 s16, s17, exec_lo
	s_or_b32 s12, s2, s12
	s_and_b32 s2, s0, exec_lo
	s_or_b32 s13, s13, s16
	s_or_b32 exec_lo, exec_lo, s11
	s_mov_b32 s11, s9
	s_and_saveexec_b32 s0, s13
	s_cbranch_execz .LBB274_1383
.LBB274_2480:
	s_or_b32 s11, s9, exec_lo
	s_and_not1_b32 s2, s2, exec_lo
	s_trap 2
	s_or_b32 exec_lo, exec_lo, s0
	s_and_saveexec_b32 s13, s2
	s_cbranch_execnz .LBB274_1384
	s_branch .LBB274_1393
.LBB274_2481:
	s_or_saveexec_b32 s9, s9
	v_mov_b32_e32 v7, 0x7f800001
	s_xor_b32 exec_lo, exec_lo, s9
	s_cbranch_execz .LBB274_2146
.LBB274_2482:
	v_cmp_ne_u16_e64 s0, 0, v9
	v_mov_b32_e32 v7, 0
	s_and_not1_b32 s8, s8, exec_lo
	s_and_b32 s0, s0, exec_lo
	s_delay_alu instid0(SALU_CYCLE_1)
	s_or_b32 s8, s8, s0
	s_or_b32 exec_lo, exec_lo, s9
	s_and_saveexec_b32 s9, s8
	s_cbranch_execnz .LBB274_2147
	s_branch .LBB274_2148
.LBB274_2483:
	s_and_not1_saveexec_b32 s9, s0
	s_cbranch_execz .LBB274_33
.LBB274_2484:
	v_add_f32_e32 v2, 0x46000000, v3
	s_and_not1_b32 s8, s8, exec_lo
	s_delay_alu instid0(VALU_DEP_1) | instskip(NEXT) | instid1(VALU_DEP_1)
	v_and_b32_e32 v2, 0xff, v2
	v_cmp_ne_u32_e64 s0, 0, v2
	s_and_b32 s0, s0, exec_lo
	s_delay_alu instid0(SALU_CYCLE_1)
	s_or_b32 s8, s8, s0
	s_or_b32 exec_lo, exec_lo, s9
	v_mov_b32_e32 v4, 0
	s_and_saveexec_b32 s0, s8
	s_cbranch_execnz .LBB274_34
	s_branch .LBB274_35
.LBB274_2485:
	s_or_saveexec_b32 s13, s13
	v_mov_b32_e32 v9, 0x7f800001
	s_xor_b32 exec_lo, exec_lo, s13
	s_cbranch_execz .LBB274_917
.LBB274_2486:
	v_cmp_ne_u16_e64 s0, 0, v11
	v_mov_b32_e32 v9, 0
	s_and_not1_b32 s12, s12, exec_lo
	s_and_b32 s0, s0, exec_lo
	s_delay_alu instid0(SALU_CYCLE_1)
	s_or_b32 s12, s12, s0
	s_or_b32 exec_lo, exec_lo, s13
	s_and_saveexec_b32 s13, s12
	s_cbranch_execnz .LBB274_918
	s_branch .LBB274_919
.LBB274_2487:
	s_and_not1_saveexec_b32 s13, s13
	s_cbranch_execz .LBB274_1608
.LBB274_2488:
	s_mov_b32 s18, s16
	s_mov_b32 s2, exec_lo
                                        ; implicit-def: $vgpr6
	v_cmpx_lt_i16_e32 22, v19
	s_xor_b32 s2, exec_lo, s2
	s_cbranch_execz .LBB274_2520
; %bb.2489:
	s_mov_b32 s18, exec_lo
                                        ; implicit-def: $vgpr6
	v_cmpx_lt_i16_e32 23, v19
	s_xor_b32 s18, exec_lo, s18
	s_cbranch_execz .LBB274_2509
; %bb.2490:
	;; [unrolled: 6-line block ×3, first 2 shown]
	flat_load_u8 v5, v[2:3]
	s_mov_b32 s20, 0
	s_mov_b32 s21, exec_lo
	s_wait_loadcnt_dscnt 0x0
	v_cmpx_lt_i16_e32 0x7f, v5
	s_xor_b32 s21, exec_lo, s21
	s_cbranch_execz .LBB274_2738
; %bb.2492:
	s_mov_b32 s20, -1
	s_mov_b32 s22, exec_lo
	v_cmpx_eq_u16_e32 0x80, v5
; %bb.2493:
	s_xor_b32 s20, exec_lo, -1
; %bb.2494:
	s_or_b32 exec_lo, exec_lo, s22
	s_delay_alu instid0(SALU_CYCLE_1)
	s_and_b32 s20, s20, exec_lo
	s_or_saveexec_b32 s21, s21
	v_mov_b32_e32 v4, 0x7f800001
	s_xor_b32 exec_lo, exec_lo, s21
	s_cbranch_execnz .LBB274_2739
.LBB274_2495:
	s_or_b32 exec_lo, exec_lo, s21
	s_and_saveexec_b32 s21, s20
	s_cbranch_execz .LBB274_2497
.LBB274_2496:
	v_and_b32_e32 v4, 0xffff, v5
	s_delay_alu instid0(VALU_DEP_1) | instskip(SKIP_1) | instid1(VALU_DEP_2)
	v_and_b32_e32 v6, 3, v4
	v_bfe_u32 v12, v4, 2, 5
	v_clz_i32_u32_e32 v9, v6
	s_delay_alu instid0(VALU_DEP_2) | instskip(NEXT) | instid1(VALU_DEP_2)
	v_cmp_eq_u32_e64 s0, 0, v12
	v_min_u32_e32 v9, 32, v9
	s_delay_alu instid0(VALU_DEP_1) | instskip(NEXT) | instid1(VALU_DEP_1)
	v_subrev_nc_u32_e32 v10, 29, v9
	v_dual_lshlrev_b32 v4, v10, v4 :: v_dual_sub_nc_u32 v9, 30, v9
	s_delay_alu instid0(VALU_DEP_1) | instskip(NEXT) | instid1(VALU_DEP_1)
	v_dual_lshlrev_b32 v5, 24, v5 :: v_dual_bitop2_b32 v4, 3, v4 bitop3:0x40
	v_dual_cndmask_b32 v4, v6, v4, s0 :: v_dual_cndmask_b32 v9, v12, v9, s0
	s_delay_alu instid0(VALU_DEP_2) | instskip(NEXT) | instid1(VALU_DEP_2)
	v_and_b32_e32 v5, 0x80000000, v5
	v_lshlrev_b32_e32 v4, 21, v4
	s_delay_alu instid0(VALU_DEP_3) | instskip(NEXT) | instid1(VALU_DEP_1)
	v_lshl_add_u32 v6, v9, 23, 0x37800000
	v_or3_b32 v4, v5, v6, v4
.LBB274_2497:
	s_or_b32 exec_lo, exec_lo, s21
	s_delay_alu instid0(VALU_DEP_1) | instskip(SKIP_1) | instid1(VALU_DEP_1)
	v_and_b32_e32 v6, 0x7fffffff, v4
	s_mov_b32 s20, exec_lo
                                        ; implicit-def: $vgpr5
	v_cmpx_gt_u32_e32 0x43f00000, v6
	s_xor_b32 s20, exec_lo, s20
	s_cbranch_execz .LBB274_2503
; %bb.2498:
	s_mov_b32 s21, exec_lo
                                        ; implicit-def: $vgpr5
	v_cmpx_lt_u32_e32 0x3c7fffff, v6
	s_xor_b32 s21, exec_lo, s21
; %bb.2499:
	v_bfe_u32 v5, v4, 20, 1
	s_delay_alu instid0(VALU_DEP_1) | instskip(NEXT) | instid1(VALU_DEP_1)
	v_add3_u32 v5, v4, v5, 0x407ffff
	v_and_b32_e32 v6, 0xff00000, v5
	v_lshrrev_b32_e32 v5, 20, v5
	s_delay_alu instid0(VALU_DEP_2) | instskip(NEXT) | instid1(VALU_DEP_1)
	v_cmp_ne_u32_e64 s0, 0x7f00000, v6
	v_cndmask_b32_e64 v5, 0x7e, v5, s0
; %bb.2500:
	s_and_not1_saveexec_b32 s0, s21
; %bb.2501:
	v_add_f32_e64 v5, 0x46800000, |v4|
; %bb.2502:
	s_or_b32 exec_lo, exec_lo, s0
                                        ; implicit-def: $vgpr6
.LBB274_2503:
	s_and_not1_saveexec_b32 s20, s20
; %bb.2504:
	v_mov_b32_e32 v5, 0x7f
	v_cmp_lt_u32_e64 s0, 0x7f800000, v6
	s_delay_alu instid0(VALU_DEP_1)
	v_cndmask_b32_e64 v5, 0x7e, v5, s0
; %bb.2505:
	s_or_b32 exec_lo, exec_lo, s20
	v_lshrrev_b32_e32 v4, 24, v4
	s_delay_alu instid0(VALU_DEP_1)
	v_and_or_b32 v6, 0x80, v4, v5
.LBB274_2506:
	s_and_not1_saveexec_b32 s0, s19
	s_cbranch_execz .LBB274_2508
; %bb.2507:
	flat_load_u8 v6, v[2:3]
.LBB274_2508:
	s_wait_xcnt 0x0
	s_or_b32 exec_lo, exec_lo, s0
.LBB274_2509:
	s_and_not1_saveexec_b32 s18, s18
	s_cbranch_execz .LBB274_2519
; %bb.2510:
	flat_load_u8 v4, v[2:3]
	s_mov_b32 s19, exec_lo
	s_wait_loadcnt_dscnt 0x0
	v_lshlrev_b32_e32 v5, 25, v4
	v_lshlrev_b16 v4, 8, v4
	s_delay_alu instid0(VALU_DEP_1) | instskip(SKIP_1) | instid1(VALU_DEP_2)
	v_and_or_b32 v9, 0x7f00, v4, 0.5
	v_bfe_i32 v4, v4, 0, 16
	v_add_f32_e32 v9, -0.5, v9
	v_lshrrev_b32_e32 v6, 4, v5
	v_cmp_gt_u32_e64 s0, 0x8000000, v5
                                        ; implicit-def: $vgpr5
	s_delay_alu instid0(VALU_DEP_2) | instskip(NEXT) | instid1(VALU_DEP_1)
	v_or_b32_e32 v6, 0x70000000, v6
	v_mul_f32_e32 v6, 0x7800000, v6
	s_delay_alu instid0(VALU_DEP_1) | instskip(NEXT) | instid1(VALU_DEP_1)
	v_cndmask_b32_e64 v9, v6, v9, s0
	v_and_or_b32 v4, 0x80000000, v4, v9
	s_delay_alu instid0(VALU_DEP_1) | instskip(SKIP_1) | instid1(VALU_DEP_1)
	v_and_b32_e32 v6, 0x7fffffff, v4
	s_wait_xcnt 0x0
	v_cmpx_gt_u32_e32 0x43f00000, v6
	s_xor_b32 s19, exec_lo, s19
	s_cbranch_execz .LBB274_2516
; %bb.2511:
	s_mov_b32 s20, exec_lo
                                        ; implicit-def: $vgpr5
	v_cmpx_lt_u32_e32 0x3c7fffff, v6
	s_xor_b32 s20, exec_lo, s20
; %bb.2512:
	v_bfe_u32 v5, v9, 20, 1
	s_delay_alu instid0(VALU_DEP_1) | instskip(NEXT) | instid1(VALU_DEP_1)
	v_add3_u32 v5, v4, v5, 0x407ffff
	v_and_b32_e32 v6, 0xff00000, v5
	v_lshrrev_b32_e32 v5, 20, v5
	s_delay_alu instid0(VALU_DEP_2) | instskip(NEXT) | instid1(VALU_DEP_1)
	v_cmp_ne_u32_e64 s0, 0x7f00000, v6
	v_cndmask_b32_e64 v5, 0x7e, v5, s0
; %bb.2513:
	s_and_not1_saveexec_b32 s0, s20
; %bb.2514:
	v_add_f32_e64 v5, 0x46800000, |v4|
; %bb.2515:
	s_or_b32 exec_lo, exec_lo, s0
                                        ; implicit-def: $vgpr6
.LBB274_2516:
	s_and_not1_saveexec_b32 s19, s19
; %bb.2517:
	v_mov_b32_e32 v5, 0x7f
	v_cmp_lt_u32_e64 s0, 0x7f800000, v6
	s_delay_alu instid0(VALU_DEP_1)
	v_cndmask_b32_e64 v5, 0x7e, v5, s0
; %bb.2518:
	s_or_b32 exec_lo, exec_lo, s19
	v_lshrrev_b32_e32 v4, 24, v4
	s_delay_alu instid0(VALU_DEP_1)
	v_and_or_b32 v6, 0x80, v4, v5
.LBB274_2519:
	s_or_b32 exec_lo, exec_lo, s18
	s_delay_alu instid0(SALU_CYCLE_1)
	s_or_b32 s18, s16, exec_lo
                                        ; implicit-def: $vgpr19
.LBB274_2520:
	s_or_saveexec_b32 s2, s2
	s_mov_b32 s0, 0
	s_mov_b32 s19, s17
	s_xor_b32 exec_lo, exec_lo, s2
	s_cbranch_execz .LBB274_2536
; %bb.2521:
	s_mov_b32 s20, s17
	s_mov_b32 s21, s18
	s_mov_b32 s19, exec_lo
                                        ; implicit-def: $vgpr6
	v_cmpx_lt_i16_e32 14, v19
	s_xor_b32 s19, exec_lo, s19
	s_cbranch_execz .LBB274_2533
; %bb.2522:
	s_mov_b32 s21, -1
	s_mov_b32 s22, s18
	s_mov_b32 s20, exec_lo
                                        ; implicit-def: $vgpr6
	v_cmpx_eq_u16_e32 15, v19
	s_cbranch_execz .LBB274_2532
; %bb.2523:
	flat_load_u16 v4, v[2:3]
	s_mov_b32 s21, exec_lo
                                        ; implicit-def: $vgpr5
	s_wait_loadcnt_dscnt 0x0
	v_lshlrev_b32_e32 v6, 16, v4
	s_delay_alu instid0(VALU_DEP_1) | instskip(SKIP_1) | instid1(VALU_DEP_1)
	v_and_b32_e32 v9, 0x7fffffff, v6
	s_wait_xcnt 0x0
	v_cmpx_gt_u32_e32 0x43f00000, v9
	s_xor_b32 s21, exec_lo, s21
	s_cbranch_execz .LBB274_2529
; %bb.2524:
	s_mov_b32 s22, exec_lo
                                        ; implicit-def: $vgpr5
	v_cmpx_lt_u32_e32 0x3c7fffff, v9
	s_xor_b32 s22, exec_lo, s22
; %bb.2525:
	v_bfe_u32 v5, v4, 4, 1
	s_delay_alu instid0(VALU_DEP_1) | instskip(NEXT) | instid1(VALU_DEP_1)
	v_add3_u32 v5, v6, v5, 0x407ffff
	v_and_b32_e32 v6, 0xff00000, v5
	v_lshrrev_b32_e32 v5, 20, v5
	s_delay_alu instid0(VALU_DEP_2) | instskip(NEXT) | instid1(VALU_DEP_1)
	v_cmp_ne_u32_e64 s0, 0x7f00000, v6
                                        ; implicit-def: $vgpr6
	v_cndmask_b32_e64 v5, 0x7e, v5, s0
; %bb.2526:
	s_and_not1_saveexec_b32 s0, s22
; %bb.2527:
	v_add_f32_e64 v5, 0x46800000, |v6|
; %bb.2528:
	s_or_b32 exec_lo, exec_lo, s0
                                        ; implicit-def: $vgpr9
.LBB274_2529:
	s_and_not1_saveexec_b32 s21, s21
; %bb.2530:
	v_mov_b32_e32 v5, 0x7f
	v_cmp_lt_u32_e64 s0, 0x7f800000, v9
	s_delay_alu instid0(VALU_DEP_1)
	v_cndmask_b32_e64 v5, 0x7e, v5, s0
; %bb.2531:
	s_or_b32 exec_lo, exec_lo, s21
	v_lshrrev_b32_e32 v4, 8, v4
	s_or_b32 s22, s18, exec_lo
	s_xor_b32 s21, exec_lo, -1
	s_delay_alu instid0(VALU_DEP_1)
	v_and_or_b32 v6, 0x80, v4, v5
.LBB274_2532:
	s_or_b32 exec_lo, exec_lo, s20
	s_delay_alu instid0(SALU_CYCLE_1)
	s_and_not1_b32 s0, s18, exec_lo
	s_and_b32 s20, s22, exec_lo
	s_and_not1_b32 s22, s17, exec_lo
	s_and_b32 s23, s21, exec_lo
	s_or_b32 s21, s0, s20
	s_or_b32 s20, s22, s23
                                        ; implicit-def: $vgpr19
.LBB274_2533:
	s_or_saveexec_b32 s19, s19
	s_mov_b32 s22, 0
	s_xor_b32 exec_lo, exec_lo, s19
; %bb.2534:
	v_cmp_ne_u16_e64 s0, 11, v19
	s_and_not1_b32 s20, s20, exec_lo
	s_mov_b32 s22, exec_lo
	s_and_b32 s0, s0, exec_lo
	s_delay_alu instid0(SALU_CYCLE_1)
	s_or_b32 s20, s20, s0
; %bb.2535:
	s_or_b32 exec_lo, exec_lo, s19
	s_delay_alu instid0(SALU_CYCLE_1)
	s_and_not1_b32 s0, s18, exec_lo
	s_and_b32 s18, s21, exec_lo
	s_and_not1_b32 s19, s17, exec_lo
	s_and_b32 s20, s20, exec_lo
	s_or_b32 s18, s0, s18
	s_and_b32 s0, s22, exec_lo
	s_or_b32 s19, s19, s20
.LBB274_2536:
	s_or_b32 exec_lo, exec_lo, s2
	s_delay_alu instid0(SALU_CYCLE_1)
	s_and_not1_b32 s2, s16, exec_lo
	s_and_b32 s16, s18, exec_lo
	s_and_not1_b32 s17, s17, exec_lo
	s_and_b32 s18, s19, exec_lo
	s_or_b32 s16, s2, s16
	s_and_b32 s2, s0, exec_lo
	s_or_b32 s17, s17, s18
	s_or_b32 exec_lo, exec_lo, s13
	s_mov_b32 s13, s11
	s_and_saveexec_b32 s0, s17
	s_cbranch_execz .LBB274_1609
.LBB274_2537:
	s_or_b32 s13, s11, exec_lo
	s_and_not1_b32 s2, s2, exec_lo
	s_trap 2
	s_or_b32 exec_lo, exec_lo, s0
	s_and_saveexec_b32 s17, s2
	s_cbranch_execnz .LBB274_1610
	s_branch .LBB274_1619
.LBB274_2538:
	s_or_saveexec_b32 s11, s11
	v_mov_b32_e32 v7, 0x7f800001
	s_xor_b32 exec_lo, exec_lo, s11
	s_cbranch_execz .LBB274_2239
.LBB274_2539:
	v_cmp_ne_u16_e64 s0, 0, v9
	v_mov_b32_e32 v7, 0
	s_and_not1_b32 s10, s10, exec_lo
	s_and_b32 s0, s0, exec_lo
	s_delay_alu instid0(SALU_CYCLE_1)
	s_or_b32 s10, s10, s0
	s_or_b32 exec_lo, exec_lo, s11
	s_and_saveexec_b32 s11, s10
	s_cbranch_execnz .LBB274_2240
	s_branch .LBB274_2241
.LBB274_2540:
	s_and_not1_saveexec_b32 s10, s0
	s_cbranch_execz .LBB274_46
.LBB274_2541:
	v_add_f32_e32 v2, 0x42800000, v3
	s_and_not1_b32 s9, s9, exec_lo
	s_delay_alu instid0(VALU_DEP_1) | instskip(NEXT) | instid1(VALU_DEP_1)
	v_and_b32_e32 v2, 0xff, v2
	v_cmp_ne_u32_e64 s0, 0, v2
	s_and_b32 s0, s0, exec_lo
	s_delay_alu instid0(SALU_CYCLE_1)
	s_or_b32 s9, s9, s0
	s_or_b32 exec_lo, exec_lo, s10
	v_mov_b32_e32 v4, 0
	s_and_saveexec_b32 s0, s9
	s_cbranch_execnz .LBB274_47
	s_branch .LBB274_48
.LBB274_2542:
	s_and_not1_saveexec_b32 s9, s0
	s_cbranch_execz .LBB274_120
.LBB274_2543:
	v_add_f32_e32 v2, 0x46000000, v3
	s_and_not1_b32 s8, s8, exec_lo
	s_delay_alu instid0(VALU_DEP_1) | instskip(NEXT) | instid1(VALU_DEP_1)
	v_and_b32_e32 v2, 0xff, v2
	v_cmp_ne_u32_e64 s0, 0, v2
	s_and_b32 s0, s0, exec_lo
	s_delay_alu instid0(SALU_CYCLE_1)
	s_or_b32 s8, s8, s0
	s_or_b32 exec_lo, exec_lo, s9
	v_mov_b32_e32 v4, 0
	s_and_saveexec_b32 s0, s8
	s_cbranch_execnz .LBB274_121
	s_branch .LBB274_122
.LBB274_2544:
	s_or_saveexec_b32 s17, s17
	v_mov_b32_e32 v7, 0x7f800001
	s_xor_b32 exec_lo, exec_lo, s17
	s_cbranch_execz .LBB274_1143
.LBB274_2545:
	v_cmp_ne_u16_e64 s0, 0, v12
	v_mov_b32_e32 v7, 0
	s_and_not1_b32 s16, s16, exec_lo
	s_and_b32 s0, s0, exec_lo
	s_delay_alu instid0(SALU_CYCLE_1)
	s_or_b32 s16, s16, s0
	s_or_b32 exec_lo, exec_lo, s17
	s_and_saveexec_b32 s17, s16
	s_cbranch_execnz .LBB274_1144
	s_branch .LBB274_1145
.LBB274_2546:
	s_and_not1_saveexec_b32 s19, s19
	s_cbranch_execz .LBB274_1788
.LBB274_2547:
	s_mov_b32 s20, s1
	s_mov_b32 s18, exec_lo
	v_cmpx_lt_i16_e32 22, v9
	s_xor_b32 s18, exec_lo, s18
	s_cbranch_execz .LBB274_2579
; %bb.2548:
	s_mov_b32 s20, exec_lo
	v_cmpx_lt_i16_e32 23, v9
	s_xor_b32 s20, exec_lo, s20
	s_cbranch_execz .LBB274_2568
; %bb.2549:
	;; [unrolled: 5-line block ×3, first 2 shown]
	v_cndmask_b32_e64 v10, 0, 1.0, vcc_lo
	v_mov_b32_e32 v12, 0x80
	s_mov_b32 s22, exec_lo
	s_delay_alu instid0(VALU_DEP_2)
	v_cmpx_gt_u32_e32 0x47800000, v10
	s_cbranch_execz .LBB274_2556
; %bb.2551:
	v_cmp_lt_u32_e64 s0, 0x37ffffff, v10
	s_mov_b32 s23, 0
                                        ; implicit-def: $vgpr3
	s_and_saveexec_b32 s24, s0
	s_delay_alu instid0(SALU_CYCLE_1)
	s_xor_b32 s0, exec_lo, s24
	s_cbranch_execz .LBB274_2744
; %bb.2552:
	v_bfe_u32 v3, v10, 21, 1
	s_mov_b32 s23, exec_lo
	s_delay_alu instid0(VALU_DEP_1) | instskip(NEXT) | instid1(VALU_DEP_1)
	v_add3_u32 v3, v10, v3, 0x88fffff
                                        ; implicit-def: $vgpr10
	v_lshrrev_b32_e32 v3, 21, v3
	s_and_not1_saveexec_b32 s24, s0
	s_cbranch_execnz .LBB274_2745
.LBB274_2553:
	s_or_b32 exec_lo, exec_lo, s24
	v_mov_b32_e32 v12, 0
	s_and_saveexec_b32 s0, s23
.LBB274_2554:
	v_mov_b32_e32 v12, v3
.LBB274_2555:
	s_or_b32 exec_lo, exec_lo, s0
.LBB274_2556:
	s_delay_alu instid0(SALU_CYCLE_1)
	s_or_b32 exec_lo, exec_lo, s22
	flat_store_b8 v[4:5], v12
.LBB274_2557:
	s_wait_xcnt 0x0
	s_and_not1_saveexec_b32 s21, s21
	s_cbranch_execz .LBB274_2567
; %bb.2558:
	v_cndmask_b32_e64 v10, 0, 1.0, vcc_lo
	s_mov_b32 s22, exec_lo
                                        ; implicit-def: $vgpr3
	s_delay_alu instid0(VALU_DEP_1)
	v_cmpx_gt_u32_e32 0x43f00000, v10
	s_xor_b32 s22, exec_lo, s22
	s_cbranch_execz .LBB274_2564
; %bb.2559:
	s_mov_b32 s23, exec_lo
                                        ; implicit-def: $vgpr3
	v_cmpx_lt_u32_e32 0x3c7fffff, v10
	s_xor_b32 s23, exec_lo, s23
; %bb.2560:
	v_bfe_u32 v3, v10, 20, 1
	s_delay_alu instid0(VALU_DEP_1) | instskip(NEXT) | instid1(VALU_DEP_1)
	v_add3_u32 v3, v10, v3, 0x407ffff
	v_and_b32_e32 v10, 0xff00000, v3
	v_lshrrev_b32_e32 v3, 20, v3
	s_delay_alu instid0(VALU_DEP_2) | instskip(NEXT) | instid1(VALU_DEP_1)
	v_cmp_ne_u32_e64 s0, 0x7f00000, v10
                                        ; implicit-def: $vgpr10
	v_cndmask_b32_e64 v3, 0x7e, v3, s0
; %bb.2561:
	s_and_not1_saveexec_b32 s0, s23
; %bb.2562:
	v_add_f32_e32 v3, 0x46800000, v10
; %bb.2563:
	s_or_b32 exec_lo, exec_lo, s0
                                        ; implicit-def: $vgpr10
.LBB274_2564:
	s_and_not1_saveexec_b32 s22, s22
; %bb.2565:
	v_mov_b32_e32 v3, 0x7f
	v_cmp_lt_u32_e64 s0, 0x7f800000, v10
	s_delay_alu instid0(VALU_DEP_1)
	v_cndmask_b32_e64 v3, 0x7e, v3, s0
; %bb.2566:
	s_or_b32 exec_lo, exec_lo, s22
	flat_store_b8 v[4:5], v3
.LBB274_2567:
	s_wait_xcnt 0x0
	s_or_b32 exec_lo, exec_lo, s21
.LBB274_2568:
	s_and_not1_saveexec_b32 s20, s20
	s_cbranch_execz .LBB274_2578
; %bb.2569:
	v_cndmask_b32_e64 v10, 0, 1.0, vcc_lo
	s_mov_b32 s21, exec_lo
                                        ; implicit-def: $vgpr3
	s_delay_alu instid0(VALU_DEP_1)
	v_cmpx_gt_u32_e32 0x47800000, v10
	s_xor_b32 s21, exec_lo, s21
	s_cbranch_execz .LBB274_2575
; %bb.2570:
	v_cmp_lt_u32_e64 s0, 0x387fffff, v10
                                        ; implicit-def: $vgpr3
	s_and_saveexec_b32 s22, s0
	s_delay_alu instid0(SALU_CYCLE_1)
	s_xor_b32 s0, exec_lo, s22
; %bb.2571:
	v_bfe_u32 v3, v10, 21, 1
	s_delay_alu instid0(VALU_DEP_1) | instskip(NEXT) | instid1(VALU_DEP_1)
	v_add3_u32 v3, v10, v3, 0x80fffff
                                        ; implicit-def: $vgpr10
	v_lshrrev_b32_e32 v3, 21, v3
; %bb.2572:
	s_and_not1_saveexec_b32 s0, s0
; %bb.2573:
	v_add_f32_e32 v3, 0x43000000, v10
; %bb.2574:
	s_or_b32 exec_lo, exec_lo, s0
                                        ; implicit-def: $vgpr10
.LBB274_2575:
	s_and_not1_saveexec_b32 s21, s21
; %bb.2576:
	v_mov_b32_e32 v3, 0x7f
	v_cmp_lt_u32_e64 s0, 0x7f800000, v10
	s_delay_alu instid0(VALU_DEP_1)
	v_cndmask_b32_e64 v3, 0x7c, v3, s0
; %bb.2577:
	s_or_b32 exec_lo, exec_lo, s21
	flat_store_b8 v[4:5], v3
.LBB274_2578:
	s_wait_xcnt 0x0
	s_or_b32 exec_lo, exec_lo, s20
	s_delay_alu instid0(SALU_CYCLE_1)
	s_or_b32 s20, s1, exec_lo
.LBB274_2579:
	s_or_saveexec_b32 s18, s18
	s_mov_b32 s0, 0
	s_mov_b32 s21, s17
	s_xor_b32 exec_lo, exec_lo, s18
	s_cbranch_execz .LBB274_2587
; %bb.2580:
	s_mov_b32 s21, s17
	s_mov_b32 s23, s20
	s_mov_b32 s22, exec_lo
	v_cmpx_lt_i16_e32 14, v9
	s_xor_b32 s22, exec_lo, s22
	s_cbranch_execz .LBB274_2584
; %bb.2581:
	s_mov_b32 s21, -1
	s_mov_b32 s24, s20
	s_mov_b32 s23, exec_lo
	v_cmpx_eq_u16_e32 15, v9
	s_cbranch_execz .LBB274_2583
; %bb.2582:
	v_cndmask_b32_e64 v3, 0, 1.0, vcc_lo
	s_or_b32 s24, s20, exec_lo
	s_xor_b32 s21, exec_lo, -1
	s_delay_alu instid0(VALU_DEP_1) | instskip(NEXT) | instid1(VALU_DEP_1)
	v_bfe_u32 v10, v3, 16, 1
	v_add3_u32 v3, v3, v10, 0x7fff
	flat_store_d16_hi_b16 v[4:5], v3
.LBB274_2583:
	s_wait_xcnt 0x0
	s_or_b32 exec_lo, exec_lo, s23
	s_delay_alu instid0(SALU_CYCLE_1)
	s_and_not1_b32 s0, s20, exec_lo
	s_and_b32 s23, s24, exec_lo
	s_and_not1_b32 s24, s17, exec_lo
	s_and_b32 s21, s21, exec_lo
	s_or_b32 s23, s0, s23
	s_or_b32 s21, s24, s21
.LBB274_2584:
	s_or_saveexec_b32 s24, s22
	s_mov_b32 s22, 0
	s_xor_b32 exec_lo, exec_lo, s24
; %bb.2585:
	v_cmp_ne_u16_e64 s0, 11, v9
	s_and_not1_b32 s21, s21, exec_lo
	s_mov_b32 s22, exec_lo
	s_and_b32 s0, s0, exec_lo
	s_delay_alu instid0(SALU_CYCLE_1)
	s_or_b32 s21, s21, s0
; %bb.2586:
	s_or_b32 exec_lo, exec_lo, s24
	s_delay_alu instid0(SALU_CYCLE_1)
	s_and_not1_b32 s0, s20, exec_lo
	s_and_b32 s20, s23, exec_lo
	s_and_not1_b32 s23, s17, exec_lo
	s_and_b32 s21, s21, exec_lo
	s_or_b32 s20, s0, s20
	s_and_b32 s0, s22, exec_lo
	s_or_b32 s21, s23, s21
.LBB274_2587:
	s_or_b32 exec_lo, exec_lo, s18
	s_delay_alu instid0(SALU_CYCLE_1)
	s_and_not1_b32 s1, s1, exec_lo
	s_and_b32 s18, s20, exec_lo
	s_and_not1_b32 s17, s17, exec_lo
	s_and_b32 s20, s21, exec_lo
	s_or_b32 s1, s1, s18
	s_and_b32 s18, s0, exec_lo
	s_or_b32 s17, s17, s20
	s_or_b32 exec_lo, exec_lo, s19
	s_mov_b32 s0, s13
	s_and_saveexec_b32 s19, s17
	s_cbranch_execz .LBB274_1789
.LBB274_2588:
	s_or_b32 s0, s13, exec_lo
	s_and_not1_b32 s18, s18, exec_lo
	s_trap 2
	s_or_b32 exec_lo, exec_lo, s19
	s_and_saveexec_b32 s17, s18
	s_delay_alu instid0(SALU_CYCLE_1)
	s_xor_b32 s17, exec_lo, s17
	s_cbranch_execnz .LBB274_1790
	s_branch .LBB274_1791
.LBB274_2589:
	s_or_saveexec_b32 s13, s13
	v_mov_b32_e32 v9, 0x7f800001
	s_xor_b32 exec_lo, exec_lo, s13
	s_cbranch_execz .LBB274_2332
.LBB274_2590:
	v_cmp_ne_u16_e64 s0, 0, v11
	v_mov_b32_e32 v9, 0
	s_and_not1_b32 s12, s12, exec_lo
	s_and_b32 s0, s0, exec_lo
	s_delay_alu instid0(SALU_CYCLE_1)
	s_or_b32 s12, s12, s0
	s_or_b32 exec_lo, exec_lo, s13
	s_and_saveexec_b32 s13, s12
	s_cbranch_execnz .LBB274_2333
	s_branch .LBB274_2334
.LBB274_2591:
	s_and_not1_saveexec_b32 s10, s0
	s_cbranch_execz .LBB274_133
.LBB274_2592:
	v_add_f32_e32 v2, 0x42800000, v3
	s_and_not1_b32 s9, s9, exec_lo
	s_delay_alu instid0(VALU_DEP_1) | instskip(NEXT) | instid1(VALU_DEP_1)
	v_and_b32_e32 v2, 0xff, v2
	v_cmp_ne_u32_e64 s0, 0, v2
	s_and_b32 s0, s0, exec_lo
	s_delay_alu instid0(SALU_CYCLE_1)
	s_or_b32 s9, s9, s0
	s_or_b32 exec_lo, exec_lo, s10
	v_mov_b32_e32 v4, 0
	s_and_saveexec_b32 s0, s9
	s_cbranch_execnz .LBB274_134
	s_branch .LBB274_135
.LBB274_2593:
	s_and_not1_saveexec_b32 s9, s0
	s_cbranch_execz .LBB274_207
.LBB274_2594:
	v_add_f32_e32 v2, 0x46000000, v3
	s_and_not1_b32 s8, s8, exec_lo
	s_delay_alu instid0(VALU_DEP_1) | instskip(NEXT) | instid1(VALU_DEP_1)
	v_and_b32_e32 v2, 0xff, v2
	v_cmp_ne_u32_e64 s0, 0, v2
	s_and_b32 s0, s0, exec_lo
	s_delay_alu instid0(SALU_CYCLE_1)
	s_or_b32 s8, s8, s0
	s_or_b32 exec_lo, exec_lo, s9
	v_mov_b32_e32 v4, 0
	s_and_saveexec_b32 s0, s8
	s_cbranch_execnz .LBB274_208
	s_branch .LBB274_209
.LBB274_2595:
	s_or_saveexec_b32 s19, s19
	v_mov_b32_e32 v8, 0x7f800001
	s_xor_b32 exec_lo, exec_lo, s19
	s_cbranch_execz .LBB274_1369
.LBB274_2596:
	v_cmp_ne_u16_e64 s0, 0, v9
	v_mov_b32_e32 v8, 0
	s_and_not1_b32 s18, s18, exec_lo
	s_and_b32 s0, s0, exec_lo
	s_delay_alu instid0(SALU_CYCLE_1)
	s_or_b32 s18, s18, s0
	s_or_b32 exec_lo, exec_lo, s19
	s_and_saveexec_b32 s19, s18
	s_cbranch_execnz .LBB274_1370
	s_branch .LBB274_1371
.LBB274_2597:
	s_and_not1_saveexec_b32 s22, s22
	s_cbranch_execz .LBB274_1872
.LBB274_2598:
	s_mov_b32 s23, s2
	s_mov_b32 s21, exec_lo
	v_cmpx_lt_i16_e32 22, v9
	s_xor_b32 s21, exec_lo, s21
	s_cbranch_execz .LBB274_2630
; %bb.2599:
	s_mov_b32 s23, exec_lo
	v_cmpx_lt_i16_e32 23, v9
	s_xor_b32 s23, exec_lo, s23
	s_cbranch_execz .LBB274_2619
; %bb.2600:
	;; [unrolled: 5-line block ×3, first 2 shown]
	v_cndmask_b32_e64 v12, 0, 1.0, s0
	v_mov_b32_e32 v13, 0x80
	s_mov_b32 s25, exec_lo
	s_delay_alu instid0(VALU_DEP_2)
	v_cmpx_gt_u32_e32 0x47800000, v12
	s_cbranch_execz .LBB274_2607
; %bb.2602:
	v_cmp_lt_u32_e64 s1, 0x37ffffff, v12
	s_mov_b32 s26, 0
                                        ; implicit-def: $vgpr3
	s_and_saveexec_b32 s27, s1
	s_delay_alu instid0(SALU_CYCLE_1)
	s_xor_b32 s1, exec_lo, s27
	s_cbranch_execz .LBB274_2748
; %bb.2603:
	v_bfe_u32 v3, v12, 21, 1
	s_mov_b32 s26, exec_lo
	s_delay_alu instid0(VALU_DEP_1) | instskip(NEXT) | instid1(VALU_DEP_1)
	v_add3_u32 v3, v12, v3, 0x88fffff
                                        ; implicit-def: $vgpr12
	v_lshrrev_b32_e32 v3, 21, v3
	s_and_not1_saveexec_b32 s27, s1
	s_cbranch_execnz .LBB274_2749
.LBB274_2604:
	s_or_b32 exec_lo, exec_lo, s27
	v_mov_b32_e32 v13, 0
	s_and_saveexec_b32 s1, s26
.LBB274_2605:
	v_mov_b32_e32 v13, v3
.LBB274_2606:
	s_or_b32 exec_lo, exec_lo, s1
.LBB274_2607:
	s_delay_alu instid0(SALU_CYCLE_1)
	s_or_b32 exec_lo, exec_lo, s25
	flat_store_b8 v[4:5], v13
.LBB274_2608:
	s_wait_xcnt 0x0
	s_and_not1_saveexec_b32 s24, s24
	s_cbranch_execz .LBB274_2618
; %bb.2609:
	v_cndmask_b32_e64 v12, 0, 1.0, s0
	s_mov_b32 s25, exec_lo
                                        ; implicit-def: $vgpr3
	s_delay_alu instid0(VALU_DEP_1)
	v_cmpx_gt_u32_e32 0x43f00000, v12
	s_xor_b32 s25, exec_lo, s25
	s_cbranch_execz .LBB274_2615
; %bb.2610:
	s_mov_b32 s26, exec_lo
                                        ; implicit-def: $vgpr3
	v_cmpx_lt_u32_e32 0x3c7fffff, v12
	s_xor_b32 s26, exec_lo, s26
; %bb.2611:
	v_bfe_u32 v3, v12, 20, 1
	s_delay_alu instid0(VALU_DEP_1) | instskip(NEXT) | instid1(VALU_DEP_1)
	v_add3_u32 v3, v12, v3, 0x407ffff
	v_and_b32_e32 v12, 0xff00000, v3
	v_lshrrev_b32_e32 v3, 20, v3
	s_delay_alu instid0(VALU_DEP_2) | instskip(NEXT) | instid1(VALU_DEP_1)
	v_cmp_ne_u32_e64 s1, 0x7f00000, v12
                                        ; implicit-def: $vgpr12
	v_cndmask_b32_e64 v3, 0x7e, v3, s1
; %bb.2612:
	s_and_not1_saveexec_b32 s1, s26
; %bb.2613:
	v_add_f32_e32 v3, 0x46800000, v12
; %bb.2614:
	s_or_b32 exec_lo, exec_lo, s1
                                        ; implicit-def: $vgpr12
.LBB274_2615:
	s_and_not1_saveexec_b32 s25, s25
; %bb.2616:
	v_mov_b32_e32 v3, 0x7f
	v_cmp_lt_u32_e64 s1, 0x7f800000, v12
	s_delay_alu instid0(VALU_DEP_1)
	v_cndmask_b32_e64 v3, 0x7e, v3, s1
; %bb.2617:
	s_or_b32 exec_lo, exec_lo, s25
	flat_store_b8 v[4:5], v3
.LBB274_2618:
	s_wait_xcnt 0x0
	s_or_b32 exec_lo, exec_lo, s24
.LBB274_2619:
	s_and_not1_saveexec_b32 s23, s23
	s_cbranch_execz .LBB274_2629
; %bb.2620:
	v_cndmask_b32_e64 v12, 0, 1.0, s0
	s_mov_b32 s24, exec_lo
                                        ; implicit-def: $vgpr3
	s_delay_alu instid0(VALU_DEP_1)
	v_cmpx_gt_u32_e32 0x47800000, v12
	s_xor_b32 s24, exec_lo, s24
	s_cbranch_execz .LBB274_2626
; %bb.2621:
	v_cmp_lt_u32_e64 s1, 0x387fffff, v12
                                        ; implicit-def: $vgpr3
	s_and_saveexec_b32 s25, s1
	s_delay_alu instid0(SALU_CYCLE_1)
	s_xor_b32 s1, exec_lo, s25
; %bb.2622:
	v_bfe_u32 v3, v12, 21, 1
	s_delay_alu instid0(VALU_DEP_1) | instskip(NEXT) | instid1(VALU_DEP_1)
	v_add3_u32 v3, v12, v3, 0x80fffff
                                        ; implicit-def: $vgpr12
	v_lshrrev_b32_e32 v3, 21, v3
; %bb.2623:
	s_and_not1_saveexec_b32 s1, s1
; %bb.2624:
	v_add_f32_e32 v3, 0x43000000, v12
; %bb.2625:
	s_or_b32 exec_lo, exec_lo, s1
                                        ; implicit-def: $vgpr12
.LBB274_2626:
	s_and_not1_saveexec_b32 s24, s24
; %bb.2627:
	v_mov_b32_e32 v3, 0x7f
	v_cmp_lt_u32_e64 s1, 0x7f800000, v12
	s_delay_alu instid0(VALU_DEP_1)
	v_cndmask_b32_e64 v3, 0x7c, v3, s1
; %bb.2628:
	s_or_b32 exec_lo, exec_lo, s24
	flat_store_b8 v[4:5], v3
.LBB274_2629:
	s_wait_xcnt 0x0
	s_or_b32 exec_lo, exec_lo, s23
	s_delay_alu instid0(SALU_CYCLE_1)
	s_or_b32 s23, s2, exec_lo
.LBB274_2630:
	s_or_saveexec_b32 s21, s21
	s_mov_b32 s1, 0
	s_mov_b32 s24, s19
	s_xor_b32 exec_lo, exec_lo, s21
	s_cbranch_execz .LBB274_2638
; %bb.2631:
	s_mov_b32 s24, s19
	s_mov_b32 s26, s23
	s_mov_b32 s25, exec_lo
	v_cmpx_lt_i16_e32 14, v9
	s_xor_b32 s25, exec_lo, s25
	s_cbranch_execz .LBB274_2635
; %bb.2632:
	s_mov_b32 s24, -1
	s_mov_b32 s27, s23
	s_mov_b32 s26, exec_lo
	v_cmpx_eq_u16_e32 15, v9
	s_cbranch_execz .LBB274_2634
; %bb.2633:
	v_cndmask_b32_e64 v3, 0, 1.0, s0
	s_or_b32 s27, s23, exec_lo
	s_xor_b32 s24, exec_lo, -1
	s_delay_alu instid0(VALU_DEP_1) | instskip(NEXT) | instid1(VALU_DEP_1)
	v_bfe_u32 v12, v3, 16, 1
	v_add3_u32 v3, v3, v12, 0x7fff
	flat_store_d16_hi_b16 v[4:5], v3
.LBB274_2634:
	s_wait_xcnt 0x0
	s_or_b32 exec_lo, exec_lo, s26
	s_delay_alu instid0(SALU_CYCLE_1)
	s_and_not1_b32 s1, s23, exec_lo
	s_and_b32 s26, s27, exec_lo
	s_and_not1_b32 s27, s19, exec_lo
	s_and_b32 s24, s24, exec_lo
	s_or_b32 s26, s1, s26
	s_or_b32 s24, s27, s24
.LBB274_2635:
	s_or_saveexec_b32 s27, s25
	s_mov_b32 s25, 0
	s_xor_b32 exec_lo, exec_lo, s27
; %bb.2636:
	v_cmp_ne_u16_e64 s1, 11, v9
	s_and_not1_b32 s24, s24, exec_lo
	s_mov_b32 s25, exec_lo
	s_and_b32 s1, s1, exec_lo
	s_delay_alu instid0(SALU_CYCLE_1)
	s_or_b32 s24, s24, s1
; %bb.2637:
	s_or_b32 exec_lo, exec_lo, s27
	s_delay_alu instid0(SALU_CYCLE_1)
	s_and_not1_b32 s1, s23, exec_lo
	s_and_b32 s23, s26, exec_lo
	s_and_not1_b32 s26, s19, exec_lo
	s_and_b32 s24, s24, exec_lo
	s_or_b32 s23, s1, s23
	s_and_b32 s1, s25, exec_lo
	s_or_b32 s24, s26, s24
.LBB274_2638:
	s_or_b32 exec_lo, exec_lo, s21
	s_delay_alu instid0(SALU_CYCLE_1)
	s_and_not1_b32 s2, s2, exec_lo
	s_and_b32 s21, s23, exec_lo
	s_and_not1_b32 s19, s19, exec_lo
	s_and_b32 s23, s24, exec_lo
	s_or_b32 s2, s2, s21
	s_and_b32 s21, s1, exec_lo
	s_or_b32 s19, s19, s23
	s_or_b32 exec_lo, exec_lo, s22
	s_mov_b32 s1, s17
	s_and_saveexec_b32 s22, s19
	s_cbranch_execz .LBB274_1873
.LBB274_2639:
	s_or_b32 s1, s17, exec_lo
	s_and_not1_b32 s21, s21, exec_lo
	s_trap 2
	s_or_b32 exec_lo, exec_lo, s22
	s_and_saveexec_b32 s19, s21
	s_delay_alu instid0(SALU_CYCLE_1)
	s_xor_b32 s19, exec_lo, s19
	s_cbranch_execnz .LBB274_1874
	s_branch .LBB274_1875
.LBB274_2640:
	s_or_saveexec_b32 s17, s17
	v_mov_b32_e32 v7, 0x7f800001
	s_xor_b32 exec_lo, exec_lo, s17
	s_cbranch_execz .LBB274_2385
.LBB274_2641:
	v_cmp_ne_u16_e64 s0, 0, v12
	v_mov_b32_e32 v7, 0
	s_and_not1_b32 s16, s16, exec_lo
	s_and_b32 s0, s0, exec_lo
	s_delay_alu instid0(SALU_CYCLE_1)
	s_or_b32 s16, s16, s0
	s_or_b32 exec_lo, exec_lo, s17
	s_and_saveexec_b32 s17, s16
	s_cbranch_execnz .LBB274_2386
	s_branch .LBB274_2387
.LBB274_2642:
	s_and_not1_saveexec_b32 s10, s0
	s_cbranch_execz .LBB274_220
.LBB274_2643:
	v_add_f32_e32 v2, 0x42800000, v3
	s_and_not1_b32 s9, s9, exec_lo
	s_delay_alu instid0(VALU_DEP_1) | instskip(NEXT) | instid1(VALU_DEP_1)
	v_and_b32_e32 v2, 0xff, v2
	v_cmp_ne_u32_e64 s0, 0, v2
	s_and_b32 s0, s0, exec_lo
	s_delay_alu instid0(SALU_CYCLE_1)
	s_or_b32 s9, s9, s0
	s_or_b32 exec_lo, exec_lo, s10
	v_mov_b32_e32 v4, 0
	s_and_saveexec_b32 s0, s9
	s_cbranch_execnz .LBB274_221
	s_branch .LBB274_222
.LBB274_2644:
	s_and_not1_saveexec_b32 s8, s8
	s_cbranch_execz .LBB274_294
.LBB274_2645:
	v_add_f32_e32 v3, 0x46000000, v4
	s_and_not1_b32 s7, s7, exec_lo
	s_delay_alu instid0(VALU_DEP_1) | instskip(NEXT) | instid1(VALU_DEP_1)
	v_and_b32_e32 v3, 0xff, v3
	v_cmp_ne_u32_e32 vcc_lo, 0, v3
	s_and_b32 s9, vcc_lo, exec_lo
	s_delay_alu instid0(SALU_CYCLE_1)
	s_or_b32 s7, s7, s9
	s_or_b32 exec_lo, exec_lo, s8
	v_mov_b32_e32 v5, 0
	s_and_saveexec_b32 s8, s7
	s_cbranch_execnz .LBB274_295
	s_branch .LBB274_296
.LBB274_2646:
	s_or_saveexec_b32 s21, s21
	v_mov_b32_e32 v4, 0x7f800001
	s_xor_b32 exec_lo, exec_lo, s21
	s_cbranch_execz .LBB274_1595
.LBB274_2647:
	v_cmp_ne_u16_e64 s0, 0, v5
	v_mov_b32_e32 v4, 0
	s_and_not1_b32 s20, s20, exec_lo
	s_and_b32 s0, s0, exec_lo
	s_delay_alu instid0(SALU_CYCLE_1)
	s_or_b32 s20, s20, s0
	s_or_b32 exec_lo, exec_lo, s21
	s_and_saveexec_b32 s21, s20
	s_cbranch_execnz .LBB274_1596
	s_branch .LBB274_1597
.LBB274_2648:
	s_and_not1_saveexec_b32 s24, s24
	s_cbranch_execz .LBB274_1956
.LBB274_2649:
	s_mov_b32 s25, s22
	s_mov_b32 s23, exec_lo
	v_cmpx_lt_i16_e32 22, v9
	s_xor_b32 s23, exec_lo, s23
	s_cbranch_execz .LBB274_2681
; %bb.2650:
	s_mov_b32 s25, exec_lo
	v_cmpx_lt_i16_e32 23, v9
	s_xor_b32 s25, exec_lo, s25
	s_cbranch_execz .LBB274_2670
; %bb.2651:
	;; [unrolled: 5-line block ×3, first 2 shown]
	v_cndmask_b32_e64 v7, 0, 1.0, s0
	v_mov_b32_e32 v11, 0x80
	s_mov_b32 s27, exec_lo
	s_delay_alu instid0(VALU_DEP_2)
	v_cmpx_gt_u32_e32 0x47800000, v7
	s_cbranch_execz .LBB274_2658
; %bb.2653:
	v_cmp_lt_u32_e64 s1, 0x37ffffff, v7
	s_mov_b32 s28, 0
                                        ; implicit-def: $vgpr3
	s_and_saveexec_b32 s29, s1
	s_delay_alu instid0(SALU_CYCLE_1)
	s_xor_b32 s1, exec_lo, s29
	s_cbranch_execz .LBB274_2752
; %bb.2654:
	v_bfe_u32 v3, v7, 21, 1
	s_mov_b32 s28, exec_lo
	s_delay_alu instid0(VALU_DEP_1) | instskip(NEXT) | instid1(VALU_DEP_1)
	v_add3_u32 v3, v7, v3, 0x88fffff
                                        ; implicit-def: $vgpr7
	v_lshrrev_b32_e32 v3, 21, v3
	s_and_not1_saveexec_b32 s29, s1
	s_cbranch_execnz .LBB274_2753
.LBB274_2655:
	s_or_b32 exec_lo, exec_lo, s29
	v_mov_b32_e32 v11, 0
	s_and_saveexec_b32 s1, s28
.LBB274_2656:
	v_mov_b32_e32 v11, v3
.LBB274_2657:
	s_or_b32 exec_lo, exec_lo, s1
.LBB274_2658:
	s_delay_alu instid0(SALU_CYCLE_1)
	s_or_b32 exec_lo, exec_lo, s27
	flat_store_b8 v[4:5], v11
.LBB274_2659:
	s_wait_xcnt 0x0
	s_and_not1_saveexec_b32 s26, s26
	s_cbranch_execz .LBB274_2669
; %bb.2660:
	v_cndmask_b32_e64 v7, 0, 1.0, s0
	s_mov_b32 s27, exec_lo
                                        ; implicit-def: $vgpr3
	s_delay_alu instid0(VALU_DEP_1)
	v_cmpx_gt_u32_e32 0x43f00000, v7
	s_xor_b32 s27, exec_lo, s27
	s_cbranch_execz .LBB274_2666
; %bb.2661:
	s_mov_b32 s28, exec_lo
                                        ; implicit-def: $vgpr3
	v_cmpx_lt_u32_e32 0x3c7fffff, v7
	s_xor_b32 s28, exec_lo, s28
; %bb.2662:
	v_bfe_u32 v3, v7, 20, 1
	s_delay_alu instid0(VALU_DEP_1) | instskip(NEXT) | instid1(VALU_DEP_1)
	v_add3_u32 v3, v7, v3, 0x407ffff
	v_and_b32_e32 v7, 0xff00000, v3
	v_lshrrev_b32_e32 v3, 20, v3
	s_delay_alu instid0(VALU_DEP_2) | instskip(NEXT) | instid1(VALU_DEP_1)
	v_cmp_ne_u32_e64 s1, 0x7f00000, v7
                                        ; implicit-def: $vgpr7
	v_cndmask_b32_e64 v3, 0x7e, v3, s1
; %bb.2663:
	s_and_not1_saveexec_b32 s1, s28
; %bb.2664:
	v_add_f32_e32 v3, 0x46800000, v7
; %bb.2665:
	s_or_b32 exec_lo, exec_lo, s1
                                        ; implicit-def: $vgpr7
.LBB274_2666:
	s_and_not1_saveexec_b32 s27, s27
; %bb.2667:
	v_mov_b32_e32 v3, 0x7f
	v_cmp_lt_u32_e64 s1, 0x7f800000, v7
	s_delay_alu instid0(VALU_DEP_1)
	v_cndmask_b32_e64 v3, 0x7e, v3, s1
; %bb.2668:
	s_or_b32 exec_lo, exec_lo, s27
	flat_store_b8 v[4:5], v3
.LBB274_2669:
	s_wait_xcnt 0x0
	s_or_b32 exec_lo, exec_lo, s26
.LBB274_2670:
	s_and_not1_saveexec_b32 s25, s25
	s_cbranch_execz .LBB274_2680
; %bb.2671:
	v_cndmask_b32_e64 v7, 0, 1.0, s0
	s_mov_b32 s26, exec_lo
                                        ; implicit-def: $vgpr3
	s_delay_alu instid0(VALU_DEP_1)
	v_cmpx_gt_u32_e32 0x47800000, v7
	s_xor_b32 s26, exec_lo, s26
	s_cbranch_execz .LBB274_2677
; %bb.2672:
	v_cmp_lt_u32_e64 s1, 0x387fffff, v7
                                        ; implicit-def: $vgpr3
	s_and_saveexec_b32 s27, s1
	s_delay_alu instid0(SALU_CYCLE_1)
	s_xor_b32 s1, exec_lo, s27
; %bb.2673:
	v_bfe_u32 v3, v7, 21, 1
	s_delay_alu instid0(VALU_DEP_1) | instskip(NEXT) | instid1(VALU_DEP_1)
	v_add3_u32 v3, v7, v3, 0x80fffff
                                        ; implicit-def: $vgpr7
	v_lshrrev_b32_e32 v3, 21, v3
; %bb.2674:
	s_and_not1_saveexec_b32 s1, s1
; %bb.2675:
	v_add_f32_e32 v3, 0x43000000, v7
; %bb.2676:
	s_or_b32 exec_lo, exec_lo, s1
                                        ; implicit-def: $vgpr7
.LBB274_2677:
	s_and_not1_saveexec_b32 s26, s26
; %bb.2678:
	v_mov_b32_e32 v3, 0x7f
	v_cmp_lt_u32_e64 s1, 0x7f800000, v7
	s_delay_alu instid0(VALU_DEP_1)
	v_cndmask_b32_e64 v3, 0x7c, v3, s1
; %bb.2679:
	s_or_b32 exec_lo, exec_lo, s26
	flat_store_b8 v[4:5], v3
.LBB274_2680:
	s_wait_xcnt 0x0
	s_or_b32 exec_lo, exec_lo, s25
	s_delay_alu instid0(SALU_CYCLE_1)
	s_or_b32 s25, s22, exec_lo
.LBB274_2681:
	s_or_saveexec_b32 s23, s23
	s_mov_b32 s1, 0
	s_mov_b32 s26, s2
	s_xor_b32 exec_lo, exec_lo, s23
	s_cbranch_execz .LBB274_2689
; %bb.2682:
	s_mov_b32 s26, s2
	s_mov_b32 s28, s25
	s_mov_b32 s27, exec_lo
	v_cmpx_lt_i16_e32 14, v9
	s_xor_b32 s27, exec_lo, s27
	s_cbranch_execz .LBB274_2686
; %bb.2683:
	s_mov_b32 s26, -1
	s_mov_b32 s29, s25
	s_mov_b32 s28, exec_lo
	v_cmpx_eq_u16_e32 15, v9
	s_cbranch_execz .LBB274_2685
; %bb.2684:
	v_cndmask_b32_e64 v3, 0, 1.0, s0
	s_or_b32 s29, s25, exec_lo
	s_xor_b32 s26, exec_lo, -1
	s_delay_alu instid0(VALU_DEP_1) | instskip(NEXT) | instid1(VALU_DEP_1)
	v_bfe_u32 v7, v3, 16, 1
	v_add3_u32 v3, v3, v7, 0x7fff
	flat_store_d16_hi_b16 v[4:5], v3
.LBB274_2685:
	s_wait_xcnt 0x0
	s_or_b32 exec_lo, exec_lo, s28
	s_delay_alu instid0(SALU_CYCLE_1)
	s_and_not1_b32 s1, s25, exec_lo
	s_and_b32 s28, s29, exec_lo
	s_and_not1_b32 s29, s2, exec_lo
	s_and_b32 s26, s26, exec_lo
	s_or_b32 s28, s1, s28
	s_or_b32 s26, s29, s26
.LBB274_2686:
	s_or_saveexec_b32 s29, s27
	s_mov_b32 s27, 0
	s_xor_b32 exec_lo, exec_lo, s29
; %bb.2687:
	v_cmp_ne_u16_e64 s1, 11, v9
	s_and_not1_b32 s26, s26, exec_lo
	s_mov_b32 s27, exec_lo
	s_and_b32 s1, s1, exec_lo
	s_delay_alu instid0(SALU_CYCLE_1)
	s_or_b32 s26, s26, s1
; %bb.2688:
	s_or_b32 exec_lo, exec_lo, s29
	s_delay_alu instid0(SALU_CYCLE_1)
	s_and_not1_b32 s1, s25, exec_lo
	s_and_b32 s25, s28, exec_lo
	s_and_not1_b32 s28, s2, exec_lo
	s_and_b32 s26, s26, exec_lo
	s_or_b32 s25, s1, s25
	s_and_b32 s1, s27, exec_lo
	s_or_b32 s26, s28, s26
.LBB274_2689:
	s_or_b32 exec_lo, exec_lo, s23
	s_delay_alu instid0(SALU_CYCLE_1)
	s_and_not1_b32 s22, s22, exec_lo
	s_and_b32 s23, s25, exec_lo
	s_and_not1_b32 s2, s2, exec_lo
	s_and_b32 s25, s26, exec_lo
	s_or_b32 s22, s22, s23
	s_and_b32 s23, s1, exec_lo
	s_or_b32 s2, s2, s25
	s_or_b32 exec_lo, exec_lo, s24
	s_mov_b32 s1, s19
	s_and_saveexec_b32 s24, s2
	s_cbranch_execz .LBB274_1957
.LBB274_2690:
	s_or_b32 s1, s19, exec_lo
	s_and_not1_b32 s23, s23, exec_lo
	s_trap 2
	s_or_b32 exec_lo, exec_lo, s24
	s_and_saveexec_b32 s2, s23
	s_delay_alu instid0(SALU_CYCLE_1)
	s_xor_b32 s2, exec_lo, s2
	s_cbranch_execnz .LBB274_1958
	s_branch .LBB274_1959
.LBB274_2691:
	s_or_saveexec_b32 s19, s19
	v_mov_b32_e32 v8, 0x7f800001
	s_xor_b32 exec_lo, exec_lo, s19
	s_cbranch_execz .LBB274_2438
.LBB274_2692:
	v_cmp_ne_u16_e64 s0, 0, v9
	v_mov_b32_e32 v8, 0
	s_and_not1_b32 s18, s18, exec_lo
	s_and_b32 s0, s0, exec_lo
	s_delay_alu instid0(SALU_CYCLE_1)
	s_or_b32 s18, s18, s0
	s_or_b32 exec_lo, exec_lo, s19
	s_and_saveexec_b32 s19, s18
	s_cbranch_execnz .LBB274_2439
	s_branch .LBB274_2440
.LBB274_2693:
	s_and_not1_saveexec_b32 s9, s9
	s_cbranch_execz .LBB274_307
.LBB274_2694:
	v_add_f32_e32 v3, 0x42800000, v4
	s_and_not1_b32 s8, s8, exec_lo
	s_delay_alu instid0(VALU_DEP_1) | instskip(NEXT) | instid1(VALU_DEP_1)
	v_and_b32_e32 v3, 0xff, v3
	v_cmp_ne_u32_e32 vcc_lo, 0, v3
	s_and_b32 s10, vcc_lo, exec_lo
	s_delay_alu instid0(SALU_CYCLE_1)
	s_or_b32 s8, s8, s10
	s_or_b32 exec_lo, exec_lo, s9
	v_mov_b32_e32 v5, 0
	s_and_saveexec_b32 s9, s8
	s_cbranch_execnz .LBB274_308
	s_branch .LBB274_309
.LBB274_2695:
	s_and_not1_saveexec_b32 s23, s23
	s_cbranch_execz .LBB274_2040
.LBB274_2696:
	s_mov_b32 s24, exec_lo
	v_cmpx_lt_i16_e32 22, v9
	s_xor_b32 s24, exec_lo, s24
	s_cbranch_execz .LBB274_2728
; %bb.2697:
	s_mov_b32 s25, exec_lo
	v_cmpx_lt_i16_e32 23, v9
	s_xor_b32 s25, exec_lo, s25
	s_cbranch_execz .LBB274_2717
; %bb.2698:
	;; [unrolled: 5-line block ×3, first 2 shown]
	v_cndmask_b32_e64 v1, 0, 1.0, s1
	v_mov_b32_e32 v2, 0x80
	s_mov_b32 s27, exec_lo
	s_delay_alu instid0(VALU_DEP_2)
	v_cmpx_gt_u32_e32 0x47800000, v1
	s_cbranch_execz .LBB274_2705
; %bb.2700:
	s_mov_b32 s28, 0
	s_mov_b32 s29, exec_lo
                                        ; implicit-def: $vgpr0
	v_cmpx_lt_u32_e32 0x37ffffff, v1
	s_xor_b32 s29, exec_lo, s29
	s_cbranch_execz .LBB274_2754
; %bb.2701:
	v_bfe_u32 v0, v1, 21, 1
	s_mov_b32 s28, exec_lo
	s_delay_alu instid0(VALU_DEP_1) | instskip(NEXT) | instid1(VALU_DEP_1)
	v_add3_u32 v0, v1, v0, 0x88fffff
                                        ; implicit-def: $vgpr1
	v_lshrrev_b32_e32 v0, 21, v0
	s_and_not1_saveexec_b32 s29, s29
	s_cbranch_execnz .LBB274_2755
.LBB274_2702:
	s_or_b32 exec_lo, exec_lo, s29
	v_mov_b32_e32 v2, 0
	s_and_saveexec_b32 s29, s28
.LBB274_2703:
	v_mov_b32_e32 v2, v0
.LBB274_2704:
	s_or_b32 exec_lo, exec_lo, s29
.LBB274_2705:
	s_delay_alu instid0(SALU_CYCLE_1)
	s_or_b32 exec_lo, exec_lo, s27
	flat_store_b8 v[12:13], v2
.LBB274_2706:
	s_wait_xcnt 0x0
	s_and_not1_saveexec_b32 s26, s26
	s_cbranch_execz .LBB274_2716
; %bb.2707:
	v_cndmask_b32_e64 v1, 0, 1.0, s1
	s_mov_b32 s27, exec_lo
                                        ; implicit-def: $vgpr0
	s_delay_alu instid0(VALU_DEP_1)
	v_cmpx_gt_u32_e32 0x43f00000, v1
	s_xor_b32 s27, exec_lo, s27
	s_cbranch_execz .LBB274_2713
; %bb.2708:
	s_mov_b32 s28, exec_lo
                                        ; implicit-def: $vgpr0
	v_cmpx_lt_u32_e32 0x3c7fffff, v1
	s_xor_b32 s28, exec_lo, s28
; %bb.2709:
	v_bfe_u32 v0, v1, 20, 1
	s_delay_alu instid0(VALU_DEP_1) | instskip(NEXT) | instid1(VALU_DEP_1)
	v_add3_u32 v0, v1, v0, 0x407ffff
	v_and_b32_e32 v1, 0xff00000, v0
	v_lshrrev_b32_e32 v0, 20, v0
	s_delay_alu instid0(VALU_DEP_2) | instskip(NEXT) | instid1(VALU_DEP_2)
	v_cmp_ne_u32_e32 vcc_lo, 0x7f00000, v1
                                        ; implicit-def: $vgpr1
	v_cndmask_b32_e32 v0, 0x7e, v0, vcc_lo
; %bb.2710:
	s_and_not1_saveexec_b32 s28, s28
; %bb.2711:
	v_add_f32_e32 v0, 0x46800000, v1
; %bb.2712:
	s_or_b32 exec_lo, exec_lo, s28
                                        ; implicit-def: $vgpr1
.LBB274_2713:
	s_and_not1_saveexec_b32 s27, s27
; %bb.2714:
	v_mov_b32_e32 v0, 0x7f
	v_cmp_lt_u32_e32 vcc_lo, 0x7f800000, v1
	s_delay_alu instid0(VALU_DEP_2)
	v_cndmask_b32_e32 v0, 0x7e, v0, vcc_lo
; %bb.2715:
	s_or_b32 exec_lo, exec_lo, s27
	flat_store_b8 v[12:13], v0
.LBB274_2716:
	s_wait_xcnt 0x0
	s_or_b32 exec_lo, exec_lo, s26
.LBB274_2717:
	s_and_not1_saveexec_b32 s25, s25
	s_cbranch_execz .LBB274_2727
; %bb.2718:
	v_cndmask_b32_e64 v1, 0, 1.0, s1
	s_mov_b32 s26, exec_lo
                                        ; implicit-def: $vgpr0
	s_delay_alu instid0(VALU_DEP_1)
	v_cmpx_gt_u32_e32 0x47800000, v1
	s_xor_b32 s26, exec_lo, s26
	s_cbranch_execz .LBB274_2724
; %bb.2719:
	s_mov_b32 s27, exec_lo
                                        ; implicit-def: $vgpr0
	v_cmpx_lt_u32_e32 0x387fffff, v1
	s_xor_b32 s27, exec_lo, s27
; %bb.2720:
	v_bfe_u32 v0, v1, 21, 1
	s_delay_alu instid0(VALU_DEP_1) | instskip(NEXT) | instid1(VALU_DEP_1)
	v_add3_u32 v0, v1, v0, 0x80fffff
                                        ; implicit-def: $vgpr1
	v_lshrrev_b32_e32 v0, 21, v0
; %bb.2721:
	s_and_not1_saveexec_b32 s27, s27
; %bb.2722:
	v_add_f32_e32 v0, 0x43000000, v1
; %bb.2723:
	s_or_b32 exec_lo, exec_lo, s27
                                        ; implicit-def: $vgpr1
.LBB274_2724:
	s_and_not1_saveexec_b32 s26, s26
; %bb.2725:
	v_mov_b32_e32 v0, 0x7f
	v_cmp_lt_u32_e32 vcc_lo, 0x7f800000, v1
	s_delay_alu instid0(VALU_DEP_2)
	v_cndmask_b32_e32 v0, 0x7c, v0, vcc_lo
; %bb.2726:
	s_or_b32 exec_lo, exec_lo, s26
	flat_store_b8 v[12:13], v0
.LBB274_2727:
	s_wait_xcnt 0x0
	s_or_b32 exec_lo, exec_lo, s25
.LBB274_2728:
	s_or_saveexec_b32 s24, s24
	s_mov_b32 s25, 0
	s_mov_b32 s26, s0
	s_xor_b32 exec_lo, exec_lo, s24
	s_cbranch_execz .LBB274_2736
; %bb.2729:
	s_mov_b32 s25, s0
	s_mov_b32 s26, exec_lo
	v_cmpx_lt_i16_e32 14, v9
	s_xor_b32 s26, exec_lo, s26
	s_cbranch_execz .LBB274_2733
; %bb.2730:
	s_mov_b32 s27, -1
	s_mov_b32 s25, exec_lo
	v_cmpx_eq_u16_e32 15, v9
	s_cbranch_execz .LBB274_2732
; %bb.2731:
	v_cndmask_b32_e64 v0, 0, 1.0, s1
	s_xor_b32 s27, exec_lo, -1
	s_delay_alu instid0(VALU_DEP_1) | instskip(NEXT) | instid1(VALU_DEP_1)
	v_bfe_u32 v1, v0, 16, 1
	v_add3_u32 v0, v0, v1, 0x7fff
	flat_store_d16_hi_b16 v[12:13], v0
.LBB274_2732:
	s_wait_xcnt 0x0
	s_or_b32 exec_lo, exec_lo, s25
	s_delay_alu instid0(SALU_CYCLE_1) | instskip(SKIP_1) | instid1(SALU_CYCLE_1)
	s_and_not1_b32 s25, s0, exec_lo
	s_and_b32 s27, s27, exec_lo
	s_or_b32 s25, s25, s27
.LBB274_2733:
	s_or_saveexec_b32 s26, s26
	s_mov_b32 s27, 0
	s_xor_b32 exec_lo, exec_lo, s26
; %bb.2734:
	v_cmp_ne_u16_e32 vcc_lo, 11, v9
	s_and_not1_b32 s25, s25, exec_lo
	s_mov_b32 s27, exec_lo
	s_and_b32 s28, vcc_lo, exec_lo
	s_delay_alu instid0(SALU_CYCLE_1)
	s_or_b32 s25, s25, s28
; %bb.2735:
	s_or_b32 exec_lo, exec_lo, s26
	s_delay_alu instid0(SALU_CYCLE_1)
	s_and_not1_b32 s26, s0, exec_lo
	s_and_b32 s28, s25, exec_lo
	s_and_b32 s25, s27, exec_lo
	s_or_b32 s26, s26, s28
.LBB274_2736:
	s_or_b32 exec_lo, exec_lo, s24
	s_delay_alu instid0(SALU_CYCLE_1)
	s_and_not1_b32 s0, s0, exec_lo
	s_and_b32 s26, s26, exec_lo
	s_and_b32 s24, s25, exec_lo
	s_or_b32 s0, s0, s26
	s_or_b32 exec_lo, exec_lo, s23
	s_mov_b32 s25, s2
	s_and_saveexec_b32 s23, s0
	s_cbranch_execz .LBB274_2041
.LBB274_2737:
	s_and_not1_b32 s24, s24, exec_lo
	s_or_b32 s25, s2, exec_lo
	s_trap 2
	s_branch .LBB274_2041
.LBB274_2738:
	s_or_saveexec_b32 s21, s21
	v_mov_b32_e32 v4, 0x7f800001
	s_xor_b32 exec_lo, exec_lo, s21
	s_cbranch_execz .LBB274_2495
.LBB274_2739:
	v_cmp_ne_u16_e64 s0, 0, v5
	v_mov_b32_e32 v4, 0
	s_and_not1_b32 s20, s20, exec_lo
	s_and_b32 s0, s0, exec_lo
	s_delay_alu instid0(SALU_CYCLE_1)
	s_or_b32 s20, s20, s0
	s_or_b32 exec_lo, exec_lo, s21
	s_and_saveexec_b32 s21, s20
	s_cbranch_execnz .LBB274_2496
	s_branch .LBB274_2497
.LBB274_2740:
	s_and_not1_saveexec_b32 s24, s0
	s_cbranch_execz .LBB274_1782
.LBB274_2741:
	v_add_f32_e32 v3, 0x46000000, v10
	s_and_not1_b32 s23, s23, exec_lo
	s_delay_alu instid0(VALU_DEP_1) | instskip(NEXT) | instid1(VALU_DEP_1)
	v_and_b32_e32 v3, 0xff, v3
	v_cmp_ne_u32_e64 s0, 0, v3
	s_and_b32 s0, s0, exec_lo
	s_delay_alu instid0(SALU_CYCLE_1)
	s_or_b32 s23, s23, s0
	s_or_b32 exec_lo, exec_lo, s24
	v_mov_b32_e32 v12, 0
	s_and_saveexec_b32 s0, s23
	s_cbranch_execnz .LBB274_1783
	s_branch .LBB274_1784
.LBB274_2742:
	s_and_not1_saveexec_b32 s27, s1
	s_cbranch_execz .LBB274_1866
.LBB274_2743:
	v_add_f32_e32 v3, 0x46000000, v12
	s_and_not1_b32 s26, s26, exec_lo
	s_delay_alu instid0(VALU_DEP_1) | instskip(NEXT) | instid1(VALU_DEP_1)
	v_and_b32_e32 v3, 0xff, v3
	v_cmp_ne_u32_e64 s1, 0, v3
	s_and_b32 s1, s1, exec_lo
	s_delay_alu instid0(SALU_CYCLE_1)
	s_or_b32 s26, s26, s1
	s_or_b32 exec_lo, exec_lo, s27
	v_mov_b32_e32 v13, 0
	s_and_saveexec_b32 s1, s26
	s_cbranch_execnz .LBB274_1867
	s_branch .LBB274_1868
.LBB274_2744:
	s_and_not1_saveexec_b32 s24, s0
	s_cbranch_execz .LBB274_2553
.LBB274_2745:
	v_add_f32_e32 v3, 0x42800000, v10
	s_and_not1_b32 s23, s23, exec_lo
	s_delay_alu instid0(VALU_DEP_1) | instskip(NEXT) | instid1(VALU_DEP_1)
	v_and_b32_e32 v3, 0xff, v3
	v_cmp_ne_u32_e64 s0, 0, v3
	s_and_b32 s0, s0, exec_lo
	s_delay_alu instid0(SALU_CYCLE_1)
	s_or_b32 s23, s23, s0
	s_or_b32 exec_lo, exec_lo, s24
	v_mov_b32_e32 v12, 0
	s_and_saveexec_b32 s0, s23
	s_cbranch_execnz .LBB274_2554
	s_branch .LBB274_2555
.LBB274_2746:
	s_and_not1_saveexec_b32 s29, s1
	s_cbranch_execz .LBB274_1950
.LBB274_2747:
	v_add_f32_e32 v3, 0x46000000, v7
	s_and_not1_b32 s28, s28, exec_lo
	s_delay_alu instid0(VALU_DEP_1) | instskip(NEXT) | instid1(VALU_DEP_1)
	v_and_b32_e32 v3, 0xff, v3
	v_cmp_ne_u32_e64 s1, 0, v3
	s_and_b32 s1, s1, exec_lo
	s_delay_alu instid0(SALU_CYCLE_1)
	s_or_b32 s28, s28, s1
	s_or_b32 exec_lo, exec_lo, s29
	v_mov_b32_e32 v11, 0
	s_and_saveexec_b32 s1, s28
	s_cbranch_execnz .LBB274_1951
	s_branch .LBB274_1952
.LBB274_2748:
	s_and_not1_saveexec_b32 s27, s1
	s_cbranch_execz .LBB274_2604
.LBB274_2749:
	v_add_f32_e32 v3, 0x42800000, v12
	s_and_not1_b32 s26, s26, exec_lo
	s_delay_alu instid0(VALU_DEP_1) | instskip(NEXT) | instid1(VALU_DEP_1)
	v_and_b32_e32 v3, 0xff, v3
	v_cmp_ne_u32_e64 s1, 0, v3
	s_and_b32 s1, s1, exec_lo
	s_delay_alu instid0(SALU_CYCLE_1)
	s_or_b32 s26, s26, s1
	s_or_b32 exec_lo, exec_lo, s27
	v_mov_b32_e32 v13, 0
	s_and_saveexec_b32 s1, s26
	s_cbranch_execnz .LBB274_2605
	s_branch .LBB274_2606
.LBB274_2750:
	s_and_not1_saveexec_b32 s29, s29
	s_cbranch_execz .LBB274_2034
.LBB274_2751:
	v_add_f32_e32 v0, 0x46000000, v1
	s_and_not1_b32 s28, s28, exec_lo
	s_delay_alu instid0(VALU_DEP_1) | instskip(NEXT) | instid1(VALU_DEP_1)
	v_and_b32_e32 v0, 0xff, v0
	v_cmp_ne_u32_e32 vcc_lo, 0, v0
	s_and_b32 s30, vcc_lo, exec_lo
	s_delay_alu instid0(SALU_CYCLE_1)
	s_or_b32 s28, s28, s30
	s_or_b32 exec_lo, exec_lo, s29
	v_mov_b32_e32 v2, 0
	s_and_saveexec_b32 s29, s28
	s_cbranch_execnz .LBB274_2035
	s_branch .LBB274_2036
.LBB274_2752:
	s_and_not1_saveexec_b32 s29, s1
	s_cbranch_execz .LBB274_2655
.LBB274_2753:
	v_add_f32_e32 v3, 0x42800000, v7
	s_and_not1_b32 s28, s28, exec_lo
	s_delay_alu instid0(VALU_DEP_1) | instskip(NEXT) | instid1(VALU_DEP_1)
	v_and_b32_e32 v3, 0xff, v3
	v_cmp_ne_u32_e64 s1, 0, v3
	s_and_b32 s1, s1, exec_lo
	s_delay_alu instid0(SALU_CYCLE_1)
	s_or_b32 s28, s28, s1
	s_or_b32 exec_lo, exec_lo, s29
	v_mov_b32_e32 v11, 0
	s_and_saveexec_b32 s1, s28
	s_cbranch_execnz .LBB274_2656
	s_branch .LBB274_2657
.LBB274_2754:
	s_and_not1_saveexec_b32 s29, s29
	s_cbranch_execz .LBB274_2702
.LBB274_2755:
	v_add_f32_e32 v0, 0x42800000, v1
	s_and_not1_b32 s28, s28, exec_lo
	s_delay_alu instid0(VALU_DEP_1) | instskip(NEXT) | instid1(VALU_DEP_1)
	v_and_b32_e32 v0, 0xff, v0
	v_cmp_ne_u32_e32 vcc_lo, 0, v0
	s_and_b32 s30, vcc_lo, exec_lo
	s_delay_alu instid0(SALU_CYCLE_1)
	s_or_b32 s28, s28, s30
	s_or_b32 exec_lo, exec_lo, s29
	v_mov_b32_e32 v2, 0
	s_and_saveexec_b32 s29, s28
	s_cbranch_execnz .LBB274_2703
	s_branch .LBB274_2704
	.section	.rodata,"a",@progbits
	.p2align	6, 0x0
	.amdhsa_kernel _ZN2at6native32elementwise_kernel_manual_unrollILi128ELi4EZNS0_15gpu_kernel_implINS0_13BinaryFunctorIN3c1013Float8_e4m3fnES5_bNS0_12_GLOBAL__N_116CompareEqFunctorIS5_EEEEEEvRNS_18TensorIteratorBaseERKT_EUlibE_EEviT1_
		.amdhsa_group_segment_fixed_size 0
		.amdhsa_private_segment_fixed_size 64
		.amdhsa_kernarg_size 56
		.amdhsa_user_sgpr_count 2
		.amdhsa_user_sgpr_dispatch_ptr 0
		.amdhsa_user_sgpr_queue_ptr 0
		.amdhsa_user_sgpr_kernarg_segment_ptr 1
		.amdhsa_user_sgpr_dispatch_id 0
		.amdhsa_user_sgpr_kernarg_preload_length 0
		.amdhsa_user_sgpr_kernarg_preload_offset 0
		.amdhsa_user_sgpr_private_segment_size 0
		.amdhsa_wavefront_size32 1
		.amdhsa_uses_dynamic_stack 0
		.amdhsa_enable_private_segment 1
		.amdhsa_system_sgpr_workgroup_id_x 1
		.amdhsa_system_sgpr_workgroup_id_y 0
		.amdhsa_system_sgpr_workgroup_id_z 0
		.amdhsa_system_sgpr_workgroup_info 0
		.amdhsa_system_vgpr_workitem_id 0
		.amdhsa_next_free_vgpr 28
		.amdhsa_next_free_sgpr 33
		.amdhsa_named_barrier_count 0
		.amdhsa_reserve_vcc 1
		.amdhsa_float_round_mode_32 0
		.amdhsa_float_round_mode_16_64 0
		.amdhsa_float_denorm_mode_32 3
		.amdhsa_float_denorm_mode_16_64 3
		.amdhsa_fp16_overflow 0
		.amdhsa_memory_ordered 1
		.amdhsa_forward_progress 1
		.amdhsa_inst_pref_size 255
		.amdhsa_round_robin_scheduling 0
		.amdhsa_exception_fp_ieee_invalid_op 0
		.amdhsa_exception_fp_denorm_src 0
		.amdhsa_exception_fp_ieee_div_zero 0
		.amdhsa_exception_fp_ieee_overflow 0
		.amdhsa_exception_fp_ieee_underflow 0
		.amdhsa_exception_fp_ieee_inexact 0
		.amdhsa_exception_int_div_zero 0
	.end_amdhsa_kernel
	.section	.text._ZN2at6native32elementwise_kernel_manual_unrollILi128ELi4EZNS0_15gpu_kernel_implINS0_13BinaryFunctorIN3c1013Float8_e4m3fnES5_bNS0_12_GLOBAL__N_116CompareEqFunctorIS5_EEEEEEvRNS_18TensorIteratorBaseERKT_EUlibE_EEviT1_,"axG",@progbits,_ZN2at6native32elementwise_kernel_manual_unrollILi128ELi4EZNS0_15gpu_kernel_implINS0_13BinaryFunctorIN3c1013Float8_e4m3fnES5_bNS0_12_GLOBAL__N_116CompareEqFunctorIS5_EEEEEEvRNS_18TensorIteratorBaseERKT_EUlibE_EEviT1_,comdat
.Lfunc_end274:
	.size	_ZN2at6native32elementwise_kernel_manual_unrollILi128ELi4EZNS0_15gpu_kernel_implINS0_13BinaryFunctorIN3c1013Float8_e4m3fnES5_bNS0_12_GLOBAL__N_116CompareEqFunctorIS5_EEEEEEvRNS_18TensorIteratorBaseERKT_EUlibE_EEviT1_, .Lfunc_end274-_ZN2at6native32elementwise_kernel_manual_unrollILi128ELi4EZNS0_15gpu_kernel_implINS0_13BinaryFunctorIN3c1013Float8_e4m3fnES5_bNS0_12_GLOBAL__N_116CompareEqFunctorIS5_EEEEEEvRNS_18TensorIteratorBaseERKT_EUlibE_EEviT1_
                                        ; -- End function
	.set _ZN2at6native32elementwise_kernel_manual_unrollILi128ELi4EZNS0_15gpu_kernel_implINS0_13BinaryFunctorIN3c1013Float8_e4m3fnES5_bNS0_12_GLOBAL__N_116CompareEqFunctorIS5_EEEEEEvRNS_18TensorIteratorBaseERKT_EUlibE_EEviT1_.num_vgpr, max(28, .L_ZN2at6native6invokeINS0_13BinaryFunctorIN3c1013Float8_e4m3fnES4_bNS0_12_GLOBAL__N_116CompareEqFunctorIS4_EEEEi15function_traitsIS8_EEENT1_11result_typeERKT_PrKPcPKT0_PKNS3_10ScalarTypeEi.num_vgpr)
	.set _ZN2at6native32elementwise_kernel_manual_unrollILi128ELi4EZNS0_15gpu_kernel_implINS0_13BinaryFunctorIN3c1013Float8_e4m3fnES5_bNS0_12_GLOBAL__N_116CompareEqFunctorIS5_EEEEEEvRNS_18TensorIteratorBaseERKT_EUlibE_EEviT1_.num_agpr, max(0, .L_ZN2at6native6invokeINS0_13BinaryFunctorIN3c1013Float8_e4m3fnES4_bNS0_12_GLOBAL__N_116CompareEqFunctorIS4_EEEEi15function_traitsIS8_EEENT1_11result_typeERKT_PrKPcPKT0_PKNS3_10ScalarTypeEi.num_agpr)
	.set _ZN2at6native32elementwise_kernel_manual_unrollILi128ELi4EZNS0_15gpu_kernel_implINS0_13BinaryFunctorIN3c1013Float8_e4m3fnES5_bNS0_12_GLOBAL__N_116CompareEqFunctorIS5_EEEEEEvRNS_18TensorIteratorBaseERKT_EUlibE_EEviT1_.numbered_sgpr, max(33, .L_ZN2at6native6invokeINS0_13BinaryFunctorIN3c1013Float8_e4m3fnES4_bNS0_12_GLOBAL__N_116CompareEqFunctorIS4_EEEEi15function_traitsIS8_EEENT1_11result_typeERKT_PrKPcPKT0_PKNS3_10ScalarTypeEi.numbered_sgpr)
	.set _ZN2at6native32elementwise_kernel_manual_unrollILi128ELi4EZNS0_15gpu_kernel_implINS0_13BinaryFunctorIN3c1013Float8_e4m3fnES5_bNS0_12_GLOBAL__N_116CompareEqFunctorIS5_EEEEEEvRNS_18TensorIteratorBaseERKT_EUlibE_EEviT1_.num_named_barrier, max(0, .L_ZN2at6native6invokeINS0_13BinaryFunctorIN3c1013Float8_e4m3fnES4_bNS0_12_GLOBAL__N_116CompareEqFunctorIS4_EEEEi15function_traitsIS8_EEENT1_11result_typeERKT_PrKPcPKT0_PKNS3_10ScalarTypeEi.num_named_barrier)
	.set _ZN2at6native32elementwise_kernel_manual_unrollILi128ELi4EZNS0_15gpu_kernel_implINS0_13BinaryFunctorIN3c1013Float8_e4m3fnES5_bNS0_12_GLOBAL__N_116CompareEqFunctorIS5_EEEEEEvRNS_18TensorIteratorBaseERKT_EUlibE_EEviT1_.private_seg_size, 64+max(.L_ZN2at6native6invokeINS0_13BinaryFunctorIN3c1013Float8_e4m3fnES4_bNS0_12_GLOBAL__N_116CompareEqFunctorIS4_EEEEi15function_traitsIS8_EEENT1_11result_typeERKT_PrKPcPKT0_PKNS3_10ScalarTypeEi.private_seg_size)
	.set _ZN2at6native32elementwise_kernel_manual_unrollILi128ELi4EZNS0_15gpu_kernel_implINS0_13BinaryFunctorIN3c1013Float8_e4m3fnES5_bNS0_12_GLOBAL__N_116CompareEqFunctorIS5_EEEEEEvRNS_18TensorIteratorBaseERKT_EUlibE_EEviT1_.uses_vcc, or(1, .L_ZN2at6native6invokeINS0_13BinaryFunctorIN3c1013Float8_e4m3fnES4_bNS0_12_GLOBAL__N_116CompareEqFunctorIS4_EEEEi15function_traitsIS8_EEENT1_11result_typeERKT_PrKPcPKT0_PKNS3_10ScalarTypeEi.uses_vcc)
	.set _ZN2at6native32elementwise_kernel_manual_unrollILi128ELi4EZNS0_15gpu_kernel_implINS0_13BinaryFunctorIN3c1013Float8_e4m3fnES5_bNS0_12_GLOBAL__N_116CompareEqFunctorIS5_EEEEEEvRNS_18TensorIteratorBaseERKT_EUlibE_EEviT1_.uses_flat_scratch, or(1, .L_ZN2at6native6invokeINS0_13BinaryFunctorIN3c1013Float8_e4m3fnES4_bNS0_12_GLOBAL__N_116CompareEqFunctorIS4_EEEEi15function_traitsIS8_EEENT1_11result_typeERKT_PrKPcPKT0_PKNS3_10ScalarTypeEi.uses_flat_scratch)
	.set _ZN2at6native32elementwise_kernel_manual_unrollILi128ELi4EZNS0_15gpu_kernel_implINS0_13BinaryFunctorIN3c1013Float8_e4m3fnES5_bNS0_12_GLOBAL__N_116CompareEqFunctorIS5_EEEEEEvRNS_18TensorIteratorBaseERKT_EUlibE_EEviT1_.has_dyn_sized_stack, or(0, .L_ZN2at6native6invokeINS0_13BinaryFunctorIN3c1013Float8_e4m3fnES4_bNS0_12_GLOBAL__N_116CompareEqFunctorIS4_EEEEi15function_traitsIS8_EEENT1_11result_typeERKT_PrKPcPKT0_PKNS3_10ScalarTypeEi.has_dyn_sized_stack)
	.set _ZN2at6native32elementwise_kernel_manual_unrollILi128ELi4EZNS0_15gpu_kernel_implINS0_13BinaryFunctorIN3c1013Float8_e4m3fnES5_bNS0_12_GLOBAL__N_116CompareEqFunctorIS5_EEEEEEvRNS_18TensorIteratorBaseERKT_EUlibE_EEviT1_.has_recursion, or(0, .L_ZN2at6native6invokeINS0_13BinaryFunctorIN3c1013Float8_e4m3fnES4_bNS0_12_GLOBAL__N_116CompareEqFunctorIS4_EEEEi15function_traitsIS8_EEENT1_11result_typeERKT_PrKPcPKT0_PKNS3_10ScalarTypeEi.has_recursion)
	.set _ZN2at6native32elementwise_kernel_manual_unrollILi128ELi4EZNS0_15gpu_kernel_implINS0_13BinaryFunctorIN3c1013Float8_e4m3fnES5_bNS0_12_GLOBAL__N_116CompareEqFunctorIS5_EEEEEEvRNS_18TensorIteratorBaseERKT_EUlibE_EEviT1_.has_indirect_call, or(0, .L_ZN2at6native6invokeINS0_13BinaryFunctorIN3c1013Float8_e4m3fnES4_bNS0_12_GLOBAL__N_116CompareEqFunctorIS4_EEEEi15function_traitsIS8_EEENT1_11result_typeERKT_PrKPcPKT0_PKNS3_10ScalarTypeEi.has_indirect_call)
	.section	.AMDGPU.csdata,"",@progbits
; Kernel info:
; codeLenInByte = 61968
; TotalNumSgprs: 35
; NumVgprs: 28
; ScratchSize: 64
; MemoryBound: 0
; FloatMode: 240
; IeeeMode: 1
; LDSByteSize: 0 bytes/workgroup (compile time only)
; SGPRBlocks: 0
; VGPRBlocks: 1
; NumSGPRsForWavesPerEU: 35
; NumVGPRsForWavesPerEU: 28
; NamedBarCnt: 0
; Occupancy: 16
; WaveLimiterHint : 1
; COMPUTE_PGM_RSRC2:SCRATCH_EN: 1
; COMPUTE_PGM_RSRC2:USER_SGPR: 2
; COMPUTE_PGM_RSRC2:TRAP_HANDLER: 0
; COMPUTE_PGM_RSRC2:TGID_X_EN: 1
; COMPUTE_PGM_RSRC2:TGID_Y_EN: 0
; COMPUTE_PGM_RSRC2:TGID_Z_EN: 0
; COMPUTE_PGM_RSRC2:TIDIG_COMP_CNT: 0
	.text
	.p2align	2                               ; -- Begin function _ZN2at6native6invokeINS0_13BinaryFunctorIN3c1013Float8_e4m3fnES4_bNS0_12_GLOBAL__N_116CompareEqFunctorIS4_EEEEj15function_traitsIS8_EEENT1_11result_typeERKT_PrKPcPKT0_PKNS3_10ScalarTypeEi
	.type	_ZN2at6native6invokeINS0_13BinaryFunctorIN3c1013Float8_e4m3fnES4_bNS0_12_GLOBAL__N_116CompareEqFunctorIS4_EEEEj15function_traitsIS8_EEENT1_11result_typeERKT_PrKPcPKT0_PKNS3_10ScalarTypeEi,@function
_ZN2at6native6invokeINS0_13BinaryFunctorIN3c1013Float8_e4m3fnES4_bNS0_12_GLOBAL__N_116CompareEqFunctorIS4_EEEEj15function_traitsIS8_EEENT1_11result_typeERKT_PrKPcPKT0_PKNS3_10ScalarTypeEi: ; @_ZN2at6native6invokeINS0_13BinaryFunctorIN3c1013Float8_e4m3fnES4_bNS0_12_GLOBAL__N_116CompareEqFunctorIS4_EEEEj15function_traitsIS8_EEENT1_11result_typeERKT_PrKPcPKT0_PKNS3_10ScalarTypeEi
; %bb.0:
	s_wait_loadcnt_dscnt 0x0
	s_wait_kmcnt 0x0
	v_dual_mov_b32 v7, v6 :: v_dual_mov_b32 v6, v5
	v_dual_mov_b32 v5, v4 :: v_dual_mov_b32 v4, v3
	;; [unrolled: 1-line block ×3, first 2 shown]
	flat_load_b64 v[8:9], v[2:3]
	flat_load_b32 v12, v[4:5]
	flat_load_u8 v10, v[6:7]
	v_mov_b32_e32 v13, 0
	s_mov_b32 s3, 0
	s_mov_b32 s0, 0
	s_mov_b32 s1, exec_lo
                                        ; implicit-def: $vgpr1
	s_wait_loadcnt_dscnt 0x101
	v_add_nc_u64_e32 v[8:9], v[8:9], v[12:13]
	s_wait_loadcnt_dscnt 0x0
	v_cmpx_lt_i16_e32 10, v10
	s_xor_b32 s1, exec_lo, s1
	s_cbranch_execz .LBB275_95
; %bb.1:
	s_mov_b32 s4, 0
	s_mov_b32 s2, exec_lo
                                        ; implicit-def: $vgpr1
	v_cmpx_lt_i16_e32 25, v10
	s_xor_b32 s2, exec_lo, s2
	s_cbranch_execz .LBB275_457
; %bb.2:
	s_mov_b32 s5, 0
	s_mov_b32 s3, exec_lo
                                        ; implicit-def: $vgpr1
	v_cmpx_lt_i16_e32 28, v10
	s_xor_b32 s3, exec_lo, s3
	s_cbranch_execz .LBB275_42
; %bb.3:
	s_mov_b32 s6, 0
	s_mov_b32 s7, 0
	s_mov_b32 s4, exec_lo
                                        ; implicit-def: $vgpr1
	v_cmpx_lt_i16_e32 43, v10
	s_xor_b32 s4, exec_lo, s4
	s_cbranch_execz .LBB275_29
; %bb.4:
	s_mov_b32 s7, exec_lo
                                        ; implicit-def: $vgpr1
	v_cmpx_lt_i16_e32 45, v10
	s_xor_b32 s7, exec_lo, s7
	s_cbranch_execz .LBB275_16
; %bb.5:
	s_mov_b32 s8, -1
	s_mov_b32 s5, exec_lo
                                        ; implicit-def: $vgpr1
	v_cmpx_eq_u16_e32 46, v10
	s_cbranch_execz .LBB275_15
; %bb.6:
	flat_load_b32 v1, v[8:9]
	s_mov_b32 s6, exec_lo
                                        ; implicit-def: $vgpr10
	s_wait_loadcnt_dscnt 0x0
	v_lshlrev_b32_e32 v1, 16, v1
	s_delay_alu instid0(VALU_DEP_1) | instskip(SKIP_1) | instid1(VALU_DEP_1)
	v_and_b32_e32 v11, 0x7fffffff, v1
	s_wait_xcnt 0x0
	v_cmpx_gt_u32_e32 0x43f00000, v11
	s_xor_b32 s6, exec_lo, s6
	s_cbranch_execz .LBB275_12
; %bb.7:
	s_mov_b32 s8, exec_lo
                                        ; implicit-def: $vgpr10
	v_cmpx_lt_u32_e32 0x3c7fffff, v11
	s_xor_b32 s8, exec_lo, s8
; %bb.8:
	v_bfe_u32 v10, v1, 20, 1
	s_delay_alu instid0(VALU_DEP_1) | instskip(NEXT) | instid1(VALU_DEP_1)
	v_add3_u32 v10, v1, v10, 0x407ffff
	v_and_b32_e32 v11, 0xff00000, v10
	v_lshrrev_b32_e32 v10, 20, v10
	s_delay_alu instid0(VALU_DEP_2) | instskip(NEXT) | instid1(VALU_DEP_2)
	v_cmp_ne_u32_e32 vcc_lo, 0x7f00000, v11
	v_cndmask_b32_e32 v10, 0x7e, v10, vcc_lo
; %bb.9:
	s_and_not1_saveexec_b32 s8, s8
; %bb.10:
	v_add_f32_e64 v10, 0x46800000, |v1|
; %bb.11:
	s_or_b32 exec_lo, exec_lo, s8
                                        ; implicit-def: $vgpr11
.LBB275_12:
	s_and_not1_saveexec_b32 s6, s6
; %bb.13:
	v_mov_b32_e32 v10, 0x7f
	v_cmp_lt_u32_e32 vcc_lo, 0x7f800000, v11
	s_delay_alu instid0(VALU_DEP_2)
	v_cndmask_b32_e32 v10, 0x7e, v10, vcc_lo
; %bb.14:
	s_or_b32 exec_lo, exec_lo, s6
	v_lshrrev_b32_e32 v1, 24, v1
	s_mov_b32 s6, exec_lo
	s_xor_b32 s8, exec_lo, -1
	s_delay_alu instid0(VALU_DEP_1)
	v_and_or_b32 v1, 0x80, v1, v10
.LBB275_15:
	s_or_b32 exec_lo, exec_lo, s5
	s_delay_alu instid0(SALU_CYCLE_1)
	s_and_b32 s6, s6, exec_lo
	s_and_b32 s5, s8, exec_lo
                                        ; implicit-def: $vgpr10
.LBB275_16:
	s_and_not1_saveexec_b32 s7, s7
	s_cbranch_execz .LBB275_28
; %bb.17:
	s_mov_b32 s9, -1
	s_mov_b32 s10, s6
	s_mov_b32 s8, exec_lo
                                        ; implicit-def: $vgpr1
	v_cmpx_eq_u16_e32 44, v10
	s_cbranch_execz .LBB275_27
; %bb.18:
	flat_load_u8 v1, v[8:9]
	s_mov_b32 s9, exec_lo
	s_wait_loadcnt_dscnt 0x0
	v_lshlrev_b32_e32 v10, 23, v1
	v_cmp_ne_u32_e32 vcc_lo, 0xff, v1
	s_delay_alu instid0(VALU_DEP_2) | instskip(SKIP_1) | instid1(VALU_DEP_2)
	v_cndmask_b32_e32 v10, 0x7f800001, v10, vcc_lo
	v_cmp_ne_u32_e32 vcc_lo, 0, v1
                                        ; implicit-def: $vgpr1
	v_cndmask_b32_e32 v10, 0x400000, v10, vcc_lo
	s_wait_xcnt 0x0
	s_delay_alu instid0(VALU_DEP_1)
	v_cmpx_gt_u32_e32 0x43f00000, v10
	s_xor_b32 s9, exec_lo, s9
	s_cbranch_execz .LBB275_24
; %bb.19:
	s_mov_b32 s10, exec_lo
                                        ; implicit-def: $vgpr1
	v_cmpx_lt_u32_e32 0x3c7fffff, v10
	s_xor_b32 s10, exec_lo, s10
; %bb.20:
	v_bfe_u32 v1, v10, 20, 1
	s_delay_alu instid0(VALU_DEP_1) | instskip(NEXT) | instid1(VALU_DEP_1)
	v_add3_u32 v1, v10, v1, 0x407ffff
	v_and_b32_e32 v10, 0xff00000, v1
	v_lshrrev_b32_e32 v1, 20, v1
	s_delay_alu instid0(VALU_DEP_2) | instskip(NEXT) | instid1(VALU_DEP_2)
	v_cmp_ne_u32_e32 vcc_lo, 0x7f00000, v10
                                        ; implicit-def: $vgpr10
	v_cndmask_b32_e32 v1, 0x7e, v1, vcc_lo
; %bb.21:
	s_and_not1_saveexec_b32 s10, s10
; %bb.22:
	v_add_f32_e32 v1, 0x46800000, v10
; %bb.23:
	s_or_b32 exec_lo, exec_lo, s10
                                        ; implicit-def: $vgpr10
.LBB275_24:
	s_and_not1_saveexec_b32 s9, s9
; %bb.25:
	v_mov_b32_e32 v1, 0x7f
	v_cmp_lt_u32_e32 vcc_lo, 0x7f800000, v10
	s_delay_alu instid0(VALU_DEP_2)
	v_cndmask_b32_e32 v1, 0x7e, v1, vcc_lo
; %bb.26:
	s_or_b32 exec_lo, exec_lo, s9
	s_delay_alu instid0(SALU_CYCLE_1)
	s_or_b32 s10, s6, exec_lo
	s_xor_b32 s9, exec_lo, -1
.LBB275_27:
	s_or_b32 exec_lo, exec_lo, s8
	s_delay_alu instid0(SALU_CYCLE_1)
	s_and_not1_b32 s6, s6, exec_lo
	s_and_b32 s8, s10, exec_lo
	s_and_not1_b32 s5, s5, exec_lo
	s_and_b32 s9, s9, exec_lo
	s_or_b32 s6, s6, s8
	s_or_b32 s5, s5, s9
.LBB275_28:
	s_or_b32 exec_lo, exec_lo, s7
	s_delay_alu instid0(SALU_CYCLE_1)
	s_and_b32 s7, s6, exec_lo
	s_and_b32 s6, s5, exec_lo
                                        ; implicit-def: $vgpr10
.LBB275_29:
	s_and_not1_saveexec_b32 s4, s4
	s_cbranch_execz .LBB275_41
; %bb.30:
	s_mov_b32 s8, -1
	s_mov_b32 s9, s7
	s_mov_b32 s5, exec_lo
                                        ; implicit-def: $vgpr1
	v_cmpx_eq_u16_e32 29, v10
	s_cbranch_execz .LBB275_40
; %bb.31:
	flat_load_b64 v[10:11], v[8:9]
	s_mov_b32 s8, exec_lo
	s_wait_loadcnt_dscnt 0x0
	v_clz_i32_u32_e32 v1, v11
	s_delay_alu instid0(VALU_DEP_1) | instskip(NEXT) | instid1(VALU_DEP_1)
	v_min_u32_e32 v1, 32, v1
	v_lshlrev_b64_e32 v[10:11], v1, v[10:11]
	v_sub_nc_u32_e32 v1, 32, v1
	s_delay_alu instid0(VALU_DEP_2) | instskip(NEXT) | instid1(VALU_DEP_1)
	v_min_u32_e32 v10, 1, v10
	v_or_b32_e32 v10, v11, v10
	s_delay_alu instid0(VALU_DEP_1) | instskip(NEXT) | instid1(VALU_DEP_1)
	v_cvt_f32_u32_e32 v10, v10
	v_ldexp_f32 v10, v10, v1
                                        ; implicit-def: $vgpr1
	s_wait_xcnt 0x0
	s_delay_alu instid0(VALU_DEP_1)
	v_cmpx_gt_u32_e32 0x43f00000, v10
	s_xor_b32 s8, exec_lo, s8
	s_cbranch_execz .LBB275_37
; %bb.32:
	s_mov_b32 s9, exec_lo
                                        ; implicit-def: $vgpr1
	v_cmpx_lt_u32_e32 0x3c7fffff, v10
	s_xor_b32 s9, exec_lo, s9
; %bb.33:
	v_bfe_u32 v1, v10, 20, 1
	s_delay_alu instid0(VALU_DEP_1) | instskip(NEXT) | instid1(VALU_DEP_1)
	v_add3_u32 v1, v10, v1, 0x407ffff
	v_and_b32_e32 v10, 0xff00000, v1
	v_lshrrev_b32_e32 v1, 20, v1
	s_delay_alu instid0(VALU_DEP_2) | instskip(NEXT) | instid1(VALU_DEP_2)
	v_cmp_ne_u32_e32 vcc_lo, 0x7f00000, v10
                                        ; implicit-def: $vgpr10
	v_cndmask_b32_e32 v1, 0x7e, v1, vcc_lo
; %bb.34:
	s_and_not1_saveexec_b32 s9, s9
; %bb.35:
	v_add_f32_e32 v1, 0x46800000, v10
; %bb.36:
	s_or_b32 exec_lo, exec_lo, s9
                                        ; implicit-def: $vgpr10
.LBB275_37:
	s_and_not1_saveexec_b32 s8, s8
; %bb.38:
	v_mov_b32_e32 v1, 0x7f
	v_cmp_lt_u32_e32 vcc_lo, 0x7f800000, v10
	s_delay_alu instid0(VALU_DEP_2)
	v_cndmask_b32_e32 v1, 0x7e, v1, vcc_lo
; %bb.39:
	s_or_b32 exec_lo, exec_lo, s8
	s_delay_alu instid0(SALU_CYCLE_1)
	s_or_b32 s9, s7, exec_lo
	s_xor_b32 s8, exec_lo, -1
.LBB275_40:
	s_or_b32 exec_lo, exec_lo, s5
	s_delay_alu instid0(SALU_CYCLE_1)
	s_and_not1_b32 s5, s7, exec_lo
	s_and_b32 s7, s9, exec_lo
	s_and_not1_b32 s6, s6, exec_lo
	s_and_b32 s8, s8, exec_lo
	s_or_b32 s7, s5, s7
	s_or_b32 s6, s6, s8
.LBB275_41:
	s_or_b32 exec_lo, exec_lo, s4
	s_delay_alu instid0(SALU_CYCLE_1)
	s_and_b32 s5, s7, exec_lo
	s_and_b32 s4, s6, exec_lo
                                        ; implicit-def: $vgpr10
.LBB275_42:
	s_and_not1_saveexec_b32 s3, s3
	s_cbranch_execz .LBB275_82
; %bb.43:
	s_mov_b32 s6, exec_lo
                                        ; implicit-def: $vgpr1
	v_cmpx_lt_i16_e32 26, v10
	s_xor_b32 s6, exec_lo, s6
	s_cbranch_execz .LBB275_65
; %bb.44:
	s_mov_b32 s7, exec_lo
                                        ; implicit-def: $vgpr1
	v_cmpx_lt_i16_e32 27, v10
	s_xor_b32 s7, exec_lo, s7
	s_cbranch_execz .LBB275_54
; %bb.45:
	flat_load_b32 v1, v[8:9]
	s_mov_b32 s8, exec_lo
	s_wait_loadcnt_dscnt 0x0
	v_cvt_f32_u32_e32 v10, v1
                                        ; implicit-def: $vgpr1
	s_wait_xcnt 0x0
	s_delay_alu instid0(VALU_DEP_1)
	v_cmpx_gt_u32_e32 0x43f00000, v10
	s_xor_b32 s8, exec_lo, s8
	s_cbranch_execz .LBB275_51
; %bb.46:
	s_mov_b32 s9, exec_lo
                                        ; implicit-def: $vgpr1
	v_cmpx_lt_u32_e32 0x3c7fffff, v10
	s_xor_b32 s9, exec_lo, s9
; %bb.47:
	v_bfe_u32 v1, v10, 20, 1
	s_delay_alu instid0(VALU_DEP_1) | instskip(NEXT) | instid1(VALU_DEP_1)
	v_add3_u32 v1, v10, v1, 0x407ffff
	v_and_b32_e32 v10, 0xff00000, v1
	v_lshrrev_b32_e32 v1, 20, v1
	s_delay_alu instid0(VALU_DEP_2) | instskip(NEXT) | instid1(VALU_DEP_2)
	v_cmp_ne_u32_e32 vcc_lo, 0x7f00000, v10
                                        ; implicit-def: $vgpr10
	v_cndmask_b32_e32 v1, 0x7e, v1, vcc_lo
; %bb.48:
	s_and_not1_saveexec_b32 s9, s9
; %bb.49:
	v_add_f32_e32 v1, 0x46800000, v10
; %bb.50:
	s_or_b32 exec_lo, exec_lo, s9
                                        ; implicit-def: $vgpr10
.LBB275_51:
	s_and_not1_saveexec_b32 s8, s8
; %bb.52:
	v_mov_b32_e32 v1, 0x7f
	v_cmp_lt_u32_e32 vcc_lo, 0x7f800000, v10
	s_delay_alu instid0(VALU_DEP_2)
	v_cndmask_b32_e32 v1, 0x7e, v1, vcc_lo
; %bb.53:
	s_or_b32 exec_lo, exec_lo, s8
.LBB275_54:
	s_and_not1_saveexec_b32 s7, s7
	s_cbranch_execz .LBB275_64
; %bb.55:
	flat_load_u16 v1, v[8:9]
	s_mov_b32 s8, exec_lo
	s_wait_loadcnt_dscnt 0x0
	v_cvt_f32_u32_e32 v10, v1
                                        ; implicit-def: $vgpr1
	s_wait_xcnt 0x0
	s_delay_alu instid0(VALU_DEP_1)
	v_cmpx_gt_u32_e32 0x43f00000, v10
	s_xor_b32 s8, exec_lo, s8
	s_cbranch_execz .LBB275_61
; %bb.56:
	s_mov_b32 s9, exec_lo
                                        ; implicit-def: $vgpr1
	v_cmpx_lt_u32_e32 0x3c7fffff, v10
	s_xor_b32 s9, exec_lo, s9
; %bb.57:
	v_bfe_u32 v1, v10, 20, 1
	s_delay_alu instid0(VALU_DEP_1) | instskip(NEXT) | instid1(VALU_DEP_1)
	v_add3_u32 v1, v10, v1, 0x407ffff
	v_and_b32_e32 v10, 0xff00000, v1
	v_lshrrev_b32_e32 v1, 20, v1
	s_delay_alu instid0(VALU_DEP_2) | instskip(NEXT) | instid1(VALU_DEP_2)
	v_cmp_ne_u32_e32 vcc_lo, 0x7f00000, v10
                                        ; implicit-def: $vgpr10
	v_cndmask_b32_e32 v1, 0x7e, v1, vcc_lo
; %bb.58:
	s_and_not1_saveexec_b32 s9, s9
; %bb.59:
	v_add_f32_e32 v1, 0x46800000, v10
; %bb.60:
	s_or_b32 exec_lo, exec_lo, s9
                                        ; implicit-def: $vgpr10
.LBB275_61:
	s_and_not1_saveexec_b32 s8, s8
; %bb.62:
	v_mov_b32_e32 v1, 0x7f
	v_cmp_lt_u32_e32 vcc_lo, 0x7f800000, v10
	s_delay_alu instid0(VALU_DEP_2)
	v_cndmask_b32_e32 v1, 0x7e, v1, vcc_lo
; %bb.63:
	s_or_b32 exec_lo, exec_lo, s8
.LBB275_64:
	s_delay_alu instid0(SALU_CYCLE_1)
	s_or_b32 exec_lo, exec_lo, s7
.LBB275_65:
	s_and_not1_saveexec_b32 s6, s6
	s_cbranch_execz .LBB275_81
; %bb.66:
	flat_load_u8 v10, v[8:9]
	s_mov_b32 s7, 0
	s_mov_b32 s8, exec_lo
	s_wait_loadcnt_dscnt 0x0
	v_cmpx_lt_i16_e32 0x7f, v10
	s_xor_b32 s8, exec_lo, s8
	s_cbranch_execz .LBB275_559
; %bb.67:
	s_mov_b32 s7, -1
	s_mov_b32 s9, exec_lo
	v_cmpx_eq_u16_e32 0x80, v10
; %bb.68:
	s_xor_b32 s7, exec_lo, -1
; %bb.69:
	s_or_b32 exec_lo, exec_lo, s9
	s_delay_alu instid0(SALU_CYCLE_1)
	s_and_b32 s7, s7, exec_lo
	s_or_saveexec_b32 s8, s8
	v_mov_b32_e32 v1, 0x7f800001
	s_xor_b32 exec_lo, exec_lo, s8
	s_cbranch_execnz .LBB275_560
.LBB275_70:
	s_or_b32 exec_lo, exec_lo, s8
	s_and_saveexec_b32 s8, s7
	s_cbranch_execz .LBB275_72
.LBB275_71:
	v_and_b32_e32 v1, 0xffff, v10
	s_delay_alu instid0(VALU_DEP_1) | instskip(SKIP_1) | instid1(VALU_DEP_2)
	v_and_b32_e32 v11, 7, v1
	v_bfe_u32 v14, v1, 3, 4
	v_clz_i32_u32_e32 v12, v11
	s_delay_alu instid0(VALU_DEP_2) | instskip(NEXT) | instid1(VALU_DEP_2)
	v_cmp_eq_u32_e32 vcc_lo, 0, v14
	v_min_u32_e32 v12, 32, v12
	s_delay_alu instid0(VALU_DEP_1) | instskip(NEXT) | instid1(VALU_DEP_1)
	v_subrev_nc_u32_e32 v13, 28, v12
	v_dual_lshlrev_b32 v1, v13, v1 :: v_dual_sub_nc_u32 v12, 29, v12
	s_delay_alu instid0(VALU_DEP_1) | instskip(NEXT) | instid1(VALU_DEP_1)
	v_dual_lshlrev_b32 v10, 24, v10 :: v_dual_bitop2_b32 v1, 7, v1 bitop3:0x40
	v_dual_cndmask_b32 v12, v14, v12 :: v_dual_cndmask_b32 v1, v11, v1
	s_delay_alu instid0(VALU_DEP_2) | instskip(NEXT) | instid1(VALU_DEP_2)
	v_and_b32_e32 v10, 0x80000000, v10
	v_lshl_add_u32 v11, v12, 23, 0x3b800000
	s_delay_alu instid0(VALU_DEP_3) | instskip(NEXT) | instid1(VALU_DEP_1)
	v_lshlrev_b32_e32 v1, 20, v1
	v_or3_b32 v1, v10, v11, v1
.LBB275_72:
	s_or_b32 exec_lo, exec_lo, s8
	s_delay_alu instid0(VALU_DEP_1) | instskip(SKIP_1) | instid1(VALU_DEP_1)
	v_and_b32_e32 v11, 0x7fffffff, v1
	s_mov_b32 s7, exec_lo
                                        ; implicit-def: $vgpr10
	v_cmpx_gt_u32_e32 0x43f00000, v11
	s_xor_b32 s7, exec_lo, s7
	s_cbranch_execz .LBB275_78
; %bb.73:
	s_mov_b32 s8, exec_lo
                                        ; implicit-def: $vgpr10
	v_cmpx_lt_u32_e32 0x3c7fffff, v11
	s_xor_b32 s8, exec_lo, s8
; %bb.74:
	v_bfe_u32 v10, v1, 20, 1
	s_delay_alu instid0(VALU_DEP_1) | instskip(NEXT) | instid1(VALU_DEP_1)
	v_add3_u32 v10, v1, v10, 0x407ffff
	v_and_b32_e32 v11, 0xff00000, v10
	v_lshrrev_b32_e32 v10, 20, v10
	s_delay_alu instid0(VALU_DEP_2) | instskip(NEXT) | instid1(VALU_DEP_2)
	v_cmp_ne_u32_e32 vcc_lo, 0x7f00000, v11
	v_cndmask_b32_e32 v10, 0x7e, v10, vcc_lo
; %bb.75:
	s_and_not1_saveexec_b32 s8, s8
; %bb.76:
	v_add_f32_e64 v10, 0x46800000, |v1|
; %bb.77:
	s_or_b32 exec_lo, exec_lo, s8
                                        ; implicit-def: $vgpr11
.LBB275_78:
	s_and_not1_saveexec_b32 s7, s7
; %bb.79:
	v_mov_b32_e32 v10, 0x7f
	v_cmp_lt_u32_e32 vcc_lo, 0x7f800000, v11
	s_delay_alu instid0(VALU_DEP_2)
	v_cndmask_b32_e32 v10, 0x7e, v10, vcc_lo
; %bb.80:
	s_or_b32 exec_lo, exec_lo, s7
	v_lshrrev_b32_e32 v1, 24, v1
	s_delay_alu instid0(VALU_DEP_1)
	v_and_or_b32 v1, 0x80, v1, v10
.LBB275_81:
	s_or_b32 exec_lo, exec_lo, s6
	s_delay_alu instid0(SALU_CYCLE_1)
	s_or_b32 s5, s5, exec_lo
.LBB275_82:
	s_or_b32 exec_lo, exec_lo, s3
	s_delay_alu instid0(SALU_CYCLE_1)
	s_and_b32 s3, s5, exec_lo
	s_and_b32 s4, s4, exec_lo
                                        ; implicit-def: $vgpr10
	s_and_not1_saveexec_b32 s2, s2
	s_cbranch_execnz .LBB275_458
.LBB275_83:
	s_or_b32 exec_lo, exec_lo, s2
	s_mov_b32 s2, 0
	s_and_saveexec_b32 s5, s4
	s_cbranch_execnz .LBB275_507
.LBB275_84:
	s_or_b32 exec_lo, exec_lo, s5
	s_and_saveexec_b32 s4, s0
	s_cbranch_execz .LBB275_94
.LBB275_85:
	s_wait_loadcnt_dscnt 0x0
	flat_load_u8 v1, v[8:9]
	s_mov_b32 s0, exec_lo
	s_wait_loadcnt_dscnt 0x0
	v_cmp_ne_u16_e32 vcc_lo, 0, v1
                                        ; implicit-def: $vgpr1
	s_wait_xcnt 0x0
	v_cndmask_b32_e64 v8, 0, 1.0, vcc_lo
	s_delay_alu instid0(VALU_DEP_1)
	v_cmpx_gt_u32_e32 0x43f00000, v8
	s_xor_b32 s0, exec_lo, s0
	s_cbranch_execz .LBB275_91
; %bb.86:
	s_mov_b32 s5, exec_lo
                                        ; implicit-def: $vgpr1
	v_cmpx_lt_u32_e32 0x3c7fffff, v8
	s_xor_b32 s5, exec_lo, s5
; %bb.87:
	v_bfe_u32 v1, v8, 20, 1
	s_delay_alu instid0(VALU_DEP_1) | instskip(NEXT) | instid1(VALU_DEP_1)
	v_add3_u32 v1, v8, v1, 0x407ffff
	v_and_b32_e32 v8, 0xff00000, v1
	v_lshrrev_b32_e32 v1, 20, v1
	s_delay_alu instid0(VALU_DEP_2) | instskip(NEXT) | instid1(VALU_DEP_2)
	v_cmp_ne_u32_e32 vcc_lo, 0x7f00000, v8
                                        ; implicit-def: $vgpr8
	v_cndmask_b32_e32 v1, 0x7e, v1, vcc_lo
; %bb.88:
	s_and_not1_saveexec_b32 s5, s5
; %bb.89:
	v_add_f32_e32 v1, 0x46800000, v8
; %bb.90:
	s_or_b32 exec_lo, exec_lo, s5
                                        ; implicit-def: $vgpr8
.LBB275_91:
	s_and_not1_saveexec_b32 s0, s0
; %bb.92:
	v_mov_b32_e32 v1, 0x7f
	v_cmp_lt_u32_e32 vcc_lo, 0x7f800000, v8
	s_delay_alu instid0(VALU_DEP_2)
	v_cndmask_b32_e32 v1, 0x7e, v1, vcc_lo
; %bb.93:
	s_or_b32 exec_lo, exec_lo, s0
	s_delay_alu instid0(SALU_CYCLE_1)
	s_or_b32 s3, s3, exec_lo
.LBB275_94:
	s_or_b32 exec_lo, exec_lo, s4
	s_delay_alu instid0(SALU_CYCLE_1)
	s_and_b32 s0, s2, exec_lo
	s_and_b32 s3, s3, exec_lo
                                        ; implicit-def: $vgpr10
                                        ; implicit-def: $vgpr8_vgpr9
.LBB275_95:
	s_and_not1_saveexec_b32 s1, s1
	s_cbranch_execz .LBB275_225
; %bb.96:
	s_mov_b32 s2, exec_lo
                                        ; implicit-def: $vgpr1
	v_cmpx_lt_i16_e32 4, v10
	s_xor_b32 s2, exec_lo, s2
	s_cbranch_execz .LBB275_166
; %bb.97:
	s_mov_b32 s4, exec_lo
                                        ; implicit-def: $vgpr1
	v_cmpx_lt_i16_e32 7, v10
	s_xor_b32 s4, exec_lo, s4
	;; [unrolled: 6-line block ×4, first 2 shown]
	s_cbranch_execz .LBB275_109
; %bb.100:
	flat_load_b64 v[8:9], v[8:9]
	s_mov_b32 s7, exec_lo
	s_wait_loadcnt_dscnt 0x0
	v_cvt_f32_f64_e32 v1, v[8:9]
                                        ; implicit-def: $vgpr8
	s_wait_xcnt 0x0
	s_delay_alu instid0(VALU_DEP_1) | instskip(NEXT) | instid1(VALU_DEP_1)
	v_and_b32_e32 v9, 0x7fffffff, v1
	v_cmpx_gt_u32_e32 0x43f00000, v9
	s_xor_b32 s7, exec_lo, s7
	s_cbranch_execz .LBB275_106
; %bb.101:
	s_mov_b32 s8, exec_lo
                                        ; implicit-def: $vgpr8
	v_cmpx_lt_u32_e32 0x3c7fffff, v9
	s_xor_b32 s8, exec_lo, s8
; %bb.102:
	v_bfe_u32 v8, v1, 20, 1
	s_delay_alu instid0(VALU_DEP_1) | instskip(NEXT) | instid1(VALU_DEP_1)
	v_add3_u32 v8, v1, v8, 0x407ffff
	v_and_b32_e32 v9, 0xff00000, v8
	v_lshrrev_b32_e32 v8, 20, v8
	s_delay_alu instid0(VALU_DEP_2) | instskip(NEXT) | instid1(VALU_DEP_2)
	v_cmp_ne_u32_e32 vcc_lo, 0x7f00000, v9
	v_cndmask_b32_e32 v8, 0x7e, v8, vcc_lo
; %bb.103:
	s_and_not1_saveexec_b32 s8, s8
; %bb.104:
	v_add_f32_e64 v8, 0x46800000, |v1|
; %bb.105:
	s_or_b32 exec_lo, exec_lo, s8
                                        ; implicit-def: $vgpr9
.LBB275_106:
	s_and_not1_saveexec_b32 s7, s7
; %bb.107:
	v_mov_b32_e32 v8, 0x7f
	v_cmp_lt_u32_e32 vcc_lo, 0x7f800000, v9
	s_delay_alu instid0(VALU_DEP_2)
	v_cndmask_b32_e32 v8, 0x7e, v8, vcc_lo
; %bb.108:
	s_or_b32 exec_lo, exec_lo, s7
	v_lshrrev_b32_e32 v1, 24, v1
	s_delay_alu instid0(VALU_DEP_1)
	v_and_or_b32 v1, 0x80, v1, v8
                                        ; implicit-def: $vgpr8_vgpr9
.LBB275_109:
	s_and_not1_saveexec_b32 s6, s6
	s_cbranch_execz .LBB275_119
; %bb.110:
	s_wait_loadcnt_dscnt 0x0
	flat_load_b32 v1, v[8:9]
	s_mov_b32 s7, exec_lo
                                        ; implicit-def: $vgpr8
	s_wait_loadcnt_dscnt 0x0
	v_and_b32_e32 v9, 0x7fffffff, v1
	s_delay_alu instid0(VALU_DEP_1)
	v_cmpx_gt_u32_e32 0x43f00000, v9
	s_xor_b32 s7, exec_lo, s7
	s_cbranch_execz .LBB275_116
; %bb.111:
	s_mov_b32 s8, exec_lo
                                        ; implicit-def: $vgpr8
	v_cmpx_lt_u32_e32 0x3c7fffff, v9
	s_xor_b32 s8, exec_lo, s8
; %bb.112:
	v_bfe_u32 v8, v1, 20, 1
	s_delay_alu instid0(VALU_DEP_1) | instskip(NEXT) | instid1(VALU_DEP_1)
	v_add3_u32 v8, v1, v8, 0x407ffff
	v_and_b32_e32 v9, 0xff00000, v8
	v_lshrrev_b32_e32 v8, 20, v8
	s_delay_alu instid0(VALU_DEP_2) | instskip(NEXT) | instid1(VALU_DEP_2)
	v_cmp_ne_u32_e32 vcc_lo, 0x7f00000, v9
	v_cndmask_b32_e32 v8, 0x7e, v8, vcc_lo
; %bb.113:
	s_and_not1_saveexec_b32 s8, s8
; %bb.114:
	v_add_f32_e64 v8, 0x46800000, |v1|
; %bb.115:
	s_or_b32 exec_lo, exec_lo, s8
                                        ; implicit-def: $vgpr9
.LBB275_116:
	s_and_not1_saveexec_b32 s7, s7
; %bb.117:
	v_mov_b32_e32 v8, 0x7f
	v_cmp_lt_u32_e32 vcc_lo, 0x7f800000, v9
	s_delay_alu instid0(VALU_DEP_2)
	v_cndmask_b32_e32 v8, 0x7e, v8, vcc_lo
; %bb.118:
	s_or_b32 exec_lo, exec_lo, s7
	v_lshrrev_b32_e32 v1, 24, v1
	s_delay_alu instid0(VALU_DEP_1)
	v_and_or_b32 v1, 0x80, v1, v8
.LBB275_119:
	s_or_b32 exec_lo, exec_lo, s6
                                        ; implicit-def: $vgpr8_vgpr9
.LBB275_120:
	s_and_not1_saveexec_b32 s5, s5
	s_cbranch_execz .LBB275_130
; %bb.121:
	s_wait_loadcnt_dscnt 0x0
	flat_load_b32 v1, v[8:9]
	s_mov_b32 s6, exec_lo
                                        ; implicit-def: $vgpr8
	s_wait_loadcnt_dscnt 0x0
	v_cvt_f32_f16_e32 v1, v1
	s_wait_xcnt 0x0
	s_delay_alu instid0(VALU_DEP_1) | instskip(NEXT) | instid1(VALU_DEP_1)
	v_and_b32_e32 v9, 0x7fffffff, v1
	v_cmpx_gt_u32_e32 0x43f00000, v9
	s_xor_b32 s6, exec_lo, s6
	s_cbranch_execz .LBB275_127
; %bb.122:
	s_mov_b32 s7, exec_lo
                                        ; implicit-def: $vgpr8
	v_cmpx_lt_u32_e32 0x3c7fffff, v9
	s_xor_b32 s7, exec_lo, s7
; %bb.123:
	v_bfe_u32 v8, v1, 20, 1
	s_delay_alu instid0(VALU_DEP_1) | instskip(NEXT) | instid1(VALU_DEP_1)
	v_add3_u32 v8, v1, v8, 0x407ffff
	v_and_b32_e32 v9, 0xff00000, v8
	v_lshrrev_b32_e32 v8, 20, v8
	s_delay_alu instid0(VALU_DEP_2) | instskip(NEXT) | instid1(VALU_DEP_2)
	v_cmp_ne_u32_e32 vcc_lo, 0x7f00000, v9
	v_cndmask_b32_e32 v8, 0x7e, v8, vcc_lo
; %bb.124:
	s_and_not1_saveexec_b32 s7, s7
; %bb.125:
	v_add_f32_e64 v8, 0x46800000, |v1|
; %bb.126:
	s_or_b32 exec_lo, exec_lo, s7
                                        ; implicit-def: $vgpr9
.LBB275_127:
	s_and_not1_saveexec_b32 s6, s6
; %bb.128:
	v_mov_b32_e32 v8, 0x7f
	v_cmp_lt_u32_e32 vcc_lo, 0x7f800000, v9
	s_delay_alu instid0(VALU_DEP_2)
	v_cndmask_b32_e32 v8, 0x7e, v8, vcc_lo
; %bb.129:
	s_or_b32 exec_lo, exec_lo, s6
	v_lshrrev_b32_e32 v1, 24, v1
	s_delay_alu instid0(VALU_DEP_1)
	v_and_or_b32 v1, 0x80, v1, v8
.LBB275_130:
	s_or_b32 exec_lo, exec_lo, s5
                                        ; implicit-def: $vgpr10
                                        ; implicit-def: $vgpr8_vgpr9
.LBB275_131:
	s_and_not1_saveexec_b32 s4, s4
	s_cbranch_execz .LBB275_165
; %bb.132:
	s_mov_b32 s5, exec_lo
                                        ; implicit-def: $vgpr1
	v_cmpx_lt_i16_e32 5, v10
	s_xor_b32 s5, exec_lo, s5
	s_cbranch_execz .LBB275_154
; %bb.133:
	s_mov_b32 s6, exec_lo
                                        ; implicit-def: $vgpr1
	v_cmpx_lt_i16_e32 6, v10
	s_xor_b32 s6, exec_lo, s6
	s_cbranch_execz .LBB275_143
; %bb.134:
	flat_load_b64 v[8:9], v[8:9]
	s_mov_b32 s7, exec_lo
	s_wait_loadcnt_dscnt 0x0
	v_cvt_f32_f64_e32 v1, v[8:9]
                                        ; implicit-def: $vgpr8
	s_wait_xcnt 0x0
	s_delay_alu instid0(VALU_DEP_1) | instskip(NEXT) | instid1(VALU_DEP_1)
	v_and_b32_e32 v9, 0x7fffffff, v1
	v_cmpx_gt_u32_e32 0x43f00000, v9
	s_xor_b32 s7, exec_lo, s7
	s_cbranch_execz .LBB275_140
; %bb.135:
	s_mov_b32 s8, exec_lo
                                        ; implicit-def: $vgpr8
	v_cmpx_lt_u32_e32 0x3c7fffff, v9
	s_xor_b32 s8, exec_lo, s8
; %bb.136:
	v_bfe_u32 v8, v1, 20, 1
	s_delay_alu instid0(VALU_DEP_1) | instskip(NEXT) | instid1(VALU_DEP_1)
	v_add3_u32 v8, v1, v8, 0x407ffff
	v_and_b32_e32 v9, 0xff00000, v8
	v_lshrrev_b32_e32 v8, 20, v8
	s_delay_alu instid0(VALU_DEP_2) | instskip(NEXT) | instid1(VALU_DEP_2)
	v_cmp_ne_u32_e32 vcc_lo, 0x7f00000, v9
	v_cndmask_b32_e32 v8, 0x7e, v8, vcc_lo
; %bb.137:
	s_and_not1_saveexec_b32 s8, s8
; %bb.138:
	v_add_f32_e64 v8, 0x46800000, |v1|
; %bb.139:
	s_or_b32 exec_lo, exec_lo, s8
                                        ; implicit-def: $vgpr9
.LBB275_140:
	s_and_not1_saveexec_b32 s7, s7
; %bb.141:
	v_mov_b32_e32 v8, 0x7f
	v_cmp_lt_u32_e32 vcc_lo, 0x7f800000, v9
	s_delay_alu instid0(VALU_DEP_2)
	v_cndmask_b32_e32 v8, 0x7e, v8, vcc_lo
; %bb.142:
	s_or_b32 exec_lo, exec_lo, s7
	v_lshrrev_b32_e32 v1, 24, v1
	s_delay_alu instid0(VALU_DEP_1)
	v_and_or_b32 v1, 0x80, v1, v8
                                        ; implicit-def: $vgpr8_vgpr9
.LBB275_143:
	s_and_not1_saveexec_b32 s6, s6
	s_cbranch_execz .LBB275_153
; %bb.144:
	s_wait_loadcnt_dscnt 0x0
	flat_load_b32 v1, v[8:9]
	s_mov_b32 s7, exec_lo
                                        ; implicit-def: $vgpr8
	s_wait_loadcnt_dscnt 0x0
	v_and_b32_e32 v9, 0x7fffffff, v1
	s_delay_alu instid0(VALU_DEP_1)
	v_cmpx_gt_u32_e32 0x43f00000, v9
	s_xor_b32 s7, exec_lo, s7
	s_cbranch_execz .LBB275_150
; %bb.145:
	s_mov_b32 s8, exec_lo
                                        ; implicit-def: $vgpr8
	v_cmpx_lt_u32_e32 0x3c7fffff, v9
	s_xor_b32 s8, exec_lo, s8
; %bb.146:
	v_bfe_u32 v8, v1, 20, 1
	s_delay_alu instid0(VALU_DEP_1) | instskip(NEXT) | instid1(VALU_DEP_1)
	v_add3_u32 v8, v1, v8, 0x407ffff
	v_and_b32_e32 v9, 0xff00000, v8
	v_lshrrev_b32_e32 v8, 20, v8
	s_delay_alu instid0(VALU_DEP_2) | instskip(NEXT) | instid1(VALU_DEP_2)
	v_cmp_ne_u32_e32 vcc_lo, 0x7f00000, v9
	v_cndmask_b32_e32 v8, 0x7e, v8, vcc_lo
; %bb.147:
	s_and_not1_saveexec_b32 s8, s8
; %bb.148:
	v_add_f32_e64 v8, 0x46800000, |v1|
; %bb.149:
	s_or_b32 exec_lo, exec_lo, s8
                                        ; implicit-def: $vgpr9
.LBB275_150:
	s_and_not1_saveexec_b32 s7, s7
; %bb.151:
	v_mov_b32_e32 v8, 0x7f
	v_cmp_lt_u32_e32 vcc_lo, 0x7f800000, v9
	s_delay_alu instid0(VALU_DEP_2)
	v_cndmask_b32_e32 v8, 0x7e, v8, vcc_lo
; %bb.152:
	s_or_b32 exec_lo, exec_lo, s7
	v_lshrrev_b32_e32 v1, 24, v1
	s_delay_alu instid0(VALU_DEP_1)
	v_and_or_b32 v1, 0x80, v1, v8
.LBB275_153:
	s_or_b32 exec_lo, exec_lo, s6
                                        ; implicit-def: $vgpr8_vgpr9
.LBB275_154:
	s_and_not1_saveexec_b32 s5, s5
	s_cbranch_execz .LBB275_164
; %bb.155:
	s_wait_loadcnt_dscnt 0x0
	flat_load_u16 v1, v[8:9]
	s_mov_b32 s6, exec_lo
                                        ; implicit-def: $vgpr8
	s_wait_loadcnt_dscnt 0x0
	v_cvt_f32_f16_e32 v1, v1
	s_wait_xcnt 0x0
	s_delay_alu instid0(VALU_DEP_1) | instskip(NEXT) | instid1(VALU_DEP_1)
	v_and_b32_e32 v9, 0x7fffffff, v1
	v_cmpx_gt_u32_e32 0x43f00000, v9
	s_xor_b32 s6, exec_lo, s6
	s_cbranch_execz .LBB275_161
; %bb.156:
	s_mov_b32 s7, exec_lo
                                        ; implicit-def: $vgpr8
	v_cmpx_lt_u32_e32 0x3c7fffff, v9
	s_xor_b32 s7, exec_lo, s7
; %bb.157:
	v_bfe_u32 v8, v1, 20, 1
	s_delay_alu instid0(VALU_DEP_1) | instskip(NEXT) | instid1(VALU_DEP_1)
	v_add3_u32 v8, v1, v8, 0x407ffff
	v_and_b32_e32 v9, 0xff00000, v8
	v_lshrrev_b32_e32 v8, 20, v8
	s_delay_alu instid0(VALU_DEP_2) | instskip(NEXT) | instid1(VALU_DEP_2)
	v_cmp_ne_u32_e32 vcc_lo, 0x7f00000, v9
	v_cndmask_b32_e32 v8, 0x7e, v8, vcc_lo
; %bb.158:
	s_and_not1_saveexec_b32 s7, s7
; %bb.159:
	v_add_f32_e64 v8, 0x46800000, |v1|
; %bb.160:
	s_or_b32 exec_lo, exec_lo, s7
                                        ; implicit-def: $vgpr9
.LBB275_161:
	s_and_not1_saveexec_b32 s6, s6
; %bb.162:
	v_mov_b32_e32 v8, 0x7f
	v_cmp_lt_u32_e32 vcc_lo, 0x7f800000, v9
	s_delay_alu instid0(VALU_DEP_2)
	v_cndmask_b32_e32 v8, 0x7e, v8, vcc_lo
; %bb.163:
	s_or_b32 exec_lo, exec_lo, s6
	v_lshrrev_b32_e32 v1, 24, v1
	s_delay_alu instid0(VALU_DEP_1)
	v_and_or_b32 v1, 0x80, v1, v8
.LBB275_164:
	s_or_b32 exec_lo, exec_lo, s5
.LBB275_165:
	s_delay_alu instid0(SALU_CYCLE_1)
	s_or_b32 exec_lo, exec_lo, s4
                                        ; implicit-def: $vgpr10
                                        ; implicit-def: $vgpr8_vgpr9
.LBB275_166:
	s_and_not1_saveexec_b32 s2, s2
	s_cbranch_execz .LBB275_224
; %bb.167:
	s_mov_b32 s4, exec_lo
                                        ; implicit-def: $vgpr1
	v_cmpx_lt_i16_e32 1, v10
	s_xor_b32 s4, exec_lo, s4
	s_cbranch_execz .LBB275_201
; %bb.168:
	s_mov_b32 s5, exec_lo
                                        ; implicit-def: $vgpr1
	v_cmpx_lt_i16_e32 2, v10
	s_xor_b32 s5, exec_lo, s5
	;; [unrolled: 6-line block ×3, first 2 shown]
	s_cbranch_execz .LBB275_179
; %bb.170:
	flat_load_b64 v[8:9], v[8:9]
	s_mov_b32 s7, exec_lo
	s_wait_loadcnt_dscnt 0x0
	v_xor_b32_e32 v1, v8, v9
	v_cls_i32_e32 v10, v9
	s_delay_alu instid0(VALU_DEP_2) | instskip(NEXT) | instid1(VALU_DEP_1)
	v_ashrrev_i32_e32 v1, 31, v1
	v_add_nc_u32_e32 v1, 32, v1
	s_delay_alu instid0(VALU_DEP_1) | instskip(SKIP_1) | instid1(VALU_DEP_1)
	v_add_min_u32_e64 v1, v10, -1, v1
	s_wait_xcnt 0x0
	v_lshlrev_b64_e32 v[8:9], v1, v[8:9]
	v_sub_nc_u32_e32 v1, 32, v1
	s_delay_alu instid0(VALU_DEP_2) | instskip(NEXT) | instid1(VALU_DEP_1)
	v_min_u32_e32 v8, 1, v8
	v_or_b32_e32 v8, v9, v8
	s_delay_alu instid0(VALU_DEP_1) | instskip(NEXT) | instid1(VALU_DEP_1)
	v_cvt_f32_i32_e32 v8, v8
	v_ldexp_f32 v1, v8, v1
                                        ; implicit-def: $vgpr8
	s_delay_alu instid0(VALU_DEP_1) | instskip(NEXT) | instid1(VALU_DEP_1)
	v_and_b32_e32 v9, 0x7fffffff, v1
	v_cmpx_gt_u32_e32 0x43f00000, v9
	s_xor_b32 s7, exec_lo, s7
	s_cbranch_execz .LBB275_176
; %bb.171:
	s_mov_b32 s8, exec_lo
                                        ; implicit-def: $vgpr8
	v_cmpx_lt_u32_e32 0x3c7fffff, v9
	s_xor_b32 s8, exec_lo, s8
; %bb.172:
	v_bfe_u32 v8, v1, 20, 1
	s_delay_alu instid0(VALU_DEP_1) | instskip(NEXT) | instid1(VALU_DEP_1)
	v_add3_u32 v8, v1, v8, 0x407ffff
	v_and_b32_e32 v9, 0xff00000, v8
	v_lshrrev_b32_e32 v8, 20, v8
	s_delay_alu instid0(VALU_DEP_2) | instskip(NEXT) | instid1(VALU_DEP_2)
	v_cmp_ne_u32_e32 vcc_lo, 0x7f00000, v9
	v_cndmask_b32_e32 v8, 0x7e, v8, vcc_lo
; %bb.173:
	s_and_not1_saveexec_b32 s8, s8
; %bb.174:
	v_add_f32_e64 v8, 0x46800000, |v1|
; %bb.175:
	s_or_b32 exec_lo, exec_lo, s8
                                        ; implicit-def: $vgpr9
.LBB275_176:
	s_and_not1_saveexec_b32 s7, s7
; %bb.177:
	v_mov_b32_e32 v8, 0x7f
	v_cmp_lt_u32_e32 vcc_lo, 0x7f800000, v9
	s_delay_alu instid0(VALU_DEP_2)
	v_cndmask_b32_e32 v8, 0x7e, v8, vcc_lo
; %bb.178:
	s_or_b32 exec_lo, exec_lo, s7
	v_lshrrev_b32_e32 v1, 24, v1
	s_delay_alu instid0(VALU_DEP_1)
	v_and_or_b32 v1, 0x80, v1, v8
                                        ; implicit-def: $vgpr8_vgpr9
.LBB275_179:
	s_and_not1_saveexec_b32 s6, s6
	s_cbranch_execz .LBB275_189
; %bb.180:
	s_wait_loadcnt_dscnt 0x0
	flat_load_b32 v1, v[8:9]
	s_mov_b32 s7, exec_lo
                                        ; implicit-def: $vgpr8
	s_wait_loadcnt_dscnt 0x0
	v_cvt_f32_i32_e32 v1, v1
	s_wait_xcnt 0x0
	s_delay_alu instid0(VALU_DEP_1) | instskip(NEXT) | instid1(VALU_DEP_1)
	v_and_b32_e32 v9, 0x7fffffff, v1
	v_cmpx_gt_u32_e32 0x43f00000, v9
	s_xor_b32 s7, exec_lo, s7
	s_cbranch_execz .LBB275_186
; %bb.181:
	s_mov_b32 s8, exec_lo
                                        ; implicit-def: $vgpr8
	v_cmpx_lt_u32_e32 0x3c7fffff, v9
	s_xor_b32 s8, exec_lo, s8
; %bb.182:
	v_bfe_u32 v8, v1, 20, 1
	s_delay_alu instid0(VALU_DEP_1) | instskip(NEXT) | instid1(VALU_DEP_1)
	v_add3_u32 v8, v1, v8, 0x407ffff
	v_and_b32_e32 v9, 0xff00000, v8
	v_lshrrev_b32_e32 v8, 20, v8
	s_delay_alu instid0(VALU_DEP_2) | instskip(NEXT) | instid1(VALU_DEP_2)
	v_cmp_ne_u32_e32 vcc_lo, 0x7f00000, v9
	v_cndmask_b32_e32 v8, 0x7e, v8, vcc_lo
; %bb.183:
	s_and_not1_saveexec_b32 s8, s8
; %bb.184:
	v_add_f32_e64 v8, 0x46800000, |v1|
; %bb.185:
	s_or_b32 exec_lo, exec_lo, s8
                                        ; implicit-def: $vgpr9
.LBB275_186:
	s_and_not1_saveexec_b32 s7, s7
; %bb.187:
	v_mov_b32_e32 v8, 0x7f
	v_cmp_lt_u32_e32 vcc_lo, 0x7f800000, v9
	s_delay_alu instid0(VALU_DEP_2)
	v_cndmask_b32_e32 v8, 0x7e, v8, vcc_lo
; %bb.188:
	s_or_b32 exec_lo, exec_lo, s7
	v_lshrrev_b32_e32 v1, 24, v1
	s_delay_alu instid0(VALU_DEP_1)
	v_and_or_b32 v1, 0x80, v1, v8
.LBB275_189:
	s_or_b32 exec_lo, exec_lo, s6
                                        ; implicit-def: $vgpr8_vgpr9
.LBB275_190:
	s_and_not1_saveexec_b32 s5, s5
	s_cbranch_execz .LBB275_200
; %bb.191:
	s_wait_loadcnt_dscnt 0x0
	flat_load_i16 v1, v[8:9]
	s_mov_b32 s6, exec_lo
                                        ; implicit-def: $vgpr8
	s_wait_loadcnt_dscnt 0x0
	v_cvt_f32_i32_e32 v1, v1
	s_wait_xcnt 0x0
	s_delay_alu instid0(VALU_DEP_1) | instskip(NEXT) | instid1(VALU_DEP_1)
	v_and_b32_e32 v9, 0x7fffffff, v1
	v_cmpx_gt_u32_e32 0x43f00000, v9
	s_xor_b32 s6, exec_lo, s6
	s_cbranch_execz .LBB275_197
; %bb.192:
	s_mov_b32 s7, exec_lo
                                        ; implicit-def: $vgpr8
	v_cmpx_lt_u32_e32 0x3c7fffff, v9
	s_xor_b32 s7, exec_lo, s7
; %bb.193:
	v_bfe_u32 v8, v1, 20, 1
	s_delay_alu instid0(VALU_DEP_1) | instskip(NEXT) | instid1(VALU_DEP_1)
	v_add3_u32 v8, v1, v8, 0x407ffff
	v_and_b32_e32 v9, 0xff00000, v8
	v_lshrrev_b32_e32 v8, 20, v8
	s_delay_alu instid0(VALU_DEP_2) | instskip(NEXT) | instid1(VALU_DEP_2)
	v_cmp_ne_u32_e32 vcc_lo, 0x7f00000, v9
	v_cndmask_b32_e32 v8, 0x7e, v8, vcc_lo
; %bb.194:
	s_and_not1_saveexec_b32 s7, s7
; %bb.195:
	v_add_f32_e64 v8, 0x46800000, |v1|
; %bb.196:
	s_or_b32 exec_lo, exec_lo, s7
                                        ; implicit-def: $vgpr9
.LBB275_197:
	s_and_not1_saveexec_b32 s6, s6
; %bb.198:
	v_mov_b32_e32 v8, 0x7f
	v_cmp_lt_u32_e32 vcc_lo, 0x7f800000, v9
	s_delay_alu instid0(VALU_DEP_2)
	v_cndmask_b32_e32 v8, 0x7e, v8, vcc_lo
; %bb.199:
	s_or_b32 exec_lo, exec_lo, s6
	v_lshrrev_b32_e32 v1, 24, v1
	s_delay_alu instid0(VALU_DEP_1)
	v_and_or_b32 v1, 0x80, v1, v8
.LBB275_200:
	s_or_b32 exec_lo, exec_lo, s5
                                        ; implicit-def: $vgpr10
                                        ; implicit-def: $vgpr8_vgpr9
.LBB275_201:
	s_and_not1_saveexec_b32 s4, s4
	s_cbranch_execz .LBB275_223
; %bb.202:
	s_mov_b32 s5, exec_lo
                                        ; implicit-def: $vgpr1
	v_cmpx_lt_i16_e32 0, v10
	s_xor_b32 s5, exec_lo, s5
	s_cbranch_execz .LBB275_212
; %bb.203:
	s_wait_loadcnt_dscnt 0x0
	flat_load_i8 v1, v[8:9]
	s_mov_b32 s6, exec_lo
                                        ; implicit-def: $vgpr8
	s_wait_loadcnt_dscnt 0x0
	v_cvt_f32_i32_e32 v1, v1
	s_wait_xcnt 0x0
	s_delay_alu instid0(VALU_DEP_1) | instskip(NEXT) | instid1(VALU_DEP_1)
	v_and_b32_e32 v9, 0x7fffffff, v1
	v_cmpx_gt_u32_e32 0x43f00000, v9
	s_xor_b32 s6, exec_lo, s6
	s_cbranch_execz .LBB275_209
; %bb.204:
	s_mov_b32 s7, exec_lo
                                        ; implicit-def: $vgpr8
	v_cmpx_lt_u32_e32 0x3c7fffff, v9
	s_xor_b32 s7, exec_lo, s7
; %bb.205:
	v_bfe_u32 v8, v1, 20, 1
	s_delay_alu instid0(VALU_DEP_1) | instskip(NEXT) | instid1(VALU_DEP_1)
	v_add3_u32 v8, v1, v8, 0x407ffff
	v_and_b32_e32 v9, 0xff00000, v8
	v_lshrrev_b32_e32 v8, 20, v8
	s_delay_alu instid0(VALU_DEP_2) | instskip(NEXT) | instid1(VALU_DEP_2)
	v_cmp_ne_u32_e32 vcc_lo, 0x7f00000, v9
	v_cndmask_b32_e32 v8, 0x7e, v8, vcc_lo
; %bb.206:
	s_and_not1_saveexec_b32 s7, s7
; %bb.207:
	v_add_f32_e64 v8, 0x46800000, |v1|
; %bb.208:
	s_or_b32 exec_lo, exec_lo, s7
                                        ; implicit-def: $vgpr9
.LBB275_209:
	s_and_not1_saveexec_b32 s6, s6
; %bb.210:
	v_mov_b32_e32 v8, 0x7f
	v_cmp_lt_u32_e32 vcc_lo, 0x7f800000, v9
	s_delay_alu instid0(VALU_DEP_2)
	v_cndmask_b32_e32 v8, 0x7e, v8, vcc_lo
; %bb.211:
	s_or_b32 exec_lo, exec_lo, s6
	v_lshrrev_b32_e32 v1, 24, v1
	s_delay_alu instid0(VALU_DEP_1)
	v_and_or_b32 v1, 0x80, v1, v8
                                        ; implicit-def: $vgpr8_vgpr9
.LBB275_212:
	s_and_not1_saveexec_b32 s5, s5
	s_cbranch_execz .LBB275_222
; %bb.213:
	s_wait_loadcnt_dscnt 0x0
	flat_load_u8 v1, v[8:9]
	s_mov_b32 s6, exec_lo
	s_wait_loadcnt_dscnt 0x0
	v_cvt_f32_ubyte0_e32 v8, v1
                                        ; implicit-def: $vgpr1
	s_delay_alu instid0(VALU_DEP_1)
	v_cmpx_gt_u32_e32 0x43f00000, v8
	s_xor_b32 s6, exec_lo, s6
	s_cbranch_execz .LBB275_219
; %bb.214:
	s_mov_b32 s7, exec_lo
                                        ; implicit-def: $vgpr1
	v_cmpx_lt_u32_e32 0x3c7fffff, v8
	s_xor_b32 s7, exec_lo, s7
; %bb.215:
	v_bfe_u32 v1, v8, 20, 1
	s_delay_alu instid0(VALU_DEP_1) | instskip(NEXT) | instid1(VALU_DEP_1)
	v_add3_u32 v1, v8, v1, 0x407ffff
	v_and_b32_e32 v8, 0xff00000, v1
	v_lshrrev_b32_e32 v1, 20, v1
	s_delay_alu instid0(VALU_DEP_2) | instskip(NEXT) | instid1(VALU_DEP_2)
	v_cmp_ne_u32_e32 vcc_lo, 0x7f00000, v8
                                        ; implicit-def: $vgpr8
	v_cndmask_b32_e32 v1, 0x7e, v1, vcc_lo
; %bb.216:
	s_and_not1_saveexec_b32 s7, s7
; %bb.217:
	v_add_f32_e32 v1, 0x46800000, v8
; %bb.218:
	s_or_b32 exec_lo, exec_lo, s7
                                        ; implicit-def: $vgpr8
.LBB275_219:
	s_and_not1_saveexec_b32 s6, s6
; %bb.220:
	v_mov_b32_e32 v1, 0x7f
	v_cmp_lt_u32_e32 vcc_lo, 0x7f800000, v8
	s_delay_alu instid0(VALU_DEP_2)
	v_cndmask_b32_e32 v1, 0x7e, v1, vcc_lo
; %bb.221:
	s_or_b32 exec_lo, exec_lo, s6
.LBB275_222:
	s_delay_alu instid0(SALU_CYCLE_1)
	s_or_b32 exec_lo, exec_lo, s5
.LBB275_223:
	s_delay_alu instid0(SALU_CYCLE_1)
	s_or_b32 exec_lo, exec_lo, s4
.LBB275_224:
	s_delay_alu instid0(SALU_CYCLE_1) | instskip(NEXT) | instid1(SALU_CYCLE_1)
	s_or_b32 exec_lo, exec_lo, s2
	s_or_b32 s3, s3, exec_lo
.LBB275_225:
	s_or_b32 exec_lo, exec_lo, s1
	s_mov_b32 s5, 0
	s_mov_b32 s4, 0
	;; [unrolled: 1-line block ×3, first 2 shown]
                                        ; implicit-def: $vgpr10
                                        ; implicit-def: $vgpr8_vgpr9
                                        ; implicit-def: $vgpr11
	s_and_saveexec_b32 s1, s3
	s_cbranch_execz .LBB275_324
; %bb.226:
	flat_load_b64 v[8:9], v[2:3] offset:8
	flat_load_b32 v12, v[4:5] offset:4
	flat_load_u8 v10, v[6:7] offset:1
	v_mov_b32_e32 v13, 0
	s_mov_b32 s4, -1
	s_mov_b32 s3, 0
	s_mov_b32 s5, s0
	;; [unrolled: 1-line block ×3, first 2 shown]
	s_mov_b32 s2, exec_lo
                                        ; implicit-def: $vgpr11
	s_wait_loadcnt_dscnt 0x101
	v_add_nc_u64_e32 v[8:9], v[8:9], v[12:13]
	s_wait_loadcnt_dscnt 0x0
	v_cmpx_lt_i16_e32 10, v10
	s_cbranch_execz .LBB275_311
; %bb.227:
	s_mov_b32 s5, 0
	s_mov_b32 s4, exec_lo
                                        ; implicit-def: $vgpr11
	v_cmpx_lt_i16_e32 25, v10
	s_xor_b32 s4, exec_lo, s4
	s_cbranch_execz .LBB275_508
; %bb.228:
	s_mov_b32 s7, 0
	s_mov_b32 s5, exec_lo
                                        ; implicit-def: $vgpr11
	v_cmpx_lt_i16_e32 28, v10
	s_xor_b32 s5, exec_lo, s5
	s_cbranch_execz .LBB275_268
; %bb.229:
	s_mov_b32 s8, 0
	s_mov_b32 s9, 0
	s_mov_b32 s6, exec_lo
                                        ; implicit-def: $vgpr11
	v_cmpx_lt_i16_e32 43, v10
	s_xor_b32 s6, exec_lo, s6
	s_cbranch_execz .LBB275_255
; %bb.230:
	s_mov_b32 s9, exec_lo
                                        ; implicit-def: $vgpr11
	v_cmpx_lt_i16_e32 45, v10
	s_xor_b32 s9, exec_lo, s9
	s_cbranch_execz .LBB275_242
; %bb.231:
	s_mov_b32 s10, -1
	s_mov_b32 s7, exec_lo
                                        ; implicit-def: $vgpr11
	v_cmpx_eq_u16_e32 46, v10
	s_cbranch_execz .LBB275_241
; %bb.232:
	flat_load_b32 v2, v[8:9]
	s_mov_b32 s8, exec_lo
                                        ; implicit-def: $vgpr3
	s_wait_loadcnt_dscnt 0x0
	v_lshlrev_b32_e32 v2, 16, v2
	s_delay_alu instid0(VALU_DEP_1) | instskip(SKIP_1) | instid1(VALU_DEP_1)
	v_and_b32_e32 v4, 0x7fffffff, v2
	s_wait_xcnt 0x0
	v_cmpx_gt_u32_e32 0x43f00000, v4
	s_xor_b32 s8, exec_lo, s8
	s_cbranch_execz .LBB275_238
; %bb.233:
	s_mov_b32 s10, exec_lo
                                        ; implicit-def: $vgpr3
	v_cmpx_lt_u32_e32 0x3c7fffff, v4
	s_xor_b32 s10, exec_lo, s10
; %bb.234:
	v_bfe_u32 v3, v2, 20, 1
	s_delay_alu instid0(VALU_DEP_1) | instskip(NEXT) | instid1(VALU_DEP_1)
	v_add3_u32 v3, v2, v3, 0x407ffff
	v_and_b32_e32 v4, 0xff00000, v3
	v_lshrrev_b32_e32 v3, 20, v3
	s_delay_alu instid0(VALU_DEP_2) | instskip(NEXT) | instid1(VALU_DEP_2)
	v_cmp_ne_u32_e32 vcc_lo, 0x7f00000, v4
	v_cndmask_b32_e32 v3, 0x7e, v3, vcc_lo
; %bb.235:
	s_and_not1_saveexec_b32 s10, s10
; %bb.236:
	v_add_f32_e64 v3, 0x46800000, |v2|
; %bb.237:
	s_or_b32 exec_lo, exec_lo, s10
                                        ; implicit-def: $vgpr4
.LBB275_238:
	s_and_not1_saveexec_b32 s8, s8
; %bb.239:
	v_mov_b32_e32 v3, 0x7f
	v_cmp_lt_u32_e32 vcc_lo, 0x7f800000, v4
	s_delay_alu instid0(VALU_DEP_2)
	v_cndmask_b32_e32 v3, 0x7e, v3, vcc_lo
; %bb.240:
	s_or_b32 exec_lo, exec_lo, s8
	v_lshrrev_b32_e32 v2, 24, v2
	s_mov_b32 s8, exec_lo
	s_xor_b32 s10, exec_lo, -1
	s_delay_alu instid0(VALU_DEP_1)
	v_and_or_b32 v11, 0x80, v2, v3
.LBB275_241:
	s_or_b32 exec_lo, exec_lo, s7
	s_delay_alu instid0(SALU_CYCLE_1)
	s_and_b32 s8, s8, exec_lo
	s_and_b32 s7, s10, exec_lo
.LBB275_242:
	s_and_not1_saveexec_b32 s9, s9
	s_cbranch_execz .LBB275_254
; %bb.243:
	s_mov_b32 s11, -1
	s_mov_b32 s12, s8
	s_mov_b32 s10, exec_lo
                                        ; implicit-def: $vgpr11
	v_cmpx_eq_u16_e32 44, v10
	s_cbranch_execz .LBB275_253
; %bb.244:
	flat_load_u8 v2, v[8:9]
	s_mov_b32 s11, exec_lo
                                        ; implicit-def: $vgpr11
	s_wait_loadcnt_dscnt 0x0
	v_lshlrev_b32_e32 v3, 23, v2
	v_cmp_ne_u32_e32 vcc_lo, 0xff, v2
	s_delay_alu instid0(VALU_DEP_2) | instskip(SKIP_1) | instid1(VALU_DEP_2)
	v_cndmask_b32_e32 v3, 0x7f800001, v3, vcc_lo
	v_cmp_ne_u32_e32 vcc_lo, 0, v2
	v_cndmask_b32_e32 v2, 0x400000, v3, vcc_lo
	s_wait_xcnt 0x0
	s_delay_alu instid0(VALU_DEP_1)
	v_cmpx_gt_u32_e32 0x43f00000, v2
	s_xor_b32 s11, exec_lo, s11
	s_cbranch_execz .LBB275_250
; %bb.245:
	s_mov_b32 s12, exec_lo
                                        ; implicit-def: $vgpr11
	v_cmpx_lt_u32_e32 0x3c7fffff, v2
	s_xor_b32 s12, exec_lo, s12
; %bb.246:
	v_bfe_u32 v3, v2, 20, 1
	s_delay_alu instid0(VALU_DEP_1) | instskip(NEXT) | instid1(VALU_DEP_1)
	v_add3_u32 v2, v2, v3, 0x407ffff
	v_and_b32_e32 v3, 0xff00000, v2
	v_lshrrev_b32_e32 v2, 20, v2
	s_delay_alu instid0(VALU_DEP_2) | instskip(NEXT) | instid1(VALU_DEP_2)
	v_cmp_ne_u32_e32 vcc_lo, 0x7f00000, v3
	v_cndmask_b32_e32 v11, 0x7e, v2, vcc_lo
                                        ; implicit-def: $vgpr2
; %bb.247:
	s_and_not1_saveexec_b32 s12, s12
; %bb.248:
	v_add_f32_e32 v11, 0x46800000, v2
; %bb.249:
	s_or_b32 exec_lo, exec_lo, s12
                                        ; implicit-def: $vgpr2
.LBB275_250:
	s_and_not1_saveexec_b32 s11, s11
; %bb.251:
	v_mov_b32_e32 v3, 0x7f
	v_cmp_lt_u32_e32 vcc_lo, 0x7f800000, v2
	s_delay_alu instid0(VALU_DEP_2)
	v_cndmask_b32_e32 v11, 0x7e, v3, vcc_lo
; %bb.252:
	s_or_b32 exec_lo, exec_lo, s11
	s_delay_alu instid0(SALU_CYCLE_1)
	s_or_b32 s12, s8, exec_lo
	s_xor_b32 s11, exec_lo, -1
.LBB275_253:
	s_or_b32 exec_lo, exec_lo, s10
	s_delay_alu instid0(SALU_CYCLE_1)
	s_and_not1_b32 s8, s8, exec_lo
	s_and_b32 s10, s12, exec_lo
	s_and_not1_b32 s7, s7, exec_lo
	s_and_b32 s11, s11, exec_lo
	s_or_b32 s8, s8, s10
	s_or_b32 s7, s7, s11
.LBB275_254:
	s_or_b32 exec_lo, exec_lo, s9
	s_delay_alu instid0(SALU_CYCLE_1)
	s_and_b32 s9, s8, exec_lo
	s_and_b32 s8, s7, exec_lo
.LBB275_255:
	s_and_not1_saveexec_b32 s6, s6
	s_cbranch_execz .LBB275_267
; %bb.256:
	s_mov_b32 s10, -1
	s_mov_b32 s11, s9
	s_mov_b32 s7, exec_lo
                                        ; implicit-def: $vgpr11
	v_cmpx_eq_u16_e32 29, v10
	s_cbranch_execz .LBB275_266
; %bb.257:
	flat_load_b64 v[2:3], v[8:9]
	s_mov_b32 s10, exec_lo
                                        ; implicit-def: $vgpr11
	s_wait_loadcnt_dscnt 0x0
	v_clz_i32_u32_e32 v4, v3
	s_delay_alu instid0(VALU_DEP_1) | instskip(NEXT) | instid1(VALU_DEP_1)
	v_min_u32_e32 v4, 32, v4
	v_lshlrev_b64_e32 v[2:3], v4, v[2:3]
	s_delay_alu instid0(VALU_DEP_1) | instskip(NEXT) | instid1(VALU_DEP_1)
	v_min_u32_e32 v2, 1, v2
	v_dual_sub_nc_u32 v3, 32, v4 :: v_dual_bitop2_b32 v2, v3, v2 bitop3:0x54
	s_delay_alu instid0(VALU_DEP_1) | instskip(NEXT) | instid1(VALU_DEP_1)
	v_cvt_f32_u32_e32 v2, v2
	v_ldexp_f32 v2, v2, v3
	s_wait_xcnt 0x0
	s_delay_alu instid0(VALU_DEP_1)
	v_cmpx_gt_u32_e32 0x43f00000, v2
	s_xor_b32 s10, exec_lo, s10
	s_cbranch_execz .LBB275_263
; %bb.258:
	s_mov_b32 s11, exec_lo
                                        ; implicit-def: $vgpr11
	v_cmpx_lt_u32_e32 0x3c7fffff, v2
	s_xor_b32 s11, exec_lo, s11
; %bb.259:
	v_bfe_u32 v3, v2, 20, 1
	s_delay_alu instid0(VALU_DEP_1) | instskip(NEXT) | instid1(VALU_DEP_1)
	v_add3_u32 v2, v2, v3, 0x407ffff
	v_and_b32_e32 v3, 0xff00000, v2
	v_lshrrev_b32_e32 v2, 20, v2
	s_delay_alu instid0(VALU_DEP_2) | instskip(NEXT) | instid1(VALU_DEP_2)
	v_cmp_ne_u32_e32 vcc_lo, 0x7f00000, v3
	v_cndmask_b32_e32 v11, 0x7e, v2, vcc_lo
                                        ; implicit-def: $vgpr2
; %bb.260:
	s_and_not1_saveexec_b32 s11, s11
; %bb.261:
	v_add_f32_e32 v11, 0x46800000, v2
; %bb.262:
	s_or_b32 exec_lo, exec_lo, s11
                                        ; implicit-def: $vgpr2
.LBB275_263:
	s_and_not1_saveexec_b32 s10, s10
; %bb.264:
	v_mov_b32_e32 v3, 0x7f
	v_cmp_lt_u32_e32 vcc_lo, 0x7f800000, v2
	s_delay_alu instid0(VALU_DEP_2)
	v_cndmask_b32_e32 v11, 0x7e, v3, vcc_lo
; %bb.265:
	s_or_b32 exec_lo, exec_lo, s10
	s_delay_alu instid0(SALU_CYCLE_1)
	s_or_b32 s11, s9, exec_lo
	s_xor_b32 s10, exec_lo, -1
.LBB275_266:
	s_or_b32 exec_lo, exec_lo, s7
	s_delay_alu instid0(SALU_CYCLE_1)
	s_and_not1_b32 s7, s9, exec_lo
	s_and_b32 s9, s11, exec_lo
	s_and_not1_b32 s8, s8, exec_lo
	s_and_b32 s10, s10, exec_lo
	s_or_b32 s9, s7, s9
	s_or_b32 s8, s8, s10
.LBB275_267:
	s_or_b32 exec_lo, exec_lo, s6
	s_delay_alu instid0(SALU_CYCLE_1)
	s_and_b32 s7, s9, exec_lo
	s_and_b32 s6, s8, exec_lo
.LBB275_268:
	s_and_not1_saveexec_b32 s5, s5
	s_cbranch_execz .LBB275_308
; %bb.269:
	s_mov_b32 s8, exec_lo
                                        ; implicit-def: $vgpr11
	v_cmpx_lt_i16_e32 26, v10
	s_xor_b32 s8, exec_lo, s8
	s_cbranch_execz .LBB275_291
; %bb.270:
	s_mov_b32 s9, exec_lo
                                        ; implicit-def: $vgpr11
	v_cmpx_lt_i16_e32 27, v10
	s_xor_b32 s9, exec_lo, s9
	s_cbranch_execz .LBB275_280
; %bb.271:
	flat_load_b32 v2, v[8:9]
	s_mov_b32 s10, exec_lo
                                        ; implicit-def: $vgpr11
	s_wait_loadcnt_dscnt 0x0
	v_cvt_f32_u32_e32 v2, v2
	s_wait_xcnt 0x0
	s_delay_alu instid0(VALU_DEP_1)
	v_cmpx_gt_u32_e32 0x43f00000, v2
	s_xor_b32 s10, exec_lo, s10
	s_cbranch_execz .LBB275_277
; %bb.272:
	s_mov_b32 s11, exec_lo
                                        ; implicit-def: $vgpr11
	v_cmpx_lt_u32_e32 0x3c7fffff, v2
	s_xor_b32 s11, exec_lo, s11
; %bb.273:
	v_bfe_u32 v3, v2, 20, 1
	s_delay_alu instid0(VALU_DEP_1) | instskip(NEXT) | instid1(VALU_DEP_1)
	v_add3_u32 v2, v2, v3, 0x407ffff
	v_and_b32_e32 v3, 0xff00000, v2
	v_lshrrev_b32_e32 v2, 20, v2
	s_delay_alu instid0(VALU_DEP_2) | instskip(NEXT) | instid1(VALU_DEP_2)
	v_cmp_ne_u32_e32 vcc_lo, 0x7f00000, v3
	v_cndmask_b32_e32 v11, 0x7e, v2, vcc_lo
                                        ; implicit-def: $vgpr2
; %bb.274:
	s_and_not1_saveexec_b32 s11, s11
; %bb.275:
	v_add_f32_e32 v11, 0x46800000, v2
; %bb.276:
	s_or_b32 exec_lo, exec_lo, s11
                                        ; implicit-def: $vgpr2
.LBB275_277:
	s_and_not1_saveexec_b32 s10, s10
; %bb.278:
	v_mov_b32_e32 v3, 0x7f
	v_cmp_lt_u32_e32 vcc_lo, 0x7f800000, v2
	s_delay_alu instid0(VALU_DEP_2)
	v_cndmask_b32_e32 v11, 0x7e, v3, vcc_lo
; %bb.279:
	s_or_b32 exec_lo, exec_lo, s10
.LBB275_280:
	s_and_not1_saveexec_b32 s9, s9
	s_cbranch_execz .LBB275_290
; %bb.281:
	flat_load_u16 v2, v[8:9]
	s_mov_b32 s10, exec_lo
                                        ; implicit-def: $vgpr11
	s_wait_loadcnt_dscnt 0x0
	v_cvt_f32_u32_e32 v2, v2
	s_wait_xcnt 0x0
	s_delay_alu instid0(VALU_DEP_1)
	v_cmpx_gt_u32_e32 0x43f00000, v2
	s_xor_b32 s10, exec_lo, s10
	s_cbranch_execz .LBB275_287
; %bb.282:
	s_mov_b32 s11, exec_lo
                                        ; implicit-def: $vgpr11
	v_cmpx_lt_u32_e32 0x3c7fffff, v2
	s_xor_b32 s11, exec_lo, s11
; %bb.283:
	v_bfe_u32 v3, v2, 20, 1
	s_delay_alu instid0(VALU_DEP_1) | instskip(NEXT) | instid1(VALU_DEP_1)
	v_add3_u32 v2, v2, v3, 0x407ffff
	v_and_b32_e32 v3, 0xff00000, v2
	v_lshrrev_b32_e32 v2, 20, v2
	s_delay_alu instid0(VALU_DEP_2) | instskip(NEXT) | instid1(VALU_DEP_2)
	v_cmp_ne_u32_e32 vcc_lo, 0x7f00000, v3
	v_cndmask_b32_e32 v11, 0x7e, v2, vcc_lo
                                        ; implicit-def: $vgpr2
; %bb.284:
	s_and_not1_saveexec_b32 s11, s11
; %bb.285:
	v_add_f32_e32 v11, 0x46800000, v2
; %bb.286:
	s_or_b32 exec_lo, exec_lo, s11
                                        ; implicit-def: $vgpr2
.LBB275_287:
	s_and_not1_saveexec_b32 s10, s10
; %bb.288:
	v_mov_b32_e32 v3, 0x7f
	v_cmp_lt_u32_e32 vcc_lo, 0x7f800000, v2
	s_delay_alu instid0(VALU_DEP_2)
	v_cndmask_b32_e32 v11, 0x7e, v3, vcc_lo
; %bb.289:
	s_or_b32 exec_lo, exec_lo, s10
.LBB275_290:
	s_delay_alu instid0(SALU_CYCLE_1)
	s_or_b32 exec_lo, exec_lo, s9
.LBB275_291:
	s_and_not1_saveexec_b32 s8, s8
	s_cbranch_execz .LBB275_307
; %bb.292:
	flat_load_u8 v3, v[8:9]
	s_mov_b32 s9, 0
	s_mov_b32 s10, exec_lo
	s_wait_loadcnt_dscnt 0x0
	v_cmpx_lt_i16_e32 0x7f, v3
	s_xor_b32 s10, exec_lo, s10
	s_cbranch_execz .LBB275_561
; %bb.293:
	s_mov_b32 s9, -1
	s_mov_b32 s11, exec_lo
	v_cmpx_eq_u16_e32 0x80, v3
; %bb.294:
	s_xor_b32 s9, exec_lo, -1
; %bb.295:
	s_or_b32 exec_lo, exec_lo, s11
	s_delay_alu instid0(SALU_CYCLE_1)
	s_and_b32 s9, s9, exec_lo
	s_or_saveexec_b32 s10, s10
	v_mov_b32_e32 v2, 0x7f800001
	s_xor_b32 exec_lo, exec_lo, s10
	s_cbranch_execnz .LBB275_562
.LBB275_296:
	s_or_b32 exec_lo, exec_lo, s10
	s_and_saveexec_b32 s10, s9
	s_cbranch_execz .LBB275_298
.LBB275_297:
	v_and_b32_e32 v2, 0xffff, v3
	s_delay_alu instid0(VALU_DEP_1) | instskip(SKIP_1) | instid1(VALU_DEP_2)
	v_and_b32_e32 v4, 7, v2
	v_bfe_u32 v7, v2, 3, 4
	v_clz_i32_u32_e32 v5, v4
	s_delay_alu instid0(VALU_DEP_2) | instskip(NEXT) | instid1(VALU_DEP_2)
	v_cmp_eq_u32_e32 vcc_lo, 0, v7
	v_min_u32_e32 v5, 32, v5
	s_delay_alu instid0(VALU_DEP_1) | instskip(NEXT) | instid1(VALU_DEP_1)
	v_subrev_nc_u32_e32 v6, 28, v5
	v_dual_lshlrev_b32 v2, v6, v2 :: v_dual_sub_nc_u32 v5, 29, v5
	s_delay_alu instid0(VALU_DEP_1) | instskip(NEXT) | instid1(VALU_DEP_1)
	v_dual_lshlrev_b32 v3, 24, v3 :: v_dual_bitop2_b32 v2, 7, v2 bitop3:0x40
	v_dual_cndmask_b32 v5, v7, v5 :: v_dual_cndmask_b32 v2, v4, v2
	s_delay_alu instid0(VALU_DEP_2) | instskip(NEXT) | instid1(VALU_DEP_2)
	v_and_b32_e32 v3, 0x80000000, v3
	v_lshl_add_u32 v4, v5, 23, 0x3b800000
	s_delay_alu instid0(VALU_DEP_3) | instskip(NEXT) | instid1(VALU_DEP_1)
	v_lshlrev_b32_e32 v2, 20, v2
	v_or3_b32 v2, v3, v4, v2
.LBB275_298:
	s_or_b32 exec_lo, exec_lo, s10
	s_delay_alu instid0(VALU_DEP_1) | instskip(SKIP_1) | instid1(VALU_DEP_1)
	v_and_b32_e32 v4, 0x7fffffff, v2
	s_mov_b32 s9, exec_lo
                                        ; implicit-def: $vgpr3
	v_cmpx_gt_u32_e32 0x43f00000, v4
	s_xor_b32 s9, exec_lo, s9
	s_cbranch_execz .LBB275_304
; %bb.299:
	s_mov_b32 s10, exec_lo
                                        ; implicit-def: $vgpr3
	v_cmpx_lt_u32_e32 0x3c7fffff, v4
	s_xor_b32 s10, exec_lo, s10
; %bb.300:
	v_bfe_u32 v3, v2, 20, 1
	s_delay_alu instid0(VALU_DEP_1) | instskip(NEXT) | instid1(VALU_DEP_1)
	v_add3_u32 v3, v2, v3, 0x407ffff
	v_and_b32_e32 v4, 0xff00000, v3
	v_lshrrev_b32_e32 v3, 20, v3
	s_delay_alu instid0(VALU_DEP_2) | instskip(NEXT) | instid1(VALU_DEP_2)
	v_cmp_ne_u32_e32 vcc_lo, 0x7f00000, v4
	v_cndmask_b32_e32 v3, 0x7e, v3, vcc_lo
; %bb.301:
	s_and_not1_saveexec_b32 s10, s10
; %bb.302:
	v_add_f32_e64 v3, 0x46800000, |v2|
; %bb.303:
	s_or_b32 exec_lo, exec_lo, s10
                                        ; implicit-def: $vgpr4
.LBB275_304:
	s_and_not1_saveexec_b32 s9, s9
; %bb.305:
	v_mov_b32_e32 v3, 0x7f
	v_cmp_lt_u32_e32 vcc_lo, 0x7f800000, v4
	s_delay_alu instid0(VALU_DEP_2)
	v_cndmask_b32_e32 v3, 0x7e, v3, vcc_lo
; %bb.306:
	s_or_b32 exec_lo, exec_lo, s9
	v_lshrrev_b32_e32 v2, 24, v2
	s_delay_alu instid0(VALU_DEP_1)
	v_and_or_b32 v11, 0x80, v2, v3
.LBB275_307:
	s_or_b32 exec_lo, exec_lo, s8
	s_delay_alu instid0(SALU_CYCLE_1)
	s_or_b32 s7, s7, exec_lo
.LBB275_308:
	s_or_b32 exec_lo, exec_lo, s5
	s_delay_alu instid0(SALU_CYCLE_1)
	s_and_b32 s5, s7, exec_lo
	s_and_b32 s6, s6, exec_lo
	s_and_not1_saveexec_b32 s4, s4
	s_cbranch_execnz .LBB275_509
.LBB275_309:
	s_or_b32 exec_lo, exec_lo, s4
	s_mov_b32 s7, s0
	s_and_saveexec_b32 s4, s6
	s_cbranch_execnz .LBB275_558
.LBB275_310:
	s_or_b32 exec_lo, exec_lo, s4
	s_delay_alu instid0(SALU_CYCLE_1)
	s_and_b32 s6, s5, exec_lo
	s_and_not1_b32 s5, s0, exec_lo
	s_and_b32 s7, s7, exec_lo
	s_xor_b32 s4, exec_lo, -1
	s_and_b32 s3, s3, exec_lo
	s_or_b32 s5, s5, s7
.LBB275_311:
	s_or_b32 exec_lo, exec_lo, s2
	s_delay_alu instid0(SALU_CYCLE_1)
	s_and_b32 s2, s6, exec_lo
	s_and_not1_b32 s0, s0, exec_lo
	s_and_b32 s6, s5, exec_lo
	s_and_b32 s4, s4, exec_lo
	;; [unrolled: 1-line block ×3, first 2 shown]
	s_or_b32 s0, s0, s6
	s_or_b32 exec_lo, exec_lo, s1
	s_and_saveexec_b32 s1, s0
	s_cbranch_execnz .LBB275_325
.LBB275_312:
	s_or_b32 exec_lo, exec_lo, s1
	s_and_saveexec_b32 s0, s5
	s_cbranch_execz .LBB275_326
.LBB275_313:
	flat_load_u8 v2, v[8:9]
	s_mov_b32 s1, exec_lo
                                        ; implicit-def: $vgpr11
	s_wait_loadcnt_dscnt 0x0
	v_cmp_ne_u16_e32 vcc_lo, 0, v2
	v_cndmask_b32_e64 v2, 0, 1.0, vcc_lo
	s_wait_xcnt 0x0
	s_delay_alu instid0(VALU_DEP_1)
	v_cmpx_gt_u32_e32 0x43f00000, v2
	s_xor_b32 s1, exec_lo, s1
	s_cbranch_execz .LBB275_319
; %bb.314:
	s_mov_b32 s3, exec_lo
                                        ; implicit-def: $vgpr11
	v_cmpx_lt_u32_e32 0x3c7fffff, v2
	s_xor_b32 s3, exec_lo, s3
; %bb.315:
	v_bfe_u32 v3, v2, 20, 1
	s_delay_alu instid0(VALU_DEP_1) | instskip(NEXT) | instid1(VALU_DEP_1)
	v_add3_u32 v2, v2, v3, 0x407ffff
	v_and_b32_e32 v3, 0xff00000, v2
	v_lshrrev_b32_e32 v2, 20, v2
	s_delay_alu instid0(VALU_DEP_2) | instskip(NEXT) | instid1(VALU_DEP_2)
	v_cmp_ne_u32_e32 vcc_lo, 0x7f00000, v3
	v_cndmask_b32_e32 v11, 0x7e, v2, vcc_lo
                                        ; implicit-def: $vgpr2
; %bb.316:
	s_and_not1_saveexec_b32 s3, s3
; %bb.317:
	v_add_f32_e32 v11, 0x46800000, v2
; %bb.318:
	s_or_b32 exec_lo, exec_lo, s3
                                        ; implicit-def: $vgpr2
.LBB275_319:
	s_and_not1_saveexec_b32 s1, s1
; %bb.320:
	v_mov_b32_e32 v3, 0x7f
	v_cmp_lt_u32_e32 vcc_lo, 0x7f800000, v2
	s_delay_alu instid0(VALU_DEP_2)
	v_cndmask_b32_e32 v11, 0x7e, v3, vcc_lo
; %bb.321:
	s_or_b32 exec_lo, exec_lo, s1
	s_delay_alu instid0(SALU_CYCLE_1)
	s_or_b32 s2, s2, exec_lo
	s_or_b32 exec_lo, exec_lo, s0
	s_and_saveexec_b32 s0, s4
	s_cbranch_execnz .LBB275_327
.LBB275_322:
	s_or_b32 exec_lo, exec_lo, s0
                                        ; implicit-def: $sgpr1
	s_and_saveexec_b32 s0, s2
	s_cbranch_execz .LBB275_456
.LBB275_323:
	s_wait_loadcnt_dscnt 0x0
	v_dual_lshlrev_b32 v1, 24, v1 :: v_dual_lshlrev_b32 v2, 24, v11
	s_delay_alu instid0(VALU_DEP_1) | instskip(NEXT) | instid1(VALU_DEP_2)
	v_and_b32_e32 v3, 0x7f000000, v1
	v_and_b32_e32 v4, 0x7f000000, v2
	s_delay_alu instid0(VALU_DEP_2) | instskip(NEXT) | instid1(VALU_DEP_2)
	v_clz_i32_u32_e32 v5, v3
	v_clz_i32_u32_e32 v6, v4
	v_cmp_ne_u32_e32 vcc_lo, 0, v3
	s_delay_alu instid0(VALU_DEP_3) | instskip(NEXT) | instid1(VALU_DEP_3)
	v_min_u32_e32 v5, 32, v5
	v_min_u32_e32 v6, 32, v6
	s_delay_alu instid0(VALU_DEP_2) | instskip(NEXT) | instid1(VALU_DEP_2)
	v_sub_nc_u32_e64 v5, v5, 4 clamp
	v_sub_nc_u32_e64 v6, v6, 4 clamp
	s_delay_alu instid0(VALU_DEP_1) | instskip(SKIP_1) | instid1(VALU_DEP_2)
	v_dual_lshlrev_b32 v7, v5, v3 :: v_dual_lshlrev_b32 v8, v6, v4
	v_dual_lshlrev_b32 v5, 23, v5 :: v_dual_lshlrev_b32 v6, 23, v6
	v_dual_lshrrev_b32 v7, 4, v7 :: v_dual_lshrrev_b32 v8, 4, v8
	s_delay_alu instid0(VALU_DEP_1) | instskip(SKIP_1) | instid1(VALU_DEP_2)
	v_dual_sub_nc_u32 v5, v7, v5 :: v_dual_sub_nc_u32 v6, v8, v6
	v_add_nc_u32_e32 v7, 0x1000000, v4
	v_add_nc_u32_e32 v5, 0x3c000000, v5
	s_delay_alu instid0(VALU_DEP_3) | instskip(NEXT) | instid1(VALU_DEP_3)
	v_add_nc_u32_e32 v6, 0x3c000000, v6
	v_ashrrev_i32_e32 v7, 8, v7
	s_delay_alu instid0(VALU_DEP_1) | instskip(SKIP_1) | instid1(VALU_DEP_1)
	v_and_or_b32 v6, 0x7f800000, v7, v6
	v_add_nc_u32_e32 v9, 0x1000000, v3
	v_ashrrev_i32_e32 v8, 8, v9
	s_delay_alu instid0(VALU_DEP_1) | instskip(NEXT) | instid1(VALU_DEP_1)
	v_and_or_b32 v5, 0x7f800000, v8, v5
	v_cndmask_b32_e32 v3, 0, v5, vcc_lo
	v_cmp_ne_u32_e32 vcc_lo, 0, v4
	s_delay_alu instid0(VALU_DEP_2) | instskip(SKIP_1) | instid1(VALU_DEP_1)
	v_and_or_b32 v1, 0x80000000, v1, v3
	v_cndmask_b32_e32 v4, 0, v6, vcc_lo
	v_and_or_b32 v2, 0x80000000, v2, v4
	s_delay_alu instid0(VALU_DEP_1) | instskip(SKIP_4) | instid1(VALU_DEP_2)
	v_cmp_eq_f32_e32 vcc_lo, v1, v2
	v_cndmask_b32_e64 v3, 0, 1, vcc_lo
	v_cmp_neq_f32_e32 vcc_lo, v1, v2
	v_cndmask_b32_e64 v1, 0, 1, vcc_lo
	v_cmp_eq_u32_e32 vcc_lo, 0, v0
	v_cndmask_b32_e32 v0, v1, v3, vcc_lo
	s_delay_alu instid0(VALU_DEP_1) | instskip(NEXT) | instid1(VALU_DEP_1)
	v_and_b32_e32 v0, 1, v0
	v_cmp_eq_u32_e64 s1, 1, v0
	s_or_b32 exec_lo, exec_lo, s0
	v_cndmask_b32_e64 v0, 0, 1, s1
	s_set_pc_i64 s[30:31]
.LBB275_324:
	s_or_b32 exec_lo, exec_lo, s1
	s_and_saveexec_b32 s1, s0
	s_cbranch_execz .LBB275_312
.LBB275_325:
	; divergent unreachable
	s_or_b32 exec_lo, exec_lo, s1
	s_and_saveexec_b32 s0, s5
	s_cbranch_execnz .LBB275_313
.LBB275_326:
	s_or_b32 exec_lo, exec_lo, s0
	s_and_saveexec_b32 s0, s4
	s_cbranch_execz .LBB275_322
.LBB275_327:
	s_mov_b32 s1, exec_lo
                                        ; implicit-def: $vgpr11
	v_cmpx_lt_i16_e32 4, v10
	s_xor_b32 s1, exec_lo, s1
	s_cbranch_execz .LBB275_397
; %bb.328:
	s_mov_b32 s3, exec_lo
                                        ; implicit-def: $vgpr11
	v_cmpx_lt_i16_e32 7, v10
	s_xor_b32 s3, exec_lo, s3
	s_cbranch_execz .LBB275_362
; %bb.329:
	s_mov_b32 s4, exec_lo
                                        ; implicit-def: $vgpr11
	v_cmpx_lt_i16_e32 8, v10
	s_xor_b32 s4, exec_lo, s4
	s_cbranch_execz .LBB275_351
; %bb.330:
	s_mov_b32 s5, exec_lo
                                        ; implicit-def: $vgpr11
	v_cmpx_lt_i16_e32 9, v10
	s_xor_b32 s5, exec_lo, s5
	s_cbranch_execz .LBB275_340
; %bb.331:
	flat_load_b64 v[2:3], v[8:9]
	s_mov_b32 s6, exec_lo
	s_wait_loadcnt_dscnt 0x0
	v_cvt_f32_f64_e32 v2, v[2:3]
                                        ; implicit-def: $vgpr3
	s_delay_alu instid0(VALU_DEP_1) | instskip(SKIP_1) | instid1(VALU_DEP_1)
	v_and_b32_e32 v4, 0x7fffffff, v2
	s_wait_xcnt 0x0
	v_cmpx_gt_u32_e32 0x43f00000, v4
	s_xor_b32 s6, exec_lo, s6
	s_cbranch_execz .LBB275_337
; %bb.332:
	s_mov_b32 s7, exec_lo
                                        ; implicit-def: $vgpr3
	v_cmpx_lt_u32_e32 0x3c7fffff, v4
	s_xor_b32 s7, exec_lo, s7
; %bb.333:
	v_bfe_u32 v3, v2, 20, 1
	s_delay_alu instid0(VALU_DEP_1) | instskip(NEXT) | instid1(VALU_DEP_1)
	v_add3_u32 v3, v2, v3, 0x407ffff
	v_and_b32_e32 v4, 0xff00000, v3
	v_lshrrev_b32_e32 v3, 20, v3
	s_delay_alu instid0(VALU_DEP_2) | instskip(NEXT) | instid1(VALU_DEP_2)
	v_cmp_ne_u32_e32 vcc_lo, 0x7f00000, v4
	v_cndmask_b32_e32 v3, 0x7e, v3, vcc_lo
; %bb.334:
	s_and_not1_saveexec_b32 s7, s7
; %bb.335:
	v_add_f32_e64 v3, 0x46800000, |v2|
; %bb.336:
	s_or_b32 exec_lo, exec_lo, s7
                                        ; implicit-def: $vgpr4
.LBB275_337:
	s_and_not1_saveexec_b32 s6, s6
; %bb.338:
	v_mov_b32_e32 v3, 0x7f
	v_cmp_lt_u32_e32 vcc_lo, 0x7f800000, v4
	s_delay_alu instid0(VALU_DEP_2)
	v_cndmask_b32_e32 v3, 0x7e, v3, vcc_lo
; %bb.339:
	s_or_b32 exec_lo, exec_lo, s6
	v_lshrrev_b32_e32 v2, 24, v2
                                        ; implicit-def: $vgpr8_vgpr9
	s_delay_alu instid0(VALU_DEP_1)
	v_and_or_b32 v11, 0x80, v2, v3
.LBB275_340:
	s_and_not1_saveexec_b32 s5, s5
	s_cbranch_execz .LBB275_350
; %bb.341:
	flat_load_b32 v2, v[8:9]
	s_mov_b32 s6, exec_lo
                                        ; implicit-def: $vgpr3
	s_wait_loadcnt_dscnt 0x0
	v_and_b32_e32 v4, 0x7fffffff, v2
	s_wait_xcnt 0x0
	s_delay_alu instid0(VALU_DEP_1)
	v_cmpx_gt_u32_e32 0x43f00000, v4
	s_xor_b32 s6, exec_lo, s6
	s_cbranch_execz .LBB275_347
; %bb.342:
	s_mov_b32 s7, exec_lo
                                        ; implicit-def: $vgpr3
	v_cmpx_lt_u32_e32 0x3c7fffff, v4
	s_xor_b32 s7, exec_lo, s7
; %bb.343:
	v_bfe_u32 v3, v2, 20, 1
	s_delay_alu instid0(VALU_DEP_1) | instskip(NEXT) | instid1(VALU_DEP_1)
	v_add3_u32 v3, v2, v3, 0x407ffff
	v_and_b32_e32 v4, 0xff00000, v3
	v_lshrrev_b32_e32 v3, 20, v3
	s_delay_alu instid0(VALU_DEP_2) | instskip(NEXT) | instid1(VALU_DEP_2)
	v_cmp_ne_u32_e32 vcc_lo, 0x7f00000, v4
	v_cndmask_b32_e32 v3, 0x7e, v3, vcc_lo
; %bb.344:
	s_and_not1_saveexec_b32 s7, s7
; %bb.345:
	v_add_f32_e64 v3, 0x46800000, |v2|
; %bb.346:
	s_or_b32 exec_lo, exec_lo, s7
                                        ; implicit-def: $vgpr4
.LBB275_347:
	s_and_not1_saveexec_b32 s6, s6
; %bb.348:
	v_mov_b32_e32 v3, 0x7f
	v_cmp_lt_u32_e32 vcc_lo, 0x7f800000, v4
	s_delay_alu instid0(VALU_DEP_2)
	v_cndmask_b32_e32 v3, 0x7e, v3, vcc_lo
; %bb.349:
	s_or_b32 exec_lo, exec_lo, s6
	v_lshrrev_b32_e32 v2, 24, v2
	s_delay_alu instid0(VALU_DEP_1)
	v_and_or_b32 v11, 0x80, v2, v3
.LBB275_350:
	s_or_b32 exec_lo, exec_lo, s5
                                        ; implicit-def: $vgpr8_vgpr9
.LBB275_351:
	s_and_not1_saveexec_b32 s4, s4
	s_cbranch_execz .LBB275_361
; %bb.352:
	flat_load_b32 v2, v[8:9]
	s_mov_b32 s5, exec_lo
                                        ; implicit-def: $vgpr3
	s_wait_loadcnt_dscnt 0x0
	v_cvt_f32_f16_e32 v2, v2
	s_delay_alu instid0(VALU_DEP_1) | instskip(SKIP_1) | instid1(VALU_DEP_1)
	v_and_b32_e32 v4, 0x7fffffff, v2
	s_wait_xcnt 0x0
	v_cmpx_gt_u32_e32 0x43f00000, v4
	s_xor_b32 s5, exec_lo, s5
	s_cbranch_execz .LBB275_358
; %bb.353:
	s_mov_b32 s6, exec_lo
                                        ; implicit-def: $vgpr3
	v_cmpx_lt_u32_e32 0x3c7fffff, v4
	s_xor_b32 s6, exec_lo, s6
; %bb.354:
	v_bfe_u32 v3, v2, 20, 1
	s_delay_alu instid0(VALU_DEP_1) | instskip(NEXT) | instid1(VALU_DEP_1)
	v_add3_u32 v3, v2, v3, 0x407ffff
	v_and_b32_e32 v4, 0xff00000, v3
	v_lshrrev_b32_e32 v3, 20, v3
	s_delay_alu instid0(VALU_DEP_2) | instskip(NEXT) | instid1(VALU_DEP_2)
	v_cmp_ne_u32_e32 vcc_lo, 0x7f00000, v4
	v_cndmask_b32_e32 v3, 0x7e, v3, vcc_lo
; %bb.355:
	s_and_not1_saveexec_b32 s6, s6
; %bb.356:
	v_add_f32_e64 v3, 0x46800000, |v2|
; %bb.357:
	s_or_b32 exec_lo, exec_lo, s6
                                        ; implicit-def: $vgpr4
.LBB275_358:
	s_and_not1_saveexec_b32 s5, s5
; %bb.359:
	v_mov_b32_e32 v3, 0x7f
	v_cmp_lt_u32_e32 vcc_lo, 0x7f800000, v4
	s_delay_alu instid0(VALU_DEP_2)
	v_cndmask_b32_e32 v3, 0x7e, v3, vcc_lo
; %bb.360:
	s_or_b32 exec_lo, exec_lo, s5
	v_lshrrev_b32_e32 v2, 24, v2
	s_delay_alu instid0(VALU_DEP_1)
	v_and_or_b32 v11, 0x80, v2, v3
.LBB275_361:
	s_or_b32 exec_lo, exec_lo, s4
                                        ; implicit-def: $vgpr8_vgpr9
.LBB275_362:
	s_and_not1_saveexec_b32 s3, s3
	s_cbranch_execz .LBB275_396
; %bb.363:
	s_mov_b32 s4, exec_lo
                                        ; implicit-def: $vgpr11
	v_cmpx_lt_i16_e32 5, v10
	s_xor_b32 s4, exec_lo, s4
	s_cbranch_execz .LBB275_385
; %bb.364:
	s_mov_b32 s5, exec_lo
                                        ; implicit-def: $vgpr11
	v_cmpx_lt_i16_e32 6, v10
	s_xor_b32 s5, exec_lo, s5
	s_cbranch_execz .LBB275_374
; %bb.365:
	flat_load_b64 v[2:3], v[8:9]
	s_mov_b32 s6, exec_lo
	s_wait_loadcnt_dscnt 0x0
	v_cvt_f32_f64_e32 v2, v[2:3]
                                        ; implicit-def: $vgpr3
	s_delay_alu instid0(VALU_DEP_1) | instskip(SKIP_1) | instid1(VALU_DEP_1)
	v_and_b32_e32 v4, 0x7fffffff, v2
	s_wait_xcnt 0x0
	v_cmpx_gt_u32_e32 0x43f00000, v4
	s_xor_b32 s6, exec_lo, s6
	s_cbranch_execz .LBB275_371
; %bb.366:
	s_mov_b32 s7, exec_lo
                                        ; implicit-def: $vgpr3
	v_cmpx_lt_u32_e32 0x3c7fffff, v4
	s_xor_b32 s7, exec_lo, s7
; %bb.367:
	v_bfe_u32 v3, v2, 20, 1
	s_delay_alu instid0(VALU_DEP_1) | instskip(NEXT) | instid1(VALU_DEP_1)
	v_add3_u32 v3, v2, v3, 0x407ffff
	v_and_b32_e32 v4, 0xff00000, v3
	v_lshrrev_b32_e32 v3, 20, v3
	s_delay_alu instid0(VALU_DEP_2) | instskip(NEXT) | instid1(VALU_DEP_2)
	v_cmp_ne_u32_e32 vcc_lo, 0x7f00000, v4
	v_cndmask_b32_e32 v3, 0x7e, v3, vcc_lo
; %bb.368:
	s_and_not1_saveexec_b32 s7, s7
; %bb.369:
	v_add_f32_e64 v3, 0x46800000, |v2|
; %bb.370:
	s_or_b32 exec_lo, exec_lo, s7
                                        ; implicit-def: $vgpr4
.LBB275_371:
	s_and_not1_saveexec_b32 s6, s6
; %bb.372:
	v_mov_b32_e32 v3, 0x7f
	v_cmp_lt_u32_e32 vcc_lo, 0x7f800000, v4
	s_delay_alu instid0(VALU_DEP_2)
	v_cndmask_b32_e32 v3, 0x7e, v3, vcc_lo
; %bb.373:
	s_or_b32 exec_lo, exec_lo, s6
	v_lshrrev_b32_e32 v2, 24, v2
                                        ; implicit-def: $vgpr8_vgpr9
	s_delay_alu instid0(VALU_DEP_1)
	v_and_or_b32 v11, 0x80, v2, v3
.LBB275_374:
	s_and_not1_saveexec_b32 s5, s5
	s_cbranch_execz .LBB275_384
; %bb.375:
	flat_load_b32 v2, v[8:9]
	s_mov_b32 s6, exec_lo
                                        ; implicit-def: $vgpr3
	s_wait_loadcnt_dscnt 0x0
	v_and_b32_e32 v4, 0x7fffffff, v2
	s_wait_xcnt 0x0
	s_delay_alu instid0(VALU_DEP_1)
	v_cmpx_gt_u32_e32 0x43f00000, v4
	s_xor_b32 s6, exec_lo, s6
	s_cbranch_execz .LBB275_381
; %bb.376:
	s_mov_b32 s7, exec_lo
                                        ; implicit-def: $vgpr3
	v_cmpx_lt_u32_e32 0x3c7fffff, v4
	s_xor_b32 s7, exec_lo, s7
; %bb.377:
	v_bfe_u32 v3, v2, 20, 1
	s_delay_alu instid0(VALU_DEP_1) | instskip(NEXT) | instid1(VALU_DEP_1)
	v_add3_u32 v3, v2, v3, 0x407ffff
	v_and_b32_e32 v4, 0xff00000, v3
	v_lshrrev_b32_e32 v3, 20, v3
	s_delay_alu instid0(VALU_DEP_2) | instskip(NEXT) | instid1(VALU_DEP_2)
	v_cmp_ne_u32_e32 vcc_lo, 0x7f00000, v4
	v_cndmask_b32_e32 v3, 0x7e, v3, vcc_lo
; %bb.378:
	s_and_not1_saveexec_b32 s7, s7
; %bb.379:
	v_add_f32_e64 v3, 0x46800000, |v2|
; %bb.380:
	s_or_b32 exec_lo, exec_lo, s7
                                        ; implicit-def: $vgpr4
.LBB275_381:
	s_and_not1_saveexec_b32 s6, s6
; %bb.382:
	v_mov_b32_e32 v3, 0x7f
	v_cmp_lt_u32_e32 vcc_lo, 0x7f800000, v4
	s_delay_alu instid0(VALU_DEP_2)
	v_cndmask_b32_e32 v3, 0x7e, v3, vcc_lo
; %bb.383:
	s_or_b32 exec_lo, exec_lo, s6
	v_lshrrev_b32_e32 v2, 24, v2
	s_delay_alu instid0(VALU_DEP_1)
	v_and_or_b32 v11, 0x80, v2, v3
.LBB275_384:
	s_or_b32 exec_lo, exec_lo, s5
                                        ; implicit-def: $vgpr8_vgpr9
.LBB275_385:
	s_and_not1_saveexec_b32 s4, s4
	s_cbranch_execz .LBB275_395
; %bb.386:
	flat_load_u16 v2, v[8:9]
	s_mov_b32 s5, exec_lo
                                        ; implicit-def: $vgpr3
	s_wait_loadcnt_dscnt 0x0
	v_cvt_f32_f16_e32 v2, v2
	s_delay_alu instid0(VALU_DEP_1) | instskip(SKIP_1) | instid1(VALU_DEP_1)
	v_and_b32_e32 v4, 0x7fffffff, v2
	s_wait_xcnt 0x0
	v_cmpx_gt_u32_e32 0x43f00000, v4
	s_xor_b32 s5, exec_lo, s5
	s_cbranch_execz .LBB275_392
; %bb.387:
	s_mov_b32 s6, exec_lo
                                        ; implicit-def: $vgpr3
	v_cmpx_lt_u32_e32 0x3c7fffff, v4
	s_xor_b32 s6, exec_lo, s6
; %bb.388:
	v_bfe_u32 v3, v2, 20, 1
	s_delay_alu instid0(VALU_DEP_1) | instskip(NEXT) | instid1(VALU_DEP_1)
	v_add3_u32 v3, v2, v3, 0x407ffff
	v_and_b32_e32 v4, 0xff00000, v3
	v_lshrrev_b32_e32 v3, 20, v3
	s_delay_alu instid0(VALU_DEP_2) | instskip(NEXT) | instid1(VALU_DEP_2)
	v_cmp_ne_u32_e32 vcc_lo, 0x7f00000, v4
	v_cndmask_b32_e32 v3, 0x7e, v3, vcc_lo
; %bb.389:
	s_and_not1_saveexec_b32 s6, s6
; %bb.390:
	v_add_f32_e64 v3, 0x46800000, |v2|
; %bb.391:
	s_or_b32 exec_lo, exec_lo, s6
                                        ; implicit-def: $vgpr4
.LBB275_392:
	s_and_not1_saveexec_b32 s5, s5
; %bb.393:
	v_mov_b32_e32 v3, 0x7f
	v_cmp_lt_u32_e32 vcc_lo, 0x7f800000, v4
	s_delay_alu instid0(VALU_DEP_2)
	v_cndmask_b32_e32 v3, 0x7e, v3, vcc_lo
; %bb.394:
	s_or_b32 exec_lo, exec_lo, s5
	v_lshrrev_b32_e32 v2, 24, v2
	s_delay_alu instid0(VALU_DEP_1)
	v_and_or_b32 v11, 0x80, v2, v3
.LBB275_395:
	s_or_b32 exec_lo, exec_lo, s4
.LBB275_396:
	s_delay_alu instid0(SALU_CYCLE_1)
	s_or_b32 exec_lo, exec_lo, s3
                                        ; implicit-def: $vgpr8_vgpr9
.LBB275_397:
	s_and_not1_saveexec_b32 s1, s1
	s_cbranch_execz .LBB275_455
; %bb.398:
	s_mov_b32 s3, exec_lo
                                        ; implicit-def: $vgpr11
	v_cmpx_lt_i16_e32 1, v10
	s_xor_b32 s3, exec_lo, s3
	s_cbranch_execz .LBB275_432
; %bb.399:
	s_mov_b32 s4, exec_lo
                                        ; implicit-def: $vgpr11
	v_cmpx_lt_i16_e32 2, v10
	s_xor_b32 s4, exec_lo, s4
	;; [unrolled: 6-line block ×3, first 2 shown]
	s_cbranch_execz .LBB275_410
; %bb.401:
	flat_load_b64 v[2:3], v[8:9]
	s_mov_b32 s6, exec_lo
	s_wait_loadcnt_dscnt 0x0
	v_xor_b32_e32 v4, v2, v3
	v_cls_i32_e32 v5, v3
	s_delay_alu instid0(VALU_DEP_2) | instskip(NEXT) | instid1(VALU_DEP_1)
	v_ashrrev_i32_e32 v4, 31, v4
	v_add_nc_u32_e32 v4, 32, v4
	s_delay_alu instid0(VALU_DEP_1) | instskip(NEXT) | instid1(VALU_DEP_1)
	v_add_min_u32_e64 v4, v5, -1, v4
	v_lshlrev_b64_e32 v[2:3], v4, v[2:3]
	s_delay_alu instid0(VALU_DEP_1) | instskip(NEXT) | instid1(VALU_DEP_1)
	v_min_u32_e32 v2, 1, v2
	v_dual_sub_nc_u32 v3, 32, v4 :: v_dual_bitop2_b32 v2, v3, v2 bitop3:0x54
	s_delay_alu instid0(VALU_DEP_1) | instskip(NEXT) | instid1(VALU_DEP_1)
	v_cvt_f32_i32_e32 v2, v2
	v_ldexp_f32 v2, v2, v3
                                        ; implicit-def: $vgpr3
	s_delay_alu instid0(VALU_DEP_1) | instskip(SKIP_1) | instid1(VALU_DEP_1)
	v_and_b32_e32 v4, 0x7fffffff, v2
	s_wait_xcnt 0x0
	v_cmpx_gt_u32_e32 0x43f00000, v4
	s_xor_b32 s6, exec_lo, s6
	s_cbranch_execz .LBB275_407
; %bb.402:
	s_mov_b32 s7, exec_lo
                                        ; implicit-def: $vgpr3
	v_cmpx_lt_u32_e32 0x3c7fffff, v4
	s_xor_b32 s7, exec_lo, s7
; %bb.403:
	v_bfe_u32 v3, v2, 20, 1
	s_delay_alu instid0(VALU_DEP_1) | instskip(NEXT) | instid1(VALU_DEP_1)
	v_add3_u32 v3, v2, v3, 0x407ffff
	v_and_b32_e32 v4, 0xff00000, v3
	v_lshrrev_b32_e32 v3, 20, v3
	s_delay_alu instid0(VALU_DEP_2) | instskip(NEXT) | instid1(VALU_DEP_2)
	v_cmp_ne_u32_e32 vcc_lo, 0x7f00000, v4
	v_cndmask_b32_e32 v3, 0x7e, v3, vcc_lo
; %bb.404:
	s_and_not1_saveexec_b32 s7, s7
; %bb.405:
	v_add_f32_e64 v3, 0x46800000, |v2|
; %bb.406:
	s_or_b32 exec_lo, exec_lo, s7
                                        ; implicit-def: $vgpr4
.LBB275_407:
	s_and_not1_saveexec_b32 s6, s6
; %bb.408:
	v_mov_b32_e32 v3, 0x7f
	v_cmp_lt_u32_e32 vcc_lo, 0x7f800000, v4
	s_delay_alu instid0(VALU_DEP_2)
	v_cndmask_b32_e32 v3, 0x7e, v3, vcc_lo
; %bb.409:
	s_or_b32 exec_lo, exec_lo, s6
	v_lshrrev_b32_e32 v2, 24, v2
                                        ; implicit-def: $vgpr8_vgpr9
	s_delay_alu instid0(VALU_DEP_1)
	v_and_or_b32 v11, 0x80, v2, v3
.LBB275_410:
	s_and_not1_saveexec_b32 s5, s5
	s_cbranch_execz .LBB275_420
; %bb.411:
	flat_load_b32 v2, v[8:9]
	s_mov_b32 s6, exec_lo
                                        ; implicit-def: $vgpr3
	s_wait_loadcnt_dscnt 0x0
	v_cvt_f32_i32_e32 v2, v2
	s_delay_alu instid0(VALU_DEP_1) | instskip(SKIP_1) | instid1(VALU_DEP_1)
	v_and_b32_e32 v4, 0x7fffffff, v2
	s_wait_xcnt 0x0
	v_cmpx_gt_u32_e32 0x43f00000, v4
	s_xor_b32 s6, exec_lo, s6
	s_cbranch_execz .LBB275_417
; %bb.412:
	s_mov_b32 s7, exec_lo
                                        ; implicit-def: $vgpr3
	v_cmpx_lt_u32_e32 0x3c7fffff, v4
	s_xor_b32 s7, exec_lo, s7
; %bb.413:
	v_bfe_u32 v3, v2, 20, 1
	s_delay_alu instid0(VALU_DEP_1) | instskip(NEXT) | instid1(VALU_DEP_1)
	v_add3_u32 v3, v2, v3, 0x407ffff
	v_and_b32_e32 v4, 0xff00000, v3
	v_lshrrev_b32_e32 v3, 20, v3
	s_delay_alu instid0(VALU_DEP_2) | instskip(NEXT) | instid1(VALU_DEP_2)
	v_cmp_ne_u32_e32 vcc_lo, 0x7f00000, v4
	v_cndmask_b32_e32 v3, 0x7e, v3, vcc_lo
; %bb.414:
	s_and_not1_saveexec_b32 s7, s7
; %bb.415:
	v_add_f32_e64 v3, 0x46800000, |v2|
; %bb.416:
	s_or_b32 exec_lo, exec_lo, s7
                                        ; implicit-def: $vgpr4
.LBB275_417:
	s_and_not1_saveexec_b32 s6, s6
; %bb.418:
	v_mov_b32_e32 v3, 0x7f
	v_cmp_lt_u32_e32 vcc_lo, 0x7f800000, v4
	s_delay_alu instid0(VALU_DEP_2)
	v_cndmask_b32_e32 v3, 0x7e, v3, vcc_lo
; %bb.419:
	s_or_b32 exec_lo, exec_lo, s6
	v_lshrrev_b32_e32 v2, 24, v2
	s_delay_alu instid0(VALU_DEP_1)
	v_and_or_b32 v11, 0x80, v2, v3
.LBB275_420:
	s_or_b32 exec_lo, exec_lo, s5
                                        ; implicit-def: $vgpr8_vgpr9
.LBB275_421:
	s_and_not1_saveexec_b32 s4, s4
	s_cbranch_execz .LBB275_431
; %bb.422:
	flat_load_i16 v2, v[8:9]
	s_mov_b32 s5, exec_lo
                                        ; implicit-def: $vgpr3
	s_wait_loadcnt_dscnt 0x0
	v_cvt_f32_i32_e32 v2, v2
	s_delay_alu instid0(VALU_DEP_1) | instskip(SKIP_1) | instid1(VALU_DEP_1)
	v_and_b32_e32 v4, 0x7fffffff, v2
	s_wait_xcnt 0x0
	v_cmpx_gt_u32_e32 0x43f00000, v4
	s_xor_b32 s5, exec_lo, s5
	s_cbranch_execz .LBB275_428
; %bb.423:
	s_mov_b32 s6, exec_lo
                                        ; implicit-def: $vgpr3
	v_cmpx_lt_u32_e32 0x3c7fffff, v4
	s_xor_b32 s6, exec_lo, s6
; %bb.424:
	v_bfe_u32 v3, v2, 20, 1
	s_delay_alu instid0(VALU_DEP_1) | instskip(NEXT) | instid1(VALU_DEP_1)
	v_add3_u32 v3, v2, v3, 0x407ffff
	v_and_b32_e32 v4, 0xff00000, v3
	v_lshrrev_b32_e32 v3, 20, v3
	s_delay_alu instid0(VALU_DEP_2) | instskip(NEXT) | instid1(VALU_DEP_2)
	v_cmp_ne_u32_e32 vcc_lo, 0x7f00000, v4
	v_cndmask_b32_e32 v3, 0x7e, v3, vcc_lo
; %bb.425:
	s_and_not1_saveexec_b32 s6, s6
; %bb.426:
	v_add_f32_e64 v3, 0x46800000, |v2|
; %bb.427:
	s_or_b32 exec_lo, exec_lo, s6
                                        ; implicit-def: $vgpr4
.LBB275_428:
	s_and_not1_saveexec_b32 s5, s5
; %bb.429:
	v_mov_b32_e32 v3, 0x7f
	v_cmp_lt_u32_e32 vcc_lo, 0x7f800000, v4
	s_delay_alu instid0(VALU_DEP_2)
	v_cndmask_b32_e32 v3, 0x7e, v3, vcc_lo
; %bb.430:
	s_or_b32 exec_lo, exec_lo, s5
	v_lshrrev_b32_e32 v2, 24, v2
	s_delay_alu instid0(VALU_DEP_1)
	v_and_or_b32 v11, 0x80, v2, v3
.LBB275_431:
	s_or_b32 exec_lo, exec_lo, s4
                                        ; implicit-def: $vgpr8_vgpr9
.LBB275_432:
	s_and_not1_saveexec_b32 s3, s3
	s_cbranch_execz .LBB275_454
; %bb.433:
	s_mov_b32 s4, exec_lo
                                        ; implicit-def: $vgpr11
	v_cmpx_lt_i16_e32 0, v10
	s_xor_b32 s4, exec_lo, s4
	s_cbranch_execz .LBB275_443
; %bb.434:
	flat_load_i8 v2, v[8:9]
	s_mov_b32 s5, exec_lo
                                        ; implicit-def: $vgpr3
	s_wait_loadcnt_dscnt 0x0
	v_cvt_f32_i32_e32 v2, v2
	s_delay_alu instid0(VALU_DEP_1) | instskip(SKIP_1) | instid1(VALU_DEP_1)
	v_and_b32_e32 v4, 0x7fffffff, v2
	s_wait_xcnt 0x0
	v_cmpx_gt_u32_e32 0x43f00000, v4
	s_xor_b32 s5, exec_lo, s5
	s_cbranch_execz .LBB275_440
; %bb.435:
	s_mov_b32 s6, exec_lo
                                        ; implicit-def: $vgpr3
	v_cmpx_lt_u32_e32 0x3c7fffff, v4
	s_xor_b32 s6, exec_lo, s6
; %bb.436:
	v_bfe_u32 v3, v2, 20, 1
	s_delay_alu instid0(VALU_DEP_1) | instskip(NEXT) | instid1(VALU_DEP_1)
	v_add3_u32 v3, v2, v3, 0x407ffff
	v_and_b32_e32 v4, 0xff00000, v3
	v_lshrrev_b32_e32 v3, 20, v3
	s_delay_alu instid0(VALU_DEP_2) | instskip(NEXT) | instid1(VALU_DEP_2)
	v_cmp_ne_u32_e32 vcc_lo, 0x7f00000, v4
	v_cndmask_b32_e32 v3, 0x7e, v3, vcc_lo
; %bb.437:
	s_and_not1_saveexec_b32 s6, s6
; %bb.438:
	v_add_f32_e64 v3, 0x46800000, |v2|
; %bb.439:
	s_or_b32 exec_lo, exec_lo, s6
                                        ; implicit-def: $vgpr4
.LBB275_440:
	s_and_not1_saveexec_b32 s5, s5
; %bb.441:
	v_mov_b32_e32 v3, 0x7f
	v_cmp_lt_u32_e32 vcc_lo, 0x7f800000, v4
	s_delay_alu instid0(VALU_DEP_2)
	v_cndmask_b32_e32 v3, 0x7e, v3, vcc_lo
; %bb.442:
	s_or_b32 exec_lo, exec_lo, s5
	v_lshrrev_b32_e32 v2, 24, v2
                                        ; implicit-def: $vgpr8_vgpr9
	s_delay_alu instid0(VALU_DEP_1)
	v_and_or_b32 v11, 0x80, v2, v3
.LBB275_443:
	s_and_not1_saveexec_b32 s4, s4
	s_cbranch_execz .LBB275_453
; %bb.444:
	flat_load_u8 v2, v[8:9]
	s_mov_b32 s5, exec_lo
                                        ; implicit-def: $vgpr11
	s_wait_loadcnt_dscnt 0x0
	v_cvt_f32_ubyte0_e32 v2, v2
	s_wait_xcnt 0x0
	s_delay_alu instid0(VALU_DEP_1)
	v_cmpx_gt_u32_e32 0x43f00000, v2
	s_xor_b32 s5, exec_lo, s5
	s_cbranch_execz .LBB275_450
; %bb.445:
	s_mov_b32 s6, exec_lo
                                        ; implicit-def: $vgpr11
	v_cmpx_lt_u32_e32 0x3c7fffff, v2
	s_xor_b32 s6, exec_lo, s6
; %bb.446:
	v_bfe_u32 v3, v2, 20, 1
	s_delay_alu instid0(VALU_DEP_1) | instskip(NEXT) | instid1(VALU_DEP_1)
	v_add3_u32 v2, v2, v3, 0x407ffff
	v_and_b32_e32 v3, 0xff00000, v2
	v_lshrrev_b32_e32 v2, 20, v2
	s_delay_alu instid0(VALU_DEP_2) | instskip(NEXT) | instid1(VALU_DEP_2)
	v_cmp_ne_u32_e32 vcc_lo, 0x7f00000, v3
	v_cndmask_b32_e32 v11, 0x7e, v2, vcc_lo
                                        ; implicit-def: $vgpr2
; %bb.447:
	s_and_not1_saveexec_b32 s6, s6
; %bb.448:
	v_add_f32_e32 v11, 0x46800000, v2
; %bb.449:
	s_or_b32 exec_lo, exec_lo, s6
                                        ; implicit-def: $vgpr2
.LBB275_450:
	s_and_not1_saveexec_b32 s5, s5
; %bb.451:
	v_mov_b32_e32 v3, 0x7f
	v_cmp_lt_u32_e32 vcc_lo, 0x7f800000, v2
	s_delay_alu instid0(VALU_DEP_2)
	v_cndmask_b32_e32 v11, 0x7e, v3, vcc_lo
; %bb.452:
	s_or_b32 exec_lo, exec_lo, s5
.LBB275_453:
	s_delay_alu instid0(SALU_CYCLE_1)
	s_or_b32 exec_lo, exec_lo, s4
.LBB275_454:
	s_delay_alu instid0(SALU_CYCLE_1)
	s_or_b32 exec_lo, exec_lo, s3
.LBB275_455:
	s_delay_alu instid0(SALU_CYCLE_1) | instskip(NEXT) | instid1(SALU_CYCLE_1)
	s_or_b32 exec_lo, exec_lo, s1
	s_or_b32 s2, s2, exec_lo
	s_or_b32 exec_lo, exec_lo, s0
                                        ; implicit-def: $sgpr1
	s_and_saveexec_b32 s0, s2
	s_cbranch_execnz .LBB275_323
.LBB275_456:
	s_or_b32 exec_lo, exec_lo, s0
	v_cndmask_b32_e64 v0, 0, 1, s1
	s_wait_loadcnt_dscnt 0x0
	s_set_pc_i64 s[30:31]
.LBB275_457:
	s_and_not1_saveexec_b32 s2, s2
	s_cbranch_execz .LBB275_83
.LBB275_458:
	s_mov_b32 s5, s3
	s_mov_b32 s0, exec_lo
                                        ; implicit-def: $vgpr1
	v_cmpx_lt_i16_e32 22, v10
	s_xor_b32 s0, exec_lo, s0
	s_cbranch_execz .LBB275_490
; %bb.459:
	s_mov_b32 s5, exec_lo
                                        ; implicit-def: $vgpr1
	v_cmpx_lt_i16_e32 23, v10
	s_xor_b32 s5, exec_lo, s5
	s_cbranch_execz .LBB275_479
; %bb.460:
	;; [unrolled: 6-line block ×3, first 2 shown]
	flat_load_u8 v10, v[8:9]
	s_mov_b32 s7, 0
	s_mov_b32 s8, exec_lo
	s_wait_loadcnt_dscnt 0x0
	v_cmpx_lt_i16_e32 0x7f, v10
	s_xor_b32 s8, exec_lo, s8
	s_cbranch_execz .LBB275_563
; %bb.462:
	s_mov_b32 s7, -1
	s_mov_b32 s9, exec_lo
	v_cmpx_eq_u16_e32 0x80, v10
; %bb.463:
	s_xor_b32 s7, exec_lo, -1
; %bb.464:
	s_or_b32 exec_lo, exec_lo, s9
	s_delay_alu instid0(SALU_CYCLE_1)
	s_and_b32 s7, s7, exec_lo
	s_or_saveexec_b32 s8, s8
	v_mov_b32_e32 v1, 0x7f800001
	s_xor_b32 exec_lo, exec_lo, s8
	s_cbranch_execnz .LBB275_564
.LBB275_465:
	s_or_b32 exec_lo, exec_lo, s8
	s_and_saveexec_b32 s8, s7
	s_cbranch_execz .LBB275_467
.LBB275_466:
	v_and_b32_e32 v1, 0xffff, v10
	s_delay_alu instid0(VALU_DEP_1) | instskip(SKIP_1) | instid1(VALU_DEP_2)
	v_and_b32_e32 v11, 3, v1
	v_bfe_u32 v14, v1, 2, 5
	v_clz_i32_u32_e32 v12, v11
	s_delay_alu instid0(VALU_DEP_2) | instskip(NEXT) | instid1(VALU_DEP_2)
	v_cmp_eq_u32_e32 vcc_lo, 0, v14
	v_min_u32_e32 v12, 32, v12
	s_delay_alu instid0(VALU_DEP_1) | instskip(NEXT) | instid1(VALU_DEP_1)
	v_subrev_nc_u32_e32 v13, 29, v12
	v_dual_lshlrev_b32 v1, v13, v1 :: v_dual_sub_nc_u32 v12, 30, v12
	s_delay_alu instid0(VALU_DEP_1) | instskip(NEXT) | instid1(VALU_DEP_1)
	v_dual_lshlrev_b32 v10, 24, v10 :: v_dual_bitop2_b32 v1, 3, v1 bitop3:0x40
	v_dual_cndmask_b32 v12, v14, v12 :: v_dual_cndmask_b32 v1, v11, v1
	s_delay_alu instid0(VALU_DEP_2) | instskip(NEXT) | instid1(VALU_DEP_2)
	v_and_b32_e32 v10, 0x80000000, v10
	v_lshl_add_u32 v11, v12, 23, 0x37800000
	s_delay_alu instid0(VALU_DEP_3) | instskip(NEXT) | instid1(VALU_DEP_1)
	v_lshlrev_b32_e32 v1, 21, v1
	v_or3_b32 v1, v10, v11, v1
.LBB275_467:
	s_or_b32 exec_lo, exec_lo, s8
	s_delay_alu instid0(VALU_DEP_1) | instskip(SKIP_1) | instid1(VALU_DEP_1)
	v_and_b32_e32 v11, 0x7fffffff, v1
	s_mov_b32 s7, exec_lo
                                        ; implicit-def: $vgpr10
	v_cmpx_gt_u32_e32 0x43f00000, v11
	s_xor_b32 s7, exec_lo, s7
	s_cbranch_execz .LBB275_473
; %bb.468:
	s_mov_b32 s8, exec_lo
                                        ; implicit-def: $vgpr10
	v_cmpx_lt_u32_e32 0x3c7fffff, v11
	s_xor_b32 s8, exec_lo, s8
; %bb.469:
	v_bfe_u32 v10, v1, 20, 1
	s_delay_alu instid0(VALU_DEP_1) | instskip(NEXT) | instid1(VALU_DEP_1)
	v_add3_u32 v10, v1, v10, 0x407ffff
	v_and_b32_e32 v11, 0xff00000, v10
	v_lshrrev_b32_e32 v10, 20, v10
	s_delay_alu instid0(VALU_DEP_2) | instskip(NEXT) | instid1(VALU_DEP_2)
	v_cmp_ne_u32_e32 vcc_lo, 0x7f00000, v11
	v_cndmask_b32_e32 v10, 0x7e, v10, vcc_lo
; %bb.470:
	s_and_not1_saveexec_b32 s8, s8
; %bb.471:
	v_add_f32_e64 v10, 0x46800000, |v1|
; %bb.472:
	s_or_b32 exec_lo, exec_lo, s8
                                        ; implicit-def: $vgpr11
.LBB275_473:
	s_and_not1_saveexec_b32 s7, s7
; %bb.474:
	v_mov_b32_e32 v10, 0x7f
	v_cmp_lt_u32_e32 vcc_lo, 0x7f800000, v11
	s_delay_alu instid0(VALU_DEP_2)
	v_cndmask_b32_e32 v10, 0x7e, v10, vcc_lo
; %bb.475:
	s_or_b32 exec_lo, exec_lo, s7
	v_lshrrev_b32_e32 v1, 24, v1
	s_delay_alu instid0(VALU_DEP_1)
	v_and_or_b32 v1, 0x80, v1, v10
.LBB275_476:
	s_and_not1_saveexec_b32 s6, s6
	s_cbranch_execz .LBB275_478
; %bb.477:
	flat_load_u8 v1, v[8:9]
.LBB275_478:
	s_wait_xcnt 0x0
	s_or_b32 exec_lo, exec_lo, s6
.LBB275_479:
	s_and_not1_saveexec_b32 s5, s5
	s_cbranch_execz .LBB275_489
; %bb.480:
	s_wait_loadcnt_dscnt 0x0
	flat_load_u8 v1, v[8:9]
	s_mov_b32 s6, exec_lo
	s_wait_loadcnt_dscnt 0x0
	v_lshlrev_b32_e32 v10, 25, v1
	v_lshlrev_b16 v1, 8, v1
	s_delay_alu instid0(VALU_DEP_1) | instskip(SKIP_1) | instid1(VALU_DEP_2)
	v_and_or_b32 v12, 0x7f00, v1, 0.5
	v_bfe_i32 v1, v1, 0, 16
	v_dual_add_f32 v12, -0.5, v12 :: v_dual_lshrrev_b32 v11, 4, v10
	v_cmp_gt_u32_e32 vcc_lo, 0x8000000, v10
                                        ; implicit-def: $vgpr10
	s_delay_alu instid0(VALU_DEP_2) | instskip(NEXT) | instid1(VALU_DEP_1)
	v_or_b32_e32 v11, 0x70000000, v11
	v_mul_f32_e32 v11, 0x7800000, v11
	s_delay_alu instid0(VALU_DEP_1) | instskip(NEXT) | instid1(VALU_DEP_1)
	v_cndmask_b32_e32 v12, v11, v12, vcc_lo
	v_and_or_b32 v1, 0x80000000, v1, v12
	s_delay_alu instid0(VALU_DEP_1) | instskip(SKIP_1) | instid1(VALU_DEP_1)
	v_and_b32_e32 v11, 0x7fffffff, v1
	s_wait_xcnt 0x0
	v_cmpx_gt_u32_e32 0x43f00000, v11
	s_xor_b32 s6, exec_lo, s6
	s_cbranch_execz .LBB275_486
; %bb.481:
	s_mov_b32 s7, exec_lo
                                        ; implicit-def: $vgpr10
	v_cmpx_lt_u32_e32 0x3c7fffff, v11
	s_xor_b32 s7, exec_lo, s7
; %bb.482:
	v_bfe_u32 v10, v12, 20, 1
	s_delay_alu instid0(VALU_DEP_1) | instskip(NEXT) | instid1(VALU_DEP_1)
	v_add3_u32 v10, v1, v10, 0x407ffff
	v_and_b32_e32 v11, 0xff00000, v10
	v_lshrrev_b32_e32 v10, 20, v10
	s_delay_alu instid0(VALU_DEP_2) | instskip(NEXT) | instid1(VALU_DEP_2)
	v_cmp_ne_u32_e32 vcc_lo, 0x7f00000, v11
	v_cndmask_b32_e32 v10, 0x7e, v10, vcc_lo
; %bb.483:
	s_and_not1_saveexec_b32 s7, s7
; %bb.484:
	v_add_f32_e64 v10, 0x46800000, |v1|
; %bb.485:
	s_or_b32 exec_lo, exec_lo, s7
                                        ; implicit-def: $vgpr11
.LBB275_486:
	s_and_not1_saveexec_b32 s6, s6
; %bb.487:
	v_mov_b32_e32 v10, 0x7f
	v_cmp_lt_u32_e32 vcc_lo, 0x7f800000, v11
	s_delay_alu instid0(VALU_DEP_2)
	v_cndmask_b32_e32 v10, 0x7e, v10, vcc_lo
; %bb.488:
	s_or_b32 exec_lo, exec_lo, s6
	v_lshrrev_b32_e32 v1, 24, v1
	s_delay_alu instid0(VALU_DEP_1)
	v_and_or_b32 v1, 0x80, v1, v10
.LBB275_489:
	s_or_b32 exec_lo, exec_lo, s5
	s_delay_alu instid0(SALU_CYCLE_1)
	s_or_b32 s5, s3, exec_lo
                                        ; implicit-def: $vgpr10
.LBB275_490:
	s_or_saveexec_b32 s0, s0
	s_mov_b32 s6, 0
	s_mov_b32 s7, s4
	s_xor_b32 exec_lo, exec_lo, s0
	s_cbranch_execz .LBB275_506
; %bb.491:
	s_mov_b32 s7, s4
	s_mov_b32 s8, s5
	s_mov_b32 s6, exec_lo
                                        ; implicit-def: $vgpr1
	v_cmpx_lt_i16_e32 14, v10
	s_xor_b32 s6, exec_lo, s6
	s_cbranch_execz .LBB275_503
; %bb.492:
	s_mov_b32 s8, -1
	s_mov_b32 s9, s5
	s_mov_b32 s7, exec_lo
                                        ; implicit-def: $vgpr1
	v_cmpx_eq_u16_e32 15, v10
	s_cbranch_execz .LBB275_502
; %bb.493:
	s_wait_loadcnt_dscnt 0x0
	flat_load_u16 v1, v[8:9]
	s_mov_b32 s8, exec_lo
                                        ; implicit-def: $vgpr10
	s_wait_loadcnt_dscnt 0x0
	v_lshlrev_b32_e32 v11, 16, v1
	s_delay_alu instid0(VALU_DEP_1) | instskip(SKIP_1) | instid1(VALU_DEP_1)
	v_and_b32_e32 v12, 0x7fffffff, v11
	s_wait_xcnt 0x0
	v_cmpx_gt_u32_e32 0x43f00000, v12
	s_xor_b32 s8, exec_lo, s8
	s_cbranch_execz .LBB275_499
; %bb.494:
	s_mov_b32 s9, exec_lo
                                        ; implicit-def: $vgpr10
	v_cmpx_lt_u32_e32 0x3c7fffff, v12
	s_xor_b32 s9, exec_lo, s9
; %bb.495:
	v_bfe_u32 v10, v1, 4, 1
	s_delay_alu instid0(VALU_DEP_1) | instskip(NEXT) | instid1(VALU_DEP_1)
	v_add3_u32 v10, v11, v10, 0x407ffff
	v_and_b32_e32 v11, 0xff00000, v10
	v_lshrrev_b32_e32 v10, 20, v10
	s_delay_alu instid0(VALU_DEP_2) | instskip(NEXT) | instid1(VALU_DEP_2)
	v_cmp_ne_u32_e32 vcc_lo, 0x7f00000, v11
                                        ; implicit-def: $vgpr11
	v_cndmask_b32_e32 v10, 0x7e, v10, vcc_lo
; %bb.496:
	s_and_not1_saveexec_b32 s9, s9
; %bb.497:
	v_add_f32_e64 v10, 0x46800000, |v11|
; %bb.498:
	s_or_b32 exec_lo, exec_lo, s9
                                        ; implicit-def: $vgpr12
.LBB275_499:
	s_and_not1_saveexec_b32 s8, s8
; %bb.500:
	v_mov_b32_e32 v10, 0x7f
	v_cmp_lt_u32_e32 vcc_lo, 0x7f800000, v12
	s_delay_alu instid0(VALU_DEP_2)
	v_cndmask_b32_e32 v10, 0x7e, v10, vcc_lo
; %bb.501:
	s_or_b32 exec_lo, exec_lo, s8
	v_lshrrev_b32_e32 v1, 8, v1
	s_or_b32 s9, s5, exec_lo
	s_xor_b32 s8, exec_lo, -1
	s_delay_alu instid0(VALU_DEP_1)
	v_and_or_b32 v1, 0x80, v1, v10
.LBB275_502:
	s_or_b32 exec_lo, exec_lo, s7
	s_delay_alu instid0(SALU_CYCLE_1)
	s_and_not1_b32 s7, s5, exec_lo
	s_and_b32 s9, s9, exec_lo
	s_and_not1_b32 s10, s4, exec_lo
	s_and_b32 s11, s8, exec_lo
	s_or_b32 s8, s7, s9
	s_or_b32 s7, s10, s11
                                        ; implicit-def: $vgpr10
.LBB275_503:
	s_or_saveexec_b32 s6, s6
	s_mov_b32 s9, 0
	s_xor_b32 exec_lo, exec_lo, s6
; %bb.504:
	v_cmp_ne_u16_e32 vcc_lo, 11, v10
	s_and_not1_b32 s7, s7, exec_lo
	s_mov_b32 s9, exec_lo
	s_and_b32 s10, vcc_lo, exec_lo
	s_delay_alu instid0(SALU_CYCLE_1)
	s_or_b32 s7, s7, s10
; %bb.505:
	s_or_b32 exec_lo, exec_lo, s6
	s_delay_alu instid0(SALU_CYCLE_1)
	s_and_not1_b32 s5, s5, exec_lo
	s_and_b32 s6, s8, exec_lo
	s_and_not1_b32 s8, s4, exec_lo
	s_and_b32 s7, s7, exec_lo
	s_or_b32 s5, s5, s6
	s_and_b32 s6, s9, exec_lo
	s_or_b32 s7, s8, s7
.LBB275_506:
	s_or_b32 exec_lo, exec_lo, s0
	s_delay_alu instid0(SALU_CYCLE_1)
	s_and_not1_b32 s0, s3, exec_lo
	s_and_b32 s3, s5, exec_lo
	s_and_not1_b32 s4, s4, exec_lo
	s_and_b32 s5, s7, exec_lo
	s_or_b32 s3, s0, s3
	s_and_b32 s0, s6, exec_lo
	s_or_b32 s4, s4, s5
	s_or_b32 exec_lo, exec_lo, s2
	s_mov_b32 s2, 0
	s_and_saveexec_b32 s5, s4
	s_cbranch_execz .LBB275_84
.LBB275_507:
	s_mov_b32 s2, exec_lo
	s_and_not1_b32 s0, s0, exec_lo
	s_trap 2
	s_or_b32 exec_lo, exec_lo, s5
	s_and_saveexec_b32 s4, s0
	s_cbranch_execnz .LBB275_85
	s_branch .LBB275_94
.LBB275_508:
	s_and_not1_saveexec_b32 s4, s4
	s_cbranch_execz .LBB275_309
.LBB275_509:
	s_mov_b32 s7, s5
	s_mov_b32 s3, exec_lo
                                        ; implicit-def: $vgpr11
	v_cmpx_lt_i16_e32 22, v10
	s_xor_b32 s3, exec_lo, s3
	s_cbranch_execz .LBB275_541
; %bb.510:
	s_mov_b32 s7, exec_lo
                                        ; implicit-def: $vgpr11
	v_cmpx_lt_i16_e32 23, v10
	s_xor_b32 s7, exec_lo, s7
	s_cbranch_execz .LBB275_530
; %bb.511:
	;; [unrolled: 6-line block ×3, first 2 shown]
	flat_load_u8 v3, v[8:9]
	s_mov_b32 s9, 0
	s_mov_b32 s10, exec_lo
	s_wait_loadcnt_dscnt 0x0
	v_cmpx_lt_i16_e32 0x7f, v3
	s_xor_b32 s10, exec_lo, s10
	s_cbranch_execz .LBB275_565
; %bb.513:
	s_mov_b32 s9, -1
	s_mov_b32 s11, exec_lo
	v_cmpx_eq_u16_e32 0x80, v3
; %bb.514:
	s_xor_b32 s9, exec_lo, -1
; %bb.515:
	s_or_b32 exec_lo, exec_lo, s11
	s_delay_alu instid0(SALU_CYCLE_1)
	s_and_b32 s9, s9, exec_lo
	s_or_saveexec_b32 s10, s10
	v_mov_b32_e32 v2, 0x7f800001
	s_xor_b32 exec_lo, exec_lo, s10
	s_cbranch_execnz .LBB275_566
.LBB275_516:
	s_or_b32 exec_lo, exec_lo, s10
	s_and_saveexec_b32 s10, s9
	s_cbranch_execz .LBB275_518
.LBB275_517:
	v_and_b32_e32 v2, 0xffff, v3
	s_delay_alu instid0(VALU_DEP_1) | instskip(SKIP_1) | instid1(VALU_DEP_2)
	v_and_b32_e32 v4, 3, v2
	v_bfe_u32 v7, v2, 2, 5
	v_clz_i32_u32_e32 v5, v4
	s_delay_alu instid0(VALU_DEP_2) | instskip(NEXT) | instid1(VALU_DEP_2)
	v_cmp_eq_u32_e32 vcc_lo, 0, v7
	v_min_u32_e32 v5, 32, v5
	s_delay_alu instid0(VALU_DEP_1) | instskip(NEXT) | instid1(VALU_DEP_1)
	v_subrev_nc_u32_e32 v6, 29, v5
	v_dual_lshlrev_b32 v2, v6, v2 :: v_dual_sub_nc_u32 v5, 30, v5
	s_delay_alu instid0(VALU_DEP_1) | instskip(NEXT) | instid1(VALU_DEP_1)
	v_dual_lshlrev_b32 v3, 24, v3 :: v_dual_bitop2_b32 v2, 3, v2 bitop3:0x40
	v_dual_cndmask_b32 v5, v7, v5 :: v_dual_cndmask_b32 v2, v4, v2
	s_delay_alu instid0(VALU_DEP_2) | instskip(NEXT) | instid1(VALU_DEP_2)
	v_and_b32_e32 v3, 0x80000000, v3
	v_lshl_add_u32 v4, v5, 23, 0x37800000
	s_delay_alu instid0(VALU_DEP_3) | instskip(NEXT) | instid1(VALU_DEP_1)
	v_lshlrev_b32_e32 v2, 21, v2
	v_or3_b32 v2, v3, v4, v2
.LBB275_518:
	s_or_b32 exec_lo, exec_lo, s10
	s_delay_alu instid0(VALU_DEP_1) | instskip(SKIP_1) | instid1(VALU_DEP_1)
	v_and_b32_e32 v4, 0x7fffffff, v2
	s_mov_b32 s9, exec_lo
                                        ; implicit-def: $vgpr3
	v_cmpx_gt_u32_e32 0x43f00000, v4
	s_xor_b32 s9, exec_lo, s9
	s_cbranch_execz .LBB275_524
; %bb.519:
	s_mov_b32 s10, exec_lo
                                        ; implicit-def: $vgpr3
	v_cmpx_lt_u32_e32 0x3c7fffff, v4
	s_xor_b32 s10, exec_lo, s10
; %bb.520:
	v_bfe_u32 v3, v2, 20, 1
	s_delay_alu instid0(VALU_DEP_1) | instskip(NEXT) | instid1(VALU_DEP_1)
	v_add3_u32 v3, v2, v3, 0x407ffff
	v_and_b32_e32 v4, 0xff00000, v3
	v_lshrrev_b32_e32 v3, 20, v3
	s_delay_alu instid0(VALU_DEP_2) | instskip(NEXT) | instid1(VALU_DEP_2)
	v_cmp_ne_u32_e32 vcc_lo, 0x7f00000, v4
	v_cndmask_b32_e32 v3, 0x7e, v3, vcc_lo
; %bb.521:
	s_and_not1_saveexec_b32 s10, s10
; %bb.522:
	v_add_f32_e64 v3, 0x46800000, |v2|
; %bb.523:
	s_or_b32 exec_lo, exec_lo, s10
                                        ; implicit-def: $vgpr4
.LBB275_524:
	s_and_not1_saveexec_b32 s9, s9
; %bb.525:
	v_mov_b32_e32 v3, 0x7f
	v_cmp_lt_u32_e32 vcc_lo, 0x7f800000, v4
	s_delay_alu instid0(VALU_DEP_2)
	v_cndmask_b32_e32 v3, 0x7e, v3, vcc_lo
; %bb.526:
	s_or_b32 exec_lo, exec_lo, s9
	v_lshrrev_b32_e32 v2, 24, v2
	s_delay_alu instid0(VALU_DEP_1)
	v_and_or_b32 v11, 0x80, v2, v3
.LBB275_527:
	s_and_not1_saveexec_b32 s8, s8
	s_cbranch_execz .LBB275_529
; %bb.528:
	flat_load_u8 v11, v[8:9]
.LBB275_529:
	s_wait_xcnt 0x0
	s_or_b32 exec_lo, exec_lo, s8
.LBB275_530:
	s_and_not1_saveexec_b32 s7, s7
	s_cbranch_execz .LBB275_540
; %bb.531:
	flat_load_u8 v2, v[8:9]
	s_mov_b32 s8, exec_lo
	s_wait_loadcnt_dscnt 0x0
	v_lshlrev_b32_e32 v3, 25, v2
	v_lshlrev_b16 v2, 8, v2
	s_delay_alu instid0(VALU_DEP_1) | instskip(SKIP_1) | instid1(VALU_DEP_2)
	v_and_or_b32 v5, 0x7f00, v2, 0.5
	v_bfe_i32 v2, v2, 0, 16
	v_dual_add_f32 v5, -0.5, v5 :: v_dual_lshrrev_b32 v4, 4, v3
	v_cmp_gt_u32_e32 vcc_lo, 0x8000000, v3
                                        ; implicit-def: $vgpr3
	s_delay_alu instid0(VALU_DEP_2) | instskip(NEXT) | instid1(VALU_DEP_1)
	v_or_b32_e32 v4, 0x70000000, v4
	v_mul_f32_e32 v4, 0x7800000, v4
	s_delay_alu instid0(VALU_DEP_1) | instskip(NEXT) | instid1(VALU_DEP_1)
	v_cndmask_b32_e32 v5, v4, v5, vcc_lo
	v_and_or_b32 v2, 0x80000000, v2, v5
	s_delay_alu instid0(VALU_DEP_1) | instskip(SKIP_1) | instid1(VALU_DEP_1)
	v_and_b32_e32 v4, 0x7fffffff, v2
	s_wait_xcnt 0x0
	v_cmpx_gt_u32_e32 0x43f00000, v4
	s_xor_b32 s8, exec_lo, s8
	s_cbranch_execz .LBB275_537
; %bb.532:
	s_mov_b32 s9, exec_lo
                                        ; implicit-def: $vgpr3
	v_cmpx_lt_u32_e32 0x3c7fffff, v4
	s_xor_b32 s9, exec_lo, s9
; %bb.533:
	v_bfe_u32 v3, v5, 20, 1
	s_delay_alu instid0(VALU_DEP_1) | instskip(NEXT) | instid1(VALU_DEP_1)
	v_add3_u32 v3, v2, v3, 0x407ffff
	v_and_b32_e32 v4, 0xff00000, v3
	v_lshrrev_b32_e32 v3, 20, v3
	s_delay_alu instid0(VALU_DEP_2) | instskip(NEXT) | instid1(VALU_DEP_2)
	v_cmp_ne_u32_e32 vcc_lo, 0x7f00000, v4
	v_cndmask_b32_e32 v3, 0x7e, v3, vcc_lo
; %bb.534:
	s_and_not1_saveexec_b32 s9, s9
; %bb.535:
	v_add_f32_e64 v3, 0x46800000, |v2|
; %bb.536:
	s_or_b32 exec_lo, exec_lo, s9
                                        ; implicit-def: $vgpr4
.LBB275_537:
	s_and_not1_saveexec_b32 s8, s8
; %bb.538:
	v_mov_b32_e32 v3, 0x7f
	v_cmp_lt_u32_e32 vcc_lo, 0x7f800000, v4
	s_delay_alu instid0(VALU_DEP_2)
	v_cndmask_b32_e32 v3, 0x7e, v3, vcc_lo
; %bb.539:
	s_or_b32 exec_lo, exec_lo, s8
	v_lshrrev_b32_e32 v2, 24, v2
	s_delay_alu instid0(VALU_DEP_1)
	v_and_or_b32 v11, 0x80, v2, v3
.LBB275_540:
	s_or_b32 exec_lo, exec_lo, s7
	s_delay_alu instid0(SALU_CYCLE_1)
	s_or_b32 s7, s5, exec_lo
.LBB275_541:
	s_or_saveexec_b32 s3, s3
	s_mov_b32 s8, 0
	s_mov_b32 s9, s6
	s_xor_b32 exec_lo, exec_lo, s3
	s_cbranch_execz .LBB275_557
; %bb.542:
	s_mov_b32 s9, s6
	s_mov_b32 s10, s7
	s_mov_b32 s8, exec_lo
                                        ; implicit-def: $vgpr11
	v_cmpx_lt_i16_e32 14, v10
	s_xor_b32 s8, exec_lo, s8
	s_cbranch_execz .LBB275_554
; %bb.543:
	s_mov_b32 s10, -1
	s_mov_b32 s11, s7
	s_mov_b32 s9, exec_lo
                                        ; implicit-def: $vgpr11
	v_cmpx_eq_u16_e32 15, v10
	s_cbranch_execz .LBB275_553
; %bb.544:
	flat_load_u16 v2, v[8:9]
	s_mov_b32 s10, exec_lo
                                        ; implicit-def: $vgpr3
	s_wait_loadcnt_dscnt 0x0
	v_lshlrev_b32_e32 v4, 16, v2
	s_delay_alu instid0(VALU_DEP_1) | instskip(SKIP_1) | instid1(VALU_DEP_1)
	v_and_b32_e32 v5, 0x7fffffff, v4
	s_wait_xcnt 0x0
	v_cmpx_gt_u32_e32 0x43f00000, v5
	s_xor_b32 s10, exec_lo, s10
	s_cbranch_execz .LBB275_550
; %bb.545:
	s_mov_b32 s11, exec_lo
                                        ; implicit-def: $vgpr3
	v_cmpx_lt_u32_e32 0x3c7fffff, v5
	s_xor_b32 s11, exec_lo, s11
; %bb.546:
	v_bfe_u32 v3, v2, 4, 1
	s_delay_alu instid0(VALU_DEP_1) | instskip(NEXT) | instid1(VALU_DEP_1)
	v_add3_u32 v3, v4, v3, 0x407ffff
	v_and_b32_e32 v4, 0xff00000, v3
	v_lshrrev_b32_e32 v3, 20, v3
	s_delay_alu instid0(VALU_DEP_2) | instskip(NEXT) | instid1(VALU_DEP_2)
	v_cmp_ne_u32_e32 vcc_lo, 0x7f00000, v4
                                        ; implicit-def: $vgpr4
	v_cndmask_b32_e32 v3, 0x7e, v3, vcc_lo
; %bb.547:
	s_and_not1_saveexec_b32 s11, s11
; %bb.548:
	v_add_f32_e64 v3, 0x46800000, |v4|
; %bb.549:
	s_or_b32 exec_lo, exec_lo, s11
                                        ; implicit-def: $vgpr5
.LBB275_550:
	s_and_not1_saveexec_b32 s10, s10
; %bb.551:
	v_mov_b32_e32 v3, 0x7f
	v_cmp_lt_u32_e32 vcc_lo, 0x7f800000, v5
	s_delay_alu instid0(VALU_DEP_2)
	v_cndmask_b32_e32 v3, 0x7e, v3, vcc_lo
; %bb.552:
	s_or_b32 exec_lo, exec_lo, s10
	v_lshrrev_b32_e32 v2, 8, v2
	s_or_b32 s11, s7, exec_lo
	s_xor_b32 s10, exec_lo, -1
	s_delay_alu instid0(VALU_DEP_1)
	v_and_or_b32 v11, 0x80, v2, v3
.LBB275_553:
	s_or_b32 exec_lo, exec_lo, s9
	s_delay_alu instid0(SALU_CYCLE_1)
	s_and_not1_b32 s9, s7, exec_lo
	s_and_b32 s11, s11, exec_lo
	s_and_not1_b32 s12, s6, exec_lo
	s_and_b32 s13, s10, exec_lo
	s_or_b32 s10, s9, s11
	s_or_b32 s9, s12, s13
.LBB275_554:
	s_or_saveexec_b32 s11, s8
	s_mov_b32 s8, 0
	s_xor_b32 exec_lo, exec_lo, s11
; %bb.555:
	v_cmp_ne_u16_e32 vcc_lo, 11, v10
	s_and_not1_b32 s9, s9, exec_lo
	s_mov_b32 s8, exec_lo
	s_and_b32 s12, vcc_lo, exec_lo
	s_delay_alu instid0(SALU_CYCLE_1)
	s_or_b32 s9, s9, s12
; %bb.556:
	s_or_b32 exec_lo, exec_lo, s11
	s_delay_alu instid0(SALU_CYCLE_1)
	s_and_not1_b32 s7, s7, exec_lo
	s_and_b32 s10, s10, exec_lo
	s_and_b32 s9, s9, exec_lo
	s_or_b32 s7, s7, s10
	s_and_not1_b32 s10, s6, exec_lo
	s_and_b32 s8, s8, exec_lo
	s_or_b32 s9, s10, s9
.LBB275_557:
	s_or_b32 exec_lo, exec_lo, s3
	s_delay_alu instid0(SALU_CYCLE_1)
	s_and_not1_b32 s3, s5, exec_lo
	s_and_b32 s5, s7, exec_lo
	s_and_not1_b32 s6, s6, exec_lo
	s_and_b32 s7, s9, exec_lo
	s_or_b32 s5, s3, s5
	s_and_b32 s3, s8, exec_lo
	s_or_b32 s6, s6, s7
	s_or_b32 exec_lo, exec_lo, s4
	s_mov_b32 s7, s0
	s_and_saveexec_b32 s4, s6
	s_cbranch_execz .LBB275_310
.LBB275_558:
	s_and_not1_b32 s3, s3, exec_lo
	s_or_b32 s7, s0, exec_lo
	s_trap 2
	s_branch .LBB275_310
.LBB275_559:
	s_or_saveexec_b32 s8, s8
	v_mov_b32_e32 v1, 0x7f800001
	s_xor_b32 exec_lo, exec_lo, s8
	s_cbranch_execz .LBB275_70
.LBB275_560:
	v_cmp_ne_u16_e32 vcc_lo, 0, v10
	v_mov_b32_e32 v1, 0
	s_and_not1_b32 s7, s7, exec_lo
	s_and_b32 s9, vcc_lo, exec_lo
	s_delay_alu instid0(SALU_CYCLE_1)
	s_or_b32 s7, s7, s9
	s_or_b32 exec_lo, exec_lo, s8
	s_and_saveexec_b32 s8, s7
	s_cbranch_execnz .LBB275_71
	s_branch .LBB275_72
.LBB275_561:
	s_or_saveexec_b32 s10, s10
	v_mov_b32_e32 v2, 0x7f800001
	s_xor_b32 exec_lo, exec_lo, s10
	s_cbranch_execz .LBB275_296
.LBB275_562:
	v_cmp_ne_u16_e32 vcc_lo, 0, v3
	v_mov_b32_e32 v2, 0
	s_and_not1_b32 s9, s9, exec_lo
	s_and_b32 s11, vcc_lo, exec_lo
	s_delay_alu instid0(SALU_CYCLE_1)
	s_or_b32 s9, s9, s11
	s_or_b32 exec_lo, exec_lo, s10
	s_and_saveexec_b32 s10, s9
	s_cbranch_execnz .LBB275_297
	s_branch .LBB275_298
.LBB275_563:
	s_or_saveexec_b32 s8, s8
	v_mov_b32_e32 v1, 0x7f800001
	s_xor_b32 exec_lo, exec_lo, s8
	s_cbranch_execz .LBB275_465
.LBB275_564:
	v_cmp_ne_u16_e32 vcc_lo, 0, v10
	v_mov_b32_e32 v1, 0
	s_and_not1_b32 s7, s7, exec_lo
	s_and_b32 s9, vcc_lo, exec_lo
	s_delay_alu instid0(SALU_CYCLE_1)
	s_or_b32 s7, s7, s9
	s_or_b32 exec_lo, exec_lo, s8
	s_and_saveexec_b32 s8, s7
	s_cbranch_execnz .LBB275_466
	s_branch .LBB275_467
.LBB275_565:
	s_or_saveexec_b32 s10, s10
	v_mov_b32_e32 v2, 0x7f800001
	s_xor_b32 exec_lo, exec_lo, s10
	s_cbranch_execz .LBB275_516
.LBB275_566:
	v_cmp_ne_u16_e32 vcc_lo, 0, v3
	v_mov_b32_e32 v2, 0
	s_and_not1_b32 s9, s9, exec_lo
	s_and_b32 s11, vcc_lo, exec_lo
	s_delay_alu instid0(SALU_CYCLE_1)
	s_or_b32 s9, s9, s11
	s_or_b32 exec_lo, exec_lo, s10
	s_and_saveexec_b32 s10, s9
	s_cbranch_execnz .LBB275_517
	s_branch .LBB275_518
.Lfunc_end275:
	.size	_ZN2at6native6invokeINS0_13BinaryFunctorIN3c1013Float8_e4m3fnES4_bNS0_12_GLOBAL__N_116CompareEqFunctorIS4_EEEEj15function_traitsIS8_EEENT1_11result_typeERKT_PrKPcPKT0_PKNS3_10ScalarTypeEi, .Lfunc_end275-_ZN2at6native6invokeINS0_13BinaryFunctorIN3c1013Float8_e4m3fnES4_bNS0_12_GLOBAL__N_116CompareEqFunctorIS4_EEEEj15function_traitsIS8_EEENT1_11result_typeERKT_PrKPcPKT0_PKNS3_10ScalarTypeEi
                                        ; -- End function
	.set .L_ZN2at6native6invokeINS0_13BinaryFunctorIN3c1013Float8_e4m3fnES4_bNS0_12_GLOBAL__N_116CompareEqFunctorIS4_EEEEj15function_traitsIS8_EEENT1_11result_typeERKT_PrKPcPKT0_PKNS3_10ScalarTypeEi.num_vgpr, 15
	.set .L_ZN2at6native6invokeINS0_13BinaryFunctorIN3c1013Float8_e4m3fnES4_bNS0_12_GLOBAL__N_116CompareEqFunctorIS4_EEEEj15function_traitsIS8_EEENT1_11result_typeERKT_PrKPcPKT0_PKNS3_10ScalarTypeEi.num_agpr, 0
	.set .L_ZN2at6native6invokeINS0_13BinaryFunctorIN3c1013Float8_e4m3fnES4_bNS0_12_GLOBAL__N_116CompareEqFunctorIS4_EEEEj15function_traitsIS8_EEENT1_11result_typeERKT_PrKPcPKT0_PKNS3_10ScalarTypeEi.numbered_sgpr, 32
	.set .L_ZN2at6native6invokeINS0_13BinaryFunctorIN3c1013Float8_e4m3fnES4_bNS0_12_GLOBAL__N_116CompareEqFunctorIS4_EEEEj15function_traitsIS8_EEENT1_11result_typeERKT_PrKPcPKT0_PKNS3_10ScalarTypeEi.num_named_barrier, 0
	.set .L_ZN2at6native6invokeINS0_13BinaryFunctorIN3c1013Float8_e4m3fnES4_bNS0_12_GLOBAL__N_116CompareEqFunctorIS4_EEEEj15function_traitsIS8_EEENT1_11result_typeERKT_PrKPcPKT0_PKNS3_10ScalarTypeEi.private_seg_size, 0
	.set .L_ZN2at6native6invokeINS0_13BinaryFunctorIN3c1013Float8_e4m3fnES4_bNS0_12_GLOBAL__N_116CompareEqFunctorIS4_EEEEj15function_traitsIS8_EEENT1_11result_typeERKT_PrKPcPKT0_PKNS3_10ScalarTypeEi.uses_vcc, 1
	.set .L_ZN2at6native6invokeINS0_13BinaryFunctorIN3c1013Float8_e4m3fnES4_bNS0_12_GLOBAL__N_116CompareEqFunctorIS4_EEEEj15function_traitsIS8_EEENT1_11result_typeERKT_PrKPcPKT0_PKNS3_10ScalarTypeEi.uses_flat_scratch, 0
	.set .L_ZN2at6native6invokeINS0_13BinaryFunctorIN3c1013Float8_e4m3fnES4_bNS0_12_GLOBAL__N_116CompareEqFunctorIS4_EEEEj15function_traitsIS8_EEENT1_11result_typeERKT_PrKPcPKT0_PKNS3_10ScalarTypeEi.has_dyn_sized_stack, 0
	.set .L_ZN2at6native6invokeINS0_13BinaryFunctorIN3c1013Float8_e4m3fnES4_bNS0_12_GLOBAL__N_116CompareEqFunctorIS4_EEEEj15function_traitsIS8_EEENT1_11result_typeERKT_PrKPcPKT0_PKNS3_10ScalarTypeEi.has_recursion, 0
	.set .L_ZN2at6native6invokeINS0_13BinaryFunctorIN3c1013Float8_e4m3fnES4_bNS0_12_GLOBAL__N_116CompareEqFunctorIS4_EEEEj15function_traitsIS8_EEENT1_11result_typeERKT_PrKPcPKT0_PKNS3_10ScalarTypeEi.has_indirect_call, 0
	.section	.AMDGPU.csdata,"",@progbits
; Function info:
; codeLenInByte = 12660
; TotalNumSgprs: 34
; NumVgprs: 15
; ScratchSize: 0
; MemoryBound: 0
	.section	.text._ZN2at6native32elementwise_kernel_manual_unrollILi128ELi4EZNS0_15gpu_kernel_implINS0_13BinaryFunctorIN3c1013Float8_e4m3fnES5_bNS0_12_GLOBAL__N_116CompareEqFunctorIS5_EEEEEEvRNS_18TensorIteratorBaseERKT_EUlibE0_EEviT1_,"axG",@progbits,_ZN2at6native32elementwise_kernel_manual_unrollILi128ELi4EZNS0_15gpu_kernel_implINS0_13BinaryFunctorIN3c1013Float8_e4m3fnES5_bNS0_12_GLOBAL__N_116CompareEqFunctorIS5_EEEEEEvRNS_18TensorIteratorBaseERKT_EUlibE0_EEviT1_,comdat
	.globl	_ZN2at6native32elementwise_kernel_manual_unrollILi128ELi4EZNS0_15gpu_kernel_implINS0_13BinaryFunctorIN3c1013Float8_e4m3fnES5_bNS0_12_GLOBAL__N_116CompareEqFunctorIS5_EEEEEEvRNS_18TensorIteratorBaseERKT_EUlibE0_EEviT1_ ; -- Begin function _ZN2at6native32elementwise_kernel_manual_unrollILi128ELi4EZNS0_15gpu_kernel_implINS0_13BinaryFunctorIN3c1013Float8_e4m3fnES5_bNS0_12_GLOBAL__N_116CompareEqFunctorIS5_EEEEEEvRNS_18TensorIteratorBaseERKT_EUlibE0_EEviT1_
	.p2align	8
	.type	_ZN2at6native32elementwise_kernel_manual_unrollILi128ELi4EZNS0_15gpu_kernel_implINS0_13BinaryFunctorIN3c1013Float8_e4m3fnES5_bNS0_12_GLOBAL__N_116CompareEqFunctorIS5_EEEEEEvRNS_18TensorIteratorBaseERKT_EUlibE0_EEviT1_,@function
_ZN2at6native32elementwise_kernel_manual_unrollILi128ELi4EZNS0_15gpu_kernel_implINS0_13BinaryFunctorIN3c1013Float8_e4m3fnES5_bNS0_12_GLOBAL__N_116CompareEqFunctorIS5_EEEEEEvRNS_18TensorIteratorBaseERKT_EUlibE0_EEviT1_: ; @_ZN2at6native32elementwise_kernel_manual_unrollILi128ELi4EZNS0_15gpu_kernel_implINS0_13BinaryFunctorIN3c1013Float8_e4m3fnES5_bNS0_12_GLOBAL__N_116CompareEqFunctorIS5_EEEEEEvRNS_18TensorIteratorBaseERKT_EUlibE0_EEviT1_
; %bb.0:
	s_clause 0xb
	s_load_b256 s[4:11], s[0:1], 0xa8
	s_load_b256 s[36:43], s[0:1], 0xc8
	s_load_b256 s[44:51], s[0:1], 0xe8
	s_load_b256 s[52:59], s[0:1], 0x108
	s_load_b256 s[60:67], s[0:1], 0x128
	s_load_b32 s28, s[0:1], 0x0
	s_load_b256 s[20:27], s[0:1], 0x8
	s_load_b256 s[68:75], s[0:1], 0x148
	;; [unrolled: 1-line block ×5, first 2 shown]
	s_load_b128 s[92:95], s[0:1], 0x1a0
	s_getreg_b32 s2, hwreg(HW_REG_IB_STS2, 6, 4)
	s_movk_i32 s32, 0x1d0
	s_wait_kmcnt 0x0
	v_mov_b64_e32 v[2:3], s[8:9]
	v_mov_b64_e32 v[6:7], s[36:37]
	;; [unrolled: 1-line block ×15, first 2 shown]
	s_clause 0x5
	scratch_store_b128 off, v[6:9], off offset:216
	scratch_store_b128 off, v[10:13], off offset:232
	;; [unrolled: 1-line block ×6, first 2 shown]
	s_wait_xcnt 0x5
	v_mov_b64_e32 v[6:7], s[64:65]
	v_mov_b64_e32 v[8:9], s[66:67]
	s_wait_xcnt 0x4
	v_mov_b64_e32 v[10:11], s[68:69]
	v_mov_b64_e32 v[12:13], s[70:71]
	s_wait_xcnt 0x3
	v_mov_b64_e32 v[14:15], s[72:73]
	s_load_b256 s[36:43], s[0:1], 0x48
	v_mov_b64_e32 v[16:17], s[74:75]
	v_mov_b64_e32 v[18:19], s[76:77]
	;; [unrolled: 1-line block ×5, first 2 shown]
	s_clause 0x5
	scratch_store_b128 off, v[30:33], off offset:312
	scratch_store_b128 off, v[6:9], off offset:328
	;; [unrolled: 1-line block ×6, first 2 shown]
	s_wait_xcnt 0x1
	v_mov_b64_e32 v[18:19], s[20:21]
	s_wait_xcnt 0x0
	v_mov_b64_e32 v[22:23], s[24:25]
	v_mov_b64_e32 v[20:21], s[22:23]
	;; [unrolled: 1-line block ×3, first 2 shown]
	s_clause 0x1
	s_load_b256 s[20:27], s[0:1], 0x68
	s_load_b256 s[44:51], s[0:1], 0x88
	v_mov_b64_e32 v[6:7], s[84:85]
	v_mov_b64_e32 v[8:9], s[86:87]
	;; [unrolled: 1-line block ×6, first 2 shown]
	s_clause 0x2
	scratch_store_b128 off, v[6:9], off offset:408
	scratch_store_b128 off, v[10:13], off offset:424
	;; [unrolled: 1-line block ×3, first 2 shown]
	s_wait_xcnt 0x2
	v_mov_b64_e32 v[6:7], s[12:13]
	v_mov_b64_e32 v[8:9], s[14:15]
	s_wait_xcnt 0x1
	v_mov_b64_e32 v[10:11], s[16:17]
	v_mov_b64_e32 v[12:13], s[18:19]
	s_wait_kmcnt 0x0
	v_mov_b64_e32 v[14:15], s[36:37]
	s_bfe_u32 s0, ttmp6, 0x4000c
	s_clause 0x1
	scratch_store_b128 off, v[18:21], off offset:24
	scratch_store_b128 off, v[22:25], off offset:40
	v_mov_b64_e32 v[16:17], s[38:39]
	s_wait_xcnt 0x1
	v_mov_b64_e32 v[18:19], s[40:41]
	v_mov_b64_e32 v[20:21], s[42:43]
	s_add_co_i32 s0, s0, 1
	s_and_b32 s1, ttmp6, 15
	s_mul_i32 s0, ttmp9, s0
	s_clause 0x1
	scratch_store_b128 off, v[6:9], off offset:56
	scratch_store_b128 off, v[10:13], off offset:72
	s_add_co_i32 s1, s1, s0
	s_wait_xcnt 0x1
	v_mov_b64_e32 v[6:7], s[20:21]
	s_cmp_eq_u32 s2, 0
	v_mov_b64_e32 v[8:9], s[22:23]
	s_wait_xcnt 0x0
	v_mov_b64_e32 v[10:11], s[24:25]
	s_clause 0x1
	scratch_store_b128 off, v[14:17], off offset:88
	scratch_store_b128 off, v[18:21], off offset:104
	v_mov_b64_e32 v[12:13], s[26:27]
	s_wait_xcnt 0x0
	v_mov_b64_e32 v[16:17], s[44:45]
	s_cselect_b32 s0, ttmp9, s1
	v_mov_b64_e32 v[18:19], s[46:47]
	v_mov_b64_e32 v[20:21], s[48:49]
	;; [unrolled: 1-line block ×3, first 2 shown]
	v_lshl_or_b32 v15, s0, 9, v0
	v_mov_b64_e32 v[4:5], s[10:11]
	s_clause 0x3
	scratch_store_b128 off, v[6:9], off offset:120
	scratch_store_b128 off, v[10:13], off offset:136
	;; [unrolled: 1-line block ×4, first 2 shown]
	s_wait_xcnt 0x3
	v_mov_b64_e32 v[8:9], s[6:7]
	v_mov_b64_e32 v[6:7], s[4:5]
	v_or_b32_e32 v1, 0x180, v15
	s_mov_b32 s16, 0
	s_mov_b32 s14, 0
	s_clause 0x1
	scratch_store_b128 off, v[2:5], off offset:200
	scratch_store_b128 off, v[6:9], off offset:184
	s_mov_b32 s0, exec_lo
	s_wait_xcnt 0x0
	v_cmpx_le_i32_e64 s28, v1
	s_xor_b32 s15, exec_lo, s0
	s_cbranch_execz .LBB276_442
; %bb.1:
	v_mbcnt_lo_u32_b32 v1, -1, 0
	v_mov_b32_e32 v0, 24
	s_mov_b32 s18, 0
	s_mov_b32 s2, -1
	s_mov_b32 s17, exec_lo
	v_lshlrev_b32_e32 v1, 20, v1
	s_delay_alu instid0(VALU_DEP_1) | instskip(SKIP_1) | instid1(VALU_DEP_1)
	v_add_nc_u64_e32 v[2:3], src_flat_scratch_base_lo, v[0:1]
	v_mov_b32_e32 v0, 0
	v_add_nc_u64_e32 v[0:1], src_flat_scratch_base_lo, v[0:1]
	s_delay_alu instid0(VALU_DEP_3) | instskip(SKIP_1) | instid1(VALU_DEP_3)
	v_add_nc_u64_e32 v[24:25], 0x190, v[2:3]
	v_add_nc_u64_e32 v[20:21], 0x1a5, v[2:3]
	;; [unrolled: 1-line block ×3, first 2 shown]
	v_cmpx_gt_i32_e64 s28, v15
	s_cbranch_execz .LBB276_99
; %bb.2:
	scratch_load_b32 v0, off, off offset:24
	s_mov_b32 s0, exec_lo
                                        ; implicit-def: $vgpr17
	s_wait_loadcnt 0x0
	v_add_nc_u32_e32 v1, -1, v0
	s_wait_xcnt 0x0
	s_delay_alu instid0(VALU_DEP_1)
	v_cmpx_lt_u32_e32 1, v1
	s_xor_b32 s0, exec_lo, s0
	s_cbranch_execz .LBB276_10
; %bb.3:
	v_dual_mov_b32 v17, 0 :: v_dual_mov_b32 v16, 0
	v_mov_b32_e32 v18, 0
	s_mov_b32 s1, exec_lo
	v_cmpx_ne_u32_e32 0, v0
	s_cbranch_execz .LBB276_9
; %bb.4:
	v_min_u32_e32 v1, 15, v1
	v_dual_mov_b32 v16, 0 :: v_dual_mov_b32 v17, 0
	s_sub_co_i32 s3, 24, 24
	s_mov_b32 s2, 0
	s_delay_alu instid0(VALU_DEP_2) | instskip(NEXT) | instid1(VALU_DEP_1)
	v_dual_add_nc_u32 v0, 1, v1 :: v_dual_mov_b32 v18, 0
	v_dual_mov_b32 v0, v15 :: v_dual_bitop2_b32 v2, 30, v0 bitop3:0x40
.LBB276_5:                              ; =>This Inner Loop Header: Depth=1
	s_clause 0x3
	scratch_load_b128 v[4:7], off, s3 offset:28
	scratch_load_b64 v[26:27], off, s3 offset:44
	scratch_load_b96 v[8:10], off, s3 offset:220
	scratch_load_b96 v[12:14], off, s3 offset:232
	s_wait_xcnt 0x0
	s_add_co_i32 s3, s3, 24
	v_add_nc_u32_e32 v2, -2, v2
	s_delay_alu instid0(VALU_DEP_1) | instskip(SKIP_3) | instid1(VALU_DEP_1)
	v_cmp_eq_u32_e32 vcc_lo, 0, v2
	s_or_b32 s2, vcc_lo, s2
	s_wait_loadcnt 0x3
	v_mul_hi_u32 v3, v5, v0
	v_add_nc_u32_e32 v3, v0, v3
	s_delay_alu instid0(VALU_DEP_1) | instskip(SKIP_1) | instid1(VALU_DEP_1)
	v_lshrrev_b32_e32 v3, v6, v3
	s_wait_loadcnt 0x2
	v_mul_hi_u32 v5, v26, v3
	v_mul_lo_u32 v4, v3, v4
	s_delay_alu instid0(VALU_DEP_1) | instskip(NEXT) | instid1(VALU_DEP_1)
	v_dual_add_nc_u32 v5, v3, v5 :: v_dual_sub_nc_u32 v4, v0, v4
	v_lshrrev_b32_e32 v0, v27, v5
	s_wait_loadcnt 0x1
	s_delay_alu instid0(VALU_DEP_2) | instskip(NEXT) | instid1(VALU_DEP_2)
	v_mad_u32 v6, v4, v9, v17
	v_mul_lo_u32 v5, v0, v7
	v_mad_u32 v7, v4, v8, v16
	v_mad_u32 v4, v4, v10, v18
	s_delay_alu instid0(VALU_DEP_3) | instskip(SKIP_1) | instid1(VALU_DEP_1)
	v_sub_nc_u32_e32 v3, v3, v5
	s_wait_loadcnt 0x0
	v_mad_u32 v17, v3, v13, v6
	s_delay_alu instid0(VALU_DEP_4) | instskip(NEXT) | instid1(VALU_DEP_4)
	v_mad_u32 v16, v3, v12, v7
	v_mad_u32 v18, v3, v14, v4
	v_mov_b32_e32 v3, s3
	s_and_not1_b32 exec_lo, exec_lo, s2
	s_cbranch_execnz .LBB276_5
; %bb.6:
	s_or_b32 exec_lo, exec_lo, s2
	v_and_b32_e32 v1, 1, v1
	s_mov_b32 s2, exec_lo
	s_delay_alu instid0(VALU_DEP_1)
	v_cmpx_eq_u32_e32 0, v1
	s_cbranch_execz .LBB276_8
; %bb.7:
	s_clause 0x1
	scratch_load_b96 v[4:6], v3, off offset:28
	scratch_load_b96 v[8:10], v3, off offset:220
	s_wait_loadcnt 0x1
	v_mul_hi_u32 v1, v5, v0
	s_delay_alu instid0(VALU_DEP_1) | instskip(NEXT) | instid1(VALU_DEP_1)
	v_add_nc_u32_e32 v1, v0, v1
	v_lshrrev_b32_e32 v1, v6, v1
	s_delay_alu instid0(VALU_DEP_1) | instskip(NEXT) | instid1(VALU_DEP_1)
	v_mul_lo_u32 v1, v1, v4
	v_sub_nc_u32_e32 v0, v0, v1
	s_wait_loadcnt 0x0
	s_delay_alu instid0(VALU_DEP_1)
	v_mad_u32 v16, v0, v8, v16
	v_mad_u32 v17, v0, v9, v17
	;; [unrolled: 1-line block ×3, first 2 shown]
.LBB276_8:
	s_wait_xcnt 0x0
	s_or_b32 exec_lo, exec_lo, s2
.LBB276_9:
	s_delay_alu instid0(SALU_CYCLE_1)
	s_or_b32 exec_lo, exec_lo, s1
                                        ; implicit-def: $vgpr0
.LBB276_10:
	s_and_not1_saveexec_b32 s0, s0
	s_cbranch_execz .LBB276_14
; %bb.11:
	s_clause 0x1
	scratch_load_b96 v[2:4], off, off offset:28
	scratch_load_b96 v[6:8], off, off offset:220
	s_mov_b32 s1, exec_lo
	s_wait_loadcnt 0x1
	v_mul_hi_u32 v1, v3, v15
	s_delay_alu instid0(VALU_DEP_1) | instskip(NEXT) | instid1(VALU_DEP_1)
	v_add_nc_u32_e32 v1, v15, v1
	v_lshrrev_b32_e32 v1, v4, v1
	s_delay_alu instid0(VALU_DEP_1) | instskip(NEXT) | instid1(VALU_DEP_1)
	v_mul_lo_u32 v2, v1, v2
	v_sub_nc_u32_e32 v2, v15, v2
	s_wait_loadcnt 0x0
	s_delay_alu instid0(VALU_DEP_1)
	v_mul_lo_u32 v17, v2, v7
	v_mul_lo_u32 v16, v2, v6
	;; [unrolled: 1-line block ×3, first 2 shown]
	s_wait_xcnt 0x0
	v_cmpx_lt_u32_e32 1, v0
	s_cbranch_execz .LBB276_13
; %bb.12:
	s_clause 0x1
	scratch_load_b96 v[2:4], off, off offset:40
	scratch_load_b96 v[6:8], off, off offset:232
	s_wait_loadcnt 0x1
	v_mul_hi_u32 v0, v3, v1
	s_delay_alu instid0(VALU_DEP_1) | instskip(NEXT) | instid1(VALU_DEP_1)
	v_add_nc_u32_e32 v0, v1, v0
	v_lshrrev_b32_e32 v0, v4, v0
	s_delay_alu instid0(VALU_DEP_1) | instskip(NEXT) | instid1(VALU_DEP_1)
	v_mul_lo_u32 v0, v0, v2
	v_sub_nc_u32_e32 v0, v1, v0
	s_wait_loadcnt 0x0
	s_delay_alu instid0(VALU_DEP_1)
	v_mad_u32 v16, v0, v6, v16
	v_mad_u32 v17, v0, v7, v17
	v_mad_u32 v18, v0, v8, v18
.LBB276_13:
	s_wait_xcnt 0x0
	s_or_b32 exec_lo, exec_lo, s1
.LBB276_14:
	s_delay_alu instid0(SALU_CYCLE_1)
	s_or_b32 exec_lo, exec_lo, s0
	scratch_load_b32 v0, off, off offset:440
	v_dual_mov_b32 v1, v24 :: v_dual_mov_b32 v2, v25
	v_dual_mov_b32 v3, v22 :: v_dual_mov_b32 v4, v23
	;; [unrolled: 1-line block ×3, first 2 shown]
	s_get_pc_i64 s[0:1]
	s_add_nc_u64 s[0:1], s[0:1], _ZN2at6native6invokeINS0_13BinaryFunctorIN3c1013Float8_e4m3fnES4_bNS0_12_GLOBAL__N_116CompareEqFunctorIS4_EEEEj15function_traitsIS8_EEENT1_11result_typeERKT_PrKPcPKT0_PKNS3_10ScalarTypeEi@rel64+4
	scratch_store_b96 off, v[16:18], off
	s_swap_pc_i64 s[30:31], s[0:1]
	s_wait_xcnt 0x0
	v_dual_mov_b32 v17, 0 :: v_dual_bitop2_b32 v0, 1, v0 bitop3:0x40
	s_mov_b32 s1, 0
	s_mov_b32 s3, 0
	s_mov_b32 s2, exec_lo
	s_delay_alu instid0(VALU_DEP_1)
	v_cmp_eq_u32_e32 vcc_lo, 1, v0
	s_clause 0x1
	scratch_load_b64 v[0:1], off, off offset:416
	scratch_load_u8 v2, off, off offset:444
	s_wait_loadcnt 0x1
	v_add_nc_u64_e32 v[0:1], v[0:1], v[16:17]
	s_wait_loadcnt 0x0
	v_cmpx_lt_i16_e32 10, v2
	s_xor_b32 s2, exec_lo, s2
	s_cbranch_execz .LBB276_2195
; %bb.15:
	s_mov_b32 s4, exec_lo
	v_cmpx_lt_i16_e32 25, v2
	s_xor_b32 s4, exec_lo, s4
	s_cbranch_execz .LBB276_51
; %bb.16:
	s_mov_b32 s5, 0
	s_mov_b32 s3, exec_lo
	v_cmpx_lt_i16_e32 28, v2
	s_xor_b32 s3, exec_lo, s3
	s_cbranch_execz .LBB276_34
; %bb.17:
	s_mov_b32 s7, 0
	;; [unrolled: 6-line block ×3, first 2 shown]
	s_mov_b32 s1, exec_lo
	v_cmpx_lt_i16_e32 45, v2
	s_xor_b32 s1, exec_lo, s1
	s_cbranch_execz .LBB276_22
; %bb.19:
	s_mov_b32 s8, -1
	s_mov_b32 s7, exec_lo
	v_cmpx_eq_u16_e32 46, v2
	s_cbranch_execz .LBB276_21
; %bb.20:
	v_cndmask_b32_e64 v2, 0, 1.0, vcc_lo
	s_mov_b32 s6, exec_lo
	s_xor_b32 s8, exec_lo, -1
	s_delay_alu instid0(VALU_DEP_1) | instskip(NEXT) | instid1(VALU_DEP_1)
	v_bfe_u32 v3, v2, 16, 1
	v_add3_u32 v2, v2, v3, 0x7fff
	s_delay_alu instid0(VALU_DEP_1)
	v_lshrrev_b32_e32 v2, 16, v2
	flat_store_b32 v[0:1], v2
.LBB276_21:
	s_wait_xcnt 0x0
	s_or_b32 exec_lo, exec_lo, s7
	s_delay_alu instid0(SALU_CYCLE_1)
	s_and_b32 s7, s8, exec_lo
	s_and_b32 s6, s6, exec_lo
                                        ; implicit-def: $vgpr2
                                        ; implicit-def: $vgpr0_vgpr1
.LBB276_22:
	s_and_not1_saveexec_b32 s8, s1
	s_cbranch_execz .LBB276_28
; %bb.23:
	s_mov_b32 s10, -1
	s_mov_b32 s1, s6
	s_mov_b32 s9, exec_lo
	v_cmpx_eq_u16_e32 44, v2
	s_cbranch_execz .LBB276_27
; %bb.24:
	v_cndmask_b32_e64 v4, 0, 1.0, vcc_lo
	s_mov_b32 s10, exec_lo
	s_delay_alu instid0(VALU_DEP_1) | instskip(NEXT) | instid1(VALU_DEP_1)
	v_dual_mov_b32 v3, 0xff :: v_dual_lshrrev_b32 v2, 23, v4
	v_cmpx_ne_u32_e32 0xff, v2
; %bb.25:
	v_and_b32_e32 v3, 0x400000, v4
	v_and_or_b32 v4, 0x3fffff, v4, v2
	s_delay_alu instid0(VALU_DEP_2) | instskip(NEXT) | instid1(VALU_DEP_2)
	v_cmp_ne_u32_e64 s0, 0, v3
	v_cmp_ne_u32_e64 s1, 0, v4
	s_and_b32 s0, s0, s1
	s_delay_alu instid0(SALU_CYCLE_1) | instskip(NEXT) | instid1(VALU_DEP_1)
	v_cndmask_b32_e64 v3, 0, 1, s0
	v_add_nc_u32_e32 v3, v2, v3
; %bb.26:
	s_or_b32 exec_lo, exec_lo, s10
	s_delay_alu instid0(SALU_CYCLE_1)
	s_xor_b32 s10, exec_lo, -1
	s_or_b32 s1, s6, exec_lo
	flat_store_b8 v[0:1], v3
.LBB276_27:
	s_wait_xcnt 0x0
	s_or_b32 exec_lo, exec_lo, s9
	s_delay_alu instid0(SALU_CYCLE_1)
	s_and_not1_b32 s0, s7, exec_lo
	s_and_b32 s7, s10, exec_lo
	s_and_not1_b32 s6, s6, exec_lo
	s_and_b32 s1, s1, exec_lo
	s_or_b32 s7, s0, s7
	s_or_b32 s6, s6, s1
.LBB276_28:
	s_or_b32 exec_lo, exec_lo, s8
	s_delay_alu instid0(SALU_CYCLE_1)
	s_and_b32 s7, s7, exec_lo
	s_and_b32 s1, s6, exec_lo
                                        ; implicit-def: $vgpr2
                                        ; implicit-def: $vgpr0_vgpr1
.LBB276_29:
	s_and_not1_saveexec_b32 s5, s5
	s_cbranch_execz .LBB276_33
; %bb.30:
	s_mov_b32 s9, -1
	s_mov_b32 s6, s1
	s_mov_b32 s8, exec_lo
	v_cmpx_eq_u16_e32 29, v2
	s_cbranch_execz .LBB276_32
; %bb.31:
	s_mov_b32 s0, 0
	v_cndmask_b32_e64 v2, 0, 1, vcc_lo
	v_mov_b32_e32 v3, s0
	s_xor_b32 s9, exec_lo, -1
	s_or_b32 s6, s1, exec_lo
	flat_store_b64 v[0:1], v[2:3]
.LBB276_32:
	s_wait_xcnt 0x0
	s_or_b32 exec_lo, exec_lo, s8
	s_delay_alu instid0(SALU_CYCLE_1)
	s_and_not1_b32 s0, s7, exec_lo
	s_and_b32 s7, s9, exec_lo
	s_and_not1_b32 s1, s1, exec_lo
	s_and_b32 s6, s6, exec_lo
	s_or_b32 s7, s0, s7
	s_or_b32 s1, s1, s6
.LBB276_33:
	s_or_b32 exec_lo, exec_lo, s5
	s_delay_alu instid0(SALU_CYCLE_1)
	s_and_b32 s5, s7, exec_lo
	s_and_b32 s1, s1, exec_lo
                                        ; implicit-def: $vgpr0_vgpr1
                                        ; implicit-def: $vgpr2
.LBB276_34:
	s_and_not1_saveexec_b32 s3, s3
	s_cbranch_execz .LBB276_50
; %bb.35:
	s_mov_b32 s6, exec_lo
	v_cmpx_lt_i16_e32 26, v2
	s_xor_b32 s6, exec_lo, s6
	s_cbranch_execz .LBB276_41
; %bb.36:
	v_cmp_lt_i16_e64 s0, 27, v2
	s_and_saveexec_b32 s7, s0
	s_delay_alu instid0(SALU_CYCLE_1)
	s_xor_b32 s0, exec_lo, s7
	s_cbranch_execz .LBB276_38
; %bb.37:
	v_cndmask_b32_e64 v2, 0, 1, vcc_lo
	flat_store_b32 v[0:1], v2
                                        ; implicit-def: $vgpr0_vgpr1
.LBB276_38:
	s_wait_xcnt 0x0
	s_and_not1_saveexec_b32 s0, s0
	s_cbranch_execz .LBB276_40
; %bb.39:
	v_cndmask_b32_e64 v2, 0, 1, vcc_lo
	flat_store_b16 v[0:1], v2
.LBB276_40:
	s_wait_xcnt 0x0
	s_or_b32 exec_lo, exec_lo, s0
                                        ; implicit-def: $vgpr0_vgpr1
.LBB276_41:
	s_and_not1_saveexec_b32 s6, s6
	s_cbranch_execz .LBB276_49
; %bb.42:
	v_cndmask_b32_e64 v3, 0, 1.0, vcc_lo
	v_mov_b32_e32 v4, 0x80
	s_mov_b32 s7, exec_lo
	s_delay_alu instid0(VALU_DEP_2)
	v_cmpx_gt_u32_e32 0x43800000, v3
	s_cbranch_execz .LBB276_48
; %bb.43:
	v_cmp_lt_u32_e64 s0, 0x3bffffff, v3
	s_mov_b32 s8, 0
                                        ; implicit-def: $vgpr2
	s_and_saveexec_b32 s9, s0
	s_delay_alu instid0(SALU_CYCLE_1)
	s_xor_b32 s0, exec_lo, s9
	s_cbranch_execz .LBB276_2582
; %bb.44:
	v_bfe_u32 v2, v3, 20, 1
	s_mov_b32 s8, exec_lo
	s_delay_alu instid0(VALU_DEP_1) | instskip(NEXT) | instid1(VALU_DEP_1)
	v_add3_u32 v2, v3, v2, 0x487ffff
                                        ; implicit-def: $vgpr3
	v_lshrrev_b32_e32 v2, 20, v2
	s_and_not1_saveexec_b32 s9, s0
	s_cbranch_execnz .LBB276_2583
.LBB276_45:
	s_or_b32 exec_lo, exec_lo, s9
	v_mov_b32_e32 v4, 0
	s_and_saveexec_b32 s0, s8
.LBB276_46:
	v_mov_b32_e32 v4, v2
.LBB276_47:
	s_or_b32 exec_lo, exec_lo, s0
.LBB276_48:
	s_delay_alu instid0(SALU_CYCLE_1)
	s_or_b32 exec_lo, exec_lo, s7
	flat_store_b8 v[0:1], v4
.LBB276_49:
	s_wait_xcnt 0x0
	s_or_b32 exec_lo, exec_lo, s6
	s_delay_alu instid0(SALU_CYCLE_1)
	s_or_b32 s1, s1, exec_lo
.LBB276_50:
	s_or_b32 exec_lo, exec_lo, s3
	s_delay_alu instid0(SALU_CYCLE_1)
	s_and_b32 s3, s5, exec_lo
	s_and_b32 s1, s1, exec_lo
                                        ; implicit-def: $vgpr2
                                        ; implicit-def: $vgpr0_vgpr1
.LBB276_51:
	s_and_not1_saveexec_b32 s4, s4
	s_cbranch_execz .LBB276_95
; %bb.52:
	s_mov_b32 s6, s1
	s_mov_b32 s5, exec_lo
	v_cmpx_lt_i16_e32 22, v2
	s_xor_b32 s5, exec_lo, s5
	s_cbranch_execz .LBB276_84
; %bb.53:
	s_mov_b32 s6, exec_lo
	v_cmpx_lt_i16_e32 23, v2
	s_xor_b32 s6, exec_lo, s6
	s_cbranch_execz .LBB276_73
; %bb.54:
	;; [unrolled: 5-line block ×3, first 2 shown]
	v_cndmask_b32_e64 v3, 0, 1.0, vcc_lo
	v_mov_b32_e32 v4, 0x80
	s_mov_b32 s8, exec_lo
	s_delay_alu instid0(VALU_DEP_2)
	v_cmpx_gt_u32_e32 0x47800000, v3
	s_cbranch_execz .LBB276_61
; %bb.56:
	v_cmp_lt_u32_e64 s0, 0x37ffffff, v3
	s_mov_b32 s9, 0
                                        ; implicit-def: $vgpr2
	s_and_saveexec_b32 s10, s0
	s_delay_alu instid0(SALU_CYCLE_1)
	s_xor_b32 s0, exec_lo, s10
	s_cbranch_execz .LBB276_2639
; %bb.57:
	v_bfe_u32 v2, v3, 21, 1
	s_mov_b32 s9, exec_lo
	s_delay_alu instid0(VALU_DEP_1) | instskip(NEXT) | instid1(VALU_DEP_1)
	v_add3_u32 v2, v3, v2, 0x88fffff
                                        ; implicit-def: $vgpr3
	v_lshrrev_b32_e32 v2, 21, v2
	s_and_not1_saveexec_b32 s10, s0
	s_cbranch_execnz .LBB276_2640
.LBB276_58:
	s_or_b32 exec_lo, exec_lo, s10
	v_mov_b32_e32 v4, 0
	s_and_saveexec_b32 s0, s9
.LBB276_59:
	v_mov_b32_e32 v4, v2
.LBB276_60:
	s_or_b32 exec_lo, exec_lo, s0
.LBB276_61:
	s_delay_alu instid0(SALU_CYCLE_1)
	s_or_b32 exec_lo, exec_lo, s8
	flat_store_b8 v[0:1], v4
                                        ; implicit-def: $vgpr0_vgpr1
.LBB276_62:
	s_wait_xcnt 0x0
	s_and_not1_saveexec_b32 s7, s7
	s_cbranch_execz .LBB276_72
; %bb.63:
	v_cndmask_b32_e64 v3, 0, 1.0, vcc_lo
	s_mov_b32 s8, exec_lo
                                        ; implicit-def: $vgpr2
	s_delay_alu instid0(VALU_DEP_1)
	v_cmpx_gt_u32_e32 0x43f00000, v3
	s_xor_b32 s8, exec_lo, s8
	s_cbranch_execz .LBB276_69
; %bb.64:
	s_mov_b32 s9, exec_lo
                                        ; implicit-def: $vgpr2
	v_cmpx_lt_u32_e32 0x3c7fffff, v3
	s_xor_b32 s9, exec_lo, s9
; %bb.65:
	v_bfe_u32 v2, v3, 20, 1
	s_delay_alu instid0(VALU_DEP_1) | instskip(NEXT) | instid1(VALU_DEP_1)
	v_add3_u32 v2, v3, v2, 0x407ffff
	v_and_b32_e32 v3, 0xff00000, v2
	v_lshrrev_b32_e32 v2, 20, v2
	s_delay_alu instid0(VALU_DEP_2) | instskip(NEXT) | instid1(VALU_DEP_1)
	v_cmp_ne_u32_e64 s0, 0x7f00000, v3
                                        ; implicit-def: $vgpr3
	v_cndmask_b32_e64 v2, 0x7e, v2, s0
; %bb.66:
	s_and_not1_saveexec_b32 s0, s9
; %bb.67:
	v_add_f32_e32 v2, 0x46800000, v3
; %bb.68:
	s_or_b32 exec_lo, exec_lo, s0
                                        ; implicit-def: $vgpr3
.LBB276_69:
	s_and_not1_saveexec_b32 s8, s8
; %bb.70:
	v_mov_b32_e32 v2, 0x7f
	v_cmp_lt_u32_e64 s0, 0x7f800000, v3
	s_delay_alu instid0(VALU_DEP_1)
	v_cndmask_b32_e64 v2, 0x7e, v2, s0
; %bb.71:
	s_or_b32 exec_lo, exec_lo, s8
	flat_store_b8 v[0:1], v2
.LBB276_72:
	s_wait_xcnt 0x0
	s_or_b32 exec_lo, exec_lo, s7
                                        ; implicit-def: $vgpr0_vgpr1
.LBB276_73:
	s_and_not1_saveexec_b32 s6, s6
	s_cbranch_execz .LBB276_83
; %bb.74:
	v_cndmask_b32_e64 v3, 0, 1.0, vcc_lo
	s_mov_b32 s7, exec_lo
                                        ; implicit-def: $vgpr2
	s_delay_alu instid0(VALU_DEP_1)
	v_cmpx_gt_u32_e32 0x47800000, v3
	s_xor_b32 s7, exec_lo, s7
	s_cbranch_execz .LBB276_80
; %bb.75:
	v_cmp_lt_u32_e64 s0, 0x387fffff, v3
                                        ; implicit-def: $vgpr2
	s_and_saveexec_b32 s8, s0
	s_delay_alu instid0(SALU_CYCLE_1)
	s_xor_b32 s0, exec_lo, s8
; %bb.76:
	v_bfe_u32 v2, v3, 21, 1
	s_delay_alu instid0(VALU_DEP_1) | instskip(NEXT) | instid1(VALU_DEP_1)
	v_add3_u32 v2, v3, v2, 0x80fffff
                                        ; implicit-def: $vgpr3
	v_lshrrev_b32_e32 v2, 21, v2
; %bb.77:
	s_and_not1_saveexec_b32 s0, s0
; %bb.78:
	v_add_f32_e32 v2, 0x43000000, v3
; %bb.79:
	s_or_b32 exec_lo, exec_lo, s0
                                        ; implicit-def: $vgpr3
.LBB276_80:
	s_and_not1_saveexec_b32 s7, s7
; %bb.81:
	v_mov_b32_e32 v2, 0x7f
	v_cmp_lt_u32_e64 s0, 0x7f800000, v3
	s_delay_alu instid0(VALU_DEP_1)
	v_cndmask_b32_e64 v2, 0x7c, v2, s0
; %bb.82:
	s_or_b32 exec_lo, exec_lo, s7
	flat_store_b8 v[0:1], v2
.LBB276_83:
	s_wait_xcnt 0x0
	s_or_b32 exec_lo, exec_lo, s6
	s_delay_alu instid0(SALU_CYCLE_1)
	s_or_b32 s6, s1, exec_lo
                                        ; implicit-def: $vgpr2
                                        ; implicit-def: $vgpr0_vgpr1
.LBB276_84:
	s_or_saveexec_b32 s5, s5
	s_mov_b32 s0, s3
	s_xor_b32 exec_lo, exec_lo, s5
	s_cbranch_execz .LBB276_94
; %bb.85:
	s_mov_b32 s7, s6
	s_mov_b32 s8, s3
	s_mov_b32 s9, exec_lo
	v_cmpx_lt_i16_e32 14, v2
	s_xor_b32 s9, exec_lo, s9
	s_cbranch_execz .LBB276_89
; %bb.86:
	s_mov_b32 s8, -1
	s_mov_b32 s7, s6
	s_mov_b32 s10, exec_lo
	v_cmpx_eq_u16_e32 15, v2
	s_cbranch_execz .LBB276_88
; %bb.87:
	v_cndmask_b32_e64 v2, 0, 1.0, vcc_lo
	s_xor_b32 s8, exec_lo, -1
	s_or_b32 s7, s6, exec_lo
	s_delay_alu instid0(VALU_DEP_1) | instskip(NEXT) | instid1(VALU_DEP_1)
	v_bfe_u32 v3, v2, 16, 1
	v_add3_u32 v2, v2, v3, 0x7fff
	flat_store_d16_hi_b16 v[0:1], v2
.LBB276_88:
	s_wait_xcnt 0x0
	s_or_b32 exec_lo, exec_lo, s10
	s_delay_alu instid0(SALU_CYCLE_1)
	s_and_not1_b32 s0, s3, exec_lo
	s_and_b32 s8, s8, exec_lo
	s_and_not1_b32 s10, s6, exec_lo
	s_and_b32 s7, s7, exec_lo
	s_or_b32 s8, s0, s8
	s_or_b32 s7, s10, s7
                                        ; implicit-def: $vgpr2
                                        ; implicit-def: $vgpr0_vgpr1
.LBB276_89:
	s_and_not1_saveexec_b32 s9, s9
	s_cbranch_execz .LBB276_93
; %bb.90:
	s_mov_b32 s11, -1
	s_mov_b32 s10, s7
	s_mov_b32 s12, exec_lo
	v_cmpx_eq_u16_e32 11, v2
	s_cbranch_execz .LBB276_92
; %bb.91:
	v_cndmask_b32_e64 v2, 0, 1, vcc_lo
	s_xor_b32 s11, exec_lo, -1
	s_or_b32 s10, s7, exec_lo
	flat_store_b8 v[0:1], v2
.LBB276_92:
	s_wait_xcnt 0x0
	s_or_b32 exec_lo, exec_lo, s12
	s_delay_alu instid0(SALU_CYCLE_1)
	s_and_not1_b32 s0, s8, exec_lo
	s_and_b32 s8, s11, exec_lo
	s_and_not1_b32 s7, s7, exec_lo
	s_and_b32 s10, s10, exec_lo
	s_or_b32 s8, s0, s8
	s_or_b32 s7, s7, s10
.LBB276_93:
	s_or_b32 exec_lo, exec_lo, s9
	s_delay_alu instid0(SALU_CYCLE_1)
	s_and_not1_b32 s0, s3, exec_lo
	s_and_b32 s8, s8, exec_lo
	s_and_not1_b32 s6, s6, exec_lo
	s_and_b32 s7, s7, exec_lo
	s_or_b32 s0, s0, s8
	s_or_b32 s6, s6, s7
.LBB276_94:
	s_or_b32 exec_lo, exec_lo, s5
	s_delay_alu instid0(SALU_CYCLE_1)
	s_and_not1_b32 s3, s3, exec_lo
	s_and_b32 s0, s0, exec_lo
	s_and_not1_b32 s1, s1, exec_lo
	s_and_b32 s5, s6, exec_lo
	s_or_b32 s3, s3, s0
	s_or_b32 s1, s1, s5
.LBB276_95:
	s_or_b32 exec_lo, exec_lo, s4
	s_delay_alu instid0(SALU_CYCLE_1)
	s_and_b32 s3, s3, exec_lo
	s_and_b32 s1, s1, exec_lo
                                        ; implicit-def: $vgpr2
                                        ; implicit-def: $vgpr0_vgpr1
	s_and_not1_saveexec_b32 s2, s2
	s_cbranch_execnz .LBB276_2196
.LBB276_96:
	s_or_b32 exec_lo, exec_lo, s2
	s_mov_b32 s0, 0
	s_and_saveexec_b32 s2, s1
.LBB276_97:
	v_add_nc_u32_e32 v15, 0x80, v15
	s_mov_b32 s0, exec_lo
.LBB276_98:
	s_or_b32 exec_lo, exec_lo, s2
	s_delay_alu instid0(SALU_CYCLE_1)
	s_and_b32 s14, s3, exec_lo
	s_or_not1_b32 s2, s0, exec_lo
.LBB276_99:
	s_or_b32 exec_lo, exec_lo, s17
	s_mov_b32 s4, 0
	s_mov_b32 s0, 0
                                        ; implicit-def: $sgpr1
                                        ; implicit-def: $vgpr4
                                        ; implicit-def: $vgpr0_vgpr1
	s_and_saveexec_b32 s17, s2
	s_cbranch_execz .LBB276_397
; %bb.100:
	s_mov_b32 s0, -1
	s_mov_b32 s18, s14
	s_mov_b32 s19, exec_lo
	v_cmpx_gt_i32_e64 s28, v15
	s_cbranch_execz .LBB276_198
; %bb.101:
	scratch_load_b32 v0, off, off offset:24
	s_mov_b32 s0, exec_lo
                                        ; implicit-def: $vgpr17
	s_wait_loadcnt 0x0
	v_add_nc_u32_e32 v1, -1, v0
	s_wait_xcnt 0x0
	s_delay_alu instid0(VALU_DEP_1)
	v_cmpx_lt_u32_e32 1, v1
	s_xor_b32 s0, exec_lo, s0
	s_cbranch_execz .LBB276_109
; %bb.102:
	v_dual_mov_b32 v17, 0 :: v_dual_mov_b32 v16, 0
	v_mov_b32_e32 v18, 0
	s_mov_b32 s1, exec_lo
	v_cmpx_ne_u32_e32 0, v0
	s_cbranch_execz .LBB276_108
; %bb.103:
	v_min_u32_e32 v1, 15, v1
	v_dual_mov_b32 v16, 0 :: v_dual_mov_b32 v17, 0
	s_sub_co_i32 s3, 24, 24
	s_mov_b32 s2, 0
	s_delay_alu instid0(VALU_DEP_2) | instskip(NEXT) | instid1(VALU_DEP_1)
	v_dual_add_nc_u32 v0, 1, v1 :: v_dual_mov_b32 v18, 0
	v_dual_mov_b32 v0, v15 :: v_dual_bitop2_b32 v2, 30, v0 bitop3:0x40
.LBB276_104:                            ; =>This Inner Loop Header: Depth=1
	s_clause 0x3
	scratch_load_b128 v[4:7], off, s3 offset:28
	scratch_load_b64 v[26:27], off, s3 offset:44
	scratch_load_b96 v[8:10], off, s3 offset:220
	scratch_load_b96 v[12:14], off, s3 offset:232
	s_wait_xcnt 0x0
	s_add_co_i32 s3, s3, 24
	v_add_nc_u32_e32 v2, -2, v2
	s_delay_alu instid0(VALU_DEP_1) | instskip(SKIP_3) | instid1(VALU_DEP_1)
	v_cmp_eq_u32_e32 vcc_lo, 0, v2
	s_or_b32 s2, vcc_lo, s2
	s_wait_loadcnt 0x3
	v_mul_hi_u32 v3, v5, v0
	v_add_nc_u32_e32 v3, v0, v3
	s_delay_alu instid0(VALU_DEP_1) | instskip(SKIP_1) | instid1(VALU_DEP_1)
	v_lshrrev_b32_e32 v3, v6, v3
	s_wait_loadcnt 0x2
	v_mul_hi_u32 v5, v26, v3
	v_mul_lo_u32 v4, v3, v4
	s_delay_alu instid0(VALU_DEP_1) | instskip(NEXT) | instid1(VALU_DEP_1)
	v_dual_add_nc_u32 v5, v3, v5 :: v_dual_sub_nc_u32 v4, v0, v4
	v_lshrrev_b32_e32 v0, v27, v5
	s_wait_loadcnt 0x1
	s_delay_alu instid0(VALU_DEP_2) | instskip(NEXT) | instid1(VALU_DEP_2)
	v_mad_u32 v6, v4, v9, v17
	v_mul_lo_u32 v5, v0, v7
	v_mad_u32 v7, v4, v8, v16
	v_mad_u32 v4, v4, v10, v18
	s_delay_alu instid0(VALU_DEP_3) | instskip(SKIP_1) | instid1(VALU_DEP_1)
	v_sub_nc_u32_e32 v3, v3, v5
	s_wait_loadcnt 0x0
	v_mad_u32 v17, v3, v13, v6
	s_delay_alu instid0(VALU_DEP_4) | instskip(NEXT) | instid1(VALU_DEP_4)
	v_mad_u32 v16, v3, v12, v7
	v_mad_u32 v18, v3, v14, v4
	v_mov_b32_e32 v3, s3
	s_and_not1_b32 exec_lo, exec_lo, s2
	s_cbranch_execnz .LBB276_104
; %bb.105:
	s_or_b32 exec_lo, exec_lo, s2
	v_and_b32_e32 v1, 1, v1
	s_mov_b32 s2, exec_lo
	s_delay_alu instid0(VALU_DEP_1)
	v_cmpx_eq_u32_e32 0, v1
	s_cbranch_execz .LBB276_107
; %bb.106:
	s_clause 0x1
	scratch_load_b96 v[4:6], v3, off offset:28
	scratch_load_b96 v[8:10], v3, off offset:220
	s_wait_loadcnt 0x1
	v_mul_hi_u32 v1, v5, v0
	s_delay_alu instid0(VALU_DEP_1) | instskip(NEXT) | instid1(VALU_DEP_1)
	v_add_nc_u32_e32 v1, v0, v1
	v_lshrrev_b32_e32 v1, v6, v1
	s_delay_alu instid0(VALU_DEP_1) | instskip(NEXT) | instid1(VALU_DEP_1)
	v_mul_lo_u32 v1, v1, v4
	v_sub_nc_u32_e32 v0, v0, v1
	s_wait_loadcnt 0x0
	s_delay_alu instid0(VALU_DEP_1)
	v_mad_u32 v16, v0, v8, v16
	v_mad_u32 v17, v0, v9, v17
	;; [unrolled: 1-line block ×3, first 2 shown]
.LBB276_107:
	s_wait_xcnt 0x0
	s_or_b32 exec_lo, exec_lo, s2
.LBB276_108:
	s_delay_alu instid0(SALU_CYCLE_1)
	s_or_b32 exec_lo, exec_lo, s1
                                        ; implicit-def: $vgpr0
.LBB276_109:
	s_and_not1_saveexec_b32 s0, s0
	s_cbranch_execz .LBB276_113
; %bb.110:
	s_clause 0x1
	scratch_load_b96 v[2:4], off, off offset:28
	scratch_load_b96 v[6:8], off, off offset:220
	s_mov_b32 s1, exec_lo
	s_wait_loadcnt 0x1
	v_mul_hi_u32 v1, v3, v15
	s_delay_alu instid0(VALU_DEP_1) | instskip(NEXT) | instid1(VALU_DEP_1)
	v_add_nc_u32_e32 v1, v15, v1
	v_lshrrev_b32_e32 v1, v4, v1
	s_delay_alu instid0(VALU_DEP_1) | instskip(NEXT) | instid1(VALU_DEP_1)
	v_mul_lo_u32 v2, v1, v2
	v_sub_nc_u32_e32 v2, v15, v2
	s_wait_loadcnt 0x0
	s_delay_alu instid0(VALU_DEP_1)
	v_mul_lo_u32 v17, v2, v7
	v_mul_lo_u32 v16, v2, v6
	;; [unrolled: 1-line block ×3, first 2 shown]
	s_wait_xcnt 0x0
	v_cmpx_lt_u32_e32 1, v0
	s_cbranch_execz .LBB276_112
; %bb.111:
	s_clause 0x1
	scratch_load_b96 v[2:4], off, off offset:40
	scratch_load_b96 v[6:8], off, off offset:232
	s_wait_loadcnt 0x1
	v_mul_hi_u32 v0, v3, v1
	s_delay_alu instid0(VALU_DEP_1) | instskip(NEXT) | instid1(VALU_DEP_1)
	v_add_nc_u32_e32 v0, v1, v0
	v_lshrrev_b32_e32 v0, v4, v0
	s_delay_alu instid0(VALU_DEP_1) | instskip(NEXT) | instid1(VALU_DEP_1)
	v_mul_lo_u32 v0, v0, v2
	v_sub_nc_u32_e32 v0, v1, v0
	s_wait_loadcnt 0x0
	s_delay_alu instid0(VALU_DEP_1)
	v_mad_u32 v16, v0, v6, v16
	v_mad_u32 v17, v0, v7, v17
	;; [unrolled: 1-line block ×3, first 2 shown]
.LBB276_112:
	s_wait_xcnt 0x0
	s_or_b32 exec_lo, exec_lo, s1
.LBB276_113:
	s_delay_alu instid0(SALU_CYCLE_1)
	s_or_b32 exec_lo, exec_lo, s0
	scratch_load_b32 v0, off, off offset:440
	v_dual_mov_b32 v1, v24 :: v_dual_mov_b32 v2, v25
	v_dual_mov_b32 v3, v22 :: v_dual_mov_b32 v4, v23
	;; [unrolled: 1-line block ×3, first 2 shown]
	s_get_pc_i64 s[0:1]
	s_add_nc_u64 s[0:1], s[0:1], _ZN2at6native6invokeINS0_13BinaryFunctorIN3c1013Float8_e4m3fnES4_bNS0_12_GLOBAL__N_116CompareEqFunctorIS4_EEEEj15function_traitsIS8_EEENT1_11result_typeERKT_PrKPcPKT0_PKNS3_10ScalarTypeEi@rel64+4
	scratch_store_b96 off, v[16:18], off
	s_swap_pc_i64 s[30:31], s[0:1]
	s_wait_xcnt 0x0
	v_dual_mov_b32 v17, 0 :: v_dual_bitop2_b32 v0, 1, v0 bitop3:0x40
	s_mov_b32 s1, 0
	s_mov_b32 s3, s14
	s_mov_b32 s2, exec_lo
	s_delay_alu instid0(VALU_DEP_1)
	v_cmp_eq_u32_e32 vcc_lo, 1, v0
	s_clause 0x1
	scratch_load_b64 v[0:1], off, off offset:416
	scratch_load_u8 v2, off, off offset:444
	s_wait_loadcnt 0x1
	v_add_nc_u64_e32 v[0:1], v[0:1], v[16:17]
	s_wait_loadcnt 0x0
	v_cmpx_lt_i16_e32 10, v2
	s_xor_b32 s2, exec_lo, s2
	s_cbranch_execz .LBB276_2288
; %bb.114:
	s_mov_b32 s3, s14
	s_mov_b32 s4, exec_lo
	v_cmpx_lt_i16_e32 25, v2
	s_xor_b32 s4, exec_lo, s4
	s_cbranch_execz .LBB276_150
; %bb.115:
	s_mov_b32 s5, s14
	s_mov_b32 s3, exec_lo
	;; [unrolled: 6-line block ×3, first 2 shown]
	v_cmpx_lt_i16_e32 43, v2
	s_xor_b32 s5, exec_lo, s5
	s_cbranch_execz .LBB276_128
; %bb.117:
	s_mov_b32 s6, 0
	s_mov_b32 s7, s14
	s_mov_b32 s1, exec_lo
	v_cmpx_lt_i16_e32 45, v2
	s_xor_b32 s1, exec_lo, s1
	s_cbranch_execz .LBB276_121
; %bb.118:
	s_mov_b32 s8, -1
	s_mov_b32 s7, exec_lo
	v_cmpx_eq_u16_e32 46, v2
	s_cbranch_execz .LBB276_120
; %bb.119:
	v_cndmask_b32_e64 v2, 0, 1.0, vcc_lo
	s_mov_b32 s6, exec_lo
	s_xor_b32 s8, exec_lo, -1
	s_delay_alu instid0(VALU_DEP_1) | instskip(NEXT) | instid1(VALU_DEP_1)
	v_bfe_u32 v3, v2, 16, 1
	v_add3_u32 v2, v2, v3, 0x7fff
	s_delay_alu instid0(VALU_DEP_1)
	v_lshrrev_b32_e32 v2, 16, v2
	flat_store_b32 v[0:1], v2
.LBB276_120:
	s_wait_xcnt 0x0
	s_or_b32 exec_lo, exec_lo, s7
	s_delay_alu instid0(SALU_CYCLE_1)
	s_and_not1_b32 s0, s14, exec_lo
	s_and_b32 s7, s8, exec_lo
	s_and_b32 s6, s6, exec_lo
	s_or_b32 s7, s0, s7
                                        ; implicit-def: $vgpr2
                                        ; implicit-def: $vgpr0_vgpr1
.LBB276_121:
	s_and_not1_saveexec_b32 s8, s1
	s_cbranch_execz .LBB276_127
; %bb.122:
	s_mov_b32 s10, -1
	s_mov_b32 s1, s6
	s_mov_b32 s9, exec_lo
	v_cmpx_eq_u16_e32 44, v2
	s_cbranch_execz .LBB276_126
; %bb.123:
	v_cndmask_b32_e64 v4, 0, 1.0, vcc_lo
	s_mov_b32 s10, exec_lo
	s_delay_alu instid0(VALU_DEP_1) | instskip(NEXT) | instid1(VALU_DEP_1)
	v_dual_mov_b32 v3, 0xff :: v_dual_lshrrev_b32 v2, 23, v4
	v_cmpx_ne_u32_e32 0xff, v2
; %bb.124:
	v_and_b32_e32 v3, 0x400000, v4
	v_and_or_b32 v4, 0x3fffff, v4, v2
	s_delay_alu instid0(VALU_DEP_2) | instskip(NEXT) | instid1(VALU_DEP_2)
	v_cmp_ne_u32_e64 s0, 0, v3
	v_cmp_ne_u32_e64 s1, 0, v4
	s_and_b32 s0, s0, s1
	s_delay_alu instid0(SALU_CYCLE_1) | instskip(NEXT) | instid1(VALU_DEP_1)
	v_cndmask_b32_e64 v3, 0, 1, s0
	v_add_nc_u32_e32 v3, v2, v3
; %bb.125:
	s_or_b32 exec_lo, exec_lo, s10
	s_delay_alu instid0(SALU_CYCLE_1)
	s_xor_b32 s10, exec_lo, -1
	s_or_b32 s1, s6, exec_lo
	flat_store_b8 v[0:1], v3
.LBB276_126:
	s_wait_xcnt 0x0
	s_or_b32 exec_lo, exec_lo, s9
	s_delay_alu instid0(SALU_CYCLE_1)
	s_and_not1_b32 s0, s7, exec_lo
	s_and_b32 s7, s10, exec_lo
	s_and_not1_b32 s6, s6, exec_lo
	s_and_b32 s1, s1, exec_lo
	s_or_b32 s7, s0, s7
	s_or_b32 s6, s6, s1
.LBB276_127:
	s_or_b32 exec_lo, exec_lo, s8
	s_delay_alu instid0(SALU_CYCLE_1) | instskip(SKIP_1) | instid1(SALU_CYCLE_1)
	s_and_not1_b32 s0, s14, exec_lo
	s_and_b32 s1, s7, exec_lo
                                        ; implicit-def: $vgpr2
                                        ; implicit-def: $vgpr0_vgpr1
	s_or_b32 s7, s0, s1
	s_and_b32 s1, s6, exec_lo
.LBB276_128:
	s_and_not1_saveexec_b32 s5, s5
	s_cbranch_execz .LBB276_132
; %bb.129:
	s_mov_b32 s9, -1
	s_mov_b32 s6, s1
	s_mov_b32 s8, exec_lo
	v_cmpx_eq_u16_e32 29, v2
	s_cbranch_execz .LBB276_131
; %bb.130:
	s_mov_b32 s0, 0
	v_cndmask_b32_e64 v2, 0, 1, vcc_lo
	v_mov_b32_e32 v3, s0
	s_xor_b32 s9, exec_lo, -1
	s_or_b32 s6, s1, exec_lo
	flat_store_b64 v[0:1], v[2:3]
.LBB276_131:
	s_wait_xcnt 0x0
	s_or_b32 exec_lo, exec_lo, s8
	s_delay_alu instid0(SALU_CYCLE_1)
	s_and_not1_b32 s0, s7, exec_lo
	s_and_b32 s7, s9, exec_lo
	s_and_not1_b32 s1, s1, exec_lo
	s_and_b32 s6, s6, exec_lo
	s_or_b32 s7, s0, s7
	s_or_b32 s1, s1, s6
.LBB276_132:
	s_or_b32 exec_lo, exec_lo, s5
	s_delay_alu instid0(SALU_CYCLE_1)
	s_and_not1_b32 s0, s14, exec_lo
	s_and_b32 s5, s7, exec_lo
	s_and_b32 s1, s1, exec_lo
	s_or_b32 s5, s0, s5
                                        ; implicit-def: $vgpr0_vgpr1
                                        ; implicit-def: $vgpr2
.LBB276_133:
	s_and_not1_saveexec_b32 s3, s3
	s_cbranch_execz .LBB276_149
; %bb.134:
	s_mov_b32 s6, exec_lo
	v_cmpx_lt_i16_e32 26, v2
	s_xor_b32 s6, exec_lo, s6
	s_cbranch_execz .LBB276_140
; %bb.135:
	v_cmp_lt_i16_e64 s0, 27, v2
	s_and_saveexec_b32 s7, s0
	s_delay_alu instid0(SALU_CYCLE_1)
	s_xor_b32 s0, exec_lo, s7
	s_cbranch_execz .LBB276_137
; %bb.136:
	v_cndmask_b32_e64 v2, 0, 1, vcc_lo
	flat_store_b32 v[0:1], v2
                                        ; implicit-def: $vgpr0_vgpr1
.LBB276_137:
	s_wait_xcnt 0x0
	s_and_not1_saveexec_b32 s0, s0
	s_cbranch_execz .LBB276_139
; %bb.138:
	v_cndmask_b32_e64 v2, 0, 1, vcc_lo
	flat_store_b16 v[0:1], v2
.LBB276_139:
	s_wait_xcnt 0x0
	s_or_b32 exec_lo, exec_lo, s0
                                        ; implicit-def: $vgpr0_vgpr1
.LBB276_140:
	s_and_not1_saveexec_b32 s6, s6
	s_cbranch_execz .LBB276_148
; %bb.141:
	v_cndmask_b32_e64 v3, 0, 1.0, vcc_lo
	v_mov_b32_e32 v4, 0x80
	s_mov_b32 s7, exec_lo
	s_delay_alu instid0(VALU_DEP_2)
	v_cmpx_gt_u32_e32 0x43800000, v3
	s_cbranch_execz .LBB276_147
; %bb.142:
	v_cmp_lt_u32_e64 s0, 0x3bffffff, v3
	s_mov_b32 s8, 0
                                        ; implicit-def: $vgpr2
	s_and_saveexec_b32 s9, s0
	s_delay_alu instid0(SALU_CYCLE_1)
	s_xor_b32 s0, exec_lo, s9
	s_cbranch_execz .LBB276_2641
; %bb.143:
	v_bfe_u32 v2, v3, 20, 1
	s_mov_b32 s8, exec_lo
	s_delay_alu instid0(VALU_DEP_1) | instskip(NEXT) | instid1(VALU_DEP_1)
	v_add3_u32 v2, v3, v2, 0x487ffff
                                        ; implicit-def: $vgpr3
	v_lshrrev_b32_e32 v2, 20, v2
	s_and_not1_saveexec_b32 s9, s0
	s_cbranch_execnz .LBB276_2642
.LBB276_144:
	s_or_b32 exec_lo, exec_lo, s9
	v_mov_b32_e32 v4, 0
	s_and_saveexec_b32 s0, s8
.LBB276_145:
	v_mov_b32_e32 v4, v2
.LBB276_146:
	s_or_b32 exec_lo, exec_lo, s0
.LBB276_147:
	s_delay_alu instid0(SALU_CYCLE_1)
	s_or_b32 exec_lo, exec_lo, s7
	flat_store_b8 v[0:1], v4
.LBB276_148:
	s_wait_xcnt 0x0
	s_or_b32 exec_lo, exec_lo, s6
	s_delay_alu instid0(SALU_CYCLE_1)
	s_or_b32 s1, s1, exec_lo
.LBB276_149:
	s_or_b32 exec_lo, exec_lo, s3
	s_delay_alu instid0(SALU_CYCLE_1)
	s_and_not1_b32 s0, s14, exec_lo
	s_and_b32 s3, s5, exec_lo
	s_and_b32 s1, s1, exec_lo
	s_or_b32 s3, s0, s3
                                        ; implicit-def: $vgpr2
                                        ; implicit-def: $vgpr0_vgpr1
.LBB276_150:
	s_and_not1_saveexec_b32 s4, s4
	s_cbranch_execz .LBB276_194
; %bb.151:
	s_mov_b32 s6, s1
	s_mov_b32 s5, exec_lo
	v_cmpx_lt_i16_e32 22, v2
	s_xor_b32 s5, exec_lo, s5
	s_cbranch_execz .LBB276_183
; %bb.152:
	s_mov_b32 s6, exec_lo
	v_cmpx_lt_i16_e32 23, v2
	s_xor_b32 s6, exec_lo, s6
	s_cbranch_execz .LBB276_172
; %bb.153:
	;; [unrolled: 5-line block ×3, first 2 shown]
	v_cndmask_b32_e64 v3, 0, 1.0, vcc_lo
	v_mov_b32_e32 v4, 0x80
	s_mov_b32 s8, exec_lo
	s_delay_alu instid0(VALU_DEP_2)
	v_cmpx_gt_u32_e32 0x47800000, v3
	s_cbranch_execz .LBB276_160
; %bb.155:
	v_cmp_lt_u32_e64 s0, 0x37ffffff, v3
	s_mov_b32 s9, 0
                                        ; implicit-def: $vgpr2
	s_and_saveexec_b32 s10, s0
	s_delay_alu instid0(SALU_CYCLE_1)
	s_xor_b32 s0, exec_lo, s10
	s_cbranch_execz .LBB276_2690
; %bb.156:
	v_bfe_u32 v2, v3, 21, 1
	s_mov_b32 s9, exec_lo
	s_delay_alu instid0(VALU_DEP_1) | instskip(NEXT) | instid1(VALU_DEP_1)
	v_add3_u32 v2, v3, v2, 0x88fffff
                                        ; implicit-def: $vgpr3
	v_lshrrev_b32_e32 v2, 21, v2
	s_and_not1_saveexec_b32 s10, s0
	s_cbranch_execnz .LBB276_2691
.LBB276_157:
	s_or_b32 exec_lo, exec_lo, s10
	v_mov_b32_e32 v4, 0
	s_and_saveexec_b32 s0, s9
.LBB276_158:
	v_mov_b32_e32 v4, v2
.LBB276_159:
	s_or_b32 exec_lo, exec_lo, s0
.LBB276_160:
	s_delay_alu instid0(SALU_CYCLE_1)
	s_or_b32 exec_lo, exec_lo, s8
	flat_store_b8 v[0:1], v4
                                        ; implicit-def: $vgpr0_vgpr1
.LBB276_161:
	s_wait_xcnt 0x0
	s_and_not1_saveexec_b32 s7, s7
	s_cbranch_execz .LBB276_171
; %bb.162:
	v_cndmask_b32_e64 v3, 0, 1.0, vcc_lo
	s_mov_b32 s8, exec_lo
                                        ; implicit-def: $vgpr2
	s_delay_alu instid0(VALU_DEP_1)
	v_cmpx_gt_u32_e32 0x43f00000, v3
	s_xor_b32 s8, exec_lo, s8
	s_cbranch_execz .LBB276_168
; %bb.163:
	s_mov_b32 s9, exec_lo
                                        ; implicit-def: $vgpr2
	v_cmpx_lt_u32_e32 0x3c7fffff, v3
	s_xor_b32 s9, exec_lo, s9
; %bb.164:
	v_bfe_u32 v2, v3, 20, 1
	s_delay_alu instid0(VALU_DEP_1) | instskip(NEXT) | instid1(VALU_DEP_1)
	v_add3_u32 v2, v3, v2, 0x407ffff
	v_and_b32_e32 v3, 0xff00000, v2
	v_lshrrev_b32_e32 v2, 20, v2
	s_delay_alu instid0(VALU_DEP_2) | instskip(NEXT) | instid1(VALU_DEP_1)
	v_cmp_ne_u32_e64 s0, 0x7f00000, v3
                                        ; implicit-def: $vgpr3
	v_cndmask_b32_e64 v2, 0x7e, v2, s0
; %bb.165:
	s_and_not1_saveexec_b32 s0, s9
; %bb.166:
	v_add_f32_e32 v2, 0x46800000, v3
; %bb.167:
	s_or_b32 exec_lo, exec_lo, s0
                                        ; implicit-def: $vgpr3
.LBB276_168:
	s_and_not1_saveexec_b32 s8, s8
; %bb.169:
	v_mov_b32_e32 v2, 0x7f
	v_cmp_lt_u32_e64 s0, 0x7f800000, v3
	s_delay_alu instid0(VALU_DEP_1)
	v_cndmask_b32_e64 v2, 0x7e, v2, s0
; %bb.170:
	s_or_b32 exec_lo, exec_lo, s8
	flat_store_b8 v[0:1], v2
.LBB276_171:
	s_wait_xcnt 0x0
	s_or_b32 exec_lo, exec_lo, s7
                                        ; implicit-def: $vgpr0_vgpr1
.LBB276_172:
	s_and_not1_saveexec_b32 s6, s6
	s_cbranch_execz .LBB276_182
; %bb.173:
	v_cndmask_b32_e64 v3, 0, 1.0, vcc_lo
	s_mov_b32 s7, exec_lo
                                        ; implicit-def: $vgpr2
	s_delay_alu instid0(VALU_DEP_1)
	v_cmpx_gt_u32_e32 0x47800000, v3
	s_xor_b32 s7, exec_lo, s7
	s_cbranch_execz .LBB276_179
; %bb.174:
	v_cmp_lt_u32_e64 s0, 0x387fffff, v3
                                        ; implicit-def: $vgpr2
	s_and_saveexec_b32 s8, s0
	s_delay_alu instid0(SALU_CYCLE_1)
	s_xor_b32 s0, exec_lo, s8
; %bb.175:
	v_bfe_u32 v2, v3, 21, 1
	s_delay_alu instid0(VALU_DEP_1) | instskip(NEXT) | instid1(VALU_DEP_1)
	v_add3_u32 v2, v3, v2, 0x80fffff
                                        ; implicit-def: $vgpr3
	v_lshrrev_b32_e32 v2, 21, v2
; %bb.176:
	s_and_not1_saveexec_b32 s0, s0
; %bb.177:
	v_add_f32_e32 v2, 0x43000000, v3
; %bb.178:
	s_or_b32 exec_lo, exec_lo, s0
                                        ; implicit-def: $vgpr3
.LBB276_179:
	s_and_not1_saveexec_b32 s7, s7
; %bb.180:
	v_mov_b32_e32 v2, 0x7f
	v_cmp_lt_u32_e64 s0, 0x7f800000, v3
	s_delay_alu instid0(VALU_DEP_1)
	v_cndmask_b32_e64 v2, 0x7c, v2, s0
; %bb.181:
	s_or_b32 exec_lo, exec_lo, s7
	flat_store_b8 v[0:1], v2
.LBB276_182:
	s_wait_xcnt 0x0
	s_or_b32 exec_lo, exec_lo, s6
	s_delay_alu instid0(SALU_CYCLE_1)
	s_or_b32 s6, s1, exec_lo
                                        ; implicit-def: $vgpr2
                                        ; implicit-def: $vgpr0_vgpr1
.LBB276_183:
	s_or_saveexec_b32 s5, s5
	s_mov_b32 s0, s3
	s_xor_b32 exec_lo, exec_lo, s5
	s_cbranch_execz .LBB276_193
; %bb.184:
	s_mov_b32 s7, s6
	s_mov_b32 s8, s3
	s_mov_b32 s9, exec_lo
	v_cmpx_lt_i16_e32 14, v2
	s_xor_b32 s9, exec_lo, s9
	s_cbranch_execz .LBB276_188
; %bb.185:
	s_mov_b32 s8, -1
	s_mov_b32 s7, s6
	s_mov_b32 s10, exec_lo
	v_cmpx_eq_u16_e32 15, v2
	s_cbranch_execz .LBB276_187
; %bb.186:
	v_cndmask_b32_e64 v2, 0, 1.0, vcc_lo
	s_xor_b32 s8, exec_lo, -1
	s_or_b32 s7, s6, exec_lo
	s_delay_alu instid0(VALU_DEP_1) | instskip(NEXT) | instid1(VALU_DEP_1)
	v_bfe_u32 v3, v2, 16, 1
	v_add3_u32 v2, v2, v3, 0x7fff
	flat_store_d16_hi_b16 v[0:1], v2
.LBB276_187:
	s_wait_xcnt 0x0
	s_or_b32 exec_lo, exec_lo, s10
	s_delay_alu instid0(SALU_CYCLE_1)
	s_and_not1_b32 s0, s3, exec_lo
	s_and_b32 s8, s8, exec_lo
	s_and_not1_b32 s10, s6, exec_lo
	s_and_b32 s7, s7, exec_lo
	s_or_b32 s8, s0, s8
	s_or_b32 s7, s10, s7
                                        ; implicit-def: $vgpr2
                                        ; implicit-def: $vgpr0_vgpr1
.LBB276_188:
	s_and_not1_saveexec_b32 s9, s9
	s_cbranch_execz .LBB276_192
; %bb.189:
	s_mov_b32 s11, -1
	s_mov_b32 s10, s7
	s_mov_b32 s12, exec_lo
	v_cmpx_eq_u16_e32 11, v2
	s_cbranch_execz .LBB276_191
; %bb.190:
	v_cndmask_b32_e64 v2, 0, 1, vcc_lo
	s_xor_b32 s11, exec_lo, -1
	s_or_b32 s10, s7, exec_lo
	flat_store_b8 v[0:1], v2
.LBB276_191:
	s_wait_xcnt 0x0
	s_or_b32 exec_lo, exec_lo, s12
	s_delay_alu instid0(SALU_CYCLE_1)
	s_and_not1_b32 s0, s8, exec_lo
	s_and_b32 s8, s11, exec_lo
	s_and_not1_b32 s7, s7, exec_lo
	s_and_b32 s10, s10, exec_lo
	s_or_b32 s8, s0, s8
	s_or_b32 s7, s7, s10
.LBB276_192:
	s_or_b32 exec_lo, exec_lo, s9
	s_delay_alu instid0(SALU_CYCLE_1)
	s_and_not1_b32 s0, s3, exec_lo
	s_and_b32 s8, s8, exec_lo
	s_and_not1_b32 s6, s6, exec_lo
	s_and_b32 s7, s7, exec_lo
	s_or_b32 s0, s0, s8
	s_or_b32 s6, s6, s7
.LBB276_193:
	s_or_b32 exec_lo, exec_lo, s5
	s_delay_alu instid0(SALU_CYCLE_1)
	s_and_not1_b32 s3, s3, exec_lo
	s_and_b32 s0, s0, exec_lo
	s_and_not1_b32 s1, s1, exec_lo
	s_and_b32 s5, s6, exec_lo
	s_or_b32 s3, s3, s0
	s_or_b32 s1, s1, s5
.LBB276_194:
	s_or_b32 exec_lo, exec_lo, s4
	s_delay_alu instid0(SALU_CYCLE_1)
	s_and_not1_b32 s0, s14, exec_lo
	s_and_b32 s3, s3, exec_lo
	s_and_b32 s1, s1, exec_lo
	s_or_b32 s3, s0, s3
                                        ; implicit-def: $vgpr2
                                        ; implicit-def: $vgpr0_vgpr1
	s_and_not1_saveexec_b32 s2, s2
	s_cbranch_execnz .LBB276_2289
.LBB276_195:
	s_or_b32 exec_lo, exec_lo, s2
	s_mov_b32 s0, 0
	s_and_saveexec_b32 s2, s1
.LBB276_196:
	v_add_nc_u32_e32 v15, 0x80, v15
	s_mov_b32 s0, exec_lo
.LBB276_197:
	s_or_b32 exec_lo, exec_lo, s2
	s_delay_alu instid0(SALU_CYCLE_1)
	s_and_not1_b32 s1, s14, exec_lo
	s_and_b32 s2, s3, exec_lo
	s_or_not1_b32 s0, s0, exec_lo
	s_or_b32 s18, s1, s2
.LBB276_198:
	s_or_b32 exec_lo, exec_lo, s19
	s_mov_b32 s2, 0
	s_mov_b32 s3, 0
	;; [unrolled: 1-line block ×3, first 2 shown]
                                        ; implicit-def: $sgpr1
                                        ; implicit-def: $vgpr4
                                        ; implicit-def: $vgpr0_vgpr1
	s_and_saveexec_b32 s19, s0
	s_cbranch_execz .LBB276_394
; %bb.199:
	s_mov_b32 s3, -1
	s_mov_b32 s21, s18
	s_mov_b32 s20, exec_lo
	v_cmpx_gt_i32_e64 s28, v15
	s_cbranch_execz .LBB276_297
; %bb.200:
	scratch_load_b32 v0, off, off offset:24
	s_mov_b32 s0, exec_lo
                                        ; implicit-def: $vgpr17
	s_wait_loadcnt 0x0
	v_add_nc_u32_e32 v1, -1, v0
	s_wait_xcnt 0x0
	s_delay_alu instid0(VALU_DEP_1)
	v_cmpx_lt_u32_e32 1, v1
	s_xor_b32 s0, exec_lo, s0
	s_cbranch_execz .LBB276_208
; %bb.201:
	v_dual_mov_b32 v17, 0 :: v_dual_mov_b32 v16, 0
	v_mov_b32_e32 v18, 0
	s_mov_b32 s1, exec_lo
	v_cmpx_ne_u32_e32 0, v0
	s_cbranch_execz .LBB276_207
; %bb.202:
	v_min_u32_e32 v1, 15, v1
	v_dual_mov_b32 v16, 0 :: v_dual_mov_b32 v17, 0
	s_sub_co_i32 s3, 24, 24
	s_delay_alu instid0(VALU_DEP_2) | instskip(NEXT) | instid1(VALU_DEP_1)
	v_dual_mov_b32 v18, 0 :: v_dual_add_nc_u32 v0, 1, v1
	v_dual_mov_b32 v0, v15 :: v_dual_bitop2_b32 v2, 30, v0 bitop3:0x40
.LBB276_203:                            ; =>This Inner Loop Header: Depth=1
	s_clause 0x3
	scratch_load_b128 v[4:7], off, s3 offset:28
	scratch_load_b64 v[26:27], off, s3 offset:44
	scratch_load_b96 v[8:10], off, s3 offset:220
	scratch_load_b96 v[12:14], off, s3 offset:232
	s_wait_xcnt 0x0
	s_add_co_i32 s3, s3, 24
	v_add_nc_u32_e32 v2, -2, v2
	s_delay_alu instid0(VALU_DEP_1) | instskip(SKIP_3) | instid1(VALU_DEP_1)
	v_cmp_eq_u32_e32 vcc_lo, 0, v2
	s_or_b32 s2, vcc_lo, s2
	s_wait_loadcnt 0x3
	v_mul_hi_u32 v3, v5, v0
	v_add_nc_u32_e32 v3, v0, v3
	s_delay_alu instid0(VALU_DEP_1) | instskip(SKIP_1) | instid1(VALU_DEP_1)
	v_lshrrev_b32_e32 v3, v6, v3
	s_wait_loadcnt 0x2
	v_mul_hi_u32 v5, v26, v3
	v_mul_lo_u32 v4, v3, v4
	s_delay_alu instid0(VALU_DEP_1) | instskip(NEXT) | instid1(VALU_DEP_1)
	v_dual_add_nc_u32 v5, v3, v5 :: v_dual_sub_nc_u32 v4, v0, v4
	v_lshrrev_b32_e32 v0, v27, v5
	s_wait_loadcnt 0x1
	s_delay_alu instid0(VALU_DEP_2) | instskip(NEXT) | instid1(VALU_DEP_2)
	v_mad_u32 v6, v4, v9, v17
	v_mul_lo_u32 v5, v0, v7
	v_mad_u32 v7, v4, v8, v16
	v_mad_u32 v4, v4, v10, v18
	s_delay_alu instid0(VALU_DEP_3) | instskip(SKIP_1) | instid1(VALU_DEP_1)
	v_sub_nc_u32_e32 v3, v3, v5
	s_wait_loadcnt 0x0
	v_mad_u32 v17, v3, v13, v6
	s_delay_alu instid0(VALU_DEP_4) | instskip(NEXT) | instid1(VALU_DEP_4)
	v_mad_u32 v16, v3, v12, v7
	v_mad_u32 v18, v3, v14, v4
	v_mov_b32_e32 v3, s3
	s_and_not1_b32 exec_lo, exec_lo, s2
	s_cbranch_execnz .LBB276_203
; %bb.204:
	s_or_b32 exec_lo, exec_lo, s2
	v_and_b32_e32 v1, 1, v1
	s_mov_b32 s2, exec_lo
	s_delay_alu instid0(VALU_DEP_1)
	v_cmpx_eq_u32_e32 0, v1
	s_cbranch_execz .LBB276_206
; %bb.205:
	s_clause 0x1
	scratch_load_b96 v[4:6], v3, off offset:28
	scratch_load_b96 v[8:10], v3, off offset:220
	s_wait_loadcnt 0x1
	v_mul_hi_u32 v1, v5, v0
	s_delay_alu instid0(VALU_DEP_1) | instskip(NEXT) | instid1(VALU_DEP_1)
	v_add_nc_u32_e32 v1, v0, v1
	v_lshrrev_b32_e32 v1, v6, v1
	s_delay_alu instid0(VALU_DEP_1) | instskip(NEXT) | instid1(VALU_DEP_1)
	v_mul_lo_u32 v1, v1, v4
	v_sub_nc_u32_e32 v0, v0, v1
	s_wait_loadcnt 0x0
	s_delay_alu instid0(VALU_DEP_1)
	v_mad_u32 v16, v0, v8, v16
	v_mad_u32 v17, v0, v9, v17
	v_mad_u32 v18, v0, v10, v18
.LBB276_206:
	s_wait_xcnt 0x0
	s_or_b32 exec_lo, exec_lo, s2
.LBB276_207:
	s_delay_alu instid0(SALU_CYCLE_1)
	s_or_b32 exec_lo, exec_lo, s1
                                        ; implicit-def: $vgpr0
.LBB276_208:
	s_and_not1_saveexec_b32 s0, s0
	s_cbranch_execz .LBB276_212
; %bb.209:
	s_clause 0x1
	scratch_load_b96 v[2:4], off, off offset:28
	scratch_load_b96 v[6:8], off, off offset:220
	s_mov_b32 s1, exec_lo
	s_wait_loadcnt 0x1
	v_mul_hi_u32 v1, v3, v15
	s_delay_alu instid0(VALU_DEP_1) | instskip(NEXT) | instid1(VALU_DEP_1)
	v_add_nc_u32_e32 v1, v15, v1
	v_lshrrev_b32_e32 v1, v4, v1
	s_delay_alu instid0(VALU_DEP_1) | instskip(NEXT) | instid1(VALU_DEP_1)
	v_mul_lo_u32 v2, v1, v2
	v_sub_nc_u32_e32 v2, v15, v2
	s_wait_loadcnt 0x0
	s_delay_alu instid0(VALU_DEP_1)
	v_mul_lo_u32 v17, v2, v7
	v_mul_lo_u32 v16, v2, v6
	;; [unrolled: 1-line block ×3, first 2 shown]
	s_wait_xcnt 0x0
	v_cmpx_lt_u32_e32 1, v0
	s_cbranch_execz .LBB276_211
; %bb.210:
	s_clause 0x1
	scratch_load_b96 v[2:4], off, off offset:40
	scratch_load_b96 v[6:8], off, off offset:232
	s_wait_loadcnt 0x1
	v_mul_hi_u32 v0, v3, v1
	s_delay_alu instid0(VALU_DEP_1) | instskip(NEXT) | instid1(VALU_DEP_1)
	v_add_nc_u32_e32 v0, v1, v0
	v_lshrrev_b32_e32 v0, v4, v0
	s_delay_alu instid0(VALU_DEP_1) | instskip(NEXT) | instid1(VALU_DEP_1)
	v_mul_lo_u32 v0, v0, v2
	v_sub_nc_u32_e32 v0, v1, v0
	s_wait_loadcnt 0x0
	s_delay_alu instid0(VALU_DEP_1)
	v_mad_u32 v16, v0, v6, v16
	v_mad_u32 v17, v0, v7, v17
	;; [unrolled: 1-line block ×3, first 2 shown]
.LBB276_211:
	s_wait_xcnt 0x0
	s_or_b32 exec_lo, exec_lo, s1
.LBB276_212:
	s_delay_alu instid0(SALU_CYCLE_1)
	s_or_b32 exec_lo, exec_lo, s0
	scratch_load_b32 v0, off, off offset:440
	v_dual_mov_b32 v1, v24 :: v_dual_mov_b32 v2, v25
	v_dual_mov_b32 v3, v22 :: v_dual_mov_b32 v4, v23
	;; [unrolled: 1-line block ×3, first 2 shown]
	s_get_pc_i64 s[0:1]
	s_add_nc_u64 s[0:1], s[0:1], _ZN2at6native6invokeINS0_13BinaryFunctorIN3c1013Float8_e4m3fnES4_bNS0_12_GLOBAL__N_116CompareEqFunctorIS4_EEEEj15function_traitsIS8_EEENT1_11result_typeERKT_PrKPcPKT0_PKNS3_10ScalarTypeEi@rel64+4
	scratch_store_b96 off, v[16:18], off
	s_swap_pc_i64 s[30:31], s[0:1]
	s_wait_xcnt 0x0
	v_dual_mov_b32 v17, 0 :: v_dual_bitop2_b32 v0, 1, v0 bitop3:0x40
	s_mov_b32 s1, 0
	s_mov_b32 s3, s18
	s_mov_b32 s2, exec_lo
	s_delay_alu instid0(VALU_DEP_1)
	v_cmp_eq_u32_e32 vcc_lo, 1, v0
	s_clause 0x1
	scratch_load_b64 v[0:1], off, off offset:416
	scratch_load_u8 v2, off, off offset:444
	s_wait_loadcnt 0x1
	v_add_nc_u64_e32 v[0:1], v[0:1], v[16:17]
	s_wait_loadcnt 0x0
	v_cmpx_lt_i16_e32 10, v2
	s_xor_b32 s2, exec_lo, s2
	s_cbranch_execz .LBB276_2381
; %bb.213:
	s_mov_b32 s3, s18
	s_mov_b32 s4, exec_lo
	v_cmpx_lt_i16_e32 25, v2
	s_xor_b32 s4, exec_lo, s4
	s_cbranch_execz .LBB276_249
; %bb.214:
	s_mov_b32 s5, s18
	s_mov_b32 s3, exec_lo
	;; [unrolled: 6-line block ×3, first 2 shown]
	v_cmpx_lt_i16_e32 43, v2
	s_xor_b32 s5, exec_lo, s5
	s_cbranch_execz .LBB276_227
; %bb.216:
	s_mov_b32 s6, 0
	s_mov_b32 s7, s18
	s_mov_b32 s1, exec_lo
	v_cmpx_lt_i16_e32 45, v2
	s_xor_b32 s1, exec_lo, s1
	s_cbranch_execz .LBB276_220
; %bb.217:
	s_mov_b32 s8, -1
	s_mov_b32 s7, exec_lo
	v_cmpx_eq_u16_e32 46, v2
	s_cbranch_execz .LBB276_219
; %bb.218:
	v_cndmask_b32_e64 v2, 0, 1.0, vcc_lo
	s_mov_b32 s6, exec_lo
	s_xor_b32 s8, exec_lo, -1
	s_delay_alu instid0(VALU_DEP_1) | instskip(NEXT) | instid1(VALU_DEP_1)
	v_bfe_u32 v3, v2, 16, 1
	v_add3_u32 v2, v2, v3, 0x7fff
	s_delay_alu instid0(VALU_DEP_1)
	v_lshrrev_b32_e32 v2, 16, v2
	flat_store_b32 v[0:1], v2
.LBB276_219:
	s_wait_xcnt 0x0
	s_or_b32 exec_lo, exec_lo, s7
	s_delay_alu instid0(SALU_CYCLE_1)
	s_and_not1_b32 s0, s18, exec_lo
	s_and_b32 s7, s8, exec_lo
	s_and_b32 s6, s6, exec_lo
	s_or_b32 s7, s0, s7
                                        ; implicit-def: $vgpr2
                                        ; implicit-def: $vgpr0_vgpr1
.LBB276_220:
	s_and_not1_saveexec_b32 s8, s1
	s_cbranch_execz .LBB276_226
; %bb.221:
	s_mov_b32 s10, -1
	s_mov_b32 s1, s6
	s_mov_b32 s9, exec_lo
	v_cmpx_eq_u16_e32 44, v2
	s_cbranch_execz .LBB276_225
; %bb.222:
	v_cndmask_b32_e64 v4, 0, 1.0, vcc_lo
	s_mov_b32 s10, exec_lo
	s_delay_alu instid0(VALU_DEP_1) | instskip(NEXT) | instid1(VALU_DEP_1)
	v_dual_mov_b32 v3, 0xff :: v_dual_lshrrev_b32 v2, 23, v4
	v_cmpx_ne_u32_e32 0xff, v2
; %bb.223:
	v_and_b32_e32 v3, 0x400000, v4
	v_and_or_b32 v4, 0x3fffff, v4, v2
	s_delay_alu instid0(VALU_DEP_2) | instskip(NEXT) | instid1(VALU_DEP_2)
	v_cmp_ne_u32_e64 s0, 0, v3
	v_cmp_ne_u32_e64 s1, 0, v4
	s_and_b32 s0, s0, s1
	s_delay_alu instid0(SALU_CYCLE_1) | instskip(NEXT) | instid1(VALU_DEP_1)
	v_cndmask_b32_e64 v3, 0, 1, s0
	v_add_nc_u32_e32 v3, v2, v3
; %bb.224:
	s_or_b32 exec_lo, exec_lo, s10
	s_delay_alu instid0(SALU_CYCLE_1)
	s_xor_b32 s10, exec_lo, -1
	s_or_b32 s1, s6, exec_lo
	flat_store_b8 v[0:1], v3
.LBB276_225:
	s_wait_xcnt 0x0
	s_or_b32 exec_lo, exec_lo, s9
	s_delay_alu instid0(SALU_CYCLE_1)
	s_and_not1_b32 s0, s7, exec_lo
	s_and_b32 s7, s10, exec_lo
	s_and_not1_b32 s6, s6, exec_lo
	s_and_b32 s1, s1, exec_lo
	s_or_b32 s7, s0, s7
	s_or_b32 s6, s6, s1
.LBB276_226:
	s_or_b32 exec_lo, exec_lo, s8
	s_delay_alu instid0(SALU_CYCLE_1) | instskip(SKIP_1) | instid1(SALU_CYCLE_1)
	s_and_not1_b32 s0, s18, exec_lo
	s_and_b32 s1, s7, exec_lo
                                        ; implicit-def: $vgpr2
                                        ; implicit-def: $vgpr0_vgpr1
	s_or_b32 s7, s0, s1
	s_and_b32 s1, s6, exec_lo
.LBB276_227:
	s_and_not1_saveexec_b32 s5, s5
	s_cbranch_execz .LBB276_231
; %bb.228:
	s_mov_b32 s9, -1
	s_mov_b32 s6, s1
	s_mov_b32 s8, exec_lo
	v_cmpx_eq_u16_e32 29, v2
	s_cbranch_execz .LBB276_230
; %bb.229:
	s_mov_b32 s0, 0
	v_cndmask_b32_e64 v2, 0, 1, vcc_lo
	v_mov_b32_e32 v3, s0
	s_xor_b32 s9, exec_lo, -1
	s_or_b32 s6, s1, exec_lo
	flat_store_b64 v[0:1], v[2:3]
.LBB276_230:
	s_wait_xcnt 0x0
	s_or_b32 exec_lo, exec_lo, s8
	s_delay_alu instid0(SALU_CYCLE_1)
	s_and_not1_b32 s0, s7, exec_lo
	s_and_b32 s7, s9, exec_lo
	s_and_not1_b32 s1, s1, exec_lo
	s_and_b32 s6, s6, exec_lo
	s_or_b32 s7, s0, s7
	s_or_b32 s1, s1, s6
.LBB276_231:
	s_or_b32 exec_lo, exec_lo, s5
	s_delay_alu instid0(SALU_CYCLE_1)
	s_and_not1_b32 s0, s18, exec_lo
	s_and_b32 s5, s7, exec_lo
	s_and_b32 s1, s1, exec_lo
	s_or_b32 s5, s0, s5
                                        ; implicit-def: $vgpr0_vgpr1
                                        ; implicit-def: $vgpr2
.LBB276_232:
	s_and_not1_saveexec_b32 s3, s3
	s_cbranch_execz .LBB276_248
; %bb.233:
	s_mov_b32 s6, exec_lo
	v_cmpx_lt_i16_e32 26, v2
	s_xor_b32 s6, exec_lo, s6
	s_cbranch_execz .LBB276_239
; %bb.234:
	v_cmp_lt_i16_e64 s0, 27, v2
	s_and_saveexec_b32 s7, s0
	s_delay_alu instid0(SALU_CYCLE_1)
	s_xor_b32 s0, exec_lo, s7
	s_cbranch_execz .LBB276_236
; %bb.235:
	v_cndmask_b32_e64 v2, 0, 1, vcc_lo
	flat_store_b32 v[0:1], v2
                                        ; implicit-def: $vgpr0_vgpr1
.LBB276_236:
	s_wait_xcnt 0x0
	s_and_not1_saveexec_b32 s0, s0
	s_cbranch_execz .LBB276_238
; %bb.237:
	v_cndmask_b32_e64 v2, 0, 1, vcc_lo
	flat_store_b16 v[0:1], v2
.LBB276_238:
	s_wait_xcnt 0x0
	s_or_b32 exec_lo, exec_lo, s0
                                        ; implicit-def: $vgpr0_vgpr1
.LBB276_239:
	s_and_not1_saveexec_b32 s6, s6
	s_cbranch_execz .LBB276_247
; %bb.240:
	v_cndmask_b32_e64 v3, 0, 1.0, vcc_lo
	v_mov_b32_e32 v4, 0x80
	s_mov_b32 s7, exec_lo
	s_delay_alu instid0(VALU_DEP_2)
	v_cmpx_gt_u32_e32 0x43800000, v3
	s_cbranch_execz .LBB276_246
; %bb.241:
	v_cmp_lt_u32_e64 s0, 0x3bffffff, v3
	s_mov_b32 s8, 0
                                        ; implicit-def: $vgpr2
	s_and_saveexec_b32 s9, s0
	s_delay_alu instid0(SALU_CYCLE_1)
	s_xor_b32 s0, exec_lo, s9
	s_cbranch_execz .LBB276_2692
; %bb.242:
	v_bfe_u32 v2, v3, 20, 1
	s_mov_b32 s8, exec_lo
	s_delay_alu instid0(VALU_DEP_1) | instskip(NEXT) | instid1(VALU_DEP_1)
	v_add3_u32 v2, v3, v2, 0x487ffff
                                        ; implicit-def: $vgpr3
	v_lshrrev_b32_e32 v2, 20, v2
	s_and_not1_saveexec_b32 s9, s0
	s_cbranch_execnz .LBB276_2693
.LBB276_243:
	s_or_b32 exec_lo, exec_lo, s9
	v_mov_b32_e32 v4, 0
	s_and_saveexec_b32 s0, s8
.LBB276_244:
	v_mov_b32_e32 v4, v2
.LBB276_245:
	s_or_b32 exec_lo, exec_lo, s0
.LBB276_246:
	s_delay_alu instid0(SALU_CYCLE_1)
	s_or_b32 exec_lo, exec_lo, s7
	flat_store_b8 v[0:1], v4
.LBB276_247:
	s_wait_xcnt 0x0
	s_or_b32 exec_lo, exec_lo, s6
	s_delay_alu instid0(SALU_CYCLE_1)
	s_or_b32 s1, s1, exec_lo
.LBB276_248:
	s_or_b32 exec_lo, exec_lo, s3
	s_delay_alu instid0(SALU_CYCLE_1)
	s_and_not1_b32 s0, s18, exec_lo
	s_and_b32 s3, s5, exec_lo
	s_and_b32 s1, s1, exec_lo
	s_or_b32 s3, s0, s3
                                        ; implicit-def: $vgpr2
                                        ; implicit-def: $vgpr0_vgpr1
.LBB276_249:
	s_and_not1_saveexec_b32 s4, s4
	s_cbranch_execz .LBB276_293
; %bb.250:
	s_mov_b32 s6, s1
	s_mov_b32 s5, exec_lo
	v_cmpx_lt_i16_e32 22, v2
	s_xor_b32 s5, exec_lo, s5
	s_cbranch_execz .LBB276_282
; %bb.251:
	s_mov_b32 s6, exec_lo
	v_cmpx_lt_i16_e32 23, v2
	s_xor_b32 s6, exec_lo, s6
	s_cbranch_execz .LBB276_271
; %bb.252:
	s_mov_b32 s7, exec_lo
	v_cmpx_lt_i16_e32 24, v2
	s_xor_b32 s7, exec_lo, s7
	s_cbranch_execz .LBB276_260
; %bb.253:
	v_cndmask_b32_e64 v3, 0, 1.0, vcc_lo
	v_mov_b32_e32 v4, 0x80
	s_mov_b32 s8, exec_lo
	s_delay_alu instid0(VALU_DEP_2)
	v_cmpx_gt_u32_e32 0x47800000, v3
	s_cbranch_execz .LBB276_259
; %bb.254:
	v_cmp_lt_u32_e64 s0, 0x37ffffff, v3
	s_mov_b32 s9, 0
                                        ; implicit-def: $vgpr2
	s_and_saveexec_b32 s10, s0
	s_delay_alu instid0(SALU_CYCLE_1)
	s_xor_b32 s0, exec_lo, s10
	s_cbranch_execz .LBB276_2741
; %bb.255:
	v_bfe_u32 v2, v3, 21, 1
	s_mov_b32 s9, exec_lo
	s_delay_alu instid0(VALU_DEP_1) | instskip(NEXT) | instid1(VALU_DEP_1)
	v_add3_u32 v2, v3, v2, 0x88fffff
                                        ; implicit-def: $vgpr3
	v_lshrrev_b32_e32 v2, 21, v2
	s_and_not1_saveexec_b32 s10, s0
	s_cbranch_execnz .LBB276_2742
.LBB276_256:
	s_or_b32 exec_lo, exec_lo, s10
	v_mov_b32_e32 v4, 0
	s_and_saveexec_b32 s0, s9
.LBB276_257:
	v_mov_b32_e32 v4, v2
.LBB276_258:
	s_or_b32 exec_lo, exec_lo, s0
.LBB276_259:
	s_delay_alu instid0(SALU_CYCLE_1)
	s_or_b32 exec_lo, exec_lo, s8
	flat_store_b8 v[0:1], v4
                                        ; implicit-def: $vgpr0_vgpr1
.LBB276_260:
	s_wait_xcnt 0x0
	s_and_not1_saveexec_b32 s7, s7
	s_cbranch_execz .LBB276_270
; %bb.261:
	v_cndmask_b32_e64 v3, 0, 1.0, vcc_lo
	s_mov_b32 s8, exec_lo
                                        ; implicit-def: $vgpr2
	s_delay_alu instid0(VALU_DEP_1)
	v_cmpx_gt_u32_e32 0x43f00000, v3
	s_xor_b32 s8, exec_lo, s8
	s_cbranch_execz .LBB276_267
; %bb.262:
	s_mov_b32 s9, exec_lo
                                        ; implicit-def: $vgpr2
	v_cmpx_lt_u32_e32 0x3c7fffff, v3
	s_xor_b32 s9, exec_lo, s9
; %bb.263:
	v_bfe_u32 v2, v3, 20, 1
	s_delay_alu instid0(VALU_DEP_1) | instskip(NEXT) | instid1(VALU_DEP_1)
	v_add3_u32 v2, v3, v2, 0x407ffff
	v_and_b32_e32 v3, 0xff00000, v2
	v_lshrrev_b32_e32 v2, 20, v2
	s_delay_alu instid0(VALU_DEP_2) | instskip(NEXT) | instid1(VALU_DEP_1)
	v_cmp_ne_u32_e64 s0, 0x7f00000, v3
                                        ; implicit-def: $vgpr3
	v_cndmask_b32_e64 v2, 0x7e, v2, s0
; %bb.264:
	s_and_not1_saveexec_b32 s0, s9
; %bb.265:
	v_add_f32_e32 v2, 0x46800000, v3
; %bb.266:
	s_or_b32 exec_lo, exec_lo, s0
                                        ; implicit-def: $vgpr3
.LBB276_267:
	s_and_not1_saveexec_b32 s8, s8
; %bb.268:
	v_mov_b32_e32 v2, 0x7f
	v_cmp_lt_u32_e64 s0, 0x7f800000, v3
	s_delay_alu instid0(VALU_DEP_1)
	v_cndmask_b32_e64 v2, 0x7e, v2, s0
; %bb.269:
	s_or_b32 exec_lo, exec_lo, s8
	flat_store_b8 v[0:1], v2
.LBB276_270:
	s_wait_xcnt 0x0
	s_or_b32 exec_lo, exec_lo, s7
                                        ; implicit-def: $vgpr0_vgpr1
.LBB276_271:
	s_and_not1_saveexec_b32 s6, s6
	s_cbranch_execz .LBB276_281
; %bb.272:
	v_cndmask_b32_e64 v3, 0, 1.0, vcc_lo
	s_mov_b32 s7, exec_lo
                                        ; implicit-def: $vgpr2
	s_delay_alu instid0(VALU_DEP_1)
	v_cmpx_gt_u32_e32 0x47800000, v3
	s_xor_b32 s7, exec_lo, s7
	s_cbranch_execz .LBB276_278
; %bb.273:
	v_cmp_lt_u32_e64 s0, 0x387fffff, v3
                                        ; implicit-def: $vgpr2
	s_and_saveexec_b32 s8, s0
	s_delay_alu instid0(SALU_CYCLE_1)
	s_xor_b32 s0, exec_lo, s8
; %bb.274:
	v_bfe_u32 v2, v3, 21, 1
	s_delay_alu instid0(VALU_DEP_1) | instskip(NEXT) | instid1(VALU_DEP_1)
	v_add3_u32 v2, v3, v2, 0x80fffff
                                        ; implicit-def: $vgpr3
	v_lshrrev_b32_e32 v2, 21, v2
; %bb.275:
	s_and_not1_saveexec_b32 s0, s0
; %bb.276:
	v_add_f32_e32 v2, 0x43000000, v3
; %bb.277:
	s_or_b32 exec_lo, exec_lo, s0
                                        ; implicit-def: $vgpr3
.LBB276_278:
	s_and_not1_saveexec_b32 s7, s7
; %bb.279:
	v_mov_b32_e32 v2, 0x7f
	v_cmp_lt_u32_e64 s0, 0x7f800000, v3
	s_delay_alu instid0(VALU_DEP_1)
	v_cndmask_b32_e64 v2, 0x7c, v2, s0
; %bb.280:
	s_or_b32 exec_lo, exec_lo, s7
	flat_store_b8 v[0:1], v2
.LBB276_281:
	s_wait_xcnt 0x0
	s_or_b32 exec_lo, exec_lo, s6
	s_delay_alu instid0(SALU_CYCLE_1)
	s_or_b32 s6, s1, exec_lo
                                        ; implicit-def: $vgpr2
                                        ; implicit-def: $vgpr0_vgpr1
.LBB276_282:
	s_or_saveexec_b32 s5, s5
	s_mov_b32 s0, s3
	s_xor_b32 exec_lo, exec_lo, s5
	s_cbranch_execz .LBB276_292
; %bb.283:
	s_mov_b32 s7, s6
	s_mov_b32 s8, s3
	s_mov_b32 s9, exec_lo
	v_cmpx_lt_i16_e32 14, v2
	s_xor_b32 s9, exec_lo, s9
	s_cbranch_execz .LBB276_287
; %bb.284:
	s_mov_b32 s8, -1
	s_mov_b32 s7, s6
	s_mov_b32 s10, exec_lo
	v_cmpx_eq_u16_e32 15, v2
	s_cbranch_execz .LBB276_286
; %bb.285:
	v_cndmask_b32_e64 v2, 0, 1.0, vcc_lo
	s_xor_b32 s8, exec_lo, -1
	s_or_b32 s7, s6, exec_lo
	s_delay_alu instid0(VALU_DEP_1) | instskip(NEXT) | instid1(VALU_DEP_1)
	v_bfe_u32 v3, v2, 16, 1
	v_add3_u32 v2, v2, v3, 0x7fff
	flat_store_d16_hi_b16 v[0:1], v2
.LBB276_286:
	s_wait_xcnt 0x0
	s_or_b32 exec_lo, exec_lo, s10
	s_delay_alu instid0(SALU_CYCLE_1)
	s_and_not1_b32 s0, s3, exec_lo
	s_and_b32 s8, s8, exec_lo
	s_and_not1_b32 s10, s6, exec_lo
	s_and_b32 s7, s7, exec_lo
	s_or_b32 s8, s0, s8
	s_or_b32 s7, s10, s7
                                        ; implicit-def: $vgpr2
                                        ; implicit-def: $vgpr0_vgpr1
.LBB276_287:
	s_and_not1_saveexec_b32 s9, s9
	s_cbranch_execz .LBB276_291
; %bb.288:
	s_mov_b32 s11, -1
	s_mov_b32 s10, s7
	s_mov_b32 s12, exec_lo
	v_cmpx_eq_u16_e32 11, v2
	s_cbranch_execz .LBB276_290
; %bb.289:
	v_cndmask_b32_e64 v2, 0, 1, vcc_lo
	s_xor_b32 s11, exec_lo, -1
	s_or_b32 s10, s7, exec_lo
	flat_store_b8 v[0:1], v2
.LBB276_290:
	s_wait_xcnt 0x0
	s_or_b32 exec_lo, exec_lo, s12
	s_delay_alu instid0(SALU_CYCLE_1)
	s_and_not1_b32 s0, s8, exec_lo
	s_and_b32 s8, s11, exec_lo
	s_and_not1_b32 s7, s7, exec_lo
	s_and_b32 s10, s10, exec_lo
	s_or_b32 s8, s0, s8
	s_or_b32 s7, s7, s10
.LBB276_291:
	s_or_b32 exec_lo, exec_lo, s9
	s_delay_alu instid0(SALU_CYCLE_1)
	s_and_not1_b32 s0, s3, exec_lo
	s_and_b32 s8, s8, exec_lo
	s_and_not1_b32 s6, s6, exec_lo
	s_and_b32 s7, s7, exec_lo
	s_or_b32 s0, s0, s8
	s_or_b32 s6, s6, s7
.LBB276_292:
	s_or_b32 exec_lo, exec_lo, s5
	s_delay_alu instid0(SALU_CYCLE_1)
	s_and_not1_b32 s3, s3, exec_lo
	s_and_b32 s0, s0, exec_lo
	s_and_not1_b32 s1, s1, exec_lo
	s_and_b32 s5, s6, exec_lo
	s_or_b32 s3, s3, s0
	s_or_b32 s1, s1, s5
.LBB276_293:
	s_or_b32 exec_lo, exec_lo, s4
	s_delay_alu instid0(SALU_CYCLE_1)
	s_and_not1_b32 s0, s18, exec_lo
	s_and_b32 s3, s3, exec_lo
	s_and_b32 s1, s1, exec_lo
	s_or_b32 s3, s0, s3
                                        ; implicit-def: $vgpr2
                                        ; implicit-def: $vgpr0_vgpr1
	s_and_not1_saveexec_b32 s2, s2
	s_cbranch_execnz .LBB276_2382
.LBB276_294:
	s_or_b32 exec_lo, exec_lo, s2
	s_mov_b32 s0, 0
	s_and_saveexec_b32 s2, s1
.LBB276_295:
	v_add_nc_u32_e32 v15, 0x80, v15
	s_mov_b32 s0, exec_lo
.LBB276_296:
	s_or_b32 exec_lo, exec_lo, s2
	s_delay_alu instid0(SALU_CYCLE_1)
	s_and_not1_b32 s1, s18, exec_lo
	s_and_b32 s2, s3, exec_lo
	s_or_not1_b32 s3, s0, exec_lo
	s_or_b32 s21, s1, s2
.LBB276_297:
	s_or_b32 exec_lo, exec_lo, s20
	s_mov_b32 s0, 0
	s_mov_b32 s2, 0
	;; [unrolled: 1-line block ×3, first 2 shown]
                                        ; implicit-def: $sgpr1
                                        ; implicit-def: $vgpr4
                                        ; implicit-def: $vgpr0_vgpr1
	s_and_saveexec_b32 s20, s3
	s_cbranch_execz .LBB276_393
; %bb.298:
	s_mov_b32 s3, s21
	s_mov_b32 s22, exec_lo
                                        ; implicit-def: $sgpr1
                                        ; implicit-def: $vgpr4
                                        ; implicit-def: $vgpr0_vgpr1
	v_cmpx_gt_i32_e64 s28, v15
	s_cbranch_execz .LBB276_392
; %bb.299:
	scratch_load_b32 v0, off, off offset:24
	s_mov_b32 s0, exec_lo
                                        ; implicit-def: $vgpr17
	s_wait_loadcnt 0x0
	v_add_nc_u32_e32 v1, -1, v0
	s_wait_xcnt 0x0
	s_delay_alu instid0(VALU_DEP_1)
	v_cmpx_lt_u32_e32 1, v1
	s_xor_b32 s0, exec_lo, s0
	s_cbranch_execz .LBB276_307
; %bb.300:
	v_dual_mov_b32 v17, 0 :: v_dual_mov_b32 v16, 0
	v_mov_b32_e32 v18, 0
	s_mov_b32 s1, exec_lo
	v_cmpx_ne_u32_e32 0, v0
	s_cbranch_execz .LBB276_306
; %bb.301:
	v_min_u32_e32 v0, 15, v1
	v_mov_b32_e32 v17, 0
	s_sub_co_i32 s3, 24, 24
	s_delay_alu instid0(VALU_DEP_2) | instskip(NEXT) | instid1(VALU_DEP_1)
	v_dual_mov_b32 v18, 0 :: v_dual_add_nc_u32 v1, 1, v0
	v_dual_mov_b32 v16, 0 :: v_dual_bitop2_b32 v1, 30, v1 bitop3:0x40
.LBB276_302:                            ; =>This Inner Loop Header: Depth=1
	s_clause 0x3
	scratch_load_b128 v[2:5], off, s3 offset:28
	scratch_load_b64 v[26:27], off, s3 offset:44
	scratch_load_b96 v[6:8], off, s3 offset:220
	scratch_load_b96 v[10:12], off, s3 offset:232
	s_wait_xcnt 0x0
	s_add_co_i32 s3, s3, 24
	v_add_nc_u32_e32 v1, -2, v1
	s_delay_alu instid0(VALU_DEP_1) | instskip(SKIP_3) | instid1(VALU_DEP_1)
	v_cmp_eq_u32_e32 vcc_lo, 0, v1
	s_or_b32 s2, vcc_lo, s2
	s_wait_loadcnt 0x3
	v_mul_hi_u32 v3, v3, v15
	v_add_nc_u32_e32 v3, v15, v3
	s_delay_alu instid0(VALU_DEP_1) | instskip(SKIP_1) | instid1(VALU_DEP_1)
	v_lshrrev_b32_e32 v3, v4, v3
	s_wait_loadcnt 0x2
	v_mul_hi_u32 v4, v26, v3
	v_mul_lo_u32 v2, v3, v2
	s_delay_alu instid0(VALU_DEP_2) | instskip(NEXT) | instid1(VALU_DEP_2)
	v_add_nc_u32_e32 v4, v3, v4
	v_sub_nc_u32_e32 v2, v15, v2
	s_delay_alu instid0(VALU_DEP_2) | instskip(SKIP_1) | instid1(VALU_DEP_2)
	v_lshrrev_b32_e32 v15, v27, v4
	s_wait_loadcnt 0x1
	v_mad_u32 v6, v2, v6, v16
	s_delay_alu instid0(VALU_DEP_2) | instskip(SKIP_2) | instid1(VALU_DEP_3)
	v_mul_lo_u32 v4, v15, v5
	v_mad_u32 v5, v2, v7, v17
	v_mad_u32 v2, v2, v8, v18
	v_sub_nc_u32_e32 v3, v3, v4
	s_wait_loadcnt 0x0
	s_delay_alu instid0(VALU_DEP_1)
	v_mad_u32 v18, v3, v12, v2
	v_mov_b32_e32 v2, s3
	v_mad_u32 v17, v3, v11, v5
	v_mad_u32 v16, v3, v10, v6
	s_and_not1_b32 exec_lo, exec_lo, s2
	s_cbranch_execnz .LBB276_302
; %bb.303:
	s_or_b32 exec_lo, exec_lo, s2
	v_and_b32_e32 v0, 1, v0
	s_mov_b32 s2, exec_lo
	s_delay_alu instid0(VALU_DEP_1)
	v_cmpx_eq_u32_e32 0, v0
	s_cbranch_execz .LBB276_305
; %bb.304:
	s_clause 0x1
	scratch_load_b96 v[4:6], v2, off offset:28
	scratch_load_b96 v[8:10], v2, off offset:220
	s_wait_loadcnt 0x1
	v_mul_hi_u32 v0, v5, v15
	s_delay_alu instid0(VALU_DEP_1) | instskip(NEXT) | instid1(VALU_DEP_1)
	v_add_nc_u32_e32 v0, v15, v0
	v_lshrrev_b32_e32 v0, v6, v0
	s_delay_alu instid0(VALU_DEP_1) | instskip(NEXT) | instid1(VALU_DEP_1)
	v_mul_lo_u32 v0, v0, v4
	v_sub_nc_u32_e32 v0, v15, v0
	s_wait_loadcnt 0x0
	s_delay_alu instid0(VALU_DEP_1)
	v_mad_u32 v16, v0, v8, v16
	v_mad_u32 v17, v0, v9, v17
	v_mad_u32 v18, v0, v10, v18
.LBB276_305:
	s_wait_xcnt 0x0
	s_or_b32 exec_lo, exec_lo, s2
.LBB276_306:
	s_delay_alu instid0(SALU_CYCLE_1)
	s_or_b32 exec_lo, exec_lo, s1
                                        ; implicit-def: $vgpr15
                                        ; implicit-def: $vgpr0
.LBB276_307:
	s_and_not1_saveexec_b32 s0, s0
	s_cbranch_execz .LBB276_311
; %bb.308:
	s_clause 0x1
	scratch_load_b96 v[2:4], off, off offset:28
	scratch_load_b96 v[6:8], off, off offset:220
	s_mov_b32 s1, exec_lo
	s_wait_loadcnt 0x1
	v_mul_hi_u32 v1, v3, v15
	s_delay_alu instid0(VALU_DEP_1) | instskip(NEXT) | instid1(VALU_DEP_1)
	v_add_nc_u32_e32 v1, v15, v1
	v_lshrrev_b32_e32 v1, v4, v1
	s_delay_alu instid0(VALU_DEP_1) | instskip(NEXT) | instid1(VALU_DEP_1)
	v_mul_lo_u32 v2, v1, v2
	v_sub_nc_u32_e32 v2, v15, v2
	s_wait_loadcnt 0x0
	s_delay_alu instid0(VALU_DEP_1)
	v_mul_lo_u32 v17, v2, v7
	v_mul_lo_u32 v16, v2, v6
	;; [unrolled: 1-line block ×3, first 2 shown]
	s_wait_xcnt 0x0
	v_cmpx_lt_u32_e32 1, v0
	s_cbranch_execz .LBB276_310
; %bb.309:
	s_clause 0x1
	scratch_load_b96 v[2:4], off, off offset:40
	scratch_load_b96 v[6:8], off, off offset:232
	s_wait_loadcnt 0x1
	v_mul_hi_u32 v0, v3, v1
	s_delay_alu instid0(VALU_DEP_1) | instskip(NEXT) | instid1(VALU_DEP_1)
	v_add_nc_u32_e32 v0, v1, v0
	v_lshrrev_b32_e32 v0, v4, v0
	s_delay_alu instid0(VALU_DEP_1) | instskip(NEXT) | instid1(VALU_DEP_1)
	v_mul_lo_u32 v0, v0, v2
	v_sub_nc_u32_e32 v0, v1, v0
	s_wait_loadcnt 0x0
	s_delay_alu instid0(VALU_DEP_1)
	v_mad_u32 v16, v0, v6, v16
	v_mad_u32 v17, v0, v7, v17
	;; [unrolled: 1-line block ×3, first 2 shown]
.LBB276_310:
	s_wait_xcnt 0x0
	s_or_b32 exec_lo, exec_lo, s1
.LBB276_311:
	s_delay_alu instid0(SALU_CYCLE_1)
	s_or_b32 exec_lo, exec_lo, s0
	scratch_load_b32 v0, off, off offset:440
	v_dual_mov_b32 v1, v24 :: v_dual_mov_b32 v2, v25
	v_dual_mov_b32 v3, v22 :: v_dual_mov_b32 v4, v23
	;; [unrolled: 1-line block ×3, first 2 shown]
	s_get_pc_i64 s[0:1]
	s_add_nc_u64 s[0:1], s[0:1], _ZN2at6native6invokeINS0_13BinaryFunctorIN3c1013Float8_e4m3fnES4_bNS0_12_GLOBAL__N_116CompareEqFunctorIS4_EEEEj15function_traitsIS8_EEENT1_11result_typeERKT_PrKPcPKT0_PKNS3_10ScalarTypeEi@rel64+4
	scratch_store_b96 off, v[16:18], off
	s_swap_pc_i64 s[30:31], s[0:1]
	s_wait_xcnt 0x0
	v_dual_mov_b32 v17, 0 :: v_dual_bitop2_b32 v0, 1, v0 bitop3:0x40
	s_mov_b32 s3, -1
	s_mov_b32 s0, 0
	s_mov_b32 s5, s21
	s_delay_alu instid0(VALU_DEP_1)
	v_cmp_eq_u32_e64 s1, 1, v0
	s_clause 0x1
	scratch_load_b64 v[0:1], off, off offset:416
	scratch_load_u8 v4, off, off offset:444
	s_mov_b32 s6, 0
	s_mov_b32 s2, exec_lo
	s_wait_loadcnt 0x1
	v_add_nc_u64_e32 v[0:1], v[0:1], v[16:17]
	s_wait_loadcnt 0x0
	v_cmpx_lt_i16_e32 10, v4
	s_cbranch_execz .LBB276_391
; %bb.312:
	s_mov_b32 s4, 0
	s_mov_b32 s0, s21
	;; [unrolled: 1-line block ×3, first 2 shown]
	s_mov_b32 s5, exec_lo
	v_cmpx_lt_i16_e32 25, v4
	s_xor_b32 s5, exec_lo, s5
	s_cbranch_execz .LBB276_348
; %bb.313:
	s_mov_b32 s0, 0
	s_mov_b32 s6, s21
	s_mov_b32 s3, exec_lo
	v_cmpx_lt_i16_e32 28, v4
	s_xor_b32 s3, exec_lo, s3
	s_cbranch_execz .LBB276_331
; %bb.314:
	s_mov_b32 s7, s21
	s_mov_b32 s6, exec_lo
	v_cmpx_lt_i16_e32 43, v4
	s_xor_b32 s6, exec_lo, s6
	s_cbranch_execz .LBB276_326
; %bb.315:
	s_mov_b32 s7, 0
	s_mov_b32 s8, s21
	s_mov_b32 s0, exec_lo
	v_cmpx_lt_i16_e32 45, v4
	s_xor_b32 s0, exec_lo, s0
	s_cbranch_execz .LBB276_319
; %bb.316:
	s_mov_b32 s8, -1
	s_mov_b32 s9, exec_lo
	v_cmpx_eq_u16_e32 46, v4
	s_cbranch_execz .LBB276_318
; %bb.317:
	v_cndmask_b32_e64 v2, 0, 1.0, s1
	s_mov_b32 s7, exec_lo
	s_xor_b32 s8, exec_lo, -1
	s_delay_alu instid0(VALU_DEP_1) | instskip(NEXT) | instid1(VALU_DEP_1)
	v_bfe_u32 v3, v2, 16, 1
	v_add3_u32 v2, v2, v3, 0x7fff
	s_delay_alu instid0(VALU_DEP_1)
	v_lshrrev_b32_e32 v2, 16, v2
	flat_store_b32 v[0:1], v2
.LBB276_318:
	s_wait_xcnt 0x0
	s_or_b32 exec_lo, exec_lo, s9
	s_delay_alu instid0(SALU_CYCLE_1)
	s_and_not1_b32 s9, s21, exec_lo
	s_and_b32 s8, s8, exec_lo
	s_and_b32 s7, s7, exec_lo
	s_or_b32 s8, s9, s8
.LBB276_319:
	s_and_not1_saveexec_b32 s9, s0
	s_cbranch_execz .LBB276_325
; %bb.320:
	s_mov_b32 s0, -1
	s_mov_b32 s11, s7
	s_mov_b32 s10, exec_lo
	v_cmpx_eq_u16_e32 44, v4
	s_cbranch_execz .LBB276_324
; %bb.321:
	v_cndmask_b32_e64 v5, 0, 1.0, s1
	s_mov_b32 s11, exec_lo
	s_delay_alu instid0(VALU_DEP_1) | instskip(NEXT) | instid1(VALU_DEP_1)
	v_dual_mov_b32 v3, 0xff :: v_dual_lshrrev_b32 v2, 23, v5
	v_cmpx_ne_u32_e32 0xff, v2
; %bb.322:
	v_and_b32_e32 v3, 0x400000, v5
	v_and_or_b32 v5, 0x3fffff, v5, v2
	s_delay_alu instid0(VALU_DEP_2) | instskip(NEXT) | instid1(VALU_DEP_2)
	v_cmp_ne_u32_e32 vcc_lo, 0, v3
	v_cmp_ne_u32_e64 s0, 0, v5
	s_and_b32 s0, vcc_lo, s0
	s_delay_alu instid0(SALU_CYCLE_1) | instskip(NEXT) | instid1(VALU_DEP_1)
	v_cndmask_b32_e64 v3, 0, 1, s0
	v_add_nc_u32_e32 v3, v2, v3
; %bb.323:
	s_or_b32 exec_lo, exec_lo, s11
	s_delay_alu instid0(SALU_CYCLE_1)
	s_or_b32 s11, s7, exec_lo
	s_xor_b32 s0, exec_lo, -1
	flat_store_b8 v[0:1], v3
.LBB276_324:
	s_wait_xcnt 0x0
	s_or_b32 exec_lo, exec_lo, s10
	s_delay_alu instid0(SALU_CYCLE_1)
	s_and_not1_b32 s7, s7, exec_lo
	s_and_b32 s10, s11, exec_lo
	s_and_not1_b32 s8, s8, exec_lo
	s_and_b32 s0, s0, exec_lo
	s_or_b32 s7, s7, s10
	s_or_b32 s8, s8, s0
.LBB276_325:
	s_or_b32 exec_lo, exec_lo, s9
	s_delay_alu instid0(SALU_CYCLE_1)
	s_and_not1_b32 s9, s21, exec_lo
	s_and_b32 s8, s8, exec_lo
	s_and_b32 s0, s7, exec_lo
	s_or_b32 s7, s9, s8
.LBB276_326:
	s_and_not1_saveexec_b32 s6, s6
	s_cbranch_execz .LBB276_330
; %bb.327:
	s_mov_b32 s8, -1
	s_mov_b32 s10, s0
	s_mov_b32 s9, exec_lo
	v_cmpx_eq_u16_e32 29, v4
	s_cbranch_execz .LBB276_329
; %bb.328:
	s_mov_b32 s8, 0
	v_cndmask_b32_e64 v2, 0, 1, s1
	v_mov_b32_e32 v3, s8
	s_or_b32 s10, s0, exec_lo
	s_xor_b32 s8, exec_lo, -1
	flat_store_b64 v[0:1], v[2:3]
.LBB276_329:
	s_wait_xcnt 0x0
	s_or_b32 exec_lo, exec_lo, s9
	s_delay_alu instid0(SALU_CYCLE_1)
	s_and_not1_b32 s0, s0, exec_lo
	s_and_b32 s9, s10, exec_lo
	s_and_not1_b32 s7, s7, exec_lo
	s_and_b32 s8, s8, exec_lo
	s_or_b32 s0, s0, s9
	s_or_b32 s7, s7, s8
.LBB276_330:
	s_or_b32 exec_lo, exec_lo, s6
	s_delay_alu instid0(SALU_CYCLE_1)
	s_and_not1_b32 s6, s21, exec_lo
	s_and_b32 s7, s7, exec_lo
	s_and_b32 s0, s0, exec_lo
	s_or_b32 s6, s6, s7
.LBB276_331:
	s_and_not1_saveexec_b32 s3, s3
	s_cbranch_execz .LBB276_347
; %bb.332:
	s_mov_b32 s7, exec_lo
	v_cmpx_lt_i16_e32 26, v4
	s_xor_b32 s7, exec_lo, s7
	s_cbranch_execz .LBB276_338
; %bb.333:
	v_cndmask_b32_e64 v2, 0, 1, s1
	s_mov_b32 s8, exec_lo
	v_cmpx_lt_i16_e32 27, v4
	s_xor_b32 s8, exec_lo, s8
	s_cbranch_execz .LBB276_335
; %bb.334:
	flat_store_b32 v[0:1], v2
                                        ; implicit-def: $vgpr2
.LBB276_335:
	s_wait_xcnt 0x0
	s_and_not1_saveexec_b32 s8, s8
	s_cbranch_execz .LBB276_337
; %bb.336:
	flat_store_b16 v[0:1], v2
.LBB276_337:
	s_wait_xcnt 0x0
	s_or_b32 exec_lo, exec_lo, s8
.LBB276_338:
	s_and_not1_saveexec_b32 s7, s7
	s_cbranch_execz .LBB276_346
; %bb.339:
	v_cndmask_b32_e64 v3, 0, 1.0, s1
	v_mov_b32_e32 v5, 0x80
	s_mov_b32 s8, exec_lo
	s_delay_alu instid0(VALU_DEP_2)
	v_cmpx_gt_u32_e32 0x43800000, v3
	s_cbranch_execz .LBB276_345
; %bb.340:
	s_mov_b32 s9, 0
	s_mov_b32 s10, exec_lo
                                        ; implicit-def: $vgpr2
	v_cmpx_lt_u32_e32 0x3bffffff, v3
	s_xor_b32 s10, exec_lo, s10
	s_cbranch_execz .LBB276_2743
; %bb.341:
	v_bfe_u32 v2, v3, 20, 1
	s_mov_b32 s9, exec_lo
	s_delay_alu instid0(VALU_DEP_1) | instskip(NEXT) | instid1(VALU_DEP_1)
	v_add3_u32 v2, v3, v2, 0x487ffff
                                        ; implicit-def: $vgpr3
	v_lshrrev_b32_e32 v2, 20, v2
	s_and_not1_saveexec_b32 s10, s10
	s_cbranch_execnz .LBB276_2744
.LBB276_342:
	s_or_b32 exec_lo, exec_lo, s10
	v_mov_b32_e32 v5, 0
	s_and_saveexec_b32 s10, s9
.LBB276_343:
	v_mov_b32_e32 v5, v2
.LBB276_344:
	s_or_b32 exec_lo, exec_lo, s10
.LBB276_345:
	s_delay_alu instid0(SALU_CYCLE_1)
	s_or_b32 exec_lo, exec_lo, s8
	flat_store_b8 v[0:1], v5
.LBB276_346:
	s_wait_xcnt 0x0
	s_or_b32 exec_lo, exec_lo, s7
	s_delay_alu instid0(SALU_CYCLE_1)
	s_or_b32 s0, s0, exec_lo
.LBB276_347:
	s_or_b32 exec_lo, exec_lo, s3
	s_delay_alu instid0(SALU_CYCLE_1)
	s_and_not1_b32 s7, s21, exec_lo
	s_and_b32 s6, s6, exec_lo
	s_and_b32 s3, s0, exec_lo
	s_or_b32 s0, s7, s6
.LBB276_348:
	s_and_not1_saveexec_b32 s5, s5
	s_cbranch_execz .LBB276_390
; %bb.349:
	s_mov_b32 s6, s3
	s_mov_b32 s4, exec_lo
	v_cmpx_lt_i16_e32 22, v4
	s_xor_b32 s4, exec_lo, s4
	s_cbranch_execz .LBB276_381
; %bb.350:
	s_mov_b32 s6, exec_lo
	v_cmpx_lt_i16_e32 23, v4
	s_xor_b32 s6, exec_lo, s6
	s_cbranch_execz .LBB276_370
; %bb.351:
	;; [unrolled: 5-line block ×3, first 2 shown]
	v_cndmask_b32_e64 v3, 0, 1.0, s1
	v_mov_b32_e32 v5, 0x80
	s_mov_b32 s8, exec_lo
	s_delay_alu instid0(VALU_DEP_2)
	v_cmpx_gt_u32_e32 0x47800000, v3
	s_cbranch_execz .LBB276_358
; %bb.353:
	s_mov_b32 s9, 0
	s_mov_b32 s10, exec_lo
                                        ; implicit-def: $vgpr2
	v_cmpx_lt_u32_e32 0x37ffffff, v3
	s_xor_b32 s10, exec_lo, s10
	s_cbranch_execz .LBB276_2792
; %bb.354:
	v_bfe_u32 v2, v3, 21, 1
	s_mov_b32 s9, exec_lo
	s_delay_alu instid0(VALU_DEP_1) | instskip(NEXT) | instid1(VALU_DEP_1)
	v_add3_u32 v2, v3, v2, 0x88fffff
                                        ; implicit-def: $vgpr3
	v_lshrrev_b32_e32 v2, 21, v2
	s_and_not1_saveexec_b32 s10, s10
	s_cbranch_execnz .LBB276_2793
.LBB276_355:
	s_or_b32 exec_lo, exec_lo, s10
	v_mov_b32_e32 v5, 0
	s_and_saveexec_b32 s10, s9
.LBB276_356:
	v_mov_b32_e32 v5, v2
.LBB276_357:
	s_or_b32 exec_lo, exec_lo, s10
.LBB276_358:
	s_delay_alu instid0(SALU_CYCLE_1)
	s_or_b32 exec_lo, exec_lo, s8
	flat_store_b8 v[0:1], v5
.LBB276_359:
	s_wait_xcnt 0x0
	s_and_not1_saveexec_b32 s7, s7
	s_cbranch_execz .LBB276_369
; %bb.360:
	v_cndmask_b32_e64 v3, 0, 1.0, s1
	s_mov_b32 s8, exec_lo
                                        ; implicit-def: $vgpr2
	s_delay_alu instid0(VALU_DEP_1)
	v_cmpx_gt_u32_e32 0x43f00000, v3
	s_xor_b32 s8, exec_lo, s8
	s_cbranch_execz .LBB276_366
; %bb.361:
	s_mov_b32 s9, exec_lo
                                        ; implicit-def: $vgpr2
	v_cmpx_lt_u32_e32 0x3c7fffff, v3
	s_xor_b32 s9, exec_lo, s9
; %bb.362:
	v_bfe_u32 v2, v3, 20, 1
	s_delay_alu instid0(VALU_DEP_1) | instskip(NEXT) | instid1(VALU_DEP_1)
	v_add3_u32 v2, v3, v2, 0x407ffff
	v_and_b32_e32 v3, 0xff00000, v2
	v_lshrrev_b32_e32 v2, 20, v2
	s_delay_alu instid0(VALU_DEP_2) | instskip(NEXT) | instid1(VALU_DEP_2)
	v_cmp_ne_u32_e32 vcc_lo, 0x7f00000, v3
                                        ; implicit-def: $vgpr3
	v_cndmask_b32_e32 v2, 0x7e, v2, vcc_lo
; %bb.363:
	s_and_not1_saveexec_b32 s9, s9
; %bb.364:
	v_add_f32_e32 v2, 0x46800000, v3
; %bb.365:
	s_or_b32 exec_lo, exec_lo, s9
                                        ; implicit-def: $vgpr3
.LBB276_366:
	s_and_not1_saveexec_b32 s8, s8
; %bb.367:
	v_mov_b32_e32 v2, 0x7f
	v_cmp_lt_u32_e32 vcc_lo, 0x7f800000, v3
	s_delay_alu instid0(VALU_DEP_2)
	v_cndmask_b32_e32 v2, 0x7e, v2, vcc_lo
; %bb.368:
	s_or_b32 exec_lo, exec_lo, s8
	flat_store_b8 v[0:1], v2
.LBB276_369:
	s_wait_xcnt 0x0
	s_or_b32 exec_lo, exec_lo, s7
.LBB276_370:
	s_and_not1_saveexec_b32 s6, s6
	s_cbranch_execz .LBB276_380
; %bb.371:
	v_cndmask_b32_e64 v3, 0, 1.0, s1
	s_mov_b32 s7, exec_lo
                                        ; implicit-def: $vgpr2
	s_delay_alu instid0(VALU_DEP_1)
	v_cmpx_gt_u32_e32 0x47800000, v3
	s_xor_b32 s7, exec_lo, s7
	s_cbranch_execz .LBB276_377
; %bb.372:
	s_mov_b32 s8, exec_lo
                                        ; implicit-def: $vgpr2
	v_cmpx_lt_u32_e32 0x387fffff, v3
	s_xor_b32 s8, exec_lo, s8
; %bb.373:
	v_bfe_u32 v2, v3, 21, 1
	s_delay_alu instid0(VALU_DEP_1) | instskip(NEXT) | instid1(VALU_DEP_1)
	v_add3_u32 v2, v3, v2, 0x80fffff
                                        ; implicit-def: $vgpr3
	v_lshrrev_b32_e32 v2, 21, v2
; %bb.374:
	s_and_not1_saveexec_b32 s8, s8
; %bb.375:
	v_add_f32_e32 v2, 0x43000000, v3
; %bb.376:
	s_or_b32 exec_lo, exec_lo, s8
                                        ; implicit-def: $vgpr3
.LBB276_377:
	s_and_not1_saveexec_b32 s7, s7
; %bb.378:
	v_mov_b32_e32 v2, 0x7f
	v_cmp_lt_u32_e32 vcc_lo, 0x7f800000, v3
	s_delay_alu instid0(VALU_DEP_2)
	v_cndmask_b32_e32 v2, 0x7c, v2, vcc_lo
; %bb.379:
	s_or_b32 exec_lo, exec_lo, s7
	flat_store_b8 v[0:1], v2
.LBB276_380:
	s_wait_xcnt 0x0
	s_or_b32 exec_lo, exec_lo, s6
	s_delay_alu instid0(SALU_CYCLE_1)
	s_or_b32 s6, s3, exec_lo
.LBB276_381:
	s_or_saveexec_b32 s4, s4
	s_mov_b32 s7, 0
	s_mov_b32 s8, s0
	s_xor_b32 exec_lo, exec_lo, s4
	s_cbranch_execz .LBB276_389
; %bb.382:
	s_mov_b32 s7, s0
	s_mov_b32 s9, s6
	s_mov_b32 s8, exec_lo
	v_cmpx_lt_i16_e32 14, v4
	s_xor_b32 s8, exec_lo, s8
	s_cbranch_execz .LBB276_386
; %bb.383:
	s_mov_b32 s7, -1
	s_mov_b32 s10, s6
	s_mov_b32 s9, exec_lo
	v_cmpx_eq_u16_e32 15, v4
	s_cbranch_execz .LBB276_385
; %bb.384:
	v_cndmask_b32_e64 v2, 0, 1.0, s1
	s_or_b32 s10, s6, exec_lo
	s_xor_b32 s7, exec_lo, -1
	s_delay_alu instid0(VALU_DEP_1) | instskip(NEXT) | instid1(VALU_DEP_1)
	v_bfe_u32 v3, v2, 16, 1
	v_add3_u32 v2, v2, v3, 0x7fff
	flat_store_d16_hi_b16 v[0:1], v2
.LBB276_385:
	s_wait_xcnt 0x0
	s_or_b32 exec_lo, exec_lo, s9
	s_delay_alu instid0(SALU_CYCLE_1)
	s_and_not1_b32 s9, s6, exec_lo
	s_and_b32 s10, s10, exec_lo
	s_and_not1_b32 s11, s0, exec_lo
	s_and_b32 s7, s7, exec_lo
	s_or_b32 s9, s9, s10
	s_or_b32 s7, s11, s7
.LBB276_386:
	s_or_saveexec_b32 s10, s8
	s_mov_b32 s8, 0
	s_xor_b32 exec_lo, exec_lo, s10
; %bb.387:
	v_cmp_ne_u16_e32 vcc_lo, 11, v4
	s_and_not1_b32 s7, s7, exec_lo
	s_mov_b32 s8, exec_lo
	s_and_b32 s11, vcc_lo, exec_lo
	s_delay_alu instid0(SALU_CYCLE_1)
	s_or_b32 s7, s7, s11
; %bb.388:
	s_or_b32 exec_lo, exec_lo, s10
	s_delay_alu instid0(SALU_CYCLE_1)
	s_and_not1_b32 s6, s6, exec_lo
	s_and_b32 s9, s9, exec_lo
	s_and_b32 s10, s7, exec_lo
	s_or_b32 s6, s6, s9
	s_and_not1_b32 s9, s0, exec_lo
	s_and_b32 s7, s8, exec_lo
	s_or_b32 s8, s9, s10
.LBB276_389:
	s_or_b32 exec_lo, exec_lo, s4
	s_delay_alu instid0(SALU_CYCLE_1)
	s_and_not1_b32 s3, s3, exec_lo
	s_and_b32 s4, s6, exec_lo
	s_and_not1_b32 s0, s0, exec_lo
	s_and_b32 s6, s8, exec_lo
	s_or_b32 s3, s3, s4
	s_and_b32 s4, s7, exec_lo
	s_or_b32 s0, s0, s6
.LBB276_390:
	s_or_b32 exec_lo, exec_lo, s5
	s_delay_alu instid0(SALU_CYCLE_1)
	s_and_not1_b32 s5, s21, exec_lo
	s_and_b32 s7, s0, exec_lo
	s_and_b32 s6, s3, exec_lo
	s_xor_b32 s3, exec_lo, -1
	s_and_b32 s0, s4, exec_lo
	s_or_b32 s5, s5, s7
.LBB276_391:
	s_or_b32 exec_lo, exec_lo, s2
	s_delay_alu instid0(SALU_CYCLE_1)
	s_and_b32 s2, s3, exec_lo
	s_and_not1_b32 s3, s21, exec_lo
	s_and_b32 s5, s5, exec_lo
	s_and_b32 s4, s6, exec_lo
	;; [unrolled: 1-line block ×3, first 2 shown]
	s_or_b32 s3, s3, s5
.LBB276_392:
	s_or_b32 exec_lo, exec_lo, s22
	s_delay_alu instid0(SALU_CYCLE_1)
	s_and_not1_b32 s5, s21, exec_lo
	s_and_b32 s3, s3, exec_lo
	s_and_b32 s4, s4, exec_lo
	;; [unrolled: 1-line block ×4, first 2 shown]
	s_or_b32 s21, s5, s3
.LBB276_393:
	s_or_b32 exec_lo, exec_lo, s20
	s_delay_alu instid0(SALU_CYCLE_1)
	s_and_not1_b32 s5, s18, exec_lo
	s_and_b32 s6, s21, exec_lo
	s_and_b32 s4, s4, exec_lo
	s_and_b32 s3, s2, exec_lo
	s_and_b32 s2, s0, exec_lo
	s_or_b32 s18, s5, s6
.LBB276_394:
	s_or_b32 exec_lo, exec_lo, s19
	s_delay_alu instid0(SALU_CYCLE_1)
	s_and_b32 s0, s4, exec_lo
	s_and_b32 s4, s3, exec_lo
	s_and_not1_b32 s3, s14, exec_lo
	s_and_b32 s5, s18, exec_lo
	s_and_b32 s18, s2, exec_lo
	s_or_b32 s14, s3, s5
	s_or_b32 exec_lo, exec_lo, s17
	s_mov_b32 s2, 0
	s_and_saveexec_b32 s3, s14
	s_cbranch_execz .LBB276_398
.LBB276_395:
	s_mov_b32 s2, exec_lo
	s_and_not1_b32 s18, s18, exec_lo
	s_trap 2
	s_or_b32 exec_lo, exec_lo, s3
	s_and_saveexec_b32 s3, s18
	s_delay_alu instid0(SALU_CYCLE_1)
	s_xor_b32 s3, exec_lo, s3
	s_cbranch_execnz .LBB276_399
.LBB276_396:
	s_or_b32 exec_lo, exec_lo, s3
	s_and_saveexec_b32 s3, s4
	s_cbranch_execnz .LBB276_400
	s_branch .LBB276_441
.LBB276_397:
	s_or_b32 exec_lo, exec_lo, s17
	s_mov_b32 s2, 0
	s_and_saveexec_b32 s3, s14
	s_cbranch_execnz .LBB276_395
.LBB276_398:
	s_or_b32 exec_lo, exec_lo, s3
	s_and_saveexec_b32 s3, s18
	s_delay_alu instid0(SALU_CYCLE_1)
	s_xor_b32 s3, exec_lo, s3
	s_cbranch_execz .LBB276_396
.LBB276_399:
	v_cndmask_b32_e64 v2, 0, 1, s1
	s_or_b32 s0, s0, exec_lo
	flat_store_b8 v[0:1], v2
	s_wait_xcnt 0x0
	s_or_b32 exec_lo, exec_lo, s3
	s_and_saveexec_b32 s3, s4
	s_cbranch_execz .LBB276_441
.LBB276_400:
	s_mov_b32 s4, exec_lo
	v_cmpx_lt_i16_e32 4, v4
	s_xor_b32 s4, exec_lo, s4
	s_cbranch_execz .LBB276_422
; %bb.401:
	s_mov_b32 s5, s1
	s_mov_b32 s6, exec_lo
	v_cmpx_lt_i16_e32 7, v4
	s_xor_b32 s6, exec_lo, s6
	s_cbranch_execz .LBB276_411
; %bb.402:
	s_mov_b32 s7, s1
	s_mov_b32 s5, exec_lo
	v_cmpx_lt_i16_e32 8, v4
	s_xor_b32 s5, exec_lo, s5
	s_cbranch_execz .LBB276_408
; %bb.403:
	s_mov_b32 s7, exec_lo
	v_cmpx_lt_i16_e32 9, v4
	s_xor_b32 s7, exec_lo, s7
	s_cbranch_execz .LBB276_405
; %bb.404:
	v_cndmask_b32_e64 v2, 0, 1, s1
	v_mov_b32_e32 v8, 0
	s_delay_alu instid0(VALU_DEP_2) | instskip(NEXT) | instid1(VALU_DEP_2)
	v_cvt_f64_u32_e32 v[6:7], v2
	v_mov_b32_e32 v9, v8
	flat_store_b128 v[0:1], v[6:9]
.LBB276_405:
	s_wait_xcnt 0x0
	s_and_not1_saveexec_b32 s7, s7
	s_cbranch_execz .LBB276_407
; %bb.406:
	v_cndmask_b32_e64 v2, 0, 1.0, s1
	v_mov_b32_e32 v3, 0
	flat_store_b64 v[0:1], v[2:3]
.LBB276_407:
	s_wait_xcnt 0x0
	s_or_b32 exec_lo, exec_lo, s7
	s_delay_alu instid0(SALU_CYCLE_1) | instskip(SKIP_1) | instid1(SALU_CYCLE_1)
	s_and_not1_b32 s7, s1, exec_lo
	s_and_b32 s8, s1, exec_lo
	s_or_b32 s7, s7, s8
.LBB276_408:
	s_and_not1_saveexec_b32 s5, s5
	s_cbranch_execz .LBB276_410
; %bb.409:
	v_cndmask_b32_e64 v2, 0, 1.0, s7
	s_delay_alu instid0(VALU_DEP_1) | instskip(NEXT) | instid1(VALU_DEP_1)
	v_cvt_f16_f32_e32 v2, v2
	v_and_b32_e32 v2, 0xffff, v2
	flat_store_b32 v[0:1], v2
.LBB276_410:
	s_wait_xcnt 0x0
	s_or_b32 exec_lo, exec_lo, s5
	s_delay_alu instid0(SALU_CYCLE_1) | instskip(SKIP_1) | instid1(SALU_CYCLE_1)
	s_and_not1_b32 s5, s1, exec_lo
	s_and_b32 s7, s7, exec_lo
	s_or_b32 s5, s5, s7
.LBB276_411:
	s_and_not1_saveexec_b32 s6, s6
	s_cbranch_execz .LBB276_421
; %bb.412:
	s_mov_b32 s8, s5
	s_mov_b32 s7, exec_lo
	v_cmpx_lt_i16_e32 5, v4
	s_xor_b32 s7, exec_lo, s7
	s_cbranch_execz .LBB276_418
; %bb.413:
	s_mov_b32 s8, exec_lo
	v_cmpx_lt_i16_e32 6, v4
	s_xor_b32 s8, exec_lo, s8
	s_cbranch_execz .LBB276_415
; %bb.414:
	v_cndmask_b32_e64 v2, 0, 1, s5
	s_delay_alu instid0(VALU_DEP_1)
	v_cvt_f64_u32_e32 v[2:3], v2
	flat_store_b64 v[0:1], v[2:3]
.LBB276_415:
	s_wait_xcnt 0x0
	s_and_not1_saveexec_b32 s8, s8
	s_cbranch_execz .LBB276_417
; %bb.416:
	v_cndmask_b32_e64 v2, 0, 1.0, s5
	flat_store_b32 v[0:1], v2
.LBB276_417:
	s_wait_xcnt 0x0
	s_or_b32 exec_lo, exec_lo, s8
	s_delay_alu instid0(SALU_CYCLE_1) | instskip(SKIP_1) | instid1(SALU_CYCLE_1)
	s_and_not1_b32 s8, s5, exec_lo
	s_and_b32 s9, s5, exec_lo
	s_or_b32 s8, s8, s9
.LBB276_418:
	s_and_not1_saveexec_b32 s7, s7
	s_cbranch_execz .LBB276_420
; %bb.419:
	v_cndmask_b32_e64 v2, 0, 1.0, s8
	s_delay_alu instid0(VALU_DEP_1)
	v_cvt_f16_f32_e32 v2, v2
	flat_store_b16 v[0:1], v2
.LBB276_420:
	s_wait_xcnt 0x0
	s_or_b32 exec_lo, exec_lo, s7
	s_delay_alu instid0(SALU_CYCLE_1) | instskip(SKIP_1) | instid1(SALU_CYCLE_1)
	s_and_not1_b32 s5, s5, exec_lo
	s_and_b32 s7, s8, exec_lo
	s_or_b32 s5, s5, s7
.LBB276_421:
	s_or_b32 exec_lo, exec_lo, s6
	s_delay_alu instid0(SALU_CYCLE_1) | instskip(SKIP_1) | instid1(SALU_CYCLE_1)
	s_and_not1_b32 s1, s1, exec_lo
	s_and_b32 s5, s5, exec_lo
	s_or_b32 s1, s1, s5
.LBB276_422:
	s_and_not1_saveexec_b32 s4, s4
	s_cbranch_execz .LBB276_440
; %bb.423:
	s_mov_b32 s5, exec_lo
	v_cmpx_lt_i16_e32 1, v4
	s_xor_b32 s5, exec_lo, s5
	s_cbranch_execz .LBB276_433
; %bb.424:
	s_mov_b32 s7, s1
	s_mov_b32 s6, exec_lo
	v_cmpx_lt_i16_e32 2, v4
	s_xor_b32 s6, exec_lo, s6
	s_cbranch_execz .LBB276_430
; %bb.425:
	v_cndmask_b32_e64 v2, 0, 1, s1
	s_mov_b32 s7, exec_lo
	v_cmpx_lt_i16_e32 3, v4
	s_xor_b32 s7, exec_lo, s7
	s_cbranch_execz .LBB276_427
; %bb.426:
	s_mov_b32 s8, 0
	s_delay_alu instid0(SALU_CYCLE_1)
	v_mov_b32_e32 v3, s8
	flat_store_b64 v[0:1], v[2:3]
                                        ; implicit-def: $vgpr0_vgpr1
                                        ; implicit-def: $vgpr2
.LBB276_427:
	s_wait_xcnt 0x0
	s_and_not1_saveexec_b32 s7, s7
	s_cbranch_execz .LBB276_429
; %bb.428:
	flat_store_b32 v[0:1], v2
.LBB276_429:
	s_wait_xcnt 0x0
	s_or_b32 exec_lo, exec_lo, s7
	s_delay_alu instid0(SALU_CYCLE_1) | instskip(SKIP_1) | instid1(SALU_CYCLE_1)
	s_and_not1_b32 s7, s1, exec_lo
	s_and_b32 s8, s1, exec_lo
                                        ; implicit-def: $vgpr0_vgpr1
	s_or_b32 s7, s7, s8
.LBB276_430:
	s_and_not1_saveexec_b32 s6, s6
	s_cbranch_execz .LBB276_432
; %bb.431:
	v_cndmask_b32_e64 v2, 0, 1, s7
	flat_store_b16 v[0:1], v2
.LBB276_432:
	s_wait_xcnt 0x0
	s_or_b32 exec_lo, exec_lo, s6
	s_delay_alu instid0(SALU_CYCLE_1) | instskip(SKIP_1) | instid1(SALU_CYCLE_1)
	s_and_not1_b32 s1, s1, exec_lo
	s_and_b32 s6, s7, exec_lo
                                        ; implicit-def: $vgpr0_vgpr1
	s_or_b32 s1, s1, s6
.LBB276_433:
	s_and_not1_saveexec_b32 s5, s5
	s_cbranch_execz .LBB276_439
; %bb.434:
	v_cndmask_b32_e64 v2, 0, 1, s1
	s_mov_b32 s1, exec_lo
	v_cmpx_lt_i16_e32 0, v4
	s_xor_b32 s1, exec_lo, s1
	s_cbranch_execz .LBB276_436
; %bb.435:
	flat_store_b8 v[0:1], v2
                                        ; implicit-def: $vgpr0_vgpr1
                                        ; implicit-def: $vgpr2
.LBB276_436:
	s_wait_xcnt 0x0
	s_and_not1_saveexec_b32 s1, s1
	s_cbranch_execz .LBB276_438
; %bb.437:
	flat_store_b8 v[0:1], v2
.LBB276_438:
	s_wait_xcnt 0x0
	s_or_b32 exec_lo, exec_lo, s1
.LBB276_439:
	s_delay_alu instid0(SALU_CYCLE_1)
	s_or_b32 exec_lo, exec_lo, s5
.LBB276_440:
	s_delay_alu instid0(SALU_CYCLE_1) | instskip(NEXT) | instid1(SALU_CYCLE_1)
	s_or_b32 exec_lo, exec_lo, s4
	s_or_b32 s0, s0, exec_lo
.LBB276_441:
	s_or_b32 exec_lo, exec_lo, s3
	s_and_saveexec_b32 s1, s0
	s_delay_alu instid0(SALU_CYCLE_1) | instskip(NEXT) | instid1(SALU_CYCLE_1)
	s_xor_b32 s0, exec_lo, s1
	s_or_b32 exec_lo, exec_lo, s0
	s_delay_alu instid0(SALU_CYCLE_1)
	s_and_b32 s14, s2, exec_lo
                                        ; implicit-def: $vgpr1
                                        ; implicit-def: $vgpr15
.LBB276_442:
	s_or_saveexec_b32 s15, s15
	s_mov_b32 s2, 0
	s_mov_b32 s0, 0
                                        ; implicit-def: $sgpr3
                                        ; implicit-def: $vgpr22_vgpr23
                                        ; implicit-def: $vgpr5
	s_xor_b32 exec_lo, exec_lo, s15
	s_cbranch_execz .LBB276_483
; %bb.443:
	scratch_load_b32 v3, off, off offset:24
                                        ; implicit-def: $vgpr12
                                        ; implicit-def: $vgpr2
                                        ; implicit-def: $vgpr28
	s_wait_loadcnt 0x0
	v_add_nc_u32_e32 v5, -1, v3
	s_delay_alu instid0(VALU_DEP_1) | instskip(SKIP_2) | instid1(SALU_CYCLE_1)
	v_cmp_lt_u32_e32 vcc_lo, 1, v5
	s_wait_xcnt 0x0
	s_and_saveexec_b32 s0, vcc_lo
	s_xor_b32 s1, exec_lo, s0
	s_cbranch_execz .LBB276_451
; %bb.444:
	v_dual_mov_b32 v12, 0 :: v_dual_mov_b32 v2, 0
	v_mov_b32_e32 v28, 0
	s_mov_b32 s2, exec_lo
	v_cmpx_ne_u32_e32 0, v3
	s_cbranch_execz .LBB276_450
; %bb.445:
	v_min_u32_e32 v4, 15, v5
	v_dual_mov_b32 v2, 0 :: v_dual_mov_b32 v12, 0
	s_sub_co_i32 s4, 24, 24
	s_mov_b32 s3, 0
	s_delay_alu instid0(VALU_DEP_2) | instskip(NEXT) | instid1(VALU_DEP_1)
	v_dual_add_nc_u32 v0, 1, v4 :: v_dual_mov_b32 v28, 0
	v_dual_mov_b32 v0, v15 :: v_dual_bitop2_b32 v6, 30, v0 bitop3:0x40
.LBB276_446:                            ; =>This Inner Loop Header: Depth=1
	s_clause 0x3
	scratch_load_b128 v[8:11], off, s4 offset:28
	scratch_load_b64 v[20:21], off, s4 offset:44
	scratch_load_b128 v[16:19], off, s4 offset:220
	scratch_load_b64 v[22:23], off, s4 offset:236
	s_wait_xcnt 0x0
	s_add_co_i32 s4, s4, 24
	v_add_nc_u32_e32 v6, -2, v6
	s_delay_alu instid0(VALU_DEP_1) | instskip(SKIP_3) | instid1(VALU_DEP_1)
	v_cmp_eq_u32_e64 s0, 0, v6
	s_or_b32 s3, s0, s3
	s_wait_loadcnt 0x3
	v_mul_hi_u32 v7, v9, v0
	v_add_nc_u32_e32 v7, v0, v7
	s_delay_alu instid0(VALU_DEP_1) | instskip(SKIP_1) | instid1(VALU_DEP_1)
	v_lshrrev_b32_e32 v7, v10, v7
	s_wait_loadcnt 0x2
	v_mul_hi_u32 v9, v20, v7
	v_mul_lo_u32 v8, v7, v8
	s_delay_alu instid0(VALU_DEP_1) | instskip(NEXT) | instid1(VALU_DEP_1)
	v_dual_add_nc_u32 v9, v7, v9 :: v_dual_sub_nc_u32 v8, v0, v8
	v_lshrrev_b32_e32 v0, v21, v9
	s_wait_loadcnt 0x1
	s_delay_alu instid0(VALU_DEP_2) | instskip(SKIP_1) | instid1(VALU_DEP_3)
	v_mad_u32 v10, v8, v16, v28
	v_mad_u32 v2, v8, v17, v2
	v_mul_lo_u32 v9, v0, v11
	v_mad_u32 v11, v8, v18, v12
	s_delay_alu instid0(VALU_DEP_2) | instskip(NEXT) | instid1(VALU_DEP_1)
	v_sub_nc_u32_e32 v7, v7, v9
	v_mad_u32 v28, v7, v19, v10
	s_wait_loadcnt 0x0
	s_delay_alu instid0(VALU_DEP_3)
	v_mad_u32 v12, v7, v23, v11
	v_mad_u32 v2, v7, v22, v2
	v_mov_b32_e32 v7, s4
	s_and_not1_b32 exec_lo, exec_lo, s3
	s_cbranch_execnz .LBB276_446
; %bb.447:
	s_or_b32 exec_lo, exec_lo, s3
	v_and_b32_e32 v4, 1, v4
	s_mov_b32 s3, exec_lo
	s_delay_alu instid0(VALU_DEP_1)
	v_cmpx_eq_u32_e32 0, v4
	s_cbranch_execz .LBB276_449
; %bb.448:
	s_clause 0x1
	scratch_load_b96 v[8:10], v7, off offset:28
	scratch_load_b96 v[16:18], v7, off offset:220
	s_wait_loadcnt 0x1
	v_mul_hi_u32 v4, v9, v0
	s_delay_alu instid0(VALU_DEP_1) | instskip(NEXT) | instid1(VALU_DEP_1)
	v_add_nc_u32_e32 v4, v0, v4
	v_lshrrev_b32_e32 v4, v10, v4
	s_delay_alu instid0(VALU_DEP_1) | instskip(NEXT) | instid1(VALU_DEP_1)
	v_mul_lo_u32 v4, v4, v8
	v_sub_nc_u32_e32 v0, v0, v4
	s_wait_loadcnt 0x0
	s_delay_alu instid0(VALU_DEP_1)
	v_mad_u32 v28, v0, v16, v28
	v_mad_u32 v2, v0, v17, v2
	;; [unrolled: 1-line block ×3, first 2 shown]
.LBB276_449:
	s_wait_xcnt 0x0
	s_or_b32 exec_lo, exec_lo, s3
.LBB276_450:
	s_delay_alu instid0(SALU_CYCLE_1)
	s_or_b32 exec_lo, exec_lo, s2
.LBB276_451:
	s_and_not1_saveexec_b32 s1, s1
	s_cbranch_execz .LBB276_455
; %bb.452:
	s_clause 0x1
	scratch_load_b96 v[6:8], off, off offset:28
	scratch_load_b96 v[10:12], off, off offset:220
	s_mov_b32 s2, exec_lo
	s_wait_loadcnt 0x1
	v_mul_hi_u32 v0, v7, v15
	s_delay_alu instid0(VALU_DEP_1) | instskip(NEXT) | instid1(VALU_DEP_1)
	v_add_nc_u32_e32 v0, v15, v0
	v_lshrrev_b32_e32 v0, v8, v0
	s_delay_alu instid0(VALU_DEP_1) | instskip(NEXT) | instid1(VALU_DEP_1)
	v_mul_lo_u32 v2, v0, v6
	v_sub_nc_u32_e32 v2, v15, v2
	s_wait_loadcnt 0x0
	s_delay_alu instid0(VALU_DEP_1)
	v_mul_lo_u32 v28, v2, v10
	v_mul_lo_u32 v12, v2, v12
	;; [unrolled: 1-line block ×3, first 2 shown]
	s_wait_xcnt 0x0
	v_cmpx_lt_u32_e32 1, v3
	s_cbranch_execz .LBB276_454
; %bb.453:
	s_clause 0x1
	scratch_load_b96 v[6:8], off, off offset:40
	scratch_load_b96 v[16:18], off, off offset:232
	s_wait_loadcnt 0x1
	v_mul_hi_u32 v4, v7, v0
	s_delay_alu instid0(VALU_DEP_1) | instskip(NEXT) | instid1(VALU_DEP_1)
	v_add_nc_u32_e32 v4, v0, v4
	v_lshrrev_b32_e32 v4, v8, v4
	s_delay_alu instid0(VALU_DEP_1) | instskip(NEXT) | instid1(VALU_DEP_1)
	v_mul_lo_u32 v4, v4, v6
	v_sub_nc_u32_e32 v0, v0, v4
	s_wait_loadcnt 0x0
	s_delay_alu instid0(VALU_DEP_1)
	v_mad_u32 v28, v0, v16, v28
	v_mad_u32 v2, v0, v17, v2
	;; [unrolled: 1-line block ×3, first 2 shown]
.LBB276_454:
	s_wait_xcnt 0x0
	s_or_b32 exec_lo, exec_lo, s2
.LBB276_455:
	s_delay_alu instid0(SALU_CYCLE_1) | instskip(SKIP_2) | instid1(SALU_CYCLE_1)
	s_or_b32 exec_lo, exec_lo, s1
	v_add_nc_u32_e32 v0, 0x80, v15
                                        ; implicit-def: $vgpr8
                                        ; implicit-def: $vgpr10
                                        ; implicit-def: $vgpr26
	s_and_saveexec_b32 s0, vcc_lo
	s_xor_b32 s1, exec_lo, s0
	s_cbranch_execz .LBB276_463
; %bb.456:
	v_dual_mov_b32 v8, 0 :: v_dual_mov_b32 v10, 0
	v_mov_b32_e32 v26, 0
	s_mov_b32 s2, exec_lo
	v_cmpx_ne_u32_e32 0, v3
	s_cbranch_execz .LBB276_462
; %bb.457:
	v_min_u32_e32 v4, 15, v5
	v_mov_b32_e32 v8, 0
	s_sub_co_i32 s4, 24, 24
	s_mov_b32 s3, 0
	s_delay_alu instid0(VALU_DEP_2) | instskip(NEXT) | instid1(VALU_DEP_1)
	v_dual_mov_b32 v26, 0 :: v_dual_add_nc_u32 v6, 1, v4
	v_dual_mov_b32 v10, 0 :: v_dual_bitop2_b32 v6, 30, v6 bitop3:0x40
.LBB276_458:                            ; =>This Inner Loop Header: Depth=1
	s_clause 0x3
	scratch_load_b128 v[16:19], off, s4 offset:28
	scratch_load_b64 v[24:25], off, s4 offset:44
	scratch_load_b128 v[20:23], off, s4 offset:220
	scratch_load_b64 v[30:31], off, s4 offset:236
	s_wait_xcnt 0x0
	s_add_co_i32 s4, s4, 24
	v_add_nc_u32_e32 v6, -2, v6
	s_delay_alu instid0(VALU_DEP_1) | instskip(SKIP_3) | instid1(VALU_DEP_1)
	v_cmp_eq_u32_e64 s0, 0, v6
	s_or_b32 s3, s0, s3
	s_wait_loadcnt 0x3
	v_mul_hi_u32 v7, v17, v0
	v_add_nc_u32_e32 v7, v0, v7
	s_delay_alu instid0(VALU_DEP_1) | instskip(SKIP_1) | instid1(VALU_DEP_1)
	v_lshrrev_b32_e32 v7, v18, v7
	s_wait_loadcnt 0x2
	v_mul_hi_u32 v9, v24, v7
	v_mul_lo_u32 v11, v7, v16
	s_delay_alu instid0(VALU_DEP_1) | instskip(NEXT) | instid1(VALU_DEP_1)
	v_dual_add_nc_u32 v9, v7, v9 :: v_dual_sub_nc_u32 v11, v0, v11
	v_lshrrev_b32_e32 v0, v25, v9
	s_wait_loadcnt 0x1
	s_delay_alu instid0(VALU_DEP_2) | instskip(SKIP_3) | instid1(VALU_DEP_1)
	v_mad_u32 v13, v11, v20, v26
	v_mad_u32 v8, v11, v22, v8
	;; [unrolled: 1-line block ×3, first 2 shown]
	v_mul_lo_u32 v9, v0, v19
	v_sub_nc_u32_e32 v7, v7, v9
	s_delay_alu instid0(VALU_DEP_1)
	v_mad_u32 v26, v7, v23, v13
	s_wait_loadcnt 0x0
	v_mad_u32 v8, v7, v31, v8
	v_mad_u32 v10, v7, v30, v10
	v_mov_b32_e32 v7, s4
	s_and_not1_b32 exec_lo, exec_lo, s3
	s_cbranch_execnz .LBB276_458
; %bb.459:
	s_or_b32 exec_lo, exec_lo, s3
	v_and_b32_e32 v4, 1, v4
	s_mov_b32 s3, exec_lo
	s_delay_alu instid0(VALU_DEP_1)
	v_cmpx_eq_u32_e32 0, v4
	s_cbranch_execz .LBB276_461
; %bb.460:
	s_clause 0x1
	scratch_load_b96 v[16:18], v7, off offset:28
	scratch_load_b96 v[20:22], v7, off offset:220
	s_wait_loadcnt 0x1
	v_mul_hi_u32 v4, v17, v0
	s_delay_alu instid0(VALU_DEP_1) | instskip(NEXT) | instid1(VALU_DEP_1)
	v_add_nc_u32_e32 v4, v0, v4
	v_lshrrev_b32_e32 v4, v18, v4
	s_delay_alu instid0(VALU_DEP_1) | instskip(NEXT) | instid1(VALU_DEP_1)
	v_mul_lo_u32 v4, v4, v16
	v_sub_nc_u32_e32 v0, v0, v4
	s_wait_loadcnt 0x0
	s_delay_alu instid0(VALU_DEP_1)
	v_mad_u32 v26, v0, v20, v26
	v_mad_u32 v10, v0, v21, v10
	;; [unrolled: 1-line block ×3, first 2 shown]
.LBB276_461:
	s_wait_xcnt 0x0
	s_or_b32 exec_lo, exec_lo, s3
.LBB276_462:
	s_delay_alu instid0(SALU_CYCLE_1)
	s_or_b32 exec_lo, exec_lo, s2
                                        ; implicit-def: $vgpr0
.LBB276_463:
	s_and_not1_saveexec_b32 s1, s1
	s_cbranch_execz .LBB276_467
; %bb.464:
	s_clause 0x1
	scratch_load_b96 v[6:8], off, off offset:28
	scratch_load_b96 v[16:18], off, off offset:220
	s_mov_b32 s2, exec_lo
	s_wait_loadcnt 0x1
	v_mul_hi_u32 v4, v7, v0
	s_delay_alu instid0(VALU_DEP_1) | instskip(NEXT) | instid1(VALU_DEP_1)
	v_add_nc_u32_e32 v4, v0, v4
	v_lshrrev_b32_e32 v4, v8, v4
	s_delay_alu instid0(VALU_DEP_1) | instskip(NEXT) | instid1(VALU_DEP_1)
	v_mul_lo_u32 v6, v4, v6
	v_sub_nc_u32_e32 v0, v0, v6
	s_wait_loadcnt 0x0
	s_delay_alu instid0(VALU_DEP_1)
	v_mul_lo_u32 v26, v0, v16
	v_mul_lo_u32 v8, v0, v18
	;; [unrolled: 1-line block ×3, first 2 shown]
	s_wait_xcnt 0x0
	v_cmpx_lt_u32_e32 1, v3
	s_cbranch_execz .LBB276_466
; %bb.465:
	s_clause 0x1
	scratch_load_b96 v[16:18], off, off offset:40
	scratch_load_b96 v[20:22], off, off offset:232
	s_wait_loadcnt 0x1
	v_mul_hi_u32 v0, v17, v4
	s_delay_alu instid0(VALU_DEP_1) | instskip(NEXT) | instid1(VALU_DEP_1)
	v_add_nc_u32_e32 v0, v4, v0
	v_lshrrev_b32_e32 v0, v18, v0
	s_delay_alu instid0(VALU_DEP_1) | instskip(NEXT) | instid1(VALU_DEP_1)
	v_mul_lo_u32 v0, v0, v16
	v_sub_nc_u32_e32 v0, v4, v0
	s_wait_loadcnt 0x0
	s_delay_alu instid0(VALU_DEP_1)
	v_mad_u32 v26, v0, v20, v26
	v_mad_u32 v10, v0, v21, v10
	;; [unrolled: 1-line block ×3, first 2 shown]
.LBB276_466:
	s_wait_xcnt 0x0
	s_or_b32 exec_lo, exec_lo, s2
.LBB276_467:
	s_delay_alu instid0(SALU_CYCLE_1) | instskip(SKIP_2) | instid1(SALU_CYCLE_1)
	s_or_b32 exec_lo, exec_lo, s1
	v_add_nc_u32_e32 v6, 0x100, v15
                                        ; implicit-def: $vgpr0
                                        ; implicit-def: $vgpr4
                                        ; implicit-def: $vgpr24
	s_and_saveexec_b32 s0, vcc_lo
	s_xor_b32 s1, exec_lo, s0
	s_cbranch_execz .LBB276_527
; %bb.468:
	v_dual_mov_b32 v0, 0 :: v_dual_mov_b32 v4, 0
	v_mov_b32_e32 v24, 0
	s_mov_b32 s2, exec_lo
	v_cmpx_ne_u32_e32 0, v3
	s_cbranch_execz .LBB276_474
; %bb.469:
	v_min_u32_e32 v7, 15, v5
	s_sub_co_i32 s4, 24, 24
	s_mov_b32 s3, 0
	s_delay_alu instid0(VALU_DEP_1) | instskip(NEXT) | instid1(VALU_DEP_1)
	v_dual_mov_b32 v24, 0 :: v_dual_add_nc_u32 v0, 1, v7
	v_dual_mov_b32 v4, 0 :: v_dual_bitop2_b32 v9, 30, v0 bitop3:0x40
	v_mov_b32_e32 v0, 0
.LBB276_470:                            ; =>This Inner Loop Header: Depth=1
	s_clause 0x3
	scratch_load_b128 v[14:17], off, s4 offset:28
	scratch_load_b64 v[22:23], off, s4 offset:44
	scratch_load_b128 v[18:21], off, s4 offset:220
	scratch_load_b64 v[30:31], off, s4 offset:236
	s_wait_xcnt 0x0
	s_add_co_i32 s4, s4, 24
	v_add_nc_u32_e32 v9, -2, v9
	s_delay_alu instid0(VALU_DEP_1) | instskip(SKIP_3) | instid1(VALU_DEP_1)
	v_cmp_eq_u32_e64 s0, 0, v9
	s_or_b32 s3, s0, s3
	s_wait_loadcnt 0x3
	v_mul_hi_u32 v11, v15, v6
	v_add_nc_u32_e32 v11, v6, v11
	s_delay_alu instid0(VALU_DEP_1) | instskip(SKIP_1) | instid1(VALU_DEP_1)
	v_lshrrev_b32_e32 v11, v16, v11
	s_wait_loadcnt 0x2
	v_mul_hi_u32 v13, v22, v11
	v_mul_lo_u32 v14, v11, v14
	s_delay_alu instid0(VALU_DEP_1) | instskip(NEXT) | instid1(VALU_DEP_1)
	v_dual_add_nc_u32 v13, v11, v13 :: v_dual_sub_nc_u32 v14, v6, v14
	v_lshrrev_b32_e32 v6, v23, v13
	s_wait_loadcnt 0x1
	s_delay_alu instid0(VALU_DEP_2) | instskip(SKIP_3) | instid1(VALU_DEP_1)
	v_mad_u32 v15, v14, v18, v24
	v_mad_u32 v0, v14, v20, v0
	v_mad_u32 v4, v14, v19, v4
	v_mul_lo_u32 v13, v6, v17
	v_sub_nc_u32_e32 v11, v11, v13
	s_delay_alu instid0(VALU_DEP_1)
	v_mad_u32 v24, v11, v21, v15
	s_wait_loadcnt 0x0
	v_mad_u32 v0, v11, v31, v0
	v_mad_u32 v4, v11, v30, v4
	v_mov_b32_e32 v11, s4
	s_and_not1_b32 exec_lo, exec_lo, s3
	s_cbranch_execnz .LBB276_470
; %bb.471:
	s_or_b32 exec_lo, exec_lo, s3
	v_and_b32_e32 v7, 1, v7
	s_mov_b32 s3, exec_lo
	s_delay_alu instid0(VALU_DEP_1)
	v_cmpx_eq_u32_e32 0, v7
	s_cbranch_execz .LBB276_473
; %bb.472:
	s_clause 0x1
	scratch_load_b96 v[14:16], v11, off offset:28
	scratch_load_b96 v[18:20], v11, off offset:220
	s_wait_loadcnt 0x1
	v_mul_hi_u32 v7, v15, v6
	s_delay_alu instid0(VALU_DEP_1) | instskip(NEXT) | instid1(VALU_DEP_1)
	v_add_nc_u32_e32 v7, v6, v7
	v_lshrrev_b32_e32 v7, v16, v7
	s_delay_alu instid0(VALU_DEP_1) | instskip(NEXT) | instid1(VALU_DEP_1)
	v_mul_lo_u32 v7, v7, v14
	v_sub_nc_u32_e32 v6, v6, v7
	s_wait_loadcnt 0x0
	s_delay_alu instid0(VALU_DEP_1)
	v_mad_u32 v24, v6, v18, v24
	v_mad_u32 v4, v6, v19, v4
	;; [unrolled: 1-line block ×3, first 2 shown]
.LBB276_473:
	s_wait_xcnt 0x0
	s_or_b32 exec_lo, exec_lo, s3
.LBB276_474:
	s_delay_alu instid0(SALU_CYCLE_1)
	s_or_b32 exec_lo, exec_lo, s2
                                        ; implicit-def: $vgpr6
	s_and_not1_saveexec_b32 s1, s1
	s_cbranch_execnz .LBB276_528
.LBB276_475:
	s_or_b32 exec_lo, exec_lo, s1
                                        ; implicit-def: $vgpr21
	s_and_saveexec_b32 s0, vcc_lo
	s_delay_alu instid0(SALU_CYCLE_1)
	s_xor_b32 s0, exec_lo, s0
	s_cbranch_execz .LBB276_531
.LBB276_476:
	v_dual_mov_b32 v21, 0 :: v_dual_mov_b32 v20, 0
	v_mov_b32_e32 v22, 0
	s_mov_b32 s1, exec_lo
	v_cmpx_ne_u32_e32 0, v3
	s_cbranch_execz .LBB276_482
; %bb.477:
	v_min_u32_e32 v3, 15, v5
	v_mov_b32_e32 v21, 0
	s_sub_co_i32 s3, 24, 24
	s_mov_b32 s2, 0
	s_delay_alu instid0(VALU_DEP_2) | instskip(NEXT) | instid1(VALU_DEP_1)
	v_dual_mov_b32 v22, 0 :: v_dual_add_nc_u32 v5, 1, v3
	v_dual_mov_b32 v20, 0 :: v_dual_bitop2_b32 v5, 30, v5 bitop3:0x40
.LBB276_478:                            ; =>This Inner Loop Header: Depth=1
	s_clause 0x3
	scratch_load_b128 v[14:17], off, s3 offset:28
	scratch_load_b64 v[6:7], off, s3 offset:44
	scratch_load_b96 v[30:32], off, s3 offset:220
	scratch_load_b96 v[34:36], off, s3 offset:232
	s_wait_xcnt 0x0
	s_add_co_i32 s3, s3, 24
	v_add_nc_u32_e32 v5, -2, v5
	s_delay_alu instid0(VALU_DEP_1) | instskip(SKIP_3) | instid1(VALU_DEP_1)
	v_cmp_eq_u32_e32 vcc_lo, 0, v5
	s_or_b32 s2, vcc_lo, s2
	s_wait_loadcnt 0x3
	v_mul_hi_u32 v9, v15, v1
	v_add_nc_u32_e32 v9, v1, v9
	s_delay_alu instid0(VALU_DEP_1) | instskip(SKIP_1) | instid1(VALU_DEP_1)
	v_lshrrev_b32_e32 v9, v16, v9
	s_wait_loadcnt 0x2
	v_mul_hi_u32 v6, v6, v9
	v_mul_lo_u32 v11, v9, v14
	s_delay_alu instid0(VALU_DEP_2) | instskip(NEXT) | instid1(VALU_DEP_1)
	v_add_nc_u32_e32 v6, v9, v6
	v_dual_sub_nc_u32 v11, v1, v11 :: v_dual_lshrrev_b32 v1, v7, v6
	s_wait_loadcnt 0x1
	s_delay_alu instid0(VALU_DEP_1) | instskip(SKIP_3) | instid1(VALU_DEP_1)
	v_mad_u32 v7, v11, v31, v21
	v_mad_u32 v13, v11, v30, v20
	v_mad_u32 v11, v11, v32, v22
	v_mul_lo_u32 v6, v1, v17
	v_sub_nc_u32_e32 v6, v9, v6
	s_wait_loadcnt 0x0
	s_delay_alu instid0(VALU_DEP_1)
	v_mad_u32 v21, v6, v35, v7
	v_mad_u32 v20, v6, v34, v13
	;; [unrolled: 1-line block ×3, first 2 shown]
	v_mov_b32_e32 v6, s3
	s_and_not1_b32 exec_lo, exec_lo, s2
	s_cbranch_execnz .LBB276_478
; %bb.479:
	s_or_b32 exec_lo, exec_lo, s2
	v_and_b32_e32 v3, 1, v3
	s_mov_b32 s2, exec_lo
	s_delay_alu instid0(VALU_DEP_1)
	v_cmpx_eq_u32_e32 0, v3
	s_cbranch_execz .LBB276_481
; %bb.480:
	s_clause 0x1
	scratch_load_b96 v[14:16], v6, off offset:28
	scratch_load_b96 v[30:32], v6, off offset:220
	s_wait_loadcnt 0x1
	v_mul_hi_u32 v3, v15, v1
	s_delay_alu instid0(VALU_DEP_1) | instskip(NEXT) | instid1(VALU_DEP_1)
	v_add_nc_u32_e32 v3, v1, v3
	v_lshrrev_b32_e32 v3, v16, v3
	s_delay_alu instid0(VALU_DEP_1) | instskip(NEXT) | instid1(VALU_DEP_1)
	v_mul_lo_u32 v3, v3, v14
	v_sub_nc_u32_e32 v1, v1, v3
	s_wait_loadcnt 0x0
	s_delay_alu instid0(VALU_DEP_1)
	v_mad_u32 v20, v1, v30, v20
	v_mad_u32 v21, v1, v31, v21
	;; [unrolled: 1-line block ×3, first 2 shown]
.LBB276_481:
	s_wait_xcnt 0x0
	s_or_b32 exec_lo, exec_lo, s2
.LBB276_482:
	s_delay_alu instid0(SALU_CYCLE_1)
	s_or_b32 exec_lo, exec_lo, s1
                                        ; implicit-def: $vgpr1
                                        ; implicit-def: $vgpr3
	s_and_not1_saveexec_b32 s0, s0
	s_cbranch_execz .LBB276_535
	s_branch .LBB276_532
.LBB276_483:
	s_or_b32 exec_lo, exec_lo, s15
	s_and_saveexec_b32 s1, s14
	s_cbranch_execz .LBB276_2192
.LBB276_484:
	; divergent unreachable
	s_or_b32 exec_lo, exec_lo, s1
	s_and_saveexec_b32 s1, s16
	s_delay_alu instid0(SALU_CYCLE_1)
	s_xor_b32 s1, exec_lo, s1
	s_cbranch_execnz .LBB276_2193
.LBB276_485:
	s_or_b32 exec_lo, exec_lo, s1
	s_and_saveexec_b32 s1, s2
	s_cbranch_execz .LBB276_2194
.LBB276_486:
	s_mov_b32 s2, exec_lo
	v_cmpx_lt_i16_e32 4, v5
	s_xor_b32 s2, exec_lo, s2
	s_cbranch_execz .LBB276_508
; %bb.487:
	s_mov_b32 s4, s3
	s_mov_b32 s5, exec_lo
	v_cmpx_lt_i16_e32 7, v5
	s_xor_b32 s5, exec_lo, s5
	s_cbranch_execz .LBB276_497
; %bb.488:
	s_mov_b32 s6, s3
	s_mov_b32 s4, exec_lo
	v_cmpx_lt_i16_e32 8, v5
	s_xor_b32 s4, exec_lo, s4
	s_cbranch_execz .LBB276_494
; %bb.489:
	s_mov_b32 s6, exec_lo
	v_cmpx_lt_i16_e32 9, v5
	s_xor_b32 s6, exec_lo, s6
	s_cbranch_execz .LBB276_491
; %bb.490:
	v_cndmask_b32_e64 v0, 0, 1, s3
	v_mov_b32_e32 v2, 0
	s_delay_alu instid0(VALU_DEP_2) | instskip(NEXT) | instid1(VALU_DEP_2)
	v_cvt_f64_u32_e32 v[0:1], v0
	v_mov_b32_e32 v3, v2
	flat_store_b128 v[22:23], v[0:3]
.LBB276_491:
	s_wait_xcnt 0x0
	s_and_not1_saveexec_b32 s6, s6
	s_cbranch_execz .LBB276_493
; %bb.492:
	v_cndmask_b32_e64 v0, 0, 1.0, s3
	v_mov_b32_e32 v1, 0
	flat_store_b64 v[22:23], v[0:1]
.LBB276_493:
	s_wait_xcnt 0x0
	s_or_b32 exec_lo, exec_lo, s6
	s_delay_alu instid0(SALU_CYCLE_1) | instskip(SKIP_1) | instid1(SALU_CYCLE_1)
	s_and_not1_b32 s6, s3, exec_lo
	s_and_b32 s7, s3, exec_lo
	s_or_b32 s6, s6, s7
.LBB276_494:
	s_and_not1_saveexec_b32 s4, s4
	s_cbranch_execz .LBB276_496
; %bb.495:
	v_cndmask_b32_e64 v0, 0, 1.0, s6
	s_delay_alu instid0(VALU_DEP_1) | instskip(NEXT) | instid1(VALU_DEP_1)
	v_cvt_f16_f32_e32 v0, v0
	v_and_b32_e32 v0, 0xffff, v0
	flat_store_b32 v[22:23], v0
.LBB276_496:
	s_wait_xcnt 0x0
	s_or_b32 exec_lo, exec_lo, s4
	s_delay_alu instid0(SALU_CYCLE_1) | instskip(SKIP_1) | instid1(SALU_CYCLE_1)
	s_and_not1_b32 s4, s3, exec_lo
	s_and_b32 s6, s6, exec_lo
	s_or_b32 s4, s4, s6
.LBB276_497:
	s_and_not1_saveexec_b32 s5, s5
	s_cbranch_execz .LBB276_507
; %bb.498:
	s_mov_b32 s7, s4
	s_mov_b32 s6, exec_lo
	v_cmpx_lt_i16_e32 5, v5
	s_xor_b32 s6, exec_lo, s6
	s_cbranch_execz .LBB276_504
; %bb.499:
	s_mov_b32 s7, exec_lo
	v_cmpx_lt_i16_e32 6, v5
	s_xor_b32 s7, exec_lo, s7
	s_cbranch_execz .LBB276_501
; %bb.500:
	v_cndmask_b32_e64 v0, 0, 1, s4
	s_delay_alu instid0(VALU_DEP_1)
	v_cvt_f64_u32_e32 v[0:1], v0
	flat_store_b64 v[22:23], v[0:1]
.LBB276_501:
	s_wait_xcnt 0x0
	s_and_not1_saveexec_b32 s7, s7
	s_cbranch_execz .LBB276_503
; %bb.502:
	v_cndmask_b32_e64 v0, 0, 1.0, s4
	flat_store_b32 v[22:23], v0
.LBB276_503:
	s_wait_xcnt 0x0
	s_or_b32 exec_lo, exec_lo, s7
	s_delay_alu instid0(SALU_CYCLE_1) | instskip(SKIP_1) | instid1(SALU_CYCLE_1)
	s_and_not1_b32 s7, s4, exec_lo
	s_and_b32 s8, s4, exec_lo
	s_or_b32 s7, s7, s8
.LBB276_504:
	s_and_not1_saveexec_b32 s6, s6
	s_cbranch_execz .LBB276_506
; %bb.505:
	v_cndmask_b32_e64 v0, 0, 1.0, s7
	s_delay_alu instid0(VALU_DEP_1)
	v_cvt_f16_f32_e32 v0, v0
	flat_store_b16 v[22:23], v0
.LBB276_506:
	s_wait_xcnt 0x0
	s_or_b32 exec_lo, exec_lo, s6
	s_delay_alu instid0(SALU_CYCLE_1) | instskip(SKIP_1) | instid1(SALU_CYCLE_1)
	s_and_not1_b32 s4, s4, exec_lo
	s_and_b32 s6, s7, exec_lo
	s_or_b32 s4, s4, s6
.LBB276_507:
	s_or_b32 exec_lo, exec_lo, s5
	s_delay_alu instid0(SALU_CYCLE_1) | instskip(SKIP_1) | instid1(SALU_CYCLE_1)
	s_and_not1_b32 s3, s3, exec_lo
	s_and_b32 s4, s4, exec_lo
	s_or_b32 s3, s3, s4
.LBB276_508:
	s_and_not1_saveexec_b32 s2, s2
	s_cbranch_execz .LBB276_526
; %bb.509:
	s_mov_b32 s4, exec_lo
	v_cmpx_lt_i16_e32 1, v5
	s_xor_b32 s4, exec_lo, s4
	s_cbranch_execz .LBB276_519
; %bb.510:
	s_mov_b32 s6, s3
	s_mov_b32 s5, exec_lo
	v_cmpx_lt_i16_e32 2, v5
	s_xor_b32 s5, exec_lo, s5
	s_cbranch_execz .LBB276_516
; %bb.511:
	v_cndmask_b32_e64 v0, 0, 1, s3
	s_mov_b32 s6, exec_lo
	v_cmpx_lt_i16_e32 3, v5
	s_xor_b32 s6, exec_lo, s6
	s_cbranch_execz .LBB276_513
; %bb.512:
	s_mov_b32 s7, 0
	s_delay_alu instid0(SALU_CYCLE_1)
	v_mov_b32_e32 v1, s7
	flat_store_b64 v[22:23], v[0:1]
                                        ; implicit-def: $vgpr22_vgpr23
                                        ; implicit-def: $vgpr0
.LBB276_513:
	s_wait_xcnt 0x0
	s_and_not1_saveexec_b32 s6, s6
	s_cbranch_execz .LBB276_515
; %bb.514:
	flat_store_b32 v[22:23], v0
.LBB276_515:
	s_wait_xcnt 0x0
	s_or_b32 exec_lo, exec_lo, s6
	s_delay_alu instid0(SALU_CYCLE_1) | instskip(SKIP_1) | instid1(SALU_CYCLE_1)
	s_and_not1_b32 s6, s3, exec_lo
	s_and_b32 s7, s3, exec_lo
                                        ; implicit-def: $vgpr22_vgpr23
	s_or_b32 s6, s6, s7
.LBB276_516:
	s_and_not1_saveexec_b32 s5, s5
	s_cbranch_execz .LBB276_518
; %bb.517:
	v_cndmask_b32_e64 v0, 0, 1, s6
	flat_store_b16 v[22:23], v0
.LBB276_518:
	s_wait_xcnt 0x0
	s_or_b32 exec_lo, exec_lo, s5
	s_delay_alu instid0(SALU_CYCLE_1) | instskip(SKIP_1) | instid1(SALU_CYCLE_1)
	s_and_not1_b32 s3, s3, exec_lo
	s_and_b32 s5, s6, exec_lo
                                        ; implicit-def: $vgpr22_vgpr23
	s_or_b32 s3, s3, s5
.LBB276_519:
	s_and_not1_saveexec_b32 s4, s4
	s_cbranch_execz .LBB276_525
; %bb.520:
	v_cndmask_b32_e64 v0, 0, 1, s3
	s_mov_b32 s3, exec_lo
	v_cmpx_lt_i16_e32 0, v5
	s_xor_b32 s3, exec_lo, s3
	s_cbranch_execz .LBB276_522
; %bb.521:
	flat_store_b8 v[22:23], v0
                                        ; implicit-def: $vgpr22_vgpr23
                                        ; implicit-def: $vgpr0
.LBB276_522:
	s_wait_xcnt 0x0
	s_and_not1_saveexec_b32 s3, s3
	s_cbranch_execz .LBB276_524
; %bb.523:
	flat_store_b8 v[22:23], v0
.LBB276_524:
	s_wait_xcnt 0x0
	s_or_b32 exec_lo, exec_lo, s3
.LBB276_525:
	s_delay_alu instid0(SALU_CYCLE_1)
	s_or_b32 exec_lo, exec_lo, s4
.LBB276_526:
	s_delay_alu instid0(SALU_CYCLE_1) | instskip(NEXT) | instid1(SALU_CYCLE_1)
	s_or_b32 exec_lo, exec_lo, s2
	s_or_b32 s0, s0, exec_lo
	s_or_b32 exec_lo, exec_lo, s1
	s_and_saveexec_b32 s1, s0
	s_endpgm
.LBB276_527:
	s_and_not1_saveexec_b32 s1, s1
	s_cbranch_execz .LBB276_475
.LBB276_528:
	s_clause 0x1
	scratch_load_b96 v[14:16], off, off offset:28
	scratch_load_b96 v[18:20], off, off offset:220
	s_mov_b32 s2, exec_lo
	s_wait_loadcnt 0x1
	v_mul_hi_u32 v0, v15, v6
	s_delay_alu instid0(VALU_DEP_1) | instskip(NEXT) | instid1(VALU_DEP_1)
	v_add_nc_u32_e32 v0, v6, v0
	v_lshrrev_b32_e32 v7, v16, v0
	s_delay_alu instid0(VALU_DEP_1) | instskip(NEXT) | instid1(VALU_DEP_1)
	v_mul_lo_u32 v0, v7, v14
	v_sub_nc_u32_e32 v4, v6, v0
	s_wait_loadcnt 0x0
	s_delay_alu instid0(VALU_DEP_1)
	v_mul_lo_u32 v24, v4, v18
	v_mul_lo_u32 v0, v4, v20
	;; [unrolled: 1-line block ×3, first 2 shown]
	s_wait_xcnt 0x0
	v_cmpx_lt_u32_e32 1, v3
	s_cbranch_execz .LBB276_530
; %bb.529:
	s_clause 0x1
	scratch_load_b96 v[14:16], off, off offset:40
	scratch_load_b96 v[18:20], off, off offset:232
	s_wait_loadcnt 0x1
	v_mul_hi_u32 v6, v15, v7
	s_delay_alu instid0(VALU_DEP_1) | instskip(NEXT) | instid1(VALU_DEP_1)
	v_add_nc_u32_e32 v6, v7, v6
	v_lshrrev_b32_e32 v6, v16, v6
	s_delay_alu instid0(VALU_DEP_1) | instskip(NEXT) | instid1(VALU_DEP_1)
	v_mul_lo_u32 v6, v6, v14
	v_sub_nc_u32_e32 v6, v7, v6
	s_wait_loadcnt 0x0
	s_delay_alu instid0(VALU_DEP_1)
	v_mad_u32 v24, v6, v18, v24
	v_mad_u32 v4, v6, v19, v4
	;; [unrolled: 1-line block ×3, first 2 shown]
.LBB276_530:
	s_wait_xcnt 0x0
	s_or_b32 exec_lo, exec_lo, s2
	s_delay_alu instid0(SALU_CYCLE_1) | instskip(SKIP_1) | instid1(SALU_CYCLE_1)
	s_or_b32 exec_lo, exec_lo, s1
                                        ; implicit-def: $vgpr21
	s_and_saveexec_b32 s0, vcc_lo
	s_xor_b32 s0, exec_lo, s0
	s_cbranch_execnz .LBB276_476
.LBB276_531:
	s_and_not1_saveexec_b32 s0, s0
	s_cbranch_execz .LBB276_535
.LBB276_532:
	s_clause 0x1
	scratch_load_b96 v[14:16], off, off offset:28
	scratch_load_b96 v[20:22], off, off offset:220
	s_mov_b32 s1, exec_lo
	s_wait_loadcnt 0x1
	v_mul_hi_u32 v5, v15, v1
	s_delay_alu instid0(VALU_DEP_1) | instskip(NEXT) | instid1(VALU_DEP_1)
	v_add_nc_u32_e32 v5, v1, v5
	v_lshrrev_b32_e32 v5, v16, v5
	s_delay_alu instid0(VALU_DEP_1) | instskip(NEXT) | instid1(VALU_DEP_1)
	v_mul_lo_u32 v6, v5, v14
	v_sub_nc_u32_e32 v1, v1, v6
	s_wait_loadcnt 0x0
	s_delay_alu instid0(VALU_DEP_1)
	v_mul_lo_u32 v21, v1, v21
	v_mul_lo_u32 v20, v1, v20
	v_mul_lo_u32 v22, v1, v22
	s_wait_xcnt 0x0
	v_cmpx_lt_u32_e32 1, v3
	s_cbranch_execz .LBB276_534
; %bb.533:
	s_clause 0x1
	scratch_load_b96 v[14:16], off, off offset:40
	scratch_load_b96 v[30:32], off, off offset:232
	s_wait_loadcnt 0x1
	v_mul_hi_u32 v1, v15, v5
	s_delay_alu instid0(VALU_DEP_1) | instskip(NEXT) | instid1(VALU_DEP_1)
	v_add_nc_u32_e32 v1, v5, v1
	v_lshrrev_b32_e32 v1, v16, v1
	s_delay_alu instid0(VALU_DEP_1) | instskip(NEXT) | instid1(VALU_DEP_1)
	v_mul_lo_u32 v1, v1, v14
	v_sub_nc_u32_e32 v1, v5, v1
	s_wait_loadcnt 0x0
	s_delay_alu instid0(VALU_DEP_1)
	v_mad_u32 v20, v1, v30, v20
	v_mad_u32 v21, v1, v31, v21
	;; [unrolled: 1-line block ×3, first 2 shown]
.LBB276_534:
	s_wait_xcnt 0x0
	s_or_b32 exec_lo, exec_lo, s1
.LBB276_535:
	s_delay_alu instid0(SALU_CYCLE_1)
	s_or_b32 exec_lo, exec_lo, s0
	s_clause 0x3
	scratch_store_b96 off, v[20:22], off offset:12
	scratch_load_b128 v[16:19], off, off offset:416
	scratch_load_u8 v1, off, off offset:445
	scratch_load_b32 v15, off, off offset:440
	v_mov_b32_e32 v3, 0
	s_mov_b32 s1, 0
	s_mov_b32 s16, s14
	s_mov_b32 s0, exec_lo
                                        ; implicit-def: $vgpr21
	s_wait_loadcnt 0x2
	v_add_nc_u64_e32 v[2:3], v[18:19], v[2:3]
	s_wait_loadcnt 0x1
	s_wait_xcnt 0x0
	v_cmpx_lt_i16_e32 10, v1
	s_xor_b32 s0, exec_lo, s0
	s_cbranch_execz .LBB276_630
; %bb.536:
	s_mov_b32 s4, 0
	s_mov_b32 s3, 0
	s_mov_b32 s2, exec_lo
                                        ; implicit-def: $vgpr21
	v_cmpx_lt_i16_e32 25, v1
	s_xor_b32 s2, exec_lo, s2
	s_cbranch_execz .LBB276_2237
; %bb.537:
	s_mov_b32 s5, 0
	s_mov_b32 s3, exec_lo
                                        ; implicit-def: $vgpr21
	v_cmpx_lt_i16_e32 28, v1
	s_xor_b32 s3, exec_lo, s3
	s_cbranch_execz .LBB276_577
; %bb.538:
	s_mov_b32 s6, 0
	s_mov_b32 s7, 0
	s_mov_b32 s4, exec_lo
                                        ; implicit-def: $vgpr21
	v_cmpx_lt_i16_e32 43, v1
	s_xor_b32 s4, exec_lo, s4
	s_cbranch_execz .LBB276_564
; %bb.539:
	s_mov_b32 s7, exec_lo
                                        ; implicit-def: $vgpr21
	v_cmpx_lt_i16_e32 45, v1
	s_xor_b32 s7, exec_lo, s7
	s_cbranch_execz .LBB276_551
; %bb.540:
	s_mov_b32 s8, -1
	s_mov_b32 s5, exec_lo
                                        ; implicit-def: $vgpr21
	v_cmpx_eq_u16_e32 46, v1
	s_cbranch_execz .LBB276_550
; %bb.541:
	flat_load_b32 v5, v[2:3]
	s_mov_b32 s6, exec_lo
                                        ; implicit-def: $vgpr6
	s_wait_loadcnt_dscnt 0x0
	v_lshlrev_b32_e32 v5, 16, v5
	s_delay_alu instid0(VALU_DEP_1) | instskip(SKIP_1) | instid1(VALU_DEP_1)
	v_and_b32_e32 v7, 0x7fffffff, v5
	s_wait_xcnt 0x0
	v_cmpx_gt_u32_e32 0x43f00000, v7
	s_xor_b32 s6, exec_lo, s6
	s_cbranch_execz .LBB276_547
; %bb.542:
	s_mov_b32 s8, exec_lo
                                        ; implicit-def: $vgpr6
	v_cmpx_lt_u32_e32 0x3c7fffff, v7
	s_xor_b32 s8, exec_lo, s8
; %bb.543:
	v_bfe_u32 v6, v5, 20, 1
	s_delay_alu instid0(VALU_DEP_1) | instskip(NEXT) | instid1(VALU_DEP_1)
	v_add3_u32 v6, v5, v6, 0x407ffff
	v_and_b32_e32 v7, 0xff00000, v6
	v_lshrrev_b32_e32 v6, 20, v6
	s_delay_alu instid0(VALU_DEP_2) | instskip(NEXT) | instid1(VALU_DEP_2)
	v_cmp_ne_u32_e32 vcc_lo, 0x7f00000, v7
	v_cndmask_b32_e32 v6, 0x7e, v6, vcc_lo
; %bb.544:
	s_and_not1_saveexec_b32 s8, s8
; %bb.545:
	v_add_f32_e64 v6, 0x46800000, |v5|
; %bb.546:
	s_or_b32 exec_lo, exec_lo, s8
                                        ; implicit-def: $vgpr7
.LBB276_547:
	s_and_not1_saveexec_b32 s6, s6
; %bb.548:
	v_mov_b32_e32 v6, 0x7f
	v_cmp_lt_u32_e32 vcc_lo, 0x7f800000, v7
	s_delay_alu instid0(VALU_DEP_2)
	v_cndmask_b32_e32 v6, 0x7e, v6, vcc_lo
; %bb.549:
	s_or_b32 exec_lo, exec_lo, s6
	v_lshrrev_b32_e32 v5, 24, v5
	s_mov_b32 s6, exec_lo
	s_xor_b32 s8, exec_lo, -1
	s_delay_alu instid0(VALU_DEP_1)
	v_and_or_b32 v21, 0x80, v5, v6
.LBB276_550:
	s_or_b32 exec_lo, exec_lo, s5
	s_delay_alu instid0(SALU_CYCLE_1)
	s_and_b32 s6, s6, exec_lo
	s_and_b32 s5, s8, exec_lo
.LBB276_551:
	s_and_not1_saveexec_b32 s7, s7
	s_cbranch_execz .LBB276_563
; %bb.552:
	s_mov_b32 s9, -1
	s_mov_b32 s10, s6
	s_mov_b32 s8, exec_lo
                                        ; implicit-def: $vgpr21
	v_cmpx_eq_u16_e32 44, v1
	s_cbranch_execz .LBB276_562
; %bb.553:
	flat_load_u8 v5, v[2:3]
	s_mov_b32 s9, exec_lo
                                        ; implicit-def: $vgpr21
	s_wait_loadcnt_dscnt 0x0
	v_lshlrev_b32_e32 v6, 23, v5
	v_cmp_ne_u32_e32 vcc_lo, 0xff, v5
	s_delay_alu instid0(VALU_DEP_2) | instskip(SKIP_1) | instid1(VALU_DEP_2)
	v_cndmask_b32_e32 v6, 0x7f800001, v6, vcc_lo
	v_cmp_ne_u32_e32 vcc_lo, 0, v5
	v_cndmask_b32_e32 v5, 0x400000, v6, vcc_lo
	s_wait_xcnt 0x0
	s_delay_alu instid0(VALU_DEP_1)
	v_cmpx_gt_u32_e32 0x43f00000, v5
	s_xor_b32 s9, exec_lo, s9
	s_cbranch_execz .LBB276_559
; %bb.554:
	s_mov_b32 s10, exec_lo
                                        ; implicit-def: $vgpr21
	v_cmpx_lt_u32_e32 0x3c7fffff, v5
	s_xor_b32 s10, exec_lo, s10
; %bb.555:
	v_bfe_u32 v6, v5, 20, 1
	s_delay_alu instid0(VALU_DEP_1) | instskip(NEXT) | instid1(VALU_DEP_1)
	v_add3_u32 v5, v5, v6, 0x407ffff
	v_and_b32_e32 v6, 0xff00000, v5
	v_lshrrev_b32_e32 v5, 20, v5
	s_delay_alu instid0(VALU_DEP_2) | instskip(NEXT) | instid1(VALU_DEP_2)
	v_cmp_ne_u32_e32 vcc_lo, 0x7f00000, v6
	v_cndmask_b32_e32 v21, 0x7e, v5, vcc_lo
                                        ; implicit-def: $vgpr5
; %bb.556:
	s_and_not1_saveexec_b32 s10, s10
; %bb.557:
	v_add_f32_e32 v21, 0x46800000, v5
; %bb.558:
	s_or_b32 exec_lo, exec_lo, s10
                                        ; implicit-def: $vgpr5
.LBB276_559:
	s_and_not1_saveexec_b32 s9, s9
; %bb.560:
	v_mov_b32_e32 v6, 0x7f
	v_cmp_lt_u32_e32 vcc_lo, 0x7f800000, v5
	s_delay_alu instid0(VALU_DEP_2)
	v_cndmask_b32_e32 v21, 0x7e, v6, vcc_lo
; %bb.561:
	s_or_b32 exec_lo, exec_lo, s9
	s_delay_alu instid0(SALU_CYCLE_1)
	s_or_b32 s10, s6, exec_lo
	s_xor_b32 s9, exec_lo, -1
.LBB276_562:
	s_or_b32 exec_lo, exec_lo, s8
	s_delay_alu instid0(SALU_CYCLE_1)
	s_and_not1_b32 s6, s6, exec_lo
	s_and_b32 s8, s10, exec_lo
	s_and_not1_b32 s5, s5, exec_lo
	s_and_b32 s9, s9, exec_lo
	s_or_b32 s6, s6, s8
	s_or_b32 s5, s5, s9
.LBB276_563:
	s_or_b32 exec_lo, exec_lo, s7
	s_delay_alu instid0(SALU_CYCLE_1)
	s_and_b32 s7, s6, exec_lo
	s_and_b32 s6, s5, exec_lo
.LBB276_564:
	s_and_not1_saveexec_b32 s4, s4
	s_cbranch_execz .LBB276_576
; %bb.565:
	s_mov_b32 s8, -1
	s_mov_b32 s9, s7
	s_mov_b32 s5, exec_lo
                                        ; implicit-def: $vgpr21
	v_cmpx_eq_u16_e32 29, v1
	s_cbranch_execz .LBB276_575
; %bb.566:
	flat_load_b64 v[6:7], v[2:3]
	s_mov_b32 s8, exec_lo
                                        ; implicit-def: $vgpr21
	s_wait_loadcnt_dscnt 0x0
	v_clz_i32_u32_e32 v5, v7
	s_delay_alu instid0(VALU_DEP_1) | instskip(NEXT) | instid1(VALU_DEP_1)
	v_min_u32_e32 v5, 32, v5
	v_lshlrev_b64_e32 v[6:7], v5, v[6:7]
	v_sub_nc_u32_e32 v5, 32, v5
	s_delay_alu instid0(VALU_DEP_2) | instskip(NEXT) | instid1(VALU_DEP_1)
	v_min_u32_e32 v6, 1, v6
	v_or_b32_e32 v6, v7, v6
	s_delay_alu instid0(VALU_DEP_1) | instskip(NEXT) | instid1(VALU_DEP_1)
	v_cvt_f32_u32_e32 v6, v6
	v_ldexp_f32 v5, v6, v5
	s_wait_xcnt 0x0
	s_delay_alu instid0(VALU_DEP_1)
	v_cmpx_gt_u32_e32 0x43f00000, v5
	s_xor_b32 s8, exec_lo, s8
	s_cbranch_execz .LBB276_572
; %bb.567:
	s_mov_b32 s9, exec_lo
                                        ; implicit-def: $vgpr21
	v_cmpx_lt_u32_e32 0x3c7fffff, v5
	s_xor_b32 s9, exec_lo, s9
; %bb.568:
	v_bfe_u32 v6, v5, 20, 1
	s_delay_alu instid0(VALU_DEP_1) | instskip(NEXT) | instid1(VALU_DEP_1)
	v_add3_u32 v5, v5, v6, 0x407ffff
	v_and_b32_e32 v6, 0xff00000, v5
	v_lshrrev_b32_e32 v5, 20, v5
	s_delay_alu instid0(VALU_DEP_2) | instskip(NEXT) | instid1(VALU_DEP_2)
	v_cmp_ne_u32_e32 vcc_lo, 0x7f00000, v6
	v_cndmask_b32_e32 v21, 0x7e, v5, vcc_lo
                                        ; implicit-def: $vgpr5
; %bb.569:
	s_and_not1_saveexec_b32 s9, s9
; %bb.570:
	v_add_f32_e32 v21, 0x46800000, v5
; %bb.571:
	s_or_b32 exec_lo, exec_lo, s9
                                        ; implicit-def: $vgpr5
.LBB276_572:
	s_and_not1_saveexec_b32 s8, s8
; %bb.573:
	v_mov_b32_e32 v6, 0x7f
	v_cmp_lt_u32_e32 vcc_lo, 0x7f800000, v5
	s_delay_alu instid0(VALU_DEP_2)
	v_cndmask_b32_e32 v21, 0x7e, v6, vcc_lo
; %bb.574:
	s_or_b32 exec_lo, exec_lo, s8
	s_delay_alu instid0(SALU_CYCLE_1)
	s_or_b32 s9, s7, exec_lo
	s_xor_b32 s8, exec_lo, -1
.LBB276_575:
	s_or_b32 exec_lo, exec_lo, s5
	s_delay_alu instid0(SALU_CYCLE_1)
	s_and_not1_b32 s5, s7, exec_lo
	s_and_b32 s7, s9, exec_lo
	s_and_not1_b32 s6, s6, exec_lo
	s_and_b32 s8, s8, exec_lo
	s_or_b32 s7, s5, s7
	s_or_b32 s6, s6, s8
.LBB276_576:
	s_or_b32 exec_lo, exec_lo, s4
	s_delay_alu instid0(SALU_CYCLE_1)
	s_and_b32 s5, s7, exec_lo
	s_and_b32 s4, s6, exec_lo
.LBB276_577:
	s_and_not1_saveexec_b32 s3, s3
	s_cbranch_execz .LBB276_617
; %bb.578:
	s_mov_b32 s6, exec_lo
                                        ; implicit-def: $vgpr21
	v_cmpx_lt_i16_e32 26, v1
	s_xor_b32 s6, exec_lo, s6
	s_cbranch_execz .LBB276_600
; %bb.579:
	s_mov_b32 s7, exec_lo
                                        ; implicit-def: $vgpr21
	v_cmpx_lt_i16_e32 27, v1
	s_xor_b32 s7, exec_lo, s7
	s_cbranch_execz .LBB276_589
; %bb.580:
	flat_load_b32 v5, v[2:3]
	s_mov_b32 s8, exec_lo
                                        ; implicit-def: $vgpr21
	s_wait_loadcnt_dscnt 0x0
	v_cvt_f32_u32_e32 v5, v5
	s_wait_xcnt 0x0
	s_delay_alu instid0(VALU_DEP_1)
	v_cmpx_gt_u32_e32 0x43f00000, v5
	s_xor_b32 s8, exec_lo, s8
	s_cbranch_execz .LBB276_586
; %bb.581:
	s_mov_b32 s9, exec_lo
                                        ; implicit-def: $vgpr21
	v_cmpx_lt_u32_e32 0x3c7fffff, v5
	s_xor_b32 s9, exec_lo, s9
; %bb.582:
	v_bfe_u32 v6, v5, 20, 1
	s_delay_alu instid0(VALU_DEP_1) | instskip(NEXT) | instid1(VALU_DEP_1)
	v_add3_u32 v5, v5, v6, 0x407ffff
	v_and_b32_e32 v6, 0xff00000, v5
	v_lshrrev_b32_e32 v5, 20, v5
	s_delay_alu instid0(VALU_DEP_2) | instskip(NEXT) | instid1(VALU_DEP_2)
	v_cmp_ne_u32_e32 vcc_lo, 0x7f00000, v6
	v_cndmask_b32_e32 v21, 0x7e, v5, vcc_lo
                                        ; implicit-def: $vgpr5
; %bb.583:
	s_and_not1_saveexec_b32 s9, s9
; %bb.584:
	v_add_f32_e32 v21, 0x46800000, v5
; %bb.585:
	s_or_b32 exec_lo, exec_lo, s9
                                        ; implicit-def: $vgpr5
.LBB276_586:
	s_and_not1_saveexec_b32 s8, s8
; %bb.587:
	v_mov_b32_e32 v6, 0x7f
	v_cmp_lt_u32_e32 vcc_lo, 0x7f800000, v5
	s_delay_alu instid0(VALU_DEP_2)
	v_cndmask_b32_e32 v21, 0x7e, v6, vcc_lo
; %bb.588:
	s_or_b32 exec_lo, exec_lo, s8
.LBB276_589:
	s_and_not1_saveexec_b32 s7, s7
	s_cbranch_execz .LBB276_599
; %bb.590:
	flat_load_u16 v5, v[2:3]
	s_mov_b32 s8, exec_lo
                                        ; implicit-def: $vgpr21
	s_wait_loadcnt_dscnt 0x0
	v_cvt_f32_u32_e32 v5, v5
	s_wait_xcnt 0x0
	s_delay_alu instid0(VALU_DEP_1)
	v_cmpx_gt_u32_e32 0x43f00000, v5
	s_xor_b32 s8, exec_lo, s8
	s_cbranch_execz .LBB276_596
; %bb.591:
	s_mov_b32 s9, exec_lo
                                        ; implicit-def: $vgpr21
	v_cmpx_lt_u32_e32 0x3c7fffff, v5
	s_xor_b32 s9, exec_lo, s9
; %bb.592:
	v_bfe_u32 v6, v5, 20, 1
	s_delay_alu instid0(VALU_DEP_1) | instskip(NEXT) | instid1(VALU_DEP_1)
	v_add3_u32 v5, v5, v6, 0x407ffff
	v_and_b32_e32 v6, 0xff00000, v5
	v_lshrrev_b32_e32 v5, 20, v5
	s_delay_alu instid0(VALU_DEP_2) | instskip(NEXT) | instid1(VALU_DEP_2)
	v_cmp_ne_u32_e32 vcc_lo, 0x7f00000, v6
	v_cndmask_b32_e32 v21, 0x7e, v5, vcc_lo
                                        ; implicit-def: $vgpr5
; %bb.593:
	s_and_not1_saveexec_b32 s9, s9
; %bb.594:
	v_add_f32_e32 v21, 0x46800000, v5
; %bb.595:
	s_or_b32 exec_lo, exec_lo, s9
                                        ; implicit-def: $vgpr5
.LBB276_596:
	s_and_not1_saveexec_b32 s8, s8
; %bb.597:
	v_mov_b32_e32 v6, 0x7f
	v_cmp_lt_u32_e32 vcc_lo, 0x7f800000, v5
	s_delay_alu instid0(VALU_DEP_2)
	v_cndmask_b32_e32 v21, 0x7e, v6, vcc_lo
; %bb.598:
	s_or_b32 exec_lo, exec_lo, s8
.LBB276_599:
	s_delay_alu instid0(SALU_CYCLE_1)
	s_or_b32 exec_lo, exec_lo, s7
.LBB276_600:
	s_and_not1_saveexec_b32 s6, s6
	s_cbranch_execz .LBB276_616
; %bb.601:
	flat_load_u8 v6, v[2:3]
	s_mov_b32 s7, 0
	s_mov_b32 s8, exec_lo
	s_wait_loadcnt_dscnt 0x0
	v_cmpx_lt_i16_e32 0x7f, v6
	s_xor_b32 s8, exec_lo, s8
	s_cbranch_execz .LBB276_2474
; %bb.602:
	s_mov_b32 s7, -1
	s_mov_b32 s9, exec_lo
	v_cmpx_eq_u16_e32 0x80, v6
; %bb.603:
	s_xor_b32 s7, exec_lo, -1
; %bb.604:
	s_or_b32 exec_lo, exec_lo, s9
	s_delay_alu instid0(SALU_CYCLE_1)
	s_and_b32 s7, s7, exec_lo
	s_or_saveexec_b32 s8, s8
	v_mov_b32_e32 v5, 0x7f800001
	s_xor_b32 exec_lo, exec_lo, s8
	s_cbranch_execnz .LBB276_2475
.LBB276_605:
	s_or_b32 exec_lo, exec_lo, s8
	s_and_saveexec_b32 s8, s7
	s_cbranch_execz .LBB276_607
.LBB276_606:
	v_and_b32_e32 v5, 0xffff, v6
	s_delay_alu instid0(VALU_DEP_1) | instskip(SKIP_1) | instid1(VALU_DEP_2)
	v_dual_lshlrev_b32 v6, 24, v6 :: v_dual_bitop2_b32 v7, 7, v5 bitop3:0x40
	v_bfe_u32 v13, v5, 3, 4
	v_and_b32_e32 v6, 0x80000000, v6
	s_delay_alu instid0(VALU_DEP_3) | instskip(NEXT) | instid1(VALU_DEP_3)
	v_clz_i32_u32_e32 v9, v7
	v_cmp_eq_u32_e32 vcc_lo, 0, v13
	s_delay_alu instid0(VALU_DEP_2) | instskip(NEXT) | instid1(VALU_DEP_1)
	v_min_u32_e32 v9, 32, v9
	v_subrev_nc_u32_e32 v11, 28, v9
	v_sub_nc_u32_e32 v9, 29, v9
	s_delay_alu instid0(VALU_DEP_2) | instskip(NEXT) | instid1(VALU_DEP_2)
	v_lshlrev_b32_e32 v5, v11, v5
	v_cndmask_b32_e32 v9, v13, v9, vcc_lo
	s_delay_alu instid0(VALU_DEP_2) | instskip(NEXT) | instid1(VALU_DEP_1)
	v_and_b32_e32 v5, 7, v5
	v_cndmask_b32_e32 v5, v7, v5, vcc_lo
	s_delay_alu instid0(VALU_DEP_3) | instskip(NEXT) | instid1(VALU_DEP_2)
	v_lshl_add_u32 v7, v9, 23, 0x3b800000
	v_lshlrev_b32_e32 v5, 20, v5
	s_delay_alu instid0(VALU_DEP_1)
	v_or3_b32 v5, v6, v7, v5
.LBB276_607:
	s_or_b32 exec_lo, exec_lo, s8
	s_delay_alu instid0(VALU_DEP_1) | instskip(SKIP_1) | instid1(VALU_DEP_1)
	v_and_b32_e32 v7, 0x7fffffff, v5
	s_mov_b32 s7, exec_lo
                                        ; implicit-def: $vgpr6
	v_cmpx_gt_u32_e32 0x43f00000, v7
	s_xor_b32 s7, exec_lo, s7
	s_cbranch_execz .LBB276_613
; %bb.608:
	s_mov_b32 s8, exec_lo
                                        ; implicit-def: $vgpr6
	v_cmpx_lt_u32_e32 0x3c7fffff, v7
	s_xor_b32 s8, exec_lo, s8
; %bb.609:
	v_bfe_u32 v6, v5, 20, 1
	s_delay_alu instid0(VALU_DEP_1) | instskip(NEXT) | instid1(VALU_DEP_1)
	v_add3_u32 v6, v5, v6, 0x407ffff
	v_and_b32_e32 v7, 0xff00000, v6
	v_lshrrev_b32_e32 v6, 20, v6
	s_delay_alu instid0(VALU_DEP_2) | instskip(NEXT) | instid1(VALU_DEP_2)
	v_cmp_ne_u32_e32 vcc_lo, 0x7f00000, v7
	v_cndmask_b32_e32 v6, 0x7e, v6, vcc_lo
; %bb.610:
	s_and_not1_saveexec_b32 s8, s8
; %bb.611:
	v_add_f32_e64 v6, 0x46800000, |v5|
; %bb.612:
	s_or_b32 exec_lo, exec_lo, s8
                                        ; implicit-def: $vgpr7
.LBB276_613:
	s_and_not1_saveexec_b32 s7, s7
; %bb.614:
	v_mov_b32_e32 v6, 0x7f
	v_cmp_lt_u32_e32 vcc_lo, 0x7f800000, v7
	s_delay_alu instid0(VALU_DEP_2)
	v_cndmask_b32_e32 v6, 0x7e, v6, vcc_lo
; %bb.615:
	s_or_b32 exec_lo, exec_lo, s7
	v_lshrrev_b32_e32 v5, 24, v5
	s_delay_alu instid0(VALU_DEP_1)
	v_and_or_b32 v21, 0x80, v5, v6
.LBB276_616:
	s_or_b32 exec_lo, exec_lo, s6
	s_delay_alu instid0(SALU_CYCLE_1)
	s_or_b32 s5, s5, exec_lo
.LBB276_617:
	s_or_b32 exec_lo, exec_lo, s3
	s_delay_alu instid0(SALU_CYCLE_1)
	s_and_b32 s3, s5, exec_lo
	s_and_b32 s4, s4, exec_lo
	s_and_not1_saveexec_b32 s2, s2
	s_cbranch_execnz .LBB276_2238
.LBB276_618:
	s_or_b32 exec_lo, exec_lo, s2
	s_mov_b32 s2, s14
	s_and_saveexec_b32 s5, s4
	s_cbranch_execnz .LBB276_2287
.LBB276_619:
	s_or_b32 exec_lo, exec_lo, s5
	s_and_saveexec_b32 s4, s1
	s_cbranch_execz .LBB276_629
.LBB276_620:
	flat_load_u8 v2, v[2:3]
	s_mov_b32 s1, exec_lo
                                        ; implicit-def: $vgpr21
	s_wait_loadcnt_dscnt 0x0
	v_cmp_ne_u16_e32 vcc_lo, 0, v2
	s_wait_xcnt 0x0
	v_cndmask_b32_e64 v2, 0, 1.0, vcc_lo
	s_delay_alu instid0(VALU_DEP_1)
	v_cmpx_gt_u32_e32 0x43f00000, v2
	s_xor_b32 s1, exec_lo, s1
	s_cbranch_execz .LBB276_626
; %bb.621:
	s_mov_b32 s5, exec_lo
                                        ; implicit-def: $vgpr21
	v_cmpx_lt_u32_e32 0x3c7fffff, v2
	s_xor_b32 s5, exec_lo, s5
; %bb.622:
	v_bfe_u32 v3, v2, 20, 1
	s_delay_alu instid0(VALU_DEP_1) | instskip(NEXT) | instid1(VALU_DEP_1)
	v_add3_u32 v2, v2, v3, 0x407ffff
	v_and_b32_e32 v3, 0xff00000, v2
	v_lshrrev_b32_e32 v2, 20, v2
	s_delay_alu instid0(VALU_DEP_2) | instskip(NEXT) | instid1(VALU_DEP_2)
	v_cmp_ne_u32_e32 vcc_lo, 0x7f00000, v3
	v_cndmask_b32_e32 v21, 0x7e, v2, vcc_lo
                                        ; implicit-def: $vgpr2
; %bb.623:
	s_and_not1_saveexec_b32 s5, s5
; %bb.624:
	v_add_f32_e32 v21, 0x46800000, v2
; %bb.625:
	s_or_b32 exec_lo, exec_lo, s5
                                        ; implicit-def: $vgpr2
.LBB276_626:
	s_and_not1_saveexec_b32 s1, s1
; %bb.627:
	v_mov_b32_e32 v3, 0x7f
	v_cmp_lt_u32_e32 vcc_lo, 0x7f800000, v2
	s_delay_alu instid0(VALU_DEP_2)
	v_cndmask_b32_e32 v21, 0x7e, v3, vcc_lo
; %bb.628:
	s_or_b32 exec_lo, exec_lo, s1
	s_delay_alu instid0(SALU_CYCLE_1)
	s_or_b32 s3, s3, exec_lo
.LBB276_629:
	s_or_b32 exec_lo, exec_lo, s4
	s_delay_alu instid0(SALU_CYCLE_1) | instskip(SKIP_1) | instid1(SALU_CYCLE_1)
	s_and_not1_b32 s1, s14, exec_lo
	s_and_b32 s2, s2, exec_lo
                                        ; implicit-def: $vgpr2_vgpr3
	s_or_b32 s16, s1, s2
	s_and_b32 s1, s3, exec_lo
.LBB276_630:
	s_and_not1_saveexec_b32 s0, s0
	s_cbranch_execz .LBB276_760
; %bb.631:
	s_mov_b32 s2, exec_lo
                                        ; implicit-def: $vgpr21
	v_cmpx_lt_i16_e32 4, v1
	s_xor_b32 s2, exec_lo, s2
	s_cbranch_execz .LBB276_701
; %bb.632:
	s_mov_b32 s3, exec_lo
                                        ; implicit-def: $vgpr21
	v_cmpx_lt_i16_e32 7, v1
	s_xor_b32 s3, exec_lo, s3
	;; [unrolled: 6-line block ×4, first 2 shown]
	s_cbranch_execz .LBB276_644
; %bb.635:
	flat_load_b64 v[2:3], v[2:3]
	s_mov_b32 s6, exec_lo
	s_wait_loadcnt_dscnt 0x0
	v_cvt_f32_f64_e32 v2, v[2:3]
                                        ; implicit-def: $vgpr3
	s_delay_alu instid0(VALU_DEP_1) | instskip(NEXT) | instid1(VALU_DEP_1)
	v_and_b32_e32 v5, 0x7fffffff, v2
	v_cmpx_gt_u32_e32 0x43f00000, v5
	s_xor_b32 s6, exec_lo, s6
	s_cbranch_execz .LBB276_641
; %bb.636:
	s_mov_b32 s7, exec_lo
                                        ; implicit-def: $vgpr3
	v_cmpx_lt_u32_e32 0x3c7fffff, v5
	s_xor_b32 s7, exec_lo, s7
; %bb.637:
	v_bfe_u32 v3, v2, 20, 1
	s_delay_alu instid0(VALU_DEP_1) | instskip(NEXT) | instid1(VALU_DEP_1)
	v_add3_u32 v3, v2, v3, 0x407ffff
	v_and_b32_e32 v5, 0xff00000, v3
	v_lshrrev_b32_e32 v3, 20, v3
	s_delay_alu instid0(VALU_DEP_2) | instskip(NEXT) | instid1(VALU_DEP_2)
	v_cmp_ne_u32_e32 vcc_lo, 0x7f00000, v5
	v_cndmask_b32_e32 v3, 0x7e, v3, vcc_lo
; %bb.638:
	s_and_not1_saveexec_b32 s7, s7
; %bb.639:
	v_add_f32_e64 v3, 0x46800000, |v2|
; %bb.640:
	s_or_b32 exec_lo, exec_lo, s7
                                        ; implicit-def: $vgpr5
.LBB276_641:
	s_and_not1_saveexec_b32 s6, s6
; %bb.642:
	v_mov_b32_e32 v3, 0x7f
	v_cmp_lt_u32_e32 vcc_lo, 0x7f800000, v5
	s_delay_alu instid0(VALU_DEP_2)
	v_cndmask_b32_e32 v3, 0x7e, v3, vcc_lo
; %bb.643:
	s_or_b32 exec_lo, exec_lo, s6
	v_lshrrev_b32_e32 v2, 24, v2
	s_delay_alu instid0(VALU_DEP_1)
	v_and_or_b32 v21, 0x80, v2, v3
                                        ; implicit-def: $vgpr2_vgpr3
.LBB276_644:
	s_and_not1_saveexec_b32 s5, s5
	s_cbranch_execz .LBB276_654
; %bb.645:
	flat_load_b32 v2, v[2:3]
	s_mov_b32 s6, exec_lo
                                        ; implicit-def: $vgpr3
	s_wait_loadcnt_dscnt 0x0
	v_and_b32_e32 v5, 0x7fffffff, v2
	s_wait_xcnt 0x0
	s_delay_alu instid0(VALU_DEP_1)
	v_cmpx_gt_u32_e32 0x43f00000, v5
	s_xor_b32 s6, exec_lo, s6
	s_cbranch_execz .LBB276_651
; %bb.646:
	s_mov_b32 s7, exec_lo
                                        ; implicit-def: $vgpr3
	v_cmpx_lt_u32_e32 0x3c7fffff, v5
	s_xor_b32 s7, exec_lo, s7
; %bb.647:
	v_bfe_u32 v3, v2, 20, 1
	s_delay_alu instid0(VALU_DEP_1) | instskip(NEXT) | instid1(VALU_DEP_1)
	v_add3_u32 v3, v2, v3, 0x407ffff
	v_and_b32_e32 v5, 0xff00000, v3
	v_lshrrev_b32_e32 v3, 20, v3
	s_delay_alu instid0(VALU_DEP_2) | instskip(NEXT) | instid1(VALU_DEP_2)
	v_cmp_ne_u32_e32 vcc_lo, 0x7f00000, v5
	v_cndmask_b32_e32 v3, 0x7e, v3, vcc_lo
; %bb.648:
	s_and_not1_saveexec_b32 s7, s7
; %bb.649:
	v_add_f32_e64 v3, 0x46800000, |v2|
; %bb.650:
	s_or_b32 exec_lo, exec_lo, s7
                                        ; implicit-def: $vgpr5
.LBB276_651:
	s_and_not1_saveexec_b32 s6, s6
; %bb.652:
	v_mov_b32_e32 v3, 0x7f
	v_cmp_lt_u32_e32 vcc_lo, 0x7f800000, v5
	s_delay_alu instid0(VALU_DEP_2)
	v_cndmask_b32_e32 v3, 0x7e, v3, vcc_lo
; %bb.653:
	s_or_b32 exec_lo, exec_lo, s6
	v_lshrrev_b32_e32 v2, 24, v2
	s_delay_alu instid0(VALU_DEP_1)
	v_and_or_b32 v21, 0x80, v2, v3
.LBB276_654:
	s_or_b32 exec_lo, exec_lo, s5
                                        ; implicit-def: $vgpr2_vgpr3
.LBB276_655:
	s_and_not1_saveexec_b32 s4, s4
	s_cbranch_execz .LBB276_665
; %bb.656:
	flat_load_b32 v2, v[2:3]
	s_mov_b32 s5, exec_lo
                                        ; implicit-def: $vgpr3
	s_wait_loadcnt_dscnt 0x0
	v_cvt_f32_f16_e32 v2, v2
	s_delay_alu instid0(VALU_DEP_1) | instskip(NEXT) | instid1(VALU_DEP_1)
	v_and_b32_e32 v5, 0x7fffffff, v2
	v_cmpx_gt_u32_e32 0x43f00000, v5
	s_xor_b32 s5, exec_lo, s5
	s_cbranch_execz .LBB276_662
; %bb.657:
	s_mov_b32 s6, exec_lo
                                        ; implicit-def: $vgpr3
	v_cmpx_lt_u32_e32 0x3c7fffff, v5
	s_xor_b32 s6, exec_lo, s6
; %bb.658:
	v_bfe_u32 v3, v2, 20, 1
	s_delay_alu instid0(VALU_DEP_1) | instskip(NEXT) | instid1(VALU_DEP_1)
	v_add3_u32 v3, v2, v3, 0x407ffff
	v_and_b32_e32 v5, 0xff00000, v3
	v_lshrrev_b32_e32 v3, 20, v3
	s_delay_alu instid0(VALU_DEP_2) | instskip(NEXT) | instid1(VALU_DEP_2)
	v_cmp_ne_u32_e32 vcc_lo, 0x7f00000, v5
	v_cndmask_b32_e32 v3, 0x7e, v3, vcc_lo
; %bb.659:
	s_and_not1_saveexec_b32 s6, s6
; %bb.660:
	v_add_f32_e64 v3, 0x46800000, |v2|
; %bb.661:
	s_or_b32 exec_lo, exec_lo, s6
                                        ; implicit-def: $vgpr5
.LBB276_662:
	s_and_not1_saveexec_b32 s5, s5
; %bb.663:
	v_mov_b32_e32 v3, 0x7f
	v_cmp_lt_u32_e32 vcc_lo, 0x7f800000, v5
	s_delay_alu instid0(VALU_DEP_2)
	v_cndmask_b32_e32 v3, 0x7e, v3, vcc_lo
; %bb.664:
	s_or_b32 exec_lo, exec_lo, s5
	v_lshrrev_b32_e32 v2, 24, v2
	s_delay_alu instid0(VALU_DEP_1)
	v_and_or_b32 v21, 0x80, v2, v3
.LBB276_665:
	s_or_b32 exec_lo, exec_lo, s4
                                        ; implicit-def: $vgpr2_vgpr3
.LBB276_666:
	s_and_not1_saveexec_b32 s3, s3
	s_cbranch_execz .LBB276_700
; %bb.667:
	s_mov_b32 s4, exec_lo
                                        ; implicit-def: $vgpr21
	v_cmpx_lt_i16_e32 5, v1
	s_xor_b32 s4, exec_lo, s4
	s_cbranch_execz .LBB276_689
; %bb.668:
	s_mov_b32 s5, exec_lo
                                        ; implicit-def: $vgpr21
	v_cmpx_lt_i16_e32 6, v1
	s_xor_b32 s5, exec_lo, s5
	s_cbranch_execz .LBB276_678
; %bb.669:
	flat_load_b64 v[2:3], v[2:3]
	s_mov_b32 s6, exec_lo
	s_wait_loadcnt_dscnt 0x0
	v_cvt_f32_f64_e32 v2, v[2:3]
                                        ; implicit-def: $vgpr3
	s_delay_alu instid0(VALU_DEP_1) | instskip(NEXT) | instid1(VALU_DEP_1)
	v_and_b32_e32 v5, 0x7fffffff, v2
	v_cmpx_gt_u32_e32 0x43f00000, v5
	s_xor_b32 s6, exec_lo, s6
	s_cbranch_execz .LBB276_675
; %bb.670:
	s_mov_b32 s7, exec_lo
                                        ; implicit-def: $vgpr3
	v_cmpx_lt_u32_e32 0x3c7fffff, v5
	s_xor_b32 s7, exec_lo, s7
; %bb.671:
	v_bfe_u32 v3, v2, 20, 1
	s_delay_alu instid0(VALU_DEP_1) | instskip(NEXT) | instid1(VALU_DEP_1)
	v_add3_u32 v3, v2, v3, 0x407ffff
	v_and_b32_e32 v5, 0xff00000, v3
	v_lshrrev_b32_e32 v3, 20, v3
	s_delay_alu instid0(VALU_DEP_2) | instskip(NEXT) | instid1(VALU_DEP_2)
	v_cmp_ne_u32_e32 vcc_lo, 0x7f00000, v5
	v_cndmask_b32_e32 v3, 0x7e, v3, vcc_lo
; %bb.672:
	s_and_not1_saveexec_b32 s7, s7
; %bb.673:
	v_add_f32_e64 v3, 0x46800000, |v2|
; %bb.674:
	s_or_b32 exec_lo, exec_lo, s7
                                        ; implicit-def: $vgpr5
.LBB276_675:
	s_and_not1_saveexec_b32 s6, s6
; %bb.676:
	v_mov_b32_e32 v3, 0x7f
	v_cmp_lt_u32_e32 vcc_lo, 0x7f800000, v5
	s_delay_alu instid0(VALU_DEP_2)
	v_cndmask_b32_e32 v3, 0x7e, v3, vcc_lo
; %bb.677:
	s_or_b32 exec_lo, exec_lo, s6
	v_lshrrev_b32_e32 v2, 24, v2
	s_delay_alu instid0(VALU_DEP_1)
	v_and_or_b32 v21, 0x80, v2, v3
                                        ; implicit-def: $vgpr2_vgpr3
.LBB276_678:
	s_and_not1_saveexec_b32 s5, s5
	s_cbranch_execz .LBB276_688
; %bb.679:
	flat_load_b32 v2, v[2:3]
	s_mov_b32 s6, exec_lo
                                        ; implicit-def: $vgpr3
	s_wait_loadcnt_dscnt 0x0
	v_and_b32_e32 v5, 0x7fffffff, v2
	s_wait_xcnt 0x0
	s_delay_alu instid0(VALU_DEP_1)
	v_cmpx_gt_u32_e32 0x43f00000, v5
	s_xor_b32 s6, exec_lo, s6
	s_cbranch_execz .LBB276_685
; %bb.680:
	s_mov_b32 s7, exec_lo
                                        ; implicit-def: $vgpr3
	v_cmpx_lt_u32_e32 0x3c7fffff, v5
	s_xor_b32 s7, exec_lo, s7
; %bb.681:
	v_bfe_u32 v3, v2, 20, 1
	s_delay_alu instid0(VALU_DEP_1) | instskip(NEXT) | instid1(VALU_DEP_1)
	v_add3_u32 v3, v2, v3, 0x407ffff
	v_and_b32_e32 v5, 0xff00000, v3
	v_lshrrev_b32_e32 v3, 20, v3
	s_delay_alu instid0(VALU_DEP_2) | instskip(NEXT) | instid1(VALU_DEP_2)
	v_cmp_ne_u32_e32 vcc_lo, 0x7f00000, v5
	v_cndmask_b32_e32 v3, 0x7e, v3, vcc_lo
; %bb.682:
	s_and_not1_saveexec_b32 s7, s7
; %bb.683:
	v_add_f32_e64 v3, 0x46800000, |v2|
; %bb.684:
	s_or_b32 exec_lo, exec_lo, s7
                                        ; implicit-def: $vgpr5
.LBB276_685:
	s_and_not1_saveexec_b32 s6, s6
; %bb.686:
	v_mov_b32_e32 v3, 0x7f
	v_cmp_lt_u32_e32 vcc_lo, 0x7f800000, v5
	s_delay_alu instid0(VALU_DEP_2)
	v_cndmask_b32_e32 v3, 0x7e, v3, vcc_lo
; %bb.687:
	s_or_b32 exec_lo, exec_lo, s6
	v_lshrrev_b32_e32 v2, 24, v2
	s_delay_alu instid0(VALU_DEP_1)
	v_and_or_b32 v21, 0x80, v2, v3
.LBB276_688:
	s_or_b32 exec_lo, exec_lo, s5
                                        ; implicit-def: $vgpr2_vgpr3
.LBB276_689:
	s_and_not1_saveexec_b32 s4, s4
	s_cbranch_execz .LBB276_699
; %bb.690:
	flat_load_u16 v2, v[2:3]
	s_mov_b32 s5, exec_lo
                                        ; implicit-def: $vgpr3
	s_wait_loadcnt_dscnt 0x0
	v_cvt_f32_f16_e32 v2, v2
	s_delay_alu instid0(VALU_DEP_1) | instskip(NEXT) | instid1(VALU_DEP_1)
	v_and_b32_e32 v5, 0x7fffffff, v2
	v_cmpx_gt_u32_e32 0x43f00000, v5
	s_xor_b32 s5, exec_lo, s5
	s_cbranch_execz .LBB276_696
; %bb.691:
	s_mov_b32 s6, exec_lo
                                        ; implicit-def: $vgpr3
	v_cmpx_lt_u32_e32 0x3c7fffff, v5
	s_xor_b32 s6, exec_lo, s6
; %bb.692:
	v_bfe_u32 v3, v2, 20, 1
	s_delay_alu instid0(VALU_DEP_1) | instskip(NEXT) | instid1(VALU_DEP_1)
	v_add3_u32 v3, v2, v3, 0x407ffff
	v_and_b32_e32 v5, 0xff00000, v3
	v_lshrrev_b32_e32 v3, 20, v3
	s_delay_alu instid0(VALU_DEP_2) | instskip(NEXT) | instid1(VALU_DEP_2)
	v_cmp_ne_u32_e32 vcc_lo, 0x7f00000, v5
	v_cndmask_b32_e32 v3, 0x7e, v3, vcc_lo
; %bb.693:
	s_and_not1_saveexec_b32 s6, s6
; %bb.694:
	v_add_f32_e64 v3, 0x46800000, |v2|
; %bb.695:
	s_or_b32 exec_lo, exec_lo, s6
                                        ; implicit-def: $vgpr5
.LBB276_696:
	s_and_not1_saveexec_b32 s5, s5
; %bb.697:
	v_mov_b32_e32 v3, 0x7f
	v_cmp_lt_u32_e32 vcc_lo, 0x7f800000, v5
	s_delay_alu instid0(VALU_DEP_2)
	v_cndmask_b32_e32 v3, 0x7e, v3, vcc_lo
; %bb.698:
	s_or_b32 exec_lo, exec_lo, s5
	v_lshrrev_b32_e32 v2, 24, v2
	s_delay_alu instid0(VALU_DEP_1)
	v_and_or_b32 v21, 0x80, v2, v3
.LBB276_699:
	s_or_b32 exec_lo, exec_lo, s4
.LBB276_700:
	s_delay_alu instid0(SALU_CYCLE_1)
	s_or_b32 exec_lo, exec_lo, s3
                                        ; implicit-def: $vgpr2_vgpr3
.LBB276_701:
	s_and_not1_saveexec_b32 s2, s2
	s_cbranch_execz .LBB276_759
; %bb.702:
	s_mov_b32 s3, exec_lo
                                        ; implicit-def: $vgpr21
	v_cmpx_lt_i16_e32 1, v1
	s_xor_b32 s3, exec_lo, s3
	s_cbranch_execz .LBB276_736
; %bb.703:
	s_mov_b32 s4, exec_lo
                                        ; implicit-def: $vgpr21
	v_cmpx_lt_i16_e32 2, v1
	s_xor_b32 s4, exec_lo, s4
	;; [unrolled: 6-line block ×3, first 2 shown]
	s_cbranch_execz .LBB276_714
; %bb.705:
	flat_load_b64 v[2:3], v[2:3]
	s_mov_b32 s6, exec_lo
	s_wait_loadcnt_dscnt 0x0
	v_xor_b32_e32 v5, v2, v3
	v_cls_i32_e32 v6, v3
	s_delay_alu instid0(VALU_DEP_2) | instskip(NEXT) | instid1(VALU_DEP_1)
	v_ashrrev_i32_e32 v5, 31, v5
	v_add_nc_u32_e32 v5, 32, v5
	s_delay_alu instid0(VALU_DEP_1) | instskip(SKIP_1) | instid1(VALU_DEP_1)
	v_add_min_u32_e64 v5, v6, -1, v5
	s_wait_xcnt 0x0
	v_lshlrev_b64_e32 v[2:3], v5, v[2:3]
	s_delay_alu instid0(VALU_DEP_1) | instskip(NEXT) | instid1(VALU_DEP_1)
	v_min_u32_e32 v2, 1, v2
	v_dual_sub_nc_u32 v3, 32, v5 :: v_dual_bitop2_b32 v2, v3, v2 bitop3:0x54
	s_delay_alu instid0(VALU_DEP_1) | instskip(NEXT) | instid1(VALU_DEP_1)
	v_cvt_f32_i32_e32 v2, v2
	v_ldexp_f32 v2, v2, v3
                                        ; implicit-def: $vgpr3
	s_delay_alu instid0(VALU_DEP_1) | instskip(NEXT) | instid1(VALU_DEP_1)
	v_and_b32_e32 v5, 0x7fffffff, v2
	v_cmpx_gt_u32_e32 0x43f00000, v5
	s_xor_b32 s6, exec_lo, s6
	s_cbranch_execz .LBB276_711
; %bb.706:
	s_mov_b32 s7, exec_lo
                                        ; implicit-def: $vgpr3
	v_cmpx_lt_u32_e32 0x3c7fffff, v5
	s_xor_b32 s7, exec_lo, s7
; %bb.707:
	v_bfe_u32 v3, v2, 20, 1
	s_delay_alu instid0(VALU_DEP_1) | instskip(NEXT) | instid1(VALU_DEP_1)
	v_add3_u32 v3, v2, v3, 0x407ffff
	v_and_b32_e32 v5, 0xff00000, v3
	v_lshrrev_b32_e32 v3, 20, v3
	s_delay_alu instid0(VALU_DEP_2) | instskip(NEXT) | instid1(VALU_DEP_2)
	v_cmp_ne_u32_e32 vcc_lo, 0x7f00000, v5
	v_cndmask_b32_e32 v3, 0x7e, v3, vcc_lo
; %bb.708:
	s_and_not1_saveexec_b32 s7, s7
; %bb.709:
	v_add_f32_e64 v3, 0x46800000, |v2|
; %bb.710:
	s_or_b32 exec_lo, exec_lo, s7
                                        ; implicit-def: $vgpr5
.LBB276_711:
	s_and_not1_saveexec_b32 s6, s6
; %bb.712:
	v_mov_b32_e32 v3, 0x7f
	v_cmp_lt_u32_e32 vcc_lo, 0x7f800000, v5
	s_delay_alu instid0(VALU_DEP_2)
	v_cndmask_b32_e32 v3, 0x7e, v3, vcc_lo
; %bb.713:
	s_or_b32 exec_lo, exec_lo, s6
	v_lshrrev_b32_e32 v2, 24, v2
	s_delay_alu instid0(VALU_DEP_1)
	v_and_or_b32 v21, 0x80, v2, v3
                                        ; implicit-def: $vgpr2_vgpr3
.LBB276_714:
	s_and_not1_saveexec_b32 s5, s5
	s_cbranch_execz .LBB276_724
; %bb.715:
	flat_load_b32 v2, v[2:3]
	s_mov_b32 s6, exec_lo
                                        ; implicit-def: $vgpr3
	s_wait_loadcnt_dscnt 0x0
	v_cvt_f32_i32_e32 v2, v2
	s_delay_alu instid0(VALU_DEP_1) | instskip(NEXT) | instid1(VALU_DEP_1)
	v_and_b32_e32 v5, 0x7fffffff, v2
	v_cmpx_gt_u32_e32 0x43f00000, v5
	s_xor_b32 s6, exec_lo, s6
	s_cbranch_execz .LBB276_721
; %bb.716:
	s_mov_b32 s7, exec_lo
                                        ; implicit-def: $vgpr3
	v_cmpx_lt_u32_e32 0x3c7fffff, v5
	s_xor_b32 s7, exec_lo, s7
; %bb.717:
	v_bfe_u32 v3, v2, 20, 1
	s_delay_alu instid0(VALU_DEP_1) | instskip(NEXT) | instid1(VALU_DEP_1)
	v_add3_u32 v3, v2, v3, 0x407ffff
	v_and_b32_e32 v5, 0xff00000, v3
	v_lshrrev_b32_e32 v3, 20, v3
	s_delay_alu instid0(VALU_DEP_2) | instskip(NEXT) | instid1(VALU_DEP_2)
	v_cmp_ne_u32_e32 vcc_lo, 0x7f00000, v5
	v_cndmask_b32_e32 v3, 0x7e, v3, vcc_lo
; %bb.718:
	s_and_not1_saveexec_b32 s7, s7
; %bb.719:
	v_add_f32_e64 v3, 0x46800000, |v2|
; %bb.720:
	s_or_b32 exec_lo, exec_lo, s7
                                        ; implicit-def: $vgpr5
.LBB276_721:
	s_and_not1_saveexec_b32 s6, s6
; %bb.722:
	v_mov_b32_e32 v3, 0x7f
	v_cmp_lt_u32_e32 vcc_lo, 0x7f800000, v5
	s_delay_alu instid0(VALU_DEP_2)
	v_cndmask_b32_e32 v3, 0x7e, v3, vcc_lo
; %bb.723:
	s_or_b32 exec_lo, exec_lo, s6
	v_lshrrev_b32_e32 v2, 24, v2
	s_delay_alu instid0(VALU_DEP_1)
	v_and_or_b32 v21, 0x80, v2, v3
.LBB276_724:
	s_or_b32 exec_lo, exec_lo, s5
                                        ; implicit-def: $vgpr2_vgpr3
.LBB276_725:
	s_and_not1_saveexec_b32 s4, s4
	s_cbranch_execz .LBB276_735
; %bb.726:
	flat_load_i16 v2, v[2:3]
	s_mov_b32 s5, exec_lo
                                        ; implicit-def: $vgpr3
	s_wait_loadcnt_dscnt 0x0
	v_cvt_f32_i32_e32 v2, v2
	s_delay_alu instid0(VALU_DEP_1) | instskip(NEXT) | instid1(VALU_DEP_1)
	v_and_b32_e32 v5, 0x7fffffff, v2
	v_cmpx_gt_u32_e32 0x43f00000, v5
	s_xor_b32 s5, exec_lo, s5
	s_cbranch_execz .LBB276_732
; %bb.727:
	s_mov_b32 s6, exec_lo
                                        ; implicit-def: $vgpr3
	v_cmpx_lt_u32_e32 0x3c7fffff, v5
	s_xor_b32 s6, exec_lo, s6
; %bb.728:
	v_bfe_u32 v3, v2, 20, 1
	s_delay_alu instid0(VALU_DEP_1) | instskip(NEXT) | instid1(VALU_DEP_1)
	v_add3_u32 v3, v2, v3, 0x407ffff
	v_and_b32_e32 v5, 0xff00000, v3
	v_lshrrev_b32_e32 v3, 20, v3
	s_delay_alu instid0(VALU_DEP_2) | instskip(NEXT) | instid1(VALU_DEP_2)
	v_cmp_ne_u32_e32 vcc_lo, 0x7f00000, v5
	v_cndmask_b32_e32 v3, 0x7e, v3, vcc_lo
; %bb.729:
	s_and_not1_saveexec_b32 s6, s6
; %bb.730:
	v_add_f32_e64 v3, 0x46800000, |v2|
; %bb.731:
	s_or_b32 exec_lo, exec_lo, s6
                                        ; implicit-def: $vgpr5
.LBB276_732:
	s_and_not1_saveexec_b32 s5, s5
; %bb.733:
	v_mov_b32_e32 v3, 0x7f
	v_cmp_lt_u32_e32 vcc_lo, 0x7f800000, v5
	s_delay_alu instid0(VALU_DEP_2)
	v_cndmask_b32_e32 v3, 0x7e, v3, vcc_lo
; %bb.734:
	s_or_b32 exec_lo, exec_lo, s5
	v_lshrrev_b32_e32 v2, 24, v2
	s_delay_alu instid0(VALU_DEP_1)
	v_and_or_b32 v21, 0x80, v2, v3
.LBB276_735:
	s_or_b32 exec_lo, exec_lo, s4
                                        ; implicit-def: $vgpr2_vgpr3
.LBB276_736:
	s_and_not1_saveexec_b32 s3, s3
	s_cbranch_execz .LBB276_758
; %bb.737:
	s_mov_b32 s4, exec_lo
                                        ; implicit-def: $vgpr21
	v_cmpx_lt_i16_e32 0, v1
	s_xor_b32 s4, exec_lo, s4
	s_cbranch_execz .LBB276_747
; %bb.738:
	flat_load_i8 v2, v[2:3]
	s_mov_b32 s5, exec_lo
                                        ; implicit-def: $vgpr3
	s_wait_loadcnt_dscnt 0x0
	v_cvt_f32_i32_e32 v2, v2
	s_delay_alu instid0(VALU_DEP_1) | instskip(NEXT) | instid1(VALU_DEP_1)
	v_and_b32_e32 v5, 0x7fffffff, v2
	v_cmpx_gt_u32_e32 0x43f00000, v5
	s_xor_b32 s5, exec_lo, s5
	s_cbranch_execz .LBB276_744
; %bb.739:
	s_mov_b32 s6, exec_lo
                                        ; implicit-def: $vgpr3
	v_cmpx_lt_u32_e32 0x3c7fffff, v5
	s_xor_b32 s6, exec_lo, s6
; %bb.740:
	v_bfe_u32 v3, v2, 20, 1
	s_delay_alu instid0(VALU_DEP_1) | instskip(NEXT) | instid1(VALU_DEP_1)
	v_add3_u32 v3, v2, v3, 0x407ffff
	v_and_b32_e32 v5, 0xff00000, v3
	v_lshrrev_b32_e32 v3, 20, v3
	s_delay_alu instid0(VALU_DEP_2) | instskip(NEXT) | instid1(VALU_DEP_2)
	v_cmp_ne_u32_e32 vcc_lo, 0x7f00000, v5
	v_cndmask_b32_e32 v3, 0x7e, v3, vcc_lo
; %bb.741:
	s_and_not1_saveexec_b32 s6, s6
; %bb.742:
	v_add_f32_e64 v3, 0x46800000, |v2|
; %bb.743:
	s_or_b32 exec_lo, exec_lo, s6
                                        ; implicit-def: $vgpr5
.LBB276_744:
	s_and_not1_saveexec_b32 s5, s5
; %bb.745:
	v_mov_b32_e32 v3, 0x7f
	v_cmp_lt_u32_e32 vcc_lo, 0x7f800000, v5
	s_delay_alu instid0(VALU_DEP_2)
	v_cndmask_b32_e32 v3, 0x7e, v3, vcc_lo
; %bb.746:
	s_or_b32 exec_lo, exec_lo, s5
	v_lshrrev_b32_e32 v2, 24, v2
	s_delay_alu instid0(VALU_DEP_1)
	v_and_or_b32 v21, 0x80, v2, v3
                                        ; implicit-def: $vgpr2_vgpr3
.LBB276_747:
	s_and_not1_saveexec_b32 s4, s4
	s_cbranch_execz .LBB276_757
; %bb.748:
	flat_load_u8 v2, v[2:3]
	s_mov_b32 s5, exec_lo
                                        ; implicit-def: $vgpr21
	s_wait_loadcnt_dscnt 0x0
	v_cvt_f32_ubyte0_e32 v2, v2
	s_delay_alu instid0(VALU_DEP_1)
	v_cmpx_gt_u32_e32 0x43f00000, v2
	s_xor_b32 s5, exec_lo, s5
	s_cbranch_execz .LBB276_754
; %bb.749:
	s_mov_b32 s6, exec_lo
                                        ; implicit-def: $vgpr21
	v_cmpx_lt_u32_e32 0x3c7fffff, v2
	s_xor_b32 s6, exec_lo, s6
; %bb.750:
	v_bfe_u32 v3, v2, 20, 1
	s_delay_alu instid0(VALU_DEP_1) | instskip(NEXT) | instid1(VALU_DEP_1)
	v_add3_u32 v2, v2, v3, 0x407ffff
	v_and_b32_e32 v3, 0xff00000, v2
	v_lshrrev_b32_e32 v2, 20, v2
	s_delay_alu instid0(VALU_DEP_2) | instskip(NEXT) | instid1(VALU_DEP_2)
	v_cmp_ne_u32_e32 vcc_lo, 0x7f00000, v3
	v_cndmask_b32_e32 v21, 0x7e, v2, vcc_lo
                                        ; implicit-def: $vgpr2
; %bb.751:
	s_and_not1_saveexec_b32 s6, s6
; %bb.752:
	v_add_f32_e32 v21, 0x46800000, v2
; %bb.753:
	s_or_b32 exec_lo, exec_lo, s6
                                        ; implicit-def: $vgpr2
.LBB276_754:
	s_and_not1_saveexec_b32 s5, s5
; %bb.755:
	v_mov_b32_e32 v3, 0x7f
	v_cmp_lt_u32_e32 vcc_lo, 0x7f800000, v2
	s_delay_alu instid0(VALU_DEP_2)
	v_cndmask_b32_e32 v21, 0x7e, v3, vcc_lo
; %bb.756:
	s_or_b32 exec_lo, exec_lo, s5
.LBB276_757:
	s_delay_alu instid0(SALU_CYCLE_1)
	s_or_b32 exec_lo, exec_lo, s4
.LBB276_758:
	s_delay_alu instid0(SALU_CYCLE_1)
	s_or_b32 exec_lo, exec_lo, s3
.LBB276_759:
	s_delay_alu instid0(SALU_CYCLE_1) | instskip(NEXT) | instid1(SALU_CYCLE_1)
	s_or_b32 exec_lo, exec_lo, s2
	s_or_b32 s1, s1, exec_lo
.LBB276_760:
	s_or_b32 exec_lo, exec_lo, s0
	s_mov_b32 s4, 0
	s_mov_b32 s2, 0
	;; [unrolled: 1-line block ×3, first 2 shown]
                                        ; implicit-def: $sgpr3
                                        ; implicit-def: $vgpr22_vgpr23
                                        ; implicit-def: $vgpr5
	s_and_saveexec_b32 s17, s1
	s_cbranch_execz .LBB276_2191
; %bb.761:
	s_clause 0x1
	scratch_load_b64 v[6:7], off, off offset:432
	scratch_load_u8 v3, off, off offset:446
	v_dual_mov_b32 v2, 0x1bd :: v_dual_mov_b32 v13, 0
	s_mov_b32 s1, 0
	s_mov_b32 s18, s16
	s_mov_b32 s0, exec_lo
                                        ; implicit-def: $vgpr25
	s_wait_loadcnt 0x1
	v_add_nc_u64_e32 v[12:13], v[6:7], v[12:13]
	s_wait_loadcnt 0x0
	v_cmpx_lt_i16_e32 10, v3
	s_xor_b32 s0, exec_lo, s0
	s_cbranch_execz .LBB276_856
; %bb.762:
	s_mov_b32 s3, 0
	s_mov_b32 s2, exec_lo
                                        ; implicit-def: $vgpr25
	v_cmpx_lt_i16_e32 25, v3
	s_xor_b32 s2, exec_lo, s2
	s_cbranch_execz .LBB276_2330
; %bb.763:
	s_mov_b32 s3, exec_lo
                                        ; implicit-def: $vgpr25
	v_cmpx_lt_i16_e32 28, v3
	s_xor_b32 s3, exec_lo, s3
	s_cbranch_execz .LBB276_803
; %bb.764:
	s_mov_b32 s6, 0
	s_mov_b32 s7, 0
	s_mov_b32 s4, exec_lo
                                        ; implicit-def: $vgpr25
	v_cmpx_lt_i16_e32 43, v3
	s_xor_b32 s4, exec_lo, s4
	s_cbranch_execz .LBB276_790
; %bb.765:
	s_mov_b32 s7, exec_lo
                                        ; implicit-def: $vgpr25
	v_cmpx_lt_i16_e32 45, v3
	s_xor_b32 s7, exec_lo, s7
	s_cbranch_execz .LBB276_777
; %bb.766:
	s_mov_b32 s8, -1
	s_mov_b32 s5, exec_lo
                                        ; implicit-def: $vgpr25
	v_cmpx_eq_u16_e32 46, v3
	s_cbranch_execz .LBB276_776
; %bb.767:
	flat_load_b32 v5, v[12:13]
	s_mov_b32 s6, exec_lo
                                        ; implicit-def: $vgpr9
	s_wait_loadcnt_dscnt 0x0
	v_lshlrev_b32_e32 v5, 16, v5
	s_delay_alu instid0(VALU_DEP_1) | instskip(SKIP_1) | instid1(VALU_DEP_1)
	v_and_b32_e32 v11, 0x7fffffff, v5
	s_wait_xcnt 0x0
	v_cmpx_gt_u32_e32 0x43f00000, v11
	s_xor_b32 s6, exec_lo, s6
	s_cbranch_execz .LBB276_773
; %bb.768:
	s_mov_b32 s8, exec_lo
                                        ; implicit-def: $vgpr9
	v_cmpx_lt_u32_e32 0x3c7fffff, v11
	s_xor_b32 s8, exec_lo, s8
; %bb.769:
	v_bfe_u32 v9, v5, 20, 1
	s_delay_alu instid0(VALU_DEP_1) | instskip(NEXT) | instid1(VALU_DEP_1)
	v_add3_u32 v9, v5, v9, 0x407ffff
	v_and_b32_e32 v11, 0xff00000, v9
	v_lshrrev_b32_e32 v9, 20, v9
	s_delay_alu instid0(VALU_DEP_2) | instskip(NEXT) | instid1(VALU_DEP_2)
	v_cmp_ne_u32_e32 vcc_lo, 0x7f00000, v11
	v_cndmask_b32_e32 v9, 0x7e, v9, vcc_lo
; %bb.770:
	s_and_not1_saveexec_b32 s8, s8
; %bb.771:
	v_add_f32_e64 v9, 0x46800000, |v5|
; %bb.772:
	s_or_b32 exec_lo, exec_lo, s8
                                        ; implicit-def: $vgpr11
.LBB276_773:
	s_and_not1_saveexec_b32 s6, s6
; %bb.774:
	v_mov_b32_e32 v9, 0x7f
	v_cmp_lt_u32_e32 vcc_lo, 0x7f800000, v11
	s_delay_alu instid0(VALU_DEP_2)
	v_cndmask_b32_e32 v9, 0x7e, v9, vcc_lo
; %bb.775:
	s_or_b32 exec_lo, exec_lo, s6
	v_lshrrev_b32_e32 v5, 24, v5
	s_mov_b32 s6, exec_lo
	s_xor_b32 s8, exec_lo, -1
	s_delay_alu instid0(VALU_DEP_1)
	v_and_or_b32 v25, 0x80, v5, v9
.LBB276_776:
	s_or_b32 exec_lo, exec_lo, s5
	s_delay_alu instid0(SALU_CYCLE_1)
	s_and_b32 s6, s6, exec_lo
	s_and_b32 s5, s8, exec_lo
.LBB276_777:
	s_and_not1_saveexec_b32 s7, s7
	s_cbranch_execz .LBB276_789
; %bb.778:
	s_mov_b32 s9, -1
	s_mov_b32 s10, s6
	s_mov_b32 s8, exec_lo
                                        ; implicit-def: $vgpr25
	v_cmpx_eq_u16_e32 44, v3
	s_cbranch_execz .LBB276_788
; %bb.779:
	flat_load_u8 v5, v[12:13]
	s_mov_b32 s9, exec_lo
                                        ; implicit-def: $vgpr25
	s_wait_loadcnt_dscnt 0x0
	v_lshlrev_b32_e32 v9, 23, v5
	v_cmp_ne_u32_e32 vcc_lo, 0xff, v5
	s_delay_alu instid0(VALU_DEP_2) | instskip(SKIP_1) | instid1(VALU_DEP_2)
	v_cndmask_b32_e32 v9, 0x7f800001, v9, vcc_lo
	v_cmp_ne_u32_e32 vcc_lo, 0, v5
	v_cndmask_b32_e32 v5, 0x400000, v9, vcc_lo
	s_wait_xcnt 0x0
	s_delay_alu instid0(VALU_DEP_1)
	v_cmpx_gt_u32_e32 0x43f00000, v5
	s_xor_b32 s9, exec_lo, s9
	s_cbranch_execz .LBB276_785
; %bb.780:
	s_mov_b32 s10, exec_lo
                                        ; implicit-def: $vgpr25
	v_cmpx_lt_u32_e32 0x3c7fffff, v5
	s_xor_b32 s10, exec_lo, s10
; %bb.781:
	v_bfe_u32 v9, v5, 20, 1
	s_delay_alu instid0(VALU_DEP_1) | instskip(NEXT) | instid1(VALU_DEP_1)
	v_add3_u32 v5, v5, v9, 0x407ffff
	v_and_b32_e32 v9, 0xff00000, v5
	v_lshrrev_b32_e32 v5, 20, v5
	s_delay_alu instid0(VALU_DEP_2) | instskip(NEXT) | instid1(VALU_DEP_2)
	v_cmp_ne_u32_e32 vcc_lo, 0x7f00000, v9
	v_cndmask_b32_e32 v25, 0x7e, v5, vcc_lo
                                        ; implicit-def: $vgpr5
; %bb.782:
	s_and_not1_saveexec_b32 s10, s10
; %bb.783:
	v_add_f32_e32 v25, 0x46800000, v5
; %bb.784:
	s_or_b32 exec_lo, exec_lo, s10
                                        ; implicit-def: $vgpr5
.LBB276_785:
	s_and_not1_saveexec_b32 s9, s9
; %bb.786:
	v_mov_b32_e32 v9, 0x7f
	v_cmp_lt_u32_e32 vcc_lo, 0x7f800000, v5
	s_delay_alu instid0(VALU_DEP_2)
	v_cndmask_b32_e32 v25, 0x7e, v9, vcc_lo
; %bb.787:
	s_or_b32 exec_lo, exec_lo, s9
	s_delay_alu instid0(SALU_CYCLE_1)
	s_or_b32 s10, s6, exec_lo
	s_xor_b32 s9, exec_lo, -1
.LBB276_788:
	s_or_b32 exec_lo, exec_lo, s8
	s_delay_alu instid0(SALU_CYCLE_1)
	s_and_not1_b32 s6, s6, exec_lo
	s_and_b32 s8, s10, exec_lo
	s_and_not1_b32 s5, s5, exec_lo
	s_and_b32 s9, s9, exec_lo
	s_or_b32 s6, s6, s8
	s_or_b32 s5, s5, s9
.LBB276_789:
	s_or_b32 exec_lo, exec_lo, s7
	s_delay_alu instid0(SALU_CYCLE_1)
	s_and_b32 s7, s6, exec_lo
	s_and_b32 s6, s5, exec_lo
.LBB276_790:
	s_and_not1_saveexec_b32 s4, s4
	s_cbranch_execz .LBB276_802
; %bb.791:
	s_mov_b32 s8, -1
	s_mov_b32 s9, s7
	s_mov_b32 s5, exec_lo
                                        ; implicit-def: $vgpr25
	v_cmpx_eq_u16_e32 29, v3
	s_cbranch_execz .LBB276_801
; %bb.792:
	flat_load_b64 v[22:23], v[12:13]
	s_mov_b32 s8, exec_lo
                                        ; implicit-def: $vgpr25
	s_wait_loadcnt_dscnt 0x0
	v_clz_i32_u32_e32 v5, v23
	s_delay_alu instid0(VALU_DEP_1) | instskip(NEXT) | instid1(VALU_DEP_1)
	v_min_u32_e32 v5, 32, v5
	v_lshlrev_b64_e32 v[22:23], v5, v[22:23]
	v_sub_nc_u32_e32 v5, 32, v5
	s_delay_alu instid0(VALU_DEP_2) | instskip(NEXT) | instid1(VALU_DEP_1)
	v_min_u32_e32 v9, 1, v22
	v_or_b32_e32 v9, v23, v9
	s_delay_alu instid0(VALU_DEP_1) | instskip(NEXT) | instid1(VALU_DEP_1)
	v_cvt_f32_u32_e32 v9, v9
	v_ldexp_f32 v5, v9, v5
	s_wait_xcnt 0x0
	s_delay_alu instid0(VALU_DEP_1)
	v_cmpx_gt_u32_e32 0x43f00000, v5
	s_xor_b32 s8, exec_lo, s8
	s_cbranch_execz .LBB276_798
; %bb.793:
	s_mov_b32 s9, exec_lo
                                        ; implicit-def: $vgpr25
	v_cmpx_lt_u32_e32 0x3c7fffff, v5
	s_xor_b32 s9, exec_lo, s9
; %bb.794:
	v_bfe_u32 v9, v5, 20, 1
	s_delay_alu instid0(VALU_DEP_1) | instskip(NEXT) | instid1(VALU_DEP_1)
	v_add3_u32 v5, v5, v9, 0x407ffff
	v_and_b32_e32 v9, 0xff00000, v5
	v_lshrrev_b32_e32 v5, 20, v5
	s_delay_alu instid0(VALU_DEP_2) | instskip(NEXT) | instid1(VALU_DEP_2)
	v_cmp_ne_u32_e32 vcc_lo, 0x7f00000, v9
	v_cndmask_b32_e32 v25, 0x7e, v5, vcc_lo
                                        ; implicit-def: $vgpr5
; %bb.795:
	s_and_not1_saveexec_b32 s9, s9
; %bb.796:
	v_add_f32_e32 v25, 0x46800000, v5
; %bb.797:
	s_or_b32 exec_lo, exec_lo, s9
                                        ; implicit-def: $vgpr5
.LBB276_798:
	s_and_not1_saveexec_b32 s8, s8
; %bb.799:
	v_mov_b32_e32 v9, 0x7f
	v_cmp_lt_u32_e32 vcc_lo, 0x7f800000, v5
	s_delay_alu instid0(VALU_DEP_2)
	v_cndmask_b32_e32 v25, 0x7e, v9, vcc_lo
; %bb.800:
	s_or_b32 exec_lo, exec_lo, s8
	s_delay_alu instid0(SALU_CYCLE_1)
	s_or_b32 s9, s7, exec_lo
	s_xor_b32 s8, exec_lo, -1
.LBB276_801:
	s_or_b32 exec_lo, exec_lo, s5
	s_delay_alu instid0(SALU_CYCLE_1)
	s_and_not1_b32 s5, s7, exec_lo
	s_and_b32 s7, s9, exec_lo
	s_and_not1_b32 s6, s6, exec_lo
	s_and_b32 s8, s8, exec_lo
	s_or_b32 s7, s5, s7
	s_or_b32 s6, s6, s8
.LBB276_802:
	s_or_b32 exec_lo, exec_lo, s4
	s_delay_alu instid0(SALU_CYCLE_1)
	s_and_b32 s5, s7, exec_lo
	s_and_b32 s4, s6, exec_lo
.LBB276_803:
	s_and_not1_saveexec_b32 s3, s3
	s_cbranch_execz .LBB276_843
; %bb.804:
	s_mov_b32 s6, exec_lo
                                        ; implicit-def: $vgpr25
	v_cmpx_lt_i16_e32 26, v3
	s_xor_b32 s6, exec_lo, s6
	s_cbranch_execz .LBB276_826
; %bb.805:
	s_mov_b32 s7, exec_lo
                                        ; implicit-def: $vgpr25
	v_cmpx_lt_i16_e32 27, v3
	s_xor_b32 s7, exec_lo, s7
	s_cbranch_execz .LBB276_815
; %bb.806:
	flat_load_b32 v5, v[12:13]
	s_mov_b32 s8, exec_lo
                                        ; implicit-def: $vgpr25
	s_wait_loadcnt_dscnt 0x0
	v_cvt_f32_u32_e32 v5, v5
	s_wait_xcnt 0x0
	s_delay_alu instid0(VALU_DEP_1)
	v_cmpx_gt_u32_e32 0x43f00000, v5
	s_xor_b32 s8, exec_lo, s8
	s_cbranch_execz .LBB276_812
; %bb.807:
	s_mov_b32 s9, exec_lo
                                        ; implicit-def: $vgpr25
	v_cmpx_lt_u32_e32 0x3c7fffff, v5
	s_xor_b32 s9, exec_lo, s9
; %bb.808:
	v_bfe_u32 v9, v5, 20, 1
	s_delay_alu instid0(VALU_DEP_1) | instskip(NEXT) | instid1(VALU_DEP_1)
	v_add3_u32 v5, v5, v9, 0x407ffff
	v_and_b32_e32 v9, 0xff00000, v5
	v_lshrrev_b32_e32 v5, 20, v5
	s_delay_alu instid0(VALU_DEP_2) | instskip(NEXT) | instid1(VALU_DEP_2)
	v_cmp_ne_u32_e32 vcc_lo, 0x7f00000, v9
	v_cndmask_b32_e32 v25, 0x7e, v5, vcc_lo
                                        ; implicit-def: $vgpr5
; %bb.809:
	s_and_not1_saveexec_b32 s9, s9
; %bb.810:
	v_add_f32_e32 v25, 0x46800000, v5
; %bb.811:
	s_or_b32 exec_lo, exec_lo, s9
                                        ; implicit-def: $vgpr5
.LBB276_812:
	s_and_not1_saveexec_b32 s8, s8
; %bb.813:
	v_mov_b32_e32 v9, 0x7f
	v_cmp_lt_u32_e32 vcc_lo, 0x7f800000, v5
	s_delay_alu instid0(VALU_DEP_2)
	v_cndmask_b32_e32 v25, 0x7e, v9, vcc_lo
; %bb.814:
	s_or_b32 exec_lo, exec_lo, s8
.LBB276_815:
	s_and_not1_saveexec_b32 s7, s7
	s_cbranch_execz .LBB276_825
; %bb.816:
	flat_load_u16 v5, v[12:13]
	s_mov_b32 s8, exec_lo
                                        ; implicit-def: $vgpr25
	s_wait_loadcnt_dscnt 0x0
	v_cvt_f32_u32_e32 v5, v5
	s_wait_xcnt 0x0
	s_delay_alu instid0(VALU_DEP_1)
	v_cmpx_gt_u32_e32 0x43f00000, v5
	s_xor_b32 s8, exec_lo, s8
	s_cbranch_execz .LBB276_822
; %bb.817:
	s_mov_b32 s9, exec_lo
                                        ; implicit-def: $vgpr25
	v_cmpx_lt_u32_e32 0x3c7fffff, v5
	s_xor_b32 s9, exec_lo, s9
; %bb.818:
	v_bfe_u32 v9, v5, 20, 1
	s_delay_alu instid0(VALU_DEP_1) | instskip(NEXT) | instid1(VALU_DEP_1)
	v_add3_u32 v5, v5, v9, 0x407ffff
	v_and_b32_e32 v9, 0xff00000, v5
	v_lshrrev_b32_e32 v5, 20, v5
	s_delay_alu instid0(VALU_DEP_2) | instskip(NEXT) | instid1(VALU_DEP_2)
	v_cmp_ne_u32_e32 vcc_lo, 0x7f00000, v9
	v_cndmask_b32_e32 v25, 0x7e, v5, vcc_lo
                                        ; implicit-def: $vgpr5
; %bb.819:
	s_and_not1_saveexec_b32 s9, s9
; %bb.820:
	v_add_f32_e32 v25, 0x46800000, v5
; %bb.821:
	s_or_b32 exec_lo, exec_lo, s9
                                        ; implicit-def: $vgpr5
.LBB276_822:
	s_and_not1_saveexec_b32 s8, s8
; %bb.823:
	v_mov_b32_e32 v9, 0x7f
	v_cmp_lt_u32_e32 vcc_lo, 0x7f800000, v5
	s_delay_alu instid0(VALU_DEP_2)
	v_cndmask_b32_e32 v25, 0x7e, v9, vcc_lo
; %bb.824:
	s_or_b32 exec_lo, exec_lo, s8
.LBB276_825:
	s_delay_alu instid0(SALU_CYCLE_1)
	s_or_b32 exec_lo, exec_lo, s7
.LBB276_826:
	s_and_not1_saveexec_b32 s6, s6
	s_cbranch_execz .LBB276_842
; %bb.827:
	flat_load_u8 v9, v[12:13]
	s_mov_b32 s7, 0
	s_mov_b32 s8, exec_lo
	s_wait_loadcnt_dscnt 0x0
	v_cmpx_lt_i16_e32 0x7f, v9
	s_xor_b32 s8, exec_lo, s8
	s_cbranch_execz .LBB276_2527
; %bb.828:
	s_mov_b32 s7, -1
	s_mov_b32 s9, exec_lo
	v_cmpx_eq_u16_e32 0x80, v9
; %bb.829:
	s_xor_b32 s7, exec_lo, -1
; %bb.830:
	s_or_b32 exec_lo, exec_lo, s9
	s_delay_alu instid0(SALU_CYCLE_1)
	s_and_b32 s7, s7, exec_lo
	s_or_saveexec_b32 s8, s8
	v_mov_b32_e32 v5, 0x7f800001
	s_xor_b32 exec_lo, exec_lo, s8
	s_cbranch_execnz .LBB276_2528
.LBB276_831:
	s_or_b32 exec_lo, exec_lo, s8
	s_and_saveexec_b32 s8, s7
	s_cbranch_execz .LBB276_833
.LBB276_832:
	v_and_b32_e32 v5, 0xffff, v9
	s_delay_alu instid0(VALU_DEP_1) | instskip(SKIP_1) | instid1(VALU_DEP_2)
	v_and_b32_e32 v11, 7, v5
	v_bfe_u32 v23, v5, 3, 4
	v_clz_i32_u32_e32 v14, v11
	s_delay_alu instid0(VALU_DEP_2) | instskip(NEXT) | instid1(VALU_DEP_2)
	v_cmp_eq_u32_e32 vcc_lo, 0, v23
	v_min_u32_e32 v14, 32, v14
	s_delay_alu instid0(VALU_DEP_1) | instskip(NEXT) | instid1(VALU_DEP_1)
	v_subrev_nc_u32_e32 v22, 28, v14
	v_dual_lshlrev_b32 v5, v22, v5 :: v_dual_sub_nc_u32 v14, 29, v14
	s_delay_alu instid0(VALU_DEP_1) | instskip(NEXT) | instid1(VALU_DEP_2)
	v_and_b32_e32 v5, 7, v5
	v_dual_cndmask_b32 v14, v23, v14 :: v_dual_lshlrev_b32 v9, 24, v9
	s_delay_alu instid0(VALU_DEP_2) | instskip(NEXT) | instid1(VALU_DEP_2)
	v_cndmask_b32_e32 v5, v11, v5, vcc_lo
	v_and_b32_e32 v9, 0x80000000, v9
	s_delay_alu instid0(VALU_DEP_3) | instskip(NEXT) | instid1(VALU_DEP_3)
	v_lshl_add_u32 v11, v14, 23, 0x3b800000
	v_lshlrev_b32_e32 v5, 20, v5
	s_delay_alu instid0(VALU_DEP_1)
	v_or3_b32 v5, v9, v11, v5
.LBB276_833:
	s_or_b32 exec_lo, exec_lo, s8
	s_delay_alu instid0(VALU_DEP_1) | instskip(SKIP_1) | instid1(VALU_DEP_1)
	v_and_b32_e32 v11, 0x7fffffff, v5
	s_mov_b32 s7, exec_lo
                                        ; implicit-def: $vgpr9
	v_cmpx_gt_u32_e32 0x43f00000, v11
	s_xor_b32 s7, exec_lo, s7
	s_cbranch_execz .LBB276_839
; %bb.834:
	s_mov_b32 s8, exec_lo
                                        ; implicit-def: $vgpr9
	v_cmpx_lt_u32_e32 0x3c7fffff, v11
	s_xor_b32 s8, exec_lo, s8
; %bb.835:
	v_bfe_u32 v9, v5, 20, 1
	s_delay_alu instid0(VALU_DEP_1) | instskip(NEXT) | instid1(VALU_DEP_1)
	v_add3_u32 v9, v5, v9, 0x407ffff
	v_and_b32_e32 v11, 0xff00000, v9
	v_lshrrev_b32_e32 v9, 20, v9
	s_delay_alu instid0(VALU_DEP_2) | instskip(NEXT) | instid1(VALU_DEP_2)
	v_cmp_ne_u32_e32 vcc_lo, 0x7f00000, v11
	v_cndmask_b32_e32 v9, 0x7e, v9, vcc_lo
; %bb.836:
	s_and_not1_saveexec_b32 s8, s8
; %bb.837:
	v_add_f32_e64 v9, 0x46800000, |v5|
; %bb.838:
	s_or_b32 exec_lo, exec_lo, s8
                                        ; implicit-def: $vgpr11
.LBB276_839:
	s_and_not1_saveexec_b32 s7, s7
; %bb.840:
	v_mov_b32_e32 v9, 0x7f
	v_cmp_lt_u32_e32 vcc_lo, 0x7f800000, v11
	s_delay_alu instid0(VALU_DEP_2)
	v_cndmask_b32_e32 v9, 0x7e, v9, vcc_lo
; %bb.841:
	s_or_b32 exec_lo, exec_lo, s7
	v_lshrrev_b32_e32 v5, 24, v5
	s_delay_alu instid0(VALU_DEP_1)
	v_and_or_b32 v25, 0x80, v5, v9
.LBB276_842:
	s_or_b32 exec_lo, exec_lo, s6
	s_delay_alu instid0(SALU_CYCLE_1)
	s_or_b32 s5, s5, exec_lo
.LBB276_843:
	s_or_b32 exec_lo, exec_lo, s3
	s_delay_alu instid0(SALU_CYCLE_1)
	s_and_b32 s3, s5, exec_lo
	s_and_b32 s4, s4, exec_lo
	s_and_not1_saveexec_b32 s2, s2
	s_cbranch_execnz .LBB276_2331
.LBB276_844:
	s_or_b32 exec_lo, exec_lo, s2
	s_mov_b32 s2, s16
	s_and_saveexec_b32 s5, s4
	s_cbranch_execnz .LBB276_2380
.LBB276_845:
	s_or_b32 exec_lo, exec_lo, s5
	s_and_saveexec_b32 s4, s1
	s_cbranch_execz .LBB276_855
.LBB276_846:
	flat_load_u8 v5, v[12:13]
	s_mov_b32 s1, exec_lo
                                        ; implicit-def: $vgpr25
	s_wait_loadcnt_dscnt 0x0
	v_cmp_ne_u16_e32 vcc_lo, 0, v5
	v_cndmask_b32_e64 v5, 0, 1.0, vcc_lo
	s_wait_xcnt 0x0
	s_delay_alu instid0(VALU_DEP_1)
	v_cmpx_gt_u32_e32 0x43f00000, v5
	s_xor_b32 s1, exec_lo, s1
	s_cbranch_execz .LBB276_852
; %bb.847:
	s_mov_b32 s5, exec_lo
                                        ; implicit-def: $vgpr25
	v_cmpx_lt_u32_e32 0x3c7fffff, v5
	s_xor_b32 s5, exec_lo, s5
; %bb.848:
	v_bfe_u32 v9, v5, 20, 1
	s_delay_alu instid0(VALU_DEP_1) | instskip(NEXT) | instid1(VALU_DEP_1)
	v_add3_u32 v5, v5, v9, 0x407ffff
	v_and_b32_e32 v9, 0xff00000, v5
	v_lshrrev_b32_e32 v5, 20, v5
	s_delay_alu instid0(VALU_DEP_2) | instskip(NEXT) | instid1(VALU_DEP_2)
	v_cmp_ne_u32_e32 vcc_lo, 0x7f00000, v9
	v_cndmask_b32_e32 v25, 0x7e, v5, vcc_lo
                                        ; implicit-def: $vgpr5
; %bb.849:
	s_and_not1_saveexec_b32 s5, s5
; %bb.850:
	v_add_f32_e32 v25, 0x46800000, v5
; %bb.851:
	s_or_b32 exec_lo, exec_lo, s5
                                        ; implicit-def: $vgpr5
.LBB276_852:
	s_and_not1_saveexec_b32 s1, s1
; %bb.853:
	v_mov_b32_e32 v9, 0x7f
	v_cmp_lt_u32_e32 vcc_lo, 0x7f800000, v5
	s_delay_alu instid0(VALU_DEP_2)
	v_cndmask_b32_e32 v25, 0x7e, v9, vcc_lo
; %bb.854:
	s_or_b32 exec_lo, exec_lo, s1
	s_delay_alu instid0(SALU_CYCLE_1)
	s_or_b32 s3, s3, exec_lo
.LBB276_855:
	s_or_b32 exec_lo, exec_lo, s4
	s_delay_alu instid0(SALU_CYCLE_1) | instskip(SKIP_1) | instid1(SALU_CYCLE_1)
	s_and_not1_b32 s1, s16, exec_lo
	s_and_b32 s2, s2, exec_lo
                                        ; implicit-def: $vgpr12_vgpr13
	s_or_b32 s18, s1, s2
	s_and_b32 s1, s3, exec_lo
.LBB276_856:
	s_and_not1_saveexec_b32 s0, s0
	s_cbranch_execz .LBB276_986
; %bb.857:
	s_mov_b32 s2, exec_lo
                                        ; implicit-def: $vgpr25
	v_cmpx_lt_i16_e32 4, v3
	s_xor_b32 s2, exec_lo, s2
	s_cbranch_execz .LBB276_927
; %bb.858:
	s_mov_b32 s3, exec_lo
                                        ; implicit-def: $vgpr25
	v_cmpx_lt_i16_e32 7, v3
	s_xor_b32 s3, exec_lo, s3
	;; [unrolled: 6-line block ×4, first 2 shown]
	s_cbranch_execz .LBB276_870
; %bb.861:
	flat_load_b64 v[12:13], v[12:13]
	s_mov_b32 s6, exec_lo
                                        ; implicit-def: $vgpr9
	s_wait_loadcnt_dscnt 0x0
	v_cvt_f32_f64_e32 v5, v[12:13]
	s_delay_alu instid0(VALU_DEP_1) | instskip(SKIP_1) | instid1(VALU_DEP_1)
	v_and_b32_e32 v11, 0x7fffffff, v5
	s_wait_xcnt 0x0
	v_cmpx_gt_u32_e32 0x43f00000, v11
	s_xor_b32 s6, exec_lo, s6
	s_cbranch_execz .LBB276_867
; %bb.862:
	s_mov_b32 s7, exec_lo
                                        ; implicit-def: $vgpr9
	v_cmpx_lt_u32_e32 0x3c7fffff, v11
	s_xor_b32 s7, exec_lo, s7
; %bb.863:
	v_bfe_u32 v9, v5, 20, 1
	s_delay_alu instid0(VALU_DEP_1) | instskip(NEXT) | instid1(VALU_DEP_1)
	v_add3_u32 v9, v5, v9, 0x407ffff
	v_and_b32_e32 v11, 0xff00000, v9
	v_lshrrev_b32_e32 v9, 20, v9
	s_delay_alu instid0(VALU_DEP_2) | instskip(NEXT) | instid1(VALU_DEP_2)
	v_cmp_ne_u32_e32 vcc_lo, 0x7f00000, v11
	v_cndmask_b32_e32 v9, 0x7e, v9, vcc_lo
; %bb.864:
	s_and_not1_saveexec_b32 s7, s7
; %bb.865:
	v_add_f32_e64 v9, 0x46800000, |v5|
; %bb.866:
	s_or_b32 exec_lo, exec_lo, s7
                                        ; implicit-def: $vgpr11
.LBB276_867:
	s_and_not1_saveexec_b32 s6, s6
; %bb.868:
	v_mov_b32_e32 v9, 0x7f
	v_cmp_lt_u32_e32 vcc_lo, 0x7f800000, v11
	s_delay_alu instid0(VALU_DEP_2)
	v_cndmask_b32_e32 v9, 0x7e, v9, vcc_lo
; %bb.869:
	s_or_b32 exec_lo, exec_lo, s6
	v_lshrrev_b32_e32 v5, 24, v5
                                        ; implicit-def: $vgpr12_vgpr13
	s_delay_alu instid0(VALU_DEP_1)
	v_and_or_b32 v25, 0x80, v5, v9
.LBB276_870:
	s_and_not1_saveexec_b32 s5, s5
	s_cbranch_execz .LBB276_880
; %bb.871:
	flat_load_b32 v5, v[12:13]
	s_mov_b32 s6, exec_lo
                                        ; implicit-def: $vgpr9
	s_wait_loadcnt_dscnt 0x0
	v_and_b32_e32 v11, 0x7fffffff, v5
	s_wait_xcnt 0x0
	s_delay_alu instid0(VALU_DEP_1)
	v_cmpx_gt_u32_e32 0x43f00000, v11
	s_xor_b32 s6, exec_lo, s6
	s_cbranch_execz .LBB276_877
; %bb.872:
	s_mov_b32 s7, exec_lo
                                        ; implicit-def: $vgpr9
	v_cmpx_lt_u32_e32 0x3c7fffff, v11
	s_xor_b32 s7, exec_lo, s7
; %bb.873:
	v_bfe_u32 v9, v5, 20, 1
	s_delay_alu instid0(VALU_DEP_1) | instskip(NEXT) | instid1(VALU_DEP_1)
	v_add3_u32 v9, v5, v9, 0x407ffff
	v_and_b32_e32 v11, 0xff00000, v9
	v_lshrrev_b32_e32 v9, 20, v9
	s_delay_alu instid0(VALU_DEP_2) | instskip(NEXT) | instid1(VALU_DEP_2)
	v_cmp_ne_u32_e32 vcc_lo, 0x7f00000, v11
	v_cndmask_b32_e32 v9, 0x7e, v9, vcc_lo
; %bb.874:
	s_and_not1_saveexec_b32 s7, s7
; %bb.875:
	v_add_f32_e64 v9, 0x46800000, |v5|
; %bb.876:
	s_or_b32 exec_lo, exec_lo, s7
                                        ; implicit-def: $vgpr11
.LBB276_877:
	s_and_not1_saveexec_b32 s6, s6
; %bb.878:
	v_mov_b32_e32 v9, 0x7f
	v_cmp_lt_u32_e32 vcc_lo, 0x7f800000, v11
	s_delay_alu instid0(VALU_DEP_2)
	v_cndmask_b32_e32 v9, 0x7e, v9, vcc_lo
; %bb.879:
	s_or_b32 exec_lo, exec_lo, s6
	v_lshrrev_b32_e32 v5, 24, v5
	s_delay_alu instid0(VALU_DEP_1)
	v_and_or_b32 v25, 0x80, v5, v9
.LBB276_880:
	s_or_b32 exec_lo, exec_lo, s5
                                        ; implicit-def: $vgpr12_vgpr13
.LBB276_881:
	s_and_not1_saveexec_b32 s4, s4
	s_cbranch_execz .LBB276_891
; %bb.882:
	flat_load_b32 v5, v[12:13]
	s_mov_b32 s5, exec_lo
                                        ; implicit-def: $vgpr9
	s_wait_loadcnt_dscnt 0x0
	v_cvt_f32_f16_e32 v5, v5
	s_delay_alu instid0(VALU_DEP_1) | instskip(SKIP_1) | instid1(VALU_DEP_1)
	v_and_b32_e32 v11, 0x7fffffff, v5
	s_wait_xcnt 0x0
	v_cmpx_gt_u32_e32 0x43f00000, v11
	s_xor_b32 s5, exec_lo, s5
	s_cbranch_execz .LBB276_888
; %bb.883:
	s_mov_b32 s6, exec_lo
                                        ; implicit-def: $vgpr9
	v_cmpx_lt_u32_e32 0x3c7fffff, v11
	s_xor_b32 s6, exec_lo, s6
; %bb.884:
	v_bfe_u32 v9, v5, 20, 1
	s_delay_alu instid0(VALU_DEP_1) | instskip(NEXT) | instid1(VALU_DEP_1)
	v_add3_u32 v9, v5, v9, 0x407ffff
	v_and_b32_e32 v11, 0xff00000, v9
	v_lshrrev_b32_e32 v9, 20, v9
	s_delay_alu instid0(VALU_DEP_2) | instskip(NEXT) | instid1(VALU_DEP_2)
	v_cmp_ne_u32_e32 vcc_lo, 0x7f00000, v11
	v_cndmask_b32_e32 v9, 0x7e, v9, vcc_lo
; %bb.885:
	s_and_not1_saveexec_b32 s6, s6
; %bb.886:
	v_add_f32_e64 v9, 0x46800000, |v5|
; %bb.887:
	s_or_b32 exec_lo, exec_lo, s6
                                        ; implicit-def: $vgpr11
.LBB276_888:
	s_and_not1_saveexec_b32 s5, s5
; %bb.889:
	v_mov_b32_e32 v9, 0x7f
	v_cmp_lt_u32_e32 vcc_lo, 0x7f800000, v11
	s_delay_alu instid0(VALU_DEP_2)
	v_cndmask_b32_e32 v9, 0x7e, v9, vcc_lo
; %bb.890:
	s_or_b32 exec_lo, exec_lo, s5
	v_lshrrev_b32_e32 v5, 24, v5
	s_delay_alu instid0(VALU_DEP_1)
	v_and_or_b32 v25, 0x80, v5, v9
.LBB276_891:
	s_or_b32 exec_lo, exec_lo, s4
                                        ; implicit-def: $vgpr12_vgpr13
.LBB276_892:
	s_and_not1_saveexec_b32 s3, s3
	s_cbranch_execz .LBB276_926
; %bb.893:
	s_mov_b32 s4, exec_lo
                                        ; implicit-def: $vgpr25
	v_cmpx_lt_i16_e32 5, v3
	s_xor_b32 s4, exec_lo, s4
	s_cbranch_execz .LBB276_915
; %bb.894:
	s_mov_b32 s5, exec_lo
                                        ; implicit-def: $vgpr25
	v_cmpx_lt_i16_e32 6, v3
	s_xor_b32 s5, exec_lo, s5
	s_cbranch_execz .LBB276_904
; %bb.895:
	flat_load_b64 v[12:13], v[12:13]
	s_mov_b32 s6, exec_lo
                                        ; implicit-def: $vgpr9
	s_wait_loadcnt_dscnt 0x0
	v_cvt_f32_f64_e32 v5, v[12:13]
	s_delay_alu instid0(VALU_DEP_1) | instskip(SKIP_1) | instid1(VALU_DEP_1)
	v_and_b32_e32 v11, 0x7fffffff, v5
	s_wait_xcnt 0x0
	v_cmpx_gt_u32_e32 0x43f00000, v11
	s_xor_b32 s6, exec_lo, s6
	s_cbranch_execz .LBB276_901
; %bb.896:
	s_mov_b32 s7, exec_lo
                                        ; implicit-def: $vgpr9
	v_cmpx_lt_u32_e32 0x3c7fffff, v11
	s_xor_b32 s7, exec_lo, s7
; %bb.897:
	v_bfe_u32 v9, v5, 20, 1
	s_delay_alu instid0(VALU_DEP_1) | instskip(NEXT) | instid1(VALU_DEP_1)
	v_add3_u32 v9, v5, v9, 0x407ffff
	v_and_b32_e32 v11, 0xff00000, v9
	v_lshrrev_b32_e32 v9, 20, v9
	s_delay_alu instid0(VALU_DEP_2) | instskip(NEXT) | instid1(VALU_DEP_2)
	v_cmp_ne_u32_e32 vcc_lo, 0x7f00000, v11
	v_cndmask_b32_e32 v9, 0x7e, v9, vcc_lo
; %bb.898:
	s_and_not1_saveexec_b32 s7, s7
; %bb.899:
	v_add_f32_e64 v9, 0x46800000, |v5|
; %bb.900:
	s_or_b32 exec_lo, exec_lo, s7
                                        ; implicit-def: $vgpr11
.LBB276_901:
	s_and_not1_saveexec_b32 s6, s6
; %bb.902:
	v_mov_b32_e32 v9, 0x7f
	v_cmp_lt_u32_e32 vcc_lo, 0x7f800000, v11
	s_delay_alu instid0(VALU_DEP_2)
	v_cndmask_b32_e32 v9, 0x7e, v9, vcc_lo
; %bb.903:
	s_or_b32 exec_lo, exec_lo, s6
	v_lshrrev_b32_e32 v5, 24, v5
                                        ; implicit-def: $vgpr12_vgpr13
	s_delay_alu instid0(VALU_DEP_1)
	v_and_or_b32 v25, 0x80, v5, v9
.LBB276_904:
	s_and_not1_saveexec_b32 s5, s5
	s_cbranch_execz .LBB276_914
; %bb.905:
	flat_load_b32 v5, v[12:13]
	s_mov_b32 s6, exec_lo
                                        ; implicit-def: $vgpr9
	s_wait_loadcnt_dscnt 0x0
	v_and_b32_e32 v11, 0x7fffffff, v5
	s_wait_xcnt 0x0
	s_delay_alu instid0(VALU_DEP_1)
	v_cmpx_gt_u32_e32 0x43f00000, v11
	s_xor_b32 s6, exec_lo, s6
	s_cbranch_execz .LBB276_911
; %bb.906:
	s_mov_b32 s7, exec_lo
                                        ; implicit-def: $vgpr9
	v_cmpx_lt_u32_e32 0x3c7fffff, v11
	s_xor_b32 s7, exec_lo, s7
; %bb.907:
	v_bfe_u32 v9, v5, 20, 1
	s_delay_alu instid0(VALU_DEP_1) | instskip(NEXT) | instid1(VALU_DEP_1)
	v_add3_u32 v9, v5, v9, 0x407ffff
	v_and_b32_e32 v11, 0xff00000, v9
	v_lshrrev_b32_e32 v9, 20, v9
	s_delay_alu instid0(VALU_DEP_2) | instskip(NEXT) | instid1(VALU_DEP_2)
	v_cmp_ne_u32_e32 vcc_lo, 0x7f00000, v11
	v_cndmask_b32_e32 v9, 0x7e, v9, vcc_lo
; %bb.908:
	s_and_not1_saveexec_b32 s7, s7
; %bb.909:
	v_add_f32_e64 v9, 0x46800000, |v5|
; %bb.910:
	s_or_b32 exec_lo, exec_lo, s7
                                        ; implicit-def: $vgpr11
.LBB276_911:
	s_and_not1_saveexec_b32 s6, s6
; %bb.912:
	v_mov_b32_e32 v9, 0x7f
	v_cmp_lt_u32_e32 vcc_lo, 0x7f800000, v11
	s_delay_alu instid0(VALU_DEP_2)
	v_cndmask_b32_e32 v9, 0x7e, v9, vcc_lo
; %bb.913:
	s_or_b32 exec_lo, exec_lo, s6
	v_lshrrev_b32_e32 v5, 24, v5
	s_delay_alu instid0(VALU_DEP_1)
	v_and_or_b32 v25, 0x80, v5, v9
.LBB276_914:
	s_or_b32 exec_lo, exec_lo, s5
                                        ; implicit-def: $vgpr12_vgpr13
.LBB276_915:
	s_and_not1_saveexec_b32 s4, s4
	s_cbranch_execz .LBB276_925
; %bb.916:
	flat_load_u16 v5, v[12:13]
	s_mov_b32 s5, exec_lo
                                        ; implicit-def: $vgpr9
	s_wait_loadcnt_dscnt 0x0
	v_cvt_f32_f16_e32 v5, v5
	s_delay_alu instid0(VALU_DEP_1) | instskip(SKIP_1) | instid1(VALU_DEP_1)
	v_and_b32_e32 v11, 0x7fffffff, v5
	s_wait_xcnt 0x0
	v_cmpx_gt_u32_e32 0x43f00000, v11
	s_xor_b32 s5, exec_lo, s5
	s_cbranch_execz .LBB276_922
; %bb.917:
	s_mov_b32 s6, exec_lo
                                        ; implicit-def: $vgpr9
	v_cmpx_lt_u32_e32 0x3c7fffff, v11
	s_xor_b32 s6, exec_lo, s6
; %bb.918:
	v_bfe_u32 v9, v5, 20, 1
	s_delay_alu instid0(VALU_DEP_1) | instskip(NEXT) | instid1(VALU_DEP_1)
	v_add3_u32 v9, v5, v9, 0x407ffff
	v_and_b32_e32 v11, 0xff00000, v9
	v_lshrrev_b32_e32 v9, 20, v9
	s_delay_alu instid0(VALU_DEP_2) | instskip(NEXT) | instid1(VALU_DEP_2)
	v_cmp_ne_u32_e32 vcc_lo, 0x7f00000, v11
	v_cndmask_b32_e32 v9, 0x7e, v9, vcc_lo
; %bb.919:
	s_and_not1_saveexec_b32 s6, s6
; %bb.920:
	v_add_f32_e64 v9, 0x46800000, |v5|
; %bb.921:
	s_or_b32 exec_lo, exec_lo, s6
                                        ; implicit-def: $vgpr11
.LBB276_922:
	s_and_not1_saveexec_b32 s5, s5
; %bb.923:
	v_mov_b32_e32 v9, 0x7f
	v_cmp_lt_u32_e32 vcc_lo, 0x7f800000, v11
	s_delay_alu instid0(VALU_DEP_2)
	v_cndmask_b32_e32 v9, 0x7e, v9, vcc_lo
; %bb.924:
	s_or_b32 exec_lo, exec_lo, s5
	v_lshrrev_b32_e32 v5, 24, v5
	s_delay_alu instid0(VALU_DEP_1)
	v_and_or_b32 v25, 0x80, v5, v9
.LBB276_925:
	s_or_b32 exec_lo, exec_lo, s4
.LBB276_926:
	s_delay_alu instid0(SALU_CYCLE_1)
	s_or_b32 exec_lo, exec_lo, s3
                                        ; implicit-def: $vgpr12_vgpr13
.LBB276_927:
	s_and_not1_saveexec_b32 s2, s2
	s_cbranch_execz .LBB276_985
; %bb.928:
	s_mov_b32 s3, exec_lo
                                        ; implicit-def: $vgpr25
	v_cmpx_lt_i16_e32 1, v3
	s_xor_b32 s3, exec_lo, s3
	s_cbranch_execz .LBB276_962
; %bb.929:
	s_mov_b32 s4, exec_lo
                                        ; implicit-def: $vgpr25
	v_cmpx_lt_i16_e32 2, v3
	s_xor_b32 s4, exec_lo, s4
	;; [unrolled: 6-line block ×3, first 2 shown]
	s_cbranch_execz .LBB276_940
; %bb.931:
	flat_load_b64 v[12:13], v[12:13]
	s_mov_b32 s6, exec_lo
	s_wait_loadcnt_dscnt 0x0
	v_xor_b32_e32 v5, v12, v13
	v_cls_i32_e32 v9, v13
	s_delay_alu instid0(VALU_DEP_2) | instskip(NEXT) | instid1(VALU_DEP_1)
	v_ashrrev_i32_e32 v5, 31, v5
	v_add_nc_u32_e32 v5, 32, v5
	s_delay_alu instid0(VALU_DEP_1) | instskip(SKIP_1) | instid1(VALU_DEP_1)
	v_add_min_u32_e64 v5, v9, -1, v5
	s_wait_xcnt 0x0
	v_lshlrev_b64_e32 v[12:13], v5, v[12:13]
	v_sub_nc_u32_e32 v5, 32, v5
	s_delay_alu instid0(VALU_DEP_2) | instskip(NEXT) | instid1(VALU_DEP_1)
	v_min_u32_e32 v9, 1, v12
	v_or_b32_e32 v9, v13, v9
	s_delay_alu instid0(VALU_DEP_1) | instskip(NEXT) | instid1(VALU_DEP_1)
	v_cvt_f32_i32_e32 v9, v9
	v_ldexp_f32 v5, v9, v5
                                        ; implicit-def: $vgpr9
	s_delay_alu instid0(VALU_DEP_1) | instskip(NEXT) | instid1(VALU_DEP_1)
	v_and_b32_e32 v11, 0x7fffffff, v5
	v_cmpx_gt_u32_e32 0x43f00000, v11
	s_xor_b32 s6, exec_lo, s6
	s_cbranch_execz .LBB276_937
; %bb.932:
	s_mov_b32 s7, exec_lo
                                        ; implicit-def: $vgpr9
	v_cmpx_lt_u32_e32 0x3c7fffff, v11
	s_xor_b32 s7, exec_lo, s7
; %bb.933:
	v_bfe_u32 v9, v5, 20, 1
	s_delay_alu instid0(VALU_DEP_1) | instskip(NEXT) | instid1(VALU_DEP_1)
	v_add3_u32 v9, v5, v9, 0x407ffff
	v_and_b32_e32 v11, 0xff00000, v9
	v_lshrrev_b32_e32 v9, 20, v9
	s_delay_alu instid0(VALU_DEP_2) | instskip(NEXT) | instid1(VALU_DEP_2)
	v_cmp_ne_u32_e32 vcc_lo, 0x7f00000, v11
	v_cndmask_b32_e32 v9, 0x7e, v9, vcc_lo
; %bb.934:
	s_and_not1_saveexec_b32 s7, s7
; %bb.935:
	v_add_f32_e64 v9, 0x46800000, |v5|
; %bb.936:
	s_or_b32 exec_lo, exec_lo, s7
                                        ; implicit-def: $vgpr11
.LBB276_937:
	s_and_not1_saveexec_b32 s6, s6
; %bb.938:
	v_mov_b32_e32 v9, 0x7f
	v_cmp_lt_u32_e32 vcc_lo, 0x7f800000, v11
	s_delay_alu instid0(VALU_DEP_2)
	v_cndmask_b32_e32 v9, 0x7e, v9, vcc_lo
; %bb.939:
	s_or_b32 exec_lo, exec_lo, s6
	v_lshrrev_b32_e32 v5, 24, v5
                                        ; implicit-def: $vgpr12_vgpr13
	s_delay_alu instid0(VALU_DEP_1)
	v_and_or_b32 v25, 0x80, v5, v9
.LBB276_940:
	s_and_not1_saveexec_b32 s5, s5
	s_cbranch_execz .LBB276_950
; %bb.941:
	flat_load_b32 v5, v[12:13]
	s_mov_b32 s6, exec_lo
                                        ; implicit-def: $vgpr9
	s_wait_loadcnt_dscnt 0x0
	v_cvt_f32_i32_e32 v5, v5
	s_delay_alu instid0(VALU_DEP_1) | instskip(SKIP_1) | instid1(VALU_DEP_1)
	v_and_b32_e32 v11, 0x7fffffff, v5
	s_wait_xcnt 0x0
	v_cmpx_gt_u32_e32 0x43f00000, v11
	s_xor_b32 s6, exec_lo, s6
	s_cbranch_execz .LBB276_947
; %bb.942:
	s_mov_b32 s7, exec_lo
                                        ; implicit-def: $vgpr9
	v_cmpx_lt_u32_e32 0x3c7fffff, v11
	s_xor_b32 s7, exec_lo, s7
; %bb.943:
	v_bfe_u32 v9, v5, 20, 1
	s_delay_alu instid0(VALU_DEP_1) | instskip(NEXT) | instid1(VALU_DEP_1)
	v_add3_u32 v9, v5, v9, 0x407ffff
	v_and_b32_e32 v11, 0xff00000, v9
	v_lshrrev_b32_e32 v9, 20, v9
	s_delay_alu instid0(VALU_DEP_2) | instskip(NEXT) | instid1(VALU_DEP_2)
	v_cmp_ne_u32_e32 vcc_lo, 0x7f00000, v11
	v_cndmask_b32_e32 v9, 0x7e, v9, vcc_lo
; %bb.944:
	s_and_not1_saveexec_b32 s7, s7
; %bb.945:
	v_add_f32_e64 v9, 0x46800000, |v5|
; %bb.946:
	s_or_b32 exec_lo, exec_lo, s7
                                        ; implicit-def: $vgpr11
.LBB276_947:
	s_and_not1_saveexec_b32 s6, s6
; %bb.948:
	v_mov_b32_e32 v9, 0x7f
	v_cmp_lt_u32_e32 vcc_lo, 0x7f800000, v11
	s_delay_alu instid0(VALU_DEP_2)
	v_cndmask_b32_e32 v9, 0x7e, v9, vcc_lo
; %bb.949:
	s_or_b32 exec_lo, exec_lo, s6
	v_lshrrev_b32_e32 v5, 24, v5
	s_delay_alu instid0(VALU_DEP_1)
	v_and_or_b32 v25, 0x80, v5, v9
.LBB276_950:
	s_or_b32 exec_lo, exec_lo, s5
                                        ; implicit-def: $vgpr12_vgpr13
.LBB276_951:
	s_and_not1_saveexec_b32 s4, s4
	s_cbranch_execz .LBB276_961
; %bb.952:
	flat_load_i16 v5, v[12:13]
	s_mov_b32 s5, exec_lo
                                        ; implicit-def: $vgpr9
	s_wait_loadcnt_dscnt 0x0
	v_cvt_f32_i32_e32 v5, v5
	s_delay_alu instid0(VALU_DEP_1) | instskip(SKIP_1) | instid1(VALU_DEP_1)
	v_and_b32_e32 v11, 0x7fffffff, v5
	s_wait_xcnt 0x0
	v_cmpx_gt_u32_e32 0x43f00000, v11
	s_xor_b32 s5, exec_lo, s5
	s_cbranch_execz .LBB276_958
; %bb.953:
	s_mov_b32 s6, exec_lo
                                        ; implicit-def: $vgpr9
	v_cmpx_lt_u32_e32 0x3c7fffff, v11
	s_xor_b32 s6, exec_lo, s6
; %bb.954:
	v_bfe_u32 v9, v5, 20, 1
	s_delay_alu instid0(VALU_DEP_1) | instskip(NEXT) | instid1(VALU_DEP_1)
	v_add3_u32 v9, v5, v9, 0x407ffff
	v_and_b32_e32 v11, 0xff00000, v9
	v_lshrrev_b32_e32 v9, 20, v9
	s_delay_alu instid0(VALU_DEP_2) | instskip(NEXT) | instid1(VALU_DEP_2)
	v_cmp_ne_u32_e32 vcc_lo, 0x7f00000, v11
	v_cndmask_b32_e32 v9, 0x7e, v9, vcc_lo
; %bb.955:
	s_and_not1_saveexec_b32 s6, s6
; %bb.956:
	v_add_f32_e64 v9, 0x46800000, |v5|
; %bb.957:
	s_or_b32 exec_lo, exec_lo, s6
                                        ; implicit-def: $vgpr11
.LBB276_958:
	s_and_not1_saveexec_b32 s5, s5
; %bb.959:
	v_mov_b32_e32 v9, 0x7f
	v_cmp_lt_u32_e32 vcc_lo, 0x7f800000, v11
	s_delay_alu instid0(VALU_DEP_2)
	v_cndmask_b32_e32 v9, 0x7e, v9, vcc_lo
; %bb.960:
	s_or_b32 exec_lo, exec_lo, s5
	v_lshrrev_b32_e32 v5, 24, v5
	s_delay_alu instid0(VALU_DEP_1)
	v_and_or_b32 v25, 0x80, v5, v9
.LBB276_961:
	s_or_b32 exec_lo, exec_lo, s4
                                        ; implicit-def: $vgpr12_vgpr13
.LBB276_962:
	s_and_not1_saveexec_b32 s3, s3
	s_cbranch_execz .LBB276_984
; %bb.963:
	s_mov_b32 s4, exec_lo
                                        ; implicit-def: $vgpr25
	v_cmpx_lt_i16_e32 0, v3
	s_xor_b32 s4, exec_lo, s4
	s_cbranch_execz .LBB276_973
; %bb.964:
	flat_load_i8 v5, v[12:13]
	s_mov_b32 s5, exec_lo
                                        ; implicit-def: $vgpr9
	s_wait_loadcnt_dscnt 0x0
	v_cvt_f32_i32_e32 v5, v5
	s_delay_alu instid0(VALU_DEP_1) | instskip(SKIP_1) | instid1(VALU_DEP_1)
	v_and_b32_e32 v11, 0x7fffffff, v5
	s_wait_xcnt 0x0
	v_cmpx_gt_u32_e32 0x43f00000, v11
	s_xor_b32 s5, exec_lo, s5
	s_cbranch_execz .LBB276_970
; %bb.965:
	s_mov_b32 s6, exec_lo
                                        ; implicit-def: $vgpr9
	v_cmpx_lt_u32_e32 0x3c7fffff, v11
	s_xor_b32 s6, exec_lo, s6
; %bb.966:
	v_bfe_u32 v9, v5, 20, 1
	s_delay_alu instid0(VALU_DEP_1) | instskip(NEXT) | instid1(VALU_DEP_1)
	v_add3_u32 v9, v5, v9, 0x407ffff
	v_and_b32_e32 v11, 0xff00000, v9
	v_lshrrev_b32_e32 v9, 20, v9
	s_delay_alu instid0(VALU_DEP_2) | instskip(NEXT) | instid1(VALU_DEP_2)
	v_cmp_ne_u32_e32 vcc_lo, 0x7f00000, v11
	v_cndmask_b32_e32 v9, 0x7e, v9, vcc_lo
; %bb.967:
	s_and_not1_saveexec_b32 s6, s6
; %bb.968:
	v_add_f32_e64 v9, 0x46800000, |v5|
; %bb.969:
	s_or_b32 exec_lo, exec_lo, s6
                                        ; implicit-def: $vgpr11
.LBB276_970:
	s_and_not1_saveexec_b32 s5, s5
; %bb.971:
	v_mov_b32_e32 v9, 0x7f
	v_cmp_lt_u32_e32 vcc_lo, 0x7f800000, v11
	s_delay_alu instid0(VALU_DEP_2)
	v_cndmask_b32_e32 v9, 0x7e, v9, vcc_lo
; %bb.972:
	s_or_b32 exec_lo, exec_lo, s5
	v_lshrrev_b32_e32 v5, 24, v5
                                        ; implicit-def: $vgpr12_vgpr13
	s_delay_alu instid0(VALU_DEP_1)
	v_and_or_b32 v25, 0x80, v5, v9
.LBB276_973:
	s_and_not1_saveexec_b32 s4, s4
	s_cbranch_execz .LBB276_983
; %bb.974:
	flat_load_u8 v5, v[12:13]
	s_mov_b32 s5, exec_lo
                                        ; implicit-def: $vgpr25
	s_wait_loadcnt_dscnt 0x0
	v_cvt_f32_ubyte0_e32 v5, v5
	s_wait_xcnt 0x0
	s_delay_alu instid0(VALU_DEP_1)
	v_cmpx_gt_u32_e32 0x43f00000, v5
	s_xor_b32 s5, exec_lo, s5
	s_cbranch_execz .LBB276_980
; %bb.975:
	s_mov_b32 s6, exec_lo
                                        ; implicit-def: $vgpr25
	v_cmpx_lt_u32_e32 0x3c7fffff, v5
	s_xor_b32 s6, exec_lo, s6
; %bb.976:
	v_bfe_u32 v9, v5, 20, 1
	s_delay_alu instid0(VALU_DEP_1) | instskip(NEXT) | instid1(VALU_DEP_1)
	v_add3_u32 v5, v5, v9, 0x407ffff
	v_and_b32_e32 v9, 0xff00000, v5
	v_lshrrev_b32_e32 v5, 20, v5
	s_delay_alu instid0(VALU_DEP_2) | instskip(NEXT) | instid1(VALU_DEP_2)
	v_cmp_ne_u32_e32 vcc_lo, 0x7f00000, v9
	v_cndmask_b32_e32 v25, 0x7e, v5, vcc_lo
                                        ; implicit-def: $vgpr5
; %bb.977:
	s_and_not1_saveexec_b32 s6, s6
; %bb.978:
	v_add_f32_e32 v25, 0x46800000, v5
; %bb.979:
	s_or_b32 exec_lo, exec_lo, s6
                                        ; implicit-def: $vgpr5
.LBB276_980:
	s_and_not1_saveexec_b32 s5, s5
; %bb.981:
	v_mov_b32_e32 v9, 0x7f
	v_cmp_lt_u32_e32 vcc_lo, 0x7f800000, v5
	s_delay_alu instid0(VALU_DEP_2)
	v_cndmask_b32_e32 v25, 0x7e, v9, vcc_lo
; %bb.982:
	s_or_b32 exec_lo, exec_lo, s5
.LBB276_983:
	s_delay_alu instid0(SALU_CYCLE_1)
	s_or_b32 exec_lo, exec_lo, s4
.LBB276_984:
	s_delay_alu instid0(SALU_CYCLE_1)
	s_or_b32 exec_lo, exec_lo, s3
.LBB276_985:
	s_delay_alu instid0(SALU_CYCLE_1) | instskip(NEXT) | instid1(SALU_CYCLE_1)
	s_or_b32 exec_lo, exec_lo, s2
	s_or_b32 s1, s1, exec_lo
.LBB276_986:
	s_or_b32 exec_lo, exec_lo, s0
	s_mov_b32 s0, 0
	s_mov_b32 s2, 0
	;; [unrolled: 1-line block ×3, first 2 shown]
                                        ; implicit-def: $sgpr3
                                        ; implicit-def: $vgpr22_vgpr23
                                        ; implicit-def: $vgpr5
	s_and_saveexec_b32 s19, s1
	s_cbranch_execz .LBB276_2190
; %bb.987:
	v_mov_b32_e32 v11, 0
	s_mov_b32 s1, 0
	s_mov_b32 s20, s18
	s_mov_b32 s0, exec_lo
                                        ; implicit-def: $vgpr27
	s_delay_alu instid0(VALU_DEP_1)
	v_add_nc_u64_e32 v[10:11], v[18:19], v[10:11]
	v_cmpx_lt_i16_e32 10, v1
	s_xor_b32 s0, exec_lo, s0
	s_cbranch_execz .LBB276_1082
; %bb.988:
	s_mov_b32 s3, 0
	s_mov_b32 s2, exec_lo
                                        ; implicit-def: $vgpr27
	v_cmpx_lt_i16_e32 25, v1
	s_xor_b32 s2, exec_lo, s2
	s_cbranch_execz .LBB276_2423
; %bb.989:
	s_mov_b32 s5, 0
	s_mov_b32 s3, exec_lo
                                        ; implicit-def: $vgpr27
	v_cmpx_lt_i16_e32 28, v1
	s_xor_b32 s3, exec_lo, s3
	s_cbranch_execz .LBB276_1029
; %bb.990:
	s_mov_b32 s6, 0
	s_mov_b32 s7, 0
	s_mov_b32 s4, exec_lo
                                        ; implicit-def: $vgpr27
	v_cmpx_lt_i16_e32 43, v1
	s_xor_b32 s4, exec_lo, s4
	s_cbranch_execz .LBB276_1016
; %bb.991:
	s_mov_b32 s7, exec_lo
                                        ; implicit-def: $vgpr27
	v_cmpx_lt_i16_e32 45, v1
	s_xor_b32 s7, exec_lo, s7
	s_cbranch_execz .LBB276_1003
; %bb.992:
	s_mov_b32 s8, -1
	s_mov_b32 s5, exec_lo
                                        ; implicit-def: $vgpr27
	v_cmpx_eq_u16_e32 46, v1
	s_cbranch_execz .LBB276_1002
; %bb.993:
	flat_load_b32 v5, v[10:11]
	s_mov_b32 s6, exec_lo
                                        ; implicit-def: $vgpr9
	s_wait_loadcnt_dscnt 0x0
	v_lshlrev_b32_e32 v5, 16, v5
	s_delay_alu instid0(VALU_DEP_1) | instskip(SKIP_1) | instid1(VALU_DEP_1)
	v_and_b32_e32 v12, 0x7fffffff, v5
	s_wait_xcnt 0x0
	v_cmpx_gt_u32_e32 0x43f00000, v12
	s_xor_b32 s6, exec_lo, s6
	s_cbranch_execz .LBB276_999
; %bb.994:
	s_mov_b32 s8, exec_lo
                                        ; implicit-def: $vgpr9
	v_cmpx_lt_u32_e32 0x3c7fffff, v12
	s_xor_b32 s8, exec_lo, s8
; %bb.995:
	v_bfe_u32 v9, v5, 20, 1
	s_delay_alu instid0(VALU_DEP_1) | instskip(NEXT) | instid1(VALU_DEP_1)
	v_add3_u32 v9, v5, v9, 0x407ffff
	v_and_b32_e32 v12, 0xff00000, v9
	v_lshrrev_b32_e32 v9, 20, v9
	s_delay_alu instid0(VALU_DEP_2) | instskip(NEXT) | instid1(VALU_DEP_2)
	v_cmp_ne_u32_e32 vcc_lo, 0x7f00000, v12
	v_cndmask_b32_e32 v9, 0x7e, v9, vcc_lo
; %bb.996:
	s_and_not1_saveexec_b32 s8, s8
; %bb.997:
	v_add_f32_e64 v9, 0x46800000, |v5|
; %bb.998:
	s_or_b32 exec_lo, exec_lo, s8
                                        ; implicit-def: $vgpr12
.LBB276_999:
	s_and_not1_saveexec_b32 s6, s6
; %bb.1000:
	v_mov_b32_e32 v9, 0x7f
	v_cmp_lt_u32_e32 vcc_lo, 0x7f800000, v12
	s_delay_alu instid0(VALU_DEP_2)
	v_cndmask_b32_e32 v9, 0x7e, v9, vcc_lo
; %bb.1001:
	s_or_b32 exec_lo, exec_lo, s6
	v_lshrrev_b32_e32 v5, 24, v5
	s_mov_b32 s6, exec_lo
	s_xor_b32 s8, exec_lo, -1
	s_delay_alu instid0(VALU_DEP_1)
	v_and_or_b32 v27, 0x80, v5, v9
.LBB276_1002:
	s_or_b32 exec_lo, exec_lo, s5
	s_delay_alu instid0(SALU_CYCLE_1)
	s_and_b32 s6, s6, exec_lo
	s_and_b32 s5, s8, exec_lo
.LBB276_1003:
	s_and_not1_saveexec_b32 s7, s7
	s_cbranch_execz .LBB276_1015
; %bb.1004:
	s_mov_b32 s9, -1
	s_mov_b32 s10, s6
	s_mov_b32 s8, exec_lo
                                        ; implicit-def: $vgpr27
	v_cmpx_eq_u16_e32 44, v1
	s_cbranch_execz .LBB276_1014
; %bb.1005:
	flat_load_u8 v5, v[10:11]
	s_mov_b32 s9, exec_lo
                                        ; implicit-def: $vgpr27
	s_wait_loadcnt_dscnt 0x0
	v_lshlrev_b32_e32 v9, 23, v5
	v_cmp_ne_u32_e32 vcc_lo, 0xff, v5
	s_delay_alu instid0(VALU_DEP_2) | instskip(SKIP_1) | instid1(VALU_DEP_2)
	v_cndmask_b32_e32 v9, 0x7f800001, v9, vcc_lo
	v_cmp_ne_u32_e32 vcc_lo, 0, v5
	v_cndmask_b32_e32 v5, 0x400000, v9, vcc_lo
	s_wait_xcnt 0x0
	s_delay_alu instid0(VALU_DEP_1)
	v_cmpx_gt_u32_e32 0x43f00000, v5
	s_xor_b32 s9, exec_lo, s9
	s_cbranch_execz .LBB276_1011
; %bb.1006:
	s_mov_b32 s10, exec_lo
                                        ; implicit-def: $vgpr27
	v_cmpx_lt_u32_e32 0x3c7fffff, v5
	s_xor_b32 s10, exec_lo, s10
; %bb.1007:
	v_bfe_u32 v9, v5, 20, 1
	s_delay_alu instid0(VALU_DEP_1) | instskip(NEXT) | instid1(VALU_DEP_1)
	v_add3_u32 v5, v5, v9, 0x407ffff
	v_and_b32_e32 v9, 0xff00000, v5
	v_lshrrev_b32_e32 v5, 20, v5
	s_delay_alu instid0(VALU_DEP_2) | instskip(NEXT) | instid1(VALU_DEP_2)
	v_cmp_ne_u32_e32 vcc_lo, 0x7f00000, v9
	v_cndmask_b32_e32 v27, 0x7e, v5, vcc_lo
                                        ; implicit-def: $vgpr5
; %bb.1008:
	s_and_not1_saveexec_b32 s10, s10
; %bb.1009:
	v_add_f32_e32 v27, 0x46800000, v5
; %bb.1010:
	s_or_b32 exec_lo, exec_lo, s10
                                        ; implicit-def: $vgpr5
.LBB276_1011:
	s_and_not1_saveexec_b32 s9, s9
; %bb.1012:
	v_mov_b32_e32 v9, 0x7f
	v_cmp_lt_u32_e32 vcc_lo, 0x7f800000, v5
	s_delay_alu instid0(VALU_DEP_2)
	v_cndmask_b32_e32 v27, 0x7e, v9, vcc_lo
; %bb.1013:
	s_or_b32 exec_lo, exec_lo, s9
	s_delay_alu instid0(SALU_CYCLE_1)
	s_or_b32 s10, s6, exec_lo
	s_xor_b32 s9, exec_lo, -1
.LBB276_1014:
	s_or_b32 exec_lo, exec_lo, s8
	s_delay_alu instid0(SALU_CYCLE_1)
	s_and_not1_b32 s6, s6, exec_lo
	s_and_b32 s8, s10, exec_lo
	s_and_not1_b32 s5, s5, exec_lo
	s_and_b32 s9, s9, exec_lo
	s_or_b32 s6, s6, s8
	s_or_b32 s5, s5, s9
.LBB276_1015:
	s_or_b32 exec_lo, exec_lo, s7
	s_delay_alu instid0(SALU_CYCLE_1)
	s_and_b32 s7, s6, exec_lo
	s_and_b32 s6, s5, exec_lo
.LBB276_1016:
	s_and_not1_saveexec_b32 s4, s4
	s_cbranch_execz .LBB276_1028
; %bb.1017:
	s_mov_b32 s8, -1
	s_mov_b32 s9, s7
	s_mov_b32 s5, exec_lo
                                        ; implicit-def: $vgpr27
	v_cmpx_eq_u16_e32 29, v1
	s_cbranch_execz .LBB276_1027
; %bb.1018:
	flat_load_b64 v[12:13], v[10:11]
	s_mov_b32 s8, exec_lo
                                        ; implicit-def: $vgpr27
	s_wait_loadcnt_dscnt 0x0
	v_clz_i32_u32_e32 v5, v13
	s_delay_alu instid0(VALU_DEP_1) | instskip(NEXT) | instid1(VALU_DEP_1)
	v_min_u32_e32 v5, 32, v5
	v_lshlrev_b64_e32 v[12:13], v5, v[12:13]
	v_sub_nc_u32_e32 v5, 32, v5
	s_delay_alu instid0(VALU_DEP_2) | instskip(NEXT) | instid1(VALU_DEP_1)
	v_min_u32_e32 v9, 1, v12
	v_or_b32_e32 v9, v13, v9
	s_delay_alu instid0(VALU_DEP_1) | instskip(NEXT) | instid1(VALU_DEP_1)
	v_cvt_f32_u32_e32 v9, v9
	v_ldexp_f32 v5, v9, v5
	s_wait_xcnt 0x0
	s_delay_alu instid0(VALU_DEP_1)
	v_cmpx_gt_u32_e32 0x43f00000, v5
	s_xor_b32 s8, exec_lo, s8
	s_cbranch_execz .LBB276_1024
; %bb.1019:
	s_mov_b32 s9, exec_lo
                                        ; implicit-def: $vgpr27
	v_cmpx_lt_u32_e32 0x3c7fffff, v5
	s_xor_b32 s9, exec_lo, s9
; %bb.1020:
	v_bfe_u32 v9, v5, 20, 1
	s_delay_alu instid0(VALU_DEP_1) | instskip(NEXT) | instid1(VALU_DEP_1)
	v_add3_u32 v5, v5, v9, 0x407ffff
	v_and_b32_e32 v9, 0xff00000, v5
	v_lshrrev_b32_e32 v5, 20, v5
	s_delay_alu instid0(VALU_DEP_2) | instskip(NEXT) | instid1(VALU_DEP_2)
	v_cmp_ne_u32_e32 vcc_lo, 0x7f00000, v9
	v_cndmask_b32_e32 v27, 0x7e, v5, vcc_lo
                                        ; implicit-def: $vgpr5
; %bb.1021:
	s_and_not1_saveexec_b32 s9, s9
; %bb.1022:
	v_add_f32_e32 v27, 0x46800000, v5
; %bb.1023:
	s_or_b32 exec_lo, exec_lo, s9
                                        ; implicit-def: $vgpr5
.LBB276_1024:
	s_and_not1_saveexec_b32 s8, s8
; %bb.1025:
	v_mov_b32_e32 v9, 0x7f
	v_cmp_lt_u32_e32 vcc_lo, 0x7f800000, v5
	s_delay_alu instid0(VALU_DEP_2)
	v_cndmask_b32_e32 v27, 0x7e, v9, vcc_lo
; %bb.1026:
	s_or_b32 exec_lo, exec_lo, s8
	s_delay_alu instid0(SALU_CYCLE_1)
	s_or_b32 s9, s7, exec_lo
	s_xor_b32 s8, exec_lo, -1
.LBB276_1027:
	s_or_b32 exec_lo, exec_lo, s5
	s_delay_alu instid0(SALU_CYCLE_1)
	s_and_not1_b32 s5, s7, exec_lo
	s_and_b32 s7, s9, exec_lo
	s_and_not1_b32 s6, s6, exec_lo
	s_and_b32 s8, s8, exec_lo
	s_or_b32 s7, s5, s7
	s_or_b32 s6, s6, s8
.LBB276_1028:
	s_or_b32 exec_lo, exec_lo, s4
	s_delay_alu instid0(SALU_CYCLE_1)
	s_and_b32 s5, s7, exec_lo
	s_and_b32 s4, s6, exec_lo
.LBB276_1029:
	s_and_not1_saveexec_b32 s3, s3
	s_cbranch_execz .LBB276_1069
; %bb.1030:
	s_mov_b32 s6, exec_lo
                                        ; implicit-def: $vgpr27
	v_cmpx_lt_i16_e32 26, v1
	s_xor_b32 s6, exec_lo, s6
	s_cbranch_execz .LBB276_1052
; %bb.1031:
	s_mov_b32 s7, exec_lo
                                        ; implicit-def: $vgpr27
	v_cmpx_lt_i16_e32 27, v1
	s_xor_b32 s7, exec_lo, s7
	s_cbranch_execz .LBB276_1041
; %bb.1032:
	flat_load_b32 v5, v[10:11]
	s_mov_b32 s8, exec_lo
                                        ; implicit-def: $vgpr27
	s_wait_loadcnt_dscnt 0x0
	v_cvt_f32_u32_e32 v5, v5
	s_wait_xcnt 0x0
	s_delay_alu instid0(VALU_DEP_1)
	v_cmpx_gt_u32_e32 0x43f00000, v5
	s_xor_b32 s8, exec_lo, s8
	s_cbranch_execz .LBB276_1038
; %bb.1033:
	s_mov_b32 s9, exec_lo
                                        ; implicit-def: $vgpr27
	v_cmpx_lt_u32_e32 0x3c7fffff, v5
	s_xor_b32 s9, exec_lo, s9
; %bb.1034:
	v_bfe_u32 v9, v5, 20, 1
	s_delay_alu instid0(VALU_DEP_1) | instskip(NEXT) | instid1(VALU_DEP_1)
	v_add3_u32 v5, v5, v9, 0x407ffff
	v_and_b32_e32 v9, 0xff00000, v5
	v_lshrrev_b32_e32 v5, 20, v5
	s_delay_alu instid0(VALU_DEP_2) | instskip(NEXT) | instid1(VALU_DEP_2)
	v_cmp_ne_u32_e32 vcc_lo, 0x7f00000, v9
	v_cndmask_b32_e32 v27, 0x7e, v5, vcc_lo
                                        ; implicit-def: $vgpr5
; %bb.1035:
	s_and_not1_saveexec_b32 s9, s9
; %bb.1036:
	v_add_f32_e32 v27, 0x46800000, v5
; %bb.1037:
	s_or_b32 exec_lo, exec_lo, s9
                                        ; implicit-def: $vgpr5
.LBB276_1038:
	s_and_not1_saveexec_b32 s8, s8
; %bb.1039:
	v_mov_b32_e32 v9, 0x7f
	v_cmp_lt_u32_e32 vcc_lo, 0x7f800000, v5
	s_delay_alu instid0(VALU_DEP_2)
	v_cndmask_b32_e32 v27, 0x7e, v9, vcc_lo
; %bb.1040:
	s_or_b32 exec_lo, exec_lo, s8
.LBB276_1041:
	s_and_not1_saveexec_b32 s7, s7
	s_cbranch_execz .LBB276_1051
; %bb.1042:
	flat_load_u16 v5, v[10:11]
	s_mov_b32 s8, exec_lo
                                        ; implicit-def: $vgpr27
	s_wait_loadcnt_dscnt 0x0
	v_cvt_f32_u32_e32 v5, v5
	s_wait_xcnt 0x0
	s_delay_alu instid0(VALU_DEP_1)
	v_cmpx_gt_u32_e32 0x43f00000, v5
	s_xor_b32 s8, exec_lo, s8
	s_cbranch_execz .LBB276_1048
; %bb.1043:
	s_mov_b32 s9, exec_lo
                                        ; implicit-def: $vgpr27
	v_cmpx_lt_u32_e32 0x3c7fffff, v5
	s_xor_b32 s9, exec_lo, s9
; %bb.1044:
	v_bfe_u32 v9, v5, 20, 1
	s_delay_alu instid0(VALU_DEP_1) | instskip(NEXT) | instid1(VALU_DEP_1)
	v_add3_u32 v5, v5, v9, 0x407ffff
	v_and_b32_e32 v9, 0xff00000, v5
	v_lshrrev_b32_e32 v5, 20, v5
	s_delay_alu instid0(VALU_DEP_2) | instskip(NEXT) | instid1(VALU_DEP_2)
	v_cmp_ne_u32_e32 vcc_lo, 0x7f00000, v9
	v_cndmask_b32_e32 v27, 0x7e, v5, vcc_lo
                                        ; implicit-def: $vgpr5
; %bb.1045:
	s_and_not1_saveexec_b32 s9, s9
; %bb.1046:
	v_add_f32_e32 v27, 0x46800000, v5
; %bb.1047:
	s_or_b32 exec_lo, exec_lo, s9
                                        ; implicit-def: $vgpr5
.LBB276_1048:
	s_and_not1_saveexec_b32 s8, s8
; %bb.1049:
	v_mov_b32_e32 v9, 0x7f
	v_cmp_lt_u32_e32 vcc_lo, 0x7f800000, v5
	s_delay_alu instid0(VALU_DEP_2)
	v_cndmask_b32_e32 v27, 0x7e, v9, vcc_lo
; %bb.1050:
	s_or_b32 exec_lo, exec_lo, s8
.LBB276_1051:
	s_delay_alu instid0(SALU_CYCLE_1)
	s_or_b32 exec_lo, exec_lo, s7
.LBB276_1052:
	s_and_not1_saveexec_b32 s6, s6
	s_cbranch_execz .LBB276_1068
; %bb.1053:
	flat_load_u8 v9, v[10:11]
	s_mov_b32 s7, 0
	s_mov_b32 s8, exec_lo
	s_wait_loadcnt_dscnt 0x0
	v_cmpx_lt_i16_e32 0x7f, v9
	s_xor_b32 s8, exec_lo, s8
	s_cbranch_execz .LBB276_2584
; %bb.1054:
	s_mov_b32 s7, -1
	s_mov_b32 s9, exec_lo
	v_cmpx_eq_u16_e32 0x80, v9
; %bb.1055:
	s_xor_b32 s7, exec_lo, -1
; %bb.1056:
	s_or_b32 exec_lo, exec_lo, s9
	s_delay_alu instid0(SALU_CYCLE_1)
	s_and_b32 s7, s7, exec_lo
	s_or_saveexec_b32 s8, s8
	v_mov_b32_e32 v5, 0x7f800001
	s_xor_b32 exec_lo, exec_lo, s8
	s_cbranch_execnz .LBB276_2585
.LBB276_1057:
	s_or_b32 exec_lo, exec_lo, s8
	s_and_saveexec_b32 s8, s7
	s_cbranch_execz .LBB276_1059
.LBB276_1058:
	v_and_b32_e32 v5, 0xffff, v9
	v_lshlrev_b32_e32 v9, 24, v9
	s_delay_alu instid0(VALU_DEP_2) | instskip(SKIP_1) | instid1(VALU_DEP_3)
	v_and_b32_e32 v12, 7, v5
	v_bfe_u32 v22, v5, 3, 4
	v_and_b32_e32 v9, 0x80000000, v9
	s_delay_alu instid0(VALU_DEP_3) | instskip(NEXT) | instid1(VALU_DEP_3)
	v_clz_i32_u32_e32 v13, v12
	v_cmp_eq_u32_e32 vcc_lo, 0, v22
	s_delay_alu instid0(VALU_DEP_2) | instskip(NEXT) | instid1(VALU_DEP_1)
	v_min_u32_e32 v13, 32, v13
	v_subrev_nc_u32_e32 v14, 28, v13
	v_sub_nc_u32_e32 v13, 29, v13
	s_delay_alu instid0(VALU_DEP_2) | instskip(NEXT) | instid1(VALU_DEP_2)
	v_lshlrev_b32_e32 v5, v14, v5
	v_cndmask_b32_e32 v13, v22, v13, vcc_lo
	s_delay_alu instid0(VALU_DEP_2) | instskip(NEXT) | instid1(VALU_DEP_1)
	v_and_b32_e32 v5, 7, v5
	v_cndmask_b32_e32 v5, v12, v5, vcc_lo
	s_delay_alu instid0(VALU_DEP_3) | instskip(NEXT) | instid1(VALU_DEP_2)
	v_lshl_add_u32 v12, v13, 23, 0x3b800000
	v_lshlrev_b32_e32 v5, 20, v5
	s_delay_alu instid0(VALU_DEP_1)
	v_or3_b32 v5, v9, v12, v5
.LBB276_1059:
	s_or_b32 exec_lo, exec_lo, s8
	s_delay_alu instid0(VALU_DEP_1) | instskip(SKIP_1) | instid1(VALU_DEP_1)
	v_and_b32_e32 v12, 0x7fffffff, v5
	s_mov_b32 s7, exec_lo
                                        ; implicit-def: $vgpr9
	v_cmpx_gt_u32_e32 0x43f00000, v12
	s_xor_b32 s7, exec_lo, s7
	s_cbranch_execz .LBB276_1065
; %bb.1060:
	s_mov_b32 s8, exec_lo
                                        ; implicit-def: $vgpr9
	v_cmpx_lt_u32_e32 0x3c7fffff, v12
	s_xor_b32 s8, exec_lo, s8
; %bb.1061:
	v_bfe_u32 v9, v5, 20, 1
	s_delay_alu instid0(VALU_DEP_1) | instskip(NEXT) | instid1(VALU_DEP_1)
	v_add3_u32 v9, v5, v9, 0x407ffff
	v_and_b32_e32 v12, 0xff00000, v9
	v_lshrrev_b32_e32 v9, 20, v9
	s_delay_alu instid0(VALU_DEP_2) | instskip(NEXT) | instid1(VALU_DEP_2)
	v_cmp_ne_u32_e32 vcc_lo, 0x7f00000, v12
	v_cndmask_b32_e32 v9, 0x7e, v9, vcc_lo
; %bb.1062:
	s_and_not1_saveexec_b32 s8, s8
; %bb.1063:
	v_add_f32_e64 v9, 0x46800000, |v5|
; %bb.1064:
	s_or_b32 exec_lo, exec_lo, s8
                                        ; implicit-def: $vgpr12
.LBB276_1065:
	s_and_not1_saveexec_b32 s7, s7
; %bb.1066:
	v_mov_b32_e32 v9, 0x7f
	v_cmp_lt_u32_e32 vcc_lo, 0x7f800000, v12
	s_delay_alu instid0(VALU_DEP_2)
	v_cndmask_b32_e32 v9, 0x7e, v9, vcc_lo
; %bb.1067:
	s_or_b32 exec_lo, exec_lo, s7
	v_lshrrev_b32_e32 v5, 24, v5
	s_delay_alu instid0(VALU_DEP_1)
	v_and_or_b32 v27, 0x80, v5, v9
.LBB276_1068:
	s_or_b32 exec_lo, exec_lo, s6
	s_delay_alu instid0(SALU_CYCLE_1)
	s_or_b32 s5, s5, exec_lo
.LBB276_1069:
	s_or_b32 exec_lo, exec_lo, s3
	s_delay_alu instid0(SALU_CYCLE_1)
	s_and_b32 s3, s5, exec_lo
	s_and_b32 s4, s4, exec_lo
	s_and_not1_saveexec_b32 s2, s2
	s_cbranch_execnz .LBB276_2424
.LBB276_1070:
	s_or_b32 exec_lo, exec_lo, s2
	s_mov_b32 s2, s18
	s_and_saveexec_b32 s5, s4
	s_cbranch_execnz .LBB276_2473
.LBB276_1071:
	s_or_b32 exec_lo, exec_lo, s5
	s_and_saveexec_b32 s4, s1
	s_cbranch_execz .LBB276_1081
.LBB276_1072:
	flat_load_u8 v5, v[10:11]
	s_mov_b32 s1, exec_lo
                                        ; implicit-def: $vgpr27
	s_wait_loadcnt_dscnt 0x0
	v_cmp_ne_u16_e32 vcc_lo, 0, v5
	v_cndmask_b32_e64 v5, 0, 1.0, vcc_lo
	s_wait_xcnt 0x0
	s_delay_alu instid0(VALU_DEP_1)
	v_cmpx_gt_u32_e32 0x43f00000, v5
	s_xor_b32 s1, exec_lo, s1
	s_cbranch_execz .LBB276_1078
; %bb.1073:
	s_mov_b32 s5, exec_lo
                                        ; implicit-def: $vgpr27
	v_cmpx_lt_u32_e32 0x3c7fffff, v5
	s_xor_b32 s5, exec_lo, s5
; %bb.1074:
	v_bfe_u32 v9, v5, 20, 1
	s_delay_alu instid0(VALU_DEP_1) | instskip(NEXT) | instid1(VALU_DEP_1)
	v_add3_u32 v5, v5, v9, 0x407ffff
	v_and_b32_e32 v9, 0xff00000, v5
	v_lshrrev_b32_e32 v5, 20, v5
	s_delay_alu instid0(VALU_DEP_2) | instskip(NEXT) | instid1(VALU_DEP_2)
	v_cmp_ne_u32_e32 vcc_lo, 0x7f00000, v9
	v_cndmask_b32_e32 v27, 0x7e, v5, vcc_lo
                                        ; implicit-def: $vgpr5
; %bb.1075:
	s_and_not1_saveexec_b32 s5, s5
; %bb.1076:
	v_add_f32_e32 v27, 0x46800000, v5
; %bb.1077:
	s_or_b32 exec_lo, exec_lo, s5
                                        ; implicit-def: $vgpr5
.LBB276_1078:
	s_and_not1_saveexec_b32 s1, s1
; %bb.1079:
	v_mov_b32_e32 v9, 0x7f
	v_cmp_lt_u32_e32 vcc_lo, 0x7f800000, v5
	s_delay_alu instid0(VALU_DEP_2)
	v_cndmask_b32_e32 v27, 0x7e, v9, vcc_lo
; %bb.1080:
	s_or_b32 exec_lo, exec_lo, s1
	s_delay_alu instid0(SALU_CYCLE_1)
	s_or_b32 s3, s3, exec_lo
.LBB276_1081:
	s_or_b32 exec_lo, exec_lo, s4
	s_delay_alu instid0(SALU_CYCLE_1) | instskip(SKIP_1) | instid1(SALU_CYCLE_1)
	s_and_not1_b32 s1, s18, exec_lo
	s_and_b32 s2, s2, exec_lo
                                        ; implicit-def: $vgpr10_vgpr11
	s_or_b32 s20, s1, s2
	s_and_b32 s1, s3, exec_lo
.LBB276_1082:
	s_and_not1_saveexec_b32 s0, s0
	s_cbranch_execz .LBB276_1212
; %bb.1083:
	s_mov_b32 s2, exec_lo
                                        ; implicit-def: $vgpr27
	v_cmpx_lt_i16_e32 4, v1
	s_xor_b32 s2, exec_lo, s2
	s_cbranch_execz .LBB276_1153
; %bb.1084:
	s_mov_b32 s3, exec_lo
                                        ; implicit-def: $vgpr27
	v_cmpx_lt_i16_e32 7, v1
	s_xor_b32 s3, exec_lo, s3
	;; [unrolled: 6-line block ×4, first 2 shown]
	s_cbranch_execz .LBB276_1096
; %bb.1087:
	flat_load_b64 v[10:11], v[10:11]
	s_mov_b32 s6, exec_lo
                                        ; implicit-def: $vgpr9
	s_wait_loadcnt_dscnt 0x0
	v_cvt_f32_f64_e32 v5, v[10:11]
	s_wait_xcnt 0x0
	s_delay_alu instid0(VALU_DEP_1) | instskip(NEXT) | instid1(VALU_DEP_1)
	v_and_b32_e32 v10, 0x7fffffff, v5
	v_cmpx_gt_u32_e32 0x43f00000, v10
	s_xor_b32 s6, exec_lo, s6
	s_cbranch_execz .LBB276_1093
; %bb.1088:
	s_mov_b32 s7, exec_lo
                                        ; implicit-def: $vgpr9
	v_cmpx_lt_u32_e32 0x3c7fffff, v10
	s_xor_b32 s7, exec_lo, s7
; %bb.1089:
	v_bfe_u32 v9, v5, 20, 1
	s_delay_alu instid0(VALU_DEP_1) | instskip(NEXT) | instid1(VALU_DEP_1)
	v_add3_u32 v9, v5, v9, 0x407ffff
	v_and_b32_e32 v10, 0xff00000, v9
	v_lshrrev_b32_e32 v9, 20, v9
	s_delay_alu instid0(VALU_DEP_2) | instskip(NEXT) | instid1(VALU_DEP_2)
	v_cmp_ne_u32_e32 vcc_lo, 0x7f00000, v10
	v_cndmask_b32_e32 v9, 0x7e, v9, vcc_lo
; %bb.1090:
	s_and_not1_saveexec_b32 s7, s7
; %bb.1091:
	v_add_f32_e64 v9, 0x46800000, |v5|
; %bb.1092:
	s_or_b32 exec_lo, exec_lo, s7
                                        ; implicit-def: $vgpr10
.LBB276_1093:
	s_and_not1_saveexec_b32 s6, s6
; %bb.1094:
	v_mov_b32_e32 v9, 0x7f
	v_cmp_lt_u32_e32 vcc_lo, 0x7f800000, v10
	s_delay_alu instid0(VALU_DEP_2)
	v_cndmask_b32_e32 v9, 0x7e, v9, vcc_lo
; %bb.1095:
	s_or_b32 exec_lo, exec_lo, s6
	v_lshrrev_b32_e32 v5, 24, v5
                                        ; implicit-def: $vgpr10_vgpr11
	s_delay_alu instid0(VALU_DEP_1)
	v_and_or_b32 v27, 0x80, v5, v9
.LBB276_1096:
	s_and_not1_saveexec_b32 s5, s5
	s_cbranch_execz .LBB276_1106
; %bb.1097:
	flat_load_b32 v5, v[10:11]
	s_mov_b32 s6, exec_lo
                                        ; implicit-def: $vgpr9
	s_wait_loadcnt_dscnt 0x0
	v_and_b32_e32 v10, 0x7fffffff, v5
	s_delay_alu instid0(VALU_DEP_1)
	v_cmpx_gt_u32_e32 0x43f00000, v10
	s_xor_b32 s6, exec_lo, s6
	s_cbranch_execz .LBB276_1103
; %bb.1098:
	s_mov_b32 s7, exec_lo
                                        ; implicit-def: $vgpr9
	v_cmpx_lt_u32_e32 0x3c7fffff, v10
	s_xor_b32 s7, exec_lo, s7
; %bb.1099:
	v_bfe_u32 v9, v5, 20, 1
	s_delay_alu instid0(VALU_DEP_1) | instskip(NEXT) | instid1(VALU_DEP_1)
	v_add3_u32 v9, v5, v9, 0x407ffff
	v_and_b32_e32 v10, 0xff00000, v9
	v_lshrrev_b32_e32 v9, 20, v9
	s_delay_alu instid0(VALU_DEP_2) | instskip(NEXT) | instid1(VALU_DEP_2)
	v_cmp_ne_u32_e32 vcc_lo, 0x7f00000, v10
	v_cndmask_b32_e32 v9, 0x7e, v9, vcc_lo
; %bb.1100:
	s_and_not1_saveexec_b32 s7, s7
; %bb.1101:
	v_add_f32_e64 v9, 0x46800000, |v5|
; %bb.1102:
	s_or_b32 exec_lo, exec_lo, s7
                                        ; implicit-def: $vgpr10
.LBB276_1103:
	s_and_not1_saveexec_b32 s6, s6
; %bb.1104:
	v_mov_b32_e32 v9, 0x7f
	v_cmp_lt_u32_e32 vcc_lo, 0x7f800000, v10
	s_delay_alu instid0(VALU_DEP_2)
	v_cndmask_b32_e32 v9, 0x7e, v9, vcc_lo
; %bb.1105:
	s_or_b32 exec_lo, exec_lo, s6
	v_lshrrev_b32_e32 v5, 24, v5
	s_delay_alu instid0(VALU_DEP_1)
	v_and_or_b32 v27, 0x80, v5, v9
.LBB276_1106:
	s_or_b32 exec_lo, exec_lo, s5
                                        ; implicit-def: $vgpr10_vgpr11
.LBB276_1107:
	s_and_not1_saveexec_b32 s4, s4
	s_cbranch_execz .LBB276_1117
; %bb.1108:
	flat_load_b32 v5, v[10:11]
	s_mov_b32 s5, exec_lo
                                        ; implicit-def: $vgpr9
	s_wait_loadcnt_dscnt 0x0
	v_cvt_f32_f16_e32 v5, v5
	s_wait_xcnt 0x0
	s_delay_alu instid0(VALU_DEP_1) | instskip(NEXT) | instid1(VALU_DEP_1)
	v_and_b32_e32 v10, 0x7fffffff, v5
	v_cmpx_gt_u32_e32 0x43f00000, v10
	s_xor_b32 s5, exec_lo, s5
	s_cbranch_execz .LBB276_1114
; %bb.1109:
	s_mov_b32 s6, exec_lo
                                        ; implicit-def: $vgpr9
	v_cmpx_lt_u32_e32 0x3c7fffff, v10
	s_xor_b32 s6, exec_lo, s6
; %bb.1110:
	v_bfe_u32 v9, v5, 20, 1
	s_delay_alu instid0(VALU_DEP_1) | instskip(NEXT) | instid1(VALU_DEP_1)
	v_add3_u32 v9, v5, v9, 0x407ffff
	v_and_b32_e32 v10, 0xff00000, v9
	v_lshrrev_b32_e32 v9, 20, v9
	s_delay_alu instid0(VALU_DEP_2) | instskip(NEXT) | instid1(VALU_DEP_2)
	v_cmp_ne_u32_e32 vcc_lo, 0x7f00000, v10
	v_cndmask_b32_e32 v9, 0x7e, v9, vcc_lo
; %bb.1111:
	s_and_not1_saveexec_b32 s6, s6
; %bb.1112:
	v_add_f32_e64 v9, 0x46800000, |v5|
; %bb.1113:
	s_or_b32 exec_lo, exec_lo, s6
                                        ; implicit-def: $vgpr10
.LBB276_1114:
	s_and_not1_saveexec_b32 s5, s5
; %bb.1115:
	v_mov_b32_e32 v9, 0x7f
	v_cmp_lt_u32_e32 vcc_lo, 0x7f800000, v10
	s_delay_alu instid0(VALU_DEP_2)
	v_cndmask_b32_e32 v9, 0x7e, v9, vcc_lo
; %bb.1116:
	s_or_b32 exec_lo, exec_lo, s5
	v_lshrrev_b32_e32 v5, 24, v5
	s_delay_alu instid0(VALU_DEP_1)
	v_and_or_b32 v27, 0x80, v5, v9
.LBB276_1117:
	s_or_b32 exec_lo, exec_lo, s4
                                        ; implicit-def: $vgpr10_vgpr11
.LBB276_1118:
	s_and_not1_saveexec_b32 s3, s3
	s_cbranch_execz .LBB276_1152
; %bb.1119:
	s_mov_b32 s4, exec_lo
                                        ; implicit-def: $vgpr27
	v_cmpx_lt_i16_e32 5, v1
	s_xor_b32 s4, exec_lo, s4
	s_cbranch_execz .LBB276_1141
; %bb.1120:
	s_mov_b32 s5, exec_lo
                                        ; implicit-def: $vgpr27
	v_cmpx_lt_i16_e32 6, v1
	s_xor_b32 s5, exec_lo, s5
	s_cbranch_execz .LBB276_1130
; %bb.1121:
	flat_load_b64 v[10:11], v[10:11]
	s_mov_b32 s6, exec_lo
                                        ; implicit-def: $vgpr9
	s_wait_loadcnt_dscnt 0x0
	v_cvt_f32_f64_e32 v5, v[10:11]
	s_wait_xcnt 0x0
	s_delay_alu instid0(VALU_DEP_1) | instskip(NEXT) | instid1(VALU_DEP_1)
	v_and_b32_e32 v10, 0x7fffffff, v5
	v_cmpx_gt_u32_e32 0x43f00000, v10
	s_xor_b32 s6, exec_lo, s6
	s_cbranch_execz .LBB276_1127
; %bb.1122:
	s_mov_b32 s7, exec_lo
                                        ; implicit-def: $vgpr9
	v_cmpx_lt_u32_e32 0x3c7fffff, v10
	s_xor_b32 s7, exec_lo, s7
; %bb.1123:
	v_bfe_u32 v9, v5, 20, 1
	s_delay_alu instid0(VALU_DEP_1) | instskip(NEXT) | instid1(VALU_DEP_1)
	v_add3_u32 v9, v5, v9, 0x407ffff
	v_and_b32_e32 v10, 0xff00000, v9
	v_lshrrev_b32_e32 v9, 20, v9
	s_delay_alu instid0(VALU_DEP_2) | instskip(NEXT) | instid1(VALU_DEP_2)
	v_cmp_ne_u32_e32 vcc_lo, 0x7f00000, v10
	v_cndmask_b32_e32 v9, 0x7e, v9, vcc_lo
; %bb.1124:
	s_and_not1_saveexec_b32 s7, s7
; %bb.1125:
	v_add_f32_e64 v9, 0x46800000, |v5|
; %bb.1126:
	s_or_b32 exec_lo, exec_lo, s7
                                        ; implicit-def: $vgpr10
.LBB276_1127:
	s_and_not1_saveexec_b32 s6, s6
; %bb.1128:
	v_mov_b32_e32 v9, 0x7f
	v_cmp_lt_u32_e32 vcc_lo, 0x7f800000, v10
	s_delay_alu instid0(VALU_DEP_2)
	v_cndmask_b32_e32 v9, 0x7e, v9, vcc_lo
; %bb.1129:
	s_or_b32 exec_lo, exec_lo, s6
	v_lshrrev_b32_e32 v5, 24, v5
                                        ; implicit-def: $vgpr10_vgpr11
	s_delay_alu instid0(VALU_DEP_1)
	v_and_or_b32 v27, 0x80, v5, v9
.LBB276_1130:
	s_and_not1_saveexec_b32 s5, s5
	s_cbranch_execz .LBB276_1140
; %bb.1131:
	flat_load_b32 v5, v[10:11]
	s_mov_b32 s6, exec_lo
                                        ; implicit-def: $vgpr9
	s_wait_loadcnt_dscnt 0x0
	v_and_b32_e32 v10, 0x7fffffff, v5
	s_delay_alu instid0(VALU_DEP_1)
	v_cmpx_gt_u32_e32 0x43f00000, v10
	s_xor_b32 s6, exec_lo, s6
	s_cbranch_execz .LBB276_1137
; %bb.1132:
	s_mov_b32 s7, exec_lo
                                        ; implicit-def: $vgpr9
	v_cmpx_lt_u32_e32 0x3c7fffff, v10
	s_xor_b32 s7, exec_lo, s7
; %bb.1133:
	v_bfe_u32 v9, v5, 20, 1
	s_delay_alu instid0(VALU_DEP_1) | instskip(NEXT) | instid1(VALU_DEP_1)
	v_add3_u32 v9, v5, v9, 0x407ffff
	v_and_b32_e32 v10, 0xff00000, v9
	v_lshrrev_b32_e32 v9, 20, v9
	s_delay_alu instid0(VALU_DEP_2) | instskip(NEXT) | instid1(VALU_DEP_2)
	v_cmp_ne_u32_e32 vcc_lo, 0x7f00000, v10
	v_cndmask_b32_e32 v9, 0x7e, v9, vcc_lo
; %bb.1134:
	s_and_not1_saveexec_b32 s7, s7
; %bb.1135:
	v_add_f32_e64 v9, 0x46800000, |v5|
; %bb.1136:
	s_or_b32 exec_lo, exec_lo, s7
                                        ; implicit-def: $vgpr10
.LBB276_1137:
	s_and_not1_saveexec_b32 s6, s6
; %bb.1138:
	v_mov_b32_e32 v9, 0x7f
	v_cmp_lt_u32_e32 vcc_lo, 0x7f800000, v10
	s_delay_alu instid0(VALU_DEP_2)
	v_cndmask_b32_e32 v9, 0x7e, v9, vcc_lo
; %bb.1139:
	s_or_b32 exec_lo, exec_lo, s6
	v_lshrrev_b32_e32 v5, 24, v5
	s_delay_alu instid0(VALU_DEP_1)
	v_and_or_b32 v27, 0x80, v5, v9
.LBB276_1140:
	s_or_b32 exec_lo, exec_lo, s5
                                        ; implicit-def: $vgpr10_vgpr11
.LBB276_1141:
	s_and_not1_saveexec_b32 s4, s4
	s_cbranch_execz .LBB276_1151
; %bb.1142:
	flat_load_u16 v5, v[10:11]
	s_mov_b32 s5, exec_lo
                                        ; implicit-def: $vgpr9
	s_wait_loadcnt_dscnt 0x0
	v_cvt_f32_f16_e32 v5, v5
	s_wait_xcnt 0x0
	s_delay_alu instid0(VALU_DEP_1) | instskip(NEXT) | instid1(VALU_DEP_1)
	v_and_b32_e32 v10, 0x7fffffff, v5
	v_cmpx_gt_u32_e32 0x43f00000, v10
	s_xor_b32 s5, exec_lo, s5
	s_cbranch_execz .LBB276_1148
; %bb.1143:
	s_mov_b32 s6, exec_lo
                                        ; implicit-def: $vgpr9
	v_cmpx_lt_u32_e32 0x3c7fffff, v10
	s_xor_b32 s6, exec_lo, s6
; %bb.1144:
	v_bfe_u32 v9, v5, 20, 1
	s_delay_alu instid0(VALU_DEP_1) | instskip(NEXT) | instid1(VALU_DEP_1)
	v_add3_u32 v9, v5, v9, 0x407ffff
	v_and_b32_e32 v10, 0xff00000, v9
	v_lshrrev_b32_e32 v9, 20, v9
	s_delay_alu instid0(VALU_DEP_2) | instskip(NEXT) | instid1(VALU_DEP_2)
	v_cmp_ne_u32_e32 vcc_lo, 0x7f00000, v10
	v_cndmask_b32_e32 v9, 0x7e, v9, vcc_lo
; %bb.1145:
	s_and_not1_saveexec_b32 s6, s6
; %bb.1146:
	v_add_f32_e64 v9, 0x46800000, |v5|
; %bb.1147:
	s_or_b32 exec_lo, exec_lo, s6
                                        ; implicit-def: $vgpr10
.LBB276_1148:
	s_and_not1_saveexec_b32 s5, s5
; %bb.1149:
	v_mov_b32_e32 v9, 0x7f
	v_cmp_lt_u32_e32 vcc_lo, 0x7f800000, v10
	s_delay_alu instid0(VALU_DEP_2)
	v_cndmask_b32_e32 v9, 0x7e, v9, vcc_lo
; %bb.1150:
	s_or_b32 exec_lo, exec_lo, s5
	v_lshrrev_b32_e32 v5, 24, v5
	s_delay_alu instid0(VALU_DEP_1)
	v_and_or_b32 v27, 0x80, v5, v9
.LBB276_1151:
	s_or_b32 exec_lo, exec_lo, s4
.LBB276_1152:
	s_delay_alu instid0(SALU_CYCLE_1)
	s_or_b32 exec_lo, exec_lo, s3
                                        ; implicit-def: $vgpr10_vgpr11
.LBB276_1153:
	s_and_not1_saveexec_b32 s2, s2
	s_cbranch_execz .LBB276_1211
; %bb.1154:
	s_mov_b32 s3, exec_lo
                                        ; implicit-def: $vgpr27
	v_cmpx_lt_i16_e32 1, v1
	s_xor_b32 s3, exec_lo, s3
	s_cbranch_execz .LBB276_1188
; %bb.1155:
	s_mov_b32 s4, exec_lo
                                        ; implicit-def: $vgpr27
	v_cmpx_lt_i16_e32 2, v1
	s_xor_b32 s4, exec_lo, s4
	;; [unrolled: 6-line block ×3, first 2 shown]
	s_cbranch_execz .LBB276_1166
; %bb.1157:
	flat_load_b64 v[10:11], v[10:11]
	s_mov_b32 s6, exec_lo
	s_wait_loadcnt_dscnt 0x0
	v_xor_b32_e32 v5, v10, v11
	v_cls_i32_e32 v9, v11
	s_delay_alu instid0(VALU_DEP_2) | instskip(NEXT) | instid1(VALU_DEP_1)
	v_ashrrev_i32_e32 v5, 31, v5
	v_add_nc_u32_e32 v5, 32, v5
	s_delay_alu instid0(VALU_DEP_1) | instskip(SKIP_1) | instid1(VALU_DEP_1)
	v_add_min_u32_e64 v5, v9, -1, v5
	s_wait_xcnt 0x0
	v_lshlrev_b64_e32 v[10:11], v5, v[10:11]
	v_sub_nc_u32_e32 v5, 32, v5
	s_delay_alu instid0(VALU_DEP_2) | instskip(NEXT) | instid1(VALU_DEP_1)
	v_min_u32_e32 v9, 1, v10
	v_or_b32_e32 v9, v11, v9
	s_delay_alu instid0(VALU_DEP_1) | instskip(NEXT) | instid1(VALU_DEP_1)
	v_cvt_f32_i32_e32 v9, v9
	v_ldexp_f32 v5, v9, v5
                                        ; implicit-def: $vgpr9
	s_delay_alu instid0(VALU_DEP_1) | instskip(NEXT) | instid1(VALU_DEP_1)
	v_and_b32_e32 v10, 0x7fffffff, v5
	v_cmpx_gt_u32_e32 0x43f00000, v10
	s_xor_b32 s6, exec_lo, s6
	s_cbranch_execz .LBB276_1163
; %bb.1158:
	s_mov_b32 s7, exec_lo
                                        ; implicit-def: $vgpr9
	v_cmpx_lt_u32_e32 0x3c7fffff, v10
	s_xor_b32 s7, exec_lo, s7
; %bb.1159:
	v_bfe_u32 v9, v5, 20, 1
	s_delay_alu instid0(VALU_DEP_1) | instskip(NEXT) | instid1(VALU_DEP_1)
	v_add3_u32 v9, v5, v9, 0x407ffff
	v_and_b32_e32 v10, 0xff00000, v9
	v_lshrrev_b32_e32 v9, 20, v9
	s_delay_alu instid0(VALU_DEP_2) | instskip(NEXT) | instid1(VALU_DEP_2)
	v_cmp_ne_u32_e32 vcc_lo, 0x7f00000, v10
	v_cndmask_b32_e32 v9, 0x7e, v9, vcc_lo
; %bb.1160:
	s_and_not1_saveexec_b32 s7, s7
; %bb.1161:
	v_add_f32_e64 v9, 0x46800000, |v5|
; %bb.1162:
	s_or_b32 exec_lo, exec_lo, s7
                                        ; implicit-def: $vgpr10
.LBB276_1163:
	s_and_not1_saveexec_b32 s6, s6
; %bb.1164:
	v_mov_b32_e32 v9, 0x7f
	v_cmp_lt_u32_e32 vcc_lo, 0x7f800000, v10
	s_delay_alu instid0(VALU_DEP_2)
	v_cndmask_b32_e32 v9, 0x7e, v9, vcc_lo
; %bb.1165:
	s_or_b32 exec_lo, exec_lo, s6
	v_lshrrev_b32_e32 v5, 24, v5
                                        ; implicit-def: $vgpr10_vgpr11
	s_delay_alu instid0(VALU_DEP_1)
	v_and_or_b32 v27, 0x80, v5, v9
.LBB276_1166:
	s_and_not1_saveexec_b32 s5, s5
	s_cbranch_execz .LBB276_1176
; %bb.1167:
	flat_load_b32 v5, v[10:11]
	s_mov_b32 s6, exec_lo
                                        ; implicit-def: $vgpr9
	s_wait_loadcnt_dscnt 0x0
	v_cvt_f32_i32_e32 v5, v5
	s_wait_xcnt 0x0
	s_delay_alu instid0(VALU_DEP_1) | instskip(NEXT) | instid1(VALU_DEP_1)
	v_and_b32_e32 v10, 0x7fffffff, v5
	v_cmpx_gt_u32_e32 0x43f00000, v10
	s_xor_b32 s6, exec_lo, s6
	s_cbranch_execz .LBB276_1173
; %bb.1168:
	s_mov_b32 s7, exec_lo
                                        ; implicit-def: $vgpr9
	v_cmpx_lt_u32_e32 0x3c7fffff, v10
	s_xor_b32 s7, exec_lo, s7
; %bb.1169:
	v_bfe_u32 v9, v5, 20, 1
	s_delay_alu instid0(VALU_DEP_1) | instskip(NEXT) | instid1(VALU_DEP_1)
	v_add3_u32 v9, v5, v9, 0x407ffff
	v_and_b32_e32 v10, 0xff00000, v9
	v_lshrrev_b32_e32 v9, 20, v9
	s_delay_alu instid0(VALU_DEP_2) | instskip(NEXT) | instid1(VALU_DEP_2)
	v_cmp_ne_u32_e32 vcc_lo, 0x7f00000, v10
	v_cndmask_b32_e32 v9, 0x7e, v9, vcc_lo
; %bb.1170:
	s_and_not1_saveexec_b32 s7, s7
; %bb.1171:
	v_add_f32_e64 v9, 0x46800000, |v5|
; %bb.1172:
	s_or_b32 exec_lo, exec_lo, s7
                                        ; implicit-def: $vgpr10
.LBB276_1173:
	s_and_not1_saveexec_b32 s6, s6
; %bb.1174:
	v_mov_b32_e32 v9, 0x7f
	v_cmp_lt_u32_e32 vcc_lo, 0x7f800000, v10
	s_delay_alu instid0(VALU_DEP_2)
	v_cndmask_b32_e32 v9, 0x7e, v9, vcc_lo
; %bb.1175:
	s_or_b32 exec_lo, exec_lo, s6
	v_lshrrev_b32_e32 v5, 24, v5
	s_delay_alu instid0(VALU_DEP_1)
	v_and_or_b32 v27, 0x80, v5, v9
.LBB276_1176:
	s_or_b32 exec_lo, exec_lo, s5
                                        ; implicit-def: $vgpr10_vgpr11
.LBB276_1177:
	s_and_not1_saveexec_b32 s4, s4
	s_cbranch_execz .LBB276_1187
; %bb.1178:
	flat_load_i16 v5, v[10:11]
	s_mov_b32 s5, exec_lo
                                        ; implicit-def: $vgpr9
	s_wait_loadcnt_dscnt 0x0
	v_cvt_f32_i32_e32 v5, v5
	s_wait_xcnt 0x0
	s_delay_alu instid0(VALU_DEP_1) | instskip(NEXT) | instid1(VALU_DEP_1)
	v_and_b32_e32 v10, 0x7fffffff, v5
	v_cmpx_gt_u32_e32 0x43f00000, v10
	s_xor_b32 s5, exec_lo, s5
	s_cbranch_execz .LBB276_1184
; %bb.1179:
	s_mov_b32 s6, exec_lo
                                        ; implicit-def: $vgpr9
	v_cmpx_lt_u32_e32 0x3c7fffff, v10
	s_xor_b32 s6, exec_lo, s6
; %bb.1180:
	v_bfe_u32 v9, v5, 20, 1
	s_delay_alu instid0(VALU_DEP_1) | instskip(NEXT) | instid1(VALU_DEP_1)
	v_add3_u32 v9, v5, v9, 0x407ffff
	v_and_b32_e32 v10, 0xff00000, v9
	v_lshrrev_b32_e32 v9, 20, v9
	s_delay_alu instid0(VALU_DEP_2) | instskip(NEXT) | instid1(VALU_DEP_2)
	v_cmp_ne_u32_e32 vcc_lo, 0x7f00000, v10
	v_cndmask_b32_e32 v9, 0x7e, v9, vcc_lo
; %bb.1181:
	s_and_not1_saveexec_b32 s6, s6
; %bb.1182:
	v_add_f32_e64 v9, 0x46800000, |v5|
; %bb.1183:
	s_or_b32 exec_lo, exec_lo, s6
                                        ; implicit-def: $vgpr10
.LBB276_1184:
	s_and_not1_saveexec_b32 s5, s5
; %bb.1185:
	v_mov_b32_e32 v9, 0x7f
	v_cmp_lt_u32_e32 vcc_lo, 0x7f800000, v10
	s_delay_alu instid0(VALU_DEP_2)
	v_cndmask_b32_e32 v9, 0x7e, v9, vcc_lo
; %bb.1186:
	s_or_b32 exec_lo, exec_lo, s5
	v_lshrrev_b32_e32 v5, 24, v5
	s_delay_alu instid0(VALU_DEP_1)
	v_and_or_b32 v27, 0x80, v5, v9
.LBB276_1187:
	s_or_b32 exec_lo, exec_lo, s4
                                        ; implicit-def: $vgpr10_vgpr11
.LBB276_1188:
	s_and_not1_saveexec_b32 s3, s3
	s_cbranch_execz .LBB276_1210
; %bb.1189:
	s_mov_b32 s4, exec_lo
                                        ; implicit-def: $vgpr27
	v_cmpx_lt_i16_e32 0, v1
	s_xor_b32 s4, exec_lo, s4
	s_cbranch_execz .LBB276_1199
; %bb.1190:
	flat_load_i8 v5, v[10:11]
	s_mov_b32 s5, exec_lo
                                        ; implicit-def: $vgpr9
	s_wait_loadcnt_dscnt 0x0
	v_cvt_f32_i32_e32 v5, v5
	s_wait_xcnt 0x0
	s_delay_alu instid0(VALU_DEP_1) | instskip(NEXT) | instid1(VALU_DEP_1)
	v_and_b32_e32 v10, 0x7fffffff, v5
	v_cmpx_gt_u32_e32 0x43f00000, v10
	s_xor_b32 s5, exec_lo, s5
	s_cbranch_execz .LBB276_1196
; %bb.1191:
	s_mov_b32 s6, exec_lo
                                        ; implicit-def: $vgpr9
	v_cmpx_lt_u32_e32 0x3c7fffff, v10
	s_xor_b32 s6, exec_lo, s6
; %bb.1192:
	v_bfe_u32 v9, v5, 20, 1
	s_delay_alu instid0(VALU_DEP_1) | instskip(NEXT) | instid1(VALU_DEP_1)
	v_add3_u32 v9, v5, v9, 0x407ffff
	v_and_b32_e32 v10, 0xff00000, v9
	v_lshrrev_b32_e32 v9, 20, v9
	s_delay_alu instid0(VALU_DEP_2) | instskip(NEXT) | instid1(VALU_DEP_2)
	v_cmp_ne_u32_e32 vcc_lo, 0x7f00000, v10
	v_cndmask_b32_e32 v9, 0x7e, v9, vcc_lo
; %bb.1193:
	s_and_not1_saveexec_b32 s6, s6
; %bb.1194:
	v_add_f32_e64 v9, 0x46800000, |v5|
; %bb.1195:
	s_or_b32 exec_lo, exec_lo, s6
                                        ; implicit-def: $vgpr10
.LBB276_1196:
	s_and_not1_saveexec_b32 s5, s5
; %bb.1197:
	v_mov_b32_e32 v9, 0x7f
	v_cmp_lt_u32_e32 vcc_lo, 0x7f800000, v10
	s_delay_alu instid0(VALU_DEP_2)
	v_cndmask_b32_e32 v9, 0x7e, v9, vcc_lo
; %bb.1198:
	s_or_b32 exec_lo, exec_lo, s5
	v_lshrrev_b32_e32 v5, 24, v5
                                        ; implicit-def: $vgpr10_vgpr11
	s_delay_alu instid0(VALU_DEP_1)
	v_and_or_b32 v27, 0x80, v5, v9
.LBB276_1199:
	s_and_not1_saveexec_b32 s4, s4
	s_cbranch_execz .LBB276_1209
; %bb.1200:
	flat_load_u8 v5, v[10:11]
	s_mov_b32 s5, exec_lo
                                        ; implicit-def: $vgpr27
	s_wait_loadcnt_dscnt 0x0
	v_cvt_f32_ubyte0_e32 v5, v5
	s_wait_xcnt 0x0
	s_delay_alu instid0(VALU_DEP_1)
	v_cmpx_gt_u32_e32 0x43f00000, v5
	s_xor_b32 s5, exec_lo, s5
	s_cbranch_execz .LBB276_1206
; %bb.1201:
	s_mov_b32 s6, exec_lo
                                        ; implicit-def: $vgpr27
	v_cmpx_lt_u32_e32 0x3c7fffff, v5
	s_xor_b32 s6, exec_lo, s6
; %bb.1202:
	v_bfe_u32 v9, v5, 20, 1
	s_delay_alu instid0(VALU_DEP_1) | instskip(NEXT) | instid1(VALU_DEP_1)
	v_add3_u32 v5, v5, v9, 0x407ffff
	v_and_b32_e32 v9, 0xff00000, v5
	v_lshrrev_b32_e32 v5, 20, v5
	s_delay_alu instid0(VALU_DEP_2) | instskip(NEXT) | instid1(VALU_DEP_2)
	v_cmp_ne_u32_e32 vcc_lo, 0x7f00000, v9
	v_cndmask_b32_e32 v27, 0x7e, v5, vcc_lo
                                        ; implicit-def: $vgpr5
; %bb.1203:
	s_and_not1_saveexec_b32 s6, s6
; %bb.1204:
	v_add_f32_e32 v27, 0x46800000, v5
; %bb.1205:
	s_or_b32 exec_lo, exec_lo, s6
                                        ; implicit-def: $vgpr5
.LBB276_1206:
	s_and_not1_saveexec_b32 s5, s5
; %bb.1207:
	v_mov_b32_e32 v9, 0x7f
	v_cmp_lt_u32_e32 vcc_lo, 0x7f800000, v5
	s_delay_alu instid0(VALU_DEP_2)
	v_cndmask_b32_e32 v27, 0x7e, v9, vcc_lo
; %bb.1208:
	s_or_b32 exec_lo, exec_lo, s5
.LBB276_1209:
	s_delay_alu instid0(SALU_CYCLE_1)
	s_or_b32 exec_lo, exec_lo, s4
.LBB276_1210:
	s_delay_alu instid0(SALU_CYCLE_1)
	s_or_b32 exec_lo, exec_lo, s3
.LBB276_1211:
	s_delay_alu instid0(SALU_CYCLE_1) | instskip(NEXT) | instid1(SALU_CYCLE_1)
	s_or_b32 exec_lo, exec_lo, s2
	s_or_b32 s1, s1, exec_lo
.LBB276_1212:
	s_or_b32 exec_lo, exec_lo, s0
	s_mov_b32 s0, 0
	s_mov_b32 s2, 0
	s_mov_b32 s4, 0
                                        ; implicit-def: $sgpr3
                                        ; implicit-def: $vgpr22_vgpr23
                                        ; implicit-def: $vgpr5
	s_and_saveexec_b32 s21, s1
	s_cbranch_execz .LBB276_2189
; %bb.1213:
	v_mov_b32_e32 v9, 0
	s_mov_b32 s1, 0
	s_mov_b32 s22, s20
	s_mov_b32 s0, exec_lo
                                        ; implicit-def: $vgpr30
	s_delay_alu instid0(VALU_DEP_1)
	v_add_nc_u64_e32 v[8:9], v[6:7], v[8:9]
	v_cmpx_lt_i16_e32 10, v3
	s_xor_b32 s0, exec_lo, s0
	s_cbranch_execz .LBB276_1308
; %bb.1214:
	s_mov_b32 s3, 0
	s_mov_b32 s2, exec_lo
                                        ; implicit-def: $vgpr30
	v_cmpx_lt_i16_e32 25, v3
	s_xor_b32 s2, exec_lo, s2
	s_cbranch_execz .LBB276_2476
; %bb.1215:
	s_mov_b32 s5, 0
	s_mov_b32 s3, exec_lo
                                        ; implicit-def: $vgpr30
	v_cmpx_lt_i16_e32 28, v3
	s_xor_b32 s3, exec_lo, s3
	s_cbranch_execz .LBB276_1255
; %bb.1216:
	s_mov_b32 s6, 0
	s_mov_b32 s7, 0
	s_mov_b32 s4, exec_lo
                                        ; implicit-def: $vgpr30
	v_cmpx_lt_i16_e32 43, v3
	s_xor_b32 s4, exec_lo, s4
	s_cbranch_execz .LBB276_1242
; %bb.1217:
	s_mov_b32 s7, exec_lo
                                        ; implicit-def: $vgpr30
	v_cmpx_lt_i16_e32 45, v3
	s_xor_b32 s7, exec_lo, s7
	s_cbranch_execz .LBB276_1229
; %bb.1218:
	s_mov_b32 s8, -1
	s_mov_b32 s5, exec_lo
                                        ; implicit-def: $vgpr30
	v_cmpx_eq_u16_e32 46, v3
	s_cbranch_execz .LBB276_1228
; %bb.1219:
	flat_load_b32 v5, v[8:9]
	s_mov_b32 s6, exec_lo
                                        ; implicit-def: $vgpr10
	s_wait_loadcnt_dscnt 0x0
	v_lshlrev_b32_e32 v5, 16, v5
	s_delay_alu instid0(VALU_DEP_1) | instskip(SKIP_1) | instid1(VALU_DEP_1)
	v_and_b32_e32 v11, 0x7fffffff, v5
	s_wait_xcnt 0x0
	v_cmpx_gt_u32_e32 0x43f00000, v11
	s_xor_b32 s6, exec_lo, s6
	s_cbranch_execz .LBB276_1225
; %bb.1220:
	s_mov_b32 s8, exec_lo
                                        ; implicit-def: $vgpr10
	v_cmpx_lt_u32_e32 0x3c7fffff, v11
	s_xor_b32 s8, exec_lo, s8
; %bb.1221:
	v_bfe_u32 v10, v5, 20, 1
	s_delay_alu instid0(VALU_DEP_1) | instskip(NEXT) | instid1(VALU_DEP_1)
	v_add3_u32 v10, v5, v10, 0x407ffff
	v_and_b32_e32 v11, 0xff00000, v10
	v_lshrrev_b32_e32 v10, 20, v10
	s_delay_alu instid0(VALU_DEP_2) | instskip(NEXT) | instid1(VALU_DEP_2)
	v_cmp_ne_u32_e32 vcc_lo, 0x7f00000, v11
	v_cndmask_b32_e32 v10, 0x7e, v10, vcc_lo
; %bb.1222:
	s_and_not1_saveexec_b32 s8, s8
; %bb.1223:
	v_add_f32_e64 v10, 0x46800000, |v5|
; %bb.1224:
	s_or_b32 exec_lo, exec_lo, s8
                                        ; implicit-def: $vgpr11
.LBB276_1225:
	s_and_not1_saveexec_b32 s6, s6
; %bb.1226:
	v_mov_b32_e32 v10, 0x7f
	v_cmp_lt_u32_e32 vcc_lo, 0x7f800000, v11
	s_delay_alu instid0(VALU_DEP_2)
	v_cndmask_b32_e32 v10, 0x7e, v10, vcc_lo
; %bb.1227:
	s_or_b32 exec_lo, exec_lo, s6
	v_lshrrev_b32_e32 v5, 24, v5
	s_mov_b32 s6, exec_lo
	s_xor_b32 s8, exec_lo, -1
	s_delay_alu instid0(VALU_DEP_1)
	v_and_or_b32 v30, 0x80, v5, v10
.LBB276_1228:
	s_or_b32 exec_lo, exec_lo, s5
	s_delay_alu instid0(SALU_CYCLE_1)
	s_and_b32 s6, s6, exec_lo
	s_and_b32 s5, s8, exec_lo
.LBB276_1229:
	s_and_not1_saveexec_b32 s7, s7
	s_cbranch_execz .LBB276_1241
; %bb.1230:
	s_mov_b32 s9, -1
	s_mov_b32 s10, s6
	s_mov_b32 s8, exec_lo
                                        ; implicit-def: $vgpr30
	v_cmpx_eq_u16_e32 44, v3
	s_cbranch_execz .LBB276_1240
; %bb.1231:
	flat_load_u8 v5, v[8:9]
	s_mov_b32 s9, exec_lo
                                        ; implicit-def: $vgpr30
	s_wait_loadcnt_dscnt 0x0
	v_lshlrev_b32_e32 v10, 23, v5
	v_cmp_ne_u32_e32 vcc_lo, 0xff, v5
	s_delay_alu instid0(VALU_DEP_2) | instskip(SKIP_1) | instid1(VALU_DEP_2)
	v_cndmask_b32_e32 v10, 0x7f800001, v10, vcc_lo
	v_cmp_ne_u32_e32 vcc_lo, 0, v5
	v_cndmask_b32_e32 v5, 0x400000, v10, vcc_lo
	s_wait_xcnt 0x0
	s_delay_alu instid0(VALU_DEP_1)
	v_cmpx_gt_u32_e32 0x43f00000, v5
	s_xor_b32 s9, exec_lo, s9
	s_cbranch_execz .LBB276_1237
; %bb.1232:
	s_mov_b32 s10, exec_lo
                                        ; implicit-def: $vgpr30
	v_cmpx_lt_u32_e32 0x3c7fffff, v5
	s_xor_b32 s10, exec_lo, s10
; %bb.1233:
	v_bfe_u32 v10, v5, 20, 1
	s_delay_alu instid0(VALU_DEP_1) | instskip(NEXT) | instid1(VALU_DEP_1)
	v_add3_u32 v5, v5, v10, 0x407ffff
	v_and_b32_e32 v10, 0xff00000, v5
	v_lshrrev_b32_e32 v5, 20, v5
	s_delay_alu instid0(VALU_DEP_2) | instskip(NEXT) | instid1(VALU_DEP_2)
	v_cmp_ne_u32_e32 vcc_lo, 0x7f00000, v10
	v_cndmask_b32_e32 v30, 0x7e, v5, vcc_lo
                                        ; implicit-def: $vgpr5
; %bb.1234:
	s_and_not1_saveexec_b32 s10, s10
; %bb.1235:
	v_add_f32_e32 v30, 0x46800000, v5
; %bb.1236:
	s_or_b32 exec_lo, exec_lo, s10
                                        ; implicit-def: $vgpr5
.LBB276_1237:
	s_and_not1_saveexec_b32 s9, s9
; %bb.1238:
	v_mov_b32_e32 v10, 0x7f
	v_cmp_lt_u32_e32 vcc_lo, 0x7f800000, v5
	s_delay_alu instid0(VALU_DEP_2)
	v_cndmask_b32_e32 v30, 0x7e, v10, vcc_lo
; %bb.1239:
	s_or_b32 exec_lo, exec_lo, s9
	s_delay_alu instid0(SALU_CYCLE_1)
	s_or_b32 s10, s6, exec_lo
	s_xor_b32 s9, exec_lo, -1
.LBB276_1240:
	s_or_b32 exec_lo, exec_lo, s8
	s_delay_alu instid0(SALU_CYCLE_1)
	s_and_not1_b32 s6, s6, exec_lo
	s_and_b32 s8, s10, exec_lo
	s_and_not1_b32 s5, s5, exec_lo
	s_and_b32 s9, s9, exec_lo
	s_or_b32 s6, s6, s8
	s_or_b32 s5, s5, s9
.LBB276_1241:
	s_or_b32 exec_lo, exec_lo, s7
	s_delay_alu instid0(SALU_CYCLE_1)
	s_and_b32 s7, s6, exec_lo
	s_and_b32 s6, s5, exec_lo
.LBB276_1242:
	s_and_not1_saveexec_b32 s4, s4
	s_cbranch_execz .LBB276_1254
; %bb.1243:
	s_mov_b32 s8, -1
	s_mov_b32 s9, s7
	s_mov_b32 s5, exec_lo
                                        ; implicit-def: $vgpr30
	v_cmpx_eq_u16_e32 29, v3
	s_cbranch_execz .LBB276_1253
; %bb.1244:
	flat_load_b64 v[10:11], v[8:9]
	s_mov_b32 s8, exec_lo
                                        ; implicit-def: $vgpr30
	s_wait_loadcnt_dscnt 0x0
	v_clz_i32_u32_e32 v5, v11
	s_delay_alu instid0(VALU_DEP_1) | instskip(NEXT) | instid1(VALU_DEP_1)
	v_min_u32_e32 v5, 32, v5
	v_lshlrev_b64_e32 v[10:11], v5, v[10:11]
	v_sub_nc_u32_e32 v5, 32, v5
	s_delay_alu instid0(VALU_DEP_2) | instskip(NEXT) | instid1(VALU_DEP_1)
	v_min_u32_e32 v10, 1, v10
	v_or_b32_e32 v10, v11, v10
	s_delay_alu instid0(VALU_DEP_1) | instskip(NEXT) | instid1(VALU_DEP_1)
	v_cvt_f32_u32_e32 v10, v10
	v_ldexp_f32 v5, v10, v5
	s_wait_xcnt 0x0
	s_delay_alu instid0(VALU_DEP_1)
	v_cmpx_gt_u32_e32 0x43f00000, v5
	s_xor_b32 s8, exec_lo, s8
	s_cbranch_execz .LBB276_1250
; %bb.1245:
	s_mov_b32 s9, exec_lo
                                        ; implicit-def: $vgpr30
	v_cmpx_lt_u32_e32 0x3c7fffff, v5
	s_xor_b32 s9, exec_lo, s9
; %bb.1246:
	v_bfe_u32 v10, v5, 20, 1
	s_delay_alu instid0(VALU_DEP_1) | instskip(NEXT) | instid1(VALU_DEP_1)
	v_add3_u32 v5, v5, v10, 0x407ffff
	v_and_b32_e32 v10, 0xff00000, v5
	v_lshrrev_b32_e32 v5, 20, v5
	s_delay_alu instid0(VALU_DEP_2) | instskip(NEXT) | instid1(VALU_DEP_2)
	v_cmp_ne_u32_e32 vcc_lo, 0x7f00000, v10
	v_cndmask_b32_e32 v30, 0x7e, v5, vcc_lo
                                        ; implicit-def: $vgpr5
; %bb.1247:
	s_and_not1_saveexec_b32 s9, s9
; %bb.1248:
	v_add_f32_e32 v30, 0x46800000, v5
; %bb.1249:
	s_or_b32 exec_lo, exec_lo, s9
                                        ; implicit-def: $vgpr5
.LBB276_1250:
	s_and_not1_saveexec_b32 s8, s8
; %bb.1251:
	v_mov_b32_e32 v10, 0x7f
	v_cmp_lt_u32_e32 vcc_lo, 0x7f800000, v5
	s_delay_alu instid0(VALU_DEP_2)
	v_cndmask_b32_e32 v30, 0x7e, v10, vcc_lo
; %bb.1252:
	s_or_b32 exec_lo, exec_lo, s8
	s_delay_alu instid0(SALU_CYCLE_1)
	s_or_b32 s9, s7, exec_lo
	s_xor_b32 s8, exec_lo, -1
.LBB276_1253:
	s_or_b32 exec_lo, exec_lo, s5
	s_delay_alu instid0(SALU_CYCLE_1)
	s_and_not1_b32 s5, s7, exec_lo
	s_and_b32 s7, s9, exec_lo
	s_and_not1_b32 s6, s6, exec_lo
	s_and_b32 s8, s8, exec_lo
	s_or_b32 s7, s5, s7
	s_or_b32 s6, s6, s8
.LBB276_1254:
	s_or_b32 exec_lo, exec_lo, s4
	s_delay_alu instid0(SALU_CYCLE_1)
	s_and_b32 s5, s7, exec_lo
	s_and_b32 s4, s6, exec_lo
.LBB276_1255:
	s_and_not1_saveexec_b32 s3, s3
	s_cbranch_execz .LBB276_1295
; %bb.1256:
	s_mov_b32 s6, exec_lo
                                        ; implicit-def: $vgpr30
	v_cmpx_lt_i16_e32 26, v3
	s_xor_b32 s6, exec_lo, s6
	s_cbranch_execz .LBB276_1278
; %bb.1257:
	s_mov_b32 s7, exec_lo
                                        ; implicit-def: $vgpr30
	v_cmpx_lt_i16_e32 27, v3
	s_xor_b32 s7, exec_lo, s7
	s_cbranch_execz .LBB276_1267
; %bb.1258:
	flat_load_b32 v5, v[8:9]
	s_mov_b32 s8, exec_lo
                                        ; implicit-def: $vgpr30
	s_wait_loadcnt_dscnt 0x0
	v_cvt_f32_u32_e32 v5, v5
	s_wait_xcnt 0x0
	s_delay_alu instid0(VALU_DEP_1)
	v_cmpx_gt_u32_e32 0x43f00000, v5
	s_xor_b32 s8, exec_lo, s8
	s_cbranch_execz .LBB276_1264
; %bb.1259:
	s_mov_b32 s9, exec_lo
                                        ; implicit-def: $vgpr30
	v_cmpx_lt_u32_e32 0x3c7fffff, v5
	s_xor_b32 s9, exec_lo, s9
; %bb.1260:
	v_bfe_u32 v10, v5, 20, 1
	s_delay_alu instid0(VALU_DEP_1) | instskip(NEXT) | instid1(VALU_DEP_1)
	v_add3_u32 v5, v5, v10, 0x407ffff
	v_and_b32_e32 v10, 0xff00000, v5
	v_lshrrev_b32_e32 v5, 20, v5
	s_delay_alu instid0(VALU_DEP_2) | instskip(NEXT) | instid1(VALU_DEP_2)
	v_cmp_ne_u32_e32 vcc_lo, 0x7f00000, v10
	v_cndmask_b32_e32 v30, 0x7e, v5, vcc_lo
                                        ; implicit-def: $vgpr5
; %bb.1261:
	s_and_not1_saveexec_b32 s9, s9
; %bb.1262:
	v_add_f32_e32 v30, 0x46800000, v5
; %bb.1263:
	s_or_b32 exec_lo, exec_lo, s9
                                        ; implicit-def: $vgpr5
.LBB276_1264:
	s_and_not1_saveexec_b32 s8, s8
; %bb.1265:
	v_mov_b32_e32 v10, 0x7f
	v_cmp_lt_u32_e32 vcc_lo, 0x7f800000, v5
	s_delay_alu instid0(VALU_DEP_2)
	v_cndmask_b32_e32 v30, 0x7e, v10, vcc_lo
; %bb.1266:
	s_or_b32 exec_lo, exec_lo, s8
.LBB276_1267:
	s_and_not1_saveexec_b32 s7, s7
	s_cbranch_execz .LBB276_1277
; %bb.1268:
	flat_load_u16 v5, v[8:9]
	s_mov_b32 s8, exec_lo
                                        ; implicit-def: $vgpr30
	s_wait_loadcnt_dscnt 0x0
	v_cvt_f32_u32_e32 v5, v5
	s_wait_xcnt 0x0
	s_delay_alu instid0(VALU_DEP_1)
	v_cmpx_gt_u32_e32 0x43f00000, v5
	s_xor_b32 s8, exec_lo, s8
	s_cbranch_execz .LBB276_1274
; %bb.1269:
	s_mov_b32 s9, exec_lo
                                        ; implicit-def: $vgpr30
	v_cmpx_lt_u32_e32 0x3c7fffff, v5
	s_xor_b32 s9, exec_lo, s9
; %bb.1270:
	v_bfe_u32 v10, v5, 20, 1
	s_delay_alu instid0(VALU_DEP_1) | instskip(NEXT) | instid1(VALU_DEP_1)
	v_add3_u32 v5, v5, v10, 0x407ffff
	v_and_b32_e32 v10, 0xff00000, v5
	v_lshrrev_b32_e32 v5, 20, v5
	s_delay_alu instid0(VALU_DEP_2) | instskip(NEXT) | instid1(VALU_DEP_2)
	v_cmp_ne_u32_e32 vcc_lo, 0x7f00000, v10
	v_cndmask_b32_e32 v30, 0x7e, v5, vcc_lo
                                        ; implicit-def: $vgpr5
; %bb.1271:
	s_and_not1_saveexec_b32 s9, s9
; %bb.1272:
	v_add_f32_e32 v30, 0x46800000, v5
; %bb.1273:
	s_or_b32 exec_lo, exec_lo, s9
                                        ; implicit-def: $vgpr5
.LBB276_1274:
	s_and_not1_saveexec_b32 s8, s8
; %bb.1275:
	v_mov_b32_e32 v10, 0x7f
	v_cmp_lt_u32_e32 vcc_lo, 0x7f800000, v5
	s_delay_alu instid0(VALU_DEP_2)
	v_cndmask_b32_e32 v30, 0x7e, v10, vcc_lo
; %bb.1276:
	s_or_b32 exec_lo, exec_lo, s8
.LBB276_1277:
	s_delay_alu instid0(SALU_CYCLE_1)
	s_or_b32 exec_lo, exec_lo, s7
.LBB276_1278:
	s_and_not1_saveexec_b32 s6, s6
	s_cbranch_execz .LBB276_1294
; %bb.1279:
	flat_load_u8 v10, v[8:9]
	s_mov_b32 s7, 0
	s_mov_b32 s8, exec_lo
	s_wait_loadcnt_dscnt 0x0
	v_cmpx_lt_i16_e32 0x7f, v10
	s_xor_b32 s8, exec_lo, s8
	s_cbranch_execz .LBB276_2643
; %bb.1280:
	s_mov_b32 s7, -1
	s_mov_b32 s9, exec_lo
	v_cmpx_eq_u16_e32 0x80, v10
; %bb.1281:
	s_xor_b32 s7, exec_lo, -1
; %bb.1282:
	s_or_b32 exec_lo, exec_lo, s9
	s_delay_alu instid0(SALU_CYCLE_1)
	s_and_b32 s7, s7, exec_lo
	s_or_saveexec_b32 s8, s8
	v_mov_b32_e32 v5, 0x7f800001
	s_xor_b32 exec_lo, exec_lo, s8
	s_cbranch_execnz .LBB276_2644
.LBB276_1283:
	s_or_b32 exec_lo, exec_lo, s8
	s_and_saveexec_b32 s8, s7
	s_cbranch_execz .LBB276_1285
.LBB276_1284:
	v_and_b32_e32 v5, 0xffff, v10
	s_delay_alu instid0(VALU_DEP_1) | instskip(SKIP_1) | instid1(VALU_DEP_2)
	v_and_b32_e32 v11, 7, v5
	v_bfe_u32 v14, v5, 3, 4
	v_clz_i32_u32_e32 v12, v11
	s_delay_alu instid0(VALU_DEP_2) | instskip(NEXT) | instid1(VALU_DEP_2)
	v_cmp_eq_u32_e32 vcc_lo, 0, v14
	v_min_u32_e32 v12, 32, v12
	s_delay_alu instid0(VALU_DEP_1) | instskip(NEXT) | instid1(VALU_DEP_1)
	v_subrev_nc_u32_e32 v13, 28, v12
	v_dual_lshlrev_b32 v5, v13, v5 :: v_dual_sub_nc_u32 v12, 29, v12
	s_delay_alu instid0(VALU_DEP_1) | instskip(NEXT) | instid1(VALU_DEP_1)
	v_dual_lshlrev_b32 v10, 24, v10 :: v_dual_bitop2_b32 v5, 7, v5 bitop3:0x40
	v_dual_cndmask_b32 v12, v14, v12 :: v_dual_cndmask_b32 v5, v11, v5
	s_delay_alu instid0(VALU_DEP_2) | instskip(NEXT) | instid1(VALU_DEP_2)
	v_and_b32_e32 v10, 0x80000000, v10
	v_lshl_add_u32 v11, v12, 23, 0x3b800000
	s_delay_alu instid0(VALU_DEP_3) | instskip(NEXT) | instid1(VALU_DEP_1)
	v_lshlrev_b32_e32 v5, 20, v5
	v_or3_b32 v5, v10, v11, v5
.LBB276_1285:
	s_or_b32 exec_lo, exec_lo, s8
	s_delay_alu instid0(VALU_DEP_1) | instskip(SKIP_1) | instid1(VALU_DEP_1)
	v_and_b32_e32 v11, 0x7fffffff, v5
	s_mov_b32 s7, exec_lo
                                        ; implicit-def: $vgpr10
	v_cmpx_gt_u32_e32 0x43f00000, v11
	s_xor_b32 s7, exec_lo, s7
	s_cbranch_execz .LBB276_1291
; %bb.1286:
	s_mov_b32 s8, exec_lo
                                        ; implicit-def: $vgpr10
	v_cmpx_lt_u32_e32 0x3c7fffff, v11
	s_xor_b32 s8, exec_lo, s8
; %bb.1287:
	v_bfe_u32 v10, v5, 20, 1
	s_delay_alu instid0(VALU_DEP_1) | instskip(NEXT) | instid1(VALU_DEP_1)
	v_add3_u32 v10, v5, v10, 0x407ffff
	v_and_b32_e32 v11, 0xff00000, v10
	v_lshrrev_b32_e32 v10, 20, v10
	s_delay_alu instid0(VALU_DEP_2) | instskip(NEXT) | instid1(VALU_DEP_2)
	v_cmp_ne_u32_e32 vcc_lo, 0x7f00000, v11
	v_cndmask_b32_e32 v10, 0x7e, v10, vcc_lo
; %bb.1288:
	s_and_not1_saveexec_b32 s8, s8
; %bb.1289:
	v_add_f32_e64 v10, 0x46800000, |v5|
; %bb.1290:
	s_or_b32 exec_lo, exec_lo, s8
                                        ; implicit-def: $vgpr11
.LBB276_1291:
	s_and_not1_saveexec_b32 s7, s7
; %bb.1292:
	v_mov_b32_e32 v10, 0x7f
	v_cmp_lt_u32_e32 vcc_lo, 0x7f800000, v11
	s_delay_alu instid0(VALU_DEP_2)
	v_cndmask_b32_e32 v10, 0x7e, v10, vcc_lo
; %bb.1293:
	s_or_b32 exec_lo, exec_lo, s7
	v_lshrrev_b32_e32 v5, 24, v5
	s_delay_alu instid0(VALU_DEP_1)
	v_and_or_b32 v30, 0x80, v5, v10
.LBB276_1294:
	s_or_b32 exec_lo, exec_lo, s6
	s_delay_alu instid0(SALU_CYCLE_1)
	s_or_b32 s5, s5, exec_lo
.LBB276_1295:
	s_or_b32 exec_lo, exec_lo, s3
	s_delay_alu instid0(SALU_CYCLE_1)
	s_and_b32 s3, s5, exec_lo
	s_and_b32 s4, s4, exec_lo
	s_and_not1_saveexec_b32 s2, s2
	s_cbranch_execnz .LBB276_2477
.LBB276_1296:
	s_or_b32 exec_lo, exec_lo, s2
	s_mov_b32 s2, s20
	s_and_saveexec_b32 s5, s4
	s_cbranch_execnz .LBB276_2526
.LBB276_1297:
	s_or_b32 exec_lo, exec_lo, s5
	s_and_saveexec_b32 s4, s1
	s_cbranch_execz .LBB276_1307
.LBB276_1298:
	flat_load_u8 v5, v[8:9]
	s_mov_b32 s1, exec_lo
                                        ; implicit-def: $vgpr30
	s_wait_loadcnt_dscnt 0x0
	v_cmp_ne_u16_e32 vcc_lo, 0, v5
	v_cndmask_b32_e64 v5, 0, 1.0, vcc_lo
	s_wait_xcnt 0x0
	s_delay_alu instid0(VALU_DEP_1)
	v_cmpx_gt_u32_e32 0x43f00000, v5
	s_xor_b32 s1, exec_lo, s1
	s_cbranch_execz .LBB276_1304
; %bb.1299:
	s_mov_b32 s5, exec_lo
                                        ; implicit-def: $vgpr30
	v_cmpx_lt_u32_e32 0x3c7fffff, v5
	s_xor_b32 s5, exec_lo, s5
; %bb.1300:
	v_bfe_u32 v8, v5, 20, 1
	s_delay_alu instid0(VALU_DEP_1) | instskip(NEXT) | instid1(VALU_DEP_1)
	v_add3_u32 v5, v5, v8, 0x407ffff
	v_and_b32_e32 v8, 0xff00000, v5
	v_lshrrev_b32_e32 v5, 20, v5
	s_delay_alu instid0(VALU_DEP_2) | instskip(NEXT) | instid1(VALU_DEP_2)
	v_cmp_ne_u32_e32 vcc_lo, 0x7f00000, v8
	v_cndmask_b32_e32 v30, 0x7e, v5, vcc_lo
                                        ; implicit-def: $vgpr5
; %bb.1301:
	s_and_not1_saveexec_b32 s5, s5
; %bb.1302:
	v_add_f32_e32 v30, 0x46800000, v5
; %bb.1303:
	s_or_b32 exec_lo, exec_lo, s5
                                        ; implicit-def: $vgpr5
.LBB276_1304:
	s_and_not1_saveexec_b32 s1, s1
; %bb.1305:
	v_mov_b32_e32 v8, 0x7f
	v_cmp_lt_u32_e32 vcc_lo, 0x7f800000, v5
	s_delay_alu instid0(VALU_DEP_2)
	v_cndmask_b32_e32 v30, 0x7e, v8, vcc_lo
; %bb.1306:
	s_or_b32 exec_lo, exec_lo, s1
	s_delay_alu instid0(SALU_CYCLE_1)
	s_or_b32 s3, s3, exec_lo
.LBB276_1307:
	s_or_b32 exec_lo, exec_lo, s4
	s_delay_alu instid0(SALU_CYCLE_1) | instskip(SKIP_1) | instid1(SALU_CYCLE_1)
	s_and_not1_b32 s1, s20, exec_lo
	s_and_b32 s2, s2, exec_lo
                                        ; implicit-def: $vgpr8_vgpr9
	s_or_b32 s22, s1, s2
	s_and_b32 s1, s3, exec_lo
.LBB276_1308:
	s_and_not1_saveexec_b32 s0, s0
	s_cbranch_execz .LBB276_1438
; %bb.1309:
	s_mov_b32 s2, exec_lo
                                        ; implicit-def: $vgpr30
	v_cmpx_lt_i16_e32 4, v3
	s_xor_b32 s2, exec_lo, s2
	s_cbranch_execz .LBB276_1379
; %bb.1310:
	s_mov_b32 s3, exec_lo
                                        ; implicit-def: $vgpr30
	v_cmpx_lt_i16_e32 7, v3
	s_xor_b32 s3, exec_lo, s3
	;; [unrolled: 6-line block ×4, first 2 shown]
	s_cbranch_execz .LBB276_1322
; %bb.1313:
	flat_load_b64 v[8:9], v[8:9]
	s_mov_b32 s6, exec_lo
	s_wait_loadcnt_dscnt 0x0
	v_cvt_f32_f64_e32 v5, v[8:9]
                                        ; implicit-def: $vgpr8
	s_wait_xcnt 0x0
	s_delay_alu instid0(VALU_DEP_1) | instskip(NEXT) | instid1(VALU_DEP_1)
	v_and_b32_e32 v9, 0x7fffffff, v5
	v_cmpx_gt_u32_e32 0x43f00000, v9
	s_xor_b32 s6, exec_lo, s6
	s_cbranch_execz .LBB276_1319
; %bb.1314:
	s_mov_b32 s7, exec_lo
                                        ; implicit-def: $vgpr8
	v_cmpx_lt_u32_e32 0x3c7fffff, v9
	s_xor_b32 s7, exec_lo, s7
; %bb.1315:
	v_bfe_u32 v8, v5, 20, 1
	s_delay_alu instid0(VALU_DEP_1) | instskip(NEXT) | instid1(VALU_DEP_1)
	v_add3_u32 v8, v5, v8, 0x407ffff
	v_and_b32_e32 v9, 0xff00000, v8
	v_lshrrev_b32_e32 v8, 20, v8
	s_delay_alu instid0(VALU_DEP_2) | instskip(NEXT) | instid1(VALU_DEP_2)
	v_cmp_ne_u32_e32 vcc_lo, 0x7f00000, v9
	v_cndmask_b32_e32 v8, 0x7e, v8, vcc_lo
; %bb.1316:
	s_and_not1_saveexec_b32 s7, s7
; %bb.1317:
	v_add_f32_e64 v8, 0x46800000, |v5|
; %bb.1318:
	s_or_b32 exec_lo, exec_lo, s7
                                        ; implicit-def: $vgpr9
.LBB276_1319:
	s_and_not1_saveexec_b32 s6, s6
; %bb.1320:
	v_mov_b32_e32 v8, 0x7f
	v_cmp_lt_u32_e32 vcc_lo, 0x7f800000, v9
	s_delay_alu instid0(VALU_DEP_2)
	v_cndmask_b32_e32 v8, 0x7e, v8, vcc_lo
; %bb.1321:
	s_or_b32 exec_lo, exec_lo, s6
	v_lshrrev_b32_e32 v5, 24, v5
	s_delay_alu instid0(VALU_DEP_1)
	v_and_or_b32 v30, 0x80, v5, v8
                                        ; implicit-def: $vgpr8_vgpr9
.LBB276_1322:
	s_and_not1_saveexec_b32 s5, s5
	s_cbranch_execz .LBB276_1332
; %bb.1323:
	flat_load_b32 v5, v[8:9]
	s_mov_b32 s6, exec_lo
                                        ; implicit-def: $vgpr8
	s_wait_loadcnt_dscnt 0x0
	v_and_b32_e32 v9, 0x7fffffff, v5
	s_delay_alu instid0(VALU_DEP_1)
	v_cmpx_gt_u32_e32 0x43f00000, v9
	s_xor_b32 s6, exec_lo, s6
	s_cbranch_execz .LBB276_1329
; %bb.1324:
	s_mov_b32 s7, exec_lo
                                        ; implicit-def: $vgpr8
	v_cmpx_lt_u32_e32 0x3c7fffff, v9
	s_xor_b32 s7, exec_lo, s7
; %bb.1325:
	v_bfe_u32 v8, v5, 20, 1
	s_delay_alu instid0(VALU_DEP_1) | instskip(NEXT) | instid1(VALU_DEP_1)
	v_add3_u32 v8, v5, v8, 0x407ffff
	v_and_b32_e32 v9, 0xff00000, v8
	v_lshrrev_b32_e32 v8, 20, v8
	s_delay_alu instid0(VALU_DEP_2) | instskip(NEXT) | instid1(VALU_DEP_2)
	v_cmp_ne_u32_e32 vcc_lo, 0x7f00000, v9
	v_cndmask_b32_e32 v8, 0x7e, v8, vcc_lo
; %bb.1326:
	s_and_not1_saveexec_b32 s7, s7
; %bb.1327:
	v_add_f32_e64 v8, 0x46800000, |v5|
; %bb.1328:
	s_or_b32 exec_lo, exec_lo, s7
                                        ; implicit-def: $vgpr9
.LBB276_1329:
	s_and_not1_saveexec_b32 s6, s6
; %bb.1330:
	v_mov_b32_e32 v8, 0x7f
	v_cmp_lt_u32_e32 vcc_lo, 0x7f800000, v9
	s_delay_alu instid0(VALU_DEP_2)
	v_cndmask_b32_e32 v8, 0x7e, v8, vcc_lo
; %bb.1331:
	s_or_b32 exec_lo, exec_lo, s6
	v_lshrrev_b32_e32 v5, 24, v5
	s_delay_alu instid0(VALU_DEP_1)
	v_and_or_b32 v30, 0x80, v5, v8
.LBB276_1332:
	s_or_b32 exec_lo, exec_lo, s5
                                        ; implicit-def: $vgpr8_vgpr9
.LBB276_1333:
	s_and_not1_saveexec_b32 s4, s4
	s_cbranch_execz .LBB276_1343
; %bb.1334:
	flat_load_b32 v5, v[8:9]
	s_mov_b32 s5, exec_lo
                                        ; implicit-def: $vgpr8
	s_wait_loadcnt_dscnt 0x0
	v_cvt_f32_f16_e32 v5, v5
	s_wait_xcnt 0x0
	s_delay_alu instid0(VALU_DEP_1) | instskip(NEXT) | instid1(VALU_DEP_1)
	v_and_b32_e32 v9, 0x7fffffff, v5
	v_cmpx_gt_u32_e32 0x43f00000, v9
	s_xor_b32 s5, exec_lo, s5
	s_cbranch_execz .LBB276_1340
; %bb.1335:
	s_mov_b32 s6, exec_lo
                                        ; implicit-def: $vgpr8
	v_cmpx_lt_u32_e32 0x3c7fffff, v9
	s_xor_b32 s6, exec_lo, s6
; %bb.1336:
	v_bfe_u32 v8, v5, 20, 1
	s_delay_alu instid0(VALU_DEP_1) | instskip(NEXT) | instid1(VALU_DEP_1)
	v_add3_u32 v8, v5, v8, 0x407ffff
	v_and_b32_e32 v9, 0xff00000, v8
	v_lshrrev_b32_e32 v8, 20, v8
	s_delay_alu instid0(VALU_DEP_2) | instskip(NEXT) | instid1(VALU_DEP_2)
	v_cmp_ne_u32_e32 vcc_lo, 0x7f00000, v9
	v_cndmask_b32_e32 v8, 0x7e, v8, vcc_lo
; %bb.1337:
	s_and_not1_saveexec_b32 s6, s6
; %bb.1338:
	v_add_f32_e64 v8, 0x46800000, |v5|
; %bb.1339:
	s_or_b32 exec_lo, exec_lo, s6
                                        ; implicit-def: $vgpr9
.LBB276_1340:
	s_and_not1_saveexec_b32 s5, s5
; %bb.1341:
	v_mov_b32_e32 v8, 0x7f
	v_cmp_lt_u32_e32 vcc_lo, 0x7f800000, v9
	s_delay_alu instid0(VALU_DEP_2)
	v_cndmask_b32_e32 v8, 0x7e, v8, vcc_lo
; %bb.1342:
	s_or_b32 exec_lo, exec_lo, s5
	v_lshrrev_b32_e32 v5, 24, v5
	s_delay_alu instid0(VALU_DEP_1)
	v_and_or_b32 v30, 0x80, v5, v8
.LBB276_1343:
	s_or_b32 exec_lo, exec_lo, s4
                                        ; implicit-def: $vgpr8_vgpr9
.LBB276_1344:
	s_and_not1_saveexec_b32 s3, s3
	s_cbranch_execz .LBB276_1378
; %bb.1345:
	s_mov_b32 s4, exec_lo
                                        ; implicit-def: $vgpr30
	v_cmpx_lt_i16_e32 5, v3
	s_xor_b32 s4, exec_lo, s4
	s_cbranch_execz .LBB276_1367
; %bb.1346:
	s_mov_b32 s5, exec_lo
                                        ; implicit-def: $vgpr30
	v_cmpx_lt_i16_e32 6, v3
	s_xor_b32 s5, exec_lo, s5
	s_cbranch_execz .LBB276_1356
; %bb.1347:
	flat_load_b64 v[8:9], v[8:9]
	s_mov_b32 s6, exec_lo
	s_wait_loadcnt_dscnt 0x0
	v_cvt_f32_f64_e32 v5, v[8:9]
                                        ; implicit-def: $vgpr8
	s_wait_xcnt 0x0
	s_delay_alu instid0(VALU_DEP_1) | instskip(NEXT) | instid1(VALU_DEP_1)
	v_and_b32_e32 v9, 0x7fffffff, v5
	v_cmpx_gt_u32_e32 0x43f00000, v9
	s_xor_b32 s6, exec_lo, s6
	s_cbranch_execz .LBB276_1353
; %bb.1348:
	s_mov_b32 s7, exec_lo
                                        ; implicit-def: $vgpr8
	v_cmpx_lt_u32_e32 0x3c7fffff, v9
	s_xor_b32 s7, exec_lo, s7
; %bb.1349:
	v_bfe_u32 v8, v5, 20, 1
	s_delay_alu instid0(VALU_DEP_1) | instskip(NEXT) | instid1(VALU_DEP_1)
	v_add3_u32 v8, v5, v8, 0x407ffff
	v_and_b32_e32 v9, 0xff00000, v8
	v_lshrrev_b32_e32 v8, 20, v8
	s_delay_alu instid0(VALU_DEP_2) | instskip(NEXT) | instid1(VALU_DEP_2)
	v_cmp_ne_u32_e32 vcc_lo, 0x7f00000, v9
	v_cndmask_b32_e32 v8, 0x7e, v8, vcc_lo
; %bb.1350:
	s_and_not1_saveexec_b32 s7, s7
; %bb.1351:
	v_add_f32_e64 v8, 0x46800000, |v5|
; %bb.1352:
	s_or_b32 exec_lo, exec_lo, s7
                                        ; implicit-def: $vgpr9
.LBB276_1353:
	s_and_not1_saveexec_b32 s6, s6
; %bb.1354:
	v_mov_b32_e32 v8, 0x7f
	v_cmp_lt_u32_e32 vcc_lo, 0x7f800000, v9
	s_delay_alu instid0(VALU_DEP_2)
	v_cndmask_b32_e32 v8, 0x7e, v8, vcc_lo
; %bb.1355:
	s_or_b32 exec_lo, exec_lo, s6
	v_lshrrev_b32_e32 v5, 24, v5
	s_delay_alu instid0(VALU_DEP_1)
	v_and_or_b32 v30, 0x80, v5, v8
                                        ; implicit-def: $vgpr8_vgpr9
.LBB276_1356:
	s_and_not1_saveexec_b32 s5, s5
	s_cbranch_execz .LBB276_1366
; %bb.1357:
	flat_load_b32 v5, v[8:9]
	s_mov_b32 s6, exec_lo
                                        ; implicit-def: $vgpr8
	s_wait_loadcnt_dscnt 0x0
	v_and_b32_e32 v9, 0x7fffffff, v5
	s_delay_alu instid0(VALU_DEP_1)
	v_cmpx_gt_u32_e32 0x43f00000, v9
	s_xor_b32 s6, exec_lo, s6
	s_cbranch_execz .LBB276_1363
; %bb.1358:
	s_mov_b32 s7, exec_lo
                                        ; implicit-def: $vgpr8
	v_cmpx_lt_u32_e32 0x3c7fffff, v9
	s_xor_b32 s7, exec_lo, s7
; %bb.1359:
	v_bfe_u32 v8, v5, 20, 1
	s_delay_alu instid0(VALU_DEP_1) | instskip(NEXT) | instid1(VALU_DEP_1)
	v_add3_u32 v8, v5, v8, 0x407ffff
	v_and_b32_e32 v9, 0xff00000, v8
	v_lshrrev_b32_e32 v8, 20, v8
	s_delay_alu instid0(VALU_DEP_2) | instskip(NEXT) | instid1(VALU_DEP_2)
	v_cmp_ne_u32_e32 vcc_lo, 0x7f00000, v9
	v_cndmask_b32_e32 v8, 0x7e, v8, vcc_lo
; %bb.1360:
	s_and_not1_saveexec_b32 s7, s7
; %bb.1361:
	v_add_f32_e64 v8, 0x46800000, |v5|
; %bb.1362:
	s_or_b32 exec_lo, exec_lo, s7
                                        ; implicit-def: $vgpr9
.LBB276_1363:
	s_and_not1_saveexec_b32 s6, s6
; %bb.1364:
	v_mov_b32_e32 v8, 0x7f
	v_cmp_lt_u32_e32 vcc_lo, 0x7f800000, v9
	s_delay_alu instid0(VALU_DEP_2)
	v_cndmask_b32_e32 v8, 0x7e, v8, vcc_lo
; %bb.1365:
	s_or_b32 exec_lo, exec_lo, s6
	v_lshrrev_b32_e32 v5, 24, v5
	s_delay_alu instid0(VALU_DEP_1)
	v_and_or_b32 v30, 0x80, v5, v8
.LBB276_1366:
	s_or_b32 exec_lo, exec_lo, s5
                                        ; implicit-def: $vgpr8_vgpr9
.LBB276_1367:
	s_and_not1_saveexec_b32 s4, s4
	s_cbranch_execz .LBB276_1377
; %bb.1368:
	flat_load_u16 v5, v[8:9]
	s_mov_b32 s5, exec_lo
                                        ; implicit-def: $vgpr8
	s_wait_loadcnt_dscnt 0x0
	v_cvt_f32_f16_e32 v5, v5
	s_wait_xcnt 0x0
	s_delay_alu instid0(VALU_DEP_1) | instskip(NEXT) | instid1(VALU_DEP_1)
	v_and_b32_e32 v9, 0x7fffffff, v5
	v_cmpx_gt_u32_e32 0x43f00000, v9
	s_xor_b32 s5, exec_lo, s5
	s_cbranch_execz .LBB276_1374
; %bb.1369:
	s_mov_b32 s6, exec_lo
                                        ; implicit-def: $vgpr8
	v_cmpx_lt_u32_e32 0x3c7fffff, v9
	s_xor_b32 s6, exec_lo, s6
; %bb.1370:
	v_bfe_u32 v8, v5, 20, 1
	s_delay_alu instid0(VALU_DEP_1) | instskip(NEXT) | instid1(VALU_DEP_1)
	v_add3_u32 v8, v5, v8, 0x407ffff
	v_and_b32_e32 v9, 0xff00000, v8
	v_lshrrev_b32_e32 v8, 20, v8
	s_delay_alu instid0(VALU_DEP_2) | instskip(NEXT) | instid1(VALU_DEP_2)
	v_cmp_ne_u32_e32 vcc_lo, 0x7f00000, v9
	v_cndmask_b32_e32 v8, 0x7e, v8, vcc_lo
; %bb.1371:
	s_and_not1_saveexec_b32 s6, s6
; %bb.1372:
	v_add_f32_e64 v8, 0x46800000, |v5|
; %bb.1373:
	s_or_b32 exec_lo, exec_lo, s6
                                        ; implicit-def: $vgpr9
.LBB276_1374:
	s_and_not1_saveexec_b32 s5, s5
; %bb.1375:
	v_mov_b32_e32 v8, 0x7f
	v_cmp_lt_u32_e32 vcc_lo, 0x7f800000, v9
	s_delay_alu instid0(VALU_DEP_2)
	v_cndmask_b32_e32 v8, 0x7e, v8, vcc_lo
; %bb.1376:
	s_or_b32 exec_lo, exec_lo, s5
	v_lshrrev_b32_e32 v5, 24, v5
	s_delay_alu instid0(VALU_DEP_1)
	v_and_or_b32 v30, 0x80, v5, v8
.LBB276_1377:
	s_or_b32 exec_lo, exec_lo, s4
.LBB276_1378:
	s_delay_alu instid0(SALU_CYCLE_1)
	s_or_b32 exec_lo, exec_lo, s3
                                        ; implicit-def: $vgpr8_vgpr9
.LBB276_1379:
	s_and_not1_saveexec_b32 s2, s2
	s_cbranch_execz .LBB276_1437
; %bb.1380:
	s_mov_b32 s3, exec_lo
                                        ; implicit-def: $vgpr30
	v_cmpx_lt_i16_e32 1, v3
	s_xor_b32 s3, exec_lo, s3
	s_cbranch_execz .LBB276_1414
; %bb.1381:
	s_mov_b32 s4, exec_lo
                                        ; implicit-def: $vgpr30
	v_cmpx_lt_i16_e32 2, v3
	s_xor_b32 s4, exec_lo, s4
	;; [unrolled: 6-line block ×3, first 2 shown]
	s_cbranch_execz .LBB276_1392
; %bb.1383:
	flat_load_b64 v[8:9], v[8:9]
	s_mov_b32 s6, exec_lo
	s_wait_loadcnt_dscnt 0x0
	v_xor_b32_e32 v5, v8, v9
	v_cls_i32_e32 v10, v9
	s_delay_alu instid0(VALU_DEP_2) | instskip(NEXT) | instid1(VALU_DEP_1)
	v_ashrrev_i32_e32 v5, 31, v5
	v_add_nc_u32_e32 v5, 32, v5
	s_delay_alu instid0(VALU_DEP_1) | instskip(SKIP_1) | instid1(VALU_DEP_1)
	v_add_min_u32_e64 v5, v10, -1, v5
	s_wait_xcnt 0x0
	v_lshlrev_b64_e32 v[8:9], v5, v[8:9]
	v_sub_nc_u32_e32 v5, 32, v5
	s_delay_alu instid0(VALU_DEP_2) | instskip(NEXT) | instid1(VALU_DEP_1)
	v_min_u32_e32 v8, 1, v8
	v_or_b32_e32 v8, v9, v8
	s_delay_alu instid0(VALU_DEP_1) | instskip(NEXT) | instid1(VALU_DEP_1)
	v_cvt_f32_i32_e32 v8, v8
	v_ldexp_f32 v5, v8, v5
                                        ; implicit-def: $vgpr8
	s_delay_alu instid0(VALU_DEP_1) | instskip(NEXT) | instid1(VALU_DEP_1)
	v_and_b32_e32 v9, 0x7fffffff, v5
	v_cmpx_gt_u32_e32 0x43f00000, v9
	s_xor_b32 s6, exec_lo, s6
	s_cbranch_execz .LBB276_1389
; %bb.1384:
	s_mov_b32 s7, exec_lo
                                        ; implicit-def: $vgpr8
	v_cmpx_lt_u32_e32 0x3c7fffff, v9
	s_xor_b32 s7, exec_lo, s7
; %bb.1385:
	v_bfe_u32 v8, v5, 20, 1
	s_delay_alu instid0(VALU_DEP_1) | instskip(NEXT) | instid1(VALU_DEP_1)
	v_add3_u32 v8, v5, v8, 0x407ffff
	v_and_b32_e32 v9, 0xff00000, v8
	v_lshrrev_b32_e32 v8, 20, v8
	s_delay_alu instid0(VALU_DEP_2) | instskip(NEXT) | instid1(VALU_DEP_2)
	v_cmp_ne_u32_e32 vcc_lo, 0x7f00000, v9
	v_cndmask_b32_e32 v8, 0x7e, v8, vcc_lo
; %bb.1386:
	s_and_not1_saveexec_b32 s7, s7
; %bb.1387:
	v_add_f32_e64 v8, 0x46800000, |v5|
; %bb.1388:
	s_or_b32 exec_lo, exec_lo, s7
                                        ; implicit-def: $vgpr9
.LBB276_1389:
	s_and_not1_saveexec_b32 s6, s6
; %bb.1390:
	v_mov_b32_e32 v8, 0x7f
	v_cmp_lt_u32_e32 vcc_lo, 0x7f800000, v9
	s_delay_alu instid0(VALU_DEP_2)
	v_cndmask_b32_e32 v8, 0x7e, v8, vcc_lo
; %bb.1391:
	s_or_b32 exec_lo, exec_lo, s6
	v_lshrrev_b32_e32 v5, 24, v5
	s_delay_alu instid0(VALU_DEP_1)
	v_and_or_b32 v30, 0x80, v5, v8
                                        ; implicit-def: $vgpr8_vgpr9
.LBB276_1392:
	s_and_not1_saveexec_b32 s5, s5
	s_cbranch_execz .LBB276_1402
; %bb.1393:
	flat_load_b32 v5, v[8:9]
	s_mov_b32 s6, exec_lo
                                        ; implicit-def: $vgpr8
	s_wait_loadcnt_dscnt 0x0
	v_cvt_f32_i32_e32 v5, v5
	s_wait_xcnt 0x0
	s_delay_alu instid0(VALU_DEP_1) | instskip(NEXT) | instid1(VALU_DEP_1)
	v_and_b32_e32 v9, 0x7fffffff, v5
	v_cmpx_gt_u32_e32 0x43f00000, v9
	s_xor_b32 s6, exec_lo, s6
	s_cbranch_execz .LBB276_1399
; %bb.1394:
	s_mov_b32 s7, exec_lo
                                        ; implicit-def: $vgpr8
	v_cmpx_lt_u32_e32 0x3c7fffff, v9
	s_xor_b32 s7, exec_lo, s7
; %bb.1395:
	v_bfe_u32 v8, v5, 20, 1
	s_delay_alu instid0(VALU_DEP_1) | instskip(NEXT) | instid1(VALU_DEP_1)
	v_add3_u32 v8, v5, v8, 0x407ffff
	v_and_b32_e32 v9, 0xff00000, v8
	v_lshrrev_b32_e32 v8, 20, v8
	s_delay_alu instid0(VALU_DEP_2) | instskip(NEXT) | instid1(VALU_DEP_2)
	v_cmp_ne_u32_e32 vcc_lo, 0x7f00000, v9
	v_cndmask_b32_e32 v8, 0x7e, v8, vcc_lo
; %bb.1396:
	s_and_not1_saveexec_b32 s7, s7
; %bb.1397:
	v_add_f32_e64 v8, 0x46800000, |v5|
; %bb.1398:
	s_or_b32 exec_lo, exec_lo, s7
                                        ; implicit-def: $vgpr9
.LBB276_1399:
	s_and_not1_saveexec_b32 s6, s6
; %bb.1400:
	v_mov_b32_e32 v8, 0x7f
	v_cmp_lt_u32_e32 vcc_lo, 0x7f800000, v9
	s_delay_alu instid0(VALU_DEP_2)
	v_cndmask_b32_e32 v8, 0x7e, v8, vcc_lo
; %bb.1401:
	s_or_b32 exec_lo, exec_lo, s6
	v_lshrrev_b32_e32 v5, 24, v5
	s_delay_alu instid0(VALU_DEP_1)
	v_and_or_b32 v30, 0x80, v5, v8
.LBB276_1402:
	s_or_b32 exec_lo, exec_lo, s5
                                        ; implicit-def: $vgpr8_vgpr9
.LBB276_1403:
	s_and_not1_saveexec_b32 s4, s4
	s_cbranch_execz .LBB276_1413
; %bb.1404:
	flat_load_i16 v5, v[8:9]
	s_mov_b32 s5, exec_lo
                                        ; implicit-def: $vgpr8
	s_wait_loadcnt_dscnt 0x0
	v_cvt_f32_i32_e32 v5, v5
	s_wait_xcnt 0x0
	s_delay_alu instid0(VALU_DEP_1) | instskip(NEXT) | instid1(VALU_DEP_1)
	v_and_b32_e32 v9, 0x7fffffff, v5
	v_cmpx_gt_u32_e32 0x43f00000, v9
	s_xor_b32 s5, exec_lo, s5
	s_cbranch_execz .LBB276_1410
; %bb.1405:
	s_mov_b32 s6, exec_lo
                                        ; implicit-def: $vgpr8
	v_cmpx_lt_u32_e32 0x3c7fffff, v9
	s_xor_b32 s6, exec_lo, s6
; %bb.1406:
	v_bfe_u32 v8, v5, 20, 1
	s_delay_alu instid0(VALU_DEP_1) | instskip(NEXT) | instid1(VALU_DEP_1)
	v_add3_u32 v8, v5, v8, 0x407ffff
	v_and_b32_e32 v9, 0xff00000, v8
	v_lshrrev_b32_e32 v8, 20, v8
	s_delay_alu instid0(VALU_DEP_2) | instskip(NEXT) | instid1(VALU_DEP_2)
	v_cmp_ne_u32_e32 vcc_lo, 0x7f00000, v9
	v_cndmask_b32_e32 v8, 0x7e, v8, vcc_lo
; %bb.1407:
	s_and_not1_saveexec_b32 s6, s6
; %bb.1408:
	v_add_f32_e64 v8, 0x46800000, |v5|
; %bb.1409:
	s_or_b32 exec_lo, exec_lo, s6
                                        ; implicit-def: $vgpr9
.LBB276_1410:
	s_and_not1_saveexec_b32 s5, s5
; %bb.1411:
	v_mov_b32_e32 v8, 0x7f
	v_cmp_lt_u32_e32 vcc_lo, 0x7f800000, v9
	s_delay_alu instid0(VALU_DEP_2)
	v_cndmask_b32_e32 v8, 0x7e, v8, vcc_lo
; %bb.1412:
	s_or_b32 exec_lo, exec_lo, s5
	v_lshrrev_b32_e32 v5, 24, v5
	s_delay_alu instid0(VALU_DEP_1)
	v_and_or_b32 v30, 0x80, v5, v8
.LBB276_1413:
	s_or_b32 exec_lo, exec_lo, s4
                                        ; implicit-def: $vgpr8_vgpr9
.LBB276_1414:
	s_and_not1_saveexec_b32 s3, s3
	s_cbranch_execz .LBB276_1436
; %bb.1415:
	s_mov_b32 s4, exec_lo
                                        ; implicit-def: $vgpr30
	v_cmpx_lt_i16_e32 0, v3
	s_xor_b32 s4, exec_lo, s4
	s_cbranch_execz .LBB276_1425
; %bb.1416:
	flat_load_i8 v5, v[8:9]
	s_mov_b32 s5, exec_lo
                                        ; implicit-def: $vgpr8
	s_wait_loadcnt_dscnt 0x0
	v_cvt_f32_i32_e32 v5, v5
	s_wait_xcnt 0x0
	s_delay_alu instid0(VALU_DEP_1) | instskip(NEXT) | instid1(VALU_DEP_1)
	v_and_b32_e32 v9, 0x7fffffff, v5
	v_cmpx_gt_u32_e32 0x43f00000, v9
	s_xor_b32 s5, exec_lo, s5
	s_cbranch_execz .LBB276_1422
; %bb.1417:
	s_mov_b32 s6, exec_lo
                                        ; implicit-def: $vgpr8
	v_cmpx_lt_u32_e32 0x3c7fffff, v9
	s_xor_b32 s6, exec_lo, s6
; %bb.1418:
	v_bfe_u32 v8, v5, 20, 1
	s_delay_alu instid0(VALU_DEP_1) | instskip(NEXT) | instid1(VALU_DEP_1)
	v_add3_u32 v8, v5, v8, 0x407ffff
	v_and_b32_e32 v9, 0xff00000, v8
	v_lshrrev_b32_e32 v8, 20, v8
	s_delay_alu instid0(VALU_DEP_2) | instskip(NEXT) | instid1(VALU_DEP_2)
	v_cmp_ne_u32_e32 vcc_lo, 0x7f00000, v9
	v_cndmask_b32_e32 v8, 0x7e, v8, vcc_lo
; %bb.1419:
	s_and_not1_saveexec_b32 s6, s6
; %bb.1420:
	v_add_f32_e64 v8, 0x46800000, |v5|
; %bb.1421:
	s_or_b32 exec_lo, exec_lo, s6
                                        ; implicit-def: $vgpr9
.LBB276_1422:
	s_and_not1_saveexec_b32 s5, s5
; %bb.1423:
	v_mov_b32_e32 v8, 0x7f
	v_cmp_lt_u32_e32 vcc_lo, 0x7f800000, v9
	s_delay_alu instid0(VALU_DEP_2)
	v_cndmask_b32_e32 v8, 0x7e, v8, vcc_lo
; %bb.1424:
	s_or_b32 exec_lo, exec_lo, s5
	v_lshrrev_b32_e32 v5, 24, v5
	s_delay_alu instid0(VALU_DEP_1)
	v_and_or_b32 v30, 0x80, v5, v8
                                        ; implicit-def: $vgpr8_vgpr9
.LBB276_1425:
	s_and_not1_saveexec_b32 s4, s4
	s_cbranch_execz .LBB276_1435
; %bb.1426:
	flat_load_u8 v5, v[8:9]
	s_mov_b32 s5, exec_lo
                                        ; implicit-def: $vgpr30
	s_wait_loadcnt_dscnt 0x0
	v_cvt_f32_ubyte0_e32 v5, v5
	s_wait_xcnt 0x0
	s_delay_alu instid0(VALU_DEP_1)
	v_cmpx_gt_u32_e32 0x43f00000, v5
	s_xor_b32 s5, exec_lo, s5
	s_cbranch_execz .LBB276_1432
; %bb.1427:
	s_mov_b32 s6, exec_lo
                                        ; implicit-def: $vgpr30
	v_cmpx_lt_u32_e32 0x3c7fffff, v5
	s_xor_b32 s6, exec_lo, s6
; %bb.1428:
	v_bfe_u32 v8, v5, 20, 1
	s_delay_alu instid0(VALU_DEP_1) | instskip(NEXT) | instid1(VALU_DEP_1)
	v_add3_u32 v5, v5, v8, 0x407ffff
	v_and_b32_e32 v8, 0xff00000, v5
	v_lshrrev_b32_e32 v5, 20, v5
	s_delay_alu instid0(VALU_DEP_2) | instskip(NEXT) | instid1(VALU_DEP_2)
	v_cmp_ne_u32_e32 vcc_lo, 0x7f00000, v8
	v_cndmask_b32_e32 v30, 0x7e, v5, vcc_lo
                                        ; implicit-def: $vgpr5
; %bb.1429:
	s_and_not1_saveexec_b32 s6, s6
; %bb.1430:
	v_add_f32_e32 v30, 0x46800000, v5
; %bb.1431:
	s_or_b32 exec_lo, exec_lo, s6
                                        ; implicit-def: $vgpr5
.LBB276_1432:
	s_and_not1_saveexec_b32 s5, s5
; %bb.1433:
	v_mov_b32_e32 v8, 0x7f
	v_cmp_lt_u32_e32 vcc_lo, 0x7f800000, v5
	s_delay_alu instid0(VALU_DEP_2)
	v_cndmask_b32_e32 v30, 0x7e, v8, vcc_lo
; %bb.1434:
	s_or_b32 exec_lo, exec_lo, s5
.LBB276_1435:
	s_delay_alu instid0(SALU_CYCLE_1)
	s_or_b32 exec_lo, exec_lo, s4
.LBB276_1436:
	s_delay_alu instid0(SALU_CYCLE_1)
	s_or_b32 exec_lo, exec_lo, s3
.LBB276_1437:
	s_delay_alu instid0(SALU_CYCLE_1) | instskip(NEXT) | instid1(SALU_CYCLE_1)
	s_or_b32 exec_lo, exec_lo, s2
	s_or_b32 s1, s1, exec_lo
.LBB276_1438:
	s_or_b32 exec_lo, exec_lo, s0
	s_mov_b32 s0, 0
	s_mov_b32 s2, 0
	;; [unrolled: 1-line block ×3, first 2 shown]
                                        ; implicit-def: $sgpr3
                                        ; implicit-def: $vgpr22_vgpr23
                                        ; implicit-def: $vgpr5
	s_and_saveexec_b32 s23, s1
	s_cbranch_execz .LBB276_2188
; %bb.1439:
	v_mov_b32_e32 v5, 0
	s_mov_b32 s1, 0
	s_mov_b32 s24, s22
	s_mov_b32 s0, exec_lo
	s_delay_alu instid0(VALU_DEP_1)
	v_add_nc_u64_e32 v[4:5], v[18:19], v[4:5]
                                        ; implicit-def: $vgpr18
	v_cmpx_lt_i16_e32 10, v1
	s_xor_b32 s0, exec_lo, s0
	s_cbranch_execz .LBB276_1534
; %bb.1440:
	s_mov_b32 s3, 0
	s_mov_b32 s2, exec_lo
                                        ; implicit-def: $vgpr18
	v_cmpx_lt_i16_e32 25, v1
	s_xor_b32 s2, exec_lo, s2
	s_cbranch_execz .LBB276_2529
; %bb.1441:
	s_mov_b32 s5, 0
	s_mov_b32 s3, exec_lo
                                        ; implicit-def: $vgpr18
	v_cmpx_lt_i16_e32 28, v1
	s_xor_b32 s3, exec_lo, s3
	s_cbranch_execz .LBB276_1481
; %bb.1442:
	s_mov_b32 s6, 0
	s_mov_b32 s7, 0
	s_mov_b32 s4, exec_lo
                                        ; implicit-def: $vgpr18
	v_cmpx_lt_i16_e32 43, v1
	s_xor_b32 s4, exec_lo, s4
	s_cbranch_execz .LBB276_1468
; %bb.1443:
	s_mov_b32 s7, exec_lo
                                        ; implicit-def: $vgpr18
	v_cmpx_lt_i16_e32 45, v1
	s_xor_b32 s7, exec_lo, s7
	s_cbranch_execz .LBB276_1455
; %bb.1444:
	s_mov_b32 s8, -1
	s_mov_b32 s5, exec_lo
                                        ; implicit-def: $vgpr18
	v_cmpx_eq_u16_e32 46, v1
	s_cbranch_execz .LBB276_1454
; %bb.1445:
	flat_load_b32 v1, v[4:5]
	s_mov_b32 s6, exec_lo
                                        ; implicit-def: $vgpr8
	s_wait_loadcnt_dscnt 0x0
	v_lshlrev_b32_e32 v1, 16, v1
	s_delay_alu instid0(VALU_DEP_1) | instskip(SKIP_1) | instid1(VALU_DEP_1)
	v_and_b32_e32 v9, 0x7fffffff, v1
	s_wait_xcnt 0x0
	v_cmpx_gt_u32_e32 0x43f00000, v9
	s_xor_b32 s6, exec_lo, s6
	s_cbranch_execz .LBB276_1451
; %bb.1446:
	s_mov_b32 s8, exec_lo
                                        ; implicit-def: $vgpr8
	v_cmpx_lt_u32_e32 0x3c7fffff, v9
	s_xor_b32 s8, exec_lo, s8
; %bb.1447:
	v_bfe_u32 v8, v1, 20, 1
	s_delay_alu instid0(VALU_DEP_1) | instskip(NEXT) | instid1(VALU_DEP_1)
	v_add3_u32 v8, v1, v8, 0x407ffff
	v_and_b32_e32 v9, 0xff00000, v8
	v_lshrrev_b32_e32 v8, 20, v8
	s_delay_alu instid0(VALU_DEP_2) | instskip(NEXT) | instid1(VALU_DEP_2)
	v_cmp_ne_u32_e32 vcc_lo, 0x7f00000, v9
	v_cndmask_b32_e32 v8, 0x7e, v8, vcc_lo
; %bb.1448:
	s_and_not1_saveexec_b32 s8, s8
; %bb.1449:
	v_add_f32_e64 v8, 0x46800000, |v1|
; %bb.1450:
	s_or_b32 exec_lo, exec_lo, s8
                                        ; implicit-def: $vgpr9
.LBB276_1451:
	s_and_not1_saveexec_b32 s6, s6
; %bb.1452:
	v_mov_b32_e32 v8, 0x7f
	v_cmp_lt_u32_e32 vcc_lo, 0x7f800000, v9
	s_delay_alu instid0(VALU_DEP_2)
	v_cndmask_b32_e32 v8, 0x7e, v8, vcc_lo
; %bb.1453:
	s_or_b32 exec_lo, exec_lo, s6
	v_lshrrev_b32_e32 v1, 24, v1
	s_mov_b32 s6, exec_lo
	s_xor_b32 s8, exec_lo, -1
	s_delay_alu instid0(VALU_DEP_1)
	v_and_or_b32 v18, 0x80, v1, v8
.LBB276_1454:
	s_or_b32 exec_lo, exec_lo, s5
	s_delay_alu instid0(SALU_CYCLE_1)
	s_and_b32 s6, s6, exec_lo
	s_and_b32 s5, s8, exec_lo
                                        ; implicit-def: $vgpr1
.LBB276_1455:
	s_and_not1_saveexec_b32 s7, s7
	s_cbranch_execz .LBB276_1467
; %bb.1456:
	s_mov_b32 s9, -1
	s_mov_b32 s10, s6
	s_mov_b32 s8, exec_lo
                                        ; implicit-def: $vgpr18
	v_cmpx_eq_u16_e32 44, v1
	s_cbranch_execz .LBB276_1466
; %bb.1457:
	flat_load_u8 v1, v[4:5]
	s_mov_b32 s9, exec_lo
                                        ; implicit-def: $vgpr18
	s_wait_loadcnt_dscnt 0x0
	v_lshlrev_b32_e32 v8, 23, v1
	v_cmp_ne_u32_e32 vcc_lo, 0xff, v1
	s_delay_alu instid0(VALU_DEP_2) | instskip(SKIP_1) | instid1(VALU_DEP_2)
	v_cndmask_b32_e32 v8, 0x7f800001, v8, vcc_lo
	v_cmp_ne_u32_e32 vcc_lo, 0, v1
	v_cndmask_b32_e32 v1, 0x400000, v8, vcc_lo
	s_wait_xcnt 0x0
	s_delay_alu instid0(VALU_DEP_1)
	v_cmpx_gt_u32_e32 0x43f00000, v1
	s_xor_b32 s9, exec_lo, s9
	s_cbranch_execz .LBB276_1463
; %bb.1458:
	s_mov_b32 s10, exec_lo
                                        ; implicit-def: $vgpr18
	v_cmpx_lt_u32_e32 0x3c7fffff, v1
	s_xor_b32 s10, exec_lo, s10
; %bb.1459:
	v_bfe_u32 v8, v1, 20, 1
	s_delay_alu instid0(VALU_DEP_1) | instskip(NEXT) | instid1(VALU_DEP_1)
	v_add3_u32 v1, v1, v8, 0x407ffff
	v_and_b32_e32 v8, 0xff00000, v1
	v_lshrrev_b32_e32 v1, 20, v1
	s_delay_alu instid0(VALU_DEP_2) | instskip(NEXT) | instid1(VALU_DEP_2)
	v_cmp_ne_u32_e32 vcc_lo, 0x7f00000, v8
	v_cndmask_b32_e32 v18, 0x7e, v1, vcc_lo
                                        ; implicit-def: $vgpr1
; %bb.1460:
	s_and_not1_saveexec_b32 s10, s10
; %bb.1461:
	v_add_f32_e32 v18, 0x46800000, v1
; %bb.1462:
	s_or_b32 exec_lo, exec_lo, s10
                                        ; implicit-def: $vgpr1
.LBB276_1463:
	s_and_not1_saveexec_b32 s9, s9
; %bb.1464:
	v_mov_b32_e32 v8, 0x7f
	v_cmp_lt_u32_e32 vcc_lo, 0x7f800000, v1
	s_delay_alu instid0(VALU_DEP_2)
	v_cndmask_b32_e32 v18, 0x7e, v8, vcc_lo
; %bb.1465:
	s_or_b32 exec_lo, exec_lo, s9
	s_delay_alu instid0(SALU_CYCLE_1)
	s_or_b32 s10, s6, exec_lo
	s_xor_b32 s9, exec_lo, -1
.LBB276_1466:
	s_or_b32 exec_lo, exec_lo, s8
	s_delay_alu instid0(SALU_CYCLE_1)
	s_and_not1_b32 s6, s6, exec_lo
	s_and_b32 s8, s10, exec_lo
	s_and_not1_b32 s5, s5, exec_lo
	s_and_b32 s9, s9, exec_lo
	s_or_b32 s6, s6, s8
	s_or_b32 s5, s5, s9
.LBB276_1467:
	s_or_b32 exec_lo, exec_lo, s7
	s_delay_alu instid0(SALU_CYCLE_1)
	s_and_b32 s7, s6, exec_lo
	s_and_b32 s6, s5, exec_lo
                                        ; implicit-def: $vgpr1
.LBB276_1468:
	s_and_not1_saveexec_b32 s4, s4
	s_cbranch_execz .LBB276_1480
; %bb.1469:
	s_mov_b32 s8, -1
	s_mov_b32 s9, s7
	s_mov_b32 s5, exec_lo
                                        ; implicit-def: $vgpr18
	v_cmpx_eq_u16_e32 29, v1
	s_cbranch_execz .LBB276_1479
; %bb.1470:
	flat_load_b64 v[8:9], v[4:5]
	s_mov_b32 s8, exec_lo
                                        ; implicit-def: $vgpr18
	s_wait_loadcnt_dscnt 0x0
	v_clz_i32_u32_e32 v1, v9
	s_delay_alu instid0(VALU_DEP_1) | instskip(NEXT) | instid1(VALU_DEP_1)
	v_min_u32_e32 v1, 32, v1
	v_lshlrev_b64_e32 v[8:9], v1, v[8:9]
	v_sub_nc_u32_e32 v1, 32, v1
	s_delay_alu instid0(VALU_DEP_2) | instskip(NEXT) | instid1(VALU_DEP_1)
	v_min_u32_e32 v8, 1, v8
	v_or_b32_e32 v8, v9, v8
	s_delay_alu instid0(VALU_DEP_1) | instskip(NEXT) | instid1(VALU_DEP_1)
	v_cvt_f32_u32_e32 v8, v8
	v_ldexp_f32 v1, v8, v1
	s_wait_xcnt 0x0
	s_delay_alu instid0(VALU_DEP_1)
	v_cmpx_gt_u32_e32 0x43f00000, v1
	s_xor_b32 s8, exec_lo, s8
	s_cbranch_execz .LBB276_1476
; %bb.1471:
	s_mov_b32 s9, exec_lo
                                        ; implicit-def: $vgpr18
	v_cmpx_lt_u32_e32 0x3c7fffff, v1
	s_xor_b32 s9, exec_lo, s9
; %bb.1472:
	v_bfe_u32 v8, v1, 20, 1
	s_delay_alu instid0(VALU_DEP_1) | instskip(NEXT) | instid1(VALU_DEP_1)
	v_add3_u32 v1, v1, v8, 0x407ffff
	v_and_b32_e32 v8, 0xff00000, v1
	v_lshrrev_b32_e32 v1, 20, v1
	s_delay_alu instid0(VALU_DEP_2) | instskip(NEXT) | instid1(VALU_DEP_2)
	v_cmp_ne_u32_e32 vcc_lo, 0x7f00000, v8
	v_cndmask_b32_e32 v18, 0x7e, v1, vcc_lo
                                        ; implicit-def: $vgpr1
; %bb.1473:
	s_and_not1_saveexec_b32 s9, s9
; %bb.1474:
	v_add_f32_e32 v18, 0x46800000, v1
; %bb.1475:
	s_or_b32 exec_lo, exec_lo, s9
                                        ; implicit-def: $vgpr1
.LBB276_1476:
	s_and_not1_saveexec_b32 s8, s8
; %bb.1477:
	v_mov_b32_e32 v8, 0x7f
	v_cmp_lt_u32_e32 vcc_lo, 0x7f800000, v1
	s_delay_alu instid0(VALU_DEP_2)
	v_cndmask_b32_e32 v18, 0x7e, v8, vcc_lo
; %bb.1478:
	s_or_b32 exec_lo, exec_lo, s8
	s_delay_alu instid0(SALU_CYCLE_1)
	s_or_b32 s9, s7, exec_lo
	s_xor_b32 s8, exec_lo, -1
.LBB276_1479:
	s_or_b32 exec_lo, exec_lo, s5
	s_delay_alu instid0(SALU_CYCLE_1)
	s_and_not1_b32 s5, s7, exec_lo
	s_and_b32 s7, s9, exec_lo
	s_and_not1_b32 s6, s6, exec_lo
	s_and_b32 s8, s8, exec_lo
	s_or_b32 s7, s5, s7
	s_or_b32 s6, s6, s8
.LBB276_1480:
	s_or_b32 exec_lo, exec_lo, s4
	s_delay_alu instid0(SALU_CYCLE_1)
	s_and_b32 s5, s7, exec_lo
	s_and_b32 s4, s6, exec_lo
                                        ; implicit-def: $vgpr1
.LBB276_1481:
	s_and_not1_saveexec_b32 s3, s3
	s_cbranch_execz .LBB276_1521
; %bb.1482:
	s_mov_b32 s6, exec_lo
                                        ; implicit-def: $vgpr18
	v_cmpx_lt_i16_e32 26, v1
	s_xor_b32 s6, exec_lo, s6
	s_cbranch_execz .LBB276_1504
; %bb.1483:
	s_mov_b32 s7, exec_lo
                                        ; implicit-def: $vgpr18
	v_cmpx_lt_i16_e32 27, v1
	s_xor_b32 s7, exec_lo, s7
	s_cbranch_execz .LBB276_1493
; %bb.1484:
	flat_load_b32 v1, v[4:5]
	s_mov_b32 s8, exec_lo
                                        ; implicit-def: $vgpr18
	s_wait_loadcnt_dscnt 0x0
	v_cvt_f32_u32_e32 v1, v1
	s_wait_xcnt 0x0
	s_delay_alu instid0(VALU_DEP_1)
	v_cmpx_gt_u32_e32 0x43f00000, v1
	s_xor_b32 s8, exec_lo, s8
	s_cbranch_execz .LBB276_1490
; %bb.1485:
	s_mov_b32 s9, exec_lo
                                        ; implicit-def: $vgpr18
	v_cmpx_lt_u32_e32 0x3c7fffff, v1
	s_xor_b32 s9, exec_lo, s9
; %bb.1486:
	v_bfe_u32 v8, v1, 20, 1
	s_delay_alu instid0(VALU_DEP_1) | instskip(NEXT) | instid1(VALU_DEP_1)
	v_add3_u32 v1, v1, v8, 0x407ffff
	v_and_b32_e32 v8, 0xff00000, v1
	v_lshrrev_b32_e32 v1, 20, v1
	s_delay_alu instid0(VALU_DEP_2) | instskip(NEXT) | instid1(VALU_DEP_2)
	v_cmp_ne_u32_e32 vcc_lo, 0x7f00000, v8
	v_cndmask_b32_e32 v18, 0x7e, v1, vcc_lo
                                        ; implicit-def: $vgpr1
; %bb.1487:
	s_and_not1_saveexec_b32 s9, s9
; %bb.1488:
	v_add_f32_e32 v18, 0x46800000, v1
; %bb.1489:
	s_or_b32 exec_lo, exec_lo, s9
                                        ; implicit-def: $vgpr1
.LBB276_1490:
	s_and_not1_saveexec_b32 s8, s8
; %bb.1491:
	v_mov_b32_e32 v8, 0x7f
	v_cmp_lt_u32_e32 vcc_lo, 0x7f800000, v1
	s_delay_alu instid0(VALU_DEP_2)
	v_cndmask_b32_e32 v18, 0x7e, v8, vcc_lo
; %bb.1492:
	s_or_b32 exec_lo, exec_lo, s8
.LBB276_1493:
	s_and_not1_saveexec_b32 s7, s7
	s_cbranch_execz .LBB276_1503
; %bb.1494:
	flat_load_u16 v1, v[4:5]
	s_mov_b32 s8, exec_lo
                                        ; implicit-def: $vgpr18
	s_wait_loadcnt_dscnt 0x0
	v_cvt_f32_u32_e32 v1, v1
	s_wait_xcnt 0x0
	s_delay_alu instid0(VALU_DEP_1)
	v_cmpx_gt_u32_e32 0x43f00000, v1
	s_xor_b32 s8, exec_lo, s8
	s_cbranch_execz .LBB276_1500
; %bb.1495:
	s_mov_b32 s9, exec_lo
                                        ; implicit-def: $vgpr18
	v_cmpx_lt_u32_e32 0x3c7fffff, v1
	s_xor_b32 s9, exec_lo, s9
; %bb.1496:
	v_bfe_u32 v8, v1, 20, 1
	s_delay_alu instid0(VALU_DEP_1) | instskip(NEXT) | instid1(VALU_DEP_1)
	v_add3_u32 v1, v1, v8, 0x407ffff
	v_and_b32_e32 v8, 0xff00000, v1
	v_lshrrev_b32_e32 v1, 20, v1
	s_delay_alu instid0(VALU_DEP_2) | instskip(NEXT) | instid1(VALU_DEP_2)
	v_cmp_ne_u32_e32 vcc_lo, 0x7f00000, v8
	v_cndmask_b32_e32 v18, 0x7e, v1, vcc_lo
                                        ; implicit-def: $vgpr1
; %bb.1497:
	s_and_not1_saveexec_b32 s9, s9
; %bb.1498:
	v_add_f32_e32 v18, 0x46800000, v1
; %bb.1499:
	s_or_b32 exec_lo, exec_lo, s9
                                        ; implicit-def: $vgpr1
.LBB276_1500:
	s_and_not1_saveexec_b32 s8, s8
; %bb.1501:
	v_mov_b32_e32 v8, 0x7f
	v_cmp_lt_u32_e32 vcc_lo, 0x7f800000, v1
	s_delay_alu instid0(VALU_DEP_2)
	v_cndmask_b32_e32 v18, 0x7e, v8, vcc_lo
; %bb.1502:
	s_or_b32 exec_lo, exec_lo, s8
.LBB276_1503:
	s_delay_alu instid0(SALU_CYCLE_1)
	s_or_b32 exec_lo, exec_lo, s7
.LBB276_1504:
	s_and_not1_saveexec_b32 s6, s6
	s_cbranch_execz .LBB276_1520
; %bb.1505:
	flat_load_u8 v8, v[4:5]
	s_mov_b32 s7, 0
	s_mov_b32 s8, exec_lo
	s_wait_loadcnt_dscnt 0x0
	v_cmpx_lt_i16_e32 0x7f, v8
	s_xor_b32 s8, exec_lo, s8
	s_cbranch_execz .LBB276_2694
; %bb.1506:
	s_mov_b32 s7, -1
	s_mov_b32 s9, exec_lo
	v_cmpx_eq_u16_e32 0x80, v8
; %bb.1507:
	s_xor_b32 s7, exec_lo, -1
; %bb.1508:
	s_or_b32 exec_lo, exec_lo, s9
	s_delay_alu instid0(SALU_CYCLE_1)
	s_and_b32 s7, s7, exec_lo
	s_or_saveexec_b32 s8, s8
	v_mov_b32_e32 v1, 0x7f800001
	s_xor_b32 exec_lo, exec_lo, s8
	s_cbranch_execnz .LBB276_2695
.LBB276_1509:
	s_or_b32 exec_lo, exec_lo, s8
	s_and_saveexec_b32 s8, s7
	s_cbranch_execz .LBB276_1511
.LBB276_1510:
	v_and_b32_e32 v1, 0xffff, v8
	s_delay_alu instid0(VALU_DEP_1) | instskip(SKIP_1) | instid1(VALU_DEP_2)
	v_and_b32_e32 v9, 7, v1
	v_bfe_u32 v12, v1, 3, 4
	v_clz_i32_u32_e32 v10, v9
	s_delay_alu instid0(VALU_DEP_2) | instskip(NEXT) | instid1(VALU_DEP_2)
	v_cmp_eq_u32_e32 vcc_lo, 0, v12
	v_min_u32_e32 v10, 32, v10
	s_delay_alu instid0(VALU_DEP_1) | instskip(NEXT) | instid1(VALU_DEP_1)
	v_subrev_nc_u32_e32 v11, 28, v10
	v_dual_lshlrev_b32 v1, v11, v1 :: v_dual_sub_nc_u32 v10, 29, v10
	s_delay_alu instid0(VALU_DEP_1) | instskip(NEXT) | instid1(VALU_DEP_1)
	v_dual_lshlrev_b32 v8, 24, v8 :: v_dual_bitop2_b32 v1, 7, v1 bitop3:0x40
	v_dual_cndmask_b32 v10, v12, v10 :: v_dual_cndmask_b32 v1, v9, v1
	s_delay_alu instid0(VALU_DEP_2) | instskip(NEXT) | instid1(VALU_DEP_2)
	v_and_b32_e32 v8, 0x80000000, v8
	v_lshl_add_u32 v9, v10, 23, 0x3b800000
	s_delay_alu instid0(VALU_DEP_3) | instskip(NEXT) | instid1(VALU_DEP_1)
	v_lshlrev_b32_e32 v1, 20, v1
	v_or3_b32 v1, v8, v9, v1
.LBB276_1511:
	s_or_b32 exec_lo, exec_lo, s8
	s_delay_alu instid0(VALU_DEP_1) | instskip(SKIP_1) | instid1(VALU_DEP_1)
	v_and_b32_e32 v9, 0x7fffffff, v1
	s_mov_b32 s7, exec_lo
                                        ; implicit-def: $vgpr8
	v_cmpx_gt_u32_e32 0x43f00000, v9
	s_xor_b32 s7, exec_lo, s7
	s_cbranch_execz .LBB276_1517
; %bb.1512:
	s_mov_b32 s8, exec_lo
                                        ; implicit-def: $vgpr8
	v_cmpx_lt_u32_e32 0x3c7fffff, v9
	s_xor_b32 s8, exec_lo, s8
; %bb.1513:
	v_bfe_u32 v8, v1, 20, 1
	s_delay_alu instid0(VALU_DEP_1) | instskip(NEXT) | instid1(VALU_DEP_1)
	v_add3_u32 v8, v1, v8, 0x407ffff
	v_and_b32_e32 v9, 0xff00000, v8
	v_lshrrev_b32_e32 v8, 20, v8
	s_delay_alu instid0(VALU_DEP_2) | instskip(NEXT) | instid1(VALU_DEP_2)
	v_cmp_ne_u32_e32 vcc_lo, 0x7f00000, v9
	v_cndmask_b32_e32 v8, 0x7e, v8, vcc_lo
; %bb.1514:
	s_and_not1_saveexec_b32 s8, s8
; %bb.1515:
	v_add_f32_e64 v8, 0x46800000, |v1|
; %bb.1516:
	s_or_b32 exec_lo, exec_lo, s8
                                        ; implicit-def: $vgpr9
.LBB276_1517:
	s_and_not1_saveexec_b32 s7, s7
; %bb.1518:
	v_mov_b32_e32 v8, 0x7f
	v_cmp_lt_u32_e32 vcc_lo, 0x7f800000, v9
	s_delay_alu instid0(VALU_DEP_2)
	v_cndmask_b32_e32 v8, 0x7e, v8, vcc_lo
; %bb.1519:
	s_or_b32 exec_lo, exec_lo, s7
	v_lshrrev_b32_e32 v1, 24, v1
	s_delay_alu instid0(VALU_DEP_1)
	v_and_or_b32 v18, 0x80, v1, v8
.LBB276_1520:
	s_or_b32 exec_lo, exec_lo, s6
	s_delay_alu instid0(SALU_CYCLE_1)
	s_or_b32 s5, s5, exec_lo
.LBB276_1521:
	s_or_b32 exec_lo, exec_lo, s3
	s_delay_alu instid0(SALU_CYCLE_1)
	s_and_b32 s3, s5, exec_lo
	s_and_b32 s4, s4, exec_lo
                                        ; implicit-def: $vgpr1
	s_and_not1_saveexec_b32 s2, s2
	s_cbranch_execnz .LBB276_2530
.LBB276_1522:
	s_or_b32 exec_lo, exec_lo, s2
	s_mov_b32 s2, s22
	s_and_saveexec_b32 s5, s4
	s_cbranch_execnz .LBB276_2579
.LBB276_1523:
	s_or_b32 exec_lo, exec_lo, s5
	s_and_saveexec_b32 s4, s1
	s_cbranch_execz .LBB276_1533
.LBB276_1524:
	flat_load_u8 v1, v[4:5]
	s_mov_b32 s1, exec_lo
                                        ; implicit-def: $vgpr18
	s_wait_loadcnt_dscnt 0x0
	v_cmp_ne_u16_e32 vcc_lo, 0, v1
	v_cndmask_b32_e64 v1, 0, 1.0, vcc_lo
	s_wait_xcnt 0x0
	s_delay_alu instid0(VALU_DEP_1)
	v_cmpx_gt_u32_e32 0x43f00000, v1
	s_xor_b32 s1, exec_lo, s1
	s_cbranch_execz .LBB276_1530
; %bb.1525:
	s_mov_b32 s5, exec_lo
                                        ; implicit-def: $vgpr18
	v_cmpx_lt_u32_e32 0x3c7fffff, v1
	s_xor_b32 s5, exec_lo, s5
; %bb.1526:
	v_bfe_u32 v4, v1, 20, 1
	s_delay_alu instid0(VALU_DEP_1) | instskip(NEXT) | instid1(VALU_DEP_1)
	v_add3_u32 v1, v1, v4, 0x407ffff
	v_and_b32_e32 v4, 0xff00000, v1
	v_lshrrev_b32_e32 v1, 20, v1
	s_delay_alu instid0(VALU_DEP_2) | instskip(NEXT) | instid1(VALU_DEP_2)
	v_cmp_ne_u32_e32 vcc_lo, 0x7f00000, v4
	v_cndmask_b32_e32 v18, 0x7e, v1, vcc_lo
                                        ; implicit-def: $vgpr1
; %bb.1527:
	s_and_not1_saveexec_b32 s5, s5
; %bb.1528:
	v_add_f32_e32 v18, 0x46800000, v1
; %bb.1529:
	s_or_b32 exec_lo, exec_lo, s5
                                        ; implicit-def: $vgpr1
.LBB276_1530:
	s_and_not1_saveexec_b32 s1, s1
; %bb.1531:
	v_mov_b32_e32 v4, 0x7f
	v_cmp_lt_u32_e32 vcc_lo, 0x7f800000, v1
	s_delay_alu instid0(VALU_DEP_2)
	v_cndmask_b32_e32 v18, 0x7e, v4, vcc_lo
; %bb.1532:
	s_or_b32 exec_lo, exec_lo, s1
	s_delay_alu instid0(SALU_CYCLE_1)
	s_or_b32 s3, s3, exec_lo
.LBB276_1533:
	s_or_b32 exec_lo, exec_lo, s4
	s_delay_alu instid0(SALU_CYCLE_1) | instskip(SKIP_1) | instid1(SALU_CYCLE_1)
	s_and_not1_b32 s1, s22, exec_lo
	s_and_b32 s2, s2, exec_lo
                                        ; implicit-def: $vgpr1
                                        ; implicit-def: $vgpr4_vgpr5
	s_or_b32 s24, s1, s2
	s_and_b32 s1, s3, exec_lo
.LBB276_1534:
	s_and_not1_saveexec_b32 s0, s0
	s_cbranch_execz .LBB276_1664
; %bb.1535:
	s_mov_b32 s2, exec_lo
                                        ; implicit-def: $vgpr18
	v_cmpx_lt_i16_e32 4, v1
	s_xor_b32 s2, exec_lo, s2
	s_cbranch_execz .LBB276_1605
; %bb.1536:
	s_mov_b32 s3, exec_lo
                                        ; implicit-def: $vgpr18
	v_cmpx_lt_i16_e32 7, v1
	s_xor_b32 s3, exec_lo, s3
	;; [unrolled: 6-line block ×4, first 2 shown]
	s_cbranch_execz .LBB276_1548
; %bb.1539:
	flat_load_b64 v[4:5], v[4:5]
	s_mov_b32 s6, exec_lo
	s_wait_loadcnt_dscnt 0x0
	v_cvt_f32_f64_e32 v1, v[4:5]
                                        ; implicit-def: $vgpr4
	s_wait_xcnt 0x0
	s_delay_alu instid0(VALU_DEP_1) | instskip(NEXT) | instid1(VALU_DEP_1)
	v_and_b32_e32 v5, 0x7fffffff, v1
	v_cmpx_gt_u32_e32 0x43f00000, v5
	s_xor_b32 s6, exec_lo, s6
	s_cbranch_execz .LBB276_1545
; %bb.1540:
	s_mov_b32 s7, exec_lo
                                        ; implicit-def: $vgpr4
	v_cmpx_lt_u32_e32 0x3c7fffff, v5
	s_xor_b32 s7, exec_lo, s7
; %bb.1541:
	v_bfe_u32 v4, v1, 20, 1
	s_delay_alu instid0(VALU_DEP_1) | instskip(NEXT) | instid1(VALU_DEP_1)
	v_add3_u32 v4, v1, v4, 0x407ffff
	v_and_b32_e32 v5, 0xff00000, v4
	v_lshrrev_b32_e32 v4, 20, v4
	s_delay_alu instid0(VALU_DEP_2) | instskip(NEXT) | instid1(VALU_DEP_2)
	v_cmp_ne_u32_e32 vcc_lo, 0x7f00000, v5
	v_cndmask_b32_e32 v4, 0x7e, v4, vcc_lo
; %bb.1542:
	s_and_not1_saveexec_b32 s7, s7
; %bb.1543:
	v_add_f32_e64 v4, 0x46800000, |v1|
; %bb.1544:
	s_or_b32 exec_lo, exec_lo, s7
                                        ; implicit-def: $vgpr5
.LBB276_1545:
	s_and_not1_saveexec_b32 s6, s6
; %bb.1546:
	v_mov_b32_e32 v4, 0x7f
	v_cmp_lt_u32_e32 vcc_lo, 0x7f800000, v5
	s_delay_alu instid0(VALU_DEP_2)
	v_cndmask_b32_e32 v4, 0x7e, v4, vcc_lo
; %bb.1547:
	s_or_b32 exec_lo, exec_lo, s6
	v_lshrrev_b32_e32 v1, 24, v1
	s_delay_alu instid0(VALU_DEP_1)
	v_and_or_b32 v18, 0x80, v1, v4
                                        ; implicit-def: $vgpr4_vgpr5
.LBB276_1548:
	s_and_not1_saveexec_b32 s5, s5
	s_cbranch_execz .LBB276_1558
; %bb.1549:
	flat_load_b32 v1, v[4:5]
	s_mov_b32 s6, exec_lo
                                        ; implicit-def: $vgpr4
	s_wait_loadcnt_dscnt 0x0
	v_and_b32_e32 v5, 0x7fffffff, v1
	s_delay_alu instid0(VALU_DEP_1)
	v_cmpx_gt_u32_e32 0x43f00000, v5
	s_xor_b32 s6, exec_lo, s6
	s_cbranch_execz .LBB276_1555
; %bb.1550:
	s_mov_b32 s7, exec_lo
                                        ; implicit-def: $vgpr4
	v_cmpx_lt_u32_e32 0x3c7fffff, v5
	s_xor_b32 s7, exec_lo, s7
; %bb.1551:
	v_bfe_u32 v4, v1, 20, 1
	s_delay_alu instid0(VALU_DEP_1) | instskip(NEXT) | instid1(VALU_DEP_1)
	v_add3_u32 v4, v1, v4, 0x407ffff
	v_and_b32_e32 v5, 0xff00000, v4
	v_lshrrev_b32_e32 v4, 20, v4
	s_delay_alu instid0(VALU_DEP_2) | instskip(NEXT) | instid1(VALU_DEP_2)
	v_cmp_ne_u32_e32 vcc_lo, 0x7f00000, v5
	v_cndmask_b32_e32 v4, 0x7e, v4, vcc_lo
; %bb.1552:
	s_and_not1_saveexec_b32 s7, s7
; %bb.1553:
	v_add_f32_e64 v4, 0x46800000, |v1|
; %bb.1554:
	s_or_b32 exec_lo, exec_lo, s7
                                        ; implicit-def: $vgpr5
.LBB276_1555:
	s_and_not1_saveexec_b32 s6, s6
; %bb.1556:
	v_mov_b32_e32 v4, 0x7f
	v_cmp_lt_u32_e32 vcc_lo, 0x7f800000, v5
	s_delay_alu instid0(VALU_DEP_2)
	v_cndmask_b32_e32 v4, 0x7e, v4, vcc_lo
; %bb.1557:
	s_or_b32 exec_lo, exec_lo, s6
	v_lshrrev_b32_e32 v1, 24, v1
	s_delay_alu instid0(VALU_DEP_1)
	v_and_or_b32 v18, 0x80, v1, v4
.LBB276_1558:
	s_or_b32 exec_lo, exec_lo, s5
                                        ; implicit-def: $vgpr4_vgpr5
.LBB276_1559:
	s_and_not1_saveexec_b32 s4, s4
	s_cbranch_execz .LBB276_1569
; %bb.1560:
	flat_load_b32 v1, v[4:5]
	s_mov_b32 s5, exec_lo
                                        ; implicit-def: $vgpr4
	s_wait_loadcnt_dscnt 0x0
	v_cvt_f32_f16_e32 v1, v1
	s_wait_xcnt 0x0
	s_delay_alu instid0(VALU_DEP_1) | instskip(NEXT) | instid1(VALU_DEP_1)
	v_and_b32_e32 v5, 0x7fffffff, v1
	v_cmpx_gt_u32_e32 0x43f00000, v5
	s_xor_b32 s5, exec_lo, s5
	s_cbranch_execz .LBB276_1566
; %bb.1561:
	s_mov_b32 s6, exec_lo
                                        ; implicit-def: $vgpr4
	v_cmpx_lt_u32_e32 0x3c7fffff, v5
	s_xor_b32 s6, exec_lo, s6
; %bb.1562:
	v_bfe_u32 v4, v1, 20, 1
	s_delay_alu instid0(VALU_DEP_1) | instskip(NEXT) | instid1(VALU_DEP_1)
	v_add3_u32 v4, v1, v4, 0x407ffff
	v_and_b32_e32 v5, 0xff00000, v4
	v_lshrrev_b32_e32 v4, 20, v4
	s_delay_alu instid0(VALU_DEP_2) | instskip(NEXT) | instid1(VALU_DEP_2)
	v_cmp_ne_u32_e32 vcc_lo, 0x7f00000, v5
	v_cndmask_b32_e32 v4, 0x7e, v4, vcc_lo
; %bb.1563:
	s_and_not1_saveexec_b32 s6, s6
; %bb.1564:
	v_add_f32_e64 v4, 0x46800000, |v1|
; %bb.1565:
	s_or_b32 exec_lo, exec_lo, s6
                                        ; implicit-def: $vgpr5
.LBB276_1566:
	s_and_not1_saveexec_b32 s5, s5
; %bb.1567:
	v_mov_b32_e32 v4, 0x7f
	v_cmp_lt_u32_e32 vcc_lo, 0x7f800000, v5
	s_delay_alu instid0(VALU_DEP_2)
	v_cndmask_b32_e32 v4, 0x7e, v4, vcc_lo
; %bb.1568:
	s_or_b32 exec_lo, exec_lo, s5
	v_lshrrev_b32_e32 v1, 24, v1
	s_delay_alu instid0(VALU_DEP_1)
	v_and_or_b32 v18, 0x80, v1, v4
.LBB276_1569:
	s_or_b32 exec_lo, exec_lo, s4
                                        ; implicit-def: $vgpr1
                                        ; implicit-def: $vgpr4_vgpr5
.LBB276_1570:
	s_and_not1_saveexec_b32 s3, s3
	s_cbranch_execz .LBB276_1604
; %bb.1571:
	s_mov_b32 s4, exec_lo
                                        ; implicit-def: $vgpr18
	v_cmpx_lt_i16_e32 5, v1
	s_xor_b32 s4, exec_lo, s4
	s_cbranch_execz .LBB276_1593
; %bb.1572:
	s_mov_b32 s5, exec_lo
                                        ; implicit-def: $vgpr18
	v_cmpx_lt_i16_e32 6, v1
	s_xor_b32 s5, exec_lo, s5
	s_cbranch_execz .LBB276_1582
; %bb.1573:
	flat_load_b64 v[4:5], v[4:5]
	s_mov_b32 s6, exec_lo
	s_wait_loadcnt_dscnt 0x0
	v_cvt_f32_f64_e32 v1, v[4:5]
                                        ; implicit-def: $vgpr4
	s_wait_xcnt 0x0
	s_delay_alu instid0(VALU_DEP_1) | instskip(NEXT) | instid1(VALU_DEP_1)
	v_and_b32_e32 v5, 0x7fffffff, v1
	v_cmpx_gt_u32_e32 0x43f00000, v5
	s_xor_b32 s6, exec_lo, s6
	s_cbranch_execz .LBB276_1579
; %bb.1574:
	s_mov_b32 s7, exec_lo
                                        ; implicit-def: $vgpr4
	v_cmpx_lt_u32_e32 0x3c7fffff, v5
	s_xor_b32 s7, exec_lo, s7
; %bb.1575:
	v_bfe_u32 v4, v1, 20, 1
	s_delay_alu instid0(VALU_DEP_1) | instskip(NEXT) | instid1(VALU_DEP_1)
	v_add3_u32 v4, v1, v4, 0x407ffff
	v_and_b32_e32 v5, 0xff00000, v4
	v_lshrrev_b32_e32 v4, 20, v4
	s_delay_alu instid0(VALU_DEP_2) | instskip(NEXT) | instid1(VALU_DEP_2)
	v_cmp_ne_u32_e32 vcc_lo, 0x7f00000, v5
	v_cndmask_b32_e32 v4, 0x7e, v4, vcc_lo
; %bb.1576:
	s_and_not1_saveexec_b32 s7, s7
; %bb.1577:
	v_add_f32_e64 v4, 0x46800000, |v1|
; %bb.1578:
	s_or_b32 exec_lo, exec_lo, s7
                                        ; implicit-def: $vgpr5
.LBB276_1579:
	s_and_not1_saveexec_b32 s6, s6
; %bb.1580:
	v_mov_b32_e32 v4, 0x7f
	v_cmp_lt_u32_e32 vcc_lo, 0x7f800000, v5
	s_delay_alu instid0(VALU_DEP_2)
	v_cndmask_b32_e32 v4, 0x7e, v4, vcc_lo
; %bb.1581:
	s_or_b32 exec_lo, exec_lo, s6
	v_lshrrev_b32_e32 v1, 24, v1
	s_delay_alu instid0(VALU_DEP_1)
	v_and_or_b32 v18, 0x80, v1, v4
                                        ; implicit-def: $vgpr4_vgpr5
.LBB276_1582:
	s_and_not1_saveexec_b32 s5, s5
	s_cbranch_execz .LBB276_1592
; %bb.1583:
	flat_load_b32 v1, v[4:5]
	s_mov_b32 s6, exec_lo
                                        ; implicit-def: $vgpr4
	s_wait_loadcnt_dscnt 0x0
	v_and_b32_e32 v5, 0x7fffffff, v1
	s_delay_alu instid0(VALU_DEP_1)
	v_cmpx_gt_u32_e32 0x43f00000, v5
	s_xor_b32 s6, exec_lo, s6
	s_cbranch_execz .LBB276_1589
; %bb.1584:
	s_mov_b32 s7, exec_lo
                                        ; implicit-def: $vgpr4
	v_cmpx_lt_u32_e32 0x3c7fffff, v5
	s_xor_b32 s7, exec_lo, s7
; %bb.1585:
	v_bfe_u32 v4, v1, 20, 1
	s_delay_alu instid0(VALU_DEP_1) | instskip(NEXT) | instid1(VALU_DEP_1)
	v_add3_u32 v4, v1, v4, 0x407ffff
	v_and_b32_e32 v5, 0xff00000, v4
	v_lshrrev_b32_e32 v4, 20, v4
	s_delay_alu instid0(VALU_DEP_2) | instskip(NEXT) | instid1(VALU_DEP_2)
	v_cmp_ne_u32_e32 vcc_lo, 0x7f00000, v5
	v_cndmask_b32_e32 v4, 0x7e, v4, vcc_lo
; %bb.1586:
	s_and_not1_saveexec_b32 s7, s7
; %bb.1587:
	v_add_f32_e64 v4, 0x46800000, |v1|
; %bb.1588:
	s_or_b32 exec_lo, exec_lo, s7
                                        ; implicit-def: $vgpr5
.LBB276_1589:
	s_and_not1_saveexec_b32 s6, s6
; %bb.1590:
	v_mov_b32_e32 v4, 0x7f
	v_cmp_lt_u32_e32 vcc_lo, 0x7f800000, v5
	s_delay_alu instid0(VALU_DEP_2)
	v_cndmask_b32_e32 v4, 0x7e, v4, vcc_lo
; %bb.1591:
	s_or_b32 exec_lo, exec_lo, s6
	v_lshrrev_b32_e32 v1, 24, v1
	s_delay_alu instid0(VALU_DEP_1)
	v_and_or_b32 v18, 0x80, v1, v4
.LBB276_1592:
	s_or_b32 exec_lo, exec_lo, s5
                                        ; implicit-def: $vgpr4_vgpr5
.LBB276_1593:
	s_and_not1_saveexec_b32 s4, s4
	s_cbranch_execz .LBB276_1603
; %bb.1594:
	flat_load_u16 v1, v[4:5]
	s_mov_b32 s5, exec_lo
                                        ; implicit-def: $vgpr4
	s_wait_loadcnt_dscnt 0x0
	v_cvt_f32_f16_e32 v1, v1
	s_wait_xcnt 0x0
	s_delay_alu instid0(VALU_DEP_1) | instskip(NEXT) | instid1(VALU_DEP_1)
	v_and_b32_e32 v5, 0x7fffffff, v1
	v_cmpx_gt_u32_e32 0x43f00000, v5
	s_xor_b32 s5, exec_lo, s5
	s_cbranch_execz .LBB276_1600
; %bb.1595:
	s_mov_b32 s6, exec_lo
                                        ; implicit-def: $vgpr4
	v_cmpx_lt_u32_e32 0x3c7fffff, v5
	s_xor_b32 s6, exec_lo, s6
; %bb.1596:
	v_bfe_u32 v4, v1, 20, 1
	s_delay_alu instid0(VALU_DEP_1) | instskip(NEXT) | instid1(VALU_DEP_1)
	v_add3_u32 v4, v1, v4, 0x407ffff
	v_and_b32_e32 v5, 0xff00000, v4
	v_lshrrev_b32_e32 v4, 20, v4
	s_delay_alu instid0(VALU_DEP_2) | instskip(NEXT) | instid1(VALU_DEP_2)
	v_cmp_ne_u32_e32 vcc_lo, 0x7f00000, v5
	v_cndmask_b32_e32 v4, 0x7e, v4, vcc_lo
; %bb.1597:
	s_and_not1_saveexec_b32 s6, s6
; %bb.1598:
	v_add_f32_e64 v4, 0x46800000, |v1|
; %bb.1599:
	s_or_b32 exec_lo, exec_lo, s6
                                        ; implicit-def: $vgpr5
.LBB276_1600:
	s_and_not1_saveexec_b32 s5, s5
; %bb.1601:
	v_mov_b32_e32 v4, 0x7f
	v_cmp_lt_u32_e32 vcc_lo, 0x7f800000, v5
	s_delay_alu instid0(VALU_DEP_2)
	v_cndmask_b32_e32 v4, 0x7e, v4, vcc_lo
; %bb.1602:
	s_or_b32 exec_lo, exec_lo, s5
	v_lshrrev_b32_e32 v1, 24, v1
	s_delay_alu instid0(VALU_DEP_1)
	v_and_or_b32 v18, 0x80, v1, v4
.LBB276_1603:
	s_or_b32 exec_lo, exec_lo, s4
.LBB276_1604:
	s_delay_alu instid0(SALU_CYCLE_1)
	s_or_b32 exec_lo, exec_lo, s3
                                        ; implicit-def: $vgpr1
                                        ; implicit-def: $vgpr4_vgpr5
.LBB276_1605:
	s_and_not1_saveexec_b32 s2, s2
	s_cbranch_execz .LBB276_1663
; %bb.1606:
	s_mov_b32 s3, exec_lo
                                        ; implicit-def: $vgpr18
	v_cmpx_lt_i16_e32 1, v1
	s_xor_b32 s3, exec_lo, s3
	s_cbranch_execz .LBB276_1640
; %bb.1607:
	s_mov_b32 s4, exec_lo
                                        ; implicit-def: $vgpr18
	v_cmpx_lt_i16_e32 2, v1
	s_xor_b32 s4, exec_lo, s4
	;; [unrolled: 6-line block ×3, first 2 shown]
	s_cbranch_execz .LBB276_1618
; %bb.1609:
	flat_load_b64 v[4:5], v[4:5]
	s_mov_b32 s6, exec_lo
	s_wait_loadcnt_dscnt 0x0
	v_xor_b32_e32 v1, v4, v5
	v_cls_i32_e32 v8, v5
	s_delay_alu instid0(VALU_DEP_2) | instskip(NEXT) | instid1(VALU_DEP_1)
	v_ashrrev_i32_e32 v1, 31, v1
	v_add_nc_u32_e32 v1, 32, v1
	s_delay_alu instid0(VALU_DEP_1) | instskip(SKIP_1) | instid1(VALU_DEP_1)
	v_add_min_u32_e64 v1, v8, -1, v1
	s_wait_xcnt 0x0
	v_lshlrev_b64_e32 v[4:5], v1, v[4:5]
	v_sub_nc_u32_e32 v1, 32, v1
	s_delay_alu instid0(VALU_DEP_2) | instskip(NEXT) | instid1(VALU_DEP_1)
	v_min_u32_e32 v4, 1, v4
	v_or_b32_e32 v4, v5, v4
	s_delay_alu instid0(VALU_DEP_1) | instskip(NEXT) | instid1(VALU_DEP_1)
	v_cvt_f32_i32_e32 v4, v4
	v_ldexp_f32 v1, v4, v1
                                        ; implicit-def: $vgpr4
	s_delay_alu instid0(VALU_DEP_1) | instskip(NEXT) | instid1(VALU_DEP_1)
	v_and_b32_e32 v5, 0x7fffffff, v1
	v_cmpx_gt_u32_e32 0x43f00000, v5
	s_xor_b32 s6, exec_lo, s6
	s_cbranch_execz .LBB276_1615
; %bb.1610:
	s_mov_b32 s7, exec_lo
                                        ; implicit-def: $vgpr4
	v_cmpx_lt_u32_e32 0x3c7fffff, v5
	s_xor_b32 s7, exec_lo, s7
; %bb.1611:
	v_bfe_u32 v4, v1, 20, 1
	s_delay_alu instid0(VALU_DEP_1) | instskip(NEXT) | instid1(VALU_DEP_1)
	v_add3_u32 v4, v1, v4, 0x407ffff
	v_and_b32_e32 v5, 0xff00000, v4
	v_lshrrev_b32_e32 v4, 20, v4
	s_delay_alu instid0(VALU_DEP_2) | instskip(NEXT) | instid1(VALU_DEP_2)
	v_cmp_ne_u32_e32 vcc_lo, 0x7f00000, v5
	v_cndmask_b32_e32 v4, 0x7e, v4, vcc_lo
; %bb.1612:
	s_and_not1_saveexec_b32 s7, s7
; %bb.1613:
	v_add_f32_e64 v4, 0x46800000, |v1|
; %bb.1614:
	s_or_b32 exec_lo, exec_lo, s7
                                        ; implicit-def: $vgpr5
.LBB276_1615:
	s_and_not1_saveexec_b32 s6, s6
; %bb.1616:
	v_mov_b32_e32 v4, 0x7f
	v_cmp_lt_u32_e32 vcc_lo, 0x7f800000, v5
	s_delay_alu instid0(VALU_DEP_2)
	v_cndmask_b32_e32 v4, 0x7e, v4, vcc_lo
; %bb.1617:
	s_or_b32 exec_lo, exec_lo, s6
	v_lshrrev_b32_e32 v1, 24, v1
	s_delay_alu instid0(VALU_DEP_1)
	v_and_or_b32 v18, 0x80, v1, v4
                                        ; implicit-def: $vgpr4_vgpr5
.LBB276_1618:
	s_and_not1_saveexec_b32 s5, s5
	s_cbranch_execz .LBB276_1628
; %bb.1619:
	flat_load_b32 v1, v[4:5]
	s_mov_b32 s6, exec_lo
                                        ; implicit-def: $vgpr4
	s_wait_loadcnt_dscnt 0x0
	v_cvt_f32_i32_e32 v1, v1
	s_wait_xcnt 0x0
	s_delay_alu instid0(VALU_DEP_1) | instskip(NEXT) | instid1(VALU_DEP_1)
	v_and_b32_e32 v5, 0x7fffffff, v1
	v_cmpx_gt_u32_e32 0x43f00000, v5
	s_xor_b32 s6, exec_lo, s6
	s_cbranch_execz .LBB276_1625
; %bb.1620:
	s_mov_b32 s7, exec_lo
                                        ; implicit-def: $vgpr4
	v_cmpx_lt_u32_e32 0x3c7fffff, v5
	s_xor_b32 s7, exec_lo, s7
; %bb.1621:
	v_bfe_u32 v4, v1, 20, 1
	s_delay_alu instid0(VALU_DEP_1) | instskip(NEXT) | instid1(VALU_DEP_1)
	v_add3_u32 v4, v1, v4, 0x407ffff
	v_and_b32_e32 v5, 0xff00000, v4
	v_lshrrev_b32_e32 v4, 20, v4
	s_delay_alu instid0(VALU_DEP_2) | instskip(NEXT) | instid1(VALU_DEP_2)
	v_cmp_ne_u32_e32 vcc_lo, 0x7f00000, v5
	v_cndmask_b32_e32 v4, 0x7e, v4, vcc_lo
; %bb.1622:
	s_and_not1_saveexec_b32 s7, s7
; %bb.1623:
	v_add_f32_e64 v4, 0x46800000, |v1|
; %bb.1624:
	s_or_b32 exec_lo, exec_lo, s7
                                        ; implicit-def: $vgpr5
.LBB276_1625:
	s_and_not1_saveexec_b32 s6, s6
; %bb.1626:
	v_mov_b32_e32 v4, 0x7f
	v_cmp_lt_u32_e32 vcc_lo, 0x7f800000, v5
	s_delay_alu instid0(VALU_DEP_2)
	v_cndmask_b32_e32 v4, 0x7e, v4, vcc_lo
; %bb.1627:
	s_or_b32 exec_lo, exec_lo, s6
	v_lshrrev_b32_e32 v1, 24, v1
	s_delay_alu instid0(VALU_DEP_1)
	v_and_or_b32 v18, 0x80, v1, v4
.LBB276_1628:
	s_or_b32 exec_lo, exec_lo, s5
                                        ; implicit-def: $vgpr4_vgpr5
.LBB276_1629:
	s_and_not1_saveexec_b32 s4, s4
	s_cbranch_execz .LBB276_1639
; %bb.1630:
	flat_load_i16 v1, v[4:5]
	s_mov_b32 s5, exec_lo
                                        ; implicit-def: $vgpr4
	s_wait_loadcnt_dscnt 0x0
	v_cvt_f32_i32_e32 v1, v1
	s_wait_xcnt 0x0
	s_delay_alu instid0(VALU_DEP_1) | instskip(NEXT) | instid1(VALU_DEP_1)
	v_and_b32_e32 v5, 0x7fffffff, v1
	v_cmpx_gt_u32_e32 0x43f00000, v5
	s_xor_b32 s5, exec_lo, s5
	s_cbranch_execz .LBB276_1636
; %bb.1631:
	s_mov_b32 s6, exec_lo
                                        ; implicit-def: $vgpr4
	v_cmpx_lt_u32_e32 0x3c7fffff, v5
	s_xor_b32 s6, exec_lo, s6
; %bb.1632:
	v_bfe_u32 v4, v1, 20, 1
	s_delay_alu instid0(VALU_DEP_1) | instskip(NEXT) | instid1(VALU_DEP_1)
	v_add3_u32 v4, v1, v4, 0x407ffff
	v_and_b32_e32 v5, 0xff00000, v4
	v_lshrrev_b32_e32 v4, 20, v4
	s_delay_alu instid0(VALU_DEP_2) | instskip(NEXT) | instid1(VALU_DEP_2)
	v_cmp_ne_u32_e32 vcc_lo, 0x7f00000, v5
	v_cndmask_b32_e32 v4, 0x7e, v4, vcc_lo
; %bb.1633:
	s_and_not1_saveexec_b32 s6, s6
; %bb.1634:
	v_add_f32_e64 v4, 0x46800000, |v1|
; %bb.1635:
	s_or_b32 exec_lo, exec_lo, s6
                                        ; implicit-def: $vgpr5
.LBB276_1636:
	s_and_not1_saveexec_b32 s5, s5
; %bb.1637:
	v_mov_b32_e32 v4, 0x7f
	v_cmp_lt_u32_e32 vcc_lo, 0x7f800000, v5
	s_delay_alu instid0(VALU_DEP_2)
	v_cndmask_b32_e32 v4, 0x7e, v4, vcc_lo
; %bb.1638:
	s_or_b32 exec_lo, exec_lo, s5
	v_lshrrev_b32_e32 v1, 24, v1
	s_delay_alu instid0(VALU_DEP_1)
	v_and_or_b32 v18, 0x80, v1, v4
.LBB276_1639:
	s_or_b32 exec_lo, exec_lo, s4
                                        ; implicit-def: $vgpr1
                                        ; implicit-def: $vgpr4_vgpr5
.LBB276_1640:
	s_and_not1_saveexec_b32 s3, s3
	s_cbranch_execz .LBB276_1662
; %bb.1641:
	s_mov_b32 s4, exec_lo
                                        ; implicit-def: $vgpr18
	v_cmpx_lt_i16_e32 0, v1
	s_xor_b32 s4, exec_lo, s4
	s_cbranch_execz .LBB276_1651
; %bb.1642:
	flat_load_i8 v1, v[4:5]
	s_mov_b32 s5, exec_lo
                                        ; implicit-def: $vgpr4
	s_wait_loadcnt_dscnt 0x0
	v_cvt_f32_i32_e32 v1, v1
	s_wait_xcnt 0x0
	s_delay_alu instid0(VALU_DEP_1) | instskip(NEXT) | instid1(VALU_DEP_1)
	v_and_b32_e32 v5, 0x7fffffff, v1
	v_cmpx_gt_u32_e32 0x43f00000, v5
	s_xor_b32 s5, exec_lo, s5
	s_cbranch_execz .LBB276_1648
; %bb.1643:
	s_mov_b32 s6, exec_lo
                                        ; implicit-def: $vgpr4
	v_cmpx_lt_u32_e32 0x3c7fffff, v5
	s_xor_b32 s6, exec_lo, s6
; %bb.1644:
	v_bfe_u32 v4, v1, 20, 1
	s_delay_alu instid0(VALU_DEP_1) | instskip(NEXT) | instid1(VALU_DEP_1)
	v_add3_u32 v4, v1, v4, 0x407ffff
	v_and_b32_e32 v5, 0xff00000, v4
	v_lshrrev_b32_e32 v4, 20, v4
	s_delay_alu instid0(VALU_DEP_2) | instskip(NEXT) | instid1(VALU_DEP_2)
	v_cmp_ne_u32_e32 vcc_lo, 0x7f00000, v5
	v_cndmask_b32_e32 v4, 0x7e, v4, vcc_lo
; %bb.1645:
	s_and_not1_saveexec_b32 s6, s6
; %bb.1646:
	v_add_f32_e64 v4, 0x46800000, |v1|
; %bb.1647:
	s_or_b32 exec_lo, exec_lo, s6
                                        ; implicit-def: $vgpr5
.LBB276_1648:
	s_and_not1_saveexec_b32 s5, s5
; %bb.1649:
	v_mov_b32_e32 v4, 0x7f
	v_cmp_lt_u32_e32 vcc_lo, 0x7f800000, v5
	s_delay_alu instid0(VALU_DEP_2)
	v_cndmask_b32_e32 v4, 0x7e, v4, vcc_lo
; %bb.1650:
	s_or_b32 exec_lo, exec_lo, s5
	v_lshrrev_b32_e32 v1, 24, v1
	s_delay_alu instid0(VALU_DEP_1)
	v_and_or_b32 v18, 0x80, v1, v4
                                        ; implicit-def: $vgpr4_vgpr5
.LBB276_1651:
	s_and_not1_saveexec_b32 s4, s4
	s_cbranch_execz .LBB276_1661
; %bb.1652:
	flat_load_u8 v1, v[4:5]
	s_mov_b32 s5, exec_lo
                                        ; implicit-def: $vgpr18
	s_wait_loadcnt_dscnt 0x0
	v_cvt_f32_ubyte0_e32 v1, v1
	s_wait_xcnt 0x0
	s_delay_alu instid0(VALU_DEP_1)
	v_cmpx_gt_u32_e32 0x43f00000, v1
	s_xor_b32 s5, exec_lo, s5
	s_cbranch_execz .LBB276_1658
; %bb.1653:
	s_mov_b32 s6, exec_lo
                                        ; implicit-def: $vgpr18
	v_cmpx_lt_u32_e32 0x3c7fffff, v1
	s_xor_b32 s6, exec_lo, s6
; %bb.1654:
	v_bfe_u32 v4, v1, 20, 1
	s_delay_alu instid0(VALU_DEP_1) | instskip(NEXT) | instid1(VALU_DEP_1)
	v_add3_u32 v1, v1, v4, 0x407ffff
	v_and_b32_e32 v4, 0xff00000, v1
	v_lshrrev_b32_e32 v1, 20, v1
	s_delay_alu instid0(VALU_DEP_2) | instskip(NEXT) | instid1(VALU_DEP_2)
	v_cmp_ne_u32_e32 vcc_lo, 0x7f00000, v4
	v_cndmask_b32_e32 v18, 0x7e, v1, vcc_lo
                                        ; implicit-def: $vgpr1
; %bb.1655:
	s_and_not1_saveexec_b32 s6, s6
; %bb.1656:
	v_add_f32_e32 v18, 0x46800000, v1
; %bb.1657:
	s_or_b32 exec_lo, exec_lo, s6
                                        ; implicit-def: $vgpr1
.LBB276_1658:
	s_and_not1_saveexec_b32 s5, s5
; %bb.1659:
	v_mov_b32_e32 v4, 0x7f
	v_cmp_lt_u32_e32 vcc_lo, 0x7f800000, v1
	s_delay_alu instid0(VALU_DEP_2)
	v_cndmask_b32_e32 v18, 0x7e, v4, vcc_lo
; %bb.1660:
	s_or_b32 exec_lo, exec_lo, s5
.LBB276_1661:
	s_delay_alu instid0(SALU_CYCLE_1)
	s_or_b32 exec_lo, exec_lo, s4
.LBB276_1662:
	s_delay_alu instid0(SALU_CYCLE_1)
	s_or_b32 exec_lo, exec_lo, s3
.LBB276_1663:
	s_delay_alu instid0(SALU_CYCLE_1) | instskip(NEXT) | instid1(SALU_CYCLE_1)
	s_or_b32 exec_lo, exec_lo, s2
	s_or_b32 s1, s1, exec_lo
.LBB276_1664:
	s_or_b32 exec_lo, exec_lo, s0
	s_mov_b32 s0, 0
	s_mov_b32 s2, 0
	;; [unrolled: 1-line block ×3, first 2 shown]
                                        ; implicit-def: $sgpr3
                                        ; implicit-def: $vgpr22_vgpr23
                                        ; implicit-def: $vgpr5
	s_and_saveexec_b32 s25, s1
	s_cbranch_execz .LBB276_2187
; %bb.1665:
	v_mov_b32_e32 v1, 0
	s_mov_b32 s1, 0
	s_mov_b32 s26, s24
	s_mov_b32 s0, exec_lo
                                        ; implicit-def: $vgpr19
	s_delay_alu instid0(VALU_DEP_1)
	v_add_nc_u64_e32 v[0:1], v[6:7], v[0:1]
	v_cmpx_lt_i16_e32 10, v3
	s_xor_b32 s0, exec_lo, s0
	s_cbranch_execz .LBB276_1760
; %bb.1666:
	s_mov_b32 s3, 0
	s_mov_b32 s2, exec_lo
                                        ; implicit-def: $vgpr19
	v_cmpx_lt_i16_e32 25, v3
	s_xor_b32 s2, exec_lo, s2
	s_cbranch_execz .LBB276_2586
; %bb.1667:
	s_mov_b32 s5, 0
	s_mov_b32 s3, exec_lo
                                        ; implicit-def: $vgpr19
	v_cmpx_lt_i16_e32 28, v3
	s_xor_b32 s3, exec_lo, s3
	s_cbranch_execz .LBB276_1707
; %bb.1668:
	s_mov_b32 s6, 0
	s_mov_b32 s7, 0
	s_mov_b32 s4, exec_lo
                                        ; implicit-def: $vgpr19
	v_cmpx_lt_i16_e32 43, v3
	s_xor_b32 s4, exec_lo, s4
	s_cbranch_execz .LBB276_1694
; %bb.1669:
	s_mov_b32 s7, exec_lo
                                        ; implicit-def: $vgpr19
	v_cmpx_lt_i16_e32 45, v3
	s_xor_b32 s7, exec_lo, s7
	s_cbranch_execz .LBB276_1681
; %bb.1670:
	s_mov_b32 s8, -1
	s_mov_b32 s5, exec_lo
                                        ; implicit-def: $vgpr19
	v_cmpx_eq_u16_e32 46, v3
	s_cbranch_execz .LBB276_1680
; %bb.1671:
	flat_load_b32 v3, v[0:1]
	s_mov_b32 s6, exec_lo
                                        ; implicit-def: $vgpr4
	s_wait_loadcnt_dscnt 0x0
	v_lshlrev_b32_e32 v3, 16, v3
	s_delay_alu instid0(VALU_DEP_1) | instskip(SKIP_1) | instid1(VALU_DEP_1)
	v_and_b32_e32 v5, 0x7fffffff, v3
	s_wait_xcnt 0x0
	v_cmpx_gt_u32_e32 0x43f00000, v5
	s_xor_b32 s6, exec_lo, s6
	s_cbranch_execz .LBB276_1677
; %bb.1672:
	s_mov_b32 s8, exec_lo
                                        ; implicit-def: $vgpr4
	v_cmpx_lt_u32_e32 0x3c7fffff, v5
	s_xor_b32 s8, exec_lo, s8
; %bb.1673:
	v_bfe_u32 v4, v3, 20, 1
	s_delay_alu instid0(VALU_DEP_1) | instskip(NEXT) | instid1(VALU_DEP_1)
	v_add3_u32 v4, v3, v4, 0x407ffff
	v_and_b32_e32 v5, 0xff00000, v4
	v_lshrrev_b32_e32 v4, 20, v4
	s_delay_alu instid0(VALU_DEP_2) | instskip(NEXT) | instid1(VALU_DEP_2)
	v_cmp_ne_u32_e32 vcc_lo, 0x7f00000, v5
	v_cndmask_b32_e32 v4, 0x7e, v4, vcc_lo
; %bb.1674:
	s_and_not1_saveexec_b32 s8, s8
; %bb.1675:
	v_add_f32_e64 v4, 0x46800000, |v3|
; %bb.1676:
	s_or_b32 exec_lo, exec_lo, s8
                                        ; implicit-def: $vgpr5
.LBB276_1677:
	s_and_not1_saveexec_b32 s6, s6
; %bb.1678:
	v_mov_b32_e32 v4, 0x7f
	v_cmp_lt_u32_e32 vcc_lo, 0x7f800000, v5
	s_delay_alu instid0(VALU_DEP_2)
	v_cndmask_b32_e32 v4, 0x7e, v4, vcc_lo
; %bb.1679:
	s_or_b32 exec_lo, exec_lo, s6
	v_lshrrev_b32_e32 v3, 24, v3
	s_mov_b32 s6, exec_lo
	s_xor_b32 s8, exec_lo, -1
	s_delay_alu instid0(VALU_DEP_1)
	v_and_or_b32 v19, 0x80, v3, v4
.LBB276_1680:
	s_or_b32 exec_lo, exec_lo, s5
	s_delay_alu instid0(SALU_CYCLE_1)
	s_and_b32 s6, s6, exec_lo
	s_and_b32 s5, s8, exec_lo
                                        ; implicit-def: $vgpr3
.LBB276_1681:
	s_and_not1_saveexec_b32 s7, s7
	s_cbranch_execz .LBB276_1693
; %bb.1682:
	s_mov_b32 s9, -1
	s_mov_b32 s10, s6
	s_mov_b32 s8, exec_lo
                                        ; implicit-def: $vgpr19
	v_cmpx_eq_u16_e32 44, v3
	s_cbranch_execz .LBB276_1692
; %bb.1683:
	flat_load_u8 v3, v[0:1]
	s_mov_b32 s9, exec_lo
                                        ; implicit-def: $vgpr19
	s_wait_loadcnt_dscnt 0x0
	v_lshlrev_b32_e32 v4, 23, v3
	v_cmp_ne_u32_e32 vcc_lo, 0xff, v3
	s_delay_alu instid0(VALU_DEP_2) | instskip(SKIP_1) | instid1(VALU_DEP_2)
	v_cndmask_b32_e32 v4, 0x7f800001, v4, vcc_lo
	v_cmp_ne_u32_e32 vcc_lo, 0, v3
	v_cndmask_b32_e32 v3, 0x400000, v4, vcc_lo
	s_wait_xcnt 0x0
	s_delay_alu instid0(VALU_DEP_1)
	v_cmpx_gt_u32_e32 0x43f00000, v3
	s_xor_b32 s9, exec_lo, s9
	s_cbranch_execz .LBB276_1689
; %bb.1684:
	s_mov_b32 s10, exec_lo
                                        ; implicit-def: $vgpr19
	v_cmpx_lt_u32_e32 0x3c7fffff, v3
	s_xor_b32 s10, exec_lo, s10
; %bb.1685:
	v_bfe_u32 v4, v3, 20, 1
	s_delay_alu instid0(VALU_DEP_1) | instskip(NEXT) | instid1(VALU_DEP_1)
	v_add3_u32 v3, v3, v4, 0x407ffff
	v_and_b32_e32 v4, 0xff00000, v3
	v_lshrrev_b32_e32 v3, 20, v3
	s_delay_alu instid0(VALU_DEP_2) | instskip(NEXT) | instid1(VALU_DEP_2)
	v_cmp_ne_u32_e32 vcc_lo, 0x7f00000, v4
	v_cndmask_b32_e32 v19, 0x7e, v3, vcc_lo
                                        ; implicit-def: $vgpr3
; %bb.1686:
	s_and_not1_saveexec_b32 s10, s10
; %bb.1687:
	v_add_f32_e32 v19, 0x46800000, v3
; %bb.1688:
	s_or_b32 exec_lo, exec_lo, s10
                                        ; implicit-def: $vgpr3
.LBB276_1689:
	s_and_not1_saveexec_b32 s9, s9
; %bb.1690:
	v_mov_b32_e32 v4, 0x7f
	v_cmp_lt_u32_e32 vcc_lo, 0x7f800000, v3
	s_delay_alu instid0(VALU_DEP_2)
	v_cndmask_b32_e32 v19, 0x7e, v4, vcc_lo
; %bb.1691:
	s_or_b32 exec_lo, exec_lo, s9
	s_delay_alu instid0(SALU_CYCLE_1)
	s_or_b32 s10, s6, exec_lo
	s_xor_b32 s9, exec_lo, -1
.LBB276_1692:
	s_or_b32 exec_lo, exec_lo, s8
	s_delay_alu instid0(SALU_CYCLE_1)
	s_and_not1_b32 s6, s6, exec_lo
	s_and_b32 s8, s10, exec_lo
	s_and_not1_b32 s5, s5, exec_lo
	s_and_b32 s9, s9, exec_lo
	s_or_b32 s6, s6, s8
	s_or_b32 s5, s5, s9
.LBB276_1693:
	s_or_b32 exec_lo, exec_lo, s7
	s_delay_alu instid0(SALU_CYCLE_1)
	s_and_b32 s7, s6, exec_lo
	s_and_b32 s6, s5, exec_lo
                                        ; implicit-def: $vgpr3
.LBB276_1694:
	s_and_not1_saveexec_b32 s4, s4
	s_cbranch_execz .LBB276_1706
; %bb.1695:
	s_mov_b32 s8, -1
	s_mov_b32 s9, s7
	s_mov_b32 s5, exec_lo
                                        ; implicit-def: $vgpr19
	v_cmpx_eq_u16_e32 29, v3
	s_cbranch_execz .LBB276_1705
; %bb.1696:
	flat_load_b64 v[4:5], v[0:1]
	s_mov_b32 s8, exec_lo
                                        ; implicit-def: $vgpr19
	s_wait_loadcnt_dscnt 0x0
	v_clz_i32_u32_e32 v3, v5
	s_delay_alu instid0(VALU_DEP_1) | instskip(NEXT) | instid1(VALU_DEP_1)
	v_min_u32_e32 v3, 32, v3
	v_lshlrev_b64_e32 v[4:5], v3, v[4:5]
	v_sub_nc_u32_e32 v3, 32, v3
	s_delay_alu instid0(VALU_DEP_2) | instskip(NEXT) | instid1(VALU_DEP_1)
	v_min_u32_e32 v4, 1, v4
	v_or_b32_e32 v4, v5, v4
	s_delay_alu instid0(VALU_DEP_1) | instskip(NEXT) | instid1(VALU_DEP_1)
	v_cvt_f32_u32_e32 v4, v4
	v_ldexp_f32 v3, v4, v3
	s_wait_xcnt 0x0
	s_delay_alu instid0(VALU_DEP_1)
	v_cmpx_gt_u32_e32 0x43f00000, v3
	s_xor_b32 s8, exec_lo, s8
	s_cbranch_execz .LBB276_1702
; %bb.1697:
	s_mov_b32 s9, exec_lo
                                        ; implicit-def: $vgpr19
	v_cmpx_lt_u32_e32 0x3c7fffff, v3
	s_xor_b32 s9, exec_lo, s9
; %bb.1698:
	v_bfe_u32 v4, v3, 20, 1
	s_delay_alu instid0(VALU_DEP_1) | instskip(NEXT) | instid1(VALU_DEP_1)
	v_add3_u32 v3, v3, v4, 0x407ffff
	v_and_b32_e32 v4, 0xff00000, v3
	v_lshrrev_b32_e32 v3, 20, v3
	s_delay_alu instid0(VALU_DEP_2) | instskip(NEXT) | instid1(VALU_DEP_2)
	v_cmp_ne_u32_e32 vcc_lo, 0x7f00000, v4
	v_cndmask_b32_e32 v19, 0x7e, v3, vcc_lo
                                        ; implicit-def: $vgpr3
; %bb.1699:
	s_and_not1_saveexec_b32 s9, s9
; %bb.1700:
	v_add_f32_e32 v19, 0x46800000, v3
; %bb.1701:
	s_or_b32 exec_lo, exec_lo, s9
                                        ; implicit-def: $vgpr3
.LBB276_1702:
	s_and_not1_saveexec_b32 s8, s8
; %bb.1703:
	v_mov_b32_e32 v4, 0x7f
	v_cmp_lt_u32_e32 vcc_lo, 0x7f800000, v3
	s_delay_alu instid0(VALU_DEP_2)
	v_cndmask_b32_e32 v19, 0x7e, v4, vcc_lo
; %bb.1704:
	s_or_b32 exec_lo, exec_lo, s8
	s_delay_alu instid0(SALU_CYCLE_1)
	s_or_b32 s9, s7, exec_lo
	s_xor_b32 s8, exec_lo, -1
.LBB276_1705:
	s_or_b32 exec_lo, exec_lo, s5
	s_delay_alu instid0(SALU_CYCLE_1)
	s_and_not1_b32 s5, s7, exec_lo
	s_and_b32 s7, s9, exec_lo
	s_and_not1_b32 s6, s6, exec_lo
	s_and_b32 s8, s8, exec_lo
	s_or_b32 s7, s5, s7
	s_or_b32 s6, s6, s8
.LBB276_1706:
	s_or_b32 exec_lo, exec_lo, s4
	s_delay_alu instid0(SALU_CYCLE_1)
	s_and_b32 s5, s7, exec_lo
	s_and_b32 s4, s6, exec_lo
                                        ; implicit-def: $vgpr3
.LBB276_1707:
	s_and_not1_saveexec_b32 s3, s3
	s_cbranch_execz .LBB276_1747
; %bb.1708:
	s_mov_b32 s6, exec_lo
                                        ; implicit-def: $vgpr19
	v_cmpx_lt_i16_e32 26, v3
	s_xor_b32 s6, exec_lo, s6
	s_cbranch_execz .LBB276_1730
; %bb.1709:
	s_mov_b32 s7, exec_lo
                                        ; implicit-def: $vgpr19
	v_cmpx_lt_i16_e32 27, v3
	s_xor_b32 s7, exec_lo, s7
	s_cbranch_execz .LBB276_1719
; %bb.1710:
	flat_load_b32 v3, v[0:1]
	s_mov_b32 s8, exec_lo
                                        ; implicit-def: $vgpr19
	s_wait_loadcnt_dscnt 0x0
	v_cvt_f32_u32_e32 v3, v3
	s_wait_xcnt 0x0
	s_delay_alu instid0(VALU_DEP_1)
	v_cmpx_gt_u32_e32 0x43f00000, v3
	s_xor_b32 s8, exec_lo, s8
	s_cbranch_execz .LBB276_1716
; %bb.1711:
	s_mov_b32 s9, exec_lo
                                        ; implicit-def: $vgpr19
	v_cmpx_lt_u32_e32 0x3c7fffff, v3
	s_xor_b32 s9, exec_lo, s9
; %bb.1712:
	v_bfe_u32 v4, v3, 20, 1
	s_delay_alu instid0(VALU_DEP_1) | instskip(NEXT) | instid1(VALU_DEP_1)
	v_add3_u32 v3, v3, v4, 0x407ffff
	v_and_b32_e32 v4, 0xff00000, v3
	v_lshrrev_b32_e32 v3, 20, v3
	s_delay_alu instid0(VALU_DEP_2) | instskip(NEXT) | instid1(VALU_DEP_2)
	v_cmp_ne_u32_e32 vcc_lo, 0x7f00000, v4
	v_cndmask_b32_e32 v19, 0x7e, v3, vcc_lo
                                        ; implicit-def: $vgpr3
; %bb.1713:
	s_and_not1_saveexec_b32 s9, s9
; %bb.1714:
	v_add_f32_e32 v19, 0x46800000, v3
; %bb.1715:
	s_or_b32 exec_lo, exec_lo, s9
                                        ; implicit-def: $vgpr3
.LBB276_1716:
	s_and_not1_saveexec_b32 s8, s8
; %bb.1717:
	v_mov_b32_e32 v4, 0x7f
	v_cmp_lt_u32_e32 vcc_lo, 0x7f800000, v3
	s_delay_alu instid0(VALU_DEP_2)
	v_cndmask_b32_e32 v19, 0x7e, v4, vcc_lo
; %bb.1718:
	s_or_b32 exec_lo, exec_lo, s8
.LBB276_1719:
	s_and_not1_saveexec_b32 s7, s7
	s_cbranch_execz .LBB276_1729
; %bb.1720:
	flat_load_u16 v3, v[0:1]
	s_mov_b32 s8, exec_lo
                                        ; implicit-def: $vgpr19
	s_wait_loadcnt_dscnt 0x0
	v_cvt_f32_u32_e32 v3, v3
	s_wait_xcnt 0x0
	s_delay_alu instid0(VALU_DEP_1)
	v_cmpx_gt_u32_e32 0x43f00000, v3
	s_xor_b32 s8, exec_lo, s8
	s_cbranch_execz .LBB276_1726
; %bb.1721:
	s_mov_b32 s9, exec_lo
                                        ; implicit-def: $vgpr19
	v_cmpx_lt_u32_e32 0x3c7fffff, v3
	s_xor_b32 s9, exec_lo, s9
; %bb.1722:
	v_bfe_u32 v4, v3, 20, 1
	s_delay_alu instid0(VALU_DEP_1) | instskip(NEXT) | instid1(VALU_DEP_1)
	v_add3_u32 v3, v3, v4, 0x407ffff
	v_and_b32_e32 v4, 0xff00000, v3
	v_lshrrev_b32_e32 v3, 20, v3
	s_delay_alu instid0(VALU_DEP_2) | instskip(NEXT) | instid1(VALU_DEP_2)
	v_cmp_ne_u32_e32 vcc_lo, 0x7f00000, v4
	v_cndmask_b32_e32 v19, 0x7e, v3, vcc_lo
                                        ; implicit-def: $vgpr3
; %bb.1723:
	s_and_not1_saveexec_b32 s9, s9
; %bb.1724:
	v_add_f32_e32 v19, 0x46800000, v3
; %bb.1725:
	s_or_b32 exec_lo, exec_lo, s9
                                        ; implicit-def: $vgpr3
.LBB276_1726:
	s_and_not1_saveexec_b32 s8, s8
; %bb.1727:
	v_mov_b32_e32 v4, 0x7f
	v_cmp_lt_u32_e32 vcc_lo, 0x7f800000, v3
	s_delay_alu instid0(VALU_DEP_2)
	v_cndmask_b32_e32 v19, 0x7e, v4, vcc_lo
; %bb.1728:
	s_or_b32 exec_lo, exec_lo, s8
.LBB276_1729:
	s_delay_alu instid0(SALU_CYCLE_1)
	s_or_b32 exec_lo, exec_lo, s7
.LBB276_1730:
	s_and_not1_saveexec_b32 s6, s6
	s_cbranch_execz .LBB276_1746
; %bb.1731:
	flat_load_u8 v4, v[0:1]
	s_mov_b32 s7, 0
	s_mov_b32 s8, exec_lo
	s_wait_loadcnt_dscnt 0x0
	v_cmpx_lt_i16_e32 0x7f, v4
	s_xor_b32 s8, exec_lo, s8
	s_cbranch_execz .LBB276_2745
; %bb.1732:
	s_mov_b32 s7, -1
	s_mov_b32 s9, exec_lo
	v_cmpx_eq_u16_e32 0x80, v4
; %bb.1733:
	s_xor_b32 s7, exec_lo, -1
; %bb.1734:
	s_or_b32 exec_lo, exec_lo, s9
	s_delay_alu instid0(SALU_CYCLE_1)
	s_and_b32 s7, s7, exec_lo
	s_or_saveexec_b32 s8, s8
	v_mov_b32_e32 v3, 0x7f800001
	s_xor_b32 exec_lo, exec_lo, s8
	s_cbranch_execnz .LBB276_2746
.LBB276_1735:
	s_or_b32 exec_lo, exec_lo, s8
	s_and_saveexec_b32 s8, s7
	s_cbranch_execz .LBB276_1737
.LBB276_1736:
	v_and_b32_e32 v3, 0xffff, v4
	s_delay_alu instid0(VALU_DEP_1) | instskip(SKIP_1) | instid1(VALU_DEP_2)
	v_and_b32_e32 v5, 7, v3
	v_bfe_u32 v8, v3, 3, 4
	v_clz_i32_u32_e32 v6, v5
	s_delay_alu instid0(VALU_DEP_2) | instskip(NEXT) | instid1(VALU_DEP_2)
	v_cmp_eq_u32_e32 vcc_lo, 0, v8
	v_min_u32_e32 v6, 32, v6
	s_delay_alu instid0(VALU_DEP_1) | instskip(NEXT) | instid1(VALU_DEP_1)
	v_subrev_nc_u32_e32 v7, 28, v6
	v_dual_lshlrev_b32 v3, v7, v3 :: v_dual_sub_nc_u32 v6, 29, v6
	s_delay_alu instid0(VALU_DEP_1) | instskip(NEXT) | instid1(VALU_DEP_1)
	v_dual_lshlrev_b32 v4, 24, v4 :: v_dual_bitop2_b32 v3, 7, v3 bitop3:0x40
	v_dual_cndmask_b32 v6, v8, v6 :: v_dual_cndmask_b32 v3, v5, v3
	s_delay_alu instid0(VALU_DEP_2) | instskip(NEXT) | instid1(VALU_DEP_2)
	v_and_b32_e32 v4, 0x80000000, v4
	v_lshl_add_u32 v5, v6, 23, 0x3b800000
	s_delay_alu instid0(VALU_DEP_3) | instskip(NEXT) | instid1(VALU_DEP_1)
	v_lshlrev_b32_e32 v3, 20, v3
	v_or3_b32 v3, v4, v5, v3
.LBB276_1737:
	s_or_b32 exec_lo, exec_lo, s8
	s_delay_alu instid0(VALU_DEP_1) | instskip(SKIP_1) | instid1(VALU_DEP_1)
	v_and_b32_e32 v5, 0x7fffffff, v3
	s_mov_b32 s7, exec_lo
                                        ; implicit-def: $vgpr4
	v_cmpx_gt_u32_e32 0x43f00000, v5
	s_xor_b32 s7, exec_lo, s7
	s_cbranch_execz .LBB276_1743
; %bb.1738:
	s_mov_b32 s8, exec_lo
                                        ; implicit-def: $vgpr4
	v_cmpx_lt_u32_e32 0x3c7fffff, v5
	s_xor_b32 s8, exec_lo, s8
; %bb.1739:
	v_bfe_u32 v4, v3, 20, 1
	s_delay_alu instid0(VALU_DEP_1) | instskip(NEXT) | instid1(VALU_DEP_1)
	v_add3_u32 v4, v3, v4, 0x407ffff
	v_and_b32_e32 v5, 0xff00000, v4
	v_lshrrev_b32_e32 v4, 20, v4
	s_delay_alu instid0(VALU_DEP_2) | instskip(NEXT) | instid1(VALU_DEP_2)
	v_cmp_ne_u32_e32 vcc_lo, 0x7f00000, v5
	v_cndmask_b32_e32 v4, 0x7e, v4, vcc_lo
; %bb.1740:
	s_and_not1_saveexec_b32 s8, s8
; %bb.1741:
	v_add_f32_e64 v4, 0x46800000, |v3|
; %bb.1742:
	s_or_b32 exec_lo, exec_lo, s8
                                        ; implicit-def: $vgpr5
.LBB276_1743:
	s_and_not1_saveexec_b32 s7, s7
; %bb.1744:
	v_mov_b32_e32 v4, 0x7f
	v_cmp_lt_u32_e32 vcc_lo, 0x7f800000, v5
	s_delay_alu instid0(VALU_DEP_2)
	v_cndmask_b32_e32 v4, 0x7e, v4, vcc_lo
; %bb.1745:
	s_or_b32 exec_lo, exec_lo, s7
	v_lshrrev_b32_e32 v3, 24, v3
	s_delay_alu instid0(VALU_DEP_1)
	v_and_or_b32 v19, 0x80, v3, v4
.LBB276_1746:
	s_or_b32 exec_lo, exec_lo, s6
	s_delay_alu instid0(SALU_CYCLE_1)
	s_or_b32 s5, s5, exec_lo
.LBB276_1747:
	s_or_b32 exec_lo, exec_lo, s3
	s_delay_alu instid0(SALU_CYCLE_1)
	s_and_b32 s3, s5, exec_lo
	s_and_b32 s4, s4, exec_lo
                                        ; implicit-def: $vgpr3
	s_and_not1_saveexec_b32 s2, s2
	s_cbranch_execnz .LBB276_2587
.LBB276_1748:
	s_or_b32 exec_lo, exec_lo, s2
	s_mov_b32 s2, s24
	s_and_saveexec_b32 s5, s4
	s_cbranch_execnz .LBB276_2636
.LBB276_1749:
	s_or_b32 exec_lo, exec_lo, s5
	s_and_saveexec_b32 s4, s1
	s_cbranch_execz .LBB276_1759
.LBB276_1750:
	flat_load_u8 v0, v[0:1]
	s_mov_b32 s1, exec_lo
                                        ; implicit-def: $vgpr19
	s_wait_loadcnt_dscnt 0x0
	v_cmp_ne_u16_e32 vcc_lo, 0, v0
	s_wait_xcnt 0x0
	v_cndmask_b32_e64 v0, 0, 1.0, vcc_lo
	s_delay_alu instid0(VALU_DEP_1)
	v_cmpx_gt_u32_e32 0x43f00000, v0
	s_xor_b32 s1, exec_lo, s1
	s_cbranch_execz .LBB276_1756
; %bb.1751:
	s_mov_b32 s5, exec_lo
                                        ; implicit-def: $vgpr19
	v_cmpx_lt_u32_e32 0x3c7fffff, v0
	s_xor_b32 s5, exec_lo, s5
; %bb.1752:
	v_bfe_u32 v1, v0, 20, 1
	s_delay_alu instid0(VALU_DEP_1) | instskip(NEXT) | instid1(VALU_DEP_1)
	v_add3_u32 v0, v0, v1, 0x407ffff
	v_and_b32_e32 v1, 0xff00000, v0
	v_lshrrev_b32_e32 v0, 20, v0
	s_delay_alu instid0(VALU_DEP_2) | instskip(NEXT) | instid1(VALU_DEP_2)
	v_cmp_ne_u32_e32 vcc_lo, 0x7f00000, v1
	v_cndmask_b32_e32 v19, 0x7e, v0, vcc_lo
                                        ; implicit-def: $vgpr0
; %bb.1753:
	s_and_not1_saveexec_b32 s5, s5
; %bb.1754:
	v_add_f32_e32 v19, 0x46800000, v0
; %bb.1755:
	s_or_b32 exec_lo, exec_lo, s5
                                        ; implicit-def: $vgpr0
.LBB276_1756:
	s_and_not1_saveexec_b32 s1, s1
; %bb.1757:
	v_mov_b32_e32 v1, 0x7f
	v_cmp_lt_u32_e32 vcc_lo, 0x7f800000, v0
	s_delay_alu instid0(VALU_DEP_2)
	v_cndmask_b32_e32 v19, 0x7e, v1, vcc_lo
; %bb.1758:
	s_or_b32 exec_lo, exec_lo, s1
	s_delay_alu instid0(SALU_CYCLE_1)
	s_or_b32 s3, s3, exec_lo
.LBB276_1759:
	s_or_b32 exec_lo, exec_lo, s4
	s_delay_alu instid0(SALU_CYCLE_1) | instskip(SKIP_1) | instid1(SALU_CYCLE_1)
	s_and_not1_b32 s1, s24, exec_lo
	s_and_b32 s2, s2, exec_lo
                                        ; implicit-def: $vgpr3
                                        ; implicit-def: $vgpr0_vgpr1
	s_or_b32 s26, s1, s2
	s_and_b32 s1, s3, exec_lo
.LBB276_1760:
	s_and_not1_saveexec_b32 s0, s0
	s_cbranch_execz .LBB276_1890
; %bb.1761:
	s_mov_b32 s2, exec_lo
                                        ; implicit-def: $vgpr19
	v_cmpx_lt_i16_e32 4, v3
	s_xor_b32 s2, exec_lo, s2
	s_cbranch_execz .LBB276_1831
; %bb.1762:
	s_mov_b32 s3, exec_lo
                                        ; implicit-def: $vgpr19
	v_cmpx_lt_i16_e32 7, v3
	s_xor_b32 s3, exec_lo, s3
	;; [unrolled: 6-line block ×4, first 2 shown]
	s_cbranch_execz .LBB276_1774
; %bb.1765:
	flat_load_b64 v[0:1], v[0:1]
	s_mov_b32 s6, exec_lo
	s_wait_loadcnt_dscnt 0x0
	v_cvt_f32_f64_e32 v0, v[0:1]
                                        ; implicit-def: $vgpr1
	s_delay_alu instid0(VALU_DEP_1) | instskip(NEXT) | instid1(VALU_DEP_1)
	v_and_b32_e32 v3, 0x7fffffff, v0
	v_cmpx_gt_u32_e32 0x43f00000, v3
	s_xor_b32 s6, exec_lo, s6
	s_cbranch_execz .LBB276_1771
; %bb.1766:
	s_mov_b32 s7, exec_lo
                                        ; implicit-def: $vgpr1
	v_cmpx_lt_u32_e32 0x3c7fffff, v3
	s_xor_b32 s7, exec_lo, s7
; %bb.1767:
	v_bfe_u32 v1, v0, 20, 1
	s_delay_alu instid0(VALU_DEP_1) | instskip(NEXT) | instid1(VALU_DEP_1)
	v_add3_u32 v1, v0, v1, 0x407ffff
	v_and_b32_e32 v3, 0xff00000, v1
	v_lshrrev_b32_e32 v1, 20, v1
	s_delay_alu instid0(VALU_DEP_2) | instskip(NEXT) | instid1(VALU_DEP_2)
	v_cmp_ne_u32_e32 vcc_lo, 0x7f00000, v3
	v_cndmask_b32_e32 v1, 0x7e, v1, vcc_lo
; %bb.1768:
	s_and_not1_saveexec_b32 s7, s7
; %bb.1769:
	v_add_f32_e64 v1, 0x46800000, |v0|
; %bb.1770:
	s_or_b32 exec_lo, exec_lo, s7
                                        ; implicit-def: $vgpr3
.LBB276_1771:
	s_and_not1_saveexec_b32 s6, s6
; %bb.1772:
	v_mov_b32_e32 v1, 0x7f
	v_cmp_lt_u32_e32 vcc_lo, 0x7f800000, v3
	s_delay_alu instid0(VALU_DEP_2)
	v_cndmask_b32_e32 v1, 0x7e, v1, vcc_lo
; %bb.1773:
	s_or_b32 exec_lo, exec_lo, s6
	v_lshrrev_b32_e32 v0, 24, v0
	s_delay_alu instid0(VALU_DEP_1)
	v_and_or_b32 v19, 0x80, v0, v1
                                        ; implicit-def: $vgpr0_vgpr1
.LBB276_1774:
	s_and_not1_saveexec_b32 s5, s5
	s_cbranch_execz .LBB276_1784
; %bb.1775:
	flat_load_b32 v0, v[0:1]
	s_mov_b32 s6, exec_lo
                                        ; implicit-def: $vgpr1
	s_wait_loadcnt_dscnt 0x0
	v_and_b32_e32 v3, 0x7fffffff, v0
	s_wait_xcnt 0x0
	s_delay_alu instid0(VALU_DEP_1)
	v_cmpx_gt_u32_e32 0x43f00000, v3
	s_xor_b32 s6, exec_lo, s6
	s_cbranch_execz .LBB276_1781
; %bb.1776:
	s_mov_b32 s7, exec_lo
                                        ; implicit-def: $vgpr1
	v_cmpx_lt_u32_e32 0x3c7fffff, v3
	s_xor_b32 s7, exec_lo, s7
; %bb.1777:
	v_bfe_u32 v1, v0, 20, 1
	s_delay_alu instid0(VALU_DEP_1) | instskip(NEXT) | instid1(VALU_DEP_1)
	v_add3_u32 v1, v0, v1, 0x407ffff
	v_and_b32_e32 v3, 0xff00000, v1
	v_lshrrev_b32_e32 v1, 20, v1
	s_delay_alu instid0(VALU_DEP_2) | instskip(NEXT) | instid1(VALU_DEP_2)
	v_cmp_ne_u32_e32 vcc_lo, 0x7f00000, v3
	v_cndmask_b32_e32 v1, 0x7e, v1, vcc_lo
; %bb.1778:
	s_and_not1_saveexec_b32 s7, s7
; %bb.1779:
	v_add_f32_e64 v1, 0x46800000, |v0|
; %bb.1780:
	s_or_b32 exec_lo, exec_lo, s7
                                        ; implicit-def: $vgpr3
.LBB276_1781:
	s_and_not1_saveexec_b32 s6, s6
; %bb.1782:
	v_mov_b32_e32 v1, 0x7f
	v_cmp_lt_u32_e32 vcc_lo, 0x7f800000, v3
	s_delay_alu instid0(VALU_DEP_2)
	v_cndmask_b32_e32 v1, 0x7e, v1, vcc_lo
; %bb.1783:
	s_or_b32 exec_lo, exec_lo, s6
	v_lshrrev_b32_e32 v0, 24, v0
	s_delay_alu instid0(VALU_DEP_1)
	v_and_or_b32 v19, 0x80, v0, v1
.LBB276_1784:
	s_or_b32 exec_lo, exec_lo, s5
                                        ; implicit-def: $vgpr0_vgpr1
.LBB276_1785:
	s_and_not1_saveexec_b32 s4, s4
	s_cbranch_execz .LBB276_1795
; %bb.1786:
	flat_load_b32 v0, v[0:1]
	s_mov_b32 s5, exec_lo
                                        ; implicit-def: $vgpr1
	s_wait_loadcnt_dscnt 0x0
	v_cvt_f32_f16_e32 v0, v0
	s_delay_alu instid0(VALU_DEP_1) | instskip(NEXT) | instid1(VALU_DEP_1)
	v_and_b32_e32 v3, 0x7fffffff, v0
	v_cmpx_gt_u32_e32 0x43f00000, v3
	s_xor_b32 s5, exec_lo, s5
	s_cbranch_execz .LBB276_1792
; %bb.1787:
	s_mov_b32 s6, exec_lo
                                        ; implicit-def: $vgpr1
	v_cmpx_lt_u32_e32 0x3c7fffff, v3
	s_xor_b32 s6, exec_lo, s6
; %bb.1788:
	v_bfe_u32 v1, v0, 20, 1
	s_delay_alu instid0(VALU_DEP_1) | instskip(NEXT) | instid1(VALU_DEP_1)
	v_add3_u32 v1, v0, v1, 0x407ffff
	v_and_b32_e32 v3, 0xff00000, v1
	v_lshrrev_b32_e32 v1, 20, v1
	s_delay_alu instid0(VALU_DEP_2) | instskip(NEXT) | instid1(VALU_DEP_2)
	v_cmp_ne_u32_e32 vcc_lo, 0x7f00000, v3
	v_cndmask_b32_e32 v1, 0x7e, v1, vcc_lo
; %bb.1789:
	s_and_not1_saveexec_b32 s6, s6
; %bb.1790:
	v_add_f32_e64 v1, 0x46800000, |v0|
; %bb.1791:
	s_or_b32 exec_lo, exec_lo, s6
                                        ; implicit-def: $vgpr3
.LBB276_1792:
	s_and_not1_saveexec_b32 s5, s5
; %bb.1793:
	v_mov_b32_e32 v1, 0x7f
	v_cmp_lt_u32_e32 vcc_lo, 0x7f800000, v3
	s_delay_alu instid0(VALU_DEP_2)
	v_cndmask_b32_e32 v1, 0x7e, v1, vcc_lo
; %bb.1794:
	s_or_b32 exec_lo, exec_lo, s5
	v_lshrrev_b32_e32 v0, 24, v0
	s_delay_alu instid0(VALU_DEP_1)
	v_and_or_b32 v19, 0x80, v0, v1
.LBB276_1795:
	s_or_b32 exec_lo, exec_lo, s4
                                        ; implicit-def: $vgpr3
                                        ; implicit-def: $vgpr0_vgpr1
.LBB276_1796:
	s_and_not1_saveexec_b32 s3, s3
	s_cbranch_execz .LBB276_1830
; %bb.1797:
	s_mov_b32 s4, exec_lo
                                        ; implicit-def: $vgpr19
	v_cmpx_lt_i16_e32 5, v3
	s_xor_b32 s4, exec_lo, s4
	s_cbranch_execz .LBB276_1819
; %bb.1798:
	s_mov_b32 s5, exec_lo
                                        ; implicit-def: $vgpr19
	v_cmpx_lt_i16_e32 6, v3
	s_xor_b32 s5, exec_lo, s5
	s_cbranch_execz .LBB276_1808
; %bb.1799:
	flat_load_b64 v[0:1], v[0:1]
	s_mov_b32 s6, exec_lo
	s_wait_loadcnt_dscnt 0x0
	v_cvt_f32_f64_e32 v0, v[0:1]
                                        ; implicit-def: $vgpr1
	s_delay_alu instid0(VALU_DEP_1) | instskip(NEXT) | instid1(VALU_DEP_1)
	v_and_b32_e32 v3, 0x7fffffff, v0
	v_cmpx_gt_u32_e32 0x43f00000, v3
	s_xor_b32 s6, exec_lo, s6
	s_cbranch_execz .LBB276_1805
; %bb.1800:
	s_mov_b32 s7, exec_lo
                                        ; implicit-def: $vgpr1
	v_cmpx_lt_u32_e32 0x3c7fffff, v3
	s_xor_b32 s7, exec_lo, s7
; %bb.1801:
	v_bfe_u32 v1, v0, 20, 1
	s_delay_alu instid0(VALU_DEP_1) | instskip(NEXT) | instid1(VALU_DEP_1)
	v_add3_u32 v1, v0, v1, 0x407ffff
	v_and_b32_e32 v3, 0xff00000, v1
	v_lshrrev_b32_e32 v1, 20, v1
	s_delay_alu instid0(VALU_DEP_2) | instskip(NEXT) | instid1(VALU_DEP_2)
	v_cmp_ne_u32_e32 vcc_lo, 0x7f00000, v3
	v_cndmask_b32_e32 v1, 0x7e, v1, vcc_lo
; %bb.1802:
	s_and_not1_saveexec_b32 s7, s7
; %bb.1803:
	v_add_f32_e64 v1, 0x46800000, |v0|
; %bb.1804:
	s_or_b32 exec_lo, exec_lo, s7
                                        ; implicit-def: $vgpr3
.LBB276_1805:
	s_and_not1_saveexec_b32 s6, s6
; %bb.1806:
	v_mov_b32_e32 v1, 0x7f
	v_cmp_lt_u32_e32 vcc_lo, 0x7f800000, v3
	s_delay_alu instid0(VALU_DEP_2)
	v_cndmask_b32_e32 v1, 0x7e, v1, vcc_lo
; %bb.1807:
	s_or_b32 exec_lo, exec_lo, s6
	v_lshrrev_b32_e32 v0, 24, v0
	s_delay_alu instid0(VALU_DEP_1)
	v_and_or_b32 v19, 0x80, v0, v1
                                        ; implicit-def: $vgpr0_vgpr1
.LBB276_1808:
	s_and_not1_saveexec_b32 s5, s5
	s_cbranch_execz .LBB276_1818
; %bb.1809:
	flat_load_b32 v0, v[0:1]
	s_mov_b32 s6, exec_lo
                                        ; implicit-def: $vgpr1
	s_wait_loadcnt_dscnt 0x0
	v_and_b32_e32 v3, 0x7fffffff, v0
	s_wait_xcnt 0x0
	s_delay_alu instid0(VALU_DEP_1)
	v_cmpx_gt_u32_e32 0x43f00000, v3
	s_xor_b32 s6, exec_lo, s6
	s_cbranch_execz .LBB276_1815
; %bb.1810:
	s_mov_b32 s7, exec_lo
                                        ; implicit-def: $vgpr1
	v_cmpx_lt_u32_e32 0x3c7fffff, v3
	s_xor_b32 s7, exec_lo, s7
; %bb.1811:
	v_bfe_u32 v1, v0, 20, 1
	s_delay_alu instid0(VALU_DEP_1) | instskip(NEXT) | instid1(VALU_DEP_1)
	v_add3_u32 v1, v0, v1, 0x407ffff
	v_and_b32_e32 v3, 0xff00000, v1
	v_lshrrev_b32_e32 v1, 20, v1
	s_delay_alu instid0(VALU_DEP_2) | instskip(NEXT) | instid1(VALU_DEP_2)
	v_cmp_ne_u32_e32 vcc_lo, 0x7f00000, v3
	v_cndmask_b32_e32 v1, 0x7e, v1, vcc_lo
; %bb.1812:
	s_and_not1_saveexec_b32 s7, s7
; %bb.1813:
	v_add_f32_e64 v1, 0x46800000, |v0|
; %bb.1814:
	s_or_b32 exec_lo, exec_lo, s7
                                        ; implicit-def: $vgpr3
.LBB276_1815:
	s_and_not1_saveexec_b32 s6, s6
; %bb.1816:
	v_mov_b32_e32 v1, 0x7f
	v_cmp_lt_u32_e32 vcc_lo, 0x7f800000, v3
	s_delay_alu instid0(VALU_DEP_2)
	v_cndmask_b32_e32 v1, 0x7e, v1, vcc_lo
; %bb.1817:
	s_or_b32 exec_lo, exec_lo, s6
	v_lshrrev_b32_e32 v0, 24, v0
	s_delay_alu instid0(VALU_DEP_1)
	v_and_or_b32 v19, 0x80, v0, v1
.LBB276_1818:
	s_or_b32 exec_lo, exec_lo, s5
                                        ; implicit-def: $vgpr0_vgpr1
.LBB276_1819:
	s_and_not1_saveexec_b32 s4, s4
	s_cbranch_execz .LBB276_1829
; %bb.1820:
	flat_load_u16 v0, v[0:1]
	s_mov_b32 s5, exec_lo
                                        ; implicit-def: $vgpr1
	s_wait_loadcnt_dscnt 0x0
	v_cvt_f32_f16_e32 v0, v0
	s_delay_alu instid0(VALU_DEP_1) | instskip(NEXT) | instid1(VALU_DEP_1)
	v_and_b32_e32 v3, 0x7fffffff, v0
	v_cmpx_gt_u32_e32 0x43f00000, v3
	s_xor_b32 s5, exec_lo, s5
	s_cbranch_execz .LBB276_1826
; %bb.1821:
	s_mov_b32 s6, exec_lo
                                        ; implicit-def: $vgpr1
	v_cmpx_lt_u32_e32 0x3c7fffff, v3
	s_xor_b32 s6, exec_lo, s6
; %bb.1822:
	v_bfe_u32 v1, v0, 20, 1
	s_delay_alu instid0(VALU_DEP_1) | instskip(NEXT) | instid1(VALU_DEP_1)
	v_add3_u32 v1, v0, v1, 0x407ffff
	v_and_b32_e32 v3, 0xff00000, v1
	v_lshrrev_b32_e32 v1, 20, v1
	s_delay_alu instid0(VALU_DEP_2) | instskip(NEXT) | instid1(VALU_DEP_2)
	v_cmp_ne_u32_e32 vcc_lo, 0x7f00000, v3
	v_cndmask_b32_e32 v1, 0x7e, v1, vcc_lo
; %bb.1823:
	s_and_not1_saveexec_b32 s6, s6
; %bb.1824:
	v_add_f32_e64 v1, 0x46800000, |v0|
; %bb.1825:
	s_or_b32 exec_lo, exec_lo, s6
                                        ; implicit-def: $vgpr3
.LBB276_1826:
	s_and_not1_saveexec_b32 s5, s5
; %bb.1827:
	v_mov_b32_e32 v1, 0x7f
	v_cmp_lt_u32_e32 vcc_lo, 0x7f800000, v3
	s_delay_alu instid0(VALU_DEP_2)
	v_cndmask_b32_e32 v1, 0x7e, v1, vcc_lo
; %bb.1828:
	s_or_b32 exec_lo, exec_lo, s5
	v_lshrrev_b32_e32 v0, 24, v0
	s_delay_alu instid0(VALU_DEP_1)
	v_and_or_b32 v19, 0x80, v0, v1
.LBB276_1829:
	s_or_b32 exec_lo, exec_lo, s4
.LBB276_1830:
	s_delay_alu instid0(SALU_CYCLE_1)
	s_or_b32 exec_lo, exec_lo, s3
                                        ; implicit-def: $vgpr3
                                        ; implicit-def: $vgpr0_vgpr1
.LBB276_1831:
	s_and_not1_saveexec_b32 s2, s2
	s_cbranch_execz .LBB276_1889
; %bb.1832:
	s_mov_b32 s3, exec_lo
                                        ; implicit-def: $vgpr19
	v_cmpx_lt_i16_e32 1, v3
	s_xor_b32 s3, exec_lo, s3
	s_cbranch_execz .LBB276_1866
; %bb.1833:
	s_mov_b32 s4, exec_lo
                                        ; implicit-def: $vgpr19
	v_cmpx_lt_i16_e32 2, v3
	s_xor_b32 s4, exec_lo, s4
	;; [unrolled: 6-line block ×3, first 2 shown]
	s_cbranch_execz .LBB276_1844
; %bb.1835:
	flat_load_b64 v[0:1], v[0:1]
	s_mov_b32 s6, exec_lo
	s_wait_loadcnt_dscnt 0x0
	v_xor_b32_e32 v3, v0, v1
	v_cls_i32_e32 v4, v1
	s_delay_alu instid0(VALU_DEP_2) | instskip(NEXT) | instid1(VALU_DEP_1)
	v_ashrrev_i32_e32 v3, 31, v3
	v_add_nc_u32_e32 v3, 32, v3
	s_delay_alu instid0(VALU_DEP_1) | instskip(SKIP_1) | instid1(VALU_DEP_1)
	v_add_min_u32_e64 v3, v4, -1, v3
	s_wait_xcnt 0x0
	v_lshlrev_b64_e32 v[0:1], v3, v[0:1]
	s_delay_alu instid0(VALU_DEP_1) | instskip(NEXT) | instid1(VALU_DEP_1)
	v_min_u32_e32 v0, 1, v0
	v_dual_sub_nc_u32 v1, 32, v3 :: v_dual_bitop2_b32 v0, v1, v0 bitop3:0x54
	s_delay_alu instid0(VALU_DEP_1) | instskip(NEXT) | instid1(VALU_DEP_1)
	v_cvt_f32_i32_e32 v0, v0
	v_ldexp_f32 v0, v0, v1
                                        ; implicit-def: $vgpr1
	s_delay_alu instid0(VALU_DEP_1) | instskip(NEXT) | instid1(VALU_DEP_1)
	v_and_b32_e32 v3, 0x7fffffff, v0
	v_cmpx_gt_u32_e32 0x43f00000, v3
	s_xor_b32 s6, exec_lo, s6
	s_cbranch_execz .LBB276_1841
; %bb.1836:
	s_mov_b32 s7, exec_lo
                                        ; implicit-def: $vgpr1
	v_cmpx_lt_u32_e32 0x3c7fffff, v3
	s_xor_b32 s7, exec_lo, s7
; %bb.1837:
	v_bfe_u32 v1, v0, 20, 1
	s_delay_alu instid0(VALU_DEP_1) | instskip(NEXT) | instid1(VALU_DEP_1)
	v_add3_u32 v1, v0, v1, 0x407ffff
	v_and_b32_e32 v3, 0xff00000, v1
	v_lshrrev_b32_e32 v1, 20, v1
	s_delay_alu instid0(VALU_DEP_2) | instskip(NEXT) | instid1(VALU_DEP_2)
	v_cmp_ne_u32_e32 vcc_lo, 0x7f00000, v3
	v_cndmask_b32_e32 v1, 0x7e, v1, vcc_lo
; %bb.1838:
	s_and_not1_saveexec_b32 s7, s7
; %bb.1839:
	v_add_f32_e64 v1, 0x46800000, |v0|
; %bb.1840:
	s_or_b32 exec_lo, exec_lo, s7
                                        ; implicit-def: $vgpr3
.LBB276_1841:
	s_and_not1_saveexec_b32 s6, s6
; %bb.1842:
	v_mov_b32_e32 v1, 0x7f
	v_cmp_lt_u32_e32 vcc_lo, 0x7f800000, v3
	s_delay_alu instid0(VALU_DEP_2)
	v_cndmask_b32_e32 v1, 0x7e, v1, vcc_lo
; %bb.1843:
	s_or_b32 exec_lo, exec_lo, s6
	v_lshrrev_b32_e32 v0, 24, v0
	s_delay_alu instid0(VALU_DEP_1)
	v_and_or_b32 v19, 0x80, v0, v1
                                        ; implicit-def: $vgpr0_vgpr1
.LBB276_1844:
	s_and_not1_saveexec_b32 s5, s5
	s_cbranch_execz .LBB276_1854
; %bb.1845:
	flat_load_b32 v0, v[0:1]
	s_mov_b32 s6, exec_lo
                                        ; implicit-def: $vgpr1
	s_wait_loadcnt_dscnt 0x0
	v_cvt_f32_i32_e32 v0, v0
	s_delay_alu instid0(VALU_DEP_1) | instskip(NEXT) | instid1(VALU_DEP_1)
	v_and_b32_e32 v3, 0x7fffffff, v0
	v_cmpx_gt_u32_e32 0x43f00000, v3
	s_xor_b32 s6, exec_lo, s6
	s_cbranch_execz .LBB276_1851
; %bb.1846:
	s_mov_b32 s7, exec_lo
                                        ; implicit-def: $vgpr1
	v_cmpx_lt_u32_e32 0x3c7fffff, v3
	s_xor_b32 s7, exec_lo, s7
; %bb.1847:
	v_bfe_u32 v1, v0, 20, 1
	s_delay_alu instid0(VALU_DEP_1) | instskip(NEXT) | instid1(VALU_DEP_1)
	v_add3_u32 v1, v0, v1, 0x407ffff
	v_and_b32_e32 v3, 0xff00000, v1
	v_lshrrev_b32_e32 v1, 20, v1
	s_delay_alu instid0(VALU_DEP_2) | instskip(NEXT) | instid1(VALU_DEP_2)
	v_cmp_ne_u32_e32 vcc_lo, 0x7f00000, v3
	v_cndmask_b32_e32 v1, 0x7e, v1, vcc_lo
; %bb.1848:
	s_and_not1_saveexec_b32 s7, s7
; %bb.1849:
	v_add_f32_e64 v1, 0x46800000, |v0|
; %bb.1850:
	s_or_b32 exec_lo, exec_lo, s7
                                        ; implicit-def: $vgpr3
.LBB276_1851:
	s_and_not1_saveexec_b32 s6, s6
; %bb.1852:
	v_mov_b32_e32 v1, 0x7f
	v_cmp_lt_u32_e32 vcc_lo, 0x7f800000, v3
	s_delay_alu instid0(VALU_DEP_2)
	v_cndmask_b32_e32 v1, 0x7e, v1, vcc_lo
; %bb.1853:
	s_or_b32 exec_lo, exec_lo, s6
	v_lshrrev_b32_e32 v0, 24, v0
	s_delay_alu instid0(VALU_DEP_1)
	v_and_or_b32 v19, 0x80, v0, v1
.LBB276_1854:
	s_or_b32 exec_lo, exec_lo, s5
                                        ; implicit-def: $vgpr0_vgpr1
.LBB276_1855:
	s_and_not1_saveexec_b32 s4, s4
	s_cbranch_execz .LBB276_1865
; %bb.1856:
	flat_load_i16 v0, v[0:1]
	s_mov_b32 s5, exec_lo
                                        ; implicit-def: $vgpr1
	s_wait_loadcnt_dscnt 0x0
	v_cvt_f32_i32_e32 v0, v0
	s_delay_alu instid0(VALU_DEP_1) | instskip(NEXT) | instid1(VALU_DEP_1)
	v_and_b32_e32 v3, 0x7fffffff, v0
	v_cmpx_gt_u32_e32 0x43f00000, v3
	s_xor_b32 s5, exec_lo, s5
	s_cbranch_execz .LBB276_1862
; %bb.1857:
	s_mov_b32 s6, exec_lo
                                        ; implicit-def: $vgpr1
	v_cmpx_lt_u32_e32 0x3c7fffff, v3
	s_xor_b32 s6, exec_lo, s6
; %bb.1858:
	v_bfe_u32 v1, v0, 20, 1
	s_delay_alu instid0(VALU_DEP_1) | instskip(NEXT) | instid1(VALU_DEP_1)
	v_add3_u32 v1, v0, v1, 0x407ffff
	v_and_b32_e32 v3, 0xff00000, v1
	v_lshrrev_b32_e32 v1, 20, v1
	s_delay_alu instid0(VALU_DEP_2) | instskip(NEXT) | instid1(VALU_DEP_2)
	v_cmp_ne_u32_e32 vcc_lo, 0x7f00000, v3
	v_cndmask_b32_e32 v1, 0x7e, v1, vcc_lo
; %bb.1859:
	s_and_not1_saveexec_b32 s6, s6
; %bb.1860:
	v_add_f32_e64 v1, 0x46800000, |v0|
; %bb.1861:
	s_or_b32 exec_lo, exec_lo, s6
                                        ; implicit-def: $vgpr3
.LBB276_1862:
	s_and_not1_saveexec_b32 s5, s5
; %bb.1863:
	v_mov_b32_e32 v1, 0x7f
	v_cmp_lt_u32_e32 vcc_lo, 0x7f800000, v3
	s_delay_alu instid0(VALU_DEP_2)
	v_cndmask_b32_e32 v1, 0x7e, v1, vcc_lo
; %bb.1864:
	s_or_b32 exec_lo, exec_lo, s5
	v_lshrrev_b32_e32 v0, 24, v0
	s_delay_alu instid0(VALU_DEP_1)
	v_and_or_b32 v19, 0x80, v0, v1
.LBB276_1865:
	s_or_b32 exec_lo, exec_lo, s4
                                        ; implicit-def: $vgpr3
                                        ; implicit-def: $vgpr0_vgpr1
.LBB276_1866:
	s_and_not1_saveexec_b32 s3, s3
	s_cbranch_execz .LBB276_1888
; %bb.1867:
	s_mov_b32 s4, exec_lo
                                        ; implicit-def: $vgpr19
	v_cmpx_lt_i16_e32 0, v3
	s_xor_b32 s4, exec_lo, s4
	s_cbranch_execz .LBB276_1877
; %bb.1868:
	flat_load_i8 v0, v[0:1]
	s_mov_b32 s5, exec_lo
                                        ; implicit-def: $vgpr1
	s_wait_loadcnt_dscnt 0x0
	v_cvt_f32_i32_e32 v0, v0
	s_delay_alu instid0(VALU_DEP_1) | instskip(NEXT) | instid1(VALU_DEP_1)
	v_and_b32_e32 v3, 0x7fffffff, v0
	v_cmpx_gt_u32_e32 0x43f00000, v3
	s_xor_b32 s5, exec_lo, s5
	s_cbranch_execz .LBB276_1874
; %bb.1869:
	s_mov_b32 s6, exec_lo
                                        ; implicit-def: $vgpr1
	v_cmpx_lt_u32_e32 0x3c7fffff, v3
	s_xor_b32 s6, exec_lo, s6
; %bb.1870:
	v_bfe_u32 v1, v0, 20, 1
	s_delay_alu instid0(VALU_DEP_1) | instskip(NEXT) | instid1(VALU_DEP_1)
	v_add3_u32 v1, v0, v1, 0x407ffff
	v_and_b32_e32 v3, 0xff00000, v1
	v_lshrrev_b32_e32 v1, 20, v1
	s_delay_alu instid0(VALU_DEP_2) | instskip(NEXT) | instid1(VALU_DEP_2)
	v_cmp_ne_u32_e32 vcc_lo, 0x7f00000, v3
	v_cndmask_b32_e32 v1, 0x7e, v1, vcc_lo
; %bb.1871:
	s_and_not1_saveexec_b32 s6, s6
; %bb.1872:
	v_add_f32_e64 v1, 0x46800000, |v0|
; %bb.1873:
	s_or_b32 exec_lo, exec_lo, s6
                                        ; implicit-def: $vgpr3
.LBB276_1874:
	s_and_not1_saveexec_b32 s5, s5
; %bb.1875:
	v_mov_b32_e32 v1, 0x7f
	v_cmp_lt_u32_e32 vcc_lo, 0x7f800000, v3
	s_delay_alu instid0(VALU_DEP_2)
	v_cndmask_b32_e32 v1, 0x7e, v1, vcc_lo
; %bb.1876:
	s_or_b32 exec_lo, exec_lo, s5
	v_lshrrev_b32_e32 v0, 24, v0
	s_delay_alu instid0(VALU_DEP_1)
	v_and_or_b32 v19, 0x80, v0, v1
                                        ; implicit-def: $vgpr0_vgpr1
.LBB276_1877:
	s_and_not1_saveexec_b32 s4, s4
	s_cbranch_execz .LBB276_1887
; %bb.1878:
	flat_load_u8 v0, v[0:1]
	s_mov_b32 s5, exec_lo
                                        ; implicit-def: $vgpr19
	s_wait_loadcnt_dscnt 0x0
	v_cvt_f32_ubyte0_e32 v0, v0
	s_delay_alu instid0(VALU_DEP_1)
	v_cmpx_gt_u32_e32 0x43f00000, v0
	s_xor_b32 s5, exec_lo, s5
	s_cbranch_execz .LBB276_1884
; %bb.1879:
	s_mov_b32 s6, exec_lo
                                        ; implicit-def: $vgpr19
	v_cmpx_lt_u32_e32 0x3c7fffff, v0
	s_xor_b32 s6, exec_lo, s6
; %bb.1880:
	v_bfe_u32 v1, v0, 20, 1
	s_delay_alu instid0(VALU_DEP_1) | instskip(NEXT) | instid1(VALU_DEP_1)
	v_add3_u32 v0, v0, v1, 0x407ffff
	v_and_b32_e32 v1, 0xff00000, v0
	v_lshrrev_b32_e32 v0, 20, v0
	s_delay_alu instid0(VALU_DEP_2) | instskip(NEXT) | instid1(VALU_DEP_2)
	v_cmp_ne_u32_e32 vcc_lo, 0x7f00000, v1
	v_cndmask_b32_e32 v19, 0x7e, v0, vcc_lo
                                        ; implicit-def: $vgpr0
; %bb.1881:
	s_and_not1_saveexec_b32 s6, s6
; %bb.1882:
	v_add_f32_e32 v19, 0x46800000, v0
; %bb.1883:
	s_or_b32 exec_lo, exec_lo, s6
                                        ; implicit-def: $vgpr0
.LBB276_1884:
	s_and_not1_saveexec_b32 s5, s5
; %bb.1885:
	v_mov_b32_e32 v1, 0x7f
	v_cmp_lt_u32_e32 vcc_lo, 0x7f800000, v0
	s_delay_alu instid0(VALU_DEP_2)
	v_cndmask_b32_e32 v19, 0x7e, v1, vcc_lo
; %bb.1886:
	s_or_b32 exec_lo, exec_lo, s5
.LBB276_1887:
	s_delay_alu instid0(SALU_CYCLE_1)
	s_or_b32 exec_lo, exec_lo, s4
.LBB276_1888:
	s_delay_alu instid0(SALU_CYCLE_1)
	s_or_b32 exec_lo, exec_lo, s3
.LBB276_1889:
	s_delay_alu instid0(SALU_CYCLE_1) | instskip(NEXT) | instid1(SALU_CYCLE_1)
	s_or_b32 exec_lo, exec_lo, s2
	s_or_b32 s1, s1, exec_lo
.LBB276_1890:
	s_or_b32 exec_lo, exec_lo, s0
	s_mov_b32 s0, 0
	s_mov_b32 s2, 0
	;; [unrolled: 1-line block ×3, first 2 shown]
                                        ; implicit-def: $sgpr3
                                        ; implicit-def: $vgpr22_vgpr23
                                        ; implicit-def: $vgpr5
	s_and_saveexec_b32 s27, s1
	s_cbranch_execz .LBB276_2186
; %bb.1891:
	v_mbcnt_lo_u32_b32 v1, -1, 0
	v_mov_b32_e32 v0, 0x1a8
	s_get_pc_i64 s[0:1]
	s_add_nc_u64 s[0:1], s[0:1], _ZN2at6native6invokeINS0_13BinaryFunctorIN3c1013Float8_e4m3fnES4_bNS0_12_GLOBAL__N_116CompareEqFunctorIS4_EEEEj15function_traitsIS8_EEENT1_11result_typeERKT_PrKPcPKT0_PKNS3_10ScalarTypeEi@rel64+4
	s_mov_b32 s28, 0
	v_lshlrev_b32_e32 v1, 20, v1
	s_delay_alu instid0(VALU_DEP_1) | instskip(SKIP_1) | instid1(VALU_DEP_1)
	v_add_nc_u64_e32 v[4:5], src_flat_scratch_base_lo, v[0:1]
	v_dual_mov_b32 v0, 12 :: v_dual_mov_b32 v3, v1
	v_add_nc_u64_e32 v[6:7], src_flat_scratch_base_lo, v[0:1]
	s_delay_alu instid0(VALU_DEP_2) | instskip(NEXT) | instid1(VALU_DEP_4)
	v_add_nc_u64_e32 v[8:9], src_flat_scratch_base_lo, v[2:3]
	v_dual_mov_b32 v0, v15 :: v_dual_mov_b32 v1, v4
	v_mov_b32_e32 v2, v5
	s_delay_alu instid0(VALU_DEP_4) | instskip(NEXT) | instid1(VALU_DEP_1)
	v_add_nc_u64_e32 v[6:7], 4, v[6:7]
	v_dual_mov_b32 v5, v8 :: v_dual_mov_b32 v3, v6
	s_delay_alu instid0(VALU_DEP_2)
	v_dual_mov_b32 v4, v7 :: v_dual_mov_b32 v6, v9
	s_swap_pc_i64 s[30:31], s[0:1]
	scratch_load_u8 v2, off, off offset:444
	v_dual_lshlrev_b32 v1, 24, v25 :: v_dual_bitop2_b32 v0, 1, v0 bitop3:0x40
	s_mov_b32 s4, s26
	s_mov_b32 s2, exec_lo
	v_mov_b32_e32 v29, 0
	s_delay_alu instid0(VALU_DEP_2) | instskip(SKIP_2) | instid1(VALU_DEP_2)
	v_cmp_eq_u32_e64 s3, 1, v0
	v_lshlrev_b32_e32 v0, 24, v21
	v_and_b32_e32 v4, 0x7f000000, v1
	v_and_b32_e32 v3, 0x7f000000, v0
	s_delay_alu instid0(VALU_DEP_2) | instskip(NEXT) | instid1(VALU_DEP_2)
	v_clz_i32_u32_e32 v6, v4
	v_clz_i32_u32_e32 v5, v3
	s_delay_alu instid0(VALU_DEP_2) | instskip(SKIP_1) | instid1(VALU_DEP_3)
	v_min_u32_e32 v6, 32, v6
	v_cmp_ne_u32_e32 vcc_lo, 0, v3
	v_min_u32_e32 v5, 32, v5
	s_delay_alu instid0(VALU_DEP_3) | instskip(NEXT) | instid1(VALU_DEP_2)
	v_sub_nc_u32_e64 v6, v6, 4 clamp
	v_sub_nc_u32_e64 v5, v5, 4 clamp
	s_delay_alu instid0(VALU_DEP_1) | instskip(NEXT) | instid1(VALU_DEP_1)
	v_dual_lshlrev_b32 v7, v5, v3 :: v_dual_lshlrev_b32 v8, v6, v4
	v_dual_lshrrev_b32 v7, 4, v7 :: v_dual_lshlrev_b32 v5, 23, v5
	s_delay_alu instid0(VALU_DEP_2) | instskip(NEXT) | instid1(VALU_DEP_2)
	v_dual_lshrrev_b32 v8, 4, v8 :: v_dual_lshlrev_b32 v6, 23, v6
	v_sub_nc_u32_e32 v5, v7, v5
	v_add_nc_u32_e32 v7, 0x1000000, v4
	s_delay_alu instid0(VALU_DEP_3) | instskip(NEXT) | instid1(VALU_DEP_3)
	v_sub_nc_u32_e32 v6, v8, v6
	v_add_nc_u32_e32 v5, 0x3c000000, v5
	s_delay_alu instid0(VALU_DEP_3) | instskip(NEXT) | instid1(VALU_DEP_3)
	v_ashrrev_i32_e32 v7, 8, v7
	v_add_nc_u32_e32 v6, 0x3c000000, v6
	s_delay_alu instid0(VALU_DEP_1) | instskip(SKIP_1) | instid1(VALU_DEP_1)
	v_and_or_b32 v6, 0x7f800000, v7, v6
	v_add_nc_u32_e32 v9, 0x1000000, v3
	v_ashrrev_i32_e32 v8, 8, v9
	s_delay_alu instid0(VALU_DEP_1) | instskip(NEXT) | instid1(VALU_DEP_1)
	v_and_or_b32 v5, 0x7f800000, v8, v5
	v_cndmask_b32_e32 v3, 0, v5, vcc_lo
	v_cmp_ne_u32_e32 vcc_lo, 0, v4
	s_delay_alu instid0(VALU_DEP_2) | instskip(SKIP_1) | instid1(VALU_DEP_1)
	v_and_or_b32 v0, 0x80000000, v0, v3
	v_cndmask_b32_e32 v4, 0, v6, vcc_lo
	v_and_or_b32 v1, 0x80000000, v1, v4
	s_delay_alu instid0(VALU_DEP_1) | instskip(SKIP_4) | instid1(VALU_DEP_2)
	v_cmp_eq_f32_e32 vcc_lo, v0, v1
	v_cndmask_b32_e64 v3, 0, 1, vcc_lo
	v_cmp_neq_f32_e32 vcc_lo, v0, v1
	v_cndmask_b32_e64 v0, 0, 1, vcc_lo
	v_cmp_eq_u32_e32 vcc_lo, 0, v15
	v_cndmask_b32_e32 v0, v0, v3, vcc_lo
	s_delay_alu instid0(VALU_DEP_1) | instskip(SKIP_1) | instid1(VALU_DEP_2)
	v_and_b32_e32 v3, 1, v0
	v_add_nc_u64_e32 v[0:1], v[16:17], v[28:29]
	v_cmp_eq_u32_e64 s0, 1, v3
	s_wait_loadcnt 0x0
	v_cmpx_lt_i16_e32 10, v2
	s_xor_b32 s5, exec_lo, s2
	s_cbranch_execz .LBB276_1932
; %bb.1892:
	s_mov_b32 s6, 0
	s_mov_b32 s4, 0
	;; [unrolled: 1-line block ×3, first 2 shown]
	s_mov_b32 s7, exec_lo
	v_cmpx_lt_i16_e32 25, v2
	s_xor_b32 s7, exec_lo, s7
	s_cbranch_execz .LBB276_2645
; %bb.1893:
	s_mov_b32 s8, 0
	s_mov_b32 s4, exec_lo
	v_cmpx_lt_i16_e32 28, v2
	s_xor_b32 s4, exec_lo, s4
	s_cbranch_execz .LBB276_1911
; %bb.1894:
	s_mov_b32 s9, 0
	;; [unrolled: 6-line block ×3, first 2 shown]
	s_mov_b32 s2, exec_lo
	v_cmpx_lt_i16_e32 45, v2
	s_xor_b32 s2, exec_lo, s2
	s_cbranch_execz .LBB276_1899
; %bb.1896:
	s_mov_b32 s11, -1
	s_mov_b32 s10, exec_lo
	v_cmpx_eq_u16_e32 46, v2
	s_cbranch_execz .LBB276_1898
; %bb.1897:
	v_cndmask_b32_e64 v2, 0, 1.0, s0
	s_mov_b32 s9, exec_lo
	s_xor_b32 s11, exec_lo, -1
	s_delay_alu instid0(VALU_DEP_1) | instskip(NEXT) | instid1(VALU_DEP_1)
	v_bfe_u32 v3, v2, 16, 1
	v_add3_u32 v2, v2, v3, 0x7fff
	s_delay_alu instid0(VALU_DEP_1)
	v_lshrrev_b32_e32 v2, 16, v2
	flat_store_b32 v[0:1], v2
.LBB276_1898:
	s_wait_xcnt 0x0
	s_or_b32 exec_lo, exec_lo, s10
	s_delay_alu instid0(SALU_CYCLE_1)
	s_and_b32 s10, s9, exec_lo
	s_and_b32 s9, s11, exec_lo
                                        ; implicit-def: $vgpr2
.LBB276_1899:
	s_and_not1_saveexec_b32 s11, s2
	s_cbranch_execz .LBB276_1905
; %bb.1900:
	s_mov_b32 s2, -1
	s_mov_b32 s13, s10
	s_mov_b32 s12, exec_lo
	v_cmpx_eq_u16_e32 44, v2
	s_cbranch_execz .LBB276_1904
; %bb.1901:
	v_cndmask_b32_e64 v4, 0, 1.0, s0
	s_mov_b32 s13, exec_lo
	s_delay_alu instid0(VALU_DEP_1) | instskip(NEXT) | instid1(VALU_DEP_1)
	v_dual_mov_b32 v3, 0xff :: v_dual_lshrrev_b32 v2, 23, v4
	v_cmpx_ne_u32_e32 0xff, v2
; %bb.1902:
	v_and_b32_e32 v3, 0x400000, v4
	v_and_or_b32 v4, 0x3fffff, v4, v2
	s_delay_alu instid0(VALU_DEP_2) | instskip(NEXT) | instid1(VALU_DEP_2)
	v_cmp_ne_u32_e64 s1, 0, v3
	v_cmp_ne_u32_e64 s2, 0, v4
	s_and_b32 s1, s1, s2
	s_delay_alu instid0(SALU_CYCLE_1) | instskip(NEXT) | instid1(VALU_DEP_1)
	v_cndmask_b32_e64 v3, 0, 1, s1
	v_add_nc_u32_e32 v3, v2, v3
; %bb.1903:
	s_or_b32 exec_lo, exec_lo, s13
	s_delay_alu instid0(SALU_CYCLE_1)
	s_or_b32 s13, s10, exec_lo
	s_xor_b32 s2, exec_lo, -1
	flat_store_b8 v[0:1], v3
.LBB276_1904:
	s_wait_xcnt 0x0
	s_or_b32 exec_lo, exec_lo, s12
	s_delay_alu instid0(SALU_CYCLE_1)
	s_and_not1_b32 s1, s10, exec_lo
	s_and_b32 s10, s13, exec_lo
	s_and_not1_b32 s9, s9, exec_lo
	s_and_b32 s2, s2, exec_lo
	s_or_b32 s10, s1, s10
	s_or_b32 s9, s9, s2
.LBB276_1905:
	s_or_b32 exec_lo, exec_lo, s11
	s_delay_alu instid0(SALU_CYCLE_1)
	s_and_b32 s2, s10, exec_lo
	s_and_b32 s9, s9, exec_lo
                                        ; implicit-def: $vgpr2
.LBB276_1906:
	s_and_not1_saveexec_b32 s8, s8
	s_cbranch_execz .LBB276_1910
; %bb.1907:
	s_mov_b32 s10, -1
	s_mov_b32 s12, s2
	s_mov_b32 s11, exec_lo
	v_cmpx_eq_u16_e32 29, v2
	s_cbranch_execz .LBB276_1909
; %bb.1908:
	s_mov_b32 s1, 0
	v_cndmask_b32_e64 v2, 0, 1, s0
	v_mov_b32_e32 v3, s1
	s_or_b32 s12, s2, exec_lo
	s_xor_b32 s10, exec_lo, -1
	flat_store_b64 v[0:1], v[2:3]
.LBB276_1909:
	s_wait_xcnt 0x0
	s_or_b32 exec_lo, exec_lo, s11
	s_delay_alu instid0(SALU_CYCLE_1)
	s_and_not1_b32 s1, s2, exec_lo
	s_and_b32 s2, s12, exec_lo
	s_and_not1_b32 s9, s9, exec_lo
	s_and_b32 s10, s10, exec_lo
	s_or_b32 s2, s1, s2
	s_or_b32 s9, s9, s10
.LBB276_1910:
	s_or_b32 exec_lo, exec_lo, s8
	s_delay_alu instid0(SALU_CYCLE_1)
	s_and_b32 s2, s2, exec_lo
	s_and_b32 s8, s9, exec_lo
                                        ; implicit-def: $vgpr2
.LBB276_1911:
	s_and_not1_saveexec_b32 s4, s4
	s_cbranch_execz .LBB276_1927
; %bb.1912:
	s_mov_b32 s9, exec_lo
	v_cmpx_lt_i16_e32 26, v2
	s_xor_b32 s9, exec_lo, s9
	s_cbranch_execz .LBB276_1918
; %bb.1913:
	v_cmp_lt_i16_e64 s1, 27, v2
	s_and_saveexec_b32 s10, s1
	s_delay_alu instid0(SALU_CYCLE_1)
	s_xor_b32 s1, exec_lo, s10
	s_cbranch_execz .LBB276_1915
; %bb.1914:
	v_cndmask_b32_e64 v2, 0, 1, s0
	flat_store_b32 v[0:1], v2
.LBB276_1915:
	s_wait_xcnt 0x0
	s_and_not1_saveexec_b32 s1, s1
	s_cbranch_execz .LBB276_1917
; %bb.1916:
	v_cndmask_b32_e64 v2, 0, 1, s0
	flat_store_b16 v[0:1], v2
.LBB276_1917:
	s_wait_xcnt 0x0
	s_or_b32 exec_lo, exec_lo, s1
.LBB276_1918:
	s_and_not1_saveexec_b32 s9, s9
	s_cbranch_execz .LBB276_1926
; %bb.1919:
	v_cndmask_b32_e64 v3, 0, 1.0, s0
	v_mov_b32_e32 v4, 0x80
	s_mov_b32 s10, exec_lo
	s_delay_alu instid0(VALU_DEP_2)
	v_cmpx_gt_u32_e32 0x43800000, v3
	s_cbranch_execz .LBB276_1925
; %bb.1920:
	v_cmp_lt_u32_e64 s1, 0x3bffffff, v3
	s_mov_b32 s11, 0
                                        ; implicit-def: $vgpr2
	s_and_saveexec_b32 s12, s1
	s_delay_alu instid0(SALU_CYCLE_1)
	s_xor_b32 s1, exec_lo, s12
	s_cbranch_execz .LBB276_2839
; %bb.1921:
	v_bfe_u32 v2, v3, 20, 1
	s_mov_b32 s11, exec_lo
	s_delay_alu instid0(VALU_DEP_1) | instskip(NEXT) | instid1(VALU_DEP_1)
	v_add3_u32 v2, v3, v2, 0x487ffff
                                        ; implicit-def: $vgpr3
	v_lshrrev_b32_e32 v2, 20, v2
	s_and_not1_saveexec_b32 s12, s1
	s_cbranch_execnz .LBB276_2840
.LBB276_1922:
	s_or_b32 exec_lo, exec_lo, s12
	v_mov_b32_e32 v4, 0
	s_and_saveexec_b32 s1, s11
.LBB276_1923:
	v_mov_b32_e32 v4, v2
.LBB276_1924:
	s_or_b32 exec_lo, exec_lo, s1
.LBB276_1925:
	s_delay_alu instid0(SALU_CYCLE_1)
	s_or_b32 exec_lo, exec_lo, s10
	flat_store_b8 v[0:1], v4
.LBB276_1926:
	s_wait_xcnt 0x0
	s_or_b32 exec_lo, exec_lo, s9
	s_delay_alu instid0(SALU_CYCLE_1)
	s_or_b32 s2, s2, exec_lo
.LBB276_1927:
	s_or_b32 exec_lo, exec_lo, s4
	s_delay_alu instid0(SALU_CYCLE_1)
	s_and_b32 s2, s2, exec_lo
	s_and_b32 s4, s8, exec_lo
                                        ; implicit-def: $vgpr2
	s_and_not1_saveexec_b32 s7, s7
	s_cbranch_execnz .LBB276_2646
.LBB276_1928:
	s_or_b32 exec_lo, exec_lo, s7
	s_mov_b32 s1, s26
	s_and_saveexec_b32 s7, s4
	s_cbranch_execnz .LBB276_2687
.LBB276_1929:
	s_or_b32 exec_lo, exec_lo, s7
	s_and_saveexec_b32 s4, s6
	s_delay_alu instid0(SALU_CYCLE_1)
	s_xor_b32 s4, exec_lo, s4
	s_cbranch_execz .LBB276_1931
.LBB276_1930:
	v_cndmask_b32_e64 v2, 0, 1, s0
	s_or_b32 s2, s2, exec_lo
	flat_store_b8 v[0:1], v2
.LBB276_1931:
	s_wait_xcnt 0x0
	s_or_b32 exec_lo, exec_lo, s4
	s_delay_alu instid0(SALU_CYCLE_1)
	s_and_not1_b32 s4, s26, exec_lo
	s_and_b32 s1, s1, exec_lo
	s_and_b32 s28, s2, exec_lo
	s_or_b32 s4, s4, s1
                                        ; implicit-def: $vgpr2
                                        ; implicit-def: $vgpr0_vgpr1
.LBB276_1932:
	s_and_not1_saveexec_b32 s2, s5
	s_cbranch_execz .LBB276_1974
; %bb.1933:
	s_mov_b32 s5, exec_lo
	v_cmpx_lt_i16_e32 4, v2
	s_xor_b32 s5, exec_lo, s5
	s_cbranch_execz .LBB276_1955
; %bb.1934:
	s_mov_b32 s6, exec_lo
	v_cmpx_lt_i16_e32 7, v2
	s_xor_b32 s6, exec_lo, s6
	;; [unrolled: 5-line block ×3, first 2 shown]
	s_cbranch_execz .LBB276_1941
; %bb.1936:
	v_cmp_lt_i16_e64 s1, 9, v2
	s_and_saveexec_b32 s8, s1
	s_delay_alu instid0(SALU_CYCLE_1)
	s_xor_b32 s1, exec_lo, s8
	s_cbranch_execz .LBB276_1938
; %bb.1937:
	v_cndmask_b32_e64 v2, 0, 1, s0
	v_mov_b32_e32 v4, 0
	s_delay_alu instid0(VALU_DEP_2) | instskip(NEXT) | instid1(VALU_DEP_2)
	v_cvt_f64_u32_e32 v[2:3], v2
	v_mov_b32_e32 v5, v4
	flat_store_b128 v[0:1], v[2:5]
                                        ; implicit-def: $vgpr0_vgpr1
.LBB276_1938:
	s_wait_xcnt 0x0
	s_and_not1_saveexec_b32 s1, s1
	s_cbranch_execz .LBB276_1940
; %bb.1939:
	v_cndmask_b32_e64 v2, 0, 1.0, s0
	v_mov_b32_e32 v3, 0
	flat_store_b64 v[0:1], v[2:3]
.LBB276_1940:
	s_wait_xcnt 0x0
	s_or_b32 exec_lo, exec_lo, s1
                                        ; implicit-def: $vgpr0_vgpr1
.LBB276_1941:
	s_and_not1_saveexec_b32 s1, s7
	s_cbranch_execz .LBB276_1943
; %bb.1942:
	v_cndmask_b32_e64 v2, 0, 1.0, s0
	s_delay_alu instid0(VALU_DEP_1) | instskip(NEXT) | instid1(VALU_DEP_1)
	v_cvt_f16_f32_e32 v2, v2
	v_and_b32_e32 v2, 0xffff, v2
	flat_store_b32 v[0:1], v2
.LBB276_1943:
	s_wait_xcnt 0x0
	s_or_b32 exec_lo, exec_lo, s1
                                        ; implicit-def: $vgpr0_vgpr1
                                        ; implicit-def: $vgpr2
.LBB276_1944:
	s_and_not1_saveexec_b32 s6, s6
	s_cbranch_execz .LBB276_1954
; %bb.1945:
	s_mov_b32 s7, exec_lo
	v_cmpx_lt_i16_e32 5, v2
	s_xor_b32 s7, exec_lo, s7
	s_cbranch_execz .LBB276_1951
; %bb.1946:
	v_cmp_lt_i16_e64 s1, 6, v2
	s_and_saveexec_b32 s8, s1
	s_delay_alu instid0(SALU_CYCLE_1)
	s_xor_b32 s1, exec_lo, s8
	s_cbranch_execz .LBB276_1948
; %bb.1947:
	v_cndmask_b32_e64 v2, 0, 1, s0
	s_delay_alu instid0(VALU_DEP_1)
	v_cvt_f64_u32_e32 v[2:3], v2
	flat_store_b64 v[0:1], v[2:3]
                                        ; implicit-def: $vgpr0_vgpr1
.LBB276_1948:
	s_wait_xcnt 0x0
	s_and_not1_saveexec_b32 s1, s1
	s_cbranch_execz .LBB276_1950
; %bb.1949:
	v_cndmask_b32_e64 v2, 0, 1.0, s0
	flat_store_b32 v[0:1], v2
.LBB276_1950:
	s_wait_xcnt 0x0
	s_or_b32 exec_lo, exec_lo, s1
                                        ; implicit-def: $vgpr0_vgpr1
.LBB276_1951:
	s_and_not1_saveexec_b32 s1, s7
	s_cbranch_execz .LBB276_1953
; %bb.1952:
	v_cndmask_b32_e64 v2, 0, 1.0, s0
	s_delay_alu instid0(VALU_DEP_1)
	v_cvt_f16_f32_e32 v2, v2
	flat_store_b16 v[0:1], v2
.LBB276_1953:
	s_wait_xcnt 0x0
	s_or_b32 exec_lo, exec_lo, s1
.LBB276_1954:
	s_delay_alu instid0(SALU_CYCLE_1)
	s_or_b32 exec_lo, exec_lo, s6
                                        ; implicit-def: $vgpr2
                                        ; implicit-def: $vgpr0_vgpr1
.LBB276_1955:
	s_and_not1_saveexec_b32 s5, s5
	s_cbranch_execz .LBB276_1973
; %bb.1956:
	s_mov_b32 s6, exec_lo
	v_cmpx_lt_i16_e32 1, v2
	s_xor_b32 s6, exec_lo, s6
	s_cbranch_execz .LBB276_1966
; %bb.1957:
	s_mov_b32 s7, exec_lo
	v_cmpx_lt_i16_e32 2, v2
	s_xor_b32 s7, exec_lo, s7
	s_cbranch_execz .LBB276_1963
; %bb.1958:
	v_cmp_lt_i16_e64 s1, 3, v2
	s_and_saveexec_b32 s8, s1
	s_delay_alu instid0(SALU_CYCLE_1)
	s_xor_b32 s1, exec_lo, s8
	s_cbranch_execz .LBB276_1960
; %bb.1959:
	s_mov_b32 s8, 0
	v_cndmask_b32_e64 v2, 0, 1, s0
	v_mov_b32_e32 v3, s8
	flat_store_b64 v[0:1], v[2:3]
                                        ; implicit-def: $vgpr0_vgpr1
.LBB276_1960:
	s_wait_xcnt 0x0
	s_and_not1_saveexec_b32 s1, s1
	s_cbranch_execz .LBB276_1962
; %bb.1961:
	v_cndmask_b32_e64 v2, 0, 1, s0
	flat_store_b32 v[0:1], v2
.LBB276_1962:
	s_wait_xcnt 0x0
	s_or_b32 exec_lo, exec_lo, s1
                                        ; implicit-def: $vgpr0_vgpr1
.LBB276_1963:
	s_and_not1_saveexec_b32 s1, s7
	s_cbranch_execz .LBB276_1965
; %bb.1964:
	v_cndmask_b32_e64 v2, 0, 1, s0
	flat_store_b16 v[0:1], v2
.LBB276_1965:
	s_wait_xcnt 0x0
	s_or_b32 exec_lo, exec_lo, s1
                                        ; implicit-def: $vgpr0_vgpr1
                                        ; implicit-def: $vgpr2
.LBB276_1966:
	s_and_not1_saveexec_b32 s6, s6
	s_cbranch_execz .LBB276_1972
; %bb.1967:
	v_cmp_lt_i16_e64 s1, 0, v2
	v_cndmask_b32_e64 v2, 0, 1, s0
	s_and_saveexec_b32 s0, s1
	s_delay_alu instid0(SALU_CYCLE_1)
	s_xor_b32 s0, exec_lo, s0
	s_cbranch_execz .LBB276_1969
; %bb.1968:
	flat_store_b8 v[0:1], v2
                                        ; implicit-def: $vgpr0_vgpr1
                                        ; implicit-def: $vgpr2
.LBB276_1969:
	s_wait_xcnt 0x0
	s_and_not1_saveexec_b32 s0, s0
	s_cbranch_execz .LBB276_1971
; %bb.1970:
	flat_store_b8 v[0:1], v2
.LBB276_1971:
	s_wait_xcnt 0x0
	s_or_b32 exec_lo, exec_lo, s0
.LBB276_1972:
	s_delay_alu instid0(SALU_CYCLE_1)
	s_or_b32 exec_lo, exec_lo, s6
.LBB276_1973:
	s_delay_alu instid0(SALU_CYCLE_1) | instskip(NEXT) | instid1(SALU_CYCLE_1)
	s_or_b32 exec_lo, exec_lo, s5
	s_or_b32 s28, s28, exec_lo
.LBB276_1974:
	s_or_b32 exec_lo, exec_lo, s2
	s_mov_b32 s0, 0
	s_mov_b32 s1, 0
	;; [unrolled: 1-line block ×3, first 2 shown]
                                        ; implicit-def: $vgpr22_vgpr23
                                        ; implicit-def: $vgpr5
	s_and_saveexec_b32 s5, s28
	s_cbranch_execz .LBB276_2185
; %bb.1975:
	scratch_load_u8 v2, off, off offset:444
	v_dual_lshlrev_b32 v0, 24, v27 :: v_dual_lshlrev_b32 v1, 24, v30
	s_mov_b32 s7, 0
	s_mov_b32 s2, s4
	s_mov_b32 s6, exec_lo
	s_delay_alu instid0(VALU_DEP_1) | instskip(SKIP_2) | instid1(VALU_DEP_3)
	v_and_b32_e32 v3, 0x7f000000, v0
	v_and_b32_e32 v4, 0x7f000000, v1
	v_mov_b32_e32 v27, 0
	v_clz_i32_u32_e32 v5, v3
	s_delay_alu instid0(VALU_DEP_3) | instskip(SKIP_2) | instid1(VALU_DEP_4)
	v_clz_i32_u32_e32 v6, v4
	v_add_nc_u32_e32 v9, 0x1000000, v3
	v_cmp_ne_u32_e64 s0, 0, v3
	v_min_u32_e32 v5, 32, v5
	s_delay_alu instid0(VALU_DEP_4) | instskip(NEXT) | instid1(VALU_DEP_2)
	v_min_u32_e32 v6, 32, v6
	v_sub_nc_u32_e64 v5, v5, 4 clamp
	s_delay_alu instid0(VALU_DEP_2) | instskip(NEXT) | instid1(VALU_DEP_1)
	v_sub_nc_u32_e64 v6, v6, 4 clamp
	v_dual_lshlrev_b32 v7, v5, v3 :: v_dual_lshlrev_b32 v8, v6, v4
	v_dual_lshlrev_b32 v5, 23, v5 :: v_dual_lshlrev_b32 v6, 23, v6
	s_delay_alu instid0(VALU_DEP_2) | instskip(NEXT) | instid1(VALU_DEP_1)
	v_dual_lshrrev_b32 v7, 4, v7 :: v_dual_lshrrev_b32 v8, 4, v8
	v_dual_sub_nc_u32 v5, v7, v5 :: v_dual_sub_nc_u32 v6, v8, v6
	v_add_nc_u32_e32 v7, 0x1000000, v4
	v_ashrrev_i32_e32 v8, 8, v9
	s_delay_alu instid0(VALU_DEP_3) | instskip(NEXT) | instid1(VALU_DEP_4)
	v_add_nc_u32_e32 v5, 0x3c000000, v5
	v_add_nc_u32_e32 v6, 0x3c000000, v6
	s_delay_alu instid0(VALU_DEP_4) | instskip(NEXT) | instid1(VALU_DEP_3)
	v_ashrrev_i32_e32 v7, 8, v7
	v_and_or_b32 v5, 0x7f800000, v8, v5
	s_delay_alu instid0(VALU_DEP_2) | instskip(NEXT) | instid1(VALU_DEP_2)
	v_and_or_b32 v6, 0x7f800000, v7, v6
	v_cndmask_b32_e64 v3, 0, v5, s0
	v_cmp_ne_u32_e64 s0, 0, v4
	s_delay_alu instid0(VALU_DEP_1) | instskip(NEXT) | instid1(VALU_DEP_3)
	v_cndmask_b32_e64 v4, 0, v6, s0
	v_and_or_b32 v0, 0x80000000, v0, v3
	s_delay_alu instid0(VALU_DEP_2) | instskip(NEXT) | instid1(VALU_DEP_1)
	v_and_or_b32 v1, 0x80000000, v1, v4
	v_cmp_eq_f32_e64 s0, v0, v1
	s_delay_alu instid0(VALU_DEP_1) | instskip(SKIP_1) | instid1(VALU_DEP_1)
	v_cndmask_b32_e64 v3, 0, 1, s0
	v_cmp_neq_f32_e64 s0, v0, v1
	v_cndmask_b32_e64 v0, 0, 1, s0
	s_delay_alu instid0(VALU_DEP_1) | instskip(NEXT) | instid1(VALU_DEP_1)
	v_cndmask_b32_e32 v0, v0, v3, vcc_lo
	v_and_b32_e32 v3, 1, v0
	v_add_nc_u64_e32 v[0:1], v[16:17], v[26:27]
	s_delay_alu instid0(VALU_DEP_2)
	v_cmp_eq_u32_e64 s0, 1, v3
	s_wait_loadcnt 0x0
	v_cmpx_lt_i16_e32 10, v2
	s_xor_b32 s6, exec_lo, s6
	s_cbranch_execz .LBB276_2016
; %bb.1976:
	s_mov_b32 s8, 0
	s_mov_b32 s2, 0
	s_mov_b32 s9, exec_lo
	v_cmpx_lt_i16_e32 25, v2
	s_xor_b32 s9, exec_lo, s9
	s_cbranch_execz .LBB276_2696
; %bb.1977:
	s_mov_b32 s10, 0
	s_mov_b32 s7, exec_lo
	v_cmpx_lt_i16_e32 28, v2
	s_xor_b32 s7, exec_lo, s7
	s_cbranch_execz .LBB276_1995
; %bb.1978:
	;; [unrolled: 6-line block ×4, first 2 shown]
	s_mov_b32 s13, -1
	s_mov_b32 s12, exec_lo
	v_cmpx_eq_u16_e32 46, v2
	s_cbranch_execz .LBB276_1982
; %bb.1981:
	v_cndmask_b32_e64 v2, 0, 1.0, s0
	s_mov_b32 s11, exec_lo
	s_xor_b32 s13, exec_lo, -1
	s_delay_alu instid0(VALU_DEP_1) | instskip(NEXT) | instid1(VALU_DEP_1)
	v_bfe_u32 v3, v2, 16, 1
	v_add3_u32 v2, v2, v3, 0x7fff
	s_delay_alu instid0(VALU_DEP_1)
	v_lshrrev_b32_e32 v2, 16, v2
	flat_store_b32 v[0:1], v2
.LBB276_1982:
	s_wait_xcnt 0x0
	s_or_b32 exec_lo, exec_lo, s12
	s_delay_alu instid0(SALU_CYCLE_1)
	s_and_b32 s12, s11, exec_lo
	s_and_b32 s11, s13, exec_lo
                                        ; implicit-def: $vgpr2
.LBB276_1983:
	s_and_not1_saveexec_b32 s13, s2
	s_cbranch_execz .LBB276_1989
; %bb.1984:
	s_mov_b32 s2, -1
	s_mov_b32 s29, s12
	s_mov_b32 s28, exec_lo
	v_cmpx_eq_u16_e32 44, v2
	s_cbranch_execz .LBB276_1988
; %bb.1985:
	v_cndmask_b32_e64 v4, 0, 1.0, s0
	s_mov_b32 s29, exec_lo
	s_delay_alu instid0(VALU_DEP_1) | instskip(NEXT) | instid1(VALU_DEP_1)
	v_dual_mov_b32 v3, 0xff :: v_dual_lshrrev_b32 v2, 23, v4
	v_cmpx_ne_u32_e32 0xff, v2
; %bb.1986:
	v_and_b32_e32 v3, 0x400000, v4
	v_and_or_b32 v4, 0x3fffff, v4, v2
	s_delay_alu instid0(VALU_DEP_2) | instskip(NEXT) | instid1(VALU_DEP_2)
	v_cmp_ne_u32_e64 s1, 0, v3
	v_cmp_ne_u32_e64 s2, 0, v4
	s_and_b32 s1, s1, s2
	s_delay_alu instid0(SALU_CYCLE_1) | instskip(NEXT) | instid1(VALU_DEP_1)
	v_cndmask_b32_e64 v3, 0, 1, s1
	v_add_nc_u32_e32 v3, v2, v3
; %bb.1987:
	s_or_b32 exec_lo, exec_lo, s29
	s_delay_alu instid0(SALU_CYCLE_1)
	s_or_b32 s29, s12, exec_lo
	s_xor_b32 s2, exec_lo, -1
	flat_store_b8 v[0:1], v3
.LBB276_1988:
	s_wait_xcnt 0x0
	s_or_b32 exec_lo, exec_lo, s28
	s_delay_alu instid0(SALU_CYCLE_1)
	s_and_not1_b32 s1, s12, exec_lo
	s_and_b32 s12, s29, exec_lo
	s_and_not1_b32 s11, s11, exec_lo
	s_and_b32 s2, s2, exec_lo
	s_or_b32 s12, s1, s12
	s_or_b32 s11, s11, s2
.LBB276_1989:
	s_or_b32 exec_lo, exec_lo, s13
	s_delay_alu instid0(SALU_CYCLE_1)
	s_and_b32 s12, s12, exec_lo
	s_and_b32 s2, s11, exec_lo
                                        ; implicit-def: $vgpr2
.LBB276_1990:
	s_and_not1_saveexec_b32 s10, s10
	s_cbranch_execz .LBB276_1994
; %bb.1991:
	s_mov_b32 s11, -1
	s_mov_b32 s28, s12
	s_mov_b32 s13, exec_lo
	v_cmpx_eq_u16_e32 29, v2
	s_cbranch_execz .LBB276_1993
; %bb.1992:
	s_mov_b32 s1, 0
	v_cndmask_b32_e64 v2, 0, 1, s0
	v_mov_b32_e32 v3, s1
	s_or_b32 s28, s12, exec_lo
	s_xor_b32 s11, exec_lo, -1
	flat_store_b64 v[0:1], v[2:3]
.LBB276_1993:
	s_wait_xcnt 0x0
	s_or_b32 exec_lo, exec_lo, s13
	s_delay_alu instid0(SALU_CYCLE_1)
	s_and_not1_b32 s1, s12, exec_lo
	s_and_b32 s12, s28, exec_lo
	s_and_not1_b32 s2, s2, exec_lo
	s_and_b32 s11, s11, exec_lo
	s_or_b32 s12, s1, s12
	s_or_b32 s2, s2, s11
.LBB276_1994:
	s_or_b32 exec_lo, exec_lo, s10
	s_delay_alu instid0(SALU_CYCLE_1)
	s_and_b32 s10, s12, exec_lo
	s_and_b32 s2, s2, exec_lo
                                        ; implicit-def: $vgpr2
.LBB276_1995:
	s_and_not1_saveexec_b32 s7, s7
	s_cbranch_execz .LBB276_2011
; %bb.1996:
	s_mov_b32 s11, exec_lo
	v_cmpx_lt_i16_e32 26, v2
	s_xor_b32 s11, exec_lo, s11
	s_cbranch_execz .LBB276_2002
; %bb.1997:
	v_cmp_lt_i16_e64 s1, 27, v2
	s_and_saveexec_b32 s12, s1
	s_delay_alu instid0(SALU_CYCLE_1)
	s_xor_b32 s1, exec_lo, s12
	s_cbranch_execz .LBB276_1999
; %bb.1998:
	v_cndmask_b32_e64 v2, 0, 1, s0
	flat_store_b32 v[0:1], v2
.LBB276_1999:
	s_wait_xcnt 0x0
	s_and_not1_saveexec_b32 s1, s1
	s_cbranch_execz .LBB276_2001
; %bb.2000:
	v_cndmask_b32_e64 v2, 0, 1, s0
	flat_store_b16 v[0:1], v2
.LBB276_2001:
	s_wait_xcnt 0x0
	s_or_b32 exec_lo, exec_lo, s1
.LBB276_2002:
	s_and_not1_saveexec_b32 s11, s11
	s_cbranch_execz .LBB276_2010
; %bb.2003:
	v_cndmask_b32_e64 v3, 0, 1.0, s0
	v_mov_b32_e32 v4, 0x80
	s_mov_b32 s12, exec_lo
	s_delay_alu instid0(VALU_DEP_2)
	v_cmpx_gt_u32_e32 0x43800000, v3
	s_cbranch_execz .LBB276_2009
; %bb.2004:
	v_cmp_lt_u32_e64 s1, 0x3bffffff, v3
	s_mov_b32 s13, 0
                                        ; implicit-def: $vgpr2
	s_and_saveexec_b32 s28, s1
	s_delay_alu instid0(SALU_CYCLE_1)
	s_xor_b32 s1, exec_lo, s28
	s_cbranch_execz .LBB276_2841
; %bb.2005:
	v_bfe_u32 v2, v3, 20, 1
	s_mov_b32 s13, exec_lo
	s_delay_alu instid0(VALU_DEP_1) | instskip(NEXT) | instid1(VALU_DEP_1)
	v_add3_u32 v2, v3, v2, 0x487ffff
                                        ; implicit-def: $vgpr3
	v_lshrrev_b32_e32 v2, 20, v2
	s_and_not1_saveexec_b32 s28, s1
	s_cbranch_execnz .LBB276_2842
.LBB276_2006:
	s_or_b32 exec_lo, exec_lo, s28
	v_mov_b32_e32 v4, 0
	s_and_saveexec_b32 s1, s13
.LBB276_2007:
	v_mov_b32_e32 v4, v2
.LBB276_2008:
	s_or_b32 exec_lo, exec_lo, s1
.LBB276_2009:
	s_delay_alu instid0(SALU_CYCLE_1)
	s_or_b32 exec_lo, exec_lo, s12
	flat_store_b8 v[0:1], v4
.LBB276_2010:
	s_wait_xcnt 0x0
	s_or_b32 exec_lo, exec_lo, s11
	s_delay_alu instid0(SALU_CYCLE_1)
	s_or_b32 s10, s10, exec_lo
.LBB276_2011:
	s_or_b32 exec_lo, exec_lo, s7
	s_delay_alu instid0(SALU_CYCLE_1)
	s_and_b32 s7, s10, exec_lo
	s_and_b32 s2, s2, exec_lo
                                        ; implicit-def: $vgpr2
	s_and_not1_saveexec_b32 s9, s9
	s_cbranch_execnz .LBB276_2697
.LBB276_2012:
	s_or_b32 exec_lo, exec_lo, s9
	s_mov_b32 s1, s4
	s_and_saveexec_b32 s9, s2
	s_cbranch_execnz .LBB276_2738
.LBB276_2013:
	s_or_b32 exec_lo, exec_lo, s9
	s_and_saveexec_b32 s2, s8
	s_delay_alu instid0(SALU_CYCLE_1)
	s_xor_b32 s2, exec_lo, s2
	s_cbranch_execz .LBB276_2015
.LBB276_2014:
	v_cndmask_b32_e64 v2, 0, 1, s0
	s_or_b32 s7, s7, exec_lo
	flat_store_b8 v[0:1], v2
.LBB276_2015:
	s_wait_xcnt 0x0
	s_or_b32 exec_lo, exec_lo, s2
	s_delay_alu instid0(SALU_CYCLE_1)
	s_and_not1_b32 s2, s4, exec_lo
	s_and_b32 s1, s1, exec_lo
	s_and_b32 s7, s7, exec_lo
	s_or_b32 s2, s2, s1
                                        ; implicit-def: $vgpr2
                                        ; implicit-def: $vgpr0_vgpr1
.LBB276_2016:
	s_and_not1_saveexec_b32 s6, s6
	s_cbranch_execz .LBB276_2058
; %bb.2017:
	s_mov_b32 s8, exec_lo
	v_cmpx_lt_i16_e32 4, v2
	s_xor_b32 s8, exec_lo, s8
	s_cbranch_execz .LBB276_2039
; %bb.2018:
	s_mov_b32 s9, exec_lo
	v_cmpx_lt_i16_e32 7, v2
	s_xor_b32 s9, exec_lo, s9
	;; [unrolled: 5-line block ×3, first 2 shown]
	s_cbranch_execz .LBB276_2025
; %bb.2020:
	v_cmp_lt_i16_e64 s1, 9, v2
	s_and_saveexec_b32 s11, s1
	s_delay_alu instid0(SALU_CYCLE_1)
	s_xor_b32 s1, exec_lo, s11
	s_cbranch_execz .LBB276_2022
; %bb.2021:
	v_cndmask_b32_e64 v2, 0, 1, s0
	v_mov_b32_e32 v4, 0
	s_delay_alu instid0(VALU_DEP_2) | instskip(NEXT) | instid1(VALU_DEP_2)
	v_cvt_f64_u32_e32 v[2:3], v2
	v_mov_b32_e32 v5, v4
	flat_store_b128 v[0:1], v[2:5]
                                        ; implicit-def: $vgpr0_vgpr1
.LBB276_2022:
	s_wait_xcnt 0x0
	s_and_not1_saveexec_b32 s1, s1
	s_cbranch_execz .LBB276_2024
; %bb.2023:
	v_cndmask_b32_e64 v2, 0, 1.0, s0
	v_mov_b32_e32 v3, 0
	flat_store_b64 v[0:1], v[2:3]
.LBB276_2024:
	s_wait_xcnt 0x0
	s_or_b32 exec_lo, exec_lo, s1
                                        ; implicit-def: $vgpr0_vgpr1
.LBB276_2025:
	s_and_not1_saveexec_b32 s1, s10
	s_cbranch_execz .LBB276_2027
; %bb.2026:
	v_cndmask_b32_e64 v2, 0, 1.0, s0
	s_delay_alu instid0(VALU_DEP_1) | instskip(NEXT) | instid1(VALU_DEP_1)
	v_cvt_f16_f32_e32 v2, v2
	v_and_b32_e32 v2, 0xffff, v2
	flat_store_b32 v[0:1], v2
.LBB276_2027:
	s_wait_xcnt 0x0
	s_or_b32 exec_lo, exec_lo, s1
                                        ; implicit-def: $vgpr0_vgpr1
                                        ; implicit-def: $vgpr2
.LBB276_2028:
	s_and_not1_saveexec_b32 s9, s9
	s_cbranch_execz .LBB276_2038
; %bb.2029:
	s_mov_b32 s10, exec_lo
	v_cmpx_lt_i16_e32 5, v2
	s_xor_b32 s10, exec_lo, s10
	s_cbranch_execz .LBB276_2035
; %bb.2030:
	v_cmp_lt_i16_e64 s1, 6, v2
	s_and_saveexec_b32 s11, s1
	s_delay_alu instid0(SALU_CYCLE_1)
	s_xor_b32 s1, exec_lo, s11
	s_cbranch_execz .LBB276_2032
; %bb.2031:
	v_cndmask_b32_e64 v2, 0, 1, s0
	s_delay_alu instid0(VALU_DEP_1)
	v_cvt_f64_u32_e32 v[2:3], v2
	flat_store_b64 v[0:1], v[2:3]
                                        ; implicit-def: $vgpr0_vgpr1
.LBB276_2032:
	s_wait_xcnt 0x0
	s_and_not1_saveexec_b32 s1, s1
	s_cbranch_execz .LBB276_2034
; %bb.2033:
	v_cndmask_b32_e64 v2, 0, 1.0, s0
	flat_store_b32 v[0:1], v2
.LBB276_2034:
	s_wait_xcnt 0x0
	s_or_b32 exec_lo, exec_lo, s1
                                        ; implicit-def: $vgpr0_vgpr1
.LBB276_2035:
	s_and_not1_saveexec_b32 s1, s10
	s_cbranch_execz .LBB276_2037
; %bb.2036:
	v_cndmask_b32_e64 v2, 0, 1.0, s0
	s_delay_alu instid0(VALU_DEP_1)
	v_cvt_f16_f32_e32 v2, v2
	flat_store_b16 v[0:1], v2
.LBB276_2037:
	s_wait_xcnt 0x0
	s_or_b32 exec_lo, exec_lo, s1
.LBB276_2038:
	s_delay_alu instid0(SALU_CYCLE_1)
	s_or_b32 exec_lo, exec_lo, s9
                                        ; implicit-def: $vgpr2
                                        ; implicit-def: $vgpr0_vgpr1
.LBB276_2039:
	s_and_not1_saveexec_b32 s8, s8
	s_cbranch_execz .LBB276_2057
; %bb.2040:
	s_mov_b32 s9, exec_lo
	v_cmpx_lt_i16_e32 1, v2
	s_xor_b32 s9, exec_lo, s9
	s_cbranch_execz .LBB276_2050
; %bb.2041:
	s_mov_b32 s10, exec_lo
	v_cmpx_lt_i16_e32 2, v2
	s_xor_b32 s10, exec_lo, s10
	s_cbranch_execz .LBB276_2047
; %bb.2042:
	v_cmp_lt_i16_e64 s1, 3, v2
	s_and_saveexec_b32 s11, s1
	s_delay_alu instid0(SALU_CYCLE_1)
	s_xor_b32 s1, exec_lo, s11
	s_cbranch_execz .LBB276_2044
; %bb.2043:
	s_mov_b32 s11, 0
	v_cndmask_b32_e64 v2, 0, 1, s0
	v_mov_b32_e32 v3, s11
	flat_store_b64 v[0:1], v[2:3]
                                        ; implicit-def: $vgpr0_vgpr1
.LBB276_2044:
	s_wait_xcnt 0x0
	s_and_not1_saveexec_b32 s1, s1
	s_cbranch_execz .LBB276_2046
; %bb.2045:
	v_cndmask_b32_e64 v2, 0, 1, s0
	flat_store_b32 v[0:1], v2
.LBB276_2046:
	s_wait_xcnt 0x0
	s_or_b32 exec_lo, exec_lo, s1
                                        ; implicit-def: $vgpr0_vgpr1
.LBB276_2047:
	s_and_not1_saveexec_b32 s1, s10
	s_cbranch_execz .LBB276_2049
; %bb.2048:
	v_cndmask_b32_e64 v2, 0, 1, s0
	flat_store_b16 v[0:1], v2
.LBB276_2049:
	s_wait_xcnt 0x0
	s_or_b32 exec_lo, exec_lo, s1
                                        ; implicit-def: $vgpr0_vgpr1
                                        ; implicit-def: $vgpr2
.LBB276_2050:
	s_and_not1_saveexec_b32 s9, s9
	s_cbranch_execz .LBB276_2056
; %bb.2051:
	v_cmp_lt_i16_e64 s1, 0, v2
	v_cndmask_b32_e64 v2, 0, 1, s0
	s_and_saveexec_b32 s0, s1
	s_delay_alu instid0(SALU_CYCLE_1)
	s_xor_b32 s0, exec_lo, s0
	s_cbranch_execz .LBB276_2053
; %bb.2052:
	flat_store_b8 v[0:1], v2
                                        ; implicit-def: $vgpr0_vgpr1
                                        ; implicit-def: $vgpr2
.LBB276_2053:
	s_wait_xcnt 0x0
	s_and_not1_saveexec_b32 s0, s0
	s_cbranch_execz .LBB276_2055
; %bb.2054:
	flat_store_b8 v[0:1], v2
.LBB276_2055:
	s_wait_xcnt 0x0
	s_or_b32 exec_lo, exec_lo, s0
.LBB276_2056:
	s_delay_alu instid0(SALU_CYCLE_1)
	s_or_b32 exec_lo, exec_lo, s9
.LBB276_2057:
	s_delay_alu instid0(SALU_CYCLE_1) | instskip(NEXT) | instid1(SALU_CYCLE_1)
	s_or_b32 exec_lo, exec_lo, s8
	s_or_b32 s7, s7, exec_lo
.LBB276_2058:
	s_or_b32 exec_lo, exec_lo, s6
	s_mov_b32 s0, 0
	s_mov_b32 s8, 0
	;; [unrolled: 1-line block ×3, first 2 shown]
                                        ; implicit-def: $vgpr22_vgpr23
                                        ; implicit-def: $vgpr5
	s_and_saveexec_b32 s6, s7
	s_cbranch_execz .LBB276_2184
; %bb.2059:
	scratch_load_u8 v2, off, off offset:444
	v_dual_lshlrev_b32 v0, 24, v18 :: v_dual_lshlrev_b32 v1, 24, v19
	s_mov_b32 s1, s2
	s_mov_b32 s7, exec_lo
	v_mov_b32_e32 v25, 0
	s_delay_alu instid0(VALU_DEP_2) | instskip(SKIP_1) | instid1(VALU_DEP_2)
	v_and_b32_e32 v3, 0x7f000000, v0
	v_and_b32_e32 v4, 0x7f000000, v1
	v_clz_i32_u32_e32 v5, v3
	s_delay_alu instid0(VALU_DEP_2) | instskip(SKIP_2) | instid1(VALU_DEP_4)
	v_clz_i32_u32_e32 v6, v4
	v_add_nc_u32_e32 v9, 0x1000000, v3
	v_cmp_ne_u32_e64 s0, 0, v3
	v_min_u32_e32 v5, 32, v5
	s_delay_alu instid0(VALU_DEP_4) | instskip(NEXT) | instid1(VALU_DEP_2)
	v_min_u32_e32 v6, 32, v6
	v_sub_nc_u32_e64 v5, v5, 4 clamp
	s_delay_alu instid0(VALU_DEP_2) | instskip(NEXT) | instid1(VALU_DEP_1)
	v_sub_nc_u32_e64 v6, v6, 4 clamp
	v_dual_lshlrev_b32 v7, v5, v3 :: v_dual_lshlrev_b32 v8, v6, v4
	v_dual_lshlrev_b32 v5, 23, v5 :: v_dual_lshlrev_b32 v6, 23, v6
	s_delay_alu instid0(VALU_DEP_2) | instskip(NEXT) | instid1(VALU_DEP_1)
	v_dual_lshrrev_b32 v7, 4, v7 :: v_dual_lshrrev_b32 v8, 4, v8
	v_dual_sub_nc_u32 v5, v7, v5 :: v_dual_sub_nc_u32 v6, v8, v6
	v_add_nc_u32_e32 v7, 0x1000000, v4
	v_ashrrev_i32_e32 v8, 8, v9
	s_delay_alu instid0(VALU_DEP_3) | instskip(NEXT) | instid1(VALU_DEP_4)
	v_add_nc_u32_e32 v5, 0x3c000000, v5
	v_add_nc_u32_e32 v6, 0x3c000000, v6
	s_delay_alu instid0(VALU_DEP_4) | instskip(NEXT) | instid1(VALU_DEP_3)
	v_ashrrev_i32_e32 v7, 8, v7
	v_and_or_b32 v5, 0x7f800000, v8, v5
	s_delay_alu instid0(VALU_DEP_2) | instskip(NEXT) | instid1(VALU_DEP_2)
	v_and_or_b32 v6, 0x7f800000, v7, v6
	v_cndmask_b32_e64 v3, 0, v5, s0
	v_cmp_ne_u32_e64 s0, 0, v4
	s_delay_alu instid0(VALU_DEP_1) | instskip(NEXT) | instid1(VALU_DEP_3)
	v_cndmask_b32_e64 v4, 0, v6, s0
	v_and_or_b32 v0, 0x80000000, v0, v3
	s_delay_alu instid0(VALU_DEP_2) | instskip(NEXT) | instid1(VALU_DEP_1)
	v_and_or_b32 v1, 0x80000000, v1, v4
	v_cmp_eq_f32_e64 s0, v0, v1
	s_delay_alu instid0(VALU_DEP_1) | instskip(SKIP_1) | instid1(VALU_DEP_1)
	v_cndmask_b32_e64 v3, 0, 1, s0
	v_cmp_neq_f32_e64 s0, v0, v1
	v_cndmask_b32_e64 v0, 0, 1, s0
	s_delay_alu instid0(VALU_DEP_1) | instskip(NEXT) | instid1(VALU_DEP_1)
	v_cndmask_b32_e32 v0, v0, v3, vcc_lo
	v_and_b32_e32 v3, 1, v0
	v_add_nc_u64_e32 v[0:1], v[16:17], v[24:25]
	s_delay_alu instid0(VALU_DEP_2)
	v_cmp_eq_u32_e32 vcc_lo, 1, v3
	s_wait_loadcnt 0x0
	v_cmpx_lt_i16_e32 10, v2
	s_xor_b32 s7, exec_lo, s7
	s_cbranch_execz .LBB276_2100
; %bb.2060:
	s_mov_b32 s9, 0
	s_mov_b32 s1, 0
	s_mov_b32 s10, exec_lo
	v_cmpx_lt_i16_e32 25, v2
	s_xor_b32 s10, exec_lo, s10
	s_cbranch_execz .LBB276_2747
; %bb.2061:
	s_mov_b32 s11, 0
	s_mov_b32 s8, exec_lo
	v_cmpx_lt_i16_e32 28, v2
	s_xor_b32 s8, exec_lo, s8
	s_cbranch_execz .LBB276_2079
; %bb.2062:
	;; [unrolled: 6-line block ×4, first 2 shown]
	s_mov_b32 s28, -1
	s_mov_b32 s13, exec_lo
	v_cmpx_eq_u16_e32 46, v2
	s_cbranch_execz .LBB276_2066
; %bb.2065:
	v_cndmask_b32_e64 v2, 0, 1.0, vcc_lo
	s_mov_b32 s12, exec_lo
	s_xor_b32 s28, exec_lo, -1
	s_delay_alu instid0(VALU_DEP_1) | instskip(NEXT) | instid1(VALU_DEP_1)
	v_bfe_u32 v3, v2, 16, 1
	v_add3_u32 v2, v2, v3, 0x7fff
	s_delay_alu instid0(VALU_DEP_1)
	v_lshrrev_b32_e32 v2, 16, v2
	flat_store_b32 v[0:1], v2
.LBB276_2066:
	s_wait_xcnt 0x0
	s_or_b32 exec_lo, exec_lo, s13
	s_delay_alu instid0(SALU_CYCLE_1)
	s_and_b32 s13, s12, exec_lo
	s_and_b32 s12, s28, exec_lo
                                        ; implicit-def: $vgpr2
.LBB276_2067:
	s_and_not1_saveexec_b32 s28, s1
	s_cbranch_execz .LBB276_2073
; %bb.2068:
	s_mov_b32 s1, -1
	s_mov_b32 s30, s13
	s_mov_b32 s29, exec_lo
	v_cmpx_eq_u16_e32 44, v2
	s_cbranch_execz .LBB276_2072
; %bb.2069:
	v_cndmask_b32_e64 v4, 0, 1.0, vcc_lo
	s_mov_b32 s30, exec_lo
	s_delay_alu instid0(VALU_DEP_1) | instskip(NEXT) | instid1(VALU_DEP_1)
	v_dual_mov_b32 v3, 0xff :: v_dual_lshrrev_b32 v2, 23, v4
	v_cmpx_ne_u32_e32 0xff, v2
; %bb.2070:
	v_and_b32_e32 v3, 0x400000, v4
	v_and_or_b32 v4, 0x3fffff, v4, v2
	s_delay_alu instid0(VALU_DEP_2) | instskip(NEXT) | instid1(VALU_DEP_2)
	v_cmp_ne_u32_e64 s0, 0, v3
	v_cmp_ne_u32_e64 s1, 0, v4
	s_and_b32 s0, s0, s1
	s_delay_alu instid0(SALU_CYCLE_1) | instskip(NEXT) | instid1(VALU_DEP_1)
	v_cndmask_b32_e64 v3, 0, 1, s0
	v_add_nc_u32_e32 v3, v2, v3
; %bb.2071:
	s_or_b32 exec_lo, exec_lo, s30
	s_delay_alu instid0(SALU_CYCLE_1)
	s_or_b32 s30, s13, exec_lo
	s_xor_b32 s1, exec_lo, -1
	flat_store_b8 v[0:1], v3
.LBB276_2072:
	s_wait_xcnt 0x0
	s_or_b32 exec_lo, exec_lo, s29
	s_delay_alu instid0(SALU_CYCLE_1)
	s_and_not1_b32 s0, s13, exec_lo
	s_and_b32 s13, s30, exec_lo
	s_and_not1_b32 s12, s12, exec_lo
	s_and_b32 s1, s1, exec_lo
	s_or_b32 s13, s0, s13
	s_or_b32 s12, s12, s1
.LBB276_2073:
	s_or_b32 exec_lo, exec_lo, s28
	s_delay_alu instid0(SALU_CYCLE_1)
	s_and_b32 s13, s13, exec_lo
	s_and_b32 s1, s12, exec_lo
                                        ; implicit-def: $vgpr2
.LBB276_2074:
	s_and_not1_saveexec_b32 s11, s11
	s_cbranch_execz .LBB276_2078
; %bb.2075:
	s_mov_b32 s12, -1
	s_mov_b32 s29, s13
	s_mov_b32 s28, exec_lo
	v_cmpx_eq_u16_e32 29, v2
	s_cbranch_execz .LBB276_2077
; %bb.2076:
	s_mov_b32 s0, 0
	v_cndmask_b32_e64 v2, 0, 1, vcc_lo
	v_mov_b32_e32 v3, s0
	s_or_b32 s29, s13, exec_lo
	s_xor_b32 s12, exec_lo, -1
	flat_store_b64 v[0:1], v[2:3]
.LBB276_2077:
	s_wait_xcnt 0x0
	s_or_b32 exec_lo, exec_lo, s28
	s_delay_alu instid0(SALU_CYCLE_1)
	s_and_not1_b32 s0, s13, exec_lo
	s_and_b32 s13, s29, exec_lo
	s_and_not1_b32 s1, s1, exec_lo
	s_and_b32 s12, s12, exec_lo
	s_or_b32 s13, s0, s13
	s_or_b32 s1, s1, s12
.LBB276_2078:
	s_or_b32 exec_lo, exec_lo, s11
	s_delay_alu instid0(SALU_CYCLE_1)
	s_and_b32 s11, s13, exec_lo
	s_and_b32 s1, s1, exec_lo
                                        ; implicit-def: $vgpr2
.LBB276_2079:
	s_and_not1_saveexec_b32 s8, s8
	s_cbranch_execz .LBB276_2095
; %bb.2080:
	s_mov_b32 s12, exec_lo
	v_cmpx_lt_i16_e32 26, v2
	s_xor_b32 s12, exec_lo, s12
	s_cbranch_execz .LBB276_2086
; %bb.2081:
	v_cmp_lt_i16_e64 s0, 27, v2
	s_and_saveexec_b32 s13, s0
	s_delay_alu instid0(SALU_CYCLE_1)
	s_xor_b32 s0, exec_lo, s13
	s_cbranch_execz .LBB276_2083
; %bb.2082:
	v_cndmask_b32_e64 v2, 0, 1, vcc_lo
	flat_store_b32 v[0:1], v2
.LBB276_2083:
	s_wait_xcnt 0x0
	s_and_not1_saveexec_b32 s0, s0
	s_cbranch_execz .LBB276_2085
; %bb.2084:
	v_cndmask_b32_e64 v2, 0, 1, vcc_lo
	flat_store_b16 v[0:1], v2
.LBB276_2085:
	s_wait_xcnt 0x0
	s_or_b32 exec_lo, exec_lo, s0
.LBB276_2086:
	s_and_not1_saveexec_b32 s12, s12
	s_cbranch_execz .LBB276_2094
; %bb.2087:
	v_cndmask_b32_e64 v3, 0, 1.0, vcc_lo
	v_mov_b32_e32 v4, 0x80
	s_mov_b32 s13, exec_lo
	s_delay_alu instid0(VALU_DEP_2)
	v_cmpx_gt_u32_e32 0x43800000, v3
	s_cbranch_execz .LBB276_2093
; %bb.2088:
	v_cmp_lt_u32_e64 s0, 0x3bffffff, v3
	s_mov_b32 s28, 0
                                        ; implicit-def: $vgpr2
	s_and_saveexec_b32 s29, s0
	s_delay_alu instid0(SALU_CYCLE_1)
	s_xor_b32 s0, exec_lo, s29
	s_cbranch_execz .LBB276_2845
; %bb.2089:
	v_bfe_u32 v2, v3, 20, 1
	s_mov_b32 s28, exec_lo
	s_delay_alu instid0(VALU_DEP_1) | instskip(NEXT) | instid1(VALU_DEP_1)
	v_add3_u32 v2, v3, v2, 0x487ffff
                                        ; implicit-def: $vgpr3
	v_lshrrev_b32_e32 v2, 20, v2
	s_and_not1_saveexec_b32 s29, s0
	s_cbranch_execnz .LBB276_2846
.LBB276_2090:
	s_or_b32 exec_lo, exec_lo, s29
	v_mov_b32_e32 v4, 0
	s_and_saveexec_b32 s0, s28
.LBB276_2091:
	v_mov_b32_e32 v4, v2
.LBB276_2092:
	s_or_b32 exec_lo, exec_lo, s0
.LBB276_2093:
	s_delay_alu instid0(SALU_CYCLE_1)
	s_or_b32 exec_lo, exec_lo, s13
	flat_store_b8 v[0:1], v4
.LBB276_2094:
	s_wait_xcnt 0x0
	s_or_b32 exec_lo, exec_lo, s12
	s_delay_alu instid0(SALU_CYCLE_1)
	s_or_b32 s11, s11, exec_lo
.LBB276_2095:
	s_or_b32 exec_lo, exec_lo, s8
	s_delay_alu instid0(SALU_CYCLE_1)
	s_and_b32 s8, s11, exec_lo
	s_and_b32 s1, s1, exec_lo
                                        ; implicit-def: $vgpr2
	s_and_not1_saveexec_b32 s10, s10
	s_cbranch_execnz .LBB276_2748
.LBB276_2096:
	s_or_b32 exec_lo, exec_lo, s10
	s_mov_b32 s0, s2
	s_and_saveexec_b32 s10, s1
	s_cbranch_execnz .LBB276_2789
.LBB276_2097:
	s_or_b32 exec_lo, exec_lo, s10
	s_and_saveexec_b32 s1, s9
	s_delay_alu instid0(SALU_CYCLE_1)
	s_xor_b32 s1, exec_lo, s1
	s_cbranch_execz .LBB276_2099
.LBB276_2098:
	v_cndmask_b32_e64 v2, 0, 1, vcc_lo
	s_or_b32 s8, s8, exec_lo
	flat_store_b8 v[0:1], v2
.LBB276_2099:
	s_wait_xcnt 0x0
	s_or_b32 exec_lo, exec_lo, s1
	s_delay_alu instid0(SALU_CYCLE_1)
	s_and_not1_b32 s1, s2, exec_lo
	s_and_b32 s0, s0, exec_lo
	s_and_b32 s8, s8, exec_lo
	s_or_b32 s1, s1, s0
                                        ; implicit-def: $vgpr2
                                        ; implicit-def: $vgpr0_vgpr1
.LBB276_2100:
	s_and_not1_saveexec_b32 s7, s7
	s_cbranch_execz .LBB276_2142
; %bb.2101:
	s_mov_b32 s9, exec_lo
	v_cmpx_lt_i16_e32 4, v2
	s_xor_b32 s9, exec_lo, s9
	s_cbranch_execz .LBB276_2123
; %bb.2102:
	s_mov_b32 s10, exec_lo
	v_cmpx_lt_i16_e32 7, v2
	s_xor_b32 s10, exec_lo, s10
	;; [unrolled: 5-line block ×3, first 2 shown]
	s_cbranch_execz .LBB276_2109
; %bb.2104:
	v_cmp_lt_i16_e64 s0, 9, v2
	s_and_saveexec_b32 s12, s0
	s_delay_alu instid0(SALU_CYCLE_1)
	s_xor_b32 s0, exec_lo, s12
	s_cbranch_execz .LBB276_2106
; %bb.2105:
	v_cndmask_b32_e64 v2, 0, 1, vcc_lo
	v_mov_b32_e32 v4, 0
	s_delay_alu instid0(VALU_DEP_2) | instskip(NEXT) | instid1(VALU_DEP_2)
	v_cvt_f64_u32_e32 v[2:3], v2
	v_mov_b32_e32 v5, v4
	flat_store_b128 v[0:1], v[2:5]
                                        ; implicit-def: $vgpr0_vgpr1
.LBB276_2106:
	s_wait_xcnt 0x0
	s_and_not1_saveexec_b32 s0, s0
	s_cbranch_execz .LBB276_2108
; %bb.2107:
	v_cndmask_b32_e64 v2, 0, 1.0, vcc_lo
	v_mov_b32_e32 v3, 0
	flat_store_b64 v[0:1], v[2:3]
.LBB276_2108:
	s_wait_xcnt 0x0
	s_or_b32 exec_lo, exec_lo, s0
                                        ; implicit-def: $vgpr0_vgpr1
.LBB276_2109:
	s_and_not1_saveexec_b32 s0, s11
	s_cbranch_execz .LBB276_2111
; %bb.2110:
	v_cndmask_b32_e64 v2, 0, 1.0, vcc_lo
	s_delay_alu instid0(VALU_DEP_1) | instskip(NEXT) | instid1(VALU_DEP_1)
	v_cvt_f16_f32_e32 v2, v2
	v_and_b32_e32 v2, 0xffff, v2
	flat_store_b32 v[0:1], v2
.LBB276_2111:
	s_wait_xcnt 0x0
	s_or_b32 exec_lo, exec_lo, s0
                                        ; implicit-def: $vgpr0_vgpr1
                                        ; implicit-def: $vgpr2
.LBB276_2112:
	s_and_not1_saveexec_b32 s10, s10
	s_cbranch_execz .LBB276_2122
; %bb.2113:
	s_mov_b32 s11, exec_lo
	v_cmpx_lt_i16_e32 5, v2
	s_xor_b32 s11, exec_lo, s11
	s_cbranch_execz .LBB276_2119
; %bb.2114:
	v_cmp_lt_i16_e64 s0, 6, v2
	s_and_saveexec_b32 s12, s0
	s_delay_alu instid0(SALU_CYCLE_1)
	s_xor_b32 s0, exec_lo, s12
	s_cbranch_execz .LBB276_2116
; %bb.2115:
	v_cndmask_b32_e64 v2, 0, 1, vcc_lo
	s_delay_alu instid0(VALU_DEP_1)
	v_cvt_f64_u32_e32 v[2:3], v2
	flat_store_b64 v[0:1], v[2:3]
                                        ; implicit-def: $vgpr0_vgpr1
.LBB276_2116:
	s_wait_xcnt 0x0
	s_and_not1_saveexec_b32 s0, s0
	s_cbranch_execz .LBB276_2118
; %bb.2117:
	v_cndmask_b32_e64 v2, 0, 1.0, vcc_lo
	flat_store_b32 v[0:1], v2
.LBB276_2118:
	s_wait_xcnt 0x0
	s_or_b32 exec_lo, exec_lo, s0
                                        ; implicit-def: $vgpr0_vgpr1
.LBB276_2119:
	s_and_not1_saveexec_b32 s0, s11
	s_cbranch_execz .LBB276_2121
; %bb.2120:
	v_cndmask_b32_e64 v2, 0, 1.0, vcc_lo
	s_delay_alu instid0(VALU_DEP_1)
	v_cvt_f16_f32_e32 v2, v2
	flat_store_b16 v[0:1], v2
.LBB276_2121:
	s_wait_xcnt 0x0
	s_or_b32 exec_lo, exec_lo, s0
.LBB276_2122:
	s_delay_alu instid0(SALU_CYCLE_1)
	s_or_b32 exec_lo, exec_lo, s10
                                        ; implicit-def: $vgpr2
                                        ; implicit-def: $vgpr0_vgpr1
.LBB276_2123:
	s_and_not1_saveexec_b32 s9, s9
	s_cbranch_execz .LBB276_2141
; %bb.2124:
	s_mov_b32 s10, exec_lo
	v_cmpx_lt_i16_e32 1, v2
	s_xor_b32 s10, exec_lo, s10
	s_cbranch_execz .LBB276_2134
; %bb.2125:
	s_mov_b32 s11, exec_lo
	v_cmpx_lt_i16_e32 2, v2
	s_xor_b32 s11, exec_lo, s11
	s_cbranch_execz .LBB276_2131
; %bb.2126:
	v_cmp_lt_i16_e64 s0, 3, v2
	s_and_saveexec_b32 s12, s0
	s_delay_alu instid0(SALU_CYCLE_1)
	s_xor_b32 s0, exec_lo, s12
	s_cbranch_execz .LBB276_2128
; %bb.2127:
	s_mov_b32 s12, 0
	v_cndmask_b32_e64 v2, 0, 1, vcc_lo
	v_mov_b32_e32 v3, s12
	flat_store_b64 v[0:1], v[2:3]
                                        ; implicit-def: $vgpr0_vgpr1
.LBB276_2128:
	s_wait_xcnt 0x0
	s_and_not1_saveexec_b32 s0, s0
	s_cbranch_execz .LBB276_2130
; %bb.2129:
	v_cndmask_b32_e64 v2, 0, 1, vcc_lo
	flat_store_b32 v[0:1], v2
.LBB276_2130:
	s_wait_xcnt 0x0
	s_or_b32 exec_lo, exec_lo, s0
                                        ; implicit-def: $vgpr0_vgpr1
.LBB276_2131:
	s_and_not1_saveexec_b32 s0, s11
	s_cbranch_execz .LBB276_2133
; %bb.2132:
	v_cndmask_b32_e64 v2, 0, 1, vcc_lo
	flat_store_b16 v[0:1], v2
.LBB276_2133:
	s_wait_xcnt 0x0
	s_or_b32 exec_lo, exec_lo, s0
                                        ; implicit-def: $vgpr0_vgpr1
                                        ; implicit-def: $vgpr2
.LBB276_2134:
	s_and_not1_saveexec_b32 s10, s10
	s_cbranch_execz .LBB276_2140
; %bb.2135:
	v_cmp_lt_i16_e64 s0, 0, v2
	v_cndmask_b32_e64 v2, 0, 1, vcc_lo
	s_and_saveexec_b32 s11, s0
	s_delay_alu instid0(SALU_CYCLE_1)
	s_xor_b32 s0, exec_lo, s11
	s_cbranch_execz .LBB276_2137
; %bb.2136:
	flat_store_b8 v[0:1], v2
                                        ; implicit-def: $vgpr0_vgpr1
                                        ; implicit-def: $vgpr2
.LBB276_2137:
	s_wait_xcnt 0x0
	s_and_not1_saveexec_b32 s0, s0
	s_cbranch_execz .LBB276_2139
; %bb.2138:
	flat_store_b8 v[0:1], v2
.LBB276_2139:
	s_wait_xcnt 0x0
	s_or_b32 exec_lo, exec_lo, s0
.LBB276_2140:
	s_delay_alu instid0(SALU_CYCLE_1)
	s_or_b32 exec_lo, exec_lo, s10
.LBB276_2141:
	s_delay_alu instid0(SALU_CYCLE_1) | instskip(NEXT) | instid1(SALU_CYCLE_1)
	s_or_b32 exec_lo, exec_lo, s9
	s_or_b32 s8, s8, exec_lo
.LBB276_2142:
	s_or_b32 exec_lo, exec_lo, s7
	s_mov_b32 s0, 0
	s_mov_b32 s9, 0
	;; [unrolled: 1-line block ×3, first 2 shown]
                                        ; implicit-def: $vgpr22_vgpr23
                                        ; implicit-def: $vgpr5
	s_and_saveexec_b32 s7, s8
	s_cbranch_execz .LBB276_2183
; %bb.2143:
	scratch_load_u8 v5, off, off offset:444
	v_mov_b32_e32 v21, 0
	s_mov_b32 s9, -1
	s_mov_b32 s11, s1
	s_mov_b32 s12, 0
	s_mov_b32 s8, exec_lo
	v_add_nc_u64_e32 v[22:23], v[16:17], v[20:21]
	s_wait_loadcnt 0x0
	v_cmpx_lt_i16_e32 10, v5
	s_cbranch_execz .LBB276_2182
; %bb.2144:
	s_mov_b32 s9, 0
	s_mov_b32 s11, exec_lo
	v_cmpx_lt_i16_e32 25, v5
	s_xor_b32 s11, exec_lo, s11
	s_cbranch_execz .LBB276_2794
; %bb.2145:
	s_mov_b32 s9, exec_lo
	v_cmpx_lt_i16_e32 28, v5
	s_xor_b32 s9, exec_lo, s9
	s_cbranch_execz .LBB276_2163
; %bb.2146:
	s_mov_b32 s13, 0
	s_mov_b32 s12, exec_lo
	v_cmpx_lt_i16_e32 43, v5
	s_xor_b32 s12, exec_lo, s12
	s_cbranch_execz .LBB276_2158
; %bb.2147:
	s_mov_b32 s28, 0
	s_mov_b32 s0, exec_lo
	v_cmpx_lt_i16_e32 45, v5
	s_xor_b32 s0, exec_lo, s0
	s_cbranch_execz .LBB276_2151
; %bb.2148:
	s_mov_b32 s29, -1
	s_mov_b32 s28, exec_lo
	v_cmpx_eq_u16_e32 46, v5
	s_cbranch_execz .LBB276_2150
; %bb.2149:
	v_cndmask_b32_e64 v0, 0, 1.0, s3
	s_mov_b32 s13, exec_lo
	s_xor_b32 s29, exec_lo, -1
	s_delay_alu instid0(VALU_DEP_1) | instskip(NEXT) | instid1(VALU_DEP_1)
	v_bfe_u32 v1, v0, 16, 1
	v_add3_u32 v0, v0, v1, 0x7fff
	s_delay_alu instid0(VALU_DEP_1)
	v_lshrrev_b32_e32 v0, 16, v0
	flat_store_b32 v[22:23], v0
.LBB276_2150:
	s_wait_xcnt 0x0
	s_or_b32 exec_lo, exec_lo, s28
	s_delay_alu instid0(SALU_CYCLE_1)
	s_and_b32 s28, s13, exec_lo
	s_and_b32 s13, s29, exec_lo
.LBB276_2151:
	s_and_not1_saveexec_b32 s29, s0
	s_cbranch_execz .LBB276_2157
; %bb.2152:
	s_mov_b32 s0, -1
	s_mov_b32 s31, s28
	s_mov_b32 s30, exec_lo
	v_cmpx_eq_u16_e32 44, v5
	s_cbranch_execz .LBB276_2156
; %bb.2153:
	v_cndmask_b32_e64 v2, 0, 1.0, s3
	s_mov_b32 s31, exec_lo
	s_delay_alu instid0(VALU_DEP_1) | instskip(NEXT) | instid1(VALU_DEP_1)
	v_dual_mov_b32 v1, 0xff :: v_dual_lshrrev_b32 v0, 23, v2
	v_cmpx_ne_u32_e32 0xff, v0
; %bb.2154:
	v_and_b32_e32 v1, 0x400000, v2
	v_and_or_b32 v2, 0x3fffff, v2, v0
	s_delay_alu instid0(VALU_DEP_2) | instskip(NEXT) | instid1(VALU_DEP_2)
	v_cmp_ne_u32_e32 vcc_lo, 0, v1
	v_cmp_ne_u32_e64 s0, 0, v2
	s_and_b32 s0, vcc_lo, s0
	s_delay_alu instid0(SALU_CYCLE_1) | instskip(NEXT) | instid1(VALU_DEP_1)
	v_cndmask_b32_e64 v1, 0, 1, s0
	v_add_nc_u32_e32 v1, v0, v1
; %bb.2155:
	s_or_b32 exec_lo, exec_lo, s31
	s_delay_alu instid0(SALU_CYCLE_1)
	s_or_b32 s31, s28, exec_lo
	s_xor_b32 s0, exec_lo, -1
	flat_store_b8 v[22:23], v1
.LBB276_2156:
	s_wait_xcnt 0x0
	s_or_b32 exec_lo, exec_lo, s30
	s_delay_alu instid0(SALU_CYCLE_1)
	s_and_not1_b32 s28, s28, exec_lo
	s_and_b32 s30, s31, exec_lo
	s_and_not1_b32 s13, s13, exec_lo
	s_and_b32 s0, s0, exec_lo
	s_or_b32 s28, s28, s30
	s_or_b32 s13, s13, s0
.LBB276_2157:
	s_or_b32 exec_lo, exec_lo, s29
	s_delay_alu instid0(SALU_CYCLE_1)
	s_and_b32 s0, s28, exec_lo
	s_and_b32 s13, s13, exec_lo
.LBB276_2158:
	s_and_not1_saveexec_b32 s12, s12
	s_cbranch_execz .LBB276_2162
; %bb.2159:
	s_mov_b32 s28, -1
	s_mov_b32 s30, s0
	s_mov_b32 s29, exec_lo
	v_cmpx_eq_u16_e32 29, v5
	s_cbranch_execz .LBB276_2161
; %bb.2160:
	s_mov_b32 s28, 0
	v_cndmask_b32_e64 v0, 0, 1, s3
	v_mov_b32_e32 v1, s28
	s_or_b32 s30, s0, exec_lo
	s_xor_b32 s28, exec_lo, -1
	flat_store_b64 v[22:23], v[0:1]
.LBB276_2161:
	s_wait_xcnt 0x0
	s_or_b32 exec_lo, exec_lo, s29
	s_delay_alu instid0(SALU_CYCLE_1)
	s_and_not1_b32 s0, s0, exec_lo
	s_and_b32 s29, s30, exec_lo
	s_and_not1_b32 s13, s13, exec_lo
	s_and_b32 s28, s28, exec_lo
	s_or_b32 s0, s0, s29
	s_or_b32 s13, s13, s28
.LBB276_2162:
	s_or_b32 exec_lo, exec_lo, s12
	s_delay_alu instid0(SALU_CYCLE_1)
	s_and_b32 s0, s0, exec_lo
	s_and_b32 s12, s13, exec_lo
.LBB276_2163:
	s_and_not1_saveexec_b32 s9, s9
	s_cbranch_execz .LBB276_2179
; %bb.2164:
	s_mov_b32 s13, exec_lo
	v_cmpx_lt_i16_e32 26, v5
	s_xor_b32 s13, exec_lo, s13
	s_cbranch_execz .LBB276_2170
; %bb.2165:
	v_cndmask_b32_e64 v0, 0, 1, s3
	s_mov_b32 s28, exec_lo
	v_cmpx_lt_i16_e32 27, v5
	s_xor_b32 s28, exec_lo, s28
	s_cbranch_execz .LBB276_2167
; %bb.2166:
	flat_store_b32 v[22:23], v0
                                        ; implicit-def: $vgpr0
.LBB276_2167:
	s_wait_xcnt 0x0
	s_and_not1_saveexec_b32 s28, s28
	s_cbranch_execz .LBB276_2169
; %bb.2168:
	flat_store_b16 v[22:23], v0
.LBB276_2169:
	s_wait_xcnt 0x0
	s_or_b32 exec_lo, exec_lo, s28
.LBB276_2170:
	s_and_not1_saveexec_b32 s13, s13
	s_cbranch_execz .LBB276_2178
; %bb.2171:
	v_cndmask_b32_e64 v1, 0, 1.0, s3
	v_mov_b32_e32 v2, 0x80
	s_mov_b32 s28, exec_lo
	s_delay_alu instid0(VALU_DEP_2)
	v_cmpx_gt_u32_e32 0x43800000, v1
	s_cbranch_execz .LBB276_2177
; %bb.2172:
	s_mov_b32 s29, 0
	s_mov_b32 s30, exec_lo
                                        ; implicit-def: $vgpr0
	v_cmpx_lt_u32_e32 0x3bffffff, v1
	s_xor_b32 s30, exec_lo, s30
	s_cbranch_execz .LBB276_2849
; %bb.2173:
	v_bfe_u32 v0, v1, 20, 1
	s_mov_b32 s29, exec_lo
	s_delay_alu instid0(VALU_DEP_1) | instskip(NEXT) | instid1(VALU_DEP_1)
	v_add3_u32 v0, v1, v0, 0x487ffff
                                        ; implicit-def: $vgpr1
	v_lshrrev_b32_e32 v0, 20, v0
	s_and_not1_saveexec_b32 s30, s30
	s_cbranch_execnz .LBB276_2850
.LBB276_2174:
	s_or_b32 exec_lo, exec_lo, s30
	v_mov_b32_e32 v2, 0
	s_and_saveexec_b32 s30, s29
.LBB276_2175:
	v_mov_b32_e32 v2, v0
.LBB276_2176:
	s_or_b32 exec_lo, exec_lo, s30
.LBB276_2177:
	s_delay_alu instid0(SALU_CYCLE_1)
	s_or_b32 exec_lo, exec_lo, s28
	flat_store_b8 v[22:23], v2
.LBB276_2178:
	s_wait_xcnt 0x0
	s_or_b32 exec_lo, exec_lo, s13
	s_delay_alu instid0(SALU_CYCLE_1)
	s_or_b32 s0, s0, exec_lo
.LBB276_2179:
	s_or_b32 exec_lo, exec_lo, s9
	s_delay_alu instid0(SALU_CYCLE_1)
	s_and_b32 s0, s0, exec_lo
	s_and_b32 s9, s12, exec_lo
	s_and_not1_saveexec_b32 s11, s11
	s_cbranch_execnz .LBB276_2795
.LBB276_2180:
	s_or_b32 exec_lo, exec_lo, s11
	s_mov_b32 s11, s1
	s_and_saveexec_b32 s12, s9
	s_cbranch_execnz .LBB276_2836
.LBB276_2181:
	s_or_b32 exec_lo, exec_lo, s12
	s_delay_alu instid0(SALU_CYCLE_1)
	s_and_not1_b32 s13, s1, exec_lo
	s_and_b32 s11, s11, exec_lo
	s_and_b32 s12, s0, exec_lo
	s_xor_b32 s9, exec_lo, -1
	s_and_b32 s0, s10, exec_lo
	s_or_b32 s11, s13, s11
.LBB276_2182:
	s_or_b32 exec_lo, exec_lo, s8
	s_delay_alu instid0(SALU_CYCLE_1)
	s_and_not1_b32 s1, s1, exec_lo
	s_and_b32 s8, s11, exec_lo
	s_and_b32 s10, s12, exec_lo
	;; [unrolled: 1-line block ×4, first 2 shown]
	s_or_b32 s1, s1, s8
.LBB276_2183:
	s_or_b32 exec_lo, exec_lo, s7
	s_delay_alu instid0(SALU_CYCLE_1)
	s_and_not1_b32 s2, s2, exec_lo
	s_and_b32 s1, s1, exec_lo
	s_and_b32 s10, s10, exec_lo
	;; [unrolled: 1-line block ×4, first 2 shown]
	s_or_b32 s2, s2, s1
.LBB276_2184:
	s_or_b32 exec_lo, exec_lo, s6
	s_delay_alu instid0(SALU_CYCLE_1)
	s_and_not1_b32 s4, s4, exec_lo
	s_and_b32 s2, s2, exec_lo
	s_and_b32 s6, s10, exec_lo
	;; [unrolled: 1-line block ×4, first 2 shown]
	s_or_b32 s4, s4, s2
.LBB276_2185:
	s_or_b32 exec_lo, exec_lo, s5
	s_delay_alu instid0(SALU_CYCLE_1)
	s_and_b32 s2, s1, exec_lo
	s_and_not1_b32 s1, s26, exec_lo
	s_and_b32 s4, s4, exec_lo
	s_and_b32 s5, s6, exec_lo
	s_and_b32 s0, s0, exec_lo
	s_or_b32 s26, s1, s4
.LBB276_2186:
	s_or_b32 exec_lo, exec_lo, s27
	s_delay_alu instid0(SALU_CYCLE_1)
	s_and_b32 s4, s5, exec_lo
	s_and_not1_b32 s1, s24, exec_lo
	s_and_b32 s5, s26, exec_lo
	s_and_b32 s2, s2, exec_lo
	;; [unrolled: 1-line block ×3, first 2 shown]
	s_or_b32 s24, s1, s5
.LBB276_2187:
	s_or_b32 exec_lo, exec_lo, s25
	s_delay_alu instid0(SALU_CYCLE_1)
	s_and_not1_b32 s1, s22, exec_lo
	s_and_b32 s5, s24, exec_lo
	s_and_b32 s4, s4, exec_lo
	;; [unrolled: 1-line block ×4, first 2 shown]
	s_or_b32 s22, s1, s5
.LBB276_2188:
	s_or_b32 exec_lo, exec_lo, s23
	s_delay_alu instid0(SALU_CYCLE_1)
	s_and_not1_b32 s1, s20, exec_lo
	s_and_b32 s5, s22, exec_lo
	s_and_b32 s4, s4, exec_lo
	;; [unrolled: 1-line block ×4, first 2 shown]
	s_or_b32 s20, s1, s5
.LBB276_2189:
	s_or_b32 exec_lo, exec_lo, s21
	s_delay_alu instid0(SALU_CYCLE_1)
	s_and_not1_b32 s1, s18, exec_lo
	s_and_b32 s5, s20, exec_lo
	s_and_b32 s4, s4, exec_lo
	;; [unrolled: 1-line block ×4, first 2 shown]
	s_or_b32 s18, s1, s5
.LBB276_2190:
	s_or_b32 exec_lo, exec_lo, s19
	s_delay_alu instid0(SALU_CYCLE_1)
	s_and_not1_b32 s1, s16, exec_lo
	s_and_b32 s6, s18, exec_lo
	s_and_b32 s5, s4, exec_lo
	;; [unrolled: 1-line block ×4, first 2 shown]
	s_or_b32 s16, s1, s6
.LBB276_2191:
	s_or_b32 exec_lo, exec_lo, s17
	s_delay_alu instid0(SALU_CYCLE_1)
	s_and_b32 s0, s5, exec_lo
	s_and_not1_b32 s1, s14, exec_lo
	s_and_b32 s5, s16, exec_lo
	s_and_b32 s2, s2, exec_lo
	;; [unrolled: 1-line block ×3, first 2 shown]
	s_or_b32 s14, s1, s5
	s_or_b32 exec_lo, exec_lo, s15
	s_and_saveexec_b32 s1, s14
	s_cbranch_execnz .LBB276_484
.LBB276_2192:
	s_or_b32 exec_lo, exec_lo, s1
	s_and_saveexec_b32 s1, s16
	s_delay_alu instid0(SALU_CYCLE_1)
	s_xor_b32 s1, exec_lo, s1
	s_cbranch_execz .LBB276_485
.LBB276_2193:
	v_cndmask_b32_e64 v0, 0, 1, s3
	s_or_b32 s0, s0, exec_lo
	flat_store_b8 v[22:23], v0
	s_wait_xcnt 0x0
	s_or_b32 exec_lo, exec_lo, s1
	s_and_saveexec_b32 s1, s2
	s_cbranch_execnz .LBB276_486
.LBB276_2194:
	s_or_b32 exec_lo, exec_lo, s1
	s_and_saveexec_b32 s1, s0
	s_endpgm
.LBB276_2195:
	s_and_not1_saveexec_b32 s2, s2
	s_cbranch_execz .LBB276_96
.LBB276_2196:
	s_mov_b32 s4, exec_lo
	v_cmpx_lt_i16_e32 4, v2
	s_xor_b32 s4, exec_lo, s4
	s_cbranch_execz .LBB276_2218
; %bb.2197:
	s_mov_b32 s5, exec_lo
	v_cmpx_lt_i16_e32 7, v2
	s_xor_b32 s5, exec_lo, s5
	s_cbranch_execz .LBB276_2207
; %bb.2198:
	;; [unrolled: 5-line block ×3, first 2 shown]
	v_cmp_lt_i16_e64 s0, 9, v2
	s_and_saveexec_b32 s7, s0
	s_delay_alu instid0(SALU_CYCLE_1)
	s_xor_b32 s0, exec_lo, s7
	s_cbranch_execz .LBB276_2201
; %bb.2200:
	v_cndmask_b32_e64 v2, 0, 1, vcc_lo
	v_mov_b32_e32 v4, 0
	s_delay_alu instid0(VALU_DEP_2) | instskip(NEXT) | instid1(VALU_DEP_2)
	v_cvt_f64_u32_e32 v[2:3], v2
	v_mov_b32_e32 v5, v4
	flat_store_b128 v[0:1], v[2:5]
                                        ; implicit-def: $vgpr0_vgpr1
.LBB276_2201:
	s_wait_xcnt 0x0
	s_and_not1_saveexec_b32 s0, s0
	s_cbranch_execz .LBB276_2203
; %bb.2202:
	v_cndmask_b32_e64 v2, 0, 1.0, vcc_lo
	v_mov_b32_e32 v3, 0
	flat_store_b64 v[0:1], v[2:3]
.LBB276_2203:
	s_wait_xcnt 0x0
	s_or_b32 exec_lo, exec_lo, s0
                                        ; implicit-def: $vgpr0_vgpr1
.LBB276_2204:
	s_and_not1_saveexec_b32 s0, s6
	s_cbranch_execz .LBB276_2206
; %bb.2205:
	v_cndmask_b32_e64 v2, 0, 1.0, vcc_lo
	s_delay_alu instid0(VALU_DEP_1) | instskip(NEXT) | instid1(VALU_DEP_1)
	v_cvt_f16_f32_e32 v2, v2
	v_and_b32_e32 v2, 0xffff, v2
	flat_store_b32 v[0:1], v2
.LBB276_2206:
	s_wait_xcnt 0x0
	s_or_b32 exec_lo, exec_lo, s0
                                        ; implicit-def: $vgpr0_vgpr1
                                        ; implicit-def: $vgpr2
.LBB276_2207:
	s_and_not1_saveexec_b32 s5, s5
	s_cbranch_execz .LBB276_2217
; %bb.2208:
	s_mov_b32 s6, exec_lo
	v_cmpx_lt_i16_e32 5, v2
	s_xor_b32 s6, exec_lo, s6
	s_cbranch_execz .LBB276_2214
; %bb.2209:
	v_cmp_lt_i16_e64 s0, 6, v2
	s_and_saveexec_b32 s7, s0
	s_delay_alu instid0(SALU_CYCLE_1)
	s_xor_b32 s0, exec_lo, s7
	s_cbranch_execz .LBB276_2211
; %bb.2210:
	v_cndmask_b32_e64 v2, 0, 1, vcc_lo
	s_delay_alu instid0(VALU_DEP_1)
	v_cvt_f64_u32_e32 v[2:3], v2
	flat_store_b64 v[0:1], v[2:3]
                                        ; implicit-def: $vgpr0_vgpr1
.LBB276_2211:
	s_wait_xcnt 0x0
	s_and_not1_saveexec_b32 s0, s0
	s_cbranch_execz .LBB276_2213
; %bb.2212:
	v_cndmask_b32_e64 v2, 0, 1.0, vcc_lo
	flat_store_b32 v[0:1], v2
.LBB276_2213:
	s_wait_xcnt 0x0
	s_or_b32 exec_lo, exec_lo, s0
                                        ; implicit-def: $vgpr0_vgpr1
.LBB276_2214:
	s_and_not1_saveexec_b32 s0, s6
	s_cbranch_execz .LBB276_2216
; %bb.2215:
	v_cndmask_b32_e64 v2, 0, 1.0, vcc_lo
	s_delay_alu instid0(VALU_DEP_1)
	v_cvt_f16_f32_e32 v2, v2
	flat_store_b16 v[0:1], v2
.LBB276_2216:
	s_wait_xcnt 0x0
	s_or_b32 exec_lo, exec_lo, s0
.LBB276_2217:
	s_delay_alu instid0(SALU_CYCLE_1)
	s_or_b32 exec_lo, exec_lo, s5
                                        ; implicit-def: $vgpr2
                                        ; implicit-def: $vgpr0_vgpr1
.LBB276_2218:
	s_and_not1_saveexec_b32 s4, s4
	s_cbranch_execz .LBB276_2236
; %bb.2219:
	s_mov_b32 s5, exec_lo
	v_cmpx_lt_i16_e32 1, v2
	s_xor_b32 s5, exec_lo, s5
	s_cbranch_execz .LBB276_2229
; %bb.2220:
	s_mov_b32 s6, exec_lo
	v_cmpx_lt_i16_e32 2, v2
	s_xor_b32 s6, exec_lo, s6
	s_cbranch_execz .LBB276_2226
; %bb.2221:
	v_cmp_lt_i16_e64 s0, 3, v2
	s_and_saveexec_b32 s7, s0
	s_delay_alu instid0(SALU_CYCLE_1)
	s_xor_b32 s0, exec_lo, s7
	s_cbranch_execz .LBB276_2223
; %bb.2222:
	s_mov_b32 s7, 0
	v_cndmask_b32_e64 v2, 0, 1, vcc_lo
	v_mov_b32_e32 v3, s7
	flat_store_b64 v[0:1], v[2:3]
                                        ; implicit-def: $vgpr0_vgpr1
.LBB276_2223:
	s_wait_xcnt 0x0
	s_and_not1_saveexec_b32 s0, s0
	s_cbranch_execz .LBB276_2225
; %bb.2224:
	v_cndmask_b32_e64 v2, 0, 1, vcc_lo
	flat_store_b32 v[0:1], v2
.LBB276_2225:
	s_wait_xcnt 0x0
	s_or_b32 exec_lo, exec_lo, s0
                                        ; implicit-def: $vgpr0_vgpr1
.LBB276_2226:
	s_and_not1_saveexec_b32 s0, s6
	s_cbranch_execz .LBB276_2228
; %bb.2227:
	v_cndmask_b32_e64 v2, 0, 1, vcc_lo
	flat_store_b16 v[0:1], v2
.LBB276_2228:
	s_wait_xcnt 0x0
	s_or_b32 exec_lo, exec_lo, s0
                                        ; implicit-def: $vgpr0_vgpr1
                                        ; implicit-def: $vgpr2
.LBB276_2229:
	s_and_not1_saveexec_b32 s5, s5
	s_cbranch_execz .LBB276_2235
; %bb.2230:
	v_cmp_lt_i16_e64 s0, 0, v2
	v_cndmask_b32_e64 v2, 0, 1, vcc_lo
	s_and_saveexec_b32 s6, s0
	s_delay_alu instid0(SALU_CYCLE_1)
	s_xor_b32 s0, exec_lo, s6
	s_cbranch_execz .LBB276_2232
; %bb.2231:
	flat_store_b8 v[0:1], v2
                                        ; implicit-def: $vgpr0_vgpr1
                                        ; implicit-def: $vgpr2
.LBB276_2232:
	s_wait_xcnt 0x0
	s_and_not1_saveexec_b32 s0, s0
	s_cbranch_execz .LBB276_2234
; %bb.2233:
	flat_store_b8 v[0:1], v2
.LBB276_2234:
	s_wait_xcnt 0x0
	s_or_b32 exec_lo, exec_lo, s0
.LBB276_2235:
	s_delay_alu instid0(SALU_CYCLE_1)
	s_or_b32 exec_lo, exec_lo, s5
.LBB276_2236:
	s_delay_alu instid0(SALU_CYCLE_1) | instskip(NEXT) | instid1(SALU_CYCLE_1)
	s_or_b32 exec_lo, exec_lo, s4
	s_or_b32 s1, s1, exec_lo
	s_or_b32 exec_lo, exec_lo, s2
	s_mov_b32 s0, 0
	s_and_saveexec_b32 s2, s1
	s_cbranch_execnz .LBB276_97
	s_branch .LBB276_98
.LBB276_2237:
	s_and_not1_saveexec_b32 s2, s2
	s_cbranch_execz .LBB276_618
.LBB276_2238:
	s_mov_b32 s5, s3
	s_mov_b32 s1, exec_lo
                                        ; implicit-def: $vgpr21
	v_cmpx_lt_i16_e32 22, v1
	s_xor_b32 s1, exec_lo, s1
	s_cbranch_execz .LBB276_2270
; %bb.2239:
	s_mov_b32 s5, exec_lo
                                        ; implicit-def: $vgpr21
	v_cmpx_lt_i16_e32 23, v1
	s_xor_b32 s5, exec_lo, s5
	s_cbranch_execz .LBB276_2259
; %bb.2240:
	;; [unrolled: 6-line block ×3, first 2 shown]
	flat_load_u8 v6, v[2:3]
	s_mov_b32 s7, 0
	s_mov_b32 s8, exec_lo
	s_wait_loadcnt_dscnt 0x0
	v_cmpx_lt_i16_e32 0x7f, v6
	s_xor_b32 s8, exec_lo, s8
	s_cbranch_execz .LBB276_2580
; %bb.2242:
	s_mov_b32 s7, -1
	s_mov_b32 s9, exec_lo
	v_cmpx_eq_u16_e32 0x80, v6
; %bb.2243:
	s_xor_b32 s7, exec_lo, -1
; %bb.2244:
	s_or_b32 exec_lo, exec_lo, s9
	s_delay_alu instid0(SALU_CYCLE_1)
	s_and_b32 s7, s7, exec_lo
	s_or_saveexec_b32 s8, s8
	v_mov_b32_e32 v5, 0x7f800001
	s_xor_b32 exec_lo, exec_lo, s8
	s_cbranch_execnz .LBB276_2581
.LBB276_2245:
	s_or_b32 exec_lo, exec_lo, s8
	s_and_saveexec_b32 s8, s7
	s_cbranch_execz .LBB276_2247
.LBB276_2246:
	v_and_b32_e32 v5, 0xffff, v6
	s_delay_alu instid0(VALU_DEP_1) | instskip(SKIP_1) | instid1(VALU_DEP_2)
	v_dual_lshlrev_b32 v6, 24, v6 :: v_dual_bitop2_b32 v7, 3, v5 bitop3:0x40
	v_bfe_u32 v13, v5, 2, 5
	v_and_b32_e32 v6, 0x80000000, v6
	s_delay_alu instid0(VALU_DEP_3) | instskip(NEXT) | instid1(VALU_DEP_3)
	v_clz_i32_u32_e32 v9, v7
	v_cmp_eq_u32_e32 vcc_lo, 0, v13
	s_delay_alu instid0(VALU_DEP_2) | instskip(NEXT) | instid1(VALU_DEP_1)
	v_min_u32_e32 v9, 32, v9
	v_subrev_nc_u32_e32 v11, 29, v9
	v_sub_nc_u32_e32 v9, 30, v9
	s_delay_alu instid0(VALU_DEP_2) | instskip(NEXT) | instid1(VALU_DEP_2)
	v_lshlrev_b32_e32 v5, v11, v5
	v_cndmask_b32_e32 v9, v13, v9, vcc_lo
	s_delay_alu instid0(VALU_DEP_2) | instskip(NEXT) | instid1(VALU_DEP_1)
	v_and_b32_e32 v5, 3, v5
	v_cndmask_b32_e32 v5, v7, v5, vcc_lo
	s_delay_alu instid0(VALU_DEP_3) | instskip(NEXT) | instid1(VALU_DEP_2)
	v_lshl_add_u32 v7, v9, 23, 0x37800000
	v_lshlrev_b32_e32 v5, 21, v5
	s_delay_alu instid0(VALU_DEP_1)
	v_or3_b32 v5, v6, v7, v5
.LBB276_2247:
	s_or_b32 exec_lo, exec_lo, s8
	s_delay_alu instid0(VALU_DEP_1) | instskip(SKIP_1) | instid1(VALU_DEP_1)
	v_and_b32_e32 v7, 0x7fffffff, v5
	s_mov_b32 s7, exec_lo
                                        ; implicit-def: $vgpr6
	v_cmpx_gt_u32_e32 0x43f00000, v7
	s_xor_b32 s7, exec_lo, s7
	s_cbranch_execz .LBB276_2253
; %bb.2248:
	s_mov_b32 s8, exec_lo
                                        ; implicit-def: $vgpr6
	v_cmpx_lt_u32_e32 0x3c7fffff, v7
	s_xor_b32 s8, exec_lo, s8
; %bb.2249:
	v_bfe_u32 v6, v5, 20, 1
	s_delay_alu instid0(VALU_DEP_1) | instskip(NEXT) | instid1(VALU_DEP_1)
	v_add3_u32 v6, v5, v6, 0x407ffff
	v_and_b32_e32 v7, 0xff00000, v6
	v_lshrrev_b32_e32 v6, 20, v6
	s_delay_alu instid0(VALU_DEP_2) | instskip(NEXT) | instid1(VALU_DEP_2)
	v_cmp_ne_u32_e32 vcc_lo, 0x7f00000, v7
	v_cndmask_b32_e32 v6, 0x7e, v6, vcc_lo
; %bb.2250:
	s_and_not1_saveexec_b32 s8, s8
; %bb.2251:
	v_add_f32_e64 v6, 0x46800000, |v5|
; %bb.2252:
	s_or_b32 exec_lo, exec_lo, s8
                                        ; implicit-def: $vgpr7
.LBB276_2253:
	s_and_not1_saveexec_b32 s7, s7
; %bb.2254:
	v_mov_b32_e32 v6, 0x7f
	v_cmp_lt_u32_e32 vcc_lo, 0x7f800000, v7
	s_delay_alu instid0(VALU_DEP_2)
	v_cndmask_b32_e32 v6, 0x7e, v6, vcc_lo
; %bb.2255:
	s_or_b32 exec_lo, exec_lo, s7
	v_lshrrev_b32_e32 v5, 24, v5
	s_delay_alu instid0(VALU_DEP_1)
	v_and_or_b32 v21, 0x80, v5, v6
.LBB276_2256:
	s_and_not1_saveexec_b32 s6, s6
	s_cbranch_execz .LBB276_2258
; %bb.2257:
	flat_load_u8 v21, v[2:3]
.LBB276_2258:
	s_wait_xcnt 0x0
	s_or_b32 exec_lo, exec_lo, s6
.LBB276_2259:
	s_and_not1_saveexec_b32 s5, s5
	s_cbranch_execz .LBB276_2269
; %bb.2260:
	flat_load_u8 v5, v[2:3]
	s_mov_b32 s6, exec_lo
	s_wait_loadcnt_dscnt 0x0
	v_lshlrev_b32_e32 v6, 25, v5
	v_lshlrev_b16 v5, 8, v5
	s_delay_alu instid0(VALU_DEP_1) | instskip(NEXT) | instid1(VALU_DEP_3)
	v_and_or_b32 v9, 0x7f00, v5, 0.5
	v_lshrrev_b32_e32 v7, 4, v6
	v_bfe_i32 v5, v5, 0, 16
	s_delay_alu instid0(VALU_DEP_3) | instskip(NEXT) | instid1(VALU_DEP_3)
	v_add_f32_e32 v9, -0.5, v9
	v_or_b32_e32 v7, 0x70000000, v7
	s_delay_alu instid0(VALU_DEP_1) | instskip(SKIP_1) | instid1(VALU_DEP_2)
	v_mul_f32_e32 v7, 0x7800000, v7
	v_cmp_gt_u32_e32 vcc_lo, 0x8000000, v6
                                        ; implicit-def: $vgpr6
	v_cndmask_b32_e32 v9, v7, v9, vcc_lo
	s_delay_alu instid0(VALU_DEP_1) | instskip(NEXT) | instid1(VALU_DEP_1)
	v_and_or_b32 v5, 0x80000000, v5, v9
	v_and_b32_e32 v7, 0x7fffffff, v5
	s_wait_xcnt 0x0
	s_delay_alu instid0(VALU_DEP_1)
	v_cmpx_gt_u32_e32 0x43f00000, v7
	s_xor_b32 s6, exec_lo, s6
	s_cbranch_execz .LBB276_2266
; %bb.2261:
	s_mov_b32 s7, exec_lo
                                        ; implicit-def: $vgpr6
	v_cmpx_lt_u32_e32 0x3c7fffff, v7
	s_xor_b32 s7, exec_lo, s7
; %bb.2262:
	v_bfe_u32 v6, v9, 20, 1
	s_delay_alu instid0(VALU_DEP_1) | instskip(NEXT) | instid1(VALU_DEP_1)
	v_add3_u32 v6, v5, v6, 0x407ffff
	v_and_b32_e32 v7, 0xff00000, v6
	v_lshrrev_b32_e32 v6, 20, v6
	s_delay_alu instid0(VALU_DEP_2) | instskip(NEXT) | instid1(VALU_DEP_2)
	v_cmp_ne_u32_e32 vcc_lo, 0x7f00000, v7
	v_cndmask_b32_e32 v6, 0x7e, v6, vcc_lo
; %bb.2263:
	s_and_not1_saveexec_b32 s7, s7
; %bb.2264:
	v_add_f32_e64 v6, 0x46800000, |v5|
; %bb.2265:
	s_or_b32 exec_lo, exec_lo, s7
                                        ; implicit-def: $vgpr7
.LBB276_2266:
	s_and_not1_saveexec_b32 s6, s6
; %bb.2267:
	v_mov_b32_e32 v6, 0x7f
	v_cmp_lt_u32_e32 vcc_lo, 0x7f800000, v7
	s_delay_alu instid0(VALU_DEP_2)
	v_cndmask_b32_e32 v6, 0x7e, v6, vcc_lo
; %bb.2268:
	s_or_b32 exec_lo, exec_lo, s6
	v_lshrrev_b32_e32 v5, 24, v5
	s_delay_alu instid0(VALU_DEP_1)
	v_and_or_b32 v21, 0x80, v5, v6
.LBB276_2269:
	s_or_b32 exec_lo, exec_lo, s5
	s_delay_alu instid0(SALU_CYCLE_1)
	s_or_b32 s5, s3, exec_lo
.LBB276_2270:
	s_or_saveexec_b32 s1, s1
	s_mov_b32 s6, 0
	s_mov_b32 s7, s4
	s_xor_b32 exec_lo, exec_lo, s1
	s_cbranch_execz .LBB276_2286
; %bb.2271:
	s_mov_b32 s7, s4
	s_mov_b32 s8, s5
	s_mov_b32 s6, exec_lo
                                        ; implicit-def: $vgpr21
	v_cmpx_lt_i16_e32 14, v1
	s_xor_b32 s6, exec_lo, s6
	s_cbranch_execz .LBB276_2283
; %bb.2272:
	s_mov_b32 s8, -1
	s_mov_b32 s9, s5
	s_mov_b32 s7, exec_lo
                                        ; implicit-def: $vgpr21
	v_cmpx_eq_u16_e32 15, v1
	s_cbranch_execz .LBB276_2282
; %bb.2273:
	flat_load_u16 v5, v[2:3]
	s_mov_b32 s8, exec_lo
                                        ; implicit-def: $vgpr6
	s_wait_loadcnt_dscnt 0x0
	v_lshlrev_b32_e32 v7, 16, v5
	s_delay_alu instid0(VALU_DEP_1) | instskip(SKIP_1) | instid1(VALU_DEP_1)
	v_and_b32_e32 v9, 0x7fffffff, v7
	s_wait_xcnt 0x0
	v_cmpx_gt_u32_e32 0x43f00000, v9
	s_xor_b32 s8, exec_lo, s8
	s_cbranch_execz .LBB276_2279
; %bb.2274:
	s_mov_b32 s9, exec_lo
                                        ; implicit-def: $vgpr6
	v_cmpx_lt_u32_e32 0x3c7fffff, v9
	s_xor_b32 s9, exec_lo, s9
; %bb.2275:
	v_bfe_u32 v6, v5, 4, 1
	s_delay_alu instid0(VALU_DEP_1) | instskip(NEXT) | instid1(VALU_DEP_1)
	v_add3_u32 v6, v7, v6, 0x407ffff
	v_and_b32_e32 v7, 0xff00000, v6
	v_lshrrev_b32_e32 v6, 20, v6
	s_delay_alu instid0(VALU_DEP_2) | instskip(NEXT) | instid1(VALU_DEP_2)
	v_cmp_ne_u32_e32 vcc_lo, 0x7f00000, v7
                                        ; implicit-def: $vgpr7
	v_cndmask_b32_e32 v6, 0x7e, v6, vcc_lo
; %bb.2276:
	s_and_not1_saveexec_b32 s9, s9
; %bb.2277:
	v_add_f32_e64 v6, 0x46800000, |v7|
; %bb.2278:
	s_or_b32 exec_lo, exec_lo, s9
                                        ; implicit-def: $vgpr9
.LBB276_2279:
	s_and_not1_saveexec_b32 s8, s8
; %bb.2280:
	v_mov_b32_e32 v6, 0x7f
	v_cmp_lt_u32_e32 vcc_lo, 0x7f800000, v9
	s_delay_alu instid0(VALU_DEP_2)
	v_cndmask_b32_e32 v6, 0x7e, v6, vcc_lo
; %bb.2281:
	s_or_b32 exec_lo, exec_lo, s8
	v_lshrrev_b32_e32 v5, 8, v5
	s_or_b32 s9, s5, exec_lo
	s_xor_b32 s8, exec_lo, -1
	s_delay_alu instid0(VALU_DEP_1)
	v_and_or_b32 v21, 0x80, v5, v6
.LBB276_2282:
	s_or_b32 exec_lo, exec_lo, s7
	s_delay_alu instid0(SALU_CYCLE_1)
	s_and_not1_b32 s7, s5, exec_lo
	s_and_b32 s9, s9, exec_lo
	s_and_not1_b32 s10, s4, exec_lo
	s_and_b32 s11, s8, exec_lo
	s_or_b32 s8, s7, s9
	s_or_b32 s7, s10, s11
.LBB276_2283:
	s_or_saveexec_b32 s9, s6
	s_mov_b32 s6, 0
	s_xor_b32 exec_lo, exec_lo, s9
; %bb.2284:
	v_cmp_ne_u16_e32 vcc_lo, 11, v1
	s_and_not1_b32 s7, s7, exec_lo
	s_mov_b32 s6, exec_lo
	s_and_b32 s10, vcc_lo, exec_lo
	s_delay_alu instid0(SALU_CYCLE_1)
	s_or_b32 s7, s7, s10
; %bb.2285:
	s_or_b32 exec_lo, exec_lo, s9
	s_delay_alu instid0(SALU_CYCLE_1)
	s_and_not1_b32 s5, s5, exec_lo
	s_and_b32 s8, s8, exec_lo
	s_and_b32 s7, s7, exec_lo
	s_or_b32 s5, s5, s8
	s_and_not1_b32 s8, s4, exec_lo
	s_and_b32 s6, s6, exec_lo
	s_or_b32 s7, s8, s7
.LBB276_2286:
	s_or_b32 exec_lo, exec_lo, s1
	s_delay_alu instid0(SALU_CYCLE_1)
	s_and_not1_b32 s1, s3, exec_lo
	s_and_b32 s3, s5, exec_lo
	s_and_not1_b32 s4, s4, exec_lo
	s_and_b32 s5, s7, exec_lo
	s_or_b32 s3, s1, s3
	s_and_b32 s1, s6, exec_lo
	s_or_b32 s4, s4, s5
	s_or_b32 exec_lo, exec_lo, s2
	s_mov_b32 s2, s14
	s_and_saveexec_b32 s5, s4
	s_cbranch_execz .LBB276_619
.LBB276_2287:
	s_or_b32 s2, s14, exec_lo
	s_and_not1_b32 s1, s1, exec_lo
	s_trap 2
	s_or_b32 exec_lo, exec_lo, s5
	s_and_saveexec_b32 s4, s1
	s_cbranch_execnz .LBB276_620
	s_branch .LBB276_629
.LBB276_2288:
	s_and_not1_saveexec_b32 s2, s2
	s_cbranch_execz .LBB276_195
.LBB276_2289:
	s_mov_b32 s4, exec_lo
	v_cmpx_lt_i16_e32 4, v2
	s_xor_b32 s4, exec_lo, s4
	s_cbranch_execz .LBB276_2311
; %bb.2290:
	s_mov_b32 s5, exec_lo
	v_cmpx_lt_i16_e32 7, v2
	s_xor_b32 s5, exec_lo, s5
	s_cbranch_execz .LBB276_2300
; %bb.2291:
	;; [unrolled: 5-line block ×3, first 2 shown]
	v_cmp_lt_i16_e64 s0, 9, v2
	s_and_saveexec_b32 s7, s0
	s_delay_alu instid0(SALU_CYCLE_1)
	s_xor_b32 s0, exec_lo, s7
	s_cbranch_execz .LBB276_2294
; %bb.2293:
	v_cndmask_b32_e64 v2, 0, 1, vcc_lo
	v_mov_b32_e32 v4, 0
	s_delay_alu instid0(VALU_DEP_2) | instskip(NEXT) | instid1(VALU_DEP_2)
	v_cvt_f64_u32_e32 v[2:3], v2
	v_mov_b32_e32 v5, v4
	flat_store_b128 v[0:1], v[2:5]
                                        ; implicit-def: $vgpr0_vgpr1
.LBB276_2294:
	s_wait_xcnt 0x0
	s_and_not1_saveexec_b32 s0, s0
	s_cbranch_execz .LBB276_2296
; %bb.2295:
	v_cndmask_b32_e64 v2, 0, 1.0, vcc_lo
	v_mov_b32_e32 v3, 0
	flat_store_b64 v[0:1], v[2:3]
.LBB276_2296:
	s_wait_xcnt 0x0
	s_or_b32 exec_lo, exec_lo, s0
                                        ; implicit-def: $vgpr0_vgpr1
.LBB276_2297:
	s_and_not1_saveexec_b32 s0, s6
	s_cbranch_execz .LBB276_2299
; %bb.2298:
	v_cndmask_b32_e64 v2, 0, 1.0, vcc_lo
	s_delay_alu instid0(VALU_DEP_1) | instskip(NEXT) | instid1(VALU_DEP_1)
	v_cvt_f16_f32_e32 v2, v2
	v_and_b32_e32 v2, 0xffff, v2
	flat_store_b32 v[0:1], v2
.LBB276_2299:
	s_wait_xcnt 0x0
	s_or_b32 exec_lo, exec_lo, s0
                                        ; implicit-def: $vgpr0_vgpr1
                                        ; implicit-def: $vgpr2
.LBB276_2300:
	s_and_not1_saveexec_b32 s5, s5
	s_cbranch_execz .LBB276_2310
; %bb.2301:
	s_mov_b32 s6, exec_lo
	v_cmpx_lt_i16_e32 5, v2
	s_xor_b32 s6, exec_lo, s6
	s_cbranch_execz .LBB276_2307
; %bb.2302:
	v_cmp_lt_i16_e64 s0, 6, v2
	s_and_saveexec_b32 s7, s0
	s_delay_alu instid0(SALU_CYCLE_1)
	s_xor_b32 s0, exec_lo, s7
	s_cbranch_execz .LBB276_2304
; %bb.2303:
	v_cndmask_b32_e64 v2, 0, 1, vcc_lo
	s_delay_alu instid0(VALU_DEP_1)
	v_cvt_f64_u32_e32 v[2:3], v2
	flat_store_b64 v[0:1], v[2:3]
                                        ; implicit-def: $vgpr0_vgpr1
.LBB276_2304:
	s_wait_xcnt 0x0
	s_and_not1_saveexec_b32 s0, s0
	s_cbranch_execz .LBB276_2306
; %bb.2305:
	v_cndmask_b32_e64 v2, 0, 1.0, vcc_lo
	flat_store_b32 v[0:1], v2
.LBB276_2306:
	s_wait_xcnt 0x0
	s_or_b32 exec_lo, exec_lo, s0
                                        ; implicit-def: $vgpr0_vgpr1
.LBB276_2307:
	s_and_not1_saveexec_b32 s0, s6
	s_cbranch_execz .LBB276_2309
; %bb.2308:
	v_cndmask_b32_e64 v2, 0, 1.0, vcc_lo
	s_delay_alu instid0(VALU_DEP_1)
	v_cvt_f16_f32_e32 v2, v2
	flat_store_b16 v[0:1], v2
.LBB276_2309:
	s_wait_xcnt 0x0
	s_or_b32 exec_lo, exec_lo, s0
.LBB276_2310:
	s_delay_alu instid0(SALU_CYCLE_1)
	s_or_b32 exec_lo, exec_lo, s5
                                        ; implicit-def: $vgpr2
                                        ; implicit-def: $vgpr0_vgpr1
.LBB276_2311:
	s_and_not1_saveexec_b32 s4, s4
	s_cbranch_execz .LBB276_2329
; %bb.2312:
	s_mov_b32 s5, exec_lo
	v_cmpx_lt_i16_e32 1, v2
	s_xor_b32 s5, exec_lo, s5
	s_cbranch_execz .LBB276_2322
; %bb.2313:
	s_mov_b32 s6, exec_lo
	v_cmpx_lt_i16_e32 2, v2
	s_xor_b32 s6, exec_lo, s6
	s_cbranch_execz .LBB276_2319
; %bb.2314:
	v_cmp_lt_i16_e64 s0, 3, v2
	s_and_saveexec_b32 s7, s0
	s_delay_alu instid0(SALU_CYCLE_1)
	s_xor_b32 s0, exec_lo, s7
	s_cbranch_execz .LBB276_2316
; %bb.2315:
	s_mov_b32 s7, 0
	v_cndmask_b32_e64 v2, 0, 1, vcc_lo
	v_mov_b32_e32 v3, s7
	flat_store_b64 v[0:1], v[2:3]
                                        ; implicit-def: $vgpr0_vgpr1
.LBB276_2316:
	s_wait_xcnt 0x0
	s_and_not1_saveexec_b32 s0, s0
	s_cbranch_execz .LBB276_2318
; %bb.2317:
	v_cndmask_b32_e64 v2, 0, 1, vcc_lo
	flat_store_b32 v[0:1], v2
.LBB276_2318:
	s_wait_xcnt 0x0
	s_or_b32 exec_lo, exec_lo, s0
                                        ; implicit-def: $vgpr0_vgpr1
.LBB276_2319:
	s_and_not1_saveexec_b32 s0, s6
	s_cbranch_execz .LBB276_2321
; %bb.2320:
	v_cndmask_b32_e64 v2, 0, 1, vcc_lo
	flat_store_b16 v[0:1], v2
.LBB276_2321:
	s_wait_xcnt 0x0
	s_or_b32 exec_lo, exec_lo, s0
                                        ; implicit-def: $vgpr0_vgpr1
                                        ; implicit-def: $vgpr2
.LBB276_2322:
	s_and_not1_saveexec_b32 s5, s5
	s_cbranch_execz .LBB276_2328
; %bb.2323:
	v_cmp_lt_i16_e64 s0, 0, v2
	v_cndmask_b32_e64 v2, 0, 1, vcc_lo
	s_and_saveexec_b32 s6, s0
	s_delay_alu instid0(SALU_CYCLE_1)
	s_xor_b32 s0, exec_lo, s6
	s_cbranch_execz .LBB276_2325
; %bb.2324:
	flat_store_b8 v[0:1], v2
                                        ; implicit-def: $vgpr0_vgpr1
                                        ; implicit-def: $vgpr2
.LBB276_2325:
	s_wait_xcnt 0x0
	s_and_not1_saveexec_b32 s0, s0
	s_cbranch_execz .LBB276_2327
; %bb.2326:
	flat_store_b8 v[0:1], v2
.LBB276_2327:
	s_wait_xcnt 0x0
	s_or_b32 exec_lo, exec_lo, s0
.LBB276_2328:
	s_delay_alu instid0(SALU_CYCLE_1)
	s_or_b32 exec_lo, exec_lo, s5
.LBB276_2329:
	s_delay_alu instid0(SALU_CYCLE_1) | instskip(NEXT) | instid1(SALU_CYCLE_1)
	s_or_b32 exec_lo, exec_lo, s4
	s_or_b32 s1, s1, exec_lo
	s_or_b32 exec_lo, exec_lo, s2
	s_mov_b32 s0, 0
	s_and_saveexec_b32 s2, s1
	s_cbranch_execnz .LBB276_196
	s_branch .LBB276_197
.LBB276_2330:
	s_and_not1_saveexec_b32 s2, s2
	s_cbranch_execz .LBB276_844
.LBB276_2331:
	s_mov_b32 s5, s3
	s_mov_b32 s1, exec_lo
                                        ; implicit-def: $vgpr25
	v_cmpx_lt_i16_e32 22, v3
	s_xor_b32 s1, exec_lo, s1
	s_cbranch_execz .LBB276_2363
; %bb.2332:
	s_mov_b32 s5, exec_lo
                                        ; implicit-def: $vgpr25
	v_cmpx_lt_i16_e32 23, v3
	s_xor_b32 s5, exec_lo, s5
	s_cbranch_execz .LBB276_2352
; %bb.2333:
	s_mov_b32 s6, exec_lo
                                        ; implicit-def: $vgpr25
	v_cmpx_lt_i16_e32 24, v3
	s_xor_b32 s6, exec_lo, s6
	s_cbranch_execz .LBB276_2349
; %bb.2334:
	flat_load_u8 v9, v[12:13]
	s_mov_b32 s7, 0
	s_mov_b32 s8, exec_lo
	s_wait_loadcnt_dscnt 0x0
	v_cmpx_lt_i16_e32 0x7f, v9
	s_xor_b32 s8, exec_lo, s8
	s_cbranch_execz .LBB276_2637
; %bb.2335:
	s_mov_b32 s7, -1
	s_mov_b32 s9, exec_lo
	v_cmpx_eq_u16_e32 0x80, v9
; %bb.2336:
	s_xor_b32 s7, exec_lo, -1
; %bb.2337:
	s_or_b32 exec_lo, exec_lo, s9
	s_delay_alu instid0(SALU_CYCLE_1)
	s_and_b32 s7, s7, exec_lo
	s_or_saveexec_b32 s8, s8
	v_mov_b32_e32 v5, 0x7f800001
	s_xor_b32 exec_lo, exec_lo, s8
	s_cbranch_execnz .LBB276_2638
.LBB276_2338:
	s_or_b32 exec_lo, exec_lo, s8
	s_and_saveexec_b32 s8, s7
	s_cbranch_execz .LBB276_2340
.LBB276_2339:
	v_and_b32_e32 v5, 0xffff, v9
	s_delay_alu instid0(VALU_DEP_1) | instskip(SKIP_1) | instid1(VALU_DEP_2)
	v_and_b32_e32 v11, 3, v5
	v_bfe_u32 v23, v5, 2, 5
	v_clz_i32_u32_e32 v14, v11
	s_delay_alu instid0(VALU_DEP_2) | instskip(NEXT) | instid1(VALU_DEP_2)
	v_cmp_eq_u32_e32 vcc_lo, 0, v23
	v_min_u32_e32 v14, 32, v14
	s_delay_alu instid0(VALU_DEP_1) | instskip(NEXT) | instid1(VALU_DEP_1)
	v_subrev_nc_u32_e32 v22, 29, v14
	v_dual_lshlrev_b32 v5, v22, v5 :: v_dual_sub_nc_u32 v14, 30, v14
	s_delay_alu instid0(VALU_DEP_1) | instskip(NEXT) | instid1(VALU_DEP_2)
	v_and_b32_e32 v5, 3, v5
	v_dual_cndmask_b32 v14, v23, v14 :: v_dual_lshlrev_b32 v9, 24, v9
	s_delay_alu instid0(VALU_DEP_2) | instskip(NEXT) | instid1(VALU_DEP_2)
	v_cndmask_b32_e32 v5, v11, v5, vcc_lo
	v_and_b32_e32 v9, 0x80000000, v9
	s_delay_alu instid0(VALU_DEP_3) | instskip(NEXT) | instid1(VALU_DEP_3)
	v_lshl_add_u32 v11, v14, 23, 0x37800000
	v_lshlrev_b32_e32 v5, 21, v5
	s_delay_alu instid0(VALU_DEP_1)
	v_or3_b32 v5, v9, v11, v5
.LBB276_2340:
	s_or_b32 exec_lo, exec_lo, s8
	s_delay_alu instid0(VALU_DEP_1) | instskip(SKIP_1) | instid1(VALU_DEP_1)
	v_and_b32_e32 v11, 0x7fffffff, v5
	s_mov_b32 s7, exec_lo
                                        ; implicit-def: $vgpr9
	v_cmpx_gt_u32_e32 0x43f00000, v11
	s_xor_b32 s7, exec_lo, s7
	s_cbranch_execz .LBB276_2346
; %bb.2341:
	s_mov_b32 s8, exec_lo
                                        ; implicit-def: $vgpr9
	v_cmpx_lt_u32_e32 0x3c7fffff, v11
	s_xor_b32 s8, exec_lo, s8
; %bb.2342:
	v_bfe_u32 v9, v5, 20, 1
	s_delay_alu instid0(VALU_DEP_1) | instskip(NEXT) | instid1(VALU_DEP_1)
	v_add3_u32 v9, v5, v9, 0x407ffff
	v_and_b32_e32 v11, 0xff00000, v9
	v_lshrrev_b32_e32 v9, 20, v9
	s_delay_alu instid0(VALU_DEP_2) | instskip(NEXT) | instid1(VALU_DEP_2)
	v_cmp_ne_u32_e32 vcc_lo, 0x7f00000, v11
	v_cndmask_b32_e32 v9, 0x7e, v9, vcc_lo
; %bb.2343:
	s_and_not1_saveexec_b32 s8, s8
; %bb.2344:
	v_add_f32_e64 v9, 0x46800000, |v5|
; %bb.2345:
	s_or_b32 exec_lo, exec_lo, s8
                                        ; implicit-def: $vgpr11
.LBB276_2346:
	s_and_not1_saveexec_b32 s7, s7
; %bb.2347:
	v_mov_b32_e32 v9, 0x7f
	v_cmp_lt_u32_e32 vcc_lo, 0x7f800000, v11
	s_delay_alu instid0(VALU_DEP_2)
	v_cndmask_b32_e32 v9, 0x7e, v9, vcc_lo
; %bb.2348:
	s_or_b32 exec_lo, exec_lo, s7
	v_lshrrev_b32_e32 v5, 24, v5
	s_delay_alu instid0(VALU_DEP_1)
	v_and_or_b32 v25, 0x80, v5, v9
.LBB276_2349:
	s_and_not1_saveexec_b32 s6, s6
	s_cbranch_execz .LBB276_2351
; %bb.2350:
	flat_load_u8 v25, v[12:13]
.LBB276_2351:
	s_wait_xcnt 0x0
	s_or_b32 exec_lo, exec_lo, s6
.LBB276_2352:
	s_and_not1_saveexec_b32 s5, s5
	s_cbranch_execz .LBB276_2362
; %bb.2353:
	flat_load_u8 v5, v[12:13]
	s_mov_b32 s6, exec_lo
	s_wait_loadcnt_dscnt 0x0
	v_lshlrev_b32_e32 v9, 25, v5
	v_lshlrev_b16 v5, 8, v5
	s_delay_alu instid0(VALU_DEP_1) | instskip(SKIP_1) | instid1(VALU_DEP_2)
	v_and_or_b32 v14, 0x7f00, v5, 0.5
	v_bfe_i32 v5, v5, 0, 16
	v_dual_add_f32 v14, -0.5, v14 :: v_dual_lshrrev_b32 v11, 4, v9
	v_cmp_gt_u32_e32 vcc_lo, 0x8000000, v9
                                        ; implicit-def: $vgpr9
	s_delay_alu instid0(VALU_DEP_2) | instskip(NEXT) | instid1(VALU_DEP_1)
	v_or_b32_e32 v11, 0x70000000, v11
	v_mul_f32_e32 v11, 0x7800000, v11
	s_delay_alu instid0(VALU_DEP_1) | instskip(NEXT) | instid1(VALU_DEP_1)
	v_cndmask_b32_e32 v14, v11, v14, vcc_lo
	v_and_or_b32 v5, 0x80000000, v5, v14
	s_delay_alu instid0(VALU_DEP_1) | instskip(SKIP_1) | instid1(VALU_DEP_1)
	v_and_b32_e32 v11, 0x7fffffff, v5
	s_wait_xcnt 0x0
	v_cmpx_gt_u32_e32 0x43f00000, v11
	s_xor_b32 s6, exec_lo, s6
	s_cbranch_execz .LBB276_2359
; %bb.2354:
	s_mov_b32 s7, exec_lo
                                        ; implicit-def: $vgpr9
	v_cmpx_lt_u32_e32 0x3c7fffff, v11
	s_xor_b32 s7, exec_lo, s7
; %bb.2355:
	v_bfe_u32 v9, v14, 20, 1
	s_delay_alu instid0(VALU_DEP_1) | instskip(NEXT) | instid1(VALU_DEP_1)
	v_add3_u32 v9, v5, v9, 0x407ffff
	v_and_b32_e32 v11, 0xff00000, v9
	v_lshrrev_b32_e32 v9, 20, v9
	s_delay_alu instid0(VALU_DEP_2) | instskip(NEXT) | instid1(VALU_DEP_2)
	v_cmp_ne_u32_e32 vcc_lo, 0x7f00000, v11
	v_cndmask_b32_e32 v9, 0x7e, v9, vcc_lo
; %bb.2356:
	s_and_not1_saveexec_b32 s7, s7
; %bb.2357:
	v_add_f32_e64 v9, 0x46800000, |v5|
; %bb.2358:
	s_or_b32 exec_lo, exec_lo, s7
                                        ; implicit-def: $vgpr11
.LBB276_2359:
	s_and_not1_saveexec_b32 s6, s6
; %bb.2360:
	v_mov_b32_e32 v9, 0x7f
	v_cmp_lt_u32_e32 vcc_lo, 0x7f800000, v11
	s_delay_alu instid0(VALU_DEP_2)
	v_cndmask_b32_e32 v9, 0x7e, v9, vcc_lo
; %bb.2361:
	s_or_b32 exec_lo, exec_lo, s6
	v_lshrrev_b32_e32 v5, 24, v5
	s_delay_alu instid0(VALU_DEP_1)
	v_and_or_b32 v25, 0x80, v5, v9
.LBB276_2362:
	s_or_b32 exec_lo, exec_lo, s5
	s_delay_alu instid0(SALU_CYCLE_1)
	s_or_b32 s5, s3, exec_lo
.LBB276_2363:
	s_or_saveexec_b32 s1, s1
	s_mov_b32 s6, 0
	s_mov_b32 s7, s4
	s_xor_b32 exec_lo, exec_lo, s1
	s_cbranch_execz .LBB276_2379
; %bb.2364:
	s_mov_b32 s7, s4
	s_mov_b32 s8, s5
	s_mov_b32 s6, exec_lo
                                        ; implicit-def: $vgpr25
	v_cmpx_lt_i16_e32 14, v3
	s_xor_b32 s6, exec_lo, s6
	s_cbranch_execz .LBB276_2376
; %bb.2365:
	s_mov_b32 s8, -1
	s_mov_b32 s9, s5
	s_mov_b32 s7, exec_lo
                                        ; implicit-def: $vgpr25
	v_cmpx_eq_u16_e32 15, v3
	s_cbranch_execz .LBB276_2375
; %bb.2366:
	flat_load_u16 v5, v[12:13]
	s_mov_b32 s8, exec_lo
                                        ; implicit-def: $vgpr9
	s_wait_loadcnt_dscnt 0x0
	v_lshlrev_b32_e32 v11, 16, v5
	s_delay_alu instid0(VALU_DEP_1) | instskip(SKIP_1) | instid1(VALU_DEP_1)
	v_and_b32_e32 v14, 0x7fffffff, v11
	s_wait_xcnt 0x0
	v_cmpx_gt_u32_e32 0x43f00000, v14
	s_xor_b32 s8, exec_lo, s8
	s_cbranch_execz .LBB276_2372
; %bb.2367:
	s_mov_b32 s9, exec_lo
                                        ; implicit-def: $vgpr9
	v_cmpx_lt_u32_e32 0x3c7fffff, v14
	s_xor_b32 s9, exec_lo, s9
; %bb.2368:
	v_bfe_u32 v9, v5, 4, 1
	s_delay_alu instid0(VALU_DEP_1) | instskip(NEXT) | instid1(VALU_DEP_1)
	v_add3_u32 v9, v11, v9, 0x407ffff
	v_and_b32_e32 v11, 0xff00000, v9
	v_lshrrev_b32_e32 v9, 20, v9
	s_delay_alu instid0(VALU_DEP_2) | instskip(NEXT) | instid1(VALU_DEP_2)
	v_cmp_ne_u32_e32 vcc_lo, 0x7f00000, v11
                                        ; implicit-def: $vgpr11
	v_cndmask_b32_e32 v9, 0x7e, v9, vcc_lo
; %bb.2369:
	s_and_not1_saveexec_b32 s9, s9
; %bb.2370:
	v_add_f32_e64 v9, 0x46800000, |v11|
; %bb.2371:
	s_or_b32 exec_lo, exec_lo, s9
                                        ; implicit-def: $vgpr14
.LBB276_2372:
	s_and_not1_saveexec_b32 s8, s8
; %bb.2373:
	v_mov_b32_e32 v9, 0x7f
	v_cmp_lt_u32_e32 vcc_lo, 0x7f800000, v14
	s_delay_alu instid0(VALU_DEP_2)
	v_cndmask_b32_e32 v9, 0x7e, v9, vcc_lo
; %bb.2374:
	s_or_b32 exec_lo, exec_lo, s8
	v_lshrrev_b32_e32 v5, 8, v5
	s_or_b32 s9, s5, exec_lo
	s_xor_b32 s8, exec_lo, -1
	s_delay_alu instid0(VALU_DEP_1)
	v_and_or_b32 v25, 0x80, v5, v9
.LBB276_2375:
	s_or_b32 exec_lo, exec_lo, s7
	s_delay_alu instid0(SALU_CYCLE_1)
	s_and_not1_b32 s7, s5, exec_lo
	s_and_b32 s9, s9, exec_lo
	s_and_not1_b32 s10, s4, exec_lo
	s_and_b32 s11, s8, exec_lo
	s_or_b32 s8, s7, s9
	s_or_b32 s7, s10, s11
.LBB276_2376:
	s_or_saveexec_b32 s9, s6
	s_mov_b32 s6, 0
	s_xor_b32 exec_lo, exec_lo, s9
; %bb.2377:
	v_cmp_ne_u16_e32 vcc_lo, 11, v3
	s_and_not1_b32 s7, s7, exec_lo
	s_mov_b32 s6, exec_lo
	s_and_b32 s10, vcc_lo, exec_lo
	s_delay_alu instid0(SALU_CYCLE_1)
	s_or_b32 s7, s7, s10
; %bb.2378:
	s_or_b32 exec_lo, exec_lo, s9
	s_delay_alu instid0(SALU_CYCLE_1)
	s_and_not1_b32 s5, s5, exec_lo
	s_and_b32 s8, s8, exec_lo
	s_and_b32 s7, s7, exec_lo
	s_or_b32 s5, s5, s8
	s_and_not1_b32 s8, s4, exec_lo
	s_and_b32 s6, s6, exec_lo
	s_or_b32 s7, s8, s7
.LBB276_2379:
	s_or_b32 exec_lo, exec_lo, s1
	s_delay_alu instid0(SALU_CYCLE_1)
	s_and_not1_b32 s1, s3, exec_lo
	s_and_b32 s3, s5, exec_lo
	s_and_not1_b32 s4, s4, exec_lo
	s_and_b32 s5, s7, exec_lo
	s_or_b32 s3, s1, s3
	s_and_b32 s1, s6, exec_lo
	s_or_b32 s4, s4, s5
	s_or_b32 exec_lo, exec_lo, s2
	s_mov_b32 s2, s16
	s_and_saveexec_b32 s5, s4
	s_cbranch_execz .LBB276_845
.LBB276_2380:
	s_or_b32 s2, s16, exec_lo
	s_and_not1_b32 s1, s1, exec_lo
	s_trap 2
	s_or_b32 exec_lo, exec_lo, s5
	s_and_saveexec_b32 s4, s1
	s_cbranch_execnz .LBB276_846
	s_branch .LBB276_855
.LBB276_2381:
	s_and_not1_saveexec_b32 s2, s2
	s_cbranch_execz .LBB276_294
.LBB276_2382:
	s_mov_b32 s4, exec_lo
	v_cmpx_lt_i16_e32 4, v2
	s_xor_b32 s4, exec_lo, s4
	s_cbranch_execz .LBB276_2404
; %bb.2383:
	s_mov_b32 s5, exec_lo
	v_cmpx_lt_i16_e32 7, v2
	s_xor_b32 s5, exec_lo, s5
	s_cbranch_execz .LBB276_2393
; %bb.2384:
	;; [unrolled: 5-line block ×3, first 2 shown]
	v_cmp_lt_i16_e64 s0, 9, v2
	s_and_saveexec_b32 s7, s0
	s_delay_alu instid0(SALU_CYCLE_1)
	s_xor_b32 s0, exec_lo, s7
	s_cbranch_execz .LBB276_2387
; %bb.2386:
	v_cndmask_b32_e64 v2, 0, 1, vcc_lo
	v_mov_b32_e32 v4, 0
	s_delay_alu instid0(VALU_DEP_2) | instskip(NEXT) | instid1(VALU_DEP_2)
	v_cvt_f64_u32_e32 v[2:3], v2
	v_mov_b32_e32 v5, v4
	flat_store_b128 v[0:1], v[2:5]
                                        ; implicit-def: $vgpr0_vgpr1
.LBB276_2387:
	s_wait_xcnt 0x0
	s_and_not1_saveexec_b32 s0, s0
	s_cbranch_execz .LBB276_2389
; %bb.2388:
	v_cndmask_b32_e64 v2, 0, 1.0, vcc_lo
	v_mov_b32_e32 v3, 0
	flat_store_b64 v[0:1], v[2:3]
.LBB276_2389:
	s_wait_xcnt 0x0
	s_or_b32 exec_lo, exec_lo, s0
                                        ; implicit-def: $vgpr0_vgpr1
.LBB276_2390:
	s_and_not1_saveexec_b32 s0, s6
	s_cbranch_execz .LBB276_2392
; %bb.2391:
	v_cndmask_b32_e64 v2, 0, 1.0, vcc_lo
	s_delay_alu instid0(VALU_DEP_1) | instskip(NEXT) | instid1(VALU_DEP_1)
	v_cvt_f16_f32_e32 v2, v2
	v_and_b32_e32 v2, 0xffff, v2
	flat_store_b32 v[0:1], v2
.LBB276_2392:
	s_wait_xcnt 0x0
	s_or_b32 exec_lo, exec_lo, s0
                                        ; implicit-def: $vgpr0_vgpr1
                                        ; implicit-def: $vgpr2
.LBB276_2393:
	s_and_not1_saveexec_b32 s5, s5
	s_cbranch_execz .LBB276_2403
; %bb.2394:
	s_mov_b32 s6, exec_lo
	v_cmpx_lt_i16_e32 5, v2
	s_xor_b32 s6, exec_lo, s6
	s_cbranch_execz .LBB276_2400
; %bb.2395:
	v_cmp_lt_i16_e64 s0, 6, v2
	s_and_saveexec_b32 s7, s0
	s_delay_alu instid0(SALU_CYCLE_1)
	s_xor_b32 s0, exec_lo, s7
	s_cbranch_execz .LBB276_2397
; %bb.2396:
	v_cndmask_b32_e64 v2, 0, 1, vcc_lo
	s_delay_alu instid0(VALU_DEP_1)
	v_cvt_f64_u32_e32 v[2:3], v2
	flat_store_b64 v[0:1], v[2:3]
                                        ; implicit-def: $vgpr0_vgpr1
.LBB276_2397:
	s_wait_xcnt 0x0
	s_and_not1_saveexec_b32 s0, s0
	s_cbranch_execz .LBB276_2399
; %bb.2398:
	v_cndmask_b32_e64 v2, 0, 1.0, vcc_lo
	flat_store_b32 v[0:1], v2
.LBB276_2399:
	s_wait_xcnt 0x0
	s_or_b32 exec_lo, exec_lo, s0
                                        ; implicit-def: $vgpr0_vgpr1
.LBB276_2400:
	s_and_not1_saveexec_b32 s0, s6
	s_cbranch_execz .LBB276_2402
; %bb.2401:
	v_cndmask_b32_e64 v2, 0, 1.0, vcc_lo
	s_delay_alu instid0(VALU_DEP_1)
	v_cvt_f16_f32_e32 v2, v2
	flat_store_b16 v[0:1], v2
.LBB276_2402:
	s_wait_xcnt 0x0
	s_or_b32 exec_lo, exec_lo, s0
.LBB276_2403:
	s_delay_alu instid0(SALU_CYCLE_1)
	s_or_b32 exec_lo, exec_lo, s5
                                        ; implicit-def: $vgpr2
                                        ; implicit-def: $vgpr0_vgpr1
.LBB276_2404:
	s_and_not1_saveexec_b32 s4, s4
	s_cbranch_execz .LBB276_2422
; %bb.2405:
	s_mov_b32 s5, exec_lo
	v_cmpx_lt_i16_e32 1, v2
	s_xor_b32 s5, exec_lo, s5
	s_cbranch_execz .LBB276_2415
; %bb.2406:
	s_mov_b32 s6, exec_lo
	v_cmpx_lt_i16_e32 2, v2
	s_xor_b32 s6, exec_lo, s6
	s_cbranch_execz .LBB276_2412
; %bb.2407:
	v_cmp_lt_i16_e64 s0, 3, v2
	s_and_saveexec_b32 s7, s0
	s_delay_alu instid0(SALU_CYCLE_1)
	s_xor_b32 s0, exec_lo, s7
	s_cbranch_execz .LBB276_2409
; %bb.2408:
	s_mov_b32 s7, 0
	v_cndmask_b32_e64 v2, 0, 1, vcc_lo
	v_mov_b32_e32 v3, s7
	flat_store_b64 v[0:1], v[2:3]
                                        ; implicit-def: $vgpr0_vgpr1
.LBB276_2409:
	s_wait_xcnt 0x0
	s_and_not1_saveexec_b32 s0, s0
	s_cbranch_execz .LBB276_2411
; %bb.2410:
	v_cndmask_b32_e64 v2, 0, 1, vcc_lo
	flat_store_b32 v[0:1], v2
.LBB276_2411:
	s_wait_xcnt 0x0
	s_or_b32 exec_lo, exec_lo, s0
                                        ; implicit-def: $vgpr0_vgpr1
.LBB276_2412:
	s_and_not1_saveexec_b32 s0, s6
	s_cbranch_execz .LBB276_2414
; %bb.2413:
	v_cndmask_b32_e64 v2, 0, 1, vcc_lo
	flat_store_b16 v[0:1], v2
.LBB276_2414:
	s_wait_xcnt 0x0
	s_or_b32 exec_lo, exec_lo, s0
                                        ; implicit-def: $vgpr0_vgpr1
                                        ; implicit-def: $vgpr2
.LBB276_2415:
	s_and_not1_saveexec_b32 s5, s5
	s_cbranch_execz .LBB276_2421
; %bb.2416:
	v_cmp_lt_i16_e64 s0, 0, v2
	v_cndmask_b32_e64 v2, 0, 1, vcc_lo
	s_and_saveexec_b32 s6, s0
	s_delay_alu instid0(SALU_CYCLE_1)
	s_xor_b32 s0, exec_lo, s6
	s_cbranch_execz .LBB276_2418
; %bb.2417:
	flat_store_b8 v[0:1], v2
                                        ; implicit-def: $vgpr0_vgpr1
                                        ; implicit-def: $vgpr2
.LBB276_2418:
	s_wait_xcnt 0x0
	s_and_not1_saveexec_b32 s0, s0
	s_cbranch_execz .LBB276_2420
; %bb.2419:
	flat_store_b8 v[0:1], v2
.LBB276_2420:
	s_wait_xcnt 0x0
	s_or_b32 exec_lo, exec_lo, s0
.LBB276_2421:
	s_delay_alu instid0(SALU_CYCLE_1)
	s_or_b32 exec_lo, exec_lo, s5
.LBB276_2422:
	s_delay_alu instid0(SALU_CYCLE_1) | instskip(NEXT) | instid1(SALU_CYCLE_1)
	s_or_b32 exec_lo, exec_lo, s4
	s_or_b32 s1, s1, exec_lo
	s_or_b32 exec_lo, exec_lo, s2
	s_mov_b32 s0, 0
	s_and_saveexec_b32 s2, s1
	s_cbranch_execnz .LBB276_295
	s_branch .LBB276_296
.LBB276_2423:
	s_and_not1_saveexec_b32 s2, s2
	s_cbranch_execz .LBB276_1070
.LBB276_2424:
	s_mov_b32 s5, s3
	s_mov_b32 s1, exec_lo
                                        ; implicit-def: $vgpr27
	v_cmpx_lt_i16_e32 22, v1
	s_xor_b32 s1, exec_lo, s1
	s_cbranch_execz .LBB276_2456
; %bb.2425:
	s_mov_b32 s5, exec_lo
                                        ; implicit-def: $vgpr27
	v_cmpx_lt_i16_e32 23, v1
	s_xor_b32 s5, exec_lo, s5
	s_cbranch_execz .LBB276_2445
; %bb.2426:
	;; [unrolled: 6-line block ×3, first 2 shown]
	flat_load_u8 v9, v[10:11]
	s_mov_b32 s7, 0
	s_mov_b32 s8, exec_lo
	s_wait_loadcnt_dscnt 0x0
	v_cmpx_lt_i16_e32 0x7f, v9
	s_xor_b32 s8, exec_lo, s8
	s_cbranch_execz .LBB276_2688
; %bb.2428:
	s_mov_b32 s7, -1
	s_mov_b32 s9, exec_lo
	v_cmpx_eq_u16_e32 0x80, v9
; %bb.2429:
	s_xor_b32 s7, exec_lo, -1
; %bb.2430:
	s_or_b32 exec_lo, exec_lo, s9
	s_delay_alu instid0(SALU_CYCLE_1)
	s_and_b32 s7, s7, exec_lo
	s_or_saveexec_b32 s8, s8
	v_mov_b32_e32 v5, 0x7f800001
	s_xor_b32 exec_lo, exec_lo, s8
	s_cbranch_execnz .LBB276_2689
.LBB276_2431:
	s_or_b32 exec_lo, exec_lo, s8
	s_and_saveexec_b32 s8, s7
	s_cbranch_execz .LBB276_2433
.LBB276_2432:
	v_and_b32_e32 v5, 0xffff, v9
	v_lshlrev_b32_e32 v9, 24, v9
	s_delay_alu instid0(VALU_DEP_2) | instskip(SKIP_1) | instid1(VALU_DEP_3)
	v_and_b32_e32 v12, 3, v5
	v_bfe_u32 v22, v5, 2, 5
	v_and_b32_e32 v9, 0x80000000, v9
	s_delay_alu instid0(VALU_DEP_3) | instskip(NEXT) | instid1(VALU_DEP_3)
	v_clz_i32_u32_e32 v13, v12
	v_cmp_eq_u32_e32 vcc_lo, 0, v22
	s_delay_alu instid0(VALU_DEP_2) | instskip(NEXT) | instid1(VALU_DEP_1)
	v_min_u32_e32 v13, 32, v13
	v_subrev_nc_u32_e32 v14, 29, v13
	v_sub_nc_u32_e32 v13, 30, v13
	s_delay_alu instid0(VALU_DEP_2) | instskip(NEXT) | instid1(VALU_DEP_2)
	v_lshlrev_b32_e32 v5, v14, v5
	v_cndmask_b32_e32 v13, v22, v13, vcc_lo
	s_delay_alu instid0(VALU_DEP_2) | instskip(NEXT) | instid1(VALU_DEP_1)
	v_and_b32_e32 v5, 3, v5
	v_cndmask_b32_e32 v5, v12, v5, vcc_lo
	s_delay_alu instid0(VALU_DEP_3) | instskip(NEXT) | instid1(VALU_DEP_2)
	v_lshl_add_u32 v12, v13, 23, 0x37800000
	v_lshlrev_b32_e32 v5, 21, v5
	s_delay_alu instid0(VALU_DEP_1)
	v_or3_b32 v5, v9, v12, v5
.LBB276_2433:
	s_or_b32 exec_lo, exec_lo, s8
	s_delay_alu instid0(VALU_DEP_1) | instskip(SKIP_1) | instid1(VALU_DEP_1)
	v_and_b32_e32 v12, 0x7fffffff, v5
	s_mov_b32 s7, exec_lo
                                        ; implicit-def: $vgpr9
	v_cmpx_gt_u32_e32 0x43f00000, v12
	s_xor_b32 s7, exec_lo, s7
	s_cbranch_execz .LBB276_2439
; %bb.2434:
	s_mov_b32 s8, exec_lo
                                        ; implicit-def: $vgpr9
	v_cmpx_lt_u32_e32 0x3c7fffff, v12
	s_xor_b32 s8, exec_lo, s8
; %bb.2435:
	v_bfe_u32 v9, v5, 20, 1
	s_delay_alu instid0(VALU_DEP_1) | instskip(NEXT) | instid1(VALU_DEP_1)
	v_add3_u32 v9, v5, v9, 0x407ffff
	v_and_b32_e32 v12, 0xff00000, v9
	v_lshrrev_b32_e32 v9, 20, v9
	s_delay_alu instid0(VALU_DEP_2) | instskip(NEXT) | instid1(VALU_DEP_2)
	v_cmp_ne_u32_e32 vcc_lo, 0x7f00000, v12
	v_cndmask_b32_e32 v9, 0x7e, v9, vcc_lo
; %bb.2436:
	s_and_not1_saveexec_b32 s8, s8
; %bb.2437:
	v_add_f32_e64 v9, 0x46800000, |v5|
; %bb.2438:
	s_or_b32 exec_lo, exec_lo, s8
                                        ; implicit-def: $vgpr12
.LBB276_2439:
	s_and_not1_saveexec_b32 s7, s7
; %bb.2440:
	v_mov_b32_e32 v9, 0x7f
	v_cmp_lt_u32_e32 vcc_lo, 0x7f800000, v12
	s_delay_alu instid0(VALU_DEP_2)
	v_cndmask_b32_e32 v9, 0x7e, v9, vcc_lo
; %bb.2441:
	s_or_b32 exec_lo, exec_lo, s7
	v_lshrrev_b32_e32 v5, 24, v5
	s_delay_alu instid0(VALU_DEP_1)
	v_and_or_b32 v27, 0x80, v5, v9
.LBB276_2442:
	s_and_not1_saveexec_b32 s6, s6
	s_cbranch_execz .LBB276_2444
; %bb.2443:
	flat_load_u8 v27, v[10:11]
.LBB276_2444:
	s_wait_xcnt 0x0
	s_or_b32 exec_lo, exec_lo, s6
.LBB276_2445:
	s_and_not1_saveexec_b32 s5, s5
	s_cbranch_execz .LBB276_2455
; %bb.2446:
	flat_load_u8 v5, v[10:11]
	s_mov_b32 s6, exec_lo
	s_wait_loadcnt_dscnt 0x0
	v_lshlrev_b32_e32 v9, 25, v5
	v_lshlrev_b16 v5, 8, v5
	s_delay_alu instid0(VALU_DEP_2) | instskip(NEXT) | instid1(VALU_DEP_2)
	v_lshrrev_b32_e32 v12, 4, v9
	v_and_or_b32 v13, 0x7f00, v5, 0.5
	v_bfe_i32 v5, v5, 0, 16
	s_delay_alu instid0(VALU_DEP_3) | instskip(NEXT) | instid1(VALU_DEP_1)
	v_or_b32_e32 v12, 0x70000000, v12
	v_dual_add_f32 v13, -0.5, v13 :: v_dual_mul_f32 v12, 0x7800000, v12
	v_cmp_gt_u32_e32 vcc_lo, 0x8000000, v9
                                        ; implicit-def: $vgpr9
	s_delay_alu instid0(VALU_DEP_2) | instskip(NEXT) | instid1(VALU_DEP_1)
	v_cndmask_b32_e32 v13, v12, v13, vcc_lo
	v_and_or_b32 v5, 0x80000000, v5, v13
	s_delay_alu instid0(VALU_DEP_1) | instskip(SKIP_1) | instid1(VALU_DEP_1)
	v_and_b32_e32 v12, 0x7fffffff, v5
	s_wait_xcnt 0x0
	v_cmpx_gt_u32_e32 0x43f00000, v12
	s_xor_b32 s6, exec_lo, s6
	s_cbranch_execz .LBB276_2452
; %bb.2447:
	s_mov_b32 s7, exec_lo
                                        ; implicit-def: $vgpr9
	v_cmpx_lt_u32_e32 0x3c7fffff, v12
	s_xor_b32 s7, exec_lo, s7
; %bb.2448:
	v_bfe_u32 v9, v13, 20, 1
	s_delay_alu instid0(VALU_DEP_1) | instskip(NEXT) | instid1(VALU_DEP_1)
	v_add3_u32 v9, v5, v9, 0x407ffff
	v_and_b32_e32 v12, 0xff00000, v9
	v_lshrrev_b32_e32 v9, 20, v9
	s_delay_alu instid0(VALU_DEP_2) | instskip(NEXT) | instid1(VALU_DEP_2)
	v_cmp_ne_u32_e32 vcc_lo, 0x7f00000, v12
	v_cndmask_b32_e32 v9, 0x7e, v9, vcc_lo
; %bb.2449:
	s_and_not1_saveexec_b32 s7, s7
; %bb.2450:
	v_add_f32_e64 v9, 0x46800000, |v5|
; %bb.2451:
	s_or_b32 exec_lo, exec_lo, s7
                                        ; implicit-def: $vgpr12
.LBB276_2452:
	s_and_not1_saveexec_b32 s6, s6
; %bb.2453:
	v_mov_b32_e32 v9, 0x7f
	v_cmp_lt_u32_e32 vcc_lo, 0x7f800000, v12
	s_delay_alu instid0(VALU_DEP_2)
	v_cndmask_b32_e32 v9, 0x7e, v9, vcc_lo
; %bb.2454:
	s_or_b32 exec_lo, exec_lo, s6
	v_lshrrev_b32_e32 v5, 24, v5
	s_delay_alu instid0(VALU_DEP_1)
	v_and_or_b32 v27, 0x80, v5, v9
.LBB276_2455:
	s_or_b32 exec_lo, exec_lo, s5
	s_delay_alu instid0(SALU_CYCLE_1)
	s_or_b32 s5, s3, exec_lo
.LBB276_2456:
	s_or_saveexec_b32 s1, s1
	s_mov_b32 s6, 0
	s_mov_b32 s7, s4
	s_xor_b32 exec_lo, exec_lo, s1
	s_cbranch_execz .LBB276_2472
; %bb.2457:
	s_mov_b32 s7, s4
	s_mov_b32 s8, s5
	s_mov_b32 s6, exec_lo
                                        ; implicit-def: $vgpr27
	v_cmpx_lt_i16_e32 14, v1
	s_xor_b32 s6, exec_lo, s6
	s_cbranch_execz .LBB276_2469
; %bb.2458:
	s_mov_b32 s8, -1
	s_mov_b32 s9, s5
	s_mov_b32 s7, exec_lo
                                        ; implicit-def: $vgpr27
	v_cmpx_eq_u16_e32 15, v1
	s_cbranch_execz .LBB276_2468
; %bb.2459:
	flat_load_u16 v5, v[10:11]
	s_mov_b32 s8, exec_lo
                                        ; implicit-def: $vgpr9
	s_wait_loadcnt_dscnt 0x0
	v_lshlrev_b32_e32 v12, 16, v5
	s_delay_alu instid0(VALU_DEP_1) | instskip(SKIP_1) | instid1(VALU_DEP_1)
	v_and_b32_e32 v13, 0x7fffffff, v12
	s_wait_xcnt 0x0
	v_cmpx_gt_u32_e32 0x43f00000, v13
	s_xor_b32 s8, exec_lo, s8
	s_cbranch_execz .LBB276_2465
; %bb.2460:
	s_mov_b32 s9, exec_lo
                                        ; implicit-def: $vgpr9
	v_cmpx_lt_u32_e32 0x3c7fffff, v13
	s_xor_b32 s9, exec_lo, s9
; %bb.2461:
	v_bfe_u32 v9, v5, 4, 1
	s_delay_alu instid0(VALU_DEP_1) | instskip(NEXT) | instid1(VALU_DEP_1)
	v_add3_u32 v9, v12, v9, 0x407ffff
	v_and_b32_e32 v12, 0xff00000, v9
	v_lshrrev_b32_e32 v9, 20, v9
	s_delay_alu instid0(VALU_DEP_2) | instskip(NEXT) | instid1(VALU_DEP_2)
	v_cmp_ne_u32_e32 vcc_lo, 0x7f00000, v12
                                        ; implicit-def: $vgpr12
	v_cndmask_b32_e32 v9, 0x7e, v9, vcc_lo
; %bb.2462:
	s_and_not1_saveexec_b32 s9, s9
; %bb.2463:
	v_add_f32_e64 v9, 0x46800000, |v12|
; %bb.2464:
	s_or_b32 exec_lo, exec_lo, s9
                                        ; implicit-def: $vgpr13
.LBB276_2465:
	s_and_not1_saveexec_b32 s8, s8
; %bb.2466:
	v_mov_b32_e32 v9, 0x7f
	v_cmp_lt_u32_e32 vcc_lo, 0x7f800000, v13
	s_delay_alu instid0(VALU_DEP_2)
	v_cndmask_b32_e32 v9, 0x7e, v9, vcc_lo
; %bb.2467:
	s_or_b32 exec_lo, exec_lo, s8
	v_lshrrev_b32_e32 v5, 8, v5
	s_or_b32 s9, s5, exec_lo
	s_xor_b32 s8, exec_lo, -1
	s_delay_alu instid0(VALU_DEP_1)
	v_and_or_b32 v27, 0x80, v5, v9
.LBB276_2468:
	s_or_b32 exec_lo, exec_lo, s7
	s_delay_alu instid0(SALU_CYCLE_1)
	s_and_not1_b32 s7, s5, exec_lo
	s_and_b32 s9, s9, exec_lo
	s_and_not1_b32 s10, s4, exec_lo
	s_and_b32 s11, s8, exec_lo
	s_or_b32 s8, s7, s9
	s_or_b32 s7, s10, s11
.LBB276_2469:
	s_or_saveexec_b32 s9, s6
	s_mov_b32 s6, 0
	s_xor_b32 exec_lo, exec_lo, s9
; %bb.2470:
	v_cmp_ne_u16_e32 vcc_lo, 11, v1
	s_and_not1_b32 s7, s7, exec_lo
	s_mov_b32 s6, exec_lo
	s_and_b32 s10, vcc_lo, exec_lo
	s_delay_alu instid0(SALU_CYCLE_1)
	s_or_b32 s7, s7, s10
; %bb.2471:
	s_or_b32 exec_lo, exec_lo, s9
	s_delay_alu instid0(SALU_CYCLE_1)
	s_and_not1_b32 s5, s5, exec_lo
	s_and_b32 s8, s8, exec_lo
	s_and_b32 s7, s7, exec_lo
	s_or_b32 s5, s5, s8
	s_and_not1_b32 s8, s4, exec_lo
	s_and_b32 s6, s6, exec_lo
	s_or_b32 s7, s8, s7
.LBB276_2472:
	s_or_b32 exec_lo, exec_lo, s1
	s_delay_alu instid0(SALU_CYCLE_1)
	s_and_not1_b32 s1, s3, exec_lo
	s_and_b32 s3, s5, exec_lo
	s_and_not1_b32 s4, s4, exec_lo
	s_and_b32 s5, s7, exec_lo
	s_or_b32 s3, s1, s3
	s_and_b32 s1, s6, exec_lo
	s_or_b32 s4, s4, s5
	s_or_b32 exec_lo, exec_lo, s2
	s_mov_b32 s2, s18
	s_and_saveexec_b32 s5, s4
	s_cbranch_execz .LBB276_1071
.LBB276_2473:
	s_or_b32 s2, s18, exec_lo
	s_and_not1_b32 s1, s1, exec_lo
	s_trap 2
	s_or_b32 exec_lo, exec_lo, s5
	s_and_saveexec_b32 s4, s1
	s_cbranch_execnz .LBB276_1072
	s_branch .LBB276_1081
.LBB276_2474:
	s_or_saveexec_b32 s8, s8
	v_mov_b32_e32 v5, 0x7f800001
	s_xor_b32 exec_lo, exec_lo, s8
	s_cbranch_execz .LBB276_605
.LBB276_2475:
	v_cmp_ne_u16_e32 vcc_lo, 0, v6
	v_mov_b32_e32 v5, 0
	s_and_not1_b32 s7, s7, exec_lo
	s_and_b32 s9, vcc_lo, exec_lo
	s_delay_alu instid0(SALU_CYCLE_1)
	s_or_b32 s7, s7, s9
	s_or_b32 exec_lo, exec_lo, s8
	s_and_saveexec_b32 s8, s7
	s_cbranch_execnz .LBB276_606
	s_branch .LBB276_607
.LBB276_2476:
	s_and_not1_saveexec_b32 s2, s2
	s_cbranch_execz .LBB276_1296
.LBB276_2477:
	s_mov_b32 s5, s3
	s_mov_b32 s1, exec_lo
                                        ; implicit-def: $vgpr30
	v_cmpx_lt_i16_e32 22, v3
	s_xor_b32 s1, exec_lo, s1
	s_cbranch_execz .LBB276_2509
; %bb.2478:
	s_mov_b32 s5, exec_lo
                                        ; implicit-def: $vgpr30
	v_cmpx_lt_i16_e32 23, v3
	s_xor_b32 s5, exec_lo, s5
	s_cbranch_execz .LBB276_2498
; %bb.2479:
	;; [unrolled: 6-line block ×3, first 2 shown]
	flat_load_u8 v10, v[8:9]
	s_mov_b32 s7, 0
	s_mov_b32 s8, exec_lo
	s_wait_loadcnt_dscnt 0x0
	v_cmpx_lt_i16_e32 0x7f, v10
	s_xor_b32 s8, exec_lo, s8
	s_cbranch_execz .LBB276_2739
; %bb.2481:
	s_mov_b32 s7, -1
	s_mov_b32 s9, exec_lo
	v_cmpx_eq_u16_e32 0x80, v10
; %bb.2482:
	s_xor_b32 s7, exec_lo, -1
; %bb.2483:
	s_or_b32 exec_lo, exec_lo, s9
	s_delay_alu instid0(SALU_CYCLE_1)
	s_and_b32 s7, s7, exec_lo
	s_or_saveexec_b32 s8, s8
	v_mov_b32_e32 v5, 0x7f800001
	s_xor_b32 exec_lo, exec_lo, s8
	s_cbranch_execnz .LBB276_2740
.LBB276_2484:
	s_or_b32 exec_lo, exec_lo, s8
	s_and_saveexec_b32 s8, s7
	s_cbranch_execz .LBB276_2486
.LBB276_2485:
	v_and_b32_e32 v5, 0xffff, v10
	s_delay_alu instid0(VALU_DEP_1) | instskip(SKIP_1) | instid1(VALU_DEP_2)
	v_and_b32_e32 v11, 3, v5
	v_bfe_u32 v14, v5, 2, 5
	v_clz_i32_u32_e32 v12, v11
	s_delay_alu instid0(VALU_DEP_2) | instskip(NEXT) | instid1(VALU_DEP_2)
	v_cmp_eq_u32_e32 vcc_lo, 0, v14
	v_min_u32_e32 v12, 32, v12
	s_delay_alu instid0(VALU_DEP_1) | instskip(NEXT) | instid1(VALU_DEP_1)
	v_subrev_nc_u32_e32 v13, 29, v12
	v_dual_lshlrev_b32 v5, v13, v5 :: v_dual_sub_nc_u32 v12, 30, v12
	s_delay_alu instid0(VALU_DEP_1) | instskip(NEXT) | instid1(VALU_DEP_1)
	v_dual_lshlrev_b32 v10, 24, v10 :: v_dual_bitop2_b32 v5, 3, v5 bitop3:0x40
	v_dual_cndmask_b32 v12, v14, v12 :: v_dual_cndmask_b32 v5, v11, v5
	s_delay_alu instid0(VALU_DEP_2) | instskip(NEXT) | instid1(VALU_DEP_2)
	v_and_b32_e32 v10, 0x80000000, v10
	v_lshl_add_u32 v11, v12, 23, 0x37800000
	s_delay_alu instid0(VALU_DEP_3) | instskip(NEXT) | instid1(VALU_DEP_1)
	v_lshlrev_b32_e32 v5, 21, v5
	v_or3_b32 v5, v10, v11, v5
.LBB276_2486:
	s_or_b32 exec_lo, exec_lo, s8
	s_delay_alu instid0(VALU_DEP_1) | instskip(SKIP_1) | instid1(VALU_DEP_1)
	v_and_b32_e32 v11, 0x7fffffff, v5
	s_mov_b32 s7, exec_lo
                                        ; implicit-def: $vgpr10
	v_cmpx_gt_u32_e32 0x43f00000, v11
	s_xor_b32 s7, exec_lo, s7
	s_cbranch_execz .LBB276_2492
; %bb.2487:
	s_mov_b32 s8, exec_lo
                                        ; implicit-def: $vgpr10
	v_cmpx_lt_u32_e32 0x3c7fffff, v11
	s_xor_b32 s8, exec_lo, s8
; %bb.2488:
	v_bfe_u32 v10, v5, 20, 1
	s_delay_alu instid0(VALU_DEP_1) | instskip(NEXT) | instid1(VALU_DEP_1)
	v_add3_u32 v10, v5, v10, 0x407ffff
	v_and_b32_e32 v11, 0xff00000, v10
	v_lshrrev_b32_e32 v10, 20, v10
	s_delay_alu instid0(VALU_DEP_2) | instskip(NEXT) | instid1(VALU_DEP_2)
	v_cmp_ne_u32_e32 vcc_lo, 0x7f00000, v11
	v_cndmask_b32_e32 v10, 0x7e, v10, vcc_lo
; %bb.2489:
	s_and_not1_saveexec_b32 s8, s8
; %bb.2490:
	v_add_f32_e64 v10, 0x46800000, |v5|
; %bb.2491:
	s_or_b32 exec_lo, exec_lo, s8
                                        ; implicit-def: $vgpr11
.LBB276_2492:
	s_and_not1_saveexec_b32 s7, s7
; %bb.2493:
	v_mov_b32_e32 v10, 0x7f
	v_cmp_lt_u32_e32 vcc_lo, 0x7f800000, v11
	s_delay_alu instid0(VALU_DEP_2)
	v_cndmask_b32_e32 v10, 0x7e, v10, vcc_lo
; %bb.2494:
	s_or_b32 exec_lo, exec_lo, s7
	v_lshrrev_b32_e32 v5, 24, v5
	s_delay_alu instid0(VALU_DEP_1)
	v_and_or_b32 v30, 0x80, v5, v10
.LBB276_2495:
	s_and_not1_saveexec_b32 s6, s6
	s_cbranch_execz .LBB276_2497
; %bb.2496:
	flat_load_u8 v30, v[8:9]
.LBB276_2497:
	s_wait_xcnt 0x0
	s_or_b32 exec_lo, exec_lo, s6
.LBB276_2498:
	s_and_not1_saveexec_b32 s5, s5
	s_cbranch_execz .LBB276_2508
; %bb.2499:
	flat_load_u8 v5, v[8:9]
	s_mov_b32 s6, exec_lo
	s_wait_loadcnt_dscnt 0x0
	v_lshlrev_b32_e32 v10, 25, v5
	v_lshlrev_b16 v5, 8, v5
	s_delay_alu instid0(VALU_DEP_1) | instskip(SKIP_1) | instid1(VALU_DEP_2)
	v_and_or_b32 v12, 0x7f00, v5, 0.5
	v_bfe_i32 v5, v5, 0, 16
	v_dual_add_f32 v12, -0.5, v12 :: v_dual_lshrrev_b32 v11, 4, v10
	v_cmp_gt_u32_e32 vcc_lo, 0x8000000, v10
                                        ; implicit-def: $vgpr10
	s_delay_alu instid0(VALU_DEP_2) | instskip(NEXT) | instid1(VALU_DEP_1)
	v_or_b32_e32 v11, 0x70000000, v11
	v_mul_f32_e32 v11, 0x7800000, v11
	s_delay_alu instid0(VALU_DEP_1) | instskip(NEXT) | instid1(VALU_DEP_1)
	v_cndmask_b32_e32 v12, v11, v12, vcc_lo
	v_and_or_b32 v5, 0x80000000, v5, v12
	s_delay_alu instid0(VALU_DEP_1) | instskip(SKIP_1) | instid1(VALU_DEP_1)
	v_and_b32_e32 v11, 0x7fffffff, v5
	s_wait_xcnt 0x0
	v_cmpx_gt_u32_e32 0x43f00000, v11
	s_xor_b32 s6, exec_lo, s6
	s_cbranch_execz .LBB276_2505
; %bb.2500:
	s_mov_b32 s7, exec_lo
                                        ; implicit-def: $vgpr10
	v_cmpx_lt_u32_e32 0x3c7fffff, v11
	s_xor_b32 s7, exec_lo, s7
; %bb.2501:
	v_bfe_u32 v10, v12, 20, 1
	s_delay_alu instid0(VALU_DEP_1) | instskip(NEXT) | instid1(VALU_DEP_1)
	v_add3_u32 v10, v5, v10, 0x407ffff
	v_and_b32_e32 v11, 0xff00000, v10
	v_lshrrev_b32_e32 v10, 20, v10
	s_delay_alu instid0(VALU_DEP_2) | instskip(NEXT) | instid1(VALU_DEP_2)
	v_cmp_ne_u32_e32 vcc_lo, 0x7f00000, v11
	v_cndmask_b32_e32 v10, 0x7e, v10, vcc_lo
; %bb.2502:
	s_and_not1_saveexec_b32 s7, s7
; %bb.2503:
	v_add_f32_e64 v10, 0x46800000, |v5|
; %bb.2504:
	s_or_b32 exec_lo, exec_lo, s7
                                        ; implicit-def: $vgpr11
.LBB276_2505:
	s_and_not1_saveexec_b32 s6, s6
; %bb.2506:
	v_mov_b32_e32 v10, 0x7f
	v_cmp_lt_u32_e32 vcc_lo, 0x7f800000, v11
	s_delay_alu instid0(VALU_DEP_2)
	v_cndmask_b32_e32 v10, 0x7e, v10, vcc_lo
; %bb.2507:
	s_or_b32 exec_lo, exec_lo, s6
	v_lshrrev_b32_e32 v5, 24, v5
	s_delay_alu instid0(VALU_DEP_1)
	v_and_or_b32 v30, 0x80, v5, v10
.LBB276_2508:
	s_or_b32 exec_lo, exec_lo, s5
	s_delay_alu instid0(SALU_CYCLE_1)
	s_or_b32 s5, s3, exec_lo
.LBB276_2509:
	s_or_saveexec_b32 s1, s1
	s_mov_b32 s6, 0
	s_mov_b32 s7, s4
	s_xor_b32 exec_lo, exec_lo, s1
	s_cbranch_execz .LBB276_2525
; %bb.2510:
	s_mov_b32 s7, s4
	s_mov_b32 s8, s5
	s_mov_b32 s6, exec_lo
                                        ; implicit-def: $vgpr30
	v_cmpx_lt_i16_e32 14, v3
	s_xor_b32 s6, exec_lo, s6
	s_cbranch_execz .LBB276_2522
; %bb.2511:
	s_mov_b32 s8, -1
	s_mov_b32 s9, s5
	s_mov_b32 s7, exec_lo
                                        ; implicit-def: $vgpr30
	v_cmpx_eq_u16_e32 15, v3
	s_cbranch_execz .LBB276_2521
; %bb.2512:
	flat_load_u16 v5, v[8:9]
	s_mov_b32 s8, exec_lo
                                        ; implicit-def: $vgpr10
	s_wait_loadcnt_dscnt 0x0
	v_lshlrev_b32_e32 v11, 16, v5
	s_delay_alu instid0(VALU_DEP_1) | instskip(SKIP_1) | instid1(VALU_DEP_1)
	v_and_b32_e32 v12, 0x7fffffff, v11
	s_wait_xcnt 0x0
	v_cmpx_gt_u32_e32 0x43f00000, v12
	s_xor_b32 s8, exec_lo, s8
	s_cbranch_execz .LBB276_2518
; %bb.2513:
	s_mov_b32 s9, exec_lo
                                        ; implicit-def: $vgpr10
	v_cmpx_lt_u32_e32 0x3c7fffff, v12
	s_xor_b32 s9, exec_lo, s9
; %bb.2514:
	v_bfe_u32 v10, v5, 4, 1
	s_delay_alu instid0(VALU_DEP_1) | instskip(NEXT) | instid1(VALU_DEP_1)
	v_add3_u32 v10, v11, v10, 0x407ffff
	v_and_b32_e32 v11, 0xff00000, v10
	v_lshrrev_b32_e32 v10, 20, v10
	s_delay_alu instid0(VALU_DEP_2) | instskip(NEXT) | instid1(VALU_DEP_2)
	v_cmp_ne_u32_e32 vcc_lo, 0x7f00000, v11
                                        ; implicit-def: $vgpr11
	v_cndmask_b32_e32 v10, 0x7e, v10, vcc_lo
; %bb.2515:
	s_and_not1_saveexec_b32 s9, s9
; %bb.2516:
	v_add_f32_e64 v10, 0x46800000, |v11|
; %bb.2517:
	s_or_b32 exec_lo, exec_lo, s9
                                        ; implicit-def: $vgpr12
.LBB276_2518:
	s_and_not1_saveexec_b32 s8, s8
; %bb.2519:
	v_mov_b32_e32 v10, 0x7f
	v_cmp_lt_u32_e32 vcc_lo, 0x7f800000, v12
	s_delay_alu instid0(VALU_DEP_2)
	v_cndmask_b32_e32 v10, 0x7e, v10, vcc_lo
; %bb.2520:
	s_or_b32 exec_lo, exec_lo, s8
	v_lshrrev_b32_e32 v5, 8, v5
	s_or_b32 s9, s5, exec_lo
	s_xor_b32 s8, exec_lo, -1
	s_delay_alu instid0(VALU_DEP_1)
	v_and_or_b32 v30, 0x80, v5, v10
.LBB276_2521:
	s_or_b32 exec_lo, exec_lo, s7
	s_delay_alu instid0(SALU_CYCLE_1)
	s_and_not1_b32 s7, s5, exec_lo
	s_and_b32 s9, s9, exec_lo
	s_and_not1_b32 s10, s4, exec_lo
	s_and_b32 s11, s8, exec_lo
	s_or_b32 s8, s7, s9
	s_or_b32 s7, s10, s11
.LBB276_2522:
	s_or_saveexec_b32 s9, s6
	s_mov_b32 s6, 0
	s_xor_b32 exec_lo, exec_lo, s9
; %bb.2523:
	v_cmp_ne_u16_e32 vcc_lo, 11, v3
	s_and_not1_b32 s7, s7, exec_lo
	s_mov_b32 s6, exec_lo
	s_and_b32 s10, vcc_lo, exec_lo
	s_delay_alu instid0(SALU_CYCLE_1)
	s_or_b32 s7, s7, s10
; %bb.2524:
	s_or_b32 exec_lo, exec_lo, s9
	s_delay_alu instid0(SALU_CYCLE_1)
	s_and_not1_b32 s5, s5, exec_lo
	s_and_b32 s8, s8, exec_lo
	s_and_b32 s7, s7, exec_lo
	s_or_b32 s5, s5, s8
	s_and_not1_b32 s8, s4, exec_lo
	s_and_b32 s6, s6, exec_lo
	s_or_b32 s7, s8, s7
.LBB276_2525:
	s_or_b32 exec_lo, exec_lo, s1
	s_delay_alu instid0(SALU_CYCLE_1)
	s_and_not1_b32 s1, s3, exec_lo
	s_and_b32 s3, s5, exec_lo
	s_and_not1_b32 s4, s4, exec_lo
	s_and_b32 s5, s7, exec_lo
	s_or_b32 s3, s1, s3
	s_and_b32 s1, s6, exec_lo
	s_or_b32 s4, s4, s5
	s_or_b32 exec_lo, exec_lo, s2
	s_mov_b32 s2, s20
	s_and_saveexec_b32 s5, s4
	s_cbranch_execz .LBB276_1297
.LBB276_2526:
	s_or_b32 s2, s20, exec_lo
	s_and_not1_b32 s1, s1, exec_lo
	s_trap 2
	s_or_b32 exec_lo, exec_lo, s5
	s_and_saveexec_b32 s4, s1
	s_cbranch_execnz .LBB276_1298
	s_branch .LBB276_1307
.LBB276_2527:
	s_or_saveexec_b32 s8, s8
	v_mov_b32_e32 v5, 0x7f800001
	s_xor_b32 exec_lo, exec_lo, s8
	s_cbranch_execz .LBB276_831
.LBB276_2528:
	v_cmp_ne_u16_e32 vcc_lo, 0, v9
	v_mov_b32_e32 v5, 0
	s_and_not1_b32 s7, s7, exec_lo
	s_and_b32 s9, vcc_lo, exec_lo
	s_delay_alu instid0(SALU_CYCLE_1)
	s_or_b32 s7, s7, s9
	s_or_b32 exec_lo, exec_lo, s8
	s_and_saveexec_b32 s8, s7
	s_cbranch_execnz .LBB276_832
	s_branch .LBB276_833
.LBB276_2529:
	s_and_not1_saveexec_b32 s2, s2
	s_cbranch_execz .LBB276_1522
.LBB276_2530:
	s_mov_b32 s5, s3
	s_mov_b32 s1, exec_lo
                                        ; implicit-def: $vgpr18
	v_cmpx_lt_i16_e32 22, v1
	s_xor_b32 s1, exec_lo, s1
	s_cbranch_execz .LBB276_2562
; %bb.2531:
	s_mov_b32 s5, exec_lo
                                        ; implicit-def: $vgpr18
	v_cmpx_lt_i16_e32 23, v1
	s_xor_b32 s5, exec_lo, s5
	s_cbranch_execz .LBB276_2551
; %bb.2532:
	;; [unrolled: 6-line block ×3, first 2 shown]
	flat_load_u8 v8, v[4:5]
	s_mov_b32 s7, 0
	s_mov_b32 s8, exec_lo
	s_wait_loadcnt_dscnt 0x0
	v_cmpx_lt_i16_e32 0x7f, v8
	s_xor_b32 s8, exec_lo, s8
	s_cbranch_execz .LBB276_2790
; %bb.2534:
	s_mov_b32 s7, -1
	s_mov_b32 s9, exec_lo
	v_cmpx_eq_u16_e32 0x80, v8
; %bb.2535:
	s_xor_b32 s7, exec_lo, -1
; %bb.2536:
	s_or_b32 exec_lo, exec_lo, s9
	s_delay_alu instid0(SALU_CYCLE_1)
	s_and_b32 s7, s7, exec_lo
	s_or_saveexec_b32 s8, s8
	v_mov_b32_e32 v1, 0x7f800001
	s_xor_b32 exec_lo, exec_lo, s8
	s_cbranch_execnz .LBB276_2791
.LBB276_2537:
	s_or_b32 exec_lo, exec_lo, s8
	s_and_saveexec_b32 s8, s7
	s_cbranch_execz .LBB276_2539
.LBB276_2538:
	v_and_b32_e32 v1, 0xffff, v8
	s_delay_alu instid0(VALU_DEP_1) | instskip(SKIP_1) | instid1(VALU_DEP_2)
	v_and_b32_e32 v9, 3, v1
	v_bfe_u32 v12, v1, 2, 5
	v_clz_i32_u32_e32 v10, v9
	s_delay_alu instid0(VALU_DEP_2) | instskip(NEXT) | instid1(VALU_DEP_2)
	v_cmp_eq_u32_e32 vcc_lo, 0, v12
	v_min_u32_e32 v10, 32, v10
	s_delay_alu instid0(VALU_DEP_1) | instskip(NEXT) | instid1(VALU_DEP_1)
	v_subrev_nc_u32_e32 v11, 29, v10
	v_dual_lshlrev_b32 v1, v11, v1 :: v_dual_sub_nc_u32 v10, 30, v10
	s_delay_alu instid0(VALU_DEP_1) | instskip(NEXT) | instid1(VALU_DEP_1)
	v_dual_lshlrev_b32 v8, 24, v8 :: v_dual_bitop2_b32 v1, 3, v1 bitop3:0x40
	v_dual_cndmask_b32 v10, v12, v10 :: v_dual_cndmask_b32 v1, v9, v1
	s_delay_alu instid0(VALU_DEP_2) | instskip(NEXT) | instid1(VALU_DEP_2)
	v_and_b32_e32 v8, 0x80000000, v8
	v_lshl_add_u32 v9, v10, 23, 0x37800000
	s_delay_alu instid0(VALU_DEP_3) | instskip(NEXT) | instid1(VALU_DEP_1)
	v_lshlrev_b32_e32 v1, 21, v1
	v_or3_b32 v1, v8, v9, v1
.LBB276_2539:
	s_or_b32 exec_lo, exec_lo, s8
	s_delay_alu instid0(VALU_DEP_1) | instskip(SKIP_1) | instid1(VALU_DEP_1)
	v_and_b32_e32 v9, 0x7fffffff, v1
	s_mov_b32 s7, exec_lo
                                        ; implicit-def: $vgpr8
	v_cmpx_gt_u32_e32 0x43f00000, v9
	s_xor_b32 s7, exec_lo, s7
	s_cbranch_execz .LBB276_2545
; %bb.2540:
	s_mov_b32 s8, exec_lo
                                        ; implicit-def: $vgpr8
	v_cmpx_lt_u32_e32 0x3c7fffff, v9
	s_xor_b32 s8, exec_lo, s8
; %bb.2541:
	v_bfe_u32 v8, v1, 20, 1
	s_delay_alu instid0(VALU_DEP_1) | instskip(NEXT) | instid1(VALU_DEP_1)
	v_add3_u32 v8, v1, v8, 0x407ffff
	v_and_b32_e32 v9, 0xff00000, v8
	v_lshrrev_b32_e32 v8, 20, v8
	s_delay_alu instid0(VALU_DEP_2) | instskip(NEXT) | instid1(VALU_DEP_2)
	v_cmp_ne_u32_e32 vcc_lo, 0x7f00000, v9
	v_cndmask_b32_e32 v8, 0x7e, v8, vcc_lo
; %bb.2542:
	s_and_not1_saveexec_b32 s8, s8
; %bb.2543:
	v_add_f32_e64 v8, 0x46800000, |v1|
; %bb.2544:
	s_or_b32 exec_lo, exec_lo, s8
                                        ; implicit-def: $vgpr9
.LBB276_2545:
	s_and_not1_saveexec_b32 s7, s7
; %bb.2546:
	v_mov_b32_e32 v8, 0x7f
	v_cmp_lt_u32_e32 vcc_lo, 0x7f800000, v9
	s_delay_alu instid0(VALU_DEP_2)
	v_cndmask_b32_e32 v8, 0x7e, v8, vcc_lo
; %bb.2547:
	s_or_b32 exec_lo, exec_lo, s7
	v_lshrrev_b32_e32 v1, 24, v1
	s_delay_alu instid0(VALU_DEP_1)
	v_and_or_b32 v18, 0x80, v1, v8
.LBB276_2548:
	s_and_not1_saveexec_b32 s6, s6
	s_cbranch_execz .LBB276_2550
; %bb.2549:
	flat_load_u8 v18, v[4:5]
.LBB276_2550:
	s_wait_xcnt 0x0
	s_or_b32 exec_lo, exec_lo, s6
.LBB276_2551:
	s_and_not1_saveexec_b32 s5, s5
	s_cbranch_execz .LBB276_2561
; %bb.2552:
	flat_load_u8 v1, v[4:5]
	s_mov_b32 s6, exec_lo
	s_wait_loadcnt_dscnt 0x0
	v_lshlrev_b32_e32 v8, 25, v1
	v_lshlrev_b16 v1, 8, v1
	s_delay_alu instid0(VALU_DEP_1) | instskip(SKIP_1) | instid1(VALU_DEP_2)
	v_and_or_b32 v10, 0x7f00, v1, 0.5
	v_bfe_i32 v1, v1, 0, 16
	v_dual_add_f32 v10, -0.5, v10 :: v_dual_lshrrev_b32 v9, 4, v8
	v_cmp_gt_u32_e32 vcc_lo, 0x8000000, v8
                                        ; implicit-def: $vgpr8
	s_delay_alu instid0(VALU_DEP_2) | instskip(NEXT) | instid1(VALU_DEP_1)
	v_or_b32_e32 v9, 0x70000000, v9
	v_mul_f32_e32 v9, 0x7800000, v9
	s_delay_alu instid0(VALU_DEP_1) | instskip(NEXT) | instid1(VALU_DEP_1)
	v_cndmask_b32_e32 v10, v9, v10, vcc_lo
	v_and_or_b32 v1, 0x80000000, v1, v10
	s_delay_alu instid0(VALU_DEP_1) | instskip(SKIP_1) | instid1(VALU_DEP_1)
	v_and_b32_e32 v9, 0x7fffffff, v1
	s_wait_xcnt 0x0
	v_cmpx_gt_u32_e32 0x43f00000, v9
	s_xor_b32 s6, exec_lo, s6
	s_cbranch_execz .LBB276_2558
; %bb.2553:
	s_mov_b32 s7, exec_lo
                                        ; implicit-def: $vgpr8
	v_cmpx_lt_u32_e32 0x3c7fffff, v9
	s_xor_b32 s7, exec_lo, s7
; %bb.2554:
	v_bfe_u32 v8, v10, 20, 1
	s_delay_alu instid0(VALU_DEP_1) | instskip(NEXT) | instid1(VALU_DEP_1)
	v_add3_u32 v8, v1, v8, 0x407ffff
	v_and_b32_e32 v9, 0xff00000, v8
	v_lshrrev_b32_e32 v8, 20, v8
	s_delay_alu instid0(VALU_DEP_2) | instskip(NEXT) | instid1(VALU_DEP_2)
	v_cmp_ne_u32_e32 vcc_lo, 0x7f00000, v9
	v_cndmask_b32_e32 v8, 0x7e, v8, vcc_lo
; %bb.2555:
	s_and_not1_saveexec_b32 s7, s7
; %bb.2556:
	v_add_f32_e64 v8, 0x46800000, |v1|
; %bb.2557:
	s_or_b32 exec_lo, exec_lo, s7
                                        ; implicit-def: $vgpr9
.LBB276_2558:
	s_and_not1_saveexec_b32 s6, s6
; %bb.2559:
	v_mov_b32_e32 v8, 0x7f
	v_cmp_lt_u32_e32 vcc_lo, 0x7f800000, v9
	s_delay_alu instid0(VALU_DEP_2)
	v_cndmask_b32_e32 v8, 0x7e, v8, vcc_lo
; %bb.2560:
	s_or_b32 exec_lo, exec_lo, s6
	v_lshrrev_b32_e32 v1, 24, v1
	s_delay_alu instid0(VALU_DEP_1)
	v_and_or_b32 v18, 0x80, v1, v8
.LBB276_2561:
	s_or_b32 exec_lo, exec_lo, s5
	s_delay_alu instid0(SALU_CYCLE_1)
	s_or_b32 s5, s3, exec_lo
                                        ; implicit-def: $vgpr1
.LBB276_2562:
	s_or_saveexec_b32 s1, s1
	s_mov_b32 s6, 0
	s_mov_b32 s7, s4
	s_xor_b32 exec_lo, exec_lo, s1
	s_cbranch_execz .LBB276_2578
; %bb.2563:
	s_mov_b32 s7, s4
	s_mov_b32 s8, s5
	s_mov_b32 s6, exec_lo
                                        ; implicit-def: $vgpr18
	v_cmpx_lt_i16_e32 14, v1
	s_xor_b32 s6, exec_lo, s6
	s_cbranch_execz .LBB276_2575
; %bb.2564:
	s_mov_b32 s8, -1
	s_mov_b32 s9, s5
	s_mov_b32 s7, exec_lo
                                        ; implicit-def: $vgpr18
	v_cmpx_eq_u16_e32 15, v1
	s_cbranch_execz .LBB276_2574
; %bb.2565:
	flat_load_u16 v1, v[4:5]
	s_mov_b32 s8, exec_lo
                                        ; implicit-def: $vgpr8
	s_wait_loadcnt_dscnt 0x0
	v_lshlrev_b32_e32 v9, 16, v1
	s_delay_alu instid0(VALU_DEP_1) | instskip(SKIP_1) | instid1(VALU_DEP_1)
	v_and_b32_e32 v10, 0x7fffffff, v9
	s_wait_xcnt 0x0
	v_cmpx_gt_u32_e32 0x43f00000, v10
	s_xor_b32 s8, exec_lo, s8
	s_cbranch_execz .LBB276_2571
; %bb.2566:
	s_mov_b32 s9, exec_lo
                                        ; implicit-def: $vgpr8
	v_cmpx_lt_u32_e32 0x3c7fffff, v10
	s_xor_b32 s9, exec_lo, s9
; %bb.2567:
	v_bfe_u32 v8, v1, 4, 1
	s_delay_alu instid0(VALU_DEP_1) | instskip(NEXT) | instid1(VALU_DEP_1)
	v_add3_u32 v8, v9, v8, 0x407ffff
	v_and_b32_e32 v9, 0xff00000, v8
	v_lshrrev_b32_e32 v8, 20, v8
	s_delay_alu instid0(VALU_DEP_2) | instskip(NEXT) | instid1(VALU_DEP_2)
	v_cmp_ne_u32_e32 vcc_lo, 0x7f00000, v9
                                        ; implicit-def: $vgpr9
	v_cndmask_b32_e32 v8, 0x7e, v8, vcc_lo
; %bb.2568:
	s_and_not1_saveexec_b32 s9, s9
; %bb.2569:
	v_add_f32_e64 v8, 0x46800000, |v9|
; %bb.2570:
	s_or_b32 exec_lo, exec_lo, s9
                                        ; implicit-def: $vgpr10
.LBB276_2571:
	s_and_not1_saveexec_b32 s8, s8
; %bb.2572:
	v_mov_b32_e32 v8, 0x7f
	v_cmp_lt_u32_e32 vcc_lo, 0x7f800000, v10
	s_delay_alu instid0(VALU_DEP_2)
	v_cndmask_b32_e32 v8, 0x7e, v8, vcc_lo
; %bb.2573:
	s_or_b32 exec_lo, exec_lo, s8
	v_lshrrev_b32_e32 v1, 8, v1
	s_or_b32 s9, s5, exec_lo
	s_xor_b32 s8, exec_lo, -1
	s_delay_alu instid0(VALU_DEP_1)
	v_and_or_b32 v18, 0x80, v1, v8
.LBB276_2574:
	s_or_b32 exec_lo, exec_lo, s7
	s_delay_alu instid0(SALU_CYCLE_1)
	s_and_not1_b32 s7, s5, exec_lo
	s_and_b32 s9, s9, exec_lo
	s_and_not1_b32 s10, s4, exec_lo
	s_and_b32 s11, s8, exec_lo
	s_or_b32 s8, s7, s9
	s_or_b32 s7, s10, s11
                                        ; implicit-def: $vgpr1
.LBB276_2575:
	s_or_saveexec_b32 s6, s6
	s_mov_b32 s9, 0
	s_xor_b32 exec_lo, exec_lo, s6
; %bb.2576:
	v_cmp_ne_u16_e32 vcc_lo, 11, v1
	s_and_not1_b32 s7, s7, exec_lo
	s_mov_b32 s9, exec_lo
	s_and_b32 s10, vcc_lo, exec_lo
	s_delay_alu instid0(SALU_CYCLE_1)
	s_or_b32 s7, s7, s10
; %bb.2577:
	s_or_b32 exec_lo, exec_lo, s6
	s_delay_alu instid0(SALU_CYCLE_1)
	s_and_not1_b32 s5, s5, exec_lo
	s_and_b32 s6, s8, exec_lo
	s_and_not1_b32 s8, s4, exec_lo
	s_and_b32 s7, s7, exec_lo
	s_or_b32 s5, s5, s6
	s_and_b32 s6, s9, exec_lo
	s_or_b32 s7, s8, s7
.LBB276_2578:
	s_or_b32 exec_lo, exec_lo, s1
	s_delay_alu instid0(SALU_CYCLE_1)
	s_and_not1_b32 s1, s3, exec_lo
	s_and_b32 s3, s5, exec_lo
	s_and_not1_b32 s4, s4, exec_lo
	s_and_b32 s5, s7, exec_lo
	s_or_b32 s3, s1, s3
	s_and_b32 s1, s6, exec_lo
	s_or_b32 s4, s4, s5
	s_or_b32 exec_lo, exec_lo, s2
	s_mov_b32 s2, s22
	s_and_saveexec_b32 s5, s4
	s_cbranch_execz .LBB276_1523
.LBB276_2579:
	s_or_b32 s2, s22, exec_lo
	s_and_not1_b32 s1, s1, exec_lo
	s_trap 2
	s_or_b32 exec_lo, exec_lo, s5
	s_and_saveexec_b32 s4, s1
	s_cbranch_execnz .LBB276_1524
	s_branch .LBB276_1533
.LBB276_2580:
	s_or_saveexec_b32 s8, s8
	v_mov_b32_e32 v5, 0x7f800001
	s_xor_b32 exec_lo, exec_lo, s8
	s_cbranch_execz .LBB276_2245
.LBB276_2581:
	v_cmp_ne_u16_e32 vcc_lo, 0, v6
	v_mov_b32_e32 v5, 0
	s_and_not1_b32 s7, s7, exec_lo
	s_and_b32 s9, vcc_lo, exec_lo
	s_delay_alu instid0(SALU_CYCLE_1)
	s_or_b32 s7, s7, s9
	s_or_b32 exec_lo, exec_lo, s8
	s_and_saveexec_b32 s8, s7
	s_cbranch_execnz .LBB276_2246
	s_branch .LBB276_2247
.LBB276_2582:
	s_and_not1_saveexec_b32 s9, s0
	s_cbranch_execz .LBB276_45
.LBB276_2583:
	v_add_f32_e32 v2, 0x46000000, v3
	s_and_not1_b32 s8, s8, exec_lo
	s_delay_alu instid0(VALU_DEP_1) | instskip(NEXT) | instid1(VALU_DEP_1)
	v_and_b32_e32 v2, 0xff, v2
	v_cmp_ne_u32_e64 s0, 0, v2
	s_and_b32 s0, s0, exec_lo
	s_delay_alu instid0(SALU_CYCLE_1)
	s_or_b32 s8, s8, s0
	s_or_b32 exec_lo, exec_lo, s9
	v_mov_b32_e32 v4, 0
	s_and_saveexec_b32 s0, s8
	s_cbranch_execnz .LBB276_46
	s_branch .LBB276_47
.LBB276_2584:
	s_or_saveexec_b32 s8, s8
	v_mov_b32_e32 v5, 0x7f800001
	s_xor_b32 exec_lo, exec_lo, s8
	s_cbranch_execz .LBB276_1057
.LBB276_2585:
	v_cmp_ne_u16_e32 vcc_lo, 0, v9
	v_mov_b32_e32 v5, 0
	s_and_not1_b32 s7, s7, exec_lo
	s_and_b32 s9, vcc_lo, exec_lo
	s_delay_alu instid0(SALU_CYCLE_1)
	s_or_b32 s7, s7, s9
	s_or_b32 exec_lo, exec_lo, s8
	s_and_saveexec_b32 s8, s7
	s_cbranch_execnz .LBB276_1058
	s_branch .LBB276_1059
.LBB276_2586:
	s_and_not1_saveexec_b32 s2, s2
	s_cbranch_execz .LBB276_1748
.LBB276_2587:
	s_mov_b32 s5, s3
	s_mov_b32 s1, exec_lo
                                        ; implicit-def: $vgpr19
	v_cmpx_lt_i16_e32 22, v3
	s_xor_b32 s1, exec_lo, s1
	s_cbranch_execz .LBB276_2619
; %bb.2588:
	s_mov_b32 s5, exec_lo
                                        ; implicit-def: $vgpr19
	v_cmpx_lt_i16_e32 23, v3
	s_xor_b32 s5, exec_lo, s5
	s_cbranch_execz .LBB276_2608
; %bb.2589:
	;; [unrolled: 6-line block ×3, first 2 shown]
	flat_load_u8 v4, v[0:1]
	s_mov_b32 s7, 0
	s_mov_b32 s8, exec_lo
	s_wait_loadcnt_dscnt 0x0
	v_cmpx_lt_i16_e32 0x7f, v4
	s_xor_b32 s8, exec_lo, s8
	s_cbranch_execz .LBB276_2837
; %bb.2591:
	s_mov_b32 s7, -1
	s_mov_b32 s9, exec_lo
	v_cmpx_eq_u16_e32 0x80, v4
; %bb.2592:
	s_xor_b32 s7, exec_lo, -1
; %bb.2593:
	s_or_b32 exec_lo, exec_lo, s9
	s_delay_alu instid0(SALU_CYCLE_1)
	s_and_b32 s7, s7, exec_lo
	s_or_saveexec_b32 s8, s8
	v_mov_b32_e32 v3, 0x7f800001
	s_xor_b32 exec_lo, exec_lo, s8
	s_cbranch_execnz .LBB276_2838
.LBB276_2594:
	s_or_b32 exec_lo, exec_lo, s8
	s_and_saveexec_b32 s8, s7
	s_cbranch_execz .LBB276_2596
.LBB276_2595:
	v_and_b32_e32 v3, 0xffff, v4
	s_delay_alu instid0(VALU_DEP_1) | instskip(SKIP_1) | instid1(VALU_DEP_2)
	v_and_b32_e32 v5, 3, v3
	v_bfe_u32 v8, v3, 2, 5
	v_clz_i32_u32_e32 v6, v5
	s_delay_alu instid0(VALU_DEP_2) | instskip(NEXT) | instid1(VALU_DEP_2)
	v_cmp_eq_u32_e32 vcc_lo, 0, v8
	v_min_u32_e32 v6, 32, v6
	s_delay_alu instid0(VALU_DEP_1) | instskip(NEXT) | instid1(VALU_DEP_1)
	v_subrev_nc_u32_e32 v7, 29, v6
	v_dual_lshlrev_b32 v3, v7, v3 :: v_dual_sub_nc_u32 v6, 30, v6
	s_delay_alu instid0(VALU_DEP_1) | instskip(NEXT) | instid1(VALU_DEP_1)
	v_dual_lshlrev_b32 v4, 24, v4 :: v_dual_bitop2_b32 v3, 3, v3 bitop3:0x40
	v_dual_cndmask_b32 v6, v8, v6 :: v_dual_cndmask_b32 v3, v5, v3
	s_delay_alu instid0(VALU_DEP_2) | instskip(NEXT) | instid1(VALU_DEP_2)
	v_and_b32_e32 v4, 0x80000000, v4
	v_lshl_add_u32 v5, v6, 23, 0x37800000
	s_delay_alu instid0(VALU_DEP_3) | instskip(NEXT) | instid1(VALU_DEP_1)
	v_lshlrev_b32_e32 v3, 21, v3
	v_or3_b32 v3, v4, v5, v3
.LBB276_2596:
	s_or_b32 exec_lo, exec_lo, s8
	s_delay_alu instid0(VALU_DEP_1) | instskip(SKIP_1) | instid1(VALU_DEP_1)
	v_and_b32_e32 v5, 0x7fffffff, v3
	s_mov_b32 s7, exec_lo
                                        ; implicit-def: $vgpr4
	v_cmpx_gt_u32_e32 0x43f00000, v5
	s_xor_b32 s7, exec_lo, s7
	s_cbranch_execz .LBB276_2602
; %bb.2597:
	s_mov_b32 s8, exec_lo
                                        ; implicit-def: $vgpr4
	v_cmpx_lt_u32_e32 0x3c7fffff, v5
	s_xor_b32 s8, exec_lo, s8
; %bb.2598:
	v_bfe_u32 v4, v3, 20, 1
	s_delay_alu instid0(VALU_DEP_1) | instskip(NEXT) | instid1(VALU_DEP_1)
	v_add3_u32 v4, v3, v4, 0x407ffff
	v_and_b32_e32 v5, 0xff00000, v4
	v_lshrrev_b32_e32 v4, 20, v4
	s_delay_alu instid0(VALU_DEP_2) | instskip(NEXT) | instid1(VALU_DEP_2)
	v_cmp_ne_u32_e32 vcc_lo, 0x7f00000, v5
	v_cndmask_b32_e32 v4, 0x7e, v4, vcc_lo
; %bb.2599:
	s_and_not1_saveexec_b32 s8, s8
; %bb.2600:
	v_add_f32_e64 v4, 0x46800000, |v3|
; %bb.2601:
	s_or_b32 exec_lo, exec_lo, s8
                                        ; implicit-def: $vgpr5
.LBB276_2602:
	s_and_not1_saveexec_b32 s7, s7
; %bb.2603:
	v_mov_b32_e32 v4, 0x7f
	v_cmp_lt_u32_e32 vcc_lo, 0x7f800000, v5
	s_delay_alu instid0(VALU_DEP_2)
	v_cndmask_b32_e32 v4, 0x7e, v4, vcc_lo
; %bb.2604:
	s_or_b32 exec_lo, exec_lo, s7
	v_lshrrev_b32_e32 v3, 24, v3
	s_delay_alu instid0(VALU_DEP_1)
	v_and_or_b32 v19, 0x80, v3, v4
.LBB276_2605:
	s_and_not1_saveexec_b32 s6, s6
	s_cbranch_execz .LBB276_2607
; %bb.2606:
	flat_load_u8 v19, v[0:1]
.LBB276_2607:
	s_wait_xcnt 0x0
	s_or_b32 exec_lo, exec_lo, s6
.LBB276_2608:
	s_and_not1_saveexec_b32 s5, s5
	s_cbranch_execz .LBB276_2618
; %bb.2609:
	flat_load_u8 v3, v[0:1]
	s_mov_b32 s6, exec_lo
	s_wait_loadcnt_dscnt 0x0
	v_lshlrev_b32_e32 v4, 25, v3
	v_lshlrev_b16 v3, 8, v3
	s_delay_alu instid0(VALU_DEP_1) | instskip(SKIP_1) | instid1(VALU_DEP_2)
	v_and_or_b32 v6, 0x7f00, v3, 0.5
	v_bfe_i32 v3, v3, 0, 16
	v_dual_add_f32 v6, -0.5, v6 :: v_dual_lshrrev_b32 v5, 4, v4
	v_cmp_gt_u32_e32 vcc_lo, 0x8000000, v4
                                        ; implicit-def: $vgpr4
	s_delay_alu instid0(VALU_DEP_2) | instskip(NEXT) | instid1(VALU_DEP_1)
	v_or_b32_e32 v5, 0x70000000, v5
	v_mul_f32_e32 v5, 0x7800000, v5
	s_delay_alu instid0(VALU_DEP_1) | instskip(NEXT) | instid1(VALU_DEP_1)
	v_cndmask_b32_e32 v6, v5, v6, vcc_lo
	v_and_or_b32 v3, 0x80000000, v3, v6
	s_delay_alu instid0(VALU_DEP_1) | instskip(SKIP_1) | instid1(VALU_DEP_1)
	v_and_b32_e32 v5, 0x7fffffff, v3
	s_wait_xcnt 0x0
	v_cmpx_gt_u32_e32 0x43f00000, v5
	s_xor_b32 s6, exec_lo, s6
	s_cbranch_execz .LBB276_2615
; %bb.2610:
	s_mov_b32 s7, exec_lo
                                        ; implicit-def: $vgpr4
	v_cmpx_lt_u32_e32 0x3c7fffff, v5
	s_xor_b32 s7, exec_lo, s7
; %bb.2611:
	v_bfe_u32 v4, v6, 20, 1
	s_delay_alu instid0(VALU_DEP_1) | instskip(NEXT) | instid1(VALU_DEP_1)
	v_add3_u32 v4, v3, v4, 0x407ffff
	v_and_b32_e32 v5, 0xff00000, v4
	v_lshrrev_b32_e32 v4, 20, v4
	s_delay_alu instid0(VALU_DEP_2) | instskip(NEXT) | instid1(VALU_DEP_2)
	v_cmp_ne_u32_e32 vcc_lo, 0x7f00000, v5
	v_cndmask_b32_e32 v4, 0x7e, v4, vcc_lo
; %bb.2612:
	s_and_not1_saveexec_b32 s7, s7
; %bb.2613:
	v_add_f32_e64 v4, 0x46800000, |v3|
; %bb.2614:
	s_or_b32 exec_lo, exec_lo, s7
                                        ; implicit-def: $vgpr5
.LBB276_2615:
	s_and_not1_saveexec_b32 s6, s6
; %bb.2616:
	v_mov_b32_e32 v4, 0x7f
	v_cmp_lt_u32_e32 vcc_lo, 0x7f800000, v5
	s_delay_alu instid0(VALU_DEP_2)
	v_cndmask_b32_e32 v4, 0x7e, v4, vcc_lo
; %bb.2617:
	s_or_b32 exec_lo, exec_lo, s6
	v_lshrrev_b32_e32 v3, 24, v3
	s_delay_alu instid0(VALU_DEP_1)
	v_and_or_b32 v19, 0x80, v3, v4
.LBB276_2618:
	s_or_b32 exec_lo, exec_lo, s5
	s_delay_alu instid0(SALU_CYCLE_1)
	s_or_b32 s5, s3, exec_lo
                                        ; implicit-def: $vgpr3
.LBB276_2619:
	s_or_saveexec_b32 s1, s1
	s_mov_b32 s6, 0
	s_mov_b32 s7, s4
	s_xor_b32 exec_lo, exec_lo, s1
	s_cbranch_execz .LBB276_2635
; %bb.2620:
	s_mov_b32 s7, s4
	s_mov_b32 s8, s5
	s_mov_b32 s6, exec_lo
                                        ; implicit-def: $vgpr19
	v_cmpx_lt_i16_e32 14, v3
	s_xor_b32 s6, exec_lo, s6
	s_cbranch_execz .LBB276_2632
; %bb.2621:
	s_mov_b32 s8, -1
	s_mov_b32 s9, s5
	s_mov_b32 s7, exec_lo
                                        ; implicit-def: $vgpr19
	v_cmpx_eq_u16_e32 15, v3
	s_cbranch_execz .LBB276_2631
; %bb.2622:
	flat_load_u16 v3, v[0:1]
	s_mov_b32 s8, exec_lo
                                        ; implicit-def: $vgpr4
	s_wait_loadcnt_dscnt 0x0
	v_lshlrev_b32_e32 v5, 16, v3
	s_delay_alu instid0(VALU_DEP_1) | instskip(SKIP_1) | instid1(VALU_DEP_1)
	v_and_b32_e32 v6, 0x7fffffff, v5
	s_wait_xcnt 0x0
	v_cmpx_gt_u32_e32 0x43f00000, v6
	s_xor_b32 s8, exec_lo, s8
	s_cbranch_execz .LBB276_2628
; %bb.2623:
	s_mov_b32 s9, exec_lo
                                        ; implicit-def: $vgpr4
	v_cmpx_lt_u32_e32 0x3c7fffff, v6
	s_xor_b32 s9, exec_lo, s9
; %bb.2624:
	v_bfe_u32 v4, v3, 4, 1
	s_delay_alu instid0(VALU_DEP_1) | instskip(NEXT) | instid1(VALU_DEP_1)
	v_add3_u32 v4, v5, v4, 0x407ffff
	v_and_b32_e32 v5, 0xff00000, v4
	v_lshrrev_b32_e32 v4, 20, v4
	s_delay_alu instid0(VALU_DEP_2) | instskip(NEXT) | instid1(VALU_DEP_2)
	v_cmp_ne_u32_e32 vcc_lo, 0x7f00000, v5
                                        ; implicit-def: $vgpr5
	v_cndmask_b32_e32 v4, 0x7e, v4, vcc_lo
; %bb.2625:
	s_and_not1_saveexec_b32 s9, s9
; %bb.2626:
	v_add_f32_e64 v4, 0x46800000, |v5|
; %bb.2627:
	s_or_b32 exec_lo, exec_lo, s9
                                        ; implicit-def: $vgpr6
.LBB276_2628:
	s_and_not1_saveexec_b32 s8, s8
; %bb.2629:
	v_mov_b32_e32 v4, 0x7f
	v_cmp_lt_u32_e32 vcc_lo, 0x7f800000, v6
	s_delay_alu instid0(VALU_DEP_2)
	v_cndmask_b32_e32 v4, 0x7e, v4, vcc_lo
; %bb.2630:
	s_or_b32 exec_lo, exec_lo, s8
	v_lshrrev_b32_e32 v3, 8, v3
	s_or_b32 s9, s5, exec_lo
	s_xor_b32 s8, exec_lo, -1
	s_delay_alu instid0(VALU_DEP_1)
	v_and_or_b32 v19, 0x80, v3, v4
.LBB276_2631:
	s_or_b32 exec_lo, exec_lo, s7
	s_delay_alu instid0(SALU_CYCLE_1)
	s_and_not1_b32 s7, s5, exec_lo
	s_and_b32 s9, s9, exec_lo
	s_and_not1_b32 s10, s4, exec_lo
	s_and_b32 s11, s8, exec_lo
	s_or_b32 s8, s7, s9
	s_or_b32 s7, s10, s11
                                        ; implicit-def: $vgpr3
.LBB276_2632:
	s_or_saveexec_b32 s6, s6
	s_mov_b32 s9, 0
	s_xor_b32 exec_lo, exec_lo, s6
; %bb.2633:
	v_cmp_ne_u16_e32 vcc_lo, 11, v3
	s_and_not1_b32 s7, s7, exec_lo
	s_mov_b32 s9, exec_lo
	s_and_b32 s10, vcc_lo, exec_lo
	s_delay_alu instid0(SALU_CYCLE_1)
	s_or_b32 s7, s7, s10
; %bb.2634:
	s_or_b32 exec_lo, exec_lo, s6
	s_delay_alu instid0(SALU_CYCLE_1)
	s_and_not1_b32 s5, s5, exec_lo
	s_and_b32 s6, s8, exec_lo
	s_and_not1_b32 s8, s4, exec_lo
	s_and_b32 s7, s7, exec_lo
	s_or_b32 s5, s5, s6
	s_and_b32 s6, s9, exec_lo
	s_or_b32 s7, s8, s7
.LBB276_2635:
	s_or_b32 exec_lo, exec_lo, s1
	s_delay_alu instid0(SALU_CYCLE_1)
	s_and_not1_b32 s1, s3, exec_lo
	s_and_b32 s3, s5, exec_lo
	s_and_not1_b32 s4, s4, exec_lo
	s_and_b32 s5, s7, exec_lo
	s_or_b32 s3, s1, s3
	s_and_b32 s1, s6, exec_lo
	s_or_b32 s4, s4, s5
	s_or_b32 exec_lo, exec_lo, s2
	s_mov_b32 s2, s24
	s_and_saveexec_b32 s5, s4
	s_cbranch_execz .LBB276_1749
.LBB276_2636:
	s_or_b32 s2, s24, exec_lo
	s_and_not1_b32 s1, s1, exec_lo
	s_trap 2
	s_or_b32 exec_lo, exec_lo, s5
	s_and_saveexec_b32 s4, s1
	s_cbranch_execnz .LBB276_1750
	s_branch .LBB276_1759
.LBB276_2637:
	s_or_saveexec_b32 s8, s8
	v_mov_b32_e32 v5, 0x7f800001
	s_xor_b32 exec_lo, exec_lo, s8
	s_cbranch_execz .LBB276_2338
.LBB276_2638:
	v_cmp_ne_u16_e32 vcc_lo, 0, v9
	v_mov_b32_e32 v5, 0
	s_and_not1_b32 s7, s7, exec_lo
	s_and_b32 s9, vcc_lo, exec_lo
	s_delay_alu instid0(SALU_CYCLE_1)
	s_or_b32 s7, s7, s9
	s_or_b32 exec_lo, exec_lo, s8
	s_and_saveexec_b32 s8, s7
	s_cbranch_execnz .LBB276_2339
	s_branch .LBB276_2340
.LBB276_2639:
	s_and_not1_saveexec_b32 s10, s0
	s_cbranch_execz .LBB276_58
.LBB276_2640:
	v_add_f32_e32 v2, 0x42800000, v3
	s_and_not1_b32 s9, s9, exec_lo
	s_delay_alu instid0(VALU_DEP_1) | instskip(NEXT) | instid1(VALU_DEP_1)
	v_and_b32_e32 v2, 0xff, v2
	v_cmp_ne_u32_e64 s0, 0, v2
	s_and_b32 s0, s0, exec_lo
	s_delay_alu instid0(SALU_CYCLE_1)
	s_or_b32 s9, s9, s0
	s_or_b32 exec_lo, exec_lo, s10
	v_mov_b32_e32 v4, 0
	s_and_saveexec_b32 s0, s9
	s_cbranch_execnz .LBB276_59
	s_branch .LBB276_60
.LBB276_2641:
	s_and_not1_saveexec_b32 s9, s0
	s_cbranch_execz .LBB276_144
.LBB276_2642:
	v_add_f32_e32 v2, 0x46000000, v3
	s_and_not1_b32 s8, s8, exec_lo
	s_delay_alu instid0(VALU_DEP_1) | instskip(NEXT) | instid1(VALU_DEP_1)
	v_and_b32_e32 v2, 0xff, v2
	v_cmp_ne_u32_e64 s0, 0, v2
	s_and_b32 s0, s0, exec_lo
	s_delay_alu instid0(SALU_CYCLE_1)
	s_or_b32 s8, s8, s0
	s_or_b32 exec_lo, exec_lo, s9
	v_mov_b32_e32 v4, 0
	s_and_saveexec_b32 s0, s8
	s_cbranch_execnz .LBB276_145
	s_branch .LBB276_146
.LBB276_2643:
	s_or_saveexec_b32 s8, s8
	v_mov_b32_e32 v5, 0x7f800001
	s_xor_b32 exec_lo, exec_lo, s8
	s_cbranch_execz .LBB276_1283
.LBB276_2644:
	v_cmp_ne_u16_e32 vcc_lo, 0, v10
	v_mov_b32_e32 v5, 0
	s_and_not1_b32 s7, s7, exec_lo
	s_and_b32 s9, vcc_lo, exec_lo
	s_delay_alu instid0(SALU_CYCLE_1)
	s_or_b32 s7, s7, s9
	s_or_b32 exec_lo, exec_lo, s8
	s_and_saveexec_b32 s8, s7
	s_cbranch_execnz .LBB276_1284
	s_branch .LBB276_1285
.LBB276_2645:
	s_and_not1_saveexec_b32 s7, s7
	s_cbranch_execz .LBB276_1928
.LBB276_2646:
	s_mov_b32 s8, s2
	s_mov_b32 s6, exec_lo
	v_cmpx_lt_i16_e32 22, v2
	s_xor_b32 s6, exec_lo, s6
	s_cbranch_execz .LBB276_2678
; %bb.2647:
	s_mov_b32 s8, exec_lo
	v_cmpx_lt_i16_e32 23, v2
	s_xor_b32 s8, exec_lo, s8
	s_cbranch_execz .LBB276_2667
; %bb.2648:
	;; [unrolled: 5-line block ×3, first 2 shown]
	v_cndmask_b32_e64 v3, 0, 1.0, s0
	v_mov_b32_e32 v4, 0x80
	s_mov_b32 s10, exec_lo
	s_delay_alu instid0(VALU_DEP_2)
	v_cmpx_gt_u32_e32 0x47800000, v3
	s_cbranch_execz .LBB276_2655
; %bb.2650:
	v_cmp_lt_u32_e64 s1, 0x37ffffff, v3
	s_mov_b32 s11, 0
                                        ; implicit-def: $vgpr2
	s_and_saveexec_b32 s12, s1
	s_delay_alu instid0(SALU_CYCLE_1)
	s_xor_b32 s1, exec_lo, s12
	s_cbranch_execz .LBB276_2843
; %bb.2651:
	v_bfe_u32 v2, v3, 21, 1
	s_mov_b32 s11, exec_lo
	s_delay_alu instid0(VALU_DEP_1) | instskip(NEXT) | instid1(VALU_DEP_1)
	v_add3_u32 v2, v3, v2, 0x88fffff
                                        ; implicit-def: $vgpr3
	v_lshrrev_b32_e32 v2, 21, v2
	s_and_not1_saveexec_b32 s12, s1
	s_cbranch_execnz .LBB276_2844
.LBB276_2652:
	s_or_b32 exec_lo, exec_lo, s12
	v_mov_b32_e32 v4, 0
	s_and_saveexec_b32 s1, s11
.LBB276_2653:
	v_mov_b32_e32 v4, v2
.LBB276_2654:
	s_or_b32 exec_lo, exec_lo, s1
.LBB276_2655:
	s_delay_alu instid0(SALU_CYCLE_1)
	s_or_b32 exec_lo, exec_lo, s10
	flat_store_b8 v[0:1], v4
.LBB276_2656:
	s_wait_xcnt 0x0
	s_and_not1_saveexec_b32 s9, s9
	s_cbranch_execz .LBB276_2666
; %bb.2657:
	v_cndmask_b32_e64 v3, 0, 1.0, s0
	s_mov_b32 s10, exec_lo
                                        ; implicit-def: $vgpr2
	s_delay_alu instid0(VALU_DEP_1)
	v_cmpx_gt_u32_e32 0x43f00000, v3
	s_xor_b32 s10, exec_lo, s10
	s_cbranch_execz .LBB276_2663
; %bb.2658:
	s_mov_b32 s11, exec_lo
                                        ; implicit-def: $vgpr2
	v_cmpx_lt_u32_e32 0x3c7fffff, v3
	s_xor_b32 s11, exec_lo, s11
; %bb.2659:
	v_bfe_u32 v2, v3, 20, 1
	s_delay_alu instid0(VALU_DEP_1) | instskip(NEXT) | instid1(VALU_DEP_1)
	v_add3_u32 v2, v3, v2, 0x407ffff
	v_and_b32_e32 v3, 0xff00000, v2
	v_lshrrev_b32_e32 v2, 20, v2
	s_delay_alu instid0(VALU_DEP_2) | instskip(NEXT) | instid1(VALU_DEP_1)
	v_cmp_ne_u32_e64 s1, 0x7f00000, v3
                                        ; implicit-def: $vgpr3
	v_cndmask_b32_e64 v2, 0x7e, v2, s1
; %bb.2660:
	s_and_not1_saveexec_b32 s1, s11
; %bb.2661:
	v_add_f32_e32 v2, 0x46800000, v3
; %bb.2662:
	s_or_b32 exec_lo, exec_lo, s1
                                        ; implicit-def: $vgpr3
.LBB276_2663:
	s_and_not1_saveexec_b32 s10, s10
; %bb.2664:
	v_mov_b32_e32 v2, 0x7f
	v_cmp_lt_u32_e64 s1, 0x7f800000, v3
	s_delay_alu instid0(VALU_DEP_1)
	v_cndmask_b32_e64 v2, 0x7e, v2, s1
; %bb.2665:
	s_or_b32 exec_lo, exec_lo, s10
	flat_store_b8 v[0:1], v2
.LBB276_2666:
	s_wait_xcnt 0x0
	s_or_b32 exec_lo, exec_lo, s9
.LBB276_2667:
	s_and_not1_saveexec_b32 s8, s8
	s_cbranch_execz .LBB276_2677
; %bb.2668:
	v_cndmask_b32_e64 v3, 0, 1.0, s0
	s_mov_b32 s9, exec_lo
                                        ; implicit-def: $vgpr2
	s_delay_alu instid0(VALU_DEP_1)
	v_cmpx_gt_u32_e32 0x47800000, v3
	s_xor_b32 s9, exec_lo, s9
	s_cbranch_execz .LBB276_2674
; %bb.2669:
	v_cmp_lt_u32_e64 s1, 0x387fffff, v3
                                        ; implicit-def: $vgpr2
	s_and_saveexec_b32 s10, s1
	s_delay_alu instid0(SALU_CYCLE_1)
	s_xor_b32 s1, exec_lo, s10
; %bb.2670:
	v_bfe_u32 v2, v3, 21, 1
	s_delay_alu instid0(VALU_DEP_1) | instskip(NEXT) | instid1(VALU_DEP_1)
	v_add3_u32 v2, v3, v2, 0x80fffff
                                        ; implicit-def: $vgpr3
	v_lshrrev_b32_e32 v2, 21, v2
; %bb.2671:
	s_and_not1_saveexec_b32 s1, s1
; %bb.2672:
	v_add_f32_e32 v2, 0x43000000, v3
; %bb.2673:
	s_or_b32 exec_lo, exec_lo, s1
                                        ; implicit-def: $vgpr3
.LBB276_2674:
	s_and_not1_saveexec_b32 s9, s9
; %bb.2675:
	v_mov_b32_e32 v2, 0x7f
	v_cmp_lt_u32_e64 s1, 0x7f800000, v3
	s_delay_alu instid0(VALU_DEP_1)
	v_cndmask_b32_e64 v2, 0x7c, v2, s1
; %bb.2676:
	s_or_b32 exec_lo, exec_lo, s9
	flat_store_b8 v[0:1], v2
.LBB276_2677:
	s_wait_xcnt 0x0
	s_or_b32 exec_lo, exec_lo, s8
	s_delay_alu instid0(SALU_CYCLE_1)
	s_or_b32 s8, s2, exec_lo
                                        ; implicit-def: $vgpr2
.LBB276_2678:
	s_or_saveexec_b32 s6, s6
	s_mov_b32 s1, 0
	s_mov_b32 s9, s4
	s_xor_b32 exec_lo, exec_lo, s6
	s_cbranch_execz .LBB276_2686
; %bb.2679:
	s_mov_b32 s9, s4
	s_mov_b32 s10, s8
	s_mov_b32 s11, exec_lo
	v_cmpx_lt_i16_e32 14, v2
	s_xor_b32 s11, exec_lo, s11
	s_cbranch_execz .LBB276_2683
; %bb.2680:
	s_mov_b32 s9, -1
	s_mov_b32 s12, s8
	s_mov_b32 s10, exec_lo
	v_cmpx_eq_u16_e32 15, v2
	s_cbranch_execz .LBB276_2682
; %bb.2681:
	v_cndmask_b32_e64 v2, 0, 1.0, s0
	s_or_b32 s12, s8, exec_lo
	s_xor_b32 s9, exec_lo, -1
	s_delay_alu instid0(VALU_DEP_1) | instskip(NEXT) | instid1(VALU_DEP_1)
	v_bfe_u32 v3, v2, 16, 1
	v_add3_u32 v2, v2, v3, 0x7fff
	flat_store_d16_hi_b16 v[0:1], v2
.LBB276_2682:
	s_wait_xcnt 0x0
	s_or_b32 exec_lo, exec_lo, s10
	s_delay_alu instid0(SALU_CYCLE_1)
	s_and_not1_b32 s1, s8, exec_lo
	s_and_b32 s10, s12, exec_lo
	s_and_not1_b32 s12, s4, exec_lo
	s_and_b32 s9, s9, exec_lo
	s_or_b32 s10, s1, s10
	s_or_b32 s9, s12, s9
                                        ; implicit-def: $vgpr2
.LBB276_2683:
	s_or_saveexec_b32 s12, s11
	s_mov_b32 s11, 0
	s_xor_b32 exec_lo, exec_lo, s12
; %bb.2684:
	v_cmp_ne_u16_e64 s1, 11, v2
	s_and_not1_b32 s9, s9, exec_lo
	s_mov_b32 s11, exec_lo
	s_and_b32 s1, s1, exec_lo
	s_delay_alu instid0(SALU_CYCLE_1)
	s_or_b32 s9, s9, s1
; %bb.2685:
	s_or_b32 exec_lo, exec_lo, s12
	s_delay_alu instid0(SALU_CYCLE_1)
	s_and_not1_b32 s1, s8, exec_lo
	s_and_b32 s8, s10, exec_lo
	s_and_not1_b32 s10, s4, exec_lo
	s_and_b32 s9, s9, exec_lo
	s_or_b32 s8, s1, s8
	s_and_b32 s1, s11, exec_lo
	s_or_b32 s9, s10, s9
.LBB276_2686:
	s_or_b32 exec_lo, exec_lo, s6
	s_delay_alu instid0(SALU_CYCLE_1)
	s_and_not1_b32 s2, s2, exec_lo
	s_and_b32 s6, s8, exec_lo
	s_and_not1_b32 s4, s4, exec_lo
	s_and_b32 s8, s9, exec_lo
	s_or_b32 s2, s2, s6
	s_and_b32 s6, s1, exec_lo
	s_or_b32 s4, s4, s8
	s_or_b32 exec_lo, exec_lo, s7
	s_mov_b32 s1, s26
	s_and_saveexec_b32 s7, s4
	s_cbranch_execz .LBB276_1929
.LBB276_2687:
	s_or_b32 s1, s26, exec_lo
	s_and_not1_b32 s6, s6, exec_lo
	s_trap 2
	s_or_b32 exec_lo, exec_lo, s7
	s_and_saveexec_b32 s4, s6
	s_delay_alu instid0(SALU_CYCLE_1)
	s_xor_b32 s4, exec_lo, s4
	s_cbranch_execnz .LBB276_1930
	s_branch .LBB276_1931
.LBB276_2688:
	s_or_saveexec_b32 s8, s8
	v_mov_b32_e32 v5, 0x7f800001
	s_xor_b32 exec_lo, exec_lo, s8
	s_cbranch_execz .LBB276_2431
.LBB276_2689:
	v_cmp_ne_u16_e32 vcc_lo, 0, v9
	v_mov_b32_e32 v5, 0
	s_and_not1_b32 s7, s7, exec_lo
	s_and_b32 s9, vcc_lo, exec_lo
	s_delay_alu instid0(SALU_CYCLE_1)
	s_or_b32 s7, s7, s9
	s_or_b32 exec_lo, exec_lo, s8
	s_and_saveexec_b32 s8, s7
	s_cbranch_execnz .LBB276_2432
	s_branch .LBB276_2433
.LBB276_2690:
	s_and_not1_saveexec_b32 s10, s0
	s_cbranch_execz .LBB276_157
.LBB276_2691:
	v_add_f32_e32 v2, 0x42800000, v3
	s_and_not1_b32 s9, s9, exec_lo
	s_delay_alu instid0(VALU_DEP_1) | instskip(NEXT) | instid1(VALU_DEP_1)
	v_and_b32_e32 v2, 0xff, v2
	v_cmp_ne_u32_e64 s0, 0, v2
	s_and_b32 s0, s0, exec_lo
	s_delay_alu instid0(SALU_CYCLE_1)
	s_or_b32 s9, s9, s0
	s_or_b32 exec_lo, exec_lo, s10
	v_mov_b32_e32 v4, 0
	s_and_saveexec_b32 s0, s9
	s_cbranch_execnz .LBB276_158
	s_branch .LBB276_159
.LBB276_2692:
	s_and_not1_saveexec_b32 s9, s0
	s_cbranch_execz .LBB276_243
.LBB276_2693:
	v_add_f32_e32 v2, 0x46000000, v3
	s_and_not1_b32 s8, s8, exec_lo
	s_delay_alu instid0(VALU_DEP_1) | instskip(NEXT) | instid1(VALU_DEP_1)
	v_and_b32_e32 v2, 0xff, v2
	v_cmp_ne_u32_e64 s0, 0, v2
	s_and_b32 s0, s0, exec_lo
	s_delay_alu instid0(SALU_CYCLE_1)
	s_or_b32 s8, s8, s0
	s_or_b32 exec_lo, exec_lo, s9
	v_mov_b32_e32 v4, 0
	s_and_saveexec_b32 s0, s8
	s_cbranch_execnz .LBB276_244
	s_branch .LBB276_245
.LBB276_2694:
	s_or_saveexec_b32 s8, s8
	v_mov_b32_e32 v1, 0x7f800001
	s_xor_b32 exec_lo, exec_lo, s8
	s_cbranch_execz .LBB276_1509
.LBB276_2695:
	v_cmp_ne_u16_e32 vcc_lo, 0, v8
	v_mov_b32_e32 v1, 0
	s_and_not1_b32 s7, s7, exec_lo
	s_and_b32 s9, vcc_lo, exec_lo
	s_delay_alu instid0(SALU_CYCLE_1)
	s_or_b32 s7, s7, s9
	s_or_b32 exec_lo, exec_lo, s8
	s_and_saveexec_b32 s8, s7
	s_cbranch_execnz .LBB276_1510
	s_branch .LBB276_1511
.LBB276_2696:
	s_and_not1_saveexec_b32 s9, s9
	s_cbranch_execz .LBB276_2012
.LBB276_2697:
	s_mov_b32 s10, s7
	s_mov_b32 s8, exec_lo
	v_cmpx_lt_i16_e32 22, v2
	s_xor_b32 s8, exec_lo, s8
	s_cbranch_execz .LBB276_2729
; %bb.2698:
	s_mov_b32 s10, exec_lo
	v_cmpx_lt_i16_e32 23, v2
	s_xor_b32 s10, exec_lo, s10
	s_cbranch_execz .LBB276_2718
; %bb.2699:
	;; [unrolled: 5-line block ×3, first 2 shown]
	v_cndmask_b32_e64 v3, 0, 1.0, s0
	v_mov_b32_e32 v4, 0x80
	s_mov_b32 s12, exec_lo
	s_delay_alu instid0(VALU_DEP_2)
	v_cmpx_gt_u32_e32 0x47800000, v3
	s_cbranch_execz .LBB276_2706
; %bb.2701:
	v_cmp_lt_u32_e64 s1, 0x37ffffff, v3
	s_mov_b32 s13, 0
                                        ; implicit-def: $vgpr2
	s_and_saveexec_b32 s28, s1
	s_delay_alu instid0(SALU_CYCLE_1)
	s_xor_b32 s1, exec_lo, s28
	s_cbranch_execz .LBB276_2847
; %bb.2702:
	v_bfe_u32 v2, v3, 21, 1
	s_mov_b32 s13, exec_lo
	s_delay_alu instid0(VALU_DEP_1) | instskip(NEXT) | instid1(VALU_DEP_1)
	v_add3_u32 v2, v3, v2, 0x88fffff
                                        ; implicit-def: $vgpr3
	v_lshrrev_b32_e32 v2, 21, v2
	s_and_not1_saveexec_b32 s28, s1
	s_cbranch_execnz .LBB276_2848
.LBB276_2703:
	s_or_b32 exec_lo, exec_lo, s28
	v_mov_b32_e32 v4, 0
	s_and_saveexec_b32 s1, s13
.LBB276_2704:
	v_mov_b32_e32 v4, v2
.LBB276_2705:
	s_or_b32 exec_lo, exec_lo, s1
.LBB276_2706:
	s_delay_alu instid0(SALU_CYCLE_1)
	s_or_b32 exec_lo, exec_lo, s12
	flat_store_b8 v[0:1], v4
.LBB276_2707:
	s_wait_xcnt 0x0
	s_and_not1_saveexec_b32 s11, s11
	s_cbranch_execz .LBB276_2717
; %bb.2708:
	v_cndmask_b32_e64 v3, 0, 1.0, s0
	s_mov_b32 s12, exec_lo
                                        ; implicit-def: $vgpr2
	s_delay_alu instid0(VALU_DEP_1)
	v_cmpx_gt_u32_e32 0x43f00000, v3
	s_xor_b32 s12, exec_lo, s12
	s_cbranch_execz .LBB276_2714
; %bb.2709:
	s_mov_b32 s13, exec_lo
                                        ; implicit-def: $vgpr2
	v_cmpx_lt_u32_e32 0x3c7fffff, v3
	s_xor_b32 s13, exec_lo, s13
; %bb.2710:
	v_bfe_u32 v2, v3, 20, 1
	s_delay_alu instid0(VALU_DEP_1) | instskip(NEXT) | instid1(VALU_DEP_1)
	v_add3_u32 v2, v3, v2, 0x407ffff
	v_and_b32_e32 v3, 0xff00000, v2
	v_lshrrev_b32_e32 v2, 20, v2
	s_delay_alu instid0(VALU_DEP_2) | instskip(NEXT) | instid1(VALU_DEP_1)
	v_cmp_ne_u32_e64 s1, 0x7f00000, v3
                                        ; implicit-def: $vgpr3
	v_cndmask_b32_e64 v2, 0x7e, v2, s1
; %bb.2711:
	s_and_not1_saveexec_b32 s1, s13
; %bb.2712:
	v_add_f32_e32 v2, 0x46800000, v3
; %bb.2713:
	s_or_b32 exec_lo, exec_lo, s1
                                        ; implicit-def: $vgpr3
.LBB276_2714:
	s_and_not1_saveexec_b32 s12, s12
; %bb.2715:
	v_mov_b32_e32 v2, 0x7f
	v_cmp_lt_u32_e64 s1, 0x7f800000, v3
	s_delay_alu instid0(VALU_DEP_1)
	v_cndmask_b32_e64 v2, 0x7e, v2, s1
; %bb.2716:
	s_or_b32 exec_lo, exec_lo, s12
	flat_store_b8 v[0:1], v2
.LBB276_2717:
	s_wait_xcnt 0x0
	s_or_b32 exec_lo, exec_lo, s11
.LBB276_2718:
	s_and_not1_saveexec_b32 s10, s10
	s_cbranch_execz .LBB276_2728
; %bb.2719:
	v_cndmask_b32_e64 v3, 0, 1.0, s0
	s_mov_b32 s11, exec_lo
                                        ; implicit-def: $vgpr2
	s_delay_alu instid0(VALU_DEP_1)
	v_cmpx_gt_u32_e32 0x47800000, v3
	s_xor_b32 s11, exec_lo, s11
	s_cbranch_execz .LBB276_2725
; %bb.2720:
	v_cmp_lt_u32_e64 s1, 0x387fffff, v3
                                        ; implicit-def: $vgpr2
	s_and_saveexec_b32 s12, s1
	s_delay_alu instid0(SALU_CYCLE_1)
	s_xor_b32 s1, exec_lo, s12
; %bb.2721:
	v_bfe_u32 v2, v3, 21, 1
	s_delay_alu instid0(VALU_DEP_1) | instskip(NEXT) | instid1(VALU_DEP_1)
	v_add3_u32 v2, v3, v2, 0x80fffff
                                        ; implicit-def: $vgpr3
	v_lshrrev_b32_e32 v2, 21, v2
; %bb.2722:
	s_and_not1_saveexec_b32 s1, s1
; %bb.2723:
	v_add_f32_e32 v2, 0x43000000, v3
; %bb.2724:
	s_or_b32 exec_lo, exec_lo, s1
                                        ; implicit-def: $vgpr3
.LBB276_2725:
	s_and_not1_saveexec_b32 s11, s11
; %bb.2726:
	v_mov_b32_e32 v2, 0x7f
	v_cmp_lt_u32_e64 s1, 0x7f800000, v3
	s_delay_alu instid0(VALU_DEP_1)
	v_cndmask_b32_e64 v2, 0x7c, v2, s1
; %bb.2727:
	s_or_b32 exec_lo, exec_lo, s11
	flat_store_b8 v[0:1], v2
.LBB276_2728:
	s_wait_xcnt 0x0
	s_or_b32 exec_lo, exec_lo, s10
	s_delay_alu instid0(SALU_CYCLE_1)
	s_or_b32 s10, s7, exec_lo
                                        ; implicit-def: $vgpr2
.LBB276_2729:
	s_or_saveexec_b32 s8, s8
	s_mov_b32 s1, 0
	s_mov_b32 s11, s2
	s_xor_b32 exec_lo, exec_lo, s8
	s_cbranch_execz .LBB276_2737
; %bb.2730:
	s_mov_b32 s11, s2
	s_mov_b32 s12, s10
	s_mov_b32 s13, exec_lo
	v_cmpx_lt_i16_e32 14, v2
	s_xor_b32 s13, exec_lo, s13
	s_cbranch_execz .LBB276_2734
; %bb.2731:
	s_mov_b32 s11, -1
	s_mov_b32 s28, s10
	s_mov_b32 s12, exec_lo
	v_cmpx_eq_u16_e32 15, v2
	s_cbranch_execz .LBB276_2733
; %bb.2732:
	v_cndmask_b32_e64 v2, 0, 1.0, s0
	s_or_b32 s28, s10, exec_lo
	s_xor_b32 s11, exec_lo, -1
	s_delay_alu instid0(VALU_DEP_1) | instskip(NEXT) | instid1(VALU_DEP_1)
	v_bfe_u32 v3, v2, 16, 1
	v_add3_u32 v2, v2, v3, 0x7fff
	flat_store_d16_hi_b16 v[0:1], v2
.LBB276_2733:
	s_wait_xcnt 0x0
	s_or_b32 exec_lo, exec_lo, s12
	s_delay_alu instid0(SALU_CYCLE_1)
	s_and_not1_b32 s1, s10, exec_lo
	s_and_b32 s12, s28, exec_lo
	s_and_not1_b32 s28, s2, exec_lo
	s_and_b32 s11, s11, exec_lo
	s_or_b32 s12, s1, s12
	s_or_b32 s11, s28, s11
                                        ; implicit-def: $vgpr2
.LBB276_2734:
	s_or_saveexec_b32 s28, s13
	s_mov_b32 s13, 0
	s_xor_b32 exec_lo, exec_lo, s28
; %bb.2735:
	v_cmp_ne_u16_e64 s1, 11, v2
	s_and_not1_b32 s11, s11, exec_lo
	s_mov_b32 s13, exec_lo
	s_and_b32 s1, s1, exec_lo
	s_delay_alu instid0(SALU_CYCLE_1)
	s_or_b32 s11, s11, s1
; %bb.2736:
	s_or_b32 exec_lo, exec_lo, s28
	s_delay_alu instid0(SALU_CYCLE_1)
	s_and_not1_b32 s1, s10, exec_lo
	s_and_b32 s10, s12, exec_lo
	s_and_not1_b32 s12, s2, exec_lo
	s_and_b32 s11, s11, exec_lo
	s_or_b32 s10, s1, s10
	s_and_b32 s1, s13, exec_lo
	s_or_b32 s11, s12, s11
.LBB276_2737:
	s_or_b32 exec_lo, exec_lo, s8
	s_delay_alu instid0(SALU_CYCLE_1)
	s_and_not1_b32 s7, s7, exec_lo
	s_and_b32 s8, s10, exec_lo
	s_and_not1_b32 s2, s2, exec_lo
	s_and_b32 s10, s11, exec_lo
	s_or_b32 s7, s7, s8
	s_and_b32 s8, s1, exec_lo
	s_or_b32 s2, s2, s10
	s_or_b32 exec_lo, exec_lo, s9
	s_mov_b32 s1, s4
	s_and_saveexec_b32 s9, s2
	s_cbranch_execz .LBB276_2013
.LBB276_2738:
	s_or_b32 s1, s4, exec_lo
	s_and_not1_b32 s8, s8, exec_lo
	s_trap 2
	s_or_b32 exec_lo, exec_lo, s9
	s_and_saveexec_b32 s2, s8
	s_delay_alu instid0(SALU_CYCLE_1)
	s_xor_b32 s2, exec_lo, s2
	s_cbranch_execnz .LBB276_2014
	s_branch .LBB276_2015
.LBB276_2739:
	s_or_saveexec_b32 s8, s8
	v_mov_b32_e32 v5, 0x7f800001
	s_xor_b32 exec_lo, exec_lo, s8
	s_cbranch_execz .LBB276_2484
.LBB276_2740:
	v_cmp_ne_u16_e32 vcc_lo, 0, v10
	v_mov_b32_e32 v5, 0
	s_and_not1_b32 s7, s7, exec_lo
	s_and_b32 s9, vcc_lo, exec_lo
	s_delay_alu instid0(SALU_CYCLE_1)
	s_or_b32 s7, s7, s9
	s_or_b32 exec_lo, exec_lo, s8
	s_and_saveexec_b32 s8, s7
	s_cbranch_execnz .LBB276_2485
	s_branch .LBB276_2486
.LBB276_2741:
	s_and_not1_saveexec_b32 s10, s0
	s_cbranch_execz .LBB276_256
.LBB276_2742:
	v_add_f32_e32 v2, 0x42800000, v3
	s_and_not1_b32 s9, s9, exec_lo
	s_delay_alu instid0(VALU_DEP_1) | instskip(NEXT) | instid1(VALU_DEP_1)
	v_and_b32_e32 v2, 0xff, v2
	v_cmp_ne_u32_e64 s0, 0, v2
	s_and_b32 s0, s0, exec_lo
	s_delay_alu instid0(SALU_CYCLE_1)
	s_or_b32 s9, s9, s0
	s_or_b32 exec_lo, exec_lo, s10
	v_mov_b32_e32 v4, 0
	s_and_saveexec_b32 s0, s9
	s_cbranch_execnz .LBB276_257
	s_branch .LBB276_258
.LBB276_2743:
	s_and_not1_saveexec_b32 s10, s10
	s_cbranch_execz .LBB276_342
.LBB276_2744:
	v_add_f32_e32 v2, 0x46000000, v3
	s_and_not1_b32 s9, s9, exec_lo
	s_delay_alu instid0(VALU_DEP_1) | instskip(NEXT) | instid1(VALU_DEP_1)
	v_and_b32_e32 v2, 0xff, v2
	v_cmp_ne_u32_e32 vcc_lo, 0, v2
	s_and_b32 s11, vcc_lo, exec_lo
	s_delay_alu instid0(SALU_CYCLE_1)
	s_or_b32 s9, s9, s11
	s_or_b32 exec_lo, exec_lo, s10
	v_mov_b32_e32 v5, 0
	s_and_saveexec_b32 s10, s9
	s_cbranch_execnz .LBB276_343
	s_branch .LBB276_344
.LBB276_2745:
	s_or_saveexec_b32 s8, s8
	v_mov_b32_e32 v3, 0x7f800001
	s_xor_b32 exec_lo, exec_lo, s8
	s_cbranch_execz .LBB276_1735
.LBB276_2746:
	v_cmp_ne_u16_e32 vcc_lo, 0, v4
	v_mov_b32_e32 v3, 0
	s_and_not1_b32 s7, s7, exec_lo
	s_and_b32 s9, vcc_lo, exec_lo
	s_delay_alu instid0(SALU_CYCLE_1)
	s_or_b32 s7, s7, s9
	s_or_b32 exec_lo, exec_lo, s8
	s_and_saveexec_b32 s8, s7
	s_cbranch_execnz .LBB276_1736
	s_branch .LBB276_1737
.LBB276_2747:
	s_and_not1_saveexec_b32 s10, s10
	s_cbranch_execz .LBB276_2096
.LBB276_2748:
	s_mov_b32 s11, s8
	s_mov_b32 s9, exec_lo
	v_cmpx_lt_i16_e32 22, v2
	s_xor_b32 s9, exec_lo, s9
	s_cbranch_execz .LBB276_2780
; %bb.2749:
	s_mov_b32 s11, exec_lo
	v_cmpx_lt_i16_e32 23, v2
	s_xor_b32 s11, exec_lo, s11
	s_cbranch_execz .LBB276_2769
; %bb.2750:
	;; [unrolled: 5-line block ×3, first 2 shown]
	v_cndmask_b32_e64 v3, 0, 1.0, vcc_lo
	v_mov_b32_e32 v4, 0x80
	s_mov_b32 s13, exec_lo
	s_delay_alu instid0(VALU_DEP_2)
	v_cmpx_gt_u32_e32 0x47800000, v3
	s_cbranch_execz .LBB276_2757
; %bb.2752:
	v_cmp_lt_u32_e64 s0, 0x37ffffff, v3
	s_mov_b32 s28, 0
                                        ; implicit-def: $vgpr2
	s_and_saveexec_b32 s29, s0
	s_delay_alu instid0(SALU_CYCLE_1)
	s_xor_b32 s0, exec_lo, s29
	s_cbranch_execz .LBB276_2851
; %bb.2753:
	v_bfe_u32 v2, v3, 21, 1
	s_mov_b32 s28, exec_lo
	s_delay_alu instid0(VALU_DEP_1) | instskip(NEXT) | instid1(VALU_DEP_1)
	v_add3_u32 v2, v3, v2, 0x88fffff
                                        ; implicit-def: $vgpr3
	v_lshrrev_b32_e32 v2, 21, v2
	s_and_not1_saveexec_b32 s29, s0
	s_cbranch_execnz .LBB276_2852
.LBB276_2754:
	s_or_b32 exec_lo, exec_lo, s29
	v_mov_b32_e32 v4, 0
	s_and_saveexec_b32 s0, s28
.LBB276_2755:
	v_mov_b32_e32 v4, v2
.LBB276_2756:
	s_or_b32 exec_lo, exec_lo, s0
.LBB276_2757:
	s_delay_alu instid0(SALU_CYCLE_1)
	s_or_b32 exec_lo, exec_lo, s13
	flat_store_b8 v[0:1], v4
.LBB276_2758:
	s_wait_xcnt 0x0
	s_and_not1_saveexec_b32 s12, s12
	s_cbranch_execz .LBB276_2768
; %bb.2759:
	v_cndmask_b32_e64 v3, 0, 1.0, vcc_lo
	s_mov_b32 s13, exec_lo
                                        ; implicit-def: $vgpr2
	s_delay_alu instid0(VALU_DEP_1)
	v_cmpx_gt_u32_e32 0x43f00000, v3
	s_xor_b32 s13, exec_lo, s13
	s_cbranch_execz .LBB276_2765
; %bb.2760:
	s_mov_b32 s28, exec_lo
                                        ; implicit-def: $vgpr2
	v_cmpx_lt_u32_e32 0x3c7fffff, v3
	s_xor_b32 s28, exec_lo, s28
; %bb.2761:
	v_bfe_u32 v2, v3, 20, 1
	s_delay_alu instid0(VALU_DEP_1) | instskip(NEXT) | instid1(VALU_DEP_1)
	v_add3_u32 v2, v3, v2, 0x407ffff
	v_and_b32_e32 v3, 0xff00000, v2
	v_lshrrev_b32_e32 v2, 20, v2
	s_delay_alu instid0(VALU_DEP_2) | instskip(NEXT) | instid1(VALU_DEP_1)
	v_cmp_ne_u32_e64 s0, 0x7f00000, v3
                                        ; implicit-def: $vgpr3
	v_cndmask_b32_e64 v2, 0x7e, v2, s0
; %bb.2762:
	s_and_not1_saveexec_b32 s0, s28
; %bb.2763:
	v_add_f32_e32 v2, 0x46800000, v3
; %bb.2764:
	s_or_b32 exec_lo, exec_lo, s0
                                        ; implicit-def: $vgpr3
.LBB276_2765:
	s_and_not1_saveexec_b32 s13, s13
; %bb.2766:
	v_mov_b32_e32 v2, 0x7f
	v_cmp_lt_u32_e64 s0, 0x7f800000, v3
	s_delay_alu instid0(VALU_DEP_1)
	v_cndmask_b32_e64 v2, 0x7e, v2, s0
; %bb.2767:
	s_or_b32 exec_lo, exec_lo, s13
	flat_store_b8 v[0:1], v2
.LBB276_2768:
	s_wait_xcnt 0x0
	s_or_b32 exec_lo, exec_lo, s12
.LBB276_2769:
	s_and_not1_saveexec_b32 s11, s11
	s_cbranch_execz .LBB276_2779
; %bb.2770:
	v_cndmask_b32_e64 v3, 0, 1.0, vcc_lo
	s_mov_b32 s12, exec_lo
                                        ; implicit-def: $vgpr2
	s_delay_alu instid0(VALU_DEP_1)
	v_cmpx_gt_u32_e32 0x47800000, v3
	s_xor_b32 s12, exec_lo, s12
	s_cbranch_execz .LBB276_2776
; %bb.2771:
	v_cmp_lt_u32_e64 s0, 0x387fffff, v3
                                        ; implicit-def: $vgpr2
	s_and_saveexec_b32 s13, s0
	s_delay_alu instid0(SALU_CYCLE_1)
	s_xor_b32 s0, exec_lo, s13
; %bb.2772:
	v_bfe_u32 v2, v3, 21, 1
	s_delay_alu instid0(VALU_DEP_1) | instskip(NEXT) | instid1(VALU_DEP_1)
	v_add3_u32 v2, v3, v2, 0x80fffff
                                        ; implicit-def: $vgpr3
	v_lshrrev_b32_e32 v2, 21, v2
; %bb.2773:
	s_and_not1_saveexec_b32 s0, s0
; %bb.2774:
	v_add_f32_e32 v2, 0x43000000, v3
; %bb.2775:
	s_or_b32 exec_lo, exec_lo, s0
                                        ; implicit-def: $vgpr3
.LBB276_2776:
	s_and_not1_saveexec_b32 s12, s12
; %bb.2777:
	v_mov_b32_e32 v2, 0x7f
	v_cmp_lt_u32_e64 s0, 0x7f800000, v3
	s_delay_alu instid0(VALU_DEP_1)
	v_cndmask_b32_e64 v2, 0x7c, v2, s0
; %bb.2778:
	s_or_b32 exec_lo, exec_lo, s12
	flat_store_b8 v[0:1], v2
.LBB276_2779:
	s_wait_xcnt 0x0
	s_or_b32 exec_lo, exec_lo, s11
	s_delay_alu instid0(SALU_CYCLE_1)
	s_or_b32 s11, s8, exec_lo
                                        ; implicit-def: $vgpr2
.LBB276_2780:
	s_or_saveexec_b32 s9, s9
	s_mov_b32 s0, 0
	s_mov_b32 s12, s1
	s_xor_b32 exec_lo, exec_lo, s9
	s_cbranch_execz .LBB276_2788
; %bb.2781:
	s_mov_b32 s12, s1
	s_mov_b32 s13, s11
	s_mov_b32 s28, exec_lo
	v_cmpx_lt_i16_e32 14, v2
	s_xor_b32 s28, exec_lo, s28
	s_cbranch_execz .LBB276_2785
; %bb.2782:
	s_mov_b32 s12, -1
	s_mov_b32 s29, s11
	s_mov_b32 s13, exec_lo
	v_cmpx_eq_u16_e32 15, v2
	s_cbranch_execz .LBB276_2784
; %bb.2783:
	v_cndmask_b32_e64 v2, 0, 1.0, vcc_lo
	s_or_b32 s29, s11, exec_lo
	s_xor_b32 s12, exec_lo, -1
	s_delay_alu instid0(VALU_DEP_1) | instskip(NEXT) | instid1(VALU_DEP_1)
	v_bfe_u32 v3, v2, 16, 1
	v_add3_u32 v2, v2, v3, 0x7fff
	flat_store_d16_hi_b16 v[0:1], v2
.LBB276_2784:
	s_wait_xcnt 0x0
	s_or_b32 exec_lo, exec_lo, s13
	s_delay_alu instid0(SALU_CYCLE_1)
	s_and_not1_b32 s0, s11, exec_lo
	s_and_b32 s13, s29, exec_lo
	s_and_not1_b32 s29, s1, exec_lo
	s_and_b32 s12, s12, exec_lo
	s_or_b32 s13, s0, s13
	s_or_b32 s12, s29, s12
                                        ; implicit-def: $vgpr2
.LBB276_2785:
	s_or_saveexec_b32 s29, s28
	s_mov_b32 s28, 0
	s_xor_b32 exec_lo, exec_lo, s29
; %bb.2786:
	v_cmp_ne_u16_e64 s0, 11, v2
	s_and_not1_b32 s12, s12, exec_lo
	s_mov_b32 s28, exec_lo
	s_and_b32 s0, s0, exec_lo
	s_delay_alu instid0(SALU_CYCLE_1)
	s_or_b32 s12, s12, s0
; %bb.2787:
	s_or_b32 exec_lo, exec_lo, s29
	s_delay_alu instid0(SALU_CYCLE_1)
	s_and_not1_b32 s0, s11, exec_lo
	s_and_b32 s11, s13, exec_lo
	s_and_not1_b32 s13, s1, exec_lo
	s_and_b32 s12, s12, exec_lo
	s_or_b32 s11, s0, s11
	s_and_b32 s0, s28, exec_lo
	s_or_b32 s12, s13, s12
.LBB276_2788:
	s_or_b32 exec_lo, exec_lo, s9
	s_delay_alu instid0(SALU_CYCLE_1)
	s_and_not1_b32 s8, s8, exec_lo
	s_and_b32 s9, s11, exec_lo
	s_and_not1_b32 s1, s1, exec_lo
	s_and_b32 s11, s12, exec_lo
	s_or_b32 s8, s8, s9
	s_and_b32 s9, s0, exec_lo
	s_or_b32 s1, s1, s11
	s_or_b32 exec_lo, exec_lo, s10
	s_mov_b32 s0, s2
	s_and_saveexec_b32 s10, s1
	s_cbranch_execz .LBB276_2097
.LBB276_2789:
	s_or_b32 s0, s2, exec_lo
	s_and_not1_b32 s9, s9, exec_lo
	s_trap 2
	s_or_b32 exec_lo, exec_lo, s10
	s_and_saveexec_b32 s1, s9
	s_delay_alu instid0(SALU_CYCLE_1)
	s_xor_b32 s1, exec_lo, s1
	s_cbranch_execnz .LBB276_2098
	s_branch .LBB276_2099
.LBB276_2790:
	s_or_saveexec_b32 s8, s8
	v_mov_b32_e32 v1, 0x7f800001
	s_xor_b32 exec_lo, exec_lo, s8
	s_cbranch_execz .LBB276_2537
.LBB276_2791:
	v_cmp_ne_u16_e32 vcc_lo, 0, v8
	v_mov_b32_e32 v1, 0
	s_and_not1_b32 s7, s7, exec_lo
	s_and_b32 s9, vcc_lo, exec_lo
	s_delay_alu instid0(SALU_CYCLE_1)
	s_or_b32 s7, s7, s9
	s_or_b32 exec_lo, exec_lo, s8
	s_and_saveexec_b32 s8, s7
	s_cbranch_execnz .LBB276_2538
	s_branch .LBB276_2539
.LBB276_2792:
	s_and_not1_saveexec_b32 s10, s10
	s_cbranch_execz .LBB276_355
.LBB276_2793:
	v_add_f32_e32 v2, 0x42800000, v3
	s_and_not1_b32 s9, s9, exec_lo
	s_delay_alu instid0(VALU_DEP_1) | instskip(NEXT) | instid1(VALU_DEP_1)
	v_and_b32_e32 v2, 0xff, v2
	v_cmp_ne_u32_e32 vcc_lo, 0, v2
	s_and_b32 s11, vcc_lo, exec_lo
	s_delay_alu instid0(SALU_CYCLE_1)
	s_or_b32 s9, s9, s11
	s_or_b32 exec_lo, exec_lo, s10
	v_mov_b32_e32 v5, 0
	s_and_saveexec_b32 s10, s9
	s_cbranch_execnz .LBB276_356
	s_branch .LBB276_357
.LBB276_2794:
	s_and_not1_saveexec_b32 s11, s11
	s_cbranch_execz .LBB276_2180
.LBB276_2795:
	s_mov_b32 s12, s0
	s_mov_b32 s10, exec_lo
	v_cmpx_lt_i16_e32 22, v5
	s_xor_b32 s10, exec_lo, s10
	s_cbranch_execz .LBB276_2827
; %bb.2796:
	s_mov_b32 s12, exec_lo
	v_cmpx_lt_i16_e32 23, v5
	s_xor_b32 s12, exec_lo, s12
	s_cbranch_execz .LBB276_2816
; %bb.2797:
	;; [unrolled: 5-line block ×3, first 2 shown]
	v_cndmask_b32_e64 v1, 0, 1.0, s3
	v_mov_b32_e32 v2, 0x80
	s_mov_b32 s28, exec_lo
	s_delay_alu instid0(VALU_DEP_2)
	v_cmpx_gt_u32_e32 0x47800000, v1
	s_cbranch_execz .LBB276_2804
; %bb.2799:
	s_mov_b32 s29, 0
	s_mov_b32 s30, exec_lo
                                        ; implicit-def: $vgpr0
	v_cmpx_lt_u32_e32 0x37ffffff, v1
	s_xor_b32 s30, exec_lo, s30
	s_cbranch_execz .LBB276_2853
; %bb.2800:
	v_bfe_u32 v0, v1, 21, 1
	s_mov_b32 s29, exec_lo
	s_delay_alu instid0(VALU_DEP_1) | instskip(NEXT) | instid1(VALU_DEP_1)
	v_add3_u32 v0, v1, v0, 0x88fffff
                                        ; implicit-def: $vgpr1
	v_lshrrev_b32_e32 v0, 21, v0
	s_and_not1_saveexec_b32 s30, s30
	s_cbranch_execnz .LBB276_2854
.LBB276_2801:
	s_or_b32 exec_lo, exec_lo, s30
	v_mov_b32_e32 v2, 0
	s_and_saveexec_b32 s30, s29
.LBB276_2802:
	v_mov_b32_e32 v2, v0
.LBB276_2803:
	s_or_b32 exec_lo, exec_lo, s30
.LBB276_2804:
	s_delay_alu instid0(SALU_CYCLE_1)
	s_or_b32 exec_lo, exec_lo, s28
	flat_store_b8 v[22:23], v2
.LBB276_2805:
	s_wait_xcnt 0x0
	s_and_not1_saveexec_b32 s13, s13
	s_cbranch_execz .LBB276_2815
; %bb.2806:
	v_cndmask_b32_e64 v1, 0, 1.0, s3
	s_mov_b32 s28, exec_lo
                                        ; implicit-def: $vgpr0
	s_delay_alu instid0(VALU_DEP_1)
	v_cmpx_gt_u32_e32 0x43f00000, v1
	s_xor_b32 s28, exec_lo, s28
	s_cbranch_execz .LBB276_2812
; %bb.2807:
	s_mov_b32 s29, exec_lo
                                        ; implicit-def: $vgpr0
	v_cmpx_lt_u32_e32 0x3c7fffff, v1
	s_xor_b32 s29, exec_lo, s29
; %bb.2808:
	v_bfe_u32 v0, v1, 20, 1
	s_delay_alu instid0(VALU_DEP_1) | instskip(NEXT) | instid1(VALU_DEP_1)
	v_add3_u32 v0, v1, v0, 0x407ffff
	v_and_b32_e32 v1, 0xff00000, v0
	v_lshrrev_b32_e32 v0, 20, v0
	s_delay_alu instid0(VALU_DEP_2) | instskip(NEXT) | instid1(VALU_DEP_2)
	v_cmp_ne_u32_e32 vcc_lo, 0x7f00000, v1
                                        ; implicit-def: $vgpr1
	v_cndmask_b32_e32 v0, 0x7e, v0, vcc_lo
; %bb.2809:
	s_and_not1_saveexec_b32 s29, s29
; %bb.2810:
	v_add_f32_e32 v0, 0x46800000, v1
; %bb.2811:
	s_or_b32 exec_lo, exec_lo, s29
                                        ; implicit-def: $vgpr1
.LBB276_2812:
	s_and_not1_saveexec_b32 s28, s28
; %bb.2813:
	v_mov_b32_e32 v0, 0x7f
	v_cmp_lt_u32_e32 vcc_lo, 0x7f800000, v1
	s_delay_alu instid0(VALU_DEP_2)
	v_cndmask_b32_e32 v0, 0x7e, v0, vcc_lo
; %bb.2814:
	s_or_b32 exec_lo, exec_lo, s28
	flat_store_b8 v[22:23], v0
.LBB276_2815:
	s_wait_xcnt 0x0
	s_or_b32 exec_lo, exec_lo, s13
.LBB276_2816:
	s_and_not1_saveexec_b32 s12, s12
	s_cbranch_execz .LBB276_2826
; %bb.2817:
	v_cndmask_b32_e64 v1, 0, 1.0, s3
	s_mov_b32 s13, exec_lo
                                        ; implicit-def: $vgpr0
	s_delay_alu instid0(VALU_DEP_1)
	v_cmpx_gt_u32_e32 0x47800000, v1
	s_xor_b32 s13, exec_lo, s13
	s_cbranch_execz .LBB276_2823
; %bb.2818:
	s_mov_b32 s28, exec_lo
                                        ; implicit-def: $vgpr0
	v_cmpx_lt_u32_e32 0x387fffff, v1
	s_xor_b32 s28, exec_lo, s28
; %bb.2819:
	v_bfe_u32 v0, v1, 21, 1
	s_delay_alu instid0(VALU_DEP_1) | instskip(NEXT) | instid1(VALU_DEP_1)
	v_add3_u32 v0, v1, v0, 0x80fffff
                                        ; implicit-def: $vgpr1
	v_lshrrev_b32_e32 v0, 21, v0
; %bb.2820:
	s_and_not1_saveexec_b32 s28, s28
; %bb.2821:
	v_add_f32_e32 v0, 0x43000000, v1
; %bb.2822:
	s_or_b32 exec_lo, exec_lo, s28
                                        ; implicit-def: $vgpr1
.LBB276_2823:
	s_and_not1_saveexec_b32 s13, s13
; %bb.2824:
	v_mov_b32_e32 v0, 0x7f
	v_cmp_lt_u32_e32 vcc_lo, 0x7f800000, v1
	s_delay_alu instid0(VALU_DEP_2)
	v_cndmask_b32_e32 v0, 0x7c, v0, vcc_lo
; %bb.2825:
	s_or_b32 exec_lo, exec_lo, s13
	flat_store_b8 v[22:23], v0
.LBB276_2826:
	s_wait_xcnt 0x0
	s_or_b32 exec_lo, exec_lo, s12
	s_delay_alu instid0(SALU_CYCLE_1)
	s_or_b32 s12, s0, exec_lo
.LBB276_2827:
	s_or_saveexec_b32 s10, s10
	s_mov_b32 s13, 0
	s_mov_b32 s28, s9
	s_xor_b32 exec_lo, exec_lo, s10
	s_cbranch_execz .LBB276_2835
; %bb.2828:
	s_mov_b32 s13, s9
	s_mov_b32 s29, s12
	s_mov_b32 s28, exec_lo
	v_cmpx_lt_i16_e32 14, v5
	s_xor_b32 s28, exec_lo, s28
	s_cbranch_execz .LBB276_2832
; %bb.2829:
	s_mov_b32 s13, -1
	s_mov_b32 s30, s12
	s_mov_b32 s29, exec_lo
	v_cmpx_eq_u16_e32 15, v5
	s_cbranch_execz .LBB276_2831
; %bb.2830:
	v_cndmask_b32_e64 v0, 0, 1.0, s3
	s_or_b32 s30, s12, exec_lo
	s_xor_b32 s13, exec_lo, -1
	s_delay_alu instid0(VALU_DEP_1) | instskip(NEXT) | instid1(VALU_DEP_1)
	v_bfe_u32 v1, v0, 16, 1
	v_add3_u32 v0, v0, v1, 0x7fff
	flat_store_d16_hi_b16 v[22:23], v0
.LBB276_2831:
	s_wait_xcnt 0x0
	s_or_b32 exec_lo, exec_lo, s29
	s_delay_alu instid0(SALU_CYCLE_1)
	s_and_not1_b32 s29, s12, exec_lo
	s_and_b32 s30, s30, exec_lo
	s_and_not1_b32 s31, s9, exec_lo
	s_and_b32 s13, s13, exec_lo
	s_or_b32 s29, s29, s30
	s_or_b32 s13, s31, s13
.LBB276_2832:
	s_or_saveexec_b32 s30, s28
	s_mov_b32 s28, 0
	s_xor_b32 exec_lo, exec_lo, s30
; %bb.2833:
	v_cmp_ne_u16_e32 vcc_lo, 11, v5
	s_and_not1_b32 s13, s13, exec_lo
	s_mov_b32 s28, exec_lo
	s_and_b32 s31, vcc_lo, exec_lo
	s_delay_alu instid0(SALU_CYCLE_1)
	s_or_b32 s13, s13, s31
; %bb.2834:
	s_or_b32 exec_lo, exec_lo, s30
	s_delay_alu instid0(SALU_CYCLE_1)
	s_and_not1_b32 s12, s12, exec_lo
	s_and_b32 s29, s29, exec_lo
	s_and_b32 s30, s13, exec_lo
	s_or_b32 s12, s12, s29
	s_and_not1_b32 s29, s9, exec_lo
	s_and_b32 s13, s28, exec_lo
	s_or_b32 s28, s29, s30
.LBB276_2835:
	s_or_b32 exec_lo, exec_lo, s10
	s_delay_alu instid0(SALU_CYCLE_1)
	s_and_not1_b32 s0, s0, exec_lo
	s_and_b32 s10, s12, exec_lo
	s_and_not1_b32 s9, s9, exec_lo
	s_and_b32 s12, s28, exec_lo
	s_or_b32 s0, s0, s10
	s_and_b32 s10, s13, exec_lo
	s_or_b32 s9, s9, s12
	s_or_b32 exec_lo, exec_lo, s11
	s_mov_b32 s11, s1
	s_and_saveexec_b32 s12, s9
	s_cbranch_execz .LBB276_2181
.LBB276_2836:
	s_and_not1_b32 s10, s10, exec_lo
	s_or_b32 s11, s1, exec_lo
	s_trap 2
	s_branch .LBB276_2181
.LBB276_2837:
	s_or_saveexec_b32 s8, s8
	v_mov_b32_e32 v3, 0x7f800001
	s_xor_b32 exec_lo, exec_lo, s8
	s_cbranch_execz .LBB276_2594
.LBB276_2838:
	v_cmp_ne_u16_e32 vcc_lo, 0, v4
	v_mov_b32_e32 v3, 0
	s_and_not1_b32 s7, s7, exec_lo
	s_and_b32 s9, vcc_lo, exec_lo
	s_delay_alu instid0(SALU_CYCLE_1)
	s_or_b32 s7, s7, s9
	s_or_b32 exec_lo, exec_lo, s8
	s_and_saveexec_b32 s8, s7
	s_cbranch_execnz .LBB276_2595
	s_branch .LBB276_2596
.LBB276_2839:
	s_and_not1_saveexec_b32 s12, s1
	s_cbranch_execz .LBB276_1922
.LBB276_2840:
	v_add_f32_e32 v2, 0x46000000, v3
	s_and_not1_b32 s11, s11, exec_lo
	s_delay_alu instid0(VALU_DEP_1) | instskip(NEXT) | instid1(VALU_DEP_1)
	v_and_b32_e32 v2, 0xff, v2
	v_cmp_ne_u32_e64 s1, 0, v2
	s_and_b32 s1, s1, exec_lo
	s_delay_alu instid0(SALU_CYCLE_1)
	s_or_b32 s11, s11, s1
	s_or_b32 exec_lo, exec_lo, s12
	v_mov_b32_e32 v4, 0
	s_and_saveexec_b32 s1, s11
	s_cbranch_execnz .LBB276_1923
	s_branch .LBB276_1924
.LBB276_2841:
	s_and_not1_saveexec_b32 s28, s1
	s_cbranch_execz .LBB276_2006
.LBB276_2842:
	v_add_f32_e32 v2, 0x46000000, v3
	s_and_not1_b32 s13, s13, exec_lo
	s_delay_alu instid0(VALU_DEP_1) | instskip(NEXT) | instid1(VALU_DEP_1)
	v_and_b32_e32 v2, 0xff, v2
	v_cmp_ne_u32_e64 s1, 0, v2
	s_and_b32 s1, s1, exec_lo
	s_delay_alu instid0(SALU_CYCLE_1)
	s_or_b32 s13, s13, s1
	s_or_b32 exec_lo, exec_lo, s28
	v_mov_b32_e32 v4, 0
	s_and_saveexec_b32 s1, s13
	s_cbranch_execnz .LBB276_2007
	s_branch .LBB276_2008
.LBB276_2843:
	s_and_not1_saveexec_b32 s12, s1
	s_cbranch_execz .LBB276_2652
.LBB276_2844:
	v_add_f32_e32 v2, 0x42800000, v3
	s_and_not1_b32 s11, s11, exec_lo
	s_delay_alu instid0(VALU_DEP_1) | instskip(NEXT) | instid1(VALU_DEP_1)
	v_and_b32_e32 v2, 0xff, v2
	v_cmp_ne_u32_e64 s1, 0, v2
	s_and_b32 s1, s1, exec_lo
	s_delay_alu instid0(SALU_CYCLE_1)
	s_or_b32 s11, s11, s1
	s_or_b32 exec_lo, exec_lo, s12
	v_mov_b32_e32 v4, 0
	s_and_saveexec_b32 s1, s11
	s_cbranch_execnz .LBB276_2653
	s_branch .LBB276_2654
.LBB276_2845:
	s_and_not1_saveexec_b32 s29, s0
	s_cbranch_execz .LBB276_2090
.LBB276_2846:
	v_add_f32_e32 v2, 0x46000000, v3
	s_and_not1_b32 s28, s28, exec_lo
	s_delay_alu instid0(VALU_DEP_1) | instskip(NEXT) | instid1(VALU_DEP_1)
	v_and_b32_e32 v2, 0xff, v2
	v_cmp_ne_u32_e64 s0, 0, v2
	s_and_b32 s0, s0, exec_lo
	s_delay_alu instid0(SALU_CYCLE_1)
	s_or_b32 s28, s28, s0
	s_or_b32 exec_lo, exec_lo, s29
	v_mov_b32_e32 v4, 0
	s_and_saveexec_b32 s0, s28
	s_cbranch_execnz .LBB276_2091
	s_branch .LBB276_2092
.LBB276_2847:
	s_and_not1_saveexec_b32 s28, s1
	s_cbranch_execz .LBB276_2703
.LBB276_2848:
	v_add_f32_e32 v2, 0x42800000, v3
	s_and_not1_b32 s13, s13, exec_lo
	s_delay_alu instid0(VALU_DEP_1) | instskip(NEXT) | instid1(VALU_DEP_1)
	v_and_b32_e32 v2, 0xff, v2
	v_cmp_ne_u32_e64 s1, 0, v2
	s_and_b32 s1, s1, exec_lo
	s_delay_alu instid0(SALU_CYCLE_1)
	s_or_b32 s13, s13, s1
	s_or_b32 exec_lo, exec_lo, s28
	v_mov_b32_e32 v4, 0
	s_and_saveexec_b32 s1, s13
	s_cbranch_execnz .LBB276_2704
	s_branch .LBB276_2705
.LBB276_2849:
	s_and_not1_saveexec_b32 s30, s30
	s_cbranch_execz .LBB276_2174
.LBB276_2850:
	v_add_f32_e32 v0, 0x46000000, v1
	s_and_not1_b32 s29, s29, exec_lo
	s_delay_alu instid0(VALU_DEP_1) | instskip(NEXT) | instid1(VALU_DEP_1)
	v_and_b32_e32 v0, 0xff, v0
	v_cmp_ne_u32_e32 vcc_lo, 0, v0
	s_and_b32 s31, vcc_lo, exec_lo
	s_delay_alu instid0(SALU_CYCLE_1)
	s_or_b32 s29, s29, s31
	s_or_b32 exec_lo, exec_lo, s30
	v_mov_b32_e32 v2, 0
	s_and_saveexec_b32 s30, s29
	s_cbranch_execnz .LBB276_2175
	s_branch .LBB276_2176
.LBB276_2851:
	s_and_not1_saveexec_b32 s29, s0
	s_cbranch_execz .LBB276_2754
.LBB276_2852:
	v_add_f32_e32 v2, 0x42800000, v3
	s_and_not1_b32 s28, s28, exec_lo
	s_delay_alu instid0(VALU_DEP_1) | instskip(NEXT) | instid1(VALU_DEP_1)
	v_and_b32_e32 v2, 0xff, v2
	v_cmp_ne_u32_e64 s0, 0, v2
	s_and_b32 s0, s0, exec_lo
	s_delay_alu instid0(SALU_CYCLE_1)
	s_or_b32 s28, s28, s0
	s_or_b32 exec_lo, exec_lo, s29
	v_mov_b32_e32 v4, 0
	s_and_saveexec_b32 s0, s28
	s_cbranch_execnz .LBB276_2755
	s_branch .LBB276_2756
.LBB276_2853:
	s_and_not1_saveexec_b32 s30, s30
	s_cbranch_execz .LBB276_2801
.LBB276_2854:
	v_add_f32_e32 v0, 0x42800000, v1
	s_and_not1_b32 s29, s29, exec_lo
	s_delay_alu instid0(VALU_DEP_1) | instskip(NEXT) | instid1(VALU_DEP_1)
	v_and_b32_e32 v0, 0xff, v0
	v_cmp_ne_u32_e32 vcc_lo, 0, v0
	s_and_b32 s31, vcc_lo, exec_lo
	s_delay_alu instid0(SALU_CYCLE_1)
	s_or_b32 s29, s29, s31
	s_or_b32 exec_lo, exec_lo, s30
	v_mov_b32_e32 v2, 0
	s_and_saveexec_b32 s30, s29
	s_cbranch_execnz .LBB276_2802
	s_branch .LBB276_2803
	.section	.rodata,"a",@progbits
	.p2align	6, 0x0
	.amdhsa_kernel _ZN2at6native32elementwise_kernel_manual_unrollILi128ELi4EZNS0_15gpu_kernel_implINS0_13BinaryFunctorIN3c1013Float8_e4m3fnES5_bNS0_12_GLOBAL__N_116CompareEqFunctorIS5_EEEEEEvRNS_18TensorIteratorBaseERKT_EUlibE0_EEviT1_
		.amdhsa_group_segment_fixed_size 0
		.amdhsa_private_segment_fixed_size 464
		.amdhsa_kernarg_size 432
		.amdhsa_user_sgpr_count 2
		.amdhsa_user_sgpr_dispatch_ptr 0
		.amdhsa_user_sgpr_queue_ptr 0
		.amdhsa_user_sgpr_kernarg_segment_ptr 1
		.amdhsa_user_sgpr_dispatch_id 0
		.amdhsa_user_sgpr_kernarg_preload_length 0
		.amdhsa_user_sgpr_kernarg_preload_offset 0
		.amdhsa_user_sgpr_private_segment_size 0
		.amdhsa_wavefront_size32 1
		.amdhsa_uses_dynamic_stack 0
		.amdhsa_enable_private_segment 1
		.amdhsa_system_sgpr_workgroup_id_x 1
		.amdhsa_system_sgpr_workgroup_id_y 0
		.amdhsa_system_sgpr_workgroup_id_z 0
		.amdhsa_system_sgpr_workgroup_info 0
		.amdhsa_system_vgpr_workitem_id 0
		.amdhsa_next_free_vgpr 37
		.amdhsa_next_free_sgpr 96
		.amdhsa_named_barrier_count 0
		.amdhsa_reserve_vcc 1
		.amdhsa_float_round_mode_32 0
		.amdhsa_float_round_mode_16_64 0
		.amdhsa_float_denorm_mode_32 3
		.amdhsa_float_denorm_mode_16_64 3
		.amdhsa_fp16_overflow 0
		.amdhsa_memory_ordered 1
		.amdhsa_forward_progress 1
		.amdhsa_inst_pref_size 255
		.amdhsa_round_robin_scheduling 0
		.amdhsa_exception_fp_ieee_invalid_op 0
		.amdhsa_exception_fp_denorm_src 0
		.amdhsa_exception_fp_ieee_div_zero 0
		.amdhsa_exception_fp_ieee_overflow 0
		.amdhsa_exception_fp_ieee_underflow 0
		.amdhsa_exception_fp_ieee_inexact 0
		.amdhsa_exception_int_div_zero 0
	.end_amdhsa_kernel
	.section	.text._ZN2at6native32elementwise_kernel_manual_unrollILi128ELi4EZNS0_15gpu_kernel_implINS0_13BinaryFunctorIN3c1013Float8_e4m3fnES5_bNS0_12_GLOBAL__N_116CompareEqFunctorIS5_EEEEEEvRNS_18TensorIteratorBaseERKT_EUlibE0_EEviT1_,"axG",@progbits,_ZN2at6native32elementwise_kernel_manual_unrollILi128ELi4EZNS0_15gpu_kernel_implINS0_13BinaryFunctorIN3c1013Float8_e4m3fnES5_bNS0_12_GLOBAL__N_116CompareEqFunctorIS5_EEEEEEvRNS_18TensorIteratorBaseERKT_EUlibE0_EEviT1_,comdat
.Lfunc_end276:
	.size	_ZN2at6native32elementwise_kernel_manual_unrollILi128ELi4EZNS0_15gpu_kernel_implINS0_13BinaryFunctorIN3c1013Float8_e4m3fnES5_bNS0_12_GLOBAL__N_116CompareEqFunctorIS5_EEEEEEvRNS_18TensorIteratorBaseERKT_EUlibE0_EEviT1_, .Lfunc_end276-_ZN2at6native32elementwise_kernel_manual_unrollILi128ELi4EZNS0_15gpu_kernel_implINS0_13BinaryFunctorIN3c1013Float8_e4m3fnES5_bNS0_12_GLOBAL__N_116CompareEqFunctorIS5_EEEEEEvRNS_18TensorIteratorBaseERKT_EUlibE0_EEviT1_
                                        ; -- End function
	.set _ZN2at6native32elementwise_kernel_manual_unrollILi128ELi4EZNS0_15gpu_kernel_implINS0_13BinaryFunctorIN3c1013Float8_e4m3fnES5_bNS0_12_GLOBAL__N_116CompareEqFunctorIS5_EEEEEEvRNS_18TensorIteratorBaseERKT_EUlibE0_EEviT1_.num_vgpr, max(37, .L_ZN2at6native6invokeINS0_13BinaryFunctorIN3c1013Float8_e4m3fnES4_bNS0_12_GLOBAL__N_116CompareEqFunctorIS4_EEEEj15function_traitsIS8_EEENT1_11result_typeERKT_PrKPcPKT0_PKNS3_10ScalarTypeEi.num_vgpr)
	.set _ZN2at6native32elementwise_kernel_manual_unrollILi128ELi4EZNS0_15gpu_kernel_implINS0_13BinaryFunctorIN3c1013Float8_e4m3fnES5_bNS0_12_GLOBAL__N_116CompareEqFunctorIS5_EEEEEEvRNS_18TensorIteratorBaseERKT_EUlibE0_EEviT1_.num_agpr, max(0, .L_ZN2at6native6invokeINS0_13BinaryFunctorIN3c1013Float8_e4m3fnES4_bNS0_12_GLOBAL__N_116CompareEqFunctorIS4_EEEEj15function_traitsIS8_EEENT1_11result_typeERKT_PrKPcPKT0_PKNS3_10ScalarTypeEi.num_agpr)
	.set _ZN2at6native32elementwise_kernel_manual_unrollILi128ELi4EZNS0_15gpu_kernel_implINS0_13BinaryFunctorIN3c1013Float8_e4m3fnES5_bNS0_12_GLOBAL__N_116CompareEqFunctorIS5_EEEEEEvRNS_18TensorIteratorBaseERKT_EUlibE0_EEviT1_.numbered_sgpr, max(96, .L_ZN2at6native6invokeINS0_13BinaryFunctorIN3c1013Float8_e4m3fnES4_bNS0_12_GLOBAL__N_116CompareEqFunctorIS4_EEEEj15function_traitsIS8_EEENT1_11result_typeERKT_PrKPcPKT0_PKNS3_10ScalarTypeEi.numbered_sgpr)
	.set _ZN2at6native32elementwise_kernel_manual_unrollILi128ELi4EZNS0_15gpu_kernel_implINS0_13BinaryFunctorIN3c1013Float8_e4m3fnES5_bNS0_12_GLOBAL__N_116CompareEqFunctorIS5_EEEEEEvRNS_18TensorIteratorBaseERKT_EUlibE0_EEviT1_.num_named_barrier, max(0, .L_ZN2at6native6invokeINS0_13BinaryFunctorIN3c1013Float8_e4m3fnES4_bNS0_12_GLOBAL__N_116CompareEqFunctorIS4_EEEEj15function_traitsIS8_EEENT1_11result_typeERKT_PrKPcPKT0_PKNS3_10ScalarTypeEi.num_named_barrier)
	.set _ZN2at6native32elementwise_kernel_manual_unrollILi128ELi4EZNS0_15gpu_kernel_implINS0_13BinaryFunctorIN3c1013Float8_e4m3fnES5_bNS0_12_GLOBAL__N_116CompareEqFunctorIS5_EEEEEEvRNS_18TensorIteratorBaseERKT_EUlibE0_EEviT1_.private_seg_size, 464+max(.L_ZN2at6native6invokeINS0_13BinaryFunctorIN3c1013Float8_e4m3fnES4_bNS0_12_GLOBAL__N_116CompareEqFunctorIS4_EEEEj15function_traitsIS8_EEENT1_11result_typeERKT_PrKPcPKT0_PKNS3_10ScalarTypeEi.private_seg_size)
	.set _ZN2at6native32elementwise_kernel_manual_unrollILi128ELi4EZNS0_15gpu_kernel_implINS0_13BinaryFunctorIN3c1013Float8_e4m3fnES5_bNS0_12_GLOBAL__N_116CompareEqFunctorIS5_EEEEEEvRNS_18TensorIteratorBaseERKT_EUlibE0_EEviT1_.uses_vcc, or(1, .L_ZN2at6native6invokeINS0_13BinaryFunctorIN3c1013Float8_e4m3fnES4_bNS0_12_GLOBAL__N_116CompareEqFunctorIS4_EEEEj15function_traitsIS8_EEENT1_11result_typeERKT_PrKPcPKT0_PKNS3_10ScalarTypeEi.uses_vcc)
	.set _ZN2at6native32elementwise_kernel_manual_unrollILi128ELi4EZNS0_15gpu_kernel_implINS0_13BinaryFunctorIN3c1013Float8_e4m3fnES5_bNS0_12_GLOBAL__N_116CompareEqFunctorIS5_EEEEEEvRNS_18TensorIteratorBaseERKT_EUlibE0_EEviT1_.uses_flat_scratch, or(1, .L_ZN2at6native6invokeINS0_13BinaryFunctorIN3c1013Float8_e4m3fnES4_bNS0_12_GLOBAL__N_116CompareEqFunctorIS4_EEEEj15function_traitsIS8_EEENT1_11result_typeERKT_PrKPcPKT0_PKNS3_10ScalarTypeEi.uses_flat_scratch)
	.set _ZN2at6native32elementwise_kernel_manual_unrollILi128ELi4EZNS0_15gpu_kernel_implINS0_13BinaryFunctorIN3c1013Float8_e4m3fnES5_bNS0_12_GLOBAL__N_116CompareEqFunctorIS5_EEEEEEvRNS_18TensorIteratorBaseERKT_EUlibE0_EEviT1_.has_dyn_sized_stack, or(0, .L_ZN2at6native6invokeINS0_13BinaryFunctorIN3c1013Float8_e4m3fnES4_bNS0_12_GLOBAL__N_116CompareEqFunctorIS4_EEEEj15function_traitsIS8_EEENT1_11result_typeERKT_PrKPcPKT0_PKNS3_10ScalarTypeEi.has_dyn_sized_stack)
	.set _ZN2at6native32elementwise_kernel_manual_unrollILi128ELi4EZNS0_15gpu_kernel_implINS0_13BinaryFunctorIN3c1013Float8_e4m3fnES5_bNS0_12_GLOBAL__N_116CompareEqFunctorIS5_EEEEEEvRNS_18TensorIteratorBaseERKT_EUlibE0_EEviT1_.has_recursion, or(0, .L_ZN2at6native6invokeINS0_13BinaryFunctorIN3c1013Float8_e4m3fnES4_bNS0_12_GLOBAL__N_116CompareEqFunctorIS4_EEEEj15function_traitsIS8_EEENT1_11result_typeERKT_PrKPcPKT0_PKNS3_10ScalarTypeEi.has_recursion)
	.set _ZN2at6native32elementwise_kernel_manual_unrollILi128ELi4EZNS0_15gpu_kernel_implINS0_13BinaryFunctorIN3c1013Float8_e4m3fnES5_bNS0_12_GLOBAL__N_116CompareEqFunctorIS5_EEEEEEvRNS_18TensorIteratorBaseERKT_EUlibE0_EEviT1_.has_indirect_call, or(0, .L_ZN2at6native6invokeINS0_13BinaryFunctorIN3c1013Float8_e4m3fnES4_bNS0_12_GLOBAL__N_116CompareEqFunctorIS4_EEEEj15function_traitsIS8_EEENT1_11result_typeERKT_PrKPcPKT0_PKNS3_10ScalarTypeEi.has_indirect_call)
	.section	.AMDGPU.csdata,"",@progbits
; Kernel info:
; codeLenInByte = 66504
; TotalNumSgprs: 98
; NumVgprs: 37
; ScratchSize: 464
; MemoryBound: 0
; FloatMode: 240
; IeeeMode: 1
; LDSByteSize: 0 bytes/workgroup (compile time only)
; SGPRBlocks: 0
; VGPRBlocks: 2
; NumSGPRsForWavesPerEU: 98
; NumVGPRsForWavesPerEU: 37
; NamedBarCnt: 0
; Occupancy: 16
; WaveLimiterHint : 1
; COMPUTE_PGM_RSRC2:SCRATCH_EN: 1
; COMPUTE_PGM_RSRC2:USER_SGPR: 2
; COMPUTE_PGM_RSRC2:TRAP_HANDLER: 0
; COMPUTE_PGM_RSRC2:TGID_X_EN: 1
; COMPUTE_PGM_RSRC2:TGID_Y_EN: 0
; COMPUTE_PGM_RSRC2:TGID_Z_EN: 0
; COMPUTE_PGM_RSRC2:TIDIG_COMP_CNT: 0
	.section	.text._ZN2at6native29vectorized_elementwise_kernelILi16ENS0_13AUnaryFunctorIN3c1013Float8_e4m3fnES4_bNS0_12_GLOBAL__N_116CompareEqFunctorIS4_EEEESt5arrayIPcLm2EEEEviT0_T1_,"axG",@progbits,_ZN2at6native29vectorized_elementwise_kernelILi16ENS0_13AUnaryFunctorIN3c1013Float8_e4m3fnES4_bNS0_12_GLOBAL__N_116CompareEqFunctorIS4_EEEESt5arrayIPcLm2EEEEviT0_T1_,comdat
	.globl	_ZN2at6native29vectorized_elementwise_kernelILi16ENS0_13AUnaryFunctorIN3c1013Float8_e4m3fnES4_bNS0_12_GLOBAL__N_116CompareEqFunctorIS4_EEEESt5arrayIPcLm2EEEEviT0_T1_ ; -- Begin function _ZN2at6native29vectorized_elementwise_kernelILi16ENS0_13AUnaryFunctorIN3c1013Float8_e4m3fnES4_bNS0_12_GLOBAL__N_116CompareEqFunctorIS4_EEEESt5arrayIPcLm2EEEEviT0_T1_
	.p2align	8
	.type	_ZN2at6native29vectorized_elementwise_kernelILi16ENS0_13AUnaryFunctorIN3c1013Float8_e4m3fnES4_bNS0_12_GLOBAL__N_116CompareEqFunctorIS4_EEEESt5arrayIPcLm2EEEEviT0_T1_,@function
_ZN2at6native29vectorized_elementwise_kernelILi16ENS0_13AUnaryFunctorIN3c1013Float8_e4m3fnES4_bNS0_12_GLOBAL__N_116CompareEqFunctorIS4_EEEESt5arrayIPcLm2EEEEviT0_T1_: ; @_ZN2at6native29vectorized_elementwise_kernelILi16ENS0_13AUnaryFunctorIN3c1013Float8_e4m3fnES4_bNS0_12_GLOBAL__N_116CompareEqFunctorIS4_EEEESt5arrayIPcLm2EEEEviT0_T1_
; %bb.0:
	s_clause 0x1
	s_load_b96 s[8:10], s[0:1], 0x0
	s_load_b128 s[4:7], s[0:1], 0x10
	s_wait_xcnt 0x0
	s_bfe_u32 s0, ttmp6, 0x4000c
	s_and_b32 s1, ttmp6, 15
	s_add_co_i32 s0, s0, 1
	s_getreg_b32 s2, hwreg(HW_REG_IB_STS2, 6, 4)
	s_mul_i32 s0, ttmp9, s0
	s_delay_alu instid0(SALU_CYCLE_1) | instskip(SKIP_2) | instid1(SALU_CYCLE_1)
	s_add_co_i32 s1, s1, s0
	s_cmp_eq_u32 s2, 0
	s_cselect_b32 s0, ttmp9, s1
	s_lshl_b32 s2, s0, 12
	s_mov_b32 s0, -1
	s_wait_kmcnt 0x0
	s_sub_co_i32 s8, s8, s2
	s_delay_alu instid0(SALU_CYCLE_1)
	s_cmp_gt_i32 s8, 0xfff
	s_cbranch_scc0 .LBB277_2
; %bb.1:
	s_ashr_i32 s3, s2, 31
	s_cmp_eq_u32 s9, 0
	s_add_nc_u64 s[0:1], s[6:7], s[2:3]
	s_cselect_b32 vcc_lo, -1, 0
	global_load_b128 v[2:5], v0, s[0:1] scale_offset
	s_wait_xcnt 0x0
	s_lshl_b32 s0, s10, 24
	s_delay_alu instid0(SALU_CYCLE_1)
	s_and_b32 s1, s0, 0x7f000000
	s_and_b32 s0, s0, 0x80000000
	s_clz_i32_u32 s11, s1
	s_add_co_i32 s12, s1, 0x1000000
	s_min_u32 s11, s11, 32
	s_ashr_i32 s12, s12, 8
	v_sub_nc_u32_e64 v1, s11, 4 clamp
	s_and_b32 s12, s12, 0x7f800000
	s_delay_alu instid0(VALU_DEP_1) | instskip(SKIP_3) | instid1(SALU_CYCLE_1)
	v_readfirstlane_b32 s11, v1
	s_lshl_b32 s13, s1, s11
	s_lshl_b32 s11, s11, 23
	s_lshr_b32 s13, s13, 4
	s_sub_co_i32 s11, s13, s11
	s_delay_alu instid0(SALU_CYCLE_1) | instskip(NEXT) | instid1(SALU_CYCLE_1)
	s_add_co_i32 s11, s11, 0x3c000000
	s_or_b32 s11, s11, s12
	s_cmp_lg_u32 s1, 0
	s_add_nc_u64 s[12:13], s[4:5], s[2:3]
	s_cselect_b32 s1, s11, 0
	s_delay_alu instid0(SALU_CYCLE_1)
	s_or_b32 s1, s1, s0
	s_wait_loadcnt 0x0
	v_and_b32_e32 v14, 0x7f000000, v2
	v_and_b32_e32 v13, 0x7f000000, v3
	v_dual_lshlrev_b32 v9, 24, v2 :: v_dual_lshlrev_b32 v10, 8, v2
	v_and_b32_e32 v19, 0x7f000000, v5
	s_delay_alu instid0(VALU_DEP_4) | instskip(SKIP_3) | instid1(VALU_DEP_4)
	v_clz_i32_u32_e32 v25, v14
	v_and_b32_e32 v20, 0x7f000000, v4
	v_clz_i32_u32_e32 v26, v13
	v_dual_lshlrev_b32 v11, 24, v3 :: v_dual_lshlrev_b32 v12, 8, v3
	v_min_u32_e32 v25, 32, v25
	v_and_b32_e32 v23, 0x7f000000, v10
	v_clz_i32_u32_e32 v33, v20
	v_clz_i32_u32_e32 v34, v19
	v_min_u32_e32 v26, 32, v26
	v_sub_nc_u32_e64 v25, v25, 4 clamp
	v_and_b32_e32 v21, 0x7f000000, v12
	v_and_b32_e32 v24, 0x7f000000, v9
	v_clz_i32_u32_e32 v40, v23
	v_min_u32_e32 v33, 32, v33
	v_min_u32_e32 v34, 32, v34
	v_sub_nc_u32_e64 v26, v26, 4 clamp
	v_dual_lshlrev_b32 v57, v25, v14 :: v_dual_lshlrev_b32 v15, 24, v4
	v_lshlrev_b32_e32 v16, 8, v4
	v_and_b32_e32 v22, 0x7f000000, v11
	v_clz_i32_u32_e32 v39, v24
	v_clz_i32_u32_e32 v42, v21
	v_min_u32_e32 v40, 32, v40
	v_sub_nc_u32_e64 v34, v34, 4 clamp
	v_sub_nc_u32_e64 v33, v33, 4 clamp
	v_dual_lshlrev_b32 v58, v26, v13 :: v_dual_lshlrev_b32 v26, 23, v26
	v_lshlrev_b32_e32 v25, 23, v25
	s_delay_alu instid0(VALU_DEP_3)
	v_dual_lshrrev_b32 v57, 4, v57 :: v_dual_lshlrev_b32 v59, v33, v20
	v_lshrrev_b16 v1, 8, v2
	v_dual_lshlrev_b32 v17, 24, v5 :: v_dual_lshlrev_b32 v18, 8, v5
	v_and_b32_e32 v31, 0x7f000000, v16
	v_and_b32_e32 v32, 0x7f000000, v15
	v_clz_i32_u32_e32 v41, v22
	v_min_u32_e32 v39, 32, v39
	v_min_u32_e32 v42, 32, v42
	v_sub_nc_u32_e64 v40, v40, 4 clamp
	v_dual_sub_nc_u32 v25, v57, v25 :: v_dual_lshlrev_b32 v57, v34, v19
	v_dual_lshrrev_b32 v58, 4, v58 :: v_dual_lshrrev_b32 v59, 4, v59
	v_lshrrev_b16 v6, 8, v3
	v_lshlrev_b32_e32 v1, 24, v1
	v_and_b32_e32 v29, 0x7f000000, v18
	v_clz_i32_u32_e32 v49, v32
	v_clz_i32_u32_e32 v50, v31
	v_min_u32_e32 v41, 32, v41
	v_sub_nc_u32_e64 v42, v42, 4 clamp
	v_sub_nc_u32_e64 v39, v39, 4 clamp
	v_dual_lshlrev_b32 v34, 23, v34 :: v_dual_lshlrev_b32 v33, 23, v33
	v_dual_lshrrev_b32 v57, 4, v57 :: v_dual_sub_nc_u32 v26, v58, v26
	v_dual_lshlrev_b32 v58, v40, v23 :: v_dual_lshlrev_b32 v6, 24, v6
	v_and_b32_e32 v30, 0x7f000000, v17
	v_and_b32_e32 v38, 0x7f000000, v1
	v_clz_i32_u32_e32 v52, v29
	v_min_u32_e32 v49, 32, v49
	v_min_u32_e32 v50, 32, v50
	v_sub_nc_u32_e64 v41, v41, 4 clamp
	v_sub_nc_u32_e32 v33, v59, v33
	v_dual_lshlrev_b32 v59, v39, v24 :: v_dual_sub_nc_u32 v34, v57, v34
	v_dual_lshlrev_b32 v57, v42, v21 :: v_dual_lshlrev_b32 v40, 23, v40
	v_dual_lshrrev_b32 v58, 4, v58 :: v_dual_lshlrev_b32 v39, 23, v39
	v_clz_i32_u32_e32 v51, v30
	v_clz_i32_u32_e32 v54, v38
	v_min_u32_e32 v52, 32, v52
	v_sub_nc_u32_e64 v49, v49, 4 clamp
	v_sub_nc_u32_e64 v50, v50, 4 clamp
	v_dual_lshlrev_b32 v42, 23, v42 :: v_dual_lshrrev_b32 v59, 4, v59
	v_dual_lshrrev_b32 v57, 4, v57 :: v_dual_sub_nc_u32 v40, v58, v40
	v_dual_lshlrev_b32 v58, v41, v22 :: v_dual_lshlrev_b32 v41, 23, v41
	v_lshrrev_b16 v7, 8, v4
	v_lshrrev_b16 v8, 8, v5
	v_and_b32_e32 v37, 0x7f000000, v6
	v_min_u32_e32 v51, 32, v51
	v_min_u32_e32 v54, 32, v54
	v_sub_nc_u32_e64 v52, v52, 4 clamp
	v_dual_sub_nc_u32 v39, v59, v39 :: v_dual_sub_nc_u32 v42, v57, v42
	v_dual_lshlrev_b32 v59, v50, v31 :: v_dual_lshlrev_b32 v57, v49, v32
	v_dual_lshrrev_b32 v58, 4, v58 :: v_dual_lshlrev_b32 v7, 24, v7
	v_lshlrev_b32_e32 v8, 24, v8
	v_clz_i32_u32_e32 v55, v37
	v_sub_nc_u32_e64 v51, v51, 4 clamp
	v_sub_nc_u32_e64 v54, v54, 4 clamp
	v_dual_lshlrev_b32 v50, 23, v50 :: v_dual_lshlrev_b32 v49, 23, v49
	v_dual_lshrrev_b32 v59, 4, v59 :: v_dual_lshrrev_b32 v57, 4, v57
	v_sub_nc_u32_e32 v41, v58, v41
	v_dual_lshlrev_b32 v58, v52, v29 :: v_dual_lshlrev_b32 v52, 23, v52
	v_and_b32_e32 v47, 0x7f000000, v8
	v_and_b32_e32 v48, 0x7f000000, v7
	v_min_u32_e32 v55, 32, v55
	v_sub_nc_u32_e32 v50, v59, v50
	v_dual_lshlrev_b32 v59, v51, v30 :: v_dual_sub_nc_u32 v49, v57, v49
	v_lshlrev_b32_e32 v57, v54, v38
	v_dual_lshrrev_b32 v58, 4, v58 :: v_dual_lshlrev_b32 v51, 23, v51
	v_clz_i32_u32_e32 v56, v48
	v_sub_nc_u32_e64 v55, v55, 4 clamp
	v_dual_lshlrev_b32 v54, 23, v54 :: v_dual_lshrrev_b32 v59, 4, v59
	s_delay_alu instid0(VALU_DEP_4) | instskip(SKIP_3) | instid1(VALU_DEP_4)
	v_dual_lshrrev_b32 v57, 4, v57 :: v_dual_sub_nc_u32 v52, v58, v52
	v_clz_i32_u32_e32 v58, v47
	v_add_nc_u32_e32 v28, 0x1000000, v13
	v_min_u32_e32 v56, 32, v56
	v_dual_sub_nc_u32 v51, v59, v51 :: v_dual_sub_nc_u32 v54, v57, v54
	v_dual_lshlrev_b32 v59, v55, v37 :: v_dual_lshlrev_b32 v55, 23, v55
	v_min_u32_e32 v58, 32, v58
	v_add_nc_u32_e32 v27, 0x1000000, v14
	v_ashrrev_i32_e32 v28, 8, v28
	v_sub_nc_u32_e64 v56, v56, 4 clamp
	v_lshrrev_b32_e32 v59, 4, v59
	v_sub_nc_u32_e64 v58, v58, 4 clamp
	v_add_nc_u32_e32 v26, 0x3c000000, v26
	v_add_nc_u32_e32 v36, 0x1000000, v19
	v_ashrrev_i32_e32 v27, 8, v27
	v_add_nc_u32_e32 v25, 0x3c000000, v25
	v_dual_sub_nc_u32 v55, v59, v55 :: v_dual_lshlrev_b32 v59, v56, v48
	v_and_or_b32 v26, 0x7f800000, v28, v26
	v_dual_lshlrev_b32 v28, v58, v47 :: v_dual_lshlrev_b32 v58, 23, v58
	v_cmp_ne_u32_e64 s0, 0, v13
	v_add_nc_u32_e32 v35, 0x1000000, v20
	v_and_or_b32 v25, 0x7f800000, v27, v25
	s_delay_alu instid0(VALU_DEP_4)
	v_dual_lshrrev_b32 v59, 4, v59 :: v_dual_lshrrev_b32 v28, 4, v28
	v_ashrrev_i32_e32 v36, 8, v36
	v_add_nc_u32_e32 v34, 0x3c000000, v34
	v_cndmask_b32_e64 v13, 0, v26, s0
	v_cmp_ne_u32_e64 s0, 0, v14
	v_add_nc_u32_e32 v46, 0x1000000, v22
	v_dual_lshlrev_b32 v56, 23, v56 :: v_dual_ashrrev_i32 v35, 8, v35
	v_add_nc_u32_e32 v33, 0x3c000000, v33
	v_sub_nc_u32_e32 v28, v28, v58
	v_and_or_b32 v34, 0x7f800000, v36, v34
	v_cndmask_b32_e64 v14, 0, v25, s0
	v_cmp_ne_u32_e64 s0, 0, v19
	v_add_nc_u32_e32 v43, 0x1000000, v23
	v_add_nc_u32_e32 v45, 0x1000000, v21
	v_sub_nc_u32_e32 v56, v59, v56
	v_and_or_b32 v33, 0x7f800000, v35, v33
	s_delay_alu instid0(VALU_DEP_4)
	v_dual_ashrrev_i32 v46, 8, v46 :: v_dual_ashrrev_i32 v43, 8, v43
	v_add_nc_u32_e32 v41, 0x3c000000, v41
	v_cndmask_b32_e64 v19, 0, v34, s0
	v_cmp_ne_u32_e64 s0, 0, v20
	v_add_nc_u32_e32 v44, 0x1000000, v24
	v_ashrrev_i32_e32 v45, 8, v45
	v_add_nc_u32_e32 v42, 0x3c000000, v42
	v_and_or_b32 v41, 0x7f800000, v46, v41
	v_cndmask_b32_e64 v20, 0, v33, s0
	v_cmp_ne_u32_e64 s0, 0, v22
	v_ashrrev_i32_e32 v44, 8, v44
	v_add_nc_u32_e32 v39, 0x3c000000, v39
	v_and_or_b32 v42, 0x7f800000, v45, v42
	v_add_nc_u32_e32 v59, 0x1000000, v30
	v_cndmask_b32_e64 v22, 0, v41, s0
	v_cmp_ne_u32_e64 s0, 0, v21
	v_add_nc_u32_e32 v40, 0x3c000000, v40
	v_and_or_b32 v39, 0x7f800000, v44, v39
	v_add_nc_u32_e32 v57, 0x1000000, v32
	v_add_nc_u32_e32 v27, 0x1000000, v29
	v_cndmask_b32_e64 v21, 0, v42, s0
	v_cmp_ne_u32_e64 s0, 0, v24
	v_and_or_b32 v40, 0x7f800000, v43, v40
	v_add_nc_u32_e32 v43, 0x1000000, v47
	v_dual_ashrrev_i32 v59, 8, v59 :: v_dual_ashrrev_i32 v57, 8, v57
	v_add_nc_u32_e32 v51, 0x3c000000, v51
	v_cndmask_b32_e64 v24, 0, v39, s0
	v_cmp_ne_u32_e64 s0, 0, v23
	v_add_nc_u32_e32 v53, 0x1000000, v31
	v_add_nc_u32_e32 v36, 0x1000000, v48
	v_ashrrev_i32_e32 v27, 8, v27
	v_ashrrev_i32_e32 v43, 8, v43
	v_add_nc_u32_e32 v52, 0x3c000000, v52
	v_add_nc_u32_e32 v25, 0x3c000000, v28
	v_and_or_b32 v45, 0x7f800000, v59, v51
	v_cndmask_b32_e64 v23, 0, v40, s0
	v_cmp_ne_u32_e64 s0, 0, v30
	v_add_nc_u32_e32 v35, 0x1000000, v37
	v_dual_ashrrev_i32 v53, 8, v53 :: v_dual_ashrrev_i32 v36, 8, v36
	v_add_nc_u32_e32 v49, 0x3c000000, v49
	v_add_nc_u32_e32 v26, 0x3c000000, v56
	v_and_or_b32 v27, 0x7f800000, v27, v52
	v_and_or_b32 v2, 0x80000000, v2, v14
	;; [unrolled: 1-line block ×3, first 2 shown]
	v_cndmask_b32_e64 v25, 0, v45, s0
	v_cmp_ne_u32_e64 s0, 0, v29
	v_add_nc_u32_e32 v58, 0x1000000, v38
	v_ashrrev_i32_e32 v35, 8, v35
	v_add_nc_u32_e32 v50, 0x3c000000, v50
	v_add_nc_u32_e32 v55, 0x3c000000, v55
	v_and_or_b32 v44, 0x7f800000, v57, v49
	v_and_or_b32 v3, 0x80000000, v3, v13
	v_and_or_b32 v13, 0x7f800000, v36, v26
	v_cndmask_b32_e64 v26, 0, v27, s0
	v_cmp_ne_u32_e64 s0, 0, v32
	v_ashrrev_i32_e32 v58, 8, v58
	v_add_nc_u32_e32 v54, 0x3c000000, v54
	v_and_or_b32 v28, 0x7f800000, v53, v50
	v_and_or_b32 v34, 0x7f800000, v35, v55
	v_cndmask_b32_e64 v27, 0, v44, s0
	v_cmp_ne_u32_e64 s0, 0, v31
	v_and_or_b32 v33, 0x7f800000, v58, v54
	v_and_or_b32 v5, 0x80000000, v5, v19
	v_and_or_b32 v4, 0x80000000, v4, v20
	v_and_or_b32 v12, 0x80000000, v12, v21
	v_cndmask_b32_e64 v28, 0, v28, s0
	v_cmp_ne_u32_e64 s0, 0, v37
	v_and_or_b32 v11, 0x80000000, v11, v22
	v_and_or_b32 v10, 0x80000000, v10, v23
	;; [unrolled: 6-line block ×3, first 2 shown]
	s_delay_alu instid0(VALU_DEP_4) | instskip(NEXT) | instid1(VALU_DEP_4)
	v_and_or_b32 v6, 0x80000000, v6, v19
	v_cndmask_b32_e64 v20, 0, v33, s0
	v_cmp_eq_f32_e64 s0, s1, v2
	v_and_or_b32 v16, 0x80000000, v16, v28
	s_delay_alu instid0(VALU_DEP_3) | instskip(NEXT) | instid1(VALU_DEP_3)
	v_and_or_b32 v1, 0x80000000, v1, v20
	v_cndmask_b32_e64 v21, 0, 1, s0
	v_cmp_neq_f32_e64 s0, s1, v2
	s_delay_alu instid0(VALU_DEP_1) | instskip(SKIP_1) | instid1(VALU_DEP_2)
	v_cndmask_b32_e64 v2, 0, 1, s0
	v_cmp_eq_f32_e64 s0, s1, v3
	v_cndmask_b32_e32 v2, v2, v21, vcc_lo
	s_delay_alu instid0(VALU_DEP_2) | instskip(SKIP_1) | instid1(VALU_DEP_3)
	v_cndmask_b32_e64 v22, 0, 1, s0
	v_cmp_neq_f32_e64 s0, s1, v3
	v_and_b32_e32 v2, 1, v2
	s_delay_alu instid0(VALU_DEP_2) | instskip(SKIP_1) | instid1(VALU_DEP_3)
	v_cndmask_b32_e64 v3, 0, 1, s0
	v_cmp_ne_u32_e64 s0, 0, v47
	v_lshlrev_b16 v2, 8, v2
	s_delay_alu instid0(VALU_DEP_3) | instskip(NEXT) | instid1(VALU_DEP_3)
	v_cndmask_b32_e32 v3, v3, v22, vcc_lo
	v_cndmask_b32_e64 v14, 0, v14, s0
	v_cmp_ne_u32_e64 s0, 0, v48
	s_delay_alu instid0(VALU_DEP_1) | instskip(SKIP_1) | instid1(VALU_DEP_4)
	v_cndmask_b32_e64 v13, 0, v13, s0
	v_cmp_eq_f32_e64 s0, s1, v4
	v_and_or_b32 v8, 0x80000000, v8, v14
	s_delay_alu instid0(VALU_DEP_3) | instskip(NEXT) | instid1(VALU_DEP_3)
	v_and_or_b32 v7, 0x80000000, v7, v13
	v_cndmask_b32_e64 v23, 0, 1, s0
	v_cmp_neq_f32_e64 s0, s1, v4
	s_delay_alu instid0(VALU_DEP_1) | instskip(SKIP_1) | instid1(VALU_DEP_2)
	v_cndmask_b32_e64 v4, 0, 1, s0
	v_cmp_eq_f32_e64 s0, s1, v5
	v_cndmask_b32_e32 v4, v4, v23, vcc_lo
	s_delay_alu instid0(VALU_DEP_2) | instskip(SKIP_1) | instid1(VALU_DEP_3)
	v_cndmask_b32_e64 v24, 0, 1, s0
	v_cmp_neq_f32_e64 s0, s1, v5
	v_and_b32_e32 v4, 1, v4
	s_delay_alu instid0(VALU_DEP_2) | instskip(SKIP_1) | instid1(VALU_DEP_3)
	v_cndmask_b32_e64 v5, 0, 1, s0
	v_cmp_eq_f32_e64 s0, s1, v10
	v_lshlrev_b16 v4, 8, v4
	s_delay_alu instid0(VALU_DEP_3) | instskip(NEXT) | instid1(VALU_DEP_3)
	v_cndmask_b32_e32 v5, v5, v24, vcc_lo
	v_cndmask_b32_e64 v19, 0, 1, s0
	v_cmp_neq_f32_e64 s0, s1, v10
	s_delay_alu instid0(VALU_DEP_1) | instskip(SKIP_1) | instid1(VALU_DEP_2)
	v_cndmask_b32_e64 v10, 0, 1, s0
	v_cmp_eq_f32_e64 s0, s1, v9
	v_cndmask_b32_e32 v10, v10, v19, vcc_lo
	s_delay_alu instid0(VALU_DEP_2) | instskip(SKIP_1) | instid1(VALU_DEP_3)
	v_cndmask_b32_e64 v20, 0, 1, s0
	v_cmp_neq_f32_e64 s0, s1, v9
	v_bitop3_b16 v2, v10, v2, 1 bitop3:0xec
	v_and_b32_e32 v3, 1, v3
	s_delay_alu instid0(VALU_DEP_3) | instskip(SKIP_1) | instid1(VALU_DEP_4)
	v_cndmask_b32_e64 v9, 0, 1, s0
	v_cmp_eq_f32_e64 s0, s1, v12
	v_lshlrev_b32_e32 v2, 16, v2
	s_delay_alu instid0(VALU_DEP_4) | instskip(NEXT) | instid1(VALU_DEP_4)
	v_lshlrev_b16 v3, 8, v3
	v_cndmask_b32_e32 v9, v9, v20, vcc_lo
	s_delay_alu instid0(VALU_DEP_4) | instskip(SKIP_1) | instid1(VALU_DEP_1)
	v_cndmask_b32_e64 v25, 0, 1, s0
	v_cmp_neq_f32_e64 s0, s1, v12
	v_cndmask_b32_e64 v12, 0, 1, s0
	v_cmp_eq_f32_e64 s0, s1, v11
	s_delay_alu instid0(VALU_DEP_2) | instskip(NEXT) | instid1(VALU_DEP_2)
	v_cndmask_b32_e32 v12, v12, v25, vcc_lo
	v_cndmask_b32_e64 v26, 0, 1, s0
	v_cmp_neq_f32_e64 s0, s1, v11
	s_delay_alu instid0(VALU_DEP_3) | instskip(NEXT) | instid1(VALU_DEP_2)
	v_bitop3_b16 v3, v12, v3, 1 bitop3:0xec
	v_cndmask_b32_e64 v11, 0, 1, s0
	v_cmp_eq_f32_e64 s0, s1, v16
	s_delay_alu instid0(VALU_DEP_2) | instskip(NEXT) | instid1(VALU_DEP_2)
	v_dual_lshlrev_b32 v3, 16, v3 :: v_dual_cndmask_b32 v11, v11, v26, vcc_lo
	v_cndmask_b32_e64 v13, 0, 1, s0
	v_cmp_neq_f32_e64 s0, s1, v16
	s_delay_alu instid0(VALU_DEP_1) | instskip(SKIP_1) | instid1(VALU_DEP_2)
	v_cndmask_b32_e64 v14, 0, 1, s0
	v_cmp_eq_f32_e64 s0, s1, v15
	v_cndmask_b32_e32 v13, v14, v13, vcc_lo
	s_delay_alu instid0(VALU_DEP_2) | instskip(SKIP_1) | instid1(VALU_DEP_3)
	v_cndmask_b32_e64 v16, 0, 1, s0
	v_cmp_neq_f32_e64 s0, s1, v15
	v_bitop3_b16 v4, v13, v4, 1 bitop3:0xec
	v_and_b32_e32 v5, 1, v5
	s_delay_alu instid0(VALU_DEP_3) | instskip(SKIP_1) | instid1(VALU_DEP_4)
	v_cndmask_b32_e64 v15, 0, 1, s0
	v_cmp_eq_f32_e64 s0, s1, v18
	v_lshlrev_b32_e32 v4, 16, v4
	s_delay_alu instid0(VALU_DEP_4) | instskip(NEXT) | instid1(VALU_DEP_4)
	v_lshlrev_b16 v5, 8, v5
	v_cndmask_b32_e32 v14, v15, v16, vcc_lo
	s_delay_alu instid0(VALU_DEP_4) | instskip(SKIP_1) | instid1(VALU_DEP_1)
	v_cndmask_b32_e64 v27, 0, 1, s0
	v_cmp_neq_f32_e64 s0, s1, v18
	v_cndmask_b32_e64 v18, 0, 1, s0
	v_cmp_eq_f32_e64 s0, s1, v17
	s_delay_alu instid0(VALU_DEP_2) | instskip(NEXT) | instid1(VALU_DEP_2)
	v_cndmask_b32_e32 v16, v18, v27, vcc_lo
	v_cndmask_b32_e64 v28, 0, 1, s0
	v_cmp_neq_f32_e64 s0, s1, v17
	s_delay_alu instid0(VALU_DEP_3) | instskip(NEXT) | instid1(VALU_DEP_2)
	v_bitop3_b16 v5, v16, v5, 1 bitop3:0xec
	v_cndmask_b32_e64 v17, 0, 1, s0
	v_cmp_eq_f32_e64 s0, s1, v1
	s_delay_alu instid0(VALU_DEP_2) | instskip(NEXT) | instid1(VALU_DEP_2)
	v_dual_lshlrev_b32 v5, 16, v5 :: v_dual_cndmask_b32 v17, v17, v28, vcc_lo
	v_cndmask_b32_e64 v19, 0, 1, s0
	v_cmp_neq_f32_e64 s0, s1, v1
	s_delay_alu instid0(VALU_DEP_1) | instskip(SKIP_1) | instid1(VALU_DEP_2)
	v_cndmask_b32_e64 v1, 0, 1, s0
	v_cmp_eq_f32_e64 s0, s1, v6
	v_cndmask_b32_e32 v1, v1, v19, vcc_lo
	s_delay_alu instid0(VALU_DEP_2) | instskip(SKIP_1) | instid1(VALU_DEP_3)
	v_cndmask_b32_e64 v20, 0, 1, s0
	v_cmp_neq_f32_e64 s0, s1, v6
	v_and_b32_e32 v1, 1, v1
	s_delay_alu instid0(VALU_DEP_2) | instskip(SKIP_1) | instid1(VALU_DEP_3)
	v_cndmask_b32_e64 v6, 0, 1, s0
	v_cmp_eq_f32_e64 s0, s1, v7
	v_lshlrev_b16 v1, 8, v1
	s_delay_alu instid0(VALU_DEP_3) | instskip(NEXT) | instid1(VALU_DEP_3)
	v_cndmask_b32_e32 v6, v6, v20, vcc_lo
	v_cndmask_b32_e64 v15, 0, 1, s0
	v_cmp_neq_f32_e64 s0, s1, v7
	s_delay_alu instid0(VALU_DEP_4) | instskip(NEXT) | instid1(VALU_DEP_4)
	v_bitop3_b16 v1, v9, v1, 1 bitop3:0xec
	v_and_b32_e32 v6, 1, v6
	s_delay_alu instid0(VALU_DEP_3) | instskip(SKIP_1) | instid1(VALU_DEP_4)
	v_cndmask_b32_e64 v7, 0, 1, s0
	v_cmp_eq_f32_e64 s0, s1, v8
	v_and_b32_e32 v1, 0xffff, v1
	s_delay_alu instid0(VALU_DEP_4) | instskip(NEXT) | instid1(VALU_DEP_4)
	v_lshlrev_b16 v6, 8, v6
	v_cndmask_b32_e32 v7, v7, v15, vcc_lo
	s_delay_alu instid0(VALU_DEP_4) | instskip(SKIP_1) | instid1(VALU_DEP_4)
	v_cndmask_b32_e64 v18, 0, 1, s0
	v_cmp_neq_f32_e64 s0, s1, v8
	v_bitop3_b16 v6, v11, v6, 1 bitop3:0xec
	v_or_b32_e32 v2, v1, v2
	v_and_b32_e32 v7, 1, v7
	s_delay_alu instid0(VALU_DEP_4) | instskip(NEXT) | instid1(VALU_DEP_4)
	v_cndmask_b32_e64 v8, 0, 1, s0
	v_and_b32_e32 v6, 0xffff, v6
	s_mov_b32 s0, 0
	s_delay_alu instid0(VALU_DEP_3) | instskip(NEXT) | instid1(VALU_DEP_2)
	v_lshlrev_b16 v7, 8, v7
	v_dual_cndmask_b32 v8, v8, v18, vcc_lo :: v_dual_bitop2_b32 v3, v6, v3 bitop3:0x54
	s_delay_alu instid0(VALU_DEP_2) | instskip(NEXT) | instid1(VALU_DEP_2)
	v_bitop3_b16 v7, v14, v7, 1 bitop3:0xec
	v_and_b32_e32 v8, 1, v8
	s_delay_alu instid0(VALU_DEP_2) | instskip(NEXT) | instid1(VALU_DEP_2)
	v_and_b32_e32 v7, 0xffff, v7
	v_lshlrev_b16 v8, 8, v8
	s_delay_alu instid0(VALU_DEP_2) | instskip(NEXT) | instid1(VALU_DEP_2)
	v_or_b32_e32 v4, v7, v4
	v_bitop3_b16 v8, v17, v8, 1 bitop3:0xec
	s_delay_alu instid0(VALU_DEP_1) | instskip(NEXT) | instid1(VALU_DEP_1)
	v_and_b32_e32 v8, 0xffff, v8
	v_or_b32_e32 v5, v8, v5
	global_store_b128 v0, v[2:5], s[12:13] scale_offset
.LBB277_2:
	s_and_not1_b32 vcc_lo, exec_lo, s0
	s_cbranch_vccnz .LBB277_83
; %bb.3:
	v_cmp_gt_i32_e32 vcc_lo, s8, v0
	s_wait_xcnt 0x0
	v_dual_mov_b32 v11, 0 :: v_dual_mov_b32 v2, 0
	v_dual_mov_b32 v10, 0 :: v_dual_bitop2_b32 v8, s2, v0 bitop3:0x54
	v_or_b32_e32 v9, 0x100, v0
	v_dual_mov_b32 v12, 0 :: v_dual_mov_b32 v13, 0
	v_dual_mov_b32 v14, 0 :: v_dual_mov_b32 v15, 0
	v_dual_mov_b32 v16, 0 :: v_dual_mov_b32 v17, 0
	v_dual_mov_b32 v18, 0 :: v_dual_mov_b32 v19, 0
	v_dual_mov_b32 v20, 0 :: v_dual_mov_b32 v21, 0
	v_dual_mov_b32 v6, 0 :: v_dual_mov_b32 v5, 0
	v_dual_mov_b32 v22, 0 :: v_dual_mov_b32 v23, 0
	s_and_saveexec_b32 s1, vcc_lo
	s_cbranch_execz .LBB277_35
; %bb.4:
	global_load_u8 v23, v8, s[6:7]
	v_or_b32_e32 v1, 0x100, v0
	v_dual_mov_b32 v10, 0 :: v_dual_mov_b32 v22, 0
	v_dual_mov_b32 v5, 0 :: v_dual_mov_b32 v6, 0
	;; [unrolled: 1-line block ×7, first 2 shown]
	v_mov_b32_e32 v11, 0
	s_mov_b32 s3, exec_lo
	s_wait_xcnt 0x0
	v_cmpx_gt_u32_e64 s8, v1
	s_cbranch_execz .LBB277_34
; %bb.5:
	v_dual_mov_b32 v5, 0 :: v_dual_add_nc_u32 v4, s2, v0
	v_or_b32_e32 v1, 0x200, v0
	v_dual_mov_b32 v6, 0 :: v_dual_mov_b32 v21, 0
	global_load_u8 v22, v4, s[6:7] offset:256
	v_dual_mov_b32 v20, 0 :: v_dual_mov_b32 v19, 0
	v_dual_mov_b32 v18, 0 :: v_dual_mov_b32 v17, 0
	;; [unrolled: 1-line block ×5, first 2 shown]
	v_mov_b32_e32 v10, 0
	s_mov_b32 s11, exec_lo
	s_wait_xcnt 0x0
	v_cmpx_gt_u32_e64 s8, v1
	s_cbranch_execz .LBB277_33
; %bb.6:
	v_add_nc_u64_e32 v[6:7], s[6:7], v[4:5]
	v_or_b32_e32 v3, 0x300, v0
	v_dual_mov_b32 v21, 0 :: v_dual_mov_b32 v20, 0
	v_dual_mov_b32 v19, 0 :: v_dual_mov_b32 v18, 0
	;; [unrolled: 1-line block ×3, first 2 shown]
	global_load_u8 v1, v[6:7], off offset:512
	v_dual_mov_b32 v15, 0 :: v_dual_mov_b32 v14, 0
	v_dual_mov_b32 v13, 0 :: v_dual_mov_b32 v12, 0
	;; [unrolled: 1-line block ×3, first 2 shown]
	s_mov_b32 s6, exec_lo
	s_wait_xcnt 0x0
	v_cmpx_gt_u32_e64 s8, v3
	s_cbranch_execz .LBB277_32
; %bb.7:
	global_load_u8 v5, v[6:7], off offset:768
	v_or_b32_e32 v3, 0x400, v0
	v_dual_mov_b32 v10, 0 :: v_dual_mov_b32 v21, 0
	v_dual_mov_b32 v20, 0 :: v_dual_mov_b32 v19, 0
	;; [unrolled: 1-line block ×6, first 2 shown]
	s_mov_b32 s7, exec_lo
	s_wait_xcnt 0x0
	v_cmpx_gt_u32_e64 s8, v3
	s_cbranch_execz .LBB277_31
; %bb.8:
	global_load_u8 v21, v[6:7], off offset:1024
	v_or_b32_e32 v3, 0x500, v0
	v_dual_mov_b32 v10, 0 :: v_dual_mov_b32 v20, 0
	v_dual_mov_b32 v19, 0 :: v_dual_mov_b32 v18, 0
	;; [unrolled: 1-line block ×5, first 2 shown]
	v_mov_b32_e32 v11, 0
	s_mov_b32 s12, exec_lo
	s_wait_xcnt 0x0
	v_cmpx_gt_u32_e64 s8, v3
	s_cbranch_execz .LBB277_30
; %bb.9:
	global_load_u8 v20, v[6:7], off offset:1280
	v_or_b32_e32 v3, 0x600, v0
	v_dual_mov_b32 v10, 0 :: v_dual_mov_b32 v19, 0
	v_dual_mov_b32 v18, 0 :: v_dual_mov_b32 v17, 0
	;; [unrolled: 1-line block ×5, first 2 shown]
	s_mov_b32 s13, exec_lo
	s_wait_xcnt 0x0
	v_cmpx_gt_u32_e64 s8, v3
	s_cbranch_execz .LBB277_29
; %bb.10:
	global_load_u8 v19, v[6:7], off offset:1536
	v_or_b32_e32 v3, 0x700, v0
	v_dual_mov_b32 v10, 0 :: v_dual_mov_b32 v18, 0
	v_dual_mov_b32 v17, 0 :: v_dual_mov_b32 v16, 0
	;; [unrolled: 1-line block ×4, first 2 shown]
	v_mov_b32_e32 v11, 0
	s_mov_b32 s14, exec_lo
	s_wait_xcnt 0x0
	v_cmpx_gt_u32_e64 s8, v3
	s_cbranch_execz .LBB277_28
; %bb.11:
	global_load_u8 v18, v[6:7], off offset:1792
	v_or_b32_e32 v3, 0x800, v0
	v_dual_mov_b32 v10, 0 :: v_dual_mov_b32 v17, 0
	v_dual_mov_b32 v16, 0 :: v_dual_mov_b32 v15, 0
	;; [unrolled: 1-line block ×4, first 2 shown]
	s_mov_b32 s15, exec_lo
	s_wait_xcnt 0x0
	v_cmpx_gt_u32_e64 s8, v3
	s_cbranch_execz .LBB277_27
; %bb.12:
	global_load_u8 v17, v[6:7], off offset:2048
	v_or_b32_e32 v3, 0x900, v0
	v_dual_mov_b32 v10, 0 :: v_dual_mov_b32 v16, 0
	v_dual_mov_b32 v15, 0 :: v_dual_mov_b32 v14, 0
	;; [unrolled: 1-line block ×3, first 2 shown]
	v_mov_b32_e32 v11, 0
	s_mov_b32 s16, exec_lo
	s_wait_xcnt 0x0
	v_cmpx_gt_u32_e64 s8, v3
	s_cbranch_execz .LBB277_26
; %bb.13:
	global_load_u8 v16, v[6:7], off offset:2304
	v_or_b32_e32 v3, 0xa00, v0
	v_dual_mov_b32 v10, 0 :: v_dual_mov_b32 v15, 0
	v_dual_mov_b32 v14, 0 :: v_dual_mov_b32 v13, 0
	;; [unrolled: 1-line block ×3, first 2 shown]
	s_mov_b32 s17, exec_lo
	s_wait_xcnt 0x0
	v_cmpx_gt_u32_e64 s8, v3
	s_cbranch_execz .LBB277_25
; %bb.14:
	global_load_u8 v15, v[6:7], off offset:2560
	v_or_b32_e32 v3, 0xb00, v0
	v_dual_mov_b32 v10, 0 :: v_dual_mov_b32 v14, 0
	v_dual_mov_b32 v13, 0 :: v_dual_mov_b32 v12, 0
	v_mov_b32_e32 v11, 0
	s_mov_b32 s18, exec_lo
	s_wait_xcnt 0x0
	v_cmpx_gt_u32_e64 s8, v3
	s_cbranch_execz .LBB277_24
; %bb.15:
	global_load_u8 v14, v[6:7], off offset:2816
	v_or_b32_e32 v3, 0xc00, v0
	v_dual_mov_b32 v10, 0 :: v_dual_mov_b32 v13, 0
	v_dual_mov_b32 v12, 0 :: v_dual_mov_b32 v11, 0
	s_mov_b32 s19, exec_lo
	s_wait_xcnt 0x0
	v_cmpx_gt_u32_e64 s8, v3
	s_cbranch_execz .LBB277_23
; %bb.16:
	global_load_u8 v13, v[6:7], off offset:3072
	v_or_b32_e32 v3, 0xd00, v0
	v_dual_mov_b32 v10, 0 :: v_dual_mov_b32 v12, 0
	v_mov_b32_e32 v11, 0
	s_mov_b32 s20, exec_lo
	s_wait_xcnt 0x0
	v_cmpx_gt_u32_e64 s8, v3
	s_cbranch_execz .LBB277_22
; %bb.17:
	global_load_u8 v12, v[6:7], off offset:3328
	v_or_b32_e32 v3, 0xe00, v0
	v_dual_mov_b32 v10, 0 :: v_dual_mov_b32 v11, 0
	s_mov_b32 s21, exec_lo
	s_wait_xcnt 0x0
	s_delay_alu instid0(VALU_DEP_2)
	v_cmpx_gt_u32_e64 s8, v3
	s_cbranch_execz .LBB277_21
; %bb.18:
	global_load_u8 v11, v[6:7], off offset:3584
	v_or_b32_e32 v3, 0xf00, v0
	v_mov_b32_e32 v10, 0
	s_mov_b32 s22, exec_lo
	s_wait_xcnt 0x0
	s_delay_alu instid0(VALU_DEP_2)
	v_cmpx_gt_u32_e64 s8, v3
	s_cbranch_execz .LBB277_20
; %bb.19:
	global_load_u8 v3, v[6:7], off offset:3840
	s_wait_loadcnt 0x0
	v_lshlrev_b32_e32 v10, 24, v3
.LBB277_20:
	s_wait_xcnt 0x0
	s_or_b32 exec_lo, exec_lo, s22
.LBB277_21:
	s_delay_alu instid0(SALU_CYCLE_1)
	s_or_b32 exec_lo, exec_lo, s21
.LBB277_22:
	s_delay_alu instid0(SALU_CYCLE_1)
	s_or_b32 exec_lo, exec_lo, s20
.LBB277_23:
	s_delay_alu instid0(SALU_CYCLE_1)
	s_or_b32 exec_lo, exec_lo, s19
.LBB277_24:
	s_delay_alu instid0(SALU_CYCLE_1)
	s_or_b32 exec_lo, exec_lo, s18
.LBB277_25:
	s_delay_alu instid0(SALU_CYCLE_1)
	s_or_b32 exec_lo, exec_lo, s17
.LBB277_26:
	s_delay_alu instid0(SALU_CYCLE_1)
	s_or_b32 exec_lo, exec_lo, s16
.LBB277_27:
	s_delay_alu instid0(SALU_CYCLE_1)
	s_or_b32 exec_lo, exec_lo, s15
.LBB277_28:
	s_delay_alu instid0(SALU_CYCLE_1)
	s_or_b32 exec_lo, exec_lo, s14
.LBB277_29:
	s_delay_alu instid0(SALU_CYCLE_1)
	s_or_b32 exec_lo, exec_lo, s13
.LBB277_30:
	s_delay_alu instid0(SALU_CYCLE_1)
	s_or_b32 exec_lo, exec_lo, s12
.LBB277_31:
	s_delay_alu instid0(SALU_CYCLE_1)
	s_or_b32 exec_lo, exec_lo, s7
.LBB277_32:
	s_delay_alu instid0(SALU_CYCLE_1)
	s_or_b32 exec_lo, exec_lo, s6
	s_wait_loadcnt 0x0
	v_dual_mov_b32 v6, v5 :: v_dual_mov_b32 v5, v1
.LBB277_33:
	s_or_b32 exec_lo, exec_lo, s11
.LBB277_34:
	s_delay_alu instid0(SALU_CYCLE_1)
	s_or_b32 exec_lo, exec_lo, s3
.LBB277_35:
	s_delay_alu instid0(SALU_CYCLE_1)
	s_or_b32 exec_lo, exec_lo, s1
	s_cmp_eq_u32 s9, 0
	v_mov_b32_e32 v3, v2
	s_cselect_b32 s0, -1, 0
	s_lshl_b32 s1, s10, 24
	v_mov_b32_e32 v4, v2
	s_and_b32 s3, s1, 0x7f000000
	s_and_b32 s1, s1, 0x80000000
	s_clz_i32_u32 s6, s3
	s_add_co_i32 s7, s3, 0x1000000
	s_min_u32 s6, s6, 32
	s_ashr_i32 s7, s7, 8
	v_sub_nc_u32_e64 v1, s6, 4 clamp
	s_and_b32 s7, s7, 0x7f800000
	s_delay_alu instid0(VALU_DEP_1) | instskip(SKIP_4) | instid1(SALU_CYCLE_1)
	v_readfirstlane_b32 s6, v1
	v_mov_b32_e32 v1, v2
	s_lshl_b32 s9, s3, s6
	s_lshl_b32 s6, s6, 23
	s_lshr_b32 s9, s9, 4
	s_sub_co_i32 s6, s9, s6
	s_delay_alu instid0(SALU_CYCLE_1) | instskip(NEXT) | instid1(SALU_CYCLE_1)
	s_add_co_i32 s6, s6, 0x3c000000
	s_or_b32 s6, s6, s7
	s_cmp_lg_u32 s3, 0
	s_cselect_b32 s3, s6, 0
	s_delay_alu instid0(SALU_CYCLE_1)
	s_or_b32 s3, s3, s1
	s_and_saveexec_b32 s6, vcc_lo
	s_cbranch_execz .LBB277_37
; %bb.36:
	s_wait_loadcnt 0x0
	v_lshlrev_b32_e32 v1, 24, v23
	s_delay_alu instid0(VALU_DEP_1) | instskip(NEXT) | instid1(VALU_DEP_1)
	v_and_b32_e32 v2, 0x7f000000, v1
	v_clz_i32_u32_e32 v3, v2
	v_add_nc_u32_e32 v7, 0x1000000, v2
	v_cmp_ne_u32_e64 s1, 0, v2
	s_delay_alu instid0(VALU_DEP_3) | instskip(NEXT) | instid1(VALU_DEP_1)
	v_min_u32_e32 v3, 32, v3
	v_sub_nc_u32_e64 v3, v3, 4 clamp
	s_delay_alu instid0(VALU_DEP_1) | instskip(NEXT) | instid1(VALU_DEP_1)
	v_dual_lshlrev_b32 v4, v3, v2 :: v_dual_lshlrev_b32 v3, 23, v3
	v_lshrrev_b32_e32 v4, 4, v4
	s_delay_alu instid0(VALU_DEP_1) | instskip(SKIP_1) | instid1(VALU_DEP_2)
	v_sub_nc_u32_e32 v3, v4, v3
	v_ashrrev_i32_e32 v4, 8, v7
	v_add_nc_u32_e32 v3, 0x3c000000, v3
	s_delay_alu instid0(VALU_DEP_1) | instskip(NEXT) | instid1(VALU_DEP_1)
	v_and_or_b32 v3, 0x7f800000, v4, v3
	v_cndmask_b32_e64 v2, 0, v3, s1
	s_delay_alu instid0(VALU_DEP_1) | instskip(NEXT) | instid1(VALU_DEP_1)
	v_and_or_b32 v1, 0x80000000, v1, v2
	v_cmp_eq_f32_e64 s1, s3, v1
	s_delay_alu instid0(VALU_DEP_1) | instskip(SKIP_1) | instid1(VALU_DEP_1)
	v_cndmask_b32_e64 v2, 0, 1, s1
	v_cmp_neq_f32_e64 s1, s3, v1
	v_cndmask_b32_e64 v1, 0, 1, s1
	s_delay_alu instid0(VALU_DEP_1) | instskip(NEXT) | instid1(VALU_DEP_1)
	v_dual_cndmask_b32 v2, v1, v2, s0 :: v_dual_mov_b32 v1, 0
	v_dual_mov_b32 v4, v1 :: v_dual_bitop2_b32 v2, 1, v2 bitop3:0x40
	v_mov_b32_e32 v3, v1
	s_delay_alu instid0(VALU_DEP_2)
	v_and_b32_e32 v2, 0xffff, v2
.LBB277_37:
	s_or_b32 exec_lo, exec_lo, s6
	s_delay_alu instid0(SALU_CYCLE_1)
	s_mov_b32 s6, exec_lo
	v_cmpx_gt_i32_e64 s8, v9
	s_cbranch_execz .LBB277_39
; %bb.38:
	s_wait_loadcnt 0x0
	v_lshlrev_b32_e32 v7, 24, v22
	s_delay_alu instid0(VALU_DEP_1) | instskip(NEXT) | instid1(VALU_DEP_1)
	v_and_b32_e32 v22, 0x7f000000, v7
	v_clz_i32_u32_e32 v23, v22
	v_add_nc_u32_e32 v25, 0x1000000, v22
	v_cmp_ne_u32_e64 s1, 0, v22
	s_delay_alu instid0(VALU_DEP_3) | instskip(NEXT) | instid1(VALU_DEP_1)
	v_min_u32_e32 v23, 32, v23
	v_sub_nc_u32_e64 v23, v23, 4 clamp
	s_delay_alu instid0(VALU_DEP_1) | instskip(NEXT) | instid1(VALU_DEP_1)
	v_dual_lshlrev_b32 v24, v23, v22 :: v_dual_lshlrev_b32 v23, 23, v23
	v_lshrrev_b32_e32 v24, 4, v24
	s_delay_alu instid0(VALU_DEP_1) | instskip(NEXT) | instid1(VALU_DEP_1)
	v_dual_sub_nc_u32 v23, v24, v23 :: v_dual_ashrrev_i32 v24, 8, v25
	v_add_nc_u32_e32 v23, 0x3c000000, v23
	s_delay_alu instid0(VALU_DEP_1) | instskip(NEXT) | instid1(VALU_DEP_1)
	v_and_or_b32 v23, 0x7f800000, v24, v23
	v_cndmask_b32_e64 v22, 0, v23, s1
	s_delay_alu instid0(VALU_DEP_1) | instskip(NEXT) | instid1(VALU_DEP_1)
	v_and_or_b32 v7, 0x80000000, v7, v22
	v_cmp_eq_f32_e64 s1, s3, v7
	s_delay_alu instid0(VALU_DEP_1) | instskip(SKIP_1) | instid1(VALU_DEP_1)
	v_cndmask_b32_e64 v22, 0, 1, s1
	v_cmp_neq_f32_e64 s1, s3, v7
	v_cndmask_b32_e64 v7, 0, 1, s1
	s_delay_alu instid0(VALU_DEP_1) | instskip(NEXT) | instid1(VALU_DEP_1)
	v_cndmask_b32_e64 v7, v7, v22, s0
	v_and_b32_e32 v7, 1, v7
	s_delay_alu instid0(VALU_DEP_1) | instskip(NEXT) | instid1(VALU_DEP_1)
	v_lshlrev_b16 v7, 8, v7
	v_bitop3_b16 v7, v2, v7, 0xff bitop3:0xec
	s_delay_alu instid0(VALU_DEP_1) | instskip(NEXT) | instid1(VALU_DEP_1)
	v_and_b32_e32 v7, 0xffff, v7
	v_and_or_b32 v2, 0xffff0000, v2, v7
.LBB277_39:
	s_or_b32 exec_lo, exec_lo, s6
	v_or_b32_e32 v7, 0x200, v0
	s_mov_b32 s6, exec_lo
	s_delay_alu instid0(VALU_DEP_1)
	v_cmpx_gt_i32_e64 s8, v7
	s_cbranch_execz .LBB277_41
; %bb.40:
	v_lshlrev_b32_e32 v5, 24, v5
	s_delay_alu instid0(VALU_DEP_1) | instskip(SKIP_1) | instid1(VALU_DEP_1)
	v_and_b32_e32 v7, 0x7f000000, v5
	s_wait_loadcnt 0x0
	v_clz_i32_u32_e32 v22, v7
	v_add_nc_u32_e32 v24, 0x1000000, v7
	v_cmp_ne_u32_e64 s1, 0, v7
	s_delay_alu instid0(VALU_DEP_3) | instskip(NEXT) | instid1(VALU_DEP_1)
	v_min_u32_e32 v22, 32, v22
	v_sub_nc_u32_e64 v22, v22, 4 clamp
	s_delay_alu instid0(VALU_DEP_1) | instskip(NEXT) | instid1(VALU_DEP_1)
	v_dual_lshlrev_b32 v23, v22, v7 :: v_dual_lshlrev_b32 v22, 23, v22
	v_lshrrev_b32_e32 v23, 4, v23
	s_delay_alu instid0(VALU_DEP_1) | instskip(NEXT) | instid1(VALU_DEP_1)
	v_dual_sub_nc_u32 v22, v23, v22 :: v_dual_ashrrev_i32 v23, 8, v24
	v_add_nc_u32_e32 v22, 0x3c000000, v22
	s_delay_alu instid0(VALU_DEP_1) | instskip(NEXT) | instid1(VALU_DEP_1)
	v_and_or_b32 v22, 0x7f800000, v23, v22
	v_cndmask_b32_e64 v7, 0, v22, s1
	s_delay_alu instid0(VALU_DEP_1) | instskip(SKIP_1) | instid1(VALU_DEP_2)
	v_and_or_b32 v5, 0x80000000, v5, v7
	v_lshrrev_b32_e32 v7, 16, v2
	v_cmp_eq_f32_e64 s1, s3, v5
	s_delay_alu instid0(VALU_DEP_2) | instskip(NEXT) | instid1(VALU_DEP_2)
	v_and_b32_e32 v7, 0xffffff00, v7
	v_cndmask_b32_e64 v22, 0, 1, s1
	v_cmp_neq_f32_e64 s1, s3, v5
	s_delay_alu instid0(VALU_DEP_1) | instskip(NEXT) | instid1(VALU_DEP_1)
	v_cndmask_b32_e64 v5, 0, 1, s1
	v_cndmask_b32_e64 v5, v5, v22, s0
	s_delay_alu instid0(VALU_DEP_1) | instskip(NEXT) | instid1(VALU_DEP_1)
	v_bitop3_b16 v5, v5, v7, 1 bitop3:0xec
	v_lshlrev_b32_e32 v5, 16, v5
	s_delay_alu instid0(VALU_DEP_1)
	v_and_or_b32 v2, 0xffff, v2, v5
.LBB277_41:
	s_or_b32 exec_lo, exec_lo, s6
	v_or_b32_e32 v5, 0x300, v0
	s_mov_b32 s6, exec_lo
	s_delay_alu instid0(VALU_DEP_1)
	v_cmpx_gt_i32_e64 s8, v5
	s_cbranch_execz .LBB277_43
; %bb.42:
	v_lshlrev_b32_e32 v5, 24, v6
	s_delay_alu instid0(VALU_DEP_1) | instskip(NEXT) | instid1(VALU_DEP_1)
	v_and_b32_e32 v6, 0x7f000000, v5
	v_clz_i32_u32_e32 v7, v6
	s_wait_loadcnt 0x0
	v_add_nc_u32_e32 v23, 0x1000000, v6
	v_cmp_ne_u32_e64 s1, 0, v6
	s_delay_alu instid0(VALU_DEP_3) | instskip(NEXT) | instid1(VALU_DEP_1)
	v_min_u32_e32 v7, 32, v7
	v_sub_nc_u32_e64 v7, v7, 4 clamp
	s_delay_alu instid0(VALU_DEP_1) | instskip(NEXT) | instid1(VALU_DEP_1)
	v_dual_lshlrev_b32 v22, v7, v6 :: v_dual_lshlrev_b32 v7, 23, v7
	v_lshrrev_b32_e32 v22, 4, v22
	s_delay_alu instid0(VALU_DEP_1) | instskip(SKIP_1) | instid1(VALU_DEP_2)
	v_sub_nc_u32_e32 v7, v22, v7
	v_ashrrev_i32_e32 v22, 8, v23
	v_add_nc_u32_e32 v7, 0x3c000000, v7
	s_delay_alu instid0(VALU_DEP_1) | instskip(NEXT) | instid1(VALU_DEP_1)
	v_and_or_b32 v7, 0x7f800000, v22, v7
	v_cndmask_b32_e64 v6, 0, v7, s1
	s_delay_alu instid0(VALU_DEP_1) | instskip(NEXT) | instid1(VALU_DEP_1)
	v_and_or_b32 v5, 0x80000000, v5, v6
	v_cmp_eq_f32_e64 s1, s3, v5
	s_delay_alu instid0(VALU_DEP_1) | instskip(SKIP_1) | instid1(VALU_DEP_1)
	v_cndmask_b32_e64 v6, 0, 1, s1
	v_cmp_neq_f32_e64 s1, s3, v5
	v_cndmask_b32_e64 v5, 0, 1, s1
	s_delay_alu instid0(VALU_DEP_1) | instskip(NEXT) | instid1(VALU_DEP_1)
	v_cndmask_b32_e64 v5, v5, v6, s0
	v_dual_lshrrev_b32 v6, 16, v2 :: v_dual_bitop2_b32 v5, 1, v5 bitop3:0x40
	s_delay_alu instid0(VALU_DEP_1) | instskip(NEXT) | instid1(VALU_DEP_1)
	v_lshlrev_b16 v5, 8, v5
	v_bitop3_b16 v5, v6, v5, 0xff bitop3:0xec
	s_delay_alu instid0(VALU_DEP_1) | instskip(NEXT) | instid1(VALU_DEP_1)
	v_lshlrev_b32_e32 v5, 16, v5
	v_and_or_b32 v2, 0xffff, v2, v5
.LBB277_43:
	s_or_b32 exec_lo, exec_lo, s6
	v_or_b32_e32 v5, 0x400, v0
	s_mov_b32 s6, exec_lo
	s_delay_alu instid0(VALU_DEP_1)
	v_cmpx_gt_i32_e64 s8, v5
	s_cbranch_execz .LBB277_45
; %bb.44:
	v_lshlrev_b32_e32 v5, 24, v21
	s_delay_alu instid0(VALU_DEP_1) | instskip(NEXT) | instid1(VALU_DEP_1)
	v_and_b32_e32 v6, 0x7f000000, v5
	v_clz_i32_u32_e32 v7, v6
	s_wait_loadcnt 0x0
	v_add_nc_u32_e32 v22, 0x1000000, v6
	v_cmp_ne_u32_e64 s1, 0, v6
	s_delay_alu instid0(VALU_DEP_3) | instskip(NEXT) | instid1(VALU_DEP_1)
	v_min_u32_e32 v7, 32, v7
	v_sub_nc_u32_e64 v7, v7, 4 clamp
	s_delay_alu instid0(VALU_DEP_1) | instskip(NEXT) | instid1(VALU_DEP_1)
	v_dual_lshlrev_b32 v21, v7, v6 :: v_dual_lshlrev_b32 v7, 23, v7
	v_lshrrev_b32_e32 v21, 4, v21
	s_delay_alu instid0(VALU_DEP_1) | instskip(NEXT) | instid1(VALU_DEP_1)
	v_dual_sub_nc_u32 v7, v21, v7 :: v_dual_ashrrev_i32 v21, 8, v22
	v_add_nc_u32_e32 v7, 0x3c000000, v7
	s_delay_alu instid0(VALU_DEP_1) | instskip(NEXT) | instid1(VALU_DEP_1)
	v_and_or_b32 v7, 0x7f800000, v21, v7
	v_cndmask_b32_e64 v6, 0, v7, s1
	v_and_b32_e32 v7, 0xffffff00, v1
	s_delay_alu instid0(VALU_DEP_2) | instskip(NEXT) | instid1(VALU_DEP_1)
	v_and_or_b32 v5, 0x80000000, v5, v6
	v_cmp_eq_f32_e64 s1, s3, v5
	s_delay_alu instid0(VALU_DEP_1) | instskip(SKIP_1) | instid1(VALU_DEP_1)
	v_cndmask_b32_e64 v6, 0, 1, s1
	v_cmp_neq_f32_e64 s1, s3, v5
	v_cndmask_b32_e64 v5, 0, 1, s1
	s_delay_alu instid0(VALU_DEP_1) | instskip(NEXT) | instid1(VALU_DEP_1)
	v_cndmask_b32_e64 v5, v5, v6, s0
	v_bitop3_b16 v5, v5, v7, 1 bitop3:0xec
	s_delay_alu instid0(VALU_DEP_1) | instskip(NEXT) | instid1(VALU_DEP_1)
	v_and_b32_e32 v5, 0xffff, v5
	v_and_or_b32 v1, 0xffff0000, v1, v5
.LBB277_45:
	s_or_b32 exec_lo, exec_lo, s6
	v_or_b32_e32 v5, 0x500, v0
	s_mov_b32 s6, exec_lo
	s_delay_alu instid0(VALU_DEP_1)
	v_cmpx_gt_i32_e64 s8, v5
	s_cbranch_execz .LBB277_47
; %bb.46:
	v_lshlrev_b32_e32 v5, 24, v20
	s_delay_alu instid0(VALU_DEP_1) | instskip(NEXT) | instid1(VALU_DEP_1)
	v_and_b32_e32 v6, 0x7f000000, v5
	v_clz_i32_u32_e32 v7, v6
	v_add_nc_u32_e32 v21, 0x1000000, v6
	v_cmp_ne_u32_e64 s1, 0, v6
	s_delay_alu instid0(VALU_DEP_3) | instskip(NEXT) | instid1(VALU_DEP_1)
	v_min_u32_e32 v7, 32, v7
	v_sub_nc_u32_e64 v7, v7, 4 clamp
	s_delay_alu instid0(VALU_DEP_1) | instskip(NEXT) | instid1(VALU_DEP_1)
	v_dual_lshlrev_b32 v20, v7, v6 :: v_dual_lshlrev_b32 v7, 23, v7
	v_lshrrev_b32_e32 v20, 4, v20
	s_delay_alu instid0(VALU_DEP_1) | instskip(NEXT) | instid1(VALU_DEP_1)
	v_dual_sub_nc_u32 v7, v20, v7 :: v_dual_ashrrev_i32 v20, 8, v21
	v_add_nc_u32_e32 v7, 0x3c000000, v7
	s_delay_alu instid0(VALU_DEP_1) | instskip(NEXT) | instid1(VALU_DEP_1)
	v_and_or_b32 v7, 0x7f800000, v20, v7
	v_cndmask_b32_e64 v6, 0, v7, s1
	s_delay_alu instid0(VALU_DEP_1) | instskip(NEXT) | instid1(VALU_DEP_1)
	v_and_or_b32 v5, 0x80000000, v5, v6
	v_cmp_eq_f32_e64 s1, s3, v5
	s_delay_alu instid0(VALU_DEP_1) | instskip(SKIP_1) | instid1(VALU_DEP_1)
	v_cndmask_b32_e64 v6, 0, 1, s1
	v_cmp_neq_f32_e64 s1, s3, v5
	v_cndmask_b32_e64 v5, 0, 1, s1
	s_delay_alu instid0(VALU_DEP_1) | instskip(NEXT) | instid1(VALU_DEP_1)
	v_cndmask_b32_e64 v5, v5, v6, s0
	v_and_b32_e32 v5, 1, v5
	s_delay_alu instid0(VALU_DEP_1) | instskip(NEXT) | instid1(VALU_DEP_1)
	v_lshlrev_b16 v5, 8, v5
	v_bitop3_b16 v5, v1, v5, 0xff bitop3:0xec
	s_delay_alu instid0(VALU_DEP_1) | instskip(NEXT) | instid1(VALU_DEP_1)
	v_and_b32_e32 v5, 0xffff, v5
	v_and_or_b32 v1, 0xffff0000, v1, v5
.LBB277_47:
	s_or_b32 exec_lo, exec_lo, s6
	v_or_b32_e32 v5, 0x600, v0
	s_mov_b32 s6, exec_lo
	s_delay_alu instid0(VALU_DEP_1)
	v_cmpx_gt_i32_e64 s8, v5
	s_cbranch_execz .LBB277_49
; %bb.48:
	v_lshlrev_b32_e32 v5, 24, v19
	s_delay_alu instid0(VALU_DEP_1) | instskip(NEXT) | instid1(VALU_DEP_1)
	v_and_b32_e32 v6, 0x7f000000, v5
	v_clz_i32_u32_e32 v7, v6
	v_add_nc_u32_e32 v20, 0x1000000, v6
	v_cmp_ne_u32_e64 s1, 0, v6
	s_delay_alu instid0(VALU_DEP_3) | instskip(NEXT) | instid1(VALU_DEP_1)
	v_min_u32_e32 v7, 32, v7
	v_sub_nc_u32_e64 v7, v7, 4 clamp
	s_delay_alu instid0(VALU_DEP_1) | instskip(NEXT) | instid1(VALU_DEP_1)
	v_dual_lshlrev_b32 v19, v7, v6 :: v_dual_lshlrev_b32 v7, 23, v7
	v_lshrrev_b32_e32 v19, 4, v19
	s_delay_alu instid0(VALU_DEP_1) | instskip(NEXT) | instid1(VALU_DEP_1)
	v_dual_sub_nc_u32 v7, v19, v7 :: v_dual_ashrrev_i32 v19, 8, v20
	v_add_nc_u32_e32 v7, 0x3c000000, v7
	s_delay_alu instid0(VALU_DEP_1) | instskip(NEXT) | instid1(VALU_DEP_1)
	v_and_or_b32 v7, 0x7f800000, v19, v7
	v_cndmask_b32_e64 v6, 0, v7, s1
	s_delay_alu instid0(VALU_DEP_1) | instskip(SKIP_1) | instid1(VALU_DEP_2)
	v_and_or_b32 v5, 0x80000000, v5, v6
	v_lshrrev_b32_e32 v6, 16, v1
	v_cmp_eq_f32_e64 s1, s3, v5
	s_delay_alu instid0(VALU_DEP_2) | instskip(NEXT) | instid1(VALU_DEP_2)
	v_and_b32_e32 v6, 0xffffff00, v6
	v_cndmask_b32_e64 v7, 0, 1, s1
	v_cmp_neq_f32_e64 s1, s3, v5
	s_delay_alu instid0(VALU_DEP_1) | instskip(NEXT) | instid1(VALU_DEP_1)
	v_cndmask_b32_e64 v5, 0, 1, s1
	v_cndmask_b32_e64 v5, v5, v7, s0
	s_delay_alu instid0(VALU_DEP_1) | instskip(NEXT) | instid1(VALU_DEP_1)
	v_bitop3_b16 v5, v5, v6, 1 bitop3:0xec
	v_lshlrev_b32_e32 v5, 16, v5
	s_delay_alu instid0(VALU_DEP_1)
	v_and_or_b32 v1, 0xffff, v1, v5
.LBB277_49:
	s_or_b32 exec_lo, exec_lo, s6
	v_or_b32_e32 v5, 0x700, v0
	s_mov_b32 s6, exec_lo
	s_delay_alu instid0(VALU_DEP_1)
	v_cmpx_gt_i32_e64 s8, v5
	s_cbranch_execz .LBB277_51
; %bb.50:
	v_lshlrev_b32_e32 v5, 24, v18
	s_delay_alu instid0(VALU_DEP_1) | instskip(NEXT) | instid1(VALU_DEP_1)
	v_and_b32_e32 v6, 0x7f000000, v5
	v_clz_i32_u32_e32 v7, v6
	v_cmp_ne_u32_e64 s1, 0, v6
	v_add_nc_u32_e32 v19, 0x1000000, v6
	s_delay_alu instid0(VALU_DEP_3) | instskip(NEXT) | instid1(VALU_DEP_1)
	v_min_u32_e32 v7, 32, v7
	v_sub_nc_u32_e64 v7, v7, 4 clamp
	s_delay_alu instid0(VALU_DEP_1) | instskip(NEXT) | instid1(VALU_DEP_1)
	v_dual_lshlrev_b32 v18, v7, v6 :: v_dual_lshlrev_b32 v7, 23, v7
	v_lshrrev_b32_e32 v18, 4, v18
	s_delay_alu instid0(VALU_DEP_1) | instskip(SKIP_1) | instid1(VALU_DEP_2)
	v_sub_nc_u32_e32 v7, v18, v7
	v_ashrrev_i32_e32 v18, 8, v19
	v_add_nc_u32_e32 v7, 0x3c000000, v7
	s_delay_alu instid0(VALU_DEP_1) | instskip(NEXT) | instid1(VALU_DEP_1)
	v_and_or_b32 v7, 0x7f800000, v18, v7
	v_cndmask_b32_e64 v6, 0, v7, s1
	s_delay_alu instid0(VALU_DEP_1) | instskip(NEXT) | instid1(VALU_DEP_1)
	v_and_or_b32 v5, 0x80000000, v5, v6
	v_cmp_eq_f32_e64 s1, s3, v5
	s_delay_alu instid0(VALU_DEP_1) | instskip(SKIP_1) | instid1(VALU_DEP_1)
	v_cndmask_b32_e64 v6, 0, 1, s1
	v_cmp_neq_f32_e64 s1, s3, v5
	v_cndmask_b32_e64 v5, 0, 1, s1
	s_delay_alu instid0(VALU_DEP_1) | instskip(NEXT) | instid1(VALU_DEP_1)
	v_dual_cndmask_b32 v5, v5, v6, s0 :: v_dual_lshrrev_b32 v6, 16, v1
	v_and_b32_e32 v5, 1, v5
	s_delay_alu instid0(VALU_DEP_1) | instskip(NEXT) | instid1(VALU_DEP_1)
	v_lshlrev_b16 v5, 8, v5
	v_bitop3_b16 v5, v6, v5, 0xff bitop3:0xec
	s_delay_alu instid0(VALU_DEP_1) | instskip(NEXT) | instid1(VALU_DEP_1)
	v_lshlrev_b32_e32 v5, 16, v5
	v_and_or_b32 v1, 0xffff, v1, v5
.LBB277_51:
	s_or_b32 exec_lo, exec_lo, s6
	v_or_b32_e32 v5, 0x800, v0
	s_mov_b32 s6, exec_lo
	s_delay_alu instid0(VALU_DEP_1)
	v_cmpx_gt_i32_e64 s8, v5
	s_cbranch_execz .LBB277_53
; %bb.52:
	v_lshlrev_b32_e32 v5, 24, v17
	s_delay_alu instid0(VALU_DEP_1) | instskip(NEXT) | instid1(VALU_DEP_1)
	v_and_b32_e32 v6, 0x7f000000, v5
	v_clz_i32_u32_e32 v7, v6
	v_add_nc_u32_e32 v18, 0x1000000, v6
	v_cmp_ne_u32_e64 s1, 0, v6
	s_delay_alu instid0(VALU_DEP_3) | instskip(NEXT) | instid1(VALU_DEP_1)
	v_min_u32_e32 v7, 32, v7
	v_sub_nc_u32_e64 v7, v7, 4 clamp
	s_delay_alu instid0(VALU_DEP_1) | instskip(NEXT) | instid1(VALU_DEP_1)
	v_dual_lshlrev_b32 v17, v7, v6 :: v_dual_lshlrev_b32 v7, 23, v7
	v_lshrrev_b32_e32 v17, 4, v17
	s_delay_alu instid0(VALU_DEP_1) | instskip(NEXT) | instid1(VALU_DEP_1)
	v_dual_sub_nc_u32 v7, v17, v7 :: v_dual_ashrrev_i32 v17, 8, v18
	v_add_nc_u32_e32 v7, 0x3c000000, v7
	s_delay_alu instid0(VALU_DEP_1) | instskip(NEXT) | instid1(VALU_DEP_1)
	v_and_or_b32 v7, 0x7f800000, v17, v7
	v_cndmask_b32_e64 v6, 0, v7, s1
	v_and_b32_e32 v7, 0xffffff00, v4
	s_delay_alu instid0(VALU_DEP_2) | instskip(NEXT) | instid1(VALU_DEP_1)
	v_and_or_b32 v5, 0x80000000, v5, v6
	v_cmp_eq_f32_e64 s1, s3, v5
	s_delay_alu instid0(VALU_DEP_1) | instskip(SKIP_1) | instid1(VALU_DEP_1)
	v_cndmask_b32_e64 v6, 0, 1, s1
	v_cmp_neq_f32_e64 s1, s3, v5
	v_cndmask_b32_e64 v5, 0, 1, s1
	s_delay_alu instid0(VALU_DEP_1) | instskip(NEXT) | instid1(VALU_DEP_1)
	v_cndmask_b32_e64 v5, v5, v6, s0
	v_bitop3_b16 v5, v5, v7, 1 bitop3:0xec
	s_delay_alu instid0(VALU_DEP_1) | instskip(NEXT) | instid1(VALU_DEP_1)
	v_and_b32_e32 v5, 0xffff, v5
	v_and_or_b32 v4, 0xffff0000, v4, v5
.LBB277_53:
	s_or_b32 exec_lo, exec_lo, s6
	v_or_b32_e32 v5, 0x900, v0
	s_mov_b32 s6, exec_lo
	s_delay_alu instid0(VALU_DEP_1)
	v_cmpx_gt_i32_e64 s8, v5
	s_cbranch_execz .LBB277_55
; %bb.54:
	v_lshlrev_b32_e32 v5, 24, v16
	s_delay_alu instid0(VALU_DEP_1) | instskip(NEXT) | instid1(VALU_DEP_1)
	v_and_b32_e32 v6, 0x7f000000, v5
	v_clz_i32_u32_e32 v7, v6
	v_add_nc_u32_e32 v17, 0x1000000, v6
	v_cmp_ne_u32_e64 s1, 0, v6
	s_delay_alu instid0(VALU_DEP_3) | instskip(NEXT) | instid1(VALU_DEP_1)
	v_min_u32_e32 v7, 32, v7
	v_sub_nc_u32_e64 v7, v7, 4 clamp
	s_delay_alu instid0(VALU_DEP_1) | instskip(NEXT) | instid1(VALU_DEP_1)
	v_dual_lshlrev_b32 v16, v7, v6 :: v_dual_lshlrev_b32 v7, 23, v7
	v_lshrrev_b32_e32 v16, 4, v16
	s_delay_alu instid0(VALU_DEP_1) | instskip(NEXT) | instid1(VALU_DEP_1)
	v_dual_sub_nc_u32 v7, v16, v7 :: v_dual_ashrrev_i32 v16, 8, v17
	v_add_nc_u32_e32 v7, 0x3c000000, v7
	s_delay_alu instid0(VALU_DEP_1) | instskip(NEXT) | instid1(VALU_DEP_1)
	v_and_or_b32 v7, 0x7f800000, v16, v7
	v_cndmask_b32_e64 v6, 0, v7, s1
	s_delay_alu instid0(VALU_DEP_1) | instskip(NEXT) | instid1(VALU_DEP_1)
	v_and_or_b32 v5, 0x80000000, v5, v6
	v_cmp_eq_f32_e64 s1, s3, v5
	s_delay_alu instid0(VALU_DEP_1) | instskip(SKIP_1) | instid1(VALU_DEP_1)
	v_cndmask_b32_e64 v6, 0, 1, s1
	v_cmp_neq_f32_e64 s1, s3, v5
	v_cndmask_b32_e64 v5, 0, 1, s1
	s_delay_alu instid0(VALU_DEP_1) | instskip(NEXT) | instid1(VALU_DEP_1)
	v_cndmask_b32_e64 v5, v5, v6, s0
	v_and_b32_e32 v5, 1, v5
	s_delay_alu instid0(VALU_DEP_1) | instskip(NEXT) | instid1(VALU_DEP_1)
	v_lshlrev_b16 v5, 8, v5
	v_bitop3_b16 v5, v4, v5, 0xff bitop3:0xec
	s_delay_alu instid0(VALU_DEP_1) | instskip(NEXT) | instid1(VALU_DEP_1)
	v_and_b32_e32 v5, 0xffff, v5
	v_and_or_b32 v4, 0xffff0000, v4, v5
.LBB277_55:
	s_or_b32 exec_lo, exec_lo, s6
	v_or_b32_e32 v5, 0xa00, v0
	s_mov_b32 s6, exec_lo
	s_delay_alu instid0(VALU_DEP_1)
	v_cmpx_gt_i32_e64 s8, v5
	s_cbranch_execz .LBB277_57
; %bb.56:
	v_lshlrev_b32_e32 v5, 24, v15
	s_delay_alu instid0(VALU_DEP_1) | instskip(NEXT) | instid1(VALU_DEP_1)
	v_and_b32_e32 v6, 0x7f000000, v5
	v_clz_i32_u32_e32 v7, v6
	v_add_nc_u32_e32 v16, 0x1000000, v6
	v_cmp_ne_u32_e64 s1, 0, v6
	s_delay_alu instid0(VALU_DEP_3) | instskip(NEXT) | instid1(VALU_DEP_1)
	v_min_u32_e32 v7, 32, v7
	v_sub_nc_u32_e64 v7, v7, 4 clamp
	s_delay_alu instid0(VALU_DEP_1) | instskip(NEXT) | instid1(VALU_DEP_1)
	v_dual_lshlrev_b32 v15, v7, v6 :: v_dual_lshlrev_b32 v7, 23, v7
	v_lshrrev_b32_e32 v15, 4, v15
	s_delay_alu instid0(VALU_DEP_1) | instskip(NEXT) | instid1(VALU_DEP_1)
	v_dual_sub_nc_u32 v7, v15, v7 :: v_dual_ashrrev_i32 v15, 8, v16
	v_add_nc_u32_e32 v7, 0x3c000000, v7
	s_delay_alu instid0(VALU_DEP_1) | instskip(NEXT) | instid1(VALU_DEP_1)
	v_and_or_b32 v7, 0x7f800000, v15, v7
	v_cndmask_b32_e64 v6, 0, v7, s1
	s_delay_alu instid0(VALU_DEP_1) | instskip(SKIP_1) | instid1(VALU_DEP_2)
	v_and_or_b32 v5, 0x80000000, v5, v6
	v_lshrrev_b32_e32 v6, 16, v4
	v_cmp_eq_f32_e64 s1, s3, v5
	s_delay_alu instid0(VALU_DEP_2) | instskip(NEXT) | instid1(VALU_DEP_2)
	v_and_b32_e32 v6, 0xffffff00, v6
	v_cndmask_b32_e64 v7, 0, 1, s1
	v_cmp_neq_f32_e64 s1, s3, v5
	s_delay_alu instid0(VALU_DEP_1) | instskip(NEXT) | instid1(VALU_DEP_1)
	v_cndmask_b32_e64 v5, 0, 1, s1
	v_cndmask_b32_e64 v5, v5, v7, s0
	s_delay_alu instid0(VALU_DEP_1) | instskip(NEXT) | instid1(VALU_DEP_1)
	v_bitop3_b16 v5, v5, v6, 1 bitop3:0xec
	v_lshlrev_b32_e32 v5, 16, v5
	s_delay_alu instid0(VALU_DEP_1)
	v_and_or_b32 v4, 0xffff, v4, v5
.LBB277_57:
	s_or_b32 exec_lo, exec_lo, s6
	v_or_b32_e32 v5, 0xb00, v0
	s_mov_b32 s6, exec_lo
	s_delay_alu instid0(VALU_DEP_1)
	v_cmpx_gt_i32_e64 s8, v5
	s_cbranch_execz .LBB277_59
; %bb.58:
	v_lshlrev_b32_e32 v5, 24, v14
	s_delay_alu instid0(VALU_DEP_1) | instskip(NEXT) | instid1(VALU_DEP_1)
	v_and_b32_e32 v6, 0x7f000000, v5
	v_clz_i32_u32_e32 v7, v6
	v_cmp_ne_u32_e64 s1, 0, v6
	v_add_nc_u32_e32 v15, 0x1000000, v6
	s_delay_alu instid0(VALU_DEP_3) | instskip(NEXT) | instid1(VALU_DEP_1)
	v_min_u32_e32 v7, 32, v7
	v_sub_nc_u32_e64 v7, v7, 4 clamp
	s_delay_alu instid0(VALU_DEP_1) | instskip(NEXT) | instid1(VALU_DEP_1)
	v_dual_lshlrev_b32 v14, v7, v6 :: v_dual_lshlrev_b32 v7, 23, v7
	v_lshrrev_b32_e32 v14, 4, v14
	s_delay_alu instid0(VALU_DEP_1) | instskip(SKIP_1) | instid1(VALU_DEP_2)
	v_sub_nc_u32_e32 v7, v14, v7
	v_ashrrev_i32_e32 v14, 8, v15
	v_add_nc_u32_e32 v7, 0x3c000000, v7
	s_delay_alu instid0(VALU_DEP_1) | instskip(NEXT) | instid1(VALU_DEP_1)
	v_and_or_b32 v7, 0x7f800000, v14, v7
	v_cndmask_b32_e64 v6, 0, v7, s1
	s_delay_alu instid0(VALU_DEP_1) | instskip(NEXT) | instid1(VALU_DEP_1)
	v_and_or_b32 v5, 0x80000000, v5, v6
	v_cmp_eq_f32_e64 s1, s3, v5
	s_delay_alu instid0(VALU_DEP_1) | instskip(SKIP_1) | instid1(VALU_DEP_1)
	v_cndmask_b32_e64 v6, 0, 1, s1
	v_cmp_neq_f32_e64 s1, s3, v5
	v_cndmask_b32_e64 v5, 0, 1, s1
	s_delay_alu instid0(VALU_DEP_1) | instskip(NEXT) | instid1(VALU_DEP_1)
	v_dual_cndmask_b32 v5, v5, v6, s0 :: v_dual_lshrrev_b32 v6, 16, v4
	v_and_b32_e32 v5, 1, v5
	s_delay_alu instid0(VALU_DEP_1) | instskip(NEXT) | instid1(VALU_DEP_1)
	v_lshlrev_b16 v5, 8, v5
	v_bitop3_b16 v5, v6, v5, 0xff bitop3:0xec
	s_delay_alu instid0(VALU_DEP_1) | instskip(NEXT) | instid1(VALU_DEP_1)
	v_lshlrev_b32_e32 v5, 16, v5
	v_and_or_b32 v4, 0xffff, v4, v5
.LBB277_59:
	s_or_b32 exec_lo, exec_lo, s6
	v_or_b32_e32 v5, 0xc00, v0
	s_mov_b32 s6, exec_lo
	s_delay_alu instid0(VALU_DEP_1)
	v_cmpx_gt_i32_e64 s8, v5
	s_cbranch_execz .LBB277_61
; %bb.60:
	v_lshlrev_b32_e32 v5, 24, v13
	s_delay_alu instid0(VALU_DEP_1) | instskip(NEXT) | instid1(VALU_DEP_1)
	v_and_b32_e32 v6, 0x7f000000, v5
	v_clz_i32_u32_e32 v7, v6
	v_add_nc_u32_e32 v14, 0x1000000, v6
	v_cmp_ne_u32_e64 s1, 0, v6
	s_delay_alu instid0(VALU_DEP_3) | instskip(NEXT) | instid1(VALU_DEP_1)
	v_min_u32_e32 v7, 32, v7
	v_sub_nc_u32_e64 v7, v7, 4 clamp
	s_delay_alu instid0(VALU_DEP_1) | instskip(NEXT) | instid1(VALU_DEP_1)
	v_dual_lshlrev_b32 v13, v7, v6 :: v_dual_lshlrev_b32 v7, 23, v7
	v_lshrrev_b32_e32 v13, 4, v13
	s_delay_alu instid0(VALU_DEP_1) | instskip(NEXT) | instid1(VALU_DEP_1)
	v_dual_sub_nc_u32 v7, v13, v7 :: v_dual_ashrrev_i32 v13, 8, v14
	v_add_nc_u32_e32 v7, 0x3c000000, v7
	s_delay_alu instid0(VALU_DEP_1) | instskip(NEXT) | instid1(VALU_DEP_1)
	v_and_or_b32 v7, 0x7f800000, v13, v7
	v_cndmask_b32_e64 v6, 0, v7, s1
	v_and_b32_e32 v7, 0xffffff00, v3
	s_delay_alu instid0(VALU_DEP_2) | instskip(NEXT) | instid1(VALU_DEP_1)
	v_and_or_b32 v5, 0x80000000, v5, v6
	v_cmp_eq_f32_e64 s1, s3, v5
	s_delay_alu instid0(VALU_DEP_1) | instskip(SKIP_1) | instid1(VALU_DEP_1)
	v_cndmask_b32_e64 v6, 0, 1, s1
	v_cmp_neq_f32_e64 s1, s3, v5
	v_cndmask_b32_e64 v5, 0, 1, s1
	s_delay_alu instid0(VALU_DEP_1) | instskip(NEXT) | instid1(VALU_DEP_1)
	v_cndmask_b32_e64 v5, v5, v6, s0
	v_bitop3_b16 v5, v5, v7, 1 bitop3:0xec
	s_delay_alu instid0(VALU_DEP_1) | instskip(NEXT) | instid1(VALU_DEP_1)
	v_and_b32_e32 v5, 0xffff, v5
	v_and_or_b32 v3, 0xffff0000, v3, v5
.LBB277_61:
	s_or_b32 exec_lo, exec_lo, s6
	v_or_b32_e32 v5, 0xd00, v0
	s_mov_b32 s6, exec_lo
	s_delay_alu instid0(VALU_DEP_1)
	v_cmpx_gt_i32_e64 s8, v5
	s_cbranch_execz .LBB277_63
; %bb.62:
	v_lshlrev_b32_e32 v5, 24, v12
	s_delay_alu instid0(VALU_DEP_1) | instskip(NEXT) | instid1(VALU_DEP_1)
	v_and_b32_e32 v6, 0x7f000000, v5
	v_clz_i32_u32_e32 v7, v6
	v_add_nc_u32_e32 v13, 0x1000000, v6
	v_cmp_ne_u32_e64 s1, 0, v6
	s_delay_alu instid0(VALU_DEP_3) | instskip(NEXT) | instid1(VALU_DEP_1)
	v_min_u32_e32 v7, 32, v7
	v_sub_nc_u32_e64 v7, v7, 4 clamp
	s_delay_alu instid0(VALU_DEP_1) | instskip(NEXT) | instid1(VALU_DEP_1)
	v_dual_lshlrev_b32 v12, v7, v6 :: v_dual_lshlrev_b32 v7, 23, v7
	v_lshrrev_b32_e32 v12, 4, v12
	s_delay_alu instid0(VALU_DEP_1) | instskip(NEXT) | instid1(VALU_DEP_1)
	v_dual_sub_nc_u32 v7, v12, v7 :: v_dual_ashrrev_i32 v12, 8, v13
	v_add_nc_u32_e32 v7, 0x3c000000, v7
	s_delay_alu instid0(VALU_DEP_1) | instskip(NEXT) | instid1(VALU_DEP_1)
	v_and_or_b32 v7, 0x7f800000, v12, v7
	v_cndmask_b32_e64 v6, 0, v7, s1
	s_delay_alu instid0(VALU_DEP_1) | instskip(NEXT) | instid1(VALU_DEP_1)
	v_and_or_b32 v5, 0x80000000, v5, v6
	v_cmp_eq_f32_e64 s1, s3, v5
	s_delay_alu instid0(VALU_DEP_1) | instskip(SKIP_1) | instid1(VALU_DEP_1)
	v_cndmask_b32_e64 v6, 0, 1, s1
	v_cmp_neq_f32_e64 s1, s3, v5
	v_cndmask_b32_e64 v5, 0, 1, s1
	s_delay_alu instid0(VALU_DEP_1) | instskip(NEXT) | instid1(VALU_DEP_1)
	v_cndmask_b32_e64 v5, v5, v6, s0
	v_and_b32_e32 v5, 1, v5
	s_delay_alu instid0(VALU_DEP_1) | instskip(NEXT) | instid1(VALU_DEP_1)
	v_lshlrev_b16 v5, 8, v5
	v_bitop3_b16 v5, v3, v5, 0xff bitop3:0xec
	s_delay_alu instid0(VALU_DEP_1) | instskip(NEXT) | instid1(VALU_DEP_1)
	v_and_b32_e32 v5, 0xffff, v5
	v_and_or_b32 v3, 0xffff0000, v3, v5
.LBB277_63:
	s_or_b32 exec_lo, exec_lo, s6
	v_or_b32_e32 v5, 0xe00, v0
	s_mov_b32 s6, exec_lo
	s_delay_alu instid0(VALU_DEP_1)
	v_cmpx_gt_i32_e64 s8, v5
	s_cbranch_execz .LBB277_65
; %bb.64:
	v_lshlrev_b32_e32 v5, 24, v11
	s_delay_alu instid0(VALU_DEP_1) | instskip(NEXT) | instid1(VALU_DEP_1)
	v_and_b32_e32 v6, 0x7f000000, v5
	v_clz_i32_u32_e32 v7, v6
	v_add_nc_u32_e32 v12, 0x1000000, v6
	v_cmp_ne_u32_e64 s1, 0, v6
	s_delay_alu instid0(VALU_DEP_3) | instskip(NEXT) | instid1(VALU_DEP_1)
	v_min_u32_e32 v7, 32, v7
	v_sub_nc_u32_e64 v7, v7, 4 clamp
	s_delay_alu instid0(VALU_DEP_1) | instskip(NEXT) | instid1(VALU_DEP_1)
	v_dual_lshlrev_b32 v11, v7, v6 :: v_dual_lshlrev_b32 v7, 23, v7
	v_lshrrev_b32_e32 v11, 4, v11
	s_delay_alu instid0(VALU_DEP_1) | instskip(NEXT) | instid1(VALU_DEP_1)
	v_dual_sub_nc_u32 v7, v11, v7 :: v_dual_ashrrev_i32 v11, 8, v12
	v_add_nc_u32_e32 v7, 0x3c000000, v7
	s_delay_alu instid0(VALU_DEP_1) | instskip(NEXT) | instid1(VALU_DEP_1)
	v_and_or_b32 v7, 0x7f800000, v11, v7
	v_cndmask_b32_e64 v6, 0, v7, s1
	s_delay_alu instid0(VALU_DEP_1) | instskip(SKIP_1) | instid1(VALU_DEP_2)
	v_and_or_b32 v5, 0x80000000, v5, v6
	v_lshrrev_b32_e32 v6, 16, v3
	v_cmp_eq_f32_e64 s1, s3, v5
	s_delay_alu instid0(VALU_DEP_2) | instskip(NEXT) | instid1(VALU_DEP_2)
	v_and_b32_e32 v6, 0xffffff00, v6
	v_cndmask_b32_e64 v7, 0, 1, s1
	v_cmp_neq_f32_e64 s1, s3, v5
	s_delay_alu instid0(VALU_DEP_1) | instskip(NEXT) | instid1(VALU_DEP_1)
	v_cndmask_b32_e64 v5, 0, 1, s1
	v_cndmask_b32_e64 v5, v5, v7, s0
	s_delay_alu instid0(VALU_DEP_1) | instskip(NEXT) | instid1(VALU_DEP_1)
	v_bitop3_b16 v5, v5, v6, 1 bitop3:0xec
	v_lshlrev_b32_e32 v5, 16, v5
	s_delay_alu instid0(VALU_DEP_1)
	v_and_or_b32 v3, 0xffff, v3, v5
.LBB277_65:
	s_or_b32 exec_lo, exec_lo, s6
	v_or_b32_e32 v5, 0xf00, v0
	s_mov_b32 s6, exec_lo
	s_delay_alu instid0(VALU_DEP_1)
	v_cmpx_gt_i32_e64 s8, v5
	s_cbranch_execnz .LBB277_84
; %bb.66:
	s_or_b32 exec_lo, exec_lo, s6
	s_and_saveexec_b32 s0, vcc_lo
	s_delay_alu instid0(SALU_CYCLE_1)
	s_xor_b32 s0, exec_lo, s0
	s_cbranch_execnz .LBB277_85
.LBB277_67:
	s_or_b32 exec_lo, exec_lo, s0
	s_delay_alu instid0(SALU_CYCLE_1)
	s_mov_b32 s0, exec_lo
	v_cmpx_gt_i32_e64 s8, v0
	s_cbranch_execnz .LBB277_86
.LBB277_68:
	s_or_b32 exec_lo, exec_lo, s0
	s_delay_alu instid0(SALU_CYCLE_1)
	s_mov_b32 s0, exec_lo
	v_cmpx_gt_i32_e64 s8, v0
	s_cbranch_execnz .LBB277_87
.LBB277_69:
	s_or_b32 exec_lo, exec_lo, s0
	s_delay_alu instid0(SALU_CYCLE_1)
	s_mov_b32 s0, exec_lo
	v_cmpx_gt_i32_e64 s8, v0
	s_cbranch_execnz .LBB277_88
.LBB277_70:
	s_or_b32 exec_lo, exec_lo, s0
	s_delay_alu instid0(SALU_CYCLE_1)
	s_mov_b32 s0, exec_lo
	v_cmpx_gt_i32_e64 s8, v0
	s_cbranch_execnz .LBB277_89
.LBB277_71:
	s_or_b32 exec_lo, exec_lo, s0
	s_delay_alu instid0(SALU_CYCLE_1)
	s_mov_b32 s0, exec_lo
	v_cmpx_gt_i32_e64 s8, v0
	s_cbranch_execnz .LBB277_90
.LBB277_72:
	s_or_b32 exec_lo, exec_lo, s0
	s_delay_alu instid0(SALU_CYCLE_1)
	s_mov_b32 s0, exec_lo
	v_cmpx_gt_i32_e64 s8, v0
	s_cbranch_execnz .LBB277_91
.LBB277_73:
	s_or_b32 exec_lo, exec_lo, s0
	s_delay_alu instid0(SALU_CYCLE_1)
	s_mov_b32 s0, exec_lo
	v_cmpx_gt_i32_e64 s8, v0
	s_cbranch_execnz .LBB277_92
.LBB277_74:
	s_or_b32 exec_lo, exec_lo, s0
	s_delay_alu instid0(SALU_CYCLE_1)
	s_mov_b32 s0, exec_lo
	v_cmpx_gt_i32_e64 s8, v0
	s_cbranch_execnz .LBB277_93
.LBB277_75:
	s_or_b32 exec_lo, exec_lo, s0
	s_delay_alu instid0(SALU_CYCLE_1)
	s_mov_b32 s0, exec_lo
	v_cmpx_gt_i32_e64 s8, v0
	s_cbranch_execnz .LBB277_94
.LBB277_76:
	s_or_b32 exec_lo, exec_lo, s0
	s_delay_alu instid0(SALU_CYCLE_1)
	s_mov_b32 s0, exec_lo
	v_cmpx_gt_i32_e64 s8, v0
	s_cbranch_execnz .LBB277_95
.LBB277_77:
	s_or_b32 exec_lo, exec_lo, s0
	s_delay_alu instid0(SALU_CYCLE_1)
	s_mov_b32 s0, exec_lo
	v_cmpx_gt_i32_e64 s8, v0
	s_cbranch_execnz .LBB277_96
.LBB277_78:
	s_or_b32 exec_lo, exec_lo, s0
	s_delay_alu instid0(SALU_CYCLE_1)
	s_mov_b32 s0, exec_lo
	v_cmpx_gt_i32_e64 s8, v0
	s_cbranch_execnz .LBB277_97
.LBB277_79:
	s_or_b32 exec_lo, exec_lo, s0
	s_delay_alu instid0(SALU_CYCLE_1)
	s_mov_b32 s0, exec_lo
	v_cmpx_gt_i32_e64 s8, v0
	s_cbranch_execnz .LBB277_98
.LBB277_80:
	s_or_b32 exec_lo, exec_lo, s0
	s_delay_alu instid0(SALU_CYCLE_1)
	s_mov_b32 s0, exec_lo
	v_cmpx_gt_i32_e64 s8, v0
	s_cbranch_execnz .LBB277_99
.LBB277_81:
	s_or_b32 exec_lo, exec_lo, s0
	s_delay_alu instid0(SALU_CYCLE_1)
	s_mov_b32 s0, exec_lo
	v_cmpx_gt_i32_e64 s8, v0
	s_cbranch_execz .LBB277_83
.LBB277_82:
	v_dual_lshrrev_b32 v1, 24, v3 :: v_dual_add_nc_u32 v0, s2, v0
	global_store_b8 v0, v1, s[4:5]
.LBB277_83:
	s_endpgm
.LBB277_84:
	v_and_b32_e32 v5, 0x7f000000, v10
	s_delay_alu instid0(VALU_DEP_1) | instskip(SKIP_2) | instid1(VALU_DEP_3)
	v_clz_i32_u32_e32 v6, v5
	v_cmp_ne_u32_e64 s1, 0, v5
	v_add_nc_u32_e32 v11, 0x1000000, v5
	v_min_u32_e32 v6, 32, v6
	s_delay_alu instid0(VALU_DEP_1) | instskip(NEXT) | instid1(VALU_DEP_1)
	v_sub_nc_u32_e64 v6, v6, 4 clamp
	v_dual_lshlrev_b32 v7, v6, v5 :: v_dual_lshlrev_b32 v6, 23, v6
	s_delay_alu instid0(VALU_DEP_1) | instskip(NEXT) | instid1(VALU_DEP_1)
	v_lshrrev_b32_e32 v7, 4, v7
	v_dual_sub_nc_u32 v6, v7, v6 :: v_dual_ashrrev_i32 v7, 8, v11
	s_delay_alu instid0(VALU_DEP_1) | instskip(NEXT) | instid1(VALU_DEP_1)
	v_add_nc_u32_e32 v6, 0x3c000000, v6
	v_and_or_b32 v6, 0x7f800000, v7, v6
	s_delay_alu instid0(VALU_DEP_1) | instskip(NEXT) | instid1(VALU_DEP_1)
	v_cndmask_b32_e64 v5, 0, v6, s1
	v_and_or_b32 v5, 0x80000000, v10, v5
	s_delay_alu instid0(VALU_DEP_1) | instskip(NEXT) | instid1(VALU_DEP_1)
	v_cmp_eq_f32_e64 s1, s3, v5
	v_cndmask_b32_e64 v6, 0, 1, s1
	v_cmp_neq_f32_e64 s1, s3, v5
	s_delay_alu instid0(VALU_DEP_1) | instskip(NEXT) | instid1(VALU_DEP_1)
	v_cndmask_b32_e64 v5, 0, 1, s1
	v_dual_cndmask_b32 v5, v5, v6, s0 :: v_dual_lshrrev_b32 v6, 16, v3
	s_delay_alu instid0(VALU_DEP_1) | instskip(NEXT) | instid1(VALU_DEP_1)
	v_and_b32_e32 v5, 1, v5
	v_lshlrev_b16 v5, 8, v5
	s_delay_alu instid0(VALU_DEP_1) | instskip(NEXT) | instid1(VALU_DEP_1)
	v_bitop3_b16 v5, v6, v5, 0xff bitop3:0xec
	v_lshlrev_b32_e32 v5, 16, v5
	s_delay_alu instid0(VALU_DEP_1) | instskip(SKIP_2) | instid1(SALU_CYCLE_1)
	v_and_or_b32 v3, 0xffff, v3, v5
	s_or_b32 exec_lo, exec_lo, s6
	s_and_saveexec_b32 s0, vcc_lo
	s_xor_b32 s0, exec_lo, s0
	s_cbranch_execz .LBB277_67
.LBB277_85:
	v_mov_b32_e32 v0, v9
	global_store_b8 v8, v2, s[4:5]
	s_wait_xcnt 0x0
	s_or_b32 exec_lo, exec_lo, s0
	s_delay_alu instid0(SALU_CYCLE_1)
	s_mov_b32 s0, exec_lo
	v_cmpx_gt_i32_e64 s8, v0
	s_cbranch_execz .LBB277_68
.LBB277_86:
	v_dual_lshrrev_b32 v5, 8, v2 :: v_dual_add_nc_u32 v6, s2, v0
	v_add_nc_u32_e32 v0, 0x100, v0
	global_store_b8 v6, v5, s[4:5]
	s_wait_xcnt 0x0
	s_or_b32 exec_lo, exec_lo, s0
	s_delay_alu instid0(SALU_CYCLE_1)
	s_mov_b32 s0, exec_lo
	v_cmpx_gt_i32_e64 s8, v0
	s_cbranch_execz .LBB277_69
.LBB277_87:
	v_add_nc_u32_e32 v5, s2, v0
	v_add_nc_u32_e32 v0, 0x100, v0
	global_store_d16_hi_b8 v5, v2, s[4:5]
	s_wait_xcnt 0x0
	s_or_b32 exec_lo, exec_lo, s0
	s_delay_alu instid0(SALU_CYCLE_1)
	s_mov_b32 s0, exec_lo
	v_cmpx_gt_i32_e64 s8, v0
	s_cbranch_execz .LBB277_70
.LBB277_88:
	v_dual_lshrrev_b32 v2, 24, v2 :: v_dual_add_nc_u32 v5, s2, v0
	v_add_nc_u32_e32 v0, 0x100, v0
	global_store_b8 v5, v2, s[4:5]
	s_wait_xcnt 0x0
	s_or_b32 exec_lo, exec_lo, s0
	s_delay_alu instid0(SALU_CYCLE_1)
	s_mov_b32 s0, exec_lo
	v_cmpx_gt_i32_e64 s8, v0
	s_cbranch_execz .LBB277_71
.LBB277_89:
	v_add_nc_u32_e32 v2, s2, v0
	v_add_nc_u32_e32 v0, 0x100, v0
	global_store_b8 v2, v1, s[4:5]
	s_wait_xcnt 0x0
	s_or_b32 exec_lo, exec_lo, s0
	s_delay_alu instid0(SALU_CYCLE_1)
	s_mov_b32 s0, exec_lo
	v_cmpx_gt_i32_e64 s8, v0
	s_cbranch_execz .LBB277_72
.LBB277_90:
	v_dual_lshrrev_b32 v2, 8, v1 :: v_dual_add_nc_u32 v5, s2, v0
	v_add_nc_u32_e32 v0, 0x100, v0
	global_store_b8 v5, v2, s[4:5]
	s_wait_xcnt 0x0
	s_or_b32 exec_lo, exec_lo, s0
	s_delay_alu instid0(SALU_CYCLE_1)
	s_mov_b32 s0, exec_lo
	v_cmpx_gt_i32_e64 s8, v0
	s_cbranch_execz .LBB277_73
.LBB277_91:
	v_add_nc_u32_e32 v2, s2, v0
	v_add_nc_u32_e32 v0, 0x100, v0
	global_store_d16_hi_b8 v2, v1, s[4:5]
	s_wait_xcnt 0x0
	s_or_b32 exec_lo, exec_lo, s0
	s_delay_alu instid0(SALU_CYCLE_1)
	s_mov_b32 s0, exec_lo
	v_cmpx_gt_i32_e64 s8, v0
	s_cbranch_execz .LBB277_74
.LBB277_92:
	v_dual_lshrrev_b32 v1, 24, v1 :: v_dual_add_nc_u32 v2, s2, v0
	v_add_nc_u32_e32 v0, 0x100, v0
	global_store_b8 v2, v1, s[4:5]
	s_wait_xcnt 0x0
	s_or_b32 exec_lo, exec_lo, s0
	s_delay_alu instid0(SALU_CYCLE_1)
	s_mov_b32 s0, exec_lo
	v_cmpx_gt_i32_e64 s8, v0
	s_cbranch_execz .LBB277_75
.LBB277_93:
	v_add_nc_u32_e32 v1, s2, v0
	v_add_nc_u32_e32 v0, 0x100, v0
	global_store_b8 v1, v4, s[4:5]
	s_wait_xcnt 0x0
	s_or_b32 exec_lo, exec_lo, s0
	s_delay_alu instid0(SALU_CYCLE_1)
	s_mov_b32 s0, exec_lo
	v_cmpx_gt_i32_e64 s8, v0
	s_cbranch_execz .LBB277_76
.LBB277_94:
	v_lshrrev_b32_e32 v1, 8, v4
	v_add_nc_u32_e32 v2, s2, v0
	v_add_nc_u32_e32 v0, 0x100, v0
	global_store_b8 v2, v1, s[4:5]
	s_wait_xcnt 0x0
	s_or_b32 exec_lo, exec_lo, s0
	s_delay_alu instid0(SALU_CYCLE_1)
	s_mov_b32 s0, exec_lo
	v_cmpx_gt_i32_e64 s8, v0
	s_cbranch_execz .LBB277_77
.LBB277_95:
	v_add_nc_u32_e32 v1, s2, v0
	v_add_nc_u32_e32 v0, 0x100, v0
	global_store_d16_hi_b8 v1, v4, s[4:5]
	s_wait_xcnt 0x0
	s_or_b32 exec_lo, exec_lo, s0
	s_delay_alu instid0(SALU_CYCLE_1)
	s_mov_b32 s0, exec_lo
	v_cmpx_gt_i32_e64 s8, v0
	s_cbranch_execz .LBB277_78
.LBB277_96:
	v_lshrrev_b32_e32 v1, 24, v4
	v_add_nc_u32_e32 v2, s2, v0
	v_add_nc_u32_e32 v0, 0x100, v0
	global_store_b8 v2, v1, s[4:5]
	s_wait_xcnt 0x0
	s_or_b32 exec_lo, exec_lo, s0
	s_delay_alu instid0(SALU_CYCLE_1)
	s_mov_b32 s0, exec_lo
	v_cmpx_gt_i32_e64 s8, v0
	s_cbranch_execz .LBB277_79
.LBB277_97:
	v_add_nc_u32_e32 v1, s2, v0
	v_add_nc_u32_e32 v0, 0x100, v0
	global_store_b8 v1, v3, s[4:5]
	s_wait_xcnt 0x0
	s_or_b32 exec_lo, exec_lo, s0
	s_delay_alu instid0(SALU_CYCLE_1)
	s_mov_b32 s0, exec_lo
	v_cmpx_gt_i32_e64 s8, v0
	s_cbranch_execz .LBB277_80
.LBB277_98:
	v_dual_lshrrev_b32 v1, 8, v3 :: v_dual_add_nc_u32 v2, s2, v0
	v_add_nc_u32_e32 v0, 0x100, v0
	global_store_b8 v2, v1, s[4:5]
	s_wait_xcnt 0x0
	s_or_b32 exec_lo, exec_lo, s0
	s_delay_alu instid0(SALU_CYCLE_1)
	s_mov_b32 s0, exec_lo
	v_cmpx_gt_i32_e64 s8, v0
	s_cbranch_execz .LBB277_81
.LBB277_99:
	v_add_nc_u32_e32 v1, s2, v0
	v_add_nc_u32_e32 v0, 0x100, v0
	global_store_d16_hi_b8 v1, v3, s[4:5]
	s_wait_xcnt 0x0
	s_or_b32 exec_lo, exec_lo, s0
	s_delay_alu instid0(SALU_CYCLE_1)
	s_mov_b32 s0, exec_lo
	v_cmpx_gt_i32_e64 s8, v0
	s_cbranch_execnz .LBB277_82
	s_branch .LBB277_83
	.section	.rodata,"a",@progbits
	.p2align	6, 0x0
	.amdhsa_kernel _ZN2at6native29vectorized_elementwise_kernelILi16ENS0_13AUnaryFunctorIN3c1013Float8_e4m3fnES4_bNS0_12_GLOBAL__N_116CompareEqFunctorIS4_EEEESt5arrayIPcLm2EEEEviT0_T1_
		.amdhsa_group_segment_fixed_size 0
		.amdhsa_private_segment_fixed_size 0
		.amdhsa_kernarg_size 32
		.amdhsa_user_sgpr_count 2
		.amdhsa_user_sgpr_dispatch_ptr 0
		.amdhsa_user_sgpr_queue_ptr 0
		.amdhsa_user_sgpr_kernarg_segment_ptr 1
		.amdhsa_user_sgpr_dispatch_id 0
		.amdhsa_user_sgpr_kernarg_preload_length 0
		.amdhsa_user_sgpr_kernarg_preload_offset 0
		.amdhsa_user_sgpr_private_segment_size 0
		.amdhsa_wavefront_size32 1
		.amdhsa_uses_dynamic_stack 0
		.amdhsa_enable_private_segment 0
		.amdhsa_system_sgpr_workgroup_id_x 1
		.amdhsa_system_sgpr_workgroup_id_y 0
		.amdhsa_system_sgpr_workgroup_id_z 0
		.amdhsa_system_sgpr_workgroup_info 0
		.amdhsa_system_vgpr_workitem_id 0
		.amdhsa_next_free_vgpr 60
		.amdhsa_next_free_sgpr 23
		.amdhsa_named_barrier_count 0
		.amdhsa_reserve_vcc 1
		.amdhsa_float_round_mode_32 0
		.amdhsa_float_round_mode_16_64 0
		.amdhsa_float_denorm_mode_32 3
		.amdhsa_float_denorm_mode_16_64 3
		.amdhsa_fp16_overflow 0
		.amdhsa_memory_ordered 1
		.amdhsa_forward_progress 1
		.amdhsa_inst_pref_size 79
		.amdhsa_round_robin_scheduling 0
		.amdhsa_exception_fp_ieee_invalid_op 0
		.amdhsa_exception_fp_denorm_src 0
		.amdhsa_exception_fp_ieee_div_zero 0
		.amdhsa_exception_fp_ieee_overflow 0
		.amdhsa_exception_fp_ieee_underflow 0
		.amdhsa_exception_fp_ieee_inexact 0
		.amdhsa_exception_int_div_zero 0
	.end_amdhsa_kernel
	.section	.text._ZN2at6native29vectorized_elementwise_kernelILi16ENS0_13AUnaryFunctorIN3c1013Float8_e4m3fnES4_bNS0_12_GLOBAL__N_116CompareEqFunctorIS4_EEEESt5arrayIPcLm2EEEEviT0_T1_,"axG",@progbits,_ZN2at6native29vectorized_elementwise_kernelILi16ENS0_13AUnaryFunctorIN3c1013Float8_e4m3fnES4_bNS0_12_GLOBAL__N_116CompareEqFunctorIS4_EEEESt5arrayIPcLm2EEEEviT0_T1_,comdat
.Lfunc_end277:
	.size	_ZN2at6native29vectorized_elementwise_kernelILi16ENS0_13AUnaryFunctorIN3c1013Float8_e4m3fnES4_bNS0_12_GLOBAL__N_116CompareEqFunctorIS4_EEEESt5arrayIPcLm2EEEEviT0_T1_, .Lfunc_end277-_ZN2at6native29vectorized_elementwise_kernelILi16ENS0_13AUnaryFunctorIN3c1013Float8_e4m3fnES4_bNS0_12_GLOBAL__N_116CompareEqFunctorIS4_EEEESt5arrayIPcLm2EEEEviT0_T1_
                                        ; -- End function
	.set _ZN2at6native29vectorized_elementwise_kernelILi16ENS0_13AUnaryFunctorIN3c1013Float8_e4m3fnES4_bNS0_12_GLOBAL__N_116CompareEqFunctorIS4_EEEESt5arrayIPcLm2EEEEviT0_T1_.num_vgpr, 60
	.set _ZN2at6native29vectorized_elementwise_kernelILi16ENS0_13AUnaryFunctorIN3c1013Float8_e4m3fnES4_bNS0_12_GLOBAL__N_116CompareEqFunctorIS4_EEEESt5arrayIPcLm2EEEEviT0_T1_.num_agpr, 0
	.set _ZN2at6native29vectorized_elementwise_kernelILi16ENS0_13AUnaryFunctorIN3c1013Float8_e4m3fnES4_bNS0_12_GLOBAL__N_116CompareEqFunctorIS4_EEEESt5arrayIPcLm2EEEEviT0_T1_.numbered_sgpr, 23
	.set _ZN2at6native29vectorized_elementwise_kernelILi16ENS0_13AUnaryFunctorIN3c1013Float8_e4m3fnES4_bNS0_12_GLOBAL__N_116CompareEqFunctorIS4_EEEESt5arrayIPcLm2EEEEviT0_T1_.num_named_barrier, 0
	.set _ZN2at6native29vectorized_elementwise_kernelILi16ENS0_13AUnaryFunctorIN3c1013Float8_e4m3fnES4_bNS0_12_GLOBAL__N_116CompareEqFunctorIS4_EEEESt5arrayIPcLm2EEEEviT0_T1_.private_seg_size, 0
	.set _ZN2at6native29vectorized_elementwise_kernelILi16ENS0_13AUnaryFunctorIN3c1013Float8_e4m3fnES4_bNS0_12_GLOBAL__N_116CompareEqFunctorIS4_EEEESt5arrayIPcLm2EEEEviT0_T1_.uses_vcc, 1
	.set _ZN2at6native29vectorized_elementwise_kernelILi16ENS0_13AUnaryFunctorIN3c1013Float8_e4m3fnES4_bNS0_12_GLOBAL__N_116CompareEqFunctorIS4_EEEESt5arrayIPcLm2EEEEviT0_T1_.uses_flat_scratch, 0
	.set _ZN2at6native29vectorized_elementwise_kernelILi16ENS0_13AUnaryFunctorIN3c1013Float8_e4m3fnES4_bNS0_12_GLOBAL__N_116CompareEqFunctorIS4_EEEESt5arrayIPcLm2EEEEviT0_T1_.has_dyn_sized_stack, 0
	.set _ZN2at6native29vectorized_elementwise_kernelILi16ENS0_13AUnaryFunctorIN3c1013Float8_e4m3fnES4_bNS0_12_GLOBAL__N_116CompareEqFunctorIS4_EEEESt5arrayIPcLm2EEEEviT0_T1_.has_recursion, 0
	.set _ZN2at6native29vectorized_elementwise_kernelILi16ENS0_13AUnaryFunctorIN3c1013Float8_e4m3fnES4_bNS0_12_GLOBAL__N_116CompareEqFunctorIS4_EEEESt5arrayIPcLm2EEEEviT0_T1_.has_indirect_call, 0
	.section	.AMDGPU.csdata,"",@progbits
; Kernel info:
; codeLenInByte = 10024
; TotalNumSgprs: 25
; NumVgprs: 60
; ScratchSize: 0
; MemoryBound: 0
; FloatMode: 240
; IeeeMode: 1
; LDSByteSize: 0 bytes/workgroup (compile time only)
; SGPRBlocks: 0
; VGPRBlocks: 3
; NumSGPRsForWavesPerEU: 25
; NumVGPRsForWavesPerEU: 60
; NamedBarCnt: 0
; Occupancy: 16
; WaveLimiterHint : 0
; COMPUTE_PGM_RSRC2:SCRATCH_EN: 0
; COMPUTE_PGM_RSRC2:USER_SGPR: 2
; COMPUTE_PGM_RSRC2:TRAP_HANDLER: 0
; COMPUTE_PGM_RSRC2:TGID_X_EN: 1
; COMPUTE_PGM_RSRC2:TGID_Y_EN: 0
; COMPUTE_PGM_RSRC2:TGID_Z_EN: 0
; COMPUTE_PGM_RSRC2:TIDIG_COMP_CNT: 0
	.section	.text._ZN2at6native29vectorized_elementwise_kernelILi8ENS0_13AUnaryFunctorIN3c1013Float8_e4m3fnES4_bNS0_12_GLOBAL__N_116CompareEqFunctorIS4_EEEESt5arrayIPcLm2EEEEviT0_T1_,"axG",@progbits,_ZN2at6native29vectorized_elementwise_kernelILi8ENS0_13AUnaryFunctorIN3c1013Float8_e4m3fnES4_bNS0_12_GLOBAL__N_116CompareEqFunctorIS4_EEEESt5arrayIPcLm2EEEEviT0_T1_,comdat
	.globl	_ZN2at6native29vectorized_elementwise_kernelILi8ENS0_13AUnaryFunctorIN3c1013Float8_e4m3fnES4_bNS0_12_GLOBAL__N_116CompareEqFunctorIS4_EEEESt5arrayIPcLm2EEEEviT0_T1_ ; -- Begin function _ZN2at6native29vectorized_elementwise_kernelILi8ENS0_13AUnaryFunctorIN3c1013Float8_e4m3fnES4_bNS0_12_GLOBAL__N_116CompareEqFunctorIS4_EEEESt5arrayIPcLm2EEEEviT0_T1_
	.p2align	8
	.type	_ZN2at6native29vectorized_elementwise_kernelILi8ENS0_13AUnaryFunctorIN3c1013Float8_e4m3fnES4_bNS0_12_GLOBAL__N_116CompareEqFunctorIS4_EEEESt5arrayIPcLm2EEEEviT0_T1_,@function
_ZN2at6native29vectorized_elementwise_kernelILi8ENS0_13AUnaryFunctorIN3c1013Float8_e4m3fnES4_bNS0_12_GLOBAL__N_116CompareEqFunctorIS4_EEEESt5arrayIPcLm2EEEEviT0_T1_: ; @_ZN2at6native29vectorized_elementwise_kernelILi8ENS0_13AUnaryFunctorIN3c1013Float8_e4m3fnES4_bNS0_12_GLOBAL__N_116CompareEqFunctorIS4_EEEESt5arrayIPcLm2EEEEviT0_T1_
; %bb.0:
	s_clause 0x1
	s_load_b96 s[8:10], s[0:1], 0x0
	s_load_b128 s[4:7], s[0:1], 0x10
	s_wait_xcnt 0x0
	s_bfe_u32 s0, ttmp6, 0x4000c
	s_and_b32 s1, ttmp6, 15
	s_add_co_i32 s0, s0, 1
	s_getreg_b32 s2, hwreg(HW_REG_IB_STS2, 6, 4)
	s_mul_i32 s0, ttmp9, s0
	s_delay_alu instid0(SALU_CYCLE_1) | instskip(SKIP_2) | instid1(SALU_CYCLE_1)
	s_add_co_i32 s1, s1, s0
	s_cmp_eq_u32 s2, 0
	s_cselect_b32 s0, ttmp9, s1
	s_lshl_b32 s2, s0, 12
	s_mov_b32 s0, -1
	s_wait_kmcnt 0x0
	s_sub_co_i32 s8, s8, s2
	s_delay_alu instid0(SALU_CYCLE_1)
	s_cmp_gt_i32 s8, 0xfff
	s_cbranch_scc0 .LBB278_2
; %bb.1:
	s_ashr_i32 s3, s2, 31
	s_cmp_eq_u32 s9, 0
	s_add_nc_u64 s[0:1], s[6:7], s[2:3]
	s_cselect_b32 vcc_lo, -1, 0
	s_clause 0x1
	global_load_b64 v[4:5], v0, s[0:1] scale_offset
	global_load_b64 v[2:3], v0, s[0:1] offset:2048 scale_offset
	s_wait_xcnt 0x0
	s_lshl_b32 s0, s10, 24
	s_add_nc_u64 s[12:13], s[4:5], s[2:3]
	v_and_b32_e64 v1, 0x7f000000, s0
	s_delay_alu instid0(VALU_DEP_1) | instskip(SKIP_1) | instid1(VALU_DEP_2)
	v_clz_i32_u32_e32 v6, v1
	v_add_nc_u32_e32 v8, 0x1000000, v1
	v_min_u32_e32 v6, 32, v6
	s_delay_alu instid0(VALU_DEP_2) | instskip(NEXT) | instid1(VALU_DEP_2)
	v_ashrrev_i32_e32 v8, 8, v8
	v_sub_nc_u32_e64 v6, v6, 4 clamp
	s_delay_alu instid0(VALU_DEP_1) | instskip(NEXT) | instid1(VALU_DEP_1)
	v_dual_lshlrev_b32 v7, v6, v1 :: v_dual_lshlrev_b32 v6, 23, v6
	v_lshrrev_b32_e32 v7, 4, v7
	s_delay_alu instid0(VALU_DEP_1) | instskip(SKIP_1) | instid1(VALU_DEP_2)
	v_sub_nc_u32_e32 v6, v7, v6
	v_and_b32_e32 v7, 0x7f800000, v8
	v_add_nc_u32_e32 v6, 0x3c000000, v6
	s_delay_alu instid0(VALU_DEP_1) | instskip(SKIP_3) | instid1(VALU_DEP_1)
	v_or_b32_e32 v6, v6, v7
	v_and_b32_e64 v7, 0x80000000, s0
	v_cmp_ne_u32_e64 s0, 0, v1
	s_wait_loadcnt 0x1
	v_dual_cndmask_b32 v1, 0, v6, s0 :: v_dual_lshlrev_b32 v6, 24, v4
	v_and_b32_e32 v9, 0x7f000000, v4
	v_and_b32_e32 v13, 0x7f000000, v5
	s_wait_loadcnt 0x0
	v_and_b32_e32 v17, 0x7f000000, v2
	v_and_b32_e32 v21, 0x7f000000, v3
	v_or_b32_e32 v1, v1, v7
	v_clz_i32_u32_e32 v25, v9
	v_clz_i32_u32_e32 v30, v13
	v_dual_lshlrev_b32 v7, 16, v4 :: v_dual_lshlrev_b32 v8, 8, v4
	v_lshlrev_b32_e32 v10, 24, v5
	s_delay_alu instid0(VALU_DEP_4)
	v_min_u32_e32 v25, 32, v25
	v_and_b32_e32 v22, 0x7f000000, v6
	v_clz_i32_u32_e32 v35, v17
	v_clz_i32_u32_e32 v40, v21
	v_min_u32_e32 v30, 32, v30
	v_sub_nc_u32_e64 v25, v25, 4 clamp
	v_and_b32_e32 v23, 0x7f000000, v7
	v_and_b32_e32 v24, 0x7f000000, v8
	v_clz_i32_u32_e32 v42, v22
	v_min_u32_e32 v35, 32, v35
	v_min_u32_e32 v40, 32, v40
	v_sub_nc_u32_e64 v30, v30, 4 clamp
	v_lshlrev_b32_e32 v56, v25, v9
	v_dual_lshlrev_b32 v11, 16, v5 :: v_dual_lshlrev_b32 v12, 8, v5
	v_and_b32_e32 v27, 0x7f000000, v10
	v_clz_i32_u32_e32 v44, v23
	v_clz_i32_u32_e32 v46, v24
	v_min_u32_e32 v42, 32, v42
	v_sub_nc_u32_e64 v35, v35, 4 clamp
	v_sub_nc_u32_e64 v40, v40, 4 clamp
	v_lshlrev_b32_e32 v25, 23, v25
	v_dual_lshlrev_b32 v57, v30, v13 :: v_dual_lshlrev_b32 v30, 23, v30
	v_dual_lshrrev_b32 v56, 4, v56 :: v_dual_lshlrev_b32 v14, 24, v2
	v_lshlrev_b32_e32 v15, 16, v2
	v_and_b32_e32 v28, 0x7f000000, v11
	v_and_b32_e32 v29, 0x7f000000, v12
	v_clz_i32_u32_e32 v47, v27
	v_min_u32_e32 v44, 32, v44
	v_min_u32_e32 v46, 32, v46
	v_sub_nc_u32_e64 v42, v42, 4 clamp
	v_lshrrev_b32_e32 v57, 4, v57
	v_dual_lshlrev_b32 v58, v35, v17 :: v_dual_lshlrev_b32 v35, 23, v35
	v_sub_nc_u32_e32 v25, v56, v25
	v_dual_lshlrev_b32 v56, v40, v21 :: v_dual_lshlrev_b32 v40, 23, v40
	v_dual_lshlrev_b32 v16, 8, v2 :: v_dual_lshlrev_b32 v18, 24, v3
	v_and_b32_e32 v32, 0x7f000000, v14
	v_clz_i32_u32_e32 v48, v28
	v_clz_i32_u32_e32 v49, v29
	v_min_u32_e32 v47, 32, v47
	v_sub_nc_u32_e64 v44, v44, 4 clamp
	v_sub_nc_u32_e64 v46, v46, 4 clamp
	v_sub_nc_u32_e32 v30, v57, v30
	v_lshlrev_b32_e32 v57, v42, v22
	v_lshrrev_b32_e32 v58, 4, v58
	v_dual_lshlrev_b32 v42, 23, v42 :: v_dual_lshrrev_b32 v56, 4, v56
	v_and_b32_e32 v33, 0x7f000000, v15
	v_and_b32_e32 v34, 0x7f000000, v16
	v_clz_i32_u32_e32 v50, v32
	v_min_u32_e32 v48, 32, v48
	v_min_u32_e32 v49, 32, v49
	v_sub_nc_u32_e64 v47, v47, 4 clamp
	v_dual_lshrrev_b32 v57, 4, v57 :: v_dual_sub_nc_u32 v35, v58, v35
	v_dual_lshlrev_b32 v58, v44, v23 :: v_dual_lshlrev_b32 v44, 23, v44
	s_delay_alu instid0(VALU_DEP_2) | instskip(NEXT) | instid1(VALU_DEP_4)
	v_dual_sub_nc_u32 v40, v56, v40 :: v_dual_sub_nc_u32 v42, v57, v42
	v_dual_lshlrev_b32 v56, v46, v24 :: v_dual_lshlrev_b32 v57, v47, v27
	v_dual_lshlrev_b32 v19, 16, v3 :: v_dual_lshlrev_b32 v20, 8, v3
	v_and_b32_e32 v37, 0x7f000000, v18
	v_clz_i32_u32_e32 v51, v33
	v_clz_i32_u32_e32 v52, v34
	v_min_u32_e32 v50, 32, v50
	v_sub_nc_u32_e64 v48, v48, 4 clamp
	v_sub_nc_u32_e64 v49, v49, 4 clamp
	v_dual_lshrrev_b32 v58, 4, v58 :: v_dual_lshlrev_b32 v47, 23, v47
	v_dual_lshlrev_b32 v46, 23, v46 :: v_dual_lshrrev_b32 v56, 4, v56
	v_and_b32_e32 v38, 0x7f000000, v19
	v_and_b32_e32 v39, 0x7f000000, v20
	v_clz_i32_u32_e32 v53, v37
	v_min_u32_e32 v51, 32, v51
	v_min_u32_e32 v52, 32, v52
	v_sub_nc_u32_e64 v50, v50, 4 clamp
	v_dual_lshrrev_b32 v57, 4, v57 :: v_dual_sub_nc_u32 v44, v58, v44
	v_lshlrev_b32_e32 v58, v48, v28
	v_dual_lshlrev_b32 v48, 23, v48 :: v_dual_sub_nc_u32 v46, v56, v46
	v_lshlrev_b32_e32 v56, v49, v29
	v_clz_i32_u32_e32 v54, v38
	v_clz_i32_u32_e32 v55, v39
	v_min_u32_e32 v53, 32, v53
	v_sub_nc_u32_e64 v51, v51, 4 clamp
	v_sub_nc_u32_e64 v52, v52, 4 clamp
	v_dual_sub_nc_u32 v47, v57, v47 :: v_dual_lshlrev_b32 v57, v50, v32
	v_dual_lshrrev_b32 v58, 4, v58 :: v_dual_lshlrev_b32 v49, 23, v49
	v_dual_lshlrev_b32 v50, 23, v50 :: v_dual_lshrrev_b32 v56, 4, v56
	v_min_u32_e32 v54, 32, v54
	v_min_u32_e32 v55, 32, v55
	v_sub_nc_u32_e64 v53, v53, 4 clamp
	v_dual_lshrrev_b32 v57, 4, v57 :: v_dual_sub_nc_u32 v48, v58, v48
	v_dual_lshlrev_b32 v58, v51, v33 :: v_dual_lshlrev_b32 v51, 23, v51
	s_delay_alu instid0(VALU_DEP_2) | instskip(NEXT) | instid1(VALU_DEP_4)
	v_dual_sub_nc_u32 v49, v56, v49 :: v_dual_sub_nc_u32 v50, v57, v50
	v_dual_lshlrev_b32 v56, v52, v34 :: v_dual_lshlrev_b32 v57, v53, v37
	v_sub_nc_u32_e64 v54, v54, 4 clamp
	v_sub_nc_u32_e64 v55, v55, 4 clamp
	v_dual_lshrrev_b32 v58, 4, v58 :: v_dual_lshlrev_b32 v52, 23, v52
	s_delay_alu instid0(VALU_DEP_4) | instskip(SKIP_1) | instid1(VALU_DEP_3)
	v_dual_lshrrev_b32 v56, 4, v56 :: v_dual_lshlrev_b32 v53, 23, v53
	v_add_nc_u32_e32 v26, 0x1000000, v9
	v_dual_lshrrev_b32 v57, 4, v57 :: v_dual_sub_nc_u32 v51, v58, v51
	s_delay_alu instid0(VALU_DEP_3) | instskip(NEXT) | instid1(VALU_DEP_2)
	v_dual_lshlrev_b32 v58, v54, v38 :: v_dual_sub_nc_u32 v52, v56, v52
	v_dual_lshlrev_b32 v56, v55, v39 :: v_dual_sub_nc_u32 v53, v57, v53
	v_add_nc_u32_e32 v31, 0x1000000, v13
	v_add_nc_u32_e32 v36, 0x1000000, v17
	v_add_nc_u32_e32 v57, 0x1000000, v24
	v_dual_lshlrev_b32 v54, 23, v54 :: v_dual_lshlrev_b32 v55, 23, v55
	v_dual_lshrrev_b32 v58, 4, v58 :: v_dual_lshrrev_b32 v56, 4, v56
	v_ashrrev_i32_e32 v26, 8, v26
	v_add_nc_u32_e32 v25, 0x3c000000, v25
	v_add_nc_u32_e32 v41, 0x1000000, v21
	v_dual_ashrrev_i32 v31, 8, v31 :: v_dual_ashrrev_i32 v36, 8, v36
	v_sub_nc_u32_e32 v55, v56, v55
	v_add_nc_u32_e32 v56, 0x1000000, v28
	v_and_or_b32 v25, 0x7f800000, v26, v25
	v_add_nc_u32_e32 v30, 0x3c000000, v30
	v_add_nc_u32_e32 v35, 0x3c000000, v35
	s_delay_alu instid0(VALU_DEP_4)
	v_dual_ashrrev_i32 v57, 8, v57 :: v_dual_ashrrev_i32 v56, 8, v56
	v_add_nc_u32_e32 v46, 0x3c000000, v46
	v_cmp_ne_u32_e64 s0, 0, v9
	v_dual_sub_nc_u32 v54, v58, v54 :: v_dual_ashrrev_i32 v41, 8, v41
	v_and_or_b32 v30, 0x7f800000, v31, v30
	v_and_or_b32 v35, 0x7f800000, v36, v35
	;; [unrolled: 1-line block ×3, first 2 shown]
	v_add_nc_u32_e32 v57, 0x1000000, v39
	v_cndmask_b32_e64 v9, 0, v25, s0
	v_cmp_ne_u32_e64 s0, 0, v13
	v_add_nc_u32_e32 v43, 0x1000000, v22
	v_and_b32_e32 v41, 0x7f800000, v41
	v_add_nc_u32_e32 v40, 0x3c000000, v40
	s_delay_alu instid0(VALU_DEP_4) | instskip(SKIP_2) | instid1(VALU_DEP_4)
	v_dual_ashrrev_i32 v57, 8, v57 :: v_dual_cndmask_b32 v13, 0, v30, s0
	v_cmp_ne_u32_e64 s0, 0, v17
	v_add_nc_u32_e32 v45, 0x1000000, v23
	v_dual_ashrrev_i32 v43, 8, v43 :: v_dual_bitop2_b32 v40, v40, v41 bitop3:0x54
	v_add_nc_u32_e32 v42, 0x3c000000, v42
	s_delay_alu instid0(VALU_DEP_4)
	v_cndmask_b32_e64 v17, 0, v35, s0
	v_cmp_ne_u32_e64 s0, 0, v21
	v_add_nc_u32_e32 v58, 0x1000000, v27
	v_ashrrev_i32_e32 v45, 8, v45
	v_add_nc_u32_e32 v44, 0x3c000000, v44
	v_and_or_b32 v42, 0x7f800000, v43, v42
	v_cndmask_b32_e64 v21, 0, v40, s0
	v_cmp_ne_u32_e64 s0, 0, v22
	v_ashrrev_i32_e32 v58, 8, v58
	v_and_or_b32 v44, 0x7f800000, v45, v44
	v_add_nc_u32_e32 v47, 0x3c000000, v47
	v_add_nc_u32_e32 v26, 0x1000000, v29
	v_cndmask_b32_e64 v22, 0, v42, s0
	v_cmp_ne_u32_e64 s0, 0, v23
	v_add_nc_u32_e32 v48, 0x3c000000, v48
	v_and_or_b32 v25, 0x7f800000, v58, v47
	v_add_nc_u32_e32 v31, 0x1000000, v32
	v_add_nc_u32_e32 v36, 0x1000000, v33
	v_cndmask_b32_e64 v23, 0, v44, s0
	v_cmp_ne_u32_e64 s0, 0, v24
	s_delay_alu instid0(VALU_DEP_4) | instskip(SKIP_2) | instid1(VALU_DEP_4)
	v_dual_ashrrev_i32 v26, 8, v26 :: v_dual_ashrrev_i32 v31, 8, v31
	v_add_nc_u32_e32 v49, 0x3c000000, v49
	v_and_or_b32 v47, 0x7f800000, v56, v48
	v_cndmask_b32_e64 v24, 0, v46, s0
	v_cmp_ne_u32_e64 s0, 0, v27
	v_and_or_b32 v4, 0x80000000, v4, v9
	v_add_nc_u32_e32 v41, 0x1000000, v34
	v_ashrrev_i32_e32 v36, 8, v36
	v_add_nc_u32_e32 v50, 0x3c000000, v50
	v_cndmask_b32_e64 v9, 0, v25, s0
	v_cmp_ne_u32_e64 s0, 0, v28
	v_add_nc_u32_e32 v51, 0x3c000000, v51
	v_and_or_b32 v26, 0x7f800000, v26, v49
	v_ashrrev_i32_e32 v41, 8, v41
	v_add_nc_u32_e32 v52, 0x3c000000, v52
	v_cndmask_b32_e64 v25, 0, v47, s0
	v_cmp_ne_u32_e64 s0, 0, v29
	v_and_or_b32 v30, 0x7f800000, v31, v50
	v_and_or_b32 v31, 0x7f800000, v36, v51
	v_add_nc_u32_e32 v43, 0x1000000, v37
	v_and_or_b32 v36, 0x7f800000, v41, v52
	v_cndmask_b32_e64 v26, 0, v26, s0
	v_cmp_ne_u32_e64 s0, 0, v32
	v_and_or_b32 v5, 0x80000000, v5, v13
	v_add_nc_u32_e32 v45, 0x1000000, v38
	v_ashrrev_i32_e32 v43, 8, v43
	v_add_nc_u32_e32 v53, 0x3c000000, v53
	v_cndmask_b32_e64 v13, 0, v30, s0
	v_cmp_ne_u32_e64 s0, 0, v33
	v_ashrrev_i32_e32 v45, 8, v45
	v_add_nc_u32_e32 v54, 0x3c000000, v54
	v_and_or_b32 v35, 0x7f800000, v43, v53
	v_add_nc_u32_e32 v55, 0x3c000000, v55
	v_cndmask_b32_e64 v27, 0, v31, s0
	v_cmp_ne_u32_e64 s0, 0, v34
	v_and_or_b32 v41, 0x7f800000, v45, v54
	v_and_or_b32 v2, 0x80000000, v2, v17
	;; [unrolled: 1-line block ×4, first 2 shown]
	v_cndmask_b32_e64 v28, 0, v36, s0
	v_cmp_ne_u32_e64 s0, 0, v37
	v_and_or_b32 v10, 0x80000000, v11, v25
	v_and_or_b32 v11, 0x80000000, v12, v26
	;; [unrolled: 1-line block ×4, first 2 shown]
	v_cndmask_b32_e64 v17, 0, v35, s0
	v_cmp_ne_u32_e64 s0, 0, v38
	v_and_or_b32 v14, 0x80000000, v16, v28
	v_and_b32_e32 v3, 0x80000000, v3
	v_and_or_b32 v6, 0x80000000, v6, v22
	v_and_or_b32 v7, 0x80000000, v7, v23
	v_cndmask_b32_e64 v29, 0, v41, s0
	v_cmp_ne_u32_e64 s0, 0, v39
	v_and_or_b32 v15, 0x80000000, v18, v17
	v_or_b32_e32 v3, v21, v3
	v_and_or_b32 v8, 0x80000000, v8, v24
	v_and_or_b32 v16, 0x80000000, v19, v29
	v_cndmask_b32_e64 v30, 0, v43, s0
	v_cmp_eq_f32_e64 s0, v1, v4
	s_delay_alu instid0(VALU_DEP_1) | instskip(SKIP_1) | instid1(VALU_DEP_1)
	v_cndmask_b32_e64 v18, 0, 1, s0
	v_cmp_neq_f32_e64 s0, v1, v4
	v_cndmask_b32_e64 v4, 0, 1, s0
	v_cmp_eq_f32_e64 s0, v1, v5
	s_delay_alu instid0(VALU_DEP_2) | instskip(NEXT) | instid1(VALU_DEP_2)
	v_cndmask_b32_e32 v4, v4, v18, vcc_lo
	v_cndmask_b32_e64 v19, 0, 1, s0
	v_cmp_neq_f32_e64 s0, v1, v5
	s_delay_alu instid0(VALU_DEP_3) | instskip(SKIP_1) | instid1(VALU_DEP_3)
	v_and_b32_e32 v4, 1, v4
	v_and_or_b32 v17, 0x80000000, v20, v30
	v_cndmask_b32_e64 v5, 0, 1, s0
	v_cmp_eq_f32_e64 s0, v1, v2
	s_delay_alu instid0(VALU_DEP_4) | instskip(NEXT) | instid1(VALU_DEP_3)
	v_lshlrev_b16 v4, 8, v4
	v_cndmask_b32_e32 v5, v5, v19, vcc_lo
	s_delay_alu instid0(VALU_DEP_3) | instskip(SKIP_1) | instid1(VALU_DEP_3)
	v_cndmask_b32_e64 v20, 0, 1, s0
	v_cmp_neq_f32_e64 s0, v1, v2
	v_and_b32_e32 v5, 1, v5
	s_delay_alu instid0(VALU_DEP_2) | instskip(SKIP_1) | instid1(VALU_DEP_3)
	v_cndmask_b32_e64 v2, 0, 1, s0
	v_cmp_eq_f32_e64 s0, v1, v3
	v_lshlrev_b16 v5, 8, v5
	s_delay_alu instid0(VALU_DEP_3) | instskip(NEXT) | instid1(VALU_DEP_3)
	v_cndmask_b32_e32 v2, v2, v20, vcc_lo
	v_cndmask_b32_e64 v21, 0, 1, s0
	v_cmp_neq_f32_e64 s0, v1, v3
	s_delay_alu instid0(VALU_DEP_3) | instskip(NEXT) | instid1(VALU_DEP_2)
	v_and_b32_e32 v2, 1, v2
	v_cndmask_b32_e64 v3, 0, 1, s0
	v_cmp_eq_f32_e64 s0, v1, v6
	s_delay_alu instid0(VALU_DEP_3) | instskip(NEXT) | instid1(VALU_DEP_3)
	v_lshlrev_b16 v2, 8, v2
	v_cndmask_b32_e32 v3, v3, v21, vcc_lo
	s_delay_alu instid0(VALU_DEP_3) | instskip(SKIP_1) | instid1(VALU_DEP_3)
	v_cndmask_b32_e64 v22, 0, 1, s0
	v_cmp_neq_f32_e64 s0, v1, v6
	v_and_b32_e32 v3, 1, v3
	s_delay_alu instid0(VALU_DEP_2) | instskip(SKIP_1) | instid1(VALU_DEP_3)
	v_cndmask_b32_e64 v6, 0, 1, s0
	v_cmp_eq_f32_e64 s0, v1, v7
	v_lshlrev_b16 v3, 8, v3
	s_delay_alu instid0(VALU_DEP_3) | instskip(NEXT) | instid1(VALU_DEP_3)
	v_cndmask_b32_e32 v6, v6, v22, vcc_lo
	v_cndmask_b32_e64 v23, 0, 1, s0
	v_cmp_neq_f32_e64 s0, v1, v7
	s_delay_alu instid0(VALU_DEP_1) | instskip(SKIP_1) | instid1(VALU_DEP_2)
	v_cndmask_b32_e64 v7, 0, 1, s0
	v_cmp_eq_f32_e64 s0, v1, v8
	v_cndmask_b32_e32 v7, v7, v23, vcc_lo
	s_delay_alu instid0(VALU_DEP_2) | instskip(SKIP_1) | instid1(VALU_DEP_1)
	v_cndmask_b32_e64 v24, 0, 1, s0
	v_cmp_neq_f32_e64 s0, v1, v8
	v_cndmask_b32_e64 v8, 0, 1, s0
	v_cmp_eq_f32_e64 s0, v1, v9
	s_delay_alu instid0(VALU_DEP_2) | instskip(NEXT) | instid1(VALU_DEP_2)
	v_cndmask_b32_e32 v8, v8, v24, vcc_lo
	v_cndmask_b32_e64 v25, 0, 1, s0
	v_cmp_neq_f32_e64 s0, v1, v9
	s_delay_alu instid0(VALU_DEP_3) | instskip(NEXT) | instid1(VALU_DEP_2)
	v_bitop3_b16 v4, v8, v4, 1 bitop3:0xec
	v_cndmask_b32_e64 v9, 0, 1, s0
	v_cmp_eq_f32_e64 s0, v1, v10
	s_delay_alu instid0(VALU_DEP_2) | instskip(NEXT) | instid1(VALU_DEP_2)
	v_dual_cndmask_b32 v9, v9, v25 :: v_dual_lshlrev_b32 v4, 16, v4
	v_cndmask_b32_e64 v26, 0, 1, s0
	v_cmp_neq_f32_e64 s0, v1, v10
	s_delay_alu instid0(VALU_DEP_1) | instskip(SKIP_1) | instid1(VALU_DEP_2)
	v_cndmask_b32_e64 v10, 0, 1, s0
	v_cmp_eq_f32_e64 s0, v1, v11
	v_cndmask_b32_e32 v10, v10, v26, vcc_lo
	s_delay_alu instid0(VALU_DEP_2) | instskip(SKIP_1) | instid1(VALU_DEP_3)
	v_cndmask_b32_e64 v27, 0, 1, s0
	v_cmp_neq_f32_e64 s0, v1, v11
	v_and_b32_e32 v10, 1, v10
	s_delay_alu instid0(VALU_DEP_2) | instskip(SKIP_1) | instid1(VALU_DEP_3)
	v_cndmask_b32_e64 v11, 0, 1, s0
	v_cmp_eq_f32_e64 s0, v1, v12
	v_lshlrev_b16 v10, 8, v10
	s_delay_alu instid0(VALU_DEP_3) | instskip(NEXT) | instid1(VALU_DEP_3)
	v_cndmask_b32_e32 v11, v11, v27, vcc_lo
	v_cndmask_b32_e64 v28, 0, 1, s0
	v_cmp_neq_f32_e64 s0, v1, v12
	s_delay_alu instid0(VALU_DEP_4) | instskip(NEXT) | instid1(VALU_DEP_4)
	v_bitop3_b16 v9, v9, v10, 1 bitop3:0xec
	v_bitop3_b16 v5, v11, v5, 1 bitop3:0xec
	v_and_b32_e32 v7, 1, v7
	s_delay_alu instid0(VALU_DEP_4)
	v_cndmask_b32_e64 v12, 0, 1, s0
	v_cmp_eq_f32_e64 s0, v1, v13
	v_and_b32_e32 v9, 0xffff, v9
	v_lshlrev_b32_e32 v5, 16, v5
	v_lshlrev_b16 v7, 8, v7
	v_cndmask_b32_e32 v12, v12, v28, vcc_lo
	v_cndmask_b32_e64 v29, 0, 1, s0
	v_cmp_neq_f32_e64 s0, v1, v13
	v_or_b32_e32 v5, v9, v5
	v_bitop3_b16 v6, v6, v7, 1 bitop3:0xec
	s_delay_alu instid0(VALU_DEP_3) | instskip(SKIP_1) | instid1(VALU_DEP_3)
	v_cndmask_b32_e64 v13, 0, 1, s0
	v_cmp_eq_f32_e64 s0, v1, v14
	v_and_b32_e32 v6, 0xffff, v6
	s_delay_alu instid0(VALU_DEP_3) | instskip(NEXT) | instid1(VALU_DEP_3)
	v_cndmask_b32_e32 v13, v13, v29, vcc_lo
	v_cndmask_b32_e64 v30, 0, 1, s0
	v_cmp_neq_f32_e64 s0, v1, v14
	s_delay_alu instid0(VALU_DEP_4) | instskip(NEXT) | instid1(VALU_DEP_4)
	v_or_b32_e32 v4, v6, v4
	v_and_b32_e32 v13, 1, v13
	s_delay_alu instid0(VALU_DEP_3) | instskip(SKIP_1) | instid1(VALU_DEP_3)
	v_cndmask_b32_e64 v14, 0, 1, s0
	v_cmp_eq_f32_e64 s0, v1, v15
	v_lshlrev_b16 v13, 8, v13
	s_delay_alu instid0(VALU_DEP_3) | instskip(NEXT) | instid1(VALU_DEP_3)
	v_cndmask_b32_e32 v14, v14, v30, vcc_lo
	v_cndmask_b32_e64 v31, 0, 1, s0
	v_cmp_neq_f32_e64 s0, v1, v15
	s_delay_alu instid0(VALU_DEP_3) | instskip(NEXT) | instid1(VALU_DEP_2)
	v_bitop3_b16 v2, v14, v2, 1 bitop3:0xec
	v_cndmask_b32_e64 v15, 0, 1, s0
	v_cmp_eq_f32_e64 s0, v1, v16
	s_delay_alu instid0(VALU_DEP_2) | instskip(NEXT) | instid1(VALU_DEP_2)
	v_dual_cndmask_b32 v15, v15, v31 :: v_dual_lshlrev_b32 v2, 16, v2
	v_cndmask_b32_e64 v32, 0, 1, s0
	v_cmp_neq_f32_e64 s0, v1, v16
	s_delay_alu instid0(VALU_DEP_1) | instskip(SKIP_1) | instid1(VALU_DEP_2)
	v_cndmask_b32_e64 v16, 0, 1, s0
	v_cmp_eq_f32_e64 s0, v1, v17
	v_cndmask_b32_e32 v16, v16, v32, vcc_lo
	s_delay_alu instid0(VALU_DEP_2) | instskip(SKIP_1) | instid1(VALU_DEP_3)
	v_cndmask_b32_e64 v33, 0, 1, s0
	v_cmp_neq_f32_e64 s0, v1, v17
	v_and_b32_e32 v16, 1, v16
	s_delay_alu instid0(VALU_DEP_2) | instskip(SKIP_1) | instid1(VALU_DEP_2)
	v_cndmask_b32_e64 v1, 0, 1, s0
	s_mov_b32 s0, 0
	v_lshlrev_b16 v16, 8, v16
	s_delay_alu instid0(VALU_DEP_2) | instskip(NEXT) | instid1(VALU_DEP_2)
	v_cndmask_b32_e32 v1, v1, v33, vcc_lo
	v_bitop3_b16 v15, v15, v16, 1 bitop3:0xec
	s_delay_alu instid0(VALU_DEP_2) | instskip(SKIP_1) | instid1(VALU_DEP_3)
	v_bitop3_b16 v1, v1, v3, 1 bitop3:0xec
	v_bitop3_b16 v3, v12, v13, 1 bitop3:0xec
	v_and_b32_e32 v7, 0xffff, v15
	s_delay_alu instid0(VALU_DEP_3) | instskip(NEXT) | instid1(VALU_DEP_3)
	v_lshlrev_b32_e32 v1, 16, v1
	v_and_b32_e32 v8, 0xffff, v3
	s_delay_alu instid0(VALU_DEP_2) | instskip(NEXT) | instid1(VALU_DEP_2)
	v_or_b32_e32 v3, v7, v1
	v_or_b32_e32 v2, v8, v2
	s_clause 0x1
	global_store_b64 v0, v[4:5], s[12:13] scale_offset
	global_store_b64 v0, v[2:3], s[12:13] offset:2048 scale_offset
.LBB278_2:
	s_and_not1_b32 vcc_lo, exec_lo, s0
	s_cbranch_vccnz .LBB278_83
; %bb.3:
	v_cmp_gt_i32_e32 vcc_lo, s8, v0
	s_wait_xcnt 0x0
	v_dual_mov_b32 v11, 0 :: v_dual_mov_b32 v2, 0
	v_dual_mov_b32 v10, 0 :: v_dual_bitop2_b32 v8, s2, v0 bitop3:0x54
	v_or_b32_e32 v9, 0x100, v0
	v_dual_mov_b32 v12, 0 :: v_dual_mov_b32 v13, 0
	v_dual_mov_b32 v14, 0 :: v_dual_mov_b32 v15, 0
	;; [unrolled: 1-line block ×7, first 2 shown]
	s_and_saveexec_b32 s1, vcc_lo
	s_cbranch_execz .LBB278_35
; %bb.4:
	global_load_u8 v23, v8, s[6:7]
	v_or_b32_e32 v1, 0x100, v0
	v_dual_mov_b32 v10, 0 :: v_dual_mov_b32 v22, 0
	v_dual_mov_b32 v5, 0 :: v_dual_mov_b32 v6, 0
	;; [unrolled: 1-line block ×7, first 2 shown]
	v_mov_b32_e32 v11, 0
	s_mov_b32 s3, exec_lo
	s_wait_xcnt 0x0
	v_cmpx_gt_u32_e64 s8, v1
	s_cbranch_execz .LBB278_34
; %bb.5:
	v_dual_mov_b32 v5, 0 :: v_dual_add_nc_u32 v4, s2, v0
	v_or_b32_e32 v1, 0x200, v0
	v_dual_mov_b32 v6, 0 :: v_dual_mov_b32 v21, 0
	global_load_u8 v22, v4, s[6:7] offset:256
	v_dual_mov_b32 v20, 0 :: v_dual_mov_b32 v19, 0
	v_dual_mov_b32 v18, 0 :: v_dual_mov_b32 v17, 0
	;; [unrolled: 1-line block ×5, first 2 shown]
	v_mov_b32_e32 v10, 0
	s_mov_b32 s11, exec_lo
	s_wait_xcnt 0x0
	v_cmpx_gt_u32_e64 s8, v1
	s_cbranch_execz .LBB278_33
; %bb.6:
	v_add_nc_u64_e32 v[6:7], s[6:7], v[4:5]
	v_or_b32_e32 v3, 0x300, v0
	v_dual_mov_b32 v21, 0 :: v_dual_mov_b32 v20, 0
	v_dual_mov_b32 v19, 0 :: v_dual_mov_b32 v18, 0
	;; [unrolled: 1-line block ×3, first 2 shown]
	global_load_u8 v1, v[6:7], off offset:512
	v_dual_mov_b32 v15, 0 :: v_dual_mov_b32 v14, 0
	v_dual_mov_b32 v13, 0 :: v_dual_mov_b32 v12, 0
	;; [unrolled: 1-line block ×3, first 2 shown]
	s_mov_b32 s6, exec_lo
	s_wait_xcnt 0x0
	v_cmpx_gt_u32_e64 s8, v3
	s_cbranch_execz .LBB278_32
; %bb.7:
	global_load_u8 v5, v[6:7], off offset:768
	v_or_b32_e32 v3, 0x400, v0
	v_dual_mov_b32 v10, 0 :: v_dual_mov_b32 v21, 0
	v_dual_mov_b32 v20, 0 :: v_dual_mov_b32 v19, 0
	;; [unrolled: 1-line block ×6, first 2 shown]
	s_mov_b32 s7, exec_lo
	s_wait_xcnt 0x0
	v_cmpx_gt_u32_e64 s8, v3
	s_cbranch_execz .LBB278_31
; %bb.8:
	global_load_u8 v21, v[6:7], off offset:1024
	v_or_b32_e32 v3, 0x500, v0
	v_dual_mov_b32 v10, 0 :: v_dual_mov_b32 v20, 0
	v_dual_mov_b32 v19, 0 :: v_dual_mov_b32 v18, 0
	v_dual_mov_b32 v17, 0 :: v_dual_mov_b32 v16, 0
	v_dual_mov_b32 v15, 0 :: v_dual_mov_b32 v14, 0
	v_dual_mov_b32 v13, 0 :: v_dual_mov_b32 v12, 0
	v_mov_b32_e32 v11, 0
	s_mov_b32 s12, exec_lo
	s_wait_xcnt 0x0
	v_cmpx_gt_u32_e64 s8, v3
	s_cbranch_execz .LBB278_30
; %bb.9:
	global_load_u8 v20, v[6:7], off offset:1280
	v_or_b32_e32 v3, 0x600, v0
	v_dual_mov_b32 v10, 0 :: v_dual_mov_b32 v19, 0
	v_dual_mov_b32 v18, 0 :: v_dual_mov_b32 v17, 0
	;; [unrolled: 1-line block ×5, first 2 shown]
	s_mov_b32 s13, exec_lo
	s_wait_xcnt 0x0
	v_cmpx_gt_u32_e64 s8, v3
	s_cbranch_execz .LBB278_29
; %bb.10:
	global_load_u8 v19, v[6:7], off offset:1536
	v_or_b32_e32 v3, 0x700, v0
	v_dual_mov_b32 v10, 0 :: v_dual_mov_b32 v18, 0
	v_dual_mov_b32 v17, 0 :: v_dual_mov_b32 v16, 0
	;; [unrolled: 1-line block ×4, first 2 shown]
	v_mov_b32_e32 v11, 0
	s_mov_b32 s14, exec_lo
	s_wait_xcnt 0x0
	v_cmpx_gt_u32_e64 s8, v3
	s_cbranch_execz .LBB278_28
; %bb.11:
	global_load_u8 v18, v[6:7], off offset:1792
	v_or_b32_e32 v3, 0x800, v0
	v_dual_mov_b32 v10, 0 :: v_dual_mov_b32 v17, 0
	v_dual_mov_b32 v16, 0 :: v_dual_mov_b32 v15, 0
	;; [unrolled: 1-line block ×4, first 2 shown]
	s_mov_b32 s15, exec_lo
	s_wait_xcnt 0x0
	v_cmpx_gt_u32_e64 s8, v3
	s_cbranch_execz .LBB278_27
; %bb.12:
	global_load_u8 v17, v[6:7], off offset:2048
	v_or_b32_e32 v3, 0x900, v0
	v_dual_mov_b32 v10, 0 :: v_dual_mov_b32 v16, 0
	v_dual_mov_b32 v15, 0 :: v_dual_mov_b32 v14, 0
	;; [unrolled: 1-line block ×3, first 2 shown]
	v_mov_b32_e32 v11, 0
	s_mov_b32 s16, exec_lo
	s_wait_xcnt 0x0
	v_cmpx_gt_u32_e64 s8, v3
	s_cbranch_execz .LBB278_26
; %bb.13:
	global_load_u8 v16, v[6:7], off offset:2304
	v_or_b32_e32 v3, 0xa00, v0
	v_dual_mov_b32 v10, 0 :: v_dual_mov_b32 v15, 0
	v_dual_mov_b32 v14, 0 :: v_dual_mov_b32 v13, 0
	;; [unrolled: 1-line block ×3, first 2 shown]
	s_mov_b32 s17, exec_lo
	s_wait_xcnt 0x0
	v_cmpx_gt_u32_e64 s8, v3
	s_cbranch_execz .LBB278_25
; %bb.14:
	global_load_u8 v15, v[6:7], off offset:2560
	v_or_b32_e32 v3, 0xb00, v0
	v_dual_mov_b32 v10, 0 :: v_dual_mov_b32 v14, 0
	v_dual_mov_b32 v13, 0 :: v_dual_mov_b32 v12, 0
	v_mov_b32_e32 v11, 0
	s_mov_b32 s18, exec_lo
	s_wait_xcnt 0x0
	v_cmpx_gt_u32_e64 s8, v3
	s_cbranch_execz .LBB278_24
; %bb.15:
	global_load_u8 v14, v[6:7], off offset:2816
	v_or_b32_e32 v3, 0xc00, v0
	v_dual_mov_b32 v10, 0 :: v_dual_mov_b32 v13, 0
	v_dual_mov_b32 v12, 0 :: v_dual_mov_b32 v11, 0
	s_mov_b32 s19, exec_lo
	s_wait_xcnt 0x0
	v_cmpx_gt_u32_e64 s8, v3
	s_cbranch_execz .LBB278_23
; %bb.16:
	global_load_u8 v13, v[6:7], off offset:3072
	v_or_b32_e32 v3, 0xd00, v0
	v_dual_mov_b32 v10, 0 :: v_dual_mov_b32 v12, 0
	v_mov_b32_e32 v11, 0
	s_mov_b32 s20, exec_lo
	s_wait_xcnt 0x0
	v_cmpx_gt_u32_e64 s8, v3
	s_cbranch_execz .LBB278_22
; %bb.17:
	global_load_u8 v12, v[6:7], off offset:3328
	v_or_b32_e32 v3, 0xe00, v0
	v_dual_mov_b32 v10, 0 :: v_dual_mov_b32 v11, 0
	s_mov_b32 s21, exec_lo
	s_wait_xcnt 0x0
	s_delay_alu instid0(VALU_DEP_2)
	v_cmpx_gt_u32_e64 s8, v3
	s_cbranch_execz .LBB278_21
; %bb.18:
	global_load_u8 v11, v[6:7], off offset:3584
	v_or_b32_e32 v3, 0xf00, v0
	v_mov_b32_e32 v10, 0
	s_mov_b32 s22, exec_lo
	s_wait_xcnt 0x0
	s_delay_alu instid0(VALU_DEP_2)
	v_cmpx_gt_u32_e64 s8, v3
	s_cbranch_execz .LBB278_20
; %bb.19:
	global_load_u8 v3, v[6:7], off offset:3840
	s_wait_loadcnt 0x0
	v_lshlrev_b32_e32 v10, 24, v3
.LBB278_20:
	s_wait_xcnt 0x0
	s_or_b32 exec_lo, exec_lo, s22
.LBB278_21:
	s_delay_alu instid0(SALU_CYCLE_1)
	s_or_b32 exec_lo, exec_lo, s21
.LBB278_22:
	s_delay_alu instid0(SALU_CYCLE_1)
	s_or_b32 exec_lo, exec_lo, s20
.LBB278_23:
	s_delay_alu instid0(SALU_CYCLE_1)
	s_or_b32 exec_lo, exec_lo, s19
.LBB278_24:
	s_delay_alu instid0(SALU_CYCLE_1)
	s_or_b32 exec_lo, exec_lo, s18
.LBB278_25:
	s_delay_alu instid0(SALU_CYCLE_1)
	s_or_b32 exec_lo, exec_lo, s17
.LBB278_26:
	s_delay_alu instid0(SALU_CYCLE_1)
	s_or_b32 exec_lo, exec_lo, s16
.LBB278_27:
	s_delay_alu instid0(SALU_CYCLE_1)
	s_or_b32 exec_lo, exec_lo, s15
.LBB278_28:
	s_delay_alu instid0(SALU_CYCLE_1)
	s_or_b32 exec_lo, exec_lo, s14
.LBB278_29:
	s_delay_alu instid0(SALU_CYCLE_1)
	s_or_b32 exec_lo, exec_lo, s13
.LBB278_30:
	s_delay_alu instid0(SALU_CYCLE_1)
	s_or_b32 exec_lo, exec_lo, s12
.LBB278_31:
	s_delay_alu instid0(SALU_CYCLE_1)
	s_or_b32 exec_lo, exec_lo, s7
.LBB278_32:
	s_delay_alu instid0(SALU_CYCLE_1)
	s_or_b32 exec_lo, exec_lo, s6
	s_wait_loadcnt 0x0
	v_dual_mov_b32 v6, v5 :: v_dual_mov_b32 v5, v1
.LBB278_33:
	s_or_b32 exec_lo, exec_lo, s11
.LBB278_34:
	s_delay_alu instid0(SALU_CYCLE_1)
	s_or_b32 exec_lo, exec_lo, s3
.LBB278_35:
	s_delay_alu instid0(SALU_CYCLE_1)
	s_or_b32 exec_lo, exec_lo, s1
	s_cmp_eq_u32 s9, 0
	v_mov_b32_e32 v3, v2
	s_cselect_b32 s0, -1, 0
	s_lshl_b32 s1, s10, 24
	v_mov_b32_e32 v4, v2
	s_and_b32 s3, s1, 0x7f000000
	s_and_b32 s1, s1, 0x80000000
	s_clz_i32_u32 s6, s3
	s_add_co_i32 s7, s3, 0x1000000
	s_min_u32 s6, s6, 32
	s_ashr_i32 s7, s7, 8
	v_sub_nc_u32_e64 v1, s6, 4 clamp
	s_and_b32 s7, s7, 0x7f800000
	s_delay_alu instid0(VALU_DEP_1) | instskip(SKIP_4) | instid1(SALU_CYCLE_1)
	v_readfirstlane_b32 s6, v1
	v_mov_b32_e32 v1, v2
	s_lshl_b32 s9, s3, s6
	s_lshl_b32 s6, s6, 23
	s_lshr_b32 s9, s9, 4
	s_sub_co_i32 s6, s9, s6
	s_delay_alu instid0(SALU_CYCLE_1) | instskip(NEXT) | instid1(SALU_CYCLE_1)
	s_add_co_i32 s6, s6, 0x3c000000
	s_or_b32 s6, s6, s7
	s_cmp_lg_u32 s3, 0
	s_cselect_b32 s3, s6, 0
	s_delay_alu instid0(SALU_CYCLE_1)
	s_or_b32 s3, s3, s1
	s_and_saveexec_b32 s6, vcc_lo
	s_cbranch_execz .LBB278_37
; %bb.36:
	s_wait_loadcnt 0x0
	v_lshlrev_b32_e32 v1, 24, v23
	s_delay_alu instid0(VALU_DEP_1) | instskip(NEXT) | instid1(VALU_DEP_1)
	v_and_b32_e32 v2, 0x7f000000, v1
	v_clz_i32_u32_e32 v3, v2
	v_add_nc_u32_e32 v7, 0x1000000, v2
	v_cmp_ne_u32_e64 s1, 0, v2
	s_delay_alu instid0(VALU_DEP_3) | instskip(NEXT) | instid1(VALU_DEP_1)
	v_min_u32_e32 v3, 32, v3
	v_sub_nc_u32_e64 v3, v3, 4 clamp
	s_delay_alu instid0(VALU_DEP_1) | instskip(NEXT) | instid1(VALU_DEP_1)
	v_dual_lshlrev_b32 v4, v3, v2 :: v_dual_lshlrev_b32 v3, 23, v3
	v_lshrrev_b32_e32 v4, 4, v4
	s_delay_alu instid0(VALU_DEP_1) | instskip(SKIP_1) | instid1(VALU_DEP_2)
	v_sub_nc_u32_e32 v3, v4, v3
	v_ashrrev_i32_e32 v4, 8, v7
	v_add_nc_u32_e32 v3, 0x3c000000, v3
	s_delay_alu instid0(VALU_DEP_1) | instskip(NEXT) | instid1(VALU_DEP_1)
	v_and_or_b32 v3, 0x7f800000, v4, v3
	v_cndmask_b32_e64 v2, 0, v3, s1
	s_delay_alu instid0(VALU_DEP_1) | instskip(NEXT) | instid1(VALU_DEP_1)
	v_and_or_b32 v1, 0x80000000, v1, v2
	v_cmp_eq_f32_e64 s1, s3, v1
	s_delay_alu instid0(VALU_DEP_1) | instskip(SKIP_1) | instid1(VALU_DEP_1)
	v_cndmask_b32_e64 v2, 0, 1, s1
	v_cmp_neq_f32_e64 s1, s3, v1
	v_cndmask_b32_e64 v1, 0, 1, s1
	s_delay_alu instid0(VALU_DEP_1) | instskip(NEXT) | instid1(VALU_DEP_1)
	v_dual_cndmask_b32 v2, v1, v2, s0 :: v_dual_mov_b32 v1, 0
	v_dual_mov_b32 v4, v1 :: v_dual_bitop2_b32 v2, 1, v2 bitop3:0x40
	v_mov_b32_e32 v3, v1
	s_delay_alu instid0(VALU_DEP_2)
	v_and_b32_e32 v2, 0xffff, v2
.LBB278_37:
	s_or_b32 exec_lo, exec_lo, s6
	s_delay_alu instid0(SALU_CYCLE_1)
	s_mov_b32 s6, exec_lo
	v_cmpx_gt_i32_e64 s8, v9
	s_cbranch_execz .LBB278_39
; %bb.38:
	s_wait_loadcnt 0x0
	v_lshlrev_b32_e32 v7, 24, v22
	s_delay_alu instid0(VALU_DEP_1) | instskip(NEXT) | instid1(VALU_DEP_1)
	v_and_b32_e32 v22, 0x7f000000, v7
	v_clz_i32_u32_e32 v23, v22
	v_add_nc_u32_e32 v25, 0x1000000, v22
	v_cmp_ne_u32_e64 s1, 0, v22
	s_delay_alu instid0(VALU_DEP_3) | instskip(NEXT) | instid1(VALU_DEP_1)
	v_min_u32_e32 v23, 32, v23
	v_sub_nc_u32_e64 v23, v23, 4 clamp
	s_delay_alu instid0(VALU_DEP_1) | instskip(NEXT) | instid1(VALU_DEP_1)
	v_dual_lshlrev_b32 v24, v23, v22 :: v_dual_lshlrev_b32 v23, 23, v23
	v_lshrrev_b32_e32 v24, 4, v24
	s_delay_alu instid0(VALU_DEP_1) | instskip(NEXT) | instid1(VALU_DEP_1)
	v_dual_sub_nc_u32 v23, v24, v23 :: v_dual_ashrrev_i32 v24, 8, v25
	v_add_nc_u32_e32 v23, 0x3c000000, v23
	s_delay_alu instid0(VALU_DEP_1) | instskip(NEXT) | instid1(VALU_DEP_1)
	v_and_or_b32 v23, 0x7f800000, v24, v23
	v_cndmask_b32_e64 v22, 0, v23, s1
	s_delay_alu instid0(VALU_DEP_1) | instskip(NEXT) | instid1(VALU_DEP_1)
	v_and_or_b32 v7, 0x80000000, v7, v22
	v_cmp_eq_f32_e64 s1, s3, v7
	s_delay_alu instid0(VALU_DEP_1) | instskip(SKIP_1) | instid1(VALU_DEP_1)
	v_cndmask_b32_e64 v22, 0, 1, s1
	v_cmp_neq_f32_e64 s1, s3, v7
	v_cndmask_b32_e64 v7, 0, 1, s1
	s_delay_alu instid0(VALU_DEP_1) | instskip(NEXT) | instid1(VALU_DEP_1)
	v_cndmask_b32_e64 v7, v7, v22, s0
	v_and_b32_e32 v7, 1, v7
	s_delay_alu instid0(VALU_DEP_1) | instskip(NEXT) | instid1(VALU_DEP_1)
	v_lshlrev_b16 v7, 8, v7
	v_bitop3_b16 v7, v2, v7, 0xff bitop3:0xec
	s_delay_alu instid0(VALU_DEP_1) | instskip(NEXT) | instid1(VALU_DEP_1)
	v_and_b32_e32 v7, 0xffff, v7
	v_and_or_b32 v2, 0xffff0000, v2, v7
.LBB278_39:
	s_or_b32 exec_lo, exec_lo, s6
	v_or_b32_e32 v7, 0x200, v0
	s_mov_b32 s6, exec_lo
	s_delay_alu instid0(VALU_DEP_1)
	v_cmpx_gt_i32_e64 s8, v7
	s_cbranch_execz .LBB278_41
; %bb.40:
	v_lshlrev_b32_e32 v5, 24, v5
	s_delay_alu instid0(VALU_DEP_1) | instskip(SKIP_1) | instid1(VALU_DEP_1)
	v_and_b32_e32 v7, 0x7f000000, v5
	s_wait_loadcnt 0x0
	v_clz_i32_u32_e32 v22, v7
	v_add_nc_u32_e32 v24, 0x1000000, v7
	v_cmp_ne_u32_e64 s1, 0, v7
	s_delay_alu instid0(VALU_DEP_3) | instskip(NEXT) | instid1(VALU_DEP_1)
	v_min_u32_e32 v22, 32, v22
	v_sub_nc_u32_e64 v22, v22, 4 clamp
	s_delay_alu instid0(VALU_DEP_1) | instskip(NEXT) | instid1(VALU_DEP_1)
	v_dual_lshlrev_b32 v23, v22, v7 :: v_dual_lshlrev_b32 v22, 23, v22
	v_lshrrev_b32_e32 v23, 4, v23
	s_delay_alu instid0(VALU_DEP_1) | instskip(NEXT) | instid1(VALU_DEP_1)
	v_dual_sub_nc_u32 v22, v23, v22 :: v_dual_ashrrev_i32 v23, 8, v24
	v_add_nc_u32_e32 v22, 0x3c000000, v22
	s_delay_alu instid0(VALU_DEP_1) | instskip(NEXT) | instid1(VALU_DEP_1)
	v_and_or_b32 v22, 0x7f800000, v23, v22
	v_cndmask_b32_e64 v7, 0, v22, s1
	s_delay_alu instid0(VALU_DEP_1) | instskip(SKIP_1) | instid1(VALU_DEP_2)
	v_and_or_b32 v5, 0x80000000, v5, v7
	v_lshrrev_b32_e32 v7, 16, v2
	v_cmp_eq_f32_e64 s1, s3, v5
	s_delay_alu instid0(VALU_DEP_2) | instskip(NEXT) | instid1(VALU_DEP_2)
	v_and_b32_e32 v7, 0xffffff00, v7
	v_cndmask_b32_e64 v22, 0, 1, s1
	v_cmp_neq_f32_e64 s1, s3, v5
	s_delay_alu instid0(VALU_DEP_1) | instskip(NEXT) | instid1(VALU_DEP_1)
	v_cndmask_b32_e64 v5, 0, 1, s1
	v_cndmask_b32_e64 v5, v5, v22, s0
	s_delay_alu instid0(VALU_DEP_1) | instskip(NEXT) | instid1(VALU_DEP_1)
	v_bitop3_b16 v5, v5, v7, 1 bitop3:0xec
	v_lshlrev_b32_e32 v5, 16, v5
	s_delay_alu instid0(VALU_DEP_1)
	v_and_or_b32 v2, 0xffff, v2, v5
.LBB278_41:
	s_or_b32 exec_lo, exec_lo, s6
	v_or_b32_e32 v5, 0x300, v0
	s_mov_b32 s6, exec_lo
	s_delay_alu instid0(VALU_DEP_1)
	v_cmpx_gt_i32_e64 s8, v5
	s_cbranch_execz .LBB278_43
; %bb.42:
	v_lshlrev_b32_e32 v5, 24, v6
	s_delay_alu instid0(VALU_DEP_1) | instskip(NEXT) | instid1(VALU_DEP_1)
	v_and_b32_e32 v6, 0x7f000000, v5
	v_clz_i32_u32_e32 v7, v6
	s_wait_loadcnt 0x0
	v_add_nc_u32_e32 v23, 0x1000000, v6
	v_cmp_ne_u32_e64 s1, 0, v6
	s_delay_alu instid0(VALU_DEP_3) | instskip(NEXT) | instid1(VALU_DEP_1)
	v_min_u32_e32 v7, 32, v7
	v_sub_nc_u32_e64 v7, v7, 4 clamp
	s_delay_alu instid0(VALU_DEP_1) | instskip(NEXT) | instid1(VALU_DEP_1)
	v_dual_lshlrev_b32 v22, v7, v6 :: v_dual_lshlrev_b32 v7, 23, v7
	v_lshrrev_b32_e32 v22, 4, v22
	s_delay_alu instid0(VALU_DEP_1) | instskip(SKIP_1) | instid1(VALU_DEP_2)
	v_sub_nc_u32_e32 v7, v22, v7
	v_ashrrev_i32_e32 v22, 8, v23
	v_add_nc_u32_e32 v7, 0x3c000000, v7
	s_delay_alu instid0(VALU_DEP_1) | instskip(NEXT) | instid1(VALU_DEP_1)
	v_and_or_b32 v7, 0x7f800000, v22, v7
	v_cndmask_b32_e64 v6, 0, v7, s1
	s_delay_alu instid0(VALU_DEP_1) | instskip(NEXT) | instid1(VALU_DEP_1)
	v_and_or_b32 v5, 0x80000000, v5, v6
	v_cmp_eq_f32_e64 s1, s3, v5
	s_delay_alu instid0(VALU_DEP_1) | instskip(SKIP_1) | instid1(VALU_DEP_1)
	v_cndmask_b32_e64 v6, 0, 1, s1
	v_cmp_neq_f32_e64 s1, s3, v5
	v_cndmask_b32_e64 v5, 0, 1, s1
	s_delay_alu instid0(VALU_DEP_1) | instskip(NEXT) | instid1(VALU_DEP_1)
	v_cndmask_b32_e64 v5, v5, v6, s0
	v_dual_lshrrev_b32 v6, 16, v2 :: v_dual_bitop2_b32 v5, 1, v5 bitop3:0x40
	s_delay_alu instid0(VALU_DEP_1) | instskip(NEXT) | instid1(VALU_DEP_1)
	v_lshlrev_b16 v5, 8, v5
	v_bitop3_b16 v5, v6, v5, 0xff bitop3:0xec
	s_delay_alu instid0(VALU_DEP_1) | instskip(NEXT) | instid1(VALU_DEP_1)
	v_lshlrev_b32_e32 v5, 16, v5
	v_and_or_b32 v2, 0xffff, v2, v5
.LBB278_43:
	s_or_b32 exec_lo, exec_lo, s6
	v_or_b32_e32 v5, 0x400, v0
	s_mov_b32 s6, exec_lo
	s_delay_alu instid0(VALU_DEP_1)
	v_cmpx_gt_i32_e64 s8, v5
	s_cbranch_execz .LBB278_45
; %bb.44:
	v_lshlrev_b32_e32 v5, 24, v21
	s_delay_alu instid0(VALU_DEP_1) | instskip(NEXT) | instid1(VALU_DEP_1)
	v_and_b32_e32 v6, 0x7f000000, v5
	v_clz_i32_u32_e32 v7, v6
	s_wait_loadcnt 0x0
	v_add_nc_u32_e32 v22, 0x1000000, v6
	v_cmp_ne_u32_e64 s1, 0, v6
	s_delay_alu instid0(VALU_DEP_3) | instskip(NEXT) | instid1(VALU_DEP_1)
	v_min_u32_e32 v7, 32, v7
	v_sub_nc_u32_e64 v7, v7, 4 clamp
	s_delay_alu instid0(VALU_DEP_1) | instskip(NEXT) | instid1(VALU_DEP_1)
	v_dual_lshlrev_b32 v21, v7, v6 :: v_dual_lshlrev_b32 v7, 23, v7
	v_lshrrev_b32_e32 v21, 4, v21
	s_delay_alu instid0(VALU_DEP_1) | instskip(NEXT) | instid1(VALU_DEP_1)
	v_dual_sub_nc_u32 v7, v21, v7 :: v_dual_ashrrev_i32 v21, 8, v22
	v_add_nc_u32_e32 v7, 0x3c000000, v7
	s_delay_alu instid0(VALU_DEP_1) | instskip(NEXT) | instid1(VALU_DEP_1)
	v_and_or_b32 v7, 0x7f800000, v21, v7
	v_cndmask_b32_e64 v6, 0, v7, s1
	v_and_b32_e32 v7, 0xffffff00, v1
	s_delay_alu instid0(VALU_DEP_2) | instskip(NEXT) | instid1(VALU_DEP_1)
	v_and_or_b32 v5, 0x80000000, v5, v6
	v_cmp_eq_f32_e64 s1, s3, v5
	s_delay_alu instid0(VALU_DEP_1) | instskip(SKIP_1) | instid1(VALU_DEP_1)
	v_cndmask_b32_e64 v6, 0, 1, s1
	v_cmp_neq_f32_e64 s1, s3, v5
	v_cndmask_b32_e64 v5, 0, 1, s1
	s_delay_alu instid0(VALU_DEP_1) | instskip(NEXT) | instid1(VALU_DEP_1)
	v_cndmask_b32_e64 v5, v5, v6, s0
	v_bitop3_b16 v5, v5, v7, 1 bitop3:0xec
	s_delay_alu instid0(VALU_DEP_1) | instskip(NEXT) | instid1(VALU_DEP_1)
	v_and_b32_e32 v5, 0xffff, v5
	v_and_or_b32 v1, 0xffff0000, v1, v5
.LBB278_45:
	s_or_b32 exec_lo, exec_lo, s6
	v_or_b32_e32 v5, 0x500, v0
	s_mov_b32 s6, exec_lo
	s_delay_alu instid0(VALU_DEP_1)
	v_cmpx_gt_i32_e64 s8, v5
	s_cbranch_execz .LBB278_47
; %bb.46:
	v_lshlrev_b32_e32 v5, 24, v20
	s_delay_alu instid0(VALU_DEP_1) | instskip(NEXT) | instid1(VALU_DEP_1)
	v_and_b32_e32 v6, 0x7f000000, v5
	v_clz_i32_u32_e32 v7, v6
	v_add_nc_u32_e32 v21, 0x1000000, v6
	v_cmp_ne_u32_e64 s1, 0, v6
	s_delay_alu instid0(VALU_DEP_3) | instskip(NEXT) | instid1(VALU_DEP_1)
	v_min_u32_e32 v7, 32, v7
	v_sub_nc_u32_e64 v7, v7, 4 clamp
	s_delay_alu instid0(VALU_DEP_1) | instskip(NEXT) | instid1(VALU_DEP_1)
	v_dual_lshlrev_b32 v20, v7, v6 :: v_dual_lshlrev_b32 v7, 23, v7
	v_lshrrev_b32_e32 v20, 4, v20
	s_delay_alu instid0(VALU_DEP_1) | instskip(NEXT) | instid1(VALU_DEP_1)
	v_dual_sub_nc_u32 v7, v20, v7 :: v_dual_ashrrev_i32 v20, 8, v21
	v_add_nc_u32_e32 v7, 0x3c000000, v7
	s_delay_alu instid0(VALU_DEP_1) | instskip(NEXT) | instid1(VALU_DEP_1)
	v_and_or_b32 v7, 0x7f800000, v20, v7
	v_cndmask_b32_e64 v6, 0, v7, s1
	s_delay_alu instid0(VALU_DEP_1) | instskip(NEXT) | instid1(VALU_DEP_1)
	v_and_or_b32 v5, 0x80000000, v5, v6
	v_cmp_eq_f32_e64 s1, s3, v5
	s_delay_alu instid0(VALU_DEP_1) | instskip(SKIP_1) | instid1(VALU_DEP_1)
	v_cndmask_b32_e64 v6, 0, 1, s1
	v_cmp_neq_f32_e64 s1, s3, v5
	v_cndmask_b32_e64 v5, 0, 1, s1
	s_delay_alu instid0(VALU_DEP_1) | instskip(NEXT) | instid1(VALU_DEP_1)
	v_cndmask_b32_e64 v5, v5, v6, s0
	v_and_b32_e32 v5, 1, v5
	s_delay_alu instid0(VALU_DEP_1) | instskip(NEXT) | instid1(VALU_DEP_1)
	v_lshlrev_b16 v5, 8, v5
	v_bitop3_b16 v5, v1, v5, 0xff bitop3:0xec
	s_delay_alu instid0(VALU_DEP_1) | instskip(NEXT) | instid1(VALU_DEP_1)
	v_and_b32_e32 v5, 0xffff, v5
	v_and_or_b32 v1, 0xffff0000, v1, v5
.LBB278_47:
	s_or_b32 exec_lo, exec_lo, s6
	v_or_b32_e32 v5, 0x600, v0
	s_mov_b32 s6, exec_lo
	s_delay_alu instid0(VALU_DEP_1)
	v_cmpx_gt_i32_e64 s8, v5
	s_cbranch_execz .LBB278_49
; %bb.48:
	v_lshlrev_b32_e32 v5, 24, v19
	s_delay_alu instid0(VALU_DEP_1) | instskip(NEXT) | instid1(VALU_DEP_1)
	v_and_b32_e32 v6, 0x7f000000, v5
	v_clz_i32_u32_e32 v7, v6
	v_add_nc_u32_e32 v20, 0x1000000, v6
	v_cmp_ne_u32_e64 s1, 0, v6
	s_delay_alu instid0(VALU_DEP_3) | instskip(NEXT) | instid1(VALU_DEP_1)
	v_min_u32_e32 v7, 32, v7
	v_sub_nc_u32_e64 v7, v7, 4 clamp
	s_delay_alu instid0(VALU_DEP_1) | instskip(NEXT) | instid1(VALU_DEP_1)
	v_dual_lshlrev_b32 v19, v7, v6 :: v_dual_lshlrev_b32 v7, 23, v7
	v_lshrrev_b32_e32 v19, 4, v19
	s_delay_alu instid0(VALU_DEP_1) | instskip(NEXT) | instid1(VALU_DEP_1)
	v_dual_sub_nc_u32 v7, v19, v7 :: v_dual_ashrrev_i32 v19, 8, v20
	v_add_nc_u32_e32 v7, 0x3c000000, v7
	s_delay_alu instid0(VALU_DEP_1) | instskip(NEXT) | instid1(VALU_DEP_1)
	v_and_or_b32 v7, 0x7f800000, v19, v7
	v_cndmask_b32_e64 v6, 0, v7, s1
	s_delay_alu instid0(VALU_DEP_1) | instskip(SKIP_1) | instid1(VALU_DEP_2)
	v_and_or_b32 v5, 0x80000000, v5, v6
	v_lshrrev_b32_e32 v6, 16, v1
	v_cmp_eq_f32_e64 s1, s3, v5
	s_delay_alu instid0(VALU_DEP_2) | instskip(NEXT) | instid1(VALU_DEP_2)
	v_and_b32_e32 v6, 0xffffff00, v6
	v_cndmask_b32_e64 v7, 0, 1, s1
	v_cmp_neq_f32_e64 s1, s3, v5
	s_delay_alu instid0(VALU_DEP_1) | instskip(NEXT) | instid1(VALU_DEP_1)
	v_cndmask_b32_e64 v5, 0, 1, s1
	v_cndmask_b32_e64 v5, v5, v7, s0
	s_delay_alu instid0(VALU_DEP_1) | instskip(NEXT) | instid1(VALU_DEP_1)
	v_bitop3_b16 v5, v5, v6, 1 bitop3:0xec
	v_lshlrev_b32_e32 v5, 16, v5
	s_delay_alu instid0(VALU_DEP_1)
	v_and_or_b32 v1, 0xffff, v1, v5
.LBB278_49:
	s_or_b32 exec_lo, exec_lo, s6
	v_or_b32_e32 v5, 0x700, v0
	s_mov_b32 s6, exec_lo
	s_delay_alu instid0(VALU_DEP_1)
	v_cmpx_gt_i32_e64 s8, v5
	s_cbranch_execz .LBB278_51
; %bb.50:
	v_lshlrev_b32_e32 v5, 24, v18
	s_delay_alu instid0(VALU_DEP_1) | instskip(NEXT) | instid1(VALU_DEP_1)
	v_and_b32_e32 v6, 0x7f000000, v5
	v_clz_i32_u32_e32 v7, v6
	v_cmp_ne_u32_e64 s1, 0, v6
	v_add_nc_u32_e32 v19, 0x1000000, v6
	s_delay_alu instid0(VALU_DEP_3) | instskip(NEXT) | instid1(VALU_DEP_1)
	v_min_u32_e32 v7, 32, v7
	v_sub_nc_u32_e64 v7, v7, 4 clamp
	s_delay_alu instid0(VALU_DEP_1) | instskip(NEXT) | instid1(VALU_DEP_1)
	v_dual_lshlrev_b32 v18, v7, v6 :: v_dual_lshlrev_b32 v7, 23, v7
	v_lshrrev_b32_e32 v18, 4, v18
	s_delay_alu instid0(VALU_DEP_1) | instskip(SKIP_1) | instid1(VALU_DEP_2)
	v_sub_nc_u32_e32 v7, v18, v7
	v_ashrrev_i32_e32 v18, 8, v19
	v_add_nc_u32_e32 v7, 0x3c000000, v7
	s_delay_alu instid0(VALU_DEP_1) | instskip(NEXT) | instid1(VALU_DEP_1)
	v_and_or_b32 v7, 0x7f800000, v18, v7
	v_cndmask_b32_e64 v6, 0, v7, s1
	s_delay_alu instid0(VALU_DEP_1) | instskip(NEXT) | instid1(VALU_DEP_1)
	v_and_or_b32 v5, 0x80000000, v5, v6
	v_cmp_eq_f32_e64 s1, s3, v5
	s_delay_alu instid0(VALU_DEP_1) | instskip(SKIP_1) | instid1(VALU_DEP_1)
	v_cndmask_b32_e64 v6, 0, 1, s1
	v_cmp_neq_f32_e64 s1, s3, v5
	v_cndmask_b32_e64 v5, 0, 1, s1
	s_delay_alu instid0(VALU_DEP_1) | instskip(NEXT) | instid1(VALU_DEP_1)
	v_dual_cndmask_b32 v5, v5, v6, s0 :: v_dual_lshrrev_b32 v6, 16, v1
	v_and_b32_e32 v5, 1, v5
	s_delay_alu instid0(VALU_DEP_1) | instskip(NEXT) | instid1(VALU_DEP_1)
	v_lshlrev_b16 v5, 8, v5
	v_bitop3_b16 v5, v6, v5, 0xff bitop3:0xec
	s_delay_alu instid0(VALU_DEP_1) | instskip(NEXT) | instid1(VALU_DEP_1)
	v_lshlrev_b32_e32 v5, 16, v5
	v_and_or_b32 v1, 0xffff, v1, v5
.LBB278_51:
	s_or_b32 exec_lo, exec_lo, s6
	v_or_b32_e32 v5, 0x800, v0
	s_mov_b32 s6, exec_lo
	s_delay_alu instid0(VALU_DEP_1)
	v_cmpx_gt_i32_e64 s8, v5
	s_cbranch_execz .LBB278_53
; %bb.52:
	v_lshlrev_b32_e32 v5, 24, v17
	s_delay_alu instid0(VALU_DEP_1) | instskip(NEXT) | instid1(VALU_DEP_1)
	v_and_b32_e32 v6, 0x7f000000, v5
	v_clz_i32_u32_e32 v7, v6
	v_add_nc_u32_e32 v18, 0x1000000, v6
	v_cmp_ne_u32_e64 s1, 0, v6
	s_delay_alu instid0(VALU_DEP_3) | instskip(NEXT) | instid1(VALU_DEP_1)
	v_min_u32_e32 v7, 32, v7
	v_sub_nc_u32_e64 v7, v7, 4 clamp
	s_delay_alu instid0(VALU_DEP_1) | instskip(NEXT) | instid1(VALU_DEP_1)
	v_dual_lshlrev_b32 v17, v7, v6 :: v_dual_lshlrev_b32 v7, 23, v7
	v_lshrrev_b32_e32 v17, 4, v17
	s_delay_alu instid0(VALU_DEP_1) | instskip(NEXT) | instid1(VALU_DEP_1)
	v_dual_sub_nc_u32 v7, v17, v7 :: v_dual_ashrrev_i32 v17, 8, v18
	v_add_nc_u32_e32 v7, 0x3c000000, v7
	s_delay_alu instid0(VALU_DEP_1) | instskip(NEXT) | instid1(VALU_DEP_1)
	v_and_or_b32 v7, 0x7f800000, v17, v7
	v_cndmask_b32_e64 v6, 0, v7, s1
	v_and_b32_e32 v7, 0xffffff00, v4
	s_delay_alu instid0(VALU_DEP_2) | instskip(NEXT) | instid1(VALU_DEP_1)
	v_and_or_b32 v5, 0x80000000, v5, v6
	v_cmp_eq_f32_e64 s1, s3, v5
	s_delay_alu instid0(VALU_DEP_1) | instskip(SKIP_1) | instid1(VALU_DEP_1)
	v_cndmask_b32_e64 v6, 0, 1, s1
	v_cmp_neq_f32_e64 s1, s3, v5
	v_cndmask_b32_e64 v5, 0, 1, s1
	s_delay_alu instid0(VALU_DEP_1) | instskip(NEXT) | instid1(VALU_DEP_1)
	v_cndmask_b32_e64 v5, v5, v6, s0
	v_bitop3_b16 v5, v5, v7, 1 bitop3:0xec
	s_delay_alu instid0(VALU_DEP_1) | instskip(NEXT) | instid1(VALU_DEP_1)
	v_and_b32_e32 v5, 0xffff, v5
	v_and_or_b32 v4, 0xffff0000, v4, v5
.LBB278_53:
	s_or_b32 exec_lo, exec_lo, s6
	v_or_b32_e32 v5, 0x900, v0
	s_mov_b32 s6, exec_lo
	s_delay_alu instid0(VALU_DEP_1)
	v_cmpx_gt_i32_e64 s8, v5
	s_cbranch_execz .LBB278_55
; %bb.54:
	v_lshlrev_b32_e32 v5, 24, v16
	s_delay_alu instid0(VALU_DEP_1) | instskip(NEXT) | instid1(VALU_DEP_1)
	v_and_b32_e32 v6, 0x7f000000, v5
	v_clz_i32_u32_e32 v7, v6
	v_add_nc_u32_e32 v17, 0x1000000, v6
	v_cmp_ne_u32_e64 s1, 0, v6
	s_delay_alu instid0(VALU_DEP_3) | instskip(NEXT) | instid1(VALU_DEP_1)
	v_min_u32_e32 v7, 32, v7
	v_sub_nc_u32_e64 v7, v7, 4 clamp
	s_delay_alu instid0(VALU_DEP_1) | instskip(NEXT) | instid1(VALU_DEP_1)
	v_dual_lshlrev_b32 v16, v7, v6 :: v_dual_lshlrev_b32 v7, 23, v7
	v_lshrrev_b32_e32 v16, 4, v16
	s_delay_alu instid0(VALU_DEP_1) | instskip(NEXT) | instid1(VALU_DEP_1)
	v_dual_sub_nc_u32 v7, v16, v7 :: v_dual_ashrrev_i32 v16, 8, v17
	v_add_nc_u32_e32 v7, 0x3c000000, v7
	s_delay_alu instid0(VALU_DEP_1) | instskip(NEXT) | instid1(VALU_DEP_1)
	v_and_or_b32 v7, 0x7f800000, v16, v7
	v_cndmask_b32_e64 v6, 0, v7, s1
	s_delay_alu instid0(VALU_DEP_1) | instskip(NEXT) | instid1(VALU_DEP_1)
	v_and_or_b32 v5, 0x80000000, v5, v6
	v_cmp_eq_f32_e64 s1, s3, v5
	s_delay_alu instid0(VALU_DEP_1) | instskip(SKIP_1) | instid1(VALU_DEP_1)
	v_cndmask_b32_e64 v6, 0, 1, s1
	v_cmp_neq_f32_e64 s1, s3, v5
	v_cndmask_b32_e64 v5, 0, 1, s1
	s_delay_alu instid0(VALU_DEP_1) | instskip(NEXT) | instid1(VALU_DEP_1)
	v_cndmask_b32_e64 v5, v5, v6, s0
	v_and_b32_e32 v5, 1, v5
	s_delay_alu instid0(VALU_DEP_1) | instskip(NEXT) | instid1(VALU_DEP_1)
	v_lshlrev_b16 v5, 8, v5
	v_bitop3_b16 v5, v4, v5, 0xff bitop3:0xec
	s_delay_alu instid0(VALU_DEP_1) | instskip(NEXT) | instid1(VALU_DEP_1)
	v_and_b32_e32 v5, 0xffff, v5
	v_and_or_b32 v4, 0xffff0000, v4, v5
.LBB278_55:
	s_or_b32 exec_lo, exec_lo, s6
	v_or_b32_e32 v5, 0xa00, v0
	s_mov_b32 s6, exec_lo
	s_delay_alu instid0(VALU_DEP_1)
	v_cmpx_gt_i32_e64 s8, v5
	s_cbranch_execz .LBB278_57
; %bb.56:
	v_lshlrev_b32_e32 v5, 24, v15
	s_delay_alu instid0(VALU_DEP_1) | instskip(NEXT) | instid1(VALU_DEP_1)
	v_and_b32_e32 v6, 0x7f000000, v5
	v_clz_i32_u32_e32 v7, v6
	v_add_nc_u32_e32 v16, 0x1000000, v6
	v_cmp_ne_u32_e64 s1, 0, v6
	s_delay_alu instid0(VALU_DEP_3) | instskip(NEXT) | instid1(VALU_DEP_1)
	v_min_u32_e32 v7, 32, v7
	v_sub_nc_u32_e64 v7, v7, 4 clamp
	s_delay_alu instid0(VALU_DEP_1) | instskip(NEXT) | instid1(VALU_DEP_1)
	v_dual_lshlrev_b32 v15, v7, v6 :: v_dual_lshlrev_b32 v7, 23, v7
	v_lshrrev_b32_e32 v15, 4, v15
	s_delay_alu instid0(VALU_DEP_1) | instskip(NEXT) | instid1(VALU_DEP_1)
	v_dual_sub_nc_u32 v7, v15, v7 :: v_dual_ashrrev_i32 v15, 8, v16
	v_add_nc_u32_e32 v7, 0x3c000000, v7
	s_delay_alu instid0(VALU_DEP_1) | instskip(NEXT) | instid1(VALU_DEP_1)
	v_and_or_b32 v7, 0x7f800000, v15, v7
	v_cndmask_b32_e64 v6, 0, v7, s1
	s_delay_alu instid0(VALU_DEP_1) | instskip(SKIP_1) | instid1(VALU_DEP_2)
	v_and_or_b32 v5, 0x80000000, v5, v6
	v_lshrrev_b32_e32 v6, 16, v4
	v_cmp_eq_f32_e64 s1, s3, v5
	s_delay_alu instid0(VALU_DEP_2) | instskip(NEXT) | instid1(VALU_DEP_2)
	v_and_b32_e32 v6, 0xffffff00, v6
	v_cndmask_b32_e64 v7, 0, 1, s1
	v_cmp_neq_f32_e64 s1, s3, v5
	s_delay_alu instid0(VALU_DEP_1) | instskip(NEXT) | instid1(VALU_DEP_1)
	v_cndmask_b32_e64 v5, 0, 1, s1
	v_cndmask_b32_e64 v5, v5, v7, s0
	s_delay_alu instid0(VALU_DEP_1) | instskip(NEXT) | instid1(VALU_DEP_1)
	v_bitop3_b16 v5, v5, v6, 1 bitop3:0xec
	v_lshlrev_b32_e32 v5, 16, v5
	s_delay_alu instid0(VALU_DEP_1)
	v_and_or_b32 v4, 0xffff, v4, v5
.LBB278_57:
	s_or_b32 exec_lo, exec_lo, s6
	v_or_b32_e32 v5, 0xb00, v0
	s_mov_b32 s6, exec_lo
	s_delay_alu instid0(VALU_DEP_1)
	v_cmpx_gt_i32_e64 s8, v5
	s_cbranch_execz .LBB278_59
; %bb.58:
	v_lshlrev_b32_e32 v5, 24, v14
	s_delay_alu instid0(VALU_DEP_1) | instskip(NEXT) | instid1(VALU_DEP_1)
	v_and_b32_e32 v6, 0x7f000000, v5
	v_clz_i32_u32_e32 v7, v6
	v_cmp_ne_u32_e64 s1, 0, v6
	v_add_nc_u32_e32 v15, 0x1000000, v6
	s_delay_alu instid0(VALU_DEP_3) | instskip(NEXT) | instid1(VALU_DEP_1)
	v_min_u32_e32 v7, 32, v7
	v_sub_nc_u32_e64 v7, v7, 4 clamp
	s_delay_alu instid0(VALU_DEP_1) | instskip(NEXT) | instid1(VALU_DEP_1)
	v_dual_lshlrev_b32 v14, v7, v6 :: v_dual_lshlrev_b32 v7, 23, v7
	v_lshrrev_b32_e32 v14, 4, v14
	s_delay_alu instid0(VALU_DEP_1) | instskip(SKIP_1) | instid1(VALU_DEP_2)
	v_sub_nc_u32_e32 v7, v14, v7
	v_ashrrev_i32_e32 v14, 8, v15
	v_add_nc_u32_e32 v7, 0x3c000000, v7
	s_delay_alu instid0(VALU_DEP_1) | instskip(NEXT) | instid1(VALU_DEP_1)
	v_and_or_b32 v7, 0x7f800000, v14, v7
	v_cndmask_b32_e64 v6, 0, v7, s1
	s_delay_alu instid0(VALU_DEP_1) | instskip(NEXT) | instid1(VALU_DEP_1)
	v_and_or_b32 v5, 0x80000000, v5, v6
	v_cmp_eq_f32_e64 s1, s3, v5
	s_delay_alu instid0(VALU_DEP_1) | instskip(SKIP_1) | instid1(VALU_DEP_1)
	v_cndmask_b32_e64 v6, 0, 1, s1
	v_cmp_neq_f32_e64 s1, s3, v5
	v_cndmask_b32_e64 v5, 0, 1, s1
	s_delay_alu instid0(VALU_DEP_1) | instskip(NEXT) | instid1(VALU_DEP_1)
	v_dual_cndmask_b32 v5, v5, v6, s0 :: v_dual_lshrrev_b32 v6, 16, v4
	v_and_b32_e32 v5, 1, v5
	s_delay_alu instid0(VALU_DEP_1) | instskip(NEXT) | instid1(VALU_DEP_1)
	v_lshlrev_b16 v5, 8, v5
	v_bitop3_b16 v5, v6, v5, 0xff bitop3:0xec
	s_delay_alu instid0(VALU_DEP_1) | instskip(NEXT) | instid1(VALU_DEP_1)
	v_lshlrev_b32_e32 v5, 16, v5
	v_and_or_b32 v4, 0xffff, v4, v5
.LBB278_59:
	s_or_b32 exec_lo, exec_lo, s6
	v_or_b32_e32 v5, 0xc00, v0
	s_mov_b32 s6, exec_lo
	s_delay_alu instid0(VALU_DEP_1)
	v_cmpx_gt_i32_e64 s8, v5
	s_cbranch_execz .LBB278_61
; %bb.60:
	v_lshlrev_b32_e32 v5, 24, v13
	s_delay_alu instid0(VALU_DEP_1) | instskip(NEXT) | instid1(VALU_DEP_1)
	v_and_b32_e32 v6, 0x7f000000, v5
	v_clz_i32_u32_e32 v7, v6
	v_add_nc_u32_e32 v14, 0x1000000, v6
	v_cmp_ne_u32_e64 s1, 0, v6
	s_delay_alu instid0(VALU_DEP_3) | instskip(NEXT) | instid1(VALU_DEP_1)
	v_min_u32_e32 v7, 32, v7
	v_sub_nc_u32_e64 v7, v7, 4 clamp
	s_delay_alu instid0(VALU_DEP_1) | instskip(NEXT) | instid1(VALU_DEP_1)
	v_dual_lshlrev_b32 v13, v7, v6 :: v_dual_lshlrev_b32 v7, 23, v7
	v_lshrrev_b32_e32 v13, 4, v13
	s_delay_alu instid0(VALU_DEP_1) | instskip(NEXT) | instid1(VALU_DEP_1)
	v_dual_sub_nc_u32 v7, v13, v7 :: v_dual_ashrrev_i32 v13, 8, v14
	v_add_nc_u32_e32 v7, 0x3c000000, v7
	s_delay_alu instid0(VALU_DEP_1) | instskip(NEXT) | instid1(VALU_DEP_1)
	v_and_or_b32 v7, 0x7f800000, v13, v7
	v_cndmask_b32_e64 v6, 0, v7, s1
	v_and_b32_e32 v7, 0xffffff00, v3
	s_delay_alu instid0(VALU_DEP_2) | instskip(NEXT) | instid1(VALU_DEP_1)
	v_and_or_b32 v5, 0x80000000, v5, v6
	v_cmp_eq_f32_e64 s1, s3, v5
	s_delay_alu instid0(VALU_DEP_1) | instskip(SKIP_1) | instid1(VALU_DEP_1)
	v_cndmask_b32_e64 v6, 0, 1, s1
	v_cmp_neq_f32_e64 s1, s3, v5
	v_cndmask_b32_e64 v5, 0, 1, s1
	s_delay_alu instid0(VALU_DEP_1) | instskip(NEXT) | instid1(VALU_DEP_1)
	v_cndmask_b32_e64 v5, v5, v6, s0
	v_bitop3_b16 v5, v5, v7, 1 bitop3:0xec
	s_delay_alu instid0(VALU_DEP_1) | instskip(NEXT) | instid1(VALU_DEP_1)
	v_and_b32_e32 v5, 0xffff, v5
	v_and_or_b32 v3, 0xffff0000, v3, v5
.LBB278_61:
	s_or_b32 exec_lo, exec_lo, s6
	v_or_b32_e32 v5, 0xd00, v0
	s_mov_b32 s6, exec_lo
	s_delay_alu instid0(VALU_DEP_1)
	v_cmpx_gt_i32_e64 s8, v5
	s_cbranch_execz .LBB278_63
; %bb.62:
	v_lshlrev_b32_e32 v5, 24, v12
	s_delay_alu instid0(VALU_DEP_1) | instskip(NEXT) | instid1(VALU_DEP_1)
	v_and_b32_e32 v6, 0x7f000000, v5
	v_clz_i32_u32_e32 v7, v6
	v_add_nc_u32_e32 v13, 0x1000000, v6
	v_cmp_ne_u32_e64 s1, 0, v6
	s_delay_alu instid0(VALU_DEP_3) | instskip(NEXT) | instid1(VALU_DEP_1)
	v_min_u32_e32 v7, 32, v7
	v_sub_nc_u32_e64 v7, v7, 4 clamp
	s_delay_alu instid0(VALU_DEP_1) | instskip(NEXT) | instid1(VALU_DEP_1)
	v_dual_lshlrev_b32 v12, v7, v6 :: v_dual_lshlrev_b32 v7, 23, v7
	v_lshrrev_b32_e32 v12, 4, v12
	s_delay_alu instid0(VALU_DEP_1) | instskip(NEXT) | instid1(VALU_DEP_1)
	v_dual_sub_nc_u32 v7, v12, v7 :: v_dual_ashrrev_i32 v12, 8, v13
	v_add_nc_u32_e32 v7, 0x3c000000, v7
	s_delay_alu instid0(VALU_DEP_1) | instskip(NEXT) | instid1(VALU_DEP_1)
	v_and_or_b32 v7, 0x7f800000, v12, v7
	v_cndmask_b32_e64 v6, 0, v7, s1
	s_delay_alu instid0(VALU_DEP_1) | instskip(NEXT) | instid1(VALU_DEP_1)
	v_and_or_b32 v5, 0x80000000, v5, v6
	v_cmp_eq_f32_e64 s1, s3, v5
	s_delay_alu instid0(VALU_DEP_1) | instskip(SKIP_1) | instid1(VALU_DEP_1)
	v_cndmask_b32_e64 v6, 0, 1, s1
	v_cmp_neq_f32_e64 s1, s3, v5
	v_cndmask_b32_e64 v5, 0, 1, s1
	s_delay_alu instid0(VALU_DEP_1) | instskip(NEXT) | instid1(VALU_DEP_1)
	v_cndmask_b32_e64 v5, v5, v6, s0
	v_and_b32_e32 v5, 1, v5
	s_delay_alu instid0(VALU_DEP_1) | instskip(NEXT) | instid1(VALU_DEP_1)
	v_lshlrev_b16 v5, 8, v5
	v_bitop3_b16 v5, v3, v5, 0xff bitop3:0xec
	s_delay_alu instid0(VALU_DEP_1) | instskip(NEXT) | instid1(VALU_DEP_1)
	v_and_b32_e32 v5, 0xffff, v5
	v_and_or_b32 v3, 0xffff0000, v3, v5
.LBB278_63:
	s_or_b32 exec_lo, exec_lo, s6
	v_or_b32_e32 v5, 0xe00, v0
	s_mov_b32 s6, exec_lo
	s_delay_alu instid0(VALU_DEP_1)
	v_cmpx_gt_i32_e64 s8, v5
	s_cbranch_execz .LBB278_65
; %bb.64:
	v_lshlrev_b32_e32 v5, 24, v11
	s_delay_alu instid0(VALU_DEP_1) | instskip(NEXT) | instid1(VALU_DEP_1)
	v_and_b32_e32 v6, 0x7f000000, v5
	v_clz_i32_u32_e32 v7, v6
	v_add_nc_u32_e32 v12, 0x1000000, v6
	v_cmp_ne_u32_e64 s1, 0, v6
	s_delay_alu instid0(VALU_DEP_3) | instskip(NEXT) | instid1(VALU_DEP_1)
	v_min_u32_e32 v7, 32, v7
	v_sub_nc_u32_e64 v7, v7, 4 clamp
	s_delay_alu instid0(VALU_DEP_1) | instskip(NEXT) | instid1(VALU_DEP_1)
	v_dual_lshlrev_b32 v11, v7, v6 :: v_dual_lshlrev_b32 v7, 23, v7
	v_lshrrev_b32_e32 v11, 4, v11
	s_delay_alu instid0(VALU_DEP_1) | instskip(NEXT) | instid1(VALU_DEP_1)
	v_dual_sub_nc_u32 v7, v11, v7 :: v_dual_ashrrev_i32 v11, 8, v12
	v_add_nc_u32_e32 v7, 0x3c000000, v7
	s_delay_alu instid0(VALU_DEP_1) | instskip(NEXT) | instid1(VALU_DEP_1)
	v_and_or_b32 v7, 0x7f800000, v11, v7
	v_cndmask_b32_e64 v6, 0, v7, s1
	s_delay_alu instid0(VALU_DEP_1) | instskip(SKIP_1) | instid1(VALU_DEP_2)
	v_and_or_b32 v5, 0x80000000, v5, v6
	v_lshrrev_b32_e32 v6, 16, v3
	v_cmp_eq_f32_e64 s1, s3, v5
	s_delay_alu instid0(VALU_DEP_2) | instskip(NEXT) | instid1(VALU_DEP_2)
	v_and_b32_e32 v6, 0xffffff00, v6
	v_cndmask_b32_e64 v7, 0, 1, s1
	v_cmp_neq_f32_e64 s1, s3, v5
	s_delay_alu instid0(VALU_DEP_1) | instskip(NEXT) | instid1(VALU_DEP_1)
	v_cndmask_b32_e64 v5, 0, 1, s1
	v_cndmask_b32_e64 v5, v5, v7, s0
	s_delay_alu instid0(VALU_DEP_1) | instskip(NEXT) | instid1(VALU_DEP_1)
	v_bitop3_b16 v5, v5, v6, 1 bitop3:0xec
	v_lshlrev_b32_e32 v5, 16, v5
	s_delay_alu instid0(VALU_DEP_1)
	v_and_or_b32 v3, 0xffff, v3, v5
.LBB278_65:
	s_or_b32 exec_lo, exec_lo, s6
	v_or_b32_e32 v5, 0xf00, v0
	s_mov_b32 s6, exec_lo
	s_delay_alu instid0(VALU_DEP_1)
	v_cmpx_gt_i32_e64 s8, v5
	s_cbranch_execnz .LBB278_84
; %bb.66:
	s_or_b32 exec_lo, exec_lo, s6
	s_and_saveexec_b32 s0, vcc_lo
	s_delay_alu instid0(SALU_CYCLE_1)
	s_xor_b32 s0, exec_lo, s0
	s_cbranch_execnz .LBB278_85
.LBB278_67:
	s_or_b32 exec_lo, exec_lo, s0
	s_delay_alu instid0(SALU_CYCLE_1)
	s_mov_b32 s0, exec_lo
	v_cmpx_gt_i32_e64 s8, v0
	s_cbranch_execnz .LBB278_86
.LBB278_68:
	s_or_b32 exec_lo, exec_lo, s0
	s_delay_alu instid0(SALU_CYCLE_1)
	s_mov_b32 s0, exec_lo
	v_cmpx_gt_i32_e64 s8, v0
	s_cbranch_execnz .LBB278_87
.LBB278_69:
	s_or_b32 exec_lo, exec_lo, s0
	s_delay_alu instid0(SALU_CYCLE_1)
	s_mov_b32 s0, exec_lo
	v_cmpx_gt_i32_e64 s8, v0
	s_cbranch_execnz .LBB278_88
.LBB278_70:
	s_or_b32 exec_lo, exec_lo, s0
	s_delay_alu instid0(SALU_CYCLE_1)
	s_mov_b32 s0, exec_lo
	v_cmpx_gt_i32_e64 s8, v0
	s_cbranch_execnz .LBB278_89
.LBB278_71:
	s_or_b32 exec_lo, exec_lo, s0
	s_delay_alu instid0(SALU_CYCLE_1)
	s_mov_b32 s0, exec_lo
	v_cmpx_gt_i32_e64 s8, v0
	s_cbranch_execnz .LBB278_90
.LBB278_72:
	s_or_b32 exec_lo, exec_lo, s0
	s_delay_alu instid0(SALU_CYCLE_1)
	s_mov_b32 s0, exec_lo
	v_cmpx_gt_i32_e64 s8, v0
	s_cbranch_execnz .LBB278_91
.LBB278_73:
	s_or_b32 exec_lo, exec_lo, s0
	s_delay_alu instid0(SALU_CYCLE_1)
	s_mov_b32 s0, exec_lo
	v_cmpx_gt_i32_e64 s8, v0
	s_cbranch_execnz .LBB278_92
.LBB278_74:
	s_or_b32 exec_lo, exec_lo, s0
	s_delay_alu instid0(SALU_CYCLE_1)
	s_mov_b32 s0, exec_lo
	v_cmpx_gt_i32_e64 s8, v0
	s_cbranch_execnz .LBB278_93
.LBB278_75:
	s_or_b32 exec_lo, exec_lo, s0
	s_delay_alu instid0(SALU_CYCLE_1)
	s_mov_b32 s0, exec_lo
	v_cmpx_gt_i32_e64 s8, v0
	s_cbranch_execnz .LBB278_94
.LBB278_76:
	s_or_b32 exec_lo, exec_lo, s0
	s_delay_alu instid0(SALU_CYCLE_1)
	s_mov_b32 s0, exec_lo
	v_cmpx_gt_i32_e64 s8, v0
	s_cbranch_execnz .LBB278_95
.LBB278_77:
	s_or_b32 exec_lo, exec_lo, s0
	s_delay_alu instid0(SALU_CYCLE_1)
	s_mov_b32 s0, exec_lo
	v_cmpx_gt_i32_e64 s8, v0
	s_cbranch_execnz .LBB278_96
.LBB278_78:
	s_or_b32 exec_lo, exec_lo, s0
	s_delay_alu instid0(SALU_CYCLE_1)
	s_mov_b32 s0, exec_lo
	v_cmpx_gt_i32_e64 s8, v0
	s_cbranch_execnz .LBB278_97
.LBB278_79:
	s_or_b32 exec_lo, exec_lo, s0
	s_delay_alu instid0(SALU_CYCLE_1)
	s_mov_b32 s0, exec_lo
	v_cmpx_gt_i32_e64 s8, v0
	s_cbranch_execnz .LBB278_98
.LBB278_80:
	s_or_b32 exec_lo, exec_lo, s0
	s_delay_alu instid0(SALU_CYCLE_1)
	s_mov_b32 s0, exec_lo
	v_cmpx_gt_i32_e64 s8, v0
	s_cbranch_execnz .LBB278_99
.LBB278_81:
	s_or_b32 exec_lo, exec_lo, s0
	s_delay_alu instid0(SALU_CYCLE_1)
	s_mov_b32 s0, exec_lo
	v_cmpx_gt_i32_e64 s8, v0
	s_cbranch_execz .LBB278_83
.LBB278_82:
	v_dual_lshrrev_b32 v1, 24, v3 :: v_dual_add_nc_u32 v0, s2, v0
	global_store_b8 v0, v1, s[4:5]
.LBB278_83:
	s_endpgm
.LBB278_84:
	v_and_b32_e32 v5, 0x7f000000, v10
	s_delay_alu instid0(VALU_DEP_1) | instskip(SKIP_2) | instid1(VALU_DEP_3)
	v_clz_i32_u32_e32 v6, v5
	v_cmp_ne_u32_e64 s1, 0, v5
	v_add_nc_u32_e32 v11, 0x1000000, v5
	v_min_u32_e32 v6, 32, v6
	s_delay_alu instid0(VALU_DEP_1) | instskip(NEXT) | instid1(VALU_DEP_1)
	v_sub_nc_u32_e64 v6, v6, 4 clamp
	v_dual_lshlrev_b32 v7, v6, v5 :: v_dual_lshlrev_b32 v6, 23, v6
	s_delay_alu instid0(VALU_DEP_1) | instskip(NEXT) | instid1(VALU_DEP_1)
	v_lshrrev_b32_e32 v7, 4, v7
	v_dual_sub_nc_u32 v6, v7, v6 :: v_dual_ashrrev_i32 v7, 8, v11
	s_delay_alu instid0(VALU_DEP_1) | instskip(NEXT) | instid1(VALU_DEP_1)
	v_add_nc_u32_e32 v6, 0x3c000000, v6
	v_and_or_b32 v6, 0x7f800000, v7, v6
	s_delay_alu instid0(VALU_DEP_1) | instskip(NEXT) | instid1(VALU_DEP_1)
	v_cndmask_b32_e64 v5, 0, v6, s1
	v_and_or_b32 v5, 0x80000000, v10, v5
	s_delay_alu instid0(VALU_DEP_1) | instskip(NEXT) | instid1(VALU_DEP_1)
	v_cmp_eq_f32_e64 s1, s3, v5
	v_cndmask_b32_e64 v6, 0, 1, s1
	v_cmp_neq_f32_e64 s1, s3, v5
	s_delay_alu instid0(VALU_DEP_1) | instskip(NEXT) | instid1(VALU_DEP_1)
	v_cndmask_b32_e64 v5, 0, 1, s1
	v_dual_cndmask_b32 v5, v5, v6, s0 :: v_dual_lshrrev_b32 v6, 16, v3
	s_delay_alu instid0(VALU_DEP_1) | instskip(NEXT) | instid1(VALU_DEP_1)
	v_and_b32_e32 v5, 1, v5
	v_lshlrev_b16 v5, 8, v5
	s_delay_alu instid0(VALU_DEP_1) | instskip(NEXT) | instid1(VALU_DEP_1)
	v_bitop3_b16 v5, v6, v5, 0xff bitop3:0xec
	v_lshlrev_b32_e32 v5, 16, v5
	s_delay_alu instid0(VALU_DEP_1) | instskip(SKIP_2) | instid1(SALU_CYCLE_1)
	v_and_or_b32 v3, 0xffff, v3, v5
	s_or_b32 exec_lo, exec_lo, s6
	s_and_saveexec_b32 s0, vcc_lo
	s_xor_b32 s0, exec_lo, s0
	s_cbranch_execz .LBB278_67
.LBB278_85:
	v_mov_b32_e32 v0, v9
	global_store_b8 v8, v2, s[4:5]
	s_wait_xcnt 0x0
	s_or_b32 exec_lo, exec_lo, s0
	s_delay_alu instid0(SALU_CYCLE_1)
	s_mov_b32 s0, exec_lo
	v_cmpx_gt_i32_e64 s8, v0
	s_cbranch_execz .LBB278_68
.LBB278_86:
	v_dual_lshrrev_b32 v5, 8, v2 :: v_dual_add_nc_u32 v6, s2, v0
	v_add_nc_u32_e32 v0, 0x100, v0
	global_store_b8 v6, v5, s[4:5]
	s_wait_xcnt 0x0
	s_or_b32 exec_lo, exec_lo, s0
	s_delay_alu instid0(SALU_CYCLE_1)
	s_mov_b32 s0, exec_lo
	v_cmpx_gt_i32_e64 s8, v0
	s_cbranch_execz .LBB278_69
.LBB278_87:
	v_add_nc_u32_e32 v5, s2, v0
	v_add_nc_u32_e32 v0, 0x100, v0
	global_store_d16_hi_b8 v5, v2, s[4:5]
	s_wait_xcnt 0x0
	s_or_b32 exec_lo, exec_lo, s0
	s_delay_alu instid0(SALU_CYCLE_1)
	s_mov_b32 s0, exec_lo
	v_cmpx_gt_i32_e64 s8, v0
	s_cbranch_execz .LBB278_70
.LBB278_88:
	v_dual_lshrrev_b32 v2, 24, v2 :: v_dual_add_nc_u32 v5, s2, v0
	v_add_nc_u32_e32 v0, 0x100, v0
	global_store_b8 v5, v2, s[4:5]
	s_wait_xcnt 0x0
	s_or_b32 exec_lo, exec_lo, s0
	s_delay_alu instid0(SALU_CYCLE_1)
	s_mov_b32 s0, exec_lo
	v_cmpx_gt_i32_e64 s8, v0
	s_cbranch_execz .LBB278_71
.LBB278_89:
	v_add_nc_u32_e32 v2, s2, v0
	v_add_nc_u32_e32 v0, 0x100, v0
	global_store_b8 v2, v1, s[4:5]
	s_wait_xcnt 0x0
	s_or_b32 exec_lo, exec_lo, s0
	s_delay_alu instid0(SALU_CYCLE_1)
	s_mov_b32 s0, exec_lo
	v_cmpx_gt_i32_e64 s8, v0
	s_cbranch_execz .LBB278_72
.LBB278_90:
	v_dual_lshrrev_b32 v2, 8, v1 :: v_dual_add_nc_u32 v5, s2, v0
	v_add_nc_u32_e32 v0, 0x100, v0
	global_store_b8 v5, v2, s[4:5]
	s_wait_xcnt 0x0
	s_or_b32 exec_lo, exec_lo, s0
	s_delay_alu instid0(SALU_CYCLE_1)
	s_mov_b32 s0, exec_lo
	v_cmpx_gt_i32_e64 s8, v0
	s_cbranch_execz .LBB278_73
.LBB278_91:
	v_add_nc_u32_e32 v2, s2, v0
	v_add_nc_u32_e32 v0, 0x100, v0
	global_store_d16_hi_b8 v2, v1, s[4:5]
	s_wait_xcnt 0x0
	s_or_b32 exec_lo, exec_lo, s0
	s_delay_alu instid0(SALU_CYCLE_1)
	s_mov_b32 s0, exec_lo
	v_cmpx_gt_i32_e64 s8, v0
	s_cbranch_execz .LBB278_74
.LBB278_92:
	v_dual_lshrrev_b32 v1, 24, v1 :: v_dual_add_nc_u32 v2, s2, v0
	v_add_nc_u32_e32 v0, 0x100, v0
	global_store_b8 v2, v1, s[4:5]
	s_wait_xcnt 0x0
	s_or_b32 exec_lo, exec_lo, s0
	s_delay_alu instid0(SALU_CYCLE_1)
	s_mov_b32 s0, exec_lo
	v_cmpx_gt_i32_e64 s8, v0
	s_cbranch_execz .LBB278_75
.LBB278_93:
	v_add_nc_u32_e32 v1, s2, v0
	v_add_nc_u32_e32 v0, 0x100, v0
	global_store_b8 v1, v4, s[4:5]
	s_wait_xcnt 0x0
	s_or_b32 exec_lo, exec_lo, s0
	s_delay_alu instid0(SALU_CYCLE_1)
	s_mov_b32 s0, exec_lo
	v_cmpx_gt_i32_e64 s8, v0
	s_cbranch_execz .LBB278_76
.LBB278_94:
	v_lshrrev_b32_e32 v1, 8, v4
	v_add_nc_u32_e32 v2, s2, v0
	v_add_nc_u32_e32 v0, 0x100, v0
	global_store_b8 v2, v1, s[4:5]
	s_wait_xcnt 0x0
	s_or_b32 exec_lo, exec_lo, s0
	s_delay_alu instid0(SALU_CYCLE_1)
	s_mov_b32 s0, exec_lo
	v_cmpx_gt_i32_e64 s8, v0
	s_cbranch_execz .LBB278_77
.LBB278_95:
	v_add_nc_u32_e32 v1, s2, v0
	v_add_nc_u32_e32 v0, 0x100, v0
	global_store_d16_hi_b8 v1, v4, s[4:5]
	s_wait_xcnt 0x0
	s_or_b32 exec_lo, exec_lo, s0
	s_delay_alu instid0(SALU_CYCLE_1)
	s_mov_b32 s0, exec_lo
	v_cmpx_gt_i32_e64 s8, v0
	s_cbranch_execz .LBB278_78
.LBB278_96:
	v_lshrrev_b32_e32 v1, 24, v4
	v_add_nc_u32_e32 v2, s2, v0
	v_add_nc_u32_e32 v0, 0x100, v0
	global_store_b8 v2, v1, s[4:5]
	s_wait_xcnt 0x0
	s_or_b32 exec_lo, exec_lo, s0
	s_delay_alu instid0(SALU_CYCLE_1)
	s_mov_b32 s0, exec_lo
	v_cmpx_gt_i32_e64 s8, v0
	s_cbranch_execz .LBB278_79
.LBB278_97:
	v_add_nc_u32_e32 v1, s2, v0
	v_add_nc_u32_e32 v0, 0x100, v0
	global_store_b8 v1, v3, s[4:5]
	s_wait_xcnt 0x0
	s_or_b32 exec_lo, exec_lo, s0
	s_delay_alu instid0(SALU_CYCLE_1)
	s_mov_b32 s0, exec_lo
	v_cmpx_gt_i32_e64 s8, v0
	s_cbranch_execz .LBB278_80
.LBB278_98:
	v_dual_lshrrev_b32 v1, 8, v3 :: v_dual_add_nc_u32 v2, s2, v0
	v_add_nc_u32_e32 v0, 0x100, v0
	global_store_b8 v2, v1, s[4:5]
	s_wait_xcnt 0x0
	s_or_b32 exec_lo, exec_lo, s0
	s_delay_alu instid0(SALU_CYCLE_1)
	s_mov_b32 s0, exec_lo
	v_cmpx_gt_i32_e64 s8, v0
	s_cbranch_execz .LBB278_81
.LBB278_99:
	v_add_nc_u32_e32 v1, s2, v0
	v_add_nc_u32_e32 v0, 0x100, v0
	global_store_d16_hi_b8 v1, v3, s[4:5]
	s_wait_xcnt 0x0
	s_or_b32 exec_lo, exec_lo, s0
	s_delay_alu instid0(SALU_CYCLE_1)
	s_mov_b32 s0, exec_lo
	v_cmpx_gt_i32_e64 s8, v0
	s_cbranch_execnz .LBB278_82
	s_branch .LBB278_83
	.section	.rodata,"a",@progbits
	.p2align	6, 0x0
	.amdhsa_kernel _ZN2at6native29vectorized_elementwise_kernelILi8ENS0_13AUnaryFunctorIN3c1013Float8_e4m3fnES4_bNS0_12_GLOBAL__N_116CompareEqFunctorIS4_EEEESt5arrayIPcLm2EEEEviT0_T1_
		.amdhsa_group_segment_fixed_size 0
		.amdhsa_private_segment_fixed_size 0
		.amdhsa_kernarg_size 32
		.amdhsa_user_sgpr_count 2
		.amdhsa_user_sgpr_dispatch_ptr 0
		.amdhsa_user_sgpr_queue_ptr 0
		.amdhsa_user_sgpr_kernarg_segment_ptr 1
		.amdhsa_user_sgpr_dispatch_id 0
		.amdhsa_user_sgpr_kernarg_preload_length 0
		.amdhsa_user_sgpr_kernarg_preload_offset 0
		.amdhsa_user_sgpr_private_segment_size 0
		.amdhsa_wavefront_size32 1
		.amdhsa_uses_dynamic_stack 0
		.amdhsa_enable_private_segment 0
		.amdhsa_system_sgpr_workgroup_id_x 1
		.amdhsa_system_sgpr_workgroup_id_y 0
		.amdhsa_system_sgpr_workgroup_id_z 0
		.amdhsa_system_sgpr_workgroup_info 0
		.amdhsa_system_vgpr_workitem_id 0
		.amdhsa_next_free_vgpr 59
		.amdhsa_next_free_sgpr 23
		.amdhsa_named_barrier_count 0
		.amdhsa_reserve_vcc 1
		.amdhsa_float_round_mode_32 0
		.amdhsa_float_round_mode_16_64 0
		.amdhsa_float_denorm_mode_32 3
		.amdhsa_float_denorm_mode_16_64 3
		.amdhsa_fp16_overflow 0
		.amdhsa_memory_ordered 1
		.amdhsa_forward_progress 1
		.amdhsa_inst_pref_size 79
		.amdhsa_round_robin_scheduling 0
		.amdhsa_exception_fp_ieee_invalid_op 0
		.amdhsa_exception_fp_denorm_src 0
		.amdhsa_exception_fp_ieee_div_zero 0
		.amdhsa_exception_fp_ieee_overflow 0
		.amdhsa_exception_fp_ieee_underflow 0
		.amdhsa_exception_fp_ieee_inexact 0
		.amdhsa_exception_int_div_zero 0
	.end_amdhsa_kernel
	.section	.text._ZN2at6native29vectorized_elementwise_kernelILi8ENS0_13AUnaryFunctorIN3c1013Float8_e4m3fnES4_bNS0_12_GLOBAL__N_116CompareEqFunctorIS4_EEEESt5arrayIPcLm2EEEEviT0_T1_,"axG",@progbits,_ZN2at6native29vectorized_elementwise_kernelILi8ENS0_13AUnaryFunctorIN3c1013Float8_e4m3fnES4_bNS0_12_GLOBAL__N_116CompareEqFunctorIS4_EEEESt5arrayIPcLm2EEEEviT0_T1_,comdat
.Lfunc_end278:
	.size	_ZN2at6native29vectorized_elementwise_kernelILi8ENS0_13AUnaryFunctorIN3c1013Float8_e4m3fnES4_bNS0_12_GLOBAL__N_116CompareEqFunctorIS4_EEEESt5arrayIPcLm2EEEEviT0_T1_, .Lfunc_end278-_ZN2at6native29vectorized_elementwise_kernelILi8ENS0_13AUnaryFunctorIN3c1013Float8_e4m3fnES4_bNS0_12_GLOBAL__N_116CompareEqFunctorIS4_EEEESt5arrayIPcLm2EEEEviT0_T1_
                                        ; -- End function
	.set _ZN2at6native29vectorized_elementwise_kernelILi8ENS0_13AUnaryFunctorIN3c1013Float8_e4m3fnES4_bNS0_12_GLOBAL__N_116CompareEqFunctorIS4_EEEESt5arrayIPcLm2EEEEviT0_T1_.num_vgpr, 59
	.set _ZN2at6native29vectorized_elementwise_kernelILi8ENS0_13AUnaryFunctorIN3c1013Float8_e4m3fnES4_bNS0_12_GLOBAL__N_116CompareEqFunctorIS4_EEEESt5arrayIPcLm2EEEEviT0_T1_.num_agpr, 0
	.set _ZN2at6native29vectorized_elementwise_kernelILi8ENS0_13AUnaryFunctorIN3c1013Float8_e4m3fnES4_bNS0_12_GLOBAL__N_116CompareEqFunctorIS4_EEEESt5arrayIPcLm2EEEEviT0_T1_.numbered_sgpr, 23
	.set _ZN2at6native29vectorized_elementwise_kernelILi8ENS0_13AUnaryFunctorIN3c1013Float8_e4m3fnES4_bNS0_12_GLOBAL__N_116CompareEqFunctorIS4_EEEESt5arrayIPcLm2EEEEviT0_T1_.num_named_barrier, 0
	.set _ZN2at6native29vectorized_elementwise_kernelILi8ENS0_13AUnaryFunctorIN3c1013Float8_e4m3fnES4_bNS0_12_GLOBAL__N_116CompareEqFunctorIS4_EEEESt5arrayIPcLm2EEEEviT0_T1_.private_seg_size, 0
	.set _ZN2at6native29vectorized_elementwise_kernelILi8ENS0_13AUnaryFunctorIN3c1013Float8_e4m3fnES4_bNS0_12_GLOBAL__N_116CompareEqFunctorIS4_EEEESt5arrayIPcLm2EEEEviT0_T1_.uses_vcc, 1
	.set _ZN2at6native29vectorized_elementwise_kernelILi8ENS0_13AUnaryFunctorIN3c1013Float8_e4m3fnES4_bNS0_12_GLOBAL__N_116CompareEqFunctorIS4_EEEESt5arrayIPcLm2EEEEviT0_T1_.uses_flat_scratch, 0
	.set _ZN2at6native29vectorized_elementwise_kernelILi8ENS0_13AUnaryFunctorIN3c1013Float8_e4m3fnES4_bNS0_12_GLOBAL__N_116CompareEqFunctorIS4_EEEESt5arrayIPcLm2EEEEviT0_T1_.has_dyn_sized_stack, 0
	.set _ZN2at6native29vectorized_elementwise_kernelILi8ENS0_13AUnaryFunctorIN3c1013Float8_e4m3fnES4_bNS0_12_GLOBAL__N_116CompareEqFunctorIS4_EEEESt5arrayIPcLm2EEEEviT0_T1_.has_recursion, 0
	.set _ZN2at6native29vectorized_elementwise_kernelILi8ENS0_13AUnaryFunctorIN3c1013Float8_e4m3fnES4_bNS0_12_GLOBAL__N_116CompareEqFunctorIS4_EEEESt5arrayIPcLm2EEEEviT0_T1_.has_indirect_call, 0
	.section	.AMDGPU.csdata,"",@progbits
; Kernel info:
; codeLenInByte = 10032
; TotalNumSgprs: 25
; NumVgprs: 59
; ScratchSize: 0
; MemoryBound: 0
; FloatMode: 240
; IeeeMode: 1
; LDSByteSize: 0 bytes/workgroup (compile time only)
; SGPRBlocks: 0
; VGPRBlocks: 3
; NumSGPRsForWavesPerEU: 25
; NumVGPRsForWavesPerEU: 59
; NamedBarCnt: 0
; Occupancy: 16
; WaveLimiterHint : 1
; COMPUTE_PGM_RSRC2:SCRATCH_EN: 0
; COMPUTE_PGM_RSRC2:USER_SGPR: 2
; COMPUTE_PGM_RSRC2:TRAP_HANDLER: 0
; COMPUTE_PGM_RSRC2:TGID_X_EN: 1
; COMPUTE_PGM_RSRC2:TGID_Y_EN: 0
; COMPUTE_PGM_RSRC2:TGID_Z_EN: 0
; COMPUTE_PGM_RSRC2:TIDIG_COMP_CNT: 0
	.section	.text._ZN2at6native29vectorized_elementwise_kernelILi4ENS0_13AUnaryFunctorIN3c1013Float8_e4m3fnES4_bNS0_12_GLOBAL__N_116CompareEqFunctorIS4_EEEESt5arrayIPcLm2EEEEviT0_T1_,"axG",@progbits,_ZN2at6native29vectorized_elementwise_kernelILi4ENS0_13AUnaryFunctorIN3c1013Float8_e4m3fnES4_bNS0_12_GLOBAL__N_116CompareEqFunctorIS4_EEEESt5arrayIPcLm2EEEEviT0_T1_,comdat
	.globl	_ZN2at6native29vectorized_elementwise_kernelILi4ENS0_13AUnaryFunctorIN3c1013Float8_e4m3fnES4_bNS0_12_GLOBAL__N_116CompareEqFunctorIS4_EEEESt5arrayIPcLm2EEEEviT0_T1_ ; -- Begin function _ZN2at6native29vectorized_elementwise_kernelILi4ENS0_13AUnaryFunctorIN3c1013Float8_e4m3fnES4_bNS0_12_GLOBAL__N_116CompareEqFunctorIS4_EEEESt5arrayIPcLm2EEEEviT0_T1_
	.p2align	8
	.type	_ZN2at6native29vectorized_elementwise_kernelILi4ENS0_13AUnaryFunctorIN3c1013Float8_e4m3fnES4_bNS0_12_GLOBAL__N_116CompareEqFunctorIS4_EEEESt5arrayIPcLm2EEEEviT0_T1_,@function
_ZN2at6native29vectorized_elementwise_kernelILi4ENS0_13AUnaryFunctorIN3c1013Float8_e4m3fnES4_bNS0_12_GLOBAL__N_116CompareEqFunctorIS4_EEEESt5arrayIPcLm2EEEEviT0_T1_: ; @_ZN2at6native29vectorized_elementwise_kernelILi4ENS0_13AUnaryFunctorIN3c1013Float8_e4m3fnES4_bNS0_12_GLOBAL__N_116CompareEqFunctorIS4_EEEESt5arrayIPcLm2EEEEviT0_T1_
; %bb.0:
	s_clause 0x1
	s_load_b96 s[8:10], s[0:1], 0x0
	s_load_b128 s[4:7], s[0:1], 0x10
	s_wait_xcnt 0x0
	s_bfe_u32 s0, ttmp6, 0x4000c
	s_and_b32 s1, ttmp6, 15
	s_add_co_i32 s0, s0, 1
	s_getreg_b32 s2, hwreg(HW_REG_IB_STS2, 6, 4)
	s_mul_i32 s0, ttmp9, s0
	s_delay_alu instid0(SALU_CYCLE_1) | instskip(SKIP_2) | instid1(SALU_CYCLE_1)
	s_add_co_i32 s1, s1, s0
	s_cmp_eq_u32 s2, 0
	s_cselect_b32 s0, ttmp9, s1
	s_lshl_b32 s2, s0, 12
	s_mov_b32 s0, -1
	s_wait_kmcnt 0x0
	s_sub_co_i32 s8, s8, s2
	s_delay_alu instid0(SALU_CYCLE_1)
	s_cmp_gt_i32 s8, 0xfff
	s_cbranch_scc0 .LBB279_2
; %bb.1:
	s_ashr_i32 s3, s2, 31
	s_cmp_eq_u32 s9, 0
	s_add_nc_u64 s[0:1], s[6:7], s[2:3]
	s_cselect_b32 vcc_lo, -1, 0
	s_clause 0x3
	global_load_b32 v1, v0, s[0:1] scale_offset
	global_load_b32 v2, v0, s[0:1] offset:1024 scale_offset
	global_load_b32 v3, v0, s[0:1] offset:2048 scale_offset
	;; [unrolled: 1-line block ×3, first 2 shown]
	s_wait_xcnt 0x0
	s_lshl_b32 s0, s10, 24
	s_add_nc_u64 s[12:13], s[4:5], s[2:3]
	v_and_b32_e64 v5, 0x7f000000, s0
	s_delay_alu instid0(VALU_DEP_1) | instskip(SKIP_1) | instid1(VALU_DEP_2)
	v_clz_i32_u32_e32 v6, v5
	v_add_nc_u32_e32 v8, 0x1000000, v5
	v_min_u32_e32 v6, 32, v6
	s_delay_alu instid0(VALU_DEP_2) | instskip(NEXT) | instid1(VALU_DEP_2)
	v_ashrrev_i32_e32 v8, 8, v8
	v_sub_nc_u32_e64 v6, v6, 4 clamp
	s_delay_alu instid0(VALU_DEP_1) | instskip(NEXT) | instid1(VALU_DEP_1)
	v_dual_lshlrev_b32 v7, v6, v5 :: v_dual_lshlrev_b32 v6, 23, v6
	v_lshrrev_b32_e32 v7, 4, v7
	s_delay_alu instid0(VALU_DEP_1) | instskip(SKIP_1) | instid1(VALU_DEP_2)
	v_sub_nc_u32_e32 v6, v7, v6
	v_and_b32_e32 v7, 0x7f800000, v8
	v_add_nc_u32_e32 v6, 0x3c000000, v6
	s_delay_alu instid0(VALU_DEP_1) | instskip(SKIP_3) | instid1(VALU_DEP_1)
	v_or_b32_e32 v6, v6, v7
	v_and_b32_e64 v7, 0x80000000, s0
	v_cmp_ne_u32_e64 s0, 0, v5
	s_wait_loadcnt 0x3
	v_dual_cndmask_b32 v5, 0, v6, s0 :: v_dual_lshlrev_b32 v6, 24, v1
	v_and_b32_e32 v9, 0x7f000000, v1
	s_wait_loadcnt 0x2
	v_and_b32_e32 v13, 0x7f000000, v2
	s_wait_loadcnt 0x1
	;; [unrolled: 2-line block ×3, first 2 shown]
	v_and_b32_e32 v21, 0x7f000000, v4
	v_or_b32_e32 v5, v5, v7
	v_clz_i32_u32_e32 v25, v9
	v_clz_i32_u32_e32 v30, v13
	v_clz_i32_u32_e32 v35, v17
	v_dual_lshlrev_b32 v7, 16, v1 :: v_dual_lshlrev_b32 v8, 8, v1
	v_lshlrev_b32_e32 v10, 24, v2
	v_min_u32_e32 v25, 32, v25
	v_add_nc_u32_e32 v26, 0x1000000, v9
	v_clz_i32_u32_e32 v40, v21
	v_min_u32_e32 v30, 32, v30
	v_min_u32_e32 v35, 32, v35
	v_sub_nc_u32_e64 v25, v25, 4 clamp
	v_and_b32_e32 v22, 0x7f000000, v6
	v_and_b32_e32 v23, 0x7f000000, v7
	;; [unrolled: 1-line block ×3, first 2 shown]
	s_delay_alu instid0(VALU_DEP_4)
	v_dual_ashrrev_i32 v26, 8, v26 :: v_dual_lshlrev_b32 v57, v25, v9
	v_min_u32_e32 v40, 32, v40
	v_sub_nc_u32_e64 v30, v30, 4 clamp
	v_sub_nc_u32_e64 v35, v35, 4 clamp
	v_dual_lshlrev_b32 v11, 16, v2 :: v_dual_lshlrev_b32 v12, 8, v2
	v_clz_i32_u32_e32 v42, v22
	v_clz_i32_u32_e32 v44, v23
	;; [unrolled: 1-line block ×3, first 2 shown]
	v_sub_nc_u32_e64 v40, v40, 4 clamp
	v_lshlrev_b32_e32 v25, 23, v25
	v_lshlrev_b32_e32 v58, v30, v13
	v_dual_lshlrev_b32 v59, v35, v17 :: v_dual_lshlrev_b32 v35, 23, v35
	v_lshrrev_b32_e32 v57, 4, v57
	v_and_b32_e32 v27, 0x7f000000, v10
	v_and_b32_e32 v28, 0x7f000000, v11
	;; [unrolled: 1-line block ×3, first 2 shown]
	v_min_u32_e32 v42, 32, v42
	v_min_u32_e32 v44, 32, v44
	v_min_u32_e32 v46, 32, v46
	v_lshlrev_b32_e32 v30, 23, v30
	v_dual_lshrrev_b32 v58, 4, v58 :: v_dual_sub_nc_u32 v25, v57, v25
	v_dual_lshlrev_b32 v57, v40, v21 :: v_dual_lshlrev_b32 v14, 24, v3
	v_dual_lshlrev_b32 v15, 16, v3 :: v_dual_lshlrev_b32 v16, 8, v3
	v_lshlrev_b32_e32 v18, 24, v4
	v_clz_i32_u32_e32 v48, v27
	v_clz_i32_u32_e32 v49, v28
	;; [unrolled: 1-line block ×3, first 2 shown]
	v_sub_nc_u32_e64 v42, v42, 4 clamp
	v_sub_nc_u32_e64 v44, v44, 4 clamp
	;; [unrolled: 1-line block ×3, first 2 shown]
	v_dual_lshlrev_b32 v40, 23, v40 :: v_dual_lshrrev_b32 v59, 4, v59
	v_dual_sub_nc_u32 v30, v58, v30 :: v_dual_lshrrev_b32 v57, 4, v57
	v_lshlrev_b32_e32 v58, v42, v22
	v_and_b32_e32 v32, 0x7f000000, v14
	v_and_b32_e32 v33, 0x7f000000, v15
	;; [unrolled: 1-line block ×3, first 2 shown]
	v_min_u32_e32 v48, 32, v48
	v_min_u32_e32 v49, 32, v49
	;; [unrolled: 1-line block ×3, first 2 shown]
	v_dual_lshlrev_b32 v42, 23, v42 :: v_dual_sub_nc_u32 v35, v59, v35
	v_dual_lshlrev_b32 v59, v44, v23 :: v_dual_sub_nc_u32 v40, v57, v40
	v_dual_lshlrev_b32 v57, v46, v24 :: v_dual_lshrrev_b32 v58, 4, v58
	v_dual_lshlrev_b32 v19, 16, v4 :: v_dual_lshlrev_b32 v20, 8, v4
	v_clz_i32_u32_e32 v51, v32
	v_clz_i32_u32_e32 v52, v33
	;; [unrolled: 1-line block ×3, first 2 shown]
	v_sub_nc_u32_e64 v48, v48, 4 clamp
	v_sub_nc_u32_e64 v49, v49, 4 clamp
	;; [unrolled: 1-line block ×3, first 2 shown]
	v_dual_lshlrev_b32 v44, 23, v44 :: v_dual_lshlrev_b32 v46, 23, v46
	v_dual_lshrrev_b32 v59, 4, v59 :: v_dual_lshrrev_b32 v57, 4, v57
	v_and_b32_e32 v37, 0x7f000000, v18
	v_and_b32_e32 v38, 0x7f000000, v19
	;; [unrolled: 1-line block ×3, first 2 shown]
	v_min_u32_e32 v51, 32, v51
	v_min_u32_e32 v52, 32, v52
	;; [unrolled: 1-line block ×3, first 2 shown]
	v_dual_sub_nc_u32 v42, v58, v42 :: v_dual_lshlrev_b32 v58, v48, v27
	v_dual_lshlrev_b32 v48, 23, v48 :: v_dual_sub_nc_u32 v46, v57, v46
	v_dual_sub_nc_u32 v44, v59, v44 :: v_dual_lshlrev_b32 v57, v50, v29
	s_delay_alu instid0(VALU_DEP_3)
	v_dual_lshlrev_b32 v59, v49, v28 :: v_dual_lshrrev_b32 v58, 4, v58
	v_clz_i32_u32_e32 v54, v37
	v_clz_i32_u32_e32 v55, v38
	v_clz_i32_u32_e32 v56, v39
	v_sub_nc_u32_e64 v51, v51, 4 clamp
	v_sub_nc_u32_e64 v52, v52, 4 clamp
	;; [unrolled: 1-line block ×3, first 2 shown]
	v_dual_lshlrev_b32 v49, 23, v49 :: v_dual_lshlrev_b32 v50, 23, v50
	v_dual_lshrrev_b32 v59, 4, v59 :: v_dual_lshrrev_b32 v57, 4, v57
	v_min_u32_e32 v54, 32, v54
	v_min_u32_e32 v55, 32, v55
	;; [unrolled: 1-line block ×3, first 2 shown]
	v_sub_nc_u32_e32 v48, v58, v48
	v_lshlrev_b32_e32 v58, v51, v32
	v_dual_sub_nc_u32 v49, v59, v49 :: v_dual_sub_nc_u32 v50, v57, v50
	v_dual_lshlrev_b32 v59, v52, v33 :: v_dual_lshlrev_b32 v57, v53, v34
	v_lshlrev_b32_e32 v52, 23, v52
	v_sub_nc_u32_e64 v54, v54, 4 clamp
	v_sub_nc_u32_e64 v55, v55, 4 clamp
	;; [unrolled: 1-line block ×3, first 2 shown]
	v_dual_lshlrev_b32 v51, 23, v51 :: v_dual_lshrrev_b32 v58, 4, v58
	v_dual_lshlrev_b32 v53, 23, v53 :: v_dual_lshrrev_b32 v59, 4, v59
	v_lshrrev_b32_e32 v57, 4, v57
	v_add_nc_u32_e32 v31, 0x1000000, v13
	s_delay_alu instid0(VALU_DEP_4) | instskip(NEXT) | instid1(VALU_DEP_4)
	v_sub_nc_u32_e32 v51, v58, v51
	v_dual_lshlrev_b32 v58, v54, v37 :: v_dual_sub_nc_u32 v52, v59, v52
	s_delay_alu instid0(VALU_DEP_4) | instskip(NEXT) | instid1(VALU_DEP_2)
	v_dual_lshlrev_b32 v59, v55, v38 :: v_dual_sub_nc_u32 v53, v57, v53
	v_dual_lshlrev_b32 v57, v56, v39 :: v_dual_lshrrev_b32 v58, 4, v58
	v_add_nc_u32_e32 v36, 0x1000000, v17
	v_add_nc_u32_e32 v43, 0x1000000, v22
	;; [unrolled: 1-line block ×3, first 2 shown]
	v_dual_lshlrev_b32 v55, 23, v55 :: v_dual_lshlrev_b32 v56, 23, v56
	v_dual_lshrrev_b32 v59, 4, v59 :: v_dual_lshrrev_b32 v57, 4, v57
	v_add_nc_u32_e32 v25, 0x3c000000, v25
	v_add_nc_u32_e32 v41, 0x1000000, v21
	v_dual_ashrrev_i32 v31, 8, v31 :: v_dual_ashrrev_i32 v36, 8, v36
	s_delay_alu instid0(VALU_DEP_4)
	v_sub_nc_u32_e32 v56, v57, v56
	v_add_nc_u32_e32 v30, 0x3c000000, v30
	v_add_nc_u32_e32 v35, 0x3c000000, v35
	v_and_or_b32 v25, 0x7f800000, v26, v25
	v_dual_ashrrev_i32 v43, 8, v43 :: v_dual_ashrrev_i32 v45, 8, v45
	v_add_nc_u32_e32 v44, 0x3c000000, v44
	v_cmp_ne_u32_e64 s0, 0, v9
	v_ashrrev_i32_e32 v41, 8, v41
	v_and_or_b32 v30, 0x7f800000, v31, v30
	v_and_or_b32 v35, 0x7f800000, v36, v35
	;; [unrolled: 1-line block ×3, first 2 shown]
	v_add_nc_u32_e32 v45, 0x1000000, v39
	v_cndmask_b32_e64 v9, 0, v25, s0
	v_cmp_ne_u32_e64 s0, 0, v13
	v_and_b32_e32 v41, 0x7f800000, v41
	v_add_nc_u32_e32 v40, 0x3c000000, v40
	v_ashrrev_i32_e32 v45, 8, v45
	v_add_nc_u32_e32 v47, 0x1000000, v24
	v_cndmask_b32_e64 v13, 0, v30, s0
	v_cmp_ne_u32_e64 s0, 0, v17
	v_add_nc_u32_e32 v42, 0x3c000000, v42
	s_delay_alu instid0(VALU_DEP_4) | instskip(NEXT) | instid1(VALU_DEP_3)
	v_dual_ashrrev_i32 v47, 8, v47 :: v_dual_bitop2_b32 v40, v40, v41 bitop3:0x54
	v_dual_lshlrev_b32 v54, 23, v54 :: v_dual_cndmask_b32 v17, 0, v35, s0
	v_cmp_ne_u32_e64 s0, 0, v21
	s_delay_alu instid0(VALU_DEP_4) | instskip(SKIP_1) | instid1(VALU_DEP_4)
	v_and_or_b32 v42, 0x7f800000, v43, v42
	v_add_nc_u32_e32 v46, 0x3c000000, v46
	v_dual_sub_nc_u32 v54, v58, v54 :: v_dual_sub_nc_u32 v55, v59, v55
	s_delay_alu instid0(VALU_DEP_4)
	v_cndmask_b32_e64 v21, 0, v40, s0
	v_cmp_ne_u32_e64 s0, 0, v22
	v_add_nc_u32_e32 v58, 0x1000000, v27
	v_add_nc_u32_e32 v59, 0x1000000, v28
	;; [unrolled: 1-line block ×3, first 2 shown]
	v_and_or_b32 v46, 0x7f800000, v47, v46
	v_cndmask_b32_e64 v22, 0, v42, s0
	v_cmp_ne_u32_e64 s0, 0, v23
	v_dual_ashrrev_i32 v58, 8, v58 :: v_dual_ashrrev_i32 v59, 8, v59
	v_add_nc_u32_e32 v57, 0x1000000, v29
	v_add_nc_u32_e32 v49, 0x3c000000, v49
	s_delay_alu instid0(VALU_DEP_4)
	v_cndmask_b32_e64 v23, 0, v44, s0
	v_cmp_ne_u32_e64 s0, 0, v24
	v_and_or_b32 v25, 0x7f800000, v58, v48
	v_add_nc_u32_e32 v26, 0x1000000, v32
	v_ashrrev_i32_e32 v57, 8, v57
	v_add_nc_u32_e32 v50, 0x3c000000, v50
	v_cndmask_b32_e64 v24, 0, v46, s0
	v_cmp_ne_u32_e64 s0, 0, v27
	v_and_or_b32 v47, 0x7f800000, v59, v49
	v_and_or_b32 v1, 0x80000000, v1, v9
	v_add_nc_u32_e32 v31, 0x1000000, v33
	s_delay_alu instid0(VALU_DEP_4)
	v_dual_ashrrev_i32 v26, 8, v26 :: v_dual_cndmask_b32 v9, 0, v25, s0
	v_cmp_ne_u32_e64 s0, 0, v28
	v_add_nc_u32_e32 v51, 0x3c000000, v51
	v_and_or_b32 v48, 0x7f800000, v57, v50
	v_add_nc_u32_e32 v36, 0x1000000, v34
	v_ashrrev_i32_e32 v31, 8, v31
	v_cndmask_b32_e64 v25, 0, v47, s0
	v_cmp_ne_u32_e64 s0, 0, v29
	v_add_nc_u32_e32 v52, 0x3c000000, v52
	v_and_or_b32 v26, 0x7f800000, v26, v51
	v_add_nc_u32_e32 v41, 0x1000000, v37
	v_ashrrev_i32_e32 v36, 8, v36
	v_cndmask_b32_e64 v27, 0, v48, s0
	v_cmp_ne_u32_e64 s0, 0, v32
	v_add_nc_u32_e32 v53, 0x3c000000, v53
	v_and_or_b32 v30, 0x7f800000, v31, v52
	v_and_or_b32 v2, 0x80000000, v2, v13
	v_add_nc_u32_e32 v43, 0x1000000, v38
	v_cndmask_b32_e64 v13, 0, v26, s0
	v_cmp_ne_u32_e64 s0, 0, v33
	v_ashrrev_i32_e32 v41, 8, v41
	v_add_nc_u32_e32 v54, 0x3c000000, v54
	v_and_or_b32 v31, 0x7f800000, v36, v53
	s_delay_alu instid0(VALU_DEP_4)
	v_dual_ashrrev_i32 v43, 8, v43 :: v_dual_cndmask_b32 v26, 0, v30, s0
	v_cmp_ne_u32_e64 s0, 0, v34
	v_add_nc_u32_e32 v55, 0x3c000000, v55
	v_and_or_b32 v35, 0x7f800000, v41, v54
	v_add_nc_u32_e32 v56, 0x3c000000, v56
	v_and_or_b32 v3, 0x80000000, v3, v17
	v_cndmask_b32_e64 v28, 0, v31, s0
	v_cmp_ne_u32_e64 s0, 0, v37
	v_and_or_b32 v36, 0x7f800000, v43, v55
	v_and_or_b32 v41, 0x7f800000, v45, v56
	v_and_b32_e32 v4, 0x80000000, v4
	v_and_or_b32 v9, 0x80000000, v10, v9
	v_cndmask_b32_e64 v17, 0, v35, s0
	v_cmp_ne_u32_e64 s0, 0, v38
	v_and_or_b32 v10, 0x80000000, v11, v25
	v_and_or_b32 v11, 0x80000000, v12, v27
	;; [unrolled: 1-line block ×4, first 2 shown]
	v_cndmask_b32_e64 v29, 0, v36, s0
	v_cmp_ne_u32_e64 s0, 0, v39
	v_and_or_b32 v15, 0x80000000, v18, v17
	v_and_or_b32 v14, 0x80000000, v16, v28
	v_or_b32_e32 v4, v21, v4
	v_and_or_b32 v16, 0x80000000, v19, v29
	v_cndmask_b32_e64 v30, 0, v41, s0
	v_cmp_eq_f32_e64 s0, v5, v1
	v_and_or_b32 v6, 0x80000000, v6, v22
	v_and_or_b32 v7, 0x80000000, v7, v23
	;; [unrolled: 1-line block ×4, first 2 shown]
	v_cndmask_b32_e64 v18, 0, 1, s0
	v_cmp_neq_f32_e64 s0, v5, v1
	s_delay_alu instid0(VALU_DEP_1) | instskip(SKIP_1) | instid1(VALU_DEP_2)
	v_cndmask_b32_e64 v1, 0, 1, s0
	v_cmp_eq_f32_e64 s0, v5, v2
	v_cndmask_b32_e32 v1, v1, v18, vcc_lo
	s_delay_alu instid0(VALU_DEP_2) | instskip(SKIP_1) | instid1(VALU_DEP_1)
	v_cndmask_b32_e64 v19, 0, 1, s0
	v_cmp_neq_f32_e64 s0, v5, v2
	v_cndmask_b32_e64 v2, 0, 1, s0
	v_cmp_eq_f32_e64 s0, v5, v3
	s_delay_alu instid0(VALU_DEP_2) | instskip(NEXT) | instid1(VALU_DEP_2)
	v_cndmask_b32_e32 v2, v2, v19, vcc_lo
	v_cndmask_b32_e64 v20, 0, 1, s0
	v_cmp_neq_f32_e64 s0, v5, v3
	s_delay_alu instid0(VALU_DEP_3) | instskip(NEXT) | instid1(VALU_DEP_2)
	v_and_b32_e32 v2, 1, v2
	v_cndmask_b32_e64 v3, 0, 1, s0
	v_cmp_eq_f32_e64 s0, v5, v4
	s_delay_alu instid0(VALU_DEP_3) | instskip(NEXT) | instid1(VALU_DEP_3)
	v_lshlrev_b16 v2, 8, v2
	v_cndmask_b32_e32 v3, v3, v20, vcc_lo
	s_delay_alu instid0(VALU_DEP_3) | instskip(SKIP_1) | instid1(VALU_DEP_3)
	v_cndmask_b32_e64 v21, 0, 1, s0
	v_cmp_neq_f32_e64 s0, v5, v4
	v_and_b32_e32 v3, 1, v3
	s_delay_alu instid0(VALU_DEP_2) | instskip(SKIP_1) | instid1(VALU_DEP_3)
	v_cndmask_b32_e64 v4, 0, 1, s0
	v_cmp_eq_f32_e64 s0, v5, v6
	v_lshlrev_b16 v3, 8, v3
	s_delay_alu instid0(VALU_DEP_3) | instskip(NEXT) | instid1(VALU_DEP_3)
	v_cndmask_b32_e32 v4, v4, v21, vcc_lo
	v_cndmask_b32_e64 v22, 0, 1, s0
	v_cmp_neq_f32_e64 s0, v5, v6
	s_delay_alu instid0(VALU_DEP_3) | instskip(NEXT) | instid1(VALU_DEP_2)
	v_and_b32_e32 v4, 1, v4
	v_cndmask_b32_e64 v6, 0, 1, s0
	v_cmp_eq_f32_e64 s0, v5, v7
	s_delay_alu instid0(VALU_DEP_3) | instskip(NEXT) | instid1(VALU_DEP_3)
	v_lshlrev_b16 v4, 8, v4
	v_cndmask_b32_e32 v6, v6, v22, vcc_lo
	s_delay_alu instid0(VALU_DEP_3) | instskip(SKIP_1) | instid1(VALU_DEP_1)
	v_cndmask_b32_e64 v23, 0, 1, s0
	v_cmp_neq_f32_e64 s0, v5, v7
	v_cndmask_b32_e64 v7, 0, 1, s0
	v_cmp_eq_f32_e64 s0, v5, v8
	s_delay_alu instid0(VALU_DEP_2) | instskip(NEXT) | instid1(VALU_DEP_2)
	v_cndmask_b32_e32 v7, v7, v23, vcc_lo
	v_cndmask_b32_e64 v24, 0, 1, s0
	v_cmp_neq_f32_e64 s0, v5, v8
	s_delay_alu instid0(VALU_DEP_1) | instskip(SKIP_1) | instid1(VALU_DEP_2)
	v_cndmask_b32_e64 v8, 0, 1, s0
	v_cmp_eq_f32_e64 s0, v5, v9
	v_cndmask_b32_e32 v8, v8, v24, vcc_lo
	s_delay_alu instid0(VALU_DEP_2) | instskip(SKIP_1) | instid1(VALU_DEP_1)
	v_cndmask_b32_e64 v25, 0, 1, s0
	v_cmp_neq_f32_e64 s0, v5, v9
	v_cndmask_b32_e64 v9, 0, 1, s0
	v_cmp_eq_f32_e64 s0, v5, v10
	s_delay_alu instid0(VALU_DEP_2) | instskip(NEXT) | instid1(VALU_DEP_2)
	v_cndmask_b32_e32 v9, v9, v25, vcc_lo
	v_cndmask_b32_e64 v26, 0, 1, s0
	v_cmp_neq_f32_e64 s0, v5, v10
	s_delay_alu instid0(VALU_DEP_1) | instskip(SKIP_1) | instid1(VALU_DEP_2)
	v_cndmask_b32_e64 v10, 0, 1, s0
	v_cmp_eq_f32_e64 s0, v5, v11
	v_cndmask_b32_e32 v10, v10, v26, vcc_lo
	s_delay_alu instid0(VALU_DEP_2) | instskip(SKIP_1) | instid1(VALU_DEP_1)
	v_cndmask_b32_e64 v27, 0, 1, s0
	v_cmp_neq_f32_e64 s0, v5, v11
	v_cndmask_b32_e64 v11, 0, 1, s0
	v_cmp_eq_f32_e64 s0, v5, v12
	s_delay_alu instid0(VALU_DEP_2) | instskip(NEXT) | instid1(VALU_DEP_2)
	v_cndmask_b32_e32 v11, v11, v27, vcc_lo
	v_cndmask_b32_e64 v28, 0, 1, s0
	v_cmp_neq_f32_e64 s0, v5, v12
	s_delay_alu instid0(VALU_DEP_3) | instskip(SKIP_1) | instid1(VALU_DEP_3)
	v_bitop3_b16 v2, v11, v2, 1 bitop3:0xec
	v_and_b32_e32 v1, 1, v1
	v_cndmask_b32_e64 v12, 0, 1, s0
	v_cmp_eq_f32_e64 s0, v5, v13
	s_delay_alu instid0(VALU_DEP_4) | instskip(NEXT) | instid1(VALU_DEP_4)
	v_lshlrev_b32_e32 v2, 16, v2
	v_lshlrev_b16 v1, 8, v1
	s_delay_alu instid0(VALU_DEP_4) | instskip(NEXT) | instid1(VALU_DEP_4)
	v_cndmask_b32_e32 v12, v12, v28, vcc_lo
	v_cndmask_b32_e64 v29, 0, 1, s0
	v_cmp_neq_f32_e64 s0, v5, v13
	s_delay_alu instid0(VALU_DEP_4) | instskip(SKIP_1) | instid1(VALU_DEP_3)
	v_bitop3_b16 v1, v8, v1, 1 bitop3:0xec
	v_and_b32_e32 v7, 1, v7
	v_cndmask_b32_e64 v13, 0, 1, s0
	v_cmp_eq_f32_e64 s0, v5, v14
	s_delay_alu instid0(VALU_DEP_4) | instskip(NEXT) | instid1(VALU_DEP_4)
	v_lshlrev_b32_e32 v1, 16, v1
	v_lshlrev_b16 v7, 8, v7
	s_delay_alu instid0(VALU_DEP_4) | instskip(NEXT) | instid1(VALU_DEP_4)
	v_cndmask_b32_e32 v13, v13, v29, vcc_lo
	v_cndmask_b32_e64 v30, 0, 1, s0
	v_cmp_neq_f32_e64 s0, v5, v14
	s_delay_alu instid0(VALU_DEP_4) | instskip(NEXT) | instid1(VALU_DEP_2)
	v_bitop3_b16 v6, v6, v7, 1 bitop3:0xec
	v_cndmask_b32_e64 v14, 0, 1, s0
	v_cmp_eq_f32_e64 s0, v5, v15
	s_delay_alu instid0(VALU_DEP_3) | instskip(NEXT) | instid1(VALU_DEP_3)
	v_and_b32_e32 v6, 0xffff, v6
	v_cndmask_b32_e32 v14, v14, v30, vcc_lo
	s_delay_alu instid0(VALU_DEP_3) | instskip(SKIP_1) | instid1(VALU_DEP_4)
	v_cndmask_b32_e64 v31, 0, 1, s0
	v_cmp_neq_f32_e64 s0, v5, v15
	v_or_b32_e32 v1, v6, v1
	s_delay_alu instid0(VALU_DEP_4) | instskip(SKIP_1) | instid1(VALU_DEP_4)
	v_bitop3_b16 v3, v14, v3, 1 bitop3:0xec
	v_and_b32_e32 v10, 1, v10
	v_cndmask_b32_e64 v15, 0, 1, s0
	v_cmp_eq_f32_e64 s0, v5, v16
	s_delay_alu instid0(VALU_DEP_4) | instskip(NEXT) | instid1(VALU_DEP_4)
	v_lshlrev_b32_e32 v3, 16, v3
	v_lshlrev_b16 v10, 8, v10
	s_delay_alu instid0(VALU_DEP_4) | instskip(NEXT) | instid1(VALU_DEP_4)
	v_cndmask_b32_e32 v15, v15, v31, vcc_lo
	v_cndmask_b32_e64 v32, 0, 1, s0
	v_cmp_neq_f32_e64 s0, v5, v16
	s_delay_alu instid0(VALU_DEP_4) | instskip(NEXT) | instid1(VALU_DEP_2)
	v_bitop3_b16 v9, v9, v10, 1 bitop3:0xec
	v_cndmask_b32_e64 v16, 0, 1, s0
	v_cmp_eq_f32_e64 s0, v5, v17
	s_delay_alu instid0(VALU_DEP_3) | instskip(NEXT) | instid1(VALU_DEP_3)
	v_and_b32_e32 v8, 0xffff, v9
	v_cndmask_b32_e32 v16, v16, v32, vcc_lo
	s_delay_alu instid0(VALU_DEP_3) | instskip(SKIP_1) | instid1(VALU_DEP_4)
	v_cndmask_b32_e64 v33, 0, 1, s0
	v_cmp_neq_f32_e64 s0, v5, v17
	v_or_b32_e32 v2, v8, v2
	s_delay_alu instid0(VALU_DEP_4) | instskip(NEXT) | instid1(VALU_DEP_3)
	v_and_b32_e32 v16, 1, v16
	v_cndmask_b32_e64 v5, 0, 1, s0
	s_mov_b32 s0, 0
	s_delay_alu instid0(VALU_DEP_2) | instskip(NEXT) | instid1(VALU_DEP_2)
	v_lshlrev_b16 v16, 8, v16
	v_cndmask_b32_e32 v5, v5, v33, vcc_lo
	s_delay_alu instid0(VALU_DEP_2) | instskip(NEXT) | instid1(VALU_DEP_2)
	v_bitop3_b16 v15, v15, v16, 1 bitop3:0xec
	v_bitop3_b16 v4, v5, v4, 1 bitop3:0xec
	v_and_b32_e32 v13, 1, v13
	s_delay_alu instid0(VALU_DEP_3) | instskip(NEXT) | instid1(VALU_DEP_3)
	v_and_b32_e32 v7, 0xffff, v15
	v_lshlrev_b32_e32 v4, 16, v4
	s_delay_alu instid0(VALU_DEP_3) | instskip(NEXT) | instid1(VALU_DEP_2)
	v_lshlrev_b16 v13, 8, v13
	v_or_b32_e32 v4, v7, v4
	s_delay_alu instid0(VALU_DEP_2) | instskip(NEXT) | instid1(VALU_DEP_1)
	v_bitop3_b16 v5, v12, v13, 1 bitop3:0xec
	v_and_b32_e32 v5, 0xffff, v5
	s_delay_alu instid0(VALU_DEP_1)
	v_or_b32_e32 v3, v5, v3
	s_clause 0x3
	global_store_b32 v0, v1, s[12:13] scale_offset
	global_store_b32 v0, v2, s[12:13] offset:1024 scale_offset
	global_store_b32 v0, v3, s[12:13] offset:2048 scale_offset
	;; [unrolled: 1-line block ×3, first 2 shown]
.LBB279_2:
	s_and_not1_b32 vcc_lo, exec_lo, s0
	s_cbranch_vccnz .LBB279_83
; %bb.3:
	v_cmp_gt_i32_e32 vcc_lo, s8, v0
	s_wait_xcnt 0x2
	v_dual_mov_b32 v11, 0 :: v_dual_mov_b32 v2, 0
	v_dual_mov_b32 v10, 0 :: v_dual_bitop2_b32 v8, s2, v0 bitop3:0x54
	v_or_b32_e32 v9, 0x100, v0
	v_dual_mov_b32 v12, 0 :: v_dual_mov_b32 v13, 0
	v_dual_mov_b32 v14, 0 :: v_dual_mov_b32 v15, 0
	;; [unrolled: 1-line block ×7, first 2 shown]
	s_wait_xcnt 0x0
	s_and_saveexec_b32 s1, vcc_lo
	s_cbranch_execz .LBB279_35
; %bb.4:
	global_load_u8 v23, v8, s[6:7]
	v_or_b32_e32 v1, 0x100, v0
	v_dual_mov_b32 v10, 0 :: v_dual_mov_b32 v22, 0
	v_dual_mov_b32 v5, 0 :: v_dual_mov_b32 v6, 0
	;; [unrolled: 1-line block ×7, first 2 shown]
	v_mov_b32_e32 v11, 0
	s_mov_b32 s3, exec_lo
	s_wait_xcnt 0x0
	v_cmpx_gt_u32_e64 s8, v1
	s_cbranch_execz .LBB279_34
; %bb.5:
	v_dual_mov_b32 v5, 0 :: v_dual_add_nc_u32 v4, s2, v0
	v_or_b32_e32 v1, 0x200, v0
	v_dual_mov_b32 v6, 0 :: v_dual_mov_b32 v21, 0
	global_load_u8 v22, v4, s[6:7] offset:256
	v_dual_mov_b32 v20, 0 :: v_dual_mov_b32 v19, 0
	v_dual_mov_b32 v18, 0 :: v_dual_mov_b32 v17, 0
	;; [unrolled: 1-line block ×5, first 2 shown]
	v_mov_b32_e32 v10, 0
	s_mov_b32 s11, exec_lo
	s_wait_xcnt 0x0
	v_cmpx_gt_u32_e64 s8, v1
	s_cbranch_execz .LBB279_33
; %bb.6:
	v_add_nc_u64_e32 v[6:7], s[6:7], v[4:5]
	v_or_b32_e32 v3, 0x300, v0
	v_dual_mov_b32 v21, 0 :: v_dual_mov_b32 v20, 0
	v_dual_mov_b32 v19, 0 :: v_dual_mov_b32 v18, 0
	;; [unrolled: 1-line block ×3, first 2 shown]
	global_load_u8 v1, v[6:7], off offset:512
	v_dual_mov_b32 v15, 0 :: v_dual_mov_b32 v14, 0
	v_dual_mov_b32 v13, 0 :: v_dual_mov_b32 v12, 0
	;; [unrolled: 1-line block ×3, first 2 shown]
	s_mov_b32 s6, exec_lo
	s_wait_xcnt 0x0
	v_cmpx_gt_u32_e64 s8, v3
	s_cbranch_execz .LBB279_32
; %bb.7:
	global_load_u8 v5, v[6:7], off offset:768
	v_or_b32_e32 v3, 0x400, v0
	v_dual_mov_b32 v10, 0 :: v_dual_mov_b32 v21, 0
	v_dual_mov_b32 v20, 0 :: v_dual_mov_b32 v19, 0
	;; [unrolled: 1-line block ×6, first 2 shown]
	s_mov_b32 s7, exec_lo
	s_wait_xcnt 0x0
	v_cmpx_gt_u32_e64 s8, v3
	s_cbranch_execz .LBB279_31
; %bb.8:
	global_load_u8 v21, v[6:7], off offset:1024
	v_or_b32_e32 v3, 0x500, v0
	v_dual_mov_b32 v10, 0 :: v_dual_mov_b32 v20, 0
	v_dual_mov_b32 v19, 0 :: v_dual_mov_b32 v18, 0
	;; [unrolled: 1-line block ×5, first 2 shown]
	v_mov_b32_e32 v11, 0
	s_mov_b32 s12, exec_lo
	s_wait_xcnt 0x0
	v_cmpx_gt_u32_e64 s8, v3
	s_cbranch_execz .LBB279_30
; %bb.9:
	global_load_u8 v20, v[6:7], off offset:1280
	v_or_b32_e32 v3, 0x600, v0
	v_dual_mov_b32 v10, 0 :: v_dual_mov_b32 v19, 0
	v_dual_mov_b32 v18, 0 :: v_dual_mov_b32 v17, 0
	;; [unrolled: 1-line block ×5, first 2 shown]
	s_mov_b32 s13, exec_lo
	s_wait_xcnt 0x0
	v_cmpx_gt_u32_e64 s8, v3
	s_cbranch_execz .LBB279_29
; %bb.10:
	global_load_u8 v19, v[6:7], off offset:1536
	v_or_b32_e32 v3, 0x700, v0
	v_dual_mov_b32 v10, 0 :: v_dual_mov_b32 v18, 0
	v_dual_mov_b32 v17, 0 :: v_dual_mov_b32 v16, 0
	v_dual_mov_b32 v15, 0 :: v_dual_mov_b32 v14, 0
	v_dual_mov_b32 v13, 0 :: v_dual_mov_b32 v12, 0
	v_mov_b32_e32 v11, 0
	s_mov_b32 s14, exec_lo
	s_wait_xcnt 0x0
	v_cmpx_gt_u32_e64 s8, v3
	s_cbranch_execz .LBB279_28
; %bb.11:
	global_load_u8 v18, v[6:7], off offset:1792
	v_or_b32_e32 v3, 0x800, v0
	v_dual_mov_b32 v10, 0 :: v_dual_mov_b32 v17, 0
	v_dual_mov_b32 v16, 0 :: v_dual_mov_b32 v15, 0
	;; [unrolled: 1-line block ×4, first 2 shown]
	s_mov_b32 s15, exec_lo
	s_wait_xcnt 0x0
	v_cmpx_gt_u32_e64 s8, v3
	s_cbranch_execz .LBB279_27
; %bb.12:
	global_load_u8 v17, v[6:7], off offset:2048
	v_or_b32_e32 v3, 0x900, v0
	v_dual_mov_b32 v10, 0 :: v_dual_mov_b32 v16, 0
	v_dual_mov_b32 v15, 0 :: v_dual_mov_b32 v14, 0
	;; [unrolled: 1-line block ×3, first 2 shown]
	v_mov_b32_e32 v11, 0
	s_mov_b32 s16, exec_lo
	s_wait_xcnt 0x0
	v_cmpx_gt_u32_e64 s8, v3
	s_cbranch_execz .LBB279_26
; %bb.13:
	global_load_u8 v16, v[6:7], off offset:2304
	v_or_b32_e32 v3, 0xa00, v0
	v_dual_mov_b32 v10, 0 :: v_dual_mov_b32 v15, 0
	v_dual_mov_b32 v14, 0 :: v_dual_mov_b32 v13, 0
	;; [unrolled: 1-line block ×3, first 2 shown]
	s_mov_b32 s17, exec_lo
	s_wait_xcnt 0x0
	v_cmpx_gt_u32_e64 s8, v3
	s_cbranch_execz .LBB279_25
; %bb.14:
	global_load_u8 v15, v[6:7], off offset:2560
	v_or_b32_e32 v3, 0xb00, v0
	v_dual_mov_b32 v10, 0 :: v_dual_mov_b32 v14, 0
	v_dual_mov_b32 v13, 0 :: v_dual_mov_b32 v12, 0
	v_mov_b32_e32 v11, 0
	s_mov_b32 s18, exec_lo
	s_wait_xcnt 0x0
	v_cmpx_gt_u32_e64 s8, v3
	s_cbranch_execz .LBB279_24
; %bb.15:
	global_load_u8 v14, v[6:7], off offset:2816
	v_or_b32_e32 v3, 0xc00, v0
	v_dual_mov_b32 v10, 0 :: v_dual_mov_b32 v13, 0
	v_dual_mov_b32 v12, 0 :: v_dual_mov_b32 v11, 0
	s_mov_b32 s19, exec_lo
	s_wait_xcnt 0x0
	v_cmpx_gt_u32_e64 s8, v3
	s_cbranch_execz .LBB279_23
; %bb.16:
	global_load_u8 v13, v[6:7], off offset:3072
	v_or_b32_e32 v3, 0xd00, v0
	v_dual_mov_b32 v10, 0 :: v_dual_mov_b32 v12, 0
	v_mov_b32_e32 v11, 0
	s_mov_b32 s20, exec_lo
	s_wait_xcnt 0x0
	v_cmpx_gt_u32_e64 s8, v3
	s_cbranch_execz .LBB279_22
; %bb.17:
	global_load_u8 v12, v[6:7], off offset:3328
	v_or_b32_e32 v3, 0xe00, v0
	v_dual_mov_b32 v10, 0 :: v_dual_mov_b32 v11, 0
	s_mov_b32 s21, exec_lo
	s_wait_xcnt 0x0
	s_delay_alu instid0(VALU_DEP_2)
	v_cmpx_gt_u32_e64 s8, v3
	s_cbranch_execz .LBB279_21
; %bb.18:
	global_load_u8 v11, v[6:7], off offset:3584
	v_or_b32_e32 v3, 0xf00, v0
	v_mov_b32_e32 v10, 0
	s_mov_b32 s22, exec_lo
	s_wait_xcnt 0x0
	s_delay_alu instid0(VALU_DEP_2)
	v_cmpx_gt_u32_e64 s8, v3
	s_cbranch_execz .LBB279_20
; %bb.19:
	global_load_u8 v3, v[6:7], off offset:3840
	s_wait_loadcnt 0x0
	v_lshlrev_b32_e32 v10, 24, v3
.LBB279_20:
	s_wait_xcnt 0x0
	s_or_b32 exec_lo, exec_lo, s22
.LBB279_21:
	s_delay_alu instid0(SALU_CYCLE_1)
	s_or_b32 exec_lo, exec_lo, s21
.LBB279_22:
	s_delay_alu instid0(SALU_CYCLE_1)
	s_or_b32 exec_lo, exec_lo, s20
.LBB279_23:
	s_delay_alu instid0(SALU_CYCLE_1)
	s_or_b32 exec_lo, exec_lo, s19
.LBB279_24:
	s_delay_alu instid0(SALU_CYCLE_1)
	s_or_b32 exec_lo, exec_lo, s18
.LBB279_25:
	s_delay_alu instid0(SALU_CYCLE_1)
	s_or_b32 exec_lo, exec_lo, s17
.LBB279_26:
	s_delay_alu instid0(SALU_CYCLE_1)
	s_or_b32 exec_lo, exec_lo, s16
.LBB279_27:
	s_delay_alu instid0(SALU_CYCLE_1)
	s_or_b32 exec_lo, exec_lo, s15
.LBB279_28:
	s_delay_alu instid0(SALU_CYCLE_1)
	s_or_b32 exec_lo, exec_lo, s14
.LBB279_29:
	s_delay_alu instid0(SALU_CYCLE_1)
	s_or_b32 exec_lo, exec_lo, s13
.LBB279_30:
	s_delay_alu instid0(SALU_CYCLE_1)
	s_or_b32 exec_lo, exec_lo, s12
.LBB279_31:
	s_delay_alu instid0(SALU_CYCLE_1)
	s_or_b32 exec_lo, exec_lo, s7
.LBB279_32:
	s_delay_alu instid0(SALU_CYCLE_1)
	s_or_b32 exec_lo, exec_lo, s6
	s_wait_loadcnt 0x0
	v_dual_mov_b32 v6, v5 :: v_dual_mov_b32 v5, v1
.LBB279_33:
	s_or_b32 exec_lo, exec_lo, s11
.LBB279_34:
	s_delay_alu instid0(SALU_CYCLE_1)
	s_or_b32 exec_lo, exec_lo, s3
.LBB279_35:
	s_delay_alu instid0(SALU_CYCLE_1)
	s_or_b32 exec_lo, exec_lo, s1
	s_cmp_eq_u32 s9, 0
	v_mov_b32_e32 v3, v2
	s_cselect_b32 s0, -1, 0
	s_lshl_b32 s1, s10, 24
	v_mov_b32_e32 v4, v2
	s_and_b32 s3, s1, 0x7f000000
	s_and_b32 s1, s1, 0x80000000
	s_clz_i32_u32 s6, s3
	s_add_co_i32 s7, s3, 0x1000000
	s_min_u32 s6, s6, 32
	s_ashr_i32 s7, s7, 8
	v_sub_nc_u32_e64 v1, s6, 4 clamp
	s_and_b32 s7, s7, 0x7f800000
	s_delay_alu instid0(VALU_DEP_1) | instskip(SKIP_4) | instid1(SALU_CYCLE_1)
	v_readfirstlane_b32 s6, v1
	v_mov_b32_e32 v1, v2
	s_lshl_b32 s9, s3, s6
	s_lshl_b32 s6, s6, 23
	s_lshr_b32 s9, s9, 4
	s_sub_co_i32 s6, s9, s6
	s_delay_alu instid0(SALU_CYCLE_1) | instskip(NEXT) | instid1(SALU_CYCLE_1)
	s_add_co_i32 s6, s6, 0x3c000000
	s_or_b32 s6, s6, s7
	s_cmp_lg_u32 s3, 0
	s_cselect_b32 s3, s6, 0
	s_delay_alu instid0(SALU_CYCLE_1)
	s_or_b32 s3, s3, s1
	s_and_saveexec_b32 s6, vcc_lo
	s_cbranch_execz .LBB279_37
; %bb.36:
	s_wait_loadcnt 0x0
	v_lshlrev_b32_e32 v1, 24, v23
	s_delay_alu instid0(VALU_DEP_1) | instskip(NEXT) | instid1(VALU_DEP_1)
	v_and_b32_e32 v2, 0x7f000000, v1
	v_clz_i32_u32_e32 v3, v2
	v_add_nc_u32_e32 v7, 0x1000000, v2
	v_cmp_ne_u32_e64 s1, 0, v2
	s_delay_alu instid0(VALU_DEP_3) | instskip(NEXT) | instid1(VALU_DEP_1)
	v_min_u32_e32 v3, 32, v3
	v_sub_nc_u32_e64 v3, v3, 4 clamp
	s_delay_alu instid0(VALU_DEP_1) | instskip(NEXT) | instid1(VALU_DEP_1)
	v_dual_lshlrev_b32 v4, v3, v2 :: v_dual_lshlrev_b32 v3, 23, v3
	v_lshrrev_b32_e32 v4, 4, v4
	s_delay_alu instid0(VALU_DEP_1) | instskip(SKIP_1) | instid1(VALU_DEP_2)
	v_sub_nc_u32_e32 v3, v4, v3
	v_ashrrev_i32_e32 v4, 8, v7
	v_add_nc_u32_e32 v3, 0x3c000000, v3
	s_delay_alu instid0(VALU_DEP_1) | instskip(NEXT) | instid1(VALU_DEP_1)
	v_and_or_b32 v3, 0x7f800000, v4, v3
	v_cndmask_b32_e64 v2, 0, v3, s1
	s_delay_alu instid0(VALU_DEP_1) | instskip(NEXT) | instid1(VALU_DEP_1)
	v_and_or_b32 v1, 0x80000000, v1, v2
	v_cmp_eq_f32_e64 s1, s3, v1
	s_delay_alu instid0(VALU_DEP_1) | instskip(SKIP_1) | instid1(VALU_DEP_1)
	v_cndmask_b32_e64 v2, 0, 1, s1
	v_cmp_neq_f32_e64 s1, s3, v1
	v_cndmask_b32_e64 v1, 0, 1, s1
	s_delay_alu instid0(VALU_DEP_1) | instskip(NEXT) | instid1(VALU_DEP_1)
	v_dual_cndmask_b32 v2, v1, v2, s0 :: v_dual_mov_b32 v1, 0
	v_dual_mov_b32 v4, v1 :: v_dual_bitop2_b32 v2, 1, v2 bitop3:0x40
	v_mov_b32_e32 v3, v1
	s_delay_alu instid0(VALU_DEP_2)
	v_and_b32_e32 v2, 0xffff, v2
.LBB279_37:
	s_or_b32 exec_lo, exec_lo, s6
	s_delay_alu instid0(SALU_CYCLE_1)
	s_mov_b32 s6, exec_lo
	v_cmpx_gt_i32_e64 s8, v9
	s_cbranch_execz .LBB279_39
; %bb.38:
	s_wait_loadcnt 0x0
	v_lshlrev_b32_e32 v7, 24, v22
	s_delay_alu instid0(VALU_DEP_1) | instskip(NEXT) | instid1(VALU_DEP_1)
	v_and_b32_e32 v22, 0x7f000000, v7
	v_clz_i32_u32_e32 v23, v22
	v_add_nc_u32_e32 v25, 0x1000000, v22
	v_cmp_ne_u32_e64 s1, 0, v22
	s_delay_alu instid0(VALU_DEP_3) | instskip(NEXT) | instid1(VALU_DEP_1)
	v_min_u32_e32 v23, 32, v23
	v_sub_nc_u32_e64 v23, v23, 4 clamp
	s_delay_alu instid0(VALU_DEP_1) | instskip(NEXT) | instid1(VALU_DEP_1)
	v_dual_lshlrev_b32 v24, v23, v22 :: v_dual_lshlrev_b32 v23, 23, v23
	v_lshrrev_b32_e32 v24, 4, v24
	s_delay_alu instid0(VALU_DEP_1) | instskip(NEXT) | instid1(VALU_DEP_1)
	v_dual_sub_nc_u32 v23, v24, v23 :: v_dual_ashrrev_i32 v24, 8, v25
	v_add_nc_u32_e32 v23, 0x3c000000, v23
	s_delay_alu instid0(VALU_DEP_1) | instskip(NEXT) | instid1(VALU_DEP_1)
	v_and_or_b32 v23, 0x7f800000, v24, v23
	v_cndmask_b32_e64 v22, 0, v23, s1
	s_delay_alu instid0(VALU_DEP_1) | instskip(NEXT) | instid1(VALU_DEP_1)
	v_and_or_b32 v7, 0x80000000, v7, v22
	v_cmp_eq_f32_e64 s1, s3, v7
	s_delay_alu instid0(VALU_DEP_1) | instskip(SKIP_1) | instid1(VALU_DEP_1)
	v_cndmask_b32_e64 v22, 0, 1, s1
	v_cmp_neq_f32_e64 s1, s3, v7
	v_cndmask_b32_e64 v7, 0, 1, s1
	s_delay_alu instid0(VALU_DEP_1) | instskip(NEXT) | instid1(VALU_DEP_1)
	v_cndmask_b32_e64 v7, v7, v22, s0
	v_and_b32_e32 v7, 1, v7
	s_delay_alu instid0(VALU_DEP_1) | instskip(NEXT) | instid1(VALU_DEP_1)
	v_lshlrev_b16 v7, 8, v7
	v_bitop3_b16 v7, v2, v7, 0xff bitop3:0xec
	s_delay_alu instid0(VALU_DEP_1) | instskip(NEXT) | instid1(VALU_DEP_1)
	v_and_b32_e32 v7, 0xffff, v7
	v_and_or_b32 v2, 0xffff0000, v2, v7
.LBB279_39:
	s_or_b32 exec_lo, exec_lo, s6
	v_or_b32_e32 v7, 0x200, v0
	s_mov_b32 s6, exec_lo
	s_delay_alu instid0(VALU_DEP_1)
	v_cmpx_gt_i32_e64 s8, v7
	s_cbranch_execz .LBB279_41
; %bb.40:
	v_lshlrev_b32_e32 v5, 24, v5
	s_delay_alu instid0(VALU_DEP_1) | instskip(SKIP_1) | instid1(VALU_DEP_1)
	v_and_b32_e32 v7, 0x7f000000, v5
	s_wait_loadcnt 0x0
	v_clz_i32_u32_e32 v22, v7
	v_add_nc_u32_e32 v24, 0x1000000, v7
	v_cmp_ne_u32_e64 s1, 0, v7
	s_delay_alu instid0(VALU_DEP_3) | instskip(NEXT) | instid1(VALU_DEP_1)
	v_min_u32_e32 v22, 32, v22
	v_sub_nc_u32_e64 v22, v22, 4 clamp
	s_delay_alu instid0(VALU_DEP_1) | instskip(NEXT) | instid1(VALU_DEP_1)
	v_dual_lshlrev_b32 v23, v22, v7 :: v_dual_lshlrev_b32 v22, 23, v22
	v_lshrrev_b32_e32 v23, 4, v23
	s_delay_alu instid0(VALU_DEP_1) | instskip(NEXT) | instid1(VALU_DEP_1)
	v_dual_sub_nc_u32 v22, v23, v22 :: v_dual_ashrrev_i32 v23, 8, v24
	v_add_nc_u32_e32 v22, 0x3c000000, v22
	s_delay_alu instid0(VALU_DEP_1) | instskip(NEXT) | instid1(VALU_DEP_1)
	v_and_or_b32 v22, 0x7f800000, v23, v22
	v_cndmask_b32_e64 v7, 0, v22, s1
	s_delay_alu instid0(VALU_DEP_1) | instskip(SKIP_1) | instid1(VALU_DEP_2)
	v_and_or_b32 v5, 0x80000000, v5, v7
	v_lshrrev_b32_e32 v7, 16, v2
	v_cmp_eq_f32_e64 s1, s3, v5
	s_delay_alu instid0(VALU_DEP_2) | instskip(NEXT) | instid1(VALU_DEP_2)
	v_and_b32_e32 v7, 0xffffff00, v7
	v_cndmask_b32_e64 v22, 0, 1, s1
	v_cmp_neq_f32_e64 s1, s3, v5
	s_delay_alu instid0(VALU_DEP_1) | instskip(NEXT) | instid1(VALU_DEP_1)
	v_cndmask_b32_e64 v5, 0, 1, s1
	v_cndmask_b32_e64 v5, v5, v22, s0
	s_delay_alu instid0(VALU_DEP_1) | instskip(NEXT) | instid1(VALU_DEP_1)
	v_bitop3_b16 v5, v5, v7, 1 bitop3:0xec
	v_lshlrev_b32_e32 v5, 16, v5
	s_delay_alu instid0(VALU_DEP_1)
	v_and_or_b32 v2, 0xffff, v2, v5
.LBB279_41:
	s_or_b32 exec_lo, exec_lo, s6
	v_or_b32_e32 v5, 0x300, v0
	s_mov_b32 s6, exec_lo
	s_delay_alu instid0(VALU_DEP_1)
	v_cmpx_gt_i32_e64 s8, v5
	s_cbranch_execz .LBB279_43
; %bb.42:
	v_lshlrev_b32_e32 v5, 24, v6
	s_delay_alu instid0(VALU_DEP_1) | instskip(NEXT) | instid1(VALU_DEP_1)
	v_and_b32_e32 v6, 0x7f000000, v5
	v_clz_i32_u32_e32 v7, v6
	s_wait_loadcnt 0x0
	v_add_nc_u32_e32 v23, 0x1000000, v6
	v_cmp_ne_u32_e64 s1, 0, v6
	s_delay_alu instid0(VALU_DEP_3) | instskip(NEXT) | instid1(VALU_DEP_1)
	v_min_u32_e32 v7, 32, v7
	v_sub_nc_u32_e64 v7, v7, 4 clamp
	s_delay_alu instid0(VALU_DEP_1) | instskip(NEXT) | instid1(VALU_DEP_1)
	v_dual_lshlrev_b32 v22, v7, v6 :: v_dual_lshlrev_b32 v7, 23, v7
	v_lshrrev_b32_e32 v22, 4, v22
	s_delay_alu instid0(VALU_DEP_1) | instskip(SKIP_1) | instid1(VALU_DEP_2)
	v_sub_nc_u32_e32 v7, v22, v7
	v_ashrrev_i32_e32 v22, 8, v23
	v_add_nc_u32_e32 v7, 0x3c000000, v7
	s_delay_alu instid0(VALU_DEP_1) | instskip(NEXT) | instid1(VALU_DEP_1)
	v_and_or_b32 v7, 0x7f800000, v22, v7
	v_cndmask_b32_e64 v6, 0, v7, s1
	s_delay_alu instid0(VALU_DEP_1) | instskip(NEXT) | instid1(VALU_DEP_1)
	v_and_or_b32 v5, 0x80000000, v5, v6
	v_cmp_eq_f32_e64 s1, s3, v5
	s_delay_alu instid0(VALU_DEP_1) | instskip(SKIP_1) | instid1(VALU_DEP_1)
	v_cndmask_b32_e64 v6, 0, 1, s1
	v_cmp_neq_f32_e64 s1, s3, v5
	v_cndmask_b32_e64 v5, 0, 1, s1
	s_delay_alu instid0(VALU_DEP_1) | instskip(NEXT) | instid1(VALU_DEP_1)
	v_cndmask_b32_e64 v5, v5, v6, s0
	v_dual_lshrrev_b32 v6, 16, v2 :: v_dual_bitop2_b32 v5, 1, v5 bitop3:0x40
	s_delay_alu instid0(VALU_DEP_1) | instskip(NEXT) | instid1(VALU_DEP_1)
	v_lshlrev_b16 v5, 8, v5
	v_bitop3_b16 v5, v6, v5, 0xff bitop3:0xec
	s_delay_alu instid0(VALU_DEP_1) | instskip(NEXT) | instid1(VALU_DEP_1)
	v_lshlrev_b32_e32 v5, 16, v5
	v_and_or_b32 v2, 0xffff, v2, v5
.LBB279_43:
	s_or_b32 exec_lo, exec_lo, s6
	v_or_b32_e32 v5, 0x400, v0
	s_mov_b32 s6, exec_lo
	s_delay_alu instid0(VALU_DEP_1)
	v_cmpx_gt_i32_e64 s8, v5
	s_cbranch_execz .LBB279_45
; %bb.44:
	v_lshlrev_b32_e32 v5, 24, v21
	s_delay_alu instid0(VALU_DEP_1) | instskip(NEXT) | instid1(VALU_DEP_1)
	v_and_b32_e32 v6, 0x7f000000, v5
	v_clz_i32_u32_e32 v7, v6
	s_wait_loadcnt 0x0
	v_add_nc_u32_e32 v22, 0x1000000, v6
	v_cmp_ne_u32_e64 s1, 0, v6
	s_delay_alu instid0(VALU_DEP_3) | instskip(NEXT) | instid1(VALU_DEP_1)
	v_min_u32_e32 v7, 32, v7
	v_sub_nc_u32_e64 v7, v7, 4 clamp
	s_delay_alu instid0(VALU_DEP_1) | instskip(NEXT) | instid1(VALU_DEP_1)
	v_dual_lshlrev_b32 v21, v7, v6 :: v_dual_lshlrev_b32 v7, 23, v7
	v_lshrrev_b32_e32 v21, 4, v21
	s_delay_alu instid0(VALU_DEP_1) | instskip(NEXT) | instid1(VALU_DEP_1)
	v_dual_sub_nc_u32 v7, v21, v7 :: v_dual_ashrrev_i32 v21, 8, v22
	v_add_nc_u32_e32 v7, 0x3c000000, v7
	s_delay_alu instid0(VALU_DEP_1) | instskip(NEXT) | instid1(VALU_DEP_1)
	v_and_or_b32 v7, 0x7f800000, v21, v7
	v_cndmask_b32_e64 v6, 0, v7, s1
	v_and_b32_e32 v7, 0xffffff00, v1
	s_delay_alu instid0(VALU_DEP_2) | instskip(NEXT) | instid1(VALU_DEP_1)
	v_and_or_b32 v5, 0x80000000, v5, v6
	v_cmp_eq_f32_e64 s1, s3, v5
	s_delay_alu instid0(VALU_DEP_1) | instskip(SKIP_1) | instid1(VALU_DEP_1)
	v_cndmask_b32_e64 v6, 0, 1, s1
	v_cmp_neq_f32_e64 s1, s3, v5
	v_cndmask_b32_e64 v5, 0, 1, s1
	s_delay_alu instid0(VALU_DEP_1) | instskip(NEXT) | instid1(VALU_DEP_1)
	v_cndmask_b32_e64 v5, v5, v6, s0
	v_bitop3_b16 v5, v5, v7, 1 bitop3:0xec
	s_delay_alu instid0(VALU_DEP_1) | instskip(NEXT) | instid1(VALU_DEP_1)
	v_and_b32_e32 v5, 0xffff, v5
	v_and_or_b32 v1, 0xffff0000, v1, v5
.LBB279_45:
	s_or_b32 exec_lo, exec_lo, s6
	v_or_b32_e32 v5, 0x500, v0
	s_mov_b32 s6, exec_lo
	s_delay_alu instid0(VALU_DEP_1)
	v_cmpx_gt_i32_e64 s8, v5
	s_cbranch_execz .LBB279_47
; %bb.46:
	v_lshlrev_b32_e32 v5, 24, v20
	s_delay_alu instid0(VALU_DEP_1) | instskip(NEXT) | instid1(VALU_DEP_1)
	v_and_b32_e32 v6, 0x7f000000, v5
	v_clz_i32_u32_e32 v7, v6
	v_add_nc_u32_e32 v21, 0x1000000, v6
	v_cmp_ne_u32_e64 s1, 0, v6
	s_delay_alu instid0(VALU_DEP_3) | instskip(NEXT) | instid1(VALU_DEP_1)
	v_min_u32_e32 v7, 32, v7
	v_sub_nc_u32_e64 v7, v7, 4 clamp
	s_delay_alu instid0(VALU_DEP_1) | instskip(NEXT) | instid1(VALU_DEP_1)
	v_dual_lshlrev_b32 v20, v7, v6 :: v_dual_lshlrev_b32 v7, 23, v7
	v_lshrrev_b32_e32 v20, 4, v20
	s_delay_alu instid0(VALU_DEP_1) | instskip(NEXT) | instid1(VALU_DEP_1)
	v_dual_sub_nc_u32 v7, v20, v7 :: v_dual_ashrrev_i32 v20, 8, v21
	v_add_nc_u32_e32 v7, 0x3c000000, v7
	s_delay_alu instid0(VALU_DEP_1) | instskip(NEXT) | instid1(VALU_DEP_1)
	v_and_or_b32 v7, 0x7f800000, v20, v7
	v_cndmask_b32_e64 v6, 0, v7, s1
	s_delay_alu instid0(VALU_DEP_1) | instskip(NEXT) | instid1(VALU_DEP_1)
	v_and_or_b32 v5, 0x80000000, v5, v6
	v_cmp_eq_f32_e64 s1, s3, v5
	s_delay_alu instid0(VALU_DEP_1) | instskip(SKIP_1) | instid1(VALU_DEP_1)
	v_cndmask_b32_e64 v6, 0, 1, s1
	v_cmp_neq_f32_e64 s1, s3, v5
	v_cndmask_b32_e64 v5, 0, 1, s1
	s_delay_alu instid0(VALU_DEP_1) | instskip(NEXT) | instid1(VALU_DEP_1)
	v_cndmask_b32_e64 v5, v5, v6, s0
	v_and_b32_e32 v5, 1, v5
	s_delay_alu instid0(VALU_DEP_1) | instskip(NEXT) | instid1(VALU_DEP_1)
	v_lshlrev_b16 v5, 8, v5
	v_bitop3_b16 v5, v1, v5, 0xff bitop3:0xec
	s_delay_alu instid0(VALU_DEP_1) | instskip(NEXT) | instid1(VALU_DEP_1)
	v_and_b32_e32 v5, 0xffff, v5
	v_and_or_b32 v1, 0xffff0000, v1, v5
.LBB279_47:
	s_or_b32 exec_lo, exec_lo, s6
	v_or_b32_e32 v5, 0x600, v0
	s_mov_b32 s6, exec_lo
	s_delay_alu instid0(VALU_DEP_1)
	v_cmpx_gt_i32_e64 s8, v5
	s_cbranch_execz .LBB279_49
; %bb.48:
	v_lshlrev_b32_e32 v5, 24, v19
	s_delay_alu instid0(VALU_DEP_1) | instskip(NEXT) | instid1(VALU_DEP_1)
	v_and_b32_e32 v6, 0x7f000000, v5
	v_clz_i32_u32_e32 v7, v6
	v_add_nc_u32_e32 v20, 0x1000000, v6
	v_cmp_ne_u32_e64 s1, 0, v6
	s_delay_alu instid0(VALU_DEP_3) | instskip(NEXT) | instid1(VALU_DEP_1)
	v_min_u32_e32 v7, 32, v7
	v_sub_nc_u32_e64 v7, v7, 4 clamp
	s_delay_alu instid0(VALU_DEP_1) | instskip(NEXT) | instid1(VALU_DEP_1)
	v_dual_lshlrev_b32 v19, v7, v6 :: v_dual_lshlrev_b32 v7, 23, v7
	v_lshrrev_b32_e32 v19, 4, v19
	s_delay_alu instid0(VALU_DEP_1) | instskip(NEXT) | instid1(VALU_DEP_1)
	v_dual_sub_nc_u32 v7, v19, v7 :: v_dual_ashrrev_i32 v19, 8, v20
	v_add_nc_u32_e32 v7, 0x3c000000, v7
	s_delay_alu instid0(VALU_DEP_1) | instskip(NEXT) | instid1(VALU_DEP_1)
	v_and_or_b32 v7, 0x7f800000, v19, v7
	v_cndmask_b32_e64 v6, 0, v7, s1
	s_delay_alu instid0(VALU_DEP_1) | instskip(SKIP_1) | instid1(VALU_DEP_2)
	v_and_or_b32 v5, 0x80000000, v5, v6
	v_lshrrev_b32_e32 v6, 16, v1
	v_cmp_eq_f32_e64 s1, s3, v5
	s_delay_alu instid0(VALU_DEP_2) | instskip(NEXT) | instid1(VALU_DEP_2)
	v_and_b32_e32 v6, 0xffffff00, v6
	v_cndmask_b32_e64 v7, 0, 1, s1
	v_cmp_neq_f32_e64 s1, s3, v5
	s_delay_alu instid0(VALU_DEP_1) | instskip(NEXT) | instid1(VALU_DEP_1)
	v_cndmask_b32_e64 v5, 0, 1, s1
	v_cndmask_b32_e64 v5, v5, v7, s0
	s_delay_alu instid0(VALU_DEP_1) | instskip(NEXT) | instid1(VALU_DEP_1)
	v_bitop3_b16 v5, v5, v6, 1 bitop3:0xec
	v_lshlrev_b32_e32 v5, 16, v5
	s_delay_alu instid0(VALU_DEP_1)
	v_and_or_b32 v1, 0xffff, v1, v5
.LBB279_49:
	s_or_b32 exec_lo, exec_lo, s6
	v_or_b32_e32 v5, 0x700, v0
	s_mov_b32 s6, exec_lo
	s_delay_alu instid0(VALU_DEP_1)
	v_cmpx_gt_i32_e64 s8, v5
	s_cbranch_execz .LBB279_51
; %bb.50:
	v_lshlrev_b32_e32 v5, 24, v18
	s_delay_alu instid0(VALU_DEP_1) | instskip(NEXT) | instid1(VALU_DEP_1)
	v_and_b32_e32 v6, 0x7f000000, v5
	v_clz_i32_u32_e32 v7, v6
	v_cmp_ne_u32_e64 s1, 0, v6
	v_add_nc_u32_e32 v19, 0x1000000, v6
	s_delay_alu instid0(VALU_DEP_3) | instskip(NEXT) | instid1(VALU_DEP_1)
	v_min_u32_e32 v7, 32, v7
	v_sub_nc_u32_e64 v7, v7, 4 clamp
	s_delay_alu instid0(VALU_DEP_1) | instskip(NEXT) | instid1(VALU_DEP_1)
	v_dual_lshlrev_b32 v18, v7, v6 :: v_dual_lshlrev_b32 v7, 23, v7
	v_lshrrev_b32_e32 v18, 4, v18
	s_delay_alu instid0(VALU_DEP_1) | instskip(SKIP_1) | instid1(VALU_DEP_2)
	v_sub_nc_u32_e32 v7, v18, v7
	v_ashrrev_i32_e32 v18, 8, v19
	v_add_nc_u32_e32 v7, 0x3c000000, v7
	s_delay_alu instid0(VALU_DEP_1) | instskip(NEXT) | instid1(VALU_DEP_1)
	v_and_or_b32 v7, 0x7f800000, v18, v7
	v_cndmask_b32_e64 v6, 0, v7, s1
	s_delay_alu instid0(VALU_DEP_1) | instskip(NEXT) | instid1(VALU_DEP_1)
	v_and_or_b32 v5, 0x80000000, v5, v6
	v_cmp_eq_f32_e64 s1, s3, v5
	s_delay_alu instid0(VALU_DEP_1) | instskip(SKIP_1) | instid1(VALU_DEP_1)
	v_cndmask_b32_e64 v6, 0, 1, s1
	v_cmp_neq_f32_e64 s1, s3, v5
	v_cndmask_b32_e64 v5, 0, 1, s1
	s_delay_alu instid0(VALU_DEP_1) | instskip(NEXT) | instid1(VALU_DEP_1)
	v_dual_cndmask_b32 v5, v5, v6, s0 :: v_dual_lshrrev_b32 v6, 16, v1
	v_and_b32_e32 v5, 1, v5
	s_delay_alu instid0(VALU_DEP_1) | instskip(NEXT) | instid1(VALU_DEP_1)
	v_lshlrev_b16 v5, 8, v5
	v_bitop3_b16 v5, v6, v5, 0xff bitop3:0xec
	s_delay_alu instid0(VALU_DEP_1) | instskip(NEXT) | instid1(VALU_DEP_1)
	v_lshlrev_b32_e32 v5, 16, v5
	v_and_or_b32 v1, 0xffff, v1, v5
.LBB279_51:
	s_or_b32 exec_lo, exec_lo, s6
	v_or_b32_e32 v5, 0x800, v0
	s_mov_b32 s6, exec_lo
	s_delay_alu instid0(VALU_DEP_1)
	v_cmpx_gt_i32_e64 s8, v5
	s_cbranch_execz .LBB279_53
; %bb.52:
	v_lshlrev_b32_e32 v5, 24, v17
	s_delay_alu instid0(VALU_DEP_1) | instskip(NEXT) | instid1(VALU_DEP_1)
	v_and_b32_e32 v6, 0x7f000000, v5
	v_clz_i32_u32_e32 v7, v6
	v_add_nc_u32_e32 v18, 0x1000000, v6
	v_cmp_ne_u32_e64 s1, 0, v6
	s_delay_alu instid0(VALU_DEP_3) | instskip(NEXT) | instid1(VALU_DEP_1)
	v_min_u32_e32 v7, 32, v7
	v_sub_nc_u32_e64 v7, v7, 4 clamp
	s_delay_alu instid0(VALU_DEP_1) | instskip(NEXT) | instid1(VALU_DEP_1)
	v_dual_lshlrev_b32 v17, v7, v6 :: v_dual_lshlrev_b32 v7, 23, v7
	v_lshrrev_b32_e32 v17, 4, v17
	s_delay_alu instid0(VALU_DEP_1) | instskip(NEXT) | instid1(VALU_DEP_1)
	v_dual_sub_nc_u32 v7, v17, v7 :: v_dual_ashrrev_i32 v17, 8, v18
	v_add_nc_u32_e32 v7, 0x3c000000, v7
	s_delay_alu instid0(VALU_DEP_1) | instskip(NEXT) | instid1(VALU_DEP_1)
	v_and_or_b32 v7, 0x7f800000, v17, v7
	v_cndmask_b32_e64 v6, 0, v7, s1
	v_and_b32_e32 v7, 0xffffff00, v4
	s_delay_alu instid0(VALU_DEP_2) | instskip(NEXT) | instid1(VALU_DEP_1)
	v_and_or_b32 v5, 0x80000000, v5, v6
	v_cmp_eq_f32_e64 s1, s3, v5
	s_delay_alu instid0(VALU_DEP_1) | instskip(SKIP_1) | instid1(VALU_DEP_1)
	v_cndmask_b32_e64 v6, 0, 1, s1
	v_cmp_neq_f32_e64 s1, s3, v5
	v_cndmask_b32_e64 v5, 0, 1, s1
	s_delay_alu instid0(VALU_DEP_1) | instskip(NEXT) | instid1(VALU_DEP_1)
	v_cndmask_b32_e64 v5, v5, v6, s0
	v_bitop3_b16 v5, v5, v7, 1 bitop3:0xec
	s_delay_alu instid0(VALU_DEP_1) | instskip(NEXT) | instid1(VALU_DEP_1)
	v_and_b32_e32 v5, 0xffff, v5
	v_and_or_b32 v4, 0xffff0000, v4, v5
.LBB279_53:
	s_or_b32 exec_lo, exec_lo, s6
	v_or_b32_e32 v5, 0x900, v0
	s_mov_b32 s6, exec_lo
	s_delay_alu instid0(VALU_DEP_1)
	v_cmpx_gt_i32_e64 s8, v5
	s_cbranch_execz .LBB279_55
; %bb.54:
	v_lshlrev_b32_e32 v5, 24, v16
	s_delay_alu instid0(VALU_DEP_1) | instskip(NEXT) | instid1(VALU_DEP_1)
	v_and_b32_e32 v6, 0x7f000000, v5
	v_clz_i32_u32_e32 v7, v6
	v_add_nc_u32_e32 v17, 0x1000000, v6
	v_cmp_ne_u32_e64 s1, 0, v6
	s_delay_alu instid0(VALU_DEP_3) | instskip(NEXT) | instid1(VALU_DEP_1)
	v_min_u32_e32 v7, 32, v7
	v_sub_nc_u32_e64 v7, v7, 4 clamp
	s_delay_alu instid0(VALU_DEP_1) | instskip(NEXT) | instid1(VALU_DEP_1)
	v_dual_lshlrev_b32 v16, v7, v6 :: v_dual_lshlrev_b32 v7, 23, v7
	v_lshrrev_b32_e32 v16, 4, v16
	s_delay_alu instid0(VALU_DEP_1) | instskip(NEXT) | instid1(VALU_DEP_1)
	v_dual_sub_nc_u32 v7, v16, v7 :: v_dual_ashrrev_i32 v16, 8, v17
	v_add_nc_u32_e32 v7, 0x3c000000, v7
	s_delay_alu instid0(VALU_DEP_1) | instskip(NEXT) | instid1(VALU_DEP_1)
	v_and_or_b32 v7, 0x7f800000, v16, v7
	v_cndmask_b32_e64 v6, 0, v7, s1
	s_delay_alu instid0(VALU_DEP_1) | instskip(NEXT) | instid1(VALU_DEP_1)
	v_and_or_b32 v5, 0x80000000, v5, v6
	v_cmp_eq_f32_e64 s1, s3, v5
	s_delay_alu instid0(VALU_DEP_1) | instskip(SKIP_1) | instid1(VALU_DEP_1)
	v_cndmask_b32_e64 v6, 0, 1, s1
	v_cmp_neq_f32_e64 s1, s3, v5
	v_cndmask_b32_e64 v5, 0, 1, s1
	s_delay_alu instid0(VALU_DEP_1) | instskip(NEXT) | instid1(VALU_DEP_1)
	v_cndmask_b32_e64 v5, v5, v6, s0
	v_and_b32_e32 v5, 1, v5
	s_delay_alu instid0(VALU_DEP_1) | instskip(NEXT) | instid1(VALU_DEP_1)
	v_lshlrev_b16 v5, 8, v5
	v_bitop3_b16 v5, v4, v5, 0xff bitop3:0xec
	s_delay_alu instid0(VALU_DEP_1) | instskip(NEXT) | instid1(VALU_DEP_1)
	v_and_b32_e32 v5, 0xffff, v5
	v_and_or_b32 v4, 0xffff0000, v4, v5
.LBB279_55:
	s_or_b32 exec_lo, exec_lo, s6
	v_or_b32_e32 v5, 0xa00, v0
	s_mov_b32 s6, exec_lo
	s_delay_alu instid0(VALU_DEP_1)
	v_cmpx_gt_i32_e64 s8, v5
	s_cbranch_execz .LBB279_57
; %bb.56:
	v_lshlrev_b32_e32 v5, 24, v15
	s_delay_alu instid0(VALU_DEP_1) | instskip(NEXT) | instid1(VALU_DEP_1)
	v_and_b32_e32 v6, 0x7f000000, v5
	v_clz_i32_u32_e32 v7, v6
	v_add_nc_u32_e32 v16, 0x1000000, v6
	v_cmp_ne_u32_e64 s1, 0, v6
	s_delay_alu instid0(VALU_DEP_3) | instskip(NEXT) | instid1(VALU_DEP_1)
	v_min_u32_e32 v7, 32, v7
	v_sub_nc_u32_e64 v7, v7, 4 clamp
	s_delay_alu instid0(VALU_DEP_1) | instskip(NEXT) | instid1(VALU_DEP_1)
	v_dual_lshlrev_b32 v15, v7, v6 :: v_dual_lshlrev_b32 v7, 23, v7
	v_lshrrev_b32_e32 v15, 4, v15
	s_delay_alu instid0(VALU_DEP_1) | instskip(NEXT) | instid1(VALU_DEP_1)
	v_dual_sub_nc_u32 v7, v15, v7 :: v_dual_ashrrev_i32 v15, 8, v16
	v_add_nc_u32_e32 v7, 0x3c000000, v7
	s_delay_alu instid0(VALU_DEP_1) | instskip(NEXT) | instid1(VALU_DEP_1)
	v_and_or_b32 v7, 0x7f800000, v15, v7
	v_cndmask_b32_e64 v6, 0, v7, s1
	s_delay_alu instid0(VALU_DEP_1) | instskip(SKIP_1) | instid1(VALU_DEP_2)
	v_and_or_b32 v5, 0x80000000, v5, v6
	v_lshrrev_b32_e32 v6, 16, v4
	v_cmp_eq_f32_e64 s1, s3, v5
	s_delay_alu instid0(VALU_DEP_2) | instskip(NEXT) | instid1(VALU_DEP_2)
	v_and_b32_e32 v6, 0xffffff00, v6
	v_cndmask_b32_e64 v7, 0, 1, s1
	v_cmp_neq_f32_e64 s1, s3, v5
	s_delay_alu instid0(VALU_DEP_1) | instskip(NEXT) | instid1(VALU_DEP_1)
	v_cndmask_b32_e64 v5, 0, 1, s1
	v_cndmask_b32_e64 v5, v5, v7, s0
	s_delay_alu instid0(VALU_DEP_1) | instskip(NEXT) | instid1(VALU_DEP_1)
	v_bitop3_b16 v5, v5, v6, 1 bitop3:0xec
	v_lshlrev_b32_e32 v5, 16, v5
	s_delay_alu instid0(VALU_DEP_1)
	v_and_or_b32 v4, 0xffff, v4, v5
.LBB279_57:
	s_or_b32 exec_lo, exec_lo, s6
	v_or_b32_e32 v5, 0xb00, v0
	s_mov_b32 s6, exec_lo
	s_delay_alu instid0(VALU_DEP_1)
	v_cmpx_gt_i32_e64 s8, v5
	s_cbranch_execz .LBB279_59
; %bb.58:
	v_lshlrev_b32_e32 v5, 24, v14
	s_delay_alu instid0(VALU_DEP_1) | instskip(NEXT) | instid1(VALU_DEP_1)
	v_and_b32_e32 v6, 0x7f000000, v5
	v_clz_i32_u32_e32 v7, v6
	v_cmp_ne_u32_e64 s1, 0, v6
	v_add_nc_u32_e32 v15, 0x1000000, v6
	s_delay_alu instid0(VALU_DEP_3) | instskip(NEXT) | instid1(VALU_DEP_1)
	v_min_u32_e32 v7, 32, v7
	v_sub_nc_u32_e64 v7, v7, 4 clamp
	s_delay_alu instid0(VALU_DEP_1) | instskip(NEXT) | instid1(VALU_DEP_1)
	v_dual_lshlrev_b32 v14, v7, v6 :: v_dual_lshlrev_b32 v7, 23, v7
	v_lshrrev_b32_e32 v14, 4, v14
	s_delay_alu instid0(VALU_DEP_1) | instskip(SKIP_1) | instid1(VALU_DEP_2)
	v_sub_nc_u32_e32 v7, v14, v7
	v_ashrrev_i32_e32 v14, 8, v15
	v_add_nc_u32_e32 v7, 0x3c000000, v7
	s_delay_alu instid0(VALU_DEP_1) | instskip(NEXT) | instid1(VALU_DEP_1)
	v_and_or_b32 v7, 0x7f800000, v14, v7
	v_cndmask_b32_e64 v6, 0, v7, s1
	s_delay_alu instid0(VALU_DEP_1) | instskip(NEXT) | instid1(VALU_DEP_1)
	v_and_or_b32 v5, 0x80000000, v5, v6
	v_cmp_eq_f32_e64 s1, s3, v5
	s_delay_alu instid0(VALU_DEP_1) | instskip(SKIP_1) | instid1(VALU_DEP_1)
	v_cndmask_b32_e64 v6, 0, 1, s1
	v_cmp_neq_f32_e64 s1, s3, v5
	v_cndmask_b32_e64 v5, 0, 1, s1
	s_delay_alu instid0(VALU_DEP_1) | instskip(NEXT) | instid1(VALU_DEP_1)
	v_dual_cndmask_b32 v5, v5, v6, s0 :: v_dual_lshrrev_b32 v6, 16, v4
	v_and_b32_e32 v5, 1, v5
	s_delay_alu instid0(VALU_DEP_1) | instskip(NEXT) | instid1(VALU_DEP_1)
	v_lshlrev_b16 v5, 8, v5
	v_bitop3_b16 v5, v6, v5, 0xff bitop3:0xec
	s_delay_alu instid0(VALU_DEP_1) | instskip(NEXT) | instid1(VALU_DEP_1)
	v_lshlrev_b32_e32 v5, 16, v5
	v_and_or_b32 v4, 0xffff, v4, v5
.LBB279_59:
	s_or_b32 exec_lo, exec_lo, s6
	v_or_b32_e32 v5, 0xc00, v0
	s_mov_b32 s6, exec_lo
	s_delay_alu instid0(VALU_DEP_1)
	v_cmpx_gt_i32_e64 s8, v5
	s_cbranch_execz .LBB279_61
; %bb.60:
	v_lshlrev_b32_e32 v5, 24, v13
	s_delay_alu instid0(VALU_DEP_1) | instskip(NEXT) | instid1(VALU_DEP_1)
	v_and_b32_e32 v6, 0x7f000000, v5
	v_clz_i32_u32_e32 v7, v6
	v_add_nc_u32_e32 v14, 0x1000000, v6
	v_cmp_ne_u32_e64 s1, 0, v6
	s_delay_alu instid0(VALU_DEP_3) | instskip(NEXT) | instid1(VALU_DEP_1)
	v_min_u32_e32 v7, 32, v7
	v_sub_nc_u32_e64 v7, v7, 4 clamp
	s_delay_alu instid0(VALU_DEP_1) | instskip(NEXT) | instid1(VALU_DEP_1)
	v_dual_lshlrev_b32 v13, v7, v6 :: v_dual_lshlrev_b32 v7, 23, v7
	v_lshrrev_b32_e32 v13, 4, v13
	s_delay_alu instid0(VALU_DEP_1) | instskip(NEXT) | instid1(VALU_DEP_1)
	v_dual_sub_nc_u32 v7, v13, v7 :: v_dual_ashrrev_i32 v13, 8, v14
	v_add_nc_u32_e32 v7, 0x3c000000, v7
	s_delay_alu instid0(VALU_DEP_1) | instskip(NEXT) | instid1(VALU_DEP_1)
	v_and_or_b32 v7, 0x7f800000, v13, v7
	v_cndmask_b32_e64 v6, 0, v7, s1
	v_and_b32_e32 v7, 0xffffff00, v3
	s_delay_alu instid0(VALU_DEP_2) | instskip(NEXT) | instid1(VALU_DEP_1)
	v_and_or_b32 v5, 0x80000000, v5, v6
	v_cmp_eq_f32_e64 s1, s3, v5
	s_delay_alu instid0(VALU_DEP_1) | instskip(SKIP_1) | instid1(VALU_DEP_1)
	v_cndmask_b32_e64 v6, 0, 1, s1
	v_cmp_neq_f32_e64 s1, s3, v5
	v_cndmask_b32_e64 v5, 0, 1, s1
	s_delay_alu instid0(VALU_DEP_1) | instskip(NEXT) | instid1(VALU_DEP_1)
	v_cndmask_b32_e64 v5, v5, v6, s0
	v_bitop3_b16 v5, v5, v7, 1 bitop3:0xec
	s_delay_alu instid0(VALU_DEP_1) | instskip(NEXT) | instid1(VALU_DEP_1)
	v_and_b32_e32 v5, 0xffff, v5
	v_and_or_b32 v3, 0xffff0000, v3, v5
.LBB279_61:
	s_or_b32 exec_lo, exec_lo, s6
	v_or_b32_e32 v5, 0xd00, v0
	s_mov_b32 s6, exec_lo
	s_delay_alu instid0(VALU_DEP_1)
	v_cmpx_gt_i32_e64 s8, v5
	s_cbranch_execz .LBB279_63
; %bb.62:
	v_lshlrev_b32_e32 v5, 24, v12
	s_delay_alu instid0(VALU_DEP_1) | instskip(NEXT) | instid1(VALU_DEP_1)
	v_and_b32_e32 v6, 0x7f000000, v5
	v_clz_i32_u32_e32 v7, v6
	v_add_nc_u32_e32 v13, 0x1000000, v6
	v_cmp_ne_u32_e64 s1, 0, v6
	s_delay_alu instid0(VALU_DEP_3) | instskip(NEXT) | instid1(VALU_DEP_1)
	v_min_u32_e32 v7, 32, v7
	v_sub_nc_u32_e64 v7, v7, 4 clamp
	s_delay_alu instid0(VALU_DEP_1) | instskip(NEXT) | instid1(VALU_DEP_1)
	v_dual_lshlrev_b32 v12, v7, v6 :: v_dual_lshlrev_b32 v7, 23, v7
	v_lshrrev_b32_e32 v12, 4, v12
	s_delay_alu instid0(VALU_DEP_1) | instskip(NEXT) | instid1(VALU_DEP_1)
	v_dual_sub_nc_u32 v7, v12, v7 :: v_dual_ashrrev_i32 v12, 8, v13
	v_add_nc_u32_e32 v7, 0x3c000000, v7
	s_delay_alu instid0(VALU_DEP_1) | instskip(NEXT) | instid1(VALU_DEP_1)
	v_and_or_b32 v7, 0x7f800000, v12, v7
	v_cndmask_b32_e64 v6, 0, v7, s1
	s_delay_alu instid0(VALU_DEP_1) | instskip(NEXT) | instid1(VALU_DEP_1)
	v_and_or_b32 v5, 0x80000000, v5, v6
	v_cmp_eq_f32_e64 s1, s3, v5
	s_delay_alu instid0(VALU_DEP_1) | instskip(SKIP_1) | instid1(VALU_DEP_1)
	v_cndmask_b32_e64 v6, 0, 1, s1
	v_cmp_neq_f32_e64 s1, s3, v5
	v_cndmask_b32_e64 v5, 0, 1, s1
	s_delay_alu instid0(VALU_DEP_1) | instskip(NEXT) | instid1(VALU_DEP_1)
	v_cndmask_b32_e64 v5, v5, v6, s0
	v_and_b32_e32 v5, 1, v5
	s_delay_alu instid0(VALU_DEP_1) | instskip(NEXT) | instid1(VALU_DEP_1)
	v_lshlrev_b16 v5, 8, v5
	v_bitop3_b16 v5, v3, v5, 0xff bitop3:0xec
	s_delay_alu instid0(VALU_DEP_1) | instskip(NEXT) | instid1(VALU_DEP_1)
	v_and_b32_e32 v5, 0xffff, v5
	v_and_or_b32 v3, 0xffff0000, v3, v5
.LBB279_63:
	s_or_b32 exec_lo, exec_lo, s6
	v_or_b32_e32 v5, 0xe00, v0
	s_mov_b32 s6, exec_lo
	s_delay_alu instid0(VALU_DEP_1)
	v_cmpx_gt_i32_e64 s8, v5
	s_cbranch_execz .LBB279_65
; %bb.64:
	v_lshlrev_b32_e32 v5, 24, v11
	s_delay_alu instid0(VALU_DEP_1) | instskip(NEXT) | instid1(VALU_DEP_1)
	v_and_b32_e32 v6, 0x7f000000, v5
	v_clz_i32_u32_e32 v7, v6
	v_add_nc_u32_e32 v12, 0x1000000, v6
	v_cmp_ne_u32_e64 s1, 0, v6
	s_delay_alu instid0(VALU_DEP_3) | instskip(NEXT) | instid1(VALU_DEP_1)
	v_min_u32_e32 v7, 32, v7
	v_sub_nc_u32_e64 v7, v7, 4 clamp
	s_delay_alu instid0(VALU_DEP_1) | instskip(NEXT) | instid1(VALU_DEP_1)
	v_dual_lshlrev_b32 v11, v7, v6 :: v_dual_lshlrev_b32 v7, 23, v7
	v_lshrrev_b32_e32 v11, 4, v11
	s_delay_alu instid0(VALU_DEP_1) | instskip(NEXT) | instid1(VALU_DEP_1)
	v_dual_sub_nc_u32 v7, v11, v7 :: v_dual_ashrrev_i32 v11, 8, v12
	v_add_nc_u32_e32 v7, 0x3c000000, v7
	s_delay_alu instid0(VALU_DEP_1) | instskip(NEXT) | instid1(VALU_DEP_1)
	v_and_or_b32 v7, 0x7f800000, v11, v7
	v_cndmask_b32_e64 v6, 0, v7, s1
	s_delay_alu instid0(VALU_DEP_1) | instskip(SKIP_1) | instid1(VALU_DEP_2)
	v_and_or_b32 v5, 0x80000000, v5, v6
	v_lshrrev_b32_e32 v6, 16, v3
	v_cmp_eq_f32_e64 s1, s3, v5
	s_delay_alu instid0(VALU_DEP_2) | instskip(NEXT) | instid1(VALU_DEP_2)
	v_and_b32_e32 v6, 0xffffff00, v6
	v_cndmask_b32_e64 v7, 0, 1, s1
	v_cmp_neq_f32_e64 s1, s3, v5
	s_delay_alu instid0(VALU_DEP_1) | instskip(NEXT) | instid1(VALU_DEP_1)
	v_cndmask_b32_e64 v5, 0, 1, s1
	v_cndmask_b32_e64 v5, v5, v7, s0
	s_delay_alu instid0(VALU_DEP_1) | instskip(NEXT) | instid1(VALU_DEP_1)
	v_bitop3_b16 v5, v5, v6, 1 bitop3:0xec
	v_lshlrev_b32_e32 v5, 16, v5
	s_delay_alu instid0(VALU_DEP_1)
	v_and_or_b32 v3, 0xffff, v3, v5
.LBB279_65:
	s_or_b32 exec_lo, exec_lo, s6
	v_or_b32_e32 v5, 0xf00, v0
	s_mov_b32 s6, exec_lo
	s_delay_alu instid0(VALU_DEP_1)
	v_cmpx_gt_i32_e64 s8, v5
	s_cbranch_execnz .LBB279_84
; %bb.66:
	s_or_b32 exec_lo, exec_lo, s6
	s_and_saveexec_b32 s0, vcc_lo
	s_delay_alu instid0(SALU_CYCLE_1)
	s_xor_b32 s0, exec_lo, s0
	s_cbranch_execnz .LBB279_85
.LBB279_67:
	s_or_b32 exec_lo, exec_lo, s0
	s_delay_alu instid0(SALU_CYCLE_1)
	s_mov_b32 s0, exec_lo
	v_cmpx_gt_i32_e64 s8, v0
	s_cbranch_execnz .LBB279_86
.LBB279_68:
	s_or_b32 exec_lo, exec_lo, s0
	s_delay_alu instid0(SALU_CYCLE_1)
	s_mov_b32 s0, exec_lo
	v_cmpx_gt_i32_e64 s8, v0
	s_cbranch_execnz .LBB279_87
.LBB279_69:
	s_or_b32 exec_lo, exec_lo, s0
	s_delay_alu instid0(SALU_CYCLE_1)
	s_mov_b32 s0, exec_lo
	v_cmpx_gt_i32_e64 s8, v0
	s_cbranch_execnz .LBB279_88
.LBB279_70:
	s_or_b32 exec_lo, exec_lo, s0
	s_delay_alu instid0(SALU_CYCLE_1)
	s_mov_b32 s0, exec_lo
	v_cmpx_gt_i32_e64 s8, v0
	s_cbranch_execnz .LBB279_89
.LBB279_71:
	s_or_b32 exec_lo, exec_lo, s0
	s_delay_alu instid0(SALU_CYCLE_1)
	s_mov_b32 s0, exec_lo
	v_cmpx_gt_i32_e64 s8, v0
	s_cbranch_execnz .LBB279_90
.LBB279_72:
	s_or_b32 exec_lo, exec_lo, s0
	s_delay_alu instid0(SALU_CYCLE_1)
	s_mov_b32 s0, exec_lo
	v_cmpx_gt_i32_e64 s8, v0
	s_cbranch_execnz .LBB279_91
.LBB279_73:
	s_or_b32 exec_lo, exec_lo, s0
	s_delay_alu instid0(SALU_CYCLE_1)
	s_mov_b32 s0, exec_lo
	v_cmpx_gt_i32_e64 s8, v0
	s_cbranch_execnz .LBB279_92
.LBB279_74:
	s_or_b32 exec_lo, exec_lo, s0
	s_delay_alu instid0(SALU_CYCLE_1)
	s_mov_b32 s0, exec_lo
	v_cmpx_gt_i32_e64 s8, v0
	s_cbranch_execnz .LBB279_93
.LBB279_75:
	s_or_b32 exec_lo, exec_lo, s0
	s_delay_alu instid0(SALU_CYCLE_1)
	s_mov_b32 s0, exec_lo
	v_cmpx_gt_i32_e64 s8, v0
	s_cbranch_execnz .LBB279_94
.LBB279_76:
	s_or_b32 exec_lo, exec_lo, s0
	s_delay_alu instid0(SALU_CYCLE_1)
	s_mov_b32 s0, exec_lo
	v_cmpx_gt_i32_e64 s8, v0
	s_cbranch_execnz .LBB279_95
.LBB279_77:
	s_or_b32 exec_lo, exec_lo, s0
	s_delay_alu instid0(SALU_CYCLE_1)
	s_mov_b32 s0, exec_lo
	v_cmpx_gt_i32_e64 s8, v0
	s_cbranch_execnz .LBB279_96
.LBB279_78:
	s_or_b32 exec_lo, exec_lo, s0
	s_delay_alu instid0(SALU_CYCLE_1)
	s_mov_b32 s0, exec_lo
	v_cmpx_gt_i32_e64 s8, v0
	s_cbranch_execnz .LBB279_97
.LBB279_79:
	s_or_b32 exec_lo, exec_lo, s0
	s_delay_alu instid0(SALU_CYCLE_1)
	s_mov_b32 s0, exec_lo
	v_cmpx_gt_i32_e64 s8, v0
	s_cbranch_execnz .LBB279_98
.LBB279_80:
	s_or_b32 exec_lo, exec_lo, s0
	s_delay_alu instid0(SALU_CYCLE_1)
	s_mov_b32 s0, exec_lo
	v_cmpx_gt_i32_e64 s8, v0
	s_cbranch_execnz .LBB279_99
.LBB279_81:
	s_or_b32 exec_lo, exec_lo, s0
	s_delay_alu instid0(SALU_CYCLE_1)
	s_mov_b32 s0, exec_lo
	v_cmpx_gt_i32_e64 s8, v0
	s_cbranch_execz .LBB279_83
.LBB279_82:
	v_dual_lshrrev_b32 v1, 24, v3 :: v_dual_add_nc_u32 v0, s2, v0
	global_store_b8 v0, v1, s[4:5]
.LBB279_83:
	s_endpgm
.LBB279_84:
	v_and_b32_e32 v5, 0x7f000000, v10
	s_delay_alu instid0(VALU_DEP_1) | instskip(SKIP_2) | instid1(VALU_DEP_3)
	v_clz_i32_u32_e32 v6, v5
	v_cmp_ne_u32_e64 s1, 0, v5
	v_add_nc_u32_e32 v11, 0x1000000, v5
	v_min_u32_e32 v6, 32, v6
	s_delay_alu instid0(VALU_DEP_1) | instskip(NEXT) | instid1(VALU_DEP_1)
	v_sub_nc_u32_e64 v6, v6, 4 clamp
	v_dual_lshlrev_b32 v7, v6, v5 :: v_dual_lshlrev_b32 v6, 23, v6
	s_delay_alu instid0(VALU_DEP_1) | instskip(NEXT) | instid1(VALU_DEP_1)
	v_lshrrev_b32_e32 v7, 4, v7
	v_dual_sub_nc_u32 v6, v7, v6 :: v_dual_ashrrev_i32 v7, 8, v11
	s_delay_alu instid0(VALU_DEP_1) | instskip(NEXT) | instid1(VALU_DEP_1)
	v_add_nc_u32_e32 v6, 0x3c000000, v6
	v_and_or_b32 v6, 0x7f800000, v7, v6
	s_delay_alu instid0(VALU_DEP_1) | instskip(NEXT) | instid1(VALU_DEP_1)
	v_cndmask_b32_e64 v5, 0, v6, s1
	v_and_or_b32 v5, 0x80000000, v10, v5
	s_delay_alu instid0(VALU_DEP_1) | instskip(NEXT) | instid1(VALU_DEP_1)
	v_cmp_eq_f32_e64 s1, s3, v5
	v_cndmask_b32_e64 v6, 0, 1, s1
	v_cmp_neq_f32_e64 s1, s3, v5
	s_delay_alu instid0(VALU_DEP_1) | instskip(NEXT) | instid1(VALU_DEP_1)
	v_cndmask_b32_e64 v5, 0, 1, s1
	v_dual_cndmask_b32 v5, v5, v6, s0 :: v_dual_lshrrev_b32 v6, 16, v3
	s_delay_alu instid0(VALU_DEP_1) | instskip(NEXT) | instid1(VALU_DEP_1)
	v_and_b32_e32 v5, 1, v5
	v_lshlrev_b16 v5, 8, v5
	s_delay_alu instid0(VALU_DEP_1) | instskip(NEXT) | instid1(VALU_DEP_1)
	v_bitop3_b16 v5, v6, v5, 0xff bitop3:0xec
	v_lshlrev_b32_e32 v5, 16, v5
	s_delay_alu instid0(VALU_DEP_1) | instskip(SKIP_2) | instid1(SALU_CYCLE_1)
	v_and_or_b32 v3, 0xffff, v3, v5
	s_or_b32 exec_lo, exec_lo, s6
	s_and_saveexec_b32 s0, vcc_lo
	s_xor_b32 s0, exec_lo, s0
	s_cbranch_execz .LBB279_67
.LBB279_85:
	v_mov_b32_e32 v0, v9
	global_store_b8 v8, v2, s[4:5]
	s_wait_xcnt 0x0
	s_or_b32 exec_lo, exec_lo, s0
	s_delay_alu instid0(SALU_CYCLE_1)
	s_mov_b32 s0, exec_lo
	v_cmpx_gt_i32_e64 s8, v0
	s_cbranch_execz .LBB279_68
.LBB279_86:
	v_dual_lshrrev_b32 v5, 8, v2 :: v_dual_add_nc_u32 v6, s2, v0
	v_add_nc_u32_e32 v0, 0x100, v0
	global_store_b8 v6, v5, s[4:5]
	s_wait_xcnt 0x0
	s_or_b32 exec_lo, exec_lo, s0
	s_delay_alu instid0(SALU_CYCLE_1)
	s_mov_b32 s0, exec_lo
	v_cmpx_gt_i32_e64 s8, v0
	s_cbranch_execz .LBB279_69
.LBB279_87:
	v_add_nc_u32_e32 v5, s2, v0
	v_add_nc_u32_e32 v0, 0x100, v0
	global_store_d16_hi_b8 v5, v2, s[4:5]
	s_wait_xcnt 0x0
	s_or_b32 exec_lo, exec_lo, s0
	s_delay_alu instid0(SALU_CYCLE_1)
	s_mov_b32 s0, exec_lo
	v_cmpx_gt_i32_e64 s8, v0
	s_cbranch_execz .LBB279_70
.LBB279_88:
	v_dual_lshrrev_b32 v2, 24, v2 :: v_dual_add_nc_u32 v5, s2, v0
	v_add_nc_u32_e32 v0, 0x100, v0
	global_store_b8 v5, v2, s[4:5]
	s_wait_xcnt 0x0
	s_or_b32 exec_lo, exec_lo, s0
	s_delay_alu instid0(SALU_CYCLE_1)
	s_mov_b32 s0, exec_lo
	v_cmpx_gt_i32_e64 s8, v0
	s_cbranch_execz .LBB279_71
.LBB279_89:
	v_add_nc_u32_e32 v2, s2, v0
	v_add_nc_u32_e32 v0, 0x100, v0
	global_store_b8 v2, v1, s[4:5]
	s_wait_xcnt 0x0
	s_or_b32 exec_lo, exec_lo, s0
	s_delay_alu instid0(SALU_CYCLE_1)
	s_mov_b32 s0, exec_lo
	v_cmpx_gt_i32_e64 s8, v0
	s_cbranch_execz .LBB279_72
.LBB279_90:
	v_dual_lshrrev_b32 v2, 8, v1 :: v_dual_add_nc_u32 v5, s2, v0
	v_add_nc_u32_e32 v0, 0x100, v0
	global_store_b8 v5, v2, s[4:5]
	s_wait_xcnt 0x0
	s_or_b32 exec_lo, exec_lo, s0
	s_delay_alu instid0(SALU_CYCLE_1)
	s_mov_b32 s0, exec_lo
	v_cmpx_gt_i32_e64 s8, v0
	s_cbranch_execz .LBB279_73
.LBB279_91:
	v_add_nc_u32_e32 v2, s2, v0
	v_add_nc_u32_e32 v0, 0x100, v0
	global_store_d16_hi_b8 v2, v1, s[4:5]
	s_wait_xcnt 0x0
	s_or_b32 exec_lo, exec_lo, s0
	s_delay_alu instid0(SALU_CYCLE_1)
	s_mov_b32 s0, exec_lo
	v_cmpx_gt_i32_e64 s8, v0
	s_cbranch_execz .LBB279_74
.LBB279_92:
	v_dual_lshrrev_b32 v1, 24, v1 :: v_dual_add_nc_u32 v2, s2, v0
	v_add_nc_u32_e32 v0, 0x100, v0
	global_store_b8 v2, v1, s[4:5]
	s_wait_xcnt 0x0
	s_or_b32 exec_lo, exec_lo, s0
	s_delay_alu instid0(SALU_CYCLE_1)
	s_mov_b32 s0, exec_lo
	v_cmpx_gt_i32_e64 s8, v0
	s_cbranch_execz .LBB279_75
.LBB279_93:
	v_add_nc_u32_e32 v1, s2, v0
	v_add_nc_u32_e32 v0, 0x100, v0
	global_store_b8 v1, v4, s[4:5]
	s_wait_xcnt 0x0
	s_or_b32 exec_lo, exec_lo, s0
	s_delay_alu instid0(SALU_CYCLE_1)
	s_mov_b32 s0, exec_lo
	v_cmpx_gt_i32_e64 s8, v0
	s_cbranch_execz .LBB279_76
.LBB279_94:
	v_lshrrev_b32_e32 v1, 8, v4
	v_add_nc_u32_e32 v2, s2, v0
	v_add_nc_u32_e32 v0, 0x100, v0
	global_store_b8 v2, v1, s[4:5]
	s_wait_xcnt 0x0
	s_or_b32 exec_lo, exec_lo, s0
	s_delay_alu instid0(SALU_CYCLE_1)
	s_mov_b32 s0, exec_lo
	v_cmpx_gt_i32_e64 s8, v0
	s_cbranch_execz .LBB279_77
.LBB279_95:
	v_add_nc_u32_e32 v1, s2, v0
	v_add_nc_u32_e32 v0, 0x100, v0
	global_store_d16_hi_b8 v1, v4, s[4:5]
	s_wait_xcnt 0x0
	s_or_b32 exec_lo, exec_lo, s0
	s_delay_alu instid0(SALU_CYCLE_1)
	s_mov_b32 s0, exec_lo
	v_cmpx_gt_i32_e64 s8, v0
	s_cbranch_execz .LBB279_78
.LBB279_96:
	v_lshrrev_b32_e32 v1, 24, v4
	v_add_nc_u32_e32 v2, s2, v0
	v_add_nc_u32_e32 v0, 0x100, v0
	global_store_b8 v2, v1, s[4:5]
	s_wait_xcnt 0x0
	s_or_b32 exec_lo, exec_lo, s0
	s_delay_alu instid0(SALU_CYCLE_1)
	s_mov_b32 s0, exec_lo
	v_cmpx_gt_i32_e64 s8, v0
	s_cbranch_execz .LBB279_79
.LBB279_97:
	v_add_nc_u32_e32 v1, s2, v0
	v_add_nc_u32_e32 v0, 0x100, v0
	global_store_b8 v1, v3, s[4:5]
	s_wait_xcnt 0x0
	s_or_b32 exec_lo, exec_lo, s0
	s_delay_alu instid0(SALU_CYCLE_1)
	s_mov_b32 s0, exec_lo
	v_cmpx_gt_i32_e64 s8, v0
	s_cbranch_execz .LBB279_80
.LBB279_98:
	v_dual_lshrrev_b32 v1, 8, v3 :: v_dual_add_nc_u32 v2, s2, v0
	v_add_nc_u32_e32 v0, 0x100, v0
	global_store_b8 v2, v1, s[4:5]
	s_wait_xcnt 0x0
	s_or_b32 exec_lo, exec_lo, s0
	s_delay_alu instid0(SALU_CYCLE_1)
	s_mov_b32 s0, exec_lo
	v_cmpx_gt_i32_e64 s8, v0
	s_cbranch_execz .LBB279_81
.LBB279_99:
	v_add_nc_u32_e32 v1, s2, v0
	v_add_nc_u32_e32 v0, 0x100, v0
	global_store_d16_hi_b8 v1, v3, s[4:5]
	s_wait_xcnt 0x0
	s_or_b32 exec_lo, exec_lo, s0
	s_delay_alu instid0(SALU_CYCLE_1)
	s_mov_b32 s0, exec_lo
	v_cmpx_gt_i32_e64 s8, v0
	s_cbranch_execnz .LBB279_82
	s_branch .LBB279_83
	.section	.rodata,"a",@progbits
	.p2align	6, 0x0
	.amdhsa_kernel _ZN2at6native29vectorized_elementwise_kernelILi4ENS0_13AUnaryFunctorIN3c1013Float8_e4m3fnES4_bNS0_12_GLOBAL__N_116CompareEqFunctorIS4_EEEESt5arrayIPcLm2EEEEviT0_T1_
		.amdhsa_group_segment_fixed_size 0
		.amdhsa_private_segment_fixed_size 0
		.amdhsa_kernarg_size 32
		.amdhsa_user_sgpr_count 2
		.amdhsa_user_sgpr_dispatch_ptr 0
		.amdhsa_user_sgpr_queue_ptr 0
		.amdhsa_user_sgpr_kernarg_segment_ptr 1
		.amdhsa_user_sgpr_dispatch_id 0
		.amdhsa_user_sgpr_kernarg_preload_length 0
		.amdhsa_user_sgpr_kernarg_preload_offset 0
		.amdhsa_user_sgpr_private_segment_size 0
		.amdhsa_wavefront_size32 1
		.amdhsa_uses_dynamic_stack 0
		.amdhsa_enable_private_segment 0
		.amdhsa_system_sgpr_workgroup_id_x 1
		.amdhsa_system_sgpr_workgroup_id_y 0
		.amdhsa_system_sgpr_workgroup_id_z 0
		.amdhsa_system_sgpr_workgroup_info 0
		.amdhsa_system_vgpr_workitem_id 0
		.amdhsa_next_free_vgpr 60
		.amdhsa_next_free_sgpr 23
		.amdhsa_named_barrier_count 0
		.amdhsa_reserve_vcc 1
		.amdhsa_float_round_mode_32 0
		.amdhsa_float_round_mode_16_64 0
		.amdhsa_float_denorm_mode_32 3
		.amdhsa_float_denorm_mode_16_64 3
		.amdhsa_fp16_overflow 0
		.amdhsa_memory_ordered 1
		.amdhsa_forward_progress 1
		.amdhsa_inst_pref_size 79
		.amdhsa_round_robin_scheduling 0
		.amdhsa_exception_fp_ieee_invalid_op 0
		.amdhsa_exception_fp_denorm_src 0
		.amdhsa_exception_fp_ieee_div_zero 0
		.amdhsa_exception_fp_ieee_overflow 0
		.amdhsa_exception_fp_ieee_underflow 0
		.amdhsa_exception_fp_ieee_inexact 0
		.amdhsa_exception_int_div_zero 0
	.end_amdhsa_kernel
	.section	.text._ZN2at6native29vectorized_elementwise_kernelILi4ENS0_13AUnaryFunctorIN3c1013Float8_e4m3fnES4_bNS0_12_GLOBAL__N_116CompareEqFunctorIS4_EEEESt5arrayIPcLm2EEEEviT0_T1_,"axG",@progbits,_ZN2at6native29vectorized_elementwise_kernelILi4ENS0_13AUnaryFunctorIN3c1013Float8_e4m3fnES4_bNS0_12_GLOBAL__N_116CompareEqFunctorIS4_EEEESt5arrayIPcLm2EEEEviT0_T1_,comdat
.Lfunc_end279:
	.size	_ZN2at6native29vectorized_elementwise_kernelILi4ENS0_13AUnaryFunctorIN3c1013Float8_e4m3fnES4_bNS0_12_GLOBAL__N_116CompareEqFunctorIS4_EEEESt5arrayIPcLm2EEEEviT0_T1_, .Lfunc_end279-_ZN2at6native29vectorized_elementwise_kernelILi4ENS0_13AUnaryFunctorIN3c1013Float8_e4m3fnES4_bNS0_12_GLOBAL__N_116CompareEqFunctorIS4_EEEESt5arrayIPcLm2EEEEviT0_T1_
                                        ; -- End function
	.set _ZN2at6native29vectorized_elementwise_kernelILi4ENS0_13AUnaryFunctorIN3c1013Float8_e4m3fnES4_bNS0_12_GLOBAL__N_116CompareEqFunctorIS4_EEEESt5arrayIPcLm2EEEEviT0_T1_.num_vgpr, 60
	.set _ZN2at6native29vectorized_elementwise_kernelILi4ENS0_13AUnaryFunctorIN3c1013Float8_e4m3fnES4_bNS0_12_GLOBAL__N_116CompareEqFunctorIS4_EEEESt5arrayIPcLm2EEEEviT0_T1_.num_agpr, 0
	.set _ZN2at6native29vectorized_elementwise_kernelILi4ENS0_13AUnaryFunctorIN3c1013Float8_e4m3fnES4_bNS0_12_GLOBAL__N_116CompareEqFunctorIS4_EEEESt5arrayIPcLm2EEEEviT0_T1_.numbered_sgpr, 23
	.set _ZN2at6native29vectorized_elementwise_kernelILi4ENS0_13AUnaryFunctorIN3c1013Float8_e4m3fnES4_bNS0_12_GLOBAL__N_116CompareEqFunctorIS4_EEEESt5arrayIPcLm2EEEEviT0_T1_.num_named_barrier, 0
	.set _ZN2at6native29vectorized_elementwise_kernelILi4ENS0_13AUnaryFunctorIN3c1013Float8_e4m3fnES4_bNS0_12_GLOBAL__N_116CompareEqFunctorIS4_EEEESt5arrayIPcLm2EEEEviT0_T1_.private_seg_size, 0
	.set _ZN2at6native29vectorized_elementwise_kernelILi4ENS0_13AUnaryFunctorIN3c1013Float8_e4m3fnES4_bNS0_12_GLOBAL__N_116CompareEqFunctorIS4_EEEESt5arrayIPcLm2EEEEviT0_T1_.uses_vcc, 1
	.set _ZN2at6native29vectorized_elementwise_kernelILi4ENS0_13AUnaryFunctorIN3c1013Float8_e4m3fnES4_bNS0_12_GLOBAL__N_116CompareEqFunctorIS4_EEEESt5arrayIPcLm2EEEEviT0_T1_.uses_flat_scratch, 0
	.set _ZN2at6native29vectorized_elementwise_kernelILi4ENS0_13AUnaryFunctorIN3c1013Float8_e4m3fnES4_bNS0_12_GLOBAL__N_116CompareEqFunctorIS4_EEEESt5arrayIPcLm2EEEEviT0_T1_.has_dyn_sized_stack, 0
	.set _ZN2at6native29vectorized_elementwise_kernelILi4ENS0_13AUnaryFunctorIN3c1013Float8_e4m3fnES4_bNS0_12_GLOBAL__N_116CompareEqFunctorIS4_EEEESt5arrayIPcLm2EEEEviT0_T1_.has_recursion, 0
	.set _ZN2at6native29vectorized_elementwise_kernelILi4ENS0_13AUnaryFunctorIN3c1013Float8_e4m3fnES4_bNS0_12_GLOBAL__N_116CompareEqFunctorIS4_EEEESt5arrayIPcLm2EEEEviT0_T1_.has_indirect_call, 0
	.section	.AMDGPU.csdata,"",@progbits
; Kernel info:
; codeLenInByte = 10108
; TotalNumSgprs: 25
; NumVgprs: 60
; ScratchSize: 0
; MemoryBound: 0
; FloatMode: 240
; IeeeMode: 1
; LDSByteSize: 0 bytes/workgroup (compile time only)
; SGPRBlocks: 0
; VGPRBlocks: 3
; NumSGPRsForWavesPerEU: 25
; NumVGPRsForWavesPerEU: 60
; NamedBarCnt: 0
; Occupancy: 16
; WaveLimiterHint : 1
; COMPUTE_PGM_RSRC2:SCRATCH_EN: 0
; COMPUTE_PGM_RSRC2:USER_SGPR: 2
; COMPUTE_PGM_RSRC2:TRAP_HANDLER: 0
; COMPUTE_PGM_RSRC2:TGID_X_EN: 1
; COMPUTE_PGM_RSRC2:TGID_Y_EN: 0
; COMPUTE_PGM_RSRC2:TGID_Z_EN: 0
; COMPUTE_PGM_RSRC2:TIDIG_COMP_CNT: 0
	.section	.text._ZN2at6native29vectorized_elementwise_kernelILi2ENS0_13AUnaryFunctorIN3c1013Float8_e4m3fnES4_bNS0_12_GLOBAL__N_116CompareEqFunctorIS4_EEEESt5arrayIPcLm2EEEEviT0_T1_,"axG",@progbits,_ZN2at6native29vectorized_elementwise_kernelILi2ENS0_13AUnaryFunctorIN3c1013Float8_e4m3fnES4_bNS0_12_GLOBAL__N_116CompareEqFunctorIS4_EEEESt5arrayIPcLm2EEEEviT0_T1_,comdat
	.globl	_ZN2at6native29vectorized_elementwise_kernelILi2ENS0_13AUnaryFunctorIN3c1013Float8_e4m3fnES4_bNS0_12_GLOBAL__N_116CompareEqFunctorIS4_EEEESt5arrayIPcLm2EEEEviT0_T1_ ; -- Begin function _ZN2at6native29vectorized_elementwise_kernelILi2ENS0_13AUnaryFunctorIN3c1013Float8_e4m3fnES4_bNS0_12_GLOBAL__N_116CompareEqFunctorIS4_EEEESt5arrayIPcLm2EEEEviT0_T1_
	.p2align	8
	.type	_ZN2at6native29vectorized_elementwise_kernelILi2ENS0_13AUnaryFunctorIN3c1013Float8_e4m3fnES4_bNS0_12_GLOBAL__N_116CompareEqFunctorIS4_EEEESt5arrayIPcLm2EEEEviT0_T1_,@function
_ZN2at6native29vectorized_elementwise_kernelILi2ENS0_13AUnaryFunctorIN3c1013Float8_e4m3fnES4_bNS0_12_GLOBAL__N_116CompareEqFunctorIS4_EEEESt5arrayIPcLm2EEEEviT0_T1_: ; @_ZN2at6native29vectorized_elementwise_kernelILi2ENS0_13AUnaryFunctorIN3c1013Float8_e4m3fnES4_bNS0_12_GLOBAL__N_116CompareEqFunctorIS4_EEEESt5arrayIPcLm2EEEEviT0_T1_
; %bb.0:
	s_clause 0x1
	s_load_b96 s[8:10], s[0:1], 0x0
	s_load_b128 s[4:7], s[0:1], 0x10
	s_wait_xcnt 0x0
	s_bfe_u32 s0, ttmp6, 0x4000c
	s_and_b32 s1, ttmp6, 15
	s_add_co_i32 s0, s0, 1
	s_getreg_b32 s2, hwreg(HW_REG_IB_STS2, 6, 4)
	s_mul_i32 s0, ttmp9, s0
	s_delay_alu instid0(SALU_CYCLE_1)
	s_add_co_i32 s1, s1, s0
	s_cmp_eq_u32 s2, 0
	s_cselect_b32 s0, ttmp9, s1
	s_mov_b32 s1, -1
	s_lshl_b32 s2, s0, 12
	s_wait_kmcnt 0x0
	s_sub_co_i32 s8, s8, s2
	s_delay_alu instid0(SALU_CYCLE_1)
	s_cmp_gt_i32 s8, 0xfff
	s_cbranch_scc0 .LBB280_2
; %bb.1:
	s_ashr_i32 s3, s2, 31
	s_cmp_eq_u32 s9, 0
	s_add_nc_u64 s[0:1], s[6:7], s[2:3]
	s_cselect_b32 vcc_lo, -1, 0
	s_clause 0x7
	global_load_u16 v1, v0, s[0:1] scale_offset
	global_load_u16 v2, v0, s[0:1] offset:512 scale_offset
	global_load_u16 v3, v0, s[0:1] offset:1024 scale_offset
	;; [unrolled: 1-line block ×7, first 2 shown]
	s_wait_xcnt 0x0
	s_lshl_b32 s0, s10, 24
	s_add_nc_u64 s[12:13], s[4:5], s[2:3]
	v_and_b32_e64 v9, 0x7f000000, s0
	s_mov_b32 s1, 0
	s_delay_alu instid0(VALU_DEP_1) | instskip(SKIP_1) | instid1(VALU_DEP_2)
	v_clz_i32_u32_e32 v10, v9
	v_add_nc_u32_e32 v12, 0x1000000, v9
	v_min_u32_e32 v10, 32, v10
	s_delay_alu instid0(VALU_DEP_2) | instskip(NEXT) | instid1(VALU_DEP_2)
	v_ashrrev_i32_e32 v12, 8, v12
	v_sub_nc_u32_e64 v10, v10, 4 clamp
	s_delay_alu instid0(VALU_DEP_1) | instskip(NEXT) | instid1(VALU_DEP_1)
	v_dual_lshlrev_b32 v11, v10, v9 :: v_dual_lshlrev_b32 v10, 23, v10
	v_lshrrev_b32_e32 v11, 4, v11
	s_delay_alu instid0(VALU_DEP_1) | instskip(SKIP_1) | instid1(VALU_DEP_2)
	v_sub_nc_u32_e32 v10, v11, v10
	v_and_b32_e32 v11, 0x7f800000, v12
	v_add_nc_u32_e32 v10, 0x3c000000, v10
	s_delay_alu instid0(VALU_DEP_1) | instskip(SKIP_3) | instid1(VALU_DEP_1)
	v_or_b32_e32 v10, v10, v11
	v_and_b32_e64 v11, 0x80000000, s0
	v_cmp_ne_u32_e64 s0, 0, v9
	s_wait_loadcnt 0x7
	v_dual_cndmask_b32 v9, 0, v10, s0 :: v_dual_lshlrev_b32 v10, 24, v1
	s_wait_loadcnt 0x6
	s_delay_alu instid0(VALU_DEP_1)
	v_dual_lshlrev_b32 v11, 24, v2 :: v_dual_bitop2_b32 v9, v9, v11 bitop3:0x54
	s_wait_loadcnt 0x4
	v_dual_lshlrev_b32 v12, 24, v3 :: v_dual_lshlrev_b32 v13, 24, v4
	v_and_b32_e32 v18, 0x7f000000, v10
	s_wait_loadcnt 0x2
	v_dual_lshlrev_b32 v14, 24, v5 :: v_dual_lshlrev_b32 v15, 24, v6
	v_and_b32_e32 v19, 0x7f000000, v11
	v_and_b32_e32 v20, 0x7f000000, v12
	v_clz_i32_u32_e32 v26, v18
	v_and_b32_e32 v21, 0x7f000000, v13
	v_and_b32_e32 v22, 0x7f000000, v14
	v_clz_i32_u32_e32 v29, v19
	v_clz_i32_u32_e32 v32, v20
	v_min_u32_e32 v26, 32, v26
	v_lshrrev_b16 v1, 8, v1
	s_wait_loadcnt 0x0
	v_dual_lshlrev_b32 v16, 24, v7 :: v_dual_lshlrev_b32 v17, 24, v8
	v_min_u32_e32 v29, 32, v29
	v_and_b32_e32 v23, 0x7f000000, v15
	v_clz_i32_u32_e32 v35, v21
	v_clz_i32_u32_e32 v38, v22
	v_min_u32_e32 v32, 32, v32
	v_sub_nc_u32_e64 v26, v26, 4 clamp
	v_sub_nc_u32_e64 v29, v29, 4 clamp
	v_lshrrev_b16 v2, 8, v2
	v_lshrrev_b16 v3, 8, v3
	v_lshlrev_b32_e32 v1, 24, v1
	v_and_b32_e32 v24, 0x7f000000, v16
	v_and_b32_e32 v25, 0x7f000000, v17
	v_clz_i32_u32_e32 v41, v23
	v_min_u32_e32 v35, 32, v35
	v_min_u32_e32 v38, 32, v38
	v_sub_nc_u32_e64 v32, v32, 4 clamp
	v_dual_lshlrev_b32 v57, v26, v18 :: v_dual_lshlrev_b32 v58, v29, v19
	v_lshrrev_b16 v4, 8, v4
	v_dual_lshlrev_b32 v2, 24, v2 :: v_dual_lshlrev_b32 v3, 24, v3
	v_and_b32_e32 v28, 0x7f000000, v1
	v_clz_i32_u32_e32 v44, v24
	v_clz_i32_u32_e32 v47, v25
	v_min_u32_e32 v41, 32, v41
	v_sub_nc_u32_e64 v35, v35, 4 clamp
	v_sub_nc_u32_e64 v38, v38, 4 clamp
	v_dual_lshlrev_b32 v26, 23, v26 :: v_dual_lshlrev_b32 v29, 23, v29
	v_dual_lshrrev_b32 v57, 4, v57 :: v_dual_lshlrev_b32 v59, v32, v20
	v_dual_lshlrev_b32 v32, 23, v32 :: v_dual_lshrrev_b32 v58, 4, v58
	v_lshrrev_b16 v5, 8, v5
	v_lshrrev_b16 v6, 8, v6
	v_lshlrev_b32_e32 v4, 24, v4
	v_and_b32_e32 v31, 0x7f000000, v2
	v_and_b32_e32 v34, 0x7f000000, v3
	v_clz_i32_u32_e32 v49, v28
	v_min_u32_e32 v44, 32, v44
	v_min_u32_e32 v47, 32, v47
	v_sub_nc_u32_e64 v41, v41, 4 clamp
	v_dual_sub_nc_u32 v26, v57, v26 :: v_dual_lshlrev_b32 v57, v35, v21
	v_dual_lshlrev_b32 v35, 23, v35 :: v_dual_sub_nc_u32 v29, v58, v29
	v_dual_lshrrev_b32 v59, 4, v59 :: v_dual_lshlrev_b32 v58, v38, v22
	v_lshrrev_b16 v7, 8, v7
	v_dual_lshlrev_b32 v5, 24, v5 :: v_dual_lshlrev_b32 v6, 24, v6
	v_and_b32_e32 v37, 0x7f000000, v4
	v_clz_i32_u32_e32 v50, v31
	v_clz_i32_u32_e32 v51, v34
	v_min_u32_e32 v49, 32, v49
	v_sub_nc_u32_e64 v44, v44, 4 clamp
	v_sub_nc_u32_e64 v47, v47, 4 clamp
	v_dual_lshlrev_b32 v38, 23, v38 :: v_dual_lshrrev_b32 v57, 4, v57
	v_dual_sub_nc_u32 v32, v59, v32 :: v_dual_lshlrev_b32 v59, v41, v23
	v_dual_lshlrev_b32 v41, 23, v41 :: v_dual_lshrrev_b32 v58, 4, v58
	v_lshrrev_b16 v8, 8, v8
	v_lshlrev_b32_e32 v7, 24, v7
	v_and_b32_e32 v40, 0x7f000000, v5
	v_and_b32_e32 v43, 0x7f000000, v6
	v_clz_i32_u32_e32 v52, v37
	v_min_u32_e32 v50, 32, v50
	v_min_u32_e32 v51, 32, v51
	v_sub_nc_u32_e64 v49, v49, 4 clamp
	v_dual_sub_nc_u32 v35, v57, v35 :: v_dual_lshlrev_b32 v57, v44, v24
	v_dual_lshlrev_b32 v44, 23, v44 :: v_dual_sub_nc_u32 v38, v58, v38
	v_dual_lshlrev_b32 v58, v47, v25 :: v_dual_lshrrev_b32 v59, 4, v59
	v_lshlrev_b32_e32 v8, 24, v8
	v_and_b32_e32 v46, 0x7f000000, v7
	v_clz_i32_u32_e32 v53, v40
	v_clz_i32_u32_e32 v54, v43
	v_min_u32_e32 v52, 32, v52
	v_sub_nc_u32_e64 v50, v50, 4 clamp
	v_sub_nc_u32_e64 v51, v51, 4 clamp
	v_dual_lshlrev_b32 v47, 23, v47 :: v_dual_lshrrev_b32 v57, 4, v57
	v_dual_lshrrev_b32 v58, 4, v58 :: v_dual_sub_nc_u32 v41, v59, v41
	v_dual_lshlrev_b32 v59, v49, v28 :: v_dual_lshlrev_b32 v49, 23, v49
	v_and_b32_e32 v48, 0x7f000000, v8
	v_clz_i32_u32_e32 v55, v46
	v_min_u32_e32 v53, 32, v53
	v_min_u32_e32 v54, 32, v54
	v_sub_nc_u32_e64 v52, v52, 4 clamp
	v_dual_sub_nc_u32 v44, v57, v44 :: v_dual_lshlrev_b32 v57, v50, v31
	v_dual_sub_nc_u32 v47, v58, v47 :: v_dual_lshlrev_b32 v58, v51, v34
	v_dual_lshrrev_b32 v59, 4, v59 :: v_dual_lshlrev_b32 v50, 23, v50
	v_clz_i32_u32_e32 v56, v48
	v_min_u32_e32 v55, 32, v55
	v_sub_nc_u32_e64 v53, v53, 4 clamp
	v_sub_nc_u32_e64 v54, v54, 4 clamp
	v_dual_lshlrev_b32 v51, 23, v51 :: v_dual_lshrrev_b32 v57, 4, v57
	v_dual_lshrrev_b32 v58, 4, v58 :: v_dual_sub_nc_u32 v49, v59, v49
	v_dual_lshlrev_b32 v59, v52, v37 :: v_dual_lshlrev_b32 v52, 23, v52
	v_min_u32_e32 v56, 32, v56
	v_sub_nc_u32_e64 v55, v55, 4 clamp
	s_delay_alu instid0(VALU_DEP_4) | instskip(SKIP_4) | instid1(VALU_DEP_4)
	v_dual_sub_nc_u32 v50, v57, v50 :: v_dual_sub_nc_u32 v51, v58, v51
	v_dual_lshlrev_b32 v57, v53, v40 :: v_dual_lshlrev_b32 v58, v54, v43
	v_dual_lshrrev_b32 v59, 4, v59 :: v_dual_lshlrev_b32 v53, 23, v53
	v_add_nc_u32_e32 v27, 0x1000000, v18
	v_sub_nc_u32_e64 v56, v56, 4 clamp
	v_dual_lshrrev_b32 v57, 4, v57 :: v_dual_lshlrev_b32 v54, 23, v54
	s_delay_alu instid0(VALU_DEP_4) | instskip(NEXT) | instid1(VALU_DEP_2)
	v_dual_lshrrev_b32 v58, 4, v58 :: v_dual_sub_nc_u32 v52, v59, v52
	v_dual_lshlrev_b32 v59, v55, v46 :: v_dual_sub_nc_u32 v53, v57, v53
	v_add_nc_u32_e32 v30, 0x1000000, v19
	s_delay_alu instid0(VALU_DEP_3) | instskip(NEXT) | instid1(VALU_DEP_3)
	v_dual_lshlrev_b32 v55, 23, v55 :: v_dual_sub_nc_u32 v54, v58, v54
	v_dual_lshlrev_b32 v58, v56, v48 :: v_dual_lshrrev_b32 v59, 4, v59
	v_dual_ashrrev_i32 v27, 8, v27 :: v_dual_lshlrev_b32 v56, 23, v56
	v_add_nc_u32_e32 v26, 0x3c000000, v26
	v_add_nc_u32_e32 v33, 0x1000000, v20
	s_delay_alu instid0(VALU_DEP_4)
	v_dual_lshrrev_b32 v58, 4, v58 :: v_dual_sub_nc_u32 v55, v59, v55
	v_ashrrev_i32_e32 v30, 8, v30
	v_add_nc_u32_e32 v29, 0x3c000000, v29
	v_and_or_b32 v26, 0x7f800000, v27, v26
	v_cmp_ne_u32_e64 s0, 0, v18
	v_add_nc_u32_e32 v36, 0x1000000, v21
	v_dual_sub_nc_u32 v56, v58, v56 :: v_dual_ashrrev_i32 v33, 8, v33
	v_add_nc_u32_e32 v32, 0x3c000000, v32
	v_and_or_b32 v29, 0x7f800000, v30, v29
	v_cndmask_b32_e64 v18, 0, v26, s0
	v_cmp_ne_u32_e64 s0, 0, v19
	v_add_nc_u32_e32 v39, 0x1000000, v22
	v_ashrrev_i32_e32 v36, 8, v36
	v_add_nc_u32_e32 v35, 0x3c000000, v35
	v_and_or_b32 v32, 0x7f800000, v33, v32
	v_cndmask_b32_e64 v19, 0, v29, s0
	v_cmp_ne_u32_e64 s0, 0, v20
	v_add_nc_u32_e32 v42, 0x1000000, v23
	v_ashrrev_i32_e32 v39, 8, v39
	v_add_nc_u32_e32 v38, 0x3c000000, v38
	v_and_or_b32 v35, 0x7f800000, v36, v35
	v_cndmask_b32_e64 v20, 0, v32, s0
	v_cmp_ne_u32_e64 s0, 0, v21
	v_add_nc_u32_e32 v45, 0x1000000, v24
	v_ashrrev_i32_e32 v42, 8, v42
	v_add_nc_u32_e32 v41, 0x3c000000, v41
	v_and_or_b32 v38, 0x7f800000, v39, v38
	v_cndmask_b32_e64 v21, 0, v35, s0
	v_cmp_ne_u32_e64 s0, 0, v22
	v_add_nc_u32_e32 v57, 0x1000000, v25
	v_add_nc_u32_e32 v59, 0x1000000, v28
	v_ashrrev_i32_e32 v45, 8, v45
	v_and_or_b32 v41, 0x7f800000, v42, v41
	v_add_nc_u32_e32 v44, 0x3c000000, v44
	v_cndmask_b32_e64 v22, 0, v38, s0
	v_cmp_ne_u32_e64 s0, 0, v23
	v_add_nc_u32_e32 v58, 0x1000000, v31
	v_dual_ashrrev_i32 v57, 8, v57 :: v_dual_ashrrev_i32 v59, 8, v59
	v_add_nc_u32_e32 v47, 0x3c000000, v47
	v_and_or_b32 v44, 0x7f800000, v45, v44
	v_cndmask_b32_e64 v23, 0, v41, s0
	v_cmp_ne_u32_e64 s0, 0, v24
	v_add_nc_u32_e32 v27, 0x1000000, v34
	v_add_nc_u32_e32 v42, 0x1000000, v48
	v_ashrrev_i32_e32 v58, 8, v58
	v_add_nc_u32_e32 v49, 0x3c000000, v49
	v_and_or_b32 v47, 0x7f800000, v57, v47
	v_cndmask_b32_e64 v24, 0, v44, s0
	v_cmp_ne_u32_e64 s0, 0, v25
	v_add_nc_u32_e32 v30, 0x1000000, v37
	v_add_nc_u32_e32 v33, 0x1000000, v40
	;; [unrolled: 1-line block ×3, first 2 shown]
	v_dual_ashrrev_i32 v27, 8, v27 :: v_dual_ashrrev_i32 v42, 8, v42
	v_add_nc_u32_e32 v50, 0x3c000000, v50
	v_add_nc_u32_e32 v51, 0x3c000000, v51
	v_and_or_b32 v26, 0x7f800000, v59, v49
	v_cndmask_b32_e64 v25, 0, v47, s0
	v_cmp_ne_u32_e64 s0, 0, v28
	v_add_nc_u32_e32 v39, 0x1000000, v46
	v_dual_ashrrev_i32 v30, 8, v30 :: v_dual_ashrrev_i32 v33, 8, v33
	v_ashrrev_i32_e32 v36, 8, v36
	v_and_b32_e32 v42, 0x7f800000, v42
	v_add_nc_u32_e32 v53, 0x3c000000, v53
	v_add_nc_u32_e32 v54, 0x3c000000, v54
	;; [unrolled: 1-line block ×4, first 2 shown]
	v_and_or_b32 v29, 0x7f800000, v58, v50
	v_and_or_b32 v27, 0x7f800000, v27, v51
	;; [unrolled: 1-line block ×3, first 2 shown]
	v_cndmask_b32_e64 v18, 0, v26, s0
	v_cmp_ne_u32_e64 s0, 0, v31
	v_ashrrev_i32_e32 v39, 8, v39
	v_add_nc_u32_e32 v52, 0x3c000000, v52
	v_and_or_b32 v32, 0x7f800000, v33, v53
	v_and_or_b32 v33, 0x7f800000, v36, v54
	v_or_b32_e32 v36, v55, v42
	v_and_or_b32 v11, 0x80000000, v11, v19
	v_cndmask_b32_e64 v19, 0, v29, s0
	v_cmp_ne_u32_e64 s0, 0, v34
	v_and_or_b32 v30, 0x7f800000, v30, v52
	v_and_or_b32 v12, 0x80000000, v12, v20
	v_and_or_b32 v13, 0x80000000, v13, v21
	v_and_or_b32 v14, 0x80000000, v14, v22
	v_cndmask_b32_e64 v20, 0, v27, s0
	v_cmp_ne_u32_e64 s0, 0, v37
	v_and_or_b32 v35, 0x7f800000, v39, v45
	v_and_or_b32 v15, 0x80000000, v15, v23
	v_and_or_b32 v16, 0x80000000, v16, v24
	;; [unrolled: 6-line block ×3, first 2 shown]
	v_and_b32_e32 v8, 0x80000000, v8
	v_cndmask_b32_e64 v22, 0, v32, s0
	v_cmp_ne_u32_e64 s0, 0, v43
	v_and_or_b32 v4, 0x80000000, v4, v21
	s_delay_alu instid0(VALU_DEP_3) | instskip(NEXT) | instid1(VALU_DEP_3)
	v_and_or_b32 v5, 0x80000000, v5, v22
	v_cndmask_b32_e64 v23, 0, v33, s0
	v_cmp_ne_u32_e64 s0, 0, v46
	s_delay_alu instid0(VALU_DEP_1) | instskip(SKIP_1) | instid1(VALU_DEP_4)
	v_cndmask_b32_e64 v24, 0, v35, s0
	v_cmp_ne_u32_e64 s0, 0, v48
	v_and_or_b32 v6, 0x80000000, v6, v23
	s_delay_alu instid0(VALU_DEP_3) | instskip(NEXT) | instid1(VALU_DEP_3)
	v_and_or_b32 v7, 0x80000000, v7, v24
	v_cndmask_b32_e64 v25, 0, v36, s0
	v_cmp_eq_f32_e64 s0, v9, v10
	s_delay_alu instid0(VALU_DEP_2) | instskip(NEXT) | instid1(VALU_DEP_2)
	v_or_b32_e32 v8, v25, v8
	v_cndmask_b32_e64 v18, 0, 1, s0
	v_cmp_neq_f32_e64 s0, v9, v10
	s_delay_alu instid0(VALU_DEP_1) | instskip(SKIP_1) | instid1(VALU_DEP_2)
	v_cndmask_b32_e64 v10, 0, 1, s0
	v_cmp_eq_f32_e64 s0, v9, v11
	v_cndmask_b32_e32 v10, v10, v18, vcc_lo
	s_delay_alu instid0(VALU_DEP_2) | instskip(SKIP_1) | instid1(VALU_DEP_1)
	v_cndmask_b32_e64 v19, 0, 1, s0
	v_cmp_neq_f32_e64 s0, v9, v11
	v_cndmask_b32_e64 v11, 0, 1, s0
	v_cmp_eq_f32_e64 s0, v9, v12
	s_delay_alu instid0(VALU_DEP_2) | instskip(NEXT) | instid1(VALU_DEP_2)
	v_cndmask_b32_e32 v11, v11, v19, vcc_lo
	v_cndmask_b32_e64 v20, 0, 1, s0
	v_cmp_neq_f32_e64 s0, v9, v12
	s_delay_alu instid0(VALU_DEP_1) | instskip(SKIP_1) | instid1(VALU_DEP_2)
	v_cndmask_b32_e64 v12, 0, 1, s0
	v_cmp_eq_f32_e64 s0, v9, v13
	v_cndmask_b32_e32 v12, v12, v20, vcc_lo
	s_delay_alu instid0(VALU_DEP_2) | instskip(SKIP_1) | instid1(VALU_DEP_1)
	v_cndmask_b32_e64 v21, 0, 1, s0
	v_cmp_neq_f32_e64 s0, v9, v13
	v_cndmask_b32_e64 v13, 0, 1, s0
	v_cmp_eq_f32_e64 s0, v9, v14
	s_delay_alu instid0(VALU_DEP_2) | instskip(NEXT) | instid1(VALU_DEP_2)
	v_cndmask_b32_e32 v13, v13, v21, vcc_lo
	;; [unrolled: 13-line block ×4, first 2 shown]
	v_cndmask_b32_e64 v18, 0, 1, s0
	v_cmp_neq_f32_e64 s0, v9, v1
	s_delay_alu instid0(VALU_DEP_1) | instskip(SKIP_1) | instid1(VALU_DEP_2)
	v_cndmask_b32_e64 v1, 0, 1, s0
	v_cmp_eq_f32_e64 s0, v9, v2
	v_cndmask_b32_e32 v1, v1, v18, vcc_lo
	s_delay_alu instid0(VALU_DEP_2) | instskip(SKIP_1) | instid1(VALU_DEP_3)
	v_cndmask_b32_e64 v19, 0, 1, s0
	v_cmp_neq_f32_e64 s0, v9, v2
	v_and_b32_e32 v1, 1, v1
	s_delay_alu instid0(VALU_DEP_2) | instskip(SKIP_1) | instid1(VALU_DEP_3)
	v_cndmask_b32_e64 v2, 0, 1, s0
	v_cmp_eq_f32_e64 s0, v9, v3
	v_lshlrev_b16 v1, 8, v1
	s_delay_alu instid0(VALU_DEP_3) | instskip(NEXT) | instid1(VALU_DEP_3)
	v_cndmask_b32_e32 v2, v2, v19, vcc_lo
	v_cndmask_b32_e64 v20, 0, 1, s0
	v_cmp_neq_f32_e64 s0, v9, v3
	s_delay_alu instid0(VALU_DEP_4) | instskip(NEXT) | instid1(VALU_DEP_4)
	v_bitop3_b16 v1, v10, v1, 1 bitop3:0xec
	v_and_b32_e32 v2, 1, v2
	s_delay_alu instid0(VALU_DEP_3) | instskip(SKIP_1) | instid1(VALU_DEP_3)
	v_cndmask_b32_e64 v3, 0, 1, s0
	v_cmp_eq_f32_e64 s0, v9, v4
	v_lshlrev_b16 v2, 8, v2
	s_delay_alu instid0(VALU_DEP_3) | instskip(NEXT) | instid1(VALU_DEP_3)
	v_cndmask_b32_e32 v3, v3, v20, vcc_lo
	v_cndmask_b32_e64 v21, 0, 1, s0
	v_cmp_neq_f32_e64 s0, v9, v4
	s_delay_alu instid0(VALU_DEP_4) | instskip(NEXT) | instid1(VALU_DEP_4)
	v_bitop3_b16 v2, v11, v2, 1 bitop3:0xec
	v_and_b32_e32 v3, 1, v3
	s_delay_alu instid0(VALU_DEP_3) | instskip(SKIP_1) | instid1(VALU_DEP_3)
	;; [unrolled: 11-line block ×5, first 2 shown]
	v_cndmask_b32_e64 v7, 0, 1, s0
	v_cmp_eq_f32_e64 s0, v9, v8
	v_lshlrev_b16 v6, 8, v6
	s_delay_alu instid0(VALU_DEP_3) | instskip(NEXT) | instid1(VALU_DEP_3)
	v_cndmask_b32_e32 v7, v7, v24, vcc_lo
	v_cndmask_b32_e64 v25, 0, 1, s0
	v_cmp_neq_f32_e64 s0, v9, v8
	s_delay_alu instid0(VALU_DEP_4) | instskip(NEXT) | instid1(VALU_DEP_4)
	v_bitop3_b16 v6, v15, v6, 1 bitop3:0xec
	v_and_b32_e32 v7, 1, v7
	s_delay_alu instid0(VALU_DEP_3) | instskip(NEXT) | instid1(VALU_DEP_2)
	v_cndmask_b32_e64 v8, 0, 1, s0
	v_lshlrev_b16 v7, 8, v7
	s_delay_alu instid0(VALU_DEP_2) | instskip(NEXT) | instid1(VALU_DEP_2)
	v_cndmask_b32_e32 v8, v8, v25, vcc_lo
	v_bitop3_b16 v7, v16, v7, 1 bitop3:0xec
	s_delay_alu instid0(VALU_DEP_2) | instskip(NEXT) | instid1(VALU_DEP_1)
	v_and_b32_e32 v8, 1, v8
	v_lshlrev_b16 v8, 8, v8
	s_delay_alu instid0(VALU_DEP_1)
	v_bitop3_b16 v8, v17, v8, 1 bitop3:0xec
	s_clause 0x7
	global_store_b16 v0, v1, s[12:13] scale_offset
	global_store_b16 v0, v2, s[12:13] offset:512 scale_offset
	global_store_b16 v0, v3, s[12:13] offset:1024 scale_offset
	;; [unrolled: 1-line block ×7, first 2 shown]
.LBB280_2:
	s_and_not1_b32 vcc_lo, exec_lo, s1
	s_cbranch_vccnz .LBB280_83
; %bb.3:
	v_cmp_gt_i32_e32 vcc_lo, s8, v0
	s_wait_xcnt 0x6
	v_dual_mov_b32 v11, 0 :: v_dual_mov_b32 v2, 0
	s_wait_xcnt 0x0
	v_dual_mov_b32 v10, 0 :: v_dual_bitop2_b32 v8, s2, v0 bitop3:0x54
	v_or_b32_e32 v9, 0x100, v0
	v_dual_mov_b32 v12, 0 :: v_dual_mov_b32 v13, 0
	v_dual_mov_b32 v14, 0 :: v_dual_mov_b32 v15, 0
	;; [unrolled: 1-line block ×7, first 2 shown]
	s_and_saveexec_b32 s1, vcc_lo
	s_cbranch_execz .LBB280_35
; %bb.4:
	global_load_u8 v23, v8, s[6:7]
	v_or_b32_e32 v1, 0x100, v0
	v_dual_mov_b32 v10, 0 :: v_dual_mov_b32 v22, 0
	v_dual_mov_b32 v5, 0 :: v_dual_mov_b32 v6, 0
	;; [unrolled: 1-line block ×7, first 2 shown]
	v_mov_b32_e32 v11, 0
	s_mov_b32 s3, exec_lo
	s_wait_xcnt 0x0
	v_cmpx_gt_u32_e64 s8, v1
	s_cbranch_execz .LBB280_34
; %bb.5:
	v_dual_mov_b32 v5, 0 :: v_dual_add_nc_u32 v4, s2, v0
	v_or_b32_e32 v1, 0x200, v0
	v_dual_mov_b32 v6, 0 :: v_dual_mov_b32 v21, 0
	global_load_u8 v22, v4, s[6:7] offset:256
	v_dual_mov_b32 v20, 0 :: v_dual_mov_b32 v19, 0
	v_dual_mov_b32 v18, 0 :: v_dual_mov_b32 v17, 0
	;; [unrolled: 1-line block ×5, first 2 shown]
	v_mov_b32_e32 v10, 0
	s_mov_b32 s11, exec_lo
	s_wait_xcnt 0x0
	v_cmpx_gt_u32_e64 s8, v1
	s_cbranch_execz .LBB280_33
; %bb.6:
	v_add_nc_u64_e32 v[6:7], s[6:7], v[4:5]
	v_or_b32_e32 v3, 0x300, v0
	v_dual_mov_b32 v21, 0 :: v_dual_mov_b32 v20, 0
	v_dual_mov_b32 v19, 0 :: v_dual_mov_b32 v18, 0
	;; [unrolled: 1-line block ×3, first 2 shown]
	global_load_u8 v1, v[6:7], off offset:512
	v_dual_mov_b32 v15, 0 :: v_dual_mov_b32 v14, 0
	v_dual_mov_b32 v13, 0 :: v_dual_mov_b32 v12, 0
	;; [unrolled: 1-line block ×3, first 2 shown]
	s_mov_b32 s6, exec_lo
	s_wait_xcnt 0x0
	v_cmpx_gt_u32_e64 s8, v3
	s_cbranch_execz .LBB280_32
; %bb.7:
	global_load_u8 v5, v[6:7], off offset:768
	v_or_b32_e32 v3, 0x400, v0
	v_dual_mov_b32 v10, 0 :: v_dual_mov_b32 v21, 0
	v_dual_mov_b32 v20, 0 :: v_dual_mov_b32 v19, 0
	;; [unrolled: 1-line block ×6, first 2 shown]
	s_mov_b32 s7, exec_lo
	s_wait_xcnt 0x0
	v_cmpx_gt_u32_e64 s8, v3
	s_cbranch_execz .LBB280_31
; %bb.8:
	global_load_u8 v21, v[6:7], off offset:1024
	v_or_b32_e32 v3, 0x500, v0
	v_dual_mov_b32 v10, 0 :: v_dual_mov_b32 v20, 0
	v_dual_mov_b32 v19, 0 :: v_dual_mov_b32 v18, 0
	;; [unrolled: 1-line block ×5, first 2 shown]
	v_mov_b32_e32 v11, 0
	s_mov_b32 s12, exec_lo
	s_wait_xcnt 0x0
	v_cmpx_gt_u32_e64 s8, v3
	s_cbranch_execz .LBB280_30
; %bb.9:
	global_load_u8 v20, v[6:7], off offset:1280
	v_or_b32_e32 v3, 0x600, v0
	v_dual_mov_b32 v10, 0 :: v_dual_mov_b32 v19, 0
	v_dual_mov_b32 v18, 0 :: v_dual_mov_b32 v17, 0
	;; [unrolled: 1-line block ×5, first 2 shown]
	s_mov_b32 s13, exec_lo
	s_wait_xcnt 0x0
	v_cmpx_gt_u32_e64 s8, v3
	s_cbranch_execz .LBB280_29
; %bb.10:
	global_load_u8 v19, v[6:7], off offset:1536
	v_or_b32_e32 v3, 0x700, v0
	v_dual_mov_b32 v10, 0 :: v_dual_mov_b32 v18, 0
	v_dual_mov_b32 v17, 0 :: v_dual_mov_b32 v16, 0
	;; [unrolled: 1-line block ×4, first 2 shown]
	v_mov_b32_e32 v11, 0
	s_mov_b32 s14, exec_lo
	s_wait_xcnt 0x0
	v_cmpx_gt_u32_e64 s8, v3
	s_cbranch_execz .LBB280_28
; %bb.11:
	global_load_u8 v18, v[6:7], off offset:1792
	v_or_b32_e32 v3, 0x800, v0
	v_dual_mov_b32 v10, 0 :: v_dual_mov_b32 v17, 0
	v_dual_mov_b32 v16, 0 :: v_dual_mov_b32 v15, 0
	;; [unrolled: 1-line block ×4, first 2 shown]
	s_mov_b32 s15, exec_lo
	s_wait_xcnt 0x0
	v_cmpx_gt_u32_e64 s8, v3
	s_cbranch_execz .LBB280_27
; %bb.12:
	global_load_u8 v17, v[6:7], off offset:2048
	v_or_b32_e32 v3, 0x900, v0
	v_dual_mov_b32 v10, 0 :: v_dual_mov_b32 v16, 0
	v_dual_mov_b32 v15, 0 :: v_dual_mov_b32 v14, 0
	;; [unrolled: 1-line block ×3, first 2 shown]
	v_mov_b32_e32 v11, 0
	s_mov_b32 s16, exec_lo
	s_wait_xcnt 0x0
	v_cmpx_gt_u32_e64 s8, v3
	s_cbranch_execz .LBB280_26
; %bb.13:
	global_load_u8 v16, v[6:7], off offset:2304
	v_or_b32_e32 v3, 0xa00, v0
	v_dual_mov_b32 v10, 0 :: v_dual_mov_b32 v15, 0
	v_dual_mov_b32 v14, 0 :: v_dual_mov_b32 v13, 0
	;; [unrolled: 1-line block ×3, first 2 shown]
	s_mov_b32 s17, exec_lo
	s_wait_xcnt 0x0
	v_cmpx_gt_u32_e64 s8, v3
	s_cbranch_execz .LBB280_25
; %bb.14:
	global_load_u8 v15, v[6:7], off offset:2560
	v_or_b32_e32 v3, 0xb00, v0
	v_dual_mov_b32 v10, 0 :: v_dual_mov_b32 v14, 0
	v_dual_mov_b32 v13, 0 :: v_dual_mov_b32 v12, 0
	v_mov_b32_e32 v11, 0
	s_mov_b32 s18, exec_lo
	s_wait_xcnt 0x0
	v_cmpx_gt_u32_e64 s8, v3
	s_cbranch_execz .LBB280_24
; %bb.15:
	global_load_u8 v14, v[6:7], off offset:2816
	v_or_b32_e32 v3, 0xc00, v0
	v_dual_mov_b32 v10, 0 :: v_dual_mov_b32 v13, 0
	v_dual_mov_b32 v12, 0 :: v_dual_mov_b32 v11, 0
	s_mov_b32 s19, exec_lo
	s_wait_xcnt 0x0
	v_cmpx_gt_u32_e64 s8, v3
	s_cbranch_execz .LBB280_23
; %bb.16:
	global_load_u8 v13, v[6:7], off offset:3072
	v_or_b32_e32 v3, 0xd00, v0
	v_dual_mov_b32 v10, 0 :: v_dual_mov_b32 v12, 0
	v_mov_b32_e32 v11, 0
	s_mov_b32 s20, exec_lo
	s_wait_xcnt 0x0
	v_cmpx_gt_u32_e64 s8, v3
	s_cbranch_execz .LBB280_22
; %bb.17:
	global_load_u8 v12, v[6:7], off offset:3328
	v_or_b32_e32 v3, 0xe00, v0
	v_dual_mov_b32 v10, 0 :: v_dual_mov_b32 v11, 0
	s_mov_b32 s21, exec_lo
	s_wait_xcnt 0x0
	s_delay_alu instid0(VALU_DEP_2)
	v_cmpx_gt_u32_e64 s8, v3
	s_cbranch_execz .LBB280_21
; %bb.18:
	global_load_u8 v11, v[6:7], off offset:3584
	v_or_b32_e32 v3, 0xf00, v0
	v_mov_b32_e32 v10, 0
	s_mov_b32 s22, exec_lo
	s_wait_xcnt 0x0
	s_delay_alu instid0(VALU_DEP_2)
	v_cmpx_gt_u32_e64 s8, v3
	s_cbranch_execz .LBB280_20
; %bb.19:
	global_load_u8 v3, v[6:7], off offset:3840
	s_wait_loadcnt 0x0
	v_lshlrev_b32_e32 v10, 24, v3
.LBB280_20:
	s_wait_xcnt 0x0
	s_or_b32 exec_lo, exec_lo, s22
.LBB280_21:
	s_delay_alu instid0(SALU_CYCLE_1)
	s_or_b32 exec_lo, exec_lo, s21
.LBB280_22:
	s_delay_alu instid0(SALU_CYCLE_1)
	s_or_b32 exec_lo, exec_lo, s20
.LBB280_23:
	s_delay_alu instid0(SALU_CYCLE_1)
	s_or_b32 exec_lo, exec_lo, s19
.LBB280_24:
	s_delay_alu instid0(SALU_CYCLE_1)
	s_or_b32 exec_lo, exec_lo, s18
.LBB280_25:
	s_delay_alu instid0(SALU_CYCLE_1)
	s_or_b32 exec_lo, exec_lo, s17
.LBB280_26:
	s_delay_alu instid0(SALU_CYCLE_1)
	s_or_b32 exec_lo, exec_lo, s16
.LBB280_27:
	s_delay_alu instid0(SALU_CYCLE_1)
	s_or_b32 exec_lo, exec_lo, s15
.LBB280_28:
	s_delay_alu instid0(SALU_CYCLE_1)
	s_or_b32 exec_lo, exec_lo, s14
.LBB280_29:
	s_delay_alu instid0(SALU_CYCLE_1)
	s_or_b32 exec_lo, exec_lo, s13
.LBB280_30:
	s_delay_alu instid0(SALU_CYCLE_1)
	s_or_b32 exec_lo, exec_lo, s12
.LBB280_31:
	s_delay_alu instid0(SALU_CYCLE_1)
	s_or_b32 exec_lo, exec_lo, s7
.LBB280_32:
	s_delay_alu instid0(SALU_CYCLE_1)
	s_or_b32 exec_lo, exec_lo, s6
	s_wait_loadcnt 0x0
	v_dual_mov_b32 v6, v5 :: v_dual_mov_b32 v5, v1
.LBB280_33:
	s_or_b32 exec_lo, exec_lo, s11
.LBB280_34:
	s_delay_alu instid0(SALU_CYCLE_1)
	s_or_b32 exec_lo, exec_lo, s3
.LBB280_35:
	s_delay_alu instid0(SALU_CYCLE_1)
	s_or_b32 exec_lo, exec_lo, s1
	s_cmp_eq_u32 s9, 0
	v_mov_b32_e32 v3, v2
	s_cselect_b32 s0, -1, 0
	s_lshl_b32 s1, s10, 24
	v_mov_b32_e32 v4, v2
	s_and_b32 s3, s1, 0x7f000000
	s_and_b32 s1, s1, 0x80000000
	s_clz_i32_u32 s6, s3
	s_add_co_i32 s7, s3, 0x1000000
	s_min_u32 s6, s6, 32
	s_ashr_i32 s7, s7, 8
	v_sub_nc_u32_e64 v1, s6, 4 clamp
	s_and_b32 s7, s7, 0x7f800000
	s_delay_alu instid0(VALU_DEP_1) | instskip(SKIP_4) | instid1(SALU_CYCLE_1)
	v_readfirstlane_b32 s6, v1
	v_mov_b32_e32 v1, v2
	s_lshl_b32 s9, s3, s6
	s_lshl_b32 s6, s6, 23
	s_lshr_b32 s9, s9, 4
	s_sub_co_i32 s6, s9, s6
	s_delay_alu instid0(SALU_CYCLE_1) | instskip(NEXT) | instid1(SALU_CYCLE_1)
	s_add_co_i32 s6, s6, 0x3c000000
	s_or_b32 s6, s6, s7
	s_cmp_lg_u32 s3, 0
	s_cselect_b32 s3, s6, 0
	s_delay_alu instid0(SALU_CYCLE_1)
	s_or_b32 s3, s3, s1
	s_and_saveexec_b32 s6, vcc_lo
	s_cbranch_execz .LBB280_37
; %bb.36:
	s_wait_loadcnt 0x0
	v_lshlrev_b32_e32 v1, 24, v23
	s_delay_alu instid0(VALU_DEP_1) | instskip(NEXT) | instid1(VALU_DEP_1)
	v_and_b32_e32 v2, 0x7f000000, v1
	v_clz_i32_u32_e32 v3, v2
	v_add_nc_u32_e32 v7, 0x1000000, v2
	v_cmp_ne_u32_e64 s1, 0, v2
	s_delay_alu instid0(VALU_DEP_3) | instskip(NEXT) | instid1(VALU_DEP_1)
	v_min_u32_e32 v3, 32, v3
	v_sub_nc_u32_e64 v3, v3, 4 clamp
	s_delay_alu instid0(VALU_DEP_1) | instskip(NEXT) | instid1(VALU_DEP_1)
	v_dual_lshlrev_b32 v4, v3, v2 :: v_dual_lshlrev_b32 v3, 23, v3
	v_lshrrev_b32_e32 v4, 4, v4
	s_delay_alu instid0(VALU_DEP_1) | instskip(SKIP_1) | instid1(VALU_DEP_2)
	v_sub_nc_u32_e32 v3, v4, v3
	v_ashrrev_i32_e32 v4, 8, v7
	v_add_nc_u32_e32 v3, 0x3c000000, v3
	s_delay_alu instid0(VALU_DEP_1) | instskip(NEXT) | instid1(VALU_DEP_1)
	v_and_or_b32 v3, 0x7f800000, v4, v3
	v_cndmask_b32_e64 v2, 0, v3, s1
	s_delay_alu instid0(VALU_DEP_1) | instskip(NEXT) | instid1(VALU_DEP_1)
	v_and_or_b32 v1, 0x80000000, v1, v2
	v_cmp_eq_f32_e64 s1, s3, v1
	s_delay_alu instid0(VALU_DEP_1) | instskip(SKIP_1) | instid1(VALU_DEP_1)
	v_cndmask_b32_e64 v2, 0, 1, s1
	v_cmp_neq_f32_e64 s1, s3, v1
	v_cndmask_b32_e64 v1, 0, 1, s1
	s_delay_alu instid0(VALU_DEP_1) | instskip(NEXT) | instid1(VALU_DEP_1)
	v_dual_cndmask_b32 v2, v1, v2, s0 :: v_dual_mov_b32 v1, 0
	v_dual_mov_b32 v4, v1 :: v_dual_bitop2_b32 v2, 1, v2 bitop3:0x40
	v_mov_b32_e32 v3, v1
	s_delay_alu instid0(VALU_DEP_2)
	v_and_b32_e32 v2, 0xffff, v2
.LBB280_37:
	s_or_b32 exec_lo, exec_lo, s6
	s_delay_alu instid0(SALU_CYCLE_1)
	s_mov_b32 s6, exec_lo
	v_cmpx_gt_i32_e64 s8, v9
	s_cbranch_execz .LBB280_39
; %bb.38:
	s_wait_loadcnt 0x0
	v_lshlrev_b32_e32 v7, 24, v22
	s_delay_alu instid0(VALU_DEP_1) | instskip(NEXT) | instid1(VALU_DEP_1)
	v_and_b32_e32 v22, 0x7f000000, v7
	v_clz_i32_u32_e32 v23, v22
	v_add_nc_u32_e32 v25, 0x1000000, v22
	v_cmp_ne_u32_e64 s1, 0, v22
	s_delay_alu instid0(VALU_DEP_3) | instskip(NEXT) | instid1(VALU_DEP_1)
	v_min_u32_e32 v23, 32, v23
	v_sub_nc_u32_e64 v23, v23, 4 clamp
	s_delay_alu instid0(VALU_DEP_1) | instskip(NEXT) | instid1(VALU_DEP_1)
	v_dual_lshlrev_b32 v24, v23, v22 :: v_dual_lshlrev_b32 v23, 23, v23
	v_lshrrev_b32_e32 v24, 4, v24
	s_delay_alu instid0(VALU_DEP_1) | instskip(NEXT) | instid1(VALU_DEP_1)
	v_dual_sub_nc_u32 v23, v24, v23 :: v_dual_ashrrev_i32 v24, 8, v25
	v_add_nc_u32_e32 v23, 0x3c000000, v23
	s_delay_alu instid0(VALU_DEP_1) | instskip(NEXT) | instid1(VALU_DEP_1)
	v_and_or_b32 v23, 0x7f800000, v24, v23
	v_cndmask_b32_e64 v22, 0, v23, s1
	s_delay_alu instid0(VALU_DEP_1) | instskip(NEXT) | instid1(VALU_DEP_1)
	v_and_or_b32 v7, 0x80000000, v7, v22
	v_cmp_eq_f32_e64 s1, s3, v7
	s_delay_alu instid0(VALU_DEP_1) | instskip(SKIP_1) | instid1(VALU_DEP_1)
	v_cndmask_b32_e64 v22, 0, 1, s1
	v_cmp_neq_f32_e64 s1, s3, v7
	v_cndmask_b32_e64 v7, 0, 1, s1
	s_delay_alu instid0(VALU_DEP_1) | instskip(NEXT) | instid1(VALU_DEP_1)
	v_cndmask_b32_e64 v7, v7, v22, s0
	v_and_b32_e32 v7, 1, v7
	s_delay_alu instid0(VALU_DEP_1) | instskip(NEXT) | instid1(VALU_DEP_1)
	v_lshlrev_b16 v7, 8, v7
	v_bitop3_b16 v7, v2, v7, 0xff bitop3:0xec
	s_delay_alu instid0(VALU_DEP_1) | instskip(NEXT) | instid1(VALU_DEP_1)
	v_and_b32_e32 v7, 0xffff, v7
	v_and_or_b32 v2, 0xffff0000, v2, v7
.LBB280_39:
	s_or_b32 exec_lo, exec_lo, s6
	v_or_b32_e32 v7, 0x200, v0
	s_mov_b32 s6, exec_lo
	s_delay_alu instid0(VALU_DEP_1)
	v_cmpx_gt_i32_e64 s8, v7
	s_cbranch_execz .LBB280_41
; %bb.40:
	v_lshlrev_b32_e32 v5, 24, v5
	s_delay_alu instid0(VALU_DEP_1) | instskip(SKIP_1) | instid1(VALU_DEP_1)
	v_and_b32_e32 v7, 0x7f000000, v5
	s_wait_loadcnt 0x0
	v_clz_i32_u32_e32 v22, v7
	v_add_nc_u32_e32 v24, 0x1000000, v7
	v_cmp_ne_u32_e64 s1, 0, v7
	s_delay_alu instid0(VALU_DEP_3) | instskip(NEXT) | instid1(VALU_DEP_1)
	v_min_u32_e32 v22, 32, v22
	v_sub_nc_u32_e64 v22, v22, 4 clamp
	s_delay_alu instid0(VALU_DEP_1) | instskip(NEXT) | instid1(VALU_DEP_1)
	v_dual_lshlrev_b32 v23, v22, v7 :: v_dual_lshlrev_b32 v22, 23, v22
	v_lshrrev_b32_e32 v23, 4, v23
	s_delay_alu instid0(VALU_DEP_1) | instskip(NEXT) | instid1(VALU_DEP_1)
	v_dual_sub_nc_u32 v22, v23, v22 :: v_dual_ashrrev_i32 v23, 8, v24
	v_add_nc_u32_e32 v22, 0x3c000000, v22
	s_delay_alu instid0(VALU_DEP_1) | instskip(NEXT) | instid1(VALU_DEP_1)
	v_and_or_b32 v22, 0x7f800000, v23, v22
	v_cndmask_b32_e64 v7, 0, v22, s1
	s_delay_alu instid0(VALU_DEP_1) | instskip(SKIP_1) | instid1(VALU_DEP_2)
	v_and_or_b32 v5, 0x80000000, v5, v7
	v_lshrrev_b32_e32 v7, 16, v2
	v_cmp_eq_f32_e64 s1, s3, v5
	s_delay_alu instid0(VALU_DEP_2) | instskip(NEXT) | instid1(VALU_DEP_2)
	v_and_b32_e32 v7, 0xffffff00, v7
	v_cndmask_b32_e64 v22, 0, 1, s1
	v_cmp_neq_f32_e64 s1, s3, v5
	s_delay_alu instid0(VALU_DEP_1) | instskip(NEXT) | instid1(VALU_DEP_1)
	v_cndmask_b32_e64 v5, 0, 1, s1
	v_cndmask_b32_e64 v5, v5, v22, s0
	s_delay_alu instid0(VALU_DEP_1) | instskip(NEXT) | instid1(VALU_DEP_1)
	v_bitop3_b16 v5, v5, v7, 1 bitop3:0xec
	v_lshlrev_b32_e32 v5, 16, v5
	s_delay_alu instid0(VALU_DEP_1)
	v_and_or_b32 v2, 0xffff, v2, v5
.LBB280_41:
	s_or_b32 exec_lo, exec_lo, s6
	v_or_b32_e32 v5, 0x300, v0
	s_mov_b32 s6, exec_lo
	s_delay_alu instid0(VALU_DEP_1)
	v_cmpx_gt_i32_e64 s8, v5
	s_cbranch_execz .LBB280_43
; %bb.42:
	v_lshlrev_b32_e32 v5, 24, v6
	s_delay_alu instid0(VALU_DEP_1) | instskip(NEXT) | instid1(VALU_DEP_1)
	v_and_b32_e32 v6, 0x7f000000, v5
	v_clz_i32_u32_e32 v7, v6
	s_wait_loadcnt 0x0
	v_add_nc_u32_e32 v23, 0x1000000, v6
	v_cmp_ne_u32_e64 s1, 0, v6
	s_delay_alu instid0(VALU_DEP_3) | instskip(NEXT) | instid1(VALU_DEP_1)
	v_min_u32_e32 v7, 32, v7
	v_sub_nc_u32_e64 v7, v7, 4 clamp
	s_delay_alu instid0(VALU_DEP_1) | instskip(NEXT) | instid1(VALU_DEP_1)
	v_dual_lshlrev_b32 v22, v7, v6 :: v_dual_lshlrev_b32 v7, 23, v7
	v_lshrrev_b32_e32 v22, 4, v22
	s_delay_alu instid0(VALU_DEP_1) | instskip(SKIP_1) | instid1(VALU_DEP_2)
	v_sub_nc_u32_e32 v7, v22, v7
	v_ashrrev_i32_e32 v22, 8, v23
	v_add_nc_u32_e32 v7, 0x3c000000, v7
	s_delay_alu instid0(VALU_DEP_1) | instskip(NEXT) | instid1(VALU_DEP_1)
	v_and_or_b32 v7, 0x7f800000, v22, v7
	v_cndmask_b32_e64 v6, 0, v7, s1
	s_delay_alu instid0(VALU_DEP_1) | instskip(NEXT) | instid1(VALU_DEP_1)
	v_and_or_b32 v5, 0x80000000, v5, v6
	v_cmp_eq_f32_e64 s1, s3, v5
	s_delay_alu instid0(VALU_DEP_1) | instskip(SKIP_1) | instid1(VALU_DEP_1)
	v_cndmask_b32_e64 v6, 0, 1, s1
	v_cmp_neq_f32_e64 s1, s3, v5
	v_cndmask_b32_e64 v5, 0, 1, s1
	s_delay_alu instid0(VALU_DEP_1) | instskip(NEXT) | instid1(VALU_DEP_1)
	v_cndmask_b32_e64 v5, v5, v6, s0
	v_dual_lshrrev_b32 v6, 16, v2 :: v_dual_bitop2_b32 v5, 1, v5 bitop3:0x40
	s_delay_alu instid0(VALU_DEP_1) | instskip(NEXT) | instid1(VALU_DEP_1)
	v_lshlrev_b16 v5, 8, v5
	v_bitop3_b16 v5, v6, v5, 0xff bitop3:0xec
	s_delay_alu instid0(VALU_DEP_1) | instskip(NEXT) | instid1(VALU_DEP_1)
	v_lshlrev_b32_e32 v5, 16, v5
	v_and_or_b32 v2, 0xffff, v2, v5
.LBB280_43:
	s_or_b32 exec_lo, exec_lo, s6
	v_or_b32_e32 v5, 0x400, v0
	s_mov_b32 s6, exec_lo
	s_delay_alu instid0(VALU_DEP_1)
	v_cmpx_gt_i32_e64 s8, v5
	s_cbranch_execz .LBB280_45
; %bb.44:
	v_lshlrev_b32_e32 v5, 24, v21
	s_delay_alu instid0(VALU_DEP_1) | instskip(NEXT) | instid1(VALU_DEP_1)
	v_and_b32_e32 v6, 0x7f000000, v5
	v_clz_i32_u32_e32 v7, v6
	s_wait_loadcnt 0x0
	v_add_nc_u32_e32 v22, 0x1000000, v6
	v_cmp_ne_u32_e64 s1, 0, v6
	s_delay_alu instid0(VALU_DEP_3) | instskip(NEXT) | instid1(VALU_DEP_1)
	v_min_u32_e32 v7, 32, v7
	v_sub_nc_u32_e64 v7, v7, 4 clamp
	s_delay_alu instid0(VALU_DEP_1) | instskip(NEXT) | instid1(VALU_DEP_1)
	v_dual_lshlrev_b32 v21, v7, v6 :: v_dual_lshlrev_b32 v7, 23, v7
	v_lshrrev_b32_e32 v21, 4, v21
	s_delay_alu instid0(VALU_DEP_1) | instskip(NEXT) | instid1(VALU_DEP_1)
	v_dual_sub_nc_u32 v7, v21, v7 :: v_dual_ashrrev_i32 v21, 8, v22
	v_add_nc_u32_e32 v7, 0x3c000000, v7
	s_delay_alu instid0(VALU_DEP_1) | instskip(NEXT) | instid1(VALU_DEP_1)
	v_and_or_b32 v7, 0x7f800000, v21, v7
	v_cndmask_b32_e64 v6, 0, v7, s1
	v_and_b32_e32 v7, 0xffffff00, v1
	s_delay_alu instid0(VALU_DEP_2) | instskip(NEXT) | instid1(VALU_DEP_1)
	v_and_or_b32 v5, 0x80000000, v5, v6
	v_cmp_eq_f32_e64 s1, s3, v5
	s_delay_alu instid0(VALU_DEP_1) | instskip(SKIP_1) | instid1(VALU_DEP_1)
	v_cndmask_b32_e64 v6, 0, 1, s1
	v_cmp_neq_f32_e64 s1, s3, v5
	v_cndmask_b32_e64 v5, 0, 1, s1
	s_delay_alu instid0(VALU_DEP_1) | instskip(NEXT) | instid1(VALU_DEP_1)
	v_cndmask_b32_e64 v5, v5, v6, s0
	v_bitop3_b16 v5, v5, v7, 1 bitop3:0xec
	s_delay_alu instid0(VALU_DEP_1) | instskip(NEXT) | instid1(VALU_DEP_1)
	v_and_b32_e32 v5, 0xffff, v5
	v_and_or_b32 v1, 0xffff0000, v1, v5
.LBB280_45:
	s_or_b32 exec_lo, exec_lo, s6
	v_or_b32_e32 v5, 0x500, v0
	s_mov_b32 s6, exec_lo
	s_delay_alu instid0(VALU_DEP_1)
	v_cmpx_gt_i32_e64 s8, v5
	s_cbranch_execz .LBB280_47
; %bb.46:
	v_lshlrev_b32_e32 v5, 24, v20
	s_delay_alu instid0(VALU_DEP_1) | instskip(NEXT) | instid1(VALU_DEP_1)
	v_and_b32_e32 v6, 0x7f000000, v5
	v_clz_i32_u32_e32 v7, v6
	v_add_nc_u32_e32 v21, 0x1000000, v6
	v_cmp_ne_u32_e64 s1, 0, v6
	s_delay_alu instid0(VALU_DEP_3) | instskip(NEXT) | instid1(VALU_DEP_1)
	v_min_u32_e32 v7, 32, v7
	v_sub_nc_u32_e64 v7, v7, 4 clamp
	s_delay_alu instid0(VALU_DEP_1) | instskip(NEXT) | instid1(VALU_DEP_1)
	v_dual_lshlrev_b32 v20, v7, v6 :: v_dual_lshlrev_b32 v7, 23, v7
	v_lshrrev_b32_e32 v20, 4, v20
	s_delay_alu instid0(VALU_DEP_1) | instskip(NEXT) | instid1(VALU_DEP_1)
	v_dual_sub_nc_u32 v7, v20, v7 :: v_dual_ashrrev_i32 v20, 8, v21
	v_add_nc_u32_e32 v7, 0x3c000000, v7
	s_delay_alu instid0(VALU_DEP_1) | instskip(NEXT) | instid1(VALU_DEP_1)
	v_and_or_b32 v7, 0x7f800000, v20, v7
	v_cndmask_b32_e64 v6, 0, v7, s1
	s_delay_alu instid0(VALU_DEP_1) | instskip(NEXT) | instid1(VALU_DEP_1)
	v_and_or_b32 v5, 0x80000000, v5, v6
	v_cmp_eq_f32_e64 s1, s3, v5
	s_delay_alu instid0(VALU_DEP_1) | instskip(SKIP_1) | instid1(VALU_DEP_1)
	v_cndmask_b32_e64 v6, 0, 1, s1
	v_cmp_neq_f32_e64 s1, s3, v5
	v_cndmask_b32_e64 v5, 0, 1, s1
	s_delay_alu instid0(VALU_DEP_1) | instskip(NEXT) | instid1(VALU_DEP_1)
	v_cndmask_b32_e64 v5, v5, v6, s0
	v_and_b32_e32 v5, 1, v5
	s_delay_alu instid0(VALU_DEP_1) | instskip(NEXT) | instid1(VALU_DEP_1)
	v_lshlrev_b16 v5, 8, v5
	v_bitop3_b16 v5, v1, v5, 0xff bitop3:0xec
	s_delay_alu instid0(VALU_DEP_1) | instskip(NEXT) | instid1(VALU_DEP_1)
	v_and_b32_e32 v5, 0xffff, v5
	v_and_or_b32 v1, 0xffff0000, v1, v5
.LBB280_47:
	s_or_b32 exec_lo, exec_lo, s6
	v_or_b32_e32 v5, 0x600, v0
	s_mov_b32 s6, exec_lo
	s_delay_alu instid0(VALU_DEP_1)
	v_cmpx_gt_i32_e64 s8, v5
	s_cbranch_execz .LBB280_49
; %bb.48:
	v_lshlrev_b32_e32 v5, 24, v19
	s_delay_alu instid0(VALU_DEP_1) | instskip(NEXT) | instid1(VALU_DEP_1)
	v_and_b32_e32 v6, 0x7f000000, v5
	v_clz_i32_u32_e32 v7, v6
	v_add_nc_u32_e32 v20, 0x1000000, v6
	v_cmp_ne_u32_e64 s1, 0, v6
	s_delay_alu instid0(VALU_DEP_3) | instskip(NEXT) | instid1(VALU_DEP_1)
	v_min_u32_e32 v7, 32, v7
	v_sub_nc_u32_e64 v7, v7, 4 clamp
	s_delay_alu instid0(VALU_DEP_1) | instskip(NEXT) | instid1(VALU_DEP_1)
	v_dual_lshlrev_b32 v19, v7, v6 :: v_dual_lshlrev_b32 v7, 23, v7
	v_lshrrev_b32_e32 v19, 4, v19
	s_delay_alu instid0(VALU_DEP_1) | instskip(NEXT) | instid1(VALU_DEP_1)
	v_dual_sub_nc_u32 v7, v19, v7 :: v_dual_ashrrev_i32 v19, 8, v20
	v_add_nc_u32_e32 v7, 0x3c000000, v7
	s_delay_alu instid0(VALU_DEP_1) | instskip(NEXT) | instid1(VALU_DEP_1)
	v_and_or_b32 v7, 0x7f800000, v19, v7
	v_cndmask_b32_e64 v6, 0, v7, s1
	s_delay_alu instid0(VALU_DEP_1) | instskip(SKIP_1) | instid1(VALU_DEP_2)
	v_and_or_b32 v5, 0x80000000, v5, v6
	v_lshrrev_b32_e32 v6, 16, v1
	v_cmp_eq_f32_e64 s1, s3, v5
	s_delay_alu instid0(VALU_DEP_2) | instskip(NEXT) | instid1(VALU_DEP_2)
	v_and_b32_e32 v6, 0xffffff00, v6
	v_cndmask_b32_e64 v7, 0, 1, s1
	v_cmp_neq_f32_e64 s1, s3, v5
	s_delay_alu instid0(VALU_DEP_1) | instskip(NEXT) | instid1(VALU_DEP_1)
	v_cndmask_b32_e64 v5, 0, 1, s1
	v_cndmask_b32_e64 v5, v5, v7, s0
	s_delay_alu instid0(VALU_DEP_1) | instskip(NEXT) | instid1(VALU_DEP_1)
	v_bitop3_b16 v5, v5, v6, 1 bitop3:0xec
	v_lshlrev_b32_e32 v5, 16, v5
	s_delay_alu instid0(VALU_DEP_1)
	v_and_or_b32 v1, 0xffff, v1, v5
.LBB280_49:
	s_or_b32 exec_lo, exec_lo, s6
	v_or_b32_e32 v5, 0x700, v0
	s_mov_b32 s6, exec_lo
	s_delay_alu instid0(VALU_DEP_1)
	v_cmpx_gt_i32_e64 s8, v5
	s_cbranch_execz .LBB280_51
; %bb.50:
	v_lshlrev_b32_e32 v5, 24, v18
	s_delay_alu instid0(VALU_DEP_1) | instskip(NEXT) | instid1(VALU_DEP_1)
	v_and_b32_e32 v6, 0x7f000000, v5
	v_clz_i32_u32_e32 v7, v6
	v_cmp_ne_u32_e64 s1, 0, v6
	v_add_nc_u32_e32 v19, 0x1000000, v6
	s_delay_alu instid0(VALU_DEP_3) | instskip(NEXT) | instid1(VALU_DEP_1)
	v_min_u32_e32 v7, 32, v7
	v_sub_nc_u32_e64 v7, v7, 4 clamp
	s_delay_alu instid0(VALU_DEP_1) | instskip(NEXT) | instid1(VALU_DEP_1)
	v_dual_lshlrev_b32 v18, v7, v6 :: v_dual_lshlrev_b32 v7, 23, v7
	v_lshrrev_b32_e32 v18, 4, v18
	s_delay_alu instid0(VALU_DEP_1) | instskip(SKIP_1) | instid1(VALU_DEP_2)
	v_sub_nc_u32_e32 v7, v18, v7
	v_ashrrev_i32_e32 v18, 8, v19
	v_add_nc_u32_e32 v7, 0x3c000000, v7
	s_delay_alu instid0(VALU_DEP_1) | instskip(NEXT) | instid1(VALU_DEP_1)
	v_and_or_b32 v7, 0x7f800000, v18, v7
	v_cndmask_b32_e64 v6, 0, v7, s1
	s_delay_alu instid0(VALU_DEP_1) | instskip(NEXT) | instid1(VALU_DEP_1)
	v_and_or_b32 v5, 0x80000000, v5, v6
	v_cmp_eq_f32_e64 s1, s3, v5
	s_delay_alu instid0(VALU_DEP_1) | instskip(SKIP_1) | instid1(VALU_DEP_1)
	v_cndmask_b32_e64 v6, 0, 1, s1
	v_cmp_neq_f32_e64 s1, s3, v5
	v_cndmask_b32_e64 v5, 0, 1, s1
	s_delay_alu instid0(VALU_DEP_1) | instskip(NEXT) | instid1(VALU_DEP_1)
	v_dual_cndmask_b32 v5, v5, v6, s0 :: v_dual_lshrrev_b32 v6, 16, v1
	v_and_b32_e32 v5, 1, v5
	s_delay_alu instid0(VALU_DEP_1) | instskip(NEXT) | instid1(VALU_DEP_1)
	v_lshlrev_b16 v5, 8, v5
	v_bitop3_b16 v5, v6, v5, 0xff bitop3:0xec
	s_delay_alu instid0(VALU_DEP_1) | instskip(NEXT) | instid1(VALU_DEP_1)
	v_lshlrev_b32_e32 v5, 16, v5
	v_and_or_b32 v1, 0xffff, v1, v5
.LBB280_51:
	s_or_b32 exec_lo, exec_lo, s6
	v_or_b32_e32 v5, 0x800, v0
	s_mov_b32 s6, exec_lo
	s_delay_alu instid0(VALU_DEP_1)
	v_cmpx_gt_i32_e64 s8, v5
	s_cbranch_execz .LBB280_53
; %bb.52:
	v_lshlrev_b32_e32 v5, 24, v17
	s_delay_alu instid0(VALU_DEP_1) | instskip(NEXT) | instid1(VALU_DEP_1)
	v_and_b32_e32 v6, 0x7f000000, v5
	v_clz_i32_u32_e32 v7, v6
	v_add_nc_u32_e32 v18, 0x1000000, v6
	v_cmp_ne_u32_e64 s1, 0, v6
	s_delay_alu instid0(VALU_DEP_3) | instskip(NEXT) | instid1(VALU_DEP_1)
	v_min_u32_e32 v7, 32, v7
	v_sub_nc_u32_e64 v7, v7, 4 clamp
	s_delay_alu instid0(VALU_DEP_1) | instskip(NEXT) | instid1(VALU_DEP_1)
	v_dual_lshlrev_b32 v17, v7, v6 :: v_dual_lshlrev_b32 v7, 23, v7
	v_lshrrev_b32_e32 v17, 4, v17
	s_delay_alu instid0(VALU_DEP_1) | instskip(NEXT) | instid1(VALU_DEP_1)
	v_dual_sub_nc_u32 v7, v17, v7 :: v_dual_ashrrev_i32 v17, 8, v18
	v_add_nc_u32_e32 v7, 0x3c000000, v7
	s_delay_alu instid0(VALU_DEP_1) | instskip(NEXT) | instid1(VALU_DEP_1)
	v_and_or_b32 v7, 0x7f800000, v17, v7
	v_cndmask_b32_e64 v6, 0, v7, s1
	v_and_b32_e32 v7, 0xffffff00, v4
	s_delay_alu instid0(VALU_DEP_2) | instskip(NEXT) | instid1(VALU_DEP_1)
	v_and_or_b32 v5, 0x80000000, v5, v6
	v_cmp_eq_f32_e64 s1, s3, v5
	s_delay_alu instid0(VALU_DEP_1) | instskip(SKIP_1) | instid1(VALU_DEP_1)
	v_cndmask_b32_e64 v6, 0, 1, s1
	v_cmp_neq_f32_e64 s1, s3, v5
	v_cndmask_b32_e64 v5, 0, 1, s1
	s_delay_alu instid0(VALU_DEP_1) | instskip(NEXT) | instid1(VALU_DEP_1)
	v_cndmask_b32_e64 v5, v5, v6, s0
	v_bitop3_b16 v5, v5, v7, 1 bitop3:0xec
	s_delay_alu instid0(VALU_DEP_1) | instskip(NEXT) | instid1(VALU_DEP_1)
	v_and_b32_e32 v5, 0xffff, v5
	v_and_or_b32 v4, 0xffff0000, v4, v5
.LBB280_53:
	s_or_b32 exec_lo, exec_lo, s6
	v_or_b32_e32 v5, 0x900, v0
	s_mov_b32 s6, exec_lo
	s_delay_alu instid0(VALU_DEP_1)
	v_cmpx_gt_i32_e64 s8, v5
	s_cbranch_execz .LBB280_55
; %bb.54:
	v_lshlrev_b32_e32 v5, 24, v16
	s_delay_alu instid0(VALU_DEP_1) | instskip(NEXT) | instid1(VALU_DEP_1)
	v_and_b32_e32 v6, 0x7f000000, v5
	v_clz_i32_u32_e32 v7, v6
	v_add_nc_u32_e32 v17, 0x1000000, v6
	v_cmp_ne_u32_e64 s1, 0, v6
	s_delay_alu instid0(VALU_DEP_3) | instskip(NEXT) | instid1(VALU_DEP_1)
	v_min_u32_e32 v7, 32, v7
	v_sub_nc_u32_e64 v7, v7, 4 clamp
	s_delay_alu instid0(VALU_DEP_1) | instskip(NEXT) | instid1(VALU_DEP_1)
	v_dual_lshlrev_b32 v16, v7, v6 :: v_dual_lshlrev_b32 v7, 23, v7
	v_lshrrev_b32_e32 v16, 4, v16
	s_delay_alu instid0(VALU_DEP_1) | instskip(NEXT) | instid1(VALU_DEP_1)
	v_dual_sub_nc_u32 v7, v16, v7 :: v_dual_ashrrev_i32 v16, 8, v17
	v_add_nc_u32_e32 v7, 0x3c000000, v7
	s_delay_alu instid0(VALU_DEP_1) | instskip(NEXT) | instid1(VALU_DEP_1)
	v_and_or_b32 v7, 0x7f800000, v16, v7
	v_cndmask_b32_e64 v6, 0, v7, s1
	s_delay_alu instid0(VALU_DEP_1) | instskip(NEXT) | instid1(VALU_DEP_1)
	v_and_or_b32 v5, 0x80000000, v5, v6
	v_cmp_eq_f32_e64 s1, s3, v5
	s_delay_alu instid0(VALU_DEP_1) | instskip(SKIP_1) | instid1(VALU_DEP_1)
	v_cndmask_b32_e64 v6, 0, 1, s1
	v_cmp_neq_f32_e64 s1, s3, v5
	v_cndmask_b32_e64 v5, 0, 1, s1
	s_delay_alu instid0(VALU_DEP_1) | instskip(NEXT) | instid1(VALU_DEP_1)
	v_cndmask_b32_e64 v5, v5, v6, s0
	v_and_b32_e32 v5, 1, v5
	s_delay_alu instid0(VALU_DEP_1) | instskip(NEXT) | instid1(VALU_DEP_1)
	v_lshlrev_b16 v5, 8, v5
	v_bitop3_b16 v5, v4, v5, 0xff bitop3:0xec
	s_delay_alu instid0(VALU_DEP_1) | instskip(NEXT) | instid1(VALU_DEP_1)
	v_and_b32_e32 v5, 0xffff, v5
	v_and_or_b32 v4, 0xffff0000, v4, v5
.LBB280_55:
	s_or_b32 exec_lo, exec_lo, s6
	v_or_b32_e32 v5, 0xa00, v0
	s_mov_b32 s6, exec_lo
	s_delay_alu instid0(VALU_DEP_1)
	v_cmpx_gt_i32_e64 s8, v5
	s_cbranch_execz .LBB280_57
; %bb.56:
	v_lshlrev_b32_e32 v5, 24, v15
	s_delay_alu instid0(VALU_DEP_1) | instskip(NEXT) | instid1(VALU_DEP_1)
	v_and_b32_e32 v6, 0x7f000000, v5
	v_clz_i32_u32_e32 v7, v6
	v_add_nc_u32_e32 v16, 0x1000000, v6
	v_cmp_ne_u32_e64 s1, 0, v6
	s_delay_alu instid0(VALU_DEP_3) | instskip(NEXT) | instid1(VALU_DEP_1)
	v_min_u32_e32 v7, 32, v7
	v_sub_nc_u32_e64 v7, v7, 4 clamp
	s_delay_alu instid0(VALU_DEP_1) | instskip(NEXT) | instid1(VALU_DEP_1)
	v_dual_lshlrev_b32 v15, v7, v6 :: v_dual_lshlrev_b32 v7, 23, v7
	v_lshrrev_b32_e32 v15, 4, v15
	s_delay_alu instid0(VALU_DEP_1) | instskip(NEXT) | instid1(VALU_DEP_1)
	v_dual_sub_nc_u32 v7, v15, v7 :: v_dual_ashrrev_i32 v15, 8, v16
	v_add_nc_u32_e32 v7, 0x3c000000, v7
	s_delay_alu instid0(VALU_DEP_1) | instskip(NEXT) | instid1(VALU_DEP_1)
	v_and_or_b32 v7, 0x7f800000, v15, v7
	v_cndmask_b32_e64 v6, 0, v7, s1
	s_delay_alu instid0(VALU_DEP_1) | instskip(SKIP_1) | instid1(VALU_DEP_2)
	v_and_or_b32 v5, 0x80000000, v5, v6
	v_lshrrev_b32_e32 v6, 16, v4
	v_cmp_eq_f32_e64 s1, s3, v5
	s_delay_alu instid0(VALU_DEP_2) | instskip(NEXT) | instid1(VALU_DEP_2)
	v_and_b32_e32 v6, 0xffffff00, v6
	v_cndmask_b32_e64 v7, 0, 1, s1
	v_cmp_neq_f32_e64 s1, s3, v5
	s_delay_alu instid0(VALU_DEP_1) | instskip(NEXT) | instid1(VALU_DEP_1)
	v_cndmask_b32_e64 v5, 0, 1, s1
	v_cndmask_b32_e64 v5, v5, v7, s0
	s_delay_alu instid0(VALU_DEP_1) | instskip(NEXT) | instid1(VALU_DEP_1)
	v_bitop3_b16 v5, v5, v6, 1 bitop3:0xec
	v_lshlrev_b32_e32 v5, 16, v5
	s_delay_alu instid0(VALU_DEP_1)
	v_and_or_b32 v4, 0xffff, v4, v5
.LBB280_57:
	s_or_b32 exec_lo, exec_lo, s6
	v_or_b32_e32 v5, 0xb00, v0
	s_mov_b32 s6, exec_lo
	s_delay_alu instid0(VALU_DEP_1)
	v_cmpx_gt_i32_e64 s8, v5
	s_cbranch_execz .LBB280_59
; %bb.58:
	v_lshlrev_b32_e32 v5, 24, v14
	s_delay_alu instid0(VALU_DEP_1) | instskip(NEXT) | instid1(VALU_DEP_1)
	v_and_b32_e32 v6, 0x7f000000, v5
	v_clz_i32_u32_e32 v7, v6
	v_cmp_ne_u32_e64 s1, 0, v6
	v_add_nc_u32_e32 v15, 0x1000000, v6
	s_delay_alu instid0(VALU_DEP_3) | instskip(NEXT) | instid1(VALU_DEP_1)
	v_min_u32_e32 v7, 32, v7
	v_sub_nc_u32_e64 v7, v7, 4 clamp
	s_delay_alu instid0(VALU_DEP_1) | instskip(NEXT) | instid1(VALU_DEP_1)
	v_dual_lshlrev_b32 v14, v7, v6 :: v_dual_lshlrev_b32 v7, 23, v7
	v_lshrrev_b32_e32 v14, 4, v14
	s_delay_alu instid0(VALU_DEP_1) | instskip(SKIP_1) | instid1(VALU_DEP_2)
	v_sub_nc_u32_e32 v7, v14, v7
	v_ashrrev_i32_e32 v14, 8, v15
	v_add_nc_u32_e32 v7, 0x3c000000, v7
	s_delay_alu instid0(VALU_DEP_1) | instskip(NEXT) | instid1(VALU_DEP_1)
	v_and_or_b32 v7, 0x7f800000, v14, v7
	v_cndmask_b32_e64 v6, 0, v7, s1
	s_delay_alu instid0(VALU_DEP_1) | instskip(NEXT) | instid1(VALU_DEP_1)
	v_and_or_b32 v5, 0x80000000, v5, v6
	v_cmp_eq_f32_e64 s1, s3, v5
	s_delay_alu instid0(VALU_DEP_1) | instskip(SKIP_1) | instid1(VALU_DEP_1)
	v_cndmask_b32_e64 v6, 0, 1, s1
	v_cmp_neq_f32_e64 s1, s3, v5
	v_cndmask_b32_e64 v5, 0, 1, s1
	s_delay_alu instid0(VALU_DEP_1) | instskip(NEXT) | instid1(VALU_DEP_1)
	v_dual_cndmask_b32 v5, v5, v6, s0 :: v_dual_lshrrev_b32 v6, 16, v4
	v_and_b32_e32 v5, 1, v5
	s_delay_alu instid0(VALU_DEP_1) | instskip(NEXT) | instid1(VALU_DEP_1)
	v_lshlrev_b16 v5, 8, v5
	v_bitop3_b16 v5, v6, v5, 0xff bitop3:0xec
	s_delay_alu instid0(VALU_DEP_1) | instskip(NEXT) | instid1(VALU_DEP_1)
	v_lshlrev_b32_e32 v5, 16, v5
	v_and_or_b32 v4, 0xffff, v4, v5
.LBB280_59:
	s_or_b32 exec_lo, exec_lo, s6
	v_or_b32_e32 v5, 0xc00, v0
	s_mov_b32 s6, exec_lo
	s_delay_alu instid0(VALU_DEP_1)
	v_cmpx_gt_i32_e64 s8, v5
	s_cbranch_execz .LBB280_61
; %bb.60:
	v_lshlrev_b32_e32 v5, 24, v13
	s_delay_alu instid0(VALU_DEP_1) | instskip(NEXT) | instid1(VALU_DEP_1)
	v_and_b32_e32 v6, 0x7f000000, v5
	v_clz_i32_u32_e32 v7, v6
	v_add_nc_u32_e32 v14, 0x1000000, v6
	v_cmp_ne_u32_e64 s1, 0, v6
	s_delay_alu instid0(VALU_DEP_3) | instskip(NEXT) | instid1(VALU_DEP_1)
	v_min_u32_e32 v7, 32, v7
	v_sub_nc_u32_e64 v7, v7, 4 clamp
	s_delay_alu instid0(VALU_DEP_1) | instskip(NEXT) | instid1(VALU_DEP_1)
	v_dual_lshlrev_b32 v13, v7, v6 :: v_dual_lshlrev_b32 v7, 23, v7
	v_lshrrev_b32_e32 v13, 4, v13
	s_delay_alu instid0(VALU_DEP_1) | instskip(NEXT) | instid1(VALU_DEP_1)
	v_dual_sub_nc_u32 v7, v13, v7 :: v_dual_ashrrev_i32 v13, 8, v14
	v_add_nc_u32_e32 v7, 0x3c000000, v7
	s_delay_alu instid0(VALU_DEP_1) | instskip(NEXT) | instid1(VALU_DEP_1)
	v_and_or_b32 v7, 0x7f800000, v13, v7
	v_cndmask_b32_e64 v6, 0, v7, s1
	v_and_b32_e32 v7, 0xffffff00, v3
	s_delay_alu instid0(VALU_DEP_2) | instskip(NEXT) | instid1(VALU_DEP_1)
	v_and_or_b32 v5, 0x80000000, v5, v6
	v_cmp_eq_f32_e64 s1, s3, v5
	s_delay_alu instid0(VALU_DEP_1) | instskip(SKIP_1) | instid1(VALU_DEP_1)
	v_cndmask_b32_e64 v6, 0, 1, s1
	v_cmp_neq_f32_e64 s1, s3, v5
	v_cndmask_b32_e64 v5, 0, 1, s1
	s_delay_alu instid0(VALU_DEP_1) | instskip(NEXT) | instid1(VALU_DEP_1)
	v_cndmask_b32_e64 v5, v5, v6, s0
	v_bitop3_b16 v5, v5, v7, 1 bitop3:0xec
	s_delay_alu instid0(VALU_DEP_1) | instskip(NEXT) | instid1(VALU_DEP_1)
	v_and_b32_e32 v5, 0xffff, v5
	v_and_or_b32 v3, 0xffff0000, v3, v5
.LBB280_61:
	s_or_b32 exec_lo, exec_lo, s6
	v_or_b32_e32 v5, 0xd00, v0
	s_mov_b32 s6, exec_lo
	s_delay_alu instid0(VALU_DEP_1)
	v_cmpx_gt_i32_e64 s8, v5
	s_cbranch_execz .LBB280_63
; %bb.62:
	v_lshlrev_b32_e32 v5, 24, v12
	s_delay_alu instid0(VALU_DEP_1) | instskip(NEXT) | instid1(VALU_DEP_1)
	v_and_b32_e32 v6, 0x7f000000, v5
	v_clz_i32_u32_e32 v7, v6
	v_add_nc_u32_e32 v13, 0x1000000, v6
	v_cmp_ne_u32_e64 s1, 0, v6
	s_delay_alu instid0(VALU_DEP_3) | instskip(NEXT) | instid1(VALU_DEP_1)
	v_min_u32_e32 v7, 32, v7
	v_sub_nc_u32_e64 v7, v7, 4 clamp
	s_delay_alu instid0(VALU_DEP_1) | instskip(NEXT) | instid1(VALU_DEP_1)
	v_dual_lshlrev_b32 v12, v7, v6 :: v_dual_lshlrev_b32 v7, 23, v7
	v_lshrrev_b32_e32 v12, 4, v12
	s_delay_alu instid0(VALU_DEP_1) | instskip(NEXT) | instid1(VALU_DEP_1)
	v_dual_sub_nc_u32 v7, v12, v7 :: v_dual_ashrrev_i32 v12, 8, v13
	v_add_nc_u32_e32 v7, 0x3c000000, v7
	s_delay_alu instid0(VALU_DEP_1) | instskip(NEXT) | instid1(VALU_DEP_1)
	v_and_or_b32 v7, 0x7f800000, v12, v7
	v_cndmask_b32_e64 v6, 0, v7, s1
	s_delay_alu instid0(VALU_DEP_1) | instskip(NEXT) | instid1(VALU_DEP_1)
	v_and_or_b32 v5, 0x80000000, v5, v6
	v_cmp_eq_f32_e64 s1, s3, v5
	s_delay_alu instid0(VALU_DEP_1) | instskip(SKIP_1) | instid1(VALU_DEP_1)
	v_cndmask_b32_e64 v6, 0, 1, s1
	v_cmp_neq_f32_e64 s1, s3, v5
	v_cndmask_b32_e64 v5, 0, 1, s1
	s_delay_alu instid0(VALU_DEP_1) | instskip(NEXT) | instid1(VALU_DEP_1)
	v_cndmask_b32_e64 v5, v5, v6, s0
	v_and_b32_e32 v5, 1, v5
	s_delay_alu instid0(VALU_DEP_1) | instskip(NEXT) | instid1(VALU_DEP_1)
	v_lshlrev_b16 v5, 8, v5
	v_bitop3_b16 v5, v3, v5, 0xff bitop3:0xec
	s_delay_alu instid0(VALU_DEP_1) | instskip(NEXT) | instid1(VALU_DEP_1)
	v_and_b32_e32 v5, 0xffff, v5
	v_and_or_b32 v3, 0xffff0000, v3, v5
.LBB280_63:
	s_or_b32 exec_lo, exec_lo, s6
	v_or_b32_e32 v5, 0xe00, v0
	s_mov_b32 s6, exec_lo
	s_delay_alu instid0(VALU_DEP_1)
	v_cmpx_gt_i32_e64 s8, v5
	s_cbranch_execz .LBB280_65
; %bb.64:
	v_lshlrev_b32_e32 v5, 24, v11
	s_delay_alu instid0(VALU_DEP_1) | instskip(NEXT) | instid1(VALU_DEP_1)
	v_and_b32_e32 v6, 0x7f000000, v5
	v_clz_i32_u32_e32 v7, v6
	v_add_nc_u32_e32 v12, 0x1000000, v6
	v_cmp_ne_u32_e64 s1, 0, v6
	s_delay_alu instid0(VALU_DEP_3) | instskip(NEXT) | instid1(VALU_DEP_1)
	v_min_u32_e32 v7, 32, v7
	v_sub_nc_u32_e64 v7, v7, 4 clamp
	s_delay_alu instid0(VALU_DEP_1) | instskip(NEXT) | instid1(VALU_DEP_1)
	v_dual_lshlrev_b32 v11, v7, v6 :: v_dual_lshlrev_b32 v7, 23, v7
	v_lshrrev_b32_e32 v11, 4, v11
	s_delay_alu instid0(VALU_DEP_1) | instskip(NEXT) | instid1(VALU_DEP_1)
	v_dual_sub_nc_u32 v7, v11, v7 :: v_dual_ashrrev_i32 v11, 8, v12
	v_add_nc_u32_e32 v7, 0x3c000000, v7
	s_delay_alu instid0(VALU_DEP_1) | instskip(NEXT) | instid1(VALU_DEP_1)
	v_and_or_b32 v7, 0x7f800000, v11, v7
	v_cndmask_b32_e64 v6, 0, v7, s1
	s_delay_alu instid0(VALU_DEP_1) | instskip(SKIP_1) | instid1(VALU_DEP_2)
	v_and_or_b32 v5, 0x80000000, v5, v6
	v_lshrrev_b32_e32 v6, 16, v3
	v_cmp_eq_f32_e64 s1, s3, v5
	s_delay_alu instid0(VALU_DEP_2) | instskip(NEXT) | instid1(VALU_DEP_2)
	v_and_b32_e32 v6, 0xffffff00, v6
	v_cndmask_b32_e64 v7, 0, 1, s1
	v_cmp_neq_f32_e64 s1, s3, v5
	s_delay_alu instid0(VALU_DEP_1) | instskip(NEXT) | instid1(VALU_DEP_1)
	v_cndmask_b32_e64 v5, 0, 1, s1
	v_cndmask_b32_e64 v5, v5, v7, s0
	s_delay_alu instid0(VALU_DEP_1) | instskip(NEXT) | instid1(VALU_DEP_1)
	v_bitop3_b16 v5, v5, v6, 1 bitop3:0xec
	v_lshlrev_b32_e32 v5, 16, v5
	s_delay_alu instid0(VALU_DEP_1)
	v_and_or_b32 v3, 0xffff, v3, v5
.LBB280_65:
	s_or_b32 exec_lo, exec_lo, s6
	v_or_b32_e32 v5, 0xf00, v0
	s_mov_b32 s6, exec_lo
	s_delay_alu instid0(VALU_DEP_1)
	v_cmpx_gt_i32_e64 s8, v5
	s_cbranch_execnz .LBB280_84
; %bb.66:
	s_or_b32 exec_lo, exec_lo, s6
	s_and_saveexec_b32 s0, vcc_lo
	s_delay_alu instid0(SALU_CYCLE_1)
	s_xor_b32 s0, exec_lo, s0
	s_cbranch_execnz .LBB280_85
.LBB280_67:
	s_or_b32 exec_lo, exec_lo, s0
	s_delay_alu instid0(SALU_CYCLE_1)
	s_mov_b32 s0, exec_lo
	v_cmpx_gt_i32_e64 s8, v0
	s_cbranch_execnz .LBB280_86
.LBB280_68:
	s_or_b32 exec_lo, exec_lo, s0
	s_delay_alu instid0(SALU_CYCLE_1)
	s_mov_b32 s0, exec_lo
	v_cmpx_gt_i32_e64 s8, v0
	s_cbranch_execnz .LBB280_87
.LBB280_69:
	s_or_b32 exec_lo, exec_lo, s0
	s_delay_alu instid0(SALU_CYCLE_1)
	s_mov_b32 s0, exec_lo
	v_cmpx_gt_i32_e64 s8, v0
	s_cbranch_execnz .LBB280_88
.LBB280_70:
	s_or_b32 exec_lo, exec_lo, s0
	s_delay_alu instid0(SALU_CYCLE_1)
	s_mov_b32 s0, exec_lo
	v_cmpx_gt_i32_e64 s8, v0
	s_cbranch_execnz .LBB280_89
.LBB280_71:
	s_or_b32 exec_lo, exec_lo, s0
	s_delay_alu instid0(SALU_CYCLE_1)
	s_mov_b32 s0, exec_lo
	v_cmpx_gt_i32_e64 s8, v0
	s_cbranch_execnz .LBB280_90
.LBB280_72:
	s_or_b32 exec_lo, exec_lo, s0
	s_delay_alu instid0(SALU_CYCLE_1)
	s_mov_b32 s0, exec_lo
	v_cmpx_gt_i32_e64 s8, v0
	s_cbranch_execnz .LBB280_91
.LBB280_73:
	s_or_b32 exec_lo, exec_lo, s0
	s_delay_alu instid0(SALU_CYCLE_1)
	s_mov_b32 s0, exec_lo
	v_cmpx_gt_i32_e64 s8, v0
	s_cbranch_execnz .LBB280_92
.LBB280_74:
	s_or_b32 exec_lo, exec_lo, s0
	s_delay_alu instid0(SALU_CYCLE_1)
	s_mov_b32 s0, exec_lo
	v_cmpx_gt_i32_e64 s8, v0
	s_cbranch_execnz .LBB280_93
.LBB280_75:
	s_or_b32 exec_lo, exec_lo, s0
	s_delay_alu instid0(SALU_CYCLE_1)
	s_mov_b32 s0, exec_lo
	v_cmpx_gt_i32_e64 s8, v0
	s_cbranch_execnz .LBB280_94
.LBB280_76:
	s_or_b32 exec_lo, exec_lo, s0
	s_delay_alu instid0(SALU_CYCLE_1)
	s_mov_b32 s0, exec_lo
	v_cmpx_gt_i32_e64 s8, v0
	s_cbranch_execnz .LBB280_95
.LBB280_77:
	s_or_b32 exec_lo, exec_lo, s0
	s_delay_alu instid0(SALU_CYCLE_1)
	s_mov_b32 s0, exec_lo
	v_cmpx_gt_i32_e64 s8, v0
	s_cbranch_execnz .LBB280_96
.LBB280_78:
	s_or_b32 exec_lo, exec_lo, s0
	s_delay_alu instid0(SALU_CYCLE_1)
	s_mov_b32 s0, exec_lo
	v_cmpx_gt_i32_e64 s8, v0
	s_cbranch_execnz .LBB280_97
.LBB280_79:
	s_or_b32 exec_lo, exec_lo, s0
	s_delay_alu instid0(SALU_CYCLE_1)
	s_mov_b32 s0, exec_lo
	v_cmpx_gt_i32_e64 s8, v0
	s_cbranch_execnz .LBB280_98
.LBB280_80:
	s_or_b32 exec_lo, exec_lo, s0
	s_delay_alu instid0(SALU_CYCLE_1)
	s_mov_b32 s0, exec_lo
	v_cmpx_gt_i32_e64 s8, v0
	s_cbranch_execnz .LBB280_99
.LBB280_81:
	s_or_b32 exec_lo, exec_lo, s0
	s_delay_alu instid0(SALU_CYCLE_1)
	s_mov_b32 s0, exec_lo
	v_cmpx_gt_i32_e64 s8, v0
	s_cbranch_execz .LBB280_83
.LBB280_82:
	v_dual_lshrrev_b32 v1, 24, v3 :: v_dual_add_nc_u32 v0, s2, v0
	global_store_b8 v0, v1, s[4:5]
.LBB280_83:
	s_endpgm
.LBB280_84:
	v_and_b32_e32 v5, 0x7f000000, v10
	s_delay_alu instid0(VALU_DEP_1) | instskip(SKIP_2) | instid1(VALU_DEP_3)
	v_clz_i32_u32_e32 v6, v5
	v_cmp_ne_u32_e64 s1, 0, v5
	v_add_nc_u32_e32 v11, 0x1000000, v5
	v_min_u32_e32 v6, 32, v6
	s_delay_alu instid0(VALU_DEP_1) | instskip(NEXT) | instid1(VALU_DEP_1)
	v_sub_nc_u32_e64 v6, v6, 4 clamp
	v_dual_lshlrev_b32 v7, v6, v5 :: v_dual_lshlrev_b32 v6, 23, v6
	s_delay_alu instid0(VALU_DEP_1) | instskip(NEXT) | instid1(VALU_DEP_1)
	v_lshrrev_b32_e32 v7, 4, v7
	v_dual_sub_nc_u32 v6, v7, v6 :: v_dual_ashrrev_i32 v7, 8, v11
	s_delay_alu instid0(VALU_DEP_1) | instskip(NEXT) | instid1(VALU_DEP_1)
	v_add_nc_u32_e32 v6, 0x3c000000, v6
	v_and_or_b32 v6, 0x7f800000, v7, v6
	s_delay_alu instid0(VALU_DEP_1) | instskip(NEXT) | instid1(VALU_DEP_1)
	v_cndmask_b32_e64 v5, 0, v6, s1
	v_and_or_b32 v5, 0x80000000, v10, v5
	s_delay_alu instid0(VALU_DEP_1) | instskip(NEXT) | instid1(VALU_DEP_1)
	v_cmp_eq_f32_e64 s1, s3, v5
	v_cndmask_b32_e64 v6, 0, 1, s1
	v_cmp_neq_f32_e64 s1, s3, v5
	s_delay_alu instid0(VALU_DEP_1) | instskip(NEXT) | instid1(VALU_DEP_1)
	v_cndmask_b32_e64 v5, 0, 1, s1
	v_dual_cndmask_b32 v5, v5, v6, s0 :: v_dual_lshrrev_b32 v6, 16, v3
	s_delay_alu instid0(VALU_DEP_1) | instskip(NEXT) | instid1(VALU_DEP_1)
	v_and_b32_e32 v5, 1, v5
	v_lshlrev_b16 v5, 8, v5
	s_delay_alu instid0(VALU_DEP_1) | instskip(NEXT) | instid1(VALU_DEP_1)
	v_bitop3_b16 v5, v6, v5, 0xff bitop3:0xec
	v_lshlrev_b32_e32 v5, 16, v5
	s_delay_alu instid0(VALU_DEP_1) | instskip(SKIP_2) | instid1(SALU_CYCLE_1)
	v_and_or_b32 v3, 0xffff, v3, v5
	s_or_b32 exec_lo, exec_lo, s6
	s_and_saveexec_b32 s0, vcc_lo
	s_xor_b32 s0, exec_lo, s0
	s_cbranch_execz .LBB280_67
.LBB280_85:
	v_mov_b32_e32 v0, v9
	global_store_b8 v8, v2, s[4:5]
	s_wait_xcnt 0x0
	s_or_b32 exec_lo, exec_lo, s0
	s_delay_alu instid0(SALU_CYCLE_1)
	s_mov_b32 s0, exec_lo
	v_cmpx_gt_i32_e64 s8, v0
	s_cbranch_execz .LBB280_68
.LBB280_86:
	v_dual_lshrrev_b32 v5, 8, v2 :: v_dual_add_nc_u32 v6, s2, v0
	v_add_nc_u32_e32 v0, 0x100, v0
	global_store_b8 v6, v5, s[4:5]
	s_wait_xcnt 0x0
	s_or_b32 exec_lo, exec_lo, s0
	s_delay_alu instid0(SALU_CYCLE_1)
	s_mov_b32 s0, exec_lo
	v_cmpx_gt_i32_e64 s8, v0
	s_cbranch_execz .LBB280_69
.LBB280_87:
	v_add_nc_u32_e32 v5, s2, v0
	v_add_nc_u32_e32 v0, 0x100, v0
	global_store_d16_hi_b8 v5, v2, s[4:5]
	s_wait_xcnt 0x0
	s_or_b32 exec_lo, exec_lo, s0
	s_delay_alu instid0(SALU_CYCLE_1)
	s_mov_b32 s0, exec_lo
	v_cmpx_gt_i32_e64 s8, v0
	s_cbranch_execz .LBB280_70
.LBB280_88:
	v_dual_lshrrev_b32 v2, 24, v2 :: v_dual_add_nc_u32 v5, s2, v0
	v_add_nc_u32_e32 v0, 0x100, v0
	global_store_b8 v5, v2, s[4:5]
	s_wait_xcnt 0x0
	s_or_b32 exec_lo, exec_lo, s0
	s_delay_alu instid0(SALU_CYCLE_1)
	s_mov_b32 s0, exec_lo
	v_cmpx_gt_i32_e64 s8, v0
	s_cbranch_execz .LBB280_71
.LBB280_89:
	v_add_nc_u32_e32 v2, s2, v0
	v_add_nc_u32_e32 v0, 0x100, v0
	global_store_b8 v2, v1, s[4:5]
	s_wait_xcnt 0x0
	s_or_b32 exec_lo, exec_lo, s0
	s_delay_alu instid0(SALU_CYCLE_1)
	s_mov_b32 s0, exec_lo
	v_cmpx_gt_i32_e64 s8, v0
	s_cbranch_execz .LBB280_72
.LBB280_90:
	v_dual_lshrrev_b32 v2, 8, v1 :: v_dual_add_nc_u32 v5, s2, v0
	v_add_nc_u32_e32 v0, 0x100, v0
	global_store_b8 v5, v2, s[4:5]
	s_wait_xcnt 0x0
	s_or_b32 exec_lo, exec_lo, s0
	s_delay_alu instid0(SALU_CYCLE_1)
	s_mov_b32 s0, exec_lo
	v_cmpx_gt_i32_e64 s8, v0
	s_cbranch_execz .LBB280_73
.LBB280_91:
	v_add_nc_u32_e32 v2, s2, v0
	v_add_nc_u32_e32 v0, 0x100, v0
	global_store_d16_hi_b8 v2, v1, s[4:5]
	s_wait_xcnt 0x0
	s_or_b32 exec_lo, exec_lo, s0
	s_delay_alu instid0(SALU_CYCLE_1)
	s_mov_b32 s0, exec_lo
	v_cmpx_gt_i32_e64 s8, v0
	s_cbranch_execz .LBB280_74
.LBB280_92:
	v_dual_lshrrev_b32 v1, 24, v1 :: v_dual_add_nc_u32 v2, s2, v0
	v_add_nc_u32_e32 v0, 0x100, v0
	global_store_b8 v2, v1, s[4:5]
	s_wait_xcnt 0x0
	s_or_b32 exec_lo, exec_lo, s0
	s_delay_alu instid0(SALU_CYCLE_1)
	s_mov_b32 s0, exec_lo
	v_cmpx_gt_i32_e64 s8, v0
	s_cbranch_execz .LBB280_75
.LBB280_93:
	v_add_nc_u32_e32 v1, s2, v0
	v_add_nc_u32_e32 v0, 0x100, v0
	global_store_b8 v1, v4, s[4:5]
	s_wait_xcnt 0x0
	s_or_b32 exec_lo, exec_lo, s0
	s_delay_alu instid0(SALU_CYCLE_1)
	s_mov_b32 s0, exec_lo
	v_cmpx_gt_i32_e64 s8, v0
	s_cbranch_execz .LBB280_76
.LBB280_94:
	v_lshrrev_b32_e32 v1, 8, v4
	v_add_nc_u32_e32 v2, s2, v0
	v_add_nc_u32_e32 v0, 0x100, v0
	global_store_b8 v2, v1, s[4:5]
	s_wait_xcnt 0x0
	s_or_b32 exec_lo, exec_lo, s0
	s_delay_alu instid0(SALU_CYCLE_1)
	s_mov_b32 s0, exec_lo
	v_cmpx_gt_i32_e64 s8, v0
	s_cbranch_execz .LBB280_77
.LBB280_95:
	v_add_nc_u32_e32 v1, s2, v0
	v_add_nc_u32_e32 v0, 0x100, v0
	global_store_d16_hi_b8 v1, v4, s[4:5]
	s_wait_xcnt 0x0
	s_or_b32 exec_lo, exec_lo, s0
	s_delay_alu instid0(SALU_CYCLE_1)
	s_mov_b32 s0, exec_lo
	v_cmpx_gt_i32_e64 s8, v0
	s_cbranch_execz .LBB280_78
.LBB280_96:
	v_lshrrev_b32_e32 v1, 24, v4
	v_add_nc_u32_e32 v2, s2, v0
	v_add_nc_u32_e32 v0, 0x100, v0
	global_store_b8 v2, v1, s[4:5]
	s_wait_xcnt 0x0
	s_or_b32 exec_lo, exec_lo, s0
	s_delay_alu instid0(SALU_CYCLE_1)
	s_mov_b32 s0, exec_lo
	v_cmpx_gt_i32_e64 s8, v0
	s_cbranch_execz .LBB280_79
.LBB280_97:
	v_add_nc_u32_e32 v1, s2, v0
	v_add_nc_u32_e32 v0, 0x100, v0
	global_store_b8 v1, v3, s[4:5]
	s_wait_xcnt 0x0
	s_or_b32 exec_lo, exec_lo, s0
	s_delay_alu instid0(SALU_CYCLE_1)
	s_mov_b32 s0, exec_lo
	v_cmpx_gt_i32_e64 s8, v0
	s_cbranch_execz .LBB280_80
.LBB280_98:
	v_dual_lshrrev_b32 v1, 8, v3 :: v_dual_add_nc_u32 v2, s2, v0
	v_add_nc_u32_e32 v0, 0x100, v0
	global_store_b8 v2, v1, s[4:5]
	s_wait_xcnt 0x0
	s_or_b32 exec_lo, exec_lo, s0
	s_delay_alu instid0(SALU_CYCLE_1)
	s_mov_b32 s0, exec_lo
	v_cmpx_gt_i32_e64 s8, v0
	s_cbranch_execz .LBB280_81
.LBB280_99:
	v_add_nc_u32_e32 v1, s2, v0
	v_add_nc_u32_e32 v0, 0x100, v0
	global_store_d16_hi_b8 v1, v3, s[4:5]
	s_wait_xcnt 0x0
	s_or_b32 exec_lo, exec_lo, s0
	s_delay_alu instid0(SALU_CYCLE_1)
	s_mov_b32 s0, exec_lo
	v_cmpx_gt_i32_e64 s8, v0
	s_cbranch_execnz .LBB280_82
	s_branch .LBB280_83
	.section	.rodata,"a",@progbits
	.p2align	6, 0x0
	.amdhsa_kernel _ZN2at6native29vectorized_elementwise_kernelILi2ENS0_13AUnaryFunctorIN3c1013Float8_e4m3fnES4_bNS0_12_GLOBAL__N_116CompareEqFunctorIS4_EEEESt5arrayIPcLm2EEEEviT0_T1_
		.amdhsa_group_segment_fixed_size 0
		.amdhsa_private_segment_fixed_size 0
		.amdhsa_kernarg_size 32
		.amdhsa_user_sgpr_count 2
		.amdhsa_user_sgpr_dispatch_ptr 0
		.amdhsa_user_sgpr_queue_ptr 0
		.amdhsa_user_sgpr_kernarg_segment_ptr 1
		.amdhsa_user_sgpr_dispatch_id 0
		.amdhsa_user_sgpr_kernarg_preload_length 0
		.amdhsa_user_sgpr_kernarg_preload_offset 0
		.amdhsa_user_sgpr_private_segment_size 0
		.amdhsa_wavefront_size32 1
		.amdhsa_uses_dynamic_stack 0
		.amdhsa_enable_private_segment 0
		.amdhsa_system_sgpr_workgroup_id_x 1
		.amdhsa_system_sgpr_workgroup_id_y 0
		.amdhsa_system_sgpr_workgroup_id_z 0
		.amdhsa_system_sgpr_workgroup_info 0
		.amdhsa_system_vgpr_workitem_id 0
		.amdhsa_next_free_vgpr 60
		.amdhsa_next_free_sgpr 23
		.amdhsa_named_barrier_count 0
		.amdhsa_reserve_vcc 1
		.amdhsa_float_round_mode_32 0
		.amdhsa_float_round_mode_16_64 0
		.amdhsa_float_denorm_mode_32 3
		.amdhsa_float_denorm_mode_16_64 3
		.amdhsa_fp16_overflow 0
		.amdhsa_memory_ordered 1
		.amdhsa_forward_progress 1
		.amdhsa_inst_pref_size 80
		.amdhsa_round_robin_scheduling 0
		.amdhsa_exception_fp_ieee_invalid_op 0
		.amdhsa_exception_fp_denorm_src 0
		.amdhsa_exception_fp_ieee_div_zero 0
		.amdhsa_exception_fp_ieee_overflow 0
		.amdhsa_exception_fp_ieee_underflow 0
		.amdhsa_exception_fp_ieee_inexact 0
		.amdhsa_exception_int_div_zero 0
	.end_amdhsa_kernel
	.section	.text._ZN2at6native29vectorized_elementwise_kernelILi2ENS0_13AUnaryFunctorIN3c1013Float8_e4m3fnES4_bNS0_12_GLOBAL__N_116CompareEqFunctorIS4_EEEESt5arrayIPcLm2EEEEviT0_T1_,"axG",@progbits,_ZN2at6native29vectorized_elementwise_kernelILi2ENS0_13AUnaryFunctorIN3c1013Float8_e4m3fnES4_bNS0_12_GLOBAL__N_116CompareEqFunctorIS4_EEEESt5arrayIPcLm2EEEEviT0_T1_,comdat
.Lfunc_end280:
	.size	_ZN2at6native29vectorized_elementwise_kernelILi2ENS0_13AUnaryFunctorIN3c1013Float8_e4m3fnES4_bNS0_12_GLOBAL__N_116CompareEqFunctorIS4_EEEESt5arrayIPcLm2EEEEviT0_T1_, .Lfunc_end280-_ZN2at6native29vectorized_elementwise_kernelILi2ENS0_13AUnaryFunctorIN3c1013Float8_e4m3fnES4_bNS0_12_GLOBAL__N_116CompareEqFunctorIS4_EEEESt5arrayIPcLm2EEEEviT0_T1_
                                        ; -- End function
	.set _ZN2at6native29vectorized_elementwise_kernelILi2ENS0_13AUnaryFunctorIN3c1013Float8_e4m3fnES4_bNS0_12_GLOBAL__N_116CompareEqFunctorIS4_EEEESt5arrayIPcLm2EEEEviT0_T1_.num_vgpr, 60
	.set _ZN2at6native29vectorized_elementwise_kernelILi2ENS0_13AUnaryFunctorIN3c1013Float8_e4m3fnES4_bNS0_12_GLOBAL__N_116CompareEqFunctorIS4_EEEESt5arrayIPcLm2EEEEviT0_T1_.num_agpr, 0
	.set _ZN2at6native29vectorized_elementwise_kernelILi2ENS0_13AUnaryFunctorIN3c1013Float8_e4m3fnES4_bNS0_12_GLOBAL__N_116CompareEqFunctorIS4_EEEESt5arrayIPcLm2EEEEviT0_T1_.numbered_sgpr, 23
	.set _ZN2at6native29vectorized_elementwise_kernelILi2ENS0_13AUnaryFunctorIN3c1013Float8_e4m3fnES4_bNS0_12_GLOBAL__N_116CompareEqFunctorIS4_EEEESt5arrayIPcLm2EEEEviT0_T1_.num_named_barrier, 0
	.set _ZN2at6native29vectorized_elementwise_kernelILi2ENS0_13AUnaryFunctorIN3c1013Float8_e4m3fnES4_bNS0_12_GLOBAL__N_116CompareEqFunctorIS4_EEEESt5arrayIPcLm2EEEEviT0_T1_.private_seg_size, 0
	.set _ZN2at6native29vectorized_elementwise_kernelILi2ENS0_13AUnaryFunctorIN3c1013Float8_e4m3fnES4_bNS0_12_GLOBAL__N_116CompareEqFunctorIS4_EEEESt5arrayIPcLm2EEEEviT0_T1_.uses_vcc, 1
	.set _ZN2at6native29vectorized_elementwise_kernelILi2ENS0_13AUnaryFunctorIN3c1013Float8_e4m3fnES4_bNS0_12_GLOBAL__N_116CompareEqFunctorIS4_EEEESt5arrayIPcLm2EEEEviT0_T1_.uses_flat_scratch, 0
	.set _ZN2at6native29vectorized_elementwise_kernelILi2ENS0_13AUnaryFunctorIN3c1013Float8_e4m3fnES4_bNS0_12_GLOBAL__N_116CompareEqFunctorIS4_EEEESt5arrayIPcLm2EEEEviT0_T1_.has_dyn_sized_stack, 0
	.set _ZN2at6native29vectorized_elementwise_kernelILi2ENS0_13AUnaryFunctorIN3c1013Float8_e4m3fnES4_bNS0_12_GLOBAL__N_116CompareEqFunctorIS4_EEEESt5arrayIPcLm2EEEEviT0_T1_.has_recursion, 0
	.set _ZN2at6native29vectorized_elementwise_kernelILi2ENS0_13AUnaryFunctorIN3c1013Float8_e4m3fnES4_bNS0_12_GLOBAL__N_116CompareEqFunctorIS4_EEEESt5arrayIPcLm2EEEEviT0_T1_.has_indirect_call, 0
	.section	.AMDGPU.csdata,"",@progbits
; Kernel info:
; codeLenInByte = 10228
; TotalNumSgprs: 25
; NumVgprs: 60
; ScratchSize: 0
; MemoryBound: 0
; FloatMode: 240
; IeeeMode: 1
; LDSByteSize: 0 bytes/workgroup (compile time only)
; SGPRBlocks: 0
; VGPRBlocks: 3
; NumSGPRsForWavesPerEU: 25
; NumVGPRsForWavesPerEU: 60
; NamedBarCnt: 0
; Occupancy: 16
; WaveLimiterHint : 1
; COMPUTE_PGM_RSRC2:SCRATCH_EN: 0
; COMPUTE_PGM_RSRC2:USER_SGPR: 2
; COMPUTE_PGM_RSRC2:TRAP_HANDLER: 0
; COMPUTE_PGM_RSRC2:TGID_X_EN: 1
; COMPUTE_PGM_RSRC2:TGID_Y_EN: 0
; COMPUTE_PGM_RSRC2:TGID_Z_EN: 0
; COMPUTE_PGM_RSRC2:TIDIG_COMP_CNT: 0
	.section	.text._ZN2at6native27unrolled_elementwise_kernelINS0_13AUnaryFunctorIN3c1013Float8_e4m3fnES4_bNS0_12_GLOBAL__N_116CompareEqFunctorIS4_EEEESt5arrayIPcLm2EELi4E23TrivialOffsetCalculatorILi1EjESD_NS0_6memory15LoadWithoutCastENSE_16StoreWithoutCastEEEviT_T0_T2_T3_T4_T5_,"axG",@progbits,_ZN2at6native27unrolled_elementwise_kernelINS0_13AUnaryFunctorIN3c1013Float8_e4m3fnES4_bNS0_12_GLOBAL__N_116CompareEqFunctorIS4_EEEESt5arrayIPcLm2EELi4E23TrivialOffsetCalculatorILi1EjESD_NS0_6memory15LoadWithoutCastENSE_16StoreWithoutCastEEEviT_T0_T2_T3_T4_T5_,comdat
	.globl	_ZN2at6native27unrolled_elementwise_kernelINS0_13AUnaryFunctorIN3c1013Float8_e4m3fnES4_bNS0_12_GLOBAL__N_116CompareEqFunctorIS4_EEEESt5arrayIPcLm2EELi4E23TrivialOffsetCalculatorILi1EjESD_NS0_6memory15LoadWithoutCastENSE_16StoreWithoutCastEEEviT_T0_T2_T3_T4_T5_ ; -- Begin function _ZN2at6native27unrolled_elementwise_kernelINS0_13AUnaryFunctorIN3c1013Float8_e4m3fnES4_bNS0_12_GLOBAL__N_116CompareEqFunctorIS4_EEEESt5arrayIPcLm2EELi4E23TrivialOffsetCalculatorILi1EjESD_NS0_6memory15LoadWithoutCastENSE_16StoreWithoutCastEEEviT_T0_T2_T3_T4_T5_
	.p2align	8
	.type	_ZN2at6native27unrolled_elementwise_kernelINS0_13AUnaryFunctorIN3c1013Float8_e4m3fnES4_bNS0_12_GLOBAL__N_116CompareEqFunctorIS4_EEEESt5arrayIPcLm2EELi4E23TrivialOffsetCalculatorILi1EjESD_NS0_6memory15LoadWithoutCastENSE_16StoreWithoutCastEEEviT_T0_T2_T3_T4_T5_,@function
_ZN2at6native27unrolled_elementwise_kernelINS0_13AUnaryFunctorIN3c1013Float8_e4m3fnES4_bNS0_12_GLOBAL__N_116CompareEqFunctorIS4_EEEESt5arrayIPcLm2EELi4E23TrivialOffsetCalculatorILi1EjESD_NS0_6memory15LoadWithoutCastENSE_16StoreWithoutCastEEEviT_T0_T2_T3_T4_T5_: ; @_ZN2at6native27unrolled_elementwise_kernelINS0_13AUnaryFunctorIN3c1013Float8_e4m3fnES4_bNS0_12_GLOBAL__N_116CompareEqFunctorIS4_EEEESt5arrayIPcLm2EELi4E23TrivialOffsetCalculatorILi1EjESD_NS0_6memory15LoadWithoutCastENSE_16StoreWithoutCastEEEviT_T0_T2_T3_T4_T5_
; %bb.0:
	s_clause 0x1
	s_load_b96 s[8:10], s[0:1], 0x0
	s_load_b128 s[4:7], s[0:1], 0x10
	s_bfe_u32 s3, ttmp6, 0x4000c
	s_and_b32 s2, ttmp6, 15
	s_add_co_i32 s3, s3, 1
	s_getreg_b32 s11, hwreg(HW_REG_IB_STS2, 6, 4)
	s_wait_xcnt 0x0
	s_mul_i32 s0, ttmp9, s3
	v_dual_mov_b32 v5, 0 :: v_dual_mov_b32 v1, 0
	s_add_co_i32 s2, s2, s0
	s_cmp_eq_u32 s11, 0
	v_dual_mov_b32 v4, 0 :: v_dual_mov_b32 v6, 0
	s_cselect_b32 s0, ttmp9, s2
	v_or_b32_e32 v2, 0x100, v0
	s_lshl_b32 s2, s0, 10
	s_delay_alu instid0(SALU_CYCLE_1) | instskip(SKIP_2) | instid1(SALU_CYCLE_1)
	v_dual_mov_b32 v7, 0 :: v_dual_bitop2_b32 v3, s2, v0 bitop3:0x54
	s_wait_kmcnt 0x0
	s_sub_co_i32 s3, s8, s2
	v_cmp_gt_i32_e32 vcc_lo, s3, v0
	s_and_saveexec_b32 s1, vcc_lo
	s_cbranch_execz .LBB281_8
; %bb.1:
	global_load_u8 v7, v3, s[6:7]
	v_or_b32_e32 v8, 0x100, v0
	v_dual_mov_b32 v4, 0 :: v_dual_mov_b32 v6, 0
	v_mov_b32_e32 v5, 0
	s_mov_b32 s8, exec_lo
	s_wait_xcnt 0x0
	v_cmpx_gt_u32_e64 s3, v8
	s_cbranch_execz .LBB281_7
; %bb.2:
	v_dual_mov_b32 v5, 0 :: v_dual_add_nc_u32 v4, s2, v8
	v_or_b32_e32 v8, 0x200, v0
	s_mov_b32 s11, exec_lo
	global_load_u8 v6, v4, s[6:7]
	s_wait_xcnt 0x0
	v_mov_b32_e32 v4, 0
	v_cmpx_gt_u32_e64 s3, v8
	s_cbranch_execz .LBB281_6
; %bb.3:
	v_add_nc_u32_e32 v4, s2, v8
	v_or_b32_e32 v8, 0x300, v0
	s_mov_b32 s12, exec_lo
	global_load_u8 v5, v4, s[6:7]
	s_wait_xcnt 0x0
	v_mov_b32_e32 v4, 0
	v_cmpx_gt_u32_e64 s3, v8
	s_cbranch_execz .LBB281_5
; %bb.4:
	v_add_nc_u32_e32 v4, s2, v8
	global_load_u8 v4, v4, s[6:7]
	s_wait_loadcnt 0x0
	v_lshlrev_b32_e32 v4, 24, v4
.LBB281_5:
	s_or_b32 exec_lo, exec_lo, s12
.LBB281_6:
	s_delay_alu instid0(SALU_CYCLE_1)
	s_or_b32 exec_lo, exec_lo, s11
.LBB281_7:
	s_delay_alu instid0(SALU_CYCLE_1)
	s_or_b32 exec_lo, exec_lo, s8
.LBB281_8:
	s_delay_alu instid0(SALU_CYCLE_1) | instskip(SKIP_3) | instid1(SALU_CYCLE_1)
	s_or_b32 exec_lo, exec_lo, s1
	s_cmp_eq_u32 s9, 0
	s_cselect_b32 s0, -1, 0
	s_lshl_b32 s1, s10, 24
	s_and_b32 s6, s1, 0x7f000000
	s_and_b32 s1, s1, 0x80000000
	s_clz_i32_u32 s7, s6
	s_add_co_i32 s9, s6, 0x1000000
	s_min_u32 s7, s7, 32
	s_ashr_i32 s9, s9, 8
	v_sub_nc_u32_e64 v8, s7, 4 clamp
	s_delay_alu instid0(VALU_DEP_1) | instskip(SKIP_3) | instid1(SALU_CYCLE_1)
	v_readfirstlane_b32 s7, v8
	s_lshl_b32 s8, s6, s7
	s_lshl_b32 s7, s7, 23
	s_lshr_b32 s8, s8, 4
	s_sub_co_i32 s7, s8, s7
	s_and_b32 s8, s9, 0x7f800000
	s_add_co_i32 s7, s7, 0x3c000000
	s_delay_alu instid0(SALU_CYCLE_1) | instskip(SKIP_2) | instid1(SALU_CYCLE_1)
	s_or_b32 s7, s7, s8
	s_cmp_lg_u32 s6, 0
	s_cselect_b32 s6, s7, 0
	s_or_b32 s6, s6, s1
	s_and_saveexec_b32 s7, vcc_lo
	s_cbranch_execz .LBB281_10
; %bb.9:
	s_wait_loadcnt 0x0
	v_lshlrev_b32_e32 v1, 24, v7
	s_delay_alu instid0(VALU_DEP_1) | instskip(NEXT) | instid1(VALU_DEP_1)
	v_and_b32_e32 v7, 0x7f000000, v1
	v_clz_i32_u32_e32 v8, v7
	v_add_nc_u32_e32 v10, 0x1000000, v7
	v_cmp_ne_u32_e64 s1, 0, v7
	s_delay_alu instid0(VALU_DEP_3) | instskip(NEXT) | instid1(VALU_DEP_1)
	v_min_u32_e32 v8, 32, v8
	v_sub_nc_u32_e64 v8, v8, 4 clamp
	s_delay_alu instid0(VALU_DEP_1) | instskip(NEXT) | instid1(VALU_DEP_1)
	v_dual_lshlrev_b32 v9, v8, v7 :: v_dual_lshlrev_b32 v8, 23, v8
	v_lshrrev_b32_e32 v9, 4, v9
	s_delay_alu instid0(VALU_DEP_1) | instskip(NEXT) | instid1(VALU_DEP_1)
	v_dual_sub_nc_u32 v8, v9, v8 :: v_dual_ashrrev_i32 v9, 8, v10
	v_add_nc_u32_e32 v8, 0x3c000000, v8
	s_delay_alu instid0(VALU_DEP_1) | instskip(NEXT) | instid1(VALU_DEP_1)
	v_and_or_b32 v8, 0x7f800000, v9, v8
	v_cndmask_b32_e64 v7, 0, v8, s1
	s_delay_alu instid0(VALU_DEP_1) | instskip(NEXT) | instid1(VALU_DEP_1)
	v_and_or_b32 v1, 0x80000000, v1, v7
	v_cmp_eq_f32_e64 s1, s6, v1
	s_delay_alu instid0(VALU_DEP_1) | instskip(SKIP_1) | instid1(VALU_DEP_1)
	v_cndmask_b32_e64 v7, 0, 1, s1
	v_cmp_neq_f32_e64 s1, s6, v1
	v_cndmask_b32_e64 v1, 0, 1, s1
	s_delay_alu instid0(VALU_DEP_1) | instskip(NEXT) | instid1(VALU_DEP_1)
	v_cndmask_b32_e64 v1, v1, v7, s0
	v_and_b32_e32 v1, 1, v1
.LBB281_10:
	s_or_b32 exec_lo, exec_lo, s7
	s_delay_alu instid0(SALU_CYCLE_1)
	s_mov_b32 s7, exec_lo
	v_cmpx_gt_i32_e64 s3, v2
	s_cbranch_execz .LBB281_12
; %bb.11:
	s_wait_loadcnt 0x0
	v_lshlrev_b32_e32 v6, 24, v6
	s_delay_alu instid0(VALU_DEP_1) | instskip(NEXT) | instid1(VALU_DEP_1)
	v_and_b32_e32 v7, 0x7f000000, v6
	v_clz_i32_u32_e32 v8, v7
	v_add_nc_u32_e32 v10, 0x1000000, v7
	v_cmp_ne_u32_e64 s1, 0, v7
	s_delay_alu instid0(VALU_DEP_3) | instskip(NEXT) | instid1(VALU_DEP_1)
	v_min_u32_e32 v8, 32, v8
	v_sub_nc_u32_e64 v8, v8, 4 clamp
	s_delay_alu instid0(VALU_DEP_1) | instskip(NEXT) | instid1(VALU_DEP_1)
	v_dual_lshlrev_b32 v9, v8, v7 :: v_dual_lshlrev_b32 v8, 23, v8
	v_lshrrev_b32_e32 v9, 4, v9
	s_delay_alu instid0(VALU_DEP_1) | instskip(NEXT) | instid1(VALU_DEP_1)
	v_dual_sub_nc_u32 v8, v9, v8 :: v_dual_ashrrev_i32 v9, 8, v10
	v_add_nc_u32_e32 v8, 0x3c000000, v8
	s_delay_alu instid0(VALU_DEP_1) | instskip(NEXT) | instid1(VALU_DEP_1)
	v_and_or_b32 v8, 0x7f800000, v9, v8
	v_cndmask_b32_e64 v7, 0, v8, s1
	s_delay_alu instid0(VALU_DEP_1) | instskip(NEXT) | instid1(VALU_DEP_1)
	v_and_or_b32 v6, 0x80000000, v6, v7
	v_cmp_eq_f32_e64 s1, s6, v6
	s_delay_alu instid0(VALU_DEP_1) | instskip(SKIP_1) | instid1(VALU_DEP_1)
	v_cndmask_b32_e64 v7, 0, 1, s1
	v_cmp_neq_f32_e64 s1, s6, v6
	v_cndmask_b32_e64 v6, 0, 1, s1
	s_delay_alu instid0(VALU_DEP_1) | instskip(NEXT) | instid1(VALU_DEP_1)
	v_cndmask_b32_e64 v6, v6, v7, s0
	v_and_b32_e32 v6, 1, v6
	s_delay_alu instid0(VALU_DEP_1) | instskip(NEXT) | instid1(VALU_DEP_1)
	v_lshlrev_b16 v6, 8, v6
	v_or_b32_e32 v1, v1, v6
	s_delay_alu instid0(VALU_DEP_1)
	v_and_b32_e32 v1, 0xffff, v1
.LBB281_12:
	s_or_b32 exec_lo, exec_lo, s7
	s_wait_loadcnt 0x0
	v_or_b32_e32 v6, 0x200, v0
	s_mov_b32 s7, exec_lo
	s_delay_alu instid0(VALU_DEP_1)
	v_cmpx_gt_i32_e64 s3, v6
	s_cbranch_execz .LBB281_14
; %bb.13:
	v_lshlrev_b32_e32 v5, 24, v5
	s_delay_alu instid0(VALU_DEP_1) | instskip(NEXT) | instid1(VALU_DEP_1)
	v_and_b32_e32 v6, 0x7f000000, v5
	v_clz_i32_u32_e32 v7, v6
	v_add_nc_u32_e32 v9, 0x1000000, v6
	v_cmp_ne_u32_e64 s1, 0, v6
	s_delay_alu instid0(VALU_DEP_3) | instskip(NEXT) | instid1(VALU_DEP_1)
	v_min_u32_e32 v7, 32, v7
	v_sub_nc_u32_e64 v7, v7, 4 clamp
	s_delay_alu instid0(VALU_DEP_1) | instskip(NEXT) | instid1(VALU_DEP_1)
	v_dual_lshlrev_b32 v8, v7, v6 :: v_dual_lshlrev_b32 v7, 23, v7
	v_lshrrev_b32_e32 v8, 4, v8
	s_delay_alu instid0(VALU_DEP_1) | instskip(NEXT) | instid1(VALU_DEP_1)
	v_dual_sub_nc_u32 v7, v8, v7 :: v_dual_ashrrev_i32 v8, 8, v9
	v_add_nc_u32_e32 v7, 0x3c000000, v7
	s_delay_alu instid0(VALU_DEP_1) | instskip(NEXT) | instid1(VALU_DEP_1)
	v_and_or_b32 v7, 0x7f800000, v8, v7
	v_cndmask_b32_e64 v6, 0, v7, s1
	s_delay_alu instid0(VALU_DEP_1) | instskip(NEXT) | instid1(VALU_DEP_1)
	v_and_or_b32 v5, 0x80000000, v5, v6
	v_cmp_eq_f32_e64 s1, s6, v5
	s_delay_alu instid0(VALU_DEP_1) | instskip(SKIP_1) | instid1(VALU_DEP_1)
	v_cndmask_b32_e64 v6, 0, 1, s1
	v_cmp_neq_f32_e64 s1, s6, v5
	v_cndmask_b32_e64 v5, 0, 1, s1
	s_delay_alu instid0(VALU_DEP_1) | instskip(NEXT) | instid1(VALU_DEP_1)
	v_cndmask_b32_e64 v5, v5, v6, s0
	v_and_b32_e32 v5, 1, v5
	s_delay_alu instid0(VALU_DEP_1)
	v_lshl_or_b32 v1, v5, 16, v1
.LBB281_14:
	s_or_b32 exec_lo, exec_lo, s7
	v_or_b32_e32 v5, 0x300, v0
	s_mov_b32 s7, exec_lo
	s_delay_alu instid0(VALU_DEP_1)
	v_cmpx_gt_i32_e64 s3, v5
	s_cbranch_execnz .LBB281_20
; %bb.15:
	s_or_b32 exec_lo, exec_lo, s7
	s_and_saveexec_b32 s0, vcc_lo
	s_delay_alu instid0(SALU_CYCLE_1)
	s_xor_b32 s0, exec_lo, s0
	s_cbranch_execnz .LBB281_21
.LBB281_16:
	s_or_b32 exec_lo, exec_lo, s0
	s_delay_alu instid0(SALU_CYCLE_1)
	s_mov_b32 s0, exec_lo
	v_cmpx_gt_i32_e64 s3, v0
	s_cbranch_execnz .LBB281_22
.LBB281_17:
	s_or_b32 exec_lo, exec_lo, s0
	s_delay_alu instid0(SALU_CYCLE_1)
	s_mov_b32 s0, exec_lo
	v_cmpx_gt_i32_e64 s3, v0
	s_cbranch_execnz .LBB281_23
.LBB281_18:
	s_or_b32 exec_lo, exec_lo, s0
	s_delay_alu instid0(SALU_CYCLE_1)
	s_mov_b32 s0, exec_lo
	v_cmpx_gt_i32_e64 s3, v0
	s_cbranch_execnz .LBB281_24
.LBB281_19:
	s_endpgm
.LBB281_20:
	v_and_b32_e32 v5, 0x7f000000, v4
	s_delay_alu instid0(VALU_DEP_1) | instskip(SKIP_2) | instid1(VALU_DEP_3)
	v_clz_i32_u32_e32 v6, v5
	v_cmp_ne_u32_e64 s1, 0, v5
	v_add_nc_u32_e32 v8, 0x1000000, v5
	v_min_u32_e32 v6, 32, v6
	s_delay_alu instid0(VALU_DEP_1) | instskip(NEXT) | instid1(VALU_DEP_1)
	v_sub_nc_u32_e64 v6, v6, 4 clamp
	v_dual_lshlrev_b32 v7, v6, v5 :: v_dual_lshlrev_b32 v6, 23, v6
	s_delay_alu instid0(VALU_DEP_1) | instskip(NEXT) | instid1(VALU_DEP_1)
	v_lshrrev_b32_e32 v7, 4, v7
	v_dual_sub_nc_u32 v6, v7, v6 :: v_dual_ashrrev_i32 v7, 8, v8
	s_delay_alu instid0(VALU_DEP_1) | instskip(NEXT) | instid1(VALU_DEP_1)
	v_add_nc_u32_e32 v6, 0x3c000000, v6
	v_and_or_b32 v6, 0x7f800000, v7, v6
	s_delay_alu instid0(VALU_DEP_1) | instskip(NEXT) | instid1(VALU_DEP_1)
	v_cndmask_b32_e64 v5, 0, v6, s1
	v_and_or_b32 v4, 0x80000000, v4, v5
	s_delay_alu instid0(VALU_DEP_1) | instskip(NEXT) | instid1(VALU_DEP_1)
	v_cmp_eq_f32_e64 s1, s6, v4
	v_cndmask_b32_e64 v5, 0, 1, s1
	v_cmp_neq_f32_e64 s1, s6, v4
	s_delay_alu instid0(VALU_DEP_1) | instskip(NEXT) | instid1(VALU_DEP_1)
	v_cndmask_b32_e64 v4, 0, 1, s1
	v_cndmask_b32_e64 v4, v4, v5, s0
	s_delay_alu instid0(VALU_DEP_1) | instskip(NEXT) | instid1(VALU_DEP_1)
	v_dual_lshrrev_b32 v5, 16, v1 :: v_dual_bitop2_b32 v4, 1, v4 bitop3:0x40
	v_lshlrev_b16 v4, 8, v4
	s_delay_alu instid0(VALU_DEP_1) | instskip(NEXT) | instid1(VALU_DEP_1)
	v_or_b32_e32 v4, v5, v4
	v_lshlrev_b32_e32 v4, 16, v4
	s_delay_alu instid0(VALU_DEP_1) | instskip(SKIP_2) | instid1(SALU_CYCLE_1)
	v_and_or_b32 v1, 0xffff, v1, v4
	s_or_b32 exec_lo, exec_lo, s7
	s_and_saveexec_b32 s0, vcc_lo
	s_xor_b32 s0, exec_lo, s0
	s_cbranch_execz .LBB281_16
.LBB281_21:
	v_mov_b32_e32 v0, v2
	global_store_b8 v3, v1, s[4:5]
	s_wait_xcnt 0x0
	s_or_b32 exec_lo, exec_lo, s0
	s_delay_alu instid0(SALU_CYCLE_1)
	s_mov_b32 s0, exec_lo
	v_cmpx_gt_i32_e64 s3, v0
	s_cbranch_execz .LBB281_17
.LBB281_22:
	v_add_nc_u32_e32 v2, 0x100, v0
	v_dual_add_nc_u32 v3, s2, v0 :: v_dual_lshrrev_b32 v4, 8, v1
	s_delay_alu instid0(VALU_DEP_2) | instskip(SKIP_3) | instid1(SALU_CYCLE_1)
	v_mov_b32_e32 v0, v2
	global_store_b8 v3, v4, s[4:5]
	s_wait_xcnt 0x0
	s_or_b32 exec_lo, exec_lo, s0
	s_mov_b32 s0, exec_lo
	v_cmpx_gt_i32_e64 s3, v0
	s_cbranch_execz .LBB281_18
.LBB281_23:
	v_add_nc_u32_e32 v2, 0x100, v0
	s_delay_alu instid0(VALU_DEP_1) | instskip(SKIP_3) | instid1(SALU_CYCLE_1)
	v_dual_mov_b32 v0, v2 :: v_dual_add_nc_u32 v3, s2, v0
	global_store_d16_hi_b8 v3, v1, s[4:5]
	s_wait_xcnt 0x0
	s_or_b32 exec_lo, exec_lo, s0
	s_mov_b32 s0, exec_lo
	v_cmpx_gt_i32_e64 s3, v0
	s_cbranch_execz .LBB281_19
.LBB281_24:
	v_dual_add_nc_u32 v0, s2, v0 :: v_dual_lshrrev_b32 v1, 24, v1
	global_store_b8 v0, v1, s[4:5]
	s_endpgm
	.section	.rodata,"a",@progbits
	.p2align	6, 0x0
	.amdhsa_kernel _ZN2at6native27unrolled_elementwise_kernelINS0_13AUnaryFunctorIN3c1013Float8_e4m3fnES4_bNS0_12_GLOBAL__N_116CompareEqFunctorIS4_EEEESt5arrayIPcLm2EELi4E23TrivialOffsetCalculatorILi1EjESD_NS0_6memory15LoadWithoutCastENSE_16StoreWithoutCastEEEviT_T0_T2_T3_T4_T5_
		.amdhsa_group_segment_fixed_size 0
		.amdhsa_private_segment_fixed_size 0
		.amdhsa_kernarg_size 36
		.amdhsa_user_sgpr_count 2
		.amdhsa_user_sgpr_dispatch_ptr 0
		.amdhsa_user_sgpr_queue_ptr 0
		.amdhsa_user_sgpr_kernarg_segment_ptr 1
		.amdhsa_user_sgpr_dispatch_id 0
		.amdhsa_user_sgpr_kernarg_preload_length 0
		.amdhsa_user_sgpr_kernarg_preload_offset 0
		.amdhsa_user_sgpr_private_segment_size 0
		.amdhsa_wavefront_size32 1
		.amdhsa_uses_dynamic_stack 0
		.amdhsa_enable_private_segment 0
		.amdhsa_system_sgpr_workgroup_id_x 1
		.amdhsa_system_sgpr_workgroup_id_y 0
		.amdhsa_system_sgpr_workgroup_id_z 0
		.amdhsa_system_sgpr_workgroup_info 0
		.amdhsa_system_vgpr_workitem_id 0
		.amdhsa_next_free_vgpr 11
		.amdhsa_next_free_sgpr 13
		.amdhsa_named_barrier_count 0
		.amdhsa_reserve_vcc 1
		.amdhsa_float_round_mode_32 0
		.amdhsa_float_round_mode_16_64 0
		.amdhsa_float_denorm_mode_32 3
		.amdhsa_float_denorm_mode_16_64 3
		.amdhsa_fp16_overflow 0
		.amdhsa_memory_ordered 1
		.amdhsa_forward_progress 1
		.amdhsa_inst_pref_size 14
		.amdhsa_round_robin_scheduling 0
		.amdhsa_exception_fp_ieee_invalid_op 0
		.amdhsa_exception_fp_denorm_src 0
		.amdhsa_exception_fp_ieee_div_zero 0
		.amdhsa_exception_fp_ieee_overflow 0
		.amdhsa_exception_fp_ieee_underflow 0
		.amdhsa_exception_fp_ieee_inexact 0
		.amdhsa_exception_int_div_zero 0
	.end_amdhsa_kernel
	.section	.text._ZN2at6native27unrolled_elementwise_kernelINS0_13AUnaryFunctorIN3c1013Float8_e4m3fnES4_bNS0_12_GLOBAL__N_116CompareEqFunctorIS4_EEEESt5arrayIPcLm2EELi4E23TrivialOffsetCalculatorILi1EjESD_NS0_6memory15LoadWithoutCastENSE_16StoreWithoutCastEEEviT_T0_T2_T3_T4_T5_,"axG",@progbits,_ZN2at6native27unrolled_elementwise_kernelINS0_13AUnaryFunctorIN3c1013Float8_e4m3fnES4_bNS0_12_GLOBAL__N_116CompareEqFunctorIS4_EEEESt5arrayIPcLm2EELi4E23TrivialOffsetCalculatorILi1EjESD_NS0_6memory15LoadWithoutCastENSE_16StoreWithoutCastEEEviT_T0_T2_T3_T4_T5_,comdat
.Lfunc_end281:
	.size	_ZN2at6native27unrolled_elementwise_kernelINS0_13AUnaryFunctorIN3c1013Float8_e4m3fnES4_bNS0_12_GLOBAL__N_116CompareEqFunctorIS4_EEEESt5arrayIPcLm2EELi4E23TrivialOffsetCalculatorILi1EjESD_NS0_6memory15LoadWithoutCastENSE_16StoreWithoutCastEEEviT_T0_T2_T3_T4_T5_, .Lfunc_end281-_ZN2at6native27unrolled_elementwise_kernelINS0_13AUnaryFunctorIN3c1013Float8_e4m3fnES4_bNS0_12_GLOBAL__N_116CompareEqFunctorIS4_EEEESt5arrayIPcLm2EELi4E23TrivialOffsetCalculatorILi1EjESD_NS0_6memory15LoadWithoutCastENSE_16StoreWithoutCastEEEviT_T0_T2_T3_T4_T5_
                                        ; -- End function
	.set _ZN2at6native27unrolled_elementwise_kernelINS0_13AUnaryFunctorIN3c1013Float8_e4m3fnES4_bNS0_12_GLOBAL__N_116CompareEqFunctorIS4_EEEESt5arrayIPcLm2EELi4E23TrivialOffsetCalculatorILi1EjESD_NS0_6memory15LoadWithoutCastENSE_16StoreWithoutCastEEEviT_T0_T2_T3_T4_T5_.num_vgpr, 11
	.set _ZN2at6native27unrolled_elementwise_kernelINS0_13AUnaryFunctorIN3c1013Float8_e4m3fnES4_bNS0_12_GLOBAL__N_116CompareEqFunctorIS4_EEEESt5arrayIPcLm2EELi4E23TrivialOffsetCalculatorILi1EjESD_NS0_6memory15LoadWithoutCastENSE_16StoreWithoutCastEEEviT_T0_T2_T3_T4_T5_.num_agpr, 0
	.set _ZN2at6native27unrolled_elementwise_kernelINS0_13AUnaryFunctorIN3c1013Float8_e4m3fnES4_bNS0_12_GLOBAL__N_116CompareEqFunctorIS4_EEEESt5arrayIPcLm2EELi4E23TrivialOffsetCalculatorILi1EjESD_NS0_6memory15LoadWithoutCastENSE_16StoreWithoutCastEEEviT_T0_T2_T3_T4_T5_.numbered_sgpr, 13
	.set _ZN2at6native27unrolled_elementwise_kernelINS0_13AUnaryFunctorIN3c1013Float8_e4m3fnES4_bNS0_12_GLOBAL__N_116CompareEqFunctorIS4_EEEESt5arrayIPcLm2EELi4E23TrivialOffsetCalculatorILi1EjESD_NS0_6memory15LoadWithoutCastENSE_16StoreWithoutCastEEEviT_T0_T2_T3_T4_T5_.num_named_barrier, 0
	.set _ZN2at6native27unrolled_elementwise_kernelINS0_13AUnaryFunctorIN3c1013Float8_e4m3fnES4_bNS0_12_GLOBAL__N_116CompareEqFunctorIS4_EEEESt5arrayIPcLm2EELi4E23TrivialOffsetCalculatorILi1EjESD_NS0_6memory15LoadWithoutCastENSE_16StoreWithoutCastEEEviT_T0_T2_T3_T4_T5_.private_seg_size, 0
	.set _ZN2at6native27unrolled_elementwise_kernelINS0_13AUnaryFunctorIN3c1013Float8_e4m3fnES4_bNS0_12_GLOBAL__N_116CompareEqFunctorIS4_EEEESt5arrayIPcLm2EELi4E23TrivialOffsetCalculatorILi1EjESD_NS0_6memory15LoadWithoutCastENSE_16StoreWithoutCastEEEviT_T0_T2_T3_T4_T5_.uses_vcc, 1
	.set _ZN2at6native27unrolled_elementwise_kernelINS0_13AUnaryFunctorIN3c1013Float8_e4m3fnES4_bNS0_12_GLOBAL__N_116CompareEqFunctorIS4_EEEESt5arrayIPcLm2EELi4E23TrivialOffsetCalculatorILi1EjESD_NS0_6memory15LoadWithoutCastENSE_16StoreWithoutCastEEEviT_T0_T2_T3_T4_T5_.uses_flat_scratch, 0
	.set _ZN2at6native27unrolled_elementwise_kernelINS0_13AUnaryFunctorIN3c1013Float8_e4m3fnES4_bNS0_12_GLOBAL__N_116CompareEqFunctorIS4_EEEESt5arrayIPcLm2EELi4E23TrivialOffsetCalculatorILi1EjESD_NS0_6memory15LoadWithoutCastENSE_16StoreWithoutCastEEEviT_T0_T2_T3_T4_T5_.has_dyn_sized_stack, 0
	.set _ZN2at6native27unrolled_elementwise_kernelINS0_13AUnaryFunctorIN3c1013Float8_e4m3fnES4_bNS0_12_GLOBAL__N_116CompareEqFunctorIS4_EEEESt5arrayIPcLm2EELi4E23TrivialOffsetCalculatorILi1EjESD_NS0_6memory15LoadWithoutCastENSE_16StoreWithoutCastEEEviT_T0_T2_T3_T4_T5_.has_recursion, 0
	.set _ZN2at6native27unrolled_elementwise_kernelINS0_13AUnaryFunctorIN3c1013Float8_e4m3fnES4_bNS0_12_GLOBAL__N_116CompareEqFunctorIS4_EEEESt5arrayIPcLm2EELi4E23TrivialOffsetCalculatorILi1EjESD_NS0_6memory15LoadWithoutCastENSE_16StoreWithoutCastEEEviT_T0_T2_T3_T4_T5_.has_indirect_call, 0
	.section	.AMDGPU.csdata,"",@progbits
; Kernel info:
; codeLenInByte = 1700
; TotalNumSgprs: 15
; NumVgprs: 11
; ScratchSize: 0
; MemoryBound: 0
; FloatMode: 240
; IeeeMode: 1
; LDSByteSize: 0 bytes/workgroup (compile time only)
; SGPRBlocks: 0
; VGPRBlocks: 0
; NumSGPRsForWavesPerEU: 15
; NumVGPRsForWavesPerEU: 11
; NamedBarCnt: 0
; Occupancy: 16
; WaveLimiterHint : 0
; COMPUTE_PGM_RSRC2:SCRATCH_EN: 0
; COMPUTE_PGM_RSRC2:USER_SGPR: 2
; COMPUTE_PGM_RSRC2:TRAP_HANDLER: 0
; COMPUTE_PGM_RSRC2:TGID_X_EN: 1
; COMPUTE_PGM_RSRC2:TGID_Y_EN: 0
; COMPUTE_PGM_RSRC2:TGID_Z_EN: 0
; COMPUTE_PGM_RSRC2:TIDIG_COMP_CNT: 0
	.section	.text._ZN2at6native32elementwise_kernel_manual_unrollILi128ELi8EZNS0_22gpu_kernel_impl_nocastINS0_13AUnaryFunctorIN3c1013Float8_e4m3fnES5_bNS0_12_GLOBAL__N_116CompareEqFunctorIS5_EEEEEEvRNS_18TensorIteratorBaseERKT_EUlibE_EEviT1_,"axG",@progbits,_ZN2at6native32elementwise_kernel_manual_unrollILi128ELi8EZNS0_22gpu_kernel_impl_nocastINS0_13AUnaryFunctorIN3c1013Float8_e4m3fnES5_bNS0_12_GLOBAL__N_116CompareEqFunctorIS5_EEEEEEvRNS_18TensorIteratorBaseERKT_EUlibE_EEviT1_,comdat
	.globl	_ZN2at6native32elementwise_kernel_manual_unrollILi128ELi8EZNS0_22gpu_kernel_impl_nocastINS0_13AUnaryFunctorIN3c1013Float8_e4m3fnES5_bNS0_12_GLOBAL__N_116CompareEqFunctorIS5_EEEEEEvRNS_18TensorIteratorBaseERKT_EUlibE_EEviT1_ ; -- Begin function _ZN2at6native32elementwise_kernel_manual_unrollILi128ELi8EZNS0_22gpu_kernel_impl_nocastINS0_13AUnaryFunctorIN3c1013Float8_e4m3fnES5_bNS0_12_GLOBAL__N_116CompareEqFunctorIS5_EEEEEEvRNS_18TensorIteratorBaseERKT_EUlibE_EEviT1_
	.p2align	8
	.type	_ZN2at6native32elementwise_kernel_manual_unrollILi128ELi8EZNS0_22gpu_kernel_impl_nocastINS0_13AUnaryFunctorIN3c1013Float8_e4m3fnES5_bNS0_12_GLOBAL__N_116CompareEqFunctorIS5_EEEEEEvRNS_18TensorIteratorBaseERKT_EUlibE_EEviT1_,@function
_ZN2at6native32elementwise_kernel_manual_unrollILi128ELi8EZNS0_22gpu_kernel_impl_nocastINS0_13AUnaryFunctorIN3c1013Float8_e4m3fnES5_bNS0_12_GLOBAL__N_116CompareEqFunctorIS5_EEEEEEvRNS_18TensorIteratorBaseERKT_EUlibE_EEviT1_: ; @_ZN2at6native32elementwise_kernel_manual_unrollILi128ELi8EZNS0_22gpu_kernel_impl_nocastINS0_13AUnaryFunctorIN3c1013Float8_e4m3fnES5_bNS0_12_GLOBAL__N_116CompareEqFunctorIS5_EEEEEEvRNS_18TensorIteratorBaseERKT_EUlibE_EEviT1_
; %bb.0:
	s_clause 0x1
	s_load_b32 s30, s[0:1], 0x8
	s_load_b32 s35, s[0:1], 0x0
	s_bfe_u32 s2, ttmp6, 0x4000c
	s_and_b32 s3, ttmp6, 15
	s_add_co_i32 s2, s2, 1
	s_getreg_b32 s4, hwreg(HW_REG_IB_STS2, 6, 4)
	s_mul_i32 s2, ttmp9, s2
	s_mov_b32 s17, 0
	s_add_co_i32 s3, s3, s2
	s_cmp_eq_u32 s4, 0
	s_cselect_b32 s2, ttmp9, s3
	s_delay_alu instid0(SALU_CYCLE_1) | instskip(SKIP_3) | instid1(VALU_DEP_1)
	v_lshl_or_b32 v0, s2, 10, v0
	s_add_nc_u64 s[2:3], s[0:1], 8
	s_wait_xcnt 0x0
	s_mov_b32 s0, exec_lo
	v_or_b32_e32 v16, 0x380, v0
	s_wait_kmcnt 0x0
	s_add_co_i32 s31, s30, -1
	s_delay_alu instid0(SALU_CYCLE_1)
	s_cmp_gt_u32 s31, 1
	s_cselect_b32 s1, -1, 0
	v_cmpx_le_i32_e64 s35, v16
	s_xor_b32 s33, exec_lo, s0
	s_cbranch_execz .LBB282_7
; %bb.1:
	s_load_b64 s[4:5], s[2:3], 0x158
	s_cmp_lg_u32 s30, 0
	s_clause 0x1
	s_load_b128 s[8:11], s[2:3], 0x4
	s_load_b64 s[18:19], s[2:3], 0x14
	s_cselect_b32 s37, -1, 0
	s_min_u32 s36, s31, 15
	s_cmp_gt_u32 s30, 1
	s_add_nc_u64 s[22:23], s[2:3], 0xc4
	s_cselect_b32 s34, -1, 0
	s_wait_kmcnt 0x0
	s_cmp_eq_u32 s4, 0
	s_mov_b32 s16, s9
	s_cselect_b32 s0, -1, 0
	s_lshl_b32 s21, s5, 24
	s_mov_b32 s20, s18
	s_and_b32 s24, s21, 0x7f000000
	s_delay_alu instid0(SALU_CYCLE_1)
	s_clz_i32_u32 s4, s24
	s_add_co_i32 s18, s24, 0x1000000
	s_min_u32 s4, s4, 32
	s_ashr_i32 s18, s18, 8
	v_sub_nc_u32_e64 v1, s4, 4 clamp
	s_clause 0x1
	s_load_b128 s[12:15], s[2:3], 0xc4
	s_load_b128 s[4:7], s[2:3], 0x148
	s_and_b32 s18, s18, 0x7f800000
	v_readfirstlane_b32 s25, v1
	s_lshl_b32 s9, s24, s25
	s_lshl_b32 s25, s25, 23
	s_lshr_b32 s9, s9, 4
	s_delay_alu instid0(SALU_CYCLE_1)
	s_sub_co_i32 s9, s9, s25
	s_and_b32 s25, s21, 0x80000000
	s_add_co_i32 s9, s9, 0x3c000000
	s_mov_b32 s21, s17
	s_or_b32 s9, s9, s18
	s_cmp_lg_u32 s24, 0
	s_mov_b32 s18, exec_lo
	s_cselect_b32 s9, s9, 0
	s_delay_alu instid0(SALU_CYCLE_1)
	s_or_b32 s9, s9, s25
	v_cmpx_gt_i32_e64 s35, v0
	s_cbranch_execz .LBB282_14
; %bb.2:
	s_and_not1_b32 vcc_lo, exec_lo, s1
	s_cbranch_vccnz .LBB282_21
; %bb.3:
	s_and_not1_b32 vcc_lo, exec_lo, s37
	s_cbranch_vccnz .LBB282_129
; %bb.4:
	s_add_co_i32 s25, s36, 1
	s_cmp_eq_u32 s31, 2
	s_cbranch_scc1 .LBB282_131
; %bb.5:
	v_dual_mov_b32 v2, 0 :: v_dual_mov_b32 v3, 0
	v_mov_b32_e32 v1, v0
	s_and_b32 s24, s25, 28
	s_mov_b32 s38, 0
	s_mov_b64 s[26:27], s[2:3]
	s_mov_b64 s[28:29], s[22:23]
.LBB282_6:                              ; =>This Inner Loop Header: Depth=1
	s_clause 0x1
	s_load_b256 s[40:47], s[26:27], 0x4
	s_load_b128 s[56:59], s[26:27], 0x24
	s_load_b256 s[48:55], s[28:29], 0x0
	s_add_co_i32 s38, s38, 4
	s_wait_xcnt 0x0
	s_add_nc_u64 s[26:27], s[26:27], 48
	s_cmp_lg_u32 s24, s38
	s_add_nc_u64 s[28:29], s[28:29], 32
	s_wait_kmcnt 0x0
	v_mul_hi_u32 v4, s41, v1
	s_delay_alu instid0(VALU_DEP_1) | instskip(NEXT) | instid1(VALU_DEP_1)
	v_add_nc_u32_e32 v4, v1, v4
	v_lshrrev_b32_e32 v4, s42, v4
	s_delay_alu instid0(VALU_DEP_1) | instskip(NEXT) | instid1(VALU_DEP_1)
	v_mul_hi_u32 v5, s44, v4
	v_add_nc_u32_e32 v5, v4, v5
	s_delay_alu instid0(VALU_DEP_1) | instskip(NEXT) | instid1(VALU_DEP_1)
	v_lshrrev_b32_e32 v5, s45, v5
	v_mul_hi_u32 v6, s47, v5
	s_delay_alu instid0(VALU_DEP_1) | instskip(SKIP_1) | instid1(VALU_DEP_1)
	v_add_nc_u32_e32 v6, v5, v6
	v_mul_lo_u32 v7, v4, s40
	v_sub_nc_u32_e32 v1, v1, v7
	v_mul_lo_u32 v7, v5, s43
	s_delay_alu instid0(VALU_DEP_4) | instskip(NEXT) | instid1(VALU_DEP_3)
	v_lshrrev_b32_e32 v6, s56, v6
	v_mad_u32 v3, v1, s49, v3
	v_mad_u32 v1, v1, s48, v2
	s_delay_alu instid0(VALU_DEP_4) | instskip(NEXT) | instid1(VALU_DEP_4)
	v_sub_nc_u32_e32 v2, v4, v7
	v_mul_hi_u32 v8, s58, v6
	v_mul_lo_u32 v4, v6, s46
	s_delay_alu instid0(VALU_DEP_3) | instskip(SKIP_1) | instid1(VALU_DEP_4)
	v_mad_u32 v3, v2, s51, v3
	v_mad_u32 v2, v2, s50, v1
	v_add_nc_u32_e32 v7, v6, v8
	s_delay_alu instid0(VALU_DEP_1) | instskip(NEXT) | instid1(VALU_DEP_1)
	v_dual_sub_nc_u32 v4, v5, v4 :: v_dual_lshrrev_b32 v1, s59, v7
	v_mad_u32 v3, v4, s53, v3
	s_delay_alu instid0(VALU_DEP_4) | instskip(NEXT) | instid1(VALU_DEP_3)
	v_mad_u32 v2, v4, s52, v2
	v_mul_lo_u32 v5, v1, s57
	s_delay_alu instid0(VALU_DEP_1) | instskip(NEXT) | instid1(VALU_DEP_1)
	v_sub_nc_u32_e32 v4, v6, v5
	v_mad_u32 v3, v4, s55, v3
	s_delay_alu instid0(VALU_DEP_4)
	v_mad_u32 v2, v4, s54, v2
	s_cbranch_scc1 .LBB282_6
	s_branch .LBB282_132
.LBB282_7:
	s_and_not1_saveexec_b32 s0, s33
	s_cbranch_execz .LBB282_221
.LBB282_8:
	v_cndmask_b32_e64 v14, 0, 1, s1
	s_and_not1_b32 vcc_lo, exec_lo, s1
	s_cbranch_vccnz .LBB282_20
; %bb.9:
	s_cmp_lg_u32 s30, 0
	s_mov_b32 s8, 0
	s_cbranch_scc0 .LBB282_23
; %bb.10:
	s_min_u32 s1, s31, 15
	s_delay_alu instid0(SALU_CYCLE_1)
	s_add_co_i32 s1, s1, 1
	s_cmp_eq_u32 s31, 2
	s_cbranch_scc1 .LBB282_24
; %bb.11:
	v_dual_mov_b32 v2, 0 :: v_dual_mov_b32 v3, 0
	v_mov_b32_e32 v1, v0
	s_and_b32 s0, s1, 28
	s_wait_kmcnt 0x0
	s_add_nc_u64 s[4:5], s[2:3], 0xc4
	s_mov_b32 s9, 0
	s_mov_b64 s[6:7], s[2:3]
.LBB282_12:                             ; =>This Inner Loop Header: Depth=1
	s_clause 0x1
	s_load_b256 s[12:19], s[6:7], 0x4
	s_load_b128 s[36:39], s[6:7], 0x24
	s_load_b256 s[20:27], s[4:5], 0x0
	s_add_co_i32 s9, s9, 4
	s_wait_xcnt 0x0
	s_add_nc_u64 s[6:7], s[6:7], 48
	s_cmp_lg_u32 s0, s9
	s_add_nc_u64 s[4:5], s[4:5], 32
	s_wait_kmcnt 0x0
	v_mul_hi_u32 v4, s13, v1
	s_delay_alu instid0(VALU_DEP_1) | instskip(NEXT) | instid1(VALU_DEP_1)
	v_add_nc_u32_e32 v4, v1, v4
	v_lshrrev_b32_e32 v4, s14, v4
	s_delay_alu instid0(VALU_DEP_1) | instskip(NEXT) | instid1(VALU_DEP_1)
	v_mul_hi_u32 v5, s16, v4
	v_add_nc_u32_e32 v5, v4, v5
	s_delay_alu instid0(VALU_DEP_1) | instskip(NEXT) | instid1(VALU_DEP_1)
	v_lshrrev_b32_e32 v5, s17, v5
	v_mul_hi_u32 v6, s19, v5
	s_delay_alu instid0(VALU_DEP_1) | instskip(SKIP_1) | instid1(VALU_DEP_1)
	v_add_nc_u32_e32 v6, v5, v6
	v_mul_lo_u32 v7, v4, s12
	v_sub_nc_u32_e32 v1, v1, v7
	v_mul_lo_u32 v7, v5, s15
	s_delay_alu instid0(VALU_DEP_4) | instskip(NEXT) | instid1(VALU_DEP_3)
	v_lshrrev_b32_e32 v6, s36, v6
	v_mad_u32 v3, v1, s21, v3
	v_mad_u32 v1, v1, s20, v2
	s_delay_alu instid0(VALU_DEP_4) | instskip(NEXT) | instid1(VALU_DEP_4)
	v_sub_nc_u32_e32 v2, v4, v7
	v_mul_hi_u32 v8, s38, v6
	v_mul_lo_u32 v4, v6, s18
	s_delay_alu instid0(VALU_DEP_3) | instskip(SKIP_1) | instid1(VALU_DEP_4)
	v_mad_u32 v3, v2, s23, v3
	v_mad_u32 v2, v2, s22, v1
	v_add_nc_u32_e32 v7, v6, v8
	s_delay_alu instid0(VALU_DEP_1) | instskip(NEXT) | instid1(VALU_DEP_1)
	v_dual_sub_nc_u32 v4, v5, v4 :: v_dual_lshrrev_b32 v1, s39, v7
	v_mad_u32 v3, v4, s25, v3
	s_delay_alu instid0(VALU_DEP_4) | instskip(NEXT) | instid1(VALU_DEP_3)
	v_mad_u32 v2, v4, s24, v2
	v_mul_lo_u32 v5, v1, s37
	s_delay_alu instid0(VALU_DEP_1) | instskip(NEXT) | instid1(VALU_DEP_1)
	v_sub_nc_u32_e32 v4, v6, v5
	v_mad_u32 v3, v4, s27, v3
	s_delay_alu instid0(VALU_DEP_4)
	v_mad_u32 v2, v4, s26, v2
	s_cbranch_scc1 .LBB282_12
; %bb.13:
	s_and_b32 s6, s1, 3
	s_mov_b32 s1, 0
	s_cmp_eq_u32 s6, 0
	s_cbranch_scc0 .LBB282_25
	s_branch .LBB282_27
.LBB282_14:
	s_or_b32 exec_lo, exec_lo, s18
	s_delay_alu instid0(SALU_CYCLE_1)
	s_mov_b32 s18, exec_lo
	v_cmpx_gt_i32_e64 s35, v0
	s_cbranch_execz .LBB282_139
.LBB282_15:
	s_and_not1_b32 vcc_lo, exec_lo, s1
	s_cbranch_vccnz .LBB282_22
; %bb.16:
	s_and_not1_b32 vcc_lo, exec_lo, s37
	s_cbranch_vccnz .LBB282_130
; %bb.17:
	s_add_co_i32 s25, s36, 1
	s_cmp_eq_u32 s31, 2
	s_cbranch_scc1 .LBB282_147
; %bb.18:
	v_dual_mov_b32 v2, 0 :: v_dual_mov_b32 v3, 0
	v_mov_b32_e32 v1, v0
	s_and_b32 s24, s25, 28
	s_mov_b32 s38, 0
	s_mov_b64 s[26:27], s[2:3]
	s_mov_b64 s[28:29], s[22:23]
.LBB282_19:                             ; =>This Inner Loop Header: Depth=1
	s_clause 0x1
	s_load_b256 s[40:47], s[26:27], 0x4
	s_load_b128 s[56:59], s[26:27], 0x24
	s_load_b256 s[48:55], s[28:29], 0x0
	s_add_co_i32 s38, s38, 4
	s_wait_xcnt 0x0
	s_add_nc_u64 s[26:27], s[26:27], 48
	s_cmp_eq_u32 s24, s38
	s_add_nc_u64 s[28:29], s[28:29], 32
	s_wait_kmcnt 0x0
	v_mul_hi_u32 v4, s41, v1
	s_delay_alu instid0(VALU_DEP_1) | instskip(NEXT) | instid1(VALU_DEP_1)
	v_add_nc_u32_e32 v4, v1, v4
	v_lshrrev_b32_e32 v4, s42, v4
	s_delay_alu instid0(VALU_DEP_1) | instskip(NEXT) | instid1(VALU_DEP_1)
	v_mul_hi_u32 v5, s44, v4
	v_add_nc_u32_e32 v5, v4, v5
	s_delay_alu instid0(VALU_DEP_1) | instskip(NEXT) | instid1(VALU_DEP_1)
	v_lshrrev_b32_e32 v5, s45, v5
	v_mul_hi_u32 v6, s47, v5
	s_delay_alu instid0(VALU_DEP_1) | instskip(SKIP_1) | instid1(VALU_DEP_1)
	v_add_nc_u32_e32 v6, v5, v6
	v_mul_lo_u32 v7, v4, s40
	v_sub_nc_u32_e32 v1, v1, v7
	v_mul_lo_u32 v7, v5, s43
	s_delay_alu instid0(VALU_DEP_4) | instskip(NEXT) | instid1(VALU_DEP_3)
	v_lshrrev_b32_e32 v6, s56, v6
	v_mad_u32 v3, v1, s49, v3
	v_mad_u32 v1, v1, s48, v2
	s_delay_alu instid0(VALU_DEP_4) | instskip(NEXT) | instid1(VALU_DEP_4)
	v_sub_nc_u32_e32 v2, v4, v7
	v_mul_hi_u32 v8, s58, v6
	v_mul_lo_u32 v4, v6, s46
	s_delay_alu instid0(VALU_DEP_3) | instskip(SKIP_1) | instid1(VALU_DEP_4)
	v_mad_u32 v3, v2, s51, v3
	v_mad_u32 v2, v2, s50, v1
	v_add_nc_u32_e32 v7, v6, v8
	s_delay_alu instid0(VALU_DEP_1) | instskip(NEXT) | instid1(VALU_DEP_1)
	v_dual_sub_nc_u32 v4, v5, v4 :: v_dual_lshrrev_b32 v1, s59, v7
	v_mad_u32 v3, v4, s53, v3
	s_delay_alu instid0(VALU_DEP_4) | instskip(NEXT) | instid1(VALU_DEP_3)
	v_mad_u32 v2, v4, s52, v2
	v_mul_lo_u32 v5, v1, s57
	s_delay_alu instid0(VALU_DEP_1) | instskip(NEXT) | instid1(VALU_DEP_1)
	v_sub_nc_u32_e32 v4, v6, v5
	v_mad_u32 v3, v4, s55, v3
	s_delay_alu instid0(VALU_DEP_4)
	v_mad_u32 v2, v4, s54, v2
	s_cbranch_scc0 .LBB282_19
	s_branch .LBB282_148
.LBB282_20:
	s_mov_b32 s8, -1
                                        ; implicit-def: $vgpr3
	s_branch .LBB282_27
.LBB282_21:
                                        ; implicit-def: $vgpr3
	s_branch .LBB282_136
.LBB282_22:
                                        ; implicit-def: $vgpr3
	s_branch .LBB282_152
.LBB282_23:
	v_dual_mov_b32 v3, 0 :: v_dual_mov_b32 v2, 0
	s_branch .LBB282_27
.LBB282_24:
	v_mov_b64_e32 v[2:3], 0
	v_mov_b32_e32 v1, v0
	s_mov_b32 s0, 0
	s_wait_kmcnt 0x0
	s_and_b32 s6, s1, 3
	s_mov_b32 s1, 0
	s_cmp_eq_u32 s6, 0
	s_cbranch_scc1 .LBB282_27
.LBB282_25:
	s_lshl_b32 s4, s0, 3
	s_mov_b32 s5, s1
	s_mul_u64 s[10:11], s[0:1], 12
	s_add_nc_u64 s[4:5], s[2:3], s[4:5]
	s_delay_alu instid0(SALU_CYCLE_1)
	s_add_nc_u64 s[0:1], s[4:5], 0xc4
	s_add_nc_u64 s[4:5], s[2:3], s[10:11]
.LBB282_26:                             ; =>This Inner Loop Header: Depth=1
	s_load_b96 s[12:14], s[4:5], 0x4
	s_load_b64 s[10:11], s[0:1], 0x0
	s_add_co_i32 s6, s6, -1
	s_wait_xcnt 0x0
	s_add_nc_u64 s[4:5], s[4:5], 12
	s_cmp_lg_u32 s6, 0
	s_add_nc_u64 s[0:1], s[0:1], 8
	s_wait_kmcnt 0x0
	v_mul_hi_u32 v4, s13, v1
	s_delay_alu instid0(VALU_DEP_1) | instskip(NEXT) | instid1(VALU_DEP_1)
	v_add_nc_u32_e32 v4, v1, v4
	v_lshrrev_b32_e32 v4, s14, v4
	s_delay_alu instid0(VALU_DEP_1) | instskip(NEXT) | instid1(VALU_DEP_1)
	v_mul_lo_u32 v5, v4, s12
	v_sub_nc_u32_e32 v1, v1, v5
	s_delay_alu instid0(VALU_DEP_1)
	v_mad_u32 v3, v1, s11, v3
	v_mad_u32 v2, v1, s10, v2
	v_mov_b32_e32 v1, v4
	s_cbranch_scc1 .LBB282_26
.LBB282_27:
	s_and_not1_b32 vcc_lo, exec_lo, s8
	s_cbranch_vccnz .LBB282_30
; %bb.28:
	s_wait_kmcnt 0x0
	s_clause 0x1
	s_load_b96 s[4:6], s[2:3], 0x4
	s_load_b64 s[0:1], s[2:3], 0xc4
	s_cmp_lt_u32 s30, 2
	s_wait_kmcnt 0x0
	v_mul_hi_u32 v1, s5, v0
	s_delay_alu instid0(VALU_DEP_1) | instskip(NEXT) | instid1(VALU_DEP_1)
	v_add_nc_u32_e32 v1, v0, v1
	v_lshrrev_b32_e32 v1, s6, v1
	s_delay_alu instid0(VALU_DEP_1) | instskip(NEXT) | instid1(VALU_DEP_1)
	v_mul_lo_u32 v2, v1, s4
	v_sub_nc_u32_e32 v2, v0, v2
	s_delay_alu instid0(VALU_DEP_1)
	v_mul_lo_u32 v3, v2, s1
	v_mul_lo_u32 v2, v2, s0
	s_cbranch_scc1 .LBB282_30
; %bb.29:
	s_clause 0x1
	s_load_b96 s[4:6], s[2:3], 0x10
	s_load_b64 s[0:1], s[2:3], 0xcc
	s_wait_kmcnt 0x0
	v_mul_hi_u32 v4, s5, v1
	s_delay_alu instid0(VALU_DEP_1) | instskip(NEXT) | instid1(VALU_DEP_1)
	v_add_nc_u32_e32 v4, v1, v4
	v_lshrrev_b32_e32 v4, s6, v4
	s_delay_alu instid0(VALU_DEP_1) | instskip(NEXT) | instid1(VALU_DEP_1)
	v_mul_lo_u32 v4, v4, s4
	v_sub_nc_u32_e32 v1, v1, v4
	s_delay_alu instid0(VALU_DEP_1)
	v_mad_u32 v2, v1, s0, v2
	v_mad_u32 v3, v1, s1, v3
.LBB282_30:
	v_cmp_ne_u32_e32 vcc_lo, 1, v14
	v_add_nc_u32_e32 v1, 0x80, v0
	s_cbranch_vccnz .LBB282_36
; %bb.31:
	s_cmp_lg_u32 s30, 0
	s_mov_b32 s8, 0
	s_cbranch_scc0 .LBB282_37
; %bb.32:
	s_min_u32 s1, s31, 15
	s_delay_alu instid0(SALU_CYCLE_1)
	s_add_co_i32 s1, s1, 1
	s_cmp_eq_u32 s31, 2
	s_cbranch_scc1 .LBB282_38
; %bb.33:
	v_dual_mov_b32 v4, 0 :: v_dual_mov_b32 v5, 0
	v_mov_b32_e32 v6, v1
	s_and_b32 s0, s1, 28
	s_wait_kmcnt 0x0
	s_add_nc_u64 s[4:5], s[2:3], 0xc4
	s_mov_b32 s9, 0
	s_mov_b64 s[6:7], s[2:3]
.LBB282_34:                             ; =>This Inner Loop Header: Depth=1
	s_clause 0x1
	s_load_b256 s[12:19], s[6:7], 0x4
	s_load_b128 s[36:39], s[6:7], 0x24
	s_load_b256 s[20:27], s[4:5], 0x0
	s_add_co_i32 s9, s9, 4
	s_wait_xcnt 0x0
	s_add_nc_u64 s[6:7], s[6:7], 48
	s_cmp_lg_u32 s0, s9
	s_add_nc_u64 s[4:5], s[4:5], 32
	s_wait_kmcnt 0x0
	v_mul_hi_u32 v7, s13, v6
	s_delay_alu instid0(VALU_DEP_1) | instskip(NEXT) | instid1(VALU_DEP_1)
	v_add_nc_u32_e32 v7, v6, v7
	v_lshrrev_b32_e32 v7, s14, v7
	s_delay_alu instid0(VALU_DEP_1) | instskip(NEXT) | instid1(VALU_DEP_1)
	v_mul_hi_u32 v8, s16, v7
	v_add_nc_u32_e32 v8, v7, v8
	s_delay_alu instid0(VALU_DEP_1) | instskip(NEXT) | instid1(VALU_DEP_1)
	v_lshrrev_b32_e32 v8, s17, v8
	v_mul_hi_u32 v9, s19, v8
	s_delay_alu instid0(VALU_DEP_1) | instskip(SKIP_1) | instid1(VALU_DEP_1)
	v_add_nc_u32_e32 v9, v8, v9
	v_mul_lo_u32 v10, v7, s12
	v_sub_nc_u32_e32 v6, v6, v10
	v_mul_lo_u32 v10, v8, s15
	s_delay_alu instid0(VALU_DEP_4) | instskip(NEXT) | instid1(VALU_DEP_3)
	v_lshrrev_b32_e32 v9, s36, v9
	v_mad_u32 v5, v6, s21, v5
	v_mad_u32 v4, v6, s20, v4
	s_delay_alu instid0(VALU_DEP_4) | instskip(NEXT) | instid1(VALU_DEP_4)
	v_sub_nc_u32_e32 v6, v7, v10
	v_mul_hi_u32 v11, s38, v9
	v_mul_lo_u32 v7, v9, s18
	s_delay_alu instid0(VALU_DEP_3) | instskip(SKIP_1) | instid1(VALU_DEP_4)
	v_mad_u32 v5, v6, s23, v5
	v_mad_u32 v4, v6, s22, v4
	v_add_nc_u32_e32 v10, v9, v11
	s_delay_alu instid0(VALU_DEP_1) | instskip(NEXT) | instid1(VALU_DEP_1)
	v_dual_sub_nc_u32 v7, v8, v7 :: v_dual_lshrrev_b32 v6, s39, v10
	v_mad_u32 v5, v7, s25, v5
	s_delay_alu instid0(VALU_DEP_4) | instskip(NEXT) | instid1(VALU_DEP_3)
	v_mad_u32 v4, v7, s24, v4
	v_mul_lo_u32 v8, v6, s37
	s_delay_alu instid0(VALU_DEP_1) | instskip(NEXT) | instid1(VALU_DEP_1)
	v_sub_nc_u32_e32 v7, v9, v8
	v_mad_u32 v5, v7, s27, v5
	s_delay_alu instid0(VALU_DEP_4)
	v_mad_u32 v4, v7, s26, v4
	s_cbranch_scc1 .LBB282_34
; %bb.35:
	s_and_b32 s6, s1, 3
	s_mov_b32 s1, 0
	s_cmp_eq_u32 s6, 0
	s_cbranch_scc0 .LBB282_39
	s_branch .LBB282_41
.LBB282_36:
	s_mov_b32 s8, -1
                                        ; implicit-def: $vgpr5
	s_branch .LBB282_41
.LBB282_37:
	v_dual_mov_b32 v5, 0 :: v_dual_mov_b32 v4, 0
	s_branch .LBB282_41
.LBB282_38:
	v_mov_b64_e32 v[4:5], 0
	v_mov_b32_e32 v6, v1
	s_mov_b32 s0, 0
	s_wait_kmcnt 0x0
	s_and_b32 s6, s1, 3
	s_mov_b32 s1, 0
	s_cmp_eq_u32 s6, 0
	s_cbranch_scc1 .LBB282_41
.LBB282_39:
	s_lshl_b32 s4, s0, 3
	s_mov_b32 s5, s1
	s_mul_u64 s[10:11], s[0:1], 12
	s_add_nc_u64 s[4:5], s[2:3], s[4:5]
	s_delay_alu instid0(SALU_CYCLE_1)
	s_add_nc_u64 s[0:1], s[4:5], 0xc4
	s_add_nc_u64 s[4:5], s[2:3], s[10:11]
.LBB282_40:                             ; =>This Inner Loop Header: Depth=1
	s_load_b96 s[12:14], s[4:5], 0x4
	s_load_b64 s[10:11], s[0:1], 0x0
	s_add_co_i32 s6, s6, -1
	s_wait_xcnt 0x0
	s_add_nc_u64 s[4:5], s[4:5], 12
	s_cmp_lg_u32 s6, 0
	s_add_nc_u64 s[0:1], s[0:1], 8
	s_wait_kmcnt 0x0
	v_mul_hi_u32 v7, s13, v6
	s_delay_alu instid0(VALU_DEP_1) | instskip(NEXT) | instid1(VALU_DEP_1)
	v_add_nc_u32_e32 v7, v6, v7
	v_lshrrev_b32_e32 v7, s14, v7
	s_delay_alu instid0(VALU_DEP_1) | instskip(NEXT) | instid1(VALU_DEP_1)
	v_mul_lo_u32 v8, v7, s12
	v_sub_nc_u32_e32 v6, v6, v8
	s_delay_alu instid0(VALU_DEP_1)
	v_mad_u32 v5, v6, s11, v5
	v_mad_u32 v4, v6, s10, v4
	v_mov_b32_e32 v6, v7
	s_cbranch_scc1 .LBB282_40
.LBB282_41:
	s_and_not1_b32 vcc_lo, exec_lo, s8
	s_cbranch_vccnz .LBB282_44
; %bb.42:
	s_wait_kmcnt 0x0
	s_clause 0x1
	s_load_b96 s[4:6], s[2:3], 0x4
	s_load_b64 s[0:1], s[2:3], 0xc4
	s_cmp_lt_u32 s30, 2
	s_wait_kmcnt 0x0
	v_mul_hi_u32 v4, s5, v1
	s_delay_alu instid0(VALU_DEP_1) | instskip(NEXT) | instid1(VALU_DEP_1)
	v_add_nc_u32_e32 v4, v1, v4
	v_lshrrev_b32_e32 v6, s6, v4
	s_delay_alu instid0(VALU_DEP_1) | instskip(NEXT) | instid1(VALU_DEP_1)
	v_mul_lo_u32 v4, v6, s4
	v_sub_nc_u32_e32 v1, v1, v4
	s_delay_alu instid0(VALU_DEP_1)
	v_mul_lo_u32 v5, v1, s1
	v_mul_lo_u32 v4, v1, s0
	s_cbranch_scc1 .LBB282_44
; %bb.43:
	s_clause 0x1
	s_load_b96 s[4:6], s[2:3], 0x10
	s_load_b64 s[0:1], s[2:3], 0xcc
	s_wait_kmcnt 0x0
	v_mul_hi_u32 v1, s5, v6
	s_delay_alu instid0(VALU_DEP_1) | instskip(NEXT) | instid1(VALU_DEP_1)
	v_add_nc_u32_e32 v1, v6, v1
	v_lshrrev_b32_e32 v1, s6, v1
	s_delay_alu instid0(VALU_DEP_1) | instskip(NEXT) | instid1(VALU_DEP_1)
	v_mul_lo_u32 v1, v1, s4
	v_sub_nc_u32_e32 v1, v6, v1
	s_delay_alu instid0(VALU_DEP_1)
	v_mad_u32 v4, v1, s0, v4
	v_mad_u32 v5, v1, s1, v5
.LBB282_44:
	v_cmp_ne_u32_e32 vcc_lo, 1, v14
	v_add_nc_u32_e32 v1, 0x100, v0
	s_cbranch_vccnz .LBB282_50
; %bb.45:
	s_cmp_lg_u32 s30, 0
	s_mov_b32 s8, 0
	s_cbranch_scc0 .LBB282_51
; %bb.46:
	s_min_u32 s1, s31, 15
	s_delay_alu instid0(SALU_CYCLE_1)
	s_add_co_i32 s1, s1, 1
	s_cmp_eq_u32 s31, 2
	s_cbranch_scc1 .LBB282_52
; %bb.47:
	v_dual_mov_b32 v6, 0 :: v_dual_mov_b32 v7, 0
	v_mov_b32_e32 v8, v1
	s_and_b32 s0, s1, 28
	s_wait_kmcnt 0x0
	s_add_nc_u64 s[4:5], s[2:3], 0xc4
	s_mov_b32 s9, 0
	s_mov_b64 s[6:7], s[2:3]
.LBB282_48:                             ; =>This Inner Loop Header: Depth=1
	s_clause 0x1
	s_load_b256 s[12:19], s[6:7], 0x4
	s_load_b128 s[36:39], s[6:7], 0x24
	s_load_b256 s[20:27], s[4:5], 0x0
	s_add_co_i32 s9, s9, 4
	s_wait_xcnt 0x0
	s_add_nc_u64 s[6:7], s[6:7], 48
	s_cmp_lg_u32 s0, s9
	s_add_nc_u64 s[4:5], s[4:5], 32
	s_wait_kmcnt 0x0
	v_mul_hi_u32 v9, s13, v8
	s_delay_alu instid0(VALU_DEP_1) | instskip(NEXT) | instid1(VALU_DEP_1)
	v_add_nc_u32_e32 v9, v8, v9
	v_lshrrev_b32_e32 v9, s14, v9
	s_delay_alu instid0(VALU_DEP_1) | instskip(NEXT) | instid1(VALU_DEP_1)
	v_mul_hi_u32 v10, s16, v9
	v_add_nc_u32_e32 v10, v9, v10
	s_delay_alu instid0(VALU_DEP_1) | instskip(NEXT) | instid1(VALU_DEP_1)
	v_lshrrev_b32_e32 v10, s17, v10
	v_mul_hi_u32 v11, s19, v10
	s_delay_alu instid0(VALU_DEP_1) | instskip(SKIP_1) | instid1(VALU_DEP_1)
	v_add_nc_u32_e32 v11, v10, v11
	v_mul_lo_u32 v12, v9, s12
	v_sub_nc_u32_e32 v8, v8, v12
	v_mul_lo_u32 v12, v10, s15
	s_delay_alu instid0(VALU_DEP_4) | instskip(NEXT) | instid1(VALU_DEP_3)
	v_lshrrev_b32_e32 v11, s36, v11
	v_mad_u32 v7, v8, s21, v7
	v_mad_u32 v6, v8, s20, v6
	s_delay_alu instid0(VALU_DEP_4) | instskip(NEXT) | instid1(VALU_DEP_4)
	v_sub_nc_u32_e32 v8, v9, v12
	v_mul_hi_u32 v13, s38, v11
	v_mul_lo_u32 v9, v11, s18
	s_delay_alu instid0(VALU_DEP_3) | instskip(SKIP_1) | instid1(VALU_DEP_4)
	v_mad_u32 v7, v8, s23, v7
	v_mad_u32 v6, v8, s22, v6
	v_add_nc_u32_e32 v12, v11, v13
	s_delay_alu instid0(VALU_DEP_1) | instskip(NEXT) | instid1(VALU_DEP_1)
	v_dual_sub_nc_u32 v9, v10, v9 :: v_dual_lshrrev_b32 v8, s39, v12
	v_mad_u32 v7, v9, s25, v7
	s_delay_alu instid0(VALU_DEP_4) | instskip(NEXT) | instid1(VALU_DEP_3)
	v_mad_u32 v6, v9, s24, v6
	v_mul_lo_u32 v10, v8, s37
	s_delay_alu instid0(VALU_DEP_1) | instskip(NEXT) | instid1(VALU_DEP_1)
	v_sub_nc_u32_e32 v9, v11, v10
	v_mad_u32 v7, v9, s27, v7
	s_delay_alu instid0(VALU_DEP_4)
	v_mad_u32 v6, v9, s26, v6
	s_cbranch_scc1 .LBB282_48
; %bb.49:
	s_and_b32 s6, s1, 3
	s_mov_b32 s1, 0
	s_cmp_eq_u32 s6, 0
	s_cbranch_scc0 .LBB282_53
	s_branch .LBB282_55
.LBB282_50:
	s_mov_b32 s8, -1
                                        ; implicit-def: $vgpr7
	s_branch .LBB282_55
.LBB282_51:
	v_dual_mov_b32 v7, 0 :: v_dual_mov_b32 v6, 0
	s_branch .LBB282_55
.LBB282_52:
	v_mov_b64_e32 v[6:7], 0
	v_mov_b32_e32 v8, v1
	s_mov_b32 s0, 0
	s_wait_kmcnt 0x0
	s_and_b32 s6, s1, 3
	s_mov_b32 s1, 0
	s_cmp_eq_u32 s6, 0
	s_cbranch_scc1 .LBB282_55
.LBB282_53:
	s_lshl_b32 s4, s0, 3
	s_mov_b32 s5, s1
	s_mul_u64 s[10:11], s[0:1], 12
	s_add_nc_u64 s[4:5], s[2:3], s[4:5]
	s_delay_alu instid0(SALU_CYCLE_1)
	s_add_nc_u64 s[0:1], s[4:5], 0xc4
	s_add_nc_u64 s[4:5], s[2:3], s[10:11]
.LBB282_54:                             ; =>This Inner Loop Header: Depth=1
	s_load_b96 s[12:14], s[4:5], 0x4
	s_load_b64 s[10:11], s[0:1], 0x0
	s_add_co_i32 s6, s6, -1
	s_wait_xcnt 0x0
	s_add_nc_u64 s[4:5], s[4:5], 12
	s_cmp_lg_u32 s6, 0
	s_add_nc_u64 s[0:1], s[0:1], 8
	s_wait_kmcnt 0x0
	v_mul_hi_u32 v9, s13, v8
	s_delay_alu instid0(VALU_DEP_1) | instskip(NEXT) | instid1(VALU_DEP_1)
	v_add_nc_u32_e32 v9, v8, v9
	v_lshrrev_b32_e32 v9, s14, v9
	s_delay_alu instid0(VALU_DEP_1) | instskip(NEXT) | instid1(VALU_DEP_1)
	v_mul_lo_u32 v10, v9, s12
	v_sub_nc_u32_e32 v8, v8, v10
	s_delay_alu instid0(VALU_DEP_1)
	v_mad_u32 v7, v8, s11, v7
	v_mad_u32 v6, v8, s10, v6
	v_mov_b32_e32 v8, v9
	s_cbranch_scc1 .LBB282_54
.LBB282_55:
	s_and_not1_b32 vcc_lo, exec_lo, s8
	s_cbranch_vccnz .LBB282_58
; %bb.56:
	s_wait_kmcnt 0x0
	s_clause 0x1
	s_load_b96 s[4:6], s[2:3], 0x4
	s_load_b64 s[0:1], s[2:3], 0xc4
	s_cmp_lt_u32 s30, 2
	s_wait_kmcnt 0x0
	v_mul_hi_u32 v6, s5, v1
	s_delay_alu instid0(VALU_DEP_1) | instskip(NEXT) | instid1(VALU_DEP_1)
	v_add_nc_u32_e32 v6, v1, v6
	v_lshrrev_b32_e32 v8, s6, v6
	s_delay_alu instid0(VALU_DEP_1) | instskip(NEXT) | instid1(VALU_DEP_1)
	v_mul_lo_u32 v6, v8, s4
	v_sub_nc_u32_e32 v1, v1, v6
	s_delay_alu instid0(VALU_DEP_1)
	v_mul_lo_u32 v7, v1, s1
	v_mul_lo_u32 v6, v1, s0
	s_cbranch_scc1 .LBB282_58
; %bb.57:
	s_clause 0x1
	s_load_b96 s[4:6], s[2:3], 0x10
	s_load_b64 s[0:1], s[2:3], 0xcc
	s_wait_kmcnt 0x0
	v_mul_hi_u32 v1, s5, v8
	s_delay_alu instid0(VALU_DEP_1) | instskip(NEXT) | instid1(VALU_DEP_1)
	v_add_nc_u32_e32 v1, v8, v1
	v_lshrrev_b32_e32 v1, s6, v1
	s_delay_alu instid0(VALU_DEP_1) | instskip(NEXT) | instid1(VALU_DEP_1)
	v_mul_lo_u32 v1, v1, s4
	v_sub_nc_u32_e32 v1, v8, v1
	s_delay_alu instid0(VALU_DEP_1)
	v_mad_u32 v6, v1, s0, v6
	v_mad_u32 v7, v1, s1, v7
.LBB282_58:
	v_cmp_ne_u32_e32 vcc_lo, 1, v14
	v_add_nc_u32_e32 v1, 0x180, v0
	s_cbranch_vccnz .LBB282_64
; %bb.59:
	s_cmp_lg_u32 s30, 0
	s_mov_b32 s8, 0
	s_cbranch_scc0 .LBB282_65
; %bb.60:
	s_min_u32 s1, s31, 15
	s_delay_alu instid0(SALU_CYCLE_1)
	s_add_co_i32 s1, s1, 1
	s_cmp_eq_u32 s31, 2
	s_cbranch_scc1 .LBB282_66
; %bb.61:
	v_dual_mov_b32 v8, 0 :: v_dual_mov_b32 v9, 0
	v_mov_b32_e32 v10, v1
	s_and_b32 s0, s1, 28
	s_wait_kmcnt 0x0
	s_add_nc_u64 s[4:5], s[2:3], 0xc4
	s_mov_b32 s9, 0
	s_mov_b64 s[6:7], s[2:3]
.LBB282_62:                             ; =>This Inner Loop Header: Depth=1
	s_clause 0x1
	s_load_b256 s[12:19], s[6:7], 0x4
	s_load_b128 s[36:39], s[6:7], 0x24
	s_load_b256 s[20:27], s[4:5], 0x0
	s_add_co_i32 s9, s9, 4
	s_wait_xcnt 0x0
	s_add_nc_u64 s[6:7], s[6:7], 48
	s_cmp_lg_u32 s0, s9
	s_add_nc_u64 s[4:5], s[4:5], 32
	s_wait_kmcnt 0x0
	v_mul_hi_u32 v11, s13, v10
	s_delay_alu instid0(VALU_DEP_1) | instskip(NEXT) | instid1(VALU_DEP_1)
	v_add_nc_u32_e32 v11, v10, v11
	v_lshrrev_b32_e32 v11, s14, v11
	s_delay_alu instid0(VALU_DEP_1) | instskip(NEXT) | instid1(VALU_DEP_1)
	v_mul_hi_u32 v12, s16, v11
	v_add_nc_u32_e32 v12, v11, v12
	s_delay_alu instid0(VALU_DEP_1) | instskip(NEXT) | instid1(VALU_DEP_1)
	v_lshrrev_b32_e32 v12, s17, v12
	v_mul_hi_u32 v13, s19, v12
	s_delay_alu instid0(VALU_DEP_1) | instskip(SKIP_1) | instid1(VALU_DEP_1)
	v_add_nc_u32_e32 v13, v12, v13
	v_mul_lo_u32 v15, v11, s12
	v_sub_nc_u32_e32 v10, v10, v15
	v_mul_lo_u32 v15, v12, s15
	s_delay_alu instid0(VALU_DEP_4) | instskip(NEXT) | instid1(VALU_DEP_3)
	v_lshrrev_b32_e32 v13, s36, v13
	v_mad_u32 v9, v10, s21, v9
	v_mad_u32 v8, v10, s20, v8
	s_delay_alu instid0(VALU_DEP_4) | instskip(NEXT) | instid1(VALU_DEP_4)
	v_sub_nc_u32_e32 v10, v11, v15
	v_mul_hi_u32 v17, s38, v13
	v_mul_lo_u32 v11, v13, s18
	s_delay_alu instid0(VALU_DEP_3) | instskip(SKIP_1) | instid1(VALU_DEP_3)
	v_mad_u32 v9, v10, s23, v9
	v_mad_u32 v8, v10, s22, v8
	v_dual_add_nc_u32 v15, v13, v17 :: v_dual_sub_nc_u32 v11, v12, v11
	s_delay_alu instid0(VALU_DEP_1) | instskip(NEXT) | instid1(VALU_DEP_2)
	v_lshrrev_b32_e32 v10, s39, v15
	v_mad_u32 v9, v11, s25, v9
	s_delay_alu instid0(VALU_DEP_4) | instskip(NEXT) | instid1(VALU_DEP_3)
	v_mad_u32 v8, v11, s24, v8
	v_mul_lo_u32 v12, v10, s37
	s_delay_alu instid0(VALU_DEP_1) | instskip(NEXT) | instid1(VALU_DEP_1)
	v_sub_nc_u32_e32 v11, v13, v12
	v_mad_u32 v9, v11, s27, v9
	s_delay_alu instid0(VALU_DEP_4)
	v_mad_u32 v8, v11, s26, v8
	s_cbranch_scc1 .LBB282_62
; %bb.63:
	s_and_b32 s6, s1, 3
	s_mov_b32 s1, 0
	s_cmp_eq_u32 s6, 0
	s_cbranch_scc0 .LBB282_67
	s_branch .LBB282_69
.LBB282_64:
	s_mov_b32 s8, -1
                                        ; implicit-def: $vgpr9
	s_branch .LBB282_69
.LBB282_65:
	v_dual_mov_b32 v9, 0 :: v_dual_mov_b32 v8, 0
	s_branch .LBB282_69
.LBB282_66:
	v_mov_b64_e32 v[8:9], 0
	v_mov_b32_e32 v10, v1
	s_mov_b32 s0, 0
	s_wait_kmcnt 0x0
	s_and_b32 s6, s1, 3
	s_mov_b32 s1, 0
	s_cmp_eq_u32 s6, 0
	s_cbranch_scc1 .LBB282_69
.LBB282_67:
	s_lshl_b32 s4, s0, 3
	s_mov_b32 s5, s1
	s_mul_u64 s[10:11], s[0:1], 12
	s_add_nc_u64 s[4:5], s[2:3], s[4:5]
	s_delay_alu instid0(SALU_CYCLE_1)
	s_add_nc_u64 s[0:1], s[4:5], 0xc4
	s_add_nc_u64 s[4:5], s[2:3], s[10:11]
.LBB282_68:                             ; =>This Inner Loop Header: Depth=1
	s_load_b96 s[12:14], s[4:5], 0x4
	s_load_b64 s[10:11], s[0:1], 0x0
	s_add_co_i32 s6, s6, -1
	s_wait_xcnt 0x0
	s_add_nc_u64 s[4:5], s[4:5], 12
	s_cmp_lg_u32 s6, 0
	s_add_nc_u64 s[0:1], s[0:1], 8
	s_wait_kmcnt 0x0
	v_mul_hi_u32 v11, s13, v10
	s_delay_alu instid0(VALU_DEP_1) | instskip(NEXT) | instid1(VALU_DEP_1)
	v_add_nc_u32_e32 v11, v10, v11
	v_lshrrev_b32_e32 v11, s14, v11
	s_delay_alu instid0(VALU_DEP_1) | instskip(NEXT) | instid1(VALU_DEP_1)
	v_mul_lo_u32 v12, v11, s12
	v_sub_nc_u32_e32 v10, v10, v12
	s_delay_alu instid0(VALU_DEP_1)
	v_mad_u32 v9, v10, s11, v9
	v_mad_u32 v8, v10, s10, v8
	v_mov_b32_e32 v10, v11
	s_cbranch_scc1 .LBB282_68
.LBB282_69:
	s_and_not1_b32 vcc_lo, exec_lo, s8
	s_cbranch_vccnz .LBB282_72
; %bb.70:
	s_wait_kmcnt 0x0
	s_clause 0x1
	s_load_b96 s[4:6], s[2:3], 0x4
	s_load_b64 s[0:1], s[2:3], 0xc4
	s_cmp_lt_u32 s30, 2
	s_wait_kmcnt 0x0
	v_mul_hi_u32 v8, s5, v1
	s_delay_alu instid0(VALU_DEP_1) | instskip(NEXT) | instid1(VALU_DEP_1)
	v_add_nc_u32_e32 v8, v1, v8
	v_lshrrev_b32_e32 v10, s6, v8
	s_delay_alu instid0(VALU_DEP_1) | instskip(NEXT) | instid1(VALU_DEP_1)
	v_mul_lo_u32 v8, v10, s4
	v_sub_nc_u32_e32 v1, v1, v8
	s_delay_alu instid0(VALU_DEP_1)
	v_mul_lo_u32 v9, v1, s1
	v_mul_lo_u32 v8, v1, s0
	s_cbranch_scc1 .LBB282_72
; %bb.71:
	s_clause 0x1
	s_load_b96 s[4:6], s[2:3], 0x10
	s_load_b64 s[0:1], s[2:3], 0xcc
	s_wait_kmcnt 0x0
	v_mul_hi_u32 v1, s5, v10
	s_delay_alu instid0(VALU_DEP_1) | instskip(NEXT) | instid1(VALU_DEP_1)
	v_add_nc_u32_e32 v1, v10, v1
	v_lshrrev_b32_e32 v1, s6, v1
	s_delay_alu instid0(VALU_DEP_1) | instskip(NEXT) | instid1(VALU_DEP_1)
	v_mul_lo_u32 v1, v1, s4
	v_sub_nc_u32_e32 v1, v10, v1
	s_delay_alu instid0(VALU_DEP_1)
	v_mad_u32 v8, v1, s0, v8
	v_mad_u32 v9, v1, s1, v9
.LBB282_72:
	v_cmp_ne_u32_e32 vcc_lo, 1, v14
	v_add_nc_u32_e32 v1, 0x200, v0
	s_cbranch_vccnz .LBB282_78
; %bb.73:
	s_cmp_lg_u32 s30, 0
	s_mov_b32 s8, 0
	s_cbranch_scc0 .LBB282_79
; %bb.74:
	s_min_u32 s1, s31, 15
	s_delay_alu instid0(SALU_CYCLE_1)
	s_add_co_i32 s1, s1, 1
	s_cmp_eq_u32 s31, 2
	s_cbranch_scc1 .LBB282_80
; %bb.75:
	v_dual_mov_b32 v10, 0 :: v_dual_mov_b32 v11, 0
	v_mov_b32_e32 v12, v1
	s_and_b32 s0, s1, 28
	s_wait_kmcnt 0x0
	s_add_nc_u64 s[4:5], s[2:3], 0xc4
	s_mov_b32 s9, 0
	s_mov_b64 s[6:7], s[2:3]
.LBB282_76:                             ; =>This Inner Loop Header: Depth=1
	s_clause 0x1
	s_load_b256 s[12:19], s[6:7], 0x4
	s_load_b128 s[36:39], s[6:7], 0x24
	s_load_b256 s[20:27], s[4:5], 0x0
	s_add_co_i32 s9, s9, 4
	s_wait_xcnt 0x0
	s_add_nc_u64 s[6:7], s[6:7], 48
	s_cmp_lg_u32 s0, s9
	s_add_nc_u64 s[4:5], s[4:5], 32
	s_wait_kmcnt 0x0
	v_mul_hi_u32 v13, s13, v12
	s_delay_alu instid0(VALU_DEP_1) | instskip(NEXT) | instid1(VALU_DEP_1)
	v_add_nc_u32_e32 v13, v12, v13
	v_lshrrev_b32_e32 v13, s14, v13
	s_delay_alu instid0(VALU_DEP_1) | instskip(NEXT) | instid1(VALU_DEP_1)
	v_mul_lo_u32 v18, v13, s12
	v_sub_nc_u32_e32 v12, v12, v18
	v_mul_hi_u32 v15, s16, v13
	s_delay_alu instid0(VALU_DEP_2) | instskip(SKIP_1) | instid1(VALU_DEP_3)
	v_mad_u32 v11, v12, s21, v11
	v_mad_u32 v10, v12, s20, v10
	v_add_nc_u32_e32 v15, v13, v15
	s_delay_alu instid0(VALU_DEP_1) | instskip(NEXT) | instid1(VALU_DEP_1)
	v_lshrrev_b32_e32 v15, s17, v15
	v_mul_hi_u32 v17, s19, v15
	v_mul_lo_u32 v18, v15, s15
	s_delay_alu instid0(VALU_DEP_1) | instskip(NEXT) | instid1(VALU_DEP_1)
	v_dual_add_nc_u32 v17, v15, v17 :: v_dual_sub_nc_u32 v12, v13, v18
	v_lshrrev_b32_e32 v17, s36, v17
	s_delay_alu instid0(VALU_DEP_2) | instskip(SKIP_1) | instid1(VALU_DEP_3)
	v_mad_u32 v11, v12, s23, v11
	v_mad_u32 v10, v12, s22, v10
	v_mul_hi_u32 v19, s38, v17
	v_mul_lo_u32 v13, v17, s18
	s_delay_alu instid0(VALU_DEP_1) | instskip(NEXT) | instid1(VALU_DEP_1)
	v_dual_add_nc_u32 v18, v17, v19 :: v_dual_sub_nc_u32 v13, v15, v13
	v_lshrrev_b32_e32 v12, s39, v18
	s_delay_alu instid0(VALU_DEP_2) | instskip(SKIP_1) | instid1(VALU_DEP_3)
	v_mad_u32 v11, v13, s25, v11
	v_mad_u32 v10, v13, s24, v10
	v_mul_lo_u32 v15, v12, s37
	s_delay_alu instid0(VALU_DEP_1) | instskip(NEXT) | instid1(VALU_DEP_1)
	v_sub_nc_u32_e32 v13, v17, v15
	v_mad_u32 v11, v13, s27, v11
	s_delay_alu instid0(VALU_DEP_4)
	v_mad_u32 v10, v13, s26, v10
	s_cbranch_scc1 .LBB282_76
; %bb.77:
	s_and_b32 s6, s1, 3
	s_mov_b32 s1, 0
	s_cmp_eq_u32 s6, 0
	s_cbranch_scc0 .LBB282_81
	s_branch .LBB282_83
.LBB282_78:
	s_mov_b32 s8, -1
                                        ; implicit-def: $vgpr11
	s_branch .LBB282_83
.LBB282_79:
	v_dual_mov_b32 v11, 0 :: v_dual_mov_b32 v10, 0
	s_branch .LBB282_83
.LBB282_80:
	v_mov_b64_e32 v[10:11], 0
	v_mov_b32_e32 v12, v1
	s_mov_b32 s0, 0
	s_wait_kmcnt 0x0
	s_and_b32 s6, s1, 3
	s_mov_b32 s1, 0
	s_cmp_eq_u32 s6, 0
	s_cbranch_scc1 .LBB282_83
.LBB282_81:
	s_lshl_b32 s4, s0, 3
	s_mov_b32 s5, s1
	s_mul_u64 s[10:11], s[0:1], 12
	s_add_nc_u64 s[4:5], s[2:3], s[4:5]
	s_delay_alu instid0(SALU_CYCLE_1)
	s_add_nc_u64 s[0:1], s[4:5], 0xc4
	s_add_nc_u64 s[4:5], s[2:3], s[10:11]
.LBB282_82:                             ; =>This Inner Loop Header: Depth=1
	s_load_b96 s[12:14], s[4:5], 0x4
	s_load_b64 s[10:11], s[0:1], 0x0
	s_add_co_i32 s6, s6, -1
	s_wait_xcnt 0x0
	s_add_nc_u64 s[4:5], s[4:5], 12
	s_cmp_lg_u32 s6, 0
	s_add_nc_u64 s[0:1], s[0:1], 8
	s_wait_kmcnt 0x0
	v_mul_hi_u32 v13, s13, v12
	s_delay_alu instid0(VALU_DEP_1) | instskip(NEXT) | instid1(VALU_DEP_1)
	v_add_nc_u32_e32 v13, v12, v13
	v_lshrrev_b32_e32 v13, s14, v13
	s_delay_alu instid0(VALU_DEP_1) | instskip(NEXT) | instid1(VALU_DEP_1)
	v_mul_lo_u32 v15, v13, s12
	v_sub_nc_u32_e32 v12, v12, v15
	s_delay_alu instid0(VALU_DEP_1)
	v_mad_u32 v11, v12, s11, v11
	v_mad_u32 v10, v12, s10, v10
	v_mov_b32_e32 v12, v13
	s_cbranch_scc1 .LBB282_82
.LBB282_83:
	s_and_not1_b32 vcc_lo, exec_lo, s8
	s_cbranch_vccnz .LBB282_86
; %bb.84:
	s_wait_kmcnt 0x0
	s_clause 0x1
	s_load_b96 s[4:6], s[2:3], 0x4
	s_load_b64 s[0:1], s[2:3], 0xc4
	s_cmp_lt_u32 s30, 2
	s_wait_kmcnt 0x0
	v_mul_hi_u32 v10, s5, v1
	s_delay_alu instid0(VALU_DEP_1) | instskip(NEXT) | instid1(VALU_DEP_1)
	v_add_nc_u32_e32 v10, v1, v10
	v_lshrrev_b32_e32 v12, s6, v10
	s_delay_alu instid0(VALU_DEP_1) | instskip(NEXT) | instid1(VALU_DEP_1)
	v_mul_lo_u32 v10, v12, s4
	v_sub_nc_u32_e32 v1, v1, v10
	s_delay_alu instid0(VALU_DEP_1)
	v_mul_lo_u32 v11, v1, s1
	v_mul_lo_u32 v10, v1, s0
	s_cbranch_scc1 .LBB282_86
; %bb.85:
	s_clause 0x1
	s_load_b96 s[4:6], s[2:3], 0x10
	s_load_b64 s[0:1], s[2:3], 0xcc
	s_wait_kmcnt 0x0
	v_mul_hi_u32 v1, s5, v12
	s_delay_alu instid0(VALU_DEP_1) | instskip(NEXT) | instid1(VALU_DEP_1)
	v_add_nc_u32_e32 v1, v12, v1
	v_lshrrev_b32_e32 v1, s6, v1
	s_delay_alu instid0(VALU_DEP_1) | instskip(NEXT) | instid1(VALU_DEP_1)
	v_mul_lo_u32 v1, v1, s4
	v_sub_nc_u32_e32 v1, v12, v1
	s_delay_alu instid0(VALU_DEP_1)
	v_mad_u32 v10, v1, s0, v10
	v_mad_u32 v11, v1, s1, v11
.LBB282_86:
	v_cmp_ne_u32_e32 vcc_lo, 1, v14
	v_add_nc_u32_e32 v1, 0x280, v0
	s_cbranch_vccnz .LBB282_92
; %bb.87:
	s_cmp_lg_u32 s30, 0
	s_mov_b32 s8, 0
	s_cbranch_scc0 .LBB282_93
; %bb.88:
	s_min_u32 s1, s31, 15
	s_delay_alu instid0(SALU_CYCLE_1)
	s_add_co_i32 s1, s1, 1
	s_cmp_eq_u32 s31, 2
	s_cbranch_scc1 .LBB282_94
; %bb.89:
	v_dual_mov_b32 v12, 0 :: v_dual_mov_b32 v13, 0
	v_mov_b32_e32 v15, v1
	s_and_b32 s0, s1, 28
	s_wait_kmcnt 0x0
	s_add_nc_u64 s[4:5], s[2:3], 0xc4
	s_mov_b32 s9, 0
	s_mov_b64 s[6:7], s[2:3]
.LBB282_90:                             ; =>This Inner Loop Header: Depth=1
	s_clause 0x1
	s_load_b256 s[12:19], s[6:7], 0x4
	s_load_b128 s[36:39], s[6:7], 0x24
	s_load_b256 s[20:27], s[4:5], 0x0
	s_add_co_i32 s9, s9, 4
	s_wait_xcnt 0x0
	s_add_nc_u64 s[6:7], s[6:7], 48
	s_cmp_lg_u32 s0, s9
	s_add_nc_u64 s[4:5], s[4:5], 32
	s_wait_kmcnt 0x0
	v_mul_hi_u32 v17, s13, v15
	s_delay_alu instid0(VALU_DEP_1) | instskip(NEXT) | instid1(VALU_DEP_1)
	v_add_nc_u32_e32 v17, v15, v17
	v_lshrrev_b32_e32 v17, s14, v17
	s_delay_alu instid0(VALU_DEP_1) | instskip(NEXT) | instid1(VALU_DEP_1)
	v_mul_hi_u32 v18, s16, v17
	v_add_nc_u32_e32 v18, v17, v18
	s_delay_alu instid0(VALU_DEP_1) | instskip(NEXT) | instid1(VALU_DEP_1)
	v_lshrrev_b32_e32 v18, s17, v18
	v_mul_hi_u32 v19, s19, v18
	s_delay_alu instid0(VALU_DEP_1) | instskip(SKIP_1) | instid1(VALU_DEP_1)
	v_add_nc_u32_e32 v19, v18, v19
	v_mul_lo_u32 v20, v17, s12
	v_sub_nc_u32_e32 v15, v15, v20
	v_mul_lo_u32 v20, v18, s15
	s_delay_alu instid0(VALU_DEP_4) | instskip(NEXT) | instid1(VALU_DEP_3)
	v_lshrrev_b32_e32 v19, s36, v19
	v_mad_u32 v13, v15, s21, v13
	v_mad_u32 v12, v15, s20, v12
	s_delay_alu instid0(VALU_DEP_4) | instskip(NEXT) | instid1(VALU_DEP_4)
	v_sub_nc_u32_e32 v15, v17, v20
	v_mul_hi_u32 v21, s38, v19
	v_mul_lo_u32 v17, v19, s18
	s_delay_alu instid0(VALU_DEP_3) | instskip(SKIP_1) | instid1(VALU_DEP_4)
	v_mad_u32 v13, v15, s23, v13
	v_mad_u32 v12, v15, s22, v12
	v_add_nc_u32_e32 v20, v19, v21
	s_delay_alu instid0(VALU_DEP_1) | instskip(NEXT) | instid1(VALU_DEP_1)
	v_dual_sub_nc_u32 v17, v18, v17 :: v_dual_lshrrev_b32 v15, s39, v20
	v_mad_u32 v13, v17, s25, v13
	s_delay_alu instid0(VALU_DEP_4) | instskip(NEXT) | instid1(VALU_DEP_3)
	v_mad_u32 v12, v17, s24, v12
	v_mul_lo_u32 v18, v15, s37
	s_delay_alu instid0(VALU_DEP_1) | instskip(NEXT) | instid1(VALU_DEP_1)
	v_sub_nc_u32_e32 v17, v19, v18
	v_mad_u32 v13, v17, s27, v13
	s_delay_alu instid0(VALU_DEP_4)
	v_mad_u32 v12, v17, s26, v12
	s_cbranch_scc1 .LBB282_90
; %bb.91:
	s_and_b32 s6, s1, 3
	s_mov_b32 s1, 0
	s_cmp_eq_u32 s6, 0
	s_cbranch_scc0 .LBB282_95
	s_branch .LBB282_97
.LBB282_92:
	s_mov_b32 s8, -1
                                        ; implicit-def: $vgpr13
	s_branch .LBB282_97
.LBB282_93:
	v_dual_mov_b32 v13, 0 :: v_dual_mov_b32 v12, 0
	s_branch .LBB282_97
.LBB282_94:
	v_mov_b64_e32 v[12:13], 0
	v_mov_b32_e32 v15, v1
	s_mov_b32 s0, 0
	s_wait_kmcnt 0x0
	s_and_b32 s6, s1, 3
	s_mov_b32 s1, 0
	s_cmp_eq_u32 s6, 0
	s_cbranch_scc1 .LBB282_97
.LBB282_95:
	s_lshl_b32 s4, s0, 3
	s_mov_b32 s5, s1
	s_mul_u64 s[10:11], s[0:1], 12
	s_add_nc_u64 s[4:5], s[2:3], s[4:5]
	s_delay_alu instid0(SALU_CYCLE_1)
	s_add_nc_u64 s[0:1], s[4:5], 0xc4
	s_add_nc_u64 s[4:5], s[2:3], s[10:11]
.LBB282_96:                             ; =>This Inner Loop Header: Depth=1
	s_load_b96 s[12:14], s[4:5], 0x4
	s_load_b64 s[10:11], s[0:1], 0x0
	s_add_co_i32 s6, s6, -1
	s_wait_xcnt 0x0
	s_add_nc_u64 s[4:5], s[4:5], 12
	s_cmp_lg_u32 s6, 0
	s_add_nc_u64 s[0:1], s[0:1], 8
	s_wait_kmcnt 0x0
	v_mul_hi_u32 v17, s13, v15
	s_delay_alu instid0(VALU_DEP_1) | instskip(NEXT) | instid1(VALU_DEP_1)
	v_add_nc_u32_e32 v17, v15, v17
	v_lshrrev_b32_e32 v17, s14, v17
	s_delay_alu instid0(VALU_DEP_1) | instskip(NEXT) | instid1(VALU_DEP_1)
	v_mul_lo_u32 v18, v17, s12
	v_sub_nc_u32_e32 v15, v15, v18
	s_delay_alu instid0(VALU_DEP_1)
	v_mad_u32 v13, v15, s11, v13
	v_mad_u32 v12, v15, s10, v12
	v_mov_b32_e32 v15, v17
	s_cbranch_scc1 .LBB282_96
.LBB282_97:
	s_and_not1_b32 vcc_lo, exec_lo, s8
	s_cbranch_vccnz .LBB282_100
; %bb.98:
	s_wait_kmcnt 0x0
	s_clause 0x1
	s_load_b96 s[4:6], s[2:3], 0x4
	s_load_b64 s[0:1], s[2:3], 0xc4
	s_cmp_lt_u32 s30, 2
	s_wait_kmcnt 0x0
	v_mul_hi_u32 v12, s5, v1
	s_delay_alu instid0(VALU_DEP_1) | instskip(NEXT) | instid1(VALU_DEP_1)
	v_add_nc_u32_e32 v12, v1, v12
	v_lshrrev_b32_e32 v15, s6, v12
	s_delay_alu instid0(VALU_DEP_1) | instskip(NEXT) | instid1(VALU_DEP_1)
	v_mul_lo_u32 v12, v15, s4
	v_sub_nc_u32_e32 v1, v1, v12
	s_delay_alu instid0(VALU_DEP_1)
	v_mul_lo_u32 v13, v1, s1
	v_mul_lo_u32 v12, v1, s0
	s_cbranch_scc1 .LBB282_100
; %bb.99:
	s_clause 0x1
	s_load_b96 s[4:6], s[2:3], 0x10
	s_load_b64 s[0:1], s[2:3], 0xcc
	s_wait_kmcnt 0x0
	v_mul_hi_u32 v1, s5, v15
	s_delay_alu instid0(VALU_DEP_1) | instskip(NEXT) | instid1(VALU_DEP_1)
	v_add_nc_u32_e32 v1, v15, v1
	v_lshrrev_b32_e32 v1, s6, v1
	s_delay_alu instid0(VALU_DEP_1) | instskip(NEXT) | instid1(VALU_DEP_1)
	v_mul_lo_u32 v1, v1, s4
	v_sub_nc_u32_e32 v1, v15, v1
	s_delay_alu instid0(VALU_DEP_1)
	v_mad_u32 v12, v1, s0, v12
	v_mad_u32 v13, v1, s1, v13
.LBB282_100:
	v_cmp_ne_u32_e32 vcc_lo, 1, v14
	v_add_nc_u32_e32 v15, 0x300, v0
	s_cbranch_vccnz .LBB282_106
; %bb.101:
	s_cmp_lg_u32 s30, 0
	s_mov_b32 s8, 0
	s_cbranch_scc0 .LBB282_107
; %bb.102:
	s_min_u32 s1, s31, 15
	s_delay_alu instid0(SALU_CYCLE_1)
	s_add_co_i32 s1, s1, 1
	s_cmp_eq_u32 s31, 2
	s_cbranch_scc1 .LBB282_108
; %bb.103:
	v_dual_mov_b32 v0, 0 :: v_dual_mov_b32 v1, 0
	v_mov_b32_e32 v17, v15
	s_and_b32 s0, s1, 28
	s_wait_kmcnt 0x0
	s_add_nc_u64 s[4:5], s[2:3], 0xc4
	s_mov_b32 s9, 0
	s_mov_b64 s[6:7], s[2:3]
.LBB282_104:                            ; =>This Inner Loop Header: Depth=1
	s_clause 0x1
	s_load_b256 s[12:19], s[6:7], 0x4
	s_load_b128 s[36:39], s[6:7], 0x24
	s_load_b256 s[20:27], s[4:5], 0x0
	s_add_co_i32 s9, s9, 4
	s_wait_xcnt 0x0
	s_add_nc_u64 s[6:7], s[6:7], 48
	s_cmp_lg_u32 s0, s9
	s_add_nc_u64 s[4:5], s[4:5], 32
	s_wait_kmcnt 0x0
	v_mul_hi_u32 v18, s13, v17
	s_delay_alu instid0(VALU_DEP_1) | instskip(NEXT) | instid1(VALU_DEP_1)
	v_add_nc_u32_e32 v18, v17, v18
	v_lshrrev_b32_e32 v18, s14, v18
	s_delay_alu instid0(VALU_DEP_1) | instskip(NEXT) | instid1(VALU_DEP_1)
	v_mul_hi_u32 v19, s16, v18
	v_add_nc_u32_e32 v19, v18, v19
	s_delay_alu instid0(VALU_DEP_1) | instskip(NEXT) | instid1(VALU_DEP_1)
	v_lshrrev_b32_e32 v19, s17, v19
	v_mul_hi_u32 v20, s19, v19
	s_delay_alu instid0(VALU_DEP_1) | instskip(SKIP_1) | instid1(VALU_DEP_1)
	v_add_nc_u32_e32 v20, v19, v20
	v_mul_lo_u32 v21, v18, s12
	v_sub_nc_u32_e32 v17, v17, v21
	v_mul_lo_u32 v21, v19, s15
	s_delay_alu instid0(VALU_DEP_4) | instskip(NEXT) | instid1(VALU_DEP_3)
	v_lshrrev_b32_e32 v20, s36, v20
	v_mad_u32 v1, v17, s21, v1
	v_mad_u32 v0, v17, s20, v0
	s_delay_alu instid0(VALU_DEP_4) | instskip(NEXT) | instid1(VALU_DEP_4)
	v_sub_nc_u32_e32 v17, v18, v21
	v_mul_hi_u32 v22, s38, v20
	v_mul_lo_u32 v18, v20, s18
	s_delay_alu instid0(VALU_DEP_3) | instskip(SKIP_1) | instid1(VALU_DEP_4)
	v_mad_u32 v1, v17, s23, v1
	v_mad_u32 v0, v17, s22, v0
	v_add_nc_u32_e32 v21, v20, v22
	s_delay_alu instid0(VALU_DEP_1) | instskip(NEXT) | instid1(VALU_DEP_1)
	v_dual_sub_nc_u32 v18, v19, v18 :: v_dual_lshrrev_b32 v17, s39, v21
	v_mad_u32 v1, v18, s25, v1
	s_delay_alu instid0(VALU_DEP_4) | instskip(NEXT) | instid1(VALU_DEP_3)
	v_mad_u32 v0, v18, s24, v0
	v_mul_lo_u32 v19, v17, s37
	s_delay_alu instid0(VALU_DEP_1) | instskip(NEXT) | instid1(VALU_DEP_1)
	v_sub_nc_u32_e32 v18, v20, v19
	v_mad_u32 v1, v18, s27, v1
	s_delay_alu instid0(VALU_DEP_4)
	v_mad_u32 v0, v18, s26, v0
	s_cbranch_scc1 .LBB282_104
; %bb.105:
	s_and_b32 s6, s1, 3
	s_mov_b32 s1, 0
	s_cmp_eq_u32 s6, 0
	s_cbranch_scc0 .LBB282_109
	s_branch .LBB282_111
.LBB282_106:
	s_mov_b32 s8, -1
                                        ; implicit-def: $vgpr1
	s_branch .LBB282_111
.LBB282_107:
	v_dual_mov_b32 v1, 0 :: v_dual_mov_b32 v0, 0
	s_branch .LBB282_111
.LBB282_108:
	v_mov_b64_e32 v[0:1], 0
	v_mov_b32_e32 v17, v15
	s_mov_b32 s0, 0
	s_wait_kmcnt 0x0
	s_and_b32 s6, s1, 3
	s_mov_b32 s1, 0
	s_cmp_eq_u32 s6, 0
	s_cbranch_scc1 .LBB282_111
.LBB282_109:
	s_lshl_b32 s4, s0, 3
	s_mov_b32 s5, s1
	s_mul_u64 s[10:11], s[0:1], 12
	s_add_nc_u64 s[4:5], s[2:3], s[4:5]
	s_delay_alu instid0(SALU_CYCLE_1)
	s_add_nc_u64 s[0:1], s[4:5], 0xc4
	s_add_nc_u64 s[4:5], s[2:3], s[10:11]
.LBB282_110:                            ; =>This Inner Loop Header: Depth=1
	s_load_b96 s[12:14], s[4:5], 0x4
	s_load_b64 s[10:11], s[0:1], 0x0
	s_add_co_i32 s6, s6, -1
	s_wait_xcnt 0x0
	s_add_nc_u64 s[4:5], s[4:5], 12
	s_cmp_lg_u32 s6, 0
	s_add_nc_u64 s[0:1], s[0:1], 8
	s_wait_kmcnt 0x0
	v_mul_hi_u32 v18, s13, v17
	s_delay_alu instid0(VALU_DEP_1) | instskip(NEXT) | instid1(VALU_DEP_1)
	v_add_nc_u32_e32 v18, v17, v18
	v_lshrrev_b32_e32 v18, s14, v18
	s_delay_alu instid0(VALU_DEP_1) | instskip(NEXT) | instid1(VALU_DEP_1)
	v_mul_lo_u32 v19, v18, s12
	v_sub_nc_u32_e32 v17, v17, v19
	s_delay_alu instid0(VALU_DEP_1)
	v_mad_u32 v1, v17, s11, v1
	v_mad_u32 v0, v17, s10, v0
	v_mov_b32_e32 v17, v18
	s_cbranch_scc1 .LBB282_110
.LBB282_111:
	s_and_not1_b32 vcc_lo, exec_lo, s8
	s_cbranch_vccnz .LBB282_114
; %bb.112:
	s_wait_kmcnt 0x0
	s_clause 0x1
	s_load_b96 s[4:6], s[2:3], 0x4
	s_load_b64 s[0:1], s[2:3], 0xc4
	s_cmp_lt_u32 s30, 2
	s_wait_kmcnt 0x0
	v_mul_hi_u32 v0, s5, v15
	s_delay_alu instid0(VALU_DEP_1) | instskip(NEXT) | instid1(VALU_DEP_1)
	v_add_nc_u32_e32 v0, v15, v0
	v_lshrrev_b32_e32 v17, s6, v0
	s_delay_alu instid0(VALU_DEP_1) | instskip(NEXT) | instid1(VALU_DEP_1)
	v_mul_lo_u32 v0, v17, s4
	v_sub_nc_u32_e32 v0, v15, v0
	s_delay_alu instid0(VALU_DEP_1)
	v_mul_lo_u32 v1, v0, s1
	v_mul_lo_u32 v0, v0, s0
	s_cbranch_scc1 .LBB282_114
; %bb.113:
	s_clause 0x1
	s_load_b96 s[4:6], s[2:3], 0x10
	s_load_b64 s[0:1], s[2:3], 0xcc
	s_wait_kmcnt 0x0
	v_mul_hi_u32 v15, s5, v17
	s_delay_alu instid0(VALU_DEP_1) | instskip(NEXT) | instid1(VALU_DEP_1)
	v_add_nc_u32_e32 v15, v17, v15
	v_lshrrev_b32_e32 v15, s6, v15
	s_delay_alu instid0(VALU_DEP_1) | instskip(NEXT) | instid1(VALU_DEP_1)
	v_mul_lo_u32 v15, v15, s4
	v_sub_nc_u32_e32 v15, v17, v15
	s_delay_alu instid0(VALU_DEP_1)
	v_mad_u32 v0, v15, s0, v0
	v_mad_u32 v1, v15, s1, v1
.LBB282_114:
	v_cmp_ne_u32_e32 vcc_lo, 1, v14
	s_cbranch_vccnz .LBB282_120
; %bb.115:
	s_cmp_lg_u32 s30, 0
	s_mov_b32 s8, 0
	s_cbranch_scc0 .LBB282_121
; %bb.116:
	s_min_u32 s1, s31, 15
	s_delay_alu instid0(SALU_CYCLE_1)
	s_add_co_i32 s1, s1, 1
	s_cmp_eq_u32 s31, 2
	s_cbranch_scc1 .LBB282_122
; %bb.117:
	v_dual_mov_b32 v14, 0 :: v_dual_mov_b32 v15, 0
	v_mov_b32_e32 v17, v16
	s_and_b32 s0, s1, 28
	s_wait_kmcnt 0x0
	s_add_nc_u64 s[4:5], s[2:3], 0xc4
	s_mov_b32 s9, 0
	s_mov_b64 s[6:7], s[2:3]
.LBB282_118:                            ; =>This Inner Loop Header: Depth=1
	s_clause 0x1
	s_load_b256 s[12:19], s[6:7], 0x4
	s_load_b128 s[36:39], s[6:7], 0x24
	s_load_b256 s[20:27], s[4:5], 0x0
	s_add_co_i32 s9, s9, 4
	s_wait_xcnt 0x0
	s_add_nc_u64 s[6:7], s[6:7], 48
	s_cmp_lg_u32 s0, s9
	s_add_nc_u64 s[4:5], s[4:5], 32
	s_wait_kmcnt 0x0
	v_mul_hi_u32 v18, s13, v17
	s_delay_alu instid0(VALU_DEP_1) | instskip(NEXT) | instid1(VALU_DEP_1)
	v_add_nc_u32_e32 v18, v17, v18
	v_lshrrev_b32_e32 v18, s14, v18
	s_delay_alu instid0(VALU_DEP_1) | instskip(NEXT) | instid1(VALU_DEP_1)
	v_mul_hi_u32 v19, s16, v18
	v_add_nc_u32_e32 v19, v18, v19
	s_delay_alu instid0(VALU_DEP_1) | instskip(NEXT) | instid1(VALU_DEP_1)
	v_lshrrev_b32_e32 v19, s17, v19
	v_mul_hi_u32 v20, s19, v19
	s_delay_alu instid0(VALU_DEP_1) | instskip(SKIP_1) | instid1(VALU_DEP_1)
	v_add_nc_u32_e32 v20, v19, v20
	v_mul_lo_u32 v21, v18, s12
	v_sub_nc_u32_e32 v17, v17, v21
	v_mul_lo_u32 v21, v19, s15
	s_delay_alu instid0(VALU_DEP_4) | instskip(NEXT) | instid1(VALU_DEP_3)
	v_lshrrev_b32_e32 v20, s36, v20
	v_mad_u32 v15, v17, s21, v15
	v_mad_u32 v14, v17, s20, v14
	s_delay_alu instid0(VALU_DEP_4) | instskip(NEXT) | instid1(VALU_DEP_4)
	v_sub_nc_u32_e32 v17, v18, v21
	v_mul_hi_u32 v22, s38, v20
	v_mul_lo_u32 v18, v20, s18
	s_delay_alu instid0(VALU_DEP_3) | instskip(SKIP_1) | instid1(VALU_DEP_4)
	v_mad_u32 v15, v17, s23, v15
	v_mad_u32 v14, v17, s22, v14
	v_add_nc_u32_e32 v21, v20, v22
	s_delay_alu instid0(VALU_DEP_1) | instskip(NEXT) | instid1(VALU_DEP_1)
	v_dual_sub_nc_u32 v18, v19, v18 :: v_dual_lshrrev_b32 v17, s39, v21
	v_mad_u32 v15, v18, s25, v15
	s_delay_alu instid0(VALU_DEP_4) | instskip(NEXT) | instid1(VALU_DEP_3)
	v_mad_u32 v14, v18, s24, v14
	v_mul_lo_u32 v19, v17, s37
	s_delay_alu instid0(VALU_DEP_1) | instskip(NEXT) | instid1(VALU_DEP_1)
	v_sub_nc_u32_e32 v18, v20, v19
	v_mad_u32 v15, v18, s27, v15
	s_delay_alu instid0(VALU_DEP_4)
	v_mad_u32 v14, v18, s26, v14
	s_cbranch_scc1 .LBB282_118
; %bb.119:
	s_and_b32 s6, s1, 3
	s_mov_b32 s1, 0
	s_cmp_eq_u32 s6, 0
	s_cbranch_scc0 .LBB282_123
	s_branch .LBB282_125
.LBB282_120:
	s_mov_b32 s8, -1
                                        ; implicit-def: $vgpr15
	s_branch .LBB282_125
.LBB282_121:
	v_dual_mov_b32 v15, 0 :: v_dual_mov_b32 v14, 0
	s_branch .LBB282_125
.LBB282_122:
	v_mov_b64_e32 v[14:15], 0
	v_mov_b32_e32 v17, v16
	s_mov_b32 s0, 0
	s_wait_kmcnt 0x0
	s_and_b32 s6, s1, 3
	s_mov_b32 s1, 0
	s_cmp_eq_u32 s6, 0
	s_cbranch_scc1 .LBB282_125
.LBB282_123:
	s_lshl_b32 s4, s0, 3
	s_mov_b32 s5, s1
	s_mul_u64 s[10:11], s[0:1], 12
	s_add_nc_u64 s[4:5], s[2:3], s[4:5]
	s_delay_alu instid0(SALU_CYCLE_1)
	s_add_nc_u64 s[0:1], s[4:5], 0xc4
	s_add_nc_u64 s[4:5], s[2:3], s[10:11]
.LBB282_124:                            ; =>This Inner Loop Header: Depth=1
	s_load_b96 s[12:14], s[4:5], 0x4
	s_load_b64 s[10:11], s[0:1], 0x0
	s_add_co_i32 s6, s6, -1
	s_wait_xcnt 0x0
	s_add_nc_u64 s[4:5], s[4:5], 12
	s_cmp_lg_u32 s6, 0
	s_add_nc_u64 s[0:1], s[0:1], 8
	s_wait_kmcnt 0x0
	v_mul_hi_u32 v18, s13, v17
	s_delay_alu instid0(VALU_DEP_1) | instskip(NEXT) | instid1(VALU_DEP_1)
	v_add_nc_u32_e32 v18, v17, v18
	v_lshrrev_b32_e32 v18, s14, v18
	s_delay_alu instid0(VALU_DEP_1) | instskip(NEXT) | instid1(VALU_DEP_1)
	v_mul_lo_u32 v19, v18, s12
	v_sub_nc_u32_e32 v17, v17, v19
	s_delay_alu instid0(VALU_DEP_1)
	v_mad_u32 v15, v17, s11, v15
	v_mad_u32 v14, v17, s10, v14
	v_mov_b32_e32 v17, v18
	s_cbranch_scc1 .LBB282_124
.LBB282_125:
	s_and_not1_b32 vcc_lo, exec_lo, s8
	s_cbranch_vccnz .LBB282_128
; %bb.126:
	s_wait_kmcnt 0x0
	s_clause 0x1
	s_load_b96 s[4:6], s[2:3], 0x4
	s_load_b64 s[0:1], s[2:3], 0xc4
	s_cmp_lt_u32 s30, 2
	s_wait_kmcnt 0x0
	v_mul_hi_u32 v14, s5, v16
	s_delay_alu instid0(VALU_DEP_1) | instskip(NEXT) | instid1(VALU_DEP_1)
	v_add_nc_u32_e32 v14, v16, v14
	v_lshrrev_b32_e32 v17, s6, v14
	s_delay_alu instid0(VALU_DEP_1) | instskip(NEXT) | instid1(VALU_DEP_1)
	v_mul_lo_u32 v14, v17, s4
	v_sub_nc_u32_e32 v14, v16, v14
	s_delay_alu instid0(VALU_DEP_1)
	v_mul_lo_u32 v15, v14, s1
	v_mul_lo_u32 v14, v14, s0
	s_cbranch_scc1 .LBB282_128
; %bb.127:
	s_clause 0x1
	s_load_b96 s[4:6], s[2:3], 0x10
	s_load_b64 s[0:1], s[2:3], 0xcc
	s_wait_kmcnt 0x0
	v_mul_hi_u32 v16, s5, v17
	s_delay_alu instid0(VALU_DEP_1) | instskip(NEXT) | instid1(VALU_DEP_1)
	v_add_nc_u32_e32 v16, v17, v16
	v_lshrrev_b32_e32 v16, s6, v16
	s_delay_alu instid0(VALU_DEP_1) | instskip(NEXT) | instid1(VALU_DEP_1)
	v_mul_lo_u32 v16, v16, s4
	v_sub_nc_u32_e32 v16, v17, v16
	s_delay_alu instid0(VALU_DEP_1)
	v_mad_u32 v14, v16, s0, v14
	v_mad_u32 v15, v16, s1, v15
.LBB282_128:
	s_wait_kmcnt 0x0
	s_clause 0x1
	s_load_b128 s[4:7], s[2:3], 0x148
	s_load_b64 s[0:1], s[2:3], 0x158
	s_wait_kmcnt 0x0
	s_clause 0x7
	global_load_u8 v16, v3, s[6:7]
	global_load_u8 v17, v5, s[6:7]
	;; [unrolled: 1-line block ×8, first 2 shown]
	s_cmp_eq_u32 s0, 0
	s_cselect_b32 vcc_lo, -1, 0
	s_lshl_b32 s0, s1, 24
	s_delay_alu instid0(SALU_CYCLE_1)
	s_and_b32 s1, s0, 0x7f000000
	s_and_b32 s0, s0, 0x80000000
	s_clz_i32_u32 s2, s1
	s_add_co_i32 s3, s1, 0x1000000
	s_min_u32 s2, s2, 32
	s_ashr_i32 s3, s3, 8
	s_wait_xcnt 0x1
	v_sub_nc_u32_e64 v1, s2, 4 clamp
	s_and_b32 s3, s3, 0x7f800000
	s_delay_alu instid0(VALU_DEP_1) | instskip(SKIP_4) | instid1(SALU_CYCLE_1)
	v_readfirstlane_b32 s2, v1
	s_wait_xcnt 0x0
	s_lshl_b32 s6, s1, s2
	s_lshl_b32 s2, s2, 23
	s_lshr_b32 s6, s6, 4
	s_sub_co_i32 s2, s6, s2
	s_delay_alu instid0(SALU_CYCLE_1) | instskip(NEXT) | instid1(SALU_CYCLE_1)
	s_add_co_i32 s2, s2, 0x3c000000
	s_or_b32 s2, s2, s3
	s_cmp_lg_u32 s1, 0
	s_cselect_b32 s1, s2, 0
	s_delay_alu instid0(SALU_CYCLE_1)
	s_or_b32 s1, s1, s0
	s_wait_loadcnt 0x6
	v_dual_lshlrev_b32 v1, 24, v16 :: v_dual_lshlrev_b32 v3, 24, v17
	s_wait_loadcnt 0x4
	v_dual_lshlrev_b32 v5, 24, v18 :: v_dual_lshlrev_b32 v7, 24, v19
	;; [unrolled: 2-line block ×3, first 2 shown]
	v_and_b32_e32 v16, 0x7f000000, v1
	v_and_b32_e32 v17, 0x7f000000, v3
	;; [unrolled: 1-line block ×5, first 2 shown]
	v_clz_i32_u32_e32 v24, v16
	v_clz_i32_u32_e32 v26, v17
	;; [unrolled: 1-line block ×4, first 2 shown]
	s_wait_loadcnt 0x0
	v_dual_lshlrev_b32 v13, 24, v22 :: v_dual_lshlrev_b32 v15, 24, v23
	v_min_u32_e32 v24, 32, v24
	v_min_u32_e32 v26, 32, v26
	;; [unrolled: 1-line block ×3, first 2 shown]
	v_and_b32_e32 v21, 0x7f000000, v11
	v_clz_i32_u32_e32 v32, v20
	v_sub_nc_u32_e64 v24, v24, 4 clamp
	v_sub_nc_u32_e64 v26, v26, 4 clamp
	v_min_u32_e32 v30, 32, v30
	v_sub_nc_u32_e64 v28, v28, 4 clamp
	v_and_b32_e32 v22, 0x7f000000, v13
	s_delay_alu instid0(VALU_DEP_4) | instskip(SKIP_2) | instid1(VALU_DEP_3)
	v_dual_lshlrev_b32 v40, v24, v16 :: v_dual_lshlrev_b32 v41, v26, v17
	v_dual_lshlrev_b32 v24, 23, v24 :: v_dual_lshlrev_b32 v26, 23, v26
	v_add_nc_u32_e32 v25, 0x1000000, v16
	v_dual_lshrrev_b32 v40, 4, v40 :: v_dual_lshrrev_b32 v41, 4, v41
	v_clz_i32_u32_e32 v34, v21
	v_min_u32_e32 v32, 32, v32
	v_sub_nc_u32_e64 v30, v30, 4 clamp
	v_dual_lshlrev_b32 v42, v28, v18 :: v_dual_lshlrev_b32 v28, 23, v28
	v_dual_sub_nc_u32 v24, v40, v24 :: v_dual_sub_nc_u32 v26, v41, v26
	v_and_b32_e32 v23, 0x7f000000, v15
	v_add_nc_u32_e32 v27, 0x1000000, v17
	v_clz_i32_u32_e32 v36, v22
	v_ashrrev_i32_e32 v25, 8, v25
	v_min_u32_e32 v34, 32, v34
	v_sub_nc_u32_e64 v32, v32, 4 clamp
	v_dual_lshlrev_b32 v43, v30, v19 :: v_dual_lshlrev_b32 v30, 23, v30
	v_lshrrev_b32_e32 v42, 4, v42
	v_add_nc_u32_e32 v24, 0x3c000000, v24
	v_add_nc_u32_e32 v29, 0x1000000, v18
	v_clz_i32_u32_e32 v38, v23
	v_ashrrev_i32_e32 v27, 8, v27
	v_min_u32_e32 v36, 32, v36
	v_sub_nc_u32_e64 v34, v34, 4 clamp
	v_dual_lshlrev_b32 v44, v32, v20 :: v_dual_lshrrev_b32 v43, 4, v43
	v_sub_nc_u32_e32 v28, v42, v28
	v_add_nc_u32_e32 v26, 0x3c000000, v26
	v_and_or_b32 v24, 0x7f800000, v25, v24
	v_cmp_ne_u32_e64 s0, 0, v16
	v_add_nc_u32_e32 v31, 0x1000000, v19
	v_ashrrev_i32_e32 v29, 8, v29
	v_min_u32_e32 v38, 32, v38
	v_sub_nc_u32_e64 v36, v36, 4 clamp
	v_dual_lshlrev_b32 v32, 23, v32 :: v_dual_lshlrev_b32 v45, v34, v21
	v_dual_lshrrev_b32 v44, 4, v44 :: v_dual_sub_nc_u32 v30, v43, v30
	v_add_nc_u32_e32 v28, 0x3c000000, v28
	v_and_or_b32 v25, 0x7f800000, v27, v26
	v_cndmask_b32_e64 v16, 0, v24, s0
	v_cmp_ne_u32_e64 s0, 0, v17
	v_add_nc_u32_e32 v33, 0x1000000, v20
	v_ashrrev_i32_e32 v31, 8, v31
	v_sub_nc_u32_e64 v38, v38, 4 clamp
	v_lshlrev_b32_e32 v34, 23, v34
	v_dual_lshlrev_b32 v46, v36, v22 :: v_dual_lshlrev_b32 v36, 23, v36
	v_dual_lshrrev_b32 v45, 4, v45 :: v_dual_sub_nc_u32 v32, v44, v32
	v_add_nc_u32_e32 v30, 0x3c000000, v30
	v_and_or_b32 v26, 0x7f800000, v29, v28
	v_cndmask_b32_e64 v17, 0, v25, s0
	v_cmp_ne_u32_e64 s0, 0, v18
	v_add_nc_u32_e32 v35, 0x1000000, v21
	v_dual_ashrrev_i32 v33, 8, v33 :: v_dual_lshlrev_b32 v47, v38, v23
	v_lshlrev_b32_e32 v38, 23, v38
	v_lshrrev_b32_e32 v46, 4, v46
	v_sub_nc_u32_e32 v34, v45, v34
	v_add_nc_u32_e32 v32, 0x3c000000, v32
	v_and_or_b32 v27, 0x7f800000, v31, v30
	v_cndmask_b32_e64 v18, 0, v26, s0
	v_cmp_ne_u32_e64 s0, 0, v19
	v_add_nc_u32_e32 v37, 0x1000000, v22
	v_ashrrev_i32_e32 v35, 8, v35
	v_dual_lshrrev_b32 v47, 4, v47 :: v_dual_sub_nc_u32 v36, v46, v36
	v_add_nc_u32_e32 v34, 0x3c000000, v34
	v_and_or_b32 v28, 0x7f800000, v33, v32
	v_cndmask_b32_e64 v19, 0, v27, s0
	v_cmp_ne_u32_e64 s0, 0, v20
	v_add_nc_u32_e32 v39, 0x1000000, v23
	v_dual_ashrrev_i32 v37, 8, v37 :: v_dual_sub_nc_u32 v38, v47, v38
	v_add_nc_u32_e32 v36, 0x3c000000, v36
	v_and_or_b32 v29, 0x7f800000, v35, v34
	v_cndmask_b32_e64 v20, 0, v28, s0
	v_cmp_ne_u32_e64 s0, 0, v21
	v_ashrrev_i32_e32 v39, 8, v39
	v_add_nc_u32_e32 v38, 0x3c000000, v38
	v_and_or_b32 v30, 0x7f800000, v37, v36
	v_and_or_b32 v1, 0x80000000, v1, v16
	v_cndmask_b32_e64 v21, 0, v29, s0
	v_cmp_ne_u32_e64 s0, 0, v22
	v_and_or_b32 v31, 0x7f800000, v39, v38
	v_and_or_b32 v3, 0x80000000, v3, v17
	v_and_or_b32 v5, 0x80000000, v5, v18
	v_and_or_b32 v7, 0x80000000, v7, v19
	v_cndmask_b32_e64 v22, 0, v30, s0
	v_cmp_ne_u32_e64 s0, 0, v23
	v_and_or_b32 v9, 0x80000000, v9, v20
	v_and_or_b32 v11, 0x80000000, v11, v21
	s_delay_alu instid0(VALU_DEP_3) | instskip(SKIP_2) | instid1(VALU_DEP_3)
	v_cndmask_b32_e64 v23, 0, v31, s0
	v_cmp_eq_f32_e64 s0, s1, v1
	v_and_or_b32 v13, 0x80000000, v13, v22
	v_and_or_b32 v15, 0x80000000, v15, v23
	s_delay_alu instid0(VALU_DEP_3) | instskip(SKIP_1) | instid1(VALU_DEP_1)
	v_cndmask_b32_e64 v16, 0, 1, s0
	v_cmp_neq_f32_e64 s0, s1, v1
	v_cndmask_b32_e64 v1, 0, 1, s0
	v_cmp_eq_f32_e64 s0, s1, v3
	s_delay_alu instid0(VALU_DEP_2) | instskip(NEXT) | instid1(VALU_DEP_2)
	v_cndmask_b32_e32 v1, v1, v16, vcc_lo
	v_cndmask_b32_e64 v17, 0, 1, s0
	v_cmp_neq_f32_e64 s0, s1, v3
	s_delay_alu instid0(VALU_DEP_3) | instskip(NEXT) | instid1(VALU_DEP_2)
	v_and_b32_e32 v1, 1, v1
	v_cndmask_b32_e64 v3, 0, 1, s0
	v_cmp_eq_f32_e64 s0, s1, v5
	s_delay_alu instid0(VALU_DEP_2) | instskip(NEXT) | instid1(VALU_DEP_2)
	v_cndmask_b32_e32 v3, v3, v17, vcc_lo
	v_cndmask_b32_e64 v18, 0, 1, s0
	v_cmp_neq_f32_e64 s0, s1, v5
	s_delay_alu instid0(VALU_DEP_3) | instskip(NEXT) | instid1(VALU_DEP_2)
	v_and_b32_e32 v3, 1, v3
	;; [unrolled: 8-line block ×7, first 2 shown]
	v_cndmask_b32_e64 v15, 0, 1, s0
	s_delay_alu instid0(VALU_DEP_1) | instskip(NEXT) | instid1(VALU_DEP_1)
	v_cndmask_b32_e32 v15, v15, v23, vcc_lo
	v_and_b32_e32 v15, 1, v15
	s_clause 0x7
	global_store_b8 v2, v1, s[4:5]
	global_store_b8 v4, v3, s[4:5]
	;; [unrolled: 1-line block ×8, first 2 shown]
	s_endpgm
.LBB282_129:
	v_dual_mov_b32 v3, 0 :: v_dual_mov_b32 v2, 0
	s_branch .LBB282_135
.LBB282_130:
	v_dual_mov_b32 v3, 0 :: v_dual_mov_b32 v2, 0
	s_branch .LBB282_151
.LBB282_131:
	v_mov_b64_e32 v[2:3], 0
	v_mov_b32_e32 v1, v0
	s_mov_b32 s24, 0
.LBB282_132:
	s_and_b32 s28, s25, 3
	s_mov_b32 s25, 0
	s_cmp_eq_u32 s28, 0
	s_cbranch_scc1 .LBB282_135
; %bb.133:
	s_lshl_b32 s26, s24, 3
	s_mov_b32 s27, s25
	s_mul_u64 s[38:39], s[24:25], 12
	s_add_nc_u64 s[26:27], s[2:3], s[26:27]
	s_delay_alu instid0(SALU_CYCLE_1)
	s_add_nc_u64 s[24:25], s[26:27], 0xc4
	s_add_nc_u64 s[26:27], s[2:3], s[38:39]
.LBB282_134:                            ; =>This Inner Loop Header: Depth=1
	s_load_b96 s[40:42], s[26:27], 0x4
	s_load_b64 s[38:39], s[24:25], 0x0
	s_add_co_i32 s28, s28, -1
	s_wait_xcnt 0x0
	s_add_nc_u64 s[26:27], s[26:27], 12
	s_cmp_lg_u32 s28, 0
	s_add_nc_u64 s[24:25], s[24:25], 8
	s_wait_kmcnt 0x0
	v_mul_hi_u32 v4, s41, v1
	s_delay_alu instid0(VALU_DEP_1) | instskip(NEXT) | instid1(VALU_DEP_1)
	v_add_nc_u32_e32 v4, v1, v4
	v_lshrrev_b32_e32 v4, s42, v4
	s_delay_alu instid0(VALU_DEP_1) | instskip(NEXT) | instid1(VALU_DEP_1)
	v_mul_lo_u32 v5, v4, s40
	v_sub_nc_u32_e32 v1, v1, v5
	s_delay_alu instid0(VALU_DEP_1)
	v_mad_u32 v3, v1, s39, v3
	v_mad_u32 v2, v1, s38, v2
	v_mov_b32_e32 v1, v4
	s_cbranch_scc1 .LBB282_134
.LBB282_135:
	s_cbranch_execnz .LBB282_138
.LBB282_136:
	v_mov_b32_e32 v1, 0
	s_and_not1_b32 vcc_lo, exec_lo, s34
	s_delay_alu instid0(VALU_DEP_1) | instskip(NEXT) | instid1(VALU_DEP_1)
	v_mul_u64_e32 v[2:3], s[16:17], v[0:1]
	v_add_nc_u32_e32 v2, v0, v3
	s_delay_alu instid0(VALU_DEP_1) | instskip(NEXT) | instid1(VALU_DEP_1)
	v_lshrrev_b32_e32 v4, s10, v2
	v_mul_lo_u32 v2, v4, s8
	s_delay_alu instid0(VALU_DEP_1) | instskip(SKIP_1) | instid1(VALU_DEP_1)
	v_sub_nc_u32_e32 v2, v0, v2
	s_wait_kmcnt 0x0
	v_mul_lo_u32 v3, v2, s13
	v_mul_lo_u32 v2, v2, s12
	s_cbranch_vccnz .LBB282_138
; %bb.137:
	v_mov_b32_e32 v5, v1
	s_delay_alu instid0(VALU_DEP_1) | instskip(NEXT) | instid1(VALU_DEP_1)
	v_mul_u64_e32 v[6:7], s[20:21], v[4:5]
	v_add_nc_u32_e32 v1, v4, v7
	s_delay_alu instid0(VALU_DEP_1) | instskip(NEXT) | instid1(VALU_DEP_1)
	v_lshrrev_b32_e32 v1, s19, v1
	v_mul_lo_u32 v1, v1, s11
	s_delay_alu instid0(VALU_DEP_1) | instskip(NEXT) | instid1(VALU_DEP_1)
	v_sub_nc_u32_e32 v1, v4, v1
	v_mad_u32 v2, v1, s14, v2
	v_mad_u32 v3, v1, s15, v3
.LBB282_138:
	s_wait_kmcnt 0x0
	global_load_u8 v1, v3, s[6:7]
	v_add_nc_u32_e32 v0, 0x80, v0
	s_wait_loadcnt 0x0
	v_lshlrev_b32_e32 v1, 24, v1
	s_delay_alu instid0(VALU_DEP_1) | instskip(NEXT) | instid1(VALU_DEP_1)
	v_and_b32_e32 v3, 0x7f000000, v1
	v_clz_i32_u32_e32 v4, v3
	v_cmp_ne_u32_e32 vcc_lo, 0, v3
	v_add_nc_u32_e32 v6, 0x1000000, v3
	s_delay_alu instid0(VALU_DEP_3) | instskip(NEXT) | instid1(VALU_DEP_1)
	v_min_u32_e32 v4, 32, v4
	v_sub_nc_u32_e64 v4, v4, 4 clamp
	s_delay_alu instid0(VALU_DEP_1) | instskip(NEXT) | instid1(VALU_DEP_1)
	v_dual_lshlrev_b32 v5, v4, v3 :: v_dual_lshlrev_b32 v4, 23, v4
	v_lshrrev_b32_e32 v5, 4, v5
	s_delay_alu instid0(VALU_DEP_1) | instskip(NEXT) | instid1(VALU_DEP_1)
	v_dual_sub_nc_u32 v4, v5, v4 :: v_dual_ashrrev_i32 v5, 8, v6
	v_add_nc_u32_e32 v4, 0x3c000000, v4
	s_delay_alu instid0(VALU_DEP_1) | instskip(NEXT) | instid1(VALU_DEP_1)
	v_and_or_b32 v4, 0x7f800000, v5, v4
	v_cndmask_b32_e32 v3, 0, v4, vcc_lo
	s_delay_alu instid0(VALU_DEP_1) | instskip(NEXT) | instid1(VALU_DEP_1)
	v_and_or_b32 v1, 0x80000000, v1, v3
	v_cmp_eq_f32_e32 vcc_lo, s9, v1
	v_cndmask_b32_e64 v3, 0, 1, vcc_lo
	v_cmp_neq_f32_e32 vcc_lo, s9, v1
	v_cndmask_b32_e64 v1, 0, 1, vcc_lo
	s_delay_alu instid0(VALU_DEP_1) | instskip(NEXT) | instid1(VALU_DEP_1)
	v_cndmask_b32_e64 v1, v1, v3, s0
	v_and_b32_e32 v1, 1, v1
	global_store_b8 v2, v1, s[4:5]
	s_wait_xcnt 0x0
	s_or_b32 exec_lo, exec_lo, s18
	s_delay_alu instid0(SALU_CYCLE_1)
	s_mov_b32 s18, exec_lo
	v_cmpx_gt_i32_e64 s35, v0
	s_cbranch_execnz .LBB282_15
.LBB282_139:
	s_or_b32 exec_lo, exec_lo, s18
	s_delay_alu instid0(SALU_CYCLE_1)
	s_mov_b32 s18, exec_lo
	v_cmpx_gt_i32_e64 s35, v0
	s_cbranch_execz .LBB282_155
.LBB282_140:
	s_and_not1_b32 vcc_lo, exec_lo, s1
	s_cbranch_vccnz .LBB282_145
; %bb.141:
	s_and_not1_b32 vcc_lo, exec_lo, s37
	s_cbranch_vccnz .LBB282_146
; %bb.142:
	s_add_co_i32 s25, s36, 1
	s_cmp_eq_u32 s31, 2
	s_cbranch_scc1 .LBB282_163
; %bb.143:
	v_dual_mov_b32 v2, 0 :: v_dual_mov_b32 v3, 0
	v_mov_b32_e32 v1, v0
	s_and_b32 s24, s25, 28
	s_mov_b32 s38, 0
	s_mov_b64 s[26:27], s[2:3]
	s_mov_b64 s[28:29], s[22:23]
.LBB282_144:                            ; =>This Inner Loop Header: Depth=1
	s_clause 0x1
	s_load_b256 s[40:47], s[26:27], 0x4
	s_load_b128 s[56:59], s[26:27], 0x24
	s_load_b256 s[48:55], s[28:29], 0x0
	s_add_co_i32 s38, s38, 4
	s_wait_xcnt 0x0
	s_add_nc_u64 s[26:27], s[26:27], 48
	s_cmp_eq_u32 s24, s38
	s_add_nc_u64 s[28:29], s[28:29], 32
	s_wait_kmcnt 0x0
	v_mul_hi_u32 v4, s41, v1
	s_delay_alu instid0(VALU_DEP_1) | instskip(NEXT) | instid1(VALU_DEP_1)
	v_add_nc_u32_e32 v4, v1, v4
	v_lshrrev_b32_e32 v4, s42, v4
	s_delay_alu instid0(VALU_DEP_1) | instskip(NEXT) | instid1(VALU_DEP_1)
	v_mul_hi_u32 v5, s44, v4
	v_add_nc_u32_e32 v5, v4, v5
	s_delay_alu instid0(VALU_DEP_1) | instskip(NEXT) | instid1(VALU_DEP_1)
	v_lshrrev_b32_e32 v5, s45, v5
	v_mul_hi_u32 v6, s47, v5
	s_delay_alu instid0(VALU_DEP_1) | instskip(SKIP_1) | instid1(VALU_DEP_1)
	v_add_nc_u32_e32 v6, v5, v6
	v_mul_lo_u32 v7, v4, s40
	v_sub_nc_u32_e32 v1, v1, v7
	v_mul_lo_u32 v7, v5, s43
	s_delay_alu instid0(VALU_DEP_4) | instskip(NEXT) | instid1(VALU_DEP_3)
	v_lshrrev_b32_e32 v6, s56, v6
	v_mad_u32 v3, v1, s49, v3
	v_mad_u32 v1, v1, s48, v2
	s_delay_alu instid0(VALU_DEP_4) | instskip(NEXT) | instid1(VALU_DEP_4)
	v_sub_nc_u32_e32 v2, v4, v7
	v_mul_hi_u32 v8, s58, v6
	v_mul_lo_u32 v4, v6, s46
	s_delay_alu instid0(VALU_DEP_3) | instskip(SKIP_1) | instid1(VALU_DEP_4)
	v_mad_u32 v3, v2, s51, v3
	v_mad_u32 v2, v2, s50, v1
	v_add_nc_u32_e32 v7, v6, v8
	s_delay_alu instid0(VALU_DEP_1) | instskip(NEXT) | instid1(VALU_DEP_1)
	v_dual_sub_nc_u32 v4, v5, v4 :: v_dual_lshrrev_b32 v1, s59, v7
	v_mad_u32 v3, v4, s53, v3
	s_delay_alu instid0(VALU_DEP_4) | instskip(NEXT) | instid1(VALU_DEP_3)
	v_mad_u32 v2, v4, s52, v2
	v_mul_lo_u32 v5, v1, s57
	s_delay_alu instid0(VALU_DEP_1) | instskip(NEXT) | instid1(VALU_DEP_1)
	v_sub_nc_u32_e32 v4, v6, v5
	v_mad_u32 v3, v4, s55, v3
	s_delay_alu instid0(VALU_DEP_4)
	v_mad_u32 v2, v4, s54, v2
	s_cbranch_scc0 .LBB282_144
	s_branch .LBB282_164
.LBB282_145:
                                        ; implicit-def: $vgpr3
	s_branch .LBB282_168
.LBB282_146:
	v_dual_mov_b32 v3, 0 :: v_dual_mov_b32 v2, 0
	s_branch .LBB282_167
.LBB282_147:
	v_mov_b64_e32 v[2:3], 0
	v_mov_b32_e32 v1, v0
	s_mov_b32 s24, 0
.LBB282_148:
	s_and_b32 s28, s25, 3
	s_mov_b32 s25, 0
	s_cmp_eq_u32 s28, 0
	s_cbranch_scc1 .LBB282_151
; %bb.149:
	s_lshl_b32 s26, s24, 3
	s_mov_b32 s27, s25
	s_mul_u64 s[38:39], s[24:25], 12
	s_add_nc_u64 s[26:27], s[2:3], s[26:27]
	s_delay_alu instid0(SALU_CYCLE_1)
	s_add_nc_u64 s[24:25], s[26:27], 0xc4
	s_add_nc_u64 s[26:27], s[2:3], s[38:39]
.LBB282_150:                            ; =>This Inner Loop Header: Depth=1
	s_load_b96 s[40:42], s[26:27], 0x4
	s_load_b64 s[38:39], s[24:25], 0x0
	s_add_co_i32 s28, s28, -1
	s_wait_xcnt 0x0
	s_add_nc_u64 s[26:27], s[26:27], 12
	s_cmp_lg_u32 s28, 0
	s_add_nc_u64 s[24:25], s[24:25], 8
	s_wait_kmcnt 0x0
	v_mul_hi_u32 v4, s41, v1
	s_delay_alu instid0(VALU_DEP_1) | instskip(NEXT) | instid1(VALU_DEP_1)
	v_add_nc_u32_e32 v4, v1, v4
	v_lshrrev_b32_e32 v4, s42, v4
	s_delay_alu instid0(VALU_DEP_1) | instskip(NEXT) | instid1(VALU_DEP_1)
	v_mul_lo_u32 v5, v4, s40
	v_sub_nc_u32_e32 v1, v1, v5
	s_delay_alu instid0(VALU_DEP_1)
	v_mad_u32 v3, v1, s39, v3
	v_mad_u32 v2, v1, s38, v2
	v_mov_b32_e32 v1, v4
	s_cbranch_scc1 .LBB282_150
.LBB282_151:
	s_cbranch_execnz .LBB282_154
.LBB282_152:
	v_mov_b32_e32 v1, 0
	s_and_not1_b32 vcc_lo, exec_lo, s34
	s_delay_alu instid0(VALU_DEP_1) | instskip(NEXT) | instid1(VALU_DEP_1)
	v_mul_u64_e32 v[2:3], s[16:17], v[0:1]
	v_add_nc_u32_e32 v2, v0, v3
	s_delay_alu instid0(VALU_DEP_1) | instskip(NEXT) | instid1(VALU_DEP_1)
	v_lshrrev_b32_e32 v4, s10, v2
	v_mul_lo_u32 v2, v4, s8
	s_delay_alu instid0(VALU_DEP_1) | instskip(SKIP_1) | instid1(VALU_DEP_1)
	v_sub_nc_u32_e32 v2, v0, v2
	s_wait_kmcnt 0x0
	v_mul_lo_u32 v3, v2, s13
	v_mul_lo_u32 v2, v2, s12
	s_cbranch_vccnz .LBB282_154
; %bb.153:
	v_mov_b32_e32 v5, v1
	s_delay_alu instid0(VALU_DEP_1) | instskip(NEXT) | instid1(VALU_DEP_1)
	v_mul_u64_e32 v[6:7], s[20:21], v[4:5]
	v_add_nc_u32_e32 v1, v4, v7
	s_delay_alu instid0(VALU_DEP_1) | instskip(NEXT) | instid1(VALU_DEP_1)
	v_lshrrev_b32_e32 v1, s19, v1
	v_mul_lo_u32 v1, v1, s11
	s_delay_alu instid0(VALU_DEP_1) | instskip(NEXT) | instid1(VALU_DEP_1)
	v_sub_nc_u32_e32 v1, v4, v1
	v_mad_u32 v2, v1, s14, v2
	v_mad_u32 v3, v1, s15, v3
.LBB282_154:
	s_wait_kmcnt 0x0
	global_load_u8 v1, v3, s[6:7]
	v_add_nc_u32_e32 v0, 0x80, v0
	s_wait_loadcnt 0x0
	v_lshlrev_b32_e32 v1, 24, v1
	s_wait_xcnt 0x0
	s_delay_alu instid0(VALU_DEP_1) | instskip(NEXT) | instid1(VALU_DEP_1)
	v_and_b32_e32 v3, 0x7f000000, v1
	v_clz_i32_u32_e32 v4, v3
	v_cmp_ne_u32_e32 vcc_lo, 0, v3
	v_add_nc_u32_e32 v6, 0x1000000, v3
	s_delay_alu instid0(VALU_DEP_3) | instskip(NEXT) | instid1(VALU_DEP_1)
	v_min_u32_e32 v4, 32, v4
	v_sub_nc_u32_e64 v4, v4, 4 clamp
	s_delay_alu instid0(VALU_DEP_1) | instskip(NEXT) | instid1(VALU_DEP_1)
	v_dual_lshlrev_b32 v5, v4, v3 :: v_dual_lshlrev_b32 v4, 23, v4
	v_lshrrev_b32_e32 v5, 4, v5
	s_delay_alu instid0(VALU_DEP_1) | instskip(NEXT) | instid1(VALU_DEP_1)
	v_dual_sub_nc_u32 v4, v5, v4 :: v_dual_ashrrev_i32 v5, 8, v6
	v_add_nc_u32_e32 v4, 0x3c000000, v4
	s_delay_alu instid0(VALU_DEP_1) | instskip(NEXT) | instid1(VALU_DEP_1)
	v_and_or_b32 v4, 0x7f800000, v5, v4
	v_cndmask_b32_e32 v3, 0, v4, vcc_lo
	s_delay_alu instid0(VALU_DEP_1) | instskip(NEXT) | instid1(VALU_DEP_1)
	v_and_or_b32 v1, 0x80000000, v1, v3
	v_cmp_eq_f32_e32 vcc_lo, s9, v1
	v_cndmask_b32_e64 v3, 0, 1, vcc_lo
	v_cmp_neq_f32_e32 vcc_lo, s9, v1
	v_cndmask_b32_e64 v1, 0, 1, vcc_lo
	s_delay_alu instid0(VALU_DEP_1) | instskip(NEXT) | instid1(VALU_DEP_1)
	v_cndmask_b32_e64 v1, v1, v3, s0
	v_and_b32_e32 v1, 1, v1
	global_store_b8 v2, v1, s[4:5]
	s_wait_xcnt 0x0
	s_or_b32 exec_lo, exec_lo, s18
	s_delay_alu instid0(SALU_CYCLE_1)
	s_mov_b32 s18, exec_lo
	v_cmpx_gt_i32_e64 s35, v0
	s_cbranch_execnz .LBB282_140
.LBB282_155:
	s_or_b32 exec_lo, exec_lo, s18
	s_delay_alu instid0(SALU_CYCLE_1)
	s_mov_b32 s18, exec_lo
	v_cmpx_gt_i32_e64 s35, v0
	s_cbranch_execz .LBB282_171
.LBB282_156:
	s_and_not1_b32 vcc_lo, exec_lo, s1
	s_cbranch_vccnz .LBB282_161
; %bb.157:
	s_and_not1_b32 vcc_lo, exec_lo, s37
	s_cbranch_vccnz .LBB282_162
; %bb.158:
	s_add_co_i32 s25, s36, 1
	s_cmp_eq_u32 s31, 2
	s_cbranch_scc1 .LBB282_179
; %bb.159:
	v_dual_mov_b32 v2, 0 :: v_dual_mov_b32 v3, 0
	v_mov_b32_e32 v1, v0
	s_and_b32 s24, s25, 28
	s_mov_b32 s38, 0
	s_mov_b64 s[26:27], s[2:3]
	s_mov_b64 s[28:29], s[22:23]
.LBB282_160:                            ; =>This Inner Loop Header: Depth=1
	s_clause 0x1
	s_load_b256 s[40:47], s[26:27], 0x4
	s_load_b128 s[56:59], s[26:27], 0x24
	s_load_b256 s[48:55], s[28:29], 0x0
	s_add_co_i32 s38, s38, 4
	s_wait_xcnt 0x0
	s_add_nc_u64 s[26:27], s[26:27], 48
	s_cmp_eq_u32 s24, s38
	s_add_nc_u64 s[28:29], s[28:29], 32
	s_wait_kmcnt 0x0
	v_mul_hi_u32 v4, s41, v1
	s_delay_alu instid0(VALU_DEP_1) | instskip(NEXT) | instid1(VALU_DEP_1)
	v_add_nc_u32_e32 v4, v1, v4
	v_lshrrev_b32_e32 v4, s42, v4
	s_delay_alu instid0(VALU_DEP_1) | instskip(NEXT) | instid1(VALU_DEP_1)
	v_mul_hi_u32 v5, s44, v4
	v_add_nc_u32_e32 v5, v4, v5
	s_delay_alu instid0(VALU_DEP_1) | instskip(NEXT) | instid1(VALU_DEP_1)
	v_lshrrev_b32_e32 v5, s45, v5
	v_mul_hi_u32 v6, s47, v5
	s_delay_alu instid0(VALU_DEP_1) | instskip(SKIP_1) | instid1(VALU_DEP_1)
	v_add_nc_u32_e32 v6, v5, v6
	v_mul_lo_u32 v7, v4, s40
	v_sub_nc_u32_e32 v1, v1, v7
	v_mul_lo_u32 v7, v5, s43
	s_delay_alu instid0(VALU_DEP_4) | instskip(NEXT) | instid1(VALU_DEP_3)
	v_lshrrev_b32_e32 v6, s56, v6
	v_mad_u32 v3, v1, s49, v3
	v_mad_u32 v1, v1, s48, v2
	s_delay_alu instid0(VALU_DEP_4) | instskip(NEXT) | instid1(VALU_DEP_4)
	v_sub_nc_u32_e32 v2, v4, v7
	v_mul_hi_u32 v8, s58, v6
	v_mul_lo_u32 v4, v6, s46
	s_delay_alu instid0(VALU_DEP_3) | instskip(SKIP_1) | instid1(VALU_DEP_4)
	v_mad_u32 v3, v2, s51, v3
	v_mad_u32 v2, v2, s50, v1
	v_add_nc_u32_e32 v7, v6, v8
	s_delay_alu instid0(VALU_DEP_1) | instskip(NEXT) | instid1(VALU_DEP_1)
	v_dual_sub_nc_u32 v4, v5, v4 :: v_dual_lshrrev_b32 v1, s59, v7
	v_mad_u32 v3, v4, s53, v3
	s_delay_alu instid0(VALU_DEP_4) | instskip(NEXT) | instid1(VALU_DEP_3)
	v_mad_u32 v2, v4, s52, v2
	v_mul_lo_u32 v5, v1, s57
	s_delay_alu instid0(VALU_DEP_1) | instskip(NEXT) | instid1(VALU_DEP_1)
	v_sub_nc_u32_e32 v4, v6, v5
	v_mad_u32 v3, v4, s55, v3
	s_delay_alu instid0(VALU_DEP_4)
	v_mad_u32 v2, v4, s54, v2
	s_cbranch_scc0 .LBB282_160
	s_branch .LBB282_180
.LBB282_161:
                                        ; implicit-def: $vgpr3
	s_branch .LBB282_184
.LBB282_162:
	v_dual_mov_b32 v3, 0 :: v_dual_mov_b32 v2, 0
	s_branch .LBB282_183
.LBB282_163:
	v_mov_b64_e32 v[2:3], 0
	v_mov_b32_e32 v1, v0
	s_mov_b32 s24, 0
.LBB282_164:
	s_and_b32 s28, s25, 3
	s_mov_b32 s25, 0
	s_cmp_eq_u32 s28, 0
	s_cbranch_scc1 .LBB282_167
; %bb.165:
	s_lshl_b32 s26, s24, 3
	s_mov_b32 s27, s25
	s_mul_u64 s[38:39], s[24:25], 12
	s_add_nc_u64 s[26:27], s[2:3], s[26:27]
	s_delay_alu instid0(SALU_CYCLE_1)
	s_add_nc_u64 s[24:25], s[26:27], 0xc4
	s_add_nc_u64 s[26:27], s[2:3], s[38:39]
.LBB282_166:                            ; =>This Inner Loop Header: Depth=1
	s_load_b96 s[40:42], s[26:27], 0x4
	s_load_b64 s[38:39], s[24:25], 0x0
	s_add_co_i32 s28, s28, -1
	s_wait_xcnt 0x0
	s_add_nc_u64 s[26:27], s[26:27], 12
	s_cmp_lg_u32 s28, 0
	s_add_nc_u64 s[24:25], s[24:25], 8
	s_wait_kmcnt 0x0
	v_mul_hi_u32 v4, s41, v1
	s_delay_alu instid0(VALU_DEP_1) | instskip(NEXT) | instid1(VALU_DEP_1)
	v_add_nc_u32_e32 v4, v1, v4
	v_lshrrev_b32_e32 v4, s42, v4
	s_delay_alu instid0(VALU_DEP_1) | instskip(NEXT) | instid1(VALU_DEP_1)
	v_mul_lo_u32 v5, v4, s40
	v_sub_nc_u32_e32 v1, v1, v5
	s_delay_alu instid0(VALU_DEP_1)
	v_mad_u32 v3, v1, s39, v3
	v_mad_u32 v2, v1, s38, v2
	v_mov_b32_e32 v1, v4
	s_cbranch_scc1 .LBB282_166
.LBB282_167:
	s_cbranch_execnz .LBB282_170
.LBB282_168:
	v_mov_b32_e32 v1, 0
	s_and_not1_b32 vcc_lo, exec_lo, s34
	s_delay_alu instid0(VALU_DEP_1) | instskip(NEXT) | instid1(VALU_DEP_1)
	v_mul_u64_e32 v[2:3], s[16:17], v[0:1]
	v_add_nc_u32_e32 v2, v0, v3
	s_delay_alu instid0(VALU_DEP_1) | instskip(NEXT) | instid1(VALU_DEP_1)
	v_lshrrev_b32_e32 v4, s10, v2
	v_mul_lo_u32 v2, v4, s8
	s_delay_alu instid0(VALU_DEP_1) | instskip(SKIP_1) | instid1(VALU_DEP_1)
	v_sub_nc_u32_e32 v2, v0, v2
	s_wait_kmcnt 0x0
	v_mul_lo_u32 v3, v2, s13
	v_mul_lo_u32 v2, v2, s12
	s_cbranch_vccnz .LBB282_170
; %bb.169:
	v_mov_b32_e32 v5, v1
	s_delay_alu instid0(VALU_DEP_1) | instskip(NEXT) | instid1(VALU_DEP_1)
	v_mul_u64_e32 v[6:7], s[20:21], v[4:5]
	v_add_nc_u32_e32 v1, v4, v7
	s_delay_alu instid0(VALU_DEP_1) | instskip(NEXT) | instid1(VALU_DEP_1)
	v_lshrrev_b32_e32 v1, s19, v1
	v_mul_lo_u32 v1, v1, s11
	s_delay_alu instid0(VALU_DEP_1) | instskip(NEXT) | instid1(VALU_DEP_1)
	v_sub_nc_u32_e32 v1, v4, v1
	v_mad_u32 v2, v1, s14, v2
	v_mad_u32 v3, v1, s15, v3
.LBB282_170:
	s_wait_kmcnt 0x0
	global_load_u8 v1, v3, s[6:7]
	v_add_nc_u32_e32 v0, 0x80, v0
	s_wait_loadcnt 0x0
	v_lshlrev_b32_e32 v1, 24, v1
	s_wait_xcnt 0x0
	s_delay_alu instid0(VALU_DEP_1) | instskip(NEXT) | instid1(VALU_DEP_1)
	v_and_b32_e32 v3, 0x7f000000, v1
	v_clz_i32_u32_e32 v4, v3
	v_cmp_ne_u32_e32 vcc_lo, 0, v3
	v_add_nc_u32_e32 v6, 0x1000000, v3
	s_delay_alu instid0(VALU_DEP_3) | instskip(NEXT) | instid1(VALU_DEP_1)
	v_min_u32_e32 v4, 32, v4
	v_sub_nc_u32_e64 v4, v4, 4 clamp
	s_delay_alu instid0(VALU_DEP_1) | instskip(NEXT) | instid1(VALU_DEP_1)
	v_dual_lshlrev_b32 v5, v4, v3 :: v_dual_lshlrev_b32 v4, 23, v4
	v_lshrrev_b32_e32 v5, 4, v5
	s_delay_alu instid0(VALU_DEP_1) | instskip(NEXT) | instid1(VALU_DEP_1)
	v_dual_sub_nc_u32 v4, v5, v4 :: v_dual_ashrrev_i32 v5, 8, v6
	v_add_nc_u32_e32 v4, 0x3c000000, v4
	s_delay_alu instid0(VALU_DEP_1) | instskip(NEXT) | instid1(VALU_DEP_1)
	v_and_or_b32 v4, 0x7f800000, v5, v4
	v_cndmask_b32_e32 v3, 0, v4, vcc_lo
	s_delay_alu instid0(VALU_DEP_1) | instskip(NEXT) | instid1(VALU_DEP_1)
	v_and_or_b32 v1, 0x80000000, v1, v3
	v_cmp_eq_f32_e32 vcc_lo, s9, v1
	v_cndmask_b32_e64 v3, 0, 1, vcc_lo
	v_cmp_neq_f32_e32 vcc_lo, s9, v1
	v_cndmask_b32_e64 v1, 0, 1, vcc_lo
	s_delay_alu instid0(VALU_DEP_1) | instskip(NEXT) | instid1(VALU_DEP_1)
	v_cndmask_b32_e64 v1, v1, v3, s0
	v_and_b32_e32 v1, 1, v1
	global_store_b8 v2, v1, s[4:5]
	s_wait_xcnt 0x0
	s_or_b32 exec_lo, exec_lo, s18
	s_delay_alu instid0(SALU_CYCLE_1)
	s_mov_b32 s18, exec_lo
	v_cmpx_gt_i32_e64 s35, v0
	s_cbranch_execnz .LBB282_156
.LBB282_171:
	s_or_b32 exec_lo, exec_lo, s18
	s_delay_alu instid0(SALU_CYCLE_1)
	s_mov_b32 s18, exec_lo
	v_cmpx_gt_i32_e64 s35, v0
	s_cbranch_execz .LBB282_187
.LBB282_172:
	s_and_not1_b32 vcc_lo, exec_lo, s1
	s_cbranch_vccnz .LBB282_177
; %bb.173:
	s_and_not1_b32 vcc_lo, exec_lo, s37
	s_cbranch_vccnz .LBB282_178
; %bb.174:
	s_add_co_i32 s25, s36, 1
	s_cmp_eq_u32 s31, 2
	s_cbranch_scc1 .LBB282_195
; %bb.175:
	v_dual_mov_b32 v2, 0 :: v_dual_mov_b32 v3, 0
	v_mov_b32_e32 v1, v0
	s_and_b32 s24, s25, 28
	s_mov_b32 s38, 0
	s_mov_b64 s[26:27], s[2:3]
	s_mov_b64 s[28:29], s[22:23]
.LBB282_176:                            ; =>This Inner Loop Header: Depth=1
	s_clause 0x1
	s_load_b256 s[40:47], s[26:27], 0x4
	s_load_b128 s[56:59], s[26:27], 0x24
	s_load_b256 s[48:55], s[28:29], 0x0
	s_add_co_i32 s38, s38, 4
	s_wait_xcnt 0x0
	s_add_nc_u64 s[26:27], s[26:27], 48
	s_cmp_eq_u32 s24, s38
	s_add_nc_u64 s[28:29], s[28:29], 32
	s_wait_kmcnt 0x0
	v_mul_hi_u32 v4, s41, v1
	s_delay_alu instid0(VALU_DEP_1) | instskip(NEXT) | instid1(VALU_DEP_1)
	v_add_nc_u32_e32 v4, v1, v4
	v_lshrrev_b32_e32 v4, s42, v4
	s_delay_alu instid0(VALU_DEP_1) | instskip(NEXT) | instid1(VALU_DEP_1)
	v_mul_hi_u32 v5, s44, v4
	v_add_nc_u32_e32 v5, v4, v5
	s_delay_alu instid0(VALU_DEP_1) | instskip(NEXT) | instid1(VALU_DEP_1)
	v_lshrrev_b32_e32 v5, s45, v5
	v_mul_hi_u32 v6, s47, v5
	s_delay_alu instid0(VALU_DEP_1) | instskip(SKIP_1) | instid1(VALU_DEP_1)
	v_add_nc_u32_e32 v6, v5, v6
	v_mul_lo_u32 v7, v4, s40
	v_sub_nc_u32_e32 v1, v1, v7
	v_mul_lo_u32 v7, v5, s43
	s_delay_alu instid0(VALU_DEP_4) | instskip(NEXT) | instid1(VALU_DEP_3)
	v_lshrrev_b32_e32 v6, s56, v6
	v_mad_u32 v3, v1, s49, v3
	v_mad_u32 v1, v1, s48, v2
	s_delay_alu instid0(VALU_DEP_4) | instskip(NEXT) | instid1(VALU_DEP_4)
	v_sub_nc_u32_e32 v2, v4, v7
	v_mul_hi_u32 v8, s58, v6
	v_mul_lo_u32 v4, v6, s46
	s_delay_alu instid0(VALU_DEP_3) | instskip(SKIP_1) | instid1(VALU_DEP_4)
	v_mad_u32 v3, v2, s51, v3
	v_mad_u32 v2, v2, s50, v1
	v_add_nc_u32_e32 v7, v6, v8
	s_delay_alu instid0(VALU_DEP_1) | instskip(NEXT) | instid1(VALU_DEP_1)
	v_dual_sub_nc_u32 v4, v5, v4 :: v_dual_lshrrev_b32 v1, s59, v7
	v_mad_u32 v3, v4, s53, v3
	s_delay_alu instid0(VALU_DEP_4) | instskip(NEXT) | instid1(VALU_DEP_3)
	v_mad_u32 v2, v4, s52, v2
	v_mul_lo_u32 v5, v1, s57
	s_delay_alu instid0(VALU_DEP_1) | instskip(NEXT) | instid1(VALU_DEP_1)
	v_sub_nc_u32_e32 v4, v6, v5
	v_mad_u32 v3, v4, s55, v3
	s_delay_alu instid0(VALU_DEP_4)
	v_mad_u32 v2, v4, s54, v2
	s_cbranch_scc0 .LBB282_176
	s_branch .LBB282_196
.LBB282_177:
                                        ; implicit-def: $vgpr3
	s_branch .LBB282_200
.LBB282_178:
	v_dual_mov_b32 v3, 0 :: v_dual_mov_b32 v2, 0
	s_branch .LBB282_199
.LBB282_179:
	v_mov_b64_e32 v[2:3], 0
	v_mov_b32_e32 v1, v0
	s_mov_b32 s24, 0
.LBB282_180:
	s_and_b32 s28, s25, 3
	s_mov_b32 s25, 0
	s_cmp_eq_u32 s28, 0
	s_cbranch_scc1 .LBB282_183
; %bb.181:
	s_lshl_b32 s26, s24, 3
	s_mov_b32 s27, s25
	s_mul_u64 s[38:39], s[24:25], 12
	s_add_nc_u64 s[26:27], s[2:3], s[26:27]
	s_delay_alu instid0(SALU_CYCLE_1)
	s_add_nc_u64 s[24:25], s[26:27], 0xc4
	s_add_nc_u64 s[26:27], s[2:3], s[38:39]
.LBB282_182:                            ; =>This Inner Loop Header: Depth=1
	s_load_b96 s[40:42], s[26:27], 0x4
	s_load_b64 s[38:39], s[24:25], 0x0
	s_add_co_i32 s28, s28, -1
	s_wait_xcnt 0x0
	s_add_nc_u64 s[26:27], s[26:27], 12
	s_cmp_lg_u32 s28, 0
	s_add_nc_u64 s[24:25], s[24:25], 8
	s_wait_kmcnt 0x0
	v_mul_hi_u32 v4, s41, v1
	s_delay_alu instid0(VALU_DEP_1) | instskip(NEXT) | instid1(VALU_DEP_1)
	v_add_nc_u32_e32 v4, v1, v4
	v_lshrrev_b32_e32 v4, s42, v4
	s_delay_alu instid0(VALU_DEP_1) | instskip(NEXT) | instid1(VALU_DEP_1)
	v_mul_lo_u32 v5, v4, s40
	v_sub_nc_u32_e32 v1, v1, v5
	s_delay_alu instid0(VALU_DEP_1)
	v_mad_u32 v3, v1, s39, v3
	v_mad_u32 v2, v1, s38, v2
	v_mov_b32_e32 v1, v4
	s_cbranch_scc1 .LBB282_182
.LBB282_183:
	s_cbranch_execnz .LBB282_186
.LBB282_184:
	v_mov_b32_e32 v1, 0
	s_and_not1_b32 vcc_lo, exec_lo, s34
	s_delay_alu instid0(VALU_DEP_1) | instskip(NEXT) | instid1(VALU_DEP_1)
	v_mul_u64_e32 v[2:3], s[16:17], v[0:1]
	v_add_nc_u32_e32 v2, v0, v3
	s_delay_alu instid0(VALU_DEP_1) | instskip(NEXT) | instid1(VALU_DEP_1)
	v_lshrrev_b32_e32 v4, s10, v2
	v_mul_lo_u32 v2, v4, s8
	s_delay_alu instid0(VALU_DEP_1) | instskip(SKIP_1) | instid1(VALU_DEP_1)
	v_sub_nc_u32_e32 v2, v0, v2
	s_wait_kmcnt 0x0
	v_mul_lo_u32 v3, v2, s13
	v_mul_lo_u32 v2, v2, s12
	s_cbranch_vccnz .LBB282_186
; %bb.185:
	v_mov_b32_e32 v5, v1
	s_delay_alu instid0(VALU_DEP_1) | instskip(NEXT) | instid1(VALU_DEP_1)
	v_mul_u64_e32 v[6:7], s[20:21], v[4:5]
	v_add_nc_u32_e32 v1, v4, v7
	s_delay_alu instid0(VALU_DEP_1) | instskip(NEXT) | instid1(VALU_DEP_1)
	v_lshrrev_b32_e32 v1, s19, v1
	v_mul_lo_u32 v1, v1, s11
	s_delay_alu instid0(VALU_DEP_1) | instskip(NEXT) | instid1(VALU_DEP_1)
	v_sub_nc_u32_e32 v1, v4, v1
	v_mad_u32 v2, v1, s14, v2
	v_mad_u32 v3, v1, s15, v3
.LBB282_186:
	s_wait_kmcnt 0x0
	global_load_u8 v1, v3, s[6:7]
	v_add_nc_u32_e32 v0, 0x80, v0
	s_wait_loadcnt 0x0
	v_lshlrev_b32_e32 v1, 24, v1
	s_wait_xcnt 0x0
	s_delay_alu instid0(VALU_DEP_1) | instskip(NEXT) | instid1(VALU_DEP_1)
	v_and_b32_e32 v3, 0x7f000000, v1
	v_clz_i32_u32_e32 v4, v3
	v_cmp_ne_u32_e32 vcc_lo, 0, v3
	v_add_nc_u32_e32 v6, 0x1000000, v3
	s_delay_alu instid0(VALU_DEP_3) | instskip(NEXT) | instid1(VALU_DEP_1)
	v_min_u32_e32 v4, 32, v4
	v_sub_nc_u32_e64 v4, v4, 4 clamp
	s_delay_alu instid0(VALU_DEP_1) | instskip(NEXT) | instid1(VALU_DEP_1)
	v_dual_lshlrev_b32 v5, v4, v3 :: v_dual_lshlrev_b32 v4, 23, v4
	v_lshrrev_b32_e32 v5, 4, v5
	s_delay_alu instid0(VALU_DEP_1) | instskip(NEXT) | instid1(VALU_DEP_1)
	v_dual_sub_nc_u32 v4, v5, v4 :: v_dual_ashrrev_i32 v5, 8, v6
	v_add_nc_u32_e32 v4, 0x3c000000, v4
	s_delay_alu instid0(VALU_DEP_1) | instskip(NEXT) | instid1(VALU_DEP_1)
	v_and_or_b32 v4, 0x7f800000, v5, v4
	v_cndmask_b32_e32 v3, 0, v4, vcc_lo
	s_delay_alu instid0(VALU_DEP_1) | instskip(NEXT) | instid1(VALU_DEP_1)
	v_and_or_b32 v1, 0x80000000, v1, v3
	v_cmp_eq_f32_e32 vcc_lo, s9, v1
	v_cndmask_b32_e64 v3, 0, 1, vcc_lo
	v_cmp_neq_f32_e32 vcc_lo, s9, v1
	v_cndmask_b32_e64 v1, 0, 1, vcc_lo
	s_delay_alu instid0(VALU_DEP_1) | instskip(NEXT) | instid1(VALU_DEP_1)
	v_cndmask_b32_e64 v1, v1, v3, s0
	v_and_b32_e32 v1, 1, v1
	global_store_b8 v2, v1, s[4:5]
	s_wait_xcnt 0x0
	s_or_b32 exec_lo, exec_lo, s18
	s_delay_alu instid0(SALU_CYCLE_1)
	s_mov_b32 s18, exec_lo
	v_cmpx_gt_i32_e64 s35, v0
	s_cbranch_execnz .LBB282_172
.LBB282_187:
	s_or_b32 exec_lo, exec_lo, s18
	s_delay_alu instid0(SALU_CYCLE_1)
	s_mov_b32 s18, exec_lo
	v_cmpx_gt_i32_e64 s35, v0
	s_cbranch_execz .LBB282_203
.LBB282_188:
	s_and_not1_b32 vcc_lo, exec_lo, s1
	s_cbranch_vccnz .LBB282_193
; %bb.189:
	s_and_not1_b32 vcc_lo, exec_lo, s37
	s_cbranch_vccnz .LBB282_194
; %bb.190:
	s_add_co_i32 s25, s36, 1
	s_cmp_eq_u32 s31, 2
	s_cbranch_scc1 .LBB282_211
; %bb.191:
	v_dual_mov_b32 v2, 0 :: v_dual_mov_b32 v3, 0
	v_mov_b32_e32 v1, v0
	s_and_b32 s24, s25, 28
	s_mov_b32 s38, 0
	s_mov_b64 s[26:27], s[2:3]
	s_mov_b64 s[28:29], s[22:23]
.LBB282_192:                            ; =>This Inner Loop Header: Depth=1
	s_clause 0x1
	s_load_b256 s[40:47], s[26:27], 0x4
	s_load_b128 s[56:59], s[26:27], 0x24
	s_load_b256 s[48:55], s[28:29], 0x0
	s_add_co_i32 s38, s38, 4
	s_wait_xcnt 0x0
	s_add_nc_u64 s[26:27], s[26:27], 48
	s_cmp_eq_u32 s24, s38
	s_add_nc_u64 s[28:29], s[28:29], 32
	s_wait_kmcnt 0x0
	v_mul_hi_u32 v4, s41, v1
	s_delay_alu instid0(VALU_DEP_1) | instskip(NEXT) | instid1(VALU_DEP_1)
	v_add_nc_u32_e32 v4, v1, v4
	v_lshrrev_b32_e32 v4, s42, v4
	s_delay_alu instid0(VALU_DEP_1) | instskip(NEXT) | instid1(VALU_DEP_1)
	v_mul_hi_u32 v5, s44, v4
	v_add_nc_u32_e32 v5, v4, v5
	s_delay_alu instid0(VALU_DEP_1) | instskip(NEXT) | instid1(VALU_DEP_1)
	v_lshrrev_b32_e32 v5, s45, v5
	v_mul_hi_u32 v6, s47, v5
	s_delay_alu instid0(VALU_DEP_1) | instskip(SKIP_1) | instid1(VALU_DEP_1)
	v_add_nc_u32_e32 v6, v5, v6
	v_mul_lo_u32 v7, v4, s40
	v_sub_nc_u32_e32 v1, v1, v7
	v_mul_lo_u32 v7, v5, s43
	s_delay_alu instid0(VALU_DEP_4) | instskip(NEXT) | instid1(VALU_DEP_3)
	v_lshrrev_b32_e32 v6, s56, v6
	v_mad_u32 v3, v1, s49, v3
	v_mad_u32 v1, v1, s48, v2
	s_delay_alu instid0(VALU_DEP_4) | instskip(NEXT) | instid1(VALU_DEP_4)
	v_sub_nc_u32_e32 v2, v4, v7
	v_mul_hi_u32 v8, s58, v6
	v_mul_lo_u32 v4, v6, s46
	s_delay_alu instid0(VALU_DEP_3) | instskip(SKIP_1) | instid1(VALU_DEP_4)
	v_mad_u32 v3, v2, s51, v3
	v_mad_u32 v2, v2, s50, v1
	v_add_nc_u32_e32 v7, v6, v8
	s_delay_alu instid0(VALU_DEP_1) | instskip(NEXT) | instid1(VALU_DEP_1)
	v_dual_sub_nc_u32 v4, v5, v4 :: v_dual_lshrrev_b32 v1, s59, v7
	v_mad_u32 v3, v4, s53, v3
	s_delay_alu instid0(VALU_DEP_4) | instskip(NEXT) | instid1(VALU_DEP_3)
	v_mad_u32 v2, v4, s52, v2
	v_mul_lo_u32 v5, v1, s57
	s_delay_alu instid0(VALU_DEP_1) | instskip(NEXT) | instid1(VALU_DEP_1)
	v_sub_nc_u32_e32 v4, v6, v5
	v_mad_u32 v3, v4, s55, v3
	s_delay_alu instid0(VALU_DEP_4)
	v_mad_u32 v2, v4, s54, v2
	s_cbranch_scc0 .LBB282_192
	s_branch .LBB282_212
.LBB282_193:
                                        ; implicit-def: $vgpr3
	s_branch .LBB282_216
.LBB282_194:
	v_dual_mov_b32 v3, 0 :: v_dual_mov_b32 v2, 0
	s_branch .LBB282_215
.LBB282_195:
	v_mov_b64_e32 v[2:3], 0
	v_mov_b32_e32 v1, v0
	s_mov_b32 s24, 0
.LBB282_196:
	s_and_b32 s28, s25, 3
	s_mov_b32 s25, 0
	s_cmp_eq_u32 s28, 0
	s_cbranch_scc1 .LBB282_199
; %bb.197:
	s_lshl_b32 s26, s24, 3
	s_mov_b32 s27, s25
	s_mul_u64 s[38:39], s[24:25], 12
	s_add_nc_u64 s[26:27], s[2:3], s[26:27]
	s_delay_alu instid0(SALU_CYCLE_1)
	s_add_nc_u64 s[24:25], s[26:27], 0xc4
	s_add_nc_u64 s[26:27], s[2:3], s[38:39]
.LBB282_198:                            ; =>This Inner Loop Header: Depth=1
	s_load_b96 s[40:42], s[26:27], 0x4
	s_load_b64 s[38:39], s[24:25], 0x0
	s_add_co_i32 s28, s28, -1
	s_wait_xcnt 0x0
	s_add_nc_u64 s[26:27], s[26:27], 12
	s_cmp_lg_u32 s28, 0
	s_add_nc_u64 s[24:25], s[24:25], 8
	s_wait_kmcnt 0x0
	v_mul_hi_u32 v4, s41, v1
	s_delay_alu instid0(VALU_DEP_1) | instskip(NEXT) | instid1(VALU_DEP_1)
	v_add_nc_u32_e32 v4, v1, v4
	v_lshrrev_b32_e32 v4, s42, v4
	s_delay_alu instid0(VALU_DEP_1) | instskip(NEXT) | instid1(VALU_DEP_1)
	v_mul_lo_u32 v5, v4, s40
	v_sub_nc_u32_e32 v1, v1, v5
	s_delay_alu instid0(VALU_DEP_1)
	v_mad_u32 v3, v1, s39, v3
	v_mad_u32 v2, v1, s38, v2
	v_mov_b32_e32 v1, v4
	s_cbranch_scc1 .LBB282_198
.LBB282_199:
	s_cbranch_execnz .LBB282_202
.LBB282_200:
	v_mov_b32_e32 v1, 0
	s_and_not1_b32 vcc_lo, exec_lo, s34
	s_delay_alu instid0(VALU_DEP_1) | instskip(NEXT) | instid1(VALU_DEP_1)
	v_mul_u64_e32 v[2:3], s[16:17], v[0:1]
	v_add_nc_u32_e32 v2, v0, v3
	s_delay_alu instid0(VALU_DEP_1) | instskip(NEXT) | instid1(VALU_DEP_1)
	v_lshrrev_b32_e32 v4, s10, v2
	v_mul_lo_u32 v2, v4, s8
	s_delay_alu instid0(VALU_DEP_1) | instskip(SKIP_1) | instid1(VALU_DEP_1)
	v_sub_nc_u32_e32 v2, v0, v2
	s_wait_kmcnt 0x0
	v_mul_lo_u32 v3, v2, s13
	v_mul_lo_u32 v2, v2, s12
	s_cbranch_vccnz .LBB282_202
; %bb.201:
	v_mov_b32_e32 v5, v1
	s_delay_alu instid0(VALU_DEP_1) | instskip(NEXT) | instid1(VALU_DEP_1)
	v_mul_u64_e32 v[6:7], s[20:21], v[4:5]
	v_add_nc_u32_e32 v1, v4, v7
	s_delay_alu instid0(VALU_DEP_1) | instskip(NEXT) | instid1(VALU_DEP_1)
	v_lshrrev_b32_e32 v1, s19, v1
	v_mul_lo_u32 v1, v1, s11
	s_delay_alu instid0(VALU_DEP_1) | instskip(NEXT) | instid1(VALU_DEP_1)
	v_sub_nc_u32_e32 v1, v4, v1
	v_mad_u32 v2, v1, s14, v2
	v_mad_u32 v3, v1, s15, v3
.LBB282_202:
	s_wait_kmcnt 0x0
	global_load_u8 v1, v3, s[6:7]
	v_add_nc_u32_e32 v0, 0x80, v0
	s_wait_loadcnt 0x0
	v_lshlrev_b32_e32 v1, 24, v1
	s_wait_xcnt 0x0
	s_delay_alu instid0(VALU_DEP_1) | instskip(NEXT) | instid1(VALU_DEP_1)
	v_and_b32_e32 v3, 0x7f000000, v1
	v_clz_i32_u32_e32 v4, v3
	v_cmp_ne_u32_e32 vcc_lo, 0, v3
	v_add_nc_u32_e32 v6, 0x1000000, v3
	s_delay_alu instid0(VALU_DEP_3) | instskip(NEXT) | instid1(VALU_DEP_1)
	v_min_u32_e32 v4, 32, v4
	v_sub_nc_u32_e64 v4, v4, 4 clamp
	s_delay_alu instid0(VALU_DEP_1) | instskip(NEXT) | instid1(VALU_DEP_1)
	v_dual_lshlrev_b32 v5, v4, v3 :: v_dual_lshlrev_b32 v4, 23, v4
	v_lshrrev_b32_e32 v5, 4, v5
	s_delay_alu instid0(VALU_DEP_1) | instskip(NEXT) | instid1(VALU_DEP_1)
	v_dual_sub_nc_u32 v4, v5, v4 :: v_dual_ashrrev_i32 v5, 8, v6
	v_add_nc_u32_e32 v4, 0x3c000000, v4
	s_delay_alu instid0(VALU_DEP_1) | instskip(NEXT) | instid1(VALU_DEP_1)
	v_and_or_b32 v4, 0x7f800000, v5, v4
	v_cndmask_b32_e32 v3, 0, v4, vcc_lo
	s_delay_alu instid0(VALU_DEP_1) | instskip(NEXT) | instid1(VALU_DEP_1)
	v_and_or_b32 v1, 0x80000000, v1, v3
	v_cmp_eq_f32_e32 vcc_lo, s9, v1
	v_cndmask_b32_e64 v3, 0, 1, vcc_lo
	v_cmp_neq_f32_e32 vcc_lo, s9, v1
	v_cndmask_b32_e64 v1, 0, 1, vcc_lo
	s_delay_alu instid0(VALU_DEP_1) | instskip(NEXT) | instid1(VALU_DEP_1)
	v_cndmask_b32_e64 v1, v1, v3, s0
	v_and_b32_e32 v1, 1, v1
	global_store_b8 v2, v1, s[4:5]
	s_wait_xcnt 0x0
	s_or_b32 exec_lo, exec_lo, s18
	s_delay_alu instid0(SALU_CYCLE_1)
	s_mov_b32 s18, exec_lo
	v_cmpx_gt_i32_e64 s35, v0
	s_cbranch_execnz .LBB282_188
.LBB282_203:
	s_or_b32 exec_lo, exec_lo, s18
	s_delay_alu instid0(SALU_CYCLE_1)
	s_mov_b32 s18, exec_lo
	v_cmpx_gt_i32_e64 s35, v0
	s_cbranch_execz .LBB282_219
.LBB282_204:
	s_and_not1_b32 vcc_lo, exec_lo, s1
	s_cbranch_vccnz .LBB282_209
; %bb.205:
	s_and_not1_b32 vcc_lo, exec_lo, s37
	s_cbranch_vccnz .LBB282_210
; %bb.206:
	s_add_co_i32 s25, s36, 1
	s_cmp_eq_u32 s31, 2
	s_cbranch_scc1 .LBB282_222
; %bb.207:
	v_dual_mov_b32 v2, 0 :: v_dual_mov_b32 v3, 0
	v_mov_b32_e32 v1, v0
	s_and_b32 s24, s25, 28
	s_mov_b32 s38, 0
	s_mov_b64 s[26:27], s[2:3]
	s_mov_b64 s[28:29], s[22:23]
.LBB282_208:                            ; =>This Inner Loop Header: Depth=1
	s_clause 0x1
	s_load_b256 s[40:47], s[26:27], 0x4
	s_load_b128 s[56:59], s[26:27], 0x24
	s_load_b256 s[48:55], s[28:29], 0x0
	s_add_co_i32 s38, s38, 4
	s_wait_xcnt 0x0
	s_add_nc_u64 s[26:27], s[26:27], 48
	s_cmp_eq_u32 s24, s38
	s_add_nc_u64 s[28:29], s[28:29], 32
	s_wait_kmcnt 0x0
	v_mul_hi_u32 v4, s41, v1
	s_delay_alu instid0(VALU_DEP_1) | instskip(NEXT) | instid1(VALU_DEP_1)
	v_add_nc_u32_e32 v4, v1, v4
	v_lshrrev_b32_e32 v4, s42, v4
	s_delay_alu instid0(VALU_DEP_1) | instskip(NEXT) | instid1(VALU_DEP_1)
	v_mul_hi_u32 v5, s44, v4
	v_add_nc_u32_e32 v5, v4, v5
	s_delay_alu instid0(VALU_DEP_1) | instskip(NEXT) | instid1(VALU_DEP_1)
	v_lshrrev_b32_e32 v5, s45, v5
	v_mul_hi_u32 v6, s47, v5
	s_delay_alu instid0(VALU_DEP_1) | instskip(SKIP_1) | instid1(VALU_DEP_1)
	v_add_nc_u32_e32 v6, v5, v6
	v_mul_lo_u32 v7, v4, s40
	v_sub_nc_u32_e32 v1, v1, v7
	v_mul_lo_u32 v7, v5, s43
	s_delay_alu instid0(VALU_DEP_4) | instskip(NEXT) | instid1(VALU_DEP_3)
	v_lshrrev_b32_e32 v6, s56, v6
	v_mad_u32 v3, v1, s49, v3
	v_mad_u32 v1, v1, s48, v2
	s_delay_alu instid0(VALU_DEP_4) | instskip(NEXT) | instid1(VALU_DEP_4)
	v_sub_nc_u32_e32 v2, v4, v7
	v_mul_hi_u32 v8, s58, v6
	v_mul_lo_u32 v4, v6, s46
	s_delay_alu instid0(VALU_DEP_3) | instskip(SKIP_1) | instid1(VALU_DEP_4)
	v_mad_u32 v3, v2, s51, v3
	v_mad_u32 v2, v2, s50, v1
	v_add_nc_u32_e32 v7, v6, v8
	s_delay_alu instid0(VALU_DEP_1) | instskip(NEXT) | instid1(VALU_DEP_1)
	v_dual_sub_nc_u32 v4, v5, v4 :: v_dual_lshrrev_b32 v1, s59, v7
	v_mad_u32 v3, v4, s53, v3
	s_delay_alu instid0(VALU_DEP_4) | instskip(NEXT) | instid1(VALU_DEP_3)
	v_mad_u32 v2, v4, s52, v2
	v_mul_lo_u32 v5, v1, s57
	s_delay_alu instid0(VALU_DEP_1) | instskip(NEXT) | instid1(VALU_DEP_1)
	v_sub_nc_u32_e32 v4, v6, v5
	v_mad_u32 v3, v4, s55, v3
	s_delay_alu instid0(VALU_DEP_4)
	v_mad_u32 v2, v4, s54, v2
	s_cbranch_scc0 .LBB282_208
	s_branch .LBB282_223
.LBB282_209:
                                        ; implicit-def: $vgpr3
	s_branch .LBB282_227
.LBB282_210:
	v_dual_mov_b32 v3, 0 :: v_dual_mov_b32 v2, 0
	s_branch .LBB282_226
.LBB282_211:
	v_mov_b64_e32 v[2:3], 0
	v_mov_b32_e32 v1, v0
	s_mov_b32 s24, 0
.LBB282_212:
	s_and_b32 s28, s25, 3
	s_mov_b32 s25, 0
	s_cmp_eq_u32 s28, 0
	s_cbranch_scc1 .LBB282_215
; %bb.213:
	s_lshl_b32 s26, s24, 3
	s_mov_b32 s27, s25
	s_mul_u64 s[38:39], s[24:25], 12
	s_add_nc_u64 s[26:27], s[2:3], s[26:27]
	s_delay_alu instid0(SALU_CYCLE_1)
	s_add_nc_u64 s[24:25], s[26:27], 0xc4
	s_add_nc_u64 s[26:27], s[2:3], s[38:39]
.LBB282_214:                            ; =>This Inner Loop Header: Depth=1
	s_load_b96 s[40:42], s[26:27], 0x4
	s_load_b64 s[38:39], s[24:25], 0x0
	s_add_co_i32 s28, s28, -1
	s_wait_xcnt 0x0
	s_add_nc_u64 s[26:27], s[26:27], 12
	s_cmp_lg_u32 s28, 0
	s_add_nc_u64 s[24:25], s[24:25], 8
	s_wait_kmcnt 0x0
	v_mul_hi_u32 v4, s41, v1
	s_delay_alu instid0(VALU_DEP_1) | instskip(NEXT) | instid1(VALU_DEP_1)
	v_add_nc_u32_e32 v4, v1, v4
	v_lshrrev_b32_e32 v4, s42, v4
	s_delay_alu instid0(VALU_DEP_1) | instskip(NEXT) | instid1(VALU_DEP_1)
	v_mul_lo_u32 v5, v4, s40
	v_sub_nc_u32_e32 v1, v1, v5
	s_delay_alu instid0(VALU_DEP_1)
	v_mad_u32 v3, v1, s39, v3
	v_mad_u32 v2, v1, s38, v2
	v_mov_b32_e32 v1, v4
	s_cbranch_scc1 .LBB282_214
.LBB282_215:
	s_cbranch_execnz .LBB282_218
.LBB282_216:
	v_mov_b32_e32 v1, 0
	s_and_not1_b32 vcc_lo, exec_lo, s34
	s_delay_alu instid0(VALU_DEP_1) | instskip(NEXT) | instid1(VALU_DEP_1)
	v_mul_u64_e32 v[2:3], s[16:17], v[0:1]
	v_add_nc_u32_e32 v2, v0, v3
	s_delay_alu instid0(VALU_DEP_1) | instskip(NEXT) | instid1(VALU_DEP_1)
	v_lshrrev_b32_e32 v4, s10, v2
	v_mul_lo_u32 v2, v4, s8
	s_delay_alu instid0(VALU_DEP_1) | instskip(SKIP_1) | instid1(VALU_DEP_1)
	v_sub_nc_u32_e32 v2, v0, v2
	s_wait_kmcnt 0x0
	v_mul_lo_u32 v3, v2, s13
	v_mul_lo_u32 v2, v2, s12
	s_cbranch_vccnz .LBB282_218
; %bb.217:
	v_mov_b32_e32 v5, v1
	s_delay_alu instid0(VALU_DEP_1) | instskip(NEXT) | instid1(VALU_DEP_1)
	v_mul_u64_e32 v[6:7], s[20:21], v[4:5]
	v_add_nc_u32_e32 v1, v4, v7
	s_delay_alu instid0(VALU_DEP_1) | instskip(NEXT) | instid1(VALU_DEP_1)
	v_lshrrev_b32_e32 v1, s19, v1
	v_mul_lo_u32 v1, v1, s11
	s_delay_alu instid0(VALU_DEP_1) | instskip(NEXT) | instid1(VALU_DEP_1)
	v_sub_nc_u32_e32 v1, v4, v1
	v_mad_u32 v2, v1, s14, v2
	v_mad_u32 v3, v1, s15, v3
.LBB282_218:
	s_wait_kmcnt 0x0
	global_load_u8 v1, v3, s[6:7]
	v_add_nc_u32_e32 v0, 0x80, v0
	s_wait_loadcnt 0x0
	v_lshlrev_b32_e32 v1, 24, v1
	s_wait_xcnt 0x0
	s_delay_alu instid0(VALU_DEP_1) | instskip(NEXT) | instid1(VALU_DEP_1)
	v_and_b32_e32 v3, 0x7f000000, v1
	v_clz_i32_u32_e32 v4, v3
	v_cmp_ne_u32_e32 vcc_lo, 0, v3
	v_add_nc_u32_e32 v6, 0x1000000, v3
	s_delay_alu instid0(VALU_DEP_3) | instskip(NEXT) | instid1(VALU_DEP_1)
	v_min_u32_e32 v4, 32, v4
	v_sub_nc_u32_e64 v4, v4, 4 clamp
	s_delay_alu instid0(VALU_DEP_1) | instskip(NEXT) | instid1(VALU_DEP_1)
	v_dual_lshlrev_b32 v5, v4, v3 :: v_dual_lshlrev_b32 v4, 23, v4
	v_lshrrev_b32_e32 v5, 4, v5
	s_delay_alu instid0(VALU_DEP_1) | instskip(NEXT) | instid1(VALU_DEP_1)
	v_dual_sub_nc_u32 v4, v5, v4 :: v_dual_ashrrev_i32 v5, 8, v6
	v_add_nc_u32_e32 v4, 0x3c000000, v4
	s_delay_alu instid0(VALU_DEP_1) | instskip(NEXT) | instid1(VALU_DEP_1)
	v_and_or_b32 v4, 0x7f800000, v5, v4
	v_cndmask_b32_e32 v3, 0, v4, vcc_lo
	s_delay_alu instid0(VALU_DEP_1) | instskip(NEXT) | instid1(VALU_DEP_1)
	v_and_or_b32 v1, 0x80000000, v1, v3
	v_cmp_eq_f32_e32 vcc_lo, s9, v1
	v_cndmask_b32_e64 v3, 0, 1, vcc_lo
	v_cmp_neq_f32_e32 vcc_lo, s9, v1
	v_cndmask_b32_e64 v1, 0, 1, vcc_lo
	s_delay_alu instid0(VALU_DEP_1) | instskip(NEXT) | instid1(VALU_DEP_1)
	v_cndmask_b32_e64 v1, v1, v3, s0
	v_and_b32_e32 v1, 1, v1
	global_store_b8 v2, v1, s[4:5]
	s_wait_xcnt 0x0
	s_or_b32 exec_lo, exec_lo, s18
	s_delay_alu instid0(SALU_CYCLE_1)
	s_mov_b32 s18, exec_lo
	v_cmpx_gt_i32_e64 s35, v0
	s_cbranch_execnz .LBB282_204
.LBB282_219:
	s_or_b32 exec_lo, exec_lo, s18
	s_delay_alu instid0(SALU_CYCLE_1)
	s_mov_b32 s18, exec_lo
	v_cmpx_gt_i32_e64 s35, v0
	s_cbranch_execnz .LBB282_230
.LBB282_220:
	s_or_b32 exec_lo, exec_lo, s18
                                        ; implicit-def: $vgpr16
                                        ; implicit-def: $vgpr0
	s_and_not1_saveexec_b32 s0, s33
	s_cbranch_execnz .LBB282_8
.LBB282_221:
	s_endpgm
.LBB282_222:
	v_mov_b64_e32 v[2:3], 0
	v_mov_b32_e32 v1, v0
	s_mov_b32 s24, 0
.LBB282_223:
	s_and_b32 s28, s25, 3
	s_mov_b32 s25, 0
	s_cmp_eq_u32 s28, 0
	s_cbranch_scc1 .LBB282_226
; %bb.224:
	s_lshl_b32 s26, s24, 3
	s_mov_b32 s27, s25
	s_mul_u64 s[38:39], s[24:25], 12
	s_add_nc_u64 s[26:27], s[2:3], s[26:27]
	s_delay_alu instid0(SALU_CYCLE_1)
	s_add_nc_u64 s[24:25], s[26:27], 0xc4
	s_add_nc_u64 s[26:27], s[2:3], s[38:39]
.LBB282_225:                            ; =>This Inner Loop Header: Depth=1
	s_load_b96 s[40:42], s[26:27], 0x4
	s_load_b64 s[38:39], s[24:25], 0x0
	s_add_co_i32 s28, s28, -1
	s_wait_xcnt 0x0
	s_add_nc_u64 s[26:27], s[26:27], 12
	s_cmp_lg_u32 s28, 0
	s_add_nc_u64 s[24:25], s[24:25], 8
	s_wait_kmcnt 0x0
	v_mul_hi_u32 v4, s41, v1
	s_delay_alu instid0(VALU_DEP_1) | instskip(NEXT) | instid1(VALU_DEP_1)
	v_add_nc_u32_e32 v4, v1, v4
	v_lshrrev_b32_e32 v4, s42, v4
	s_delay_alu instid0(VALU_DEP_1) | instskip(NEXT) | instid1(VALU_DEP_1)
	v_mul_lo_u32 v5, v4, s40
	v_sub_nc_u32_e32 v1, v1, v5
	s_delay_alu instid0(VALU_DEP_1)
	v_mad_u32 v3, v1, s39, v3
	v_mad_u32 v2, v1, s38, v2
	v_mov_b32_e32 v1, v4
	s_cbranch_scc1 .LBB282_225
.LBB282_226:
	s_cbranch_execnz .LBB282_229
.LBB282_227:
	v_mov_b32_e32 v1, 0
	s_and_not1_b32 vcc_lo, exec_lo, s34
	s_delay_alu instid0(VALU_DEP_1) | instskip(NEXT) | instid1(VALU_DEP_1)
	v_mul_u64_e32 v[2:3], s[16:17], v[0:1]
	v_add_nc_u32_e32 v2, v0, v3
	s_delay_alu instid0(VALU_DEP_1) | instskip(NEXT) | instid1(VALU_DEP_1)
	v_lshrrev_b32_e32 v4, s10, v2
	v_mul_lo_u32 v2, v4, s8
	s_delay_alu instid0(VALU_DEP_1) | instskip(SKIP_1) | instid1(VALU_DEP_1)
	v_sub_nc_u32_e32 v2, v0, v2
	s_wait_kmcnt 0x0
	v_mul_lo_u32 v3, v2, s13
	v_mul_lo_u32 v2, v2, s12
	s_cbranch_vccnz .LBB282_229
; %bb.228:
	v_mov_b32_e32 v5, v1
	s_delay_alu instid0(VALU_DEP_1) | instskip(NEXT) | instid1(VALU_DEP_1)
	v_mul_u64_e32 v[6:7], s[20:21], v[4:5]
	v_add_nc_u32_e32 v1, v4, v7
	s_delay_alu instid0(VALU_DEP_1) | instskip(NEXT) | instid1(VALU_DEP_1)
	v_lshrrev_b32_e32 v1, s19, v1
	v_mul_lo_u32 v1, v1, s11
	s_delay_alu instid0(VALU_DEP_1) | instskip(NEXT) | instid1(VALU_DEP_1)
	v_sub_nc_u32_e32 v1, v4, v1
	v_mad_u32 v2, v1, s14, v2
	v_mad_u32 v3, v1, s15, v3
.LBB282_229:
	s_wait_kmcnt 0x0
	global_load_u8 v1, v3, s[6:7]
	v_add_nc_u32_e32 v0, 0x80, v0
	s_wait_loadcnt 0x0
	v_lshlrev_b32_e32 v1, 24, v1
	s_wait_xcnt 0x0
	s_delay_alu instid0(VALU_DEP_1) | instskip(NEXT) | instid1(VALU_DEP_1)
	v_and_b32_e32 v3, 0x7f000000, v1
	v_clz_i32_u32_e32 v4, v3
	v_cmp_ne_u32_e32 vcc_lo, 0, v3
	v_add_nc_u32_e32 v6, 0x1000000, v3
	s_delay_alu instid0(VALU_DEP_3) | instskip(NEXT) | instid1(VALU_DEP_1)
	v_min_u32_e32 v4, 32, v4
	v_sub_nc_u32_e64 v4, v4, 4 clamp
	s_delay_alu instid0(VALU_DEP_1) | instskip(NEXT) | instid1(VALU_DEP_1)
	v_dual_lshlrev_b32 v5, v4, v3 :: v_dual_lshlrev_b32 v4, 23, v4
	v_lshrrev_b32_e32 v5, 4, v5
	s_delay_alu instid0(VALU_DEP_1) | instskip(NEXT) | instid1(VALU_DEP_1)
	v_dual_sub_nc_u32 v4, v5, v4 :: v_dual_ashrrev_i32 v5, 8, v6
	v_add_nc_u32_e32 v4, 0x3c000000, v4
	s_delay_alu instid0(VALU_DEP_1) | instskip(NEXT) | instid1(VALU_DEP_1)
	v_and_or_b32 v4, 0x7f800000, v5, v4
	v_cndmask_b32_e32 v3, 0, v4, vcc_lo
	s_delay_alu instid0(VALU_DEP_1) | instskip(NEXT) | instid1(VALU_DEP_1)
	v_and_or_b32 v1, 0x80000000, v1, v3
	v_cmp_eq_f32_e32 vcc_lo, s9, v1
	v_cndmask_b32_e64 v3, 0, 1, vcc_lo
	v_cmp_neq_f32_e32 vcc_lo, s9, v1
	v_cndmask_b32_e64 v1, 0, 1, vcc_lo
	s_delay_alu instid0(VALU_DEP_1) | instskip(NEXT) | instid1(VALU_DEP_1)
	v_cndmask_b32_e64 v1, v1, v3, s0
	v_and_b32_e32 v1, 1, v1
	global_store_b8 v2, v1, s[4:5]
	s_wait_xcnt 0x0
	s_or_b32 exec_lo, exec_lo, s18
	s_delay_alu instid0(SALU_CYCLE_1)
	s_mov_b32 s18, exec_lo
	v_cmpx_gt_i32_e64 s35, v0
	s_cbranch_execz .LBB282_220
.LBB282_230:
	s_and_not1_b32 vcc_lo, exec_lo, s1
	s_cbranch_vccnz .LBB282_235
; %bb.231:
	s_and_not1_b32 vcc_lo, exec_lo, s37
	s_cbranch_vccnz .LBB282_236
; %bb.232:
	s_add_co_i32 s36, s36, 1
	s_cmp_eq_u32 s31, 2
	s_cbranch_scc1 .LBB282_237
; %bb.233:
	v_dual_mov_b32 v2, 0 :: v_dual_mov_b32 v3, 0
	v_mov_b32_e32 v1, v0
	s_and_b32 s24, s36, 28
	s_mov_b32 s25, 0
	s_mov_b64 s[26:27], s[2:3]
.LBB282_234:                            ; =>This Inner Loop Header: Depth=1
	s_clause 0x1
	s_load_b256 s[40:47], s[26:27], 0x4
	s_load_b128 s[56:59], s[26:27], 0x24
	s_load_b256 s[48:55], s[22:23], 0x0
	s_add_co_i32 s25, s25, 4
	s_wait_xcnt 0x0
	s_add_nc_u64 s[26:27], s[26:27], 48
	s_cmp_eq_u32 s24, s25
	s_add_nc_u64 s[22:23], s[22:23], 32
	s_wait_kmcnt 0x0
	v_mul_hi_u32 v4, s41, v1
	s_delay_alu instid0(VALU_DEP_1) | instskip(NEXT) | instid1(VALU_DEP_1)
	v_add_nc_u32_e32 v4, v1, v4
	v_lshrrev_b32_e32 v4, s42, v4
	s_delay_alu instid0(VALU_DEP_1) | instskip(NEXT) | instid1(VALU_DEP_1)
	v_mul_hi_u32 v5, s44, v4
	v_add_nc_u32_e32 v5, v4, v5
	s_delay_alu instid0(VALU_DEP_1) | instskip(NEXT) | instid1(VALU_DEP_1)
	v_lshrrev_b32_e32 v5, s45, v5
	v_mul_hi_u32 v6, s47, v5
	s_delay_alu instid0(VALU_DEP_1) | instskip(SKIP_1) | instid1(VALU_DEP_1)
	v_add_nc_u32_e32 v6, v5, v6
	v_mul_lo_u32 v7, v4, s40
	v_sub_nc_u32_e32 v1, v1, v7
	v_mul_lo_u32 v7, v5, s43
	s_delay_alu instid0(VALU_DEP_4) | instskip(NEXT) | instid1(VALU_DEP_3)
	v_lshrrev_b32_e32 v6, s56, v6
	v_mad_u32 v3, v1, s49, v3
	v_mad_u32 v1, v1, s48, v2
	s_delay_alu instid0(VALU_DEP_4) | instskip(NEXT) | instid1(VALU_DEP_4)
	v_sub_nc_u32_e32 v2, v4, v7
	v_mul_hi_u32 v8, s58, v6
	v_mul_lo_u32 v4, v6, s46
	s_delay_alu instid0(VALU_DEP_3) | instskip(SKIP_1) | instid1(VALU_DEP_4)
	v_mad_u32 v3, v2, s51, v3
	v_mad_u32 v2, v2, s50, v1
	v_add_nc_u32_e32 v7, v6, v8
	s_delay_alu instid0(VALU_DEP_1) | instskip(NEXT) | instid1(VALU_DEP_1)
	v_dual_sub_nc_u32 v4, v5, v4 :: v_dual_lshrrev_b32 v1, s59, v7
	v_mad_u32 v3, v4, s53, v3
	s_delay_alu instid0(VALU_DEP_4) | instskip(NEXT) | instid1(VALU_DEP_3)
	v_mad_u32 v2, v4, s52, v2
	v_mul_lo_u32 v5, v1, s57
	s_delay_alu instid0(VALU_DEP_1) | instskip(NEXT) | instid1(VALU_DEP_1)
	v_sub_nc_u32_e32 v4, v6, v5
	v_mad_u32 v3, v4, s55, v3
	s_delay_alu instid0(VALU_DEP_4)
	v_mad_u32 v2, v4, s54, v2
	s_cbranch_scc0 .LBB282_234
	s_branch .LBB282_238
.LBB282_235:
                                        ; implicit-def: $vgpr3
	s_branch .LBB282_242
.LBB282_236:
	v_dual_mov_b32 v3, 0 :: v_dual_mov_b32 v2, 0
	s_branch .LBB282_241
.LBB282_237:
	v_mov_b64_e32 v[2:3], 0
	v_mov_b32_e32 v1, v0
	s_mov_b32 s24, 0
.LBB282_238:
	s_and_b32 s26, s36, 3
	s_mov_b32 s25, 0
	s_cmp_eq_u32 s26, 0
	s_cbranch_scc1 .LBB282_241
; %bb.239:
	s_lshl_b32 s22, s24, 3
	s_mov_b32 s23, s25
	s_mul_u64 s[24:25], s[24:25], 12
	s_add_nc_u64 s[22:23], s[2:3], s[22:23]
	s_add_nc_u64 s[24:25], s[2:3], s[24:25]
	;; [unrolled: 1-line block ×3, first 2 shown]
.LBB282_240:                            ; =>This Inner Loop Header: Depth=1
	s_load_b96 s[36:38], s[24:25], 0x4
	s_load_b64 s[28:29], s[22:23], 0x0
	s_add_co_i32 s26, s26, -1
	s_wait_xcnt 0x0
	s_add_nc_u64 s[24:25], s[24:25], 12
	s_cmp_lg_u32 s26, 0
	s_add_nc_u64 s[22:23], s[22:23], 8
	s_wait_kmcnt 0x0
	v_mul_hi_u32 v4, s37, v1
	s_delay_alu instid0(VALU_DEP_1) | instskip(NEXT) | instid1(VALU_DEP_1)
	v_add_nc_u32_e32 v4, v1, v4
	v_lshrrev_b32_e32 v4, s38, v4
	s_delay_alu instid0(VALU_DEP_1) | instskip(NEXT) | instid1(VALU_DEP_1)
	v_mul_lo_u32 v5, v4, s36
	v_sub_nc_u32_e32 v1, v1, v5
	s_delay_alu instid0(VALU_DEP_1)
	v_mad_u32 v3, v1, s29, v3
	v_mad_u32 v2, v1, s28, v2
	v_mov_b32_e32 v1, v4
	s_cbranch_scc1 .LBB282_240
.LBB282_241:
	s_cbranch_execnz .LBB282_244
.LBB282_242:
	v_mov_b32_e32 v1, 0
	s_and_not1_b32 vcc_lo, exec_lo, s34
	s_delay_alu instid0(VALU_DEP_1) | instskip(NEXT) | instid1(VALU_DEP_1)
	v_mul_u64_e32 v[2:3], s[16:17], v[0:1]
	v_add_nc_u32_e32 v2, v0, v3
	s_delay_alu instid0(VALU_DEP_1) | instskip(NEXT) | instid1(VALU_DEP_1)
	v_lshrrev_b32_e32 v4, s10, v2
	v_mul_lo_u32 v2, v4, s8
	s_delay_alu instid0(VALU_DEP_1) | instskip(SKIP_1) | instid1(VALU_DEP_1)
	v_sub_nc_u32_e32 v0, v0, v2
	s_wait_kmcnt 0x0
	v_mul_lo_u32 v3, v0, s13
	v_mul_lo_u32 v2, v0, s12
	s_cbranch_vccnz .LBB282_244
; %bb.243:
	v_mov_b32_e32 v5, v1
	s_delay_alu instid0(VALU_DEP_1) | instskip(NEXT) | instid1(VALU_DEP_1)
	v_mul_u64_e32 v[0:1], s[20:21], v[4:5]
	v_add_nc_u32_e32 v0, v4, v1
	s_delay_alu instid0(VALU_DEP_1) | instskip(NEXT) | instid1(VALU_DEP_1)
	v_lshrrev_b32_e32 v0, s19, v0
	v_mul_lo_u32 v0, v0, s11
	s_delay_alu instid0(VALU_DEP_1) | instskip(NEXT) | instid1(VALU_DEP_1)
	v_sub_nc_u32_e32 v0, v4, v0
	v_mad_u32 v2, v0, s14, v2
	v_mad_u32 v3, v0, s15, v3
.LBB282_244:
	s_wait_kmcnt 0x0
	global_load_u8 v0, v3, s[6:7]
	s_wait_loadcnt 0x0
	v_lshlrev_b32_e32 v0, 24, v0
	s_delay_alu instid0(VALU_DEP_1) | instskip(SKIP_1) | instid1(VALU_DEP_1)
	v_and_b32_e32 v1, 0x7f000000, v0
	s_wait_xcnt 0x0
	v_clz_i32_u32_e32 v3, v1
	v_add_nc_u32_e32 v5, 0x1000000, v1
	v_cmp_ne_u32_e32 vcc_lo, 0, v1
	s_delay_alu instid0(VALU_DEP_3) | instskip(NEXT) | instid1(VALU_DEP_1)
	v_min_u32_e32 v3, 32, v3
	v_sub_nc_u32_e64 v3, v3, 4 clamp
	s_delay_alu instid0(VALU_DEP_1) | instskip(NEXT) | instid1(VALU_DEP_1)
	v_dual_lshlrev_b32 v4, v3, v1 :: v_dual_lshlrev_b32 v3, 23, v3
	v_lshrrev_b32_e32 v4, 4, v4
	s_delay_alu instid0(VALU_DEP_1) | instskip(NEXT) | instid1(VALU_DEP_1)
	v_dual_sub_nc_u32 v3, v4, v3 :: v_dual_ashrrev_i32 v4, 8, v5
	v_add_nc_u32_e32 v3, 0x3c000000, v3
	s_delay_alu instid0(VALU_DEP_1) | instskip(NEXT) | instid1(VALU_DEP_1)
	v_and_or_b32 v3, 0x7f800000, v4, v3
	v_cndmask_b32_e32 v1, 0, v3, vcc_lo
	s_delay_alu instid0(VALU_DEP_1) | instskip(NEXT) | instid1(VALU_DEP_1)
	v_and_or_b32 v0, 0x80000000, v0, v1
	v_cmp_eq_f32_e32 vcc_lo, s9, v0
	v_cndmask_b32_e64 v1, 0, 1, vcc_lo
	v_cmp_neq_f32_e32 vcc_lo, s9, v0
	v_cndmask_b32_e64 v0, 0, 1, vcc_lo
	s_delay_alu instid0(VALU_DEP_1) | instskip(NEXT) | instid1(VALU_DEP_1)
	v_cndmask_b32_e64 v0, v0, v1, s0
	v_and_b32_e32 v0, 1, v0
	global_store_b8 v2, v0, s[4:5]
	s_wait_xcnt 0x0
	s_or_b32 exec_lo, exec_lo, s18
                                        ; implicit-def: $vgpr16
                                        ; implicit-def: $vgpr0
	s_and_not1_saveexec_b32 s0, s33
	s_cbranch_execz .LBB282_221
	s_branch .LBB282_8
	.section	.rodata,"a",@progbits
	.p2align	6, 0x0
	.amdhsa_kernel _ZN2at6native32elementwise_kernel_manual_unrollILi128ELi8EZNS0_22gpu_kernel_impl_nocastINS0_13AUnaryFunctorIN3c1013Float8_e4m3fnES5_bNS0_12_GLOBAL__N_116CompareEqFunctorIS5_EEEEEEvRNS_18TensorIteratorBaseERKT_EUlibE_EEviT1_
		.amdhsa_group_segment_fixed_size 0
		.amdhsa_private_segment_fixed_size 0
		.amdhsa_kernarg_size 360
		.amdhsa_user_sgpr_count 2
		.amdhsa_user_sgpr_dispatch_ptr 0
		.amdhsa_user_sgpr_queue_ptr 0
		.amdhsa_user_sgpr_kernarg_segment_ptr 1
		.amdhsa_user_sgpr_dispatch_id 0
		.amdhsa_user_sgpr_kernarg_preload_length 0
		.amdhsa_user_sgpr_kernarg_preload_offset 0
		.amdhsa_user_sgpr_private_segment_size 0
		.amdhsa_wavefront_size32 1
		.amdhsa_uses_dynamic_stack 0
		.amdhsa_enable_private_segment 0
		.amdhsa_system_sgpr_workgroup_id_x 1
		.amdhsa_system_sgpr_workgroup_id_y 0
		.amdhsa_system_sgpr_workgroup_id_z 0
		.amdhsa_system_sgpr_workgroup_info 0
		.amdhsa_system_vgpr_workitem_id 0
		.amdhsa_next_free_vgpr 48
		.amdhsa_next_free_sgpr 60
		.amdhsa_named_barrier_count 0
		.amdhsa_reserve_vcc 1
		.amdhsa_float_round_mode_32 0
		.amdhsa_float_round_mode_16_64 0
		.amdhsa_float_denorm_mode_32 3
		.amdhsa_float_denorm_mode_16_64 3
		.amdhsa_fp16_overflow 0
		.amdhsa_memory_ordered 1
		.amdhsa_forward_progress 1
		.amdhsa_inst_pref_size 120
		.amdhsa_round_robin_scheduling 0
		.amdhsa_exception_fp_ieee_invalid_op 0
		.amdhsa_exception_fp_denorm_src 0
		.amdhsa_exception_fp_ieee_div_zero 0
		.amdhsa_exception_fp_ieee_overflow 0
		.amdhsa_exception_fp_ieee_underflow 0
		.amdhsa_exception_fp_ieee_inexact 0
		.amdhsa_exception_int_div_zero 0
	.end_amdhsa_kernel
	.section	.text._ZN2at6native32elementwise_kernel_manual_unrollILi128ELi8EZNS0_22gpu_kernel_impl_nocastINS0_13AUnaryFunctorIN3c1013Float8_e4m3fnES5_bNS0_12_GLOBAL__N_116CompareEqFunctorIS5_EEEEEEvRNS_18TensorIteratorBaseERKT_EUlibE_EEviT1_,"axG",@progbits,_ZN2at6native32elementwise_kernel_manual_unrollILi128ELi8EZNS0_22gpu_kernel_impl_nocastINS0_13AUnaryFunctorIN3c1013Float8_e4m3fnES5_bNS0_12_GLOBAL__N_116CompareEqFunctorIS5_EEEEEEvRNS_18TensorIteratorBaseERKT_EUlibE_EEviT1_,comdat
.Lfunc_end282:
	.size	_ZN2at6native32elementwise_kernel_manual_unrollILi128ELi8EZNS0_22gpu_kernel_impl_nocastINS0_13AUnaryFunctorIN3c1013Float8_e4m3fnES5_bNS0_12_GLOBAL__N_116CompareEqFunctorIS5_EEEEEEvRNS_18TensorIteratorBaseERKT_EUlibE_EEviT1_, .Lfunc_end282-_ZN2at6native32elementwise_kernel_manual_unrollILi128ELi8EZNS0_22gpu_kernel_impl_nocastINS0_13AUnaryFunctorIN3c1013Float8_e4m3fnES5_bNS0_12_GLOBAL__N_116CompareEqFunctorIS5_EEEEEEvRNS_18TensorIteratorBaseERKT_EUlibE_EEviT1_
                                        ; -- End function
	.set _ZN2at6native32elementwise_kernel_manual_unrollILi128ELi8EZNS0_22gpu_kernel_impl_nocastINS0_13AUnaryFunctorIN3c1013Float8_e4m3fnES5_bNS0_12_GLOBAL__N_116CompareEqFunctorIS5_EEEEEEvRNS_18TensorIteratorBaseERKT_EUlibE_EEviT1_.num_vgpr, 48
	.set _ZN2at6native32elementwise_kernel_manual_unrollILi128ELi8EZNS0_22gpu_kernel_impl_nocastINS0_13AUnaryFunctorIN3c1013Float8_e4m3fnES5_bNS0_12_GLOBAL__N_116CompareEqFunctorIS5_EEEEEEvRNS_18TensorIteratorBaseERKT_EUlibE_EEviT1_.num_agpr, 0
	.set _ZN2at6native32elementwise_kernel_manual_unrollILi128ELi8EZNS0_22gpu_kernel_impl_nocastINS0_13AUnaryFunctorIN3c1013Float8_e4m3fnES5_bNS0_12_GLOBAL__N_116CompareEqFunctorIS5_EEEEEEvRNS_18TensorIteratorBaseERKT_EUlibE_EEviT1_.numbered_sgpr, 60
	.set _ZN2at6native32elementwise_kernel_manual_unrollILi128ELi8EZNS0_22gpu_kernel_impl_nocastINS0_13AUnaryFunctorIN3c1013Float8_e4m3fnES5_bNS0_12_GLOBAL__N_116CompareEqFunctorIS5_EEEEEEvRNS_18TensorIteratorBaseERKT_EUlibE_EEviT1_.num_named_barrier, 0
	.set _ZN2at6native32elementwise_kernel_manual_unrollILi128ELi8EZNS0_22gpu_kernel_impl_nocastINS0_13AUnaryFunctorIN3c1013Float8_e4m3fnES5_bNS0_12_GLOBAL__N_116CompareEqFunctorIS5_EEEEEEvRNS_18TensorIteratorBaseERKT_EUlibE_EEviT1_.private_seg_size, 0
	.set _ZN2at6native32elementwise_kernel_manual_unrollILi128ELi8EZNS0_22gpu_kernel_impl_nocastINS0_13AUnaryFunctorIN3c1013Float8_e4m3fnES5_bNS0_12_GLOBAL__N_116CompareEqFunctorIS5_EEEEEEvRNS_18TensorIteratorBaseERKT_EUlibE_EEviT1_.uses_vcc, 1
	.set _ZN2at6native32elementwise_kernel_manual_unrollILi128ELi8EZNS0_22gpu_kernel_impl_nocastINS0_13AUnaryFunctorIN3c1013Float8_e4m3fnES5_bNS0_12_GLOBAL__N_116CompareEqFunctorIS5_EEEEEEvRNS_18TensorIteratorBaseERKT_EUlibE_EEviT1_.uses_flat_scratch, 0
	.set _ZN2at6native32elementwise_kernel_manual_unrollILi128ELi8EZNS0_22gpu_kernel_impl_nocastINS0_13AUnaryFunctorIN3c1013Float8_e4m3fnES5_bNS0_12_GLOBAL__N_116CompareEqFunctorIS5_EEEEEEvRNS_18TensorIteratorBaseERKT_EUlibE_EEviT1_.has_dyn_sized_stack, 0
	.set _ZN2at6native32elementwise_kernel_manual_unrollILi128ELi8EZNS0_22gpu_kernel_impl_nocastINS0_13AUnaryFunctorIN3c1013Float8_e4m3fnES5_bNS0_12_GLOBAL__N_116CompareEqFunctorIS5_EEEEEEvRNS_18TensorIteratorBaseERKT_EUlibE_EEviT1_.has_recursion, 0
	.set _ZN2at6native32elementwise_kernel_manual_unrollILi128ELi8EZNS0_22gpu_kernel_impl_nocastINS0_13AUnaryFunctorIN3c1013Float8_e4m3fnES5_bNS0_12_GLOBAL__N_116CompareEqFunctorIS5_EEEEEEvRNS_18TensorIteratorBaseERKT_EUlibE_EEviT1_.has_indirect_call, 0
	.section	.AMDGPU.csdata,"",@progbits
; Kernel info:
; codeLenInByte = 15308
; TotalNumSgprs: 62
; NumVgprs: 48
; ScratchSize: 0
; MemoryBound: 0
; FloatMode: 240
; IeeeMode: 1
; LDSByteSize: 0 bytes/workgroup (compile time only)
; SGPRBlocks: 0
; VGPRBlocks: 2
; NumSGPRsForWavesPerEU: 62
; NumVGPRsForWavesPerEU: 48
; NamedBarCnt: 0
; Occupancy: 16
; WaveLimiterHint : 1
; COMPUTE_PGM_RSRC2:SCRATCH_EN: 0
; COMPUTE_PGM_RSRC2:USER_SGPR: 2
; COMPUTE_PGM_RSRC2:TRAP_HANDLER: 0
; COMPUTE_PGM_RSRC2:TGID_X_EN: 1
; COMPUTE_PGM_RSRC2:TGID_Y_EN: 0
; COMPUTE_PGM_RSRC2:TGID_Z_EN: 0
; COMPUTE_PGM_RSRC2:TIDIG_COMP_CNT: 0
	.text
	.p2align	2                               ; -- Begin function _ZN2at6native6invokeINS0_13AUnaryFunctorIN3c1013Float8_e4m3fnES4_bNS0_12_GLOBAL__N_116CompareEqFunctorIS4_EEEEi15function_traitsIS8_EEENT1_11result_typeERKT_PrKPcPKT0_PKNS3_10ScalarTypeEi
	.type	_ZN2at6native6invokeINS0_13AUnaryFunctorIN3c1013Float8_e4m3fnES4_bNS0_12_GLOBAL__N_116CompareEqFunctorIS4_EEEEi15function_traitsIS8_EEENT1_11result_typeERKT_PrKPcPKT0_PKNS3_10ScalarTypeEi,@function
_ZN2at6native6invokeINS0_13AUnaryFunctorIN3c1013Float8_e4m3fnES4_bNS0_12_GLOBAL__N_116CompareEqFunctorIS4_EEEEi15function_traitsIS8_EEENT1_11result_typeERKT_PrKPcPKT0_PKNS3_10ScalarTypeEi: ; @_ZN2at6native6invokeINS0_13AUnaryFunctorIN3c1013Float8_e4m3fnES4_bNS0_12_GLOBAL__N_116CompareEqFunctorIS4_EEEEi15function_traitsIS8_EEENT1_11result_typeERKT_PrKPcPKT0_PKNS3_10ScalarTypeEi
; %bb.0:
	s_wait_loadcnt_dscnt 0x0
	s_wait_kmcnt 0x0
	v_mul_lo_u32 v6, v6, v4
	v_and_b32_e32 v5, 0xff, v5
	s_mov_b32 s1, 0
	s_mov_b32 s0, exec_lo
                                        ; implicit-def: $vgpr4
	s_delay_alu instid0(VALU_DEP_2) | instskip(NEXT) | instid1(VALU_DEP_1)
	v_ashrrev_i32_e32 v7, 31, v6
	v_add_nc_u64_e32 v[2:3], v[2:3], v[6:7]
	v_cmpx_lt_i16_e32 10, v5
	s_xor_b32 s0, exec_lo, s0
	s_cbranch_execz .LBB283_97
; %bb.1:
	s_mov_b32 s4, 0
	s_mov_b32 s3, 0
	s_mov_b32 s2, exec_lo
                                        ; implicit-def: $vgpr4
	v_cmpx_lt_i16_e32 25, v5
	s_xor_b32 s2, exec_lo, s2
	s_cbranch_execz .LBB283_228
; %bb.2:
	s_mov_b32 s5, 0
	s_mov_b32 s3, exec_lo
                                        ; implicit-def: $vgpr4
	v_cmpx_lt_i16_e32 28, v5
	s_xor_b32 s3, exec_lo, s3
	s_cbranch_execz .LBB283_42
; %bb.3:
	s_mov_b32 s6, 0
	s_mov_b32 s7, 0
	s_mov_b32 s4, exec_lo
                                        ; implicit-def: $vgpr4
	v_cmpx_lt_i16_e32 43, v5
	s_xor_b32 s4, exec_lo, s4
	s_cbranch_execz .LBB283_29
; %bb.4:
	s_mov_b32 s7, exec_lo
                                        ; implicit-def: $vgpr4
	v_cmpx_lt_i16_e32 45, v5
	s_xor_b32 s7, exec_lo, s7
	s_cbranch_execz .LBB283_16
; %bb.5:
	s_mov_b32 s8, -1
	s_mov_b32 s5, exec_lo
                                        ; implicit-def: $vgpr4
	v_cmpx_eq_u16_e32 46, v5
	s_cbranch_execz .LBB283_15
; %bb.6:
	flat_load_b32 v4, v[2:3]
	s_mov_b32 s6, exec_lo
                                        ; implicit-def: $vgpr5
	s_wait_loadcnt_dscnt 0x0
	v_lshlrev_b32_e32 v4, 16, v4
	s_delay_alu instid0(VALU_DEP_1) | instskip(SKIP_1) | instid1(VALU_DEP_1)
	v_and_b32_e32 v6, 0x7fffffff, v4
	s_wait_xcnt 0x0
	v_cmpx_gt_u32_e32 0x43f00000, v6
	s_xor_b32 s6, exec_lo, s6
	s_cbranch_execz .LBB283_12
; %bb.7:
	s_mov_b32 s8, exec_lo
                                        ; implicit-def: $vgpr5
	v_cmpx_lt_u32_e32 0x3c7fffff, v6
	s_xor_b32 s8, exec_lo, s8
; %bb.8:
	v_bfe_u32 v5, v4, 20, 1
	s_delay_alu instid0(VALU_DEP_1) | instskip(NEXT) | instid1(VALU_DEP_1)
	v_add3_u32 v5, v4, v5, 0x407ffff
	v_and_b32_e32 v6, 0xff00000, v5
	v_lshrrev_b32_e32 v5, 20, v5
	s_delay_alu instid0(VALU_DEP_2) | instskip(NEXT) | instid1(VALU_DEP_2)
	v_cmp_ne_u32_e32 vcc_lo, 0x7f00000, v6
	v_cndmask_b32_e32 v5, 0x7e, v5, vcc_lo
; %bb.9:
	s_and_not1_saveexec_b32 s8, s8
; %bb.10:
	v_add_f32_e64 v5, 0x46800000, |v4|
; %bb.11:
	s_or_b32 exec_lo, exec_lo, s8
                                        ; implicit-def: $vgpr6
.LBB283_12:
	s_and_not1_saveexec_b32 s6, s6
; %bb.13:
	v_mov_b32_e32 v5, 0x7f
	v_cmp_lt_u32_e32 vcc_lo, 0x7f800000, v6
	s_delay_alu instid0(VALU_DEP_2)
	v_cndmask_b32_e32 v5, 0x7e, v5, vcc_lo
; %bb.14:
	s_or_b32 exec_lo, exec_lo, s6
	v_lshrrev_b32_e32 v4, 24, v4
	s_mov_b32 s6, exec_lo
	s_xor_b32 s8, exec_lo, -1
	s_delay_alu instid0(VALU_DEP_1)
	v_and_or_b32 v4, 0x80, v4, v5
.LBB283_15:
	s_or_b32 exec_lo, exec_lo, s5
	s_delay_alu instid0(SALU_CYCLE_1)
	s_and_b32 s6, s6, exec_lo
	s_and_b32 s5, s8, exec_lo
                                        ; implicit-def: $vgpr5
.LBB283_16:
	s_and_not1_saveexec_b32 s7, s7
	s_cbranch_execz .LBB283_28
; %bb.17:
	s_mov_b32 s9, -1
	s_mov_b32 s10, s6
	s_mov_b32 s8, exec_lo
                                        ; implicit-def: $vgpr4
	v_cmpx_eq_u16_e32 44, v5
	s_cbranch_execz .LBB283_27
; %bb.18:
	flat_load_u8 v4, v[2:3]
	s_mov_b32 s9, exec_lo
	s_wait_loadcnt_dscnt 0x0
	v_lshlrev_b32_e32 v5, 23, v4
	v_cmp_ne_u32_e32 vcc_lo, 0xff, v4
	s_delay_alu instid0(VALU_DEP_2) | instskip(SKIP_1) | instid1(VALU_DEP_2)
	v_cndmask_b32_e32 v5, 0x7f800001, v5, vcc_lo
	v_cmp_ne_u32_e32 vcc_lo, 0, v4
                                        ; implicit-def: $vgpr4
	v_cndmask_b32_e32 v5, 0x400000, v5, vcc_lo
	s_wait_xcnt 0x0
	s_delay_alu instid0(VALU_DEP_1)
	v_cmpx_gt_u32_e32 0x43f00000, v5
	s_xor_b32 s9, exec_lo, s9
	s_cbranch_execz .LBB283_24
; %bb.19:
	s_mov_b32 s10, exec_lo
                                        ; implicit-def: $vgpr4
	v_cmpx_lt_u32_e32 0x3c7fffff, v5
	s_xor_b32 s10, exec_lo, s10
; %bb.20:
	v_bfe_u32 v4, v5, 20, 1
	s_delay_alu instid0(VALU_DEP_1) | instskip(NEXT) | instid1(VALU_DEP_1)
	v_add3_u32 v4, v5, v4, 0x407ffff
	v_and_b32_e32 v5, 0xff00000, v4
	v_lshrrev_b32_e32 v4, 20, v4
	s_delay_alu instid0(VALU_DEP_2) | instskip(NEXT) | instid1(VALU_DEP_2)
	v_cmp_ne_u32_e32 vcc_lo, 0x7f00000, v5
                                        ; implicit-def: $vgpr5
	v_cndmask_b32_e32 v4, 0x7e, v4, vcc_lo
; %bb.21:
	s_and_not1_saveexec_b32 s10, s10
; %bb.22:
	v_add_f32_e32 v4, 0x46800000, v5
; %bb.23:
	s_or_b32 exec_lo, exec_lo, s10
                                        ; implicit-def: $vgpr5
.LBB283_24:
	s_and_not1_saveexec_b32 s9, s9
; %bb.25:
	v_mov_b32_e32 v4, 0x7f
	v_cmp_lt_u32_e32 vcc_lo, 0x7f800000, v5
	s_delay_alu instid0(VALU_DEP_2)
	v_cndmask_b32_e32 v4, 0x7e, v4, vcc_lo
; %bb.26:
	s_or_b32 exec_lo, exec_lo, s9
	s_delay_alu instid0(SALU_CYCLE_1)
	s_or_b32 s10, s6, exec_lo
	s_xor_b32 s9, exec_lo, -1
.LBB283_27:
	s_or_b32 exec_lo, exec_lo, s8
	s_delay_alu instid0(SALU_CYCLE_1)
	s_and_not1_b32 s6, s6, exec_lo
	s_and_b32 s8, s10, exec_lo
	s_and_not1_b32 s5, s5, exec_lo
	s_and_b32 s9, s9, exec_lo
	s_or_b32 s6, s6, s8
	s_or_b32 s5, s5, s9
.LBB283_28:
	s_or_b32 exec_lo, exec_lo, s7
	s_delay_alu instid0(SALU_CYCLE_1)
	s_and_b32 s7, s6, exec_lo
	s_and_b32 s6, s5, exec_lo
                                        ; implicit-def: $vgpr5
.LBB283_29:
	s_and_not1_saveexec_b32 s4, s4
	s_cbranch_execz .LBB283_41
; %bb.30:
	s_mov_b32 s8, -1
	s_mov_b32 s9, s7
	s_mov_b32 s5, exec_lo
                                        ; implicit-def: $vgpr4
	v_cmpx_eq_u16_e32 29, v5
	s_cbranch_execz .LBB283_40
; %bb.31:
	flat_load_b64 v[4:5], v[2:3]
	s_mov_b32 s8, exec_lo
	s_wait_loadcnt_dscnt 0x0
	v_clz_i32_u32_e32 v6, v5
	s_delay_alu instid0(VALU_DEP_1) | instskip(NEXT) | instid1(VALU_DEP_1)
	v_min_u32_e32 v6, 32, v6
	v_lshlrev_b64_e32 v[4:5], v6, v[4:5]
	s_delay_alu instid0(VALU_DEP_1) | instskip(NEXT) | instid1(VALU_DEP_1)
	v_min_u32_e32 v4, 1, v4
	v_dual_sub_nc_u32 v5, 32, v6 :: v_dual_bitop2_b32 v4, v5, v4 bitop3:0x54
	s_delay_alu instid0(VALU_DEP_1) | instskip(NEXT) | instid1(VALU_DEP_1)
	v_cvt_f32_u32_e32 v4, v4
	v_ldexp_f32 v5, v4, v5
                                        ; implicit-def: $vgpr4
	s_wait_xcnt 0x0
	s_delay_alu instid0(VALU_DEP_1)
	v_cmpx_gt_u32_e32 0x43f00000, v5
	s_xor_b32 s8, exec_lo, s8
	s_cbranch_execz .LBB283_37
; %bb.32:
	s_mov_b32 s9, exec_lo
                                        ; implicit-def: $vgpr4
	v_cmpx_lt_u32_e32 0x3c7fffff, v5
	s_xor_b32 s9, exec_lo, s9
; %bb.33:
	v_bfe_u32 v4, v5, 20, 1
	s_delay_alu instid0(VALU_DEP_1) | instskip(NEXT) | instid1(VALU_DEP_1)
	v_add3_u32 v4, v5, v4, 0x407ffff
	v_and_b32_e32 v5, 0xff00000, v4
	v_lshrrev_b32_e32 v4, 20, v4
	s_delay_alu instid0(VALU_DEP_2) | instskip(NEXT) | instid1(VALU_DEP_2)
	v_cmp_ne_u32_e32 vcc_lo, 0x7f00000, v5
                                        ; implicit-def: $vgpr5
	v_cndmask_b32_e32 v4, 0x7e, v4, vcc_lo
; %bb.34:
	s_and_not1_saveexec_b32 s9, s9
; %bb.35:
	v_add_f32_e32 v4, 0x46800000, v5
; %bb.36:
	s_or_b32 exec_lo, exec_lo, s9
                                        ; implicit-def: $vgpr5
.LBB283_37:
	s_and_not1_saveexec_b32 s8, s8
; %bb.38:
	v_mov_b32_e32 v4, 0x7f
	v_cmp_lt_u32_e32 vcc_lo, 0x7f800000, v5
	s_delay_alu instid0(VALU_DEP_2)
	v_cndmask_b32_e32 v4, 0x7e, v4, vcc_lo
; %bb.39:
	s_or_b32 exec_lo, exec_lo, s8
	s_delay_alu instid0(SALU_CYCLE_1)
	s_or_b32 s9, s7, exec_lo
	s_xor_b32 s8, exec_lo, -1
.LBB283_40:
	s_or_b32 exec_lo, exec_lo, s5
	s_delay_alu instid0(SALU_CYCLE_1)
	s_and_not1_b32 s5, s7, exec_lo
	s_and_b32 s7, s9, exec_lo
	s_and_not1_b32 s6, s6, exec_lo
	s_and_b32 s8, s8, exec_lo
	s_or_b32 s7, s5, s7
	s_or_b32 s6, s6, s8
.LBB283_41:
	s_or_b32 exec_lo, exec_lo, s4
	s_delay_alu instid0(SALU_CYCLE_1)
	s_and_b32 s5, s7, exec_lo
	s_and_b32 s4, s6, exec_lo
                                        ; implicit-def: $vgpr5
.LBB283_42:
	s_and_not1_saveexec_b32 s3, s3
	s_cbranch_execz .LBB283_82
; %bb.43:
	s_mov_b32 s6, exec_lo
                                        ; implicit-def: $vgpr4
	v_cmpx_lt_i16_e32 26, v5
	s_xor_b32 s6, exec_lo, s6
	s_cbranch_execz .LBB283_65
; %bb.44:
	s_mov_b32 s7, exec_lo
                                        ; implicit-def: $vgpr4
	v_cmpx_lt_i16_e32 27, v5
	s_xor_b32 s7, exec_lo, s7
	s_cbranch_execz .LBB283_54
; %bb.45:
	flat_load_b32 v4, v[2:3]
	s_mov_b32 s8, exec_lo
	s_wait_loadcnt_dscnt 0x0
	v_cvt_f32_u32_e32 v5, v4
                                        ; implicit-def: $vgpr4
	s_wait_xcnt 0x0
	s_delay_alu instid0(VALU_DEP_1)
	v_cmpx_gt_u32_e32 0x43f00000, v5
	s_xor_b32 s8, exec_lo, s8
	s_cbranch_execz .LBB283_51
; %bb.46:
	s_mov_b32 s9, exec_lo
                                        ; implicit-def: $vgpr4
	v_cmpx_lt_u32_e32 0x3c7fffff, v5
	s_xor_b32 s9, exec_lo, s9
; %bb.47:
	v_bfe_u32 v4, v5, 20, 1
	s_delay_alu instid0(VALU_DEP_1) | instskip(NEXT) | instid1(VALU_DEP_1)
	v_add3_u32 v4, v5, v4, 0x407ffff
	v_and_b32_e32 v5, 0xff00000, v4
	v_lshrrev_b32_e32 v4, 20, v4
	s_delay_alu instid0(VALU_DEP_2) | instskip(NEXT) | instid1(VALU_DEP_2)
	v_cmp_ne_u32_e32 vcc_lo, 0x7f00000, v5
                                        ; implicit-def: $vgpr5
	v_cndmask_b32_e32 v4, 0x7e, v4, vcc_lo
; %bb.48:
	s_and_not1_saveexec_b32 s9, s9
; %bb.49:
	v_add_f32_e32 v4, 0x46800000, v5
; %bb.50:
	s_or_b32 exec_lo, exec_lo, s9
                                        ; implicit-def: $vgpr5
.LBB283_51:
	s_and_not1_saveexec_b32 s8, s8
; %bb.52:
	v_mov_b32_e32 v4, 0x7f
	v_cmp_lt_u32_e32 vcc_lo, 0x7f800000, v5
	s_delay_alu instid0(VALU_DEP_2)
	v_cndmask_b32_e32 v4, 0x7e, v4, vcc_lo
; %bb.53:
	s_or_b32 exec_lo, exec_lo, s8
.LBB283_54:
	s_and_not1_saveexec_b32 s7, s7
	s_cbranch_execz .LBB283_64
; %bb.55:
	flat_load_u16 v4, v[2:3]
	s_mov_b32 s8, exec_lo
	s_wait_loadcnt_dscnt 0x0
	v_cvt_f32_u32_e32 v5, v4
                                        ; implicit-def: $vgpr4
	s_wait_xcnt 0x0
	s_delay_alu instid0(VALU_DEP_1)
	v_cmpx_gt_u32_e32 0x43f00000, v5
	s_xor_b32 s8, exec_lo, s8
	s_cbranch_execz .LBB283_61
; %bb.56:
	s_mov_b32 s9, exec_lo
                                        ; implicit-def: $vgpr4
	v_cmpx_lt_u32_e32 0x3c7fffff, v5
	s_xor_b32 s9, exec_lo, s9
; %bb.57:
	v_bfe_u32 v4, v5, 20, 1
	s_delay_alu instid0(VALU_DEP_1) | instskip(NEXT) | instid1(VALU_DEP_1)
	v_add3_u32 v4, v5, v4, 0x407ffff
	v_and_b32_e32 v5, 0xff00000, v4
	v_lshrrev_b32_e32 v4, 20, v4
	s_delay_alu instid0(VALU_DEP_2) | instskip(NEXT) | instid1(VALU_DEP_2)
	v_cmp_ne_u32_e32 vcc_lo, 0x7f00000, v5
                                        ; implicit-def: $vgpr5
	v_cndmask_b32_e32 v4, 0x7e, v4, vcc_lo
; %bb.58:
	s_and_not1_saveexec_b32 s9, s9
; %bb.59:
	v_add_f32_e32 v4, 0x46800000, v5
; %bb.60:
	s_or_b32 exec_lo, exec_lo, s9
                                        ; implicit-def: $vgpr5
.LBB283_61:
	s_and_not1_saveexec_b32 s8, s8
; %bb.62:
	v_mov_b32_e32 v4, 0x7f
	v_cmp_lt_u32_e32 vcc_lo, 0x7f800000, v5
	s_delay_alu instid0(VALU_DEP_2)
	v_cndmask_b32_e32 v4, 0x7e, v4, vcc_lo
; %bb.63:
	s_or_b32 exec_lo, exec_lo, s8
.LBB283_64:
	s_delay_alu instid0(SALU_CYCLE_1)
	s_or_b32 exec_lo, exec_lo, s7
.LBB283_65:
	s_and_not1_saveexec_b32 s6, s6
	s_cbranch_execz .LBB283_81
; %bb.66:
	flat_load_u8 v5, v[2:3]
	s_mov_b32 s7, 0
	s_mov_b32 s8, exec_lo
	s_wait_loadcnt_dscnt 0x0
	v_cmpx_lt_i16_e32 0x7f, v5
	s_xor_b32 s8, exec_lo, s8
	s_cbranch_execz .LBB283_279
; %bb.67:
	s_mov_b32 s7, -1
	s_mov_b32 s9, exec_lo
	v_cmpx_eq_u16_e32 0x80, v5
; %bb.68:
	s_xor_b32 s7, exec_lo, -1
; %bb.69:
	s_or_b32 exec_lo, exec_lo, s9
	s_delay_alu instid0(SALU_CYCLE_1)
	s_and_b32 s7, s7, exec_lo
	s_or_saveexec_b32 s8, s8
	v_mov_b32_e32 v4, 0x7f800001
	s_xor_b32 exec_lo, exec_lo, s8
	s_cbranch_execnz .LBB283_280
.LBB283_70:
	s_or_b32 exec_lo, exec_lo, s8
	s_and_saveexec_b32 s8, s7
	s_cbranch_execz .LBB283_72
.LBB283_71:
	v_and_b32_e32 v4, 0xffff, v5
	s_delay_alu instid0(VALU_DEP_1) | instskip(SKIP_1) | instid1(VALU_DEP_2)
	v_and_b32_e32 v6, 7, v4
	v_bfe_u32 v9, v4, 3, 4
	v_clz_i32_u32_e32 v7, v6
	s_delay_alu instid0(VALU_DEP_2) | instskip(NEXT) | instid1(VALU_DEP_2)
	v_cmp_eq_u32_e32 vcc_lo, 0, v9
	v_min_u32_e32 v7, 32, v7
	s_delay_alu instid0(VALU_DEP_1) | instskip(NEXT) | instid1(VALU_DEP_1)
	v_subrev_nc_u32_e32 v8, 28, v7
	v_dual_lshlrev_b32 v4, v8, v4 :: v_dual_sub_nc_u32 v7, 29, v7
	s_delay_alu instid0(VALU_DEP_1) | instskip(NEXT) | instid1(VALU_DEP_1)
	v_dual_lshlrev_b32 v5, 24, v5 :: v_dual_bitop2_b32 v4, 7, v4 bitop3:0x40
	v_dual_cndmask_b32 v7, v9, v7 :: v_dual_cndmask_b32 v4, v6, v4
	s_delay_alu instid0(VALU_DEP_2) | instskip(NEXT) | instid1(VALU_DEP_2)
	v_and_b32_e32 v5, 0x80000000, v5
	v_lshl_add_u32 v6, v7, 23, 0x3b800000
	s_delay_alu instid0(VALU_DEP_3) | instskip(NEXT) | instid1(VALU_DEP_1)
	v_lshlrev_b32_e32 v4, 20, v4
	v_or3_b32 v4, v5, v6, v4
.LBB283_72:
	s_or_b32 exec_lo, exec_lo, s8
	s_delay_alu instid0(VALU_DEP_1) | instskip(SKIP_1) | instid1(VALU_DEP_1)
	v_and_b32_e32 v6, 0x7fffffff, v4
	s_mov_b32 s7, exec_lo
                                        ; implicit-def: $vgpr5
	v_cmpx_gt_u32_e32 0x43f00000, v6
	s_xor_b32 s7, exec_lo, s7
	s_cbranch_execz .LBB283_78
; %bb.73:
	s_mov_b32 s8, exec_lo
                                        ; implicit-def: $vgpr5
	v_cmpx_lt_u32_e32 0x3c7fffff, v6
	s_xor_b32 s8, exec_lo, s8
; %bb.74:
	v_bfe_u32 v5, v4, 20, 1
	s_delay_alu instid0(VALU_DEP_1) | instskip(NEXT) | instid1(VALU_DEP_1)
	v_add3_u32 v5, v4, v5, 0x407ffff
	v_and_b32_e32 v6, 0xff00000, v5
	v_lshrrev_b32_e32 v5, 20, v5
	s_delay_alu instid0(VALU_DEP_2) | instskip(NEXT) | instid1(VALU_DEP_2)
	v_cmp_ne_u32_e32 vcc_lo, 0x7f00000, v6
	v_cndmask_b32_e32 v5, 0x7e, v5, vcc_lo
; %bb.75:
	s_and_not1_saveexec_b32 s8, s8
; %bb.76:
	v_add_f32_e64 v5, 0x46800000, |v4|
; %bb.77:
	s_or_b32 exec_lo, exec_lo, s8
                                        ; implicit-def: $vgpr6
.LBB283_78:
	s_and_not1_saveexec_b32 s7, s7
; %bb.79:
	v_mov_b32_e32 v5, 0x7f
	v_cmp_lt_u32_e32 vcc_lo, 0x7f800000, v6
	s_delay_alu instid0(VALU_DEP_2)
	v_cndmask_b32_e32 v5, 0x7e, v5, vcc_lo
; %bb.80:
	s_or_b32 exec_lo, exec_lo, s7
	v_lshrrev_b32_e32 v4, 24, v4
	s_delay_alu instid0(VALU_DEP_1)
	v_and_or_b32 v4, 0x80, v4, v5
.LBB283_81:
	s_or_b32 exec_lo, exec_lo, s6
	s_delay_alu instid0(SALU_CYCLE_1)
	s_or_b32 s5, s5, exec_lo
.LBB283_82:
	s_or_b32 exec_lo, exec_lo, s3
	s_delay_alu instid0(SALU_CYCLE_1)
	s_and_b32 s3, s5, exec_lo
	s_and_b32 s4, s4, exec_lo
                                        ; implicit-def: $vgpr5
	s_and_not1_saveexec_b32 s2, s2
	s_cbranch_execnz .LBB283_229
.LBB283_83:
	s_or_b32 exec_lo, exec_lo, s2
	s_and_saveexec_b32 s2, s4
	s_cbranch_execnz .LBB283_278
.LBB283_84:
	s_or_b32 exec_lo, exec_lo, s2
	s_and_saveexec_b32 s2, s1
	s_cbranch_execz .LBB283_94
.LBB283_85:
	flat_load_u8 v2, v[2:3]
	s_mov_b32 s1, exec_lo
                                        ; implicit-def: $vgpr4
	s_wait_loadcnt_dscnt 0x0
	v_cmp_ne_u16_e32 vcc_lo, 0, v2
	s_wait_xcnt 0x0
	v_cndmask_b32_e64 v2, 0, 1.0, vcc_lo
	s_delay_alu instid0(VALU_DEP_1)
	v_cmpx_gt_u32_e32 0x43f00000, v2
	s_xor_b32 s1, exec_lo, s1
	s_cbranch_execz .LBB283_91
; %bb.86:
	s_mov_b32 s4, exec_lo
                                        ; implicit-def: $vgpr4
	v_cmpx_lt_u32_e32 0x3c7fffff, v2
	s_xor_b32 s4, exec_lo, s4
; %bb.87:
	v_bfe_u32 v3, v2, 20, 1
	s_delay_alu instid0(VALU_DEP_1) | instskip(NEXT) | instid1(VALU_DEP_1)
	v_add3_u32 v2, v2, v3, 0x407ffff
	v_and_b32_e32 v3, 0xff00000, v2
	v_lshrrev_b32_e32 v2, 20, v2
	s_delay_alu instid0(VALU_DEP_2) | instskip(NEXT) | instid1(VALU_DEP_2)
	v_cmp_ne_u32_e32 vcc_lo, 0x7f00000, v3
	v_cndmask_b32_e32 v4, 0x7e, v2, vcc_lo
                                        ; implicit-def: $vgpr2
; %bb.88:
	s_and_not1_saveexec_b32 s4, s4
; %bb.89:
	v_add_f32_e32 v4, 0x46800000, v2
; %bb.90:
	s_or_b32 exec_lo, exec_lo, s4
                                        ; implicit-def: $vgpr2
.LBB283_91:
	s_and_not1_saveexec_b32 s1, s1
; %bb.92:
	v_mov_b32_e32 v3, 0x7f
	v_cmp_lt_u32_e32 vcc_lo, 0x7f800000, v2
	s_delay_alu instid0(VALU_DEP_2)
	v_cndmask_b32_e32 v4, 0x7e, v3, vcc_lo
; %bb.93:
	s_or_b32 exec_lo, exec_lo, s1
	s_delay_alu instid0(SALU_CYCLE_1)
	s_or_b32 s3, s3, exec_lo
.LBB283_94:
	s_or_b32 exec_lo, exec_lo, s2
	s_delay_alu instid0(SALU_CYCLE_1)
	s_and_b32 s1, s3, exec_lo
                                        ; implicit-def: $vgpr5
                                        ; implicit-def: $vgpr2_vgpr3
	s_and_not1_saveexec_b32 s0, s0
	s_cbranch_execnz .LBB283_98
.LBB283_95:
	s_or_b32 exec_lo, exec_lo, s0
                                        ; implicit-def: $sgpr2
	s_and_saveexec_b32 s0, s1
	s_cbranch_execz .LBB283_227
.LBB283_96:
	s_wait_loadcnt_dscnt 0x0
	v_dual_lshlrev_b32 v1, 24, v1 :: v_dual_lshlrev_b32 v2, 24, v4
	s_delay_alu instid0(VALU_DEP_1) | instskip(NEXT) | instid1(VALU_DEP_2)
	v_and_b32_e32 v3, 0x7f000000, v1
	v_and_b32_e32 v4, 0x7f000000, v2
	s_delay_alu instid0(VALU_DEP_2) | instskip(NEXT) | instid1(VALU_DEP_2)
	v_clz_i32_u32_e32 v5, v3
	v_clz_i32_u32_e32 v6, v4
	v_cmp_ne_u32_e32 vcc_lo, 0, v3
	s_delay_alu instid0(VALU_DEP_3) | instskip(NEXT) | instid1(VALU_DEP_3)
	v_min_u32_e32 v5, 32, v5
	v_min_u32_e32 v6, 32, v6
	s_delay_alu instid0(VALU_DEP_2) | instskip(NEXT) | instid1(VALU_DEP_2)
	v_sub_nc_u32_e64 v5, v5, 4 clamp
	v_sub_nc_u32_e64 v6, v6, 4 clamp
	s_delay_alu instid0(VALU_DEP_1) | instskip(SKIP_1) | instid1(VALU_DEP_2)
	v_dual_lshlrev_b32 v7, v5, v3 :: v_dual_lshlrev_b32 v8, v6, v4
	v_dual_lshlrev_b32 v5, 23, v5 :: v_dual_lshlrev_b32 v6, 23, v6
	v_dual_lshrrev_b32 v7, 4, v7 :: v_dual_lshrrev_b32 v8, 4, v8
	s_delay_alu instid0(VALU_DEP_1) | instskip(SKIP_1) | instid1(VALU_DEP_2)
	v_dual_sub_nc_u32 v5, v7, v5 :: v_dual_sub_nc_u32 v6, v8, v6
	v_add_nc_u32_e32 v7, 0x1000000, v4
	v_add_nc_u32_e32 v5, 0x3c000000, v5
	s_delay_alu instid0(VALU_DEP_3) | instskip(NEXT) | instid1(VALU_DEP_3)
	v_add_nc_u32_e32 v6, 0x3c000000, v6
	v_ashrrev_i32_e32 v7, 8, v7
	s_delay_alu instid0(VALU_DEP_1) | instskip(SKIP_1) | instid1(VALU_DEP_1)
	v_and_or_b32 v6, 0x7f800000, v7, v6
	v_add_nc_u32_e32 v9, 0x1000000, v3
	v_ashrrev_i32_e32 v8, 8, v9
	s_delay_alu instid0(VALU_DEP_1) | instskip(NEXT) | instid1(VALU_DEP_1)
	v_and_or_b32 v5, 0x7f800000, v8, v5
	v_cndmask_b32_e32 v3, 0, v5, vcc_lo
	v_cmp_ne_u32_e32 vcc_lo, 0, v4
	s_delay_alu instid0(VALU_DEP_2) | instskip(SKIP_1) | instid1(VALU_DEP_1)
	v_and_or_b32 v1, 0x80000000, v1, v3
	v_cndmask_b32_e32 v4, 0, v6, vcc_lo
	v_and_or_b32 v2, 0x80000000, v2, v4
	s_delay_alu instid0(VALU_DEP_1) | instskip(SKIP_4) | instid1(VALU_DEP_2)
	v_cmp_eq_f32_e32 vcc_lo, v1, v2
	v_cndmask_b32_e64 v3, 0, 1, vcc_lo
	v_cmp_neq_f32_e32 vcc_lo, v1, v2
	v_cndmask_b32_e64 v1, 0, 1, vcc_lo
	v_cmp_eq_u32_e32 vcc_lo, 0, v0
	v_cndmask_b32_e32 v0, v1, v3, vcc_lo
	s_delay_alu instid0(VALU_DEP_1) | instskip(NEXT) | instid1(VALU_DEP_1)
	v_and_b32_e32 v0, 1, v0
	v_cmp_eq_u32_e64 s2, 1, v0
	s_or_b32 exec_lo, exec_lo, s0
	v_cndmask_b32_e64 v0, 0, 1, s2
	s_set_pc_i64 s[30:31]
.LBB283_97:
	s_and_not1_saveexec_b32 s0, s0
	s_cbranch_execz .LBB283_95
.LBB283_98:
	s_mov_b32 s2, exec_lo
                                        ; implicit-def: $vgpr4
	v_cmpx_lt_i16_e32 4, v5
	s_xor_b32 s2, exec_lo, s2
	s_cbranch_execz .LBB283_168
; %bb.99:
	s_mov_b32 s3, exec_lo
                                        ; implicit-def: $vgpr4
	v_cmpx_lt_i16_e32 7, v5
	s_xor_b32 s3, exec_lo, s3
	s_cbranch_execz .LBB283_133
; %bb.100:
	s_mov_b32 s4, exec_lo
                                        ; implicit-def: $vgpr4
	v_cmpx_lt_i16_e32 8, v5
	s_xor_b32 s4, exec_lo, s4
	s_cbranch_execz .LBB283_122
; %bb.101:
	s_mov_b32 s5, exec_lo
                                        ; implicit-def: $vgpr4
	v_cmpx_lt_i16_e32 9, v5
	s_xor_b32 s5, exec_lo, s5
	s_cbranch_execz .LBB283_111
; %bb.102:
	flat_load_b64 v[2:3], v[2:3]
	s_mov_b32 s6, exec_lo
	s_wait_loadcnt_dscnt 0x0
	v_cvt_f32_f64_e32 v2, v[2:3]
                                        ; implicit-def: $vgpr3
	s_delay_alu instid0(VALU_DEP_1) | instskip(NEXT) | instid1(VALU_DEP_1)
	v_and_b32_e32 v4, 0x7fffffff, v2
	v_cmpx_gt_u32_e32 0x43f00000, v4
	s_xor_b32 s6, exec_lo, s6
	s_cbranch_execz .LBB283_108
; %bb.103:
	s_mov_b32 s7, exec_lo
                                        ; implicit-def: $vgpr3
	v_cmpx_lt_u32_e32 0x3c7fffff, v4
	s_xor_b32 s7, exec_lo, s7
; %bb.104:
	v_bfe_u32 v3, v2, 20, 1
	s_delay_alu instid0(VALU_DEP_1) | instskip(NEXT) | instid1(VALU_DEP_1)
	v_add3_u32 v3, v2, v3, 0x407ffff
	v_and_b32_e32 v4, 0xff00000, v3
	v_lshrrev_b32_e32 v3, 20, v3
	s_delay_alu instid0(VALU_DEP_2) | instskip(NEXT) | instid1(VALU_DEP_2)
	v_cmp_ne_u32_e32 vcc_lo, 0x7f00000, v4
	v_cndmask_b32_e32 v3, 0x7e, v3, vcc_lo
; %bb.105:
	s_and_not1_saveexec_b32 s7, s7
; %bb.106:
	v_add_f32_e64 v3, 0x46800000, |v2|
; %bb.107:
	s_or_b32 exec_lo, exec_lo, s7
                                        ; implicit-def: $vgpr4
.LBB283_108:
	s_and_not1_saveexec_b32 s6, s6
; %bb.109:
	v_mov_b32_e32 v3, 0x7f
	v_cmp_lt_u32_e32 vcc_lo, 0x7f800000, v4
	s_delay_alu instid0(VALU_DEP_2)
	v_cndmask_b32_e32 v3, 0x7e, v3, vcc_lo
; %bb.110:
	s_or_b32 exec_lo, exec_lo, s6
	v_lshrrev_b32_e32 v2, 24, v2
	s_delay_alu instid0(VALU_DEP_1)
	v_and_or_b32 v4, 0x80, v2, v3
                                        ; implicit-def: $vgpr2_vgpr3
.LBB283_111:
	s_and_not1_saveexec_b32 s5, s5
	s_cbranch_execz .LBB283_121
; %bb.112:
	flat_load_b32 v2, v[2:3]
	s_mov_b32 s6, exec_lo
                                        ; implicit-def: $vgpr3
	s_wait_loadcnt_dscnt 0x0
	v_and_b32_e32 v4, 0x7fffffff, v2
	s_wait_xcnt 0x0
	s_delay_alu instid0(VALU_DEP_1)
	v_cmpx_gt_u32_e32 0x43f00000, v4
	s_xor_b32 s6, exec_lo, s6
	s_cbranch_execz .LBB283_118
; %bb.113:
	s_mov_b32 s7, exec_lo
                                        ; implicit-def: $vgpr3
	v_cmpx_lt_u32_e32 0x3c7fffff, v4
	s_xor_b32 s7, exec_lo, s7
; %bb.114:
	v_bfe_u32 v3, v2, 20, 1
	s_delay_alu instid0(VALU_DEP_1) | instskip(NEXT) | instid1(VALU_DEP_1)
	v_add3_u32 v3, v2, v3, 0x407ffff
	v_and_b32_e32 v4, 0xff00000, v3
	v_lshrrev_b32_e32 v3, 20, v3
	s_delay_alu instid0(VALU_DEP_2) | instskip(NEXT) | instid1(VALU_DEP_2)
	v_cmp_ne_u32_e32 vcc_lo, 0x7f00000, v4
	v_cndmask_b32_e32 v3, 0x7e, v3, vcc_lo
; %bb.115:
	s_and_not1_saveexec_b32 s7, s7
; %bb.116:
	v_add_f32_e64 v3, 0x46800000, |v2|
; %bb.117:
	s_or_b32 exec_lo, exec_lo, s7
                                        ; implicit-def: $vgpr4
.LBB283_118:
	s_and_not1_saveexec_b32 s6, s6
; %bb.119:
	v_mov_b32_e32 v3, 0x7f
	v_cmp_lt_u32_e32 vcc_lo, 0x7f800000, v4
	s_delay_alu instid0(VALU_DEP_2)
	v_cndmask_b32_e32 v3, 0x7e, v3, vcc_lo
; %bb.120:
	s_or_b32 exec_lo, exec_lo, s6
	v_lshrrev_b32_e32 v2, 24, v2
	s_delay_alu instid0(VALU_DEP_1)
	v_and_or_b32 v4, 0x80, v2, v3
.LBB283_121:
	s_or_b32 exec_lo, exec_lo, s5
                                        ; implicit-def: $vgpr2_vgpr3
.LBB283_122:
	s_and_not1_saveexec_b32 s4, s4
	s_cbranch_execz .LBB283_132
; %bb.123:
	flat_load_b32 v2, v[2:3]
	s_mov_b32 s5, exec_lo
                                        ; implicit-def: $vgpr3
	s_wait_loadcnt_dscnt 0x0
	v_cvt_f32_f16_e32 v2, v2
	s_delay_alu instid0(VALU_DEP_1) | instskip(NEXT) | instid1(VALU_DEP_1)
	v_and_b32_e32 v4, 0x7fffffff, v2
	v_cmpx_gt_u32_e32 0x43f00000, v4
	s_xor_b32 s5, exec_lo, s5
	s_cbranch_execz .LBB283_129
; %bb.124:
	s_mov_b32 s6, exec_lo
                                        ; implicit-def: $vgpr3
	v_cmpx_lt_u32_e32 0x3c7fffff, v4
	s_xor_b32 s6, exec_lo, s6
; %bb.125:
	v_bfe_u32 v3, v2, 20, 1
	s_delay_alu instid0(VALU_DEP_1) | instskip(NEXT) | instid1(VALU_DEP_1)
	v_add3_u32 v3, v2, v3, 0x407ffff
	v_and_b32_e32 v4, 0xff00000, v3
	v_lshrrev_b32_e32 v3, 20, v3
	s_delay_alu instid0(VALU_DEP_2) | instskip(NEXT) | instid1(VALU_DEP_2)
	v_cmp_ne_u32_e32 vcc_lo, 0x7f00000, v4
	v_cndmask_b32_e32 v3, 0x7e, v3, vcc_lo
; %bb.126:
	s_and_not1_saveexec_b32 s6, s6
; %bb.127:
	v_add_f32_e64 v3, 0x46800000, |v2|
; %bb.128:
	s_or_b32 exec_lo, exec_lo, s6
                                        ; implicit-def: $vgpr4
.LBB283_129:
	s_and_not1_saveexec_b32 s5, s5
; %bb.130:
	v_mov_b32_e32 v3, 0x7f
	v_cmp_lt_u32_e32 vcc_lo, 0x7f800000, v4
	s_delay_alu instid0(VALU_DEP_2)
	v_cndmask_b32_e32 v3, 0x7e, v3, vcc_lo
; %bb.131:
	s_or_b32 exec_lo, exec_lo, s5
	v_lshrrev_b32_e32 v2, 24, v2
	s_delay_alu instid0(VALU_DEP_1)
	v_and_or_b32 v4, 0x80, v2, v3
.LBB283_132:
	s_or_b32 exec_lo, exec_lo, s4
                                        ; implicit-def: $vgpr5
                                        ; implicit-def: $vgpr2_vgpr3
.LBB283_133:
	s_and_not1_saveexec_b32 s3, s3
	s_cbranch_execz .LBB283_167
; %bb.134:
	s_mov_b32 s4, exec_lo
                                        ; implicit-def: $vgpr4
	v_cmpx_lt_i16_e32 5, v5
	s_xor_b32 s4, exec_lo, s4
	s_cbranch_execz .LBB283_156
; %bb.135:
	s_mov_b32 s5, exec_lo
                                        ; implicit-def: $vgpr4
	v_cmpx_lt_i16_e32 6, v5
	s_xor_b32 s5, exec_lo, s5
	s_cbranch_execz .LBB283_145
; %bb.136:
	flat_load_b64 v[2:3], v[2:3]
	s_mov_b32 s6, exec_lo
	s_wait_loadcnt_dscnt 0x0
	v_cvt_f32_f64_e32 v2, v[2:3]
                                        ; implicit-def: $vgpr3
	s_delay_alu instid0(VALU_DEP_1) | instskip(NEXT) | instid1(VALU_DEP_1)
	v_and_b32_e32 v4, 0x7fffffff, v2
	v_cmpx_gt_u32_e32 0x43f00000, v4
	s_xor_b32 s6, exec_lo, s6
	s_cbranch_execz .LBB283_142
; %bb.137:
	s_mov_b32 s7, exec_lo
                                        ; implicit-def: $vgpr3
	v_cmpx_lt_u32_e32 0x3c7fffff, v4
	s_xor_b32 s7, exec_lo, s7
; %bb.138:
	v_bfe_u32 v3, v2, 20, 1
	s_delay_alu instid0(VALU_DEP_1) | instskip(NEXT) | instid1(VALU_DEP_1)
	v_add3_u32 v3, v2, v3, 0x407ffff
	v_and_b32_e32 v4, 0xff00000, v3
	v_lshrrev_b32_e32 v3, 20, v3
	s_delay_alu instid0(VALU_DEP_2) | instskip(NEXT) | instid1(VALU_DEP_2)
	v_cmp_ne_u32_e32 vcc_lo, 0x7f00000, v4
	v_cndmask_b32_e32 v3, 0x7e, v3, vcc_lo
; %bb.139:
	s_and_not1_saveexec_b32 s7, s7
; %bb.140:
	v_add_f32_e64 v3, 0x46800000, |v2|
; %bb.141:
	s_or_b32 exec_lo, exec_lo, s7
                                        ; implicit-def: $vgpr4
.LBB283_142:
	s_and_not1_saveexec_b32 s6, s6
; %bb.143:
	v_mov_b32_e32 v3, 0x7f
	v_cmp_lt_u32_e32 vcc_lo, 0x7f800000, v4
	s_delay_alu instid0(VALU_DEP_2)
	v_cndmask_b32_e32 v3, 0x7e, v3, vcc_lo
; %bb.144:
	s_or_b32 exec_lo, exec_lo, s6
	v_lshrrev_b32_e32 v2, 24, v2
	s_delay_alu instid0(VALU_DEP_1)
	v_and_or_b32 v4, 0x80, v2, v3
                                        ; implicit-def: $vgpr2_vgpr3
.LBB283_145:
	s_and_not1_saveexec_b32 s5, s5
	s_cbranch_execz .LBB283_155
; %bb.146:
	flat_load_b32 v2, v[2:3]
	s_mov_b32 s6, exec_lo
                                        ; implicit-def: $vgpr3
	s_wait_loadcnt_dscnt 0x0
	v_and_b32_e32 v4, 0x7fffffff, v2
	s_wait_xcnt 0x0
	s_delay_alu instid0(VALU_DEP_1)
	v_cmpx_gt_u32_e32 0x43f00000, v4
	s_xor_b32 s6, exec_lo, s6
	s_cbranch_execz .LBB283_152
; %bb.147:
	s_mov_b32 s7, exec_lo
                                        ; implicit-def: $vgpr3
	v_cmpx_lt_u32_e32 0x3c7fffff, v4
	s_xor_b32 s7, exec_lo, s7
; %bb.148:
	v_bfe_u32 v3, v2, 20, 1
	s_delay_alu instid0(VALU_DEP_1) | instskip(NEXT) | instid1(VALU_DEP_1)
	v_add3_u32 v3, v2, v3, 0x407ffff
	v_and_b32_e32 v4, 0xff00000, v3
	v_lshrrev_b32_e32 v3, 20, v3
	s_delay_alu instid0(VALU_DEP_2) | instskip(NEXT) | instid1(VALU_DEP_2)
	v_cmp_ne_u32_e32 vcc_lo, 0x7f00000, v4
	v_cndmask_b32_e32 v3, 0x7e, v3, vcc_lo
; %bb.149:
	s_and_not1_saveexec_b32 s7, s7
; %bb.150:
	v_add_f32_e64 v3, 0x46800000, |v2|
; %bb.151:
	s_or_b32 exec_lo, exec_lo, s7
                                        ; implicit-def: $vgpr4
.LBB283_152:
	s_and_not1_saveexec_b32 s6, s6
; %bb.153:
	v_mov_b32_e32 v3, 0x7f
	v_cmp_lt_u32_e32 vcc_lo, 0x7f800000, v4
	s_delay_alu instid0(VALU_DEP_2)
	v_cndmask_b32_e32 v3, 0x7e, v3, vcc_lo
; %bb.154:
	s_or_b32 exec_lo, exec_lo, s6
	v_lshrrev_b32_e32 v2, 24, v2
	s_delay_alu instid0(VALU_DEP_1)
	v_and_or_b32 v4, 0x80, v2, v3
.LBB283_155:
	s_or_b32 exec_lo, exec_lo, s5
                                        ; implicit-def: $vgpr2_vgpr3
.LBB283_156:
	s_and_not1_saveexec_b32 s4, s4
	s_cbranch_execz .LBB283_166
; %bb.157:
	flat_load_u16 v2, v[2:3]
	s_mov_b32 s5, exec_lo
                                        ; implicit-def: $vgpr3
	s_wait_loadcnt_dscnt 0x0
	v_cvt_f32_f16_e32 v2, v2
	s_delay_alu instid0(VALU_DEP_1) | instskip(NEXT) | instid1(VALU_DEP_1)
	v_and_b32_e32 v4, 0x7fffffff, v2
	v_cmpx_gt_u32_e32 0x43f00000, v4
	s_xor_b32 s5, exec_lo, s5
	s_cbranch_execz .LBB283_163
; %bb.158:
	s_mov_b32 s6, exec_lo
                                        ; implicit-def: $vgpr3
	v_cmpx_lt_u32_e32 0x3c7fffff, v4
	s_xor_b32 s6, exec_lo, s6
; %bb.159:
	v_bfe_u32 v3, v2, 20, 1
	s_delay_alu instid0(VALU_DEP_1) | instskip(NEXT) | instid1(VALU_DEP_1)
	v_add3_u32 v3, v2, v3, 0x407ffff
	v_and_b32_e32 v4, 0xff00000, v3
	v_lshrrev_b32_e32 v3, 20, v3
	s_delay_alu instid0(VALU_DEP_2) | instskip(NEXT) | instid1(VALU_DEP_2)
	v_cmp_ne_u32_e32 vcc_lo, 0x7f00000, v4
	v_cndmask_b32_e32 v3, 0x7e, v3, vcc_lo
; %bb.160:
	s_and_not1_saveexec_b32 s6, s6
; %bb.161:
	v_add_f32_e64 v3, 0x46800000, |v2|
; %bb.162:
	s_or_b32 exec_lo, exec_lo, s6
                                        ; implicit-def: $vgpr4
.LBB283_163:
	s_and_not1_saveexec_b32 s5, s5
; %bb.164:
	v_mov_b32_e32 v3, 0x7f
	v_cmp_lt_u32_e32 vcc_lo, 0x7f800000, v4
	s_delay_alu instid0(VALU_DEP_2)
	v_cndmask_b32_e32 v3, 0x7e, v3, vcc_lo
; %bb.165:
	s_or_b32 exec_lo, exec_lo, s5
	v_lshrrev_b32_e32 v2, 24, v2
	s_delay_alu instid0(VALU_DEP_1)
	v_and_or_b32 v4, 0x80, v2, v3
.LBB283_166:
	s_or_b32 exec_lo, exec_lo, s4
.LBB283_167:
	s_delay_alu instid0(SALU_CYCLE_1)
	s_or_b32 exec_lo, exec_lo, s3
                                        ; implicit-def: $vgpr5
                                        ; implicit-def: $vgpr2_vgpr3
.LBB283_168:
	s_and_not1_saveexec_b32 s2, s2
	s_cbranch_execz .LBB283_226
; %bb.169:
	s_mov_b32 s3, exec_lo
                                        ; implicit-def: $vgpr4
	v_cmpx_lt_i16_e32 1, v5
	s_xor_b32 s3, exec_lo, s3
	s_cbranch_execz .LBB283_203
; %bb.170:
	s_mov_b32 s4, exec_lo
                                        ; implicit-def: $vgpr4
	v_cmpx_lt_i16_e32 2, v5
	s_xor_b32 s4, exec_lo, s4
	;; [unrolled: 6-line block ×3, first 2 shown]
	s_cbranch_execz .LBB283_181
; %bb.172:
	flat_load_b64 v[2:3], v[2:3]
	s_mov_b32 s6, exec_lo
	s_wait_loadcnt_dscnt 0x0
	v_xor_b32_e32 v4, v2, v3
	v_cls_i32_e32 v5, v3
	s_delay_alu instid0(VALU_DEP_2) | instskip(NEXT) | instid1(VALU_DEP_1)
	v_ashrrev_i32_e32 v4, 31, v4
	v_add_nc_u32_e32 v4, 32, v4
	s_delay_alu instid0(VALU_DEP_1) | instskip(SKIP_1) | instid1(VALU_DEP_1)
	v_add_min_u32_e64 v4, v5, -1, v4
	s_wait_xcnt 0x0
	v_lshlrev_b64_e32 v[2:3], v4, v[2:3]
	s_delay_alu instid0(VALU_DEP_1) | instskip(NEXT) | instid1(VALU_DEP_1)
	v_min_u32_e32 v2, 1, v2
	v_dual_sub_nc_u32 v3, 32, v4 :: v_dual_bitop2_b32 v2, v3, v2 bitop3:0x54
	s_delay_alu instid0(VALU_DEP_1) | instskip(NEXT) | instid1(VALU_DEP_1)
	v_cvt_f32_i32_e32 v2, v2
	v_ldexp_f32 v2, v2, v3
                                        ; implicit-def: $vgpr3
	s_delay_alu instid0(VALU_DEP_1) | instskip(NEXT) | instid1(VALU_DEP_1)
	v_and_b32_e32 v4, 0x7fffffff, v2
	v_cmpx_gt_u32_e32 0x43f00000, v4
	s_xor_b32 s6, exec_lo, s6
	s_cbranch_execz .LBB283_178
; %bb.173:
	s_mov_b32 s7, exec_lo
                                        ; implicit-def: $vgpr3
	v_cmpx_lt_u32_e32 0x3c7fffff, v4
	s_xor_b32 s7, exec_lo, s7
; %bb.174:
	v_bfe_u32 v3, v2, 20, 1
	s_delay_alu instid0(VALU_DEP_1) | instskip(NEXT) | instid1(VALU_DEP_1)
	v_add3_u32 v3, v2, v3, 0x407ffff
	v_and_b32_e32 v4, 0xff00000, v3
	v_lshrrev_b32_e32 v3, 20, v3
	s_delay_alu instid0(VALU_DEP_2) | instskip(NEXT) | instid1(VALU_DEP_2)
	v_cmp_ne_u32_e32 vcc_lo, 0x7f00000, v4
	v_cndmask_b32_e32 v3, 0x7e, v3, vcc_lo
; %bb.175:
	s_and_not1_saveexec_b32 s7, s7
; %bb.176:
	v_add_f32_e64 v3, 0x46800000, |v2|
; %bb.177:
	s_or_b32 exec_lo, exec_lo, s7
                                        ; implicit-def: $vgpr4
.LBB283_178:
	s_and_not1_saveexec_b32 s6, s6
; %bb.179:
	v_mov_b32_e32 v3, 0x7f
	v_cmp_lt_u32_e32 vcc_lo, 0x7f800000, v4
	s_delay_alu instid0(VALU_DEP_2)
	v_cndmask_b32_e32 v3, 0x7e, v3, vcc_lo
; %bb.180:
	s_or_b32 exec_lo, exec_lo, s6
	v_lshrrev_b32_e32 v2, 24, v2
	s_delay_alu instid0(VALU_DEP_1)
	v_and_or_b32 v4, 0x80, v2, v3
                                        ; implicit-def: $vgpr2_vgpr3
.LBB283_181:
	s_and_not1_saveexec_b32 s5, s5
	s_cbranch_execz .LBB283_191
; %bb.182:
	flat_load_b32 v2, v[2:3]
	s_mov_b32 s6, exec_lo
                                        ; implicit-def: $vgpr3
	s_wait_loadcnt_dscnt 0x0
	v_cvt_f32_i32_e32 v2, v2
	s_delay_alu instid0(VALU_DEP_1) | instskip(NEXT) | instid1(VALU_DEP_1)
	v_and_b32_e32 v4, 0x7fffffff, v2
	v_cmpx_gt_u32_e32 0x43f00000, v4
	s_xor_b32 s6, exec_lo, s6
	s_cbranch_execz .LBB283_188
; %bb.183:
	s_mov_b32 s7, exec_lo
                                        ; implicit-def: $vgpr3
	v_cmpx_lt_u32_e32 0x3c7fffff, v4
	s_xor_b32 s7, exec_lo, s7
; %bb.184:
	v_bfe_u32 v3, v2, 20, 1
	s_delay_alu instid0(VALU_DEP_1) | instskip(NEXT) | instid1(VALU_DEP_1)
	v_add3_u32 v3, v2, v3, 0x407ffff
	v_and_b32_e32 v4, 0xff00000, v3
	v_lshrrev_b32_e32 v3, 20, v3
	s_delay_alu instid0(VALU_DEP_2) | instskip(NEXT) | instid1(VALU_DEP_2)
	v_cmp_ne_u32_e32 vcc_lo, 0x7f00000, v4
	v_cndmask_b32_e32 v3, 0x7e, v3, vcc_lo
; %bb.185:
	s_and_not1_saveexec_b32 s7, s7
; %bb.186:
	v_add_f32_e64 v3, 0x46800000, |v2|
; %bb.187:
	s_or_b32 exec_lo, exec_lo, s7
                                        ; implicit-def: $vgpr4
.LBB283_188:
	s_and_not1_saveexec_b32 s6, s6
; %bb.189:
	v_mov_b32_e32 v3, 0x7f
	v_cmp_lt_u32_e32 vcc_lo, 0x7f800000, v4
	s_delay_alu instid0(VALU_DEP_2)
	v_cndmask_b32_e32 v3, 0x7e, v3, vcc_lo
; %bb.190:
	s_or_b32 exec_lo, exec_lo, s6
	v_lshrrev_b32_e32 v2, 24, v2
	s_delay_alu instid0(VALU_DEP_1)
	v_and_or_b32 v4, 0x80, v2, v3
.LBB283_191:
	s_or_b32 exec_lo, exec_lo, s5
                                        ; implicit-def: $vgpr2_vgpr3
.LBB283_192:
	s_and_not1_saveexec_b32 s4, s4
	s_cbranch_execz .LBB283_202
; %bb.193:
	flat_load_i16 v2, v[2:3]
	s_mov_b32 s5, exec_lo
                                        ; implicit-def: $vgpr3
	s_wait_loadcnt_dscnt 0x0
	v_cvt_f32_i32_e32 v2, v2
	s_delay_alu instid0(VALU_DEP_1) | instskip(NEXT) | instid1(VALU_DEP_1)
	v_and_b32_e32 v4, 0x7fffffff, v2
	v_cmpx_gt_u32_e32 0x43f00000, v4
	s_xor_b32 s5, exec_lo, s5
	s_cbranch_execz .LBB283_199
; %bb.194:
	s_mov_b32 s6, exec_lo
                                        ; implicit-def: $vgpr3
	v_cmpx_lt_u32_e32 0x3c7fffff, v4
	s_xor_b32 s6, exec_lo, s6
; %bb.195:
	v_bfe_u32 v3, v2, 20, 1
	s_delay_alu instid0(VALU_DEP_1) | instskip(NEXT) | instid1(VALU_DEP_1)
	v_add3_u32 v3, v2, v3, 0x407ffff
	v_and_b32_e32 v4, 0xff00000, v3
	v_lshrrev_b32_e32 v3, 20, v3
	s_delay_alu instid0(VALU_DEP_2) | instskip(NEXT) | instid1(VALU_DEP_2)
	v_cmp_ne_u32_e32 vcc_lo, 0x7f00000, v4
	v_cndmask_b32_e32 v3, 0x7e, v3, vcc_lo
; %bb.196:
	s_and_not1_saveexec_b32 s6, s6
; %bb.197:
	v_add_f32_e64 v3, 0x46800000, |v2|
; %bb.198:
	s_or_b32 exec_lo, exec_lo, s6
                                        ; implicit-def: $vgpr4
.LBB283_199:
	s_and_not1_saveexec_b32 s5, s5
; %bb.200:
	v_mov_b32_e32 v3, 0x7f
	v_cmp_lt_u32_e32 vcc_lo, 0x7f800000, v4
	s_delay_alu instid0(VALU_DEP_2)
	v_cndmask_b32_e32 v3, 0x7e, v3, vcc_lo
; %bb.201:
	s_or_b32 exec_lo, exec_lo, s5
	v_lshrrev_b32_e32 v2, 24, v2
	s_delay_alu instid0(VALU_DEP_1)
	v_and_or_b32 v4, 0x80, v2, v3
.LBB283_202:
	s_or_b32 exec_lo, exec_lo, s4
                                        ; implicit-def: $vgpr5
                                        ; implicit-def: $vgpr2_vgpr3
.LBB283_203:
	s_and_not1_saveexec_b32 s3, s3
	s_cbranch_execz .LBB283_225
; %bb.204:
	s_mov_b32 s4, exec_lo
                                        ; implicit-def: $vgpr4
	v_cmpx_lt_i16_e32 0, v5
	s_xor_b32 s4, exec_lo, s4
	s_cbranch_execz .LBB283_214
; %bb.205:
	flat_load_i8 v2, v[2:3]
	s_mov_b32 s5, exec_lo
                                        ; implicit-def: $vgpr3
	s_wait_loadcnt_dscnt 0x0
	v_cvt_f32_i32_e32 v2, v2
	s_delay_alu instid0(VALU_DEP_1) | instskip(NEXT) | instid1(VALU_DEP_1)
	v_and_b32_e32 v4, 0x7fffffff, v2
	v_cmpx_gt_u32_e32 0x43f00000, v4
	s_xor_b32 s5, exec_lo, s5
	s_cbranch_execz .LBB283_211
; %bb.206:
	s_mov_b32 s6, exec_lo
                                        ; implicit-def: $vgpr3
	v_cmpx_lt_u32_e32 0x3c7fffff, v4
	s_xor_b32 s6, exec_lo, s6
; %bb.207:
	v_bfe_u32 v3, v2, 20, 1
	s_delay_alu instid0(VALU_DEP_1) | instskip(NEXT) | instid1(VALU_DEP_1)
	v_add3_u32 v3, v2, v3, 0x407ffff
	v_and_b32_e32 v4, 0xff00000, v3
	v_lshrrev_b32_e32 v3, 20, v3
	s_delay_alu instid0(VALU_DEP_2) | instskip(NEXT) | instid1(VALU_DEP_2)
	v_cmp_ne_u32_e32 vcc_lo, 0x7f00000, v4
	v_cndmask_b32_e32 v3, 0x7e, v3, vcc_lo
; %bb.208:
	s_and_not1_saveexec_b32 s6, s6
; %bb.209:
	v_add_f32_e64 v3, 0x46800000, |v2|
; %bb.210:
	s_or_b32 exec_lo, exec_lo, s6
                                        ; implicit-def: $vgpr4
.LBB283_211:
	s_and_not1_saveexec_b32 s5, s5
; %bb.212:
	v_mov_b32_e32 v3, 0x7f
	v_cmp_lt_u32_e32 vcc_lo, 0x7f800000, v4
	s_delay_alu instid0(VALU_DEP_2)
	v_cndmask_b32_e32 v3, 0x7e, v3, vcc_lo
; %bb.213:
	s_or_b32 exec_lo, exec_lo, s5
	v_lshrrev_b32_e32 v2, 24, v2
	s_delay_alu instid0(VALU_DEP_1)
	v_and_or_b32 v4, 0x80, v2, v3
                                        ; implicit-def: $vgpr2_vgpr3
.LBB283_214:
	s_and_not1_saveexec_b32 s4, s4
	s_cbranch_execz .LBB283_224
; %bb.215:
	flat_load_u8 v2, v[2:3]
	s_mov_b32 s5, exec_lo
                                        ; implicit-def: $vgpr4
	s_wait_loadcnt_dscnt 0x0
	v_cvt_f32_ubyte0_e32 v2, v2
	s_delay_alu instid0(VALU_DEP_1)
	v_cmpx_gt_u32_e32 0x43f00000, v2
	s_xor_b32 s5, exec_lo, s5
	s_cbranch_execz .LBB283_221
; %bb.216:
	s_mov_b32 s6, exec_lo
                                        ; implicit-def: $vgpr4
	v_cmpx_lt_u32_e32 0x3c7fffff, v2
	s_xor_b32 s6, exec_lo, s6
; %bb.217:
	v_bfe_u32 v3, v2, 20, 1
	s_delay_alu instid0(VALU_DEP_1) | instskip(NEXT) | instid1(VALU_DEP_1)
	v_add3_u32 v2, v2, v3, 0x407ffff
	v_and_b32_e32 v3, 0xff00000, v2
	v_lshrrev_b32_e32 v2, 20, v2
	s_delay_alu instid0(VALU_DEP_2) | instskip(NEXT) | instid1(VALU_DEP_2)
	v_cmp_ne_u32_e32 vcc_lo, 0x7f00000, v3
	v_cndmask_b32_e32 v4, 0x7e, v2, vcc_lo
                                        ; implicit-def: $vgpr2
; %bb.218:
	s_and_not1_saveexec_b32 s6, s6
; %bb.219:
	v_add_f32_e32 v4, 0x46800000, v2
; %bb.220:
	s_or_b32 exec_lo, exec_lo, s6
                                        ; implicit-def: $vgpr2
.LBB283_221:
	s_and_not1_saveexec_b32 s5, s5
; %bb.222:
	v_mov_b32_e32 v3, 0x7f
	v_cmp_lt_u32_e32 vcc_lo, 0x7f800000, v2
	s_delay_alu instid0(VALU_DEP_2)
	v_cndmask_b32_e32 v4, 0x7e, v3, vcc_lo
; %bb.223:
	s_or_b32 exec_lo, exec_lo, s5
.LBB283_224:
	s_delay_alu instid0(SALU_CYCLE_1)
	s_or_b32 exec_lo, exec_lo, s4
.LBB283_225:
	s_delay_alu instid0(SALU_CYCLE_1)
	s_or_b32 exec_lo, exec_lo, s3
.LBB283_226:
	s_delay_alu instid0(SALU_CYCLE_1) | instskip(NEXT) | instid1(SALU_CYCLE_1)
	s_or_b32 exec_lo, exec_lo, s2
	s_or_b32 s1, s1, exec_lo
	s_or_b32 exec_lo, exec_lo, s0
                                        ; implicit-def: $sgpr2
	s_and_saveexec_b32 s0, s1
	s_cbranch_execnz .LBB283_96
.LBB283_227:
	s_or_b32 exec_lo, exec_lo, s0
	v_cndmask_b32_e64 v0, 0, 1, s2
	s_wait_loadcnt_dscnt 0x0
	s_set_pc_i64 s[30:31]
.LBB283_228:
	s_and_not1_saveexec_b32 s2, s2
	s_cbranch_execz .LBB283_83
.LBB283_229:
	s_mov_b32 s5, s3
	s_mov_b32 s1, exec_lo
                                        ; implicit-def: $vgpr4
	v_cmpx_lt_i16_e32 22, v5
	s_xor_b32 s1, exec_lo, s1
	s_cbranch_execz .LBB283_261
; %bb.230:
	s_mov_b32 s5, exec_lo
                                        ; implicit-def: $vgpr4
	v_cmpx_lt_i16_e32 23, v5
	s_xor_b32 s5, exec_lo, s5
	s_cbranch_execz .LBB283_250
; %bb.231:
	;; [unrolled: 6-line block ×3, first 2 shown]
	flat_load_u8 v5, v[2:3]
	s_mov_b32 s7, 0
	s_mov_b32 s8, exec_lo
	s_wait_loadcnt_dscnt 0x0
	v_cmpx_lt_i16_e32 0x7f, v5
	s_xor_b32 s8, exec_lo, s8
	s_cbranch_execz .LBB283_281
; %bb.233:
	s_mov_b32 s7, -1
	s_mov_b32 s9, exec_lo
	v_cmpx_eq_u16_e32 0x80, v5
; %bb.234:
	s_xor_b32 s7, exec_lo, -1
; %bb.235:
	s_or_b32 exec_lo, exec_lo, s9
	s_delay_alu instid0(SALU_CYCLE_1)
	s_and_b32 s7, s7, exec_lo
	s_or_saveexec_b32 s8, s8
	v_mov_b32_e32 v4, 0x7f800001
	s_xor_b32 exec_lo, exec_lo, s8
	s_cbranch_execnz .LBB283_282
.LBB283_236:
	s_or_b32 exec_lo, exec_lo, s8
	s_and_saveexec_b32 s8, s7
	s_cbranch_execz .LBB283_238
.LBB283_237:
	v_and_b32_e32 v4, 0xffff, v5
	s_delay_alu instid0(VALU_DEP_1) | instskip(SKIP_1) | instid1(VALU_DEP_2)
	v_and_b32_e32 v6, 3, v4
	v_bfe_u32 v9, v4, 2, 5
	v_clz_i32_u32_e32 v7, v6
	s_delay_alu instid0(VALU_DEP_2) | instskip(NEXT) | instid1(VALU_DEP_2)
	v_cmp_eq_u32_e32 vcc_lo, 0, v9
	v_min_u32_e32 v7, 32, v7
	s_delay_alu instid0(VALU_DEP_1) | instskip(NEXT) | instid1(VALU_DEP_1)
	v_subrev_nc_u32_e32 v8, 29, v7
	v_dual_lshlrev_b32 v4, v8, v4 :: v_dual_sub_nc_u32 v7, 30, v7
	s_delay_alu instid0(VALU_DEP_1) | instskip(NEXT) | instid1(VALU_DEP_1)
	v_dual_lshlrev_b32 v5, 24, v5 :: v_dual_bitop2_b32 v4, 3, v4 bitop3:0x40
	v_dual_cndmask_b32 v7, v9, v7 :: v_dual_cndmask_b32 v4, v6, v4
	s_delay_alu instid0(VALU_DEP_2) | instskip(NEXT) | instid1(VALU_DEP_2)
	v_and_b32_e32 v5, 0x80000000, v5
	v_lshl_add_u32 v6, v7, 23, 0x37800000
	s_delay_alu instid0(VALU_DEP_3) | instskip(NEXT) | instid1(VALU_DEP_1)
	v_lshlrev_b32_e32 v4, 21, v4
	v_or3_b32 v4, v5, v6, v4
.LBB283_238:
	s_or_b32 exec_lo, exec_lo, s8
	s_delay_alu instid0(VALU_DEP_1) | instskip(SKIP_1) | instid1(VALU_DEP_1)
	v_and_b32_e32 v6, 0x7fffffff, v4
	s_mov_b32 s7, exec_lo
                                        ; implicit-def: $vgpr5
	v_cmpx_gt_u32_e32 0x43f00000, v6
	s_xor_b32 s7, exec_lo, s7
	s_cbranch_execz .LBB283_244
; %bb.239:
	s_mov_b32 s8, exec_lo
                                        ; implicit-def: $vgpr5
	v_cmpx_lt_u32_e32 0x3c7fffff, v6
	s_xor_b32 s8, exec_lo, s8
; %bb.240:
	v_bfe_u32 v5, v4, 20, 1
	s_delay_alu instid0(VALU_DEP_1) | instskip(NEXT) | instid1(VALU_DEP_1)
	v_add3_u32 v5, v4, v5, 0x407ffff
	v_and_b32_e32 v6, 0xff00000, v5
	v_lshrrev_b32_e32 v5, 20, v5
	s_delay_alu instid0(VALU_DEP_2) | instskip(NEXT) | instid1(VALU_DEP_2)
	v_cmp_ne_u32_e32 vcc_lo, 0x7f00000, v6
	v_cndmask_b32_e32 v5, 0x7e, v5, vcc_lo
; %bb.241:
	s_and_not1_saveexec_b32 s8, s8
; %bb.242:
	v_add_f32_e64 v5, 0x46800000, |v4|
; %bb.243:
	s_or_b32 exec_lo, exec_lo, s8
                                        ; implicit-def: $vgpr6
.LBB283_244:
	s_and_not1_saveexec_b32 s7, s7
; %bb.245:
	v_mov_b32_e32 v5, 0x7f
	v_cmp_lt_u32_e32 vcc_lo, 0x7f800000, v6
	s_delay_alu instid0(VALU_DEP_2)
	v_cndmask_b32_e32 v5, 0x7e, v5, vcc_lo
; %bb.246:
	s_or_b32 exec_lo, exec_lo, s7
	v_lshrrev_b32_e32 v4, 24, v4
	s_delay_alu instid0(VALU_DEP_1)
	v_and_or_b32 v4, 0x80, v4, v5
.LBB283_247:
	s_and_not1_saveexec_b32 s6, s6
	s_cbranch_execz .LBB283_249
; %bb.248:
	flat_load_u8 v4, v[2:3]
.LBB283_249:
	s_wait_xcnt 0x0
	s_or_b32 exec_lo, exec_lo, s6
.LBB283_250:
	s_and_not1_saveexec_b32 s5, s5
	s_cbranch_execz .LBB283_260
; %bb.251:
	s_wait_loadcnt_dscnt 0x0
	flat_load_u8 v4, v[2:3]
	s_mov_b32 s6, exec_lo
	s_wait_loadcnt_dscnt 0x0
	v_lshlrev_b32_e32 v5, 25, v4
	v_lshlrev_b16 v4, 8, v4
	s_delay_alu instid0(VALU_DEP_1) | instskip(SKIP_1) | instid1(VALU_DEP_2)
	v_and_or_b32 v7, 0x7f00, v4, 0.5
	v_bfe_i32 v4, v4, 0, 16
	v_dual_add_f32 v7, -0.5, v7 :: v_dual_lshrrev_b32 v6, 4, v5
	v_cmp_gt_u32_e32 vcc_lo, 0x8000000, v5
                                        ; implicit-def: $vgpr5
	s_delay_alu instid0(VALU_DEP_2) | instskip(NEXT) | instid1(VALU_DEP_1)
	v_or_b32_e32 v6, 0x70000000, v6
	v_mul_f32_e32 v6, 0x7800000, v6
	s_delay_alu instid0(VALU_DEP_1) | instskip(NEXT) | instid1(VALU_DEP_1)
	v_cndmask_b32_e32 v7, v6, v7, vcc_lo
	v_and_or_b32 v4, 0x80000000, v4, v7
	s_delay_alu instid0(VALU_DEP_1) | instskip(SKIP_1) | instid1(VALU_DEP_1)
	v_and_b32_e32 v6, 0x7fffffff, v4
	s_wait_xcnt 0x0
	v_cmpx_gt_u32_e32 0x43f00000, v6
	s_xor_b32 s6, exec_lo, s6
	s_cbranch_execz .LBB283_257
; %bb.252:
	s_mov_b32 s7, exec_lo
                                        ; implicit-def: $vgpr5
	v_cmpx_lt_u32_e32 0x3c7fffff, v6
	s_xor_b32 s7, exec_lo, s7
; %bb.253:
	v_bfe_u32 v5, v7, 20, 1
	s_delay_alu instid0(VALU_DEP_1) | instskip(NEXT) | instid1(VALU_DEP_1)
	v_add3_u32 v5, v4, v5, 0x407ffff
	v_and_b32_e32 v6, 0xff00000, v5
	v_lshrrev_b32_e32 v5, 20, v5
	s_delay_alu instid0(VALU_DEP_2) | instskip(NEXT) | instid1(VALU_DEP_2)
	v_cmp_ne_u32_e32 vcc_lo, 0x7f00000, v6
	v_cndmask_b32_e32 v5, 0x7e, v5, vcc_lo
; %bb.254:
	s_and_not1_saveexec_b32 s7, s7
; %bb.255:
	v_add_f32_e64 v5, 0x46800000, |v4|
; %bb.256:
	s_or_b32 exec_lo, exec_lo, s7
                                        ; implicit-def: $vgpr6
.LBB283_257:
	s_and_not1_saveexec_b32 s6, s6
; %bb.258:
	v_mov_b32_e32 v5, 0x7f
	v_cmp_lt_u32_e32 vcc_lo, 0x7f800000, v6
	s_delay_alu instid0(VALU_DEP_2)
	v_cndmask_b32_e32 v5, 0x7e, v5, vcc_lo
; %bb.259:
	s_or_b32 exec_lo, exec_lo, s6
	v_lshrrev_b32_e32 v4, 24, v4
	s_delay_alu instid0(VALU_DEP_1)
	v_and_or_b32 v4, 0x80, v4, v5
.LBB283_260:
	s_or_b32 exec_lo, exec_lo, s5
	s_delay_alu instid0(SALU_CYCLE_1)
	s_or_b32 s5, s3, exec_lo
                                        ; implicit-def: $vgpr5
.LBB283_261:
	s_or_saveexec_b32 s1, s1
	s_mov_b32 s6, 0
	s_mov_b32 s7, s4
	s_xor_b32 exec_lo, exec_lo, s1
	s_cbranch_execz .LBB283_277
; %bb.262:
	s_mov_b32 s7, s4
	s_mov_b32 s8, s5
	s_mov_b32 s6, exec_lo
                                        ; implicit-def: $vgpr4
	v_cmpx_lt_i16_e32 14, v5
	s_xor_b32 s6, exec_lo, s6
	s_cbranch_execz .LBB283_274
; %bb.263:
	s_mov_b32 s8, -1
	s_mov_b32 s9, s5
	s_mov_b32 s7, exec_lo
                                        ; implicit-def: $vgpr4
	v_cmpx_eq_u16_e32 15, v5
	s_cbranch_execz .LBB283_273
; %bb.264:
	s_wait_loadcnt_dscnt 0x0
	flat_load_u16 v4, v[2:3]
	s_mov_b32 s8, exec_lo
                                        ; implicit-def: $vgpr5
	s_wait_loadcnt_dscnt 0x0
	v_lshlrev_b32_e32 v6, 16, v4
	s_delay_alu instid0(VALU_DEP_1) | instskip(SKIP_1) | instid1(VALU_DEP_1)
	v_and_b32_e32 v7, 0x7fffffff, v6
	s_wait_xcnt 0x0
	v_cmpx_gt_u32_e32 0x43f00000, v7
	s_xor_b32 s8, exec_lo, s8
	s_cbranch_execz .LBB283_270
; %bb.265:
	s_mov_b32 s9, exec_lo
                                        ; implicit-def: $vgpr5
	v_cmpx_lt_u32_e32 0x3c7fffff, v7
	s_xor_b32 s9, exec_lo, s9
; %bb.266:
	v_bfe_u32 v5, v4, 4, 1
	s_delay_alu instid0(VALU_DEP_1) | instskip(NEXT) | instid1(VALU_DEP_1)
	v_add3_u32 v5, v6, v5, 0x407ffff
	v_and_b32_e32 v6, 0xff00000, v5
	v_lshrrev_b32_e32 v5, 20, v5
	s_delay_alu instid0(VALU_DEP_2) | instskip(NEXT) | instid1(VALU_DEP_2)
	v_cmp_ne_u32_e32 vcc_lo, 0x7f00000, v6
                                        ; implicit-def: $vgpr6
	v_cndmask_b32_e32 v5, 0x7e, v5, vcc_lo
; %bb.267:
	s_and_not1_saveexec_b32 s9, s9
; %bb.268:
	v_add_f32_e64 v5, 0x46800000, |v6|
; %bb.269:
	s_or_b32 exec_lo, exec_lo, s9
                                        ; implicit-def: $vgpr7
.LBB283_270:
	s_and_not1_saveexec_b32 s8, s8
; %bb.271:
	v_mov_b32_e32 v5, 0x7f
	v_cmp_lt_u32_e32 vcc_lo, 0x7f800000, v7
	s_delay_alu instid0(VALU_DEP_2)
	v_cndmask_b32_e32 v5, 0x7e, v5, vcc_lo
; %bb.272:
	s_or_b32 exec_lo, exec_lo, s8
	v_lshrrev_b32_e32 v4, 8, v4
	s_or_b32 s9, s5, exec_lo
	s_xor_b32 s8, exec_lo, -1
	s_delay_alu instid0(VALU_DEP_1)
	v_and_or_b32 v4, 0x80, v4, v5
.LBB283_273:
	s_or_b32 exec_lo, exec_lo, s7
	s_delay_alu instid0(SALU_CYCLE_1)
	s_and_not1_b32 s7, s5, exec_lo
	s_and_b32 s9, s9, exec_lo
	s_and_not1_b32 s10, s4, exec_lo
	s_and_b32 s11, s8, exec_lo
	s_or_b32 s8, s7, s9
	s_or_b32 s7, s10, s11
                                        ; implicit-def: $vgpr5
.LBB283_274:
	s_or_saveexec_b32 s6, s6
	s_mov_b32 s9, 0
	s_xor_b32 exec_lo, exec_lo, s6
; %bb.275:
	v_cmp_ne_u16_e32 vcc_lo, 11, v5
	s_and_not1_b32 s7, s7, exec_lo
	s_mov_b32 s9, exec_lo
	s_and_b32 s10, vcc_lo, exec_lo
	s_delay_alu instid0(SALU_CYCLE_1)
	s_or_b32 s7, s7, s10
; %bb.276:
	s_or_b32 exec_lo, exec_lo, s6
	s_delay_alu instid0(SALU_CYCLE_1)
	s_and_not1_b32 s5, s5, exec_lo
	s_and_b32 s6, s8, exec_lo
	s_and_not1_b32 s8, s4, exec_lo
	s_and_b32 s7, s7, exec_lo
	s_or_b32 s5, s5, s6
	s_and_b32 s6, s9, exec_lo
	s_or_b32 s7, s8, s7
.LBB283_277:
	s_or_b32 exec_lo, exec_lo, s1
	s_delay_alu instid0(SALU_CYCLE_1)
	s_and_not1_b32 s1, s3, exec_lo
	s_and_b32 s3, s5, exec_lo
	s_and_not1_b32 s4, s4, exec_lo
	s_and_b32 s5, s7, exec_lo
	s_or_b32 s3, s1, s3
	s_and_b32 s1, s6, exec_lo
	s_or_b32 s4, s4, s5
	s_or_b32 exec_lo, exec_lo, s2
	s_and_saveexec_b32 s2, s4
	s_cbranch_execz .LBB283_84
.LBB283_278:
	s_trap 2
	; divergent unreachable
	s_and_not1_b32 s1, s1, exec_lo
	s_or_b32 exec_lo, exec_lo, s2
	s_and_saveexec_b32 s2, s1
	s_cbranch_execnz .LBB283_85
	s_branch .LBB283_94
.LBB283_279:
	s_or_saveexec_b32 s8, s8
	v_mov_b32_e32 v4, 0x7f800001
	s_xor_b32 exec_lo, exec_lo, s8
	s_cbranch_execz .LBB283_70
.LBB283_280:
	v_cmp_ne_u16_e32 vcc_lo, 0, v5
	v_mov_b32_e32 v4, 0
	s_and_not1_b32 s7, s7, exec_lo
	s_and_b32 s9, vcc_lo, exec_lo
	s_delay_alu instid0(SALU_CYCLE_1)
	s_or_b32 s7, s7, s9
	s_or_b32 exec_lo, exec_lo, s8
	s_and_saveexec_b32 s8, s7
	s_cbranch_execnz .LBB283_71
	s_branch .LBB283_72
.LBB283_281:
	s_or_saveexec_b32 s8, s8
	v_mov_b32_e32 v4, 0x7f800001
	s_xor_b32 exec_lo, exec_lo, s8
	s_cbranch_execz .LBB283_236
.LBB283_282:
	v_cmp_ne_u16_e32 vcc_lo, 0, v5
	v_mov_b32_e32 v4, 0
	s_and_not1_b32 s7, s7, exec_lo
	s_and_b32 s9, vcc_lo, exec_lo
	s_delay_alu instid0(SALU_CYCLE_1)
	s_or_b32 s7, s7, s9
	s_or_b32 exec_lo, exec_lo, s8
	s_and_saveexec_b32 s8, s7
	s_cbranch_execnz .LBB283_237
	s_branch .LBB283_238
.Lfunc_end283:
	.size	_ZN2at6native6invokeINS0_13AUnaryFunctorIN3c1013Float8_e4m3fnES4_bNS0_12_GLOBAL__N_116CompareEqFunctorIS4_EEEEi15function_traitsIS8_EEENT1_11result_typeERKT_PrKPcPKT0_PKNS3_10ScalarTypeEi, .Lfunc_end283-_ZN2at6native6invokeINS0_13AUnaryFunctorIN3c1013Float8_e4m3fnES4_bNS0_12_GLOBAL__N_116CompareEqFunctorIS4_EEEEi15function_traitsIS8_EEENT1_11result_typeERKT_PrKPcPKT0_PKNS3_10ScalarTypeEi
                                        ; -- End function
	.set .L_ZN2at6native6invokeINS0_13AUnaryFunctorIN3c1013Float8_e4m3fnES4_bNS0_12_GLOBAL__N_116CompareEqFunctorIS4_EEEEi15function_traitsIS8_EEENT1_11result_typeERKT_PrKPcPKT0_PKNS3_10ScalarTypeEi.num_vgpr, 10
	.set .L_ZN2at6native6invokeINS0_13AUnaryFunctorIN3c1013Float8_e4m3fnES4_bNS0_12_GLOBAL__N_116CompareEqFunctorIS4_EEEEi15function_traitsIS8_EEENT1_11result_typeERKT_PrKPcPKT0_PKNS3_10ScalarTypeEi.num_agpr, 0
	.set .L_ZN2at6native6invokeINS0_13AUnaryFunctorIN3c1013Float8_e4m3fnES4_bNS0_12_GLOBAL__N_116CompareEqFunctorIS4_EEEEi15function_traitsIS8_EEENT1_11result_typeERKT_PrKPcPKT0_PKNS3_10ScalarTypeEi.numbered_sgpr, 32
	.set .L_ZN2at6native6invokeINS0_13AUnaryFunctorIN3c1013Float8_e4m3fnES4_bNS0_12_GLOBAL__N_116CompareEqFunctorIS4_EEEEi15function_traitsIS8_EEENT1_11result_typeERKT_PrKPcPKT0_PKNS3_10ScalarTypeEi.num_named_barrier, 0
	.set .L_ZN2at6native6invokeINS0_13AUnaryFunctorIN3c1013Float8_e4m3fnES4_bNS0_12_GLOBAL__N_116CompareEqFunctorIS4_EEEEi15function_traitsIS8_EEENT1_11result_typeERKT_PrKPcPKT0_PKNS3_10ScalarTypeEi.private_seg_size, 0
	.set .L_ZN2at6native6invokeINS0_13AUnaryFunctorIN3c1013Float8_e4m3fnES4_bNS0_12_GLOBAL__N_116CompareEqFunctorIS4_EEEEi15function_traitsIS8_EEENT1_11result_typeERKT_PrKPcPKT0_PKNS3_10ScalarTypeEi.uses_vcc, 1
	.set .L_ZN2at6native6invokeINS0_13AUnaryFunctorIN3c1013Float8_e4m3fnES4_bNS0_12_GLOBAL__N_116CompareEqFunctorIS4_EEEEi15function_traitsIS8_EEENT1_11result_typeERKT_PrKPcPKT0_PKNS3_10ScalarTypeEi.uses_flat_scratch, 0
	.set .L_ZN2at6native6invokeINS0_13AUnaryFunctorIN3c1013Float8_e4m3fnES4_bNS0_12_GLOBAL__N_116CompareEqFunctorIS4_EEEEi15function_traitsIS8_EEENT1_11result_typeERKT_PrKPcPKT0_PKNS3_10ScalarTypeEi.has_dyn_sized_stack, 0
	.set .L_ZN2at6native6invokeINS0_13AUnaryFunctorIN3c1013Float8_e4m3fnES4_bNS0_12_GLOBAL__N_116CompareEqFunctorIS4_EEEEi15function_traitsIS8_EEENT1_11result_typeERKT_PrKPcPKT0_PKNS3_10ScalarTypeEi.has_recursion, 0
	.set .L_ZN2at6native6invokeINS0_13AUnaryFunctorIN3c1013Float8_e4m3fnES4_bNS0_12_GLOBAL__N_116CompareEqFunctorIS4_EEEEi15function_traitsIS8_EEENT1_11result_typeERKT_PrKPcPKT0_PKNS3_10ScalarTypeEi.has_indirect_call, 0
	.section	.AMDGPU.csdata,"",@progbits
; Function info:
; codeLenInByte = 6380
; TotalNumSgprs: 34
; NumVgprs: 10
; ScratchSize: 0
; MemoryBound: 0
	.section	.text._ZN2at6native32elementwise_kernel_manual_unrollILi128ELi4EZNS0_15gpu_kernel_implINS0_13AUnaryFunctorIN3c1013Float8_e4m3fnES5_bNS0_12_GLOBAL__N_116CompareEqFunctorIS5_EEEEEEvRNS_18TensorIteratorBaseERKT_EUlibE_EEviT1_,"axG",@progbits,_ZN2at6native32elementwise_kernel_manual_unrollILi128ELi4EZNS0_15gpu_kernel_implINS0_13AUnaryFunctorIN3c1013Float8_e4m3fnES5_bNS0_12_GLOBAL__N_116CompareEqFunctorIS5_EEEEEEvRNS_18TensorIteratorBaseERKT_EUlibE_EEviT1_,comdat
	.globl	_ZN2at6native32elementwise_kernel_manual_unrollILi128ELi4EZNS0_15gpu_kernel_implINS0_13AUnaryFunctorIN3c1013Float8_e4m3fnES5_bNS0_12_GLOBAL__N_116CompareEqFunctorIS5_EEEEEEvRNS_18TensorIteratorBaseERKT_EUlibE_EEviT1_ ; -- Begin function _ZN2at6native32elementwise_kernel_manual_unrollILi128ELi4EZNS0_15gpu_kernel_implINS0_13AUnaryFunctorIN3c1013Float8_e4m3fnES5_bNS0_12_GLOBAL__N_116CompareEqFunctorIS5_EEEEEEvRNS_18TensorIteratorBaseERKT_EUlibE_EEviT1_
	.p2align	8
	.type	_ZN2at6native32elementwise_kernel_manual_unrollILi128ELi4EZNS0_15gpu_kernel_implINS0_13AUnaryFunctorIN3c1013Float8_e4m3fnES5_bNS0_12_GLOBAL__N_116CompareEqFunctorIS5_EEEEEEvRNS_18TensorIteratorBaseERKT_EUlibE_EEviT1_,@function
_ZN2at6native32elementwise_kernel_manual_unrollILi128ELi4EZNS0_15gpu_kernel_implINS0_13AUnaryFunctorIN3c1013Float8_e4m3fnES5_bNS0_12_GLOBAL__N_116CompareEqFunctorIS5_EEEEEEvRNS_18TensorIteratorBaseERKT_EUlibE_EEviT1_: ; @_ZN2at6native32elementwise_kernel_manual_unrollILi128ELi4EZNS0_15gpu_kernel_implINS0_13AUnaryFunctorIN3c1013Float8_e4m3fnES5_bNS0_12_GLOBAL__N_116CompareEqFunctorIS5_EEEEEEvRNS_18TensorIteratorBaseERKT_EUlibE_EEviT1_
; %bb.0:
	s_load_b32 s15, s[0:1], 0x28
	s_bfe_u32 s3, ttmp6, 0x4000c
	s_clause 0x1
	s_load_b32 s14, s[0:1], 0x0
	s_load_b256 s[16:23], s[0:1], 0x8
	s_add_co_i32 s3, s3, 1
	s_and_b32 s2, ttmp6, 15
	s_wait_xcnt 0x0
	s_mul_i32 s0, ttmp9, s3
	s_getreg_b32 s4, hwreg(HW_REG_IB_STS2, 6, 4)
	s_add_co_i32 s2, s2, s0
	s_mov_b32 s12, 0
	s_mov_b32 s25, 0
	s_mov_b32 s32, 0
	s_wait_kmcnt 0x0
	s_bfe_u32 s24, s15, 0x80008
	s_cmp_eq_u32 s4, 0
	s_cselect_b32 s0, ttmp9, s2
	s_delay_alu instid0(SALU_CYCLE_1) | instskip(SKIP_1) | instid1(VALU_DEP_1)
	v_lshl_or_b32 v10, s0, 9, v0
	s_mov_b32 s0, exec_lo
	v_or_b32_e32 v11, 0x180, v10
	s_delay_alu instid0(VALU_DEP_1)
	v_cmpx_le_i32_e64 s14, v11
	s_xor_b32 s13, exec_lo, s0
	s_cbranch_execz .LBB284_512
; %bb.1:
	s_mov_b32 s0, -1
	s_mov_b32 s27, 0
	s_mov_b32 s26, exec_lo
	v_cmpx_gt_i32_e64 s14, v10
	s_cbranch_execz .LBB284_124
; %bb.2:
	v_dual_mov_b32 v0, s22 :: v_dual_mov_b32 v1, s23
	v_dual_mov_b32 v2, s18 :: v_dual_mov_b32 v3, s19
	;; [unrolled: 1-line block ×3, first 2 shown]
	v_mov_b32_e32 v6, v10
	s_get_pc_i64 s[0:1]
	s_add_nc_u64 s[0:1], s[0:1], _ZN2at6native6invokeINS0_13AUnaryFunctorIN3c1013Float8_e4m3fnES4_bNS0_12_GLOBAL__N_116CompareEqFunctorIS4_EEEEi15function_traitsIS8_EEENT1_11result_typeERKT_PrKPcPKT0_PKNS3_10ScalarTypeEi@rel64+4
	s_delay_alu instid0(SALU_CYCLE_1) | instskip(SKIP_2) | instid1(SALU_CYCLE_1)
	s_swap_pc_i64 s[30:31], s[0:1]
	v_and_b32_e32 v0, 1, v0
	s_and_b32 s2, s15, 0xff
	s_cmp_lt_i32 s2, 11
	s_delay_alu instid0(VALU_DEP_1) | instskip(SKIP_1) | instid1(VALU_DEP_1)
	v_cmp_eq_u32_e64 s0, 1, v0
	v_mul_lo_u32 v0, v10, s20
	v_ashrrev_i32_e32 v1, 31, v0
	s_delay_alu instid0(VALU_DEP_1)
	v_add_nc_u64_e32 v[0:1], s[16:17], v[0:1]
	s_cbranch_scc1 .LBB284_9
; %bb.3:
	s_and_b32 s3, 0xffff, s2
	s_delay_alu instid0(SALU_CYCLE_1)
	s_cmp_gt_i32 s3, 25
	s_cbranch_scc0 .LBB284_12
; %bb.4:
	s_cmp_gt_i32 s3, 28
	s_cbranch_scc0 .LBB284_13
; %bb.5:
	;; [unrolled: 3-line block ×4, first 2 shown]
	s_mov_b32 s5, 0
	s_mov_b32 s1, -1
	s_cmp_eq_u32 s3, 46
	s_mov_b32 s4, 0
	s_cbranch_scc0 .LBB284_16
; %bb.8:
	v_cndmask_b32_e64 v2, 0, 1.0, s0
	s_mov_b32 s4, -1
	s_mov_b32 s1, 0
	s_delay_alu instid0(VALU_DEP_1) | instskip(NEXT) | instid1(VALU_DEP_1)
	v_bfe_u32 v3, v2, 16, 1
	v_add3_u32 v2, v2, v3, 0x7fff
	s_delay_alu instid0(VALU_DEP_1)
	v_lshrrev_b32_e32 v2, 16, v2
	global_store_b32 v[0:1], v2, off
	s_branch .LBB284_16
.LBB284_9:
	s_mov_b32 s1, 0
	s_mov_b32 s4, 0
	s_cbranch_execnz .LBB284_84
.LBB284_10:
	s_and_not1_b32 vcc_lo, exec_lo, s4
	s_cbranch_vccnz .LBB284_122
.LBB284_11:
	v_add_nc_u32_e32 v10, 0x80, v10
	s_mov_b32 s0, -1
	s_branch .LBB284_123
.LBB284_12:
	s_mov_b32 s1, 0
	s_mov_b32 s4, 0
	s_cbranch_execnz .LBB284_43
	s_branch .LBB284_83
.LBB284_13:
	s_mov_b32 s5, -1
	s_mov_b32 s1, 0
	s_mov_b32 s4, 0
	s_branch .LBB284_26
.LBB284_14:
	s_mov_b32 s5, -1
	s_mov_b32 s1, 0
	s_mov_b32 s4, 0
	s_branch .LBB284_22
.LBB284_15:
	s_mov_b32 s5, -1
	s_mov_b32 s1, 0
	s_mov_b32 s4, 0
.LBB284_16:
	s_and_b32 vcc_lo, exec_lo, s5
	s_cbranch_vccz .LBB284_21
; %bb.17:
	s_cmp_eq_u32 s3, 44
	s_mov_b32 s1, -1
	s_cbranch_scc0 .LBB284_21
; %bb.18:
	v_cndmask_b32_e64 v4, 0, 1.0, s0
	s_mov_b32 s4, exec_lo
	s_wait_xcnt 0x0
	s_delay_alu instid0(VALU_DEP_1) | instskip(NEXT) | instid1(VALU_DEP_1)
	v_dual_mov_b32 v3, 0xff :: v_dual_lshrrev_b32 v2, 23, v4
	v_cmpx_ne_u32_e32 0xff, v2
; %bb.19:
	v_and_b32_e32 v3, 0x400000, v4
	v_and_or_b32 v4, 0x3fffff, v4, v2
	s_delay_alu instid0(VALU_DEP_2) | instskip(NEXT) | instid1(VALU_DEP_2)
	v_cmp_ne_u32_e32 vcc_lo, 0, v3
	v_cmp_ne_u32_e64 s1, 0, v4
	s_and_b32 s1, vcc_lo, s1
	s_delay_alu instid0(SALU_CYCLE_1) | instskip(NEXT) | instid1(VALU_DEP_1)
	v_cndmask_b32_e64 v3, 0, 1, s1
	v_add_nc_u32_e32 v3, v2, v3
; %bb.20:
	s_or_b32 exec_lo, exec_lo, s4
	s_mov_b32 s4, -1
	s_mov_b32 s1, 0
	global_store_b8 v[0:1], v3, off
.LBB284_21:
	s_mov_b32 s5, 0
.LBB284_22:
	s_delay_alu instid0(SALU_CYCLE_1)
	s_and_b32 vcc_lo, exec_lo, s5
	s_cbranch_vccz .LBB284_25
; %bb.23:
	s_cmp_eq_u32 s3, 29
	s_mov_b32 s1, -1
	s_cbranch_scc0 .LBB284_25
; %bb.24:
	s_mov_b32 s1, 0
	s_wait_xcnt 0x0
	v_cndmask_b32_e64 v2, 0, 1, s0
	v_mov_b32_e32 v3, s1
	s_mov_b32 s4, -1
	s_mov_b32 s5, 0
	global_store_b64 v[0:1], v[2:3], off
	s_branch .LBB284_26
.LBB284_25:
	s_mov_b32 s5, 0
.LBB284_26:
	s_delay_alu instid0(SALU_CYCLE_1)
	s_and_b32 vcc_lo, exec_lo, s5
	s_cbranch_vccz .LBB284_42
; %bb.27:
	s_cmp_lt_i32 s3, 27
	s_mov_b32 s4, -1
	s_cbranch_scc1 .LBB284_33
; %bb.28:
	s_cmp_gt_i32 s3, 27
	s_cbranch_scc0 .LBB284_30
; %bb.29:
	s_wait_xcnt 0x0
	v_cndmask_b32_e64 v2, 0, 1, s0
	s_mov_b32 s4, 0
	global_store_b32 v[0:1], v2, off
.LBB284_30:
	s_and_not1_b32 vcc_lo, exec_lo, s4
	s_cbranch_vccnz .LBB284_32
; %bb.31:
	s_wait_xcnt 0x0
	v_cndmask_b32_e64 v2, 0, 1, s0
	global_store_b16 v[0:1], v2, off
.LBB284_32:
	s_mov_b32 s4, 0
.LBB284_33:
	s_delay_alu instid0(SALU_CYCLE_1)
	s_and_not1_b32 vcc_lo, exec_lo, s4
	s_cbranch_vccnz .LBB284_41
; %bb.34:
	s_wait_xcnt 0x0
	v_cndmask_b32_e64 v3, 0, 1.0, s0
	v_mov_b32_e32 v4, 0x80
	s_mov_b32 s4, exec_lo
	s_delay_alu instid0(VALU_DEP_2)
	v_cmpx_gt_u32_e32 0x43800000, v3
	s_cbranch_execz .LBB284_40
; %bb.35:
	s_mov_b32 s5, 0
	s_mov_b32 s6, exec_lo
                                        ; implicit-def: $vgpr2
	v_cmpx_lt_u32_e32 0x3bffffff, v3
	s_xor_b32 s6, exec_lo, s6
	s_cbranch_execz .LBB284_141
; %bb.36:
	v_bfe_u32 v2, v3, 20, 1
	s_mov_b32 s5, exec_lo
	s_delay_alu instid0(VALU_DEP_1) | instskip(NEXT) | instid1(VALU_DEP_1)
	v_add3_u32 v2, v3, v2, 0x487ffff
                                        ; implicit-def: $vgpr3
	v_lshrrev_b32_e32 v2, 20, v2
	s_and_not1_saveexec_b32 s6, s6
	s_cbranch_execnz .LBB284_142
.LBB284_37:
	s_or_b32 exec_lo, exec_lo, s6
	v_mov_b32_e32 v4, 0
	s_and_saveexec_b32 s6, s5
.LBB284_38:
	v_mov_b32_e32 v4, v2
.LBB284_39:
	s_or_b32 exec_lo, exec_lo, s6
.LBB284_40:
	s_delay_alu instid0(SALU_CYCLE_1)
	s_or_b32 exec_lo, exec_lo, s4
	global_store_b8 v[0:1], v4, off
.LBB284_41:
	s_mov_b32 s4, -1
.LBB284_42:
	s_branch .LBB284_83
.LBB284_43:
	s_cmp_gt_i32 s3, 22
	s_mov_b32 s5, -1
	s_cbranch_scc0 .LBB284_75
; %bb.44:
	s_cmp_lt_i32 s3, 24
	s_mov_b32 s4, -1
	s_cbranch_scc1 .LBB284_64
; %bb.45:
	s_cmp_gt_i32 s3, 24
	s_cbranch_scc0 .LBB284_53
; %bb.46:
	s_wait_xcnt 0x0
	v_cndmask_b32_e64 v3, 0, 1.0, s0
	v_mov_b32_e32 v4, 0x80
	s_mov_b32 s4, exec_lo
	s_delay_alu instid0(VALU_DEP_2)
	v_cmpx_gt_u32_e32 0x47800000, v3
	s_cbranch_execz .LBB284_52
; %bb.47:
	s_mov_b32 s5, 0
	s_mov_b32 s6, exec_lo
                                        ; implicit-def: $vgpr2
	v_cmpx_lt_u32_e32 0x37ffffff, v3
	s_xor_b32 s6, exec_lo, s6
	s_cbranch_execz .LBB284_144
; %bb.48:
	v_bfe_u32 v2, v3, 21, 1
	s_mov_b32 s5, exec_lo
	s_delay_alu instid0(VALU_DEP_1) | instskip(NEXT) | instid1(VALU_DEP_1)
	v_add3_u32 v2, v3, v2, 0x88fffff
                                        ; implicit-def: $vgpr3
	v_lshrrev_b32_e32 v2, 21, v2
	s_and_not1_saveexec_b32 s6, s6
	s_cbranch_execnz .LBB284_145
.LBB284_49:
	s_or_b32 exec_lo, exec_lo, s6
	v_mov_b32_e32 v4, 0
	s_and_saveexec_b32 s6, s5
.LBB284_50:
	v_mov_b32_e32 v4, v2
.LBB284_51:
	s_or_b32 exec_lo, exec_lo, s6
.LBB284_52:
	s_delay_alu instid0(SALU_CYCLE_1)
	s_or_b32 exec_lo, exec_lo, s4
	s_mov_b32 s4, 0
	global_store_b8 v[0:1], v4, off
.LBB284_53:
	s_and_b32 vcc_lo, exec_lo, s4
	s_cbranch_vccz .LBB284_63
; %bb.54:
	s_wait_xcnt 0x0
	v_cndmask_b32_e64 v3, 0, 1.0, s0
	s_mov_b32 s4, exec_lo
                                        ; implicit-def: $vgpr2
	s_delay_alu instid0(VALU_DEP_1)
	v_cmpx_gt_u32_e32 0x43f00000, v3
	s_xor_b32 s4, exec_lo, s4
	s_cbranch_execz .LBB284_60
; %bb.55:
	s_mov_b32 s5, exec_lo
                                        ; implicit-def: $vgpr2
	v_cmpx_lt_u32_e32 0x3c7fffff, v3
	s_xor_b32 s5, exec_lo, s5
; %bb.56:
	v_bfe_u32 v2, v3, 20, 1
	s_delay_alu instid0(VALU_DEP_1) | instskip(NEXT) | instid1(VALU_DEP_1)
	v_add3_u32 v2, v3, v2, 0x407ffff
	v_and_b32_e32 v3, 0xff00000, v2
	v_lshrrev_b32_e32 v2, 20, v2
	s_delay_alu instid0(VALU_DEP_2) | instskip(NEXT) | instid1(VALU_DEP_2)
	v_cmp_ne_u32_e32 vcc_lo, 0x7f00000, v3
                                        ; implicit-def: $vgpr3
	v_cndmask_b32_e32 v2, 0x7e, v2, vcc_lo
; %bb.57:
	s_and_not1_saveexec_b32 s5, s5
; %bb.58:
	v_add_f32_e32 v2, 0x46800000, v3
; %bb.59:
	s_or_b32 exec_lo, exec_lo, s5
                                        ; implicit-def: $vgpr3
.LBB284_60:
	s_and_not1_saveexec_b32 s4, s4
; %bb.61:
	v_mov_b32_e32 v2, 0x7f
	v_cmp_lt_u32_e32 vcc_lo, 0x7f800000, v3
	s_delay_alu instid0(VALU_DEP_2)
	v_cndmask_b32_e32 v2, 0x7e, v2, vcc_lo
; %bb.62:
	s_or_b32 exec_lo, exec_lo, s4
	global_store_b8 v[0:1], v2, off
.LBB284_63:
	s_mov_b32 s4, 0
.LBB284_64:
	s_delay_alu instid0(SALU_CYCLE_1)
	s_and_not1_b32 vcc_lo, exec_lo, s4
	s_cbranch_vccnz .LBB284_74
; %bb.65:
	s_wait_xcnt 0x0
	v_cndmask_b32_e64 v3, 0, 1.0, s0
	s_mov_b32 s4, exec_lo
                                        ; implicit-def: $vgpr2
	s_delay_alu instid0(VALU_DEP_1)
	v_cmpx_gt_u32_e32 0x47800000, v3
	s_xor_b32 s4, exec_lo, s4
	s_cbranch_execz .LBB284_71
; %bb.66:
	s_mov_b32 s5, exec_lo
                                        ; implicit-def: $vgpr2
	v_cmpx_lt_u32_e32 0x387fffff, v3
	s_xor_b32 s5, exec_lo, s5
; %bb.67:
	v_bfe_u32 v2, v3, 21, 1
	s_delay_alu instid0(VALU_DEP_1) | instskip(NEXT) | instid1(VALU_DEP_1)
	v_add3_u32 v2, v3, v2, 0x80fffff
                                        ; implicit-def: $vgpr3
	v_lshrrev_b32_e32 v2, 21, v2
; %bb.68:
	s_and_not1_saveexec_b32 s5, s5
; %bb.69:
	v_add_f32_e32 v2, 0x43000000, v3
; %bb.70:
	s_or_b32 exec_lo, exec_lo, s5
                                        ; implicit-def: $vgpr3
.LBB284_71:
	s_and_not1_saveexec_b32 s4, s4
; %bb.72:
	v_mov_b32_e32 v2, 0x7f
	v_cmp_lt_u32_e32 vcc_lo, 0x7f800000, v3
	s_delay_alu instid0(VALU_DEP_2)
	v_cndmask_b32_e32 v2, 0x7c, v2, vcc_lo
; %bb.73:
	s_or_b32 exec_lo, exec_lo, s4
	global_store_b8 v[0:1], v2, off
.LBB284_74:
	s_mov_b32 s5, 0
	s_mov_b32 s4, -1
.LBB284_75:
	s_and_not1_b32 vcc_lo, exec_lo, s5
	s_cbranch_vccnz .LBB284_83
; %bb.76:
	s_cmp_gt_i32 s3, 14
	s_mov_b32 s5, -1
	s_cbranch_scc0 .LBB284_80
; %bb.77:
	s_cmp_eq_u32 s3, 15
	s_mov_b32 s1, -1
	s_cbranch_scc0 .LBB284_79
; %bb.78:
	s_wait_xcnt 0x0
	v_cndmask_b32_e64 v2, 0, 1.0, s0
	s_mov_b32 s4, -1
	s_mov_b32 s1, 0
	s_delay_alu instid0(VALU_DEP_1) | instskip(NEXT) | instid1(VALU_DEP_1)
	v_bfe_u32 v3, v2, 16, 1
	v_add3_u32 v2, v2, v3, 0x7fff
	global_store_d16_hi_b16 v[0:1], v2, off
.LBB284_79:
	s_mov_b32 s5, 0
.LBB284_80:
	s_delay_alu instid0(SALU_CYCLE_1)
	s_and_b32 vcc_lo, exec_lo, s5
	s_cbranch_vccz .LBB284_83
; %bb.81:
	s_cmp_eq_u32 s3, 11
	s_mov_b32 s1, -1
	s_cbranch_scc0 .LBB284_83
; %bb.82:
	s_wait_xcnt 0x0
	v_cndmask_b32_e64 v2, 0, 1, s0
	s_mov_b32 s4, -1
	s_mov_b32 s1, 0
	global_store_b8 v[0:1], v2, off
.LBB284_83:
	s_branch .LBB284_10
.LBB284_84:
	s_and_b32 s2, 0xffff, s2
	s_mov_b32 s3, -1
	s_cmp_lt_i32 s2, 5
	s_cbranch_scc1 .LBB284_105
; %bb.85:
	s_cmp_lt_i32 s2, 8
	s_cbranch_scc1 .LBB284_95
; %bb.86:
	;; [unrolled: 3-line block ×3, first 2 shown]
	s_cmp_gt_i32 s2, 9
	s_cbranch_scc0 .LBB284_89
; %bb.88:
	s_wait_xcnt 0x0
	v_cndmask_b32_e64 v2, 0, 1, s0
	v_mov_b32_e32 v4, 0
	s_mov_b32 s3, 0
	s_delay_alu instid0(VALU_DEP_2) | instskip(NEXT) | instid1(VALU_DEP_2)
	v_cvt_f64_u32_e32 v[2:3], v2
	v_mov_b32_e32 v5, v4
	global_store_b128 v[0:1], v[2:5], off
.LBB284_89:
	s_and_not1_b32 vcc_lo, exec_lo, s3
	s_cbranch_vccnz .LBB284_91
; %bb.90:
	s_wait_xcnt 0x0
	v_cndmask_b32_e64 v2, 0, 1.0, s0
	v_mov_b32_e32 v3, 0
	global_store_b64 v[0:1], v[2:3], off
.LBB284_91:
	s_mov_b32 s3, 0
.LBB284_92:
	s_delay_alu instid0(SALU_CYCLE_1)
	s_and_not1_b32 vcc_lo, exec_lo, s3
	s_cbranch_vccnz .LBB284_94
; %bb.93:
	s_wait_xcnt 0x0
	v_cndmask_b32_e64 v2, 0, 1.0, s0
	s_delay_alu instid0(VALU_DEP_1) | instskip(NEXT) | instid1(VALU_DEP_1)
	v_cvt_f16_f32_e32 v2, v2
	v_and_b32_e32 v2, 0xffff, v2
	global_store_b32 v[0:1], v2, off
.LBB284_94:
	s_mov_b32 s3, 0
.LBB284_95:
	s_delay_alu instid0(SALU_CYCLE_1)
	s_and_not1_b32 vcc_lo, exec_lo, s3
	s_cbranch_vccnz .LBB284_104
; %bb.96:
	s_cmp_lt_i32 s2, 6
	s_mov_b32 s3, -1
	s_cbranch_scc1 .LBB284_102
; %bb.97:
	s_cmp_gt_i32 s2, 6
	s_cbranch_scc0 .LBB284_99
; %bb.98:
	s_wait_xcnt 0x0
	v_cndmask_b32_e64 v2, 0, 1, s0
	s_mov_b32 s3, 0
	s_delay_alu instid0(VALU_DEP_1)
	v_cvt_f64_u32_e32 v[2:3], v2
	global_store_b64 v[0:1], v[2:3], off
.LBB284_99:
	s_and_not1_b32 vcc_lo, exec_lo, s3
	s_cbranch_vccnz .LBB284_101
; %bb.100:
	s_wait_xcnt 0x0
	v_cndmask_b32_e64 v2, 0, 1.0, s0
	global_store_b32 v[0:1], v2, off
.LBB284_101:
	s_mov_b32 s3, 0
.LBB284_102:
	s_delay_alu instid0(SALU_CYCLE_1)
	s_and_not1_b32 vcc_lo, exec_lo, s3
	s_cbranch_vccnz .LBB284_104
; %bb.103:
	s_wait_xcnt 0x0
	v_cndmask_b32_e64 v2, 0, 1.0, s0
	s_delay_alu instid0(VALU_DEP_1)
	v_cvt_f16_f32_e32 v2, v2
	global_store_b16 v[0:1], v2, off
.LBB284_104:
	s_mov_b32 s3, 0
.LBB284_105:
	s_delay_alu instid0(SALU_CYCLE_1)
	s_and_not1_b32 vcc_lo, exec_lo, s3
	s_cbranch_vccnz .LBB284_121
; %bb.106:
	s_cmp_lt_i32 s2, 2
	s_mov_b32 s3, -1
	s_cbranch_scc1 .LBB284_116
; %bb.107:
	s_cmp_lt_i32 s2, 3
	s_cbranch_scc1 .LBB284_113
; %bb.108:
	s_cmp_gt_i32 s2, 3
	s_cbranch_scc0 .LBB284_110
; %bb.109:
	s_mov_b32 s3, 0
	s_wait_xcnt 0x0
	v_cndmask_b32_e64 v2, 0, 1, s0
	v_mov_b32_e32 v3, s3
	global_store_b64 v[0:1], v[2:3], off
.LBB284_110:
	s_and_not1_b32 vcc_lo, exec_lo, s3
	s_cbranch_vccnz .LBB284_112
; %bb.111:
	s_wait_xcnt 0x0
	v_cndmask_b32_e64 v2, 0, 1, s0
	global_store_b32 v[0:1], v2, off
.LBB284_112:
	s_mov_b32 s3, 0
.LBB284_113:
	s_delay_alu instid0(SALU_CYCLE_1)
	s_and_not1_b32 vcc_lo, exec_lo, s3
	s_cbranch_vccnz .LBB284_115
; %bb.114:
	s_wait_xcnt 0x0
	v_cndmask_b32_e64 v2, 0, 1, s0
	global_store_b16 v[0:1], v2, off
.LBB284_115:
	s_mov_b32 s3, 0
.LBB284_116:
	s_delay_alu instid0(SALU_CYCLE_1)
	s_and_not1_b32 vcc_lo, exec_lo, s3
	s_cbranch_vccnz .LBB284_121
; %bb.117:
	s_wait_xcnt 0x0
	v_cndmask_b32_e64 v2, 0, 1, s0
	s_cmp_gt_i32 s2, 0
	s_mov_b32 s0, -1
	s_cbranch_scc0 .LBB284_119
; %bb.118:
	s_mov_b32 s0, 0
	global_store_b8 v[0:1], v2, off
.LBB284_119:
	s_and_not1_b32 vcc_lo, exec_lo, s0
	s_cbranch_vccnz .LBB284_121
; %bb.120:
	global_store_b8 v[0:1], v2, off
.LBB284_121:
	s_branch .LBB284_11
.LBB284_122:
	s_mov_b32 s0, 0
                                        ; implicit-def: $vgpr10
.LBB284_123:
	s_and_b32 s25, s1, exec_lo
	s_or_not1_b32 s0, s0, exec_lo
.LBB284_124:
	s_wait_xcnt 0x0
	s_or_b32 exec_lo, exec_lo, s26
	s_mov_b32 s3, 0
                                        ; implicit-def: $sgpr1
                                        ; implicit-def: $sgpr2
                                        ; implicit-def: $vgpr0_vgpr1
	s_and_saveexec_b32 s26, s0
	s_cbranch_execz .LBB284_133
; %bb.125:
	s_mov_b32 s4, -1
	s_mov_b32 s27, s25
	s_mov_b32 s28, exec_lo
	v_cmpx_gt_i32_e64 s14, v10
	s_cbranch_execz .LBB284_256
; %bb.126:
	v_dual_mov_b32 v0, s22 :: v_dual_mov_b32 v1, s23
	v_dual_mov_b32 v2, s18 :: v_dual_mov_b32 v3, s19
	;; [unrolled: 1-line block ×3, first 2 shown]
	v_mov_b32_e32 v6, v10
	s_get_pc_i64 s[0:1]
	s_add_nc_u64 s[0:1], s[0:1], _ZN2at6native6invokeINS0_13AUnaryFunctorIN3c1013Float8_e4m3fnES4_bNS0_12_GLOBAL__N_116CompareEqFunctorIS4_EEEEi15function_traitsIS8_EEENT1_11result_typeERKT_PrKPcPKT0_PKNS3_10ScalarTypeEi@rel64+4
	s_delay_alu instid0(SALU_CYCLE_1) | instskip(SKIP_2) | instid1(SALU_CYCLE_1)
	s_swap_pc_i64 s[30:31], s[0:1]
	v_and_b32_e32 v0, 1, v0
	s_and_b32 s2, s15, 0xff
	s_cmp_lt_i32 s2, 11
	s_delay_alu instid0(VALU_DEP_1) | instskip(SKIP_1) | instid1(VALU_DEP_1)
	v_cmp_eq_u32_e64 s0, 1, v0
	v_mul_lo_u32 v0, v10, s20
	v_ashrrev_i32_e32 v1, 31, v0
	s_delay_alu instid0(VALU_DEP_1)
	v_add_nc_u64_e32 v[0:1], s[16:17], v[0:1]
	s_cbranch_scc1 .LBB284_136
; %bb.127:
	s_and_b32 s3, 0xffff, s2
	s_delay_alu instid0(SALU_CYCLE_1)
	s_cmp_gt_i32 s3, 25
	s_cbranch_scc0 .LBB284_139
; %bb.128:
	s_cmp_gt_i32 s3, 28
	s_cbranch_scc0 .LBB284_140
; %bb.129:
	;; [unrolled: 3-line block ×4, first 2 shown]
	s_mov_b32 s5, 0
	s_mov_b32 s1, -1
	s_cmp_eq_u32 s3, 46
	s_mov_b32 s4, 0
	s_cbranch_scc0 .LBB284_147
; %bb.132:
	v_cndmask_b32_e64 v2, 0, 1.0, s0
	s_mov_b32 s4, -1
	s_mov_b32 s1, 0
	s_delay_alu instid0(VALU_DEP_1) | instskip(NEXT) | instid1(VALU_DEP_1)
	v_bfe_u32 v3, v2, 16, 1
	v_add3_u32 v2, v2, v3, 0x7fff
	s_delay_alu instid0(VALU_DEP_1)
	v_lshrrev_b32_e32 v2, 16, v2
	global_store_b32 v[0:1], v2, off
	s_branch .LBB284_147
.LBB284_133:
	s_or_b32 exec_lo, exec_lo, s26
	s_mov_b32 s0, 0
	s_and_saveexec_b32 s4, s25
	s_cbranch_execnz .LBB284_472
.LBB284_134:
	s_or_b32 exec_lo, exec_lo, s4
	s_and_saveexec_b32 s4, s27
	s_delay_alu instid0(SALU_CYCLE_1)
	s_xor_b32 s4, exec_lo, s4
	s_cbranch_execz .LBB284_473
.LBB284_135:
	v_cndmask_b32_e64 v2, 0, 1, s1
	global_store_b8 v[0:1], v2, off
	s_wait_xcnt 0x0
	s_or_b32 exec_lo, exec_lo, s4
	s_and_saveexec_b32 s4, s3
	s_delay_alu instid0(SALU_CYCLE_1)
	s_xor_b32 s3, exec_lo, s4
	s_cbranch_execz .LBB284_511
	s_branch .LBB284_474
.LBB284_136:
	s_mov_b32 s4, 0
	s_mov_b32 s1, s25
	s_cbranch_execnz .LBB284_216
.LBB284_137:
	s_and_not1_b32 vcc_lo, exec_lo, s4
	s_cbranch_vccnz .LBB284_254
.LBB284_138:
	v_add_nc_u32_e32 v10, 0x80, v10
	s_mov_b32 s0, -1
	s_branch .LBB284_255
.LBB284_139:
	s_mov_b32 s5, -1
	s_mov_b32 s4, 0
	s_mov_b32 s1, s25
	s_branch .LBB284_174
.LBB284_140:
	s_mov_b32 s5, -1
	s_mov_b32 s4, 0
	s_mov_b32 s1, s25
	s_branch .LBB284_157
.LBB284_141:
	s_and_not1_saveexec_b32 s6, s6
	s_cbranch_execz .LBB284_37
.LBB284_142:
	v_add_f32_e32 v2, 0x46000000, v3
	s_and_not1_b32 s5, s5, exec_lo
	s_delay_alu instid0(VALU_DEP_1) | instskip(NEXT) | instid1(VALU_DEP_1)
	v_and_b32_e32 v2, 0xff, v2
	v_cmp_ne_u32_e32 vcc_lo, 0, v2
	s_and_b32 s7, vcc_lo, exec_lo
	s_delay_alu instid0(SALU_CYCLE_1)
	s_or_b32 s5, s5, s7
	s_or_b32 exec_lo, exec_lo, s6
	v_mov_b32_e32 v4, 0
	s_and_saveexec_b32 s6, s5
	s_cbranch_execnz .LBB284_38
	s_branch .LBB284_39
.LBB284_143:
	s_mov_b32 s5, -1
	s_mov_b32 s4, 0
	s_mov_b32 s1, s25
	s_branch .LBB284_153
.LBB284_144:
	s_and_not1_saveexec_b32 s6, s6
	s_cbranch_execz .LBB284_49
.LBB284_145:
	v_add_f32_e32 v2, 0x42800000, v3
	s_and_not1_b32 s5, s5, exec_lo
	s_delay_alu instid0(VALU_DEP_1) | instskip(NEXT) | instid1(VALU_DEP_1)
	v_and_b32_e32 v2, 0xff, v2
	v_cmp_ne_u32_e32 vcc_lo, 0, v2
	s_and_b32 s7, vcc_lo, exec_lo
	s_delay_alu instid0(SALU_CYCLE_1)
	s_or_b32 s5, s5, s7
	s_or_b32 exec_lo, exec_lo, s6
	v_mov_b32_e32 v4, 0
	s_and_saveexec_b32 s6, s5
	s_cbranch_execnz .LBB284_50
	s_branch .LBB284_51
.LBB284_146:
	s_mov_b32 s5, -1
	s_mov_b32 s4, 0
	s_mov_b32 s1, s25
.LBB284_147:
	s_and_b32 vcc_lo, exec_lo, s5
	s_cbranch_vccz .LBB284_152
; %bb.148:
	s_cmp_eq_u32 s3, 44
	s_mov_b32 s1, -1
	s_cbranch_scc0 .LBB284_152
; %bb.149:
	v_cndmask_b32_e64 v4, 0, 1.0, s0
	s_mov_b32 s4, exec_lo
	s_wait_xcnt 0x0
	s_delay_alu instid0(VALU_DEP_1) | instskip(NEXT) | instid1(VALU_DEP_1)
	v_dual_mov_b32 v3, 0xff :: v_dual_lshrrev_b32 v2, 23, v4
	v_cmpx_ne_u32_e32 0xff, v2
; %bb.150:
	v_and_b32_e32 v3, 0x400000, v4
	v_and_or_b32 v4, 0x3fffff, v4, v2
	s_delay_alu instid0(VALU_DEP_2) | instskip(NEXT) | instid1(VALU_DEP_2)
	v_cmp_ne_u32_e32 vcc_lo, 0, v3
	v_cmp_ne_u32_e64 s1, 0, v4
	s_and_b32 s1, vcc_lo, s1
	s_delay_alu instid0(SALU_CYCLE_1) | instskip(NEXT) | instid1(VALU_DEP_1)
	v_cndmask_b32_e64 v3, 0, 1, s1
	v_add_nc_u32_e32 v3, v2, v3
; %bb.151:
	s_or_b32 exec_lo, exec_lo, s4
	s_mov_b32 s4, -1
	s_mov_b32 s1, 0
	global_store_b8 v[0:1], v3, off
.LBB284_152:
	s_mov_b32 s5, 0
.LBB284_153:
	s_delay_alu instid0(SALU_CYCLE_1)
	s_and_b32 vcc_lo, exec_lo, s5
	s_cbranch_vccz .LBB284_156
; %bb.154:
	s_cmp_eq_u32 s3, 29
	s_mov_b32 s1, -1
	s_cbranch_scc0 .LBB284_156
; %bb.155:
	s_mov_b32 s1, 0
	s_wait_xcnt 0x0
	v_cndmask_b32_e64 v2, 0, 1, s0
	v_mov_b32_e32 v3, s1
	s_mov_b32 s4, -1
	s_mov_b32 s5, 0
	global_store_b64 v[0:1], v[2:3], off
	s_branch .LBB284_157
.LBB284_156:
	s_mov_b32 s5, 0
.LBB284_157:
	s_delay_alu instid0(SALU_CYCLE_1)
	s_and_b32 vcc_lo, exec_lo, s5
	s_cbranch_vccz .LBB284_173
; %bb.158:
	s_cmp_lt_i32 s3, 27
	s_mov_b32 s4, -1
	s_cbranch_scc1 .LBB284_164
; %bb.159:
	s_cmp_gt_i32 s3, 27
	s_cbranch_scc0 .LBB284_161
; %bb.160:
	s_wait_xcnt 0x0
	v_cndmask_b32_e64 v2, 0, 1, s0
	s_mov_b32 s4, 0
	global_store_b32 v[0:1], v2, off
.LBB284_161:
	s_and_not1_b32 vcc_lo, exec_lo, s4
	s_cbranch_vccnz .LBB284_163
; %bb.162:
	s_wait_xcnt 0x0
	v_cndmask_b32_e64 v2, 0, 1, s0
	global_store_b16 v[0:1], v2, off
.LBB284_163:
	s_mov_b32 s4, 0
.LBB284_164:
	s_delay_alu instid0(SALU_CYCLE_1)
	s_and_not1_b32 vcc_lo, exec_lo, s4
	s_cbranch_vccnz .LBB284_172
; %bb.165:
	s_wait_xcnt 0x0
	v_cndmask_b32_e64 v3, 0, 1.0, s0
	v_mov_b32_e32 v4, 0x80
	s_mov_b32 s4, exec_lo
	s_delay_alu instid0(VALU_DEP_2)
	v_cmpx_gt_u32_e32 0x43800000, v3
	s_cbranch_execz .LBB284_171
; %bb.166:
	s_mov_b32 s5, 0
	s_mov_b32 s6, exec_lo
                                        ; implicit-def: $vgpr2
	v_cmpx_lt_u32_e32 0x3bffffff, v3
	s_xor_b32 s6, exec_lo, s6
	s_cbranch_execz .LBB284_268
; %bb.167:
	v_bfe_u32 v2, v3, 20, 1
	s_mov_b32 s5, exec_lo
	s_delay_alu instid0(VALU_DEP_1) | instskip(NEXT) | instid1(VALU_DEP_1)
	v_add3_u32 v2, v3, v2, 0x487ffff
                                        ; implicit-def: $vgpr3
	v_lshrrev_b32_e32 v2, 20, v2
	s_and_not1_saveexec_b32 s6, s6
	s_cbranch_execnz .LBB284_269
.LBB284_168:
	s_or_b32 exec_lo, exec_lo, s6
	v_mov_b32_e32 v4, 0
	s_and_saveexec_b32 s6, s5
.LBB284_169:
	v_mov_b32_e32 v4, v2
.LBB284_170:
	s_or_b32 exec_lo, exec_lo, s6
.LBB284_171:
	s_delay_alu instid0(SALU_CYCLE_1)
	s_or_b32 exec_lo, exec_lo, s4
	global_store_b8 v[0:1], v4, off
.LBB284_172:
	s_mov_b32 s4, -1
.LBB284_173:
	s_mov_b32 s5, 0
.LBB284_174:
	s_delay_alu instid0(SALU_CYCLE_1)
	s_and_b32 vcc_lo, exec_lo, s5
	s_cbranch_vccz .LBB284_215
; %bb.175:
	s_cmp_gt_i32 s3, 22
	s_mov_b32 s5, -1
	s_cbranch_scc0 .LBB284_207
; %bb.176:
	s_cmp_lt_i32 s3, 24
	s_mov_b32 s4, -1
	s_cbranch_scc1 .LBB284_196
; %bb.177:
	s_cmp_gt_i32 s3, 24
	s_cbranch_scc0 .LBB284_185
; %bb.178:
	s_wait_xcnt 0x0
	v_cndmask_b32_e64 v3, 0, 1.0, s0
	v_mov_b32_e32 v4, 0x80
	s_mov_b32 s4, exec_lo
	s_delay_alu instid0(VALU_DEP_2)
	v_cmpx_gt_u32_e32 0x47800000, v3
	s_cbranch_execz .LBB284_184
; %bb.179:
	s_mov_b32 s5, 0
	s_mov_b32 s6, exec_lo
                                        ; implicit-def: $vgpr2
	v_cmpx_lt_u32_e32 0x37ffffff, v3
	s_xor_b32 s6, exec_lo, s6
	s_cbranch_execz .LBB284_271
; %bb.180:
	v_bfe_u32 v2, v3, 21, 1
	s_mov_b32 s5, exec_lo
	s_delay_alu instid0(VALU_DEP_1) | instskip(NEXT) | instid1(VALU_DEP_1)
	v_add3_u32 v2, v3, v2, 0x88fffff
                                        ; implicit-def: $vgpr3
	v_lshrrev_b32_e32 v2, 21, v2
	s_and_not1_saveexec_b32 s6, s6
	s_cbranch_execnz .LBB284_272
.LBB284_181:
	s_or_b32 exec_lo, exec_lo, s6
	v_mov_b32_e32 v4, 0
	s_and_saveexec_b32 s6, s5
.LBB284_182:
	v_mov_b32_e32 v4, v2
.LBB284_183:
	s_or_b32 exec_lo, exec_lo, s6
.LBB284_184:
	s_delay_alu instid0(SALU_CYCLE_1)
	s_or_b32 exec_lo, exec_lo, s4
	s_mov_b32 s4, 0
	global_store_b8 v[0:1], v4, off
.LBB284_185:
	s_and_b32 vcc_lo, exec_lo, s4
	s_cbranch_vccz .LBB284_195
; %bb.186:
	s_wait_xcnt 0x0
	v_cndmask_b32_e64 v3, 0, 1.0, s0
	s_mov_b32 s4, exec_lo
                                        ; implicit-def: $vgpr2
	s_delay_alu instid0(VALU_DEP_1)
	v_cmpx_gt_u32_e32 0x43f00000, v3
	s_xor_b32 s4, exec_lo, s4
	s_cbranch_execz .LBB284_192
; %bb.187:
	s_mov_b32 s5, exec_lo
                                        ; implicit-def: $vgpr2
	v_cmpx_lt_u32_e32 0x3c7fffff, v3
	s_xor_b32 s5, exec_lo, s5
; %bb.188:
	v_bfe_u32 v2, v3, 20, 1
	s_delay_alu instid0(VALU_DEP_1) | instskip(NEXT) | instid1(VALU_DEP_1)
	v_add3_u32 v2, v3, v2, 0x407ffff
	v_and_b32_e32 v3, 0xff00000, v2
	v_lshrrev_b32_e32 v2, 20, v2
	s_delay_alu instid0(VALU_DEP_2) | instskip(NEXT) | instid1(VALU_DEP_2)
	v_cmp_ne_u32_e32 vcc_lo, 0x7f00000, v3
                                        ; implicit-def: $vgpr3
	v_cndmask_b32_e32 v2, 0x7e, v2, vcc_lo
; %bb.189:
	s_and_not1_saveexec_b32 s5, s5
; %bb.190:
	v_add_f32_e32 v2, 0x46800000, v3
; %bb.191:
	s_or_b32 exec_lo, exec_lo, s5
                                        ; implicit-def: $vgpr3
.LBB284_192:
	s_and_not1_saveexec_b32 s4, s4
; %bb.193:
	v_mov_b32_e32 v2, 0x7f
	v_cmp_lt_u32_e32 vcc_lo, 0x7f800000, v3
	s_delay_alu instid0(VALU_DEP_2)
	v_cndmask_b32_e32 v2, 0x7e, v2, vcc_lo
; %bb.194:
	s_or_b32 exec_lo, exec_lo, s4
	global_store_b8 v[0:1], v2, off
.LBB284_195:
	s_mov_b32 s4, 0
.LBB284_196:
	s_delay_alu instid0(SALU_CYCLE_1)
	s_and_not1_b32 vcc_lo, exec_lo, s4
	s_cbranch_vccnz .LBB284_206
; %bb.197:
	s_wait_xcnt 0x0
	v_cndmask_b32_e64 v3, 0, 1.0, s0
	s_mov_b32 s4, exec_lo
                                        ; implicit-def: $vgpr2
	s_delay_alu instid0(VALU_DEP_1)
	v_cmpx_gt_u32_e32 0x47800000, v3
	s_xor_b32 s4, exec_lo, s4
	s_cbranch_execz .LBB284_203
; %bb.198:
	s_mov_b32 s5, exec_lo
                                        ; implicit-def: $vgpr2
	v_cmpx_lt_u32_e32 0x387fffff, v3
	s_xor_b32 s5, exec_lo, s5
; %bb.199:
	v_bfe_u32 v2, v3, 21, 1
	s_delay_alu instid0(VALU_DEP_1) | instskip(NEXT) | instid1(VALU_DEP_1)
	v_add3_u32 v2, v3, v2, 0x80fffff
                                        ; implicit-def: $vgpr3
	v_lshrrev_b32_e32 v2, 21, v2
; %bb.200:
	s_and_not1_saveexec_b32 s5, s5
; %bb.201:
	v_add_f32_e32 v2, 0x43000000, v3
; %bb.202:
	s_or_b32 exec_lo, exec_lo, s5
                                        ; implicit-def: $vgpr3
.LBB284_203:
	s_and_not1_saveexec_b32 s4, s4
; %bb.204:
	v_mov_b32_e32 v2, 0x7f
	v_cmp_lt_u32_e32 vcc_lo, 0x7f800000, v3
	s_delay_alu instid0(VALU_DEP_2)
	v_cndmask_b32_e32 v2, 0x7c, v2, vcc_lo
; %bb.205:
	s_or_b32 exec_lo, exec_lo, s4
	global_store_b8 v[0:1], v2, off
.LBB284_206:
	s_mov_b32 s5, 0
	s_mov_b32 s4, -1
.LBB284_207:
	s_and_not1_b32 vcc_lo, exec_lo, s5
	s_cbranch_vccnz .LBB284_215
; %bb.208:
	s_cmp_gt_i32 s3, 14
	s_mov_b32 s5, -1
	s_cbranch_scc0 .LBB284_212
; %bb.209:
	s_cmp_eq_u32 s3, 15
	s_mov_b32 s1, -1
	s_cbranch_scc0 .LBB284_211
; %bb.210:
	s_wait_xcnt 0x0
	v_cndmask_b32_e64 v2, 0, 1.0, s0
	s_mov_b32 s4, -1
	s_mov_b32 s1, 0
	s_delay_alu instid0(VALU_DEP_1) | instskip(NEXT) | instid1(VALU_DEP_1)
	v_bfe_u32 v3, v2, 16, 1
	v_add3_u32 v2, v2, v3, 0x7fff
	global_store_d16_hi_b16 v[0:1], v2, off
.LBB284_211:
	s_mov_b32 s5, 0
.LBB284_212:
	s_delay_alu instid0(SALU_CYCLE_1)
	s_and_b32 vcc_lo, exec_lo, s5
	s_cbranch_vccz .LBB284_215
; %bb.213:
	s_cmp_eq_u32 s3, 11
	s_mov_b32 s1, -1
	s_cbranch_scc0 .LBB284_215
; %bb.214:
	s_wait_xcnt 0x0
	v_cndmask_b32_e64 v2, 0, 1, s0
	s_mov_b32 s4, -1
	s_mov_b32 s1, 0
	global_store_b8 v[0:1], v2, off
.LBB284_215:
	s_branch .LBB284_137
.LBB284_216:
	s_and_b32 s2, 0xffff, s2
	s_mov_b32 s3, -1
	s_cmp_lt_i32 s2, 5
	s_cbranch_scc1 .LBB284_237
; %bb.217:
	s_cmp_lt_i32 s2, 8
	s_cbranch_scc1 .LBB284_227
; %bb.218:
	s_cmp_lt_i32 s2, 9
	s_cbranch_scc1 .LBB284_224
; %bb.219:
	s_cmp_gt_i32 s2, 9
	s_cbranch_scc0 .LBB284_221
; %bb.220:
	s_wait_xcnt 0x0
	v_cndmask_b32_e64 v2, 0, 1, s0
	v_mov_b32_e32 v4, 0
	s_mov_b32 s3, 0
	s_delay_alu instid0(VALU_DEP_2) | instskip(NEXT) | instid1(VALU_DEP_2)
	v_cvt_f64_u32_e32 v[2:3], v2
	v_mov_b32_e32 v5, v4
	global_store_b128 v[0:1], v[2:5], off
.LBB284_221:
	s_and_not1_b32 vcc_lo, exec_lo, s3
	s_cbranch_vccnz .LBB284_223
; %bb.222:
	s_wait_xcnt 0x0
	v_cndmask_b32_e64 v2, 0, 1.0, s0
	v_mov_b32_e32 v3, 0
	global_store_b64 v[0:1], v[2:3], off
.LBB284_223:
	s_mov_b32 s3, 0
.LBB284_224:
	s_delay_alu instid0(SALU_CYCLE_1)
	s_and_not1_b32 vcc_lo, exec_lo, s3
	s_cbranch_vccnz .LBB284_226
; %bb.225:
	s_wait_xcnt 0x0
	v_cndmask_b32_e64 v2, 0, 1.0, s0
	s_delay_alu instid0(VALU_DEP_1) | instskip(NEXT) | instid1(VALU_DEP_1)
	v_cvt_f16_f32_e32 v2, v2
	v_and_b32_e32 v2, 0xffff, v2
	global_store_b32 v[0:1], v2, off
.LBB284_226:
	s_mov_b32 s3, 0
.LBB284_227:
	s_delay_alu instid0(SALU_CYCLE_1)
	s_and_not1_b32 vcc_lo, exec_lo, s3
	s_cbranch_vccnz .LBB284_236
; %bb.228:
	s_cmp_lt_i32 s2, 6
	s_mov_b32 s3, -1
	s_cbranch_scc1 .LBB284_234
; %bb.229:
	s_cmp_gt_i32 s2, 6
	s_cbranch_scc0 .LBB284_231
; %bb.230:
	s_wait_xcnt 0x0
	v_cndmask_b32_e64 v2, 0, 1, s0
	s_mov_b32 s3, 0
	s_delay_alu instid0(VALU_DEP_1)
	v_cvt_f64_u32_e32 v[2:3], v2
	global_store_b64 v[0:1], v[2:3], off
.LBB284_231:
	s_and_not1_b32 vcc_lo, exec_lo, s3
	s_cbranch_vccnz .LBB284_233
; %bb.232:
	s_wait_xcnt 0x0
	v_cndmask_b32_e64 v2, 0, 1.0, s0
	global_store_b32 v[0:1], v2, off
.LBB284_233:
	s_mov_b32 s3, 0
.LBB284_234:
	s_delay_alu instid0(SALU_CYCLE_1)
	s_and_not1_b32 vcc_lo, exec_lo, s3
	s_cbranch_vccnz .LBB284_236
; %bb.235:
	s_wait_xcnt 0x0
	v_cndmask_b32_e64 v2, 0, 1.0, s0
	s_delay_alu instid0(VALU_DEP_1)
	v_cvt_f16_f32_e32 v2, v2
	global_store_b16 v[0:1], v2, off
.LBB284_236:
	s_mov_b32 s3, 0
.LBB284_237:
	s_delay_alu instid0(SALU_CYCLE_1)
	s_and_not1_b32 vcc_lo, exec_lo, s3
	s_cbranch_vccnz .LBB284_253
; %bb.238:
	s_cmp_lt_i32 s2, 2
	s_mov_b32 s3, -1
	s_cbranch_scc1 .LBB284_248
; %bb.239:
	s_cmp_lt_i32 s2, 3
	s_cbranch_scc1 .LBB284_245
; %bb.240:
	s_cmp_gt_i32 s2, 3
	s_cbranch_scc0 .LBB284_242
; %bb.241:
	s_mov_b32 s3, 0
	s_wait_xcnt 0x0
	v_cndmask_b32_e64 v2, 0, 1, s0
	v_mov_b32_e32 v3, s3
	global_store_b64 v[0:1], v[2:3], off
.LBB284_242:
	s_and_not1_b32 vcc_lo, exec_lo, s3
	s_cbranch_vccnz .LBB284_244
; %bb.243:
	s_wait_xcnt 0x0
	v_cndmask_b32_e64 v2, 0, 1, s0
	global_store_b32 v[0:1], v2, off
.LBB284_244:
	s_mov_b32 s3, 0
.LBB284_245:
	s_delay_alu instid0(SALU_CYCLE_1)
	s_and_not1_b32 vcc_lo, exec_lo, s3
	s_cbranch_vccnz .LBB284_247
; %bb.246:
	s_wait_xcnt 0x0
	v_cndmask_b32_e64 v2, 0, 1, s0
	global_store_b16 v[0:1], v2, off
.LBB284_247:
	s_mov_b32 s3, 0
.LBB284_248:
	s_delay_alu instid0(SALU_CYCLE_1)
	s_and_not1_b32 vcc_lo, exec_lo, s3
	s_cbranch_vccnz .LBB284_253
; %bb.249:
	s_wait_xcnt 0x0
	v_cndmask_b32_e64 v2, 0, 1, s0
	s_cmp_gt_i32 s2, 0
	s_mov_b32 s0, -1
	s_cbranch_scc0 .LBB284_251
; %bb.250:
	s_mov_b32 s0, 0
	global_store_b8 v[0:1], v2, off
.LBB284_251:
	s_and_not1_b32 vcc_lo, exec_lo, s0
	s_cbranch_vccnz .LBB284_253
; %bb.252:
	global_store_b8 v[0:1], v2, off
.LBB284_253:
	s_branch .LBB284_138
.LBB284_254:
	s_mov_b32 s0, 0
                                        ; implicit-def: $vgpr10
.LBB284_255:
	s_and_not1_b32 s2, s25, exec_lo
	s_and_b32 s1, s1, exec_lo
	s_or_not1_b32 s4, s0, exec_lo
	s_or_b32 s27, s2, s1
.LBB284_256:
	s_wait_xcnt 0x0
	s_or_b32 exec_lo, exec_lo, s28
	s_mov_b32 s0, 0
	s_mov_b32 s3, 0
                                        ; implicit-def: $sgpr1
                                        ; implicit-def: $sgpr2
                                        ; implicit-def: $vgpr0_vgpr1
	s_and_saveexec_b32 s28, s4
	s_cbranch_execz .LBB284_471
; %bb.257:
	s_mov_b32 s4, -1
	s_mov_b32 s33, s27
	s_mov_b32 s29, exec_lo
	v_cmpx_gt_i32_e64 s14, v10
	s_cbranch_execz .LBB284_386
; %bb.258:
	v_dual_mov_b32 v0, s22 :: v_dual_mov_b32 v1, s23
	v_dual_mov_b32 v2, s18 :: v_dual_mov_b32 v3, s19
	;; [unrolled: 1-line block ×3, first 2 shown]
	v_mov_b32_e32 v6, v10
	s_get_pc_i64 s[0:1]
	s_add_nc_u64 s[0:1], s[0:1], _ZN2at6native6invokeINS0_13AUnaryFunctorIN3c1013Float8_e4m3fnES4_bNS0_12_GLOBAL__N_116CompareEqFunctorIS4_EEEEi15function_traitsIS8_EEENT1_11result_typeERKT_PrKPcPKT0_PKNS3_10ScalarTypeEi@rel64+4
	s_delay_alu instid0(SALU_CYCLE_1) | instskip(SKIP_2) | instid1(SALU_CYCLE_1)
	s_swap_pc_i64 s[30:31], s[0:1]
	v_and_b32_e32 v0, 1, v0
	s_and_b32 s2, s15, 0xff
	s_cmp_lt_i32 s2, 11
	s_delay_alu instid0(VALU_DEP_1) | instskip(SKIP_1) | instid1(VALU_DEP_1)
	v_cmp_eq_u32_e64 s0, 1, v0
	v_mul_lo_u32 v0, v10, s20
	v_ashrrev_i32_e32 v1, 31, v0
	s_delay_alu instid0(VALU_DEP_1)
	v_add_nc_u64_e32 v[0:1], s[16:17], v[0:1]
	s_cbranch_scc1 .LBB284_265
; %bb.259:
	s_and_b32 s3, 0xffff, s2
	s_delay_alu instid0(SALU_CYCLE_1)
	s_cmp_gt_i32 s3, 25
	s_cbranch_scc0 .LBB284_266
; %bb.260:
	s_cmp_gt_i32 s3, 28
	s_cbranch_scc0 .LBB284_267
; %bb.261:
	;; [unrolled: 3-line block ×4, first 2 shown]
	s_mov_b32 s5, 0
	s_mov_b32 s1, -1
	s_cmp_eq_u32 s3, 46
	s_mov_b32 s4, 0
	s_cbranch_scc0 .LBB284_274
; %bb.264:
	v_cndmask_b32_e64 v2, 0, 1.0, s0
	s_mov_b32 s4, -1
	s_mov_b32 s1, 0
	s_delay_alu instid0(VALU_DEP_1) | instskip(NEXT) | instid1(VALU_DEP_1)
	v_bfe_u32 v3, v2, 16, 1
	v_add3_u32 v2, v2, v3, 0x7fff
	s_delay_alu instid0(VALU_DEP_1)
	v_lshrrev_b32_e32 v2, 16, v2
	global_store_b32 v[0:1], v2, off
	s_branch .LBB284_274
.LBB284_265:
	s_mov_b32 s3, -1
	s_mov_b32 s4, 0
	s_mov_b32 s1, s27
	s_branch .LBB284_343
.LBB284_266:
	s_mov_b32 s5, -1
	s_mov_b32 s4, 0
	s_mov_b32 s1, s27
	s_branch .LBB284_301
.LBB284_267:
	s_mov_b32 s5, -1
	s_mov_b32 s4, 0
	s_mov_b32 s1, s27
	s_branch .LBB284_284
.LBB284_268:
	s_and_not1_saveexec_b32 s6, s6
	s_cbranch_execz .LBB284_168
.LBB284_269:
	v_add_f32_e32 v2, 0x46000000, v3
	s_and_not1_b32 s5, s5, exec_lo
	s_delay_alu instid0(VALU_DEP_1) | instskip(NEXT) | instid1(VALU_DEP_1)
	v_and_b32_e32 v2, 0xff, v2
	v_cmp_ne_u32_e32 vcc_lo, 0, v2
	s_and_b32 s7, vcc_lo, exec_lo
	s_delay_alu instid0(SALU_CYCLE_1)
	s_or_b32 s5, s5, s7
	s_or_b32 exec_lo, exec_lo, s6
	v_mov_b32_e32 v4, 0
	s_and_saveexec_b32 s6, s5
	s_cbranch_execnz .LBB284_169
	s_branch .LBB284_170
.LBB284_270:
	s_mov_b32 s5, -1
	s_mov_b32 s4, 0
	s_mov_b32 s1, s27
	s_branch .LBB284_280
.LBB284_271:
	s_and_not1_saveexec_b32 s6, s6
	s_cbranch_execz .LBB284_181
.LBB284_272:
	v_add_f32_e32 v2, 0x42800000, v3
	s_and_not1_b32 s5, s5, exec_lo
	s_delay_alu instid0(VALU_DEP_1) | instskip(NEXT) | instid1(VALU_DEP_1)
	v_and_b32_e32 v2, 0xff, v2
	v_cmp_ne_u32_e32 vcc_lo, 0, v2
	s_and_b32 s7, vcc_lo, exec_lo
	s_delay_alu instid0(SALU_CYCLE_1)
	s_or_b32 s5, s5, s7
	s_or_b32 exec_lo, exec_lo, s6
	v_mov_b32_e32 v4, 0
	s_and_saveexec_b32 s6, s5
	s_cbranch_execnz .LBB284_182
	s_branch .LBB284_183
.LBB284_273:
	s_mov_b32 s5, -1
	s_mov_b32 s4, 0
	s_mov_b32 s1, s27
.LBB284_274:
	s_and_b32 vcc_lo, exec_lo, s5
	s_cbranch_vccz .LBB284_279
; %bb.275:
	s_cmp_eq_u32 s3, 44
	s_mov_b32 s1, -1
	s_cbranch_scc0 .LBB284_279
; %bb.276:
	v_cndmask_b32_e64 v4, 0, 1.0, s0
	s_mov_b32 s4, exec_lo
	s_wait_xcnt 0x0
	s_delay_alu instid0(VALU_DEP_1) | instskip(NEXT) | instid1(VALU_DEP_1)
	v_dual_mov_b32 v3, 0xff :: v_dual_lshrrev_b32 v2, 23, v4
	v_cmpx_ne_u32_e32 0xff, v2
; %bb.277:
	v_and_b32_e32 v3, 0x400000, v4
	v_and_or_b32 v4, 0x3fffff, v4, v2
	s_delay_alu instid0(VALU_DEP_2) | instskip(NEXT) | instid1(VALU_DEP_2)
	v_cmp_ne_u32_e32 vcc_lo, 0, v3
	v_cmp_ne_u32_e64 s1, 0, v4
	s_and_b32 s1, vcc_lo, s1
	s_delay_alu instid0(SALU_CYCLE_1) | instskip(NEXT) | instid1(VALU_DEP_1)
	v_cndmask_b32_e64 v3, 0, 1, s1
	v_add_nc_u32_e32 v3, v2, v3
; %bb.278:
	s_or_b32 exec_lo, exec_lo, s4
	s_mov_b32 s4, -1
	s_mov_b32 s1, 0
	global_store_b8 v[0:1], v3, off
.LBB284_279:
	s_mov_b32 s5, 0
.LBB284_280:
	s_delay_alu instid0(SALU_CYCLE_1)
	s_and_b32 vcc_lo, exec_lo, s5
	s_cbranch_vccz .LBB284_283
; %bb.281:
	s_cmp_eq_u32 s3, 29
	s_mov_b32 s1, -1
	s_cbranch_scc0 .LBB284_283
; %bb.282:
	s_mov_b32 s1, 0
	s_wait_xcnt 0x0
	v_cndmask_b32_e64 v2, 0, 1, s0
	v_mov_b32_e32 v3, s1
	s_mov_b32 s4, -1
	s_mov_b32 s5, 0
	global_store_b64 v[0:1], v[2:3], off
	s_branch .LBB284_284
.LBB284_283:
	s_mov_b32 s5, 0
.LBB284_284:
	s_delay_alu instid0(SALU_CYCLE_1)
	s_and_b32 vcc_lo, exec_lo, s5
	s_cbranch_vccz .LBB284_300
; %bb.285:
	s_cmp_lt_i32 s3, 27
	s_mov_b32 s4, -1
	s_cbranch_scc1 .LBB284_291
; %bb.286:
	s_cmp_gt_i32 s3, 27
	s_cbranch_scc0 .LBB284_288
; %bb.287:
	s_wait_xcnt 0x0
	v_cndmask_b32_e64 v2, 0, 1, s0
	s_mov_b32 s4, 0
	global_store_b32 v[0:1], v2, off
.LBB284_288:
	s_and_not1_b32 vcc_lo, exec_lo, s4
	s_cbranch_vccnz .LBB284_290
; %bb.289:
	s_wait_xcnt 0x0
	v_cndmask_b32_e64 v2, 0, 1, s0
	global_store_b16 v[0:1], v2, off
.LBB284_290:
	s_mov_b32 s4, 0
.LBB284_291:
	s_delay_alu instid0(SALU_CYCLE_1)
	s_and_not1_b32 vcc_lo, exec_lo, s4
	s_cbranch_vccnz .LBB284_299
; %bb.292:
	s_wait_xcnt 0x0
	v_cndmask_b32_e64 v3, 0, 1.0, s0
	v_mov_b32_e32 v4, 0x80
	s_mov_b32 s4, exec_lo
	s_delay_alu instid0(VALU_DEP_2)
	v_cmpx_gt_u32_e32 0x43800000, v3
	s_cbranch_execz .LBB284_298
; %bb.293:
	s_mov_b32 s5, 0
	s_mov_b32 s6, exec_lo
                                        ; implicit-def: $vgpr2
	v_cmpx_lt_u32_e32 0x3bffffff, v3
	s_xor_b32 s6, exec_lo, s6
	s_cbranch_execz .LBB284_396
; %bb.294:
	v_bfe_u32 v2, v3, 20, 1
	s_mov_b32 s5, exec_lo
	s_delay_alu instid0(VALU_DEP_1) | instskip(NEXT) | instid1(VALU_DEP_1)
	v_add3_u32 v2, v3, v2, 0x487ffff
                                        ; implicit-def: $vgpr3
	v_lshrrev_b32_e32 v2, 20, v2
	s_and_not1_saveexec_b32 s6, s6
	s_cbranch_execnz .LBB284_397
.LBB284_295:
	s_or_b32 exec_lo, exec_lo, s6
	v_mov_b32_e32 v4, 0
	s_and_saveexec_b32 s6, s5
.LBB284_296:
	v_mov_b32_e32 v4, v2
.LBB284_297:
	s_or_b32 exec_lo, exec_lo, s6
.LBB284_298:
	s_delay_alu instid0(SALU_CYCLE_1)
	s_or_b32 exec_lo, exec_lo, s4
	global_store_b8 v[0:1], v4, off
.LBB284_299:
	s_mov_b32 s4, -1
.LBB284_300:
	s_mov_b32 s5, 0
.LBB284_301:
	s_delay_alu instid0(SALU_CYCLE_1)
	s_and_b32 vcc_lo, exec_lo, s5
	s_cbranch_vccz .LBB284_342
; %bb.302:
	s_cmp_gt_i32 s3, 22
	s_mov_b32 s5, -1
	s_cbranch_scc0 .LBB284_334
; %bb.303:
	s_cmp_lt_i32 s3, 24
	s_mov_b32 s4, -1
	s_cbranch_scc1 .LBB284_323
; %bb.304:
	s_cmp_gt_i32 s3, 24
	s_cbranch_scc0 .LBB284_312
; %bb.305:
	s_wait_xcnt 0x0
	v_cndmask_b32_e64 v3, 0, 1.0, s0
	v_mov_b32_e32 v4, 0x80
	s_mov_b32 s4, exec_lo
	s_delay_alu instid0(VALU_DEP_2)
	v_cmpx_gt_u32_e32 0x47800000, v3
	s_cbranch_execz .LBB284_311
; %bb.306:
	s_mov_b32 s5, 0
	s_mov_b32 s6, exec_lo
                                        ; implicit-def: $vgpr2
	v_cmpx_lt_u32_e32 0x37ffffff, v3
	s_xor_b32 s6, exec_lo, s6
	s_cbranch_execz .LBB284_398
; %bb.307:
	v_bfe_u32 v2, v3, 21, 1
	s_mov_b32 s5, exec_lo
	s_delay_alu instid0(VALU_DEP_1) | instskip(NEXT) | instid1(VALU_DEP_1)
	v_add3_u32 v2, v3, v2, 0x88fffff
                                        ; implicit-def: $vgpr3
	v_lshrrev_b32_e32 v2, 21, v2
	s_and_not1_saveexec_b32 s6, s6
	s_cbranch_execnz .LBB284_399
.LBB284_308:
	s_or_b32 exec_lo, exec_lo, s6
	v_mov_b32_e32 v4, 0
	s_and_saveexec_b32 s6, s5
.LBB284_309:
	v_mov_b32_e32 v4, v2
.LBB284_310:
	s_or_b32 exec_lo, exec_lo, s6
.LBB284_311:
	s_delay_alu instid0(SALU_CYCLE_1)
	s_or_b32 exec_lo, exec_lo, s4
	s_mov_b32 s4, 0
	global_store_b8 v[0:1], v4, off
.LBB284_312:
	s_and_b32 vcc_lo, exec_lo, s4
	s_cbranch_vccz .LBB284_322
; %bb.313:
	s_wait_xcnt 0x0
	v_cndmask_b32_e64 v3, 0, 1.0, s0
	s_mov_b32 s4, exec_lo
                                        ; implicit-def: $vgpr2
	s_delay_alu instid0(VALU_DEP_1)
	v_cmpx_gt_u32_e32 0x43f00000, v3
	s_xor_b32 s4, exec_lo, s4
	s_cbranch_execz .LBB284_319
; %bb.314:
	s_mov_b32 s5, exec_lo
                                        ; implicit-def: $vgpr2
	v_cmpx_lt_u32_e32 0x3c7fffff, v3
	s_xor_b32 s5, exec_lo, s5
; %bb.315:
	v_bfe_u32 v2, v3, 20, 1
	s_delay_alu instid0(VALU_DEP_1) | instskip(NEXT) | instid1(VALU_DEP_1)
	v_add3_u32 v2, v3, v2, 0x407ffff
	v_and_b32_e32 v3, 0xff00000, v2
	v_lshrrev_b32_e32 v2, 20, v2
	s_delay_alu instid0(VALU_DEP_2) | instskip(NEXT) | instid1(VALU_DEP_2)
	v_cmp_ne_u32_e32 vcc_lo, 0x7f00000, v3
                                        ; implicit-def: $vgpr3
	v_cndmask_b32_e32 v2, 0x7e, v2, vcc_lo
; %bb.316:
	s_and_not1_saveexec_b32 s5, s5
; %bb.317:
	v_add_f32_e32 v2, 0x46800000, v3
; %bb.318:
	s_or_b32 exec_lo, exec_lo, s5
                                        ; implicit-def: $vgpr3
.LBB284_319:
	s_and_not1_saveexec_b32 s4, s4
; %bb.320:
	v_mov_b32_e32 v2, 0x7f
	v_cmp_lt_u32_e32 vcc_lo, 0x7f800000, v3
	s_delay_alu instid0(VALU_DEP_2)
	v_cndmask_b32_e32 v2, 0x7e, v2, vcc_lo
; %bb.321:
	s_or_b32 exec_lo, exec_lo, s4
	global_store_b8 v[0:1], v2, off
.LBB284_322:
	s_mov_b32 s4, 0
.LBB284_323:
	s_delay_alu instid0(SALU_CYCLE_1)
	s_and_not1_b32 vcc_lo, exec_lo, s4
	s_cbranch_vccnz .LBB284_333
; %bb.324:
	s_wait_xcnt 0x0
	v_cndmask_b32_e64 v3, 0, 1.0, s0
	s_mov_b32 s4, exec_lo
                                        ; implicit-def: $vgpr2
	s_delay_alu instid0(VALU_DEP_1)
	v_cmpx_gt_u32_e32 0x47800000, v3
	s_xor_b32 s4, exec_lo, s4
	s_cbranch_execz .LBB284_330
; %bb.325:
	s_mov_b32 s5, exec_lo
                                        ; implicit-def: $vgpr2
	v_cmpx_lt_u32_e32 0x387fffff, v3
	s_xor_b32 s5, exec_lo, s5
; %bb.326:
	v_bfe_u32 v2, v3, 21, 1
	s_delay_alu instid0(VALU_DEP_1) | instskip(NEXT) | instid1(VALU_DEP_1)
	v_add3_u32 v2, v3, v2, 0x80fffff
                                        ; implicit-def: $vgpr3
	v_lshrrev_b32_e32 v2, 21, v2
; %bb.327:
	s_and_not1_saveexec_b32 s5, s5
; %bb.328:
	v_add_f32_e32 v2, 0x43000000, v3
; %bb.329:
	s_or_b32 exec_lo, exec_lo, s5
                                        ; implicit-def: $vgpr3
.LBB284_330:
	s_and_not1_saveexec_b32 s4, s4
; %bb.331:
	v_mov_b32_e32 v2, 0x7f
	v_cmp_lt_u32_e32 vcc_lo, 0x7f800000, v3
	s_delay_alu instid0(VALU_DEP_2)
	v_cndmask_b32_e32 v2, 0x7c, v2, vcc_lo
; %bb.332:
	s_or_b32 exec_lo, exec_lo, s4
	global_store_b8 v[0:1], v2, off
.LBB284_333:
	s_mov_b32 s5, 0
	s_mov_b32 s4, -1
.LBB284_334:
	s_and_not1_b32 vcc_lo, exec_lo, s5
	s_cbranch_vccnz .LBB284_342
; %bb.335:
	s_cmp_gt_i32 s3, 14
	s_mov_b32 s5, -1
	s_cbranch_scc0 .LBB284_339
; %bb.336:
	s_cmp_eq_u32 s3, 15
	s_mov_b32 s1, -1
	s_cbranch_scc0 .LBB284_338
; %bb.337:
	s_wait_xcnt 0x0
	v_cndmask_b32_e64 v2, 0, 1.0, s0
	s_mov_b32 s4, -1
	s_mov_b32 s1, 0
	s_delay_alu instid0(VALU_DEP_1) | instskip(NEXT) | instid1(VALU_DEP_1)
	v_bfe_u32 v3, v2, 16, 1
	v_add3_u32 v2, v2, v3, 0x7fff
	global_store_d16_hi_b16 v[0:1], v2, off
.LBB284_338:
	s_mov_b32 s5, 0
.LBB284_339:
	s_delay_alu instid0(SALU_CYCLE_1)
	s_and_b32 vcc_lo, exec_lo, s5
	s_cbranch_vccz .LBB284_342
; %bb.340:
	s_cmp_eq_u32 s3, 11
	s_mov_b32 s1, -1
	s_cbranch_scc0 .LBB284_342
; %bb.341:
	s_wait_xcnt 0x0
	v_cndmask_b32_e64 v2, 0, 1, s0
	s_mov_b32 s4, -1
	s_mov_b32 s1, 0
	global_store_b8 v[0:1], v2, off
.LBB284_342:
	s_mov_b32 s3, 0
.LBB284_343:
	s_delay_alu instid0(SALU_CYCLE_1)
	s_and_b32 vcc_lo, exec_lo, s3
	s_cbranch_vccz .LBB284_382
; %bb.344:
	s_and_b32 s2, 0xffff, s2
	s_mov_b32 s3, -1
	s_cmp_lt_i32 s2, 5
	s_cbranch_scc1 .LBB284_365
; %bb.345:
	s_cmp_lt_i32 s2, 8
	s_cbranch_scc1 .LBB284_355
; %bb.346:
	;; [unrolled: 3-line block ×3, first 2 shown]
	s_cmp_gt_i32 s2, 9
	s_cbranch_scc0 .LBB284_349
; %bb.348:
	s_wait_xcnt 0x0
	v_cndmask_b32_e64 v2, 0, 1, s0
	v_mov_b32_e32 v4, 0
	s_mov_b32 s3, 0
	s_delay_alu instid0(VALU_DEP_2) | instskip(NEXT) | instid1(VALU_DEP_2)
	v_cvt_f64_u32_e32 v[2:3], v2
	v_mov_b32_e32 v5, v4
	global_store_b128 v[0:1], v[2:5], off
.LBB284_349:
	s_and_not1_b32 vcc_lo, exec_lo, s3
	s_cbranch_vccnz .LBB284_351
; %bb.350:
	s_wait_xcnt 0x0
	v_cndmask_b32_e64 v2, 0, 1.0, s0
	v_mov_b32_e32 v3, 0
	global_store_b64 v[0:1], v[2:3], off
.LBB284_351:
	s_mov_b32 s3, 0
.LBB284_352:
	s_delay_alu instid0(SALU_CYCLE_1)
	s_and_not1_b32 vcc_lo, exec_lo, s3
	s_cbranch_vccnz .LBB284_354
; %bb.353:
	s_wait_xcnt 0x0
	v_cndmask_b32_e64 v2, 0, 1.0, s0
	s_delay_alu instid0(VALU_DEP_1) | instskip(NEXT) | instid1(VALU_DEP_1)
	v_cvt_f16_f32_e32 v2, v2
	v_and_b32_e32 v2, 0xffff, v2
	global_store_b32 v[0:1], v2, off
.LBB284_354:
	s_mov_b32 s3, 0
.LBB284_355:
	s_delay_alu instid0(SALU_CYCLE_1)
	s_and_not1_b32 vcc_lo, exec_lo, s3
	s_cbranch_vccnz .LBB284_364
; %bb.356:
	s_cmp_lt_i32 s2, 6
	s_mov_b32 s3, -1
	s_cbranch_scc1 .LBB284_362
; %bb.357:
	s_cmp_gt_i32 s2, 6
	s_cbranch_scc0 .LBB284_359
; %bb.358:
	s_wait_xcnt 0x0
	v_cndmask_b32_e64 v2, 0, 1, s0
	s_mov_b32 s3, 0
	s_delay_alu instid0(VALU_DEP_1)
	v_cvt_f64_u32_e32 v[2:3], v2
	global_store_b64 v[0:1], v[2:3], off
.LBB284_359:
	s_and_not1_b32 vcc_lo, exec_lo, s3
	s_cbranch_vccnz .LBB284_361
; %bb.360:
	s_wait_xcnt 0x0
	v_cndmask_b32_e64 v2, 0, 1.0, s0
	global_store_b32 v[0:1], v2, off
.LBB284_361:
	s_mov_b32 s3, 0
.LBB284_362:
	s_delay_alu instid0(SALU_CYCLE_1)
	s_and_not1_b32 vcc_lo, exec_lo, s3
	s_cbranch_vccnz .LBB284_364
; %bb.363:
	s_wait_xcnt 0x0
	v_cndmask_b32_e64 v2, 0, 1.0, s0
	s_delay_alu instid0(VALU_DEP_1)
	v_cvt_f16_f32_e32 v2, v2
	global_store_b16 v[0:1], v2, off
.LBB284_364:
	s_mov_b32 s3, 0
.LBB284_365:
	s_delay_alu instid0(SALU_CYCLE_1)
	s_and_not1_b32 vcc_lo, exec_lo, s3
	s_cbranch_vccnz .LBB284_381
; %bb.366:
	s_cmp_lt_i32 s2, 2
	s_mov_b32 s3, -1
	s_cbranch_scc1 .LBB284_376
; %bb.367:
	s_cmp_lt_i32 s2, 3
	s_cbranch_scc1 .LBB284_373
; %bb.368:
	s_cmp_gt_i32 s2, 3
	s_cbranch_scc0 .LBB284_370
; %bb.369:
	s_mov_b32 s3, 0
	s_wait_xcnt 0x0
	v_cndmask_b32_e64 v2, 0, 1, s0
	v_mov_b32_e32 v3, s3
	global_store_b64 v[0:1], v[2:3], off
.LBB284_370:
	s_and_not1_b32 vcc_lo, exec_lo, s3
	s_cbranch_vccnz .LBB284_372
; %bb.371:
	s_wait_xcnt 0x0
	v_cndmask_b32_e64 v2, 0, 1, s0
	global_store_b32 v[0:1], v2, off
.LBB284_372:
	s_mov_b32 s3, 0
.LBB284_373:
	s_delay_alu instid0(SALU_CYCLE_1)
	s_and_not1_b32 vcc_lo, exec_lo, s3
	s_cbranch_vccnz .LBB284_375
; %bb.374:
	s_wait_xcnt 0x0
	v_cndmask_b32_e64 v2, 0, 1, s0
	global_store_b16 v[0:1], v2, off
.LBB284_375:
	s_mov_b32 s3, 0
.LBB284_376:
	s_delay_alu instid0(SALU_CYCLE_1)
	s_and_not1_b32 vcc_lo, exec_lo, s3
	s_cbranch_vccnz .LBB284_381
; %bb.377:
	s_wait_xcnt 0x0
	v_cndmask_b32_e64 v2, 0, 1, s0
	s_cmp_gt_i32 s2, 0
	s_mov_b32 s0, -1
	s_cbranch_scc0 .LBB284_379
; %bb.378:
	s_mov_b32 s0, 0
	global_store_b8 v[0:1], v2, off
.LBB284_379:
	s_and_not1_b32 vcc_lo, exec_lo, s0
	s_cbranch_vccnz .LBB284_381
; %bb.380:
	global_store_b8 v[0:1], v2, off
.LBB284_381:
	s_mov_b32 s4, -1
.LBB284_382:
	s_delay_alu instid0(SALU_CYCLE_1)
	s_and_not1_b32 vcc_lo, exec_lo, s4
	s_cbranch_vccnz .LBB284_384
; %bb.383:
	v_add_nc_u32_e32 v10, 0x80, v10
	s_mov_b32 s0, -1
	s_branch .LBB284_385
.LBB284_384:
	s_mov_b32 s0, 0
                                        ; implicit-def: $vgpr10
.LBB284_385:
	s_and_not1_b32 s2, s27, exec_lo
	s_and_b32 s1, s1, exec_lo
	s_or_not1_b32 s4, s0, exec_lo
	s_or_b32 s33, s2, s1
.LBB284_386:
	s_wait_xcnt 0x0
	s_or_b32 exec_lo, exec_lo, s29
	s_mov_b32 s0, 0
	s_mov_b32 s3, 0
                                        ; implicit-def: $sgpr1
                                        ; implicit-def: $sgpr2
                                        ; implicit-def: $vgpr0_vgpr1
	s_and_saveexec_b32 s29, s4
	s_cbranch_execz .LBB284_470
; %bb.387:
	v_cmp_gt_i32_e32 vcc_lo, s14, v10
	s_mov_b32 s4, s33
                                        ; implicit-def: $sgpr1
                                        ; implicit-def: $sgpr2
                                        ; implicit-def: $vgpr0_vgpr1
	s_and_saveexec_b32 s14, vcc_lo
	s_cbranch_execz .LBB284_469
; %bb.388:
	v_dual_mov_b32 v0, s22 :: v_dual_mov_b32 v1, s23
	v_dual_mov_b32 v2, s18 :: v_dual_mov_b32 v3, s19
	;; [unrolled: 1-line block ×3, first 2 shown]
	v_mov_b32_e32 v6, v10
	s_get_pc_i64 s[0:1]
	s_add_nc_u64 s[0:1], s[0:1], _ZN2at6native6invokeINS0_13AUnaryFunctorIN3c1013Float8_e4m3fnES4_bNS0_12_GLOBAL__N_116CompareEqFunctorIS4_EEEEi15function_traitsIS8_EEENT1_11result_typeERKT_PrKPcPKT0_PKNS3_10ScalarTypeEi@rel64+4
	s_delay_alu instid0(SALU_CYCLE_1) | instskip(SKIP_2) | instid1(SALU_CYCLE_1)
	s_swap_pc_i64 s[30:31], s[0:1]
	v_and_b32_e32 v0, 1, v0
	s_and_b32 s2, s15, 0xff
	s_cmp_lt_i32 s2, 11
	s_delay_alu instid0(VALU_DEP_1) | instskip(SKIP_1) | instid1(VALU_DEP_1)
	v_cmp_eq_u32_e64 s1, 1, v0
	v_mul_lo_u32 v0, v10, s20
	v_ashrrev_i32_e32 v1, 31, v0
	s_delay_alu instid0(VALU_DEP_1)
	v_add_nc_u64_e32 v[0:1], s[16:17], v[0:1]
	s_cbranch_scc1 .LBB284_395
; %bb.389:
	s_and_b32 s3, 0xffff, s2
	s_mov_b32 s4, -1
	s_cmp_gt_i32 s3, 25
	s_mov_b32 s0, s33
	s_cbranch_scc0 .LBB284_427
; %bb.390:
	s_cmp_gt_i32 s3, 28
	s_mov_b32 s0, s33
	s_cbranch_scc0 .LBB284_411
; %bb.391:
	;; [unrolled: 4-line block ×4, first 2 shown]
	s_cmp_eq_u32 s3, 46
	s_mov_b32 s0, -1
	s_cbranch_scc0 .LBB284_400
; %bb.394:
	v_cndmask_b32_e64 v2, 0, 1.0, s1
	s_mov_b32 s0, 0
	s_mov_b32 s4, 0
	s_delay_alu instid0(VALU_DEP_1) | instskip(NEXT) | instid1(VALU_DEP_1)
	v_bfe_u32 v3, v2, 16, 1
	v_add3_u32 v2, v2, v3, 0x7fff
	s_delay_alu instid0(VALU_DEP_1)
	v_lshrrev_b32_e32 v2, 16, v2
	global_store_b32 v[0:1], v2, off
	s_branch .LBB284_401
.LBB284_395:
	s_mov_b32 s5, 0
	s_mov_b32 s4, -1
	s_mov_b32 s0, s33
	s_branch .LBB284_468
.LBB284_396:
	s_and_not1_saveexec_b32 s6, s6
	s_cbranch_execz .LBB284_295
.LBB284_397:
	v_add_f32_e32 v2, 0x46000000, v3
	s_and_not1_b32 s5, s5, exec_lo
	s_delay_alu instid0(VALU_DEP_1) | instskip(NEXT) | instid1(VALU_DEP_1)
	v_and_b32_e32 v2, 0xff, v2
	v_cmp_ne_u32_e32 vcc_lo, 0, v2
	s_and_b32 s7, vcc_lo, exec_lo
	s_delay_alu instid0(SALU_CYCLE_1)
	s_or_b32 s5, s5, s7
	s_or_b32 exec_lo, exec_lo, s6
	v_mov_b32_e32 v4, 0
	s_and_saveexec_b32 s6, s5
	s_cbranch_execnz .LBB284_296
	s_branch .LBB284_297
.LBB284_398:
	s_and_not1_saveexec_b32 s6, s6
	s_cbranch_execz .LBB284_308
.LBB284_399:
	v_add_f32_e32 v2, 0x42800000, v3
	s_and_not1_b32 s5, s5, exec_lo
	s_delay_alu instid0(VALU_DEP_1) | instskip(NEXT) | instid1(VALU_DEP_1)
	v_and_b32_e32 v2, 0xff, v2
	v_cmp_ne_u32_e32 vcc_lo, 0, v2
	s_and_b32 s7, vcc_lo, exec_lo
	s_delay_alu instid0(SALU_CYCLE_1)
	s_or_b32 s5, s5, s7
	s_or_b32 exec_lo, exec_lo, s6
	v_mov_b32_e32 v4, 0
	s_and_saveexec_b32 s6, s5
	s_cbranch_execnz .LBB284_309
	s_branch .LBB284_310
.LBB284_400:
	s_mov_b32 s4, 0
.LBB284_401:
	s_delay_alu instid0(SALU_CYCLE_1)
	s_and_b32 vcc_lo, exec_lo, s4
	s_cbranch_vccz .LBB284_406
; %bb.402:
	s_cmp_eq_u32 s3, 44
	s_mov_b32 s0, -1
	s_cbranch_scc0 .LBB284_406
; %bb.403:
	v_cndmask_b32_e64 v4, 0, 1.0, s1
	s_mov_b32 s4, exec_lo
	s_wait_xcnt 0x0
	s_delay_alu instid0(VALU_DEP_1) | instskip(NEXT) | instid1(VALU_DEP_1)
	v_dual_mov_b32 v3, 0xff :: v_dual_lshrrev_b32 v2, 23, v4
	v_cmpx_ne_u32_e32 0xff, v2
; %bb.404:
	v_and_b32_e32 v3, 0x400000, v4
	v_and_or_b32 v4, 0x3fffff, v4, v2
	s_delay_alu instid0(VALU_DEP_2) | instskip(NEXT) | instid1(VALU_DEP_2)
	v_cmp_ne_u32_e32 vcc_lo, 0, v3
	v_cmp_ne_u32_e64 s0, 0, v4
	s_and_b32 s0, vcc_lo, s0
	s_delay_alu instid0(SALU_CYCLE_1) | instskip(NEXT) | instid1(VALU_DEP_1)
	v_cndmask_b32_e64 v3, 0, 1, s0
	v_add_nc_u32_e32 v3, v2, v3
; %bb.405:
	s_or_b32 exec_lo, exec_lo, s4
	s_mov_b32 s0, 0
	global_store_b8 v[0:1], v3, off
.LBB284_406:
	s_mov_b32 s4, 0
.LBB284_407:
	s_delay_alu instid0(SALU_CYCLE_1)
	s_and_b32 vcc_lo, exec_lo, s4
	s_cbranch_vccz .LBB284_410
; %bb.408:
	s_cmp_eq_u32 s3, 29
	s_mov_b32 s0, -1
	s_cbranch_scc0 .LBB284_410
; %bb.409:
	s_mov_b32 s0, 0
	s_wait_xcnt 0x0
	v_cndmask_b32_e64 v2, 0, 1, s1
	v_mov_b32_e32 v3, s0
	s_mov_b32 s4, 0
	global_store_b64 v[0:1], v[2:3], off
	s_branch .LBB284_411
.LBB284_410:
	s_mov_b32 s4, 0
.LBB284_411:
	s_delay_alu instid0(SALU_CYCLE_1)
	s_and_b32 vcc_lo, exec_lo, s4
	s_cbranch_vccz .LBB284_426
; %bb.412:
	s_cmp_lt_i32 s3, 27
	s_mov_b32 s4, -1
	s_cbranch_scc1 .LBB284_418
; %bb.413:
	s_wait_xcnt 0x0
	v_cndmask_b32_e64 v2, 0, 1, s1
	s_cmp_gt_i32 s3, 27
	s_cbranch_scc0 .LBB284_415
; %bb.414:
	s_mov_b32 s4, 0
	global_store_b32 v[0:1], v2, off
.LBB284_415:
	s_and_not1_b32 vcc_lo, exec_lo, s4
	s_cbranch_vccnz .LBB284_417
; %bb.416:
	global_store_b16 v[0:1], v2, off
.LBB284_417:
	s_mov_b32 s4, 0
.LBB284_418:
	s_delay_alu instid0(SALU_CYCLE_1)
	s_and_not1_b32 vcc_lo, exec_lo, s4
	s_cbranch_vccnz .LBB284_426
; %bb.419:
	s_wait_xcnt 0x0
	v_cndmask_b32_e64 v3, 0, 1.0, s1
	v_mov_b32_e32 v4, 0x80
	s_mov_b32 s4, exec_lo
	s_delay_alu instid0(VALU_DEP_2)
	v_cmpx_gt_u32_e32 0x43800000, v3
	s_cbranch_execz .LBB284_425
; %bb.420:
	s_mov_b32 s5, 0
	s_mov_b32 s6, exec_lo
                                        ; implicit-def: $vgpr2
	v_cmpx_lt_u32_e32 0x3bffffff, v3
	s_xor_b32 s6, exec_lo, s6
	s_cbranch_execz .LBB284_1007
; %bb.421:
	v_bfe_u32 v2, v3, 20, 1
	s_mov_b32 s5, exec_lo
	s_delay_alu instid0(VALU_DEP_1) | instskip(NEXT) | instid1(VALU_DEP_1)
	v_add3_u32 v2, v3, v2, 0x487ffff
                                        ; implicit-def: $vgpr3
	v_lshrrev_b32_e32 v2, 20, v2
	s_and_not1_saveexec_b32 s6, s6
	s_cbranch_execnz .LBB284_1008
.LBB284_422:
	s_or_b32 exec_lo, exec_lo, s6
	v_mov_b32_e32 v4, 0
	s_and_saveexec_b32 s6, s5
.LBB284_423:
	v_mov_b32_e32 v4, v2
.LBB284_424:
	s_or_b32 exec_lo, exec_lo, s6
.LBB284_425:
	s_delay_alu instid0(SALU_CYCLE_1)
	s_or_b32 exec_lo, exec_lo, s4
	global_store_b8 v[0:1], v4, off
.LBB284_426:
	s_mov_b32 s4, 0
.LBB284_427:
	s_delay_alu instid0(SALU_CYCLE_1)
	s_and_b32 vcc_lo, exec_lo, s4
	s_mov_b32 s4, 0
	s_cbranch_vccz .LBB284_467
; %bb.428:
	s_cmp_gt_i32 s3, 22
	s_mov_b32 s5, -1
	s_cbranch_scc0 .LBB284_460
; %bb.429:
	s_cmp_lt_i32 s3, 24
	s_cbranch_scc1 .LBB284_449
; %bb.430:
	s_cmp_gt_i32 s3, 24
	s_cbranch_scc0 .LBB284_438
; %bb.431:
	s_wait_xcnt 0x0
	v_cndmask_b32_e64 v3, 0, 1.0, s1
	v_mov_b32_e32 v4, 0x80
	s_mov_b32 s5, exec_lo
	s_delay_alu instid0(VALU_DEP_2)
	v_cmpx_gt_u32_e32 0x47800000, v3
	s_cbranch_execz .LBB284_437
; %bb.432:
	s_mov_b32 s6, 0
	s_mov_b32 s7, exec_lo
                                        ; implicit-def: $vgpr2
	v_cmpx_lt_u32_e32 0x37ffffff, v3
	s_xor_b32 s7, exec_lo, s7
	s_cbranch_execz .LBB284_1011
; %bb.433:
	v_bfe_u32 v2, v3, 21, 1
	s_mov_b32 s6, exec_lo
	s_delay_alu instid0(VALU_DEP_1) | instskip(NEXT) | instid1(VALU_DEP_1)
	v_add3_u32 v2, v3, v2, 0x88fffff
                                        ; implicit-def: $vgpr3
	v_lshrrev_b32_e32 v2, 21, v2
	s_and_not1_saveexec_b32 s7, s7
	s_cbranch_execnz .LBB284_1012
.LBB284_434:
	s_or_b32 exec_lo, exec_lo, s7
	v_mov_b32_e32 v4, 0
	s_and_saveexec_b32 s7, s6
.LBB284_435:
	v_mov_b32_e32 v4, v2
.LBB284_436:
	s_or_b32 exec_lo, exec_lo, s7
.LBB284_437:
	s_delay_alu instid0(SALU_CYCLE_1)
	s_or_b32 exec_lo, exec_lo, s5
	s_mov_b32 s5, 0
	global_store_b8 v[0:1], v4, off
.LBB284_438:
	s_and_b32 vcc_lo, exec_lo, s5
	s_cbranch_vccz .LBB284_448
; %bb.439:
	s_wait_xcnt 0x0
	v_cndmask_b32_e64 v3, 0, 1.0, s1
	s_mov_b32 s5, exec_lo
                                        ; implicit-def: $vgpr2
	s_delay_alu instid0(VALU_DEP_1)
	v_cmpx_gt_u32_e32 0x43f00000, v3
	s_xor_b32 s5, exec_lo, s5
	s_cbranch_execz .LBB284_445
; %bb.440:
	s_mov_b32 s6, exec_lo
                                        ; implicit-def: $vgpr2
	v_cmpx_lt_u32_e32 0x3c7fffff, v3
	s_xor_b32 s6, exec_lo, s6
; %bb.441:
	v_bfe_u32 v2, v3, 20, 1
	s_delay_alu instid0(VALU_DEP_1) | instskip(NEXT) | instid1(VALU_DEP_1)
	v_add3_u32 v2, v3, v2, 0x407ffff
	v_and_b32_e32 v3, 0xff00000, v2
	v_lshrrev_b32_e32 v2, 20, v2
	s_delay_alu instid0(VALU_DEP_2) | instskip(NEXT) | instid1(VALU_DEP_2)
	v_cmp_ne_u32_e32 vcc_lo, 0x7f00000, v3
                                        ; implicit-def: $vgpr3
	v_cndmask_b32_e32 v2, 0x7e, v2, vcc_lo
; %bb.442:
	s_and_not1_saveexec_b32 s6, s6
; %bb.443:
	v_add_f32_e32 v2, 0x46800000, v3
; %bb.444:
	s_or_b32 exec_lo, exec_lo, s6
                                        ; implicit-def: $vgpr3
.LBB284_445:
	s_and_not1_saveexec_b32 s5, s5
; %bb.446:
	v_mov_b32_e32 v2, 0x7f
	v_cmp_lt_u32_e32 vcc_lo, 0x7f800000, v3
	s_delay_alu instid0(VALU_DEP_2)
	v_cndmask_b32_e32 v2, 0x7e, v2, vcc_lo
; %bb.447:
	s_or_b32 exec_lo, exec_lo, s5
	global_store_b8 v[0:1], v2, off
.LBB284_448:
	s_mov_b32 s5, 0
.LBB284_449:
	s_delay_alu instid0(SALU_CYCLE_1)
	s_and_not1_b32 vcc_lo, exec_lo, s5
	s_cbranch_vccnz .LBB284_459
; %bb.450:
	s_wait_xcnt 0x0
	v_cndmask_b32_e64 v3, 0, 1.0, s1
	s_mov_b32 s5, exec_lo
                                        ; implicit-def: $vgpr2
	s_delay_alu instid0(VALU_DEP_1)
	v_cmpx_gt_u32_e32 0x47800000, v3
	s_xor_b32 s5, exec_lo, s5
	s_cbranch_execz .LBB284_456
; %bb.451:
	s_mov_b32 s6, exec_lo
                                        ; implicit-def: $vgpr2
	v_cmpx_lt_u32_e32 0x387fffff, v3
	s_xor_b32 s6, exec_lo, s6
; %bb.452:
	v_bfe_u32 v2, v3, 21, 1
	s_delay_alu instid0(VALU_DEP_1) | instskip(NEXT) | instid1(VALU_DEP_1)
	v_add3_u32 v2, v3, v2, 0x80fffff
                                        ; implicit-def: $vgpr3
	v_lshrrev_b32_e32 v2, 21, v2
; %bb.453:
	s_and_not1_saveexec_b32 s6, s6
; %bb.454:
	v_add_f32_e32 v2, 0x43000000, v3
; %bb.455:
	s_or_b32 exec_lo, exec_lo, s6
                                        ; implicit-def: $vgpr3
.LBB284_456:
	s_and_not1_saveexec_b32 s5, s5
; %bb.457:
	v_mov_b32_e32 v2, 0x7f
	v_cmp_lt_u32_e32 vcc_lo, 0x7f800000, v3
	s_delay_alu instid0(VALU_DEP_2)
	v_cndmask_b32_e32 v2, 0x7c, v2, vcc_lo
; %bb.458:
	s_or_b32 exec_lo, exec_lo, s5
	global_store_b8 v[0:1], v2, off
.LBB284_459:
	s_mov_b32 s5, 0
.LBB284_460:
	s_delay_alu instid0(SALU_CYCLE_1)
	s_and_not1_b32 vcc_lo, exec_lo, s5
	s_mov_b32 s5, 0
	s_cbranch_vccnz .LBB284_468
; %bb.461:
	s_cmp_gt_i32 s3, 14
	s_mov_b32 s5, -1
	s_cbranch_scc0 .LBB284_465
; %bb.462:
	s_cmp_eq_u32 s3, 15
	s_mov_b32 s0, -1
	s_cbranch_scc0 .LBB284_464
; %bb.463:
	s_wait_xcnt 0x0
	v_cndmask_b32_e64 v2, 0, 1.0, s1
	s_mov_b32 s0, 0
	s_delay_alu instid0(VALU_DEP_1) | instskip(NEXT) | instid1(VALU_DEP_1)
	v_bfe_u32 v3, v2, 16, 1
	v_add3_u32 v2, v2, v3, 0x7fff
	global_store_d16_hi_b16 v[0:1], v2, off
.LBB284_464:
	s_mov_b32 s5, 0
.LBB284_465:
	s_delay_alu instid0(SALU_CYCLE_1)
	s_and_b32 vcc_lo, exec_lo, s5
	s_mov_b32 s5, 0
	s_cbranch_vccz .LBB284_468
; %bb.466:
	s_cmp_lg_u32 s3, 11
	s_mov_b32 s5, -1
	s_cselect_b32 s3, -1, 0
	s_and_not1_b32 s0, s0, exec_lo
	s_and_b32 s3, s3, exec_lo
	s_delay_alu instid0(SALU_CYCLE_1)
	s_or_b32 s0, s0, s3
	s_branch .LBB284_468
.LBB284_467:
	s_mov_b32 s5, 0
.LBB284_468:
	s_and_b32 s3, s4, exec_lo
	s_and_not1_b32 s4, s33, exec_lo
	s_and_b32 s6, s0, exec_lo
	s_and_b32 s0, s5, exec_lo
	s_or_b32 s4, s4, s6
.LBB284_469:
	s_wait_xcnt 0x0
	s_or_b32 exec_lo, exec_lo, s14
	s_delay_alu instid0(SALU_CYCLE_1)
	s_and_not1_b32 s5, s33, exec_lo
	s_and_b32 s4, s4, exec_lo
	s_and_b32 s3, s3, exec_lo
	;; [unrolled: 1-line block ×3, first 2 shown]
	s_or_b32 s33, s5, s4
.LBB284_470:
	s_or_b32 exec_lo, exec_lo, s29
	s_delay_alu instid0(SALU_CYCLE_1)
	s_and_not1_b32 s4, s27, exec_lo
	s_and_b32 s5, s33, exec_lo
	s_and_b32 s3, s3, exec_lo
	s_and_b32 s0, s0, exec_lo
	s_or_b32 s27, s4, s5
.LBB284_471:
	s_or_b32 exec_lo, exec_lo, s28
	s_delay_alu instid0(SALU_CYCLE_1)
	s_and_not1_b32 s4, s25, exec_lo
	s_and_b32 s5, s27, exec_lo
	s_and_b32 s3, s3, exec_lo
	;; [unrolled: 1-line block ×3, first 2 shown]
	s_or_b32 s25, s4, s5
	s_or_b32 exec_lo, exec_lo, s26
	s_mov_b32 s0, 0
	s_and_saveexec_b32 s4, s25
	s_cbranch_execz .LBB284_134
.LBB284_472:
	s_mov_b32 s0, exec_lo
	s_and_not1_b32 s27, s27, exec_lo
	s_trap 2
	s_or_b32 exec_lo, exec_lo, s4
	s_and_saveexec_b32 s4, s27
	s_delay_alu instid0(SALU_CYCLE_1)
	s_xor_b32 s4, exec_lo, s4
	s_cbranch_execnz .LBB284_135
.LBB284_473:
	s_or_b32 exec_lo, exec_lo, s4
	s_and_saveexec_b32 s4, s3
	s_delay_alu instid0(SALU_CYCLE_1)
	s_xor_b32 s3, exec_lo, s4
	s_cbranch_execz .LBB284_511
.LBB284_474:
	s_sext_i32_i16 s5, s2
	s_mov_b32 s4, -1
	s_cmp_lt_i32 s5, 5
	s_cbranch_scc1 .LBB284_495
; %bb.475:
	s_cmp_lt_i32 s5, 8
	s_cbranch_scc1 .LBB284_485
; %bb.476:
	;; [unrolled: 3-line block ×3, first 2 shown]
	s_cmp_gt_i32 s5, 9
	s_cbranch_scc0 .LBB284_479
; %bb.478:
	v_cndmask_b32_e64 v2, 0, 1, s1
	v_mov_b32_e32 v4, 0
	s_mov_b32 s4, 0
	s_delay_alu instid0(VALU_DEP_2) | instskip(NEXT) | instid1(VALU_DEP_2)
	v_cvt_f64_u32_e32 v[2:3], v2
	v_mov_b32_e32 v5, v4
	global_store_b128 v[0:1], v[2:5], off
.LBB284_479:
	s_and_not1_b32 vcc_lo, exec_lo, s4
	s_cbranch_vccnz .LBB284_481
; %bb.480:
	s_wait_xcnt 0x0
	v_cndmask_b32_e64 v2, 0, 1.0, s1
	v_mov_b32_e32 v3, 0
	global_store_b64 v[0:1], v[2:3], off
.LBB284_481:
	s_mov_b32 s4, 0
.LBB284_482:
	s_delay_alu instid0(SALU_CYCLE_1)
	s_and_not1_b32 vcc_lo, exec_lo, s4
	s_cbranch_vccnz .LBB284_484
; %bb.483:
	s_wait_xcnt 0x0
	v_cndmask_b32_e64 v2, 0, 1.0, s1
	s_delay_alu instid0(VALU_DEP_1) | instskip(NEXT) | instid1(VALU_DEP_1)
	v_cvt_f16_f32_e32 v2, v2
	v_and_b32_e32 v2, 0xffff, v2
	global_store_b32 v[0:1], v2, off
.LBB284_484:
	s_mov_b32 s4, 0
.LBB284_485:
	s_delay_alu instid0(SALU_CYCLE_1)
	s_and_not1_b32 vcc_lo, exec_lo, s4
	s_cbranch_vccnz .LBB284_494
; %bb.486:
	s_sext_i32_i16 s5, s2
	s_mov_b32 s4, -1
	s_cmp_lt_i32 s5, 6
	s_cbranch_scc1 .LBB284_492
; %bb.487:
	s_cmp_gt_i32 s5, 6
	s_cbranch_scc0 .LBB284_489
; %bb.488:
	s_wait_xcnt 0x0
	v_cndmask_b32_e64 v2, 0, 1, s1
	s_mov_b32 s4, 0
	s_delay_alu instid0(VALU_DEP_1)
	v_cvt_f64_u32_e32 v[2:3], v2
	global_store_b64 v[0:1], v[2:3], off
.LBB284_489:
	s_and_not1_b32 vcc_lo, exec_lo, s4
	s_cbranch_vccnz .LBB284_491
; %bb.490:
	s_wait_xcnt 0x0
	v_cndmask_b32_e64 v2, 0, 1.0, s1
	global_store_b32 v[0:1], v2, off
.LBB284_491:
	s_mov_b32 s4, 0
.LBB284_492:
	s_delay_alu instid0(SALU_CYCLE_1)
	s_and_not1_b32 vcc_lo, exec_lo, s4
	s_cbranch_vccnz .LBB284_494
; %bb.493:
	s_wait_xcnt 0x0
	v_cndmask_b32_e64 v2, 0, 1.0, s1
	s_delay_alu instid0(VALU_DEP_1)
	v_cvt_f16_f32_e32 v2, v2
	global_store_b16 v[0:1], v2, off
.LBB284_494:
	s_mov_b32 s4, 0
.LBB284_495:
	s_delay_alu instid0(SALU_CYCLE_1)
	s_and_not1_b32 vcc_lo, exec_lo, s4
	s_cbranch_vccnz .LBB284_511
; %bb.496:
	s_sext_i32_i16 s5, s2
	s_mov_b32 s4, -1
	s_cmp_lt_i32 s5, 2
	s_cbranch_scc1 .LBB284_506
; %bb.497:
	s_cmp_lt_i32 s5, 3
	s_cbranch_scc1 .LBB284_503
; %bb.498:
	s_cmp_gt_i32 s5, 3
	s_cbranch_scc0 .LBB284_500
; %bb.499:
	s_mov_b32 s4, 0
	s_wait_xcnt 0x0
	v_cndmask_b32_e64 v2, 0, 1, s1
	v_mov_b32_e32 v3, s4
	global_store_b64 v[0:1], v[2:3], off
.LBB284_500:
	s_and_not1_b32 vcc_lo, exec_lo, s4
	s_cbranch_vccnz .LBB284_502
; %bb.501:
	s_wait_xcnt 0x0
	v_cndmask_b32_e64 v2, 0, 1, s1
	global_store_b32 v[0:1], v2, off
.LBB284_502:
	s_mov_b32 s4, 0
.LBB284_503:
	s_delay_alu instid0(SALU_CYCLE_1)
	s_and_not1_b32 vcc_lo, exec_lo, s4
	s_cbranch_vccnz .LBB284_505
; %bb.504:
	s_wait_xcnt 0x0
	v_cndmask_b32_e64 v2, 0, 1, s1
	global_store_b16 v[0:1], v2, off
.LBB284_505:
	s_mov_b32 s4, 0
.LBB284_506:
	s_delay_alu instid0(SALU_CYCLE_1)
	s_and_not1_b32 vcc_lo, exec_lo, s4
	s_cbranch_vccnz .LBB284_511
; %bb.507:
	s_wait_xcnt 0x0
	v_cndmask_b32_e64 v2, 0, 1, s1
	s_sext_i32_i16 s2, s2
	s_mov_b32 s1, -1
	s_cmp_gt_i32 s2, 0
	s_cbranch_scc0 .LBB284_509
; %bb.508:
	s_mov_b32 s1, 0
	global_store_b8 v[0:1], v2, off
.LBB284_509:
	s_and_not1_b32 vcc_lo, exec_lo, s1
	s_cbranch_vccnz .LBB284_511
; %bb.510:
	global_store_b8 v[0:1], v2, off
.LBB284_511:
	s_wait_xcnt 0x0
	s_or_b32 exec_lo, exec_lo, s3
	s_delay_alu instid0(SALU_CYCLE_1)
	s_and_b32 s25, s0, exec_lo
                                        ; implicit-def: $vgpr10
                                        ; implicit-def: $vgpr11
.LBB284_512:
	s_or_saveexec_b32 s26, s13
	s_mov_b32 s0, 0
                                        ; implicit-def: $sgpr1
                                        ; implicit-def: $sgpr2
                                        ; implicit-def: $vgpr0_vgpr1
	s_xor_b32 exec_lo, exec_lo, s26
	s_cbranch_execz .LBB284_945
; %bb.513:
	v_dual_mov_b32 v1, s23 :: v_dual_add_nc_u32 v12, 0x80, v10
	v_dual_mov_b32 v0, s22 :: v_dual_add_nc_u32 v13, 0x100, v10
	v_dual_mov_b32 v2, s18 :: v_dual_mov_b32 v3, s19
	v_dual_mov_b32 v4, s21 :: v_dual_mov_b32 v5, s24
	v_mov_b32_e32 v6, v10
	s_get_pc_i64 s[28:29]
	s_add_nc_u64 s[28:29], s[28:29], _ZN2at6native6invokeINS0_13AUnaryFunctorIN3c1013Float8_e4m3fnES4_bNS0_12_GLOBAL__N_116CompareEqFunctorIS4_EEEEi15function_traitsIS8_EEENT1_11result_typeERKT_PrKPcPKT0_PKNS3_10ScalarTypeEi@rel64+4
	s_delay_alu instid0(SALU_CYCLE_1) | instskip(SKIP_3) | instid1(VALU_DEP_3)
	s_swap_pc_i64 s[30:31], s[28:29]
	v_dual_mov_b32 v1, s23 :: v_dual_bitop2_b32 v0, 1, v0 bitop3:0x40
	v_dual_mov_b32 v3, s19 :: v_dual_mov_b32 v4, s21
	v_dual_mov_b32 v5, s24 :: v_dual_mov_b32 v6, v12
	v_cmp_eq_u32_e64 s14, 1, v0
	v_dual_mov_b32 v0, s22 :: v_dual_mov_b32 v2, s18
	s_swap_pc_i64 s[30:31], s[28:29]
	s_delay_alu instid0(VALU_DEP_1) | instskip(SKIP_2) | instid1(VALU_DEP_3)
	v_dual_mov_b32 v1, s23 :: v_dual_bitop2_b32 v0, 1, v0 bitop3:0x40
	v_dual_mov_b32 v3, s19 :: v_dual_mov_b32 v4, s21
	v_dual_mov_b32 v5, s24 :: v_dual_mov_b32 v6, v13
	v_cmp_eq_u32_e64 s13, 1, v0
	v_dual_mov_b32 v0, s22 :: v_dual_mov_b32 v2, s18
	s_swap_pc_i64 s[30:31], s[28:29]
	s_delay_alu instid0(VALU_DEP_1) | instskip(SKIP_2) | instid1(VALU_DEP_3)
	v_dual_mov_b32 v1, s23 :: v_dual_bitop2_b32 v0, 1, v0 bitop3:0x40
	v_dual_mov_b32 v3, s19 :: v_dual_mov_b32 v4, s21
	v_dual_mov_b32 v5, s24 :: v_dual_mov_b32 v6, v11
	v_cmp_eq_u32_e64 s12, 1, v0
	v_dual_mov_b32 v0, s22 :: v_dual_mov_b32 v2, s18
	s_swap_pc_i64 s[30:31], s[28:29]
	s_delay_alu instid0(VALU_DEP_1) | instskip(SKIP_1) | instid1(SALU_CYCLE_1)
	v_and_b32_e32 v0, 1, v0
	s_and_b32 s2, s15, 0xff
	s_cmp_lt_i32 s2, 11
	s_delay_alu instid0(VALU_DEP_1) | instskip(SKIP_1) | instid1(VALU_DEP_1)
	v_cmp_eq_u32_e64 s1, 1, v0
	v_mul_lo_u32 v0, s20, v10
	v_ashrrev_i32_e32 v1, 31, v0
	s_delay_alu instid0(VALU_DEP_1)
	v_add_nc_u64_e32 v[2:3], s[16:17], v[0:1]
	s_cbranch_scc1 .LBB284_592
; %bb.514:
	s_and_b32 s3, 0xffff, s2
	s_mov_b32 s6, -1
	s_mov_b32 s4, 0
	s_cmp_gt_i32 s3, 25
	s_mov_b32 s5, 0
	s_mov_b32 s0, 0
	s_cbranch_scc0 .LBB284_547
; %bb.515:
	s_cmp_gt_i32 s3, 28
	s_cbranch_scc0 .LBB284_530
; %bb.516:
	s_cmp_gt_i32 s3, 43
	;; [unrolled: 3-line block ×3, first 2 shown]
	s_cbranch_scc0 .LBB284_520
; %bb.518:
	s_mov_b32 s0, -1
	s_mov_b32 s6, 0
	s_cmp_eq_u32 s3, 46
	s_cbranch_scc0 .LBB284_520
; %bb.519:
	v_cndmask_b32_e64 v1, 0, 1.0, s14
	s_mov_b32 s0, 0
	s_mov_b32 s5, -1
	s_delay_alu instid0(VALU_DEP_1) | instskip(NEXT) | instid1(VALU_DEP_1)
	v_bfe_u32 v4, v1, 16, 1
	v_add3_u32 v1, v1, v4, 0x7fff
	s_delay_alu instid0(VALU_DEP_1)
	v_lshrrev_b32_e32 v1, 16, v1
	global_store_b32 v[2:3], v1, off
.LBB284_520:
	s_and_b32 vcc_lo, exec_lo, s6
	s_cbranch_vccz .LBB284_525
; %bb.521:
	s_cmp_eq_u32 s3, 44
	s_mov_b32 s0, -1
	s_cbranch_scc0 .LBB284_525
; %bb.522:
	v_cndmask_b32_e64 v5, 0, 1.0, s14
	s_mov_b32 s5, exec_lo
	s_wait_xcnt 0x0
	s_delay_alu instid0(VALU_DEP_1) | instskip(NEXT) | instid1(VALU_DEP_1)
	v_dual_mov_b32 v4, 0xff :: v_dual_lshrrev_b32 v1, 23, v5
	v_cmpx_ne_u32_e32 0xff, v1
; %bb.523:
	v_and_b32_e32 v4, 0x400000, v5
	v_and_or_b32 v5, 0x3fffff, v5, v1
	s_delay_alu instid0(VALU_DEP_2) | instskip(NEXT) | instid1(VALU_DEP_2)
	v_cmp_ne_u32_e32 vcc_lo, 0, v4
	v_cmp_ne_u32_e64 s0, 0, v5
	s_and_b32 s0, vcc_lo, s0
	s_delay_alu instid0(SALU_CYCLE_1) | instskip(NEXT) | instid1(VALU_DEP_1)
	v_cndmask_b32_e64 v4, 0, 1, s0
	v_add_nc_u32_e32 v4, v1, v4
; %bb.524:
	s_or_b32 exec_lo, exec_lo, s5
	s_mov_b32 s0, 0
	s_mov_b32 s5, -1
	global_store_b8 v[2:3], v4, off
.LBB284_525:
	s_mov_b32 s6, 0
.LBB284_526:
	s_delay_alu instid0(SALU_CYCLE_1)
	s_and_b32 vcc_lo, exec_lo, s6
	s_cbranch_vccz .LBB284_529
; %bb.527:
	s_cmp_eq_u32 s3, 29
	s_mov_b32 s0, -1
	s_cbranch_scc0 .LBB284_529
; %bb.528:
	s_mov_b32 s0, 0
	s_wait_xcnt 0x0
	v_cndmask_b32_e64 v4, 0, 1, s14
	v_mov_b32_e32 v5, s0
	s_mov_b32 s5, -1
	global_store_b64 v[2:3], v[4:5], off
.LBB284_529:
	s_mov_b32 s6, 0
.LBB284_530:
	s_delay_alu instid0(SALU_CYCLE_1)
	s_and_b32 vcc_lo, exec_lo, s6
	s_cbranch_vccz .LBB284_546
; %bb.531:
	s_cmp_lt_i32 s3, 27
	s_mov_b32 s5, -1
	s_cbranch_scc1 .LBB284_537
; %bb.532:
	s_cmp_gt_i32 s3, 27
	s_cbranch_scc0 .LBB284_534
; %bb.533:
	s_wait_xcnt 0x0
	v_cndmask_b32_e64 v1, 0, 1, s14
	s_mov_b32 s5, 0
	global_store_b32 v[2:3], v1, off
.LBB284_534:
	s_and_not1_b32 vcc_lo, exec_lo, s5
	s_cbranch_vccnz .LBB284_536
; %bb.535:
	s_wait_xcnt 0x0
	v_cndmask_b32_e64 v1, 0, 1, s14
	global_store_b16 v[2:3], v1, off
.LBB284_536:
	s_mov_b32 s5, 0
.LBB284_537:
	s_delay_alu instid0(SALU_CYCLE_1)
	s_and_not1_b32 vcc_lo, exec_lo, s5
	s_cbranch_vccnz .LBB284_545
; %bb.538:
	s_wait_xcnt 0x0
	v_cndmask_b32_e64 v4, 0, 1.0, s14
	v_mov_b32_e32 v5, 0x80
	s_mov_b32 s5, exec_lo
	s_delay_alu instid0(VALU_DEP_2)
	v_cmpx_gt_u32_e32 0x43800000, v4
	s_cbranch_execz .LBB284_544
; %bb.539:
	s_mov_b32 s6, 0
	s_mov_b32 s7, exec_lo
                                        ; implicit-def: $vgpr1
	v_cmpx_lt_u32_e32 0x3bffffff, v4
	s_xor_b32 s7, exec_lo, s7
	s_cbranch_execz .LBB284_989
; %bb.540:
	v_bfe_u32 v1, v4, 20, 1
	s_mov_b32 s6, exec_lo
	s_delay_alu instid0(VALU_DEP_1) | instskip(NEXT) | instid1(VALU_DEP_1)
	v_add3_u32 v1, v4, v1, 0x487ffff
                                        ; implicit-def: $vgpr4
	v_lshrrev_b32_e32 v1, 20, v1
	s_and_not1_saveexec_b32 s7, s7
	s_cbranch_execnz .LBB284_990
.LBB284_541:
	s_or_b32 exec_lo, exec_lo, s7
	v_mov_b32_e32 v5, 0
	s_and_saveexec_b32 s7, s6
.LBB284_542:
	v_mov_b32_e32 v5, v1
.LBB284_543:
	s_or_b32 exec_lo, exec_lo, s7
.LBB284_544:
	s_delay_alu instid0(SALU_CYCLE_1)
	s_or_b32 exec_lo, exec_lo, s5
	global_store_b8 v[2:3], v5, off
.LBB284_545:
	s_mov_b32 s5, -1
.LBB284_546:
	s_mov_b32 s6, 0
.LBB284_547:
	s_delay_alu instid0(SALU_CYCLE_1)
	s_and_b32 vcc_lo, exec_lo, s6
	s_cbranch_vccz .LBB284_587
; %bb.548:
	s_cmp_gt_i32 s3, 22
	s_mov_b32 s4, -1
	s_cbranch_scc0 .LBB284_580
; %bb.549:
	s_cmp_lt_i32 s3, 24
	s_cbranch_scc1 .LBB284_569
; %bb.550:
	s_cmp_gt_i32 s3, 24
	s_cbranch_scc0 .LBB284_558
; %bb.551:
	s_wait_xcnt 0x0
	v_cndmask_b32_e64 v4, 0, 1.0, s14
	v_mov_b32_e32 v5, 0x80
	s_mov_b32 s4, exec_lo
	s_delay_alu instid0(VALU_DEP_2)
	v_cmpx_gt_u32_e32 0x47800000, v4
	s_cbranch_execz .LBB284_557
; %bb.552:
	s_mov_b32 s5, 0
	s_mov_b32 s6, exec_lo
                                        ; implicit-def: $vgpr1
	v_cmpx_lt_u32_e32 0x37ffffff, v4
	s_xor_b32 s6, exec_lo, s6
	s_cbranch_execz .LBB284_992
; %bb.553:
	v_bfe_u32 v1, v4, 21, 1
	s_mov_b32 s5, exec_lo
	s_delay_alu instid0(VALU_DEP_1) | instskip(NEXT) | instid1(VALU_DEP_1)
	v_add3_u32 v1, v4, v1, 0x88fffff
                                        ; implicit-def: $vgpr4
	v_lshrrev_b32_e32 v1, 21, v1
	s_and_not1_saveexec_b32 s6, s6
	s_cbranch_execnz .LBB284_993
.LBB284_554:
	s_or_b32 exec_lo, exec_lo, s6
	v_mov_b32_e32 v5, 0
	s_and_saveexec_b32 s6, s5
.LBB284_555:
	v_mov_b32_e32 v5, v1
.LBB284_556:
	s_or_b32 exec_lo, exec_lo, s6
.LBB284_557:
	s_delay_alu instid0(SALU_CYCLE_1)
	s_or_b32 exec_lo, exec_lo, s4
	s_mov_b32 s4, 0
	global_store_b8 v[2:3], v5, off
.LBB284_558:
	s_and_b32 vcc_lo, exec_lo, s4
	s_cbranch_vccz .LBB284_568
; %bb.559:
	s_wait_xcnt 0x0
	v_cndmask_b32_e64 v4, 0, 1.0, s14
	s_mov_b32 s4, exec_lo
                                        ; implicit-def: $vgpr1
	s_delay_alu instid0(VALU_DEP_1)
	v_cmpx_gt_u32_e32 0x43f00000, v4
	s_xor_b32 s4, exec_lo, s4
	s_cbranch_execz .LBB284_565
; %bb.560:
	s_mov_b32 s5, exec_lo
                                        ; implicit-def: $vgpr1
	v_cmpx_lt_u32_e32 0x3c7fffff, v4
	s_xor_b32 s5, exec_lo, s5
; %bb.561:
	v_bfe_u32 v1, v4, 20, 1
	s_delay_alu instid0(VALU_DEP_1) | instskip(NEXT) | instid1(VALU_DEP_1)
	v_add3_u32 v1, v4, v1, 0x407ffff
	v_and_b32_e32 v4, 0xff00000, v1
	v_lshrrev_b32_e32 v1, 20, v1
	s_delay_alu instid0(VALU_DEP_2) | instskip(NEXT) | instid1(VALU_DEP_2)
	v_cmp_ne_u32_e32 vcc_lo, 0x7f00000, v4
                                        ; implicit-def: $vgpr4
	v_cndmask_b32_e32 v1, 0x7e, v1, vcc_lo
; %bb.562:
	s_and_not1_saveexec_b32 s5, s5
; %bb.563:
	v_add_f32_e32 v1, 0x46800000, v4
; %bb.564:
	s_or_b32 exec_lo, exec_lo, s5
                                        ; implicit-def: $vgpr4
.LBB284_565:
	s_and_not1_saveexec_b32 s4, s4
; %bb.566:
	v_mov_b32_e32 v1, 0x7f
	v_cmp_lt_u32_e32 vcc_lo, 0x7f800000, v4
	s_delay_alu instid0(VALU_DEP_2)
	v_cndmask_b32_e32 v1, 0x7e, v1, vcc_lo
; %bb.567:
	s_or_b32 exec_lo, exec_lo, s4
	global_store_b8 v[2:3], v1, off
.LBB284_568:
	s_mov_b32 s4, 0
.LBB284_569:
	s_delay_alu instid0(SALU_CYCLE_1)
	s_and_not1_b32 vcc_lo, exec_lo, s4
	s_cbranch_vccnz .LBB284_579
; %bb.570:
	s_wait_xcnt 0x0
	v_cndmask_b32_e64 v4, 0, 1.0, s14
	s_mov_b32 s4, exec_lo
                                        ; implicit-def: $vgpr1
	s_delay_alu instid0(VALU_DEP_1)
	v_cmpx_gt_u32_e32 0x47800000, v4
	s_xor_b32 s4, exec_lo, s4
	s_cbranch_execz .LBB284_576
; %bb.571:
	s_mov_b32 s5, exec_lo
                                        ; implicit-def: $vgpr1
	v_cmpx_lt_u32_e32 0x387fffff, v4
	s_xor_b32 s5, exec_lo, s5
; %bb.572:
	v_bfe_u32 v1, v4, 21, 1
	s_delay_alu instid0(VALU_DEP_1) | instskip(NEXT) | instid1(VALU_DEP_1)
	v_add3_u32 v1, v4, v1, 0x80fffff
                                        ; implicit-def: $vgpr4
	v_lshrrev_b32_e32 v1, 21, v1
; %bb.573:
	s_and_not1_saveexec_b32 s5, s5
; %bb.574:
	v_add_f32_e32 v1, 0x43000000, v4
; %bb.575:
	s_or_b32 exec_lo, exec_lo, s5
                                        ; implicit-def: $vgpr4
.LBB284_576:
	s_and_not1_saveexec_b32 s4, s4
; %bb.577:
	v_mov_b32_e32 v1, 0x7f
	v_cmp_lt_u32_e32 vcc_lo, 0x7f800000, v4
	s_delay_alu instid0(VALU_DEP_2)
	v_cndmask_b32_e32 v1, 0x7c, v1, vcc_lo
; %bb.578:
	s_or_b32 exec_lo, exec_lo, s4
	global_store_b8 v[2:3], v1, off
.LBB284_579:
	s_mov_b32 s4, 0
	s_mov_b32 s5, -1
.LBB284_580:
	s_and_not1_b32 vcc_lo, exec_lo, s4
	s_mov_b32 s4, 0
	s_cbranch_vccnz .LBB284_587
; %bb.581:
	s_cmp_gt_i32 s3, 14
	s_mov_b32 s4, -1
	s_cbranch_scc0 .LBB284_585
; %bb.582:
	s_cmp_eq_u32 s3, 15
	s_mov_b32 s0, -1
	s_cbranch_scc0 .LBB284_584
; %bb.583:
	s_wait_xcnt 0x0
	v_cndmask_b32_e64 v1, 0, 1.0, s14
	s_mov_b32 s0, 0
	s_mov_b32 s5, -1
	s_delay_alu instid0(VALU_DEP_1) | instskip(NEXT) | instid1(VALU_DEP_1)
	v_bfe_u32 v4, v1, 16, 1
	v_add3_u32 v1, v1, v4, 0x7fff
	global_store_d16_hi_b16 v[2:3], v1, off
.LBB284_584:
	s_mov_b32 s4, 0
.LBB284_585:
	s_delay_alu instid0(SALU_CYCLE_1)
	s_and_b32 vcc_lo, exec_lo, s4
	s_mov_b32 s4, 0
	s_cbranch_vccz .LBB284_587
; %bb.586:
	s_cmp_lg_u32 s3, 11
	s_mov_b32 s4, -1
	s_cselect_b32 s0, -1, 0
.LBB284_587:
	s_delay_alu instid0(SALU_CYCLE_1)
	s_and_b32 vcc_lo, exec_lo, s0
	s_mov_b32 s3, s25
	s_cbranch_vccnz .LBB284_991
; %bb.588:
	s_and_not1_b32 vcc_lo, exec_lo, s4
	s_cbranch_vccnz .LBB284_590
.LBB284_589:
	s_wait_xcnt 0x0
	v_cndmask_b32_e64 v1, 0, 1, s14
	s_mov_b32 s5, -1
	global_store_b8 v[2:3], v1, off
.LBB284_590:
.LBB284_591:
	s_and_not1_b32 vcc_lo, exec_lo, s5
	s_cbranch_vccz .LBB284_631
	s_branch .LBB284_943
.LBB284_592:
	s_mov_b32 s5, 0
	s_mov_b32 s3, s25
	s_cbranch_execz .LBB284_591
; %bb.593:
	s_and_b32 s0, 0xffff, s2
	s_mov_b32 s4, -1
	s_cmp_lt_i32 s0, 5
	s_cbranch_scc1 .LBB284_614
; %bb.594:
	s_cmp_lt_i32 s0, 8
	s_cbranch_scc1 .LBB284_604
; %bb.595:
	;; [unrolled: 3-line block ×3, first 2 shown]
	s_cmp_gt_i32 s0, 9
	s_cbranch_scc0 .LBB284_598
; %bb.597:
	s_wait_xcnt 0x0
	v_cndmask_b32_e64 v1, 0, 1, s14
	v_mov_b32_e32 v6, 0
	s_mov_b32 s4, 0
	s_delay_alu instid0(VALU_DEP_2) | instskip(NEXT) | instid1(VALU_DEP_2)
	v_cvt_f64_u32_e32 v[4:5], v1
	v_mov_b32_e32 v7, v6
	global_store_b128 v[2:3], v[4:7], off
.LBB284_598:
	s_and_not1_b32 vcc_lo, exec_lo, s4
	s_cbranch_vccnz .LBB284_600
; %bb.599:
	s_wait_xcnt 0x0
	v_cndmask_b32_e64 v4, 0, 1.0, s14
	v_mov_b32_e32 v5, 0
	global_store_b64 v[2:3], v[4:5], off
.LBB284_600:
	s_mov_b32 s4, 0
.LBB284_601:
	s_delay_alu instid0(SALU_CYCLE_1)
	s_and_not1_b32 vcc_lo, exec_lo, s4
	s_cbranch_vccnz .LBB284_603
; %bb.602:
	s_wait_xcnt 0x0
	v_cndmask_b32_e64 v1, 0, 1.0, s14
	s_delay_alu instid0(VALU_DEP_1) | instskip(NEXT) | instid1(VALU_DEP_1)
	v_cvt_f16_f32_e32 v1, v1
	v_and_b32_e32 v1, 0xffff, v1
	global_store_b32 v[2:3], v1, off
.LBB284_603:
	s_mov_b32 s4, 0
.LBB284_604:
	s_delay_alu instid0(SALU_CYCLE_1)
	s_and_not1_b32 vcc_lo, exec_lo, s4
	s_cbranch_vccnz .LBB284_613
; %bb.605:
	s_cmp_lt_i32 s0, 6
	s_mov_b32 s4, -1
	s_cbranch_scc1 .LBB284_611
; %bb.606:
	s_cmp_gt_i32 s0, 6
	s_cbranch_scc0 .LBB284_608
; %bb.607:
	s_wait_xcnt 0x0
	v_cndmask_b32_e64 v1, 0, 1, s14
	s_mov_b32 s4, 0
	s_delay_alu instid0(VALU_DEP_1)
	v_cvt_f64_u32_e32 v[4:5], v1
	global_store_b64 v[2:3], v[4:5], off
.LBB284_608:
	s_and_not1_b32 vcc_lo, exec_lo, s4
	s_cbranch_vccnz .LBB284_610
; %bb.609:
	s_wait_xcnt 0x0
	v_cndmask_b32_e64 v1, 0, 1.0, s14
	global_store_b32 v[2:3], v1, off
.LBB284_610:
	s_mov_b32 s4, 0
.LBB284_611:
	s_delay_alu instid0(SALU_CYCLE_1)
	s_and_not1_b32 vcc_lo, exec_lo, s4
	s_cbranch_vccnz .LBB284_613
; %bb.612:
	s_wait_xcnt 0x0
	v_cndmask_b32_e64 v1, 0, 1.0, s14
	s_delay_alu instid0(VALU_DEP_1)
	v_cvt_f16_f32_e32 v1, v1
	global_store_b16 v[2:3], v1, off
.LBB284_613:
	s_mov_b32 s4, 0
.LBB284_614:
	s_delay_alu instid0(SALU_CYCLE_1)
	s_and_not1_b32 vcc_lo, exec_lo, s4
	s_cbranch_vccnz .LBB284_630
; %bb.615:
	s_cmp_lt_i32 s0, 2
	s_mov_b32 s4, -1
	s_cbranch_scc1 .LBB284_625
; %bb.616:
	s_cmp_lt_i32 s0, 3
	s_cbranch_scc1 .LBB284_622
; %bb.617:
	s_cmp_gt_i32 s0, 3
	s_cbranch_scc0 .LBB284_619
; %bb.618:
	s_mov_b32 s4, 0
	s_wait_xcnt 0x0
	v_cndmask_b32_e64 v4, 0, 1, s14
	v_mov_b32_e32 v5, s4
	global_store_b64 v[2:3], v[4:5], off
.LBB284_619:
	s_and_not1_b32 vcc_lo, exec_lo, s4
	s_cbranch_vccnz .LBB284_621
; %bb.620:
	s_wait_xcnt 0x0
	v_cndmask_b32_e64 v1, 0, 1, s14
	global_store_b32 v[2:3], v1, off
.LBB284_621:
	s_mov_b32 s4, 0
.LBB284_622:
	s_delay_alu instid0(SALU_CYCLE_1)
	s_and_not1_b32 vcc_lo, exec_lo, s4
	s_cbranch_vccnz .LBB284_624
; %bb.623:
	s_wait_xcnt 0x0
	v_cndmask_b32_e64 v1, 0, 1, s14
	global_store_b16 v[2:3], v1, off
.LBB284_624:
	s_mov_b32 s4, 0
.LBB284_625:
	s_delay_alu instid0(SALU_CYCLE_1)
	s_and_not1_b32 vcc_lo, exec_lo, s4
	s_cbranch_vccnz .LBB284_630
; %bb.626:
	s_wait_xcnt 0x0
	v_cndmask_b32_e64 v1, 0, 1, s14
	s_cmp_gt_i32 s0, 0
	s_mov_b32 s0, -1
	s_cbranch_scc0 .LBB284_628
; %bb.627:
	s_mov_b32 s0, 0
	global_store_b8 v[2:3], v1, off
.LBB284_628:
	s_and_not1_b32 vcc_lo, exec_lo, s0
	s_cbranch_vccnz .LBB284_630
; %bb.629:
	global_store_b8 v[2:3], v1, off
.LBB284_630:
.LBB284_631:
	s_lshl_b32 s4, s20, 7
	s_cmp_lt_i32 s2, 11
	v_add_nc_u32_e32 v0, s4, v0
	s_wait_xcnt 0x0
	s_delay_alu instid0(VALU_DEP_1) | instskip(NEXT) | instid1(VALU_DEP_1)
	v_ashrrev_i32_e32 v1, 31, v0
	v_add_nc_u64_e32 v[2:3], s[16:17], v[0:1]
	s_cbranch_scc1 .LBB284_710
; %bb.632:
	s_and_b32 s5, 0xffff, s2
	s_mov_b32 s8, -1
	s_mov_b32 s6, 0
	s_cmp_gt_i32 s5, 25
	s_mov_b32 s7, 0
	s_mov_b32 s0, 0
	s_cbranch_scc0 .LBB284_665
; %bb.633:
	s_cmp_gt_i32 s5, 28
	s_cbranch_scc0 .LBB284_648
; %bb.634:
	s_cmp_gt_i32 s5, 43
	;; [unrolled: 3-line block ×3, first 2 shown]
	s_cbranch_scc0 .LBB284_638
; %bb.636:
	s_mov_b32 s0, -1
	s_mov_b32 s8, 0
	s_cmp_eq_u32 s5, 46
	s_cbranch_scc0 .LBB284_638
; %bb.637:
	v_cndmask_b32_e64 v1, 0, 1.0, s13
	s_mov_b32 s0, 0
	s_mov_b32 s7, -1
	s_delay_alu instid0(VALU_DEP_1) | instskip(NEXT) | instid1(VALU_DEP_1)
	v_bfe_u32 v4, v1, 16, 1
	v_add3_u32 v1, v1, v4, 0x7fff
	s_delay_alu instid0(VALU_DEP_1)
	v_lshrrev_b32_e32 v1, 16, v1
	global_store_b32 v[2:3], v1, off
.LBB284_638:
	s_and_b32 vcc_lo, exec_lo, s8
	s_cbranch_vccz .LBB284_643
; %bb.639:
	s_cmp_eq_u32 s5, 44
	s_mov_b32 s0, -1
	s_cbranch_scc0 .LBB284_643
; %bb.640:
	v_cndmask_b32_e64 v5, 0, 1.0, s13
	s_mov_b32 s7, exec_lo
	s_wait_xcnt 0x0
	s_delay_alu instid0(VALU_DEP_1) | instskip(NEXT) | instid1(VALU_DEP_1)
	v_dual_mov_b32 v4, 0xff :: v_dual_lshrrev_b32 v1, 23, v5
	v_cmpx_ne_u32_e32 0xff, v1
; %bb.641:
	v_and_b32_e32 v4, 0x400000, v5
	v_and_or_b32 v5, 0x3fffff, v5, v1
	s_delay_alu instid0(VALU_DEP_2) | instskip(NEXT) | instid1(VALU_DEP_2)
	v_cmp_ne_u32_e32 vcc_lo, 0, v4
	v_cmp_ne_u32_e64 s0, 0, v5
	s_and_b32 s0, vcc_lo, s0
	s_delay_alu instid0(SALU_CYCLE_1) | instskip(NEXT) | instid1(VALU_DEP_1)
	v_cndmask_b32_e64 v4, 0, 1, s0
	v_add_nc_u32_e32 v4, v1, v4
; %bb.642:
	s_or_b32 exec_lo, exec_lo, s7
	s_mov_b32 s0, 0
	s_mov_b32 s7, -1
	global_store_b8 v[2:3], v4, off
.LBB284_643:
	s_mov_b32 s8, 0
.LBB284_644:
	s_delay_alu instid0(SALU_CYCLE_1)
	s_and_b32 vcc_lo, exec_lo, s8
	s_cbranch_vccz .LBB284_647
; %bb.645:
	s_cmp_eq_u32 s5, 29
	s_mov_b32 s0, -1
	s_cbranch_scc0 .LBB284_647
; %bb.646:
	s_mov_b32 s0, 0
	s_wait_xcnt 0x0
	v_cndmask_b32_e64 v4, 0, 1, s13
	v_mov_b32_e32 v5, s0
	s_mov_b32 s7, -1
	global_store_b64 v[2:3], v[4:5], off
.LBB284_647:
	s_mov_b32 s8, 0
.LBB284_648:
	s_delay_alu instid0(SALU_CYCLE_1)
	s_and_b32 vcc_lo, exec_lo, s8
	s_cbranch_vccz .LBB284_664
; %bb.649:
	s_cmp_lt_i32 s5, 27
	s_mov_b32 s7, -1
	s_cbranch_scc1 .LBB284_655
; %bb.650:
	s_cmp_gt_i32 s5, 27
	s_cbranch_scc0 .LBB284_652
; %bb.651:
	s_wait_xcnt 0x0
	v_cndmask_b32_e64 v1, 0, 1, s13
	s_mov_b32 s7, 0
	global_store_b32 v[2:3], v1, off
.LBB284_652:
	s_and_not1_b32 vcc_lo, exec_lo, s7
	s_cbranch_vccnz .LBB284_654
; %bb.653:
	s_wait_xcnt 0x0
	v_cndmask_b32_e64 v1, 0, 1, s13
	global_store_b16 v[2:3], v1, off
.LBB284_654:
	s_mov_b32 s7, 0
.LBB284_655:
	s_delay_alu instid0(SALU_CYCLE_1)
	s_and_not1_b32 vcc_lo, exec_lo, s7
	s_cbranch_vccnz .LBB284_663
; %bb.656:
	s_wait_xcnt 0x0
	v_cndmask_b32_e64 v4, 0, 1.0, s13
	v_mov_b32_e32 v5, 0x80
	s_mov_b32 s7, exec_lo
	s_delay_alu instid0(VALU_DEP_2)
	v_cmpx_gt_u32_e32 0x43800000, v4
	s_cbranch_execz .LBB284_662
; %bb.657:
	s_mov_b32 s8, 0
	s_mov_b32 s9, exec_lo
                                        ; implicit-def: $vgpr1
	v_cmpx_lt_u32_e32 0x3bffffff, v4
	s_xor_b32 s9, exec_lo, s9
	s_cbranch_execz .LBB284_994
; %bb.658:
	v_bfe_u32 v1, v4, 20, 1
	s_mov_b32 s8, exec_lo
	s_delay_alu instid0(VALU_DEP_1) | instskip(NEXT) | instid1(VALU_DEP_1)
	v_add3_u32 v1, v4, v1, 0x487ffff
                                        ; implicit-def: $vgpr4
	v_lshrrev_b32_e32 v1, 20, v1
	s_and_not1_saveexec_b32 s9, s9
	s_cbranch_execnz .LBB284_995
.LBB284_659:
	s_or_b32 exec_lo, exec_lo, s9
	v_mov_b32_e32 v5, 0
	s_and_saveexec_b32 s9, s8
.LBB284_660:
	v_mov_b32_e32 v5, v1
.LBB284_661:
	s_or_b32 exec_lo, exec_lo, s9
.LBB284_662:
	s_delay_alu instid0(SALU_CYCLE_1)
	s_or_b32 exec_lo, exec_lo, s7
	global_store_b8 v[2:3], v5, off
.LBB284_663:
	s_mov_b32 s7, -1
.LBB284_664:
	s_mov_b32 s8, 0
.LBB284_665:
	s_delay_alu instid0(SALU_CYCLE_1)
	s_and_b32 vcc_lo, exec_lo, s8
	s_cbranch_vccz .LBB284_705
; %bb.666:
	s_cmp_gt_i32 s5, 22
	s_mov_b32 s6, -1
	s_cbranch_scc0 .LBB284_698
; %bb.667:
	s_cmp_lt_i32 s5, 24
	s_cbranch_scc1 .LBB284_687
; %bb.668:
	s_cmp_gt_i32 s5, 24
	s_cbranch_scc0 .LBB284_676
; %bb.669:
	s_wait_xcnt 0x0
	v_cndmask_b32_e64 v4, 0, 1.0, s13
	v_mov_b32_e32 v5, 0x80
	s_mov_b32 s6, exec_lo
	s_delay_alu instid0(VALU_DEP_2)
	v_cmpx_gt_u32_e32 0x47800000, v4
	s_cbranch_execz .LBB284_675
; %bb.670:
	s_mov_b32 s7, 0
	s_mov_b32 s8, exec_lo
                                        ; implicit-def: $vgpr1
	v_cmpx_lt_u32_e32 0x37ffffff, v4
	s_xor_b32 s8, exec_lo, s8
	s_cbranch_execz .LBB284_997
; %bb.671:
	v_bfe_u32 v1, v4, 21, 1
	s_mov_b32 s7, exec_lo
	s_delay_alu instid0(VALU_DEP_1) | instskip(NEXT) | instid1(VALU_DEP_1)
	v_add3_u32 v1, v4, v1, 0x88fffff
                                        ; implicit-def: $vgpr4
	v_lshrrev_b32_e32 v1, 21, v1
	s_and_not1_saveexec_b32 s8, s8
	s_cbranch_execnz .LBB284_998
.LBB284_672:
	s_or_b32 exec_lo, exec_lo, s8
	v_mov_b32_e32 v5, 0
	s_and_saveexec_b32 s8, s7
.LBB284_673:
	v_mov_b32_e32 v5, v1
.LBB284_674:
	s_or_b32 exec_lo, exec_lo, s8
.LBB284_675:
	s_delay_alu instid0(SALU_CYCLE_1)
	s_or_b32 exec_lo, exec_lo, s6
	s_mov_b32 s6, 0
	global_store_b8 v[2:3], v5, off
.LBB284_676:
	s_and_b32 vcc_lo, exec_lo, s6
	s_cbranch_vccz .LBB284_686
; %bb.677:
	s_wait_xcnt 0x0
	v_cndmask_b32_e64 v4, 0, 1.0, s13
	s_mov_b32 s6, exec_lo
                                        ; implicit-def: $vgpr1
	s_delay_alu instid0(VALU_DEP_1)
	v_cmpx_gt_u32_e32 0x43f00000, v4
	s_xor_b32 s6, exec_lo, s6
	s_cbranch_execz .LBB284_683
; %bb.678:
	s_mov_b32 s7, exec_lo
                                        ; implicit-def: $vgpr1
	v_cmpx_lt_u32_e32 0x3c7fffff, v4
	s_xor_b32 s7, exec_lo, s7
; %bb.679:
	v_bfe_u32 v1, v4, 20, 1
	s_delay_alu instid0(VALU_DEP_1) | instskip(NEXT) | instid1(VALU_DEP_1)
	v_add3_u32 v1, v4, v1, 0x407ffff
	v_and_b32_e32 v4, 0xff00000, v1
	v_lshrrev_b32_e32 v1, 20, v1
	s_delay_alu instid0(VALU_DEP_2) | instskip(NEXT) | instid1(VALU_DEP_2)
	v_cmp_ne_u32_e32 vcc_lo, 0x7f00000, v4
                                        ; implicit-def: $vgpr4
	v_cndmask_b32_e32 v1, 0x7e, v1, vcc_lo
; %bb.680:
	s_and_not1_saveexec_b32 s7, s7
; %bb.681:
	v_add_f32_e32 v1, 0x46800000, v4
; %bb.682:
	s_or_b32 exec_lo, exec_lo, s7
                                        ; implicit-def: $vgpr4
.LBB284_683:
	s_and_not1_saveexec_b32 s6, s6
; %bb.684:
	v_mov_b32_e32 v1, 0x7f
	v_cmp_lt_u32_e32 vcc_lo, 0x7f800000, v4
	s_delay_alu instid0(VALU_DEP_2)
	v_cndmask_b32_e32 v1, 0x7e, v1, vcc_lo
; %bb.685:
	s_or_b32 exec_lo, exec_lo, s6
	global_store_b8 v[2:3], v1, off
.LBB284_686:
	s_mov_b32 s6, 0
.LBB284_687:
	s_delay_alu instid0(SALU_CYCLE_1)
	s_and_not1_b32 vcc_lo, exec_lo, s6
	s_cbranch_vccnz .LBB284_697
; %bb.688:
	s_wait_xcnt 0x0
	v_cndmask_b32_e64 v4, 0, 1.0, s13
	s_mov_b32 s6, exec_lo
                                        ; implicit-def: $vgpr1
	s_delay_alu instid0(VALU_DEP_1)
	v_cmpx_gt_u32_e32 0x47800000, v4
	s_xor_b32 s6, exec_lo, s6
	s_cbranch_execz .LBB284_694
; %bb.689:
	s_mov_b32 s7, exec_lo
                                        ; implicit-def: $vgpr1
	v_cmpx_lt_u32_e32 0x387fffff, v4
	s_xor_b32 s7, exec_lo, s7
; %bb.690:
	v_bfe_u32 v1, v4, 21, 1
	s_delay_alu instid0(VALU_DEP_1) | instskip(NEXT) | instid1(VALU_DEP_1)
	v_add3_u32 v1, v4, v1, 0x80fffff
                                        ; implicit-def: $vgpr4
	v_lshrrev_b32_e32 v1, 21, v1
; %bb.691:
	s_and_not1_saveexec_b32 s7, s7
; %bb.692:
	v_add_f32_e32 v1, 0x43000000, v4
; %bb.693:
	s_or_b32 exec_lo, exec_lo, s7
                                        ; implicit-def: $vgpr4
.LBB284_694:
	s_and_not1_saveexec_b32 s6, s6
; %bb.695:
	v_mov_b32_e32 v1, 0x7f
	v_cmp_lt_u32_e32 vcc_lo, 0x7f800000, v4
	s_delay_alu instid0(VALU_DEP_2)
	v_cndmask_b32_e32 v1, 0x7c, v1, vcc_lo
; %bb.696:
	s_or_b32 exec_lo, exec_lo, s6
	global_store_b8 v[2:3], v1, off
.LBB284_697:
	s_mov_b32 s6, 0
	s_mov_b32 s7, -1
.LBB284_698:
	s_and_not1_b32 vcc_lo, exec_lo, s6
	s_mov_b32 s6, 0
	s_cbranch_vccnz .LBB284_705
; %bb.699:
	s_cmp_gt_i32 s5, 14
	s_mov_b32 s6, -1
	s_cbranch_scc0 .LBB284_703
; %bb.700:
	s_cmp_eq_u32 s5, 15
	s_mov_b32 s0, -1
	s_cbranch_scc0 .LBB284_702
; %bb.701:
	s_wait_xcnt 0x0
	v_cndmask_b32_e64 v1, 0, 1.0, s13
	s_mov_b32 s0, 0
	s_mov_b32 s7, -1
	s_delay_alu instid0(VALU_DEP_1) | instskip(NEXT) | instid1(VALU_DEP_1)
	v_bfe_u32 v4, v1, 16, 1
	v_add3_u32 v1, v1, v4, 0x7fff
	global_store_d16_hi_b16 v[2:3], v1, off
.LBB284_702:
	s_mov_b32 s6, 0
.LBB284_703:
	s_delay_alu instid0(SALU_CYCLE_1)
	s_and_b32 vcc_lo, exec_lo, s6
	s_mov_b32 s6, 0
	s_cbranch_vccz .LBB284_705
; %bb.704:
	s_cmp_lg_u32 s5, 11
	s_mov_b32 s6, -1
	s_cselect_b32 s0, -1, 0
.LBB284_705:
	s_delay_alu instid0(SALU_CYCLE_1)
	s_and_b32 vcc_lo, exec_lo, s0
	s_cbranch_vccnz .LBB284_996
; %bb.706:
	s_and_not1_b32 vcc_lo, exec_lo, s6
	s_cbranch_vccnz .LBB284_708
.LBB284_707:
	s_wait_xcnt 0x0
	v_cndmask_b32_e64 v1, 0, 1, s13
	s_mov_b32 s7, -1
	global_store_b8 v[2:3], v1, off
.LBB284_708:
.LBB284_709:
	s_and_not1_b32 vcc_lo, exec_lo, s7
	s_cbranch_vccz .LBB284_749
	s_branch .LBB284_943
.LBB284_710:
	s_mov_b32 s7, 0
	s_cbranch_execz .LBB284_709
; %bb.711:
	s_and_b32 s0, 0xffff, s2
	s_mov_b32 s5, -1
	s_cmp_lt_i32 s0, 5
	s_cbranch_scc1 .LBB284_732
; %bb.712:
	s_cmp_lt_i32 s0, 8
	s_cbranch_scc1 .LBB284_722
; %bb.713:
	;; [unrolled: 3-line block ×3, first 2 shown]
	s_cmp_gt_i32 s0, 9
	s_cbranch_scc0 .LBB284_716
; %bb.715:
	s_wait_xcnt 0x0
	v_cndmask_b32_e64 v1, 0, 1, s13
	v_mov_b32_e32 v6, 0
	s_mov_b32 s5, 0
	s_delay_alu instid0(VALU_DEP_2) | instskip(NEXT) | instid1(VALU_DEP_2)
	v_cvt_f64_u32_e32 v[4:5], v1
	v_mov_b32_e32 v7, v6
	global_store_b128 v[2:3], v[4:7], off
.LBB284_716:
	s_and_not1_b32 vcc_lo, exec_lo, s5
	s_cbranch_vccnz .LBB284_718
; %bb.717:
	s_wait_xcnt 0x0
	v_cndmask_b32_e64 v4, 0, 1.0, s13
	v_mov_b32_e32 v5, 0
	global_store_b64 v[2:3], v[4:5], off
.LBB284_718:
	s_mov_b32 s5, 0
.LBB284_719:
	s_delay_alu instid0(SALU_CYCLE_1)
	s_and_not1_b32 vcc_lo, exec_lo, s5
	s_cbranch_vccnz .LBB284_721
; %bb.720:
	s_wait_xcnt 0x0
	v_cndmask_b32_e64 v1, 0, 1.0, s13
	s_delay_alu instid0(VALU_DEP_1) | instskip(NEXT) | instid1(VALU_DEP_1)
	v_cvt_f16_f32_e32 v1, v1
	v_and_b32_e32 v1, 0xffff, v1
	global_store_b32 v[2:3], v1, off
.LBB284_721:
	s_mov_b32 s5, 0
.LBB284_722:
	s_delay_alu instid0(SALU_CYCLE_1)
	s_and_not1_b32 vcc_lo, exec_lo, s5
	s_cbranch_vccnz .LBB284_731
; %bb.723:
	s_cmp_lt_i32 s0, 6
	s_mov_b32 s5, -1
	s_cbranch_scc1 .LBB284_729
; %bb.724:
	s_cmp_gt_i32 s0, 6
	s_cbranch_scc0 .LBB284_726
; %bb.725:
	s_wait_xcnt 0x0
	v_cndmask_b32_e64 v1, 0, 1, s13
	s_mov_b32 s5, 0
	s_delay_alu instid0(VALU_DEP_1)
	v_cvt_f64_u32_e32 v[4:5], v1
	global_store_b64 v[2:3], v[4:5], off
.LBB284_726:
	s_and_not1_b32 vcc_lo, exec_lo, s5
	s_cbranch_vccnz .LBB284_728
; %bb.727:
	s_wait_xcnt 0x0
	v_cndmask_b32_e64 v1, 0, 1.0, s13
	global_store_b32 v[2:3], v1, off
.LBB284_728:
	s_mov_b32 s5, 0
.LBB284_729:
	s_delay_alu instid0(SALU_CYCLE_1)
	s_and_not1_b32 vcc_lo, exec_lo, s5
	s_cbranch_vccnz .LBB284_731
; %bb.730:
	s_wait_xcnt 0x0
	v_cndmask_b32_e64 v1, 0, 1.0, s13
	s_delay_alu instid0(VALU_DEP_1)
	v_cvt_f16_f32_e32 v1, v1
	global_store_b16 v[2:3], v1, off
.LBB284_731:
	s_mov_b32 s5, 0
.LBB284_732:
	s_delay_alu instid0(SALU_CYCLE_1)
	s_and_not1_b32 vcc_lo, exec_lo, s5
	s_cbranch_vccnz .LBB284_748
; %bb.733:
	s_cmp_lt_i32 s0, 2
	s_mov_b32 s5, -1
	s_cbranch_scc1 .LBB284_743
; %bb.734:
	s_cmp_lt_i32 s0, 3
	s_cbranch_scc1 .LBB284_740
; %bb.735:
	s_cmp_gt_i32 s0, 3
	s_cbranch_scc0 .LBB284_737
; %bb.736:
	s_mov_b32 s5, 0
	s_wait_xcnt 0x0
	v_cndmask_b32_e64 v4, 0, 1, s13
	v_mov_b32_e32 v5, s5
	global_store_b64 v[2:3], v[4:5], off
.LBB284_737:
	s_and_not1_b32 vcc_lo, exec_lo, s5
	s_cbranch_vccnz .LBB284_739
; %bb.738:
	s_wait_xcnt 0x0
	v_cndmask_b32_e64 v1, 0, 1, s13
	global_store_b32 v[2:3], v1, off
.LBB284_739:
	s_mov_b32 s5, 0
.LBB284_740:
	s_delay_alu instid0(SALU_CYCLE_1)
	s_and_not1_b32 vcc_lo, exec_lo, s5
	s_cbranch_vccnz .LBB284_742
; %bb.741:
	s_wait_xcnt 0x0
	v_cndmask_b32_e64 v1, 0, 1, s13
	global_store_b16 v[2:3], v1, off
.LBB284_742:
	s_mov_b32 s5, 0
.LBB284_743:
	s_delay_alu instid0(SALU_CYCLE_1)
	s_and_not1_b32 vcc_lo, exec_lo, s5
	s_cbranch_vccnz .LBB284_748
; %bb.744:
	s_wait_xcnt 0x0
	v_cndmask_b32_e64 v1, 0, 1, s13
	s_cmp_gt_i32 s0, 0
	s_mov_b32 s0, -1
	s_cbranch_scc0 .LBB284_746
; %bb.745:
	s_mov_b32 s0, 0
	global_store_b8 v[2:3], v1, off
.LBB284_746:
	s_and_not1_b32 vcc_lo, exec_lo, s0
	s_cbranch_vccnz .LBB284_748
; %bb.747:
	global_store_b8 v[2:3], v1, off
.LBB284_748:
.LBB284_749:
	v_add_nc_u32_e32 v0, s4, v0
	s_cmp_lt_i32 s2, 11
	s_wait_xcnt 0x0
	s_delay_alu instid0(VALU_DEP_1) | instskip(NEXT) | instid1(VALU_DEP_1)
	v_ashrrev_i32_e32 v1, 31, v0
	v_add_nc_u64_e32 v[2:3], s[16:17], v[0:1]
	s_cbranch_scc1 .LBB284_904
; %bb.750:
	s_and_b32 s5, 0xffff, s2
	s_mov_b32 s8, -1
	s_mov_b32 s6, 0
	s_cmp_gt_i32 s5, 25
	s_mov_b32 s7, 0
	s_mov_b32 s0, 0
	s_cbranch_scc0 .LBB284_783
; %bb.751:
	s_cmp_gt_i32 s5, 28
	s_cbranch_scc0 .LBB284_766
; %bb.752:
	s_cmp_gt_i32 s5, 43
	;; [unrolled: 3-line block ×3, first 2 shown]
	s_cbranch_scc0 .LBB284_756
; %bb.754:
	s_mov_b32 s0, -1
	s_mov_b32 s8, 0
	s_cmp_eq_u32 s5, 46
	s_cbranch_scc0 .LBB284_756
; %bb.755:
	v_cndmask_b32_e64 v1, 0, 1.0, s12
	s_mov_b32 s0, 0
	s_mov_b32 s7, -1
	s_delay_alu instid0(VALU_DEP_1) | instskip(NEXT) | instid1(VALU_DEP_1)
	v_bfe_u32 v4, v1, 16, 1
	v_add3_u32 v1, v1, v4, 0x7fff
	s_delay_alu instid0(VALU_DEP_1)
	v_lshrrev_b32_e32 v1, 16, v1
	global_store_b32 v[2:3], v1, off
.LBB284_756:
	s_and_b32 vcc_lo, exec_lo, s8
	s_cbranch_vccz .LBB284_761
; %bb.757:
	s_cmp_eq_u32 s5, 44
	s_mov_b32 s0, -1
	s_cbranch_scc0 .LBB284_761
; %bb.758:
	v_cndmask_b32_e64 v5, 0, 1.0, s12
	s_mov_b32 s7, exec_lo
	s_wait_xcnt 0x0
	s_delay_alu instid0(VALU_DEP_1) | instskip(NEXT) | instid1(VALU_DEP_1)
	v_dual_mov_b32 v4, 0xff :: v_dual_lshrrev_b32 v1, 23, v5
	v_cmpx_ne_u32_e32 0xff, v1
; %bb.759:
	v_and_b32_e32 v4, 0x400000, v5
	v_and_or_b32 v5, 0x3fffff, v5, v1
	s_delay_alu instid0(VALU_DEP_2) | instskip(NEXT) | instid1(VALU_DEP_2)
	v_cmp_ne_u32_e32 vcc_lo, 0, v4
	v_cmp_ne_u32_e64 s0, 0, v5
	s_and_b32 s0, vcc_lo, s0
	s_delay_alu instid0(SALU_CYCLE_1) | instskip(NEXT) | instid1(VALU_DEP_1)
	v_cndmask_b32_e64 v4, 0, 1, s0
	v_add_nc_u32_e32 v4, v1, v4
; %bb.760:
	s_or_b32 exec_lo, exec_lo, s7
	s_mov_b32 s0, 0
	s_mov_b32 s7, -1
	global_store_b8 v[2:3], v4, off
.LBB284_761:
	s_mov_b32 s8, 0
.LBB284_762:
	s_delay_alu instid0(SALU_CYCLE_1)
	s_and_b32 vcc_lo, exec_lo, s8
	s_cbranch_vccz .LBB284_765
; %bb.763:
	s_cmp_eq_u32 s5, 29
	s_mov_b32 s0, -1
	s_cbranch_scc0 .LBB284_765
; %bb.764:
	s_mov_b32 s0, 0
	s_wait_xcnt 0x0
	v_cndmask_b32_e64 v4, 0, 1, s12
	v_mov_b32_e32 v5, s0
	s_mov_b32 s7, -1
	global_store_b64 v[2:3], v[4:5], off
.LBB284_765:
	s_mov_b32 s8, 0
.LBB284_766:
	s_delay_alu instid0(SALU_CYCLE_1)
	s_and_b32 vcc_lo, exec_lo, s8
	s_cbranch_vccz .LBB284_782
; %bb.767:
	s_cmp_lt_i32 s5, 27
	s_mov_b32 s7, -1
	s_cbranch_scc1 .LBB284_773
; %bb.768:
	s_cmp_gt_i32 s5, 27
	s_cbranch_scc0 .LBB284_770
; %bb.769:
	s_wait_xcnt 0x0
	v_cndmask_b32_e64 v1, 0, 1, s12
	s_mov_b32 s7, 0
	global_store_b32 v[2:3], v1, off
.LBB284_770:
	s_and_not1_b32 vcc_lo, exec_lo, s7
	s_cbranch_vccnz .LBB284_772
; %bb.771:
	s_wait_xcnt 0x0
	v_cndmask_b32_e64 v1, 0, 1, s12
	global_store_b16 v[2:3], v1, off
.LBB284_772:
	s_mov_b32 s7, 0
.LBB284_773:
	s_delay_alu instid0(SALU_CYCLE_1)
	s_and_not1_b32 vcc_lo, exec_lo, s7
	s_cbranch_vccnz .LBB284_781
; %bb.774:
	s_wait_xcnt 0x0
	v_cndmask_b32_e64 v4, 0, 1.0, s12
	v_mov_b32_e32 v5, 0x80
	s_mov_b32 s7, exec_lo
	s_delay_alu instid0(VALU_DEP_2)
	v_cmpx_gt_u32_e32 0x43800000, v4
	s_cbranch_execz .LBB284_780
; %bb.775:
	s_mov_b32 s8, 0
	s_mov_b32 s9, exec_lo
                                        ; implicit-def: $vgpr1
	v_cmpx_lt_u32_e32 0x3bffffff, v4
	s_xor_b32 s9, exec_lo, s9
	s_cbranch_execz .LBB284_999
; %bb.776:
	v_bfe_u32 v1, v4, 20, 1
	s_mov_b32 s8, exec_lo
	s_delay_alu instid0(VALU_DEP_1) | instskip(NEXT) | instid1(VALU_DEP_1)
	v_add3_u32 v1, v4, v1, 0x487ffff
                                        ; implicit-def: $vgpr4
	v_lshrrev_b32_e32 v1, 20, v1
	s_and_not1_saveexec_b32 s9, s9
	s_cbranch_execnz .LBB284_1000
.LBB284_777:
	s_or_b32 exec_lo, exec_lo, s9
	v_mov_b32_e32 v5, 0
	s_and_saveexec_b32 s9, s8
.LBB284_778:
	v_mov_b32_e32 v5, v1
.LBB284_779:
	s_or_b32 exec_lo, exec_lo, s9
.LBB284_780:
	s_delay_alu instid0(SALU_CYCLE_1)
	s_or_b32 exec_lo, exec_lo, s7
	global_store_b8 v[2:3], v5, off
.LBB284_781:
	s_mov_b32 s7, -1
.LBB284_782:
	s_mov_b32 s8, 0
.LBB284_783:
	s_delay_alu instid0(SALU_CYCLE_1)
	s_and_b32 vcc_lo, exec_lo, s8
	s_cbranch_vccz .LBB284_823
; %bb.784:
	s_cmp_gt_i32 s5, 22
	s_mov_b32 s6, -1
	s_cbranch_scc0 .LBB284_816
; %bb.785:
	s_cmp_lt_i32 s5, 24
	s_cbranch_scc1 .LBB284_805
; %bb.786:
	s_cmp_gt_i32 s5, 24
	s_cbranch_scc0 .LBB284_794
; %bb.787:
	s_wait_xcnt 0x0
	v_cndmask_b32_e64 v4, 0, 1.0, s12
	v_mov_b32_e32 v5, 0x80
	s_mov_b32 s6, exec_lo
	s_delay_alu instid0(VALU_DEP_2)
	v_cmpx_gt_u32_e32 0x47800000, v4
	s_cbranch_execz .LBB284_793
; %bb.788:
	s_mov_b32 s7, 0
	s_mov_b32 s8, exec_lo
                                        ; implicit-def: $vgpr1
	v_cmpx_lt_u32_e32 0x37ffffff, v4
	s_xor_b32 s8, exec_lo, s8
	s_cbranch_execz .LBB284_1002
; %bb.789:
	v_bfe_u32 v1, v4, 21, 1
	s_mov_b32 s7, exec_lo
	s_delay_alu instid0(VALU_DEP_1) | instskip(NEXT) | instid1(VALU_DEP_1)
	v_add3_u32 v1, v4, v1, 0x88fffff
                                        ; implicit-def: $vgpr4
	v_lshrrev_b32_e32 v1, 21, v1
	s_and_not1_saveexec_b32 s8, s8
	s_cbranch_execnz .LBB284_1003
.LBB284_790:
	s_or_b32 exec_lo, exec_lo, s8
	v_mov_b32_e32 v5, 0
	s_and_saveexec_b32 s8, s7
.LBB284_791:
	v_mov_b32_e32 v5, v1
.LBB284_792:
	s_or_b32 exec_lo, exec_lo, s8
.LBB284_793:
	s_delay_alu instid0(SALU_CYCLE_1)
	s_or_b32 exec_lo, exec_lo, s6
	s_mov_b32 s6, 0
	global_store_b8 v[2:3], v5, off
.LBB284_794:
	s_and_b32 vcc_lo, exec_lo, s6
	s_cbranch_vccz .LBB284_804
; %bb.795:
	s_wait_xcnt 0x0
	v_cndmask_b32_e64 v4, 0, 1.0, s12
	s_mov_b32 s6, exec_lo
                                        ; implicit-def: $vgpr1
	s_delay_alu instid0(VALU_DEP_1)
	v_cmpx_gt_u32_e32 0x43f00000, v4
	s_xor_b32 s6, exec_lo, s6
	s_cbranch_execz .LBB284_801
; %bb.796:
	s_mov_b32 s7, exec_lo
                                        ; implicit-def: $vgpr1
	v_cmpx_lt_u32_e32 0x3c7fffff, v4
	s_xor_b32 s7, exec_lo, s7
; %bb.797:
	v_bfe_u32 v1, v4, 20, 1
	s_delay_alu instid0(VALU_DEP_1) | instskip(NEXT) | instid1(VALU_DEP_1)
	v_add3_u32 v1, v4, v1, 0x407ffff
	v_and_b32_e32 v4, 0xff00000, v1
	v_lshrrev_b32_e32 v1, 20, v1
	s_delay_alu instid0(VALU_DEP_2) | instskip(NEXT) | instid1(VALU_DEP_2)
	v_cmp_ne_u32_e32 vcc_lo, 0x7f00000, v4
                                        ; implicit-def: $vgpr4
	v_cndmask_b32_e32 v1, 0x7e, v1, vcc_lo
; %bb.798:
	s_and_not1_saveexec_b32 s7, s7
; %bb.799:
	v_add_f32_e32 v1, 0x46800000, v4
; %bb.800:
	s_or_b32 exec_lo, exec_lo, s7
                                        ; implicit-def: $vgpr4
.LBB284_801:
	s_and_not1_saveexec_b32 s6, s6
; %bb.802:
	v_mov_b32_e32 v1, 0x7f
	v_cmp_lt_u32_e32 vcc_lo, 0x7f800000, v4
	s_delay_alu instid0(VALU_DEP_2)
	v_cndmask_b32_e32 v1, 0x7e, v1, vcc_lo
; %bb.803:
	s_or_b32 exec_lo, exec_lo, s6
	global_store_b8 v[2:3], v1, off
.LBB284_804:
	s_mov_b32 s6, 0
.LBB284_805:
	s_delay_alu instid0(SALU_CYCLE_1)
	s_and_not1_b32 vcc_lo, exec_lo, s6
	s_cbranch_vccnz .LBB284_815
; %bb.806:
	s_wait_xcnt 0x0
	v_cndmask_b32_e64 v4, 0, 1.0, s12
	s_mov_b32 s6, exec_lo
                                        ; implicit-def: $vgpr1
	s_delay_alu instid0(VALU_DEP_1)
	v_cmpx_gt_u32_e32 0x47800000, v4
	s_xor_b32 s6, exec_lo, s6
	s_cbranch_execz .LBB284_812
; %bb.807:
	s_mov_b32 s7, exec_lo
                                        ; implicit-def: $vgpr1
	v_cmpx_lt_u32_e32 0x387fffff, v4
	s_xor_b32 s7, exec_lo, s7
; %bb.808:
	v_bfe_u32 v1, v4, 21, 1
	s_delay_alu instid0(VALU_DEP_1) | instskip(NEXT) | instid1(VALU_DEP_1)
	v_add3_u32 v1, v4, v1, 0x80fffff
                                        ; implicit-def: $vgpr4
	v_lshrrev_b32_e32 v1, 21, v1
; %bb.809:
	s_and_not1_saveexec_b32 s7, s7
; %bb.810:
	v_add_f32_e32 v1, 0x43000000, v4
; %bb.811:
	s_or_b32 exec_lo, exec_lo, s7
                                        ; implicit-def: $vgpr4
.LBB284_812:
	s_and_not1_saveexec_b32 s6, s6
; %bb.813:
	v_mov_b32_e32 v1, 0x7f
	v_cmp_lt_u32_e32 vcc_lo, 0x7f800000, v4
	s_delay_alu instid0(VALU_DEP_2)
	v_cndmask_b32_e32 v1, 0x7c, v1, vcc_lo
; %bb.814:
	s_or_b32 exec_lo, exec_lo, s6
	global_store_b8 v[2:3], v1, off
.LBB284_815:
	s_mov_b32 s6, 0
	s_mov_b32 s7, -1
.LBB284_816:
	s_and_not1_b32 vcc_lo, exec_lo, s6
	s_mov_b32 s6, 0
	s_cbranch_vccnz .LBB284_823
; %bb.817:
	s_cmp_gt_i32 s5, 14
	s_mov_b32 s6, -1
	s_cbranch_scc0 .LBB284_821
; %bb.818:
	s_cmp_eq_u32 s5, 15
	s_mov_b32 s0, -1
	s_cbranch_scc0 .LBB284_820
; %bb.819:
	s_wait_xcnt 0x0
	v_cndmask_b32_e64 v1, 0, 1.0, s12
	s_mov_b32 s0, 0
	s_mov_b32 s7, -1
	s_delay_alu instid0(VALU_DEP_1) | instskip(NEXT) | instid1(VALU_DEP_1)
	v_bfe_u32 v4, v1, 16, 1
	v_add3_u32 v1, v1, v4, 0x7fff
	global_store_d16_hi_b16 v[2:3], v1, off
.LBB284_820:
	s_mov_b32 s6, 0
.LBB284_821:
	s_delay_alu instid0(SALU_CYCLE_1)
	s_and_b32 vcc_lo, exec_lo, s6
	s_mov_b32 s6, 0
	s_cbranch_vccz .LBB284_823
; %bb.822:
	s_cmp_lg_u32 s5, 11
	s_mov_b32 s6, -1
	s_cselect_b32 s0, -1, 0
.LBB284_823:
	s_delay_alu instid0(SALU_CYCLE_1)
	s_and_b32 vcc_lo, exec_lo, s0
	s_cbranch_vccnz .LBB284_1001
; %bb.824:
	s_and_not1_b32 vcc_lo, exec_lo, s6
	s_cbranch_vccnz .LBB284_826
.LBB284_825:
	s_wait_xcnt 0x0
	v_cndmask_b32_e64 v1, 0, 1, s12
	s_mov_b32 s7, -1
	global_store_b8 v[2:3], v1, off
.LBB284_826:
.LBB284_827:
	s_and_not1_b32 vcc_lo, exec_lo, s7
	s_cbranch_vccnz .LBB284_943
.LBB284_828:
	v_add_nc_u32_e32 v0, s4, v0
	s_cmp_lt_i32 s2, 11
	s_wait_xcnt 0x0
	s_delay_alu instid0(VALU_DEP_1) | instskip(NEXT) | instid1(VALU_DEP_1)
	v_ashrrev_i32_e32 v1, 31, v0
	v_add_nc_u64_e32 v[0:1], s[16:17], v[0:1]
	s_cbranch_scc1 .LBB284_988
; %bb.829:
	s_and_b32 s4, 0xffff, s2
	s_mov_b32 s6, -1
	s_mov_b32 s5, 0
	s_cmp_gt_i32 s4, 25
	s_mov_b32 s0, 0
	s_cbranch_scc0 .LBB284_862
; %bb.830:
	s_cmp_gt_i32 s4, 28
	s_cbranch_scc0 .LBB284_846
; %bb.831:
	s_cmp_gt_i32 s4, 43
	;; [unrolled: 3-line block ×3, first 2 shown]
	s_cbranch_scc0 .LBB284_836
; %bb.833:
	s_cmp_eq_u32 s4, 46
	s_mov_b32 s0, -1
	s_cbranch_scc0 .LBB284_835
; %bb.834:
	v_cndmask_b32_e64 v2, 0, 1.0, s1
	s_mov_b32 s0, 0
	s_delay_alu instid0(VALU_DEP_1) | instskip(NEXT) | instid1(VALU_DEP_1)
	v_bfe_u32 v3, v2, 16, 1
	v_add3_u32 v2, v2, v3, 0x7fff
	s_delay_alu instid0(VALU_DEP_1)
	v_lshrrev_b32_e32 v2, 16, v2
	global_store_b32 v[0:1], v2, off
.LBB284_835:
	s_mov_b32 s6, 0
.LBB284_836:
	s_delay_alu instid0(SALU_CYCLE_1)
	s_and_b32 vcc_lo, exec_lo, s6
	s_cbranch_vccz .LBB284_841
; %bb.837:
	s_cmp_eq_u32 s4, 44
	s_mov_b32 s0, -1
	s_cbranch_scc0 .LBB284_841
; %bb.838:
	v_cndmask_b32_e64 v4, 0, 1.0, s1
	s_mov_b32 s6, exec_lo
	s_wait_xcnt 0x0
	s_delay_alu instid0(VALU_DEP_1) | instskip(NEXT) | instid1(VALU_DEP_1)
	v_dual_mov_b32 v3, 0xff :: v_dual_lshrrev_b32 v2, 23, v4
	v_cmpx_ne_u32_e32 0xff, v2
; %bb.839:
	v_and_b32_e32 v3, 0x400000, v4
	v_and_or_b32 v4, 0x3fffff, v4, v2
	s_delay_alu instid0(VALU_DEP_2) | instskip(NEXT) | instid1(VALU_DEP_2)
	v_cmp_ne_u32_e32 vcc_lo, 0, v3
	v_cmp_ne_u32_e64 s0, 0, v4
	s_and_b32 s0, vcc_lo, s0
	s_delay_alu instid0(SALU_CYCLE_1) | instskip(NEXT) | instid1(VALU_DEP_1)
	v_cndmask_b32_e64 v3, 0, 1, s0
	v_add_nc_u32_e32 v3, v2, v3
; %bb.840:
	s_or_b32 exec_lo, exec_lo, s6
	s_mov_b32 s0, 0
	global_store_b8 v[0:1], v3, off
.LBB284_841:
	s_mov_b32 s6, 0
.LBB284_842:
	s_delay_alu instid0(SALU_CYCLE_1)
	s_and_b32 vcc_lo, exec_lo, s6
	s_cbranch_vccz .LBB284_845
; %bb.843:
	s_cmp_eq_u32 s4, 29
	s_mov_b32 s0, -1
	s_cbranch_scc0 .LBB284_845
; %bb.844:
	s_mov_b32 s0, 0
	s_wait_xcnt 0x0
	v_cndmask_b32_e64 v2, 0, 1, s1
	v_mov_b32_e32 v3, s0
	global_store_b64 v[0:1], v[2:3], off
.LBB284_845:
	s_mov_b32 s6, 0
.LBB284_846:
	s_delay_alu instid0(SALU_CYCLE_1)
	s_and_b32 vcc_lo, exec_lo, s6
	s_cbranch_vccz .LBB284_861
; %bb.847:
	s_cmp_lt_i32 s4, 27
	s_mov_b32 s6, -1
	s_cbranch_scc1 .LBB284_853
; %bb.848:
	s_wait_xcnt 0x0
	v_cndmask_b32_e64 v2, 0, 1, s1
	s_cmp_gt_i32 s4, 27
	s_cbranch_scc0 .LBB284_850
; %bb.849:
	s_mov_b32 s6, 0
	global_store_b32 v[0:1], v2, off
.LBB284_850:
	s_and_not1_b32 vcc_lo, exec_lo, s6
	s_cbranch_vccnz .LBB284_852
; %bb.851:
	global_store_b16 v[0:1], v2, off
.LBB284_852:
	s_mov_b32 s6, 0
.LBB284_853:
	s_delay_alu instid0(SALU_CYCLE_1)
	s_and_not1_b32 vcc_lo, exec_lo, s6
	s_cbranch_vccnz .LBB284_861
; %bb.854:
	s_wait_xcnt 0x0
	v_cndmask_b32_e64 v3, 0, 1.0, s1
	v_mov_b32_e32 v4, 0x80
	s_mov_b32 s6, exec_lo
	s_delay_alu instid0(VALU_DEP_2)
	v_cmpx_gt_u32_e32 0x43800000, v3
	s_cbranch_execz .LBB284_860
; %bb.855:
	s_mov_b32 s7, 0
	s_mov_b32 s8, exec_lo
                                        ; implicit-def: $vgpr2
	v_cmpx_lt_u32_e32 0x3bffffff, v3
	s_xor_b32 s8, exec_lo, s8
	s_cbranch_execz .LBB284_1004
; %bb.856:
	v_bfe_u32 v2, v3, 20, 1
	s_mov_b32 s7, exec_lo
	s_delay_alu instid0(VALU_DEP_1) | instskip(NEXT) | instid1(VALU_DEP_1)
	v_add3_u32 v2, v3, v2, 0x487ffff
                                        ; implicit-def: $vgpr3
	v_lshrrev_b32_e32 v2, 20, v2
	s_and_not1_saveexec_b32 s8, s8
	s_cbranch_execnz .LBB284_1005
.LBB284_857:
	s_or_b32 exec_lo, exec_lo, s8
	v_mov_b32_e32 v4, 0
	s_and_saveexec_b32 s8, s7
.LBB284_858:
	v_mov_b32_e32 v4, v2
.LBB284_859:
	s_or_b32 exec_lo, exec_lo, s8
.LBB284_860:
	s_delay_alu instid0(SALU_CYCLE_1)
	s_or_b32 exec_lo, exec_lo, s6
	global_store_b8 v[0:1], v4, off
.LBB284_861:
	s_mov_b32 s6, 0
.LBB284_862:
	s_delay_alu instid0(SALU_CYCLE_1)
	s_and_b32 vcc_lo, exec_lo, s6
	s_cbranch_vccz .LBB284_902
; %bb.863:
	s_cmp_gt_i32 s4, 22
	s_mov_b32 s5, -1
	s_cbranch_scc0 .LBB284_895
; %bb.864:
	s_cmp_lt_i32 s4, 24
	s_cbranch_scc1 .LBB284_884
; %bb.865:
	s_cmp_gt_i32 s4, 24
	s_cbranch_scc0 .LBB284_873
; %bb.866:
	s_wait_xcnt 0x0
	v_cndmask_b32_e64 v3, 0, 1.0, s1
	v_mov_b32_e32 v4, 0x80
	s_mov_b32 s5, exec_lo
	s_delay_alu instid0(VALU_DEP_2)
	v_cmpx_gt_u32_e32 0x47800000, v3
	s_cbranch_execz .LBB284_872
; %bb.867:
	s_mov_b32 s6, 0
	s_mov_b32 s7, exec_lo
                                        ; implicit-def: $vgpr2
	v_cmpx_lt_u32_e32 0x37ffffff, v3
	s_xor_b32 s7, exec_lo, s7
	s_cbranch_execz .LBB284_1009
; %bb.868:
	v_bfe_u32 v2, v3, 21, 1
	s_mov_b32 s6, exec_lo
	s_delay_alu instid0(VALU_DEP_1) | instskip(NEXT) | instid1(VALU_DEP_1)
	v_add3_u32 v2, v3, v2, 0x88fffff
                                        ; implicit-def: $vgpr3
	v_lshrrev_b32_e32 v2, 21, v2
	s_and_not1_saveexec_b32 s7, s7
	s_cbranch_execnz .LBB284_1010
.LBB284_869:
	s_or_b32 exec_lo, exec_lo, s7
	v_mov_b32_e32 v4, 0
	s_and_saveexec_b32 s7, s6
.LBB284_870:
	v_mov_b32_e32 v4, v2
.LBB284_871:
	s_or_b32 exec_lo, exec_lo, s7
.LBB284_872:
	s_delay_alu instid0(SALU_CYCLE_1)
	s_or_b32 exec_lo, exec_lo, s5
	s_mov_b32 s5, 0
	global_store_b8 v[0:1], v4, off
.LBB284_873:
	s_and_b32 vcc_lo, exec_lo, s5
	s_cbranch_vccz .LBB284_883
; %bb.874:
	s_wait_xcnt 0x0
	v_cndmask_b32_e64 v3, 0, 1.0, s1
	s_mov_b32 s5, exec_lo
                                        ; implicit-def: $vgpr2
	s_delay_alu instid0(VALU_DEP_1)
	v_cmpx_gt_u32_e32 0x43f00000, v3
	s_xor_b32 s5, exec_lo, s5
	s_cbranch_execz .LBB284_880
; %bb.875:
	s_mov_b32 s6, exec_lo
                                        ; implicit-def: $vgpr2
	v_cmpx_lt_u32_e32 0x3c7fffff, v3
	s_xor_b32 s6, exec_lo, s6
; %bb.876:
	v_bfe_u32 v2, v3, 20, 1
	s_delay_alu instid0(VALU_DEP_1) | instskip(NEXT) | instid1(VALU_DEP_1)
	v_add3_u32 v2, v3, v2, 0x407ffff
	v_and_b32_e32 v3, 0xff00000, v2
	v_lshrrev_b32_e32 v2, 20, v2
	s_delay_alu instid0(VALU_DEP_2) | instskip(NEXT) | instid1(VALU_DEP_2)
	v_cmp_ne_u32_e32 vcc_lo, 0x7f00000, v3
                                        ; implicit-def: $vgpr3
	v_cndmask_b32_e32 v2, 0x7e, v2, vcc_lo
; %bb.877:
	s_and_not1_saveexec_b32 s6, s6
; %bb.878:
	v_add_f32_e32 v2, 0x46800000, v3
; %bb.879:
	s_or_b32 exec_lo, exec_lo, s6
                                        ; implicit-def: $vgpr3
.LBB284_880:
	s_and_not1_saveexec_b32 s5, s5
; %bb.881:
	v_mov_b32_e32 v2, 0x7f
	v_cmp_lt_u32_e32 vcc_lo, 0x7f800000, v3
	s_delay_alu instid0(VALU_DEP_2)
	v_cndmask_b32_e32 v2, 0x7e, v2, vcc_lo
; %bb.882:
	s_or_b32 exec_lo, exec_lo, s5
	global_store_b8 v[0:1], v2, off
.LBB284_883:
	s_mov_b32 s5, 0
.LBB284_884:
	s_delay_alu instid0(SALU_CYCLE_1)
	s_and_not1_b32 vcc_lo, exec_lo, s5
	s_cbranch_vccnz .LBB284_894
; %bb.885:
	s_wait_xcnt 0x0
	v_cndmask_b32_e64 v3, 0, 1.0, s1
	s_mov_b32 s5, exec_lo
                                        ; implicit-def: $vgpr2
	s_delay_alu instid0(VALU_DEP_1)
	v_cmpx_gt_u32_e32 0x47800000, v3
	s_xor_b32 s5, exec_lo, s5
	s_cbranch_execz .LBB284_891
; %bb.886:
	s_mov_b32 s6, exec_lo
                                        ; implicit-def: $vgpr2
	v_cmpx_lt_u32_e32 0x387fffff, v3
	s_xor_b32 s6, exec_lo, s6
; %bb.887:
	v_bfe_u32 v2, v3, 21, 1
	s_delay_alu instid0(VALU_DEP_1) | instskip(NEXT) | instid1(VALU_DEP_1)
	v_add3_u32 v2, v3, v2, 0x80fffff
                                        ; implicit-def: $vgpr3
	v_lshrrev_b32_e32 v2, 21, v2
; %bb.888:
	s_and_not1_saveexec_b32 s6, s6
; %bb.889:
	v_add_f32_e32 v2, 0x43000000, v3
; %bb.890:
	s_or_b32 exec_lo, exec_lo, s6
                                        ; implicit-def: $vgpr3
.LBB284_891:
	s_and_not1_saveexec_b32 s5, s5
; %bb.892:
	v_mov_b32_e32 v2, 0x7f
	v_cmp_lt_u32_e32 vcc_lo, 0x7f800000, v3
	s_delay_alu instid0(VALU_DEP_2)
	v_cndmask_b32_e32 v2, 0x7c, v2, vcc_lo
; %bb.893:
	s_or_b32 exec_lo, exec_lo, s5
	global_store_b8 v[0:1], v2, off
.LBB284_894:
	s_mov_b32 s5, 0
.LBB284_895:
	s_delay_alu instid0(SALU_CYCLE_1)
	s_and_not1_b32 vcc_lo, exec_lo, s5
	s_mov_b32 s5, 0
	s_cbranch_vccnz .LBB284_902
; %bb.896:
	s_cmp_gt_i32 s4, 14
	s_mov_b32 s5, -1
	s_cbranch_scc0 .LBB284_900
; %bb.897:
	s_cmp_eq_u32 s4, 15
	s_mov_b32 s0, -1
	s_cbranch_scc0 .LBB284_899
; %bb.898:
	s_wait_xcnt 0x0
	v_cndmask_b32_e64 v2, 0, 1.0, s1
	s_mov_b32 s0, 0
	s_delay_alu instid0(VALU_DEP_1) | instskip(NEXT) | instid1(VALU_DEP_1)
	v_bfe_u32 v3, v2, 16, 1
	v_add3_u32 v2, v2, v3, 0x7fff
	global_store_d16_hi_b16 v[0:1], v2, off
.LBB284_899:
	s_mov_b32 s5, 0
.LBB284_900:
	s_delay_alu instid0(SALU_CYCLE_1)
	s_and_b32 vcc_lo, exec_lo, s5
	s_mov_b32 s5, 0
	s_cbranch_vccz .LBB284_902
; %bb.901:
	s_cmp_lg_u32 s4, 11
	s_mov_b32 s5, -1
	s_cselect_b32 s0, -1, 0
.LBB284_902:
	s_delay_alu instid0(SALU_CYCLE_1)
	s_and_b32 vcc_lo, exec_lo, s0
	s_cbranch_vccnz .LBB284_1006
.LBB284_903:
	s_mov_b32 s0, 0
	s_branch .LBB284_944
.LBB284_904:
	s_mov_b32 s7, 0
	s_cbranch_execz .LBB284_827
; %bb.905:
	s_and_b32 s0, 0xffff, s2
	s_mov_b32 s5, -1
	s_cmp_lt_i32 s0, 5
	s_cbranch_scc1 .LBB284_926
; %bb.906:
	s_cmp_lt_i32 s0, 8
	s_cbranch_scc1 .LBB284_916
; %bb.907:
	;; [unrolled: 3-line block ×3, first 2 shown]
	s_cmp_gt_i32 s0, 9
	s_cbranch_scc0 .LBB284_910
; %bb.909:
	s_wait_xcnt 0x0
	v_cndmask_b32_e64 v1, 0, 1, s12
	v_mov_b32_e32 v6, 0
	s_mov_b32 s5, 0
	s_delay_alu instid0(VALU_DEP_2) | instskip(NEXT) | instid1(VALU_DEP_2)
	v_cvt_f64_u32_e32 v[4:5], v1
	v_mov_b32_e32 v7, v6
	global_store_b128 v[2:3], v[4:7], off
.LBB284_910:
	s_and_not1_b32 vcc_lo, exec_lo, s5
	s_cbranch_vccnz .LBB284_912
; %bb.911:
	s_wait_xcnt 0x0
	v_cndmask_b32_e64 v4, 0, 1.0, s12
	v_mov_b32_e32 v5, 0
	global_store_b64 v[2:3], v[4:5], off
.LBB284_912:
	s_mov_b32 s5, 0
.LBB284_913:
	s_delay_alu instid0(SALU_CYCLE_1)
	s_and_not1_b32 vcc_lo, exec_lo, s5
	s_cbranch_vccnz .LBB284_915
; %bb.914:
	s_wait_xcnt 0x0
	v_cndmask_b32_e64 v1, 0, 1.0, s12
	s_delay_alu instid0(VALU_DEP_1) | instskip(NEXT) | instid1(VALU_DEP_1)
	v_cvt_f16_f32_e32 v1, v1
	v_and_b32_e32 v1, 0xffff, v1
	global_store_b32 v[2:3], v1, off
.LBB284_915:
	s_mov_b32 s5, 0
.LBB284_916:
	s_delay_alu instid0(SALU_CYCLE_1)
	s_and_not1_b32 vcc_lo, exec_lo, s5
	s_cbranch_vccnz .LBB284_925
; %bb.917:
	s_cmp_lt_i32 s0, 6
	s_mov_b32 s5, -1
	s_cbranch_scc1 .LBB284_923
; %bb.918:
	s_cmp_gt_i32 s0, 6
	s_cbranch_scc0 .LBB284_920
; %bb.919:
	s_wait_xcnt 0x0
	v_cndmask_b32_e64 v1, 0, 1, s12
	s_mov_b32 s5, 0
	s_delay_alu instid0(VALU_DEP_1)
	v_cvt_f64_u32_e32 v[4:5], v1
	global_store_b64 v[2:3], v[4:5], off
.LBB284_920:
	s_and_not1_b32 vcc_lo, exec_lo, s5
	s_cbranch_vccnz .LBB284_922
; %bb.921:
	s_wait_xcnt 0x0
	v_cndmask_b32_e64 v1, 0, 1.0, s12
	global_store_b32 v[2:3], v1, off
.LBB284_922:
	s_mov_b32 s5, 0
.LBB284_923:
	s_delay_alu instid0(SALU_CYCLE_1)
	s_and_not1_b32 vcc_lo, exec_lo, s5
	s_cbranch_vccnz .LBB284_925
; %bb.924:
	s_wait_xcnt 0x0
	v_cndmask_b32_e64 v1, 0, 1.0, s12
	s_delay_alu instid0(VALU_DEP_1)
	v_cvt_f16_f32_e32 v1, v1
	global_store_b16 v[2:3], v1, off
.LBB284_925:
	s_mov_b32 s5, 0
.LBB284_926:
	s_delay_alu instid0(SALU_CYCLE_1)
	s_and_not1_b32 vcc_lo, exec_lo, s5
	s_cbranch_vccnz .LBB284_942
; %bb.927:
	s_cmp_lt_i32 s0, 2
	s_mov_b32 s5, -1
	s_cbranch_scc1 .LBB284_937
; %bb.928:
	s_cmp_lt_i32 s0, 3
	s_cbranch_scc1 .LBB284_934
; %bb.929:
	s_cmp_gt_i32 s0, 3
	s_cbranch_scc0 .LBB284_931
; %bb.930:
	s_mov_b32 s5, 0
	s_wait_xcnt 0x0
	v_cndmask_b32_e64 v4, 0, 1, s12
	v_mov_b32_e32 v5, s5
	global_store_b64 v[2:3], v[4:5], off
.LBB284_931:
	s_and_not1_b32 vcc_lo, exec_lo, s5
	s_cbranch_vccnz .LBB284_933
; %bb.932:
	s_wait_xcnt 0x0
	v_cndmask_b32_e64 v1, 0, 1, s12
	global_store_b32 v[2:3], v1, off
.LBB284_933:
	s_mov_b32 s5, 0
.LBB284_934:
	s_delay_alu instid0(SALU_CYCLE_1)
	s_and_not1_b32 vcc_lo, exec_lo, s5
	s_cbranch_vccnz .LBB284_936
; %bb.935:
	s_wait_xcnt 0x0
	v_cndmask_b32_e64 v1, 0, 1, s12
	global_store_b16 v[2:3], v1, off
.LBB284_936:
	s_mov_b32 s5, 0
.LBB284_937:
	s_delay_alu instid0(SALU_CYCLE_1)
	s_and_not1_b32 vcc_lo, exec_lo, s5
	s_cbranch_vccnz .LBB284_942
; %bb.938:
	s_wait_xcnt 0x0
	v_cndmask_b32_e64 v1, 0, 1, s12
	s_cmp_gt_i32 s0, 0
	s_mov_b32 s0, -1
	s_cbranch_scc0 .LBB284_940
; %bb.939:
	s_mov_b32 s0, 0
	global_store_b8 v[2:3], v1, off
.LBB284_940:
	s_and_not1_b32 vcc_lo, exec_lo, s0
	s_cbranch_vccnz .LBB284_942
; %bb.941:
	global_store_b8 v[2:3], v1, off
.LBB284_942:
	s_branch .LBB284_828
.LBB284_943:
	s_mov_b32 s0, 0
	s_mov_b32 s5, 0
                                        ; implicit-def: $sgpr2
                                        ; implicit-def: $vgpr0_vgpr1
.LBB284_944:
	s_and_not1_b32 s4, s25, exec_lo
	s_and_b32 s3, s3, exec_lo
	s_and_b32 s0, s0, exec_lo
	;; [unrolled: 1-line block ×3, first 2 shown]
	s_or_b32 s25, s4, s3
.LBB284_945:
	s_wait_xcnt 0x0
	s_or_b32 exec_lo, exec_lo, s26
	s_and_saveexec_b32 s3, s25
	s_cbranch_execz .LBB284_948
; %bb.946:
	; divergent unreachable
	s_or_b32 exec_lo, exec_lo, s3
	s_and_saveexec_b32 s3, s12
	s_delay_alu instid0(SALU_CYCLE_1)
	s_xor_b32 s3, exec_lo, s3
	s_cbranch_execnz .LBB284_949
.LBB284_947:
	s_or_b32 exec_lo, exec_lo, s3
	s_and_saveexec_b32 s3, s0
	s_cbranch_execnz .LBB284_950
	s_branch .LBB284_987
.LBB284_948:
	s_or_b32 exec_lo, exec_lo, s3
	s_and_saveexec_b32 s3, s12
	s_delay_alu instid0(SALU_CYCLE_1)
	s_xor_b32 s3, exec_lo, s3
	s_cbranch_execz .LBB284_947
.LBB284_949:
	v_cndmask_b32_e64 v2, 0, 1, s1
	global_store_b8 v[0:1], v2, off
	s_wait_xcnt 0x0
	s_or_b32 exec_lo, exec_lo, s3
	s_and_saveexec_b32 s3, s0
	s_cbranch_execz .LBB284_987
.LBB284_950:
	s_sext_i32_i16 s3, s2
	s_mov_b32 s0, -1
	s_cmp_lt_i32 s3, 5
	s_cbranch_scc1 .LBB284_971
; %bb.951:
	s_cmp_lt_i32 s3, 8
	s_cbranch_scc1 .LBB284_961
; %bb.952:
	;; [unrolled: 3-line block ×3, first 2 shown]
	s_cmp_gt_i32 s3, 9
	s_cbranch_scc0 .LBB284_955
; %bb.954:
	v_cndmask_b32_e64 v2, 0, 1, s1
	v_mov_b32_e32 v4, 0
	s_mov_b32 s0, 0
	s_delay_alu instid0(VALU_DEP_2) | instskip(NEXT) | instid1(VALU_DEP_2)
	v_cvt_f64_u32_e32 v[2:3], v2
	v_mov_b32_e32 v5, v4
	global_store_b128 v[0:1], v[2:5], off
.LBB284_955:
	s_and_not1_b32 vcc_lo, exec_lo, s0
	s_cbranch_vccnz .LBB284_957
; %bb.956:
	s_wait_xcnt 0x0
	v_cndmask_b32_e64 v2, 0, 1.0, s1
	v_mov_b32_e32 v3, 0
	global_store_b64 v[0:1], v[2:3], off
.LBB284_957:
	s_mov_b32 s0, 0
.LBB284_958:
	s_delay_alu instid0(SALU_CYCLE_1)
	s_and_not1_b32 vcc_lo, exec_lo, s0
	s_cbranch_vccnz .LBB284_960
; %bb.959:
	s_wait_xcnt 0x0
	v_cndmask_b32_e64 v2, 0, 1.0, s1
	s_delay_alu instid0(VALU_DEP_1) | instskip(NEXT) | instid1(VALU_DEP_1)
	v_cvt_f16_f32_e32 v2, v2
	v_and_b32_e32 v2, 0xffff, v2
	global_store_b32 v[0:1], v2, off
.LBB284_960:
	s_mov_b32 s0, 0
.LBB284_961:
	s_delay_alu instid0(SALU_CYCLE_1)
	s_and_not1_b32 vcc_lo, exec_lo, s0
	s_cbranch_vccnz .LBB284_970
; %bb.962:
	s_sext_i32_i16 s3, s2
	s_mov_b32 s0, -1
	s_cmp_lt_i32 s3, 6
	s_cbranch_scc1 .LBB284_968
; %bb.963:
	s_cmp_gt_i32 s3, 6
	s_cbranch_scc0 .LBB284_965
; %bb.964:
	s_wait_xcnt 0x0
	v_cndmask_b32_e64 v2, 0, 1, s1
	s_mov_b32 s0, 0
	s_delay_alu instid0(VALU_DEP_1)
	v_cvt_f64_u32_e32 v[2:3], v2
	global_store_b64 v[0:1], v[2:3], off
.LBB284_965:
	s_and_not1_b32 vcc_lo, exec_lo, s0
	s_cbranch_vccnz .LBB284_967
; %bb.966:
	s_wait_xcnt 0x0
	v_cndmask_b32_e64 v2, 0, 1.0, s1
	global_store_b32 v[0:1], v2, off
.LBB284_967:
	s_mov_b32 s0, 0
.LBB284_968:
	s_delay_alu instid0(SALU_CYCLE_1)
	s_and_not1_b32 vcc_lo, exec_lo, s0
	s_cbranch_vccnz .LBB284_970
; %bb.969:
	s_wait_xcnt 0x0
	v_cndmask_b32_e64 v2, 0, 1.0, s1
	s_delay_alu instid0(VALU_DEP_1)
	v_cvt_f16_f32_e32 v2, v2
	global_store_b16 v[0:1], v2, off
.LBB284_970:
	s_mov_b32 s0, 0
.LBB284_971:
	s_delay_alu instid0(SALU_CYCLE_1)
	s_and_not1_b32 vcc_lo, exec_lo, s0
	s_cbranch_vccnz .LBB284_987
; %bb.972:
	s_sext_i32_i16 s3, s2
	s_mov_b32 s0, -1
	s_cmp_lt_i32 s3, 2
	s_cbranch_scc1 .LBB284_982
; %bb.973:
	s_cmp_lt_i32 s3, 3
	s_cbranch_scc1 .LBB284_979
; %bb.974:
	s_cmp_gt_i32 s3, 3
	s_cbranch_scc0 .LBB284_976
; %bb.975:
	s_mov_b32 s0, 0
	s_wait_xcnt 0x0
	v_cndmask_b32_e64 v2, 0, 1, s1
	v_mov_b32_e32 v3, s0
	global_store_b64 v[0:1], v[2:3], off
.LBB284_976:
	s_and_not1_b32 vcc_lo, exec_lo, s0
	s_cbranch_vccnz .LBB284_978
; %bb.977:
	s_wait_xcnt 0x0
	v_cndmask_b32_e64 v2, 0, 1, s1
	global_store_b32 v[0:1], v2, off
.LBB284_978:
	s_mov_b32 s0, 0
.LBB284_979:
	s_delay_alu instid0(SALU_CYCLE_1)
	s_and_not1_b32 vcc_lo, exec_lo, s0
	s_cbranch_vccnz .LBB284_981
; %bb.980:
	s_wait_xcnt 0x0
	v_cndmask_b32_e64 v2, 0, 1, s1
	global_store_b16 v[0:1], v2, off
.LBB284_981:
	s_mov_b32 s0, 0
.LBB284_982:
	s_delay_alu instid0(SALU_CYCLE_1)
	s_and_not1_b32 vcc_lo, exec_lo, s0
	s_cbranch_vccnz .LBB284_987
; %bb.983:
	s_wait_xcnt 0x0
	v_cndmask_b32_e64 v2, 0, 1, s1
	s_sext_i32_i16 s0, s2
	s_delay_alu instid0(SALU_CYCLE_1)
	s_cmp_gt_i32 s0, 0
	s_mov_b32 s0, -1
	s_cbranch_scc0 .LBB284_985
; %bb.984:
	s_mov_b32 s0, 0
	global_store_b8 v[0:1], v2, off
.LBB284_985:
	s_and_not1_b32 vcc_lo, exec_lo, s0
	s_cbranch_vccnz .LBB284_987
; %bb.986:
	global_store_b8 v[0:1], v2, off
	s_endpgm
.LBB284_987:
	s_endpgm
.LBB284_988:
	s_mov_b32 s5, 0
	s_mov_b32 s0, -1
	s_branch .LBB284_944
.LBB284_989:
	s_and_not1_saveexec_b32 s7, s7
	s_cbranch_execz .LBB284_541
.LBB284_990:
	v_add_f32_e32 v1, 0x46000000, v4
	s_and_not1_b32 s6, s6, exec_lo
	s_delay_alu instid0(VALU_DEP_1) | instskip(NEXT) | instid1(VALU_DEP_1)
	v_and_b32_e32 v1, 0xff, v1
	v_cmp_ne_u32_e32 vcc_lo, 0, v1
	s_and_b32 s8, vcc_lo, exec_lo
	s_delay_alu instid0(SALU_CYCLE_1)
	s_or_b32 s6, s6, s8
	s_or_b32 exec_lo, exec_lo, s7
	v_mov_b32_e32 v5, 0
	s_and_saveexec_b32 s7, s6
	s_cbranch_execnz .LBB284_542
	s_branch .LBB284_543
.LBB284_991:
	s_or_b32 s3, s25, exec_lo
	s_trap 2
	s_cbranch_execz .LBB284_589
	s_branch .LBB284_590
.LBB284_992:
	s_and_not1_saveexec_b32 s6, s6
	s_cbranch_execz .LBB284_554
.LBB284_993:
	v_add_f32_e32 v1, 0x42800000, v4
	s_and_not1_b32 s5, s5, exec_lo
	s_delay_alu instid0(VALU_DEP_1) | instskip(NEXT) | instid1(VALU_DEP_1)
	v_and_b32_e32 v1, 0xff, v1
	v_cmp_ne_u32_e32 vcc_lo, 0, v1
	s_and_b32 s7, vcc_lo, exec_lo
	s_delay_alu instid0(SALU_CYCLE_1)
	s_or_b32 s5, s5, s7
	s_or_b32 exec_lo, exec_lo, s6
	v_mov_b32_e32 v5, 0
	s_and_saveexec_b32 s6, s5
	s_cbranch_execnz .LBB284_555
	s_branch .LBB284_556
.LBB284_994:
	s_and_not1_saveexec_b32 s9, s9
	s_cbranch_execz .LBB284_659
.LBB284_995:
	v_add_f32_e32 v1, 0x46000000, v4
	s_and_not1_b32 s8, s8, exec_lo
	s_delay_alu instid0(VALU_DEP_1) | instskip(NEXT) | instid1(VALU_DEP_1)
	v_and_b32_e32 v1, 0xff, v1
	v_cmp_ne_u32_e32 vcc_lo, 0, v1
	s_and_b32 s10, vcc_lo, exec_lo
	s_delay_alu instid0(SALU_CYCLE_1)
	s_or_b32 s8, s8, s10
	s_or_b32 exec_lo, exec_lo, s9
	v_mov_b32_e32 v5, 0
	s_and_saveexec_b32 s9, s8
	s_cbranch_execnz .LBB284_660
	s_branch .LBB284_661
.LBB284_996:
	s_or_b32 s3, s3, exec_lo
	s_trap 2
	s_cbranch_execz .LBB284_707
	s_branch .LBB284_708
.LBB284_997:
	s_and_not1_saveexec_b32 s8, s8
	s_cbranch_execz .LBB284_672
.LBB284_998:
	v_add_f32_e32 v1, 0x42800000, v4
	s_and_not1_b32 s7, s7, exec_lo
	s_delay_alu instid0(VALU_DEP_1) | instskip(NEXT) | instid1(VALU_DEP_1)
	v_and_b32_e32 v1, 0xff, v1
	v_cmp_ne_u32_e32 vcc_lo, 0, v1
	s_and_b32 s9, vcc_lo, exec_lo
	s_delay_alu instid0(SALU_CYCLE_1)
	s_or_b32 s7, s7, s9
	s_or_b32 exec_lo, exec_lo, s8
	v_mov_b32_e32 v5, 0
	s_and_saveexec_b32 s8, s7
	s_cbranch_execnz .LBB284_673
	s_branch .LBB284_674
.LBB284_999:
	s_and_not1_saveexec_b32 s9, s9
	s_cbranch_execz .LBB284_777
.LBB284_1000:
	v_add_f32_e32 v1, 0x46000000, v4
	s_and_not1_b32 s8, s8, exec_lo
	s_delay_alu instid0(VALU_DEP_1) | instskip(NEXT) | instid1(VALU_DEP_1)
	v_and_b32_e32 v1, 0xff, v1
	v_cmp_ne_u32_e32 vcc_lo, 0, v1
	s_and_b32 s10, vcc_lo, exec_lo
	s_delay_alu instid0(SALU_CYCLE_1)
	s_or_b32 s8, s8, s10
	s_or_b32 exec_lo, exec_lo, s9
	v_mov_b32_e32 v5, 0
	s_and_saveexec_b32 s9, s8
	s_cbranch_execnz .LBB284_778
	s_branch .LBB284_779
.LBB284_1001:
	s_or_b32 s3, s3, exec_lo
	s_trap 2
	s_cbranch_execz .LBB284_825
	s_branch .LBB284_826
.LBB284_1002:
	s_and_not1_saveexec_b32 s8, s8
	s_cbranch_execz .LBB284_790
.LBB284_1003:
	v_add_f32_e32 v1, 0x42800000, v4
	s_and_not1_b32 s7, s7, exec_lo
	s_delay_alu instid0(VALU_DEP_1) | instskip(NEXT) | instid1(VALU_DEP_1)
	v_and_b32_e32 v1, 0xff, v1
	v_cmp_ne_u32_e32 vcc_lo, 0, v1
	s_and_b32 s9, vcc_lo, exec_lo
	s_delay_alu instid0(SALU_CYCLE_1)
	s_or_b32 s7, s7, s9
	s_or_b32 exec_lo, exec_lo, s8
	v_mov_b32_e32 v5, 0
	s_and_saveexec_b32 s8, s7
	s_cbranch_execnz .LBB284_791
	s_branch .LBB284_792
.LBB284_1004:
	s_and_not1_saveexec_b32 s8, s8
	s_cbranch_execz .LBB284_857
.LBB284_1005:
	v_add_f32_e32 v2, 0x46000000, v3
	s_and_not1_b32 s7, s7, exec_lo
	s_delay_alu instid0(VALU_DEP_1) | instskip(NEXT) | instid1(VALU_DEP_1)
	v_and_b32_e32 v2, 0xff, v2
	v_cmp_ne_u32_e32 vcc_lo, 0, v2
	s_and_b32 s9, vcc_lo, exec_lo
	s_delay_alu instid0(SALU_CYCLE_1)
	s_or_b32 s7, s7, s9
	s_or_b32 exec_lo, exec_lo, s8
	v_mov_b32_e32 v4, 0
	s_and_saveexec_b32 s8, s7
	s_cbranch_execnz .LBB284_858
	s_branch .LBB284_859
.LBB284_1006:
	s_mov_b32 s5, 0
	s_or_b32 s3, s3, exec_lo
	s_trap 2
	s_branch .LBB284_903
.LBB284_1007:
	s_and_not1_saveexec_b32 s6, s6
	s_cbranch_execz .LBB284_422
.LBB284_1008:
	v_add_f32_e32 v2, 0x46000000, v3
	s_and_not1_b32 s5, s5, exec_lo
	s_delay_alu instid0(VALU_DEP_1) | instskip(NEXT) | instid1(VALU_DEP_1)
	v_and_b32_e32 v2, 0xff, v2
	v_cmp_ne_u32_e32 vcc_lo, 0, v2
	s_and_b32 s7, vcc_lo, exec_lo
	s_delay_alu instid0(SALU_CYCLE_1)
	s_or_b32 s5, s5, s7
	s_or_b32 exec_lo, exec_lo, s6
	v_mov_b32_e32 v4, 0
	s_and_saveexec_b32 s6, s5
	s_cbranch_execnz .LBB284_423
	s_branch .LBB284_424
.LBB284_1009:
	s_and_not1_saveexec_b32 s7, s7
	s_cbranch_execz .LBB284_869
.LBB284_1010:
	v_add_f32_e32 v2, 0x42800000, v3
	s_and_not1_b32 s6, s6, exec_lo
	s_delay_alu instid0(VALU_DEP_1) | instskip(NEXT) | instid1(VALU_DEP_1)
	v_and_b32_e32 v2, 0xff, v2
	v_cmp_ne_u32_e32 vcc_lo, 0, v2
	s_and_b32 s8, vcc_lo, exec_lo
	s_delay_alu instid0(SALU_CYCLE_1)
	s_or_b32 s6, s6, s8
	s_or_b32 exec_lo, exec_lo, s7
	v_mov_b32_e32 v4, 0
	s_and_saveexec_b32 s7, s6
	s_cbranch_execnz .LBB284_870
	s_branch .LBB284_871
.LBB284_1011:
	s_and_not1_saveexec_b32 s7, s7
	s_cbranch_execz .LBB284_434
.LBB284_1012:
	v_add_f32_e32 v2, 0x42800000, v3
	s_and_not1_b32 s6, s6, exec_lo
	s_delay_alu instid0(VALU_DEP_1) | instskip(NEXT) | instid1(VALU_DEP_1)
	v_and_b32_e32 v2, 0xff, v2
	v_cmp_ne_u32_e32 vcc_lo, 0, v2
	s_and_b32 s8, vcc_lo, exec_lo
	s_delay_alu instid0(SALU_CYCLE_1)
	s_or_b32 s6, s6, s8
	s_or_b32 exec_lo, exec_lo, s7
	v_mov_b32_e32 v4, 0
	s_and_saveexec_b32 s7, s6
	s_cbranch_execnz .LBB284_435
	s_branch .LBB284_436
	.section	.rodata,"a",@progbits
	.p2align	6, 0x0
	.amdhsa_kernel _ZN2at6native32elementwise_kernel_manual_unrollILi128ELi4EZNS0_15gpu_kernel_implINS0_13AUnaryFunctorIN3c1013Float8_e4m3fnES5_bNS0_12_GLOBAL__N_116CompareEqFunctorIS5_EEEEEEvRNS_18TensorIteratorBaseERKT_EUlibE_EEviT1_
		.amdhsa_group_segment_fixed_size 0
		.amdhsa_private_segment_fixed_size 0
		.amdhsa_kernarg_size 48
		.amdhsa_user_sgpr_count 2
		.amdhsa_user_sgpr_dispatch_ptr 0
		.amdhsa_user_sgpr_queue_ptr 0
		.amdhsa_user_sgpr_kernarg_segment_ptr 1
		.amdhsa_user_sgpr_dispatch_id 0
		.amdhsa_user_sgpr_kernarg_preload_length 0
		.amdhsa_user_sgpr_kernarg_preload_offset 0
		.amdhsa_user_sgpr_private_segment_size 0
		.amdhsa_wavefront_size32 1
		.amdhsa_uses_dynamic_stack 0
		.amdhsa_enable_private_segment 0
		.amdhsa_system_sgpr_workgroup_id_x 1
		.amdhsa_system_sgpr_workgroup_id_y 0
		.amdhsa_system_sgpr_workgroup_id_z 0
		.amdhsa_system_sgpr_workgroup_info 0
		.amdhsa_system_vgpr_workitem_id 0
		.amdhsa_next_free_vgpr 14
		.amdhsa_next_free_sgpr 34
		.amdhsa_named_barrier_count 0
		.amdhsa_reserve_vcc 1
		.amdhsa_float_round_mode_32 0
		.amdhsa_float_round_mode_16_64 0
		.amdhsa_float_denorm_mode_32 3
		.amdhsa_float_denorm_mode_16_64 3
		.amdhsa_fp16_overflow 0
		.amdhsa_memory_ordered 1
		.amdhsa_forward_progress 1
		.amdhsa_inst_pref_size 141
		.amdhsa_round_robin_scheduling 0
		.amdhsa_exception_fp_ieee_invalid_op 0
		.amdhsa_exception_fp_denorm_src 0
		.amdhsa_exception_fp_ieee_div_zero 0
		.amdhsa_exception_fp_ieee_overflow 0
		.amdhsa_exception_fp_ieee_underflow 0
		.amdhsa_exception_fp_ieee_inexact 0
		.amdhsa_exception_int_div_zero 0
	.end_amdhsa_kernel
	.section	.text._ZN2at6native32elementwise_kernel_manual_unrollILi128ELi4EZNS0_15gpu_kernel_implINS0_13AUnaryFunctorIN3c1013Float8_e4m3fnES5_bNS0_12_GLOBAL__N_116CompareEqFunctorIS5_EEEEEEvRNS_18TensorIteratorBaseERKT_EUlibE_EEviT1_,"axG",@progbits,_ZN2at6native32elementwise_kernel_manual_unrollILi128ELi4EZNS0_15gpu_kernel_implINS0_13AUnaryFunctorIN3c1013Float8_e4m3fnES5_bNS0_12_GLOBAL__N_116CompareEqFunctorIS5_EEEEEEvRNS_18TensorIteratorBaseERKT_EUlibE_EEviT1_,comdat
.Lfunc_end284:
	.size	_ZN2at6native32elementwise_kernel_manual_unrollILi128ELi4EZNS0_15gpu_kernel_implINS0_13AUnaryFunctorIN3c1013Float8_e4m3fnES5_bNS0_12_GLOBAL__N_116CompareEqFunctorIS5_EEEEEEvRNS_18TensorIteratorBaseERKT_EUlibE_EEviT1_, .Lfunc_end284-_ZN2at6native32elementwise_kernel_manual_unrollILi128ELi4EZNS0_15gpu_kernel_implINS0_13AUnaryFunctorIN3c1013Float8_e4m3fnES5_bNS0_12_GLOBAL__N_116CompareEqFunctorIS5_EEEEEEvRNS_18TensorIteratorBaseERKT_EUlibE_EEviT1_
                                        ; -- End function
	.set _ZN2at6native32elementwise_kernel_manual_unrollILi128ELi4EZNS0_15gpu_kernel_implINS0_13AUnaryFunctorIN3c1013Float8_e4m3fnES5_bNS0_12_GLOBAL__N_116CompareEqFunctorIS5_EEEEEEvRNS_18TensorIteratorBaseERKT_EUlibE_EEviT1_.num_vgpr, max(14, .L_ZN2at6native6invokeINS0_13AUnaryFunctorIN3c1013Float8_e4m3fnES4_bNS0_12_GLOBAL__N_116CompareEqFunctorIS4_EEEEi15function_traitsIS8_EEENT1_11result_typeERKT_PrKPcPKT0_PKNS3_10ScalarTypeEi.num_vgpr)
	.set _ZN2at6native32elementwise_kernel_manual_unrollILi128ELi4EZNS0_15gpu_kernel_implINS0_13AUnaryFunctorIN3c1013Float8_e4m3fnES5_bNS0_12_GLOBAL__N_116CompareEqFunctorIS5_EEEEEEvRNS_18TensorIteratorBaseERKT_EUlibE_EEviT1_.num_agpr, max(0, .L_ZN2at6native6invokeINS0_13AUnaryFunctorIN3c1013Float8_e4m3fnES4_bNS0_12_GLOBAL__N_116CompareEqFunctorIS4_EEEEi15function_traitsIS8_EEENT1_11result_typeERKT_PrKPcPKT0_PKNS3_10ScalarTypeEi.num_agpr)
	.set _ZN2at6native32elementwise_kernel_manual_unrollILi128ELi4EZNS0_15gpu_kernel_implINS0_13AUnaryFunctorIN3c1013Float8_e4m3fnES5_bNS0_12_GLOBAL__N_116CompareEqFunctorIS5_EEEEEEvRNS_18TensorIteratorBaseERKT_EUlibE_EEviT1_.numbered_sgpr, max(34, .L_ZN2at6native6invokeINS0_13AUnaryFunctorIN3c1013Float8_e4m3fnES4_bNS0_12_GLOBAL__N_116CompareEqFunctorIS4_EEEEi15function_traitsIS8_EEENT1_11result_typeERKT_PrKPcPKT0_PKNS3_10ScalarTypeEi.numbered_sgpr)
	.set _ZN2at6native32elementwise_kernel_manual_unrollILi128ELi4EZNS0_15gpu_kernel_implINS0_13AUnaryFunctorIN3c1013Float8_e4m3fnES5_bNS0_12_GLOBAL__N_116CompareEqFunctorIS5_EEEEEEvRNS_18TensorIteratorBaseERKT_EUlibE_EEviT1_.num_named_barrier, max(0, .L_ZN2at6native6invokeINS0_13AUnaryFunctorIN3c1013Float8_e4m3fnES4_bNS0_12_GLOBAL__N_116CompareEqFunctorIS4_EEEEi15function_traitsIS8_EEENT1_11result_typeERKT_PrKPcPKT0_PKNS3_10ScalarTypeEi.num_named_barrier)
	.set _ZN2at6native32elementwise_kernel_manual_unrollILi128ELi4EZNS0_15gpu_kernel_implINS0_13AUnaryFunctorIN3c1013Float8_e4m3fnES5_bNS0_12_GLOBAL__N_116CompareEqFunctorIS5_EEEEEEvRNS_18TensorIteratorBaseERKT_EUlibE_EEviT1_.private_seg_size, 0+max(.L_ZN2at6native6invokeINS0_13AUnaryFunctorIN3c1013Float8_e4m3fnES4_bNS0_12_GLOBAL__N_116CompareEqFunctorIS4_EEEEi15function_traitsIS8_EEENT1_11result_typeERKT_PrKPcPKT0_PKNS3_10ScalarTypeEi.private_seg_size)
	.set _ZN2at6native32elementwise_kernel_manual_unrollILi128ELi4EZNS0_15gpu_kernel_implINS0_13AUnaryFunctorIN3c1013Float8_e4m3fnES5_bNS0_12_GLOBAL__N_116CompareEqFunctorIS5_EEEEEEvRNS_18TensorIteratorBaseERKT_EUlibE_EEviT1_.uses_vcc, or(1, .L_ZN2at6native6invokeINS0_13AUnaryFunctorIN3c1013Float8_e4m3fnES4_bNS0_12_GLOBAL__N_116CompareEqFunctorIS4_EEEEi15function_traitsIS8_EEENT1_11result_typeERKT_PrKPcPKT0_PKNS3_10ScalarTypeEi.uses_vcc)
	.set _ZN2at6native32elementwise_kernel_manual_unrollILi128ELi4EZNS0_15gpu_kernel_implINS0_13AUnaryFunctorIN3c1013Float8_e4m3fnES5_bNS0_12_GLOBAL__N_116CompareEqFunctorIS5_EEEEEEvRNS_18TensorIteratorBaseERKT_EUlibE_EEviT1_.uses_flat_scratch, or(0, .L_ZN2at6native6invokeINS0_13AUnaryFunctorIN3c1013Float8_e4m3fnES4_bNS0_12_GLOBAL__N_116CompareEqFunctorIS4_EEEEi15function_traitsIS8_EEENT1_11result_typeERKT_PrKPcPKT0_PKNS3_10ScalarTypeEi.uses_flat_scratch)
	.set _ZN2at6native32elementwise_kernel_manual_unrollILi128ELi4EZNS0_15gpu_kernel_implINS0_13AUnaryFunctorIN3c1013Float8_e4m3fnES5_bNS0_12_GLOBAL__N_116CompareEqFunctorIS5_EEEEEEvRNS_18TensorIteratorBaseERKT_EUlibE_EEviT1_.has_dyn_sized_stack, or(0, .L_ZN2at6native6invokeINS0_13AUnaryFunctorIN3c1013Float8_e4m3fnES4_bNS0_12_GLOBAL__N_116CompareEqFunctorIS4_EEEEi15function_traitsIS8_EEENT1_11result_typeERKT_PrKPcPKT0_PKNS3_10ScalarTypeEi.has_dyn_sized_stack)
	.set _ZN2at6native32elementwise_kernel_manual_unrollILi128ELi4EZNS0_15gpu_kernel_implINS0_13AUnaryFunctorIN3c1013Float8_e4m3fnES5_bNS0_12_GLOBAL__N_116CompareEqFunctorIS5_EEEEEEvRNS_18TensorIteratorBaseERKT_EUlibE_EEviT1_.has_recursion, or(0, .L_ZN2at6native6invokeINS0_13AUnaryFunctorIN3c1013Float8_e4m3fnES4_bNS0_12_GLOBAL__N_116CompareEqFunctorIS4_EEEEi15function_traitsIS8_EEENT1_11result_typeERKT_PrKPcPKT0_PKNS3_10ScalarTypeEi.has_recursion)
	.set _ZN2at6native32elementwise_kernel_manual_unrollILi128ELi4EZNS0_15gpu_kernel_implINS0_13AUnaryFunctorIN3c1013Float8_e4m3fnES5_bNS0_12_GLOBAL__N_116CompareEqFunctorIS5_EEEEEEvRNS_18TensorIteratorBaseERKT_EUlibE_EEviT1_.has_indirect_call, or(0, .L_ZN2at6native6invokeINS0_13AUnaryFunctorIN3c1013Float8_e4m3fnES4_bNS0_12_GLOBAL__N_116CompareEqFunctorIS4_EEEEi15function_traitsIS8_EEENT1_11result_typeERKT_PrKPcPKT0_PKNS3_10ScalarTypeEi.has_indirect_call)
	.section	.AMDGPU.csdata,"",@progbits
; Kernel info:
; codeLenInByte = 17928
; TotalNumSgprs: 36
; NumVgprs: 14
; ScratchSize: 0
; MemoryBound: 0
; FloatMode: 240
; IeeeMode: 1
; LDSByteSize: 0 bytes/workgroup (compile time only)
; SGPRBlocks: 0
; VGPRBlocks: 0
; NumSGPRsForWavesPerEU: 36
; NumVGPRsForWavesPerEU: 14
; NamedBarCnt: 0
; Occupancy: 16
; WaveLimiterHint : 0
; COMPUTE_PGM_RSRC2:SCRATCH_EN: 0
; COMPUTE_PGM_RSRC2:USER_SGPR: 2
; COMPUTE_PGM_RSRC2:TRAP_HANDLER: 0
; COMPUTE_PGM_RSRC2:TGID_X_EN: 1
; COMPUTE_PGM_RSRC2:TGID_Y_EN: 0
; COMPUTE_PGM_RSRC2:TGID_Z_EN: 0
; COMPUTE_PGM_RSRC2:TIDIG_COMP_CNT: 0
	.text
	.p2align	2                               ; -- Begin function _ZN2at6native6invokeINS0_13AUnaryFunctorIN3c1013Float8_e4m3fnES4_bNS0_12_GLOBAL__N_116CompareEqFunctorIS4_EEEEj15function_traitsIS8_EEENT1_11result_typeERKT_PrKPcPKT0_PKNS3_10ScalarTypeEi
	.type	_ZN2at6native6invokeINS0_13AUnaryFunctorIN3c1013Float8_e4m3fnES4_bNS0_12_GLOBAL__N_116CompareEqFunctorIS4_EEEEj15function_traitsIS8_EEENT1_11result_typeERKT_PrKPcPKT0_PKNS3_10ScalarTypeEi,@function
_ZN2at6native6invokeINS0_13AUnaryFunctorIN3c1013Float8_e4m3fnES4_bNS0_12_GLOBAL__N_116CompareEqFunctorIS4_EEEEj15function_traitsIS8_EEENT1_11result_typeERKT_PrKPcPKT0_PKNS3_10ScalarTypeEi: ; @_ZN2at6native6invokeINS0_13AUnaryFunctorIN3c1013Float8_e4m3fnES4_bNS0_12_GLOBAL__N_116CompareEqFunctorIS4_EEEEj15function_traitsIS8_EEENT1_11result_typeERKT_PrKPcPKT0_PKNS3_10ScalarTypeEi
; %bb.0:
	s_wait_loadcnt_dscnt 0x0
	s_wait_kmcnt 0x0
	v_dual_mov_b32 v6, v5 :: v_dual_mov_b32 v5, 0
	s_mov_b32 s1, 0
	s_mov_b32 s0, exec_lo
	s_delay_alu instid0(VALU_DEP_1) | instskip(NEXT) | instid1(VALU_DEP_2)
	v_and_b32_e32 v6, 0xff, v6
	v_add_nc_u64_e32 v[2:3], v[2:3], v[4:5]
                                        ; implicit-def: $vgpr4
	s_delay_alu instid0(VALU_DEP_2)
	v_cmpx_lt_i16_e32 10, v6
	s_xor_b32 s0, exec_lo, s0
	s_cbranch_execz .LBB285_97
; %bb.1:
	s_mov_b32 s4, 0
	s_mov_b32 s3, 0
	s_mov_b32 s2, exec_lo
                                        ; implicit-def: $vgpr4
	v_cmpx_lt_i16_e32 25, v6
	s_xor_b32 s2, exec_lo, s2
	s_cbranch_execz .LBB285_228
; %bb.2:
	s_mov_b32 s5, 0
	s_mov_b32 s3, exec_lo
                                        ; implicit-def: $vgpr4
	v_cmpx_lt_i16_e32 28, v6
	s_xor_b32 s3, exec_lo, s3
	s_cbranch_execz .LBB285_42
; %bb.3:
	s_mov_b32 s6, 0
	s_mov_b32 s7, 0
	s_mov_b32 s4, exec_lo
                                        ; implicit-def: $vgpr4
	v_cmpx_lt_i16_e32 43, v6
	s_xor_b32 s4, exec_lo, s4
	s_cbranch_execz .LBB285_29
; %bb.4:
	s_mov_b32 s7, exec_lo
                                        ; implicit-def: $vgpr4
	v_cmpx_lt_i16_e32 45, v6
	s_xor_b32 s7, exec_lo, s7
	s_cbranch_execz .LBB285_16
; %bb.5:
	s_mov_b32 s8, -1
	s_mov_b32 s5, exec_lo
                                        ; implicit-def: $vgpr4
	v_cmpx_eq_u16_e32 46, v6
	s_cbranch_execz .LBB285_15
; %bb.6:
	flat_load_b32 v4, v[2:3]
	s_mov_b32 s6, exec_lo
                                        ; implicit-def: $vgpr5
	s_wait_loadcnt_dscnt 0x0
	v_lshlrev_b32_e32 v4, 16, v4
	s_delay_alu instid0(VALU_DEP_1) | instskip(SKIP_1) | instid1(VALU_DEP_1)
	v_and_b32_e32 v6, 0x7fffffff, v4
	s_wait_xcnt 0x0
	v_cmpx_gt_u32_e32 0x43f00000, v6
	s_xor_b32 s6, exec_lo, s6
	s_cbranch_execz .LBB285_12
; %bb.7:
	s_mov_b32 s8, exec_lo
                                        ; implicit-def: $vgpr5
	v_cmpx_lt_u32_e32 0x3c7fffff, v6
	s_xor_b32 s8, exec_lo, s8
; %bb.8:
	v_bfe_u32 v5, v4, 20, 1
	s_delay_alu instid0(VALU_DEP_1) | instskip(NEXT) | instid1(VALU_DEP_1)
	v_add3_u32 v5, v4, v5, 0x407ffff
	v_and_b32_e32 v6, 0xff00000, v5
	v_lshrrev_b32_e32 v5, 20, v5
	s_delay_alu instid0(VALU_DEP_2) | instskip(NEXT) | instid1(VALU_DEP_2)
	v_cmp_ne_u32_e32 vcc_lo, 0x7f00000, v6
	v_cndmask_b32_e32 v5, 0x7e, v5, vcc_lo
; %bb.9:
	s_and_not1_saveexec_b32 s8, s8
; %bb.10:
	v_add_f32_e64 v5, 0x46800000, |v4|
; %bb.11:
	s_or_b32 exec_lo, exec_lo, s8
                                        ; implicit-def: $vgpr6
.LBB285_12:
	s_and_not1_saveexec_b32 s6, s6
; %bb.13:
	v_mov_b32_e32 v5, 0x7f
	v_cmp_lt_u32_e32 vcc_lo, 0x7f800000, v6
	s_delay_alu instid0(VALU_DEP_2)
	v_cndmask_b32_e32 v5, 0x7e, v5, vcc_lo
; %bb.14:
	s_or_b32 exec_lo, exec_lo, s6
	v_lshrrev_b32_e32 v4, 24, v4
	s_mov_b32 s6, exec_lo
	s_xor_b32 s8, exec_lo, -1
	s_delay_alu instid0(VALU_DEP_1)
	v_and_or_b32 v4, 0x80, v4, v5
.LBB285_15:
	s_or_b32 exec_lo, exec_lo, s5
	s_delay_alu instid0(SALU_CYCLE_1)
	s_and_b32 s6, s6, exec_lo
	s_and_b32 s5, s8, exec_lo
                                        ; implicit-def: $vgpr6
.LBB285_16:
	s_and_not1_saveexec_b32 s7, s7
	s_cbranch_execz .LBB285_28
; %bb.17:
	s_mov_b32 s9, -1
	s_mov_b32 s10, s6
	s_mov_b32 s8, exec_lo
                                        ; implicit-def: $vgpr4
	v_cmpx_eq_u16_e32 44, v6
	s_cbranch_execz .LBB285_27
; %bb.18:
	flat_load_u8 v4, v[2:3]
	s_mov_b32 s9, exec_lo
	s_wait_loadcnt_dscnt 0x0
	v_lshlrev_b32_e32 v5, 23, v4
	v_cmp_ne_u32_e32 vcc_lo, 0xff, v4
	s_delay_alu instid0(VALU_DEP_2) | instskip(SKIP_1) | instid1(VALU_DEP_2)
	v_cndmask_b32_e32 v5, 0x7f800001, v5, vcc_lo
	v_cmp_ne_u32_e32 vcc_lo, 0, v4
                                        ; implicit-def: $vgpr4
	v_cndmask_b32_e32 v5, 0x400000, v5, vcc_lo
	s_wait_xcnt 0x0
	s_delay_alu instid0(VALU_DEP_1)
	v_cmpx_gt_u32_e32 0x43f00000, v5
	s_xor_b32 s9, exec_lo, s9
	s_cbranch_execz .LBB285_24
; %bb.19:
	s_mov_b32 s10, exec_lo
                                        ; implicit-def: $vgpr4
	v_cmpx_lt_u32_e32 0x3c7fffff, v5
	s_xor_b32 s10, exec_lo, s10
; %bb.20:
	v_bfe_u32 v4, v5, 20, 1
	s_delay_alu instid0(VALU_DEP_1) | instskip(NEXT) | instid1(VALU_DEP_1)
	v_add3_u32 v4, v5, v4, 0x407ffff
	v_and_b32_e32 v5, 0xff00000, v4
	v_lshrrev_b32_e32 v4, 20, v4
	s_delay_alu instid0(VALU_DEP_2) | instskip(NEXT) | instid1(VALU_DEP_2)
	v_cmp_ne_u32_e32 vcc_lo, 0x7f00000, v5
                                        ; implicit-def: $vgpr5
	v_cndmask_b32_e32 v4, 0x7e, v4, vcc_lo
; %bb.21:
	s_and_not1_saveexec_b32 s10, s10
; %bb.22:
	v_add_f32_e32 v4, 0x46800000, v5
; %bb.23:
	s_or_b32 exec_lo, exec_lo, s10
                                        ; implicit-def: $vgpr5
.LBB285_24:
	s_and_not1_saveexec_b32 s9, s9
; %bb.25:
	v_mov_b32_e32 v4, 0x7f
	v_cmp_lt_u32_e32 vcc_lo, 0x7f800000, v5
	s_delay_alu instid0(VALU_DEP_2)
	v_cndmask_b32_e32 v4, 0x7e, v4, vcc_lo
; %bb.26:
	s_or_b32 exec_lo, exec_lo, s9
	s_delay_alu instid0(SALU_CYCLE_1)
	s_or_b32 s10, s6, exec_lo
	s_xor_b32 s9, exec_lo, -1
.LBB285_27:
	s_or_b32 exec_lo, exec_lo, s8
	s_delay_alu instid0(SALU_CYCLE_1)
	s_and_not1_b32 s6, s6, exec_lo
	s_and_b32 s8, s10, exec_lo
	s_and_not1_b32 s5, s5, exec_lo
	s_and_b32 s9, s9, exec_lo
	s_or_b32 s6, s6, s8
	s_or_b32 s5, s5, s9
.LBB285_28:
	s_or_b32 exec_lo, exec_lo, s7
	s_delay_alu instid0(SALU_CYCLE_1)
	s_and_b32 s7, s6, exec_lo
	s_and_b32 s6, s5, exec_lo
                                        ; implicit-def: $vgpr6
.LBB285_29:
	s_and_not1_saveexec_b32 s4, s4
	s_cbranch_execz .LBB285_41
; %bb.30:
	s_mov_b32 s8, -1
	s_mov_b32 s9, s7
	s_mov_b32 s5, exec_lo
                                        ; implicit-def: $vgpr4
	v_cmpx_eq_u16_e32 29, v6
	s_cbranch_execz .LBB285_40
; %bb.31:
	flat_load_b64 v[4:5], v[2:3]
	s_mov_b32 s8, exec_lo
	s_wait_loadcnt_dscnt 0x0
	v_clz_i32_u32_e32 v6, v5
	s_delay_alu instid0(VALU_DEP_1) | instskip(NEXT) | instid1(VALU_DEP_1)
	v_min_u32_e32 v6, 32, v6
	v_lshlrev_b64_e32 v[4:5], v6, v[4:5]
	s_delay_alu instid0(VALU_DEP_1) | instskip(NEXT) | instid1(VALU_DEP_1)
	v_min_u32_e32 v4, 1, v4
	v_dual_sub_nc_u32 v5, 32, v6 :: v_dual_bitop2_b32 v4, v5, v4 bitop3:0x54
	s_delay_alu instid0(VALU_DEP_1) | instskip(NEXT) | instid1(VALU_DEP_1)
	v_cvt_f32_u32_e32 v4, v4
	v_ldexp_f32 v5, v4, v5
                                        ; implicit-def: $vgpr4
	s_wait_xcnt 0x0
	s_delay_alu instid0(VALU_DEP_1)
	v_cmpx_gt_u32_e32 0x43f00000, v5
	s_xor_b32 s8, exec_lo, s8
	s_cbranch_execz .LBB285_37
; %bb.32:
	s_mov_b32 s9, exec_lo
                                        ; implicit-def: $vgpr4
	v_cmpx_lt_u32_e32 0x3c7fffff, v5
	s_xor_b32 s9, exec_lo, s9
; %bb.33:
	v_bfe_u32 v4, v5, 20, 1
	s_delay_alu instid0(VALU_DEP_1) | instskip(NEXT) | instid1(VALU_DEP_1)
	v_add3_u32 v4, v5, v4, 0x407ffff
	v_and_b32_e32 v5, 0xff00000, v4
	v_lshrrev_b32_e32 v4, 20, v4
	s_delay_alu instid0(VALU_DEP_2) | instskip(NEXT) | instid1(VALU_DEP_2)
	v_cmp_ne_u32_e32 vcc_lo, 0x7f00000, v5
                                        ; implicit-def: $vgpr5
	v_cndmask_b32_e32 v4, 0x7e, v4, vcc_lo
; %bb.34:
	s_and_not1_saveexec_b32 s9, s9
; %bb.35:
	v_add_f32_e32 v4, 0x46800000, v5
; %bb.36:
	s_or_b32 exec_lo, exec_lo, s9
                                        ; implicit-def: $vgpr5
.LBB285_37:
	s_and_not1_saveexec_b32 s8, s8
; %bb.38:
	v_mov_b32_e32 v4, 0x7f
	v_cmp_lt_u32_e32 vcc_lo, 0x7f800000, v5
	s_delay_alu instid0(VALU_DEP_2)
	v_cndmask_b32_e32 v4, 0x7e, v4, vcc_lo
; %bb.39:
	s_or_b32 exec_lo, exec_lo, s8
	s_delay_alu instid0(SALU_CYCLE_1)
	s_or_b32 s9, s7, exec_lo
	s_xor_b32 s8, exec_lo, -1
.LBB285_40:
	s_or_b32 exec_lo, exec_lo, s5
	s_delay_alu instid0(SALU_CYCLE_1)
	s_and_not1_b32 s5, s7, exec_lo
	s_and_b32 s7, s9, exec_lo
	s_and_not1_b32 s6, s6, exec_lo
	s_and_b32 s8, s8, exec_lo
	s_or_b32 s7, s5, s7
	s_or_b32 s6, s6, s8
.LBB285_41:
	s_or_b32 exec_lo, exec_lo, s4
	s_delay_alu instid0(SALU_CYCLE_1)
	s_and_b32 s5, s7, exec_lo
	s_and_b32 s4, s6, exec_lo
                                        ; implicit-def: $vgpr6
.LBB285_42:
	s_and_not1_saveexec_b32 s3, s3
	s_cbranch_execz .LBB285_82
; %bb.43:
	s_mov_b32 s6, exec_lo
                                        ; implicit-def: $vgpr4
	v_cmpx_lt_i16_e32 26, v6
	s_xor_b32 s6, exec_lo, s6
	s_cbranch_execz .LBB285_65
; %bb.44:
	s_mov_b32 s7, exec_lo
                                        ; implicit-def: $vgpr4
	v_cmpx_lt_i16_e32 27, v6
	s_xor_b32 s7, exec_lo, s7
	s_cbranch_execz .LBB285_54
; %bb.45:
	flat_load_b32 v4, v[2:3]
	s_mov_b32 s8, exec_lo
	s_wait_loadcnt_dscnt 0x0
	v_cvt_f32_u32_e32 v5, v4
                                        ; implicit-def: $vgpr4
	s_wait_xcnt 0x0
	s_delay_alu instid0(VALU_DEP_1)
	v_cmpx_gt_u32_e32 0x43f00000, v5
	s_xor_b32 s8, exec_lo, s8
	s_cbranch_execz .LBB285_51
; %bb.46:
	s_mov_b32 s9, exec_lo
                                        ; implicit-def: $vgpr4
	v_cmpx_lt_u32_e32 0x3c7fffff, v5
	s_xor_b32 s9, exec_lo, s9
; %bb.47:
	v_bfe_u32 v4, v5, 20, 1
	s_delay_alu instid0(VALU_DEP_1) | instskip(NEXT) | instid1(VALU_DEP_1)
	v_add3_u32 v4, v5, v4, 0x407ffff
	v_and_b32_e32 v5, 0xff00000, v4
	v_lshrrev_b32_e32 v4, 20, v4
	s_delay_alu instid0(VALU_DEP_2) | instskip(NEXT) | instid1(VALU_DEP_2)
	v_cmp_ne_u32_e32 vcc_lo, 0x7f00000, v5
                                        ; implicit-def: $vgpr5
	v_cndmask_b32_e32 v4, 0x7e, v4, vcc_lo
; %bb.48:
	s_and_not1_saveexec_b32 s9, s9
; %bb.49:
	v_add_f32_e32 v4, 0x46800000, v5
; %bb.50:
	s_or_b32 exec_lo, exec_lo, s9
                                        ; implicit-def: $vgpr5
.LBB285_51:
	s_and_not1_saveexec_b32 s8, s8
; %bb.52:
	v_mov_b32_e32 v4, 0x7f
	v_cmp_lt_u32_e32 vcc_lo, 0x7f800000, v5
	s_delay_alu instid0(VALU_DEP_2)
	v_cndmask_b32_e32 v4, 0x7e, v4, vcc_lo
; %bb.53:
	s_or_b32 exec_lo, exec_lo, s8
.LBB285_54:
	s_and_not1_saveexec_b32 s7, s7
	s_cbranch_execz .LBB285_64
; %bb.55:
	flat_load_u16 v4, v[2:3]
	s_mov_b32 s8, exec_lo
	s_wait_loadcnt_dscnt 0x0
	v_cvt_f32_u32_e32 v5, v4
                                        ; implicit-def: $vgpr4
	s_wait_xcnt 0x0
	s_delay_alu instid0(VALU_DEP_1)
	v_cmpx_gt_u32_e32 0x43f00000, v5
	s_xor_b32 s8, exec_lo, s8
	s_cbranch_execz .LBB285_61
; %bb.56:
	s_mov_b32 s9, exec_lo
                                        ; implicit-def: $vgpr4
	v_cmpx_lt_u32_e32 0x3c7fffff, v5
	s_xor_b32 s9, exec_lo, s9
; %bb.57:
	v_bfe_u32 v4, v5, 20, 1
	s_delay_alu instid0(VALU_DEP_1) | instskip(NEXT) | instid1(VALU_DEP_1)
	v_add3_u32 v4, v5, v4, 0x407ffff
	v_and_b32_e32 v5, 0xff00000, v4
	v_lshrrev_b32_e32 v4, 20, v4
	s_delay_alu instid0(VALU_DEP_2) | instskip(NEXT) | instid1(VALU_DEP_2)
	v_cmp_ne_u32_e32 vcc_lo, 0x7f00000, v5
                                        ; implicit-def: $vgpr5
	v_cndmask_b32_e32 v4, 0x7e, v4, vcc_lo
; %bb.58:
	s_and_not1_saveexec_b32 s9, s9
; %bb.59:
	v_add_f32_e32 v4, 0x46800000, v5
; %bb.60:
	s_or_b32 exec_lo, exec_lo, s9
                                        ; implicit-def: $vgpr5
.LBB285_61:
	s_and_not1_saveexec_b32 s8, s8
; %bb.62:
	v_mov_b32_e32 v4, 0x7f
	v_cmp_lt_u32_e32 vcc_lo, 0x7f800000, v5
	s_delay_alu instid0(VALU_DEP_2)
	v_cndmask_b32_e32 v4, 0x7e, v4, vcc_lo
; %bb.63:
	s_or_b32 exec_lo, exec_lo, s8
.LBB285_64:
	s_delay_alu instid0(SALU_CYCLE_1)
	s_or_b32 exec_lo, exec_lo, s7
.LBB285_65:
	s_and_not1_saveexec_b32 s6, s6
	s_cbranch_execz .LBB285_81
; %bb.66:
	flat_load_u8 v5, v[2:3]
	s_mov_b32 s7, 0
	s_mov_b32 s8, exec_lo
	s_wait_loadcnt_dscnt 0x0
	v_cmpx_lt_i16_e32 0x7f, v5
	s_xor_b32 s8, exec_lo, s8
	s_cbranch_execz .LBB285_279
; %bb.67:
	s_mov_b32 s7, -1
	s_mov_b32 s9, exec_lo
	v_cmpx_eq_u16_e32 0x80, v5
; %bb.68:
	s_xor_b32 s7, exec_lo, -1
; %bb.69:
	s_or_b32 exec_lo, exec_lo, s9
	s_delay_alu instid0(SALU_CYCLE_1)
	s_and_b32 s7, s7, exec_lo
	s_or_saveexec_b32 s8, s8
	v_mov_b32_e32 v4, 0x7f800001
	s_xor_b32 exec_lo, exec_lo, s8
	s_cbranch_execnz .LBB285_280
.LBB285_70:
	s_or_b32 exec_lo, exec_lo, s8
	s_and_saveexec_b32 s8, s7
	s_cbranch_execz .LBB285_72
.LBB285_71:
	v_and_b32_e32 v4, 0xffff, v5
	s_delay_alu instid0(VALU_DEP_1) | instskip(SKIP_1) | instid1(VALU_DEP_2)
	v_and_b32_e32 v6, 7, v4
	v_bfe_u32 v9, v4, 3, 4
	v_clz_i32_u32_e32 v7, v6
	s_delay_alu instid0(VALU_DEP_2) | instskip(NEXT) | instid1(VALU_DEP_2)
	v_cmp_eq_u32_e32 vcc_lo, 0, v9
	v_min_u32_e32 v7, 32, v7
	s_delay_alu instid0(VALU_DEP_1) | instskip(NEXT) | instid1(VALU_DEP_1)
	v_subrev_nc_u32_e32 v8, 28, v7
	v_dual_lshlrev_b32 v4, v8, v4 :: v_dual_sub_nc_u32 v7, 29, v7
	s_delay_alu instid0(VALU_DEP_1) | instskip(NEXT) | instid1(VALU_DEP_1)
	v_dual_lshlrev_b32 v5, 24, v5 :: v_dual_bitop2_b32 v4, 7, v4 bitop3:0x40
	v_dual_cndmask_b32 v7, v9, v7 :: v_dual_cndmask_b32 v4, v6, v4
	s_delay_alu instid0(VALU_DEP_2) | instskip(NEXT) | instid1(VALU_DEP_2)
	v_and_b32_e32 v5, 0x80000000, v5
	v_lshl_add_u32 v6, v7, 23, 0x3b800000
	s_delay_alu instid0(VALU_DEP_3) | instskip(NEXT) | instid1(VALU_DEP_1)
	v_lshlrev_b32_e32 v4, 20, v4
	v_or3_b32 v4, v5, v6, v4
.LBB285_72:
	s_or_b32 exec_lo, exec_lo, s8
	s_delay_alu instid0(VALU_DEP_1) | instskip(SKIP_1) | instid1(VALU_DEP_1)
	v_and_b32_e32 v6, 0x7fffffff, v4
	s_mov_b32 s7, exec_lo
                                        ; implicit-def: $vgpr5
	v_cmpx_gt_u32_e32 0x43f00000, v6
	s_xor_b32 s7, exec_lo, s7
	s_cbranch_execz .LBB285_78
; %bb.73:
	s_mov_b32 s8, exec_lo
                                        ; implicit-def: $vgpr5
	v_cmpx_lt_u32_e32 0x3c7fffff, v6
	s_xor_b32 s8, exec_lo, s8
; %bb.74:
	v_bfe_u32 v5, v4, 20, 1
	s_delay_alu instid0(VALU_DEP_1) | instskip(NEXT) | instid1(VALU_DEP_1)
	v_add3_u32 v5, v4, v5, 0x407ffff
	v_and_b32_e32 v6, 0xff00000, v5
	v_lshrrev_b32_e32 v5, 20, v5
	s_delay_alu instid0(VALU_DEP_2) | instskip(NEXT) | instid1(VALU_DEP_2)
	v_cmp_ne_u32_e32 vcc_lo, 0x7f00000, v6
	v_cndmask_b32_e32 v5, 0x7e, v5, vcc_lo
; %bb.75:
	s_and_not1_saveexec_b32 s8, s8
; %bb.76:
	v_add_f32_e64 v5, 0x46800000, |v4|
; %bb.77:
	s_or_b32 exec_lo, exec_lo, s8
                                        ; implicit-def: $vgpr6
.LBB285_78:
	s_and_not1_saveexec_b32 s7, s7
; %bb.79:
	v_mov_b32_e32 v5, 0x7f
	v_cmp_lt_u32_e32 vcc_lo, 0x7f800000, v6
	s_delay_alu instid0(VALU_DEP_2)
	v_cndmask_b32_e32 v5, 0x7e, v5, vcc_lo
; %bb.80:
	s_or_b32 exec_lo, exec_lo, s7
	v_lshrrev_b32_e32 v4, 24, v4
	s_delay_alu instid0(VALU_DEP_1)
	v_and_or_b32 v4, 0x80, v4, v5
.LBB285_81:
	s_or_b32 exec_lo, exec_lo, s6
	s_delay_alu instid0(SALU_CYCLE_1)
	s_or_b32 s5, s5, exec_lo
.LBB285_82:
	s_or_b32 exec_lo, exec_lo, s3
	s_delay_alu instid0(SALU_CYCLE_1)
	s_and_b32 s3, s5, exec_lo
	s_and_b32 s4, s4, exec_lo
                                        ; implicit-def: $vgpr6
	s_and_not1_saveexec_b32 s2, s2
	s_cbranch_execnz .LBB285_229
.LBB285_83:
	s_or_b32 exec_lo, exec_lo, s2
	s_and_saveexec_b32 s2, s4
	s_cbranch_execnz .LBB285_278
.LBB285_84:
	s_or_b32 exec_lo, exec_lo, s2
	s_and_saveexec_b32 s2, s1
	s_cbranch_execz .LBB285_94
.LBB285_85:
	flat_load_u8 v2, v[2:3]
	s_mov_b32 s1, exec_lo
                                        ; implicit-def: $vgpr4
	s_wait_loadcnt_dscnt 0x0
	v_cmp_ne_u16_e32 vcc_lo, 0, v2
	s_wait_xcnt 0x0
	v_cndmask_b32_e64 v2, 0, 1.0, vcc_lo
	s_delay_alu instid0(VALU_DEP_1)
	v_cmpx_gt_u32_e32 0x43f00000, v2
	s_xor_b32 s1, exec_lo, s1
	s_cbranch_execz .LBB285_91
; %bb.86:
	s_mov_b32 s4, exec_lo
                                        ; implicit-def: $vgpr4
	v_cmpx_lt_u32_e32 0x3c7fffff, v2
	s_xor_b32 s4, exec_lo, s4
; %bb.87:
	v_bfe_u32 v3, v2, 20, 1
	s_delay_alu instid0(VALU_DEP_1) | instskip(NEXT) | instid1(VALU_DEP_1)
	v_add3_u32 v2, v2, v3, 0x407ffff
	v_and_b32_e32 v3, 0xff00000, v2
	v_lshrrev_b32_e32 v2, 20, v2
	s_delay_alu instid0(VALU_DEP_2) | instskip(NEXT) | instid1(VALU_DEP_2)
	v_cmp_ne_u32_e32 vcc_lo, 0x7f00000, v3
	v_cndmask_b32_e32 v4, 0x7e, v2, vcc_lo
                                        ; implicit-def: $vgpr2
; %bb.88:
	s_and_not1_saveexec_b32 s4, s4
; %bb.89:
	v_add_f32_e32 v4, 0x46800000, v2
; %bb.90:
	s_or_b32 exec_lo, exec_lo, s4
                                        ; implicit-def: $vgpr2
.LBB285_91:
	s_and_not1_saveexec_b32 s1, s1
; %bb.92:
	v_mov_b32_e32 v3, 0x7f
	v_cmp_lt_u32_e32 vcc_lo, 0x7f800000, v2
	s_delay_alu instid0(VALU_DEP_2)
	v_cndmask_b32_e32 v4, 0x7e, v3, vcc_lo
; %bb.93:
	s_or_b32 exec_lo, exec_lo, s1
	s_delay_alu instid0(SALU_CYCLE_1)
	s_or_b32 s3, s3, exec_lo
.LBB285_94:
	s_or_b32 exec_lo, exec_lo, s2
	s_delay_alu instid0(SALU_CYCLE_1)
	s_and_b32 s1, s3, exec_lo
                                        ; implicit-def: $vgpr6
                                        ; implicit-def: $vgpr2_vgpr3
	s_and_not1_saveexec_b32 s0, s0
	s_cbranch_execnz .LBB285_98
.LBB285_95:
	s_or_b32 exec_lo, exec_lo, s0
                                        ; implicit-def: $sgpr2
	s_and_saveexec_b32 s0, s1
	s_cbranch_execz .LBB285_227
.LBB285_96:
	s_wait_loadcnt_dscnt 0x0
	v_dual_lshlrev_b32 v1, 24, v1 :: v_dual_lshlrev_b32 v2, 24, v4
	s_delay_alu instid0(VALU_DEP_1) | instskip(NEXT) | instid1(VALU_DEP_2)
	v_and_b32_e32 v3, 0x7f000000, v1
	v_and_b32_e32 v4, 0x7f000000, v2
	s_delay_alu instid0(VALU_DEP_2) | instskip(NEXT) | instid1(VALU_DEP_2)
	v_clz_i32_u32_e32 v5, v3
	v_clz_i32_u32_e32 v6, v4
	v_cmp_ne_u32_e32 vcc_lo, 0, v3
	s_delay_alu instid0(VALU_DEP_3) | instskip(NEXT) | instid1(VALU_DEP_3)
	v_min_u32_e32 v5, 32, v5
	v_min_u32_e32 v6, 32, v6
	s_delay_alu instid0(VALU_DEP_2) | instskip(NEXT) | instid1(VALU_DEP_2)
	v_sub_nc_u32_e64 v5, v5, 4 clamp
	v_sub_nc_u32_e64 v6, v6, 4 clamp
	s_delay_alu instid0(VALU_DEP_1) | instskip(SKIP_1) | instid1(VALU_DEP_2)
	v_dual_lshlrev_b32 v7, v5, v3 :: v_dual_lshlrev_b32 v8, v6, v4
	v_dual_lshlrev_b32 v5, 23, v5 :: v_dual_lshlrev_b32 v6, 23, v6
	v_dual_lshrrev_b32 v7, 4, v7 :: v_dual_lshrrev_b32 v8, 4, v8
	s_delay_alu instid0(VALU_DEP_1) | instskip(SKIP_1) | instid1(VALU_DEP_2)
	v_dual_sub_nc_u32 v5, v7, v5 :: v_dual_sub_nc_u32 v6, v8, v6
	v_add_nc_u32_e32 v7, 0x1000000, v4
	v_add_nc_u32_e32 v5, 0x3c000000, v5
	s_delay_alu instid0(VALU_DEP_3) | instskip(NEXT) | instid1(VALU_DEP_3)
	v_add_nc_u32_e32 v6, 0x3c000000, v6
	v_ashrrev_i32_e32 v7, 8, v7
	s_delay_alu instid0(VALU_DEP_1) | instskip(SKIP_1) | instid1(VALU_DEP_1)
	v_and_or_b32 v6, 0x7f800000, v7, v6
	v_add_nc_u32_e32 v9, 0x1000000, v3
	v_ashrrev_i32_e32 v8, 8, v9
	s_delay_alu instid0(VALU_DEP_1) | instskip(NEXT) | instid1(VALU_DEP_1)
	v_and_or_b32 v5, 0x7f800000, v8, v5
	v_cndmask_b32_e32 v3, 0, v5, vcc_lo
	v_cmp_ne_u32_e32 vcc_lo, 0, v4
	s_delay_alu instid0(VALU_DEP_2) | instskip(SKIP_1) | instid1(VALU_DEP_1)
	v_and_or_b32 v1, 0x80000000, v1, v3
	v_cndmask_b32_e32 v4, 0, v6, vcc_lo
	v_and_or_b32 v2, 0x80000000, v2, v4
	s_delay_alu instid0(VALU_DEP_1) | instskip(SKIP_4) | instid1(VALU_DEP_2)
	v_cmp_eq_f32_e32 vcc_lo, v1, v2
	v_cndmask_b32_e64 v3, 0, 1, vcc_lo
	v_cmp_neq_f32_e32 vcc_lo, v1, v2
	v_cndmask_b32_e64 v1, 0, 1, vcc_lo
	v_cmp_eq_u32_e32 vcc_lo, 0, v0
	v_cndmask_b32_e32 v0, v1, v3, vcc_lo
	s_delay_alu instid0(VALU_DEP_1) | instskip(NEXT) | instid1(VALU_DEP_1)
	v_and_b32_e32 v0, 1, v0
	v_cmp_eq_u32_e64 s2, 1, v0
	s_or_b32 exec_lo, exec_lo, s0
	v_cndmask_b32_e64 v0, 0, 1, s2
	s_set_pc_i64 s[30:31]
.LBB285_97:
	s_and_not1_saveexec_b32 s0, s0
	s_cbranch_execz .LBB285_95
.LBB285_98:
	s_mov_b32 s2, exec_lo
                                        ; implicit-def: $vgpr4
	v_cmpx_lt_i16_e32 4, v6
	s_xor_b32 s2, exec_lo, s2
	s_cbranch_execz .LBB285_168
; %bb.99:
	s_mov_b32 s3, exec_lo
                                        ; implicit-def: $vgpr4
	v_cmpx_lt_i16_e32 7, v6
	s_xor_b32 s3, exec_lo, s3
	s_cbranch_execz .LBB285_133
; %bb.100:
	;; [unrolled: 6-line block ×4, first 2 shown]
	flat_load_b64 v[2:3], v[2:3]
	s_mov_b32 s6, exec_lo
	s_wait_loadcnt_dscnt 0x0
	v_cvt_f32_f64_e32 v2, v[2:3]
                                        ; implicit-def: $vgpr3
	s_delay_alu instid0(VALU_DEP_1) | instskip(NEXT) | instid1(VALU_DEP_1)
	v_and_b32_e32 v4, 0x7fffffff, v2
	v_cmpx_gt_u32_e32 0x43f00000, v4
	s_xor_b32 s6, exec_lo, s6
	s_cbranch_execz .LBB285_108
; %bb.103:
	s_mov_b32 s7, exec_lo
                                        ; implicit-def: $vgpr3
	v_cmpx_lt_u32_e32 0x3c7fffff, v4
	s_xor_b32 s7, exec_lo, s7
; %bb.104:
	v_bfe_u32 v3, v2, 20, 1
	s_delay_alu instid0(VALU_DEP_1) | instskip(NEXT) | instid1(VALU_DEP_1)
	v_add3_u32 v3, v2, v3, 0x407ffff
	v_and_b32_e32 v4, 0xff00000, v3
	v_lshrrev_b32_e32 v3, 20, v3
	s_delay_alu instid0(VALU_DEP_2) | instskip(NEXT) | instid1(VALU_DEP_2)
	v_cmp_ne_u32_e32 vcc_lo, 0x7f00000, v4
	v_cndmask_b32_e32 v3, 0x7e, v3, vcc_lo
; %bb.105:
	s_and_not1_saveexec_b32 s7, s7
; %bb.106:
	v_add_f32_e64 v3, 0x46800000, |v2|
; %bb.107:
	s_or_b32 exec_lo, exec_lo, s7
                                        ; implicit-def: $vgpr4
.LBB285_108:
	s_and_not1_saveexec_b32 s6, s6
; %bb.109:
	v_mov_b32_e32 v3, 0x7f
	v_cmp_lt_u32_e32 vcc_lo, 0x7f800000, v4
	s_delay_alu instid0(VALU_DEP_2)
	v_cndmask_b32_e32 v3, 0x7e, v3, vcc_lo
; %bb.110:
	s_or_b32 exec_lo, exec_lo, s6
	v_lshrrev_b32_e32 v2, 24, v2
	s_delay_alu instid0(VALU_DEP_1)
	v_and_or_b32 v4, 0x80, v2, v3
                                        ; implicit-def: $vgpr2_vgpr3
.LBB285_111:
	s_and_not1_saveexec_b32 s5, s5
	s_cbranch_execz .LBB285_121
; %bb.112:
	flat_load_b32 v2, v[2:3]
	s_mov_b32 s6, exec_lo
                                        ; implicit-def: $vgpr3
	s_wait_loadcnt_dscnt 0x0
	v_and_b32_e32 v4, 0x7fffffff, v2
	s_wait_xcnt 0x0
	s_delay_alu instid0(VALU_DEP_1)
	v_cmpx_gt_u32_e32 0x43f00000, v4
	s_xor_b32 s6, exec_lo, s6
	s_cbranch_execz .LBB285_118
; %bb.113:
	s_mov_b32 s7, exec_lo
                                        ; implicit-def: $vgpr3
	v_cmpx_lt_u32_e32 0x3c7fffff, v4
	s_xor_b32 s7, exec_lo, s7
; %bb.114:
	v_bfe_u32 v3, v2, 20, 1
	s_delay_alu instid0(VALU_DEP_1) | instskip(NEXT) | instid1(VALU_DEP_1)
	v_add3_u32 v3, v2, v3, 0x407ffff
	v_and_b32_e32 v4, 0xff00000, v3
	v_lshrrev_b32_e32 v3, 20, v3
	s_delay_alu instid0(VALU_DEP_2) | instskip(NEXT) | instid1(VALU_DEP_2)
	v_cmp_ne_u32_e32 vcc_lo, 0x7f00000, v4
	v_cndmask_b32_e32 v3, 0x7e, v3, vcc_lo
; %bb.115:
	s_and_not1_saveexec_b32 s7, s7
; %bb.116:
	v_add_f32_e64 v3, 0x46800000, |v2|
; %bb.117:
	s_or_b32 exec_lo, exec_lo, s7
                                        ; implicit-def: $vgpr4
.LBB285_118:
	s_and_not1_saveexec_b32 s6, s6
; %bb.119:
	v_mov_b32_e32 v3, 0x7f
	v_cmp_lt_u32_e32 vcc_lo, 0x7f800000, v4
	s_delay_alu instid0(VALU_DEP_2)
	v_cndmask_b32_e32 v3, 0x7e, v3, vcc_lo
; %bb.120:
	s_or_b32 exec_lo, exec_lo, s6
	v_lshrrev_b32_e32 v2, 24, v2
	s_delay_alu instid0(VALU_DEP_1)
	v_and_or_b32 v4, 0x80, v2, v3
.LBB285_121:
	s_or_b32 exec_lo, exec_lo, s5
                                        ; implicit-def: $vgpr2_vgpr3
.LBB285_122:
	s_and_not1_saveexec_b32 s4, s4
	s_cbranch_execz .LBB285_132
; %bb.123:
	flat_load_b32 v2, v[2:3]
	s_mov_b32 s5, exec_lo
                                        ; implicit-def: $vgpr3
	s_wait_loadcnt_dscnt 0x0
	v_cvt_f32_f16_e32 v2, v2
	s_delay_alu instid0(VALU_DEP_1) | instskip(NEXT) | instid1(VALU_DEP_1)
	v_and_b32_e32 v4, 0x7fffffff, v2
	v_cmpx_gt_u32_e32 0x43f00000, v4
	s_xor_b32 s5, exec_lo, s5
	s_cbranch_execz .LBB285_129
; %bb.124:
	s_mov_b32 s6, exec_lo
                                        ; implicit-def: $vgpr3
	v_cmpx_lt_u32_e32 0x3c7fffff, v4
	s_xor_b32 s6, exec_lo, s6
; %bb.125:
	v_bfe_u32 v3, v2, 20, 1
	s_delay_alu instid0(VALU_DEP_1) | instskip(NEXT) | instid1(VALU_DEP_1)
	v_add3_u32 v3, v2, v3, 0x407ffff
	v_and_b32_e32 v4, 0xff00000, v3
	v_lshrrev_b32_e32 v3, 20, v3
	s_delay_alu instid0(VALU_DEP_2) | instskip(NEXT) | instid1(VALU_DEP_2)
	v_cmp_ne_u32_e32 vcc_lo, 0x7f00000, v4
	v_cndmask_b32_e32 v3, 0x7e, v3, vcc_lo
; %bb.126:
	s_and_not1_saveexec_b32 s6, s6
; %bb.127:
	v_add_f32_e64 v3, 0x46800000, |v2|
; %bb.128:
	s_or_b32 exec_lo, exec_lo, s6
                                        ; implicit-def: $vgpr4
.LBB285_129:
	s_and_not1_saveexec_b32 s5, s5
; %bb.130:
	v_mov_b32_e32 v3, 0x7f
	v_cmp_lt_u32_e32 vcc_lo, 0x7f800000, v4
	s_delay_alu instid0(VALU_DEP_2)
	v_cndmask_b32_e32 v3, 0x7e, v3, vcc_lo
; %bb.131:
	s_or_b32 exec_lo, exec_lo, s5
	v_lshrrev_b32_e32 v2, 24, v2
	s_delay_alu instid0(VALU_DEP_1)
	v_and_or_b32 v4, 0x80, v2, v3
.LBB285_132:
	s_or_b32 exec_lo, exec_lo, s4
                                        ; implicit-def: $vgpr6
                                        ; implicit-def: $vgpr2_vgpr3
.LBB285_133:
	s_and_not1_saveexec_b32 s3, s3
	s_cbranch_execz .LBB285_167
; %bb.134:
	s_mov_b32 s4, exec_lo
                                        ; implicit-def: $vgpr4
	v_cmpx_lt_i16_e32 5, v6
	s_xor_b32 s4, exec_lo, s4
	s_cbranch_execz .LBB285_156
; %bb.135:
	s_mov_b32 s5, exec_lo
                                        ; implicit-def: $vgpr4
	v_cmpx_lt_i16_e32 6, v6
	s_xor_b32 s5, exec_lo, s5
	s_cbranch_execz .LBB285_145
; %bb.136:
	flat_load_b64 v[2:3], v[2:3]
	s_mov_b32 s6, exec_lo
	s_wait_loadcnt_dscnt 0x0
	v_cvt_f32_f64_e32 v2, v[2:3]
                                        ; implicit-def: $vgpr3
	s_delay_alu instid0(VALU_DEP_1) | instskip(NEXT) | instid1(VALU_DEP_1)
	v_and_b32_e32 v4, 0x7fffffff, v2
	v_cmpx_gt_u32_e32 0x43f00000, v4
	s_xor_b32 s6, exec_lo, s6
	s_cbranch_execz .LBB285_142
; %bb.137:
	s_mov_b32 s7, exec_lo
                                        ; implicit-def: $vgpr3
	v_cmpx_lt_u32_e32 0x3c7fffff, v4
	s_xor_b32 s7, exec_lo, s7
; %bb.138:
	v_bfe_u32 v3, v2, 20, 1
	s_delay_alu instid0(VALU_DEP_1) | instskip(NEXT) | instid1(VALU_DEP_1)
	v_add3_u32 v3, v2, v3, 0x407ffff
	v_and_b32_e32 v4, 0xff00000, v3
	v_lshrrev_b32_e32 v3, 20, v3
	s_delay_alu instid0(VALU_DEP_2) | instskip(NEXT) | instid1(VALU_DEP_2)
	v_cmp_ne_u32_e32 vcc_lo, 0x7f00000, v4
	v_cndmask_b32_e32 v3, 0x7e, v3, vcc_lo
; %bb.139:
	s_and_not1_saveexec_b32 s7, s7
; %bb.140:
	v_add_f32_e64 v3, 0x46800000, |v2|
; %bb.141:
	s_or_b32 exec_lo, exec_lo, s7
                                        ; implicit-def: $vgpr4
.LBB285_142:
	s_and_not1_saveexec_b32 s6, s6
; %bb.143:
	v_mov_b32_e32 v3, 0x7f
	v_cmp_lt_u32_e32 vcc_lo, 0x7f800000, v4
	s_delay_alu instid0(VALU_DEP_2)
	v_cndmask_b32_e32 v3, 0x7e, v3, vcc_lo
; %bb.144:
	s_or_b32 exec_lo, exec_lo, s6
	v_lshrrev_b32_e32 v2, 24, v2
	s_delay_alu instid0(VALU_DEP_1)
	v_and_or_b32 v4, 0x80, v2, v3
                                        ; implicit-def: $vgpr2_vgpr3
.LBB285_145:
	s_and_not1_saveexec_b32 s5, s5
	s_cbranch_execz .LBB285_155
; %bb.146:
	flat_load_b32 v2, v[2:3]
	s_mov_b32 s6, exec_lo
                                        ; implicit-def: $vgpr3
	s_wait_loadcnt_dscnt 0x0
	v_and_b32_e32 v4, 0x7fffffff, v2
	s_wait_xcnt 0x0
	s_delay_alu instid0(VALU_DEP_1)
	v_cmpx_gt_u32_e32 0x43f00000, v4
	s_xor_b32 s6, exec_lo, s6
	s_cbranch_execz .LBB285_152
; %bb.147:
	s_mov_b32 s7, exec_lo
                                        ; implicit-def: $vgpr3
	v_cmpx_lt_u32_e32 0x3c7fffff, v4
	s_xor_b32 s7, exec_lo, s7
; %bb.148:
	v_bfe_u32 v3, v2, 20, 1
	s_delay_alu instid0(VALU_DEP_1) | instskip(NEXT) | instid1(VALU_DEP_1)
	v_add3_u32 v3, v2, v3, 0x407ffff
	v_and_b32_e32 v4, 0xff00000, v3
	v_lshrrev_b32_e32 v3, 20, v3
	s_delay_alu instid0(VALU_DEP_2) | instskip(NEXT) | instid1(VALU_DEP_2)
	v_cmp_ne_u32_e32 vcc_lo, 0x7f00000, v4
	v_cndmask_b32_e32 v3, 0x7e, v3, vcc_lo
; %bb.149:
	s_and_not1_saveexec_b32 s7, s7
; %bb.150:
	v_add_f32_e64 v3, 0x46800000, |v2|
; %bb.151:
	s_or_b32 exec_lo, exec_lo, s7
                                        ; implicit-def: $vgpr4
.LBB285_152:
	s_and_not1_saveexec_b32 s6, s6
; %bb.153:
	v_mov_b32_e32 v3, 0x7f
	v_cmp_lt_u32_e32 vcc_lo, 0x7f800000, v4
	s_delay_alu instid0(VALU_DEP_2)
	v_cndmask_b32_e32 v3, 0x7e, v3, vcc_lo
; %bb.154:
	s_or_b32 exec_lo, exec_lo, s6
	v_lshrrev_b32_e32 v2, 24, v2
	s_delay_alu instid0(VALU_DEP_1)
	v_and_or_b32 v4, 0x80, v2, v3
.LBB285_155:
	s_or_b32 exec_lo, exec_lo, s5
                                        ; implicit-def: $vgpr2_vgpr3
.LBB285_156:
	s_and_not1_saveexec_b32 s4, s4
	s_cbranch_execz .LBB285_166
; %bb.157:
	flat_load_u16 v2, v[2:3]
	s_mov_b32 s5, exec_lo
                                        ; implicit-def: $vgpr3
	s_wait_loadcnt_dscnt 0x0
	v_cvt_f32_f16_e32 v2, v2
	s_delay_alu instid0(VALU_DEP_1) | instskip(NEXT) | instid1(VALU_DEP_1)
	v_and_b32_e32 v4, 0x7fffffff, v2
	v_cmpx_gt_u32_e32 0x43f00000, v4
	s_xor_b32 s5, exec_lo, s5
	s_cbranch_execz .LBB285_163
; %bb.158:
	s_mov_b32 s6, exec_lo
                                        ; implicit-def: $vgpr3
	v_cmpx_lt_u32_e32 0x3c7fffff, v4
	s_xor_b32 s6, exec_lo, s6
; %bb.159:
	v_bfe_u32 v3, v2, 20, 1
	s_delay_alu instid0(VALU_DEP_1) | instskip(NEXT) | instid1(VALU_DEP_1)
	v_add3_u32 v3, v2, v3, 0x407ffff
	v_and_b32_e32 v4, 0xff00000, v3
	v_lshrrev_b32_e32 v3, 20, v3
	s_delay_alu instid0(VALU_DEP_2) | instskip(NEXT) | instid1(VALU_DEP_2)
	v_cmp_ne_u32_e32 vcc_lo, 0x7f00000, v4
	v_cndmask_b32_e32 v3, 0x7e, v3, vcc_lo
; %bb.160:
	s_and_not1_saveexec_b32 s6, s6
; %bb.161:
	v_add_f32_e64 v3, 0x46800000, |v2|
; %bb.162:
	s_or_b32 exec_lo, exec_lo, s6
                                        ; implicit-def: $vgpr4
.LBB285_163:
	s_and_not1_saveexec_b32 s5, s5
; %bb.164:
	v_mov_b32_e32 v3, 0x7f
	v_cmp_lt_u32_e32 vcc_lo, 0x7f800000, v4
	s_delay_alu instid0(VALU_DEP_2)
	v_cndmask_b32_e32 v3, 0x7e, v3, vcc_lo
; %bb.165:
	s_or_b32 exec_lo, exec_lo, s5
	v_lshrrev_b32_e32 v2, 24, v2
	s_delay_alu instid0(VALU_DEP_1)
	v_and_or_b32 v4, 0x80, v2, v3
.LBB285_166:
	s_or_b32 exec_lo, exec_lo, s4
.LBB285_167:
	s_delay_alu instid0(SALU_CYCLE_1)
	s_or_b32 exec_lo, exec_lo, s3
                                        ; implicit-def: $vgpr6
                                        ; implicit-def: $vgpr2_vgpr3
.LBB285_168:
	s_and_not1_saveexec_b32 s2, s2
	s_cbranch_execz .LBB285_226
; %bb.169:
	s_mov_b32 s3, exec_lo
                                        ; implicit-def: $vgpr4
	v_cmpx_lt_i16_e32 1, v6
	s_xor_b32 s3, exec_lo, s3
	s_cbranch_execz .LBB285_203
; %bb.170:
	s_mov_b32 s4, exec_lo
                                        ; implicit-def: $vgpr4
	v_cmpx_lt_i16_e32 2, v6
	s_xor_b32 s4, exec_lo, s4
	;; [unrolled: 6-line block ×3, first 2 shown]
	s_cbranch_execz .LBB285_181
; %bb.172:
	flat_load_b64 v[2:3], v[2:3]
	s_mov_b32 s6, exec_lo
	s_wait_loadcnt_dscnt 0x0
	v_xor_b32_e32 v4, v2, v3
	v_cls_i32_e32 v5, v3
	s_delay_alu instid0(VALU_DEP_2) | instskip(NEXT) | instid1(VALU_DEP_1)
	v_ashrrev_i32_e32 v4, 31, v4
	v_add_nc_u32_e32 v4, 32, v4
	s_delay_alu instid0(VALU_DEP_1) | instskip(SKIP_1) | instid1(VALU_DEP_1)
	v_add_min_u32_e64 v4, v5, -1, v4
	s_wait_xcnt 0x0
	v_lshlrev_b64_e32 v[2:3], v4, v[2:3]
	s_delay_alu instid0(VALU_DEP_1) | instskip(NEXT) | instid1(VALU_DEP_1)
	v_min_u32_e32 v2, 1, v2
	v_dual_sub_nc_u32 v3, 32, v4 :: v_dual_bitop2_b32 v2, v3, v2 bitop3:0x54
	s_delay_alu instid0(VALU_DEP_1) | instskip(NEXT) | instid1(VALU_DEP_1)
	v_cvt_f32_i32_e32 v2, v2
	v_ldexp_f32 v2, v2, v3
                                        ; implicit-def: $vgpr3
	s_delay_alu instid0(VALU_DEP_1) | instskip(NEXT) | instid1(VALU_DEP_1)
	v_and_b32_e32 v4, 0x7fffffff, v2
	v_cmpx_gt_u32_e32 0x43f00000, v4
	s_xor_b32 s6, exec_lo, s6
	s_cbranch_execz .LBB285_178
; %bb.173:
	s_mov_b32 s7, exec_lo
                                        ; implicit-def: $vgpr3
	v_cmpx_lt_u32_e32 0x3c7fffff, v4
	s_xor_b32 s7, exec_lo, s7
; %bb.174:
	v_bfe_u32 v3, v2, 20, 1
	s_delay_alu instid0(VALU_DEP_1) | instskip(NEXT) | instid1(VALU_DEP_1)
	v_add3_u32 v3, v2, v3, 0x407ffff
	v_and_b32_e32 v4, 0xff00000, v3
	v_lshrrev_b32_e32 v3, 20, v3
	s_delay_alu instid0(VALU_DEP_2) | instskip(NEXT) | instid1(VALU_DEP_2)
	v_cmp_ne_u32_e32 vcc_lo, 0x7f00000, v4
	v_cndmask_b32_e32 v3, 0x7e, v3, vcc_lo
; %bb.175:
	s_and_not1_saveexec_b32 s7, s7
; %bb.176:
	v_add_f32_e64 v3, 0x46800000, |v2|
; %bb.177:
	s_or_b32 exec_lo, exec_lo, s7
                                        ; implicit-def: $vgpr4
.LBB285_178:
	s_and_not1_saveexec_b32 s6, s6
; %bb.179:
	v_mov_b32_e32 v3, 0x7f
	v_cmp_lt_u32_e32 vcc_lo, 0x7f800000, v4
	s_delay_alu instid0(VALU_DEP_2)
	v_cndmask_b32_e32 v3, 0x7e, v3, vcc_lo
; %bb.180:
	s_or_b32 exec_lo, exec_lo, s6
	v_lshrrev_b32_e32 v2, 24, v2
	s_delay_alu instid0(VALU_DEP_1)
	v_and_or_b32 v4, 0x80, v2, v3
                                        ; implicit-def: $vgpr2_vgpr3
.LBB285_181:
	s_and_not1_saveexec_b32 s5, s5
	s_cbranch_execz .LBB285_191
; %bb.182:
	flat_load_b32 v2, v[2:3]
	s_mov_b32 s6, exec_lo
                                        ; implicit-def: $vgpr3
	s_wait_loadcnt_dscnt 0x0
	v_cvt_f32_i32_e32 v2, v2
	s_delay_alu instid0(VALU_DEP_1) | instskip(NEXT) | instid1(VALU_DEP_1)
	v_and_b32_e32 v4, 0x7fffffff, v2
	v_cmpx_gt_u32_e32 0x43f00000, v4
	s_xor_b32 s6, exec_lo, s6
	s_cbranch_execz .LBB285_188
; %bb.183:
	s_mov_b32 s7, exec_lo
                                        ; implicit-def: $vgpr3
	v_cmpx_lt_u32_e32 0x3c7fffff, v4
	s_xor_b32 s7, exec_lo, s7
; %bb.184:
	v_bfe_u32 v3, v2, 20, 1
	s_delay_alu instid0(VALU_DEP_1) | instskip(NEXT) | instid1(VALU_DEP_1)
	v_add3_u32 v3, v2, v3, 0x407ffff
	v_and_b32_e32 v4, 0xff00000, v3
	v_lshrrev_b32_e32 v3, 20, v3
	s_delay_alu instid0(VALU_DEP_2) | instskip(NEXT) | instid1(VALU_DEP_2)
	v_cmp_ne_u32_e32 vcc_lo, 0x7f00000, v4
	v_cndmask_b32_e32 v3, 0x7e, v3, vcc_lo
; %bb.185:
	s_and_not1_saveexec_b32 s7, s7
; %bb.186:
	v_add_f32_e64 v3, 0x46800000, |v2|
; %bb.187:
	s_or_b32 exec_lo, exec_lo, s7
                                        ; implicit-def: $vgpr4
.LBB285_188:
	s_and_not1_saveexec_b32 s6, s6
; %bb.189:
	v_mov_b32_e32 v3, 0x7f
	v_cmp_lt_u32_e32 vcc_lo, 0x7f800000, v4
	s_delay_alu instid0(VALU_DEP_2)
	v_cndmask_b32_e32 v3, 0x7e, v3, vcc_lo
; %bb.190:
	s_or_b32 exec_lo, exec_lo, s6
	v_lshrrev_b32_e32 v2, 24, v2
	s_delay_alu instid0(VALU_DEP_1)
	v_and_or_b32 v4, 0x80, v2, v3
.LBB285_191:
	s_or_b32 exec_lo, exec_lo, s5
                                        ; implicit-def: $vgpr2_vgpr3
.LBB285_192:
	s_and_not1_saveexec_b32 s4, s4
	s_cbranch_execz .LBB285_202
; %bb.193:
	flat_load_i16 v2, v[2:3]
	s_mov_b32 s5, exec_lo
                                        ; implicit-def: $vgpr3
	s_wait_loadcnt_dscnt 0x0
	v_cvt_f32_i32_e32 v2, v2
	s_delay_alu instid0(VALU_DEP_1) | instskip(NEXT) | instid1(VALU_DEP_1)
	v_and_b32_e32 v4, 0x7fffffff, v2
	v_cmpx_gt_u32_e32 0x43f00000, v4
	s_xor_b32 s5, exec_lo, s5
	s_cbranch_execz .LBB285_199
; %bb.194:
	s_mov_b32 s6, exec_lo
                                        ; implicit-def: $vgpr3
	v_cmpx_lt_u32_e32 0x3c7fffff, v4
	s_xor_b32 s6, exec_lo, s6
; %bb.195:
	v_bfe_u32 v3, v2, 20, 1
	s_delay_alu instid0(VALU_DEP_1) | instskip(NEXT) | instid1(VALU_DEP_1)
	v_add3_u32 v3, v2, v3, 0x407ffff
	v_and_b32_e32 v4, 0xff00000, v3
	v_lshrrev_b32_e32 v3, 20, v3
	s_delay_alu instid0(VALU_DEP_2) | instskip(NEXT) | instid1(VALU_DEP_2)
	v_cmp_ne_u32_e32 vcc_lo, 0x7f00000, v4
	v_cndmask_b32_e32 v3, 0x7e, v3, vcc_lo
; %bb.196:
	s_and_not1_saveexec_b32 s6, s6
; %bb.197:
	v_add_f32_e64 v3, 0x46800000, |v2|
; %bb.198:
	s_or_b32 exec_lo, exec_lo, s6
                                        ; implicit-def: $vgpr4
.LBB285_199:
	s_and_not1_saveexec_b32 s5, s5
; %bb.200:
	v_mov_b32_e32 v3, 0x7f
	v_cmp_lt_u32_e32 vcc_lo, 0x7f800000, v4
	s_delay_alu instid0(VALU_DEP_2)
	v_cndmask_b32_e32 v3, 0x7e, v3, vcc_lo
; %bb.201:
	s_or_b32 exec_lo, exec_lo, s5
	v_lshrrev_b32_e32 v2, 24, v2
	s_delay_alu instid0(VALU_DEP_1)
	v_and_or_b32 v4, 0x80, v2, v3
.LBB285_202:
	s_or_b32 exec_lo, exec_lo, s4
                                        ; implicit-def: $vgpr6
                                        ; implicit-def: $vgpr2_vgpr3
.LBB285_203:
	s_and_not1_saveexec_b32 s3, s3
	s_cbranch_execz .LBB285_225
; %bb.204:
	s_mov_b32 s4, exec_lo
                                        ; implicit-def: $vgpr4
	v_cmpx_lt_i16_e32 0, v6
	s_xor_b32 s4, exec_lo, s4
	s_cbranch_execz .LBB285_214
; %bb.205:
	flat_load_i8 v2, v[2:3]
	s_mov_b32 s5, exec_lo
                                        ; implicit-def: $vgpr3
	s_wait_loadcnt_dscnt 0x0
	v_cvt_f32_i32_e32 v2, v2
	s_delay_alu instid0(VALU_DEP_1) | instskip(NEXT) | instid1(VALU_DEP_1)
	v_and_b32_e32 v4, 0x7fffffff, v2
	v_cmpx_gt_u32_e32 0x43f00000, v4
	s_xor_b32 s5, exec_lo, s5
	s_cbranch_execz .LBB285_211
; %bb.206:
	s_mov_b32 s6, exec_lo
                                        ; implicit-def: $vgpr3
	v_cmpx_lt_u32_e32 0x3c7fffff, v4
	s_xor_b32 s6, exec_lo, s6
; %bb.207:
	v_bfe_u32 v3, v2, 20, 1
	s_delay_alu instid0(VALU_DEP_1) | instskip(NEXT) | instid1(VALU_DEP_1)
	v_add3_u32 v3, v2, v3, 0x407ffff
	v_and_b32_e32 v4, 0xff00000, v3
	v_lshrrev_b32_e32 v3, 20, v3
	s_delay_alu instid0(VALU_DEP_2) | instskip(NEXT) | instid1(VALU_DEP_2)
	v_cmp_ne_u32_e32 vcc_lo, 0x7f00000, v4
	v_cndmask_b32_e32 v3, 0x7e, v3, vcc_lo
; %bb.208:
	s_and_not1_saveexec_b32 s6, s6
; %bb.209:
	v_add_f32_e64 v3, 0x46800000, |v2|
; %bb.210:
	s_or_b32 exec_lo, exec_lo, s6
                                        ; implicit-def: $vgpr4
.LBB285_211:
	s_and_not1_saveexec_b32 s5, s5
; %bb.212:
	v_mov_b32_e32 v3, 0x7f
	v_cmp_lt_u32_e32 vcc_lo, 0x7f800000, v4
	s_delay_alu instid0(VALU_DEP_2)
	v_cndmask_b32_e32 v3, 0x7e, v3, vcc_lo
; %bb.213:
	s_or_b32 exec_lo, exec_lo, s5
	v_lshrrev_b32_e32 v2, 24, v2
	s_delay_alu instid0(VALU_DEP_1)
	v_and_or_b32 v4, 0x80, v2, v3
                                        ; implicit-def: $vgpr2_vgpr3
.LBB285_214:
	s_and_not1_saveexec_b32 s4, s4
	s_cbranch_execz .LBB285_224
; %bb.215:
	flat_load_u8 v2, v[2:3]
	s_mov_b32 s5, exec_lo
                                        ; implicit-def: $vgpr4
	s_wait_loadcnt_dscnt 0x0
	v_cvt_f32_ubyte0_e32 v2, v2
	s_delay_alu instid0(VALU_DEP_1)
	v_cmpx_gt_u32_e32 0x43f00000, v2
	s_xor_b32 s5, exec_lo, s5
	s_cbranch_execz .LBB285_221
; %bb.216:
	s_mov_b32 s6, exec_lo
                                        ; implicit-def: $vgpr4
	v_cmpx_lt_u32_e32 0x3c7fffff, v2
	s_xor_b32 s6, exec_lo, s6
; %bb.217:
	v_bfe_u32 v3, v2, 20, 1
	s_delay_alu instid0(VALU_DEP_1) | instskip(NEXT) | instid1(VALU_DEP_1)
	v_add3_u32 v2, v2, v3, 0x407ffff
	v_and_b32_e32 v3, 0xff00000, v2
	v_lshrrev_b32_e32 v2, 20, v2
	s_delay_alu instid0(VALU_DEP_2) | instskip(NEXT) | instid1(VALU_DEP_2)
	v_cmp_ne_u32_e32 vcc_lo, 0x7f00000, v3
	v_cndmask_b32_e32 v4, 0x7e, v2, vcc_lo
                                        ; implicit-def: $vgpr2
; %bb.218:
	s_and_not1_saveexec_b32 s6, s6
; %bb.219:
	v_add_f32_e32 v4, 0x46800000, v2
; %bb.220:
	s_or_b32 exec_lo, exec_lo, s6
                                        ; implicit-def: $vgpr2
.LBB285_221:
	s_and_not1_saveexec_b32 s5, s5
; %bb.222:
	v_mov_b32_e32 v3, 0x7f
	v_cmp_lt_u32_e32 vcc_lo, 0x7f800000, v2
	s_delay_alu instid0(VALU_DEP_2)
	v_cndmask_b32_e32 v4, 0x7e, v3, vcc_lo
; %bb.223:
	s_or_b32 exec_lo, exec_lo, s5
.LBB285_224:
	s_delay_alu instid0(SALU_CYCLE_1)
	s_or_b32 exec_lo, exec_lo, s4
.LBB285_225:
	s_delay_alu instid0(SALU_CYCLE_1)
	s_or_b32 exec_lo, exec_lo, s3
.LBB285_226:
	s_delay_alu instid0(SALU_CYCLE_1) | instskip(NEXT) | instid1(SALU_CYCLE_1)
	s_or_b32 exec_lo, exec_lo, s2
	s_or_b32 s1, s1, exec_lo
	s_or_b32 exec_lo, exec_lo, s0
                                        ; implicit-def: $sgpr2
	s_and_saveexec_b32 s0, s1
	s_cbranch_execnz .LBB285_96
.LBB285_227:
	s_or_b32 exec_lo, exec_lo, s0
	v_cndmask_b32_e64 v0, 0, 1, s2
	s_wait_loadcnt_dscnt 0x0
	s_set_pc_i64 s[30:31]
.LBB285_228:
	s_and_not1_saveexec_b32 s2, s2
	s_cbranch_execz .LBB285_83
.LBB285_229:
	s_mov_b32 s5, s3
	s_mov_b32 s1, exec_lo
                                        ; implicit-def: $vgpr4
	v_cmpx_lt_i16_e32 22, v6
	s_xor_b32 s1, exec_lo, s1
	s_cbranch_execz .LBB285_261
; %bb.230:
	s_mov_b32 s5, exec_lo
                                        ; implicit-def: $vgpr4
	v_cmpx_lt_i16_e32 23, v6
	s_xor_b32 s5, exec_lo, s5
	s_cbranch_execz .LBB285_250
; %bb.231:
	;; [unrolled: 6-line block ×3, first 2 shown]
	flat_load_u8 v5, v[2:3]
	s_mov_b32 s7, 0
	s_mov_b32 s8, exec_lo
	s_wait_loadcnt_dscnt 0x0
	v_cmpx_lt_i16_e32 0x7f, v5
	s_xor_b32 s8, exec_lo, s8
	s_cbranch_execz .LBB285_281
; %bb.233:
	s_mov_b32 s7, -1
	s_mov_b32 s9, exec_lo
	v_cmpx_eq_u16_e32 0x80, v5
; %bb.234:
	s_xor_b32 s7, exec_lo, -1
; %bb.235:
	s_or_b32 exec_lo, exec_lo, s9
	s_delay_alu instid0(SALU_CYCLE_1)
	s_and_b32 s7, s7, exec_lo
	s_or_saveexec_b32 s8, s8
	v_mov_b32_e32 v4, 0x7f800001
	s_xor_b32 exec_lo, exec_lo, s8
	s_cbranch_execnz .LBB285_282
.LBB285_236:
	s_or_b32 exec_lo, exec_lo, s8
	s_and_saveexec_b32 s8, s7
	s_cbranch_execz .LBB285_238
.LBB285_237:
	v_and_b32_e32 v4, 0xffff, v5
	s_delay_alu instid0(VALU_DEP_1) | instskip(SKIP_1) | instid1(VALU_DEP_2)
	v_and_b32_e32 v6, 3, v4
	v_bfe_u32 v9, v4, 2, 5
	v_clz_i32_u32_e32 v7, v6
	s_delay_alu instid0(VALU_DEP_2) | instskip(NEXT) | instid1(VALU_DEP_2)
	v_cmp_eq_u32_e32 vcc_lo, 0, v9
	v_min_u32_e32 v7, 32, v7
	s_delay_alu instid0(VALU_DEP_1) | instskip(NEXT) | instid1(VALU_DEP_1)
	v_subrev_nc_u32_e32 v8, 29, v7
	v_dual_lshlrev_b32 v4, v8, v4 :: v_dual_sub_nc_u32 v7, 30, v7
	s_delay_alu instid0(VALU_DEP_1) | instskip(NEXT) | instid1(VALU_DEP_1)
	v_dual_lshlrev_b32 v5, 24, v5 :: v_dual_bitop2_b32 v4, 3, v4 bitop3:0x40
	v_dual_cndmask_b32 v7, v9, v7 :: v_dual_cndmask_b32 v4, v6, v4
	s_delay_alu instid0(VALU_DEP_2) | instskip(NEXT) | instid1(VALU_DEP_2)
	v_and_b32_e32 v5, 0x80000000, v5
	v_lshl_add_u32 v6, v7, 23, 0x37800000
	s_delay_alu instid0(VALU_DEP_3) | instskip(NEXT) | instid1(VALU_DEP_1)
	v_lshlrev_b32_e32 v4, 21, v4
	v_or3_b32 v4, v5, v6, v4
.LBB285_238:
	s_or_b32 exec_lo, exec_lo, s8
	s_delay_alu instid0(VALU_DEP_1) | instskip(SKIP_1) | instid1(VALU_DEP_1)
	v_and_b32_e32 v6, 0x7fffffff, v4
	s_mov_b32 s7, exec_lo
                                        ; implicit-def: $vgpr5
	v_cmpx_gt_u32_e32 0x43f00000, v6
	s_xor_b32 s7, exec_lo, s7
	s_cbranch_execz .LBB285_244
; %bb.239:
	s_mov_b32 s8, exec_lo
                                        ; implicit-def: $vgpr5
	v_cmpx_lt_u32_e32 0x3c7fffff, v6
	s_xor_b32 s8, exec_lo, s8
; %bb.240:
	v_bfe_u32 v5, v4, 20, 1
	s_delay_alu instid0(VALU_DEP_1) | instskip(NEXT) | instid1(VALU_DEP_1)
	v_add3_u32 v5, v4, v5, 0x407ffff
	v_and_b32_e32 v6, 0xff00000, v5
	v_lshrrev_b32_e32 v5, 20, v5
	s_delay_alu instid0(VALU_DEP_2) | instskip(NEXT) | instid1(VALU_DEP_2)
	v_cmp_ne_u32_e32 vcc_lo, 0x7f00000, v6
	v_cndmask_b32_e32 v5, 0x7e, v5, vcc_lo
; %bb.241:
	s_and_not1_saveexec_b32 s8, s8
; %bb.242:
	v_add_f32_e64 v5, 0x46800000, |v4|
; %bb.243:
	s_or_b32 exec_lo, exec_lo, s8
                                        ; implicit-def: $vgpr6
.LBB285_244:
	s_and_not1_saveexec_b32 s7, s7
; %bb.245:
	v_mov_b32_e32 v5, 0x7f
	v_cmp_lt_u32_e32 vcc_lo, 0x7f800000, v6
	s_delay_alu instid0(VALU_DEP_2)
	v_cndmask_b32_e32 v5, 0x7e, v5, vcc_lo
; %bb.246:
	s_or_b32 exec_lo, exec_lo, s7
	v_lshrrev_b32_e32 v4, 24, v4
	s_delay_alu instid0(VALU_DEP_1)
	v_and_or_b32 v4, 0x80, v4, v5
.LBB285_247:
	s_and_not1_saveexec_b32 s6, s6
	s_cbranch_execz .LBB285_249
; %bb.248:
	flat_load_u8 v4, v[2:3]
.LBB285_249:
	s_wait_xcnt 0x0
	s_or_b32 exec_lo, exec_lo, s6
.LBB285_250:
	s_and_not1_saveexec_b32 s5, s5
	s_cbranch_execz .LBB285_260
; %bb.251:
	s_wait_loadcnt_dscnt 0x0
	flat_load_u8 v4, v[2:3]
	s_mov_b32 s6, exec_lo
	s_wait_loadcnt_dscnt 0x0
	v_lshlrev_b32_e32 v5, 25, v4
	v_lshlrev_b16 v4, 8, v4
	s_delay_alu instid0(VALU_DEP_1) | instskip(SKIP_1) | instid1(VALU_DEP_2)
	v_and_or_b32 v7, 0x7f00, v4, 0.5
	v_bfe_i32 v4, v4, 0, 16
	v_dual_add_f32 v7, -0.5, v7 :: v_dual_lshrrev_b32 v6, 4, v5
	v_cmp_gt_u32_e32 vcc_lo, 0x8000000, v5
                                        ; implicit-def: $vgpr5
	s_delay_alu instid0(VALU_DEP_2) | instskip(NEXT) | instid1(VALU_DEP_1)
	v_or_b32_e32 v6, 0x70000000, v6
	v_mul_f32_e32 v6, 0x7800000, v6
	s_delay_alu instid0(VALU_DEP_1) | instskip(NEXT) | instid1(VALU_DEP_1)
	v_cndmask_b32_e32 v7, v6, v7, vcc_lo
	v_and_or_b32 v4, 0x80000000, v4, v7
	s_delay_alu instid0(VALU_DEP_1) | instskip(SKIP_1) | instid1(VALU_DEP_1)
	v_and_b32_e32 v6, 0x7fffffff, v4
	s_wait_xcnt 0x0
	v_cmpx_gt_u32_e32 0x43f00000, v6
	s_xor_b32 s6, exec_lo, s6
	s_cbranch_execz .LBB285_257
; %bb.252:
	s_mov_b32 s7, exec_lo
                                        ; implicit-def: $vgpr5
	v_cmpx_lt_u32_e32 0x3c7fffff, v6
	s_xor_b32 s7, exec_lo, s7
; %bb.253:
	v_bfe_u32 v5, v7, 20, 1
	s_delay_alu instid0(VALU_DEP_1) | instskip(NEXT) | instid1(VALU_DEP_1)
	v_add3_u32 v5, v4, v5, 0x407ffff
	v_and_b32_e32 v6, 0xff00000, v5
	v_lshrrev_b32_e32 v5, 20, v5
	s_delay_alu instid0(VALU_DEP_2) | instskip(NEXT) | instid1(VALU_DEP_2)
	v_cmp_ne_u32_e32 vcc_lo, 0x7f00000, v6
	v_cndmask_b32_e32 v5, 0x7e, v5, vcc_lo
; %bb.254:
	s_and_not1_saveexec_b32 s7, s7
; %bb.255:
	v_add_f32_e64 v5, 0x46800000, |v4|
; %bb.256:
	s_or_b32 exec_lo, exec_lo, s7
                                        ; implicit-def: $vgpr6
.LBB285_257:
	s_and_not1_saveexec_b32 s6, s6
; %bb.258:
	v_mov_b32_e32 v5, 0x7f
	v_cmp_lt_u32_e32 vcc_lo, 0x7f800000, v6
	s_delay_alu instid0(VALU_DEP_2)
	v_cndmask_b32_e32 v5, 0x7e, v5, vcc_lo
; %bb.259:
	s_or_b32 exec_lo, exec_lo, s6
	v_lshrrev_b32_e32 v4, 24, v4
	s_delay_alu instid0(VALU_DEP_1)
	v_and_or_b32 v4, 0x80, v4, v5
.LBB285_260:
	s_or_b32 exec_lo, exec_lo, s5
	s_delay_alu instid0(SALU_CYCLE_1)
	s_or_b32 s5, s3, exec_lo
                                        ; implicit-def: $vgpr6
.LBB285_261:
	s_or_saveexec_b32 s1, s1
	s_mov_b32 s6, 0
	s_mov_b32 s7, s4
	s_xor_b32 exec_lo, exec_lo, s1
	s_cbranch_execz .LBB285_277
; %bb.262:
	s_mov_b32 s7, s4
	s_mov_b32 s8, s5
	s_mov_b32 s6, exec_lo
                                        ; implicit-def: $vgpr4
	v_cmpx_lt_i16_e32 14, v6
	s_xor_b32 s6, exec_lo, s6
	s_cbranch_execz .LBB285_274
; %bb.263:
	s_mov_b32 s8, -1
	s_mov_b32 s9, s5
	s_mov_b32 s7, exec_lo
                                        ; implicit-def: $vgpr4
	v_cmpx_eq_u16_e32 15, v6
	s_cbranch_execz .LBB285_273
; %bb.264:
	s_wait_loadcnt_dscnt 0x0
	flat_load_u16 v4, v[2:3]
	s_mov_b32 s8, exec_lo
                                        ; implicit-def: $vgpr5
	s_wait_loadcnt_dscnt 0x0
	v_lshlrev_b32_e32 v6, 16, v4
	s_delay_alu instid0(VALU_DEP_1) | instskip(SKIP_1) | instid1(VALU_DEP_1)
	v_and_b32_e32 v7, 0x7fffffff, v6
	s_wait_xcnt 0x0
	v_cmpx_gt_u32_e32 0x43f00000, v7
	s_xor_b32 s8, exec_lo, s8
	s_cbranch_execz .LBB285_270
; %bb.265:
	s_mov_b32 s9, exec_lo
                                        ; implicit-def: $vgpr5
	v_cmpx_lt_u32_e32 0x3c7fffff, v7
	s_xor_b32 s9, exec_lo, s9
; %bb.266:
	v_bfe_u32 v5, v4, 4, 1
	s_delay_alu instid0(VALU_DEP_1) | instskip(NEXT) | instid1(VALU_DEP_1)
	v_add3_u32 v5, v6, v5, 0x407ffff
	v_and_b32_e32 v6, 0xff00000, v5
	v_lshrrev_b32_e32 v5, 20, v5
	s_delay_alu instid0(VALU_DEP_2) | instskip(NEXT) | instid1(VALU_DEP_2)
	v_cmp_ne_u32_e32 vcc_lo, 0x7f00000, v6
                                        ; implicit-def: $vgpr6
	v_cndmask_b32_e32 v5, 0x7e, v5, vcc_lo
; %bb.267:
	s_and_not1_saveexec_b32 s9, s9
; %bb.268:
	v_add_f32_e64 v5, 0x46800000, |v6|
; %bb.269:
	s_or_b32 exec_lo, exec_lo, s9
                                        ; implicit-def: $vgpr7
.LBB285_270:
	s_and_not1_saveexec_b32 s8, s8
; %bb.271:
	v_mov_b32_e32 v5, 0x7f
	v_cmp_lt_u32_e32 vcc_lo, 0x7f800000, v7
	s_delay_alu instid0(VALU_DEP_2)
	v_cndmask_b32_e32 v5, 0x7e, v5, vcc_lo
; %bb.272:
	s_or_b32 exec_lo, exec_lo, s8
	v_lshrrev_b32_e32 v4, 8, v4
	s_or_b32 s9, s5, exec_lo
	s_xor_b32 s8, exec_lo, -1
	s_delay_alu instid0(VALU_DEP_1)
	v_and_or_b32 v4, 0x80, v4, v5
.LBB285_273:
	s_or_b32 exec_lo, exec_lo, s7
	s_delay_alu instid0(SALU_CYCLE_1)
	s_and_not1_b32 s7, s5, exec_lo
	s_and_b32 s9, s9, exec_lo
	s_and_not1_b32 s10, s4, exec_lo
	s_and_b32 s11, s8, exec_lo
	s_or_b32 s8, s7, s9
	s_or_b32 s7, s10, s11
                                        ; implicit-def: $vgpr6
.LBB285_274:
	s_or_saveexec_b32 s6, s6
	s_mov_b32 s9, 0
	s_xor_b32 exec_lo, exec_lo, s6
; %bb.275:
	v_cmp_ne_u16_e32 vcc_lo, 11, v6
	s_and_not1_b32 s7, s7, exec_lo
	s_mov_b32 s9, exec_lo
	s_and_b32 s10, vcc_lo, exec_lo
	s_delay_alu instid0(SALU_CYCLE_1)
	s_or_b32 s7, s7, s10
; %bb.276:
	s_or_b32 exec_lo, exec_lo, s6
	s_delay_alu instid0(SALU_CYCLE_1)
	s_and_not1_b32 s5, s5, exec_lo
	s_and_b32 s6, s8, exec_lo
	s_and_not1_b32 s8, s4, exec_lo
	s_and_b32 s7, s7, exec_lo
	s_or_b32 s5, s5, s6
	s_and_b32 s6, s9, exec_lo
	s_or_b32 s7, s8, s7
.LBB285_277:
	s_or_b32 exec_lo, exec_lo, s1
	s_delay_alu instid0(SALU_CYCLE_1)
	s_and_not1_b32 s1, s3, exec_lo
	s_and_b32 s3, s5, exec_lo
	s_and_not1_b32 s4, s4, exec_lo
	s_and_b32 s5, s7, exec_lo
	s_or_b32 s3, s1, s3
	s_and_b32 s1, s6, exec_lo
	s_or_b32 s4, s4, s5
	s_or_b32 exec_lo, exec_lo, s2
	s_and_saveexec_b32 s2, s4
	s_cbranch_execz .LBB285_84
.LBB285_278:
	s_trap 2
	; divergent unreachable
	s_and_not1_b32 s1, s1, exec_lo
	s_or_b32 exec_lo, exec_lo, s2
	s_and_saveexec_b32 s2, s1
	s_cbranch_execnz .LBB285_85
	s_branch .LBB285_94
.LBB285_279:
	s_or_saveexec_b32 s8, s8
	v_mov_b32_e32 v4, 0x7f800001
	s_xor_b32 exec_lo, exec_lo, s8
	s_cbranch_execz .LBB285_70
.LBB285_280:
	v_cmp_ne_u16_e32 vcc_lo, 0, v5
	v_mov_b32_e32 v4, 0
	s_and_not1_b32 s7, s7, exec_lo
	s_and_b32 s9, vcc_lo, exec_lo
	s_delay_alu instid0(SALU_CYCLE_1)
	s_or_b32 s7, s7, s9
	s_or_b32 exec_lo, exec_lo, s8
	s_and_saveexec_b32 s8, s7
	s_cbranch_execnz .LBB285_71
	s_branch .LBB285_72
.LBB285_281:
	s_or_saveexec_b32 s8, s8
	v_mov_b32_e32 v4, 0x7f800001
	s_xor_b32 exec_lo, exec_lo, s8
	s_cbranch_execz .LBB285_236
.LBB285_282:
	v_cmp_ne_u16_e32 vcc_lo, 0, v5
	v_mov_b32_e32 v4, 0
	s_and_not1_b32 s7, s7, exec_lo
	s_and_b32 s9, vcc_lo, exec_lo
	s_delay_alu instid0(SALU_CYCLE_1)
	s_or_b32 s7, s7, s9
	s_or_b32 exec_lo, exec_lo, s8
	s_and_saveexec_b32 s8, s7
	s_cbranch_execnz .LBB285_237
	s_branch .LBB285_238
.Lfunc_end285:
	.size	_ZN2at6native6invokeINS0_13AUnaryFunctorIN3c1013Float8_e4m3fnES4_bNS0_12_GLOBAL__N_116CompareEqFunctorIS4_EEEEj15function_traitsIS8_EEENT1_11result_typeERKT_PrKPcPKT0_PKNS3_10ScalarTypeEi, .Lfunc_end285-_ZN2at6native6invokeINS0_13AUnaryFunctorIN3c1013Float8_e4m3fnES4_bNS0_12_GLOBAL__N_116CompareEqFunctorIS4_EEEEj15function_traitsIS8_EEENT1_11result_typeERKT_PrKPcPKT0_PKNS3_10ScalarTypeEi
                                        ; -- End function
	.set .L_ZN2at6native6invokeINS0_13AUnaryFunctorIN3c1013Float8_e4m3fnES4_bNS0_12_GLOBAL__N_116CompareEqFunctorIS4_EEEEj15function_traitsIS8_EEENT1_11result_typeERKT_PrKPcPKT0_PKNS3_10ScalarTypeEi.num_vgpr, 10
	.set .L_ZN2at6native6invokeINS0_13AUnaryFunctorIN3c1013Float8_e4m3fnES4_bNS0_12_GLOBAL__N_116CompareEqFunctorIS4_EEEEj15function_traitsIS8_EEENT1_11result_typeERKT_PrKPcPKT0_PKNS3_10ScalarTypeEi.num_agpr, 0
	.set .L_ZN2at6native6invokeINS0_13AUnaryFunctorIN3c1013Float8_e4m3fnES4_bNS0_12_GLOBAL__N_116CompareEqFunctorIS4_EEEEj15function_traitsIS8_EEENT1_11result_typeERKT_PrKPcPKT0_PKNS3_10ScalarTypeEi.numbered_sgpr, 32
	.set .L_ZN2at6native6invokeINS0_13AUnaryFunctorIN3c1013Float8_e4m3fnES4_bNS0_12_GLOBAL__N_116CompareEqFunctorIS4_EEEEj15function_traitsIS8_EEENT1_11result_typeERKT_PrKPcPKT0_PKNS3_10ScalarTypeEi.num_named_barrier, 0
	.set .L_ZN2at6native6invokeINS0_13AUnaryFunctorIN3c1013Float8_e4m3fnES4_bNS0_12_GLOBAL__N_116CompareEqFunctorIS4_EEEEj15function_traitsIS8_EEENT1_11result_typeERKT_PrKPcPKT0_PKNS3_10ScalarTypeEi.private_seg_size, 0
	.set .L_ZN2at6native6invokeINS0_13AUnaryFunctorIN3c1013Float8_e4m3fnES4_bNS0_12_GLOBAL__N_116CompareEqFunctorIS4_EEEEj15function_traitsIS8_EEENT1_11result_typeERKT_PrKPcPKT0_PKNS3_10ScalarTypeEi.uses_vcc, 1
	.set .L_ZN2at6native6invokeINS0_13AUnaryFunctorIN3c1013Float8_e4m3fnES4_bNS0_12_GLOBAL__N_116CompareEqFunctorIS4_EEEEj15function_traitsIS8_EEENT1_11result_typeERKT_PrKPcPKT0_PKNS3_10ScalarTypeEi.uses_flat_scratch, 0
	.set .L_ZN2at6native6invokeINS0_13AUnaryFunctorIN3c1013Float8_e4m3fnES4_bNS0_12_GLOBAL__N_116CompareEqFunctorIS4_EEEEj15function_traitsIS8_EEENT1_11result_typeERKT_PrKPcPKT0_PKNS3_10ScalarTypeEi.has_dyn_sized_stack, 0
	.set .L_ZN2at6native6invokeINS0_13AUnaryFunctorIN3c1013Float8_e4m3fnES4_bNS0_12_GLOBAL__N_116CompareEqFunctorIS4_EEEEj15function_traitsIS8_EEENT1_11result_typeERKT_PrKPcPKT0_PKNS3_10ScalarTypeEi.has_recursion, 0
	.set .L_ZN2at6native6invokeINS0_13AUnaryFunctorIN3c1013Float8_e4m3fnES4_bNS0_12_GLOBAL__N_116CompareEqFunctorIS4_EEEEj15function_traitsIS8_EEENT1_11result_typeERKT_PrKPcPKT0_PKNS3_10ScalarTypeEi.has_indirect_call, 0
	.section	.AMDGPU.csdata,"",@progbits
; Function info:
; codeLenInByte = 6380
; TotalNumSgprs: 34
; NumVgprs: 10
; ScratchSize: 0
; MemoryBound: 0
	.section	.text._ZN2at6native32elementwise_kernel_manual_unrollILi128ELi4EZNS0_15gpu_kernel_implINS0_13AUnaryFunctorIN3c1013Float8_e4m3fnES5_bNS0_12_GLOBAL__N_116CompareEqFunctorIS5_EEEEEEvRNS_18TensorIteratorBaseERKT_EUlibE0_EEviT1_,"axG",@progbits,_ZN2at6native32elementwise_kernel_manual_unrollILi128ELi4EZNS0_15gpu_kernel_implINS0_13AUnaryFunctorIN3c1013Float8_e4m3fnES5_bNS0_12_GLOBAL__N_116CompareEqFunctorIS5_EEEEEEvRNS_18TensorIteratorBaseERKT_EUlibE0_EEviT1_,comdat
	.globl	_ZN2at6native32elementwise_kernel_manual_unrollILi128ELi4EZNS0_15gpu_kernel_implINS0_13AUnaryFunctorIN3c1013Float8_e4m3fnES5_bNS0_12_GLOBAL__N_116CompareEqFunctorIS5_EEEEEEvRNS_18TensorIteratorBaseERKT_EUlibE0_EEviT1_ ; -- Begin function _ZN2at6native32elementwise_kernel_manual_unrollILi128ELi4EZNS0_15gpu_kernel_implINS0_13AUnaryFunctorIN3c1013Float8_e4m3fnES5_bNS0_12_GLOBAL__N_116CompareEqFunctorIS5_EEEEEEvRNS_18TensorIteratorBaseERKT_EUlibE0_EEviT1_
	.p2align	8
	.type	_ZN2at6native32elementwise_kernel_manual_unrollILi128ELi4EZNS0_15gpu_kernel_implINS0_13AUnaryFunctorIN3c1013Float8_e4m3fnES5_bNS0_12_GLOBAL__N_116CompareEqFunctorIS5_EEEEEEvRNS_18TensorIteratorBaseERKT_EUlibE0_EEviT1_,@function
_ZN2at6native32elementwise_kernel_manual_unrollILi128ELi4EZNS0_15gpu_kernel_implINS0_13AUnaryFunctorIN3c1013Float8_e4m3fnES5_bNS0_12_GLOBAL__N_116CompareEqFunctorIS5_EEEEEEvRNS_18TensorIteratorBaseERKT_EUlibE0_EEviT1_: ; @_ZN2at6native32elementwise_kernel_manual_unrollILi128ELi4EZNS0_15gpu_kernel_implINS0_13AUnaryFunctorIN3c1013Float8_e4m3fnES5_bNS0_12_GLOBAL__N_116CompareEqFunctorIS5_EEEEEEvRNS_18TensorIteratorBaseERKT_EUlibE0_EEviT1_
; %bb.0:
	s_clause 0x1
	s_load_b32 s27, s[0:1], 0x8
	s_load_b32 s46, s[0:1], 0x0
	s_bfe_u32 s2, ttmp6, 0x4000c
	s_and_b32 s3, ttmp6, 15
	s_add_co_i32 s2, s2, 1
	s_getreg_b32 s4, hwreg(HW_REG_IB_STS2, 6, 4)
	s_mul_i32 s2, ttmp9, s2
	s_mov_b32 s42, 0
	s_add_co_i32 s3, s3, s2
	s_cmp_eq_u32 s4, 0
	s_add_nc_u64 s[28:29], s[0:1], 8
	s_cselect_b32 s2, ttmp9, s3
	s_mov_b32 s3, -1
	v_lshl_or_b32 v10, s2, 9, v0
	s_mov_b32 s15, 0
	s_mov_b32 s32, 0
	s_wait_xcnt 0x0
	s_mov_b32 s0, exec_lo
	v_or_b32_e32 v2, 0x180, v10
	s_wait_kmcnt 0x0
	s_add_co_i32 s33, s27, -1
	s_delay_alu instid0(SALU_CYCLE_1)
	s_cmp_gt_u32 s33, 1
	s_cselect_b32 s43, -1, 0
	v_cmpx_le_i32_e64 s46, v2
	s_xor_b32 s44, exec_lo, s0
	s_cbranch_execz .LBB286_570
; %bb.1:
	s_clause 0x4
	s_load_b128 s[16:19], s[28:29], 0x4
	s_load_b64 s[36:37], s[28:29], 0x14
	s_load_b96 s[24:26], s[28:29], 0x158
	s_load_b128 s[20:23], s[28:29], 0xc4
	s_load_b128 s[12:15], s[28:29], 0x148
	s_cmp_lg_u32 s27, 0
	s_mov_b32 s35, 0
	s_cselect_b32 s48, -1, 0
	s_min_u32 s47, s33, 15
	s_cmp_gt_u32 s27, 1
	s_add_nc_u64 s[40:41], s[28:29], 0xc4
	s_mov_b32 s39, s35
	s_cselect_b32 s45, -1, 0
	s_mov_b32 s49, exec_lo
	s_wait_kmcnt 0x0
	s_mov_b32 s34, s17
	s_mov_b32 s38, s36
	s_bfe_u32 s17, s26, 0x80008
	s_mov_b32 s36, s35
	v_cmpx_gt_i32_e64 s46, v10
	s_cbranch_execz .LBB286_138
; %bb.2:
	s_and_not1_b32 vcc_lo, exec_lo, s43
	s_cbranch_vccnz .LBB286_7
; %bb.3:
	s_and_not1_b32 vcc_lo, exec_lo, s48
	s_cbranch_vccnz .LBB286_8
; %bb.4:
	s_add_co_i32 s1, s47, 1
	s_cmp_eq_u32 s33, 2
	s_cbranch_scc1 .LBB286_9
; %bb.5:
	v_dual_mov_b32 v12, 0 :: v_dual_mov_b32 v13, 0
	v_mov_b32_e32 v0, v10
	s_and_b32 s0, s1, 28
	s_mov_b32 s6, 0
	s_mov_b64 s[2:3], s[28:29]
	s_mov_b64 s[4:5], s[40:41]
.LBB286_6:                              ; =>This Inner Loop Header: Depth=1
	s_clause 0x1
	s_load_b256 s[52:59], s[2:3], 0x4
	s_load_b128 s[8:11], s[2:3], 0x24
	s_load_b256 s[60:67], s[4:5], 0x0
	s_add_co_i32 s6, s6, 4
	s_wait_xcnt 0x0
	s_add_nc_u64 s[2:3], s[2:3], 48
	s_cmp_lg_u32 s0, s6
	s_add_nc_u64 s[4:5], s[4:5], 32
	s_wait_kmcnt 0x0
	v_mul_hi_u32 v1, s53, v0
	s_delay_alu instid0(VALU_DEP_1) | instskip(NEXT) | instid1(VALU_DEP_1)
	v_add_nc_u32_e32 v1, v0, v1
	v_lshrrev_b32_e32 v1, s54, v1
	s_delay_alu instid0(VALU_DEP_1) | instskip(NEXT) | instid1(VALU_DEP_1)
	v_mul_hi_u32 v2, s56, v1
	v_add_nc_u32_e32 v2, v1, v2
	s_delay_alu instid0(VALU_DEP_1) | instskip(NEXT) | instid1(VALU_DEP_1)
	v_lshrrev_b32_e32 v2, s57, v2
	v_mul_hi_u32 v3, s59, v2
	s_delay_alu instid0(VALU_DEP_1) | instskip(SKIP_1) | instid1(VALU_DEP_1)
	v_add_nc_u32_e32 v3, v2, v3
	v_mul_lo_u32 v4, v1, s52
	v_sub_nc_u32_e32 v0, v0, v4
	v_mul_lo_u32 v4, v2, s55
	s_delay_alu instid0(VALU_DEP_4) | instskip(NEXT) | instid1(VALU_DEP_3)
	v_lshrrev_b32_e32 v3, s8, v3
	v_mad_u32 v6, v0, s61, v13
	v_mad_u32 v0, v0, s60, v12
	s_delay_alu instid0(VALU_DEP_4) | instskip(NEXT) | instid1(VALU_DEP_4)
	v_sub_nc_u32_e32 v1, v1, v4
	v_mul_hi_u32 v5, s10, v3
	v_mul_lo_u32 v4, v3, s58
	s_delay_alu instid0(VALU_DEP_3) | instskip(SKIP_1) | instid1(VALU_DEP_3)
	v_mad_u32 v6, v1, s63, v6
	v_mad_u32 v1, v1, s62, v0
	v_dual_add_nc_u32 v5, v3, v5 :: v_dual_sub_nc_u32 v2, v2, v4
	s_delay_alu instid0(VALU_DEP_1) | instskip(NEXT) | instid1(VALU_DEP_2)
	v_lshrrev_b32_e32 v0, s11, v5
	v_mad_u32 v5, v2, s65, v6
	s_delay_alu instid0(VALU_DEP_4) | instskip(NEXT) | instid1(VALU_DEP_3)
	v_mad_u32 v1, v2, s64, v1
	v_mul_lo_u32 v4, v0, s9
	s_delay_alu instid0(VALU_DEP_1) | instskip(NEXT) | instid1(VALU_DEP_1)
	v_sub_nc_u32_e32 v2, v3, v4
	v_mad_u32 v13, v2, s67, v5
	s_delay_alu instid0(VALU_DEP_4)
	v_mad_u32 v12, v2, s66, v1
	s_cbranch_scc1 .LBB286_6
	s_branch .LBB286_10
.LBB286_7:
                                        ; implicit-def: $vgpr13
	s_branch .LBB286_14
.LBB286_8:
	v_dual_mov_b32 v13, 0 :: v_dual_mov_b32 v12, 0
	s_branch .LBB286_13
.LBB286_9:
	v_mov_b64_e32 v[12:13], 0
	v_mov_b32_e32 v0, v10
	s_mov_b32 s0, 0
.LBB286_10:
	s_and_b32 s4, s1, 3
	s_mov_b32 s1, 0
	s_cmp_eq_u32 s4, 0
	s_cbranch_scc1 .LBB286_13
; %bb.11:
	s_lshl_b32 s2, s0, 3
	s_mov_b32 s3, s1
	s_mul_u64 s[6:7], s[0:1], 12
	s_add_nc_u64 s[2:3], s[28:29], s[2:3]
	s_delay_alu instid0(SALU_CYCLE_1)
	s_add_nc_u64 s[0:1], s[2:3], 0xc4
	s_add_nc_u64 s[2:3], s[28:29], s[6:7]
.LBB286_12:                             ; =>This Inner Loop Header: Depth=1
	s_load_b96 s[8:10], s[2:3], 0x4
	s_load_b64 s[6:7], s[0:1], 0x0
	s_add_co_i32 s4, s4, -1
	s_wait_xcnt 0x0
	s_add_nc_u64 s[2:3], s[2:3], 12
	s_cmp_lg_u32 s4, 0
	s_add_nc_u64 s[0:1], s[0:1], 8
	s_wait_kmcnt 0x0
	v_mul_hi_u32 v1, s9, v0
	s_delay_alu instid0(VALU_DEP_1) | instskip(NEXT) | instid1(VALU_DEP_1)
	v_add_nc_u32_e32 v1, v0, v1
	v_lshrrev_b32_e32 v1, s10, v1
	s_delay_alu instid0(VALU_DEP_1) | instskip(NEXT) | instid1(VALU_DEP_1)
	v_mul_lo_u32 v2, v1, s8
	v_sub_nc_u32_e32 v0, v0, v2
	s_delay_alu instid0(VALU_DEP_1)
	v_mad_u32 v13, v0, s7, v13
	v_mad_u32 v12, v0, s6, v12
	v_mov_b32_e32 v0, v1
	s_cbranch_scc1 .LBB286_12
.LBB286_13:
	s_cbranch_execnz .LBB286_16
.LBB286_14:
	v_mov_b32_e32 v11, 0
	s_and_not1_b32 vcc_lo, exec_lo, s45
	s_delay_alu instid0(VALU_DEP_1) | instskip(NEXT) | instid1(VALU_DEP_1)
	v_mul_u64_e32 v[0:1], s[34:35], v[10:11]
	v_add_nc_u32_e32 v0, v10, v1
	s_delay_alu instid0(VALU_DEP_1) | instskip(NEXT) | instid1(VALU_DEP_1)
	v_lshrrev_b32_e32 v0, s18, v0
	v_mul_lo_u32 v1, v0, s16
	s_delay_alu instid0(VALU_DEP_1) | instskip(NEXT) | instid1(VALU_DEP_1)
	v_sub_nc_u32_e32 v1, v10, v1
	v_mul_lo_u32 v13, v1, s21
	v_mul_lo_u32 v12, v1, s20
	s_cbranch_vccnz .LBB286_16
; %bb.15:
	v_mov_b32_e32 v1, v11
	s_delay_alu instid0(VALU_DEP_1) | instskip(NEXT) | instid1(VALU_DEP_1)
	v_mul_u64_e32 v[2:3], s[38:39], v[0:1]
	v_add_nc_u32_e32 v1, v0, v3
	s_delay_alu instid0(VALU_DEP_1) | instskip(NEXT) | instid1(VALU_DEP_1)
	v_lshrrev_b32_e32 v1, s37, v1
	v_mul_lo_u32 v1, v1, s19
	s_delay_alu instid0(VALU_DEP_1) | instskip(NEXT) | instid1(VALU_DEP_1)
	v_sub_nc_u32_e32 v0, v0, v1
	v_mad_u32 v12, v0, s22, v12
	v_mad_u32 v13, v0, s23, v13
.LBB286_16:
	v_dual_mov_b32 v0, s24 :: v_dual_mov_b32 v1, s25
	v_dual_mov_b32 v2, s14 :: v_dual_mov_b32 v3, s15
	s_delay_alu instid0(VALU_DEP_3) | instskip(SKIP_2) | instid1(SALU_CYCLE_1)
	v_dual_mov_b32 v4, v13 :: v_dual_mov_b32 v5, s17
	s_get_pc_i64 s[0:1]
	s_add_nc_u64 s[0:1], s[0:1], _ZN2at6native6invokeINS0_13AUnaryFunctorIN3c1013Float8_e4m3fnES4_bNS0_12_GLOBAL__N_116CompareEqFunctorIS4_EEEEj15function_traitsIS8_EEENT1_11result_typeERKT_PrKPcPKT0_PKNS3_10ScalarTypeEi@rel64+4
	s_swap_pc_i64 s[30:31], s[0:1]
	v_dual_mov_b32 v13, 0 :: v_dual_bitop2_b32 v0, 1, v0 bitop3:0x40
	s_and_b32 s2, s26, 0xff
	s_delay_alu instid0(SALU_CYCLE_1) | instskip(NEXT) | instid1(VALU_DEP_1)
	s_cmp_lt_i32 s2, 11
	v_cmp_eq_u32_e64 s0, 1, v0
	s_delay_alu instid0(VALU_DEP_2)
	v_add_nc_u64_e32 v[0:1], s[12:13], v[12:13]
	s_cbranch_scc1 .LBB286_23
; %bb.17:
	s_and_b32 s3, 0xffff, s2
	s_delay_alu instid0(SALU_CYCLE_1)
	s_cmp_gt_i32 s3, 25
	s_cbranch_scc0 .LBB286_26
; %bb.18:
	s_cmp_gt_i32 s3, 28
	s_cbranch_scc0 .LBB286_27
; %bb.19:
	;; [unrolled: 3-line block ×4, first 2 shown]
	s_mov_b32 s5, 0
	s_mov_b32 s1, -1
	s_cmp_eq_u32 s3, 46
	s_mov_b32 s4, 0
	s_cbranch_scc0 .LBB286_30
; %bb.22:
	v_cndmask_b32_e64 v2, 0, 1.0, s0
	s_mov_b32 s4, -1
	s_mov_b32 s1, 0
	s_delay_alu instid0(VALU_DEP_1) | instskip(NEXT) | instid1(VALU_DEP_1)
	v_bfe_u32 v3, v2, 16, 1
	v_add3_u32 v2, v2, v3, 0x7fff
	s_delay_alu instid0(VALU_DEP_1)
	v_lshrrev_b32_e32 v2, 16, v2
	global_store_b32 v[0:1], v2, off
	s_branch .LBB286_30
.LBB286_23:
	s_mov_b32 s1, 0
	s_mov_b32 s4, 0
	s_cbranch_execnz .LBB286_98
.LBB286_24:
	s_and_not1_b32 vcc_lo, exec_lo, s4
	s_cbranch_vccnz .LBB286_136
.LBB286_25:
	v_add_nc_u32_e32 v10, 0x80, v10
	s_mov_b32 s0, -1
	s_branch .LBB286_137
.LBB286_26:
	s_mov_b32 s1, 0
	s_mov_b32 s4, 0
	s_cbranch_execnz .LBB286_57
	s_branch .LBB286_97
.LBB286_27:
	s_mov_b32 s5, -1
	s_mov_b32 s1, 0
	s_mov_b32 s4, 0
	s_branch .LBB286_40
.LBB286_28:
	s_mov_b32 s5, -1
	s_mov_b32 s1, 0
	s_mov_b32 s4, 0
	s_branch .LBB286_36
.LBB286_29:
	s_mov_b32 s5, -1
	s_mov_b32 s1, 0
	s_mov_b32 s4, 0
.LBB286_30:
	s_and_b32 vcc_lo, exec_lo, s5
	s_cbranch_vccz .LBB286_35
; %bb.31:
	s_cmp_eq_u32 s3, 44
	s_mov_b32 s1, -1
	s_cbranch_scc0 .LBB286_35
; %bb.32:
	v_cndmask_b32_e64 v4, 0, 1.0, s0
	s_mov_b32 s4, exec_lo
	s_wait_xcnt 0x0
	s_delay_alu instid0(VALU_DEP_1) | instskip(NEXT) | instid1(VALU_DEP_1)
	v_dual_mov_b32 v3, 0xff :: v_dual_lshrrev_b32 v2, 23, v4
	v_cmpx_ne_u32_e32 0xff, v2
; %bb.33:
	v_and_b32_e32 v3, 0x400000, v4
	v_and_or_b32 v4, 0x3fffff, v4, v2
	s_delay_alu instid0(VALU_DEP_2) | instskip(NEXT) | instid1(VALU_DEP_2)
	v_cmp_ne_u32_e32 vcc_lo, 0, v3
	v_cmp_ne_u32_e64 s1, 0, v4
	s_and_b32 s1, vcc_lo, s1
	s_delay_alu instid0(SALU_CYCLE_1) | instskip(NEXT) | instid1(VALU_DEP_1)
	v_cndmask_b32_e64 v3, 0, 1, s1
	v_add_nc_u32_e32 v3, v2, v3
; %bb.34:
	s_or_b32 exec_lo, exec_lo, s4
	s_mov_b32 s4, -1
	s_mov_b32 s1, 0
	global_store_b8 v[0:1], v3, off
.LBB286_35:
	s_mov_b32 s5, 0
.LBB286_36:
	s_delay_alu instid0(SALU_CYCLE_1)
	s_and_b32 vcc_lo, exec_lo, s5
	s_cbranch_vccz .LBB286_39
; %bb.37:
	s_cmp_eq_u32 s3, 29
	s_mov_b32 s1, -1
	s_cbranch_scc0 .LBB286_39
; %bb.38:
	s_mov_b32 s1, 0
	s_wait_xcnt 0x0
	v_cndmask_b32_e64 v2, 0, 1, s0
	v_mov_b32_e32 v3, s1
	s_mov_b32 s4, -1
	s_mov_b32 s5, 0
	global_store_b64 v[0:1], v[2:3], off
	s_branch .LBB286_40
.LBB286_39:
	s_mov_b32 s5, 0
.LBB286_40:
	s_delay_alu instid0(SALU_CYCLE_1)
	s_and_b32 vcc_lo, exec_lo, s5
	s_cbranch_vccz .LBB286_56
; %bb.41:
	s_cmp_lt_i32 s3, 27
	s_mov_b32 s4, -1
	s_cbranch_scc1 .LBB286_47
; %bb.42:
	s_cmp_gt_i32 s3, 27
	s_cbranch_scc0 .LBB286_44
; %bb.43:
	s_wait_xcnt 0x0
	v_cndmask_b32_e64 v2, 0, 1, s0
	s_mov_b32 s4, 0
	global_store_b32 v[0:1], v2, off
.LBB286_44:
	s_and_not1_b32 vcc_lo, exec_lo, s4
	s_cbranch_vccnz .LBB286_46
; %bb.45:
	s_wait_xcnt 0x0
	v_cndmask_b32_e64 v2, 0, 1, s0
	global_store_b16 v[0:1], v2, off
.LBB286_46:
	s_mov_b32 s4, 0
.LBB286_47:
	s_delay_alu instid0(SALU_CYCLE_1)
	s_and_not1_b32 vcc_lo, exec_lo, s4
	s_cbranch_vccnz .LBB286_55
; %bb.48:
	s_wait_xcnt 0x0
	v_cndmask_b32_e64 v3, 0, 1.0, s0
	v_mov_b32_e32 v4, 0x80
	s_mov_b32 s4, exec_lo
	s_delay_alu instid0(VALU_DEP_2)
	v_cmpx_gt_u32_e32 0x43800000, v3
	s_cbranch_execz .LBB286_54
; %bb.49:
	s_mov_b32 s5, 0
	s_mov_b32 s6, exec_lo
                                        ; implicit-def: $vgpr2
	v_cmpx_lt_u32_e32 0x3bffffff, v3
	s_xor_b32 s6, exec_lo, s6
	s_cbranch_execz .LBB286_169
; %bb.50:
	v_bfe_u32 v2, v3, 20, 1
	s_mov_b32 s5, exec_lo
	s_delay_alu instid0(VALU_DEP_1) | instskip(NEXT) | instid1(VALU_DEP_1)
	v_add3_u32 v2, v3, v2, 0x487ffff
                                        ; implicit-def: $vgpr3
	v_lshrrev_b32_e32 v2, 20, v2
	s_and_not1_saveexec_b32 s6, s6
	s_cbranch_execnz .LBB286_170
.LBB286_51:
	s_or_b32 exec_lo, exec_lo, s6
	v_mov_b32_e32 v4, 0
	s_and_saveexec_b32 s6, s5
.LBB286_52:
	v_mov_b32_e32 v4, v2
.LBB286_53:
	s_or_b32 exec_lo, exec_lo, s6
.LBB286_54:
	s_delay_alu instid0(SALU_CYCLE_1)
	s_or_b32 exec_lo, exec_lo, s4
	global_store_b8 v[0:1], v4, off
.LBB286_55:
	s_mov_b32 s4, -1
.LBB286_56:
	s_branch .LBB286_97
.LBB286_57:
	s_cmp_gt_i32 s3, 22
	s_mov_b32 s5, -1
	s_cbranch_scc0 .LBB286_89
; %bb.58:
	s_cmp_lt_i32 s3, 24
	s_mov_b32 s4, -1
	s_cbranch_scc1 .LBB286_78
; %bb.59:
	s_cmp_gt_i32 s3, 24
	s_cbranch_scc0 .LBB286_67
; %bb.60:
	s_wait_xcnt 0x0
	v_cndmask_b32_e64 v3, 0, 1.0, s0
	v_mov_b32_e32 v4, 0x80
	s_mov_b32 s4, exec_lo
	s_delay_alu instid0(VALU_DEP_2)
	v_cmpx_gt_u32_e32 0x47800000, v3
	s_cbranch_execz .LBB286_66
; %bb.61:
	s_mov_b32 s5, 0
	s_mov_b32 s6, exec_lo
                                        ; implicit-def: $vgpr2
	v_cmpx_lt_u32_e32 0x37ffffff, v3
	s_xor_b32 s6, exec_lo, s6
	s_cbranch_execz .LBB286_172
; %bb.62:
	v_bfe_u32 v2, v3, 21, 1
	s_mov_b32 s5, exec_lo
	s_delay_alu instid0(VALU_DEP_1) | instskip(NEXT) | instid1(VALU_DEP_1)
	v_add3_u32 v2, v3, v2, 0x88fffff
                                        ; implicit-def: $vgpr3
	v_lshrrev_b32_e32 v2, 21, v2
	s_and_not1_saveexec_b32 s6, s6
	s_cbranch_execnz .LBB286_173
.LBB286_63:
	s_or_b32 exec_lo, exec_lo, s6
	v_mov_b32_e32 v4, 0
	s_and_saveexec_b32 s6, s5
.LBB286_64:
	v_mov_b32_e32 v4, v2
.LBB286_65:
	s_or_b32 exec_lo, exec_lo, s6
.LBB286_66:
	s_delay_alu instid0(SALU_CYCLE_1)
	s_or_b32 exec_lo, exec_lo, s4
	s_mov_b32 s4, 0
	global_store_b8 v[0:1], v4, off
.LBB286_67:
	s_and_b32 vcc_lo, exec_lo, s4
	s_cbranch_vccz .LBB286_77
; %bb.68:
	s_wait_xcnt 0x0
	v_cndmask_b32_e64 v3, 0, 1.0, s0
	s_mov_b32 s4, exec_lo
                                        ; implicit-def: $vgpr2
	s_delay_alu instid0(VALU_DEP_1)
	v_cmpx_gt_u32_e32 0x43f00000, v3
	s_xor_b32 s4, exec_lo, s4
	s_cbranch_execz .LBB286_74
; %bb.69:
	s_mov_b32 s5, exec_lo
                                        ; implicit-def: $vgpr2
	v_cmpx_lt_u32_e32 0x3c7fffff, v3
	s_xor_b32 s5, exec_lo, s5
; %bb.70:
	v_bfe_u32 v2, v3, 20, 1
	s_delay_alu instid0(VALU_DEP_1) | instskip(NEXT) | instid1(VALU_DEP_1)
	v_add3_u32 v2, v3, v2, 0x407ffff
	v_and_b32_e32 v3, 0xff00000, v2
	v_lshrrev_b32_e32 v2, 20, v2
	s_delay_alu instid0(VALU_DEP_2) | instskip(NEXT) | instid1(VALU_DEP_2)
	v_cmp_ne_u32_e32 vcc_lo, 0x7f00000, v3
                                        ; implicit-def: $vgpr3
	v_cndmask_b32_e32 v2, 0x7e, v2, vcc_lo
; %bb.71:
	s_and_not1_saveexec_b32 s5, s5
; %bb.72:
	v_add_f32_e32 v2, 0x46800000, v3
; %bb.73:
	s_or_b32 exec_lo, exec_lo, s5
                                        ; implicit-def: $vgpr3
.LBB286_74:
	s_and_not1_saveexec_b32 s4, s4
; %bb.75:
	v_mov_b32_e32 v2, 0x7f
	v_cmp_lt_u32_e32 vcc_lo, 0x7f800000, v3
	s_delay_alu instid0(VALU_DEP_2)
	v_cndmask_b32_e32 v2, 0x7e, v2, vcc_lo
; %bb.76:
	s_or_b32 exec_lo, exec_lo, s4
	global_store_b8 v[0:1], v2, off
.LBB286_77:
	s_mov_b32 s4, 0
.LBB286_78:
	s_delay_alu instid0(SALU_CYCLE_1)
	s_and_not1_b32 vcc_lo, exec_lo, s4
	s_cbranch_vccnz .LBB286_88
; %bb.79:
	s_wait_xcnt 0x0
	v_cndmask_b32_e64 v3, 0, 1.0, s0
	s_mov_b32 s4, exec_lo
                                        ; implicit-def: $vgpr2
	s_delay_alu instid0(VALU_DEP_1)
	v_cmpx_gt_u32_e32 0x47800000, v3
	s_xor_b32 s4, exec_lo, s4
	s_cbranch_execz .LBB286_85
; %bb.80:
	s_mov_b32 s5, exec_lo
                                        ; implicit-def: $vgpr2
	v_cmpx_lt_u32_e32 0x387fffff, v3
	s_xor_b32 s5, exec_lo, s5
; %bb.81:
	v_bfe_u32 v2, v3, 21, 1
	s_delay_alu instid0(VALU_DEP_1) | instskip(NEXT) | instid1(VALU_DEP_1)
	v_add3_u32 v2, v3, v2, 0x80fffff
                                        ; implicit-def: $vgpr3
	v_lshrrev_b32_e32 v2, 21, v2
; %bb.82:
	s_and_not1_saveexec_b32 s5, s5
; %bb.83:
	v_add_f32_e32 v2, 0x43000000, v3
; %bb.84:
	s_or_b32 exec_lo, exec_lo, s5
                                        ; implicit-def: $vgpr3
.LBB286_85:
	s_and_not1_saveexec_b32 s4, s4
; %bb.86:
	v_mov_b32_e32 v2, 0x7f
	v_cmp_lt_u32_e32 vcc_lo, 0x7f800000, v3
	s_delay_alu instid0(VALU_DEP_2)
	v_cndmask_b32_e32 v2, 0x7c, v2, vcc_lo
; %bb.87:
	s_or_b32 exec_lo, exec_lo, s4
	global_store_b8 v[0:1], v2, off
.LBB286_88:
	s_mov_b32 s5, 0
	s_mov_b32 s4, -1
.LBB286_89:
	s_and_not1_b32 vcc_lo, exec_lo, s5
	s_cbranch_vccnz .LBB286_97
; %bb.90:
	s_cmp_gt_i32 s3, 14
	s_mov_b32 s5, -1
	s_cbranch_scc0 .LBB286_94
; %bb.91:
	s_cmp_eq_u32 s3, 15
	s_mov_b32 s1, -1
	s_cbranch_scc0 .LBB286_93
; %bb.92:
	s_wait_xcnt 0x0
	v_cndmask_b32_e64 v2, 0, 1.0, s0
	s_mov_b32 s4, -1
	s_mov_b32 s1, 0
	s_delay_alu instid0(VALU_DEP_1) | instskip(NEXT) | instid1(VALU_DEP_1)
	v_bfe_u32 v3, v2, 16, 1
	v_add3_u32 v2, v2, v3, 0x7fff
	global_store_d16_hi_b16 v[0:1], v2, off
.LBB286_93:
	s_mov_b32 s5, 0
.LBB286_94:
	s_delay_alu instid0(SALU_CYCLE_1)
	s_and_b32 vcc_lo, exec_lo, s5
	s_cbranch_vccz .LBB286_97
; %bb.95:
	s_cmp_eq_u32 s3, 11
	s_mov_b32 s1, -1
	s_cbranch_scc0 .LBB286_97
; %bb.96:
	s_wait_xcnt 0x0
	v_cndmask_b32_e64 v2, 0, 1, s0
	s_mov_b32 s4, -1
	s_mov_b32 s1, 0
	global_store_b8 v[0:1], v2, off
.LBB286_97:
	s_branch .LBB286_24
.LBB286_98:
	s_and_b32 s2, 0xffff, s2
	s_mov_b32 s3, -1
	s_cmp_lt_i32 s2, 5
	s_cbranch_scc1 .LBB286_119
; %bb.99:
	s_cmp_lt_i32 s2, 8
	s_cbranch_scc1 .LBB286_109
; %bb.100:
	s_cmp_lt_i32 s2, 9
	s_cbranch_scc1 .LBB286_106
; %bb.101:
	s_cmp_gt_i32 s2, 9
	s_cbranch_scc0 .LBB286_103
; %bb.102:
	s_wait_xcnt 0x0
	v_cndmask_b32_e64 v2, 0, 1, s0
	v_mov_b32_e32 v4, 0
	s_mov_b32 s3, 0
	s_delay_alu instid0(VALU_DEP_2) | instskip(NEXT) | instid1(VALU_DEP_2)
	v_cvt_f64_u32_e32 v[2:3], v2
	v_mov_b32_e32 v5, v4
	global_store_b128 v[0:1], v[2:5], off
.LBB286_103:
	s_and_not1_b32 vcc_lo, exec_lo, s3
	s_cbranch_vccnz .LBB286_105
; %bb.104:
	s_wait_xcnt 0x0
	v_cndmask_b32_e64 v2, 0, 1.0, s0
	v_mov_b32_e32 v3, 0
	global_store_b64 v[0:1], v[2:3], off
.LBB286_105:
	s_mov_b32 s3, 0
.LBB286_106:
	s_delay_alu instid0(SALU_CYCLE_1)
	s_and_not1_b32 vcc_lo, exec_lo, s3
	s_cbranch_vccnz .LBB286_108
; %bb.107:
	s_wait_xcnt 0x0
	v_cndmask_b32_e64 v2, 0, 1.0, s0
	s_delay_alu instid0(VALU_DEP_1) | instskip(NEXT) | instid1(VALU_DEP_1)
	v_cvt_f16_f32_e32 v2, v2
	v_and_b32_e32 v2, 0xffff, v2
	global_store_b32 v[0:1], v2, off
.LBB286_108:
	s_mov_b32 s3, 0
.LBB286_109:
	s_delay_alu instid0(SALU_CYCLE_1)
	s_and_not1_b32 vcc_lo, exec_lo, s3
	s_cbranch_vccnz .LBB286_118
; %bb.110:
	s_cmp_lt_i32 s2, 6
	s_mov_b32 s3, -1
	s_cbranch_scc1 .LBB286_116
; %bb.111:
	s_cmp_gt_i32 s2, 6
	s_cbranch_scc0 .LBB286_113
; %bb.112:
	s_wait_xcnt 0x0
	v_cndmask_b32_e64 v2, 0, 1, s0
	s_mov_b32 s3, 0
	s_delay_alu instid0(VALU_DEP_1)
	v_cvt_f64_u32_e32 v[2:3], v2
	global_store_b64 v[0:1], v[2:3], off
.LBB286_113:
	s_and_not1_b32 vcc_lo, exec_lo, s3
	s_cbranch_vccnz .LBB286_115
; %bb.114:
	s_wait_xcnt 0x0
	v_cndmask_b32_e64 v2, 0, 1.0, s0
	global_store_b32 v[0:1], v2, off
.LBB286_115:
	s_mov_b32 s3, 0
.LBB286_116:
	s_delay_alu instid0(SALU_CYCLE_1)
	s_and_not1_b32 vcc_lo, exec_lo, s3
	s_cbranch_vccnz .LBB286_118
; %bb.117:
	s_wait_xcnt 0x0
	v_cndmask_b32_e64 v2, 0, 1.0, s0
	s_delay_alu instid0(VALU_DEP_1)
	v_cvt_f16_f32_e32 v2, v2
	global_store_b16 v[0:1], v2, off
.LBB286_118:
	s_mov_b32 s3, 0
.LBB286_119:
	s_delay_alu instid0(SALU_CYCLE_1)
	s_and_not1_b32 vcc_lo, exec_lo, s3
	s_cbranch_vccnz .LBB286_135
; %bb.120:
	s_cmp_lt_i32 s2, 2
	s_mov_b32 s3, -1
	s_cbranch_scc1 .LBB286_130
; %bb.121:
	s_cmp_lt_i32 s2, 3
	s_cbranch_scc1 .LBB286_127
; %bb.122:
	s_cmp_gt_i32 s2, 3
	s_cbranch_scc0 .LBB286_124
; %bb.123:
	s_mov_b32 s3, 0
	s_wait_xcnt 0x0
	v_cndmask_b32_e64 v2, 0, 1, s0
	v_mov_b32_e32 v3, s3
	global_store_b64 v[0:1], v[2:3], off
.LBB286_124:
	s_and_not1_b32 vcc_lo, exec_lo, s3
	s_cbranch_vccnz .LBB286_126
; %bb.125:
	s_wait_xcnt 0x0
	v_cndmask_b32_e64 v2, 0, 1, s0
	global_store_b32 v[0:1], v2, off
.LBB286_126:
	s_mov_b32 s3, 0
.LBB286_127:
	s_delay_alu instid0(SALU_CYCLE_1)
	s_and_not1_b32 vcc_lo, exec_lo, s3
	s_cbranch_vccnz .LBB286_129
; %bb.128:
	s_wait_xcnt 0x0
	v_cndmask_b32_e64 v2, 0, 1, s0
	global_store_b16 v[0:1], v2, off
.LBB286_129:
	s_mov_b32 s3, 0
.LBB286_130:
	s_delay_alu instid0(SALU_CYCLE_1)
	s_and_not1_b32 vcc_lo, exec_lo, s3
	s_cbranch_vccnz .LBB286_135
; %bb.131:
	s_cmp_gt_i32 s2, 0
	s_mov_b32 s2, -1
	s_cbranch_scc0 .LBB286_133
; %bb.132:
	s_wait_xcnt 0x0
	v_cndmask_b32_e64 v2, 0, 1, s0
	s_mov_b32 s2, 0
	global_store_b8 v[0:1], v2, off
.LBB286_133:
	s_and_not1_b32 vcc_lo, exec_lo, s2
	s_cbranch_vccnz .LBB286_135
; %bb.134:
	s_wait_xcnt 0x0
	v_cndmask_b32_e64 v2, 0, 1, s0
	global_store_b8 v[0:1], v2, off
.LBB286_135:
	s_branch .LBB286_25
.LBB286_136:
	s_mov_b32 s0, 0
                                        ; implicit-def: $vgpr10
.LBB286_137:
	s_and_b32 s36, s1, exec_lo
	s_or_not1_b32 s3, s0, exec_lo
.LBB286_138:
	s_wait_xcnt 0x0
	s_or_b32 exec_lo, exec_lo, s49
	s_mov_b32 s4, 0
                                        ; implicit-def: $sgpr1
                                        ; implicit-def: $sgpr2
                                        ; implicit-def: $vgpr0_vgpr1
	s_and_saveexec_b32 s49, s3
	s_cbranch_execz .LBB286_145
; %bb.139:
	s_mov_b32 s4, -1
	s_mov_b32 s50, s36
	s_mov_b32 s51, exec_lo
	v_cmpx_gt_i32_e64 s46, v10
	s_cbranch_execz .LBB286_284
; %bb.140:
	s_and_not1_b32 vcc_lo, exec_lo, s43
	s_cbranch_vccnz .LBB286_148
; %bb.141:
	s_and_not1_b32 vcc_lo, exec_lo, s48
	s_cbranch_vccnz .LBB286_149
; %bb.142:
	s_add_co_i32 s1, s47, 1
	s_cmp_eq_u32 s33, 2
	s_cbranch_scc1 .LBB286_150
; %bb.143:
	v_dual_mov_b32 v12, 0 :: v_dual_mov_b32 v13, 0
	v_mov_b32_e32 v0, v10
	s_and_b32 s0, s1, 28
	s_mov_b32 s6, 0
	s_mov_b64 s[2:3], s[28:29]
	s_mov_b64 s[4:5], s[40:41]
.LBB286_144:                            ; =>This Inner Loop Header: Depth=1
	s_clause 0x1
	s_load_b256 s[52:59], s[2:3], 0x4
	s_load_b128 s[8:11], s[2:3], 0x24
	s_load_b256 s[60:67], s[4:5], 0x0
	s_add_co_i32 s6, s6, 4
	s_wait_xcnt 0x0
	s_add_nc_u64 s[2:3], s[2:3], 48
	s_cmp_eq_u32 s0, s6
	s_add_nc_u64 s[4:5], s[4:5], 32
	s_wait_kmcnt 0x0
	v_mul_hi_u32 v1, s53, v0
	s_delay_alu instid0(VALU_DEP_1) | instskip(NEXT) | instid1(VALU_DEP_1)
	v_add_nc_u32_e32 v1, v0, v1
	v_lshrrev_b32_e32 v1, s54, v1
	s_delay_alu instid0(VALU_DEP_1) | instskip(NEXT) | instid1(VALU_DEP_1)
	v_mul_hi_u32 v2, s56, v1
	v_add_nc_u32_e32 v2, v1, v2
	s_delay_alu instid0(VALU_DEP_1) | instskip(NEXT) | instid1(VALU_DEP_1)
	v_lshrrev_b32_e32 v2, s57, v2
	v_mul_hi_u32 v3, s59, v2
	s_delay_alu instid0(VALU_DEP_1) | instskip(SKIP_1) | instid1(VALU_DEP_1)
	v_add_nc_u32_e32 v3, v2, v3
	v_mul_lo_u32 v4, v1, s52
	v_sub_nc_u32_e32 v0, v0, v4
	v_mul_lo_u32 v4, v2, s55
	s_delay_alu instid0(VALU_DEP_4) | instskip(NEXT) | instid1(VALU_DEP_3)
	v_lshrrev_b32_e32 v3, s8, v3
	v_mad_u32 v6, v0, s61, v13
	v_mad_u32 v0, v0, s60, v12
	s_delay_alu instid0(VALU_DEP_4) | instskip(NEXT) | instid1(VALU_DEP_4)
	v_sub_nc_u32_e32 v1, v1, v4
	v_mul_hi_u32 v5, s10, v3
	v_mul_lo_u32 v4, v3, s58
	s_delay_alu instid0(VALU_DEP_3) | instskip(SKIP_1) | instid1(VALU_DEP_3)
	v_mad_u32 v6, v1, s63, v6
	v_mad_u32 v1, v1, s62, v0
	v_dual_add_nc_u32 v5, v3, v5 :: v_dual_sub_nc_u32 v2, v2, v4
	s_delay_alu instid0(VALU_DEP_1) | instskip(NEXT) | instid1(VALU_DEP_2)
	v_lshrrev_b32_e32 v0, s11, v5
	v_mad_u32 v5, v2, s65, v6
	s_delay_alu instid0(VALU_DEP_4) | instskip(NEXT) | instid1(VALU_DEP_3)
	v_mad_u32 v1, v2, s64, v1
	v_mul_lo_u32 v4, v0, s9
	s_delay_alu instid0(VALU_DEP_1) | instskip(NEXT) | instid1(VALU_DEP_1)
	v_sub_nc_u32_e32 v2, v3, v4
	v_mad_u32 v13, v2, s67, v5
	s_delay_alu instid0(VALU_DEP_4)
	v_mad_u32 v12, v2, s66, v1
	s_cbranch_scc0 .LBB286_144
	s_branch .LBB286_151
.LBB286_145:
	s_or_b32 exec_lo, exec_lo, s49
	s_mov_b32 s0, 0
	s_and_saveexec_b32 s3, s36
	s_cbranch_execnz .LBB286_530
.LBB286_146:
	s_or_b32 exec_lo, exec_lo, s3
	s_and_saveexec_b32 s3, s35
	s_delay_alu instid0(SALU_CYCLE_1)
	s_xor_b32 s3, exec_lo, s3
	s_cbranch_execz .LBB286_531
.LBB286_147:
	v_cndmask_b32_e64 v2, 0, 1, s1
	global_store_b8 v[0:1], v2, off
	s_wait_xcnt 0x0
	s_or_b32 exec_lo, exec_lo, s3
	s_and_saveexec_b32 s3, s4
	s_delay_alu instid0(SALU_CYCLE_1)
	s_xor_b32 s3, exec_lo, s3
	s_cbranch_execz .LBB286_569
	s_branch .LBB286_532
.LBB286_148:
                                        ; implicit-def: $vgpr13
	s_branch .LBB286_155
.LBB286_149:
	v_dual_mov_b32 v13, 0 :: v_dual_mov_b32 v12, 0
	s_branch .LBB286_154
.LBB286_150:
	v_mov_b64_e32 v[12:13], 0
	v_mov_b32_e32 v0, v10
	s_mov_b32 s0, 0
.LBB286_151:
	s_and_b32 s4, s1, 3
	s_mov_b32 s1, 0
	s_cmp_eq_u32 s4, 0
	s_cbranch_scc1 .LBB286_154
; %bb.152:
	s_lshl_b32 s2, s0, 3
	s_mov_b32 s3, s1
	s_mul_u64 s[6:7], s[0:1], 12
	s_add_nc_u64 s[2:3], s[28:29], s[2:3]
	s_delay_alu instid0(SALU_CYCLE_1)
	s_add_nc_u64 s[0:1], s[2:3], 0xc4
	s_add_nc_u64 s[2:3], s[28:29], s[6:7]
.LBB286_153:                            ; =>This Inner Loop Header: Depth=1
	s_load_b96 s[8:10], s[2:3], 0x4
	s_load_b64 s[6:7], s[0:1], 0x0
	s_add_co_i32 s4, s4, -1
	s_wait_xcnt 0x0
	s_add_nc_u64 s[2:3], s[2:3], 12
	s_cmp_lg_u32 s4, 0
	s_add_nc_u64 s[0:1], s[0:1], 8
	s_wait_kmcnt 0x0
	v_mul_hi_u32 v1, s9, v0
	s_delay_alu instid0(VALU_DEP_1) | instskip(NEXT) | instid1(VALU_DEP_1)
	v_add_nc_u32_e32 v1, v0, v1
	v_lshrrev_b32_e32 v1, s10, v1
	s_delay_alu instid0(VALU_DEP_1) | instskip(NEXT) | instid1(VALU_DEP_1)
	v_mul_lo_u32 v2, v1, s8
	v_sub_nc_u32_e32 v0, v0, v2
	s_delay_alu instid0(VALU_DEP_1)
	v_mad_u32 v13, v0, s7, v13
	v_mad_u32 v12, v0, s6, v12
	v_mov_b32_e32 v0, v1
	s_cbranch_scc1 .LBB286_153
.LBB286_154:
	s_cbranch_execnz .LBB286_157
.LBB286_155:
	v_mov_b32_e32 v11, 0
	s_and_not1_b32 vcc_lo, exec_lo, s45
	s_delay_alu instid0(VALU_DEP_1) | instskip(NEXT) | instid1(VALU_DEP_1)
	v_mul_u64_e32 v[0:1], s[34:35], v[10:11]
	v_add_nc_u32_e32 v0, v10, v1
	s_delay_alu instid0(VALU_DEP_1) | instskip(NEXT) | instid1(VALU_DEP_1)
	v_lshrrev_b32_e32 v0, s18, v0
	v_mul_lo_u32 v1, v0, s16
	s_delay_alu instid0(VALU_DEP_1) | instskip(NEXT) | instid1(VALU_DEP_1)
	v_sub_nc_u32_e32 v1, v10, v1
	v_mul_lo_u32 v13, v1, s21
	v_mul_lo_u32 v12, v1, s20
	s_cbranch_vccnz .LBB286_157
; %bb.156:
	v_mov_b32_e32 v1, v11
	s_delay_alu instid0(VALU_DEP_1) | instskip(NEXT) | instid1(VALU_DEP_1)
	v_mul_u64_e32 v[2:3], s[38:39], v[0:1]
	v_add_nc_u32_e32 v1, v0, v3
	s_delay_alu instid0(VALU_DEP_1) | instskip(NEXT) | instid1(VALU_DEP_1)
	v_lshrrev_b32_e32 v1, s37, v1
	v_mul_lo_u32 v1, v1, s19
	s_delay_alu instid0(VALU_DEP_1) | instskip(NEXT) | instid1(VALU_DEP_1)
	v_sub_nc_u32_e32 v0, v0, v1
	v_mad_u32 v12, v0, s22, v12
	v_mad_u32 v13, v0, s23, v13
.LBB286_157:
	v_dual_mov_b32 v0, s24 :: v_dual_mov_b32 v1, s25
	v_dual_mov_b32 v2, s14 :: v_dual_mov_b32 v3, s15
	s_delay_alu instid0(VALU_DEP_3) | instskip(SKIP_2) | instid1(SALU_CYCLE_1)
	v_dual_mov_b32 v4, v13 :: v_dual_mov_b32 v5, s17
	s_get_pc_i64 s[0:1]
	s_add_nc_u64 s[0:1], s[0:1], _ZN2at6native6invokeINS0_13AUnaryFunctorIN3c1013Float8_e4m3fnES4_bNS0_12_GLOBAL__N_116CompareEqFunctorIS4_EEEEj15function_traitsIS8_EEENT1_11result_typeERKT_PrKPcPKT0_PKNS3_10ScalarTypeEi@rel64+4
	s_swap_pc_i64 s[30:31], s[0:1]
	v_dual_mov_b32 v13, 0 :: v_dual_bitop2_b32 v0, 1, v0 bitop3:0x40
	s_and_b32 s2, s26, 0xff
	s_delay_alu instid0(SALU_CYCLE_1) | instskip(NEXT) | instid1(VALU_DEP_1)
	s_cmp_lt_i32 s2, 11
	v_cmp_eq_u32_e64 s0, 1, v0
	s_delay_alu instid0(VALU_DEP_2)
	v_add_nc_u64_e32 v[0:1], s[12:13], v[12:13]
	s_cbranch_scc1 .LBB286_164
; %bb.158:
	s_and_b32 s3, 0xffff, s2
	s_delay_alu instid0(SALU_CYCLE_1)
	s_cmp_gt_i32 s3, 25
	s_cbranch_scc0 .LBB286_167
; %bb.159:
	s_cmp_gt_i32 s3, 28
	s_cbranch_scc0 .LBB286_168
; %bb.160:
	;; [unrolled: 3-line block ×4, first 2 shown]
	s_mov_b32 s5, 0
	s_mov_b32 s1, -1
	s_cmp_eq_u32 s3, 46
	s_mov_b32 s4, 0
	s_cbranch_scc0 .LBB286_175
; %bb.163:
	v_cndmask_b32_e64 v2, 0, 1.0, s0
	s_mov_b32 s4, -1
	s_mov_b32 s1, 0
	s_delay_alu instid0(VALU_DEP_1) | instskip(NEXT) | instid1(VALU_DEP_1)
	v_bfe_u32 v3, v2, 16, 1
	v_add3_u32 v2, v2, v3, 0x7fff
	s_delay_alu instid0(VALU_DEP_1)
	v_lshrrev_b32_e32 v2, 16, v2
	global_store_b32 v[0:1], v2, off
	s_branch .LBB286_175
.LBB286_164:
	s_mov_b32 s4, 0
	s_mov_b32 s1, s36
	s_cbranch_execnz .LBB286_244
.LBB286_165:
	s_and_not1_b32 vcc_lo, exec_lo, s4
	s_cbranch_vccnz .LBB286_282
.LBB286_166:
	v_add_nc_u32_e32 v10, 0x80, v10
	s_mov_b32 s0, -1
	s_branch .LBB286_283
.LBB286_167:
	s_mov_b32 s5, -1
	s_mov_b32 s4, 0
	s_mov_b32 s1, s36
	s_branch .LBB286_202
.LBB286_168:
	s_mov_b32 s5, -1
	s_mov_b32 s4, 0
	s_mov_b32 s1, s36
	s_branch .LBB286_185
.LBB286_169:
	s_and_not1_saveexec_b32 s6, s6
	s_cbranch_execz .LBB286_51
.LBB286_170:
	v_add_f32_e32 v2, 0x46000000, v3
	s_and_not1_b32 s5, s5, exec_lo
	s_delay_alu instid0(VALU_DEP_1) | instskip(NEXT) | instid1(VALU_DEP_1)
	v_and_b32_e32 v2, 0xff, v2
	v_cmp_ne_u32_e32 vcc_lo, 0, v2
	s_and_b32 s7, vcc_lo, exec_lo
	s_delay_alu instid0(SALU_CYCLE_1)
	s_or_b32 s5, s5, s7
	s_or_b32 exec_lo, exec_lo, s6
	v_mov_b32_e32 v4, 0
	s_and_saveexec_b32 s6, s5
	s_cbranch_execnz .LBB286_52
	s_branch .LBB286_53
.LBB286_171:
	s_mov_b32 s5, -1
	s_mov_b32 s4, 0
	s_mov_b32 s1, s36
	s_branch .LBB286_181
.LBB286_172:
	s_and_not1_saveexec_b32 s6, s6
	s_cbranch_execz .LBB286_63
.LBB286_173:
	v_add_f32_e32 v2, 0x42800000, v3
	s_and_not1_b32 s5, s5, exec_lo
	s_delay_alu instid0(VALU_DEP_1) | instskip(NEXT) | instid1(VALU_DEP_1)
	v_and_b32_e32 v2, 0xff, v2
	v_cmp_ne_u32_e32 vcc_lo, 0, v2
	s_and_b32 s7, vcc_lo, exec_lo
	s_delay_alu instid0(SALU_CYCLE_1)
	s_or_b32 s5, s5, s7
	s_or_b32 exec_lo, exec_lo, s6
	v_mov_b32_e32 v4, 0
	s_and_saveexec_b32 s6, s5
	s_cbranch_execnz .LBB286_64
	s_branch .LBB286_65
.LBB286_174:
	s_mov_b32 s5, -1
	s_mov_b32 s4, 0
	s_mov_b32 s1, s36
.LBB286_175:
	s_and_b32 vcc_lo, exec_lo, s5
	s_cbranch_vccz .LBB286_180
; %bb.176:
	s_cmp_eq_u32 s3, 44
	s_mov_b32 s1, -1
	s_cbranch_scc0 .LBB286_180
; %bb.177:
	v_cndmask_b32_e64 v4, 0, 1.0, s0
	s_mov_b32 s4, exec_lo
	s_wait_xcnt 0x0
	s_delay_alu instid0(VALU_DEP_1) | instskip(NEXT) | instid1(VALU_DEP_1)
	v_dual_mov_b32 v3, 0xff :: v_dual_lshrrev_b32 v2, 23, v4
	v_cmpx_ne_u32_e32 0xff, v2
; %bb.178:
	v_and_b32_e32 v3, 0x400000, v4
	v_and_or_b32 v4, 0x3fffff, v4, v2
	s_delay_alu instid0(VALU_DEP_2) | instskip(NEXT) | instid1(VALU_DEP_2)
	v_cmp_ne_u32_e32 vcc_lo, 0, v3
	v_cmp_ne_u32_e64 s1, 0, v4
	s_and_b32 s1, vcc_lo, s1
	s_delay_alu instid0(SALU_CYCLE_1) | instskip(NEXT) | instid1(VALU_DEP_1)
	v_cndmask_b32_e64 v3, 0, 1, s1
	v_add_nc_u32_e32 v3, v2, v3
; %bb.179:
	s_or_b32 exec_lo, exec_lo, s4
	s_mov_b32 s4, -1
	s_mov_b32 s1, 0
	global_store_b8 v[0:1], v3, off
.LBB286_180:
	s_mov_b32 s5, 0
.LBB286_181:
	s_delay_alu instid0(SALU_CYCLE_1)
	s_and_b32 vcc_lo, exec_lo, s5
	s_cbranch_vccz .LBB286_184
; %bb.182:
	s_cmp_eq_u32 s3, 29
	s_mov_b32 s1, -1
	s_cbranch_scc0 .LBB286_184
; %bb.183:
	s_mov_b32 s1, 0
	s_wait_xcnt 0x0
	v_cndmask_b32_e64 v2, 0, 1, s0
	v_mov_b32_e32 v3, s1
	s_mov_b32 s4, -1
	s_mov_b32 s5, 0
	global_store_b64 v[0:1], v[2:3], off
	s_branch .LBB286_185
.LBB286_184:
	s_mov_b32 s5, 0
.LBB286_185:
	s_delay_alu instid0(SALU_CYCLE_1)
	s_and_b32 vcc_lo, exec_lo, s5
	s_cbranch_vccz .LBB286_201
; %bb.186:
	s_cmp_lt_i32 s3, 27
	s_mov_b32 s4, -1
	s_cbranch_scc1 .LBB286_192
; %bb.187:
	s_cmp_gt_i32 s3, 27
	s_cbranch_scc0 .LBB286_189
; %bb.188:
	s_wait_xcnt 0x0
	v_cndmask_b32_e64 v2, 0, 1, s0
	s_mov_b32 s4, 0
	global_store_b32 v[0:1], v2, off
.LBB286_189:
	s_and_not1_b32 vcc_lo, exec_lo, s4
	s_cbranch_vccnz .LBB286_191
; %bb.190:
	s_wait_xcnt 0x0
	v_cndmask_b32_e64 v2, 0, 1, s0
	global_store_b16 v[0:1], v2, off
.LBB286_191:
	s_mov_b32 s4, 0
.LBB286_192:
	s_delay_alu instid0(SALU_CYCLE_1)
	s_and_not1_b32 vcc_lo, exec_lo, s4
	s_cbranch_vccnz .LBB286_200
; %bb.193:
	s_wait_xcnt 0x0
	v_cndmask_b32_e64 v3, 0, 1.0, s0
	v_mov_b32_e32 v4, 0x80
	s_mov_b32 s4, exec_lo
	s_delay_alu instid0(VALU_DEP_2)
	v_cmpx_gt_u32_e32 0x43800000, v3
	s_cbranch_execz .LBB286_199
; %bb.194:
	s_mov_b32 s5, 0
	s_mov_b32 s6, exec_lo
                                        ; implicit-def: $vgpr2
	v_cmpx_lt_u32_e32 0x3bffffff, v3
	s_xor_b32 s6, exec_lo, s6
	s_cbranch_execz .LBB286_311
; %bb.195:
	v_bfe_u32 v2, v3, 20, 1
	s_mov_b32 s5, exec_lo
	s_delay_alu instid0(VALU_DEP_1) | instskip(NEXT) | instid1(VALU_DEP_1)
	v_add3_u32 v2, v3, v2, 0x487ffff
                                        ; implicit-def: $vgpr3
	v_lshrrev_b32_e32 v2, 20, v2
	s_and_not1_saveexec_b32 s6, s6
	s_cbranch_execnz .LBB286_312
.LBB286_196:
	s_or_b32 exec_lo, exec_lo, s6
	v_mov_b32_e32 v4, 0
	s_and_saveexec_b32 s6, s5
.LBB286_197:
	v_mov_b32_e32 v4, v2
.LBB286_198:
	s_or_b32 exec_lo, exec_lo, s6
.LBB286_199:
	s_delay_alu instid0(SALU_CYCLE_1)
	s_or_b32 exec_lo, exec_lo, s4
	global_store_b8 v[0:1], v4, off
.LBB286_200:
	s_mov_b32 s4, -1
.LBB286_201:
	s_mov_b32 s5, 0
.LBB286_202:
	s_delay_alu instid0(SALU_CYCLE_1)
	s_and_b32 vcc_lo, exec_lo, s5
	s_cbranch_vccz .LBB286_243
; %bb.203:
	s_cmp_gt_i32 s3, 22
	s_mov_b32 s5, -1
	s_cbranch_scc0 .LBB286_235
; %bb.204:
	s_cmp_lt_i32 s3, 24
	s_mov_b32 s4, -1
	s_cbranch_scc1 .LBB286_224
; %bb.205:
	s_cmp_gt_i32 s3, 24
	s_cbranch_scc0 .LBB286_213
; %bb.206:
	s_wait_xcnt 0x0
	v_cndmask_b32_e64 v3, 0, 1.0, s0
	v_mov_b32_e32 v4, 0x80
	s_mov_b32 s4, exec_lo
	s_delay_alu instid0(VALU_DEP_2)
	v_cmpx_gt_u32_e32 0x47800000, v3
	s_cbranch_execz .LBB286_212
; %bb.207:
	s_mov_b32 s5, 0
	s_mov_b32 s6, exec_lo
                                        ; implicit-def: $vgpr2
	v_cmpx_lt_u32_e32 0x37ffffff, v3
	s_xor_b32 s6, exec_lo, s6
	s_cbranch_execz .LBB286_314
; %bb.208:
	v_bfe_u32 v2, v3, 21, 1
	s_mov_b32 s5, exec_lo
	s_delay_alu instid0(VALU_DEP_1) | instskip(NEXT) | instid1(VALU_DEP_1)
	v_add3_u32 v2, v3, v2, 0x88fffff
                                        ; implicit-def: $vgpr3
	v_lshrrev_b32_e32 v2, 21, v2
	s_and_not1_saveexec_b32 s6, s6
	s_cbranch_execnz .LBB286_315
.LBB286_209:
	s_or_b32 exec_lo, exec_lo, s6
	v_mov_b32_e32 v4, 0
	s_and_saveexec_b32 s6, s5
.LBB286_210:
	v_mov_b32_e32 v4, v2
.LBB286_211:
	s_or_b32 exec_lo, exec_lo, s6
.LBB286_212:
	s_delay_alu instid0(SALU_CYCLE_1)
	s_or_b32 exec_lo, exec_lo, s4
	s_mov_b32 s4, 0
	global_store_b8 v[0:1], v4, off
.LBB286_213:
	s_and_b32 vcc_lo, exec_lo, s4
	s_cbranch_vccz .LBB286_223
; %bb.214:
	s_wait_xcnt 0x0
	v_cndmask_b32_e64 v3, 0, 1.0, s0
	s_mov_b32 s4, exec_lo
                                        ; implicit-def: $vgpr2
	s_delay_alu instid0(VALU_DEP_1)
	v_cmpx_gt_u32_e32 0x43f00000, v3
	s_xor_b32 s4, exec_lo, s4
	s_cbranch_execz .LBB286_220
; %bb.215:
	s_mov_b32 s5, exec_lo
                                        ; implicit-def: $vgpr2
	v_cmpx_lt_u32_e32 0x3c7fffff, v3
	s_xor_b32 s5, exec_lo, s5
; %bb.216:
	v_bfe_u32 v2, v3, 20, 1
	s_delay_alu instid0(VALU_DEP_1) | instskip(NEXT) | instid1(VALU_DEP_1)
	v_add3_u32 v2, v3, v2, 0x407ffff
	v_and_b32_e32 v3, 0xff00000, v2
	v_lshrrev_b32_e32 v2, 20, v2
	s_delay_alu instid0(VALU_DEP_2) | instskip(NEXT) | instid1(VALU_DEP_2)
	v_cmp_ne_u32_e32 vcc_lo, 0x7f00000, v3
                                        ; implicit-def: $vgpr3
	v_cndmask_b32_e32 v2, 0x7e, v2, vcc_lo
; %bb.217:
	s_and_not1_saveexec_b32 s5, s5
; %bb.218:
	v_add_f32_e32 v2, 0x46800000, v3
; %bb.219:
	s_or_b32 exec_lo, exec_lo, s5
                                        ; implicit-def: $vgpr3
.LBB286_220:
	s_and_not1_saveexec_b32 s4, s4
; %bb.221:
	v_mov_b32_e32 v2, 0x7f
	v_cmp_lt_u32_e32 vcc_lo, 0x7f800000, v3
	s_delay_alu instid0(VALU_DEP_2)
	v_cndmask_b32_e32 v2, 0x7e, v2, vcc_lo
; %bb.222:
	s_or_b32 exec_lo, exec_lo, s4
	global_store_b8 v[0:1], v2, off
.LBB286_223:
	s_mov_b32 s4, 0
.LBB286_224:
	s_delay_alu instid0(SALU_CYCLE_1)
	s_and_not1_b32 vcc_lo, exec_lo, s4
	s_cbranch_vccnz .LBB286_234
; %bb.225:
	s_wait_xcnt 0x0
	v_cndmask_b32_e64 v3, 0, 1.0, s0
	s_mov_b32 s4, exec_lo
                                        ; implicit-def: $vgpr2
	s_delay_alu instid0(VALU_DEP_1)
	v_cmpx_gt_u32_e32 0x47800000, v3
	s_xor_b32 s4, exec_lo, s4
	s_cbranch_execz .LBB286_231
; %bb.226:
	s_mov_b32 s5, exec_lo
                                        ; implicit-def: $vgpr2
	v_cmpx_lt_u32_e32 0x387fffff, v3
	s_xor_b32 s5, exec_lo, s5
; %bb.227:
	v_bfe_u32 v2, v3, 21, 1
	s_delay_alu instid0(VALU_DEP_1) | instskip(NEXT) | instid1(VALU_DEP_1)
	v_add3_u32 v2, v3, v2, 0x80fffff
                                        ; implicit-def: $vgpr3
	v_lshrrev_b32_e32 v2, 21, v2
; %bb.228:
	s_and_not1_saveexec_b32 s5, s5
; %bb.229:
	v_add_f32_e32 v2, 0x43000000, v3
; %bb.230:
	s_or_b32 exec_lo, exec_lo, s5
                                        ; implicit-def: $vgpr3
.LBB286_231:
	s_and_not1_saveexec_b32 s4, s4
; %bb.232:
	v_mov_b32_e32 v2, 0x7f
	v_cmp_lt_u32_e32 vcc_lo, 0x7f800000, v3
	s_delay_alu instid0(VALU_DEP_2)
	v_cndmask_b32_e32 v2, 0x7c, v2, vcc_lo
; %bb.233:
	s_or_b32 exec_lo, exec_lo, s4
	global_store_b8 v[0:1], v2, off
.LBB286_234:
	s_mov_b32 s5, 0
	s_mov_b32 s4, -1
.LBB286_235:
	s_and_not1_b32 vcc_lo, exec_lo, s5
	s_cbranch_vccnz .LBB286_243
; %bb.236:
	s_cmp_gt_i32 s3, 14
	s_mov_b32 s5, -1
	s_cbranch_scc0 .LBB286_240
; %bb.237:
	s_cmp_eq_u32 s3, 15
	s_mov_b32 s1, -1
	s_cbranch_scc0 .LBB286_239
; %bb.238:
	s_wait_xcnt 0x0
	v_cndmask_b32_e64 v2, 0, 1.0, s0
	s_mov_b32 s4, -1
	s_mov_b32 s1, 0
	s_delay_alu instid0(VALU_DEP_1) | instskip(NEXT) | instid1(VALU_DEP_1)
	v_bfe_u32 v3, v2, 16, 1
	v_add3_u32 v2, v2, v3, 0x7fff
	global_store_d16_hi_b16 v[0:1], v2, off
.LBB286_239:
	s_mov_b32 s5, 0
.LBB286_240:
	s_delay_alu instid0(SALU_CYCLE_1)
	s_and_b32 vcc_lo, exec_lo, s5
	s_cbranch_vccz .LBB286_243
; %bb.241:
	s_cmp_eq_u32 s3, 11
	s_mov_b32 s1, -1
	s_cbranch_scc0 .LBB286_243
; %bb.242:
	s_wait_xcnt 0x0
	v_cndmask_b32_e64 v2, 0, 1, s0
	s_mov_b32 s4, -1
	s_mov_b32 s1, 0
	global_store_b8 v[0:1], v2, off
.LBB286_243:
	s_branch .LBB286_165
.LBB286_244:
	s_and_b32 s2, 0xffff, s2
	s_mov_b32 s3, -1
	s_cmp_lt_i32 s2, 5
	s_cbranch_scc1 .LBB286_265
; %bb.245:
	s_cmp_lt_i32 s2, 8
	s_cbranch_scc1 .LBB286_255
; %bb.246:
	;; [unrolled: 3-line block ×3, first 2 shown]
	s_cmp_gt_i32 s2, 9
	s_cbranch_scc0 .LBB286_249
; %bb.248:
	s_wait_xcnt 0x0
	v_cndmask_b32_e64 v2, 0, 1, s0
	v_mov_b32_e32 v4, 0
	s_mov_b32 s3, 0
	s_delay_alu instid0(VALU_DEP_2) | instskip(NEXT) | instid1(VALU_DEP_2)
	v_cvt_f64_u32_e32 v[2:3], v2
	v_mov_b32_e32 v5, v4
	global_store_b128 v[0:1], v[2:5], off
.LBB286_249:
	s_and_not1_b32 vcc_lo, exec_lo, s3
	s_cbranch_vccnz .LBB286_251
; %bb.250:
	s_wait_xcnt 0x0
	v_cndmask_b32_e64 v2, 0, 1.0, s0
	v_mov_b32_e32 v3, 0
	global_store_b64 v[0:1], v[2:3], off
.LBB286_251:
	s_mov_b32 s3, 0
.LBB286_252:
	s_delay_alu instid0(SALU_CYCLE_1)
	s_and_not1_b32 vcc_lo, exec_lo, s3
	s_cbranch_vccnz .LBB286_254
; %bb.253:
	s_wait_xcnt 0x0
	v_cndmask_b32_e64 v2, 0, 1.0, s0
	s_delay_alu instid0(VALU_DEP_1) | instskip(NEXT) | instid1(VALU_DEP_1)
	v_cvt_f16_f32_e32 v2, v2
	v_and_b32_e32 v2, 0xffff, v2
	global_store_b32 v[0:1], v2, off
.LBB286_254:
	s_mov_b32 s3, 0
.LBB286_255:
	s_delay_alu instid0(SALU_CYCLE_1)
	s_and_not1_b32 vcc_lo, exec_lo, s3
	s_cbranch_vccnz .LBB286_264
; %bb.256:
	s_cmp_lt_i32 s2, 6
	s_mov_b32 s3, -1
	s_cbranch_scc1 .LBB286_262
; %bb.257:
	s_cmp_gt_i32 s2, 6
	s_cbranch_scc0 .LBB286_259
; %bb.258:
	s_wait_xcnt 0x0
	v_cndmask_b32_e64 v2, 0, 1, s0
	s_mov_b32 s3, 0
	s_delay_alu instid0(VALU_DEP_1)
	v_cvt_f64_u32_e32 v[2:3], v2
	global_store_b64 v[0:1], v[2:3], off
.LBB286_259:
	s_and_not1_b32 vcc_lo, exec_lo, s3
	s_cbranch_vccnz .LBB286_261
; %bb.260:
	s_wait_xcnt 0x0
	v_cndmask_b32_e64 v2, 0, 1.0, s0
	global_store_b32 v[0:1], v2, off
.LBB286_261:
	s_mov_b32 s3, 0
.LBB286_262:
	s_delay_alu instid0(SALU_CYCLE_1)
	s_and_not1_b32 vcc_lo, exec_lo, s3
	s_cbranch_vccnz .LBB286_264
; %bb.263:
	s_wait_xcnt 0x0
	v_cndmask_b32_e64 v2, 0, 1.0, s0
	s_delay_alu instid0(VALU_DEP_1)
	v_cvt_f16_f32_e32 v2, v2
	global_store_b16 v[0:1], v2, off
.LBB286_264:
	s_mov_b32 s3, 0
.LBB286_265:
	s_delay_alu instid0(SALU_CYCLE_1)
	s_and_not1_b32 vcc_lo, exec_lo, s3
	s_cbranch_vccnz .LBB286_281
; %bb.266:
	s_cmp_lt_i32 s2, 2
	s_mov_b32 s3, -1
	s_cbranch_scc1 .LBB286_276
; %bb.267:
	s_cmp_lt_i32 s2, 3
	s_cbranch_scc1 .LBB286_273
; %bb.268:
	s_cmp_gt_i32 s2, 3
	s_cbranch_scc0 .LBB286_270
; %bb.269:
	s_mov_b32 s3, 0
	s_wait_xcnt 0x0
	v_cndmask_b32_e64 v2, 0, 1, s0
	v_mov_b32_e32 v3, s3
	global_store_b64 v[0:1], v[2:3], off
.LBB286_270:
	s_and_not1_b32 vcc_lo, exec_lo, s3
	s_cbranch_vccnz .LBB286_272
; %bb.271:
	s_wait_xcnt 0x0
	v_cndmask_b32_e64 v2, 0, 1, s0
	global_store_b32 v[0:1], v2, off
.LBB286_272:
	s_mov_b32 s3, 0
.LBB286_273:
	s_delay_alu instid0(SALU_CYCLE_1)
	s_and_not1_b32 vcc_lo, exec_lo, s3
	s_cbranch_vccnz .LBB286_275
; %bb.274:
	s_wait_xcnt 0x0
	v_cndmask_b32_e64 v2, 0, 1, s0
	global_store_b16 v[0:1], v2, off
.LBB286_275:
	s_mov_b32 s3, 0
.LBB286_276:
	s_delay_alu instid0(SALU_CYCLE_1)
	s_and_not1_b32 vcc_lo, exec_lo, s3
	s_cbranch_vccnz .LBB286_281
; %bb.277:
	s_cmp_gt_i32 s2, 0
	s_mov_b32 s2, -1
	s_cbranch_scc0 .LBB286_279
; %bb.278:
	s_wait_xcnt 0x0
	v_cndmask_b32_e64 v2, 0, 1, s0
	s_mov_b32 s2, 0
	global_store_b8 v[0:1], v2, off
.LBB286_279:
	s_and_not1_b32 vcc_lo, exec_lo, s2
	s_cbranch_vccnz .LBB286_281
; %bb.280:
	s_wait_xcnt 0x0
	v_cndmask_b32_e64 v2, 0, 1, s0
	global_store_b8 v[0:1], v2, off
.LBB286_281:
	s_branch .LBB286_166
.LBB286_282:
	s_mov_b32 s0, 0
                                        ; implicit-def: $vgpr10
.LBB286_283:
	s_and_not1_b32 s2, s36, exec_lo
	s_and_b32 s1, s1, exec_lo
	s_or_not1_b32 s4, s0, exec_lo
	s_or_b32 s50, s2, s1
.LBB286_284:
	s_wait_xcnt 0x0
	s_or_b32 exec_lo, exec_lo, s51
	s_mov_b32 s0, 0
	s_mov_b32 s3, 0
                                        ; implicit-def: $sgpr1
                                        ; implicit-def: $sgpr2
                                        ; implicit-def: $vgpr0_vgpr1
	s_and_saveexec_b32 s51, s4
	s_cbranch_execz .LBB286_529
; %bb.285:
	s_mov_b32 s4, -1
	s_mov_b32 s53, s50
	s_mov_b32 s52, exec_lo
	v_cmpx_gt_i32_e64 s46, v10
	s_cbranch_execz .LBB286_429
; %bb.286:
	s_and_not1_b32 vcc_lo, exec_lo, s43
	s_cbranch_vccnz .LBB286_291
; %bb.287:
	s_and_not1_b32 vcc_lo, exec_lo, s48
	s_cbranch_vccnz .LBB286_292
; %bb.288:
	s_add_co_i32 s1, s47, 1
	s_cmp_eq_u32 s33, 2
	s_cbranch_scc1 .LBB286_293
; %bb.289:
	v_dual_mov_b32 v12, 0 :: v_dual_mov_b32 v13, 0
	v_mov_b32_e32 v0, v10
	s_and_b32 s0, s1, 28
	s_mov_b32 s6, 0
	s_mov_b64 s[2:3], s[28:29]
	s_mov_b64 s[4:5], s[40:41]
.LBB286_290:                            ; =>This Inner Loop Header: Depth=1
	s_clause 0x1
	s_load_b256 s[56:63], s[2:3], 0x4
	s_load_b128 s[8:11], s[2:3], 0x24
	s_load_b256 s[64:71], s[4:5], 0x0
	s_add_co_i32 s6, s6, 4
	s_wait_xcnt 0x0
	s_add_nc_u64 s[2:3], s[2:3], 48
	s_cmp_eq_u32 s0, s6
	s_add_nc_u64 s[4:5], s[4:5], 32
	s_wait_kmcnt 0x0
	v_mul_hi_u32 v1, s57, v0
	s_delay_alu instid0(VALU_DEP_1) | instskip(NEXT) | instid1(VALU_DEP_1)
	v_add_nc_u32_e32 v1, v0, v1
	v_lshrrev_b32_e32 v1, s58, v1
	s_delay_alu instid0(VALU_DEP_1) | instskip(NEXT) | instid1(VALU_DEP_1)
	v_mul_hi_u32 v2, s60, v1
	v_add_nc_u32_e32 v2, v1, v2
	s_delay_alu instid0(VALU_DEP_1) | instskip(NEXT) | instid1(VALU_DEP_1)
	v_lshrrev_b32_e32 v2, s61, v2
	v_mul_hi_u32 v3, s63, v2
	s_delay_alu instid0(VALU_DEP_1) | instskip(SKIP_1) | instid1(VALU_DEP_1)
	v_add_nc_u32_e32 v3, v2, v3
	v_mul_lo_u32 v4, v1, s56
	v_sub_nc_u32_e32 v0, v0, v4
	v_mul_lo_u32 v4, v2, s59
	s_delay_alu instid0(VALU_DEP_4) | instskip(NEXT) | instid1(VALU_DEP_3)
	v_lshrrev_b32_e32 v3, s8, v3
	v_mad_u32 v6, v0, s65, v13
	v_mad_u32 v0, v0, s64, v12
	s_delay_alu instid0(VALU_DEP_4) | instskip(NEXT) | instid1(VALU_DEP_4)
	v_sub_nc_u32_e32 v1, v1, v4
	v_mul_hi_u32 v5, s10, v3
	v_mul_lo_u32 v4, v3, s62
	s_delay_alu instid0(VALU_DEP_3) | instskip(SKIP_1) | instid1(VALU_DEP_3)
	v_mad_u32 v6, v1, s67, v6
	v_mad_u32 v1, v1, s66, v0
	v_dual_add_nc_u32 v5, v3, v5 :: v_dual_sub_nc_u32 v2, v2, v4
	s_delay_alu instid0(VALU_DEP_1) | instskip(NEXT) | instid1(VALU_DEP_2)
	v_lshrrev_b32_e32 v0, s11, v5
	v_mad_u32 v5, v2, s69, v6
	s_delay_alu instid0(VALU_DEP_4) | instskip(NEXT) | instid1(VALU_DEP_3)
	v_mad_u32 v1, v2, s68, v1
	v_mul_lo_u32 v4, v0, s9
	s_delay_alu instid0(VALU_DEP_1) | instskip(NEXT) | instid1(VALU_DEP_1)
	v_sub_nc_u32_e32 v2, v3, v4
	v_mad_u32 v13, v2, s71, v5
	s_delay_alu instid0(VALU_DEP_4)
	v_mad_u32 v12, v2, s70, v1
	s_cbranch_scc0 .LBB286_290
	s_branch .LBB286_294
.LBB286_291:
	s_mov_b32 s0, -1
                                        ; implicit-def: $vgpr13
	s_branch .LBB286_298
.LBB286_292:
	v_dual_mov_b32 v13, 0 :: v_dual_mov_b32 v12, 0
	s_branch .LBB286_297
.LBB286_293:
	v_mov_b64_e32 v[12:13], 0
	v_mov_b32_e32 v0, v10
.LBB286_294:
	s_and_b32 s4, s1, 3
	s_mov_b32 s1, 0
	s_cmp_eq_u32 s4, 0
	s_cbranch_scc1 .LBB286_297
; %bb.295:
	s_lshl_b32 s2, s0, 3
	s_mov_b32 s3, s1
	s_mul_u64 s[6:7], s[0:1], 12
	s_add_nc_u64 s[2:3], s[28:29], s[2:3]
	s_delay_alu instid0(SALU_CYCLE_1)
	s_add_nc_u64 s[0:1], s[2:3], 0xc4
	s_add_nc_u64 s[2:3], s[28:29], s[6:7]
.LBB286_296:                            ; =>This Inner Loop Header: Depth=1
	s_load_b96 s[8:10], s[2:3], 0x4
	s_load_b64 s[6:7], s[0:1], 0x0
	s_add_co_i32 s4, s4, -1
	s_wait_xcnt 0x0
	s_add_nc_u64 s[2:3], s[2:3], 12
	s_cmp_lg_u32 s4, 0
	s_add_nc_u64 s[0:1], s[0:1], 8
	s_wait_kmcnt 0x0
	v_mul_hi_u32 v1, s9, v0
	s_delay_alu instid0(VALU_DEP_1) | instskip(NEXT) | instid1(VALU_DEP_1)
	v_add_nc_u32_e32 v1, v0, v1
	v_lshrrev_b32_e32 v1, s10, v1
	s_delay_alu instid0(VALU_DEP_1) | instskip(NEXT) | instid1(VALU_DEP_1)
	v_mul_lo_u32 v2, v1, s8
	v_sub_nc_u32_e32 v0, v0, v2
	s_delay_alu instid0(VALU_DEP_1)
	v_mad_u32 v13, v0, s7, v13
	v_mad_u32 v12, v0, s6, v12
	v_mov_b32_e32 v0, v1
	s_cbranch_scc1 .LBB286_296
.LBB286_297:
	s_mov_b32 s0, 0
.LBB286_298:
	s_delay_alu instid0(SALU_CYCLE_1)
	s_and_not1_b32 vcc_lo, exec_lo, s0
	s_cbranch_vccnz .LBB286_301
; %bb.299:
	v_mov_b32_e32 v11, 0
	s_and_not1_b32 vcc_lo, exec_lo, s45
	s_delay_alu instid0(VALU_DEP_1) | instskip(NEXT) | instid1(VALU_DEP_1)
	v_mul_u64_e32 v[0:1], s[34:35], v[10:11]
	v_add_nc_u32_e32 v0, v10, v1
	s_delay_alu instid0(VALU_DEP_1) | instskip(NEXT) | instid1(VALU_DEP_1)
	v_lshrrev_b32_e32 v0, s18, v0
	v_mul_lo_u32 v1, v0, s16
	s_delay_alu instid0(VALU_DEP_1) | instskip(NEXT) | instid1(VALU_DEP_1)
	v_sub_nc_u32_e32 v1, v10, v1
	v_mul_lo_u32 v13, v1, s21
	v_mul_lo_u32 v12, v1, s20
	s_cbranch_vccnz .LBB286_301
; %bb.300:
	v_mov_b32_e32 v1, v11
	s_delay_alu instid0(VALU_DEP_1) | instskip(NEXT) | instid1(VALU_DEP_1)
	v_mul_u64_e32 v[2:3], s[38:39], v[0:1]
	v_add_nc_u32_e32 v1, v0, v3
	s_delay_alu instid0(VALU_DEP_1) | instskip(NEXT) | instid1(VALU_DEP_1)
	v_lshrrev_b32_e32 v1, s37, v1
	v_mul_lo_u32 v1, v1, s19
	s_delay_alu instid0(VALU_DEP_1) | instskip(NEXT) | instid1(VALU_DEP_1)
	v_sub_nc_u32_e32 v0, v0, v1
	v_mad_u32 v12, v0, s22, v12
	v_mad_u32 v13, v0, s23, v13
.LBB286_301:
	v_dual_mov_b32 v0, s24 :: v_dual_mov_b32 v1, s25
	v_dual_mov_b32 v2, s14 :: v_dual_mov_b32 v3, s15
	s_delay_alu instid0(VALU_DEP_3) | instskip(SKIP_2) | instid1(SALU_CYCLE_1)
	v_dual_mov_b32 v4, v13 :: v_dual_mov_b32 v5, s17
	s_get_pc_i64 s[0:1]
	s_add_nc_u64 s[0:1], s[0:1], _ZN2at6native6invokeINS0_13AUnaryFunctorIN3c1013Float8_e4m3fnES4_bNS0_12_GLOBAL__N_116CompareEqFunctorIS4_EEEEj15function_traitsIS8_EEENT1_11result_typeERKT_PrKPcPKT0_PKNS3_10ScalarTypeEi@rel64+4
	s_swap_pc_i64 s[30:31], s[0:1]
	v_dual_mov_b32 v13, 0 :: v_dual_bitop2_b32 v0, 1, v0 bitop3:0x40
	s_and_b32 s2, s26, 0xff
	s_delay_alu instid0(SALU_CYCLE_1) | instskip(NEXT) | instid1(VALU_DEP_1)
	s_cmp_lt_i32 s2, 11
	v_cmp_eq_u32_e64 s0, 1, v0
	s_delay_alu instid0(VALU_DEP_2)
	v_add_nc_u64_e32 v[0:1], s[12:13], v[12:13]
	s_cbranch_scc1 .LBB286_308
; %bb.302:
	s_and_b32 s3, 0xffff, s2
	s_delay_alu instid0(SALU_CYCLE_1)
	s_cmp_gt_i32 s3, 25
	s_cbranch_scc0 .LBB286_309
; %bb.303:
	s_cmp_gt_i32 s3, 28
	s_cbranch_scc0 .LBB286_310
; %bb.304:
	;; [unrolled: 3-line block ×4, first 2 shown]
	s_mov_b32 s5, 0
	s_mov_b32 s1, -1
	s_cmp_eq_u32 s3, 46
	s_mov_b32 s4, 0
	s_cbranch_scc0 .LBB286_317
; %bb.307:
	v_cndmask_b32_e64 v2, 0, 1.0, s0
	s_mov_b32 s4, -1
	s_mov_b32 s1, 0
	s_delay_alu instid0(VALU_DEP_1) | instskip(NEXT) | instid1(VALU_DEP_1)
	v_bfe_u32 v3, v2, 16, 1
	v_add3_u32 v2, v2, v3, 0x7fff
	s_delay_alu instid0(VALU_DEP_1)
	v_lshrrev_b32_e32 v2, 16, v2
	global_store_b32 v[0:1], v2, off
	s_branch .LBB286_317
.LBB286_308:
	s_mov_b32 s3, -1
	s_mov_b32 s4, 0
	s_mov_b32 s1, s50
	s_branch .LBB286_386
.LBB286_309:
	s_mov_b32 s5, -1
	s_mov_b32 s4, 0
	s_mov_b32 s1, s50
	s_branch .LBB286_344
.LBB286_310:
	s_mov_b32 s5, -1
	s_mov_b32 s4, 0
	s_mov_b32 s1, s50
	s_branch .LBB286_327
.LBB286_311:
	s_and_not1_saveexec_b32 s6, s6
	s_cbranch_execz .LBB286_196
.LBB286_312:
	v_add_f32_e32 v2, 0x46000000, v3
	s_and_not1_b32 s5, s5, exec_lo
	s_delay_alu instid0(VALU_DEP_1) | instskip(NEXT) | instid1(VALU_DEP_1)
	v_and_b32_e32 v2, 0xff, v2
	v_cmp_ne_u32_e32 vcc_lo, 0, v2
	s_and_b32 s7, vcc_lo, exec_lo
	s_delay_alu instid0(SALU_CYCLE_1)
	s_or_b32 s5, s5, s7
	s_or_b32 exec_lo, exec_lo, s6
	v_mov_b32_e32 v4, 0
	s_and_saveexec_b32 s6, s5
	s_cbranch_execnz .LBB286_197
	s_branch .LBB286_198
.LBB286_313:
	s_mov_b32 s5, -1
	s_mov_b32 s4, 0
	s_mov_b32 s1, s50
	s_branch .LBB286_323
.LBB286_314:
	s_and_not1_saveexec_b32 s6, s6
	s_cbranch_execz .LBB286_209
.LBB286_315:
	v_add_f32_e32 v2, 0x42800000, v3
	s_and_not1_b32 s5, s5, exec_lo
	s_delay_alu instid0(VALU_DEP_1) | instskip(NEXT) | instid1(VALU_DEP_1)
	v_and_b32_e32 v2, 0xff, v2
	v_cmp_ne_u32_e32 vcc_lo, 0, v2
	s_and_b32 s7, vcc_lo, exec_lo
	s_delay_alu instid0(SALU_CYCLE_1)
	s_or_b32 s5, s5, s7
	s_or_b32 exec_lo, exec_lo, s6
	v_mov_b32_e32 v4, 0
	s_and_saveexec_b32 s6, s5
	s_cbranch_execnz .LBB286_210
	s_branch .LBB286_211
.LBB286_316:
	s_mov_b32 s5, -1
	s_mov_b32 s4, 0
	s_mov_b32 s1, s50
.LBB286_317:
	s_and_b32 vcc_lo, exec_lo, s5
	s_cbranch_vccz .LBB286_322
; %bb.318:
	s_cmp_eq_u32 s3, 44
	s_mov_b32 s1, -1
	s_cbranch_scc0 .LBB286_322
; %bb.319:
	v_cndmask_b32_e64 v4, 0, 1.0, s0
	s_mov_b32 s4, exec_lo
	s_wait_xcnt 0x0
	s_delay_alu instid0(VALU_DEP_1) | instskip(NEXT) | instid1(VALU_DEP_1)
	v_dual_mov_b32 v3, 0xff :: v_dual_lshrrev_b32 v2, 23, v4
	v_cmpx_ne_u32_e32 0xff, v2
; %bb.320:
	v_and_b32_e32 v3, 0x400000, v4
	v_and_or_b32 v4, 0x3fffff, v4, v2
	s_delay_alu instid0(VALU_DEP_2) | instskip(NEXT) | instid1(VALU_DEP_2)
	v_cmp_ne_u32_e32 vcc_lo, 0, v3
	v_cmp_ne_u32_e64 s1, 0, v4
	s_and_b32 s1, vcc_lo, s1
	s_delay_alu instid0(SALU_CYCLE_1) | instskip(NEXT) | instid1(VALU_DEP_1)
	v_cndmask_b32_e64 v3, 0, 1, s1
	v_add_nc_u32_e32 v3, v2, v3
; %bb.321:
	s_or_b32 exec_lo, exec_lo, s4
	s_mov_b32 s4, -1
	s_mov_b32 s1, 0
	global_store_b8 v[0:1], v3, off
.LBB286_322:
	s_mov_b32 s5, 0
.LBB286_323:
	s_delay_alu instid0(SALU_CYCLE_1)
	s_and_b32 vcc_lo, exec_lo, s5
	s_cbranch_vccz .LBB286_326
; %bb.324:
	s_cmp_eq_u32 s3, 29
	s_mov_b32 s1, -1
	s_cbranch_scc0 .LBB286_326
; %bb.325:
	s_mov_b32 s1, 0
	s_wait_xcnt 0x0
	v_cndmask_b32_e64 v2, 0, 1, s0
	v_mov_b32_e32 v3, s1
	s_mov_b32 s4, -1
	s_mov_b32 s5, 0
	global_store_b64 v[0:1], v[2:3], off
	s_branch .LBB286_327
.LBB286_326:
	s_mov_b32 s5, 0
.LBB286_327:
	s_delay_alu instid0(SALU_CYCLE_1)
	s_and_b32 vcc_lo, exec_lo, s5
	s_cbranch_vccz .LBB286_343
; %bb.328:
	s_cmp_lt_i32 s3, 27
	s_mov_b32 s4, -1
	s_cbranch_scc1 .LBB286_334
; %bb.329:
	s_cmp_gt_i32 s3, 27
	s_cbranch_scc0 .LBB286_331
; %bb.330:
	s_wait_xcnt 0x0
	v_cndmask_b32_e64 v2, 0, 1, s0
	s_mov_b32 s4, 0
	global_store_b32 v[0:1], v2, off
.LBB286_331:
	s_and_not1_b32 vcc_lo, exec_lo, s4
	s_cbranch_vccnz .LBB286_333
; %bb.332:
	s_wait_xcnt 0x0
	v_cndmask_b32_e64 v2, 0, 1, s0
	global_store_b16 v[0:1], v2, off
.LBB286_333:
	s_mov_b32 s4, 0
.LBB286_334:
	s_delay_alu instid0(SALU_CYCLE_1)
	s_and_not1_b32 vcc_lo, exec_lo, s4
	s_cbranch_vccnz .LBB286_342
; %bb.335:
	s_wait_xcnt 0x0
	v_cndmask_b32_e64 v3, 0, 1.0, s0
	v_mov_b32_e32 v4, 0x80
	s_mov_b32 s4, exec_lo
	s_delay_alu instid0(VALU_DEP_2)
	v_cmpx_gt_u32_e32 0x43800000, v3
	s_cbranch_execz .LBB286_341
; %bb.336:
	s_mov_b32 s5, 0
	s_mov_b32 s6, exec_lo
                                        ; implicit-def: $vgpr2
	v_cmpx_lt_u32_e32 0x3bffffff, v3
	s_xor_b32 s6, exec_lo, s6
	s_cbranch_execz .LBB286_454
; %bb.337:
	v_bfe_u32 v2, v3, 20, 1
	s_mov_b32 s5, exec_lo
	s_delay_alu instid0(VALU_DEP_1) | instskip(NEXT) | instid1(VALU_DEP_1)
	v_add3_u32 v2, v3, v2, 0x487ffff
                                        ; implicit-def: $vgpr3
	v_lshrrev_b32_e32 v2, 20, v2
	s_and_not1_saveexec_b32 s6, s6
	s_cbranch_execnz .LBB286_455
.LBB286_338:
	s_or_b32 exec_lo, exec_lo, s6
	v_mov_b32_e32 v4, 0
	s_and_saveexec_b32 s6, s5
.LBB286_339:
	v_mov_b32_e32 v4, v2
.LBB286_340:
	s_or_b32 exec_lo, exec_lo, s6
.LBB286_341:
	s_delay_alu instid0(SALU_CYCLE_1)
	s_or_b32 exec_lo, exec_lo, s4
	global_store_b8 v[0:1], v4, off
.LBB286_342:
	s_mov_b32 s4, -1
.LBB286_343:
	s_mov_b32 s5, 0
.LBB286_344:
	s_delay_alu instid0(SALU_CYCLE_1)
	s_and_b32 vcc_lo, exec_lo, s5
	s_cbranch_vccz .LBB286_385
; %bb.345:
	s_cmp_gt_i32 s3, 22
	s_mov_b32 s5, -1
	s_cbranch_scc0 .LBB286_377
; %bb.346:
	s_cmp_lt_i32 s3, 24
	s_mov_b32 s4, -1
	s_cbranch_scc1 .LBB286_366
; %bb.347:
	s_cmp_gt_i32 s3, 24
	s_cbranch_scc0 .LBB286_355
; %bb.348:
	s_wait_xcnt 0x0
	v_cndmask_b32_e64 v3, 0, 1.0, s0
	v_mov_b32_e32 v4, 0x80
	s_mov_b32 s4, exec_lo
	s_delay_alu instid0(VALU_DEP_2)
	v_cmpx_gt_u32_e32 0x47800000, v3
	s_cbranch_execz .LBB286_354
; %bb.349:
	s_mov_b32 s5, 0
	s_mov_b32 s6, exec_lo
                                        ; implicit-def: $vgpr2
	v_cmpx_lt_u32_e32 0x37ffffff, v3
	s_xor_b32 s6, exec_lo, s6
	s_cbranch_execz .LBB286_456
; %bb.350:
	v_bfe_u32 v2, v3, 21, 1
	s_mov_b32 s5, exec_lo
	s_delay_alu instid0(VALU_DEP_1) | instskip(NEXT) | instid1(VALU_DEP_1)
	v_add3_u32 v2, v3, v2, 0x88fffff
                                        ; implicit-def: $vgpr3
	v_lshrrev_b32_e32 v2, 21, v2
	s_and_not1_saveexec_b32 s6, s6
	s_cbranch_execnz .LBB286_457
.LBB286_351:
	s_or_b32 exec_lo, exec_lo, s6
	v_mov_b32_e32 v4, 0
	s_and_saveexec_b32 s6, s5
.LBB286_352:
	v_mov_b32_e32 v4, v2
.LBB286_353:
	s_or_b32 exec_lo, exec_lo, s6
.LBB286_354:
	s_delay_alu instid0(SALU_CYCLE_1)
	s_or_b32 exec_lo, exec_lo, s4
	s_mov_b32 s4, 0
	global_store_b8 v[0:1], v4, off
.LBB286_355:
	s_and_b32 vcc_lo, exec_lo, s4
	s_cbranch_vccz .LBB286_365
; %bb.356:
	s_wait_xcnt 0x0
	v_cndmask_b32_e64 v3, 0, 1.0, s0
	s_mov_b32 s4, exec_lo
                                        ; implicit-def: $vgpr2
	s_delay_alu instid0(VALU_DEP_1)
	v_cmpx_gt_u32_e32 0x43f00000, v3
	s_xor_b32 s4, exec_lo, s4
	s_cbranch_execz .LBB286_362
; %bb.357:
	s_mov_b32 s5, exec_lo
                                        ; implicit-def: $vgpr2
	v_cmpx_lt_u32_e32 0x3c7fffff, v3
	s_xor_b32 s5, exec_lo, s5
; %bb.358:
	v_bfe_u32 v2, v3, 20, 1
	s_delay_alu instid0(VALU_DEP_1) | instskip(NEXT) | instid1(VALU_DEP_1)
	v_add3_u32 v2, v3, v2, 0x407ffff
	v_and_b32_e32 v3, 0xff00000, v2
	v_lshrrev_b32_e32 v2, 20, v2
	s_delay_alu instid0(VALU_DEP_2) | instskip(NEXT) | instid1(VALU_DEP_2)
	v_cmp_ne_u32_e32 vcc_lo, 0x7f00000, v3
                                        ; implicit-def: $vgpr3
	v_cndmask_b32_e32 v2, 0x7e, v2, vcc_lo
; %bb.359:
	s_and_not1_saveexec_b32 s5, s5
; %bb.360:
	v_add_f32_e32 v2, 0x46800000, v3
; %bb.361:
	s_or_b32 exec_lo, exec_lo, s5
                                        ; implicit-def: $vgpr3
.LBB286_362:
	s_and_not1_saveexec_b32 s4, s4
; %bb.363:
	v_mov_b32_e32 v2, 0x7f
	v_cmp_lt_u32_e32 vcc_lo, 0x7f800000, v3
	s_delay_alu instid0(VALU_DEP_2)
	v_cndmask_b32_e32 v2, 0x7e, v2, vcc_lo
; %bb.364:
	s_or_b32 exec_lo, exec_lo, s4
	global_store_b8 v[0:1], v2, off
.LBB286_365:
	s_mov_b32 s4, 0
.LBB286_366:
	s_delay_alu instid0(SALU_CYCLE_1)
	s_and_not1_b32 vcc_lo, exec_lo, s4
	s_cbranch_vccnz .LBB286_376
; %bb.367:
	s_wait_xcnt 0x0
	v_cndmask_b32_e64 v3, 0, 1.0, s0
	s_mov_b32 s4, exec_lo
                                        ; implicit-def: $vgpr2
	s_delay_alu instid0(VALU_DEP_1)
	v_cmpx_gt_u32_e32 0x47800000, v3
	s_xor_b32 s4, exec_lo, s4
	s_cbranch_execz .LBB286_373
; %bb.368:
	s_mov_b32 s5, exec_lo
                                        ; implicit-def: $vgpr2
	v_cmpx_lt_u32_e32 0x387fffff, v3
	s_xor_b32 s5, exec_lo, s5
; %bb.369:
	v_bfe_u32 v2, v3, 21, 1
	s_delay_alu instid0(VALU_DEP_1) | instskip(NEXT) | instid1(VALU_DEP_1)
	v_add3_u32 v2, v3, v2, 0x80fffff
                                        ; implicit-def: $vgpr3
	v_lshrrev_b32_e32 v2, 21, v2
; %bb.370:
	s_and_not1_saveexec_b32 s5, s5
; %bb.371:
	v_add_f32_e32 v2, 0x43000000, v3
; %bb.372:
	s_or_b32 exec_lo, exec_lo, s5
                                        ; implicit-def: $vgpr3
.LBB286_373:
	s_and_not1_saveexec_b32 s4, s4
; %bb.374:
	v_mov_b32_e32 v2, 0x7f
	v_cmp_lt_u32_e32 vcc_lo, 0x7f800000, v3
	s_delay_alu instid0(VALU_DEP_2)
	v_cndmask_b32_e32 v2, 0x7c, v2, vcc_lo
; %bb.375:
	s_or_b32 exec_lo, exec_lo, s4
	global_store_b8 v[0:1], v2, off
.LBB286_376:
	s_mov_b32 s5, 0
	s_mov_b32 s4, -1
.LBB286_377:
	s_and_not1_b32 vcc_lo, exec_lo, s5
	s_cbranch_vccnz .LBB286_385
; %bb.378:
	s_cmp_gt_i32 s3, 14
	s_mov_b32 s5, -1
	s_cbranch_scc0 .LBB286_382
; %bb.379:
	s_cmp_eq_u32 s3, 15
	s_mov_b32 s1, -1
	s_cbranch_scc0 .LBB286_381
; %bb.380:
	s_wait_xcnt 0x0
	v_cndmask_b32_e64 v2, 0, 1.0, s0
	s_mov_b32 s4, -1
	s_mov_b32 s1, 0
	s_delay_alu instid0(VALU_DEP_1) | instskip(NEXT) | instid1(VALU_DEP_1)
	v_bfe_u32 v3, v2, 16, 1
	v_add3_u32 v2, v2, v3, 0x7fff
	global_store_d16_hi_b16 v[0:1], v2, off
.LBB286_381:
	s_mov_b32 s5, 0
.LBB286_382:
	s_delay_alu instid0(SALU_CYCLE_1)
	s_and_b32 vcc_lo, exec_lo, s5
	s_cbranch_vccz .LBB286_385
; %bb.383:
	s_cmp_eq_u32 s3, 11
	s_mov_b32 s1, -1
	s_cbranch_scc0 .LBB286_385
; %bb.384:
	s_wait_xcnt 0x0
	v_cndmask_b32_e64 v2, 0, 1, s0
	s_mov_b32 s4, -1
	s_mov_b32 s1, 0
	global_store_b8 v[0:1], v2, off
.LBB286_385:
	s_mov_b32 s3, 0
.LBB286_386:
	s_delay_alu instid0(SALU_CYCLE_1)
	s_and_b32 vcc_lo, exec_lo, s3
	s_cbranch_vccz .LBB286_425
; %bb.387:
	s_and_b32 s2, 0xffff, s2
	s_mov_b32 s3, -1
	s_cmp_lt_i32 s2, 5
	s_cbranch_scc1 .LBB286_408
; %bb.388:
	s_cmp_lt_i32 s2, 8
	s_cbranch_scc1 .LBB286_398
; %bb.389:
	;; [unrolled: 3-line block ×3, first 2 shown]
	s_cmp_gt_i32 s2, 9
	s_cbranch_scc0 .LBB286_392
; %bb.391:
	s_wait_xcnt 0x0
	v_cndmask_b32_e64 v2, 0, 1, s0
	v_mov_b32_e32 v4, 0
	s_mov_b32 s3, 0
	s_delay_alu instid0(VALU_DEP_2) | instskip(NEXT) | instid1(VALU_DEP_2)
	v_cvt_f64_u32_e32 v[2:3], v2
	v_mov_b32_e32 v5, v4
	global_store_b128 v[0:1], v[2:5], off
.LBB286_392:
	s_and_not1_b32 vcc_lo, exec_lo, s3
	s_cbranch_vccnz .LBB286_394
; %bb.393:
	s_wait_xcnt 0x0
	v_cndmask_b32_e64 v2, 0, 1.0, s0
	v_mov_b32_e32 v3, 0
	global_store_b64 v[0:1], v[2:3], off
.LBB286_394:
	s_mov_b32 s3, 0
.LBB286_395:
	s_delay_alu instid0(SALU_CYCLE_1)
	s_and_not1_b32 vcc_lo, exec_lo, s3
	s_cbranch_vccnz .LBB286_397
; %bb.396:
	s_wait_xcnt 0x0
	v_cndmask_b32_e64 v2, 0, 1.0, s0
	s_delay_alu instid0(VALU_DEP_1) | instskip(NEXT) | instid1(VALU_DEP_1)
	v_cvt_f16_f32_e32 v2, v2
	v_and_b32_e32 v2, 0xffff, v2
	global_store_b32 v[0:1], v2, off
.LBB286_397:
	s_mov_b32 s3, 0
.LBB286_398:
	s_delay_alu instid0(SALU_CYCLE_1)
	s_and_not1_b32 vcc_lo, exec_lo, s3
	s_cbranch_vccnz .LBB286_407
; %bb.399:
	s_cmp_lt_i32 s2, 6
	s_mov_b32 s3, -1
	s_cbranch_scc1 .LBB286_405
; %bb.400:
	s_cmp_gt_i32 s2, 6
	s_cbranch_scc0 .LBB286_402
; %bb.401:
	s_wait_xcnt 0x0
	v_cndmask_b32_e64 v2, 0, 1, s0
	s_mov_b32 s3, 0
	s_delay_alu instid0(VALU_DEP_1)
	v_cvt_f64_u32_e32 v[2:3], v2
	global_store_b64 v[0:1], v[2:3], off
.LBB286_402:
	s_and_not1_b32 vcc_lo, exec_lo, s3
	s_cbranch_vccnz .LBB286_404
; %bb.403:
	s_wait_xcnt 0x0
	v_cndmask_b32_e64 v2, 0, 1.0, s0
	global_store_b32 v[0:1], v2, off
.LBB286_404:
	s_mov_b32 s3, 0
.LBB286_405:
	s_delay_alu instid0(SALU_CYCLE_1)
	s_and_not1_b32 vcc_lo, exec_lo, s3
	s_cbranch_vccnz .LBB286_407
; %bb.406:
	s_wait_xcnt 0x0
	v_cndmask_b32_e64 v2, 0, 1.0, s0
	s_delay_alu instid0(VALU_DEP_1)
	v_cvt_f16_f32_e32 v2, v2
	global_store_b16 v[0:1], v2, off
.LBB286_407:
	s_mov_b32 s3, 0
.LBB286_408:
	s_delay_alu instid0(SALU_CYCLE_1)
	s_and_not1_b32 vcc_lo, exec_lo, s3
	s_cbranch_vccnz .LBB286_424
; %bb.409:
	s_cmp_lt_i32 s2, 2
	s_mov_b32 s3, -1
	s_cbranch_scc1 .LBB286_419
; %bb.410:
	s_cmp_lt_i32 s2, 3
	s_cbranch_scc1 .LBB286_416
; %bb.411:
	s_cmp_gt_i32 s2, 3
	s_cbranch_scc0 .LBB286_413
; %bb.412:
	s_mov_b32 s3, 0
	s_wait_xcnt 0x0
	v_cndmask_b32_e64 v2, 0, 1, s0
	v_mov_b32_e32 v3, s3
	global_store_b64 v[0:1], v[2:3], off
.LBB286_413:
	s_and_not1_b32 vcc_lo, exec_lo, s3
	s_cbranch_vccnz .LBB286_415
; %bb.414:
	s_wait_xcnt 0x0
	v_cndmask_b32_e64 v2, 0, 1, s0
	global_store_b32 v[0:1], v2, off
.LBB286_415:
	s_mov_b32 s3, 0
.LBB286_416:
	s_delay_alu instid0(SALU_CYCLE_1)
	s_and_not1_b32 vcc_lo, exec_lo, s3
	s_cbranch_vccnz .LBB286_418
; %bb.417:
	s_wait_xcnt 0x0
	v_cndmask_b32_e64 v2, 0, 1, s0
	global_store_b16 v[0:1], v2, off
.LBB286_418:
	s_mov_b32 s3, 0
.LBB286_419:
	s_delay_alu instid0(SALU_CYCLE_1)
	s_and_not1_b32 vcc_lo, exec_lo, s3
	s_cbranch_vccnz .LBB286_424
; %bb.420:
	s_wait_xcnt 0x0
	v_cndmask_b32_e64 v2, 0, 1, s0
	s_cmp_gt_i32 s2, 0
	s_mov_b32 s0, -1
	s_cbranch_scc0 .LBB286_422
; %bb.421:
	s_mov_b32 s0, 0
	global_store_b8 v[0:1], v2, off
.LBB286_422:
	s_and_not1_b32 vcc_lo, exec_lo, s0
	s_cbranch_vccnz .LBB286_424
; %bb.423:
	global_store_b8 v[0:1], v2, off
.LBB286_424:
	s_mov_b32 s4, -1
.LBB286_425:
	s_delay_alu instid0(SALU_CYCLE_1)
	s_and_not1_b32 vcc_lo, exec_lo, s4
	s_cbranch_vccnz .LBB286_427
; %bb.426:
	v_add_nc_u32_e32 v10, 0x80, v10
	s_mov_b32 s0, -1
	s_branch .LBB286_428
.LBB286_427:
	s_mov_b32 s0, 0
                                        ; implicit-def: $vgpr10
.LBB286_428:
	s_and_not1_b32 s2, s50, exec_lo
	s_and_b32 s1, s1, exec_lo
	s_or_not1_b32 s4, s0, exec_lo
	s_or_b32 s53, s2, s1
.LBB286_429:
	s_wait_xcnt 0x0
	s_or_b32 exec_lo, exec_lo, s52
	s_mov_b32 s0, 0
	s_mov_b32 s3, 0
                                        ; implicit-def: $sgpr1
                                        ; implicit-def: $sgpr2
                                        ; implicit-def: $vgpr0_vgpr1
	s_and_saveexec_b32 s52, s4
	s_cbranch_execz .LBB286_528
; %bb.430:
	v_cmp_gt_i32_e32 vcc_lo, s46, v10
	s_mov_b32 s4, s53
                                        ; implicit-def: $sgpr1
                                        ; implicit-def: $sgpr2
                                        ; implicit-def: $vgpr0_vgpr1
	s_and_saveexec_b32 s46, vcc_lo
	s_cbranch_execz .LBB286_527
; %bb.431:
	s_and_not1_b32 vcc_lo, exec_lo, s43
	s_cbranch_vccnz .LBB286_436
; %bb.432:
	s_and_not1_b32 vcc_lo, exec_lo, s48
	s_cbranch_vccnz .LBB286_437
; %bb.433:
	s_add_co_i32 s47, s47, 1
	s_cmp_eq_u32 s33, 2
	s_cbranch_scc1 .LBB286_438
; %bb.434:
	v_dual_mov_b32 v12, 0 :: v_dual_mov_b32 v13, 0
	v_mov_b32_e32 v0, v10
	s_and_b32 s0, s47, 28
	s_mov_b32 s1, 0
	s_mov_b64 s[2:3], s[28:29]
.LBB286_435:                            ; =>This Inner Loop Header: Depth=1
	s_clause 0x1
	s_load_b256 s[4:11], s[2:3], 0x4
	s_load_b128 s[64:67], s[2:3], 0x24
	s_load_b256 s[56:63], s[40:41], 0x0
	s_add_co_i32 s1, s1, 4
	s_wait_xcnt 0x0
	s_add_nc_u64 s[2:3], s[2:3], 48
	s_cmp_eq_u32 s0, s1
	s_add_nc_u64 s[40:41], s[40:41], 32
	s_wait_kmcnt 0x0
	v_mul_hi_u32 v1, s5, v0
	s_delay_alu instid0(VALU_DEP_1) | instskip(NEXT) | instid1(VALU_DEP_1)
	v_add_nc_u32_e32 v1, v0, v1
	v_lshrrev_b32_e32 v1, s6, v1
	s_delay_alu instid0(VALU_DEP_1) | instskip(NEXT) | instid1(VALU_DEP_1)
	v_mul_hi_u32 v2, s8, v1
	v_add_nc_u32_e32 v2, v1, v2
	s_delay_alu instid0(VALU_DEP_1) | instskip(NEXT) | instid1(VALU_DEP_1)
	v_lshrrev_b32_e32 v2, s9, v2
	v_mul_hi_u32 v3, s11, v2
	s_delay_alu instid0(VALU_DEP_1) | instskip(SKIP_1) | instid1(VALU_DEP_1)
	v_add_nc_u32_e32 v3, v2, v3
	v_mul_lo_u32 v4, v1, s4
	v_sub_nc_u32_e32 v0, v0, v4
	v_mul_lo_u32 v4, v2, s7
	s_delay_alu instid0(VALU_DEP_4) | instskip(NEXT) | instid1(VALU_DEP_3)
	v_lshrrev_b32_e32 v3, s64, v3
	v_mad_u32 v6, v0, s57, v13
	v_mad_u32 v0, v0, s56, v12
	s_delay_alu instid0(VALU_DEP_4) | instskip(NEXT) | instid1(VALU_DEP_4)
	v_sub_nc_u32_e32 v1, v1, v4
	v_mul_hi_u32 v5, s66, v3
	v_mul_lo_u32 v4, v3, s10
	s_delay_alu instid0(VALU_DEP_3) | instskip(SKIP_1) | instid1(VALU_DEP_3)
	v_mad_u32 v6, v1, s59, v6
	v_mad_u32 v1, v1, s58, v0
	v_dual_add_nc_u32 v5, v3, v5 :: v_dual_sub_nc_u32 v2, v2, v4
	s_delay_alu instid0(VALU_DEP_1) | instskip(NEXT) | instid1(VALU_DEP_2)
	v_lshrrev_b32_e32 v0, s67, v5
	v_mad_u32 v5, v2, s61, v6
	s_delay_alu instid0(VALU_DEP_4) | instskip(NEXT) | instid1(VALU_DEP_3)
	v_mad_u32 v1, v2, s60, v1
	v_mul_lo_u32 v4, v0, s65
	s_delay_alu instid0(VALU_DEP_1) | instskip(NEXT) | instid1(VALU_DEP_1)
	v_sub_nc_u32_e32 v2, v3, v4
	v_mad_u32 v13, v2, s63, v5
	s_delay_alu instid0(VALU_DEP_4)
	v_mad_u32 v12, v2, s62, v1
	s_cbranch_scc0 .LBB286_435
	s_branch .LBB286_439
.LBB286_436:
	s_mov_b32 s0, -1
                                        ; implicit-def: $vgpr13
	s_branch .LBB286_443
.LBB286_437:
	v_dual_mov_b32 v13, 0 :: v_dual_mov_b32 v12, 0
	s_branch .LBB286_442
.LBB286_438:
	v_mov_b64_e32 v[12:13], 0
	v_mov_b32_e32 v0, v10
.LBB286_439:
	s_and_b32 s4, s47, 3
	s_mov_b32 s1, 0
	s_cmp_eq_u32 s4, 0
	s_cbranch_scc1 .LBB286_442
; %bb.440:
	s_lshl_b32 s2, s0, 3
	s_mov_b32 s3, s1
	s_mul_u64 s[6:7], s[0:1], 12
	s_add_nc_u64 s[2:3], s[28:29], s[2:3]
	s_delay_alu instid0(SALU_CYCLE_1)
	s_add_nc_u64 s[0:1], s[2:3], 0xc4
	s_add_nc_u64 s[2:3], s[28:29], s[6:7]
.LBB286_441:                            ; =>This Inner Loop Header: Depth=1
	s_load_b96 s[8:10], s[2:3], 0x4
	s_load_b64 s[6:7], s[0:1], 0x0
	s_add_co_i32 s4, s4, -1
	s_wait_xcnt 0x0
	s_add_nc_u64 s[2:3], s[2:3], 12
	s_cmp_lg_u32 s4, 0
	s_add_nc_u64 s[0:1], s[0:1], 8
	s_wait_kmcnt 0x0
	v_mul_hi_u32 v1, s9, v0
	s_delay_alu instid0(VALU_DEP_1) | instskip(NEXT) | instid1(VALU_DEP_1)
	v_add_nc_u32_e32 v1, v0, v1
	v_lshrrev_b32_e32 v1, s10, v1
	s_delay_alu instid0(VALU_DEP_1) | instskip(NEXT) | instid1(VALU_DEP_1)
	v_mul_lo_u32 v2, v1, s8
	v_sub_nc_u32_e32 v0, v0, v2
	s_delay_alu instid0(VALU_DEP_1)
	v_mad_u32 v13, v0, s7, v13
	v_mad_u32 v12, v0, s6, v12
	v_mov_b32_e32 v0, v1
	s_cbranch_scc1 .LBB286_441
.LBB286_442:
	s_mov_b32 s0, 0
.LBB286_443:
	s_delay_alu instid0(SALU_CYCLE_1)
	s_and_not1_b32 vcc_lo, exec_lo, s0
	s_cbranch_vccnz .LBB286_446
; %bb.444:
	v_mov_b32_e32 v11, 0
	s_and_not1_b32 vcc_lo, exec_lo, s45
	s_delay_alu instid0(VALU_DEP_1) | instskip(NEXT) | instid1(VALU_DEP_1)
	v_mul_u64_e32 v[0:1], s[34:35], v[10:11]
	v_add_nc_u32_e32 v0, v10, v1
	s_delay_alu instid0(VALU_DEP_1) | instskip(NEXT) | instid1(VALU_DEP_1)
	v_lshrrev_b32_e32 v0, s18, v0
	v_mul_lo_u32 v1, v0, s16
	s_delay_alu instid0(VALU_DEP_1) | instskip(NEXT) | instid1(VALU_DEP_1)
	v_sub_nc_u32_e32 v1, v10, v1
	v_mul_lo_u32 v13, v1, s21
	v_mul_lo_u32 v12, v1, s20
	s_cbranch_vccnz .LBB286_446
; %bb.445:
	v_mov_b32_e32 v1, v11
	s_delay_alu instid0(VALU_DEP_1) | instskip(NEXT) | instid1(VALU_DEP_1)
	v_mul_u64_e32 v[2:3], s[38:39], v[0:1]
	v_add_nc_u32_e32 v1, v0, v3
	s_delay_alu instid0(VALU_DEP_1) | instskip(NEXT) | instid1(VALU_DEP_1)
	v_lshrrev_b32_e32 v1, s37, v1
	v_mul_lo_u32 v1, v1, s19
	s_delay_alu instid0(VALU_DEP_1) | instskip(NEXT) | instid1(VALU_DEP_1)
	v_sub_nc_u32_e32 v0, v0, v1
	v_mad_u32 v12, v0, s22, v12
	v_mad_u32 v13, v0, s23, v13
.LBB286_446:
	v_dual_mov_b32 v0, s24 :: v_dual_mov_b32 v1, s25
	v_dual_mov_b32 v2, s14 :: v_dual_mov_b32 v3, s15
	s_delay_alu instid0(VALU_DEP_3) | instskip(SKIP_2) | instid1(SALU_CYCLE_1)
	v_dual_mov_b32 v4, v13 :: v_dual_mov_b32 v5, s17
	s_get_pc_i64 s[0:1]
	s_add_nc_u64 s[0:1], s[0:1], _ZN2at6native6invokeINS0_13AUnaryFunctorIN3c1013Float8_e4m3fnES4_bNS0_12_GLOBAL__N_116CompareEqFunctorIS4_EEEEj15function_traitsIS8_EEENT1_11result_typeERKT_PrKPcPKT0_PKNS3_10ScalarTypeEi@rel64+4
	s_swap_pc_i64 s[30:31], s[0:1]
	v_dual_mov_b32 v13, 0 :: v_dual_bitop2_b32 v0, 1, v0 bitop3:0x40
	s_and_b32 s2, s26, 0xff
	s_delay_alu instid0(SALU_CYCLE_1) | instskip(NEXT) | instid1(VALU_DEP_1)
	s_cmp_lt_i32 s2, 11
	v_cmp_eq_u32_e64 s1, 1, v0
	s_delay_alu instid0(VALU_DEP_2)
	v_add_nc_u64_e32 v[0:1], s[12:13], v[12:13]
	s_cbranch_scc1 .LBB286_453
; %bb.447:
	s_and_b32 s3, 0xffff, s2
	s_mov_b32 s4, -1
	s_cmp_gt_i32 s3, 25
	s_mov_b32 s0, s53
	s_cbranch_scc0 .LBB286_485
; %bb.448:
	s_cmp_gt_i32 s3, 28
	s_mov_b32 s0, s53
	s_cbranch_scc0 .LBB286_469
; %bb.449:
	;; [unrolled: 4-line block ×4, first 2 shown]
	s_cmp_eq_u32 s3, 46
	s_mov_b32 s0, -1
	s_cbranch_scc0 .LBB286_458
; %bb.452:
	v_cndmask_b32_e64 v2, 0, 1.0, s1
	s_mov_b32 s0, 0
	s_mov_b32 s4, 0
	s_delay_alu instid0(VALU_DEP_1) | instskip(NEXT) | instid1(VALU_DEP_1)
	v_bfe_u32 v3, v2, 16, 1
	v_add3_u32 v2, v2, v3, 0x7fff
	s_delay_alu instid0(VALU_DEP_1)
	v_lshrrev_b32_e32 v2, 16, v2
	global_store_b32 v[0:1], v2, off
	s_branch .LBB286_459
.LBB286_453:
	s_mov_b32 s5, 0
	s_mov_b32 s4, -1
	s_mov_b32 s0, s53
	s_branch .LBB286_526
.LBB286_454:
	s_and_not1_saveexec_b32 s6, s6
	s_cbranch_execz .LBB286_338
.LBB286_455:
	v_add_f32_e32 v2, 0x46000000, v3
	s_and_not1_b32 s5, s5, exec_lo
	s_delay_alu instid0(VALU_DEP_1) | instskip(NEXT) | instid1(VALU_DEP_1)
	v_and_b32_e32 v2, 0xff, v2
	v_cmp_ne_u32_e32 vcc_lo, 0, v2
	s_and_b32 s7, vcc_lo, exec_lo
	s_delay_alu instid0(SALU_CYCLE_1)
	s_or_b32 s5, s5, s7
	s_or_b32 exec_lo, exec_lo, s6
	v_mov_b32_e32 v4, 0
	s_and_saveexec_b32 s6, s5
	s_cbranch_execnz .LBB286_339
	s_branch .LBB286_340
.LBB286_456:
	s_and_not1_saveexec_b32 s6, s6
	s_cbranch_execz .LBB286_351
.LBB286_457:
	v_add_f32_e32 v2, 0x42800000, v3
	s_and_not1_b32 s5, s5, exec_lo
	s_delay_alu instid0(VALU_DEP_1) | instskip(NEXT) | instid1(VALU_DEP_1)
	v_and_b32_e32 v2, 0xff, v2
	v_cmp_ne_u32_e32 vcc_lo, 0, v2
	s_and_b32 s7, vcc_lo, exec_lo
	s_delay_alu instid0(SALU_CYCLE_1)
	s_or_b32 s5, s5, s7
	s_or_b32 exec_lo, exec_lo, s6
	v_mov_b32_e32 v4, 0
	s_and_saveexec_b32 s6, s5
	s_cbranch_execnz .LBB286_352
	s_branch .LBB286_353
.LBB286_458:
	s_mov_b32 s4, 0
.LBB286_459:
	s_delay_alu instid0(SALU_CYCLE_1)
	s_and_b32 vcc_lo, exec_lo, s4
	s_cbranch_vccz .LBB286_464
; %bb.460:
	s_cmp_eq_u32 s3, 44
	s_mov_b32 s0, -1
	s_cbranch_scc0 .LBB286_464
; %bb.461:
	v_cndmask_b32_e64 v4, 0, 1.0, s1
	s_mov_b32 s4, exec_lo
	s_wait_xcnt 0x0
	s_delay_alu instid0(VALU_DEP_1) | instskip(NEXT) | instid1(VALU_DEP_1)
	v_dual_mov_b32 v3, 0xff :: v_dual_lshrrev_b32 v2, 23, v4
	v_cmpx_ne_u32_e32 0xff, v2
; %bb.462:
	v_and_b32_e32 v3, 0x400000, v4
	v_and_or_b32 v4, 0x3fffff, v4, v2
	s_delay_alu instid0(VALU_DEP_2) | instskip(NEXT) | instid1(VALU_DEP_2)
	v_cmp_ne_u32_e32 vcc_lo, 0, v3
	v_cmp_ne_u32_e64 s0, 0, v4
	s_and_b32 s0, vcc_lo, s0
	s_delay_alu instid0(SALU_CYCLE_1) | instskip(NEXT) | instid1(VALU_DEP_1)
	v_cndmask_b32_e64 v3, 0, 1, s0
	v_add_nc_u32_e32 v3, v2, v3
; %bb.463:
	s_or_b32 exec_lo, exec_lo, s4
	s_mov_b32 s0, 0
	global_store_b8 v[0:1], v3, off
.LBB286_464:
	s_mov_b32 s4, 0
.LBB286_465:
	s_delay_alu instid0(SALU_CYCLE_1)
	s_and_b32 vcc_lo, exec_lo, s4
	s_cbranch_vccz .LBB286_468
; %bb.466:
	s_cmp_eq_u32 s3, 29
	s_mov_b32 s0, -1
	s_cbranch_scc0 .LBB286_468
; %bb.467:
	s_mov_b32 s0, 0
	s_wait_xcnt 0x0
	v_cndmask_b32_e64 v2, 0, 1, s1
	v_mov_b32_e32 v3, s0
	s_mov_b32 s4, 0
	global_store_b64 v[0:1], v[2:3], off
	s_branch .LBB286_469
.LBB286_468:
	s_mov_b32 s4, 0
.LBB286_469:
	s_delay_alu instid0(SALU_CYCLE_1)
	s_and_b32 vcc_lo, exec_lo, s4
	s_cbranch_vccz .LBB286_484
; %bb.470:
	s_cmp_lt_i32 s3, 27
	s_mov_b32 s4, -1
	s_cbranch_scc1 .LBB286_476
; %bb.471:
	s_wait_xcnt 0x0
	v_cndmask_b32_e64 v2, 0, 1, s1
	s_cmp_gt_i32 s3, 27
	s_cbranch_scc0 .LBB286_473
; %bb.472:
	s_mov_b32 s4, 0
	global_store_b32 v[0:1], v2, off
.LBB286_473:
	s_and_not1_b32 vcc_lo, exec_lo, s4
	s_cbranch_vccnz .LBB286_475
; %bb.474:
	global_store_b16 v[0:1], v2, off
.LBB286_475:
	s_mov_b32 s4, 0
.LBB286_476:
	s_delay_alu instid0(SALU_CYCLE_1)
	s_and_not1_b32 vcc_lo, exec_lo, s4
	s_cbranch_vccnz .LBB286_484
; %bb.477:
	s_wait_xcnt 0x0
	v_cndmask_b32_e64 v3, 0, 1.0, s1
	v_mov_b32_e32 v4, 0x80
	s_mov_b32 s4, exec_lo
	s_delay_alu instid0(VALU_DEP_2)
	v_cmpx_gt_u32_e32 0x43800000, v3
	s_cbranch_execz .LBB286_483
; %bb.478:
	s_mov_b32 s5, 0
	s_mov_b32 s6, exec_lo
                                        ; implicit-def: $vgpr2
	v_cmpx_lt_u32_e32 0x3bffffff, v3
	s_xor_b32 s6, exec_lo, s6
	s_cbranch_execz .LBB286_1122
; %bb.479:
	v_bfe_u32 v2, v3, 20, 1
	s_mov_b32 s5, exec_lo
	s_delay_alu instid0(VALU_DEP_1) | instskip(NEXT) | instid1(VALU_DEP_1)
	v_add3_u32 v2, v3, v2, 0x487ffff
                                        ; implicit-def: $vgpr3
	v_lshrrev_b32_e32 v2, 20, v2
	s_and_not1_saveexec_b32 s6, s6
	s_cbranch_execnz .LBB286_1123
.LBB286_480:
	s_or_b32 exec_lo, exec_lo, s6
	v_mov_b32_e32 v4, 0
	s_and_saveexec_b32 s6, s5
.LBB286_481:
	v_mov_b32_e32 v4, v2
.LBB286_482:
	s_or_b32 exec_lo, exec_lo, s6
.LBB286_483:
	s_delay_alu instid0(SALU_CYCLE_1)
	s_or_b32 exec_lo, exec_lo, s4
	global_store_b8 v[0:1], v4, off
.LBB286_484:
	s_mov_b32 s4, 0
.LBB286_485:
	s_delay_alu instid0(SALU_CYCLE_1)
	s_and_b32 vcc_lo, exec_lo, s4
	s_mov_b32 s4, 0
	s_cbranch_vccz .LBB286_525
; %bb.486:
	s_cmp_gt_i32 s3, 22
	s_mov_b32 s5, -1
	s_cbranch_scc0 .LBB286_518
; %bb.487:
	s_cmp_lt_i32 s3, 24
	s_cbranch_scc1 .LBB286_507
; %bb.488:
	s_cmp_gt_i32 s3, 24
	s_cbranch_scc0 .LBB286_496
; %bb.489:
	s_wait_xcnt 0x0
	v_cndmask_b32_e64 v3, 0, 1.0, s1
	v_mov_b32_e32 v4, 0x80
	s_mov_b32 s5, exec_lo
	s_delay_alu instid0(VALU_DEP_2)
	v_cmpx_gt_u32_e32 0x47800000, v3
	s_cbranch_execz .LBB286_495
; %bb.490:
	s_mov_b32 s6, 0
	s_mov_b32 s7, exec_lo
                                        ; implicit-def: $vgpr2
	v_cmpx_lt_u32_e32 0x37ffffff, v3
	s_xor_b32 s7, exec_lo, s7
	s_cbranch_execz .LBB286_1126
; %bb.491:
	v_bfe_u32 v2, v3, 21, 1
	s_mov_b32 s6, exec_lo
	s_delay_alu instid0(VALU_DEP_1) | instskip(NEXT) | instid1(VALU_DEP_1)
	v_add3_u32 v2, v3, v2, 0x88fffff
                                        ; implicit-def: $vgpr3
	v_lshrrev_b32_e32 v2, 21, v2
	s_and_not1_saveexec_b32 s7, s7
	s_cbranch_execnz .LBB286_1127
.LBB286_492:
	s_or_b32 exec_lo, exec_lo, s7
	v_mov_b32_e32 v4, 0
	s_and_saveexec_b32 s7, s6
.LBB286_493:
	v_mov_b32_e32 v4, v2
.LBB286_494:
	s_or_b32 exec_lo, exec_lo, s7
.LBB286_495:
	s_delay_alu instid0(SALU_CYCLE_1)
	s_or_b32 exec_lo, exec_lo, s5
	s_mov_b32 s5, 0
	global_store_b8 v[0:1], v4, off
.LBB286_496:
	s_and_b32 vcc_lo, exec_lo, s5
	s_cbranch_vccz .LBB286_506
; %bb.497:
	s_wait_xcnt 0x0
	v_cndmask_b32_e64 v3, 0, 1.0, s1
	s_mov_b32 s5, exec_lo
                                        ; implicit-def: $vgpr2
	s_delay_alu instid0(VALU_DEP_1)
	v_cmpx_gt_u32_e32 0x43f00000, v3
	s_xor_b32 s5, exec_lo, s5
	s_cbranch_execz .LBB286_503
; %bb.498:
	s_mov_b32 s6, exec_lo
                                        ; implicit-def: $vgpr2
	v_cmpx_lt_u32_e32 0x3c7fffff, v3
	s_xor_b32 s6, exec_lo, s6
; %bb.499:
	v_bfe_u32 v2, v3, 20, 1
	s_delay_alu instid0(VALU_DEP_1) | instskip(NEXT) | instid1(VALU_DEP_1)
	v_add3_u32 v2, v3, v2, 0x407ffff
	v_and_b32_e32 v3, 0xff00000, v2
	v_lshrrev_b32_e32 v2, 20, v2
	s_delay_alu instid0(VALU_DEP_2) | instskip(NEXT) | instid1(VALU_DEP_2)
	v_cmp_ne_u32_e32 vcc_lo, 0x7f00000, v3
                                        ; implicit-def: $vgpr3
	v_cndmask_b32_e32 v2, 0x7e, v2, vcc_lo
; %bb.500:
	s_and_not1_saveexec_b32 s6, s6
; %bb.501:
	v_add_f32_e32 v2, 0x46800000, v3
; %bb.502:
	s_or_b32 exec_lo, exec_lo, s6
                                        ; implicit-def: $vgpr3
.LBB286_503:
	s_and_not1_saveexec_b32 s5, s5
; %bb.504:
	v_mov_b32_e32 v2, 0x7f
	v_cmp_lt_u32_e32 vcc_lo, 0x7f800000, v3
	s_delay_alu instid0(VALU_DEP_2)
	v_cndmask_b32_e32 v2, 0x7e, v2, vcc_lo
; %bb.505:
	s_or_b32 exec_lo, exec_lo, s5
	global_store_b8 v[0:1], v2, off
.LBB286_506:
	s_mov_b32 s5, 0
.LBB286_507:
	s_delay_alu instid0(SALU_CYCLE_1)
	s_and_not1_b32 vcc_lo, exec_lo, s5
	s_cbranch_vccnz .LBB286_517
; %bb.508:
	s_wait_xcnt 0x0
	v_cndmask_b32_e64 v3, 0, 1.0, s1
	s_mov_b32 s5, exec_lo
                                        ; implicit-def: $vgpr2
	s_delay_alu instid0(VALU_DEP_1)
	v_cmpx_gt_u32_e32 0x47800000, v3
	s_xor_b32 s5, exec_lo, s5
	s_cbranch_execz .LBB286_514
; %bb.509:
	s_mov_b32 s6, exec_lo
                                        ; implicit-def: $vgpr2
	v_cmpx_lt_u32_e32 0x387fffff, v3
	s_xor_b32 s6, exec_lo, s6
; %bb.510:
	v_bfe_u32 v2, v3, 21, 1
	s_delay_alu instid0(VALU_DEP_1) | instskip(NEXT) | instid1(VALU_DEP_1)
	v_add3_u32 v2, v3, v2, 0x80fffff
                                        ; implicit-def: $vgpr3
	v_lshrrev_b32_e32 v2, 21, v2
; %bb.511:
	s_and_not1_saveexec_b32 s6, s6
; %bb.512:
	v_add_f32_e32 v2, 0x43000000, v3
; %bb.513:
	s_or_b32 exec_lo, exec_lo, s6
                                        ; implicit-def: $vgpr3
.LBB286_514:
	s_and_not1_saveexec_b32 s5, s5
; %bb.515:
	v_mov_b32_e32 v2, 0x7f
	v_cmp_lt_u32_e32 vcc_lo, 0x7f800000, v3
	s_delay_alu instid0(VALU_DEP_2)
	v_cndmask_b32_e32 v2, 0x7c, v2, vcc_lo
; %bb.516:
	s_or_b32 exec_lo, exec_lo, s5
	global_store_b8 v[0:1], v2, off
.LBB286_517:
	s_mov_b32 s5, 0
.LBB286_518:
	s_delay_alu instid0(SALU_CYCLE_1)
	s_and_not1_b32 vcc_lo, exec_lo, s5
	s_mov_b32 s5, 0
	s_cbranch_vccnz .LBB286_526
; %bb.519:
	s_cmp_gt_i32 s3, 14
	s_mov_b32 s5, -1
	s_cbranch_scc0 .LBB286_523
; %bb.520:
	s_cmp_eq_u32 s3, 15
	s_mov_b32 s0, -1
	s_cbranch_scc0 .LBB286_522
; %bb.521:
	s_wait_xcnt 0x0
	v_cndmask_b32_e64 v2, 0, 1.0, s1
	s_mov_b32 s0, 0
	s_delay_alu instid0(VALU_DEP_1) | instskip(NEXT) | instid1(VALU_DEP_1)
	v_bfe_u32 v3, v2, 16, 1
	v_add3_u32 v2, v2, v3, 0x7fff
	global_store_d16_hi_b16 v[0:1], v2, off
.LBB286_522:
	s_mov_b32 s5, 0
.LBB286_523:
	s_delay_alu instid0(SALU_CYCLE_1)
	s_and_b32 vcc_lo, exec_lo, s5
	s_mov_b32 s5, 0
	s_cbranch_vccz .LBB286_526
; %bb.524:
	s_cmp_lg_u32 s3, 11
	s_mov_b32 s5, -1
	s_cselect_b32 s3, -1, 0
	s_and_not1_b32 s0, s0, exec_lo
	s_and_b32 s3, s3, exec_lo
	s_delay_alu instid0(SALU_CYCLE_1)
	s_or_b32 s0, s0, s3
	s_branch .LBB286_526
.LBB286_525:
	s_mov_b32 s5, 0
.LBB286_526:
	s_and_b32 s3, s4, exec_lo
	s_and_not1_b32 s4, s53, exec_lo
	s_and_b32 s6, s0, exec_lo
	s_and_b32 s0, s5, exec_lo
	s_or_b32 s4, s4, s6
.LBB286_527:
	s_wait_xcnt 0x0
	s_or_b32 exec_lo, exec_lo, s46
	s_delay_alu instid0(SALU_CYCLE_1)
	s_and_not1_b32 s5, s53, exec_lo
	s_and_b32 s4, s4, exec_lo
	s_and_b32 s3, s3, exec_lo
	;; [unrolled: 1-line block ×3, first 2 shown]
	s_or_b32 s53, s5, s4
.LBB286_528:
	s_or_b32 exec_lo, exec_lo, s52
	s_delay_alu instid0(SALU_CYCLE_1)
	s_and_not1_b32 s4, s50, exec_lo
	s_and_b32 s5, s53, exec_lo
	s_and_b32 s3, s3, exec_lo
	;; [unrolled: 1-line block ×3, first 2 shown]
	s_or_b32 s50, s4, s5
.LBB286_529:
	s_or_b32 exec_lo, exec_lo, s51
	s_delay_alu instid0(SALU_CYCLE_1)
	s_and_b32 s4, s3, exec_lo
	s_and_not1_b32 s3, s36, exec_lo
	s_and_b32 s5, s50, exec_lo
	s_and_b32 s35, s0, exec_lo
	s_or_b32 s36, s3, s5
	s_or_b32 exec_lo, exec_lo, s49
	s_mov_b32 s0, 0
	s_and_saveexec_b32 s3, s36
	s_cbranch_execz .LBB286_146
.LBB286_530:
	s_mov_b32 s0, exec_lo
	s_and_not1_b32 s35, s35, exec_lo
	s_trap 2
	s_or_b32 exec_lo, exec_lo, s3
	s_and_saveexec_b32 s3, s35
	s_delay_alu instid0(SALU_CYCLE_1)
	s_xor_b32 s3, exec_lo, s3
	s_cbranch_execnz .LBB286_147
.LBB286_531:
	s_or_b32 exec_lo, exec_lo, s3
	s_and_saveexec_b32 s3, s4
	s_delay_alu instid0(SALU_CYCLE_1)
	s_xor_b32 s3, exec_lo, s3
	s_cbranch_execz .LBB286_569
.LBB286_532:
	s_sext_i32_i16 s5, s2
	s_mov_b32 s4, -1
	s_cmp_lt_i32 s5, 5
	s_cbranch_scc1 .LBB286_553
; %bb.533:
	s_cmp_lt_i32 s5, 8
	s_cbranch_scc1 .LBB286_543
; %bb.534:
	;; [unrolled: 3-line block ×3, first 2 shown]
	s_cmp_gt_i32 s5, 9
	s_cbranch_scc0 .LBB286_537
; %bb.536:
	v_cndmask_b32_e64 v2, 0, 1, s1
	v_mov_b32_e32 v4, 0
	s_mov_b32 s4, 0
	s_delay_alu instid0(VALU_DEP_2) | instskip(NEXT) | instid1(VALU_DEP_2)
	v_cvt_f64_u32_e32 v[2:3], v2
	v_mov_b32_e32 v5, v4
	global_store_b128 v[0:1], v[2:5], off
.LBB286_537:
	s_and_not1_b32 vcc_lo, exec_lo, s4
	s_cbranch_vccnz .LBB286_539
; %bb.538:
	s_wait_xcnt 0x0
	v_cndmask_b32_e64 v2, 0, 1.0, s1
	v_mov_b32_e32 v3, 0
	global_store_b64 v[0:1], v[2:3], off
.LBB286_539:
	s_mov_b32 s4, 0
.LBB286_540:
	s_delay_alu instid0(SALU_CYCLE_1)
	s_and_not1_b32 vcc_lo, exec_lo, s4
	s_cbranch_vccnz .LBB286_542
; %bb.541:
	s_wait_xcnt 0x0
	v_cndmask_b32_e64 v2, 0, 1.0, s1
	s_delay_alu instid0(VALU_DEP_1) | instskip(NEXT) | instid1(VALU_DEP_1)
	v_cvt_f16_f32_e32 v2, v2
	v_and_b32_e32 v2, 0xffff, v2
	global_store_b32 v[0:1], v2, off
.LBB286_542:
	s_mov_b32 s4, 0
.LBB286_543:
	s_delay_alu instid0(SALU_CYCLE_1)
	s_and_not1_b32 vcc_lo, exec_lo, s4
	s_cbranch_vccnz .LBB286_552
; %bb.544:
	s_sext_i32_i16 s5, s2
	s_mov_b32 s4, -1
	s_cmp_lt_i32 s5, 6
	s_cbranch_scc1 .LBB286_550
; %bb.545:
	s_cmp_gt_i32 s5, 6
	s_cbranch_scc0 .LBB286_547
; %bb.546:
	s_wait_xcnt 0x0
	v_cndmask_b32_e64 v2, 0, 1, s1
	s_mov_b32 s4, 0
	s_delay_alu instid0(VALU_DEP_1)
	v_cvt_f64_u32_e32 v[2:3], v2
	global_store_b64 v[0:1], v[2:3], off
.LBB286_547:
	s_and_not1_b32 vcc_lo, exec_lo, s4
	s_cbranch_vccnz .LBB286_549
; %bb.548:
	s_wait_xcnt 0x0
	v_cndmask_b32_e64 v2, 0, 1.0, s1
	global_store_b32 v[0:1], v2, off
.LBB286_549:
	s_mov_b32 s4, 0
.LBB286_550:
	s_delay_alu instid0(SALU_CYCLE_1)
	s_and_not1_b32 vcc_lo, exec_lo, s4
	s_cbranch_vccnz .LBB286_552
; %bb.551:
	s_wait_xcnt 0x0
	v_cndmask_b32_e64 v2, 0, 1.0, s1
	s_delay_alu instid0(VALU_DEP_1)
	v_cvt_f16_f32_e32 v2, v2
	global_store_b16 v[0:1], v2, off
.LBB286_552:
	s_mov_b32 s4, 0
.LBB286_553:
	s_delay_alu instid0(SALU_CYCLE_1)
	s_and_not1_b32 vcc_lo, exec_lo, s4
	s_cbranch_vccnz .LBB286_569
; %bb.554:
	s_sext_i32_i16 s5, s2
	s_mov_b32 s4, -1
	s_cmp_lt_i32 s5, 2
	s_cbranch_scc1 .LBB286_564
; %bb.555:
	s_cmp_lt_i32 s5, 3
	s_cbranch_scc1 .LBB286_561
; %bb.556:
	s_cmp_gt_i32 s5, 3
	s_cbranch_scc0 .LBB286_558
; %bb.557:
	s_mov_b32 s4, 0
	s_wait_xcnt 0x0
	v_cndmask_b32_e64 v2, 0, 1, s1
	v_mov_b32_e32 v3, s4
	global_store_b64 v[0:1], v[2:3], off
.LBB286_558:
	s_and_not1_b32 vcc_lo, exec_lo, s4
	s_cbranch_vccnz .LBB286_560
; %bb.559:
	s_wait_xcnt 0x0
	v_cndmask_b32_e64 v2, 0, 1, s1
	global_store_b32 v[0:1], v2, off
.LBB286_560:
	s_mov_b32 s4, 0
.LBB286_561:
	s_delay_alu instid0(SALU_CYCLE_1)
	s_and_not1_b32 vcc_lo, exec_lo, s4
	s_cbranch_vccnz .LBB286_563
; %bb.562:
	s_wait_xcnt 0x0
	v_cndmask_b32_e64 v2, 0, 1, s1
	global_store_b16 v[0:1], v2, off
.LBB286_563:
	s_mov_b32 s4, 0
.LBB286_564:
	s_delay_alu instid0(SALU_CYCLE_1)
	s_and_not1_b32 vcc_lo, exec_lo, s4
	s_cbranch_vccnz .LBB286_569
; %bb.565:
	s_sext_i32_i16 s2, s2
	s_delay_alu instid0(SALU_CYCLE_1)
	s_cmp_gt_i32 s2, 0
	s_mov_b32 s2, -1
	s_cbranch_scc0 .LBB286_567
; %bb.566:
	s_wait_xcnt 0x0
	v_cndmask_b32_e64 v2, 0, 1, s1
	s_mov_b32 s2, 0
	global_store_b8 v[0:1], v2, off
.LBB286_567:
	s_and_not1_b32 vcc_lo, exec_lo, s2
	s_cbranch_vccnz .LBB286_569
; %bb.568:
	s_wait_xcnt 0x0
	v_cndmask_b32_e64 v2, 0, 1, s1
	global_store_b8 v[0:1], v2, off
.LBB286_569:
	s_wait_xcnt 0x0
	s_or_b32 exec_lo, exec_lo, s3
	s_delay_alu instid0(SALU_CYCLE_1)
	s_and_b32 s15, s0, exec_lo
                                        ; implicit-def: $vgpr2
                                        ; implicit-def: $vgpr10
.LBB286_570:
	s_or_saveexec_b32 s20, s44
	s_mov_b32 s0, 0
                                        ; implicit-def: $sgpr1
                                        ; implicit-def: $sgpr2
                                        ; implicit-def: $vgpr0_vgpr1
	s_xor_b32 exec_lo, exec_lo, s20
	s_cbranch_execz .LBB286_1060
; %bb.571:
	v_cndmask_b32_e64 v0, 0, 1, s43
	s_and_not1_b32 vcc_lo, exec_lo, s43
	s_cbranch_vccnz .LBB286_577
; %bb.572:
	s_cmp_lg_u32 s27, 0
	s_mov_b32 s6, 0
	s_cbranch_scc0 .LBB286_578
; %bb.573:
	s_min_u32 s1, s33, 15
	s_delay_alu instid0(SALU_CYCLE_1)
	s_add_co_i32 s1, s1, 1
	s_cmp_eq_u32 s33, 2
	s_cbranch_scc1 .LBB286_579
; %bb.574:
	v_dual_mov_b32 v18, 0 :: v_dual_mov_b32 v4, 0
	v_mov_b32_e32 v1, v10
	s_and_b32 s0, s1, 28
	s_add_nc_u64 s[2:3], s[28:29], 0xc4
	s_mov_b32 s7, 0
	s_mov_b64 s[4:5], s[28:29]
.LBB286_575:                            ; =>This Inner Loop Header: Depth=1
	s_clause 0x1
	s_load_b256 s[36:43], s[4:5], 0x4
	s_load_b128 s[8:11], s[4:5], 0x24
	s_load_b256 s[44:51], s[2:3], 0x0
	s_add_co_i32 s7, s7, 4
	s_wait_xcnt 0x0
	s_add_nc_u64 s[4:5], s[4:5], 48
	s_cmp_lg_u32 s0, s7
	s_add_nc_u64 s[2:3], s[2:3], 32
	s_wait_kmcnt 0x0
	v_mul_hi_u32 v3, s37, v1
	s_delay_alu instid0(VALU_DEP_1) | instskip(NEXT) | instid1(VALU_DEP_1)
	v_add_nc_u32_e32 v3, v1, v3
	v_lshrrev_b32_e32 v3, s38, v3
	s_delay_alu instid0(VALU_DEP_1) | instskip(NEXT) | instid1(VALU_DEP_1)
	v_mul_hi_u32 v5, s40, v3
	v_add_nc_u32_e32 v5, v3, v5
	s_delay_alu instid0(VALU_DEP_1) | instskip(NEXT) | instid1(VALU_DEP_1)
	v_lshrrev_b32_e32 v5, s41, v5
	v_mul_hi_u32 v6, s43, v5
	s_delay_alu instid0(VALU_DEP_1) | instskip(SKIP_1) | instid1(VALU_DEP_1)
	v_add_nc_u32_e32 v6, v5, v6
	v_mul_lo_u32 v7, v3, s36
	v_sub_nc_u32_e32 v1, v1, v7
	v_mul_lo_u32 v7, v5, s39
	s_delay_alu instid0(VALU_DEP_4) | instskip(NEXT) | instid1(VALU_DEP_3)
	v_lshrrev_b32_e32 v6, s8, v6
	v_mad_u32 v4, v1, s45, v4
	v_mad_u32 v1, v1, s44, v18
	s_delay_alu instid0(VALU_DEP_4) | instskip(NEXT) | instid1(VALU_DEP_4)
	v_sub_nc_u32_e32 v3, v3, v7
	v_mul_hi_u32 v8, s10, v6
	v_mul_lo_u32 v7, v6, s42
	s_delay_alu instid0(VALU_DEP_3) | instskip(SKIP_1) | instid1(VALU_DEP_3)
	v_mad_u32 v4, v3, s47, v4
	v_mad_u32 v3, v3, s46, v1
	v_dual_add_nc_u32 v8, v6, v8 :: v_dual_sub_nc_u32 v5, v5, v7
	s_delay_alu instid0(VALU_DEP_1) | instskip(NEXT) | instid1(VALU_DEP_2)
	v_lshrrev_b32_e32 v1, s11, v8
	v_mad_u32 v4, v5, s49, v4
	s_delay_alu instid0(VALU_DEP_4) | instskip(NEXT) | instid1(VALU_DEP_3)
	v_mad_u32 v3, v5, s48, v3
	v_mul_lo_u32 v7, v1, s9
	s_delay_alu instid0(VALU_DEP_1) | instskip(NEXT) | instid1(VALU_DEP_1)
	v_sub_nc_u32_e32 v5, v6, v7
	v_mad_u32 v4, v5, s51, v4
	s_delay_alu instid0(VALU_DEP_4)
	v_mad_u32 v18, v5, s50, v3
	s_cbranch_scc1 .LBB286_575
; %bb.576:
	s_delay_alu instid0(VALU_DEP_2)
	v_mov_b32_e32 v19, v4
	s_and_b32 s4, s1, 3
	s_mov_b32 s1, 0
	s_cmp_eq_u32 s4, 0
	s_cbranch_scc0 .LBB286_580
	s_branch .LBB286_583
.LBB286_577:
	s_mov_b32 s6, -1
                                        ; implicit-def: $vgpr4
                                        ; implicit-def: $vgpr18
	s_branch .LBB286_583
.LBB286_578:
	v_dual_mov_b32 v4, 0 :: v_dual_mov_b32 v18, 0
	s_branch .LBB286_583
.LBB286_579:
	v_mov_b64_e32 v[18:19], 0
	v_mov_b32_e32 v1, v10
                                        ; implicit-def: $vgpr4
	s_and_b32 s4, s1, 3
	s_mov_b32 s1, 0
	s_cmp_eq_u32 s4, 0
	s_cbranch_scc1 .LBB286_583
.LBB286_580:
	s_lshl_b32 s2, s0, 3
	s_mov_b32 s3, s1
	s_mul_u64 s[8:9], s[0:1], 12
	s_add_nc_u64 s[2:3], s[28:29], s[2:3]
	s_delay_alu instid0(SALU_CYCLE_1)
	s_add_nc_u64 s[0:1], s[2:3], 0xc4
	s_add_nc_u64 s[2:3], s[28:29], s[8:9]
.LBB286_581:                            ; =>This Inner Loop Header: Depth=1
	s_load_b96 s[8:10], s[2:3], 0x4
	s_add_co_i32 s4, s4, -1
	s_wait_xcnt 0x0
	s_add_nc_u64 s[2:3], s[2:3], 12
	s_cmp_lg_u32 s4, 0
	s_wait_kmcnt 0x0
	v_mul_hi_u32 v3, s9, v1
	s_delay_alu instid0(VALU_DEP_1) | instskip(NEXT) | instid1(VALU_DEP_1)
	v_add_nc_u32_e32 v3, v1, v3
	v_lshrrev_b32_e32 v3, s10, v3
	s_load_b64 s[10:11], s[0:1], 0x0
	s_wait_xcnt 0x0
	s_add_nc_u64 s[0:1], s[0:1], 8
	s_delay_alu instid0(VALU_DEP_1) | instskip(NEXT) | instid1(VALU_DEP_1)
	v_mul_lo_u32 v4, v3, s8
	v_sub_nc_u32_e32 v1, v1, v4
	s_wait_kmcnt 0x0
	s_delay_alu instid0(VALU_DEP_1)
	v_mad_u32 v19, v1, s11, v19
	v_mad_u32 v18, v1, s10, v18
	v_mov_b32_e32 v1, v3
	s_cbranch_scc1 .LBB286_581
; %bb.582:
	s_delay_alu instid0(VALU_DEP_3)
	v_mov_b32_e32 v4, v19
.LBB286_583:
	s_and_not1_b32 vcc_lo, exec_lo, s6
	s_cbranch_vccnz .LBB286_586
; %bb.584:
	s_clause 0x1
	s_load_b96 s[0:2], s[28:29], 0x4
	s_load_b64 s[4:5], s[28:29], 0xc4
	s_cmp_lt_u32 s27, 2
	s_wait_kmcnt 0x0
	v_mul_hi_u32 v1, s1, v10
	s_delay_alu instid0(VALU_DEP_1) | instskip(NEXT) | instid1(VALU_DEP_1)
	v_add_nc_u32_e32 v1, v10, v1
	v_lshrrev_b32_e32 v1, s2, v1
	s_delay_alu instid0(VALU_DEP_1) | instskip(NEXT) | instid1(VALU_DEP_1)
	v_mul_lo_u32 v3, v1, s0
	v_sub_nc_u32_e32 v3, v10, v3
	s_delay_alu instid0(VALU_DEP_1)
	v_mul_lo_u32 v4, v3, s5
	v_mul_lo_u32 v18, v3, s4
	s_cbranch_scc1 .LBB286_586
; %bb.585:
	s_clause 0x1
	s_load_b96 s[0:2], s[28:29], 0x10
	s_load_b64 s[4:5], s[28:29], 0xcc
	s_wait_kmcnt 0x0
	v_mul_hi_u32 v3, s1, v1
	s_delay_alu instid0(VALU_DEP_1) | instskip(NEXT) | instid1(VALU_DEP_1)
	v_add_nc_u32_e32 v3, v1, v3
	v_lshrrev_b32_e32 v3, s2, v3
	s_delay_alu instid0(VALU_DEP_1) | instskip(NEXT) | instid1(VALU_DEP_1)
	v_mul_lo_u32 v3, v3, s0
	v_sub_nc_u32_e32 v1, v1, v3
	s_delay_alu instid0(VALU_DEP_1)
	v_mad_u32 v18, v1, s4, v18
	v_mad_u32 v4, v1, s5, v4
.LBB286_586:
	v_cmp_ne_u32_e32 vcc_lo, 1, v0
	v_add_nc_u32_e32 v1, 0x80, v10
	s_cbranch_vccnz .LBB286_592
; %bb.587:
	s_cmp_lg_u32 s27, 0
	s_mov_b32 s6, 0
	s_cbranch_scc0 .LBB286_593
; %bb.588:
	s_min_u32 s1, s33, 15
	s_delay_alu instid0(SALU_CYCLE_1)
	s_add_co_i32 s1, s1, 1
	s_cmp_eq_u32 s33, 2
	s_cbranch_scc1 .LBB286_594
; %bb.589:
	v_dual_mov_b32 v16, 0 :: v_dual_mov_b32 v17, 0
	v_mov_b32_e32 v3, v1
	s_and_b32 s0, s1, 28
	s_add_nc_u64 s[2:3], s[28:29], 0xc4
	s_mov_b32 s7, 0
	s_mov_b64 s[4:5], s[28:29]
.LBB286_590:                            ; =>This Inner Loop Header: Depth=1
	s_clause 0x1
	s_load_b256 s[36:43], s[4:5], 0x4
	s_load_b128 s[8:11], s[4:5], 0x24
	s_load_b256 s[44:51], s[2:3], 0x0
	s_add_co_i32 s7, s7, 4
	s_wait_xcnt 0x0
	s_add_nc_u64 s[4:5], s[4:5], 48
	s_cmp_lg_u32 s0, s7
	s_add_nc_u64 s[2:3], s[2:3], 32
	s_wait_kmcnt 0x0
	v_mul_hi_u32 v5, s37, v3
	s_delay_alu instid0(VALU_DEP_1) | instskip(NEXT) | instid1(VALU_DEP_1)
	v_add_nc_u32_e32 v5, v3, v5
	v_lshrrev_b32_e32 v5, s38, v5
	s_delay_alu instid0(VALU_DEP_1) | instskip(NEXT) | instid1(VALU_DEP_1)
	v_mul_hi_u32 v6, s40, v5
	v_add_nc_u32_e32 v6, v5, v6
	s_delay_alu instid0(VALU_DEP_1) | instskip(NEXT) | instid1(VALU_DEP_1)
	v_lshrrev_b32_e32 v6, s41, v6
	v_mul_hi_u32 v7, s43, v6
	s_delay_alu instid0(VALU_DEP_1) | instskip(SKIP_1) | instid1(VALU_DEP_1)
	v_add_nc_u32_e32 v7, v6, v7
	v_mul_lo_u32 v8, v5, s36
	v_sub_nc_u32_e32 v3, v3, v8
	v_mul_lo_u32 v8, v6, s39
	s_delay_alu instid0(VALU_DEP_4) | instskip(NEXT) | instid1(VALU_DEP_3)
	v_lshrrev_b32_e32 v7, s8, v7
	v_mad_u32 v11, v3, s45, v17
	v_mad_u32 v3, v3, s44, v16
	s_delay_alu instid0(VALU_DEP_4) | instskip(NEXT) | instid1(VALU_DEP_4)
	v_sub_nc_u32_e32 v5, v5, v8
	v_mul_hi_u32 v9, s10, v7
	v_mul_lo_u32 v8, v7, s42
	s_delay_alu instid0(VALU_DEP_3) | instskip(SKIP_1) | instid1(VALU_DEP_3)
	v_mad_u32 v11, v5, s47, v11
	v_mad_u32 v5, v5, s46, v3
	v_dual_add_nc_u32 v9, v7, v9 :: v_dual_sub_nc_u32 v6, v6, v8
	s_delay_alu instid0(VALU_DEP_1) | instskip(NEXT) | instid1(VALU_DEP_2)
	v_lshrrev_b32_e32 v3, s11, v9
	v_mad_u32 v9, v6, s49, v11
	s_delay_alu instid0(VALU_DEP_4) | instskip(NEXT) | instid1(VALU_DEP_3)
	v_mad_u32 v5, v6, s48, v5
	v_mul_lo_u32 v8, v3, s9
	s_delay_alu instid0(VALU_DEP_1) | instskip(NEXT) | instid1(VALU_DEP_1)
	v_sub_nc_u32_e32 v6, v7, v8
	v_mad_u32 v17, v6, s51, v9
	s_delay_alu instid0(VALU_DEP_4)
	v_mad_u32 v16, v6, s50, v5
	s_cbranch_scc1 .LBB286_590
; %bb.591:
	s_and_b32 s4, s1, 3
	s_mov_b32 s1, 0
	s_cmp_eq_u32 s4, 0
	s_cbranch_scc0 .LBB286_595
	s_branch .LBB286_597
.LBB286_592:
	s_mov_b32 s6, -1
                                        ; implicit-def: $vgpr17
	s_branch .LBB286_597
.LBB286_593:
	v_dual_mov_b32 v17, 0 :: v_dual_mov_b32 v16, 0
	s_branch .LBB286_597
.LBB286_594:
	v_mov_b64_e32 v[16:17], 0
	v_mov_b32_e32 v3, v1
	s_mov_b32 s0, 0
	s_and_b32 s4, s1, 3
	s_mov_b32 s1, 0
	s_cmp_eq_u32 s4, 0
	s_cbranch_scc1 .LBB286_597
.LBB286_595:
	s_lshl_b32 s2, s0, 3
	s_mov_b32 s3, s1
	s_mul_u64 s[8:9], s[0:1], 12
	s_add_nc_u64 s[2:3], s[28:29], s[2:3]
	s_delay_alu instid0(SALU_CYCLE_1)
	s_add_nc_u64 s[0:1], s[2:3], 0xc4
	s_add_nc_u64 s[2:3], s[28:29], s[8:9]
.LBB286_596:                            ; =>This Inner Loop Header: Depth=1
	s_load_b96 s[8:10], s[2:3], 0x4
	s_add_co_i32 s4, s4, -1
	s_wait_xcnt 0x0
	s_add_nc_u64 s[2:3], s[2:3], 12
	s_cmp_lg_u32 s4, 0
	s_wait_kmcnt 0x0
	v_mul_hi_u32 v5, s9, v3
	s_delay_alu instid0(VALU_DEP_1) | instskip(NEXT) | instid1(VALU_DEP_1)
	v_add_nc_u32_e32 v5, v3, v5
	v_lshrrev_b32_e32 v5, s10, v5
	s_load_b64 s[10:11], s[0:1], 0x0
	s_wait_xcnt 0x0
	s_add_nc_u64 s[0:1], s[0:1], 8
	s_delay_alu instid0(VALU_DEP_1) | instskip(NEXT) | instid1(VALU_DEP_1)
	v_mul_lo_u32 v6, v5, s8
	v_sub_nc_u32_e32 v3, v3, v6
	s_wait_kmcnt 0x0
	s_delay_alu instid0(VALU_DEP_1)
	v_mad_u32 v17, v3, s11, v17
	v_mad_u32 v16, v3, s10, v16
	v_mov_b32_e32 v3, v5
	s_cbranch_scc1 .LBB286_596
.LBB286_597:
	s_and_not1_b32 vcc_lo, exec_lo, s6
	s_cbranch_vccnz .LBB286_600
; %bb.598:
	s_clause 0x1
	s_load_b96 s[0:2], s[28:29], 0x4
	s_load_b64 s[4:5], s[28:29], 0xc4
	s_cmp_lt_u32 s27, 2
	s_wait_kmcnt 0x0
	v_mul_hi_u32 v3, s1, v1
	s_delay_alu instid0(VALU_DEP_1) | instskip(NEXT) | instid1(VALU_DEP_1)
	v_add_nc_u32_e32 v3, v1, v3
	v_lshrrev_b32_e32 v3, s2, v3
	s_delay_alu instid0(VALU_DEP_1) | instskip(NEXT) | instid1(VALU_DEP_1)
	v_mul_lo_u32 v5, v3, s0
	v_sub_nc_u32_e32 v1, v1, v5
	s_delay_alu instid0(VALU_DEP_1)
	v_mul_lo_u32 v17, v1, s5
	v_mul_lo_u32 v16, v1, s4
	s_cbranch_scc1 .LBB286_600
; %bb.599:
	s_clause 0x1
	s_load_b96 s[0:2], s[28:29], 0x10
	s_load_b64 s[4:5], s[28:29], 0xcc
	s_wait_kmcnt 0x0
	v_mul_hi_u32 v1, s1, v3
	s_delay_alu instid0(VALU_DEP_1) | instskip(NEXT) | instid1(VALU_DEP_1)
	v_add_nc_u32_e32 v1, v3, v1
	v_lshrrev_b32_e32 v1, s2, v1
	s_delay_alu instid0(VALU_DEP_1) | instskip(NEXT) | instid1(VALU_DEP_1)
	v_mul_lo_u32 v1, v1, s0
	v_sub_nc_u32_e32 v1, v3, v1
	s_delay_alu instid0(VALU_DEP_1)
	v_mad_u32 v16, v1, s4, v16
	v_mad_u32 v17, v1, s5, v17
.LBB286_600:
	v_cmp_ne_u32_e32 vcc_lo, 1, v0
	v_add_nc_u32_e32 v1, 0x100, v10
	s_cbranch_vccnz .LBB286_606
; %bb.601:
	s_cmp_lg_u32 s27, 0
	s_mov_b32 s6, 0
	s_cbranch_scc0 .LBB286_607
; %bb.602:
	s_min_u32 s1, s33, 15
	s_delay_alu instid0(SALU_CYCLE_1)
	s_add_co_i32 s1, s1, 1
	s_cmp_eq_u32 s33, 2
	s_cbranch_scc1 .LBB286_608
; %bb.603:
	v_dual_mov_b32 v14, 0 :: v_dual_mov_b32 v15, 0
	v_mov_b32_e32 v3, v1
	s_and_b32 s0, s1, 28
	s_add_nc_u64 s[2:3], s[28:29], 0xc4
	s_mov_b32 s7, 0
	s_mov_b64 s[4:5], s[28:29]
.LBB286_604:                            ; =>This Inner Loop Header: Depth=1
	s_clause 0x1
	s_load_b256 s[36:43], s[4:5], 0x4
	s_load_b128 s[8:11], s[4:5], 0x24
	s_load_b256 s[44:51], s[2:3], 0x0
	s_add_co_i32 s7, s7, 4
	s_wait_xcnt 0x0
	s_add_nc_u64 s[4:5], s[4:5], 48
	s_cmp_lg_u32 s0, s7
	s_add_nc_u64 s[2:3], s[2:3], 32
	s_wait_kmcnt 0x0
	v_mul_hi_u32 v5, s37, v3
	s_delay_alu instid0(VALU_DEP_1) | instskip(NEXT) | instid1(VALU_DEP_1)
	v_add_nc_u32_e32 v5, v3, v5
	v_lshrrev_b32_e32 v5, s38, v5
	s_delay_alu instid0(VALU_DEP_1) | instskip(NEXT) | instid1(VALU_DEP_1)
	v_mul_hi_u32 v6, s40, v5
	v_add_nc_u32_e32 v6, v5, v6
	s_delay_alu instid0(VALU_DEP_1) | instskip(NEXT) | instid1(VALU_DEP_1)
	v_lshrrev_b32_e32 v6, s41, v6
	v_mul_hi_u32 v7, s43, v6
	s_delay_alu instid0(VALU_DEP_1) | instskip(SKIP_1) | instid1(VALU_DEP_1)
	v_add_nc_u32_e32 v7, v6, v7
	v_mul_lo_u32 v8, v5, s36
	v_sub_nc_u32_e32 v3, v3, v8
	v_mul_lo_u32 v8, v6, s39
	s_delay_alu instid0(VALU_DEP_4) | instskip(NEXT) | instid1(VALU_DEP_3)
	v_lshrrev_b32_e32 v7, s8, v7
	v_mad_u32 v10, v3, s45, v15
	v_mad_u32 v3, v3, s44, v14
	s_delay_alu instid0(VALU_DEP_4) | instskip(NEXT) | instid1(VALU_DEP_4)
	v_sub_nc_u32_e32 v5, v5, v8
	v_mul_hi_u32 v9, s10, v7
	v_mul_lo_u32 v8, v7, s42
	s_delay_alu instid0(VALU_DEP_3) | instskip(SKIP_1) | instid1(VALU_DEP_3)
	v_mad_u32 v10, v5, s47, v10
	v_mad_u32 v5, v5, s46, v3
	v_dual_add_nc_u32 v9, v7, v9 :: v_dual_sub_nc_u32 v6, v6, v8
	s_delay_alu instid0(VALU_DEP_1) | instskip(NEXT) | instid1(VALU_DEP_2)
	v_lshrrev_b32_e32 v3, s11, v9
	v_mad_u32 v9, v6, s49, v10
	s_delay_alu instid0(VALU_DEP_4) | instskip(NEXT) | instid1(VALU_DEP_3)
	v_mad_u32 v5, v6, s48, v5
	v_mul_lo_u32 v8, v3, s9
	s_delay_alu instid0(VALU_DEP_1) | instskip(NEXT) | instid1(VALU_DEP_1)
	v_sub_nc_u32_e32 v6, v7, v8
	v_mad_u32 v15, v6, s51, v9
	s_delay_alu instid0(VALU_DEP_4)
	v_mad_u32 v14, v6, s50, v5
	s_cbranch_scc1 .LBB286_604
; %bb.605:
	s_and_b32 s4, s1, 3
	s_mov_b32 s1, 0
	s_cmp_eq_u32 s4, 0
	s_cbranch_scc0 .LBB286_609
	s_branch .LBB286_611
.LBB286_606:
	s_mov_b32 s6, -1
                                        ; implicit-def: $vgpr15
	s_branch .LBB286_611
.LBB286_607:
	v_dual_mov_b32 v15, 0 :: v_dual_mov_b32 v14, 0
	s_branch .LBB286_611
.LBB286_608:
	v_mov_b64_e32 v[14:15], 0
	v_mov_b32_e32 v3, v1
	s_mov_b32 s0, 0
	s_and_b32 s4, s1, 3
	s_mov_b32 s1, 0
	s_cmp_eq_u32 s4, 0
	s_cbranch_scc1 .LBB286_611
.LBB286_609:
	s_lshl_b32 s2, s0, 3
	s_mov_b32 s3, s1
	s_mul_u64 s[8:9], s[0:1], 12
	s_add_nc_u64 s[2:3], s[28:29], s[2:3]
	s_delay_alu instid0(SALU_CYCLE_1)
	s_add_nc_u64 s[0:1], s[2:3], 0xc4
	s_add_nc_u64 s[2:3], s[28:29], s[8:9]
.LBB286_610:                            ; =>This Inner Loop Header: Depth=1
	s_load_b96 s[8:10], s[2:3], 0x4
	s_add_co_i32 s4, s4, -1
	s_wait_xcnt 0x0
	s_add_nc_u64 s[2:3], s[2:3], 12
	s_cmp_lg_u32 s4, 0
	s_wait_kmcnt 0x0
	v_mul_hi_u32 v5, s9, v3
	s_delay_alu instid0(VALU_DEP_1) | instskip(NEXT) | instid1(VALU_DEP_1)
	v_add_nc_u32_e32 v5, v3, v5
	v_lshrrev_b32_e32 v5, s10, v5
	s_load_b64 s[10:11], s[0:1], 0x0
	s_wait_xcnt 0x0
	s_add_nc_u64 s[0:1], s[0:1], 8
	s_delay_alu instid0(VALU_DEP_1) | instskip(NEXT) | instid1(VALU_DEP_1)
	v_mul_lo_u32 v6, v5, s8
	v_sub_nc_u32_e32 v3, v3, v6
	s_wait_kmcnt 0x0
	s_delay_alu instid0(VALU_DEP_1)
	v_mad_u32 v15, v3, s11, v15
	v_mad_u32 v14, v3, s10, v14
	v_mov_b32_e32 v3, v5
	s_cbranch_scc1 .LBB286_610
.LBB286_611:
	s_and_not1_b32 vcc_lo, exec_lo, s6
	s_cbranch_vccnz .LBB286_614
; %bb.612:
	s_clause 0x1
	s_load_b96 s[0:2], s[28:29], 0x4
	s_load_b64 s[4:5], s[28:29], 0xc4
	s_cmp_lt_u32 s27, 2
	s_wait_kmcnt 0x0
	v_mul_hi_u32 v3, s1, v1
	s_delay_alu instid0(VALU_DEP_1) | instskip(NEXT) | instid1(VALU_DEP_1)
	v_add_nc_u32_e32 v3, v1, v3
	v_lshrrev_b32_e32 v3, s2, v3
	s_delay_alu instid0(VALU_DEP_1) | instskip(NEXT) | instid1(VALU_DEP_1)
	v_mul_lo_u32 v5, v3, s0
	v_sub_nc_u32_e32 v1, v1, v5
	s_delay_alu instid0(VALU_DEP_1)
	v_mul_lo_u32 v15, v1, s5
	v_mul_lo_u32 v14, v1, s4
	s_cbranch_scc1 .LBB286_614
; %bb.613:
	s_clause 0x1
	s_load_b96 s[0:2], s[28:29], 0x10
	s_load_b64 s[4:5], s[28:29], 0xcc
	s_wait_kmcnt 0x0
	v_mul_hi_u32 v1, s1, v3
	s_delay_alu instid0(VALU_DEP_1) | instskip(NEXT) | instid1(VALU_DEP_1)
	v_add_nc_u32_e32 v1, v3, v1
	v_lshrrev_b32_e32 v1, s2, v1
	s_delay_alu instid0(VALU_DEP_1) | instskip(NEXT) | instid1(VALU_DEP_1)
	v_mul_lo_u32 v1, v1, s0
	v_sub_nc_u32_e32 v1, v3, v1
	s_delay_alu instid0(VALU_DEP_1)
	v_mad_u32 v14, v1, s4, v14
	v_mad_u32 v15, v1, s5, v15
.LBB286_614:
	v_cmp_ne_u32_e32 vcc_lo, 1, v0
	s_cbranch_vccnz .LBB286_620
; %bb.615:
	s_cmp_lg_u32 s27, 0
	s_mov_b32 s6, 0
	s_cbranch_scc0 .LBB286_621
; %bb.616:
	s_min_u32 s1, s33, 15
	s_delay_alu instid0(SALU_CYCLE_1)
	s_add_co_i32 s1, s1, 1
	s_cmp_eq_u32 s33, 2
	s_cbranch_scc1 .LBB286_622
; %bb.617:
	v_dual_mov_b32 v12, 0 :: v_dual_mov_b32 v13, 0
	v_mov_b32_e32 v0, v2
	s_and_b32 s0, s1, 28
	s_add_nc_u64 s[2:3], s[28:29], 0xc4
	s_mov_b32 s7, 0
	s_mov_b64 s[4:5], s[28:29]
.LBB286_618:                            ; =>This Inner Loop Header: Depth=1
	s_clause 0x1
	s_load_b256 s[36:43], s[4:5], 0x4
	s_load_b128 s[8:11], s[4:5], 0x24
	s_load_b256 s[44:51], s[2:3], 0x0
	s_add_co_i32 s7, s7, 4
	s_wait_xcnt 0x0
	s_add_nc_u64 s[4:5], s[4:5], 48
	s_cmp_lg_u32 s0, s7
	s_add_nc_u64 s[2:3], s[2:3], 32
	s_wait_kmcnt 0x0
	v_mul_hi_u32 v1, s37, v0
	s_delay_alu instid0(VALU_DEP_1) | instskip(NEXT) | instid1(VALU_DEP_1)
	v_add_nc_u32_e32 v1, v0, v1
	v_lshrrev_b32_e32 v1, s38, v1
	s_delay_alu instid0(VALU_DEP_1) | instskip(NEXT) | instid1(VALU_DEP_1)
	v_mul_lo_u32 v6, v1, s36
	v_sub_nc_u32_e32 v0, v0, v6
	v_mul_hi_u32 v3, s40, v1
	s_delay_alu instid0(VALU_DEP_2) | instskip(SKIP_1) | instid1(VALU_DEP_3)
	v_mad_u32 v8, v0, s45, v13
	v_mad_u32 v0, v0, s44, v12
	v_add_nc_u32_e32 v3, v1, v3
	s_delay_alu instid0(VALU_DEP_1) | instskip(NEXT) | instid1(VALU_DEP_1)
	v_lshrrev_b32_e32 v3, s41, v3
	v_mul_hi_u32 v5, s43, v3
	v_mul_lo_u32 v6, v3, s39
	s_delay_alu instid0(VALU_DEP_1) | instskip(NEXT) | instid1(VALU_DEP_1)
	v_dual_add_nc_u32 v5, v3, v5 :: v_dual_sub_nc_u32 v1, v1, v6
	v_lshrrev_b32_e32 v5, s8, v5
	s_delay_alu instid0(VALU_DEP_2) | instskip(SKIP_1) | instid1(VALU_DEP_3)
	v_mad_u32 v8, v1, s47, v8
	v_mad_u32 v1, v1, s46, v0
	v_mul_hi_u32 v7, s10, v5
	v_mul_lo_u32 v6, v5, s42
	s_delay_alu instid0(VALU_DEP_1) | instskip(NEXT) | instid1(VALU_DEP_1)
	v_dual_add_nc_u32 v7, v5, v7 :: v_dual_sub_nc_u32 v3, v3, v6
	v_lshrrev_b32_e32 v0, s11, v7
	s_delay_alu instid0(VALU_DEP_2) | instskip(SKIP_1) | instid1(VALU_DEP_3)
	v_mad_u32 v7, v3, s49, v8
	v_mad_u32 v1, v3, s48, v1
	v_mul_lo_u32 v6, v0, s9
	s_delay_alu instid0(VALU_DEP_1) | instskip(NEXT) | instid1(VALU_DEP_1)
	v_sub_nc_u32_e32 v3, v5, v6
	v_mad_u32 v13, v3, s51, v7
	s_delay_alu instid0(VALU_DEP_4)
	v_mad_u32 v12, v3, s50, v1
	s_cbranch_scc1 .LBB286_618
; %bb.619:
	s_and_b32 s4, s1, 3
	s_mov_b32 s1, 0
	s_cmp_eq_u32 s4, 0
	s_cbranch_scc0 .LBB286_623
	s_branch .LBB286_625
.LBB286_620:
	s_mov_b32 s6, -1
                                        ; implicit-def: $vgpr13
	s_branch .LBB286_625
.LBB286_621:
	v_dual_mov_b32 v13, 0 :: v_dual_mov_b32 v12, 0
	s_branch .LBB286_625
.LBB286_622:
	v_mov_b64_e32 v[12:13], 0
	v_mov_b32_e32 v0, v2
	s_mov_b32 s0, 0
	s_and_b32 s4, s1, 3
	s_mov_b32 s1, 0
	s_cmp_eq_u32 s4, 0
	s_cbranch_scc1 .LBB286_625
.LBB286_623:
	s_lshl_b32 s2, s0, 3
	s_mov_b32 s3, s1
	s_mul_u64 s[8:9], s[0:1], 12
	s_add_nc_u64 s[2:3], s[28:29], s[2:3]
	s_delay_alu instid0(SALU_CYCLE_1)
	s_add_nc_u64 s[0:1], s[2:3], 0xc4
	s_add_nc_u64 s[2:3], s[28:29], s[8:9]
.LBB286_624:                            ; =>This Inner Loop Header: Depth=1
	s_load_b96 s[8:10], s[2:3], 0x4
	s_add_co_i32 s4, s4, -1
	s_wait_xcnt 0x0
	s_add_nc_u64 s[2:3], s[2:3], 12
	s_cmp_lg_u32 s4, 0
	s_wait_kmcnt 0x0
	v_mul_hi_u32 v1, s9, v0
	s_delay_alu instid0(VALU_DEP_1) | instskip(NEXT) | instid1(VALU_DEP_1)
	v_add_nc_u32_e32 v1, v0, v1
	v_lshrrev_b32_e32 v1, s10, v1
	s_load_b64 s[10:11], s[0:1], 0x0
	s_wait_xcnt 0x0
	s_add_nc_u64 s[0:1], s[0:1], 8
	s_delay_alu instid0(VALU_DEP_1) | instskip(NEXT) | instid1(VALU_DEP_1)
	v_mul_lo_u32 v3, v1, s8
	v_sub_nc_u32_e32 v0, v0, v3
	s_wait_kmcnt 0x0
	s_delay_alu instid0(VALU_DEP_1)
	v_mad_u32 v13, v0, s11, v13
	v_mad_u32 v12, v0, s10, v12
	v_mov_b32_e32 v0, v1
	s_cbranch_scc1 .LBB286_624
.LBB286_625:
	s_and_not1_b32 vcc_lo, exec_lo, s6
	s_cbranch_vccnz .LBB286_628
; %bb.626:
	s_clause 0x1
	s_load_b96 s[0:2], s[28:29], 0x4
	s_load_b64 s[4:5], s[28:29], 0xc4
	s_cmp_lt_u32 s27, 2
	s_wait_kmcnt 0x0
	v_mul_hi_u32 v0, s1, v2
	s_delay_alu instid0(VALU_DEP_1) | instskip(NEXT) | instid1(VALU_DEP_1)
	v_add_nc_u32_e32 v0, v2, v0
	v_lshrrev_b32_e32 v0, s2, v0
	s_delay_alu instid0(VALU_DEP_1) | instskip(NEXT) | instid1(VALU_DEP_1)
	v_mul_lo_u32 v1, v0, s0
	v_sub_nc_u32_e32 v1, v2, v1
	s_delay_alu instid0(VALU_DEP_1)
	v_mul_lo_u32 v13, v1, s5
	v_mul_lo_u32 v12, v1, s4
	s_cbranch_scc1 .LBB286_628
; %bb.627:
	s_clause 0x1
	s_load_b96 s[0:2], s[28:29], 0x10
	s_load_b64 s[4:5], s[28:29], 0xcc
	s_wait_kmcnt 0x0
	v_mul_hi_u32 v1, s1, v0
	s_delay_alu instid0(VALU_DEP_1) | instskip(NEXT) | instid1(VALU_DEP_1)
	v_add_nc_u32_e32 v1, v0, v1
	v_lshrrev_b32_e32 v1, s2, v1
	s_delay_alu instid0(VALU_DEP_1) | instskip(NEXT) | instid1(VALU_DEP_1)
	v_mul_lo_u32 v1, v1, s0
	v_sub_nc_u32_e32 v0, v0, v1
	s_delay_alu instid0(VALU_DEP_1)
	v_mad_u32 v12, v0, s4, v12
	v_mad_u32 v13, v0, s5, v13
.LBB286_628:
	s_clause 0x1
	s_load_b64 s[22:23], s[28:29], 0x158
	s_load_b128 s[16:19], s[28:29], 0x148
	v_mov_b32_e32 v19, 0
	s_get_pc_i64 s[24:25]
	s_add_nc_u64 s[24:25], s[24:25], _ZN2at6native6invokeINS0_13AUnaryFunctorIN3c1013Float8_e4m3fnES4_bNS0_12_GLOBAL__N_116CompareEqFunctorIS4_EEEEj15function_traitsIS8_EEENT1_11result_typeERKT_PrKPcPKT0_PKNS3_10ScalarTypeEi@rel64+4
	s_wait_kmcnt 0x0
	v_mov_b32_e32 v0, s22
	global_load_u8 v10, v19, s[28:29] offset:353
	v_dual_mov_b32 v1, s23 :: v_dual_mov_b32 v2, s18
	s_wait_loadcnt 0x0
	v_dual_mov_b32 v3, s19 :: v_dual_mov_b32 v5, v10
	s_swap_pc_i64 s[30:31], s[24:25]
	v_dual_mov_b32 v1, s23 :: v_dual_bitop2_b32 v0, 1, v0 bitop3:0x40
	v_dual_mov_b32 v3, s19 :: v_dual_mov_b32 v4, v17
	v_mov_b32_e32 v5, v10
	s_delay_alu instid0(VALU_DEP_3) | instskip(SKIP_2) | instid1(VALU_DEP_1)
	v_cmp_eq_u32_e64 s14, 1, v0
	v_dual_mov_b32 v0, s22 :: v_dual_mov_b32 v2, s18
	s_swap_pc_i64 s[30:31], s[24:25]
	v_dual_mov_b32 v1, s23 :: v_dual_bitop2_b32 v0, 1, v0 bitop3:0x40
	v_dual_mov_b32 v3, s19 :: v_dual_mov_b32 v4, v15
	v_mov_b32_e32 v5, v10
	s_delay_alu instid0(VALU_DEP_3) | instskip(SKIP_2) | instid1(VALU_DEP_1)
	v_cmp_eq_u32_e64 s13, 1, v0
	v_dual_mov_b32 v0, s22 :: v_dual_mov_b32 v2, s18
	s_swap_pc_i64 s[30:31], s[24:25]
	v_dual_mov_b32 v1, s23 :: v_dual_bitop2_b32 v0, 1, v0 bitop3:0x40
	v_dual_mov_b32 v3, s19 :: v_dual_mov_b32 v4, v13
	v_mov_b32_e32 v5, v10
	s_delay_alu instid0(VALU_DEP_3) | instskip(SKIP_3) | instid1(VALU_DEP_1)
	v_cmp_eq_u32_e64 s12, 1, v0
	v_dual_mov_b32 v0, s22 :: v_dual_mov_b32 v2, s18
	s_swap_pc_i64 s[30:31], s[24:25]
	s_load_b32 s0, s[28:29], 0x160
	v_and_b32_e32 v0, 1, v0
	s_delay_alu instid0(VALU_DEP_1) | instskip(SKIP_3) | instid1(SALU_CYCLE_1)
	v_cmp_eq_u32_e64 s1, 1, v0
	v_add_nc_u64_e32 v[0:1], s[16:17], v[18:19]
	s_wait_kmcnt 0x0
	s_and_b32 s2, s0, 0xff
	s_cmp_lt_i32 s2, 11
	s_cbranch_scc1 .LBB286_707
; %bb.629:
	s_and_b32 s3, 0xffff, s2
	s_mov_b32 s6, -1
	s_mov_b32 s4, 0
	s_cmp_gt_i32 s3, 25
	s_mov_b32 s5, 0
	s_mov_b32 s0, 0
	s_cbranch_scc0 .LBB286_662
; %bb.630:
	s_cmp_gt_i32 s3, 28
	s_cbranch_scc0 .LBB286_645
; %bb.631:
	s_cmp_gt_i32 s3, 43
	;; [unrolled: 3-line block ×3, first 2 shown]
	s_cbranch_scc0 .LBB286_635
; %bb.633:
	s_mov_b32 s0, -1
	s_mov_b32 s6, 0
	s_cmp_eq_u32 s3, 46
	s_cbranch_scc0 .LBB286_635
; %bb.634:
	v_cndmask_b32_e64 v2, 0, 1.0, s14
	s_mov_b32 s0, 0
	s_mov_b32 s5, -1
	s_delay_alu instid0(VALU_DEP_1) | instskip(NEXT) | instid1(VALU_DEP_1)
	v_bfe_u32 v3, v2, 16, 1
	v_add3_u32 v2, v2, v3, 0x7fff
	s_delay_alu instid0(VALU_DEP_1)
	v_lshrrev_b32_e32 v2, 16, v2
	global_store_b32 v[0:1], v2, off
.LBB286_635:
	s_and_b32 vcc_lo, exec_lo, s6
	s_cbranch_vccz .LBB286_640
; %bb.636:
	s_cmp_eq_u32 s3, 44
	s_mov_b32 s0, -1
	s_cbranch_scc0 .LBB286_640
; %bb.637:
	v_cndmask_b32_e64 v4, 0, 1.0, s14
	s_mov_b32 s5, exec_lo
	s_wait_xcnt 0x0
	s_delay_alu instid0(VALU_DEP_1) | instskip(NEXT) | instid1(VALU_DEP_1)
	v_dual_mov_b32 v3, 0xff :: v_dual_lshrrev_b32 v2, 23, v4
	v_cmpx_ne_u32_e32 0xff, v2
; %bb.638:
	v_and_b32_e32 v3, 0x400000, v4
	v_and_or_b32 v4, 0x3fffff, v4, v2
	s_delay_alu instid0(VALU_DEP_2) | instskip(NEXT) | instid1(VALU_DEP_2)
	v_cmp_ne_u32_e32 vcc_lo, 0, v3
	v_cmp_ne_u32_e64 s0, 0, v4
	s_and_b32 s0, vcc_lo, s0
	s_delay_alu instid0(SALU_CYCLE_1) | instskip(NEXT) | instid1(VALU_DEP_1)
	v_cndmask_b32_e64 v3, 0, 1, s0
	v_add_nc_u32_e32 v3, v2, v3
; %bb.639:
	s_or_b32 exec_lo, exec_lo, s5
	s_mov_b32 s0, 0
	s_mov_b32 s5, -1
	global_store_b8 v[0:1], v3, off
.LBB286_640:
	s_mov_b32 s6, 0
.LBB286_641:
	s_delay_alu instid0(SALU_CYCLE_1)
	s_and_b32 vcc_lo, exec_lo, s6
	s_cbranch_vccz .LBB286_644
; %bb.642:
	s_cmp_eq_u32 s3, 29
	s_mov_b32 s0, -1
	s_cbranch_scc0 .LBB286_644
; %bb.643:
	s_mov_b32 s0, 0
	s_wait_xcnt 0x0
	v_cndmask_b32_e64 v2, 0, 1, s14
	v_mov_b32_e32 v3, s0
	s_mov_b32 s5, -1
	global_store_b64 v[0:1], v[2:3], off
.LBB286_644:
	s_mov_b32 s6, 0
.LBB286_645:
	s_delay_alu instid0(SALU_CYCLE_1)
	s_and_b32 vcc_lo, exec_lo, s6
	s_cbranch_vccz .LBB286_661
; %bb.646:
	s_cmp_lt_i32 s3, 27
	s_mov_b32 s5, -1
	s_cbranch_scc1 .LBB286_652
; %bb.647:
	s_cmp_gt_i32 s3, 27
	s_cbranch_scc0 .LBB286_649
; %bb.648:
	s_wait_xcnt 0x0
	v_cndmask_b32_e64 v2, 0, 1, s14
	s_mov_b32 s5, 0
	global_store_b32 v[0:1], v2, off
.LBB286_649:
	s_and_not1_b32 vcc_lo, exec_lo, s5
	s_cbranch_vccnz .LBB286_651
; %bb.650:
	s_wait_xcnt 0x0
	v_cndmask_b32_e64 v2, 0, 1, s14
	global_store_b16 v[0:1], v2, off
.LBB286_651:
	s_mov_b32 s5, 0
.LBB286_652:
	s_delay_alu instid0(SALU_CYCLE_1)
	s_and_not1_b32 vcc_lo, exec_lo, s5
	s_cbranch_vccnz .LBB286_660
; %bb.653:
	s_wait_xcnt 0x0
	v_cndmask_b32_e64 v3, 0, 1.0, s14
	v_mov_b32_e32 v4, 0x80
	s_mov_b32 s5, exec_lo
	s_delay_alu instid0(VALU_DEP_2)
	v_cmpx_gt_u32_e32 0x43800000, v3
	s_cbranch_execz .LBB286_659
; %bb.654:
	s_mov_b32 s6, 0
	s_mov_b32 s7, exec_lo
                                        ; implicit-def: $vgpr2
	v_cmpx_lt_u32_e32 0x3bffffff, v3
	s_xor_b32 s7, exec_lo, s7
	s_cbranch_execz .LBB286_1104
; %bb.655:
	v_bfe_u32 v2, v3, 20, 1
	s_mov_b32 s6, exec_lo
	s_delay_alu instid0(VALU_DEP_1) | instskip(NEXT) | instid1(VALU_DEP_1)
	v_add3_u32 v2, v3, v2, 0x487ffff
                                        ; implicit-def: $vgpr3
	v_lshrrev_b32_e32 v2, 20, v2
	s_and_not1_saveexec_b32 s7, s7
	s_cbranch_execnz .LBB286_1105
.LBB286_656:
	s_or_b32 exec_lo, exec_lo, s7
	v_mov_b32_e32 v4, 0
	s_and_saveexec_b32 s7, s6
.LBB286_657:
	v_mov_b32_e32 v4, v2
.LBB286_658:
	s_or_b32 exec_lo, exec_lo, s7
.LBB286_659:
	s_delay_alu instid0(SALU_CYCLE_1)
	s_or_b32 exec_lo, exec_lo, s5
	global_store_b8 v[0:1], v4, off
.LBB286_660:
	s_mov_b32 s5, -1
.LBB286_661:
	s_mov_b32 s6, 0
.LBB286_662:
	s_delay_alu instid0(SALU_CYCLE_1)
	s_and_b32 vcc_lo, exec_lo, s6
	s_cbranch_vccz .LBB286_702
; %bb.663:
	s_cmp_gt_i32 s3, 22
	s_mov_b32 s4, -1
	s_cbranch_scc0 .LBB286_695
; %bb.664:
	s_cmp_lt_i32 s3, 24
	s_cbranch_scc1 .LBB286_684
; %bb.665:
	s_cmp_gt_i32 s3, 24
	s_cbranch_scc0 .LBB286_673
; %bb.666:
	s_wait_xcnt 0x0
	v_cndmask_b32_e64 v3, 0, 1.0, s14
	v_mov_b32_e32 v4, 0x80
	s_mov_b32 s4, exec_lo
	s_delay_alu instid0(VALU_DEP_2)
	v_cmpx_gt_u32_e32 0x47800000, v3
	s_cbranch_execz .LBB286_672
; %bb.667:
	s_mov_b32 s5, 0
	s_mov_b32 s6, exec_lo
                                        ; implicit-def: $vgpr2
	v_cmpx_lt_u32_e32 0x37ffffff, v3
	s_xor_b32 s6, exec_lo, s6
	s_cbranch_execz .LBB286_1107
; %bb.668:
	v_bfe_u32 v2, v3, 21, 1
	s_mov_b32 s5, exec_lo
	s_delay_alu instid0(VALU_DEP_1) | instskip(NEXT) | instid1(VALU_DEP_1)
	v_add3_u32 v2, v3, v2, 0x88fffff
                                        ; implicit-def: $vgpr3
	v_lshrrev_b32_e32 v2, 21, v2
	s_and_not1_saveexec_b32 s6, s6
	s_cbranch_execnz .LBB286_1108
.LBB286_669:
	s_or_b32 exec_lo, exec_lo, s6
	v_mov_b32_e32 v4, 0
	s_and_saveexec_b32 s6, s5
.LBB286_670:
	v_mov_b32_e32 v4, v2
.LBB286_671:
	s_or_b32 exec_lo, exec_lo, s6
.LBB286_672:
	s_delay_alu instid0(SALU_CYCLE_1)
	s_or_b32 exec_lo, exec_lo, s4
	s_mov_b32 s4, 0
	global_store_b8 v[0:1], v4, off
.LBB286_673:
	s_and_b32 vcc_lo, exec_lo, s4
	s_cbranch_vccz .LBB286_683
; %bb.674:
	s_wait_xcnt 0x0
	v_cndmask_b32_e64 v3, 0, 1.0, s14
	s_mov_b32 s4, exec_lo
                                        ; implicit-def: $vgpr2
	s_delay_alu instid0(VALU_DEP_1)
	v_cmpx_gt_u32_e32 0x43f00000, v3
	s_xor_b32 s4, exec_lo, s4
	s_cbranch_execz .LBB286_680
; %bb.675:
	s_mov_b32 s5, exec_lo
                                        ; implicit-def: $vgpr2
	v_cmpx_lt_u32_e32 0x3c7fffff, v3
	s_xor_b32 s5, exec_lo, s5
; %bb.676:
	v_bfe_u32 v2, v3, 20, 1
	s_delay_alu instid0(VALU_DEP_1) | instskip(NEXT) | instid1(VALU_DEP_1)
	v_add3_u32 v2, v3, v2, 0x407ffff
	v_and_b32_e32 v3, 0xff00000, v2
	v_lshrrev_b32_e32 v2, 20, v2
	s_delay_alu instid0(VALU_DEP_2) | instskip(NEXT) | instid1(VALU_DEP_2)
	v_cmp_ne_u32_e32 vcc_lo, 0x7f00000, v3
                                        ; implicit-def: $vgpr3
	v_cndmask_b32_e32 v2, 0x7e, v2, vcc_lo
; %bb.677:
	s_and_not1_saveexec_b32 s5, s5
; %bb.678:
	v_add_f32_e32 v2, 0x46800000, v3
; %bb.679:
	s_or_b32 exec_lo, exec_lo, s5
                                        ; implicit-def: $vgpr3
.LBB286_680:
	s_and_not1_saveexec_b32 s4, s4
; %bb.681:
	v_mov_b32_e32 v2, 0x7f
	v_cmp_lt_u32_e32 vcc_lo, 0x7f800000, v3
	s_delay_alu instid0(VALU_DEP_2)
	v_cndmask_b32_e32 v2, 0x7e, v2, vcc_lo
; %bb.682:
	s_or_b32 exec_lo, exec_lo, s4
	global_store_b8 v[0:1], v2, off
.LBB286_683:
	s_mov_b32 s4, 0
.LBB286_684:
	s_delay_alu instid0(SALU_CYCLE_1)
	s_and_not1_b32 vcc_lo, exec_lo, s4
	s_cbranch_vccnz .LBB286_694
; %bb.685:
	s_wait_xcnt 0x0
	v_cndmask_b32_e64 v3, 0, 1.0, s14
	s_mov_b32 s4, exec_lo
                                        ; implicit-def: $vgpr2
	s_delay_alu instid0(VALU_DEP_1)
	v_cmpx_gt_u32_e32 0x47800000, v3
	s_xor_b32 s4, exec_lo, s4
	s_cbranch_execz .LBB286_691
; %bb.686:
	s_mov_b32 s5, exec_lo
                                        ; implicit-def: $vgpr2
	v_cmpx_lt_u32_e32 0x387fffff, v3
	s_xor_b32 s5, exec_lo, s5
; %bb.687:
	v_bfe_u32 v2, v3, 21, 1
	s_delay_alu instid0(VALU_DEP_1) | instskip(NEXT) | instid1(VALU_DEP_1)
	v_add3_u32 v2, v3, v2, 0x80fffff
                                        ; implicit-def: $vgpr3
	v_lshrrev_b32_e32 v2, 21, v2
; %bb.688:
	s_and_not1_saveexec_b32 s5, s5
; %bb.689:
	v_add_f32_e32 v2, 0x43000000, v3
; %bb.690:
	s_or_b32 exec_lo, exec_lo, s5
                                        ; implicit-def: $vgpr3
.LBB286_691:
	s_and_not1_saveexec_b32 s4, s4
; %bb.692:
	v_mov_b32_e32 v2, 0x7f
	v_cmp_lt_u32_e32 vcc_lo, 0x7f800000, v3
	s_delay_alu instid0(VALU_DEP_2)
	v_cndmask_b32_e32 v2, 0x7c, v2, vcc_lo
; %bb.693:
	s_or_b32 exec_lo, exec_lo, s4
	global_store_b8 v[0:1], v2, off
.LBB286_694:
	s_mov_b32 s4, 0
	s_mov_b32 s5, -1
.LBB286_695:
	s_and_not1_b32 vcc_lo, exec_lo, s4
	s_mov_b32 s4, 0
	s_cbranch_vccnz .LBB286_702
; %bb.696:
	s_cmp_gt_i32 s3, 14
	s_mov_b32 s4, -1
	s_cbranch_scc0 .LBB286_700
; %bb.697:
	s_cmp_eq_u32 s3, 15
	s_mov_b32 s0, -1
	s_cbranch_scc0 .LBB286_699
; %bb.698:
	s_wait_xcnt 0x0
	v_cndmask_b32_e64 v2, 0, 1.0, s14
	s_mov_b32 s0, 0
	s_mov_b32 s5, -1
	s_delay_alu instid0(VALU_DEP_1) | instskip(NEXT) | instid1(VALU_DEP_1)
	v_bfe_u32 v3, v2, 16, 1
	v_add3_u32 v2, v2, v3, 0x7fff
	global_store_d16_hi_b16 v[0:1], v2, off
.LBB286_699:
	s_mov_b32 s4, 0
.LBB286_700:
	s_delay_alu instid0(SALU_CYCLE_1)
	s_and_b32 vcc_lo, exec_lo, s4
	s_mov_b32 s4, 0
	s_cbranch_vccz .LBB286_702
; %bb.701:
	s_cmp_lg_u32 s3, 11
	s_mov_b32 s4, -1
	s_cselect_b32 s0, -1, 0
.LBB286_702:
	s_delay_alu instid0(SALU_CYCLE_1)
	s_and_b32 vcc_lo, exec_lo, s0
	s_mov_b32 s3, s15
	s_cbranch_vccnz .LBB286_1106
; %bb.703:
	s_and_not1_b32 vcc_lo, exec_lo, s4
	s_cbranch_vccnz .LBB286_705
.LBB286_704:
	s_wait_xcnt 0x0
	v_cndmask_b32_e64 v2, 0, 1, s14
	s_mov_b32 s5, -1
	global_store_b8 v[0:1], v2, off
.LBB286_705:
.LBB286_706:
	s_and_not1_b32 vcc_lo, exec_lo, s5
	s_cbranch_vccz .LBB286_746
	s_branch .LBB286_1058
.LBB286_707:
	s_mov_b32 s5, 0
	s_mov_b32 s3, s15
	s_cbranch_execz .LBB286_706
; %bb.708:
	s_and_b32 s0, 0xffff, s2
	s_mov_b32 s4, -1
	s_cmp_lt_i32 s0, 5
	s_cbranch_scc1 .LBB286_729
; %bb.709:
	s_cmp_lt_i32 s0, 8
	s_cbranch_scc1 .LBB286_719
; %bb.710:
	;; [unrolled: 3-line block ×3, first 2 shown]
	s_cmp_gt_i32 s0, 9
	s_cbranch_scc0 .LBB286_713
; %bb.712:
	s_wait_xcnt 0x0
	v_cndmask_b32_e64 v2, 0, 1, s14
	v_mov_b32_e32 v4, 0
	s_mov_b32 s4, 0
	s_delay_alu instid0(VALU_DEP_2) | instskip(NEXT) | instid1(VALU_DEP_2)
	v_cvt_f64_u32_e32 v[2:3], v2
	v_mov_b32_e32 v5, v4
	global_store_b128 v[0:1], v[2:5], off
.LBB286_713:
	s_and_not1_b32 vcc_lo, exec_lo, s4
	s_cbranch_vccnz .LBB286_715
; %bb.714:
	s_wait_xcnt 0x0
	v_cndmask_b32_e64 v2, 0, 1.0, s14
	v_mov_b32_e32 v3, 0
	global_store_b64 v[0:1], v[2:3], off
.LBB286_715:
	s_mov_b32 s4, 0
.LBB286_716:
	s_delay_alu instid0(SALU_CYCLE_1)
	s_and_not1_b32 vcc_lo, exec_lo, s4
	s_cbranch_vccnz .LBB286_718
; %bb.717:
	s_wait_xcnt 0x0
	v_cndmask_b32_e64 v2, 0, 1.0, s14
	s_delay_alu instid0(VALU_DEP_1) | instskip(NEXT) | instid1(VALU_DEP_1)
	v_cvt_f16_f32_e32 v2, v2
	v_and_b32_e32 v2, 0xffff, v2
	global_store_b32 v[0:1], v2, off
.LBB286_718:
	s_mov_b32 s4, 0
.LBB286_719:
	s_delay_alu instid0(SALU_CYCLE_1)
	s_and_not1_b32 vcc_lo, exec_lo, s4
	s_cbranch_vccnz .LBB286_728
; %bb.720:
	s_cmp_lt_i32 s0, 6
	s_mov_b32 s4, -1
	s_cbranch_scc1 .LBB286_726
; %bb.721:
	s_cmp_gt_i32 s0, 6
	s_cbranch_scc0 .LBB286_723
; %bb.722:
	s_wait_xcnt 0x0
	v_cndmask_b32_e64 v2, 0, 1, s14
	s_mov_b32 s4, 0
	s_delay_alu instid0(VALU_DEP_1)
	v_cvt_f64_u32_e32 v[2:3], v2
	global_store_b64 v[0:1], v[2:3], off
.LBB286_723:
	s_and_not1_b32 vcc_lo, exec_lo, s4
	s_cbranch_vccnz .LBB286_725
; %bb.724:
	s_wait_xcnt 0x0
	v_cndmask_b32_e64 v2, 0, 1.0, s14
	global_store_b32 v[0:1], v2, off
.LBB286_725:
	s_mov_b32 s4, 0
.LBB286_726:
	s_delay_alu instid0(SALU_CYCLE_1)
	s_and_not1_b32 vcc_lo, exec_lo, s4
	s_cbranch_vccnz .LBB286_728
; %bb.727:
	s_wait_xcnt 0x0
	v_cndmask_b32_e64 v2, 0, 1.0, s14
	s_delay_alu instid0(VALU_DEP_1)
	v_cvt_f16_f32_e32 v2, v2
	global_store_b16 v[0:1], v2, off
.LBB286_728:
	s_mov_b32 s4, 0
.LBB286_729:
	s_delay_alu instid0(SALU_CYCLE_1)
	s_and_not1_b32 vcc_lo, exec_lo, s4
	s_cbranch_vccnz .LBB286_745
; %bb.730:
	s_cmp_lt_i32 s0, 2
	s_mov_b32 s4, -1
	s_cbranch_scc1 .LBB286_740
; %bb.731:
	s_cmp_lt_i32 s0, 3
	s_cbranch_scc1 .LBB286_737
; %bb.732:
	s_cmp_gt_i32 s0, 3
	s_cbranch_scc0 .LBB286_734
; %bb.733:
	s_mov_b32 s4, 0
	s_wait_xcnt 0x0
	v_cndmask_b32_e64 v2, 0, 1, s14
	v_mov_b32_e32 v3, s4
	global_store_b64 v[0:1], v[2:3], off
.LBB286_734:
	s_and_not1_b32 vcc_lo, exec_lo, s4
	s_cbranch_vccnz .LBB286_736
; %bb.735:
	s_wait_xcnt 0x0
	v_cndmask_b32_e64 v2, 0, 1, s14
	global_store_b32 v[0:1], v2, off
.LBB286_736:
	s_mov_b32 s4, 0
.LBB286_737:
	s_delay_alu instid0(SALU_CYCLE_1)
	s_and_not1_b32 vcc_lo, exec_lo, s4
	s_cbranch_vccnz .LBB286_739
; %bb.738:
	s_wait_xcnt 0x0
	v_cndmask_b32_e64 v2, 0, 1, s14
	global_store_b16 v[0:1], v2, off
.LBB286_739:
	s_mov_b32 s4, 0
.LBB286_740:
	s_delay_alu instid0(SALU_CYCLE_1)
	s_and_not1_b32 vcc_lo, exec_lo, s4
	s_cbranch_vccnz .LBB286_745
; %bb.741:
	s_cmp_gt_i32 s0, 0
	s_mov_b32 s0, -1
	s_cbranch_scc0 .LBB286_743
; %bb.742:
	s_wait_xcnt 0x0
	v_cndmask_b32_e64 v2, 0, 1, s14
	s_mov_b32 s0, 0
	global_store_b8 v[0:1], v2, off
.LBB286_743:
	s_and_not1_b32 vcc_lo, exec_lo, s0
	s_cbranch_vccnz .LBB286_745
; %bb.744:
	s_wait_xcnt 0x0
	v_cndmask_b32_e64 v2, 0, 1, s14
	global_store_b8 v[0:1], v2, off
.LBB286_745:
.LBB286_746:
	v_mov_b32_e32 v17, 0
	s_and_b32 s4, 0xffff, s2
	s_delay_alu instid0(SALU_CYCLE_1) | instskip(SKIP_1) | instid1(VALU_DEP_1)
	s_cmp_lt_i32 s4, 11
	s_wait_xcnt 0x0
	v_add_nc_u64_e32 v[0:1], s[16:17], v[16:17]
	s_cbranch_scc1 .LBB286_825
; %bb.747:
	s_mov_b32 s7, -1
	s_mov_b32 s5, 0
	s_cmp_gt_i32 s4, 25
	s_mov_b32 s6, 0
	s_mov_b32 s0, 0
	s_cbranch_scc0 .LBB286_780
; %bb.748:
	s_cmp_gt_i32 s4, 28
	s_cbranch_scc0 .LBB286_763
; %bb.749:
	s_cmp_gt_i32 s4, 43
	;; [unrolled: 3-line block ×3, first 2 shown]
	s_cbranch_scc0 .LBB286_753
; %bb.751:
	s_mov_b32 s0, -1
	s_mov_b32 s7, 0
	s_cmp_eq_u32 s4, 46
	s_cbranch_scc0 .LBB286_753
; %bb.752:
	v_cndmask_b32_e64 v2, 0, 1.0, s13
	s_mov_b32 s0, 0
	s_mov_b32 s6, -1
	s_delay_alu instid0(VALU_DEP_1) | instskip(NEXT) | instid1(VALU_DEP_1)
	v_bfe_u32 v3, v2, 16, 1
	v_add3_u32 v2, v2, v3, 0x7fff
	s_delay_alu instid0(VALU_DEP_1)
	v_lshrrev_b32_e32 v2, 16, v2
	global_store_b32 v[0:1], v2, off
.LBB286_753:
	s_and_b32 vcc_lo, exec_lo, s7
	s_cbranch_vccz .LBB286_758
; %bb.754:
	s_cmp_eq_u32 s4, 44
	s_mov_b32 s0, -1
	s_cbranch_scc0 .LBB286_758
; %bb.755:
	v_cndmask_b32_e64 v4, 0, 1.0, s13
	s_mov_b32 s6, exec_lo
	s_wait_xcnt 0x0
	s_delay_alu instid0(VALU_DEP_1) | instskip(NEXT) | instid1(VALU_DEP_1)
	v_dual_mov_b32 v3, 0xff :: v_dual_lshrrev_b32 v2, 23, v4
	v_cmpx_ne_u32_e32 0xff, v2
; %bb.756:
	v_and_b32_e32 v3, 0x400000, v4
	v_and_or_b32 v4, 0x3fffff, v4, v2
	s_delay_alu instid0(VALU_DEP_2) | instskip(NEXT) | instid1(VALU_DEP_2)
	v_cmp_ne_u32_e32 vcc_lo, 0, v3
	v_cmp_ne_u32_e64 s0, 0, v4
	s_and_b32 s0, vcc_lo, s0
	s_delay_alu instid0(SALU_CYCLE_1) | instskip(NEXT) | instid1(VALU_DEP_1)
	v_cndmask_b32_e64 v3, 0, 1, s0
	v_add_nc_u32_e32 v3, v2, v3
; %bb.757:
	s_or_b32 exec_lo, exec_lo, s6
	s_mov_b32 s0, 0
	s_mov_b32 s6, -1
	global_store_b8 v[0:1], v3, off
.LBB286_758:
	s_mov_b32 s7, 0
.LBB286_759:
	s_delay_alu instid0(SALU_CYCLE_1)
	s_and_b32 vcc_lo, exec_lo, s7
	s_cbranch_vccz .LBB286_762
; %bb.760:
	s_cmp_eq_u32 s4, 29
	s_mov_b32 s0, -1
	s_cbranch_scc0 .LBB286_762
; %bb.761:
	s_mov_b32 s0, 0
	s_wait_xcnt 0x0
	v_cndmask_b32_e64 v2, 0, 1, s13
	v_mov_b32_e32 v3, s0
	s_mov_b32 s6, -1
	global_store_b64 v[0:1], v[2:3], off
.LBB286_762:
	s_mov_b32 s7, 0
.LBB286_763:
	s_delay_alu instid0(SALU_CYCLE_1)
	s_and_b32 vcc_lo, exec_lo, s7
	s_cbranch_vccz .LBB286_779
; %bb.764:
	s_cmp_lt_i32 s4, 27
	s_mov_b32 s6, -1
	s_cbranch_scc1 .LBB286_770
; %bb.765:
	s_cmp_gt_i32 s4, 27
	s_cbranch_scc0 .LBB286_767
; %bb.766:
	s_wait_xcnt 0x0
	v_cndmask_b32_e64 v2, 0, 1, s13
	s_mov_b32 s6, 0
	global_store_b32 v[0:1], v2, off
.LBB286_767:
	s_and_not1_b32 vcc_lo, exec_lo, s6
	s_cbranch_vccnz .LBB286_769
; %bb.768:
	s_wait_xcnt 0x0
	v_cndmask_b32_e64 v2, 0, 1, s13
	global_store_b16 v[0:1], v2, off
.LBB286_769:
	s_mov_b32 s6, 0
.LBB286_770:
	s_delay_alu instid0(SALU_CYCLE_1)
	s_and_not1_b32 vcc_lo, exec_lo, s6
	s_cbranch_vccnz .LBB286_778
; %bb.771:
	s_wait_xcnt 0x0
	v_cndmask_b32_e64 v3, 0, 1.0, s13
	v_mov_b32_e32 v4, 0x80
	s_mov_b32 s6, exec_lo
	s_delay_alu instid0(VALU_DEP_2)
	v_cmpx_gt_u32_e32 0x43800000, v3
	s_cbranch_execz .LBB286_777
; %bb.772:
	s_mov_b32 s7, 0
	s_mov_b32 s8, exec_lo
                                        ; implicit-def: $vgpr2
	v_cmpx_lt_u32_e32 0x3bffffff, v3
	s_xor_b32 s8, exec_lo, s8
	s_cbranch_execz .LBB286_1109
; %bb.773:
	v_bfe_u32 v2, v3, 20, 1
	s_mov_b32 s7, exec_lo
	s_delay_alu instid0(VALU_DEP_1) | instskip(NEXT) | instid1(VALU_DEP_1)
	v_add3_u32 v2, v3, v2, 0x487ffff
                                        ; implicit-def: $vgpr3
	v_lshrrev_b32_e32 v2, 20, v2
	s_and_not1_saveexec_b32 s8, s8
	s_cbranch_execnz .LBB286_1110
.LBB286_774:
	s_or_b32 exec_lo, exec_lo, s8
	v_mov_b32_e32 v4, 0
	s_and_saveexec_b32 s8, s7
.LBB286_775:
	v_mov_b32_e32 v4, v2
.LBB286_776:
	s_or_b32 exec_lo, exec_lo, s8
.LBB286_777:
	s_delay_alu instid0(SALU_CYCLE_1)
	s_or_b32 exec_lo, exec_lo, s6
	global_store_b8 v[0:1], v4, off
.LBB286_778:
	s_mov_b32 s6, -1
.LBB286_779:
	s_mov_b32 s7, 0
.LBB286_780:
	s_delay_alu instid0(SALU_CYCLE_1)
	s_and_b32 vcc_lo, exec_lo, s7
	s_cbranch_vccz .LBB286_820
; %bb.781:
	s_cmp_gt_i32 s4, 22
	s_mov_b32 s5, -1
	s_cbranch_scc0 .LBB286_813
; %bb.782:
	s_cmp_lt_i32 s4, 24
	s_cbranch_scc1 .LBB286_802
; %bb.783:
	s_cmp_gt_i32 s4, 24
	s_cbranch_scc0 .LBB286_791
; %bb.784:
	s_wait_xcnt 0x0
	v_cndmask_b32_e64 v3, 0, 1.0, s13
	v_mov_b32_e32 v4, 0x80
	s_mov_b32 s5, exec_lo
	s_delay_alu instid0(VALU_DEP_2)
	v_cmpx_gt_u32_e32 0x47800000, v3
	s_cbranch_execz .LBB286_790
; %bb.785:
	s_mov_b32 s6, 0
	s_mov_b32 s7, exec_lo
                                        ; implicit-def: $vgpr2
	v_cmpx_lt_u32_e32 0x37ffffff, v3
	s_xor_b32 s7, exec_lo, s7
	s_cbranch_execz .LBB286_1112
; %bb.786:
	v_bfe_u32 v2, v3, 21, 1
	s_mov_b32 s6, exec_lo
	s_delay_alu instid0(VALU_DEP_1) | instskip(NEXT) | instid1(VALU_DEP_1)
	v_add3_u32 v2, v3, v2, 0x88fffff
                                        ; implicit-def: $vgpr3
	v_lshrrev_b32_e32 v2, 21, v2
	s_and_not1_saveexec_b32 s7, s7
	s_cbranch_execnz .LBB286_1113
.LBB286_787:
	s_or_b32 exec_lo, exec_lo, s7
	v_mov_b32_e32 v4, 0
	s_and_saveexec_b32 s7, s6
.LBB286_788:
	v_mov_b32_e32 v4, v2
.LBB286_789:
	s_or_b32 exec_lo, exec_lo, s7
.LBB286_790:
	s_delay_alu instid0(SALU_CYCLE_1)
	s_or_b32 exec_lo, exec_lo, s5
	s_mov_b32 s5, 0
	global_store_b8 v[0:1], v4, off
.LBB286_791:
	s_and_b32 vcc_lo, exec_lo, s5
	s_cbranch_vccz .LBB286_801
; %bb.792:
	s_wait_xcnt 0x0
	v_cndmask_b32_e64 v3, 0, 1.0, s13
	s_mov_b32 s5, exec_lo
                                        ; implicit-def: $vgpr2
	s_delay_alu instid0(VALU_DEP_1)
	v_cmpx_gt_u32_e32 0x43f00000, v3
	s_xor_b32 s5, exec_lo, s5
	s_cbranch_execz .LBB286_798
; %bb.793:
	s_mov_b32 s6, exec_lo
                                        ; implicit-def: $vgpr2
	v_cmpx_lt_u32_e32 0x3c7fffff, v3
	s_xor_b32 s6, exec_lo, s6
; %bb.794:
	v_bfe_u32 v2, v3, 20, 1
	s_delay_alu instid0(VALU_DEP_1) | instskip(NEXT) | instid1(VALU_DEP_1)
	v_add3_u32 v2, v3, v2, 0x407ffff
	v_and_b32_e32 v3, 0xff00000, v2
	v_lshrrev_b32_e32 v2, 20, v2
	s_delay_alu instid0(VALU_DEP_2) | instskip(NEXT) | instid1(VALU_DEP_2)
	v_cmp_ne_u32_e32 vcc_lo, 0x7f00000, v3
                                        ; implicit-def: $vgpr3
	v_cndmask_b32_e32 v2, 0x7e, v2, vcc_lo
; %bb.795:
	s_and_not1_saveexec_b32 s6, s6
; %bb.796:
	v_add_f32_e32 v2, 0x46800000, v3
; %bb.797:
	s_or_b32 exec_lo, exec_lo, s6
                                        ; implicit-def: $vgpr3
.LBB286_798:
	s_and_not1_saveexec_b32 s5, s5
; %bb.799:
	v_mov_b32_e32 v2, 0x7f
	v_cmp_lt_u32_e32 vcc_lo, 0x7f800000, v3
	s_delay_alu instid0(VALU_DEP_2)
	v_cndmask_b32_e32 v2, 0x7e, v2, vcc_lo
; %bb.800:
	s_or_b32 exec_lo, exec_lo, s5
	global_store_b8 v[0:1], v2, off
.LBB286_801:
	s_mov_b32 s5, 0
.LBB286_802:
	s_delay_alu instid0(SALU_CYCLE_1)
	s_and_not1_b32 vcc_lo, exec_lo, s5
	s_cbranch_vccnz .LBB286_812
; %bb.803:
	s_wait_xcnt 0x0
	v_cndmask_b32_e64 v3, 0, 1.0, s13
	s_mov_b32 s5, exec_lo
                                        ; implicit-def: $vgpr2
	s_delay_alu instid0(VALU_DEP_1)
	v_cmpx_gt_u32_e32 0x47800000, v3
	s_xor_b32 s5, exec_lo, s5
	s_cbranch_execz .LBB286_809
; %bb.804:
	s_mov_b32 s6, exec_lo
                                        ; implicit-def: $vgpr2
	v_cmpx_lt_u32_e32 0x387fffff, v3
	s_xor_b32 s6, exec_lo, s6
; %bb.805:
	v_bfe_u32 v2, v3, 21, 1
	s_delay_alu instid0(VALU_DEP_1) | instskip(NEXT) | instid1(VALU_DEP_1)
	v_add3_u32 v2, v3, v2, 0x80fffff
                                        ; implicit-def: $vgpr3
	v_lshrrev_b32_e32 v2, 21, v2
; %bb.806:
	s_and_not1_saveexec_b32 s6, s6
; %bb.807:
	v_add_f32_e32 v2, 0x43000000, v3
; %bb.808:
	s_or_b32 exec_lo, exec_lo, s6
                                        ; implicit-def: $vgpr3
.LBB286_809:
	s_and_not1_saveexec_b32 s5, s5
; %bb.810:
	v_mov_b32_e32 v2, 0x7f
	v_cmp_lt_u32_e32 vcc_lo, 0x7f800000, v3
	s_delay_alu instid0(VALU_DEP_2)
	v_cndmask_b32_e32 v2, 0x7c, v2, vcc_lo
; %bb.811:
	s_or_b32 exec_lo, exec_lo, s5
	global_store_b8 v[0:1], v2, off
.LBB286_812:
	s_mov_b32 s5, 0
	s_mov_b32 s6, -1
.LBB286_813:
	s_and_not1_b32 vcc_lo, exec_lo, s5
	s_mov_b32 s5, 0
	s_cbranch_vccnz .LBB286_820
; %bb.814:
	s_cmp_gt_i32 s4, 14
	s_mov_b32 s5, -1
	s_cbranch_scc0 .LBB286_818
; %bb.815:
	s_cmp_eq_u32 s4, 15
	s_mov_b32 s0, -1
	s_cbranch_scc0 .LBB286_817
; %bb.816:
	s_wait_xcnt 0x0
	v_cndmask_b32_e64 v2, 0, 1.0, s13
	s_mov_b32 s0, 0
	s_mov_b32 s6, -1
	s_delay_alu instid0(VALU_DEP_1) | instskip(NEXT) | instid1(VALU_DEP_1)
	v_bfe_u32 v3, v2, 16, 1
	v_add3_u32 v2, v2, v3, 0x7fff
	global_store_d16_hi_b16 v[0:1], v2, off
.LBB286_817:
	s_mov_b32 s5, 0
.LBB286_818:
	s_delay_alu instid0(SALU_CYCLE_1)
	s_and_b32 vcc_lo, exec_lo, s5
	s_mov_b32 s5, 0
	s_cbranch_vccz .LBB286_820
; %bb.819:
	s_cmp_lg_u32 s4, 11
	s_mov_b32 s5, -1
	s_cselect_b32 s0, -1, 0
.LBB286_820:
	s_delay_alu instid0(SALU_CYCLE_1)
	s_and_b32 vcc_lo, exec_lo, s0
	s_cbranch_vccnz .LBB286_1111
; %bb.821:
	s_and_not1_b32 vcc_lo, exec_lo, s5
	s_cbranch_vccnz .LBB286_823
.LBB286_822:
	s_wait_xcnt 0x0
	v_cndmask_b32_e64 v2, 0, 1, s13
	s_mov_b32 s6, -1
	global_store_b8 v[0:1], v2, off
.LBB286_823:
.LBB286_824:
	s_and_not1_b32 vcc_lo, exec_lo, s6
	s_cbranch_vccz .LBB286_864
	s_branch .LBB286_1058
.LBB286_825:
	s_mov_b32 s6, 0
	s_cbranch_execz .LBB286_824
; %bb.826:
	s_cmp_lt_i32 s4, 5
	s_mov_b32 s0, -1
	s_cbranch_scc1 .LBB286_847
; %bb.827:
	s_cmp_lt_i32 s4, 8
	s_cbranch_scc1 .LBB286_837
; %bb.828:
	s_cmp_lt_i32 s4, 9
	s_cbranch_scc1 .LBB286_834
; %bb.829:
	s_cmp_gt_i32 s4, 9
	s_cbranch_scc0 .LBB286_831
; %bb.830:
	s_wait_xcnt 0x0
	v_cndmask_b32_e64 v2, 0, 1, s13
	v_mov_b32_e32 v4, 0
	s_mov_b32 s0, 0
	s_delay_alu instid0(VALU_DEP_2) | instskip(NEXT) | instid1(VALU_DEP_2)
	v_cvt_f64_u32_e32 v[2:3], v2
	v_mov_b32_e32 v5, v4
	global_store_b128 v[0:1], v[2:5], off
.LBB286_831:
	s_and_not1_b32 vcc_lo, exec_lo, s0
	s_cbranch_vccnz .LBB286_833
; %bb.832:
	s_wait_xcnt 0x0
	v_cndmask_b32_e64 v2, 0, 1.0, s13
	v_mov_b32_e32 v3, 0
	global_store_b64 v[0:1], v[2:3], off
.LBB286_833:
	s_mov_b32 s0, 0
.LBB286_834:
	s_delay_alu instid0(SALU_CYCLE_1)
	s_and_not1_b32 vcc_lo, exec_lo, s0
	s_cbranch_vccnz .LBB286_836
; %bb.835:
	s_wait_xcnt 0x0
	v_cndmask_b32_e64 v2, 0, 1.0, s13
	s_delay_alu instid0(VALU_DEP_1) | instskip(NEXT) | instid1(VALU_DEP_1)
	v_cvt_f16_f32_e32 v2, v2
	v_and_b32_e32 v2, 0xffff, v2
	global_store_b32 v[0:1], v2, off
.LBB286_836:
	s_mov_b32 s0, 0
.LBB286_837:
	s_delay_alu instid0(SALU_CYCLE_1)
	s_and_not1_b32 vcc_lo, exec_lo, s0
	s_cbranch_vccnz .LBB286_846
; %bb.838:
	s_cmp_lt_i32 s4, 6
	s_mov_b32 s0, -1
	s_cbranch_scc1 .LBB286_844
; %bb.839:
	s_cmp_gt_i32 s4, 6
	s_cbranch_scc0 .LBB286_841
; %bb.840:
	s_wait_xcnt 0x0
	v_cndmask_b32_e64 v2, 0, 1, s13
	s_mov_b32 s0, 0
	s_delay_alu instid0(VALU_DEP_1)
	v_cvt_f64_u32_e32 v[2:3], v2
	global_store_b64 v[0:1], v[2:3], off
.LBB286_841:
	s_and_not1_b32 vcc_lo, exec_lo, s0
	s_cbranch_vccnz .LBB286_843
; %bb.842:
	s_wait_xcnt 0x0
	v_cndmask_b32_e64 v2, 0, 1.0, s13
	global_store_b32 v[0:1], v2, off
.LBB286_843:
	s_mov_b32 s0, 0
.LBB286_844:
	s_delay_alu instid0(SALU_CYCLE_1)
	s_and_not1_b32 vcc_lo, exec_lo, s0
	s_cbranch_vccnz .LBB286_846
; %bb.845:
	s_wait_xcnt 0x0
	v_cndmask_b32_e64 v2, 0, 1.0, s13
	s_delay_alu instid0(VALU_DEP_1)
	v_cvt_f16_f32_e32 v2, v2
	global_store_b16 v[0:1], v2, off
.LBB286_846:
	s_mov_b32 s0, 0
.LBB286_847:
	s_delay_alu instid0(SALU_CYCLE_1)
	s_and_not1_b32 vcc_lo, exec_lo, s0
	s_cbranch_vccnz .LBB286_863
; %bb.848:
	s_cmp_lt_i32 s4, 2
	s_mov_b32 s0, -1
	s_cbranch_scc1 .LBB286_858
; %bb.849:
	s_cmp_lt_i32 s4, 3
	s_cbranch_scc1 .LBB286_855
; %bb.850:
	s_cmp_gt_i32 s4, 3
	s_cbranch_scc0 .LBB286_852
; %bb.851:
	s_mov_b32 s0, 0
	s_wait_xcnt 0x0
	v_cndmask_b32_e64 v2, 0, 1, s13
	v_mov_b32_e32 v3, s0
	global_store_b64 v[0:1], v[2:3], off
.LBB286_852:
	s_and_not1_b32 vcc_lo, exec_lo, s0
	s_cbranch_vccnz .LBB286_854
; %bb.853:
	s_wait_xcnt 0x0
	v_cndmask_b32_e64 v2, 0, 1, s13
	global_store_b32 v[0:1], v2, off
.LBB286_854:
	s_mov_b32 s0, 0
.LBB286_855:
	s_delay_alu instid0(SALU_CYCLE_1)
	s_and_not1_b32 vcc_lo, exec_lo, s0
	s_cbranch_vccnz .LBB286_857
; %bb.856:
	s_wait_xcnt 0x0
	v_cndmask_b32_e64 v2, 0, 1, s13
	global_store_b16 v[0:1], v2, off
.LBB286_857:
	s_mov_b32 s0, 0
.LBB286_858:
	s_delay_alu instid0(SALU_CYCLE_1)
	s_and_not1_b32 vcc_lo, exec_lo, s0
	s_cbranch_vccnz .LBB286_863
; %bb.859:
	s_cmp_gt_i32 s4, 0
	s_mov_b32 s0, -1
	s_cbranch_scc0 .LBB286_861
; %bb.860:
	s_wait_xcnt 0x0
	v_cndmask_b32_e64 v2, 0, 1, s13
	s_mov_b32 s0, 0
	global_store_b8 v[0:1], v2, off
.LBB286_861:
	s_and_not1_b32 vcc_lo, exec_lo, s0
	s_cbranch_vccnz .LBB286_863
; %bb.862:
	s_wait_xcnt 0x0
	v_cndmask_b32_e64 v2, 0, 1, s13
	global_store_b8 v[0:1], v2, off
.LBB286_863:
.LBB286_864:
	v_mov_b32_e32 v15, 0
	s_cmp_lt_i32 s4, 11
	s_wait_xcnt 0x0
	s_delay_alu instid0(VALU_DEP_1)
	v_add_nc_u64_e32 v[0:1], s[16:17], v[14:15]
	s_cbranch_scc1 .LBB286_1019
; %bb.865:
	s_mov_b32 s7, -1
	s_mov_b32 s5, 0
	s_cmp_gt_i32 s4, 25
	s_mov_b32 s6, 0
	s_mov_b32 s0, 0
	s_cbranch_scc0 .LBB286_898
; %bb.866:
	s_cmp_gt_i32 s4, 28
	s_cbranch_scc0 .LBB286_881
; %bb.867:
	s_cmp_gt_i32 s4, 43
	;; [unrolled: 3-line block ×3, first 2 shown]
	s_cbranch_scc0 .LBB286_871
; %bb.869:
	s_mov_b32 s0, -1
	s_mov_b32 s7, 0
	s_cmp_eq_u32 s4, 46
	s_cbranch_scc0 .LBB286_871
; %bb.870:
	v_cndmask_b32_e64 v2, 0, 1.0, s12
	s_mov_b32 s0, 0
	s_mov_b32 s6, -1
	s_delay_alu instid0(VALU_DEP_1) | instskip(NEXT) | instid1(VALU_DEP_1)
	v_bfe_u32 v3, v2, 16, 1
	v_add3_u32 v2, v2, v3, 0x7fff
	s_delay_alu instid0(VALU_DEP_1)
	v_lshrrev_b32_e32 v2, 16, v2
	global_store_b32 v[0:1], v2, off
.LBB286_871:
	s_and_b32 vcc_lo, exec_lo, s7
	s_cbranch_vccz .LBB286_876
; %bb.872:
	s_cmp_eq_u32 s4, 44
	s_mov_b32 s0, -1
	s_cbranch_scc0 .LBB286_876
; %bb.873:
	v_cndmask_b32_e64 v4, 0, 1.0, s12
	s_mov_b32 s6, exec_lo
	s_wait_xcnt 0x0
	s_delay_alu instid0(VALU_DEP_1) | instskip(NEXT) | instid1(VALU_DEP_1)
	v_dual_mov_b32 v3, 0xff :: v_dual_lshrrev_b32 v2, 23, v4
	v_cmpx_ne_u32_e32 0xff, v2
; %bb.874:
	v_and_b32_e32 v3, 0x400000, v4
	v_and_or_b32 v4, 0x3fffff, v4, v2
	s_delay_alu instid0(VALU_DEP_2) | instskip(NEXT) | instid1(VALU_DEP_2)
	v_cmp_ne_u32_e32 vcc_lo, 0, v3
	v_cmp_ne_u32_e64 s0, 0, v4
	s_and_b32 s0, vcc_lo, s0
	s_delay_alu instid0(SALU_CYCLE_1) | instskip(NEXT) | instid1(VALU_DEP_1)
	v_cndmask_b32_e64 v3, 0, 1, s0
	v_add_nc_u32_e32 v3, v2, v3
; %bb.875:
	s_or_b32 exec_lo, exec_lo, s6
	s_mov_b32 s0, 0
	s_mov_b32 s6, -1
	global_store_b8 v[0:1], v3, off
.LBB286_876:
	s_mov_b32 s7, 0
.LBB286_877:
	s_delay_alu instid0(SALU_CYCLE_1)
	s_and_b32 vcc_lo, exec_lo, s7
	s_cbranch_vccz .LBB286_880
; %bb.878:
	s_cmp_eq_u32 s4, 29
	s_mov_b32 s0, -1
	s_cbranch_scc0 .LBB286_880
; %bb.879:
	s_mov_b32 s0, 0
	s_wait_xcnt 0x0
	v_cndmask_b32_e64 v2, 0, 1, s12
	v_mov_b32_e32 v3, s0
	s_mov_b32 s6, -1
	global_store_b64 v[0:1], v[2:3], off
.LBB286_880:
	s_mov_b32 s7, 0
.LBB286_881:
	s_delay_alu instid0(SALU_CYCLE_1)
	s_and_b32 vcc_lo, exec_lo, s7
	s_cbranch_vccz .LBB286_897
; %bb.882:
	s_cmp_lt_i32 s4, 27
	s_mov_b32 s6, -1
	s_cbranch_scc1 .LBB286_888
; %bb.883:
	s_cmp_gt_i32 s4, 27
	s_cbranch_scc0 .LBB286_885
; %bb.884:
	s_wait_xcnt 0x0
	v_cndmask_b32_e64 v2, 0, 1, s12
	s_mov_b32 s6, 0
	global_store_b32 v[0:1], v2, off
.LBB286_885:
	s_and_not1_b32 vcc_lo, exec_lo, s6
	s_cbranch_vccnz .LBB286_887
; %bb.886:
	s_wait_xcnt 0x0
	v_cndmask_b32_e64 v2, 0, 1, s12
	global_store_b16 v[0:1], v2, off
.LBB286_887:
	s_mov_b32 s6, 0
.LBB286_888:
	s_delay_alu instid0(SALU_CYCLE_1)
	s_and_not1_b32 vcc_lo, exec_lo, s6
	s_cbranch_vccnz .LBB286_896
; %bb.889:
	s_wait_xcnt 0x0
	v_cndmask_b32_e64 v3, 0, 1.0, s12
	v_mov_b32_e32 v4, 0x80
	s_mov_b32 s6, exec_lo
	s_delay_alu instid0(VALU_DEP_2)
	v_cmpx_gt_u32_e32 0x43800000, v3
	s_cbranch_execz .LBB286_895
; %bb.890:
	s_mov_b32 s7, 0
	s_mov_b32 s8, exec_lo
                                        ; implicit-def: $vgpr2
	v_cmpx_lt_u32_e32 0x3bffffff, v3
	s_xor_b32 s8, exec_lo, s8
	s_cbranch_execz .LBB286_1114
; %bb.891:
	v_bfe_u32 v2, v3, 20, 1
	s_mov_b32 s7, exec_lo
	s_delay_alu instid0(VALU_DEP_1) | instskip(NEXT) | instid1(VALU_DEP_1)
	v_add3_u32 v2, v3, v2, 0x487ffff
                                        ; implicit-def: $vgpr3
	v_lshrrev_b32_e32 v2, 20, v2
	s_and_not1_saveexec_b32 s8, s8
	s_cbranch_execnz .LBB286_1115
.LBB286_892:
	s_or_b32 exec_lo, exec_lo, s8
	v_mov_b32_e32 v4, 0
	s_and_saveexec_b32 s8, s7
.LBB286_893:
	v_mov_b32_e32 v4, v2
.LBB286_894:
	s_or_b32 exec_lo, exec_lo, s8
.LBB286_895:
	s_delay_alu instid0(SALU_CYCLE_1)
	s_or_b32 exec_lo, exec_lo, s6
	global_store_b8 v[0:1], v4, off
.LBB286_896:
	s_mov_b32 s6, -1
.LBB286_897:
	s_mov_b32 s7, 0
.LBB286_898:
	s_delay_alu instid0(SALU_CYCLE_1)
	s_and_b32 vcc_lo, exec_lo, s7
	s_cbranch_vccz .LBB286_938
; %bb.899:
	s_cmp_gt_i32 s4, 22
	s_mov_b32 s5, -1
	s_cbranch_scc0 .LBB286_931
; %bb.900:
	s_cmp_lt_i32 s4, 24
	s_cbranch_scc1 .LBB286_920
; %bb.901:
	s_cmp_gt_i32 s4, 24
	s_cbranch_scc0 .LBB286_909
; %bb.902:
	s_wait_xcnt 0x0
	v_cndmask_b32_e64 v3, 0, 1.0, s12
	v_mov_b32_e32 v4, 0x80
	s_mov_b32 s5, exec_lo
	s_delay_alu instid0(VALU_DEP_2)
	v_cmpx_gt_u32_e32 0x47800000, v3
	s_cbranch_execz .LBB286_908
; %bb.903:
	s_mov_b32 s6, 0
	s_mov_b32 s7, exec_lo
                                        ; implicit-def: $vgpr2
	v_cmpx_lt_u32_e32 0x37ffffff, v3
	s_xor_b32 s7, exec_lo, s7
	s_cbranch_execz .LBB286_1117
; %bb.904:
	v_bfe_u32 v2, v3, 21, 1
	s_mov_b32 s6, exec_lo
	s_delay_alu instid0(VALU_DEP_1) | instskip(NEXT) | instid1(VALU_DEP_1)
	v_add3_u32 v2, v3, v2, 0x88fffff
                                        ; implicit-def: $vgpr3
	v_lshrrev_b32_e32 v2, 21, v2
	s_and_not1_saveexec_b32 s7, s7
	s_cbranch_execnz .LBB286_1118
.LBB286_905:
	s_or_b32 exec_lo, exec_lo, s7
	v_mov_b32_e32 v4, 0
	s_and_saveexec_b32 s7, s6
.LBB286_906:
	v_mov_b32_e32 v4, v2
.LBB286_907:
	s_or_b32 exec_lo, exec_lo, s7
.LBB286_908:
	s_delay_alu instid0(SALU_CYCLE_1)
	s_or_b32 exec_lo, exec_lo, s5
	s_mov_b32 s5, 0
	global_store_b8 v[0:1], v4, off
.LBB286_909:
	s_and_b32 vcc_lo, exec_lo, s5
	s_cbranch_vccz .LBB286_919
; %bb.910:
	s_wait_xcnt 0x0
	v_cndmask_b32_e64 v3, 0, 1.0, s12
	s_mov_b32 s5, exec_lo
                                        ; implicit-def: $vgpr2
	s_delay_alu instid0(VALU_DEP_1)
	v_cmpx_gt_u32_e32 0x43f00000, v3
	s_xor_b32 s5, exec_lo, s5
	s_cbranch_execz .LBB286_916
; %bb.911:
	s_mov_b32 s6, exec_lo
                                        ; implicit-def: $vgpr2
	v_cmpx_lt_u32_e32 0x3c7fffff, v3
	s_xor_b32 s6, exec_lo, s6
; %bb.912:
	v_bfe_u32 v2, v3, 20, 1
	s_delay_alu instid0(VALU_DEP_1) | instskip(NEXT) | instid1(VALU_DEP_1)
	v_add3_u32 v2, v3, v2, 0x407ffff
	v_and_b32_e32 v3, 0xff00000, v2
	v_lshrrev_b32_e32 v2, 20, v2
	s_delay_alu instid0(VALU_DEP_2) | instskip(NEXT) | instid1(VALU_DEP_2)
	v_cmp_ne_u32_e32 vcc_lo, 0x7f00000, v3
                                        ; implicit-def: $vgpr3
	v_cndmask_b32_e32 v2, 0x7e, v2, vcc_lo
; %bb.913:
	s_and_not1_saveexec_b32 s6, s6
; %bb.914:
	v_add_f32_e32 v2, 0x46800000, v3
; %bb.915:
	s_or_b32 exec_lo, exec_lo, s6
                                        ; implicit-def: $vgpr3
.LBB286_916:
	s_and_not1_saveexec_b32 s5, s5
; %bb.917:
	v_mov_b32_e32 v2, 0x7f
	v_cmp_lt_u32_e32 vcc_lo, 0x7f800000, v3
	s_delay_alu instid0(VALU_DEP_2)
	v_cndmask_b32_e32 v2, 0x7e, v2, vcc_lo
; %bb.918:
	s_or_b32 exec_lo, exec_lo, s5
	global_store_b8 v[0:1], v2, off
.LBB286_919:
	s_mov_b32 s5, 0
.LBB286_920:
	s_delay_alu instid0(SALU_CYCLE_1)
	s_and_not1_b32 vcc_lo, exec_lo, s5
	s_cbranch_vccnz .LBB286_930
; %bb.921:
	s_wait_xcnt 0x0
	v_cndmask_b32_e64 v3, 0, 1.0, s12
	s_mov_b32 s5, exec_lo
                                        ; implicit-def: $vgpr2
	s_delay_alu instid0(VALU_DEP_1)
	v_cmpx_gt_u32_e32 0x47800000, v3
	s_xor_b32 s5, exec_lo, s5
	s_cbranch_execz .LBB286_927
; %bb.922:
	s_mov_b32 s6, exec_lo
                                        ; implicit-def: $vgpr2
	v_cmpx_lt_u32_e32 0x387fffff, v3
	s_xor_b32 s6, exec_lo, s6
; %bb.923:
	v_bfe_u32 v2, v3, 21, 1
	s_delay_alu instid0(VALU_DEP_1) | instskip(NEXT) | instid1(VALU_DEP_1)
	v_add3_u32 v2, v3, v2, 0x80fffff
                                        ; implicit-def: $vgpr3
	v_lshrrev_b32_e32 v2, 21, v2
; %bb.924:
	s_and_not1_saveexec_b32 s6, s6
; %bb.925:
	v_add_f32_e32 v2, 0x43000000, v3
; %bb.926:
	s_or_b32 exec_lo, exec_lo, s6
                                        ; implicit-def: $vgpr3
.LBB286_927:
	s_and_not1_saveexec_b32 s5, s5
; %bb.928:
	v_mov_b32_e32 v2, 0x7f
	v_cmp_lt_u32_e32 vcc_lo, 0x7f800000, v3
	s_delay_alu instid0(VALU_DEP_2)
	v_cndmask_b32_e32 v2, 0x7c, v2, vcc_lo
; %bb.929:
	s_or_b32 exec_lo, exec_lo, s5
	global_store_b8 v[0:1], v2, off
.LBB286_930:
	s_mov_b32 s5, 0
	s_mov_b32 s6, -1
.LBB286_931:
	s_and_not1_b32 vcc_lo, exec_lo, s5
	s_mov_b32 s5, 0
	s_cbranch_vccnz .LBB286_938
; %bb.932:
	s_cmp_gt_i32 s4, 14
	s_mov_b32 s5, -1
	s_cbranch_scc0 .LBB286_936
; %bb.933:
	s_cmp_eq_u32 s4, 15
	s_mov_b32 s0, -1
	s_cbranch_scc0 .LBB286_935
; %bb.934:
	s_wait_xcnt 0x0
	v_cndmask_b32_e64 v2, 0, 1.0, s12
	s_mov_b32 s0, 0
	s_mov_b32 s6, -1
	s_delay_alu instid0(VALU_DEP_1) | instskip(NEXT) | instid1(VALU_DEP_1)
	v_bfe_u32 v3, v2, 16, 1
	v_add3_u32 v2, v2, v3, 0x7fff
	global_store_d16_hi_b16 v[0:1], v2, off
.LBB286_935:
	s_mov_b32 s5, 0
.LBB286_936:
	s_delay_alu instid0(SALU_CYCLE_1)
	s_and_b32 vcc_lo, exec_lo, s5
	s_mov_b32 s5, 0
	s_cbranch_vccz .LBB286_938
; %bb.937:
	s_cmp_lg_u32 s4, 11
	s_mov_b32 s5, -1
	s_cselect_b32 s0, -1, 0
.LBB286_938:
	s_delay_alu instid0(SALU_CYCLE_1)
	s_and_b32 vcc_lo, exec_lo, s0
	s_cbranch_vccnz .LBB286_1116
; %bb.939:
	s_and_not1_b32 vcc_lo, exec_lo, s5
	s_cbranch_vccnz .LBB286_941
.LBB286_940:
	s_wait_xcnt 0x0
	v_cndmask_b32_e64 v2, 0, 1, s12
	s_mov_b32 s6, -1
	global_store_b8 v[0:1], v2, off
.LBB286_941:
.LBB286_942:
	s_and_not1_b32 vcc_lo, exec_lo, s6
	s_cbranch_vccnz .LBB286_1058
.LBB286_943:
	v_mov_b32_e32 v13, 0
	s_cmp_lt_i32 s4, 11
	s_wait_xcnt 0x0
	s_delay_alu instid0(VALU_DEP_1)
	v_add_nc_u64_e32 v[0:1], s[16:17], v[12:13]
	s_cbranch_scc1 .LBB286_1103
; %bb.944:
	s_mov_b32 s6, -1
	s_mov_b32 s5, 0
	s_cmp_gt_i32 s4, 25
	s_mov_b32 s0, 0
	s_cbranch_scc0 .LBB286_977
; %bb.945:
	s_cmp_gt_i32 s4, 28
	s_cbranch_scc0 .LBB286_961
; %bb.946:
	s_cmp_gt_i32 s4, 43
	;; [unrolled: 3-line block ×3, first 2 shown]
	s_cbranch_scc0 .LBB286_951
; %bb.948:
	s_cmp_eq_u32 s4, 46
	s_mov_b32 s0, -1
	s_cbranch_scc0 .LBB286_950
; %bb.949:
	v_cndmask_b32_e64 v2, 0, 1.0, s1
	s_mov_b32 s0, 0
	s_delay_alu instid0(VALU_DEP_1) | instskip(NEXT) | instid1(VALU_DEP_1)
	v_bfe_u32 v3, v2, 16, 1
	v_add3_u32 v2, v2, v3, 0x7fff
	s_delay_alu instid0(VALU_DEP_1)
	v_lshrrev_b32_e32 v2, 16, v2
	global_store_b32 v[0:1], v2, off
.LBB286_950:
	s_mov_b32 s6, 0
.LBB286_951:
	s_delay_alu instid0(SALU_CYCLE_1)
	s_and_b32 vcc_lo, exec_lo, s6
	s_cbranch_vccz .LBB286_956
; %bb.952:
	s_cmp_eq_u32 s4, 44
	s_mov_b32 s0, -1
	s_cbranch_scc0 .LBB286_956
; %bb.953:
	v_cndmask_b32_e64 v4, 0, 1.0, s1
	s_mov_b32 s6, exec_lo
	s_wait_xcnt 0x0
	s_delay_alu instid0(VALU_DEP_1) | instskip(NEXT) | instid1(VALU_DEP_1)
	v_dual_mov_b32 v3, 0xff :: v_dual_lshrrev_b32 v2, 23, v4
	v_cmpx_ne_u32_e32 0xff, v2
; %bb.954:
	v_and_b32_e32 v3, 0x400000, v4
	v_and_or_b32 v4, 0x3fffff, v4, v2
	s_delay_alu instid0(VALU_DEP_2) | instskip(NEXT) | instid1(VALU_DEP_2)
	v_cmp_ne_u32_e32 vcc_lo, 0, v3
	v_cmp_ne_u32_e64 s0, 0, v4
	s_and_b32 s0, vcc_lo, s0
	s_delay_alu instid0(SALU_CYCLE_1) | instskip(NEXT) | instid1(VALU_DEP_1)
	v_cndmask_b32_e64 v3, 0, 1, s0
	v_add_nc_u32_e32 v3, v2, v3
; %bb.955:
	s_or_b32 exec_lo, exec_lo, s6
	s_mov_b32 s0, 0
	global_store_b8 v[0:1], v3, off
.LBB286_956:
	s_mov_b32 s6, 0
.LBB286_957:
	s_delay_alu instid0(SALU_CYCLE_1)
	s_and_b32 vcc_lo, exec_lo, s6
	s_cbranch_vccz .LBB286_960
; %bb.958:
	s_cmp_eq_u32 s4, 29
	s_mov_b32 s0, -1
	s_cbranch_scc0 .LBB286_960
; %bb.959:
	s_mov_b32 s0, 0
	s_wait_xcnt 0x0
	v_cndmask_b32_e64 v2, 0, 1, s1
	v_mov_b32_e32 v3, s0
	global_store_b64 v[0:1], v[2:3], off
.LBB286_960:
	s_mov_b32 s6, 0
.LBB286_961:
	s_delay_alu instid0(SALU_CYCLE_1)
	s_and_b32 vcc_lo, exec_lo, s6
	s_cbranch_vccz .LBB286_976
; %bb.962:
	s_cmp_lt_i32 s4, 27
	s_mov_b32 s6, -1
	s_cbranch_scc1 .LBB286_968
; %bb.963:
	s_wait_xcnt 0x0
	v_cndmask_b32_e64 v2, 0, 1, s1
	s_cmp_gt_i32 s4, 27
	s_cbranch_scc0 .LBB286_965
; %bb.964:
	s_mov_b32 s6, 0
	global_store_b32 v[0:1], v2, off
.LBB286_965:
	s_and_not1_b32 vcc_lo, exec_lo, s6
	s_cbranch_vccnz .LBB286_967
; %bb.966:
	global_store_b16 v[0:1], v2, off
.LBB286_967:
	s_mov_b32 s6, 0
.LBB286_968:
	s_delay_alu instid0(SALU_CYCLE_1)
	s_and_not1_b32 vcc_lo, exec_lo, s6
	s_cbranch_vccnz .LBB286_976
; %bb.969:
	s_wait_xcnt 0x0
	v_cndmask_b32_e64 v3, 0, 1.0, s1
	v_mov_b32_e32 v4, 0x80
	s_mov_b32 s6, exec_lo
	s_delay_alu instid0(VALU_DEP_2)
	v_cmpx_gt_u32_e32 0x43800000, v3
	s_cbranch_execz .LBB286_975
; %bb.970:
	s_mov_b32 s7, 0
	s_mov_b32 s8, exec_lo
                                        ; implicit-def: $vgpr2
	v_cmpx_lt_u32_e32 0x3bffffff, v3
	s_xor_b32 s8, exec_lo, s8
	s_cbranch_execz .LBB286_1119
; %bb.971:
	v_bfe_u32 v2, v3, 20, 1
	s_mov_b32 s7, exec_lo
	s_delay_alu instid0(VALU_DEP_1) | instskip(NEXT) | instid1(VALU_DEP_1)
	v_add3_u32 v2, v3, v2, 0x487ffff
                                        ; implicit-def: $vgpr3
	v_lshrrev_b32_e32 v2, 20, v2
	s_and_not1_saveexec_b32 s8, s8
	s_cbranch_execnz .LBB286_1120
.LBB286_972:
	s_or_b32 exec_lo, exec_lo, s8
	v_mov_b32_e32 v4, 0
	s_and_saveexec_b32 s8, s7
.LBB286_973:
	v_mov_b32_e32 v4, v2
.LBB286_974:
	s_or_b32 exec_lo, exec_lo, s8
.LBB286_975:
	s_delay_alu instid0(SALU_CYCLE_1)
	s_or_b32 exec_lo, exec_lo, s6
	global_store_b8 v[0:1], v4, off
.LBB286_976:
	s_mov_b32 s6, 0
.LBB286_977:
	s_delay_alu instid0(SALU_CYCLE_1)
	s_and_b32 vcc_lo, exec_lo, s6
	s_cbranch_vccz .LBB286_1017
; %bb.978:
	s_cmp_gt_i32 s4, 22
	s_mov_b32 s5, -1
	s_cbranch_scc0 .LBB286_1010
; %bb.979:
	s_cmp_lt_i32 s4, 24
	s_cbranch_scc1 .LBB286_999
; %bb.980:
	s_cmp_gt_i32 s4, 24
	s_cbranch_scc0 .LBB286_988
; %bb.981:
	s_wait_xcnt 0x0
	v_cndmask_b32_e64 v3, 0, 1.0, s1
	v_mov_b32_e32 v4, 0x80
	s_mov_b32 s5, exec_lo
	s_delay_alu instid0(VALU_DEP_2)
	v_cmpx_gt_u32_e32 0x47800000, v3
	s_cbranch_execz .LBB286_987
; %bb.982:
	s_mov_b32 s6, 0
	s_mov_b32 s7, exec_lo
                                        ; implicit-def: $vgpr2
	v_cmpx_lt_u32_e32 0x37ffffff, v3
	s_xor_b32 s7, exec_lo, s7
	s_cbranch_execz .LBB286_1124
; %bb.983:
	v_bfe_u32 v2, v3, 21, 1
	s_mov_b32 s6, exec_lo
	s_delay_alu instid0(VALU_DEP_1) | instskip(NEXT) | instid1(VALU_DEP_1)
	v_add3_u32 v2, v3, v2, 0x88fffff
                                        ; implicit-def: $vgpr3
	v_lshrrev_b32_e32 v2, 21, v2
	s_and_not1_saveexec_b32 s7, s7
	s_cbranch_execnz .LBB286_1125
.LBB286_984:
	s_or_b32 exec_lo, exec_lo, s7
	v_mov_b32_e32 v4, 0
	s_and_saveexec_b32 s7, s6
.LBB286_985:
	v_mov_b32_e32 v4, v2
.LBB286_986:
	s_or_b32 exec_lo, exec_lo, s7
.LBB286_987:
	s_delay_alu instid0(SALU_CYCLE_1)
	s_or_b32 exec_lo, exec_lo, s5
	s_mov_b32 s5, 0
	global_store_b8 v[0:1], v4, off
.LBB286_988:
	s_and_b32 vcc_lo, exec_lo, s5
	s_cbranch_vccz .LBB286_998
; %bb.989:
	s_wait_xcnt 0x0
	v_cndmask_b32_e64 v3, 0, 1.0, s1
	s_mov_b32 s5, exec_lo
                                        ; implicit-def: $vgpr2
	s_delay_alu instid0(VALU_DEP_1)
	v_cmpx_gt_u32_e32 0x43f00000, v3
	s_xor_b32 s5, exec_lo, s5
	s_cbranch_execz .LBB286_995
; %bb.990:
	s_mov_b32 s6, exec_lo
                                        ; implicit-def: $vgpr2
	v_cmpx_lt_u32_e32 0x3c7fffff, v3
	s_xor_b32 s6, exec_lo, s6
; %bb.991:
	v_bfe_u32 v2, v3, 20, 1
	s_delay_alu instid0(VALU_DEP_1) | instskip(NEXT) | instid1(VALU_DEP_1)
	v_add3_u32 v2, v3, v2, 0x407ffff
	v_and_b32_e32 v3, 0xff00000, v2
	v_lshrrev_b32_e32 v2, 20, v2
	s_delay_alu instid0(VALU_DEP_2) | instskip(NEXT) | instid1(VALU_DEP_2)
	v_cmp_ne_u32_e32 vcc_lo, 0x7f00000, v3
                                        ; implicit-def: $vgpr3
	v_cndmask_b32_e32 v2, 0x7e, v2, vcc_lo
; %bb.992:
	s_and_not1_saveexec_b32 s6, s6
; %bb.993:
	v_add_f32_e32 v2, 0x46800000, v3
; %bb.994:
	s_or_b32 exec_lo, exec_lo, s6
                                        ; implicit-def: $vgpr3
.LBB286_995:
	s_and_not1_saveexec_b32 s5, s5
; %bb.996:
	v_mov_b32_e32 v2, 0x7f
	v_cmp_lt_u32_e32 vcc_lo, 0x7f800000, v3
	s_delay_alu instid0(VALU_DEP_2)
	v_cndmask_b32_e32 v2, 0x7e, v2, vcc_lo
; %bb.997:
	s_or_b32 exec_lo, exec_lo, s5
	global_store_b8 v[0:1], v2, off
.LBB286_998:
	s_mov_b32 s5, 0
.LBB286_999:
	s_delay_alu instid0(SALU_CYCLE_1)
	s_and_not1_b32 vcc_lo, exec_lo, s5
	s_cbranch_vccnz .LBB286_1009
; %bb.1000:
	s_wait_xcnt 0x0
	v_cndmask_b32_e64 v3, 0, 1.0, s1
	s_mov_b32 s5, exec_lo
                                        ; implicit-def: $vgpr2
	s_delay_alu instid0(VALU_DEP_1)
	v_cmpx_gt_u32_e32 0x47800000, v3
	s_xor_b32 s5, exec_lo, s5
	s_cbranch_execz .LBB286_1006
; %bb.1001:
	s_mov_b32 s6, exec_lo
                                        ; implicit-def: $vgpr2
	v_cmpx_lt_u32_e32 0x387fffff, v3
	s_xor_b32 s6, exec_lo, s6
; %bb.1002:
	v_bfe_u32 v2, v3, 21, 1
	s_delay_alu instid0(VALU_DEP_1) | instskip(NEXT) | instid1(VALU_DEP_1)
	v_add3_u32 v2, v3, v2, 0x80fffff
                                        ; implicit-def: $vgpr3
	v_lshrrev_b32_e32 v2, 21, v2
; %bb.1003:
	s_and_not1_saveexec_b32 s6, s6
; %bb.1004:
	v_add_f32_e32 v2, 0x43000000, v3
; %bb.1005:
	s_or_b32 exec_lo, exec_lo, s6
                                        ; implicit-def: $vgpr3
.LBB286_1006:
	s_and_not1_saveexec_b32 s5, s5
; %bb.1007:
	v_mov_b32_e32 v2, 0x7f
	v_cmp_lt_u32_e32 vcc_lo, 0x7f800000, v3
	s_delay_alu instid0(VALU_DEP_2)
	v_cndmask_b32_e32 v2, 0x7c, v2, vcc_lo
; %bb.1008:
	s_or_b32 exec_lo, exec_lo, s5
	global_store_b8 v[0:1], v2, off
.LBB286_1009:
	s_mov_b32 s5, 0
.LBB286_1010:
	s_delay_alu instid0(SALU_CYCLE_1)
	s_and_not1_b32 vcc_lo, exec_lo, s5
	s_mov_b32 s5, 0
	s_cbranch_vccnz .LBB286_1017
; %bb.1011:
	s_cmp_gt_i32 s4, 14
	s_mov_b32 s5, -1
	s_cbranch_scc0 .LBB286_1015
; %bb.1012:
	s_cmp_eq_u32 s4, 15
	s_mov_b32 s0, -1
	s_cbranch_scc0 .LBB286_1014
; %bb.1013:
	s_wait_xcnt 0x0
	v_cndmask_b32_e64 v2, 0, 1.0, s1
	s_mov_b32 s0, 0
	s_delay_alu instid0(VALU_DEP_1) | instskip(NEXT) | instid1(VALU_DEP_1)
	v_bfe_u32 v3, v2, 16, 1
	v_add3_u32 v2, v2, v3, 0x7fff
	global_store_d16_hi_b16 v[0:1], v2, off
.LBB286_1014:
	s_mov_b32 s5, 0
.LBB286_1015:
	s_delay_alu instid0(SALU_CYCLE_1)
	s_and_b32 vcc_lo, exec_lo, s5
	s_mov_b32 s5, 0
	s_cbranch_vccz .LBB286_1017
; %bb.1016:
	s_cmp_lg_u32 s4, 11
	s_mov_b32 s5, -1
	s_cselect_b32 s0, -1, 0
.LBB286_1017:
	s_delay_alu instid0(SALU_CYCLE_1)
	s_and_b32 vcc_lo, exec_lo, s0
	s_cbranch_vccnz .LBB286_1121
.LBB286_1018:
	s_mov_b32 s0, 0
	s_branch .LBB286_1059
.LBB286_1019:
	s_mov_b32 s6, 0
	s_cbranch_execz .LBB286_942
; %bb.1020:
	s_cmp_lt_i32 s4, 5
	s_mov_b32 s0, -1
	s_cbranch_scc1 .LBB286_1041
; %bb.1021:
	s_cmp_lt_i32 s4, 8
	s_cbranch_scc1 .LBB286_1031
; %bb.1022:
	s_cmp_lt_i32 s4, 9
	s_cbranch_scc1 .LBB286_1028
; %bb.1023:
	s_cmp_gt_i32 s4, 9
	s_cbranch_scc0 .LBB286_1025
; %bb.1024:
	s_wait_xcnt 0x0
	v_cndmask_b32_e64 v2, 0, 1, s12
	v_mov_b32_e32 v4, 0
	s_mov_b32 s0, 0
	s_delay_alu instid0(VALU_DEP_2) | instskip(NEXT) | instid1(VALU_DEP_2)
	v_cvt_f64_u32_e32 v[2:3], v2
	v_mov_b32_e32 v5, v4
	global_store_b128 v[0:1], v[2:5], off
.LBB286_1025:
	s_and_not1_b32 vcc_lo, exec_lo, s0
	s_cbranch_vccnz .LBB286_1027
; %bb.1026:
	s_wait_xcnt 0x0
	v_cndmask_b32_e64 v2, 0, 1.0, s12
	v_mov_b32_e32 v3, 0
	global_store_b64 v[0:1], v[2:3], off
.LBB286_1027:
	s_mov_b32 s0, 0
.LBB286_1028:
	s_delay_alu instid0(SALU_CYCLE_1)
	s_and_not1_b32 vcc_lo, exec_lo, s0
	s_cbranch_vccnz .LBB286_1030
; %bb.1029:
	s_wait_xcnt 0x0
	v_cndmask_b32_e64 v2, 0, 1.0, s12
	s_delay_alu instid0(VALU_DEP_1) | instskip(NEXT) | instid1(VALU_DEP_1)
	v_cvt_f16_f32_e32 v2, v2
	v_and_b32_e32 v2, 0xffff, v2
	global_store_b32 v[0:1], v2, off
.LBB286_1030:
	s_mov_b32 s0, 0
.LBB286_1031:
	s_delay_alu instid0(SALU_CYCLE_1)
	s_and_not1_b32 vcc_lo, exec_lo, s0
	s_cbranch_vccnz .LBB286_1040
; %bb.1032:
	s_cmp_lt_i32 s4, 6
	s_mov_b32 s0, -1
	s_cbranch_scc1 .LBB286_1038
; %bb.1033:
	s_cmp_gt_i32 s4, 6
	s_cbranch_scc0 .LBB286_1035
; %bb.1034:
	s_wait_xcnt 0x0
	v_cndmask_b32_e64 v2, 0, 1, s12
	s_mov_b32 s0, 0
	s_delay_alu instid0(VALU_DEP_1)
	v_cvt_f64_u32_e32 v[2:3], v2
	global_store_b64 v[0:1], v[2:3], off
.LBB286_1035:
	s_and_not1_b32 vcc_lo, exec_lo, s0
	s_cbranch_vccnz .LBB286_1037
; %bb.1036:
	s_wait_xcnt 0x0
	v_cndmask_b32_e64 v2, 0, 1.0, s12
	global_store_b32 v[0:1], v2, off
.LBB286_1037:
	s_mov_b32 s0, 0
.LBB286_1038:
	s_delay_alu instid0(SALU_CYCLE_1)
	s_and_not1_b32 vcc_lo, exec_lo, s0
	s_cbranch_vccnz .LBB286_1040
; %bb.1039:
	s_wait_xcnt 0x0
	v_cndmask_b32_e64 v2, 0, 1.0, s12
	s_delay_alu instid0(VALU_DEP_1)
	v_cvt_f16_f32_e32 v2, v2
	global_store_b16 v[0:1], v2, off
.LBB286_1040:
	s_mov_b32 s0, 0
.LBB286_1041:
	s_delay_alu instid0(SALU_CYCLE_1)
	s_and_not1_b32 vcc_lo, exec_lo, s0
	s_cbranch_vccnz .LBB286_1057
; %bb.1042:
	s_cmp_lt_i32 s4, 2
	s_mov_b32 s0, -1
	s_cbranch_scc1 .LBB286_1052
; %bb.1043:
	s_cmp_lt_i32 s4, 3
	s_cbranch_scc1 .LBB286_1049
; %bb.1044:
	s_cmp_gt_i32 s4, 3
	s_cbranch_scc0 .LBB286_1046
; %bb.1045:
	s_mov_b32 s0, 0
	s_wait_xcnt 0x0
	v_cndmask_b32_e64 v2, 0, 1, s12
	v_mov_b32_e32 v3, s0
	global_store_b64 v[0:1], v[2:3], off
.LBB286_1046:
	s_and_not1_b32 vcc_lo, exec_lo, s0
	s_cbranch_vccnz .LBB286_1048
; %bb.1047:
	s_wait_xcnt 0x0
	v_cndmask_b32_e64 v2, 0, 1, s12
	global_store_b32 v[0:1], v2, off
.LBB286_1048:
	s_mov_b32 s0, 0
.LBB286_1049:
	s_delay_alu instid0(SALU_CYCLE_1)
	s_and_not1_b32 vcc_lo, exec_lo, s0
	s_cbranch_vccnz .LBB286_1051
; %bb.1050:
	s_wait_xcnt 0x0
	v_cndmask_b32_e64 v2, 0, 1, s12
	global_store_b16 v[0:1], v2, off
.LBB286_1051:
	s_mov_b32 s0, 0
.LBB286_1052:
	s_delay_alu instid0(SALU_CYCLE_1)
	s_and_not1_b32 vcc_lo, exec_lo, s0
	s_cbranch_vccnz .LBB286_1057
; %bb.1053:
	s_cmp_gt_i32 s4, 0
	s_mov_b32 s0, -1
	s_cbranch_scc0 .LBB286_1055
; %bb.1054:
	s_wait_xcnt 0x0
	v_cndmask_b32_e64 v2, 0, 1, s12
	s_mov_b32 s0, 0
	global_store_b8 v[0:1], v2, off
.LBB286_1055:
	s_and_not1_b32 vcc_lo, exec_lo, s0
	s_cbranch_vccnz .LBB286_1057
; %bb.1056:
	s_wait_xcnt 0x0
	v_cndmask_b32_e64 v2, 0, 1, s12
	global_store_b8 v[0:1], v2, off
.LBB286_1057:
	s_branch .LBB286_943
.LBB286_1058:
	s_mov_b32 s0, 0
	s_mov_b32 s5, 0
                                        ; implicit-def: $sgpr2
                                        ; implicit-def: $vgpr0_vgpr1
.LBB286_1059:
	s_and_not1_b32 s4, s15, exec_lo
	s_and_b32 s3, s3, exec_lo
	s_and_b32 s0, s0, exec_lo
	;; [unrolled: 1-line block ×3, first 2 shown]
	s_or_b32 s15, s4, s3
.LBB286_1060:
	s_wait_xcnt 0x0
	s_or_b32 exec_lo, exec_lo, s20
	s_and_saveexec_b32 s3, s15
	s_cbranch_execz .LBB286_1063
; %bb.1061:
	; divergent unreachable
	s_or_b32 exec_lo, exec_lo, s3
	s_and_saveexec_b32 s3, s42
	s_delay_alu instid0(SALU_CYCLE_1)
	s_xor_b32 s3, exec_lo, s3
	s_cbranch_execnz .LBB286_1064
.LBB286_1062:
	s_or_b32 exec_lo, exec_lo, s3
	s_and_saveexec_b32 s3, s0
	s_cbranch_execnz .LBB286_1065
	s_branch .LBB286_1102
.LBB286_1063:
	s_or_b32 exec_lo, exec_lo, s3
	s_and_saveexec_b32 s3, s42
	s_delay_alu instid0(SALU_CYCLE_1)
	s_xor_b32 s3, exec_lo, s3
	s_cbranch_execz .LBB286_1062
.LBB286_1064:
	v_cndmask_b32_e64 v2, 0, 1, s1
	global_store_b8 v[0:1], v2, off
	s_wait_xcnt 0x0
	s_or_b32 exec_lo, exec_lo, s3
	s_and_saveexec_b32 s3, s0
	s_cbranch_execz .LBB286_1102
.LBB286_1065:
	s_sext_i32_i16 s3, s2
	s_mov_b32 s0, -1
	s_cmp_lt_i32 s3, 5
	s_cbranch_scc1 .LBB286_1086
; %bb.1066:
	s_cmp_lt_i32 s3, 8
	s_cbranch_scc1 .LBB286_1076
; %bb.1067:
	;; [unrolled: 3-line block ×3, first 2 shown]
	s_cmp_gt_i32 s3, 9
	s_cbranch_scc0 .LBB286_1070
; %bb.1069:
	v_cndmask_b32_e64 v2, 0, 1, s1
	v_mov_b32_e32 v4, 0
	s_mov_b32 s0, 0
	s_delay_alu instid0(VALU_DEP_2) | instskip(NEXT) | instid1(VALU_DEP_2)
	v_cvt_f64_u32_e32 v[2:3], v2
	v_mov_b32_e32 v5, v4
	global_store_b128 v[0:1], v[2:5], off
.LBB286_1070:
	s_and_not1_b32 vcc_lo, exec_lo, s0
	s_cbranch_vccnz .LBB286_1072
; %bb.1071:
	s_wait_xcnt 0x0
	v_cndmask_b32_e64 v2, 0, 1.0, s1
	v_mov_b32_e32 v3, 0
	global_store_b64 v[0:1], v[2:3], off
.LBB286_1072:
	s_mov_b32 s0, 0
.LBB286_1073:
	s_delay_alu instid0(SALU_CYCLE_1)
	s_and_not1_b32 vcc_lo, exec_lo, s0
	s_cbranch_vccnz .LBB286_1075
; %bb.1074:
	s_wait_xcnt 0x0
	v_cndmask_b32_e64 v2, 0, 1.0, s1
	s_delay_alu instid0(VALU_DEP_1) | instskip(NEXT) | instid1(VALU_DEP_1)
	v_cvt_f16_f32_e32 v2, v2
	v_and_b32_e32 v2, 0xffff, v2
	global_store_b32 v[0:1], v2, off
.LBB286_1075:
	s_mov_b32 s0, 0
.LBB286_1076:
	s_delay_alu instid0(SALU_CYCLE_1)
	s_and_not1_b32 vcc_lo, exec_lo, s0
	s_cbranch_vccnz .LBB286_1085
; %bb.1077:
	s_sext_i32_i16 s3, s2
	s_mov_b32 s0, -1
	s_cmp_lt_i32 s3, 6
	s_cbranch_scc1 .LBB286_1083
; %bb.1078:
	s_cmp_gt_i32 s3, 6
	s_cbranch_scc0 .LBB286_1080
; %bb.1079:
	s_wait_xcnt 0x0
	v_cndmask_b32_e64 v2, 0, 1, s1
	s_mov_b32 s0, 0
	s_delay_alu instid0(VALU_DEP_1)
	v_cvt_f64_u32_e32 v[2:3], v2
	global_store_b64 v[0:1], v[2:3], off
.LBB286_1080:
	s_and_not1_b32 vcc_lo, exec_lo, s0
	s_cbranch_vccnz .LBB286_1082
; %bb.1081:
	s_wait_xcnt 0x0
	v_cndmask_b32_e64 v2, 0, 1.0, s1
	global_store_b32 v[0:1], v2, off
.LBB286_1082:
	s_mov_b32 s0, 0
.LBB286_1083:
	s_delay_alu instid0(SALU_CYCLE_1)
	s_and_not1_b32 vcc_lo, exec_lo, s0
	s_cbranch_vccnz .LBB286_1085
; %bb.1084:
	s_wait_xcnt 0x0
	v_cndmask_b32_e64 v2, 0, 1.0, s1
	s_delay_alu instid0(VALU_DEP_1)
	v_cvt_f16_f32_e32 v2, v2
	global_store_b16 v[0:1], v2, off
.LBB286_1085:
	s_mov_b32 s0, 0
.LBB286_1086:
	s_delay_alu instid0(SALU_CYCLE_1)
	s_and_not1_b32 vcc_lo, exec_lo, s0
	s_cbranch_vccnz .LBB286_1102
; %bb.1087:
	s_sext_i32_i16 s3, s2
	s_mov_b32 s0, -1
	s_cmp_lt_i32 s3, 2
	s_cbranch_scc1 .LBB286_1097
; %bb.1088:
	s_cmp_lt_i32 s3, 3
	s_cbranch_scc1 .LBB286_1094
; %bb.1089:
	s_cmp_gt_i32 s3, 3
	s_cbranch_scc0 .LBB286_1091
; %bb.1090:
	s_mov_b32 s0, 0
	s_wait_xcnt 0x0
	v_cndmask_b32_e64 v2, 0, 1, s1
	v_mov_b32_e32 v3, s0
	global_store_b64 v[0:1], v[2:3], off
.LBB286_1091:
	s_and_not1_b32 vcc_lo, exec_lo, s0
	s_cbranch_vccnz .LBB286_1093
; %bb.1092:
	s_wait_xcnt 0x0
	v_cndmask_b32_e64 v2, 0, 1, s1
	global_store_b32 v[0:1], v2, off
.LBB286_1093:
	s_mov_b32 s0, 0
.LBB286_1094:
	s_delay_alu instid0(SALU_CYCLE_1)
	s_and_not1_b32 vcc_lo, exec_lo, s0
	s_cbranch_vccnz .LBB286_1096
; %bb.1095:
	s_wait_xcnt 0x0
	v_cndmask_b32_e64 v2, 0, 1, s1
	global_store_b16 v[0:1], v2, off
.LBB286_1096:
	s_mov_b32 s0, 0
.LBB286_1097:
	s_delay_alu instid0(SALU_CYCLE_1)
	s_and_not1_b32 vcc_lo, exec_lo, s0
	s_cbranch_vccnz .LBB286_1102
; %bb.1098:
	s_sext_i32_i16 s0, s2
	s_delay_alu instid0(SALU_CYCLE_1)
	s_cmp_gt_i32 s0, 0
	s_mov_b32 s0, -1
	s_cbranch_scc0 .LBB286_1100
; %bb.1099:
	s_wait_xcnt 0x0
	v_cndmask_b32_e64 v2, 0, 1, s1
	s_mov_b32 s0, 0
	global_store_b8 v[0:1], v2, off
.LBB286_1100:
	s_and_not1_b32 vcc_lo, exec_lo, s0
	s_cbranch_vccnz .LBB286_1102
; %bb.1101:
	s_wait_xcnt 0x0
	v_cndmask_b32_e64 v2, 0, 1, s1
	global_store_b8 v[0:1], v2, off
	s_endpgm
.LBB286_1102:
	s_endpgm
.LBB286_1103:
	s_mov_b32 s5, 0
	s_mov_b32 s0, -1
	s_branch .LBB286_1059
.LBB286_1104:
	s_and_not1_saveexec_b32 s7, s7
	s_cbranch_execz .LBB286_656
.LBB286_1105:
	v_add_f32_e32 v2, 0x46000000, v3
	s_and_not1_b32 s6, s6, exec_lo
	s_delay_alu instid0(VALU_DEP_1) | instskip(NEXT) | instid1(VALU_DEP_1)
	v_and_b32_e32 v2, 0xff, v2
	v_cmp_ne_u32_e32 vcc_lo, 0, v2
	s_and_b32 s8, vcc_lo, exec_lo
	s_delay_alu instid0(SALU_CYCLE_1)
	s_or_b32 s6, s6, s8
	s_or_b32 exec_lo, exec_lo, s7
	v_mov_b32_e32 v4, 0
	s_and_saveexec_b32 s7, s6
	s_cbranch_execnz .LBB286_657
	s_branch .LBB286_658
.LBB286_1106:
	s_or_b32 s3, s15, exec_lo
	s_trap 2
	s_cbranch_execz .LBB286_704
	s_branch .LBB286_705
.LBB286_1107:
	s_and_not1_saveexec_b32 s6, s6
	s_cbranch_execz .LBB286_669
.LBB286_1108:
	v_add_f32_e32 v2, 0x42800000, v3
	s_and_not1_b32 s5, s5, exec_lo
	s_delay_alu instid0(VALU_DEP_1) | instskip(NEXT) | instid1(VALU_DEP_1)
	v_and_b32_e32 v2, 0xff, v2
	v_cmp_ne_u32_e32 vcc_lo, 0, v2
	s_and_b32 s7, vcc_lo, exec_lo
	s_delay_alu instid0(SALU_CYCLE_1)
	s_or_b32 s5, s5, s7
	s_or_b32 exec_lo, exec_lo, s6
	v_mov_b32_e32 v4, 0
	s_and_saveexec_b32 s6, s5
	s_cbranch_execnz .LBB286_670
	s_branch .LBB286_671
.LBB286_1109:
	s_and_not1_saveexec_b32 s8, s8
	s_cbranch_execz .LBB286_774
.LBB286_1110:
	v_add_f32_e32 v2, 0x46000000, v3
	s_and_not1_b32 s7, s7, exec_lo
	s_delay_alu instid0(VALU_DEP_1) | instskip(NEXT) | instid1(VALU_DEP_1)
	v_and_b32_e32 v2, 0xff, v2
	v_cmp_ne_u32_e32 vcc_lo, 0, v2
	s_and_b32 s9, vcc_lo, exec_lo
	s_delay_alu instid0(SALU_CYCLE_1)
	s_or_b32 s7, s7, s9
	s_or_b32 exec_lo, exec_lo, s8
	v_mov_b32_e32 v4, 0
	s_and_saveexec_b32 s8, s7
	s_cbranch_execnz .LBB286_775
	s_branch .LBB286_776
.LBB286_1111:
	s_or_b32 s3, s3, exec_lo
	s_trap 2
	s_cbranch_execz .LBB286_822
	s_branch .LBB286_823
.LBB286_1112:
	s_and_not1_saveexec_b32 s7, s7
	s_cbranch_execz .LBB286_787
.LBB286_1113:
	v_add_f32_e32 v2, 0x42800000, v3
	s_and_not1_b32 s6, s6, exec_lo
	s_delay_alu instid0(VALU_DEP_1) | instskip(NEXT) | instid1(VALU_DEP_1)
	v_and_b32_e32 v2, 0xff, v2
	v_cmp_ne_u32_e32 vcc_lo, 0, v2
	s_and_b32 s8, vcc_lo, exec_lo
	s_delay_alu instid0(SALU_CYCLE_1)
	s_or_b32 s6, s6, s8
	s_or_b32 exec_lo, exec_lo, s7
	v_mov_b32_e32 v4, 0
	s_and_saveexec_b32 s7, s6
	s_cbranch_execnz .LBB286_788
	s_branch .LBB286_789
.LBB286_1114:
	s_and_not1_saveexec_b32 s8, s8
	s_cbranch_execz .LBB286_892
.LBB286_1115:
	v_add_f32_e32 v2, 0x46000000, v3
	s_and_not1_b32 s7, s7, exec_lo
	s_delay_alu instid0(VALU_DEP_1) | instskip(NEXT) | instid1(VALU_DEP_1)
	v_and_b32_e32 v2, 0xff, v2
	v_cmp_ne_u32_e32 vcc_lo, 0, v2
	s_and_b32 s9, vcc_lo, exec_lo
	s_delay_alu instid0(SALU_CYCLE_1)
	s_or_b32 s7, s7, s9
	s_or_b32 exec_lo, exec_lo, s8
	v_mov_b32_e32 v4, 0
	s_and_saveexec_b32 s8, s7
	s_cbranch_execnz .LBB286_893
	s_branch .LBB286_894
.LBB286_1116:
	s_or_b32 s3, s3, exec_lo
	s_trap 2
	s_cbranch_execz .LBB286_940
	s_branch .LBB286_941
.LBB286_1117:
	s_and_not1_saveexec_b32 s7, s7
	s_cbranch_execz .LBB286_905
.LBB286_1118:
	v_add_f32_e32 v2, 0x42800000, v3
	s_and_not1_b32 s6, s6, exec_lo
	s_delay_alu instid0(VALU_DEP_1) | instskip(NEXT) | instid1(VALU_DEP_1)
	v_and_b32_e32 v2, 0xff, v2
	v_cmp_ne_u32_e32 vcc_lo, 0, v2
	s_and_b32 s8, vcc_lo, exec_lo
	s_delay_alu instid0(SALU_CYCLE_1)
	s_or_b32 s6, s6, s8
	s_or_b32 exec_lo, exec_lo, s7
	v_mov_b32_e32 v4, 0
	s_and_saveexec_b32 s7, s6
	s_cbranch_execnz .LBB286_906
	s_branch .LBB286_907
.LBB286_1119:
	s_and_not1_saveexec_b32 s8, s8
	s_cbranch_execz .LBB286_972
.LBB286_1120:
	v_add_f32_e32 v2, 0x46000000, v3
	s_and_not1_b32 s7, s7, exec_lo
	s_delay_alu instid0(VALU_DEP_1) | instskip(NEXT) | instid1(VALU_DEP_1)
	v_and_b32_e32 v2, 0xff, v2
	v_cmp_ne_u32_e32 vcc_lo, 0, v2
	s_and_b32 s9, vcc_lo, exec_lo
	s_delay_alu instid0(SALU_CYCLE_1)
	s_or_b32 s7, s7, s9
	s_or_b32 exec_lo, exec_lo, s8
	v_mov_b32_e32 v4, 0
	s_and_saveexec_b32 s8, s7
	s_cbranch_execnz .LBB286_973
	s_branch .LBB286_974
.LBB286_1121:
	s_mov_b32 s5, 0
	s_or_b32 s3, s3, exec_lo
	s_trap 2
	s_branch .LBB286_1018
.LBB286_1122:
	s_and_not1_saveexec_b32 s6, s6
	s_cbranch_execz .LBB286_480
.LBB286_1123:
	v_add_f32_e32 v2, 0x46000000, v3
	s_and_not1_b32 s5, s5, exec_lo
	s_delay_alu instid0(VALU_DEP_1) | instskip(NEXT) | instid1(VALU_DEP_1)
	v_and_b32_e32 v2, 0xff, v2
	v_cmp_ne_u32_e32 vcc_lo, 0, v2
	s_and_b32 s7, vcc_lo, exec_lo
	s_delay_alu instid0(SALU_CYCLE_1)
	s_or_b32 s5, s5, s7
	s_or_b32 exec_lo, exec_lo, s6
	v_mov_b32_e32 v4, 0
	s_and_saveexec_b32 s6, s5
	s_cbranch_execnz .LBB286_481
	s_branch .LBB286_482
.LBB286_1124:
	s_and_not1_saveexec_b32 s7, s7
	s_cbranch_execz .LBB286_984
.LBB286_1125:
	v_add_f32_e32 v2, 0x42800000, v3
	s_and_not1_b32 s6, s6, exec_lo
	s_delay_alu instid0(VALU_DEP_1) | instskip(NEXT) | instid1(VALU_DEP_1)
	v_and_b32_e32 v2, 0xff, v2
	v_cmp_ne_u32_e32 vcc_lo, 0, v2
	s_and_b32 s8, vcc_lo, exec_lo
	s_delay_alu instid0(SALU_CYCLE_1)
	s_or_b32 s6, s6, s8
	s_or_b32 exec_lo, exec_lo, s7
	v_mov_b32_e32 v4, 0
	s_and_saveexec_b32 s7, s6
	s_cbranch_execnz .LBB286_985
	s_branch .LBB286_986
.LBB286_1126:
	s_and_not1_saveexec_b32 s7, s7
	s_cbranch_execz .LBB286_492
.LBB286_1127:
	v_add_f32_e32 v2, 0x42800000, v3
	s_and_not1_b32 s6, s6, exec_lo
	s_delay_alu instid0(VALU_DEP_1) | instskip(NEXT) | instid1(VALU_DEP_1)
	v_and_b32_e32 v2, 0xff, v2
	v_cmp_ne_u32_e32 vcc_lo, 0, v2
	s_and_b32 s8, vcc_lo, exec_lo
	s_delay_alu instid0(SALU_CYCLE_1)
	s_or_b32 s6, s6, s8
	s_or_b32 exec_lo, exec_lo, s7
	v_mov_b32_e32 v4, 0
	s_and_saveexec_b32 s7, s6
	s_cbranch_execnz .LBB286_493
	s_branch .LBB286_494
	.section	.rodata,"a",@progbits
	.p2align	6, 0x0
	.amdhsa_kernel _ZN2at6native32elementwise_kernel_manual_unrollILi128ELi4EZNS0_15gpu_kernel_implINS0_13AUnaryFunctorIN3c1013Float8_e4m3fnES5_bNS0_12_GLOBAL__N_116CompareEqFunctorIS5_EEEEEEvRNS_18TensorIteratorBaseERKT_EUlibE0_EEviT1_
		.amdhsa_group_segment_fixed_size 0
		.amdhsa_private_segment_fixed_size 0
		.amdhsa_kernarg_size 368
		.amdhsa_user_sgpr_count 2
		.amdhsa_user_sgpr_dispatch_ptr 0
		.amdhsa_user_sgpr_queue_ptr 0
		.amdhsa_user_sgpr_kernarg_segment_ptr 1
		.amdhsa_user_sgpr_dispatch_id 0
		.amdhsa_user_sgpr_kernarg_preload_length 0
		.amdhsa_user_sgpr_kernarg_preload_offset 0
		.amdhsa_user_sgpr_private_segment_size 0
		.amdhsa_wavefront_size32 1
		.amdhsa_uses_dynamic_stack 0
		.amdhsa_enable_private_segment 0
		.amdhsa_system_sgpr_workgroup_id_x 1
		.amdhsa_system_sgpr_workgroup_id_y 0
		.amdhsa_system_sgpr_workgroup_id_z 0
		.amdhsa_system_sgpr_workgroup_info 0
		.amdhsa_system_vgpr_workitem_id 0
		.amdhsa_next_free_vgpr 20
		.amdhsa_next_free_sgpr 72
		.amdhsa_named_barrier_count 0
		.amdhsa_reserve_vcc 1
		.amdhsa_float_round_mode_32 0
		.amdhsa_float_round_mode_16_64 0
		.amdhsa_float_denorm_mode_32 3
		.amdhsa_float_denorm_mode_16_64 3
		.amdhsa_fp16_overflow 0
		.amdhsa_memory_ordered 1
		.amdhsa_forward_progress 1
		.amdhsa_inst_pref_size 185
		.amdhsa_round_robin_scheduling 0
		.amdhsa_exception_fp_ieee_invalid_op 0
		.amdhsa_exception_fp_denorm_src 0
		.amdhsa_exception_fp_ieee_div_zero 0
		.amdhsa_exception_fp_ieee_overflow 0
		.amdhsa_exception_fp_ieee_underflow 0
		.amdhsa_exception_fp_ieee_inexact 0
		.amdhsa_exception_int_div_zero 0
	.end_amdhsa_kernel
	.section	.text._ZN2at6native32elementwise_kernel_manual_unrollILi128ELi4EZNS0_15gpu_kernel_implINS0_13AUnaryFunctorIN3c1013Float8_e4m3fnES5_bNS0_12_GLOBAL__N_116CompareEqFunctorIS5_EEEEEEvRNS_18TensorIteratorBaseERKT_EUlibE0_EEviT1_,"axG",@progbits,_ZN2at6native32elementwise_kernel_manual_unrollILi128ELi4EZNS0_15gpu_kernel_implINS0_13AUnaryFunctorIN3c1013Float8_e4m3fnES5_bNS0_12_GLOBAL__N_116CompareEqFunctorIS5_EEEEEEvRNS_18TensorIteratorBaseERKT_EUlibE0_EEviT1_,comdat
.Lfunc_end286:
	.size	_ZN2at6native32elementwise_kernel_manual_unrollILi128ELi4EZNS0_15gpu_kernel_implINS0_13AUnaryFunctorIN3c1013Float8_e4m3fnES5_bNS0_12_GLOBAL__N_116CompareEqFunctorIS5_EEEEEEvRNS_18TensorIteratorBaseERKT_EUlibE0_EEviT1_, .Lfunc_end286-_ZN2at6native32elementwise_kernel_manual_unrollILi128ELi4EZNS0_15gpu_kernel_implINS0_13AUnaryFunctorIN3c1013Float8_e4m3fnES5_bNS0_12_GLOBAL__N_116CompareEqFunctorIS5_EEEEEEvRNS_18TensorIteratorBaseERKT_EUlibE0_EEviT1_
                                        ; -- End function
	.set _ZN2at6native32elementwise_kernel_manual_unrollILi128ELi4EZNS0_15gpu_kernel_implINS0_13AUnaryFunctorIN3c1013Float8_e4m3fnES5_bNS0_12_GLOBAL__N_116CompareEqFunctorIS5_EEEEEEvRNS_18TensorIteratorBaseERKT_EUlibE0_EEviT1_.num_vgpr, max(20, .L_ZN2at6native6invokeINS0_13AUnaryFunctorIN3c1013Float8_e4m3fnES4_bNS0_12_GLOBAL__N_116CompareEqFunctorIS4_EEEEj15function_traitsIS8_EEENT1_11result_typeERKT_PrKPcPKT0_PKNS3_10ScalarTypeEi.num_vgpr)
	.set _ZN2at6native32elementwise_kernel_manual_unrollILi128ELi4EZNS0_15gpu_kernel_implINS0_13AUnaryFunctorIN3c1013Float8_e4m3fnES5_bNS0_12_GLOBAL__N_116CompareEqFunctorIS5_EEEEEEvRNS_18TensorIteratorBaseERKT_EUlibE0_EEviT1_.num_agpr, max(0, .L_ZN2at6native6invokeINS0_13AUnaryFunctorIN3c1013Float8_e4m3fnES4_bNS0_12_GLOBAL__N_116CompareEqFunctorIS4_EEEEj15function_traitsIS8_EEENT1_11result_typeERKT_PrKPcPKT0_PKNS3_10ScalarTypeEi.num_agpr)
	.set _ZN2at6native32elementwise_kernel_manual_unrollILi128ELi4EZNS0_15gpu_kernel_implINS0_13AUnaryFunctorIN3c1013Float8_e4m3fnES5_bNS0_12_GLOBAL__N_116CompareEqFunctorIS5_EEEEEEvRNS_18TensorIteratorBaseERKT_EUlibE0_EEviT1_.numbered_sgpr, max(72, .L_ZN2at6native6invokeINS0_13AUnaryFunctorIN3c1013Float8_e4m3fnES4_bNS0_12_GLOBAL__N_116CompareEqFunctorIS4_EEEEj15function_traitsIS8_EEENT1_11result_typeERKT_PrKPcPKT0_PKNS3_10ScalarTypeEi.numbered_sgpr)
	.set _ZN2at6native32elementwise_kernel_manual_unrollILi128ELi4EZNS0_15gpu_kernel_implINS0_13AUnaryFunctorIN3c1013Float8_e4m3fnES5_bNS0_12_GLOBAL__N_116CompareEqFunctorIS5_EEEEEEvRNS_18TensorIteratorBaseERKT_EUlibE0_EEviT1_.num_named_barrier, max(0, .L_ZN2at6native6invokeINS0_13AUnaryFunctorIN3c1013Float8_e4m3fnES4_bNS0_12_GLOBAL__N_116CompareEqFunctorIS4_EEEEj15function_traitsIS8_EEENT1_11result_typeERKT_PrKPcPKT0_PKNS3_10ScalarTypeEi.num_named_barrier)
	.set _ZN2at6native32elementwise_kernel_manual_unrollILi128ELi4EZNS0_15gpu_kernel_implINS0_13AUnaryFunctorIN3c1013Float8_e4m3fnES5_bNS0_12_GLOBAL__N_116CompareEqFunctorIS5_EEEEEEvRNS_18TensorIteratorBaseERKT_EUlibE0_EEviT1_.private_seg_size, 0+max(.L_ZN2at6native6invokeINS0_13AUnaryFunctorIN3c1013Float8_e4m3fnES4_bNS0_12_GLOBAL__N_116CompareEqFunctorIS4_EEEEj15function_traitsIS8_EEENT1_11result_typeERKT_PrKPcPKT0_PKNS3_10ScalarTypeEi.private_seg_size)
	.set _ZN2at6native32elementwise_kernel_manual_unrollILi128ELi4EZNS0_15gpu_kernel_implINS0_13AUnaryFunctorIN3c1013Float8_e4m3fnES5_bNS0_12_GLOBAL__N_116CompareEqFunctorIS5_EEEEEEvRNS_18TensorIteratorBaseERKT_EUlibE0_EEviT1_.uses_vcc, or(1, .L_ZN2at6native6invokeINS0_13AUnaryFunctorIN3c1013Float8_e4m3fnES4_bNS0_12_GLOBAL__N_116CompareEqFunctorIS4_EEEEj15function_traitsIS8_EEENT1_11result_typeERKT_PrKPcPKT0_PKNS3_10ScalarTypeEi.uses_vcc)
	.set _ZN2at6native32elementwise_kernel_manual_unrollILi128ELi4EZNS0_15gpu_kernel_implINS0_13AUnaryFunctorIN3c1013Float8_e4m3fnES5_bNS0_12_GLOBAL__N_116CompareEqFunctorIS5_EEEEEEvRNS_18TensorIteratorBaseERKT_EUlibE0_EEviT1_.uses_flat_scratch, or(0, .L_ZN2at6native6invokeINS0_13AUnaryFunctorIN3c1013Float8_e4m3fnES4_bNS0_12_GLOBAL__N_116CompareEqFunctorIS4_EEEEj15function_traitsIS8_EEENT1_11result_typeERKT_PrKPcPKT0_PKNS3_10ScalarTypeEi.uses_flat_scratch)
	.set _ZN2at6native32elementwise_kernel_manual_unrollILi128ELi4EZNS0_15gpu_kernel_implINS0_13AUnaryFunctorIN3c1013Float8_e4m3fnES5_bNS0_12_GLOBAL__N_116CompareEqFunctorIS5_EEEEEEvRNS_18TensorIteratorBaseERKT_EUlibE0_EEviT1_.has_dyn_sized_stack, or(0, .L_ZN2at6native6invokeINS0_13AUnaryFunctorIN3c1013Float8_e4m3fnES4_bNS0_12_GLOBAL__N_116CompareEqFunctorIS4_EEEEj15function_traitsIS8_EEENT1_11result_typeERKT_PrKPcPKT0_PKNS3_10ScalarTypeEi.has_dyn_sized_stack)
	.set _ZN2at6native32elementwise_kernel_manual_unrollILi128ELi4EZNS0_15gpu_kernel_implINS0_13AUnaryFunctorIN3c1013Float8_e4m3fnES5_bNS0_12_GLOBAL__N_116CompareEqFunctorIS5_EEEEEEvRNS_18TensorIteratorBaseERKT_EUlibE0_EEviT1_.has_recursion, or(0, .L_ZN2at6native6invokeINS0_13AUnaryFunctorIN3c1013Float8_e4m3fnES4_bNS0_12_GLOBAL__N_116CompareEqFunctorIS4_EEEEj15function_traitsIS8_EEENT1_11result_typeERKT_PrKPcPKT0_PKNS3_10ScalarTypeEi.has_recursion)
	.set _ZN2at6native32elementwise_kernel_manual_unrollILi128ELi4EZNS0_15gpu_kernel_implINS0_13AUnaryFunctorIN3c1013Float8_e4m3fnES5_bNS0_12_GLOBAL__N_116CompareEqFunctorIS5_EEEEEEvRNS_18TensorIteratorBaseERKT_EUlibE0_EEviT1_.has_indirect_call, or(0, .L_ZN2at6native6invokeINS0_13AUnaryFunctorIN3c1013Float8_e4m3fnES4_bNS0_12_GLOBAL__N_116CompareEqFunctorIS4_EEEEj15function_traitsIS8_EEENT1_11result_typeERKT_PrKPcPKT0_PKNS3_10ScalarTypeEi.has_indirect_call)
	.section	.AMDGPU.csdata,"",@progbits
; Kernel info:
; codeLenInByte = 23636
; TotalNumSgprs: 74
; NumVgprs: 20
; ScratchSize: 0
; MemoryBound: 0
; FloatMode: 240
; IeeeMode: 1
; LDSByteSize: 0 bytes/workgroup (compile time only)
; SGPRBlocks: 0
; VGPRBlocks: 1
; NumSGPRsForWavesPerEU: 74
; NumVGPRsForWavesPerEU: 20
; NamedBarCnt: 0
; Occupancy: 16
; WaveLimiterHint : 1
; COMPUTE_PGM_RSRC2:SCRATCH_EN: 0
; COMPUTE_PGM_RSRC2:USER_SGPR: 2
; COMPUTE_PGM_RSRC2:TRAP_HANDLER: 0
; COMPUTE_PGM_RSRC2:TGID_X_EN: 1
; COMPUTE_PGM_RSRC2:TGID_Y_EN: 0
; COMPUTE_PGM_RSRC2:TGID_Z_EN: 0
; COMPUTE_PGM_RSRC2:TIDIG_COMP_CNT: 0
	.text
	.p2align	2                               ; -- Begin function _ZN2at6native25elementwise_kernel_helperILb0ENS0_13BinaryFunctorIN3c1015Float8_e4m3fnuzES4_bNS0_12_GLOBAL__N_116CompareEqFunctorIS4_EEEENS0_6memory8policies11unroll_baseILi256ESt5arrayIPcLm3EE23TrivialOffsetCalculatorILi2EjESF_ILi1EjENS9_15LoadWithoutCastENS9_16StoreWithoutCastELi16ELi1EEEEEvT0_T1_
	.type	_ZN2at6native25elementwise_kernel_helperILb0ENS0_13BinaryFunctorIN3c1015Float8_e4m3fnuzES4_bNS0_12_GLOBAL__N_116CompareEqFunctorIS4_EEEENS0_6memory8policies11unroll_baseILi256ESt5arrayIPcLm3EE23TrivialOffsetCalculatorILi2EjESF_ILi1EjENS9_15LoadWithoutCastENS9_16StoreWithoutCastELi16ELi1EEEEEvT0_T1_,@function
_ZN2at6native25elementwise_kernel_helperILb0ENS0_13BinaryFunctorIN3c1015Float8_e4m3fnuzES4_bNS0_12_GLOBAL__N_116CompareEqFunctorIS4_EEEENS0_6memory8policies11unroll_baseILi256ESt5arrayIPcLm3EE23TrivialOffsetCalculatorILi2EjESF_ILi1EjENS9_15LoadWithoutCastENS9_16StoreWithoutCastELi16ELi1EEEEEvT0_T1_: ; @_ZN2at6native25elementwise_kernel_helperILb0ENS0_13BinaryFunctorIN3c1015Float8_e4m3fnuzES4_bNS0_12_GLOBAL__N_116CompareEqFunctorIS4_EEEENS0_6memory8policies11unroll_baseILi256ESt5arrayIPcLm3EE23TrivialOffsetCalculatorILi2EjESF_ILi1EjENS9_15LoadWithoutCastENS9_16StoreWithoutCastELi16ELi1EEEEEvT0_T1_
; %bb.0:
	s_wait_loadcnt_dscnt 0x0
	s_wait_kmcnt 0x0
	s_bfe_u32 s0, ttmp6, 0x4000c
	s_and_b32 s1, ttmp6, 15
	s_add_co_i32 s0, s0, 1
	s_getreg_b32 s2, hwreg(HW_REG_IB_STS2, 6, 4)
	s_mul_i32 s0, ttmp9, s0
	v_dual_mov_b32 v17, v6 :: v_dual_mov_b32 v16, v5
	s_add_co_i32 s1, s1, s0
	s_cmp_eq_u32 s2, 0
	v_and_b32_e32 v6, 0x3ff, v31
	s_cselect_b32 s0, ttmp9, s1
	v_dual_mov_b32 v19, v4 :: v_dual_mov_b32 v18, v3
	s_lshl_b32 s2, s0, 12
	v_dual_mov_b32 v9, v2 :: v_dual_mov_b32 v8, v1
	v_cmp_lt_i32_e32 vcc_lo, v6, v7
	v_dual_mov_b32 v2, 0 :: v_dual_bitop2_b32 v10, s2, v6 bitop3:0x54
	v_dual_mov_b32 v5, 0 :: v_dual_add_nc_u32 v24, 0x100, v6
	v_dual_mov_b32 v12, 0 :: v_dual_mov_b32 v14, 0
	v_dual_mov_b32 v13, 0 :: v_dual_mov_b32 v26, 0
	v_dual_mov_b32 v25, 0 :: v_dual_mov_b32 v28, 0
	v_dual_mov_b32 v27, 0 :: v_dual_mov_b32 v30, 0
	v_dual_mov_b32 v29, 0 :: v_dual_mov_b32 v32, 0
	v_dual_mov_b32 v31, 0 :: v_dual_mov_b32 v34, 0
	v_dual_mov_b32 v33, 0 :: v_dual_mov_b32 v36, 0
	v_dual_mov_b32 v35, 0 :: v_dual_mov_b32 v38, 0
	v_dual_mov_b32 v37, 0 :: v_dual_mov_b32 v48, 0
	v_dual_mov_b32 v39, 0 :: v_dual_mov_b32 v50, 0
	v_dual_mov_b32 v49, 0 :: v_dual_mov_b32 v52, 0
	v_dual_mov_b32 v51, 0 :: v_dual_mov_b32 v54, 0
	v_dual_mov_b32 v53, 0 :: v_dual_mov_b32 v55, 0
	v_dual_mov_b32 v15, 0 :: v_dual_mov_b32 v64, 0
	v_dual_mov_b32 v11, 0 :: v_dual_mov_b32 v66, 0
	v_mov_b32_e32 v65, 0
	s_and_saveexec_b32 s1, vcc_lo
	s_cbranch_execz .LBB287_32
; %bb.1:
	v_mov_b32_e32 v11, 0
	s_delay_alu instid0(VALU_DEP_1) | instskip(SKIP_2) | instid1(VALU_DEP_3)
	v_dual_mov_b32 v64, v11 :: v_dual_add_nc_u32 v1, 0x100, v6
	v_add_nc_u64_e32 v[4:5], v[18:19], v[10:11]
	v_add_nc_u64_e32 v[12:13], v[16:17], v[10:11]
	v_cmp_lt_u32_e64 s0, v1, v7
	v_dual_mov_b32 v15, v11 :: v_dual_mov_b32 v55, v11
	v_dual_mov_b32 v53, v11 :: v_dual_mov_b32 v54, v11
	flat_load_u8 v66, v[4:5]
	flat_load_u8 v65, v[12:13]
	v_dual_mov_b32 v51, v11 :: v_dual_mov_b32 v52, v11
	v_dual_mov_b32 v49, v11 :: v_dual_mov_b32 v50, v11
	v_dual_mov_b32 v39, v11 :: v_dual_mov_b32 v48, v11
	v_dual_mov_b32 v37, v11 :: v_dual_mov_b32 v38, v11
	v_dual_mov_b32 v35, v11 :: v_dual_mov_b32 v36, v11
	v_dual_mov_b32 v33, v11 :: v_dual_mov_b32 v34, v11
	v_dual_mov_b32 v31, v11 :: v_dual_mov_b32 v32, v11
	v_dual_mov_b32 v29, v11 :: v_dual_mov_b32 v30, v11
	v_dual_mov_b32 v27, v11 :: v_dual_mov_b32 v28, v11
	v_dual_mov_b32 v25, v11 :: v_dual_mov_b32 v26, v11
	s_wait_xcnt 0x0
	v_dual_mov_b32 v13, v11 :: v_dual_mov_b32 v14, v11
	v_dual_mov_b32 v5, v11 :: v_dual_mov_b32 v12, v11
	s_and_saveexec_b32 s3, s0
	s_cbranch_execz .LBB287_31
; %bb.2:
	v_dual_mov_b32 v15, 0 :: v_dual_add_nc_u32 v14, s2, v6
	s_delay_alu instid0(VALU_DEP_1) | instskip(NEXT) | instid1(VALU_DEP_2)
	v_dual_mov_b32 v54, v15 :: v_dual_add_nc_u32 v1, 0x200, v6
	v_add_nc_u64_e32 v[20:21], v[18:19], v[14:15]
	v_add_nc_u64_e32 v[22:23], v[16:17], v[14:15]
	s_delay_alu instid0(VALU_DEP_3)
	v_cmp_lt_u32_e64 s0, v1, v7
	v_dual_mov_b32 v55, v15 :: v_dual_mov_b32 v53, v15
	flat_load_u8 v64, v[20:21] offset:256
	flat_load_u8 v11, v[22:23] offset:256
	v_dual_mov_b32 v51, v15 :: v_dual_mov_b32 v52, v15
	v_dual_mov_b32 v49, v15 :: v_dual_mov_b32 v50, v15
	;; [unrolled: 1-line block ×12, first 2 shown]
	s_wait_xcnt 0x0
	s_and_saveexec_b32 s4, s0
	s_cbranch_execz .LBB287_30
; %bb.3:
	flat_load_u8 v55, v[20:21] offset:512
	flat_load_u8 v15, v[22:23] offset:512
	v_dual_mov_b32 v54, 0 :: v_dual_add_nc_u32 v1, 0x300, v6
	v_dual_mov_b32 v53, 0 :: v_dual_mov_b32 v51, 0
	v_dual_mov_b32 v52, 0 :: v_dual_mov_b32 v49, 0
	s_delay_alu instid0(VALU_DEP_3)
	v_cmp_lt_u32_e64 s0, v1, v7
	v_dual_mov_b32 v50, 0 :: v_dual_mov_b32 v39, 0
	v_dual_mov_b32 v48, 0 :: v_dual_mov_b32 v37, 0
	v_dual_mov_b32 v38, 0 :: v_dual_mov_b32 v35, 0
	v_dual_mov_b32 v36, 0 :: v_dual_mov_b32 v33, 0
	v_dual_mov_b32 v34, 0 :: v_dual_mov_b32 v31, 0
	v_dual_mov_b32 v32, 0 :: v_dual_mov_b32 v29, 0
	v_dual_mov_b32 v30, 0 :: v_dual_mov_b32 v27, 0
	v_dual_mov_b32 v28, 0 :: v_dual_mov_b32 v25, 0
	v_dual_mov_b32 v26, 0 :: v_dual_mov_b32 v13, 0
	v_dual_mov_b32 v14, 0 :: v_dual_mov_b32 v5, 0
	v_mov_b32_e32 v12, 0
	s_wait_xcnt 0x0
	s_and_saveexec_b32 s5, s0
	s_cbranch_execz .LBB287_29
; %bb.4:
	flat_load_u8 v54, v[20:21] offset:768
	flat_load_u8 v53, v[22:23] offset:768
	v_or_b32_e32 v1, 0x400, v6
	v_dual_mov_b32 v51, 0 :: v_dual_mov_b32 v52, 0
	v_dual_mov_b32 v49, 0 :: v_dual_mov_b32 v50, 0
	s_delay_alu instid0(VALU_DEP_3)
	v_cmp_lt_u32_e64 s0, v1, v7
	v_dual_mov_b32 v39, 0 :: v_dual_mov_b32 v48, 0
	v_dual_mov_b32 v37, 0 :: v_dual_mov_b32 v38, 0
	;; [unrolled: 1-line block ×10, first 2 shown]
	s_wait_xcnt 0x0
	s_and_saveexec_b32 s6, s0
	s_cbranch_execz .LBB287_28
; %bb.5:
	flat_load_u8 v52, v[20:21] offset:1024
	flat_load_u8 v51, v[22:23] offset:1024
	v_dual_mov_b32 v50, 0 :: v_dual_add_nc_u32 v1, 0x500, v6
	v_dual_mov_b32 v49, 0 :: v_dual_mov_b32 v39, 0
	v_dual_mov_b32 v48, 0 :: v_dual_mov_b32 v37, 0
	s_delay_alu instid0(VALU_DEP_3)
	v_cmp_lt_u32_e64 s0, v1, v7
	v_dual_mov_b32 v38, 0 :: v_dual_mov_b32 v35, 0
	v_dual_mov_b32 v36, 0 :: v_dual_mov_b32 v33, 0
	;; [unrolled: 1-line block ×8, first 2 shown]
	v_mov_b32_e32 v12, 0
	s_wait_xcnt 0x0
	s_and_saveexec_b32 s7, s0
	s_cbranch_execz .LBB287_27
; %bb.6:
	flat_load_u8 v50, v[20:21] offset:1280
	flat_load_u8 v49, v[22:23] offset:1280
	v_dual_mov_b32 v48, 0 :: v_dual_add_nc_u32 v1, 0x600, v6
	v_dual_mov_b32 v39, 0 :: v_dual_mov_b32 v37, 0
	v_dual_mov_b32 v38, 0 :: v_dual_mov_b32 v35, 0
	s_delay_alu instid0(VALU_DEP_3)
	v_cmp_lt_u32_e64 s0, v1, v7
	v_dual_mov_b32 v36, 0 :: v_dual_mov_b32 v33, 0
	v_dual_mov_b32 v34, 0 :: v_dual_mov_b32 v31, 0
	;; [unrolled: 1-line block ×7, first 2 shown]
	v_mov_b32_e32 v12, 0
	s_wait_xcnt 0x0
	s_and_saveexec_b32 s8, s0
	s_cbranch_execz .LBB287_26
; %bb.7:
	flat_load_u8 v48, v[20:21] offset:1536
	flat_load_u8 v39, v[22:23] offset:1536
	v_dual_mov_b32 v38, 0 :: v_dual_add_nc_u32 v1, 0x700, v6
	v_dual_mov_b32 v37, 0 :: v_dual_mov_b32 v35, 0
	v_dual_mov_b32 v36, 0 :: v_dual_mov_b32 v33, 0
	;; [unrolled: 1-line block ×8, first 2 shown]
	v_mov_b32_e32 v12, 0
	s_mov_b32 s9, exec_lo
	s_wait_xcnt 0x0
	v_cmpx_lt_u32_e64 v1, v7
	s_cbranch_execz .LBB287_25
; %bb.8:
	flat_load_u8 v38, v[20:21] offset:1792
	flat_load_u8 v37, v[22:23] offset:1792
	v_or_b32_e32 v1, 0x800, v6
	v_dual_mov_b32 v35, 0 :: v_dual_mov_b32 v36, 0
	v_dual_mov_b32 v33, 0 :: v_dual_mov_b32 v34, 0
	;; [unrolled: 1-line block ×8, first 2 shown]
	s_mov_b32 s10, exec_lo
	s_wait_xcnt 0x0
	v_cmpx_lt_u32_e64 v1, v7
	s_cbranch_execz .LBB287_24
; %bb.9:
	flat_load_u8 v36, v[20:21] offset:2048
	flat_load_u8 v35, v[22:23] offset:2048
	v_dual_mov_b32 v34, 0 :: v_dual_add_nc_u32 v1, 0x900, v6
	v_dual_mov_b32 v33, 0 :: v_dual_mov_b32 v31, 0
	v_dual_mov_b32 v32, 0 :: v_dual_mov_b32 v29, 0
	;; [unrolled: 1-line block ×6, first 2 shown]
	v_mov_b32_e32 v12, 0
	s_mov_b32 s11, exec_lo
	s_wait_xcnt 0x0
	v_cmpx_lt_u32_e64 v1, v7
	s_cbranch_execz .LBB287_23
; %bb.10:
	flat_load_u8 v34, v[20:21] offset:2304
	flat_load_u8 v33, v[22:23] offset:2304
	v_dual_mov_b32 v32, 0 :: v_dual_add_nc_u32 v1, 0xa00, v6
	v_dual_mov_b32 v31, 0 :: v_dual_mov_b32 v29, 0
	v_dual_mov_b32 v30, 0 :: v_dual_mov_b32 v27, 0
	v_dual_mov_b32 v28, 0 :: v_dual_mov_b32 v25, 0
	v_dual_mov_b32 v26, 0 :: v_dual_mov_b32 v13, 0
	v_dual_mov_b32 v14, 0 :: v_dual_mov_b32 v5, 0
	v_mov_b32_e32 v12, 0
	s_mov_b32 s12, exec_lo
	s_wait_xcnt 0x0
	v_cmpx_lt_u32_e64 v1, v7
	s_cbranch_execz .LBB287_22
; %bb.11:
	flat_load_u8 v32, v[20:21] offset:2560
	flat_load_u8 v31, v[22:23] offset:2560
	v_dual_mov_b32 v30, 0 :: v_dual_add_nc_u32 v1, 0xb00, v6
	v_dual_mov_b32 v29, 0 :: v_dual_mov_b32 v27, 0
	v_dual_mov_b32 v28, 0 :: v_dual_mov_b32 v25, 0
	;; [unrolled: 1-line block ×4, first 2 shown]
	v_mov_b32_e32 v12, 0
	s_mov_b32 s13, exec_lo
	s_wait_xcnt 0x0
	v_cmpx_lt_u32_e64 v1, v7
	s_cbranch_execz .LBB287_21
; %bb.12:
	flat_load_u8 v30, v[20:21] offset:2816
	flat_load_u8 v29, v[22:23] offset:2816
	v_or_b32_e32 v1, 0xc00, v6
	v_dual_mov_b32 v27, 0 :: v_dual_mov_b32 v28, 0
	v_dual_mov_b32 v25, 0 :: v_dual_mov_b32 v26, 0
	;; [unrolled: 1-line block ×4, first 2 shown]
	s_mov_b32 s14, exec_lo
	s_wait_xcnt 0x0
	v_cmpx_lt_u32_e64 v1, v7
	s_cbranch_execz .LBB287_20
; %bb.13:
	flat_load_u8 v28, v[20:21] offset:3072
	flat_load_u8 v27, v[22:23] offset:3072
	v_dual_mov_b32 v26, 0 :: v_dual_add_nc_u32 v1, 0xd00, v6
	v_dual_mov_b32 v25, 0 :: v_dual_mov_b32 v13, 0
	v_dual_mov_b32 v14, 0 :: v_dual_mov_b32 v5, 0
	v_mov_b32_e32 v12, 0
	s_mov_b32 s15, exec_lo
	s_wait_xcnt 0x0
	v_cmpx_lt_u32_e64 v1, v7
	s_cbranch_execz .LBB287_19
; %bb.14:
	v_dual_mov_b32 v13, 0 :: v_dual_add_nc_u32 v12, s2, v1
	v_add_nc_u32_e32 v1, 0xe00, v6
	s_mov_b32 s16, exec_lo
	s_delay_alu instid0(VALU_DEP_2)
	v_add_nc_u64_e32 v[4:5], v[18:19], v[12:13]
	v_add_nc_u64_e32 v[20:21], v[16:17], v[12:13]
	v_mov_b32_e32 v14, v13
	flat_load_u8 v26, v[4:5]
	flat_load_u8 v25, v[20:21]
	s_wait_xcnt 0x1
	v_dual_mov_b32 v5, v13 :: v_dual_mov_b32 v12, v13
	s_wait_xcnt 0x0
	v_cmpx_lt_u32_e64 v1, v7
	s_cbranch_execz .LBB287_18
; %bb.15:
	v_dual_mov_b32 v5, 0 :: v_dual_add_nc_u32 v4, s2, v1
	v_add_nc_u32_e32 v1, 0xf00, v6
	s_mov_b32 s17, exec_lo
	s_delay_alu instid0(VALU_DEP_2)
	v_add_nc_u64_e32 v[20:21], v[18:19], v[4:5]
	v_add_nc_u64_e32 v[22:23], v[16:17], v[4:5]
	v_mov_b32_e32 v12, v5
	flat_load_u8 v14, v[20:21]
	flat_load_u8 v13, v[22:23]
	s_wait_xcnt 0x0
	v_cmpx_lt_u32_e64 v1, v7
	s_cbranch_execz .LBB287_17
; %bb.16:
	v_dual_mov_b32 v5, 0 :: v_dual_add_nc_u32 v4, s2, v1
	s_delay_alu instid0(VALU_DEP_1)
	v_add_nc_u64_e32 v[18:19], v[18:19], v[4:5]
	v_add_nc_u64_e32 v[16:17], v[16:17], v[4:5]
	flat_load_u8 v12, v[18:19]
	flat_load_u8 v5, v[16:17]
.LBB287_17:
	s_wait_xcnt 0x0
	s_or_b32 exec_lo, exec_lo, s17
.LBB287_18:
	s_delay_alu instid0(SALU_CYCLE_1)
	s_or_b32 exec_lo, exec_lo, s16
.LBB287_19:
	s_delay_alu instid0(SALU_CYCLE_1)
	s_or_b32 exec_lo, exec_lo, s15
.LBB287_20:
	s_delay_alu instid0(SALU_CYCLE_1)
	s_or_b32 exec_lo, exec_lo, s14
.LBB287_21:
	s_delay_alu instid0(SALU_CYCLE_1)
	s_or_b32 exec_lo, exec_lo, s13
.LBB287_22:
	s_delay_alu instid0(SALU_CYCLE_1)
	s_or_b32 exec_lo, exec_lo, s12
.LBB287_23:
	s_delay_alu instid0(SALU_CYCLE_1)
	s_or_b32 exec_lo, exec_lo, s11
.LBB287_24:
	s_delay_alu instid0(SALU_CYCLE_1)
	s_or_b32 exec_lo, exec_lo, s10
.LBB287_25:
	s_delay_alu instid0(SALU_CYCLE_1)
	s_or_b32 exec_lo, exec_lo, s9
.LBB287_26:
	s_delay_alu instid0(SALU_CYCLE_1)
	s_or_b32 exec_lo, exec_lo, s8
.LBB287_27:
	s_delay_alu instid0(SALU_CYCLE_1)
	s_or_b32 exec_lo, exec_lo, s7
.LBB287_28:
	s_delay_alu instid0(SALU_CYCLE_1)
	s_or_b32 exec_lo, exec_lo, s6
.LBB287_29:
	s_delay_alu instid0(SALU_CYCLE_1)
	s_or_b32 exec_lo, exec_lo, s5
.LBB287_30:
	s_delay_alu instid0(SALU_CYCLE_1)
	s_or_b32 exec_lo, exec_lo, s4
.LBB287_31:
	s_delay_alu instid0(SALU_CYCLE_1)
	s_or_b32 exec_lo, exec_lo, s3
.LBB287_32:
	s_delay_alu instid0(SALU_CYCLE_1)
	s_or_b32 exec_lo, exec_lo, s1
	v_cmp_ne_u32_e64 s0, 0, v0
	v_dual_mov_b32 v1, v2 :: v_dual_mov_b32 v4, v2
	v_mov_b32_e32 v3, v2
	s_and_saveexec_b32 s3, vcc_lo
	s_cbranch_execz .LBB287_54
; %bb.33:
                                        ; implicit-def: $sgpr4
	s_and_saveexec_b32 s1, s0
	s_delay_alu instid0(SALU_CYCLE_1)
	s_xor_b32 s5, exec_lo, s1
	s_cbranch_execz .LBB287_43
; %bb.34:
	s_wait_loadcnt_dscnt 0x101
	v_and_b32_e32 v1, 0xff, v66
	s_mov_b32 s4, 0
	s_mov_b32 s6, exec_lo
	s_delay_alu instid0(VALU_DEP_1)
	v_cmpx_lt_i16_e32 0x7f, v1
	s_xor_b32 s6, exec_lo, s6
	s_cbranch_execnz .LBB287_417
; %bb.35:
	s_or_saveexec_b32 s6, s6
	v_mov_b32_e32 v0, 0x7f800001
	s_xor_b32 exec_lo, exec_lo, s6
	s_cbranch_execnz .LBB287_420
.LBB287_36:
	s_or_b32 exec_lo, exec_lo, s6
	s_and_saveexec_b32 s6, s4
	s_cbranch_execz .LBB287_38
.LBB287_37:
	v_and_b32_e32 v0, 7, v66
	v_lshrrev_b16 v2, 3, v66
	v_lshlrev_b32_e32 v4, 24, v66
	s_delay_alu instid0(VALU_DEP_3) | instskip(NEXT) | instid1(VALU_DEP_1)
	v_clz_i32_u32_e32 v1, v0
	v_min_u32_e32 v1, 32, v1
	s_delay_alu instid0(VALU_DEP_4) | instskip(NEXT) | instid1(VALU_DEP_2)
	v_and_b32_e32 v2, 15, v2
	v_subrev_nc_u32_e32 v3, 28, v1
	v_sub_nc_u32_e32 v1, 29, v1
	s_delay_alu instid0(VALU_DEP_3) | instskip(NEXT) | instid1(VALU_DEP_3)
	v_cmp_eq_u32_e64 s1, 0, v2
	v_lshlrev_b32_e32 v3, v3, v66
	s_delay_alu instid0(VALU_DEP_1) | instskip(SKIP_1) | instid1(VALU_DEP_2)
	v_dual_cndmask_b32 v1, v2, v1, s1 :: v_dual_bitop2_b32 v3, 7, v3 bitop3:0x40
	v_and_b32_e32 v2, 0x80000000, v4
	v_cndmask_b32_e64 v0, v0, v3, s1
	s_delay_alu instid0(VALU_DEP_3) | instskip(NEXT) | instid1(VALU_DEP_2)
	v_lshl_add_u32 v1, v1, 23, 0x3b800000
	v_lshlrev_b32_e32 v0, 20, v0
	s_delay_alu instid0(VALU_DEP_1)
	v_or3_b32 v0, v2, v1, v0
.LBB287_38:
	s_or_b32 exec_lo, exec_lo, s6
	s_wait_loadcnt_dscnt 0x0
	v_and_b32_e32 v2, 0xff, v65
	s_mov_b32 s4, 0
	s_mov_b32 s6, exec_lo
	s_delay_alu instid0(VALU_DEP_1)
	v_cmpx_lt_i16_e32 0x7f, v2
	s_xor_b32 s6, exec_lo, s6
	s_cbranch_execnz .LBB287_421
; %bb.39:
	s_or_saveexec_b32 s6, s6
	v_mov_b32_e32 v1, 0x7f800001
	s_xor_b32 exec_lo, exec_lo, s6
	s_cbranch_execnz .LBB287_424
.LBB287_40:
	s_or_b32 exec_lo, exec_lo, s6
	s_and_saveexec_b32 s6, s4
	s_cbranch_execz .LBB287_42
.LBB287_41:
	v_and_b32_e32 v1, 7, v65
	v_lshrrev_b16 v3, 3, v65
	v_lshlrev_b32_e32 v16, 24, v65
	s_delay_alu instid0(VALU_DEP_3) | instskip(NEXT) | instid1(VALU_DEP_1)
	v_clz_i32_u32_e32 v2, v1
	v_min_u32_e32 v2, 32, v2
	s_delay_alu instid0(VALU_DEP_4) | instskip(NEXT) | instid1(VALU_DEP_2)
	v_and_b32_e32 v3, 15, v3
	v_subrev_nc_u32_e32 v4, 28, v2
	v_sub_nc_u32_e32 v2, 29, v2
	s_delay_alu instid0(VALU_DEP_3) | instskip(NEXT) | instid1(VALU_DEP_3)
	v_cmp_eq_u32_e64 s1, 0, v3
	v_lshlrev_b32_e32 v4, v4, v65
	s_delay_alu instid0(VALU_DEP_1) | instskip(SKIP_1) | instid1(VALU_DEP_2)
	v_dual_cndmask_b32 v2, v3, v2, s1 :: v_dual_bitop2_b32 v4, 7, v4 bitop3:0x40
	v_and_b32_e32 v3, 0x80000000, v16
	v_cndmask_b32_e64 v1, v1, v4, s1
	s_delay_alu instid0(VALU_DEP_3) | instskip(NEXT) | instid1(VALU_DEP_2)
	v_lshl_add_u32 v2, v2, 23, 0x3b800000
	v_lshlrev_b32_e32 v1, 20, v1
	s_delay_alu instid0(VALU_DEP_1)
	v_or3_b32 v1, v3, v2, v1
.LBB287_42:
	s_or_b32 exec_lo, exec_lo, s6
	s_delay_alu instid0(VALU_DEP_1)
	v_cmp_neq_f32_e64 s4, v0, v1
                                        ; implicit-def: $vgpr65
                                        ; implicit-def: $vgpr66
.LBB287_43:
	s_and_not1_saveexec_b32 s5, s5
	s_cbranch_execz .LBB287_53
; %bb.44:
	s_wait_loadcnt_dscnt 0x101
	v_and_b32_e32 v1, 0xff, v66
	s_mov_b32 s6, 0
	s_mov_b32 s7, exec_lo
	s_delay_alu instid0(VALU_DEP_1)
	v_cmpx_lt_i16_e32 0x7f, v1
	s_xor_b32 s7, exec_lo, s7
	s_cbranch_execnz .LBB287_425
; %bb.45:
	s_or_saveexec_b32 s7, s7
	v_mov_b32_e32 v0, 0x7f800001
	s_xor_b32 exec_lo, exec_lo, s7
	s_cbranch_execnz .LBB287_428
.LBB287_46:
	s_or_b32 exec_lo, exec_lo, s7
	s_and_saveexec_b32 s7, s6
	s_cbranch_execz .LBB287_48
.LBB287_47:
	v_and_b32_e32 v0, 7, v66
	v_lshrrev_b16 v2, 3, v66
	v_lshlrev_b32_e32 v4, 24, v66
	s_delay_alu instid0(VALU_DEP_3) | instskip(NEXT) | instid1(VALU_DEP_1)
	v_clz_i32_u32_e32 v1, v0
	v_min_u32_e32 v1, 32, v1
	s_delay_alu instid0(VALU_DEP_4) | instskip(NEXT) | instid1(VALU_DEP_2)
	v_and_b32_e32 v2, 15, v2
	v_subrev_nc_u32_e32 v3, 28, v1
	v_sub_nc_u32_e32 v1, 29, v1
	s_delay_alu instid0(VALU_DEP_3) | instskip(NEXT) | instid1(VALU_DEP_3)
	v_cmp_eq_u32_e64 s1, 0, v2
	v_lshlrev_b32_e32 v3, v3, v66
	s_delay_alu instid0(VALU_DEP_1) | instskip(SKIP_1) | instid1(VALU_DEP_2)
	v_dual_cndmask_b32 v1, v2, v1, s1 :: v_dual_bitop2_b32 v3, 7, v3 bitop3:0x40
	v_and_b32_e32 v2, 0x80000000, v4
	v_cndmask_b32_e64 v0, v0, v3, s1
	s_delay_alu instid0(VALU_DEP_3) | instskip(NEXT) | instid1(VALU_DEP_2)
	v_lshl_add_u32 v1, v1, 23, 0x3b800000
	v_lshlrev_b32_e32 v0, 20, v0
	s_delay_alu instid0(VALU_DEP_1)
	v_or3_b32 v0, v2, v1, v0
.LBB287_48:
	s_or_b32 exec_lo, exec_lo, s7
	s_wait_loadcnt_dscnt 0x0
	v_and_b32_e32 v2, 0xff, v65
	s_mov_b32 s6, 0
	s_mov_b32 s7, exec_lo
	s_delay_alu instid0(VALU_DEP_1)
	v_cmpx_lt_i16_e32 0x7f, v2
	s_xor_b32 s7, exec_lo, s7
	s_cbranch_execnz .LBB287_429
; %bb.49:
	s_or_saveexec_b32 s7, s7
	v_mov_b32_e32 v1, 0x7f800001
	s_xor_b32 exec_lo, exec_lo, s7
	s_cbranch_execnz .LBB287_432
.LBB287_50:
	s_or_b32 exec_lo, exec_lo, s7
	s_and_saveexec_b32 s7, s6
	s_cbranch_execz .LBB287_52
.LBB287_51:
	v_and_b32_e32 v1, 7, v65
	v_lshrrev_b16 v3, 3, v65
	v_lshlrev_b32_e32 v16, 24, v65
	s_delay_alu instid0(VALU_DEP_3) | instskip(NEXT) | instid1(VALU_DEP_1)
	v_clz_i32_u32_e32 v2, v1
	v_min_u32_e32 v2, 32, v2
	s_delay_alu instid0(VALU_DEP_4) | instskip(NEXT) | instid1(VALU_DEP_2)
	v_and_b32_e32 v3, 15, v3
	v_subrev_nc_u32_e32 v4, 28, v2
	v_sub_nc_u32_e32 v2, 29, v2
	s_delay_alu instid0(VALU_DEP_3) | instskip(NEXT) | instid1(VALU_DEP_3)
	v_cmp_eq_u32_e64 s1, 0, v3
	v_lshlrev_b32_e32 v4, v4, v65
	s_delay_alu instid0(VALU_DEP_1) | instskip(SKIP_1) | instid1(VALU_DEP_2)
	v_dual_cndmask_b32 v2, v3, v2, s1 :: v_dual_bitop2_b32 v4, 7, v4 bitop3:0x40
	v_and_b32_e32 v3, 0x80000000, v16
	v_cndmask_b32_e64 v1, v1, v4, s1
	s_delay_alu instid0(VALU_DEP_3) | instskip(NEXT) | instid1(VALU_DEP_2)
	v_lshl_add_u32 v2, v2, 23, 0x3b800000
	v_lshlrev_b32_e32 v1, 20, v1
	s_delay_alu instid0(VALU_DEP_1)
	v_or3_b32 v1, v3, v2, v1
.LBB287_52:
	s_or_b32 exec_lo, exec_lo, s7
	s_delay_alu instid0(VALU_DEP_1) | instskip(SKIP_2) | instid1(SALU_CYCLE_1)
	v_cmp_eq_f32_e64 s1, v0, v1
	s_and_not1_b32 s4, s4, exec_lo
	s_and_b32 s1, s1, exec_lo
	s_or_b32 s4, s4, s1
.LBB287_53:
	s_or_b32 exec_lo, exec_lo, s5
	s_delay_alu instid0(VALU_DEP_1) | instskip(SKIP_1) | instid1(VALU_DEP_2)
	v_cndmask_b32_e64 v0, 0, 1, s4
	v_mov_b32_e32 v1, 0
	v_and_b32_e32 v2, 0xffff, v0
	s_delay_alu instid0(VALU_DEP_2)
	v_dual_mov_b32 v4, v1 :: v_dual_mov_b32 v3, v1
.LBB287_54:
	s_or_b32 exec_lo, exec_lo, s3
	s_delay_alu instid0(SALU_CYCLE_1)
	s_mov_b32 s3, exec_lo
	v_cmpx_lt_i32_e64 v24, v7
	s_cbranch_execz .LBB287_76
; %bb.55:
                                        ; implicit-def: $sgpr4
	s_and_saveexec_b32 s1, s0
	s_delay_alu instid0(SALU_CYCLE_1)
	s_xor_b32 s5, exec_lo, s1
	s_cbranch_execz .LBB287_65
; %bb.56:
	s_wait_loadcnt_dscnt 0x101
	v_and_b32_e32 v16, 0xff, v64
	s_mov_b32 s4, 0
	s_mov_b32 s6, exec_lo
	s_delay_alu instid0(VALU_DEP_1)
	v_cmpx_lt_i16_e32 0x7f, v16
	s_xor_b32 s6, exec_lo, s6
	s_cbranch_execnz .LBB287_433
; %bb.57:
	s_or_saveexec_b32 s6, s6
	v_mov_b32_e32 v0, 0x7f800001
	s_xor_b32 exec_lo, exec_lo, s6
	s_cbranch_execnz .LBB287_436
.LBB287_58:
	s_or_b32 exec_lo, exec_lo, s6
	s_and_saveexec_b32 s6, s4
	s_cbranch_execz .LBB287_60
.LBB287_59:
	v_and_b32_e32 v0, 7, v64
	v_lshrrev_b16 v17, 3, v64
	v_lshlrev_b32_e32 v19, 24, v64
	s_delay_alu instid0(VALU_DEP_3) | instskip(NEXT) | instid1(VALU_DEP_1)
	v_clz_i32_u32_e32 v16, v0
	v_min_u32_e32 v16, 32, v16
	s_delay_alu instid0(VALU_DEP_4) | instskip(NEXT) | instid1(VALU_DEP_2)
	v_and_b32_e32 v17, 15, v17
	v_subrev_nc_u32_e32 v18, 28, v16
	v_sub_nc_u32_e32 v16, 29, v16
	s_delay_alu instid0(VALU_DEP_3) | instskip(NEXT) | instid1(VALU_DEP_3)
	v_cmp_eq_u32_e64 s1, 0, v17
	v_lshlrev_b32_e32 v18, v18, v64
	s_delay_alu instid0(VALU_DEP_1) | instskip(SKIP_1) | instid1(VALU_DEP_2)
	v_dual_cndmask_b32 v16, v17, v16, s1 :: v_dual_bitop2_b32 v18, 7, v18 bitop3:0x40
	v_and_b32_e32 v17, 0x80000000, v19
	v_cndmask_b32_e64 v0, v0, v18, s1
	s_delay_alu instid0(VALU_DEP_3) | instskip(NEXT) | instid1(VALU_DEP_2)
	v_lshl_add_u32 v16, v16, 23, 0x3b800000
	v_lshlrev_b32_e32 v0, 20, v0
	s_delay_alu instid0(VALU_DEP_1)
	v_or3_b32 v0, v17, v16, v0
.LBB287_60:
	s_or_b32 exec_lo, exec_lo, s6
	s_wait_loadcnt_dscnt 0x0
	v_and_b32_e32 v17, 0xff, v11
	s_mov_b32 s4, 0
	s_mov_b32 s6, exec_lo
	s_delay_alu instid0(VALU_DEP_1)
	v_cmpx_lt_i16_e32 0x7f, v17
	s_xor_b32 s6, exec_lo, s6
	s_cbranch_execnz .LBB287_437
; %bb.61:
	s_or_saveexec_b32 s6, s6
	v_mov_b32_e32 v16, 0x7f800001
	s_xor_b32 exec_lo, exec_lo, s6
	s_cbranch_execnz .LBB287_440
.LBB287_62:
	s_or_b32 exec_lo, exec_lo, s6
	s_and_saveexec_b32 s6, s4
	s_cbranch_execz .LBB287_64
.LBB287_63:
	v_and_b32_e32 v16, 7, v11
	v_lshrrev_b16 v18, 3, v11
	s_delay_alu instid0(VALU_DEP_2) | instskip(NEXT) | instid1(VALU_DEP_1)
	v_clz_i32_u32_e32 v17, v16
	v_min_u32_e32 v17, 32, v17
	s_delay_alu instid0(VALU_DEP_3) | instskip(NEXT) | instid1(VALU_DEP_2)
	v_and_b32_e32 v18, 15, v18
	v_subrev_nc_u32_e32 v19, 28, v17
	v_sub_nc_u32_e32 v17, 29, v17
	s_delay_alu instid0(VALU_DEP_3) | instskip(NEXT) | instid1(VALU_DEP_1)
	v_cmp_eq_u32_e64 s1, 0, v18
	v_dual_lshlrev_b32 v19, v19, v11 :: v_dual_cndmask_b32 v17, v18, v17, s1
	s_delay_alu instid0(VALU_DEP_1) | instskip(NEXT) | instid1(VALU_DEP_2)
	v_and_b32_e32 v19, 7, v19
	v_lshl_add_u32 v17, v17, 23, 0x3b800000
	s_delay_alu instid0(VALU_DEP_2) | instskip(NEXT) | instid1(VALU_DEP_1)
	v_cndmask_b32_e64 v16, v16, v19, s1
	v_dual_lshlrev_b32 v11, 24, v11 :: v_dual_lshlrev_b32 v16, 20, v16
	s_delay_alu instid0(VALU_DEP_1) | instskip(NEXT) | instid1(VALU_DEP_1)
	v_and_b32_e32 v11, 0x80000000, v11
	v_or3_b32 v16, v11, v17, v16
.LBB287_64:
	s_or_b32 exec_lo, exec_lo, s6
	s_delay_alu instid0(VALU_DEP_1)
	v_cmp_neq_f32_e64 s4, v0, v16
                                        ; implicit-def: $vgpr64
.LBB287_65:
	s_and_not1_saveexec_b32 s5, s5
	s_cbranch_execz .LBB287_75
; %bb.66:
	s_wait_loadcnt_dscnt 0x101
	v_and_b32_e32 v16, 0xff, v64
	s_mov_b32 s6, 0
	s_mov_b32 s7, exec_lo
	s_delay_alu instid0(VALU_DEP_1)
	v_cmpx_lt_i16_e32 0x7f, v16
	s_xor_b32 s7, exec_lo, s7
	s_cbranch_execnz .LBB287_441
; %bb.67:
	s_or_saveexec_b32 s7, s7
	v_mov_b32_e32 v0, 0x7f800001
	s_xor_b32 exec_lo, exec_lo, s7
	s_cbranch_execnz .LBB287_444
.LBB287_68:
	s_or_b32 exec_lo, exec_lo, s7
	s_and_saveexec_b32 s7, s6
	s_cbranch_execz .LBB287_70
.LBB287_69:
	v_and_b32_e32 v0, 7, v64
	v_lshrrev_b16 v17, 3, v64
	v_lshlrev_b32_e32 v19, 24, v64
	s_delay_alu instid0(VALU_DEP_3) | instskip(NEXT) | instid1(VALU_DEP_1)
	v_clz_i32_u32_e32 v16, v0
	v_min_u32_e32 v16, 32, v16
	s_delay_alu instid0(VALU_DEP_4) | instskip(NEXT) | instid1(VALU_DEP_2)
	v_and_b32_e32 v17, 15, v17
	v_subrev_nc_u32_e32 v18, 28, v16
	v_sub_nc_u32_e32 v16, 29, v16
	s_delay_alu instid0(VALU_DEP_3) | instskip(NEXT) | instid1(VALU_DEP_3)
	v_cmp_eq_u32_e64 s1, 0, v17
	v_lshlrev_b32_e32 v18, v18, v64
	s_delay_alu instid0(VALU_DEP_1) | instskip(SKIP_1) | instid1(VALU_DEP_2)
	v_dual_cndmask_b32 v16, v17, v16, s1 :: v_dual_bitop2_b32 v18, 7, v18 bitop3:0x40
	v_and_b32_e32 v17, 0x80000000, v19
	v_cndmask_b32_e64 v0, v0, v18, s1
	s_delay_alu instid0(VALU_DEP_3) | instskip(NEXT) | instid1(VALU_DEP_2)
	v_lshl_add_u32 v16, v16, 23, 0x3b800000
	v_lshlrev_b32_e32 v0, 20, v0
	s_delay_alu instid0(VALU_DEP_1)
	v_or3_b32 v0, v17, v16, v0
.LBB287_70:
	s_or_b32 exec_lo, exec_lo, s7
	s_wait_loadcnt_dscnt 0x0
	v_and_b32_e32 v17, 0xff, v11
	s_mov_b32 s6, 0
	s_mov_b32 s7, exec_lo
	s_delay_alu instid0(VALU_DEP_1)
	v_cmpx_lt_i16_e32 0x7f, v17
	s_xor_b32 s7, exec_lo, s7
	s_cbranch_execnz .LBB287_445
; %bb.71:
	s_or_saveexec_b32 s7, s7
	v_mov_b32_e32 v16, 0x7f800001
	s_xor_b32 exec_lo, exec_lo, s7
	s_cbranch_execnz .LBB287_448
.LBB287_72:
	s_or_b32 exec_lo, exec_lo, s7
	s_and_saveexec_b32 s7, s6
	s_cbranch_execz .LBB287_74
.LBB287_73:
	v_and_b32_e32 v16, 7, v11
	v_lshrrev_b16 v18, 3, v11
	s_delay_alu instid0(VALU_DEP_2) | instskip(NEXT) | instid1(VALU_DEP_1)
	v_clz_i32_u32_e32 v17, v16
	v_min_u32_e32 v17, 32, v17
	s_delay_alu instid0(VALU_DEP_3) | instskip(NEXT) | instid1(VALU_DEP_2)
	v_and_b32_e32 v18, 15, v18
	v_subrev_nc_u32_e32 v19, 28, v17
	v_sub_nc_u32_e32 v17, 29, v17
	s_delay_alu instid0(VALU_DEP_3) | instskip(NEXT) | instid1(VALU_DEP_1)
	v_cmp_eq_u32_e64 s1, 0, v18
	v_dual_lshlrev_b32 v19, v19, v11 :: v_dual_cndmask_b32 v17, v18, v17, s1
	s_delay_alu instid0(VALU_DEP_1) | instskip(NEXT) | instid1(VALU_DEP_2)
	v_and_b32_e32 v19, 7, v19
	v_lshl_add_u32 v17, v17, 23, 0x3b800000
	s_delay_alu instid0(VALU_DEP_2) | instskip(NEXT) | instid1(VALU_DEP_1)
	v_cndmask_b32_e64 v16, v16, v19, s1
	v_dual_lshlrev_b32 v11, 24, v11 :: v_dual_lshlrev_b32 v16, 20, v16
	s_delay_alu instid0(VALU_DEP_1) | instskip(NEXT) | instid1(VALU_DEP_1)
	v_and_b32_e32 v11, 0x80000000, v11
	v_or3_b32 v16, v11, v17, v16
.LBB287_74:
	s_or_b32 exec_lo, exec_lo, s7
	s_delay_alu instid0(VALU_DEP_1) | instskip(SKIP_2) | instid1(SALU_CYCLE_1)
	v_cmp_eq_f32_e64 s1, v0, v16
	s_and_not1_b32 s4, s4, exec_lo
	s_and_b32 s1, s1, exec_lo
	s_or_b32 s4, s4, s1
.LBB287_75:
	s_or_b32 exec_lo, exec_lo, s5
	s_delay_alu instid0(VALU_DEP_1) | instskip(NEXT) | instid1(VALU_DEP_1)
	v_cndmask_b32_e64 v0, 0, 1, s4
	v_lshlrev_b16 v0, 8, v0
	s_delay_alu instid0(VALU_DEP_1) | instskip(NEXT) | instid1(VALU_DEP_1)
	v_bitop3_b16 v0, v2, v0, 0xff bitop3:0xec
	v_and_b32_e32 v0, 0xffff, v0
	s_delay_alu instid0(VALU_DEP_1)
	v_and_or_b32 v2, 0xffff0000, v2, v0
.LBB287_76:
	s_or_b32 exec_lo, exec_lo, s3
	v_add_nc_u32_e32 v0, 0x200, v6
	s_mov_b32 s3, exec_lo
	s_delay_alu instid0(VALU_DEP_1)
	v_cmpx_lt_i32_e64 v0, v7
	s_cbranch_execz .LBB287_98
; %bb.77:
                                        ; implicit-def: $sgpr4
	s_and_saveexec_b32 s1, s0
	s_delay_alu instid0(SALU_CYCLE_1)
	s_xor_b32 s5, exec_lo, s1
	s_cbranch_execz .LBB287_87
; %bb.78:
	s_wait_loadcnt_dscnt 0x0
	v_and_b32_e32 v11, 0xff, v55
	s_mov_b32 s4, 0
	s_mov_b32 s6, exec_lo
	s_delay_alu instid0(VALU_DEP_1)
	v_cmpx_lt_i16_e32 0x7f, v11
	s_xor_b32 s6, exec_lo, s6
	s_cbranch_execnz .LBB287_449
; %bb.79:
	s_or_saveexec_b32 s6, s6
	v_mov_b32_e32 v0, 0x7f800001
	s_xor_b32 exec_lo, exec_lo, s6
	s_cbranch_execnz .LBB287_452
.LBB287_80:
	s_or_b32 exec_lo, exec_lo, s6
	s_and_saveexec_b32 s6, s4
	s_cbranch_execz .LBB287_82
.LBB287_81:
	v_and_b32_e32 v0, 7, v55
	v_lshrrev_b16 v16, 3, v55
	v_lshlrev_b32_e32 v18, 24, v55
	s_delay_alu instid0(VALU_DEP_3) | instskip(NEXT) | instid1(VALU_DEP_1)
	v_clz_i32_u32_e32 v11, v0
	v_min_u32_e32 v11, 32, v11
	s_delay_alu instid0(VALU_DEP_4) | instskip(NEXT) | instid1(VALU_DEP_2)
	v_and_b32_e32 v16, 15, v16
	v_subrev_nc_u32_e32 v17, 28, v11
	v_sub_nc_u32_e32 v11, 29, v11
	s_delay_alu instid0(VALU_DEP_3) | instskip(NEXT) | instid1(VALU_DEP_3)
	v_cmp_eq_u32_e64 s1, 0, v16
	v_lshlrev_b32_e32 v17, v17, v55
	s_delay_alu instid0(VALU_DEP_1) | instskip(NEXT) | instid1(VALU_DEP_1)
	v_and_b32_e32 v17, 7, v17
	v_cndmask_b32_e64 v0, v0, v17, s1
	v_cndmask_b32_e64 v11, v16, v11, s1
	v_and_b32_e32 v16, 0x80000000, v18
	s_delay_alu instid0(VALU_DEP_3) | instskip(NEXT) | instid1(VALU_DEP_3)
	v_lshlrev_b32_e32 v0, 20, v0
	v_lshl_add_u32 v11, v11, 23, 0x3b800000
	s_delay_alu instid0(VALU_DEP_1)
	v_or3_b32 v0, v16, v11, v0
.LBB287_82:
	s_or_b32 exec_lo, exec_lo, s6
	v_and_b32_e32 v16, 0xff, v15
	s_mov_b32 s4, 0
	s_mov_b32 s6, exec_lo
	s_delay_alu instid0(VALU_DEP_1)
	v_cmpx_lt_i16_e32 0x7f, v16
	s_xor_b32 s6, exec_lo, s6
	s_cbranch_execnz .LBB287_453
; %bb.83:
	s_or_saveexec_b32 s6, s6
	v_mov_b32_e32 v11, 0x7f800001
	s_xor_b32 exec_lo, exec_lo, s6
	s_cbranch_execnz .LBB287_456
.LBB287_84:
	s_or_b32 exec_lo, exec_lo, s6
	s_and_saveexec_b32 s6, s4
	s_cbranch_execz .LBB287_86
.LBB287_85:
	v_and_b32_e32 v11, 7, v15
	v_lshrrev_b16 v17, 3, v15
	s_delay_alu instid0(VALU_DEP_2) | instskip(NEXT) | instid1(VALU_DEP_1)
	v_clz_i32_u32_e32 v16, v11
	v_min_u32_e32 v16, 32, v16
	s_delay_alu instid0(VALU_DEP_3) | instskip(NEXT) | instid1(VALU_DEP_2)
	v_and_b32_e32 v17, 15, v17
	v_subrev_nc_u32_e32 v18, 28, v16
	v_sub_nc_u32_e32 v16, 29, v16
	s_delay_alu instid0(VALU_DEP_3) | instskip(NEXT) | instid1(VALU_DEP_3)
	v_cmp_eq_u32_e64 s1, 0, v17
	v_dual_lshlrev_b32 v18, v18, v15 :: v_dual_lshlrev_b32 v15, 24, v15
	s_delay_alu instid0(VALU_DEP_1) | instskip(NEXT) | instid1(VALU_DEP_2)
	v_dual_cndmask_b32 v16, v17, v16, s1 :: v_dual_bitop2_b32 v18, 7, v18 bitop3:0x40
	v_and_b32_e32 v15, 0x80000000, v15
	s_delay_alu instid0(VALU_DEP_2) | instskip(NEXT) | instid1(VALU_DEP_3)
	v_cndmask_b32_e64 v11, v11, v18, s1
	v_lshl_add_u32 v16, v16, 23, 0x3b800000
	s_delay_alu instid0(VALU_DEP_2) | instskip(NEXT) | instid1(VALU_DEP_1)
	v_lshlrev_b32_e32 v11, 20, v11
	v_or3_b32 v11, v15, v16, v11
.LBB287_86:
	s_or_b32 exec_lo, exec_lo, s6
	s_delay_alu instid0(VALU_DEP_1)
	v_cmp_neq_f32_e64 s4, v0, v11
                                        ; implicit-def: $vgpr15
                                        ; implicit-def: $vgpr55
.LBB287_87:
	s_and_not1_saveexec_b32 s5, s5
	s_cbranch_execz .LBB287_97
; %bb.88:
	s_wait_loadcnt_dscnt 0x0
	v_and_b32_e32 v11, 0xff, v55
	s_mov_b32 s6, 0
	s_mov_b32 s7, exec_lo
	s_delay_alu instid0(VALU_DEP_1)
	v_cmpx_lt_i16_e32 0x7f, v11
	s_xor_b32 s7, exec_lo, s7
	s_cbranch_execnz .LBB287_457
; %bb.89:
	s_or_saveexec_b32 s7, s7
	v_mov_b32_e32 v0, 0x7f800001
	s_xor_b32 exec_lo, exec_lo, s7
	s_cbranch_execnz .LBB287_460
.LBB287_90:
	s_or_b32 exec_lo, exec_lo, s7
	s_and_saveexec_b32 s7, s6
	s_cbranch_execz .LBB287_92
.LBB287_91:
	v_and_b32_e32 v0, 7, v55
	v_lshrrev_b16 v16, 3, v55
	v_lshlrev_b32_e32 v18, 24, v55
	s_delay_alu instid0(VALU_DEP_3) | instskip(NEXT) | instid1(VALU_DEP_1)
	v_clz_i32_u32_e32 v11, v0
	v_min_u32_e32 v11, 32, v11
	s_delay_alu instid0(VALU_DEP_4) | instskip(NEXT) | instid1(VALU_DEP_2)
	v_and_b32_e32 v16, 15, v16
	v_subrev_nc_u32_e32 v17, 28, v11
	v_sub_nc_u32_e32 v11, 29, v11
	s_delay_alu instid0(VALU_DEP_3) | instskip(NEXT) | instid1(VALU_DEP_3)
	v_cmp_eq_u32_e64 s1, 0, v16
	v_lshlrev_b32_e32 v17, v17, v55
	s_delay_alu instid0(VALU_DEP_1) | instskip(NEXT) | instid1(VALU_DEP_1)
	v_and_b32_e32 v17, 7, v17
	v_cndmask_b32_e64 v0, v0, v17, s1
	v_cndmask_b32_e64 v11, v16, v11, s1
	v_and_b32_e32 v16, 0x80000000, v18
	s_delay_alu instid0(VALU_DEP_3) | instskip(NEXT) | instid1(VALU_DEP_3)
	v_lshlrev_b32_e32 v0, 20, v0
	v_lshl_add_u32 v11, v11, 23, 0x3b800000
	s_delay_alu instid0(VALU_DEP_1)
	v_or3_b32 v0, v16, v11, v0
.LBB287_92:
	s_or_b32 exec_lo, exec_lo, s7
	v_and_b32_e32 v16, 0xff, v15
	s_mov_b32 s6, 0
	s_mov_b32 s7, exec_lo
	s_delay_alu instid0(VALU_DEP_1)
	v_cmpx_lt_i16_e32 0x7f, v16
	s_xor_b32 s7, exec_lo, s7
	s_cbranch_execnz .LBB287_461
; %bb.93:
	s_or_saveexec_b32 s7, s7
	v_mov_b32_e32 v11, 0x7f800001
	s_xor_b32 exec_lo, exec_lo, s7
	s_cbranch_execnz .LBB287_464
.LBB287_94:
	s_or_b32 exec_lo, exec_lo, s7
	s_and_saveexec_b32 s7, s6
	s_cbranch_execz .LBB287_96
.LBB287_95:
	v_and_b32_e32 v11, 7, v15
	v_lshrrev_b16 v17, 3, v15
	s_delay_alu instid0(VALU_DEP_2) | instskip(NEXT) | instid1(VALU_DEP_1)
	v_clz_i32_u32_e32 v16, v11
	v_min_u32_e32 v16, 32, v16
	s_delay_alu instid0(VALU_DEP_3) | instskip(NEXT) | instid1(VALU_DEP_2)
	v_and_b32_e32 v17, 15, v17
	v_subrev_nc_u32_e32 v18, 28, v16
	v_sub_nc_u32_e32 v16, 29, v16
	s_delay_alu instid0(VALU_DEP_3) | instskip(NEXT) | instid1(VALU_DEP_3)
	v_cmp_eq_u32_e64 s1, 0, v17
	v_dual_lshlrev_b32 v18, v18, v15 :: v_dual_lshlrev_b32 v15, 24, v15
	s_delay_alu instid0(VALU_DEP_1) | instskip(NEXT) | instid1(VALU_DEP_2)
	v_dual_cndmask_b32 v16, v17, v16, s1 :: v_dual_bitop2_b32 v18, 7, v18 bitop3:0x40
	v_and_b32_e32 v15, 0x80000000, v15
	s_delay_alu instid0(VALU_DEP_2) | instskip(NEXT) | instid1(VALU_DEP_3)
	v_cndmask_b32_e64 v11, v11, v18, s1
	v_lshl_add_u32 v16, v16, 23, 0x3b800000
	s_delay_alu instid0(VALU_DEP_2) | instskip(NEXT) | instid1(VALU_DEP_1)
	v_lshlrev_b32_e32 v11, 20, v11
	v_or3_b32 v11, v15, v16, v11
.LBB287_96:
	s_or_b32 exec_lo, exec_lo, s7
	s_delay_alu instid0(VALU_DEP_1) | instskip(SKIP_2) | instid1(SALU_CYCLE_1)
	v_cmp_eq_f32_e64 s1, v0, v11
	s_and_not1_b32 s4, s4, exec_lo
	s_and_b32 s1, s1, exec_lo
	s_or_b32 s4, s4, s1
.LBB287_97:
	s_or_b32 exec_lo, exec_lo, s5
	v_lshrrev_b32_e32 v0, 16, v2
	s_wait_loadcnt_dscnt 0x0
	v_cndmask_b32_e64 v11, 0, 1, s4
	s_delay_alu instid0(VALU_DEP_1) | instskip(NEXT) | instid1(VALU_DEP_1)
	v_bitop3_b16 v0, v11, v0, 0xff00 bitop3:0xf8
	v_lshlrev_b32_e32 v0, 16, v0
	s_delay_alu instid0(VALU_DEP_1)
	v_and_or_b32 v2, 0xffff, v2, v0
.LBB287_98:
	s_or_b32 exec_lo, exec_lo, s3
	v_add_nc_u32_e32 v0, 0x300, v6
	s_mov_b32 s3, exec_lo
	s_delay_alu instid0(VALU_DEP_1)
	v_cmpx_lt_i32_e64 v0, v7
	s_cbranch_execz .LBB287_120
; %bb.99:
                                        ; implicit-def: $sgpr4
	s_and_saveexec_b32 s1, s0
	s_delay_alu instid0(SALU_CYCLE_1)
	s_xor_b32 s5, exec_lo, s1
	s_cbranch_execz .LBB287_109
; %bb.100:
	s_wait_loadcnt_dscnt 0x0
	v_and_b32_e32 v11, 0xff, v54
	s_mov_b32 s4, 0
	s_mov_b32 s6, exec_lo
	s_delay_alu instid0(VALU_DEP_1)
	v_cmpx_lt_i16_e32 0x7f, v11
	s_xor_b32 s6, exec_lo, s6
	s_cbranch_execnz .LBB287_465
; %bb.101:
	s_or_saveexec_b32 s6, s6
	v_mov_b32_e32 v0, 0x7f800001
	s_xor_b32 exec_lo, exec_lo, s6
	s_cbranch_execnz .LBB287_468
.LBB287_102:
	s_or_b32 exec_lo, exec_lo, s6
	s_and_saveexec_b32 s6, s4
	s_cbranch_execz .LBB287_104
.LBB287_103:
	v_and_b32_e32 v0, 7, v54
	v_lshrrev_b16 v15, 3, v54
	v_lshlrev_b32_e32 v17, 24, v54
	s_delay_alu instid0(VALU_DEP_3) | instskip(NEXT) | instid1(VALU_DEP_3)
	v_clz_i32_u32_e32 v11, v0
	v_and_b32_e32 v15, 15, v15
	s_delay_alu instid0(VALU_DEP_2) | instskip(NEXT) | instid1(VALU_DEP_2)
	v_min_u32_e32 v11, 32, v11
	v_cmp_eq_u32_e64 s1, 0, v15
	s_delay_alu instid0(VALU_DEP_2) | instskip(NEXT) | instid1(VALU_DEP_1)
	v_subrev_nc_u32_e32 v16, 28, v11
	v_dual_lshlrev_b32 v16, v16, v54 :: v_dual_sub_nc_u32 v11, 29, v11
	s_delay_alu instid0(VALU_DEP_1) | instskip(SKIP_1) | instid1(VALU_DEP_2)
	v_dual_cndmask_b32 v11, v15, v11, s1 :: v_dual_bitop2_b32 v16, 7, v16 bitop3:0x40
	v_and_b32_e32 v15, 0x80000000, v17
	v_cndmask_b32_e64 v0, v0, v16, s1
	s_delay_alu instid0(VALU_DEP_3) | instskip(NEXT) | instid1(VALU_DEP_2)
	v_lshl_add_u32 v11, v11, 23, 0x3b800000
	v_lshlrev_b32_e32 v0, 20, v0
	s_delay_alu instid0(VALU_DEP_1)
	v_or3_b32 v0, v15, v11, v0
.LBB287_104:
	s_or_b32 exec_lo, exec_lo, s6
	v_and_b32_e32 v15, 0xff, v53
	s_mov_b32 s4, 0
	s_mov_b32 s6, exec_lo
	s_delay_alu instid0(VALU_DEP_1)
	v_cmpx_lt_i16_e32 0x7f, v15
	s_xor_b32 s6, exec_lo, s6
	s_cbranch_execnz .LBB287_469
; %bb.105:
	s_or_saveexec_b32 s6, s6
	v_mov_b32_e32 v11, 0x7f800001
	s_xor_b32 exec_lo, exec_lo, s6
	s_cbranch_execnz .LBB287_472
.LBB287_106:
	s_or_b32 exec_lo, exec_lo, s6
	s_and_saveexec_b32 s6, s4
	s_cbranch_execz .LBB287_108
.LBB287_107:
	v_and_b32_e32 v11, 7, v53
	v_lshrrev_b16 v16, 3, v53
	s_delay_alu instid0(VALU_DEP_2) | instskip(NEXT) | instid1(VALU_DEP_1)
	v_clz_i32_u32_e32 v15, v11
	v_min_u32_e32 v15, 32, v15
	s_delay_alu instid0(VALU_DEP_3) | instskip(NEXT) | instid1(VALU_DEP_2)
	v_and_b32_e32 v16, 15, v16
	v_subrev_nc_u32_e32 v17, 28, v15
	v_sub_nc_u32_e32 v15, 29, v15
	s_delay_alu instid0(VALU_DEP_3) | instskip(NEXT) | instid1(VALU_DEP_1)
	v_cmp_eq_u32_e64 s1, 0, v16
	v_dual_lshlrev_b32 v17, v17, v53 :: v_dual_cndmask_b32 v15, v16, v15, s1
	s_delay_alu instid0(VALU_DEP_1) | instskip(NEXT) | instid1(VALU_DEP_2)
	v_and_b32_e32 v17, 7, v17
	v_lshl_add_u32 v15, v15, 23, 0x3b800000
	s_delay_alu instid0(VALU_DEP_2) | instskip(NEXT) | instid1(VALU_DEP_1)
	v_cndmask_b32_e64 v11, v11, v17, s1
	v_dual_lshlrev_b32 v18, 24, v53 :: v_dual_lshlrev_b32 v11, 20, v11
	s_delay_alu instid0(VALU_DEP_1) | instskip(NEXT) | instid1(VALU_DEP_1)
	v_and_b32_e32 v16, 0x80000000, v18
	v_or3_b32 v11, v16, v15, v11
.LBB287_108:
	s_or_b32 exec_lo, exec_lo, s6
	s_delay_alu instid0(VALU_DEP_1)
	v_cmp_neq_f32_e64 s4, v0, v11
                                        ; implicit-def: $vgpr53
                                        ; implicit-def: $vgpr54
.LBB287_109:
	s_and_not1_saveexec_b32 s5, s5
	s_cbranch_execz .LBB287_119
; %bb.110:
	s_wait_loadcnt_dscnt 0x0
	v_and_b32_e32 v11, 0xff, v54
	s_mov_b32 s6, 0
	s_mov_b32 s7, exec_lo
	s_delay_alu instid0(VALU_DEP_1)
	v_cmpx_lt_i16_e32 0x7f, v11
	s_xor_b32 s7, exec_lo, s7
	s_cbranch_execnz .LBB287_473
; %bb.111:
	s_or_saveexec_b32 s7, s7
	v_mov_b32_e32 v0, 0x7f800001
	s_xor_b32 exec_lo, exec_lo, s7
	s_cbranch_execnz .LBB287_476
.LBB287_112:
	s_or_b32 exec_lo, exec_lo, s7
	s_and_saveexec_b32 s7, s6
	s_cbranch_execz .LBB287_114
.LBB287_113:
	v_and_b32_e32 v0, 7, v54
	v_lshrrev_b16 v15, 3, v54
	v_lshlrev_b32_e32 v17, 24, v54
	s_delay_alu instid0(VALU_DEP_3) | instskip(NEXT) | instid1(VALU_DEP_3)
	v_clz_i32_u32_e32 v11, v0
	v_and_b32_e32 v15, 15, v15
	s_delay_alu instid0(VALU_DEP_2) | instskip(NEXT) | instid1(VALU_DEP_2)
	v_min_u32_e32 v11, 32, v11
	v_cmp_eq_u32_e64 s1, 0, v15
	s_delay_alu instid0(VALU_DEP_2) | instskip(NEXT) | instid1(VALU_DEP_1)
	v_subrev_nc_u32_e32 v16, 28, v11
	v_dual_lshlrev_b32 v16, v16, v54 :: v_dual_sub_nc_u32 v11, 29, v11
	s_delay_alu instid0(VALU_DEP_1) | instskip(SKIP_1) | instid1(VALU_DEP_2)
	v_dual_cndmask_b32 v11, v15, v11, s1 :: v_dual_bitop2_b32 v16, 7, v16 bitop3:0x40
	v_and_b32_e32 v15, 0x80000000, v17
	v_cndmask_b32_e64 v0, v0, v16, s1
	s_delay_alu instid0(VALU_DEP_3) | instskip(NEXT) | instid1(VALU_DEP_2)
	v_lshl_add_u32 v11, v11, 23, 0x3b800000
	v_lshlrev_b32_e32 v0, 20, v0
	s_delay_alu instid0(VALU_DEP_1)
	v_or3_b32 v0, v15, v11, v0
.LBB287_114:
	s_or_b32 exec_lo, exec_lo, s7
	v_and_b32_e32 v15, 0xff, v53
	s_mov_b32 s6, 0
	s_mov_b32 s7, exec_lo
	s_delay_alu instid0(VALU_DEP_1)
	v_cmpx_lt_i16_e32 0x7f, v15
	s_xor_b32 s7, exec_lo, s7
	s_cbranch_execnz .LBB287_477
; %bb.115:
	s_or_saveexec_b32 s7, s7
	v_mov_b32_e32 v11, 0x7f800001
	s_xor_b32 exec_lo, exec_lo, s7
	s_cbranch_execnz .LBB287_480
.LBB287_116:
	s_or_b32 exec_lo, exec_lo, s7
	s_and_saveexec_b32 s7, s6
	s_cbranch_execz .LBB287_118
.LBB287_117:
	v_and_b32_e32 v11, 7, v53
	v_lshrrev_b16 v16, 3, v53
	s_delay_alu instid0(VALU_DEP_2) | instskip(NEXT) | instid1(VALU_DEP_1)
	v_clz_i32_u32_e32 v15, v11
	v_min_u32_e32 v15, 32, v15
	s_delay_alu instid0(VALU_DEP_3) | instskip(NEXT) | instid1(VALU_DEP_2)
	v_and_b32_e32 v16, 15, v16
	v_subrev_nc_u32_e32 v17, 28, v15
	v_sub_nc_u32_e32 v15, 29, v15
	s_delay_alu instid0(VALU_DEP_3) | instskip(NEXT) | instid1(VALU_DEP_1)
	v_cmp_eq_u32_e64 s1, 0, v16
	v_dual_lshlrev_b32 v17, v17, v53 :: v_dual_cndmask_b32 v15, v16, v15, s1
	s_delay_alu instid0(VALU_DEP_1) | instskip(NEXT) | instid1(VALU_DEP_2)
	v_and_b32_e32 v17, 7, v17
	v_lshl_add_u32 v15, v15, 23, 0x3b800000
	s_delay_alu instid0(VALU_DEP_2) | instskip(NEXT) | instid1(VALU_DEP_1)
	v_cndmask_b32_e64 v11, v11, v17, s1
	v_dual_lshlrev_b32 v18, 24, v53 :: v_dual_lshlrev_b32 v11, 20, v11
	s_delay_alu instid0(VALU_DEP_1) | instskip(NEXT) | instid1(VALU_DEP_1)
	v_and_b32_e32 v16, 0x80000000, v18
	v_or3_b32 v11, v16, v15, v11
.LBB287_118:
	s_or_b32 exec_lo, exec_lo, s7
	s_delay_alu instid0(VALU_DEP_1) | instskip(SKIP_2) | instid1(SALU_CYCLE_1)
	v_cmp_eq_f32_e64 s1, v0, v11
	s_and_not1_b32 s4, s4, exec_lo
	s_and_b32 s1, s1, exec_lo
	s_or_b32 s4, s4, s1
.LBB287_119:
	s_or_b32 exec_lo, exec_lo, s5
	s_delay_alu instid0(VALU_DEP_1) | instskip(SKIP_2) | instid1(VALU_DEP_2)
	v_cndmask_b32_e64 v0, 0, 1, s4
	s_wait_loadcnt_dscnt 0x0
	v_lshrrev_b32_e32 v11, 16, v2
	v_lshlrev_b16 v0, 8, v0
	s_delay_alu instid0(VALU_DEP_1) | instskip(NEXT) | instid1(VALU_DEP_1)
	v_bitop3_b16 v0, v11, v0, 0xff bitop3:0xec
	v_lshlrev_b32_e32 v0, 16, v0
	s_delay_alu instid0(VALU_DEP_1)
	v_and_or_b32 v2, 0xffff, v2, v0
.LBB287_120:
	s_or_b32 exec_lo, exec_lo, s3
	v_or_b32_e32 v0, 0x400, v6
	s_mov_b32 s3, exec_lo
	s_delay_alu instid0(VALU_DEP_1)
	v_cmpx_lt_i32_e64 v0, v7
	s_cbranch_execz .LBB287_142
; %bb.121:
                                        ; implicit-def: $sgpr4
	s_and_saveexec_b32 s1, s0
	s_delay_alu instid0(SALU_CYCLE_1)
	s_xor_b32 s5, exec_lo, s1
	s_cbranch_execz .LBB287_131
; %bb.122:
	s_wait_loadcnt_dscnt 0x0
	v_and_b32_e32 v11, 0xff, v52
	s_mov_b32 s4, 0
	s_mov_b32 s6, exec_lo
	s_delay_alu instid0(VALU_DEP_1)
	v_cmpx_lt_i16_e32 0x7f, v11
	s_xor_b32 s6, exec_lo, s6
	s_cbranch_execnz .LBB287_481
; %bb.123:
	s_or_saveexec_b32 s6, s6
	v_mov_b32_e32 v0, 0x7f800001
	s_xor_b32 exec_lo, exec_lo, s6
	s_cbranch_execnz .LBB287_484
.LBB287_124:
	s_or_b32 exec_lo, exec_lo, s6
	s_and_saveexec_b32 s6, s4
	s_cbranch_execz .LBB287_126
.LBB287_125:
	v_and_b32_e32 v0, 7, v52
	v_lshrrev_b16 v15, 3, v52
	v_lshlrev_b32_e32 v17, 24, v52
	s_delay_alu instid0(VALU_DEP_3) | instskip(NEXT) | instid1(VALU_DEP_3)
	v_clz_i32_u32_e32 v11, v0
	v_and_b32_e32 v15, 15, v15
	s_delay_alu instid0(VALU_DEP_2) | instskip(NEXT) | instid1(VALU_DEP_2)
	v_min_u32_e32 v11, 32, v11
	v_cmp_eq_u32_e64 s1, 0, v15
	s_delay_alu instid0(VALU_DEP_2) | instskip(NEXT) | instid1(VALU_DEP_1)
	v_subrev_nc_u32_e32 v16, 28, v11
	v_dual_lshlrev_b32 v16, v16, v52 :: v_dual_sub_nc_u32 v11, 29, v11
	s_delay_alu instid0(VALU_DEP_1) | instskip(SKIP_1) | instid1(VALU_DEP_2)
	v_dual_cndmask_b32 v11, v15, v11, s1 :: v_dual_bitop2_b32 v16, 7, v16 bitop3:0x40
	v_and_b32_e32 v15, 0x80000000, v17
	v_cndmask_b32_e64 v0, v0, v16, s1
	s_delay_alu instid0(VALU_DEP_3) | instskip(NEXT) | instid1(VALU_DEP_2)
	v_lshl_add_u32 v11, v11, 23, 0x3b800000
	v_lshlrev_b32_e32 v0, 20, v0
	s_delay_alu instid0(VALU_DEP_1)
	v_or3_b32 v0, v15, v11, v0
.LBB287_126:
	s_or_b32 exec_lo, exec_lo, s6
	v_and_b32_e32 v15, 0xff, v51
	s_mov_b32 s4, 0
	s_mov_b32 s6, exec_lo
	s_delay_alu instid0(VALU_DEP_1)
	v_cmpx_lt_i16_e32 0x7f, v15
	s_xor_b32 s6, exec_lo, s6
	s_cbranch_execnz .LBB287_485
; %bb.127:
	s_or_saveexec_b32 s6, s6
	v_mov_b32_e32 v11, 0x7f800001
	s_xor_b32 exec_lo, exec_lo, s6
	s_cbranch_execnz .LBB287_488
.LBB287_128:
	s_or_b32 exec_lo, exec_lo, s6
	s_and_saveexec_b32 s6, s4
	s_cbranch_execz .LBB287_130
.LBB287_129:
	v_and_b32_e32 v11, 7, v51
	v_lshrrev_b16 v16, 3, v51
	v_lshlrev_b32_e32 v18, 24, v51
	s_delay_alu instid0(VALU_DEP_3) | instskip(NEXT) | instid1(VALU_DEP_1)
	v_clz_i32_u32_e32 v15, v11
	v_min_u32_e32 v15, 32, v15
	s_delay_alu instid0(VALU_DEP_4) | instskip(NEXT) | instid1(VALU_DEP_2)
	v_and_b32_e32 v16, 15, v16
	v_subrev_nc_u32_e32 v17, 28, v15
	v_sub_nc_u32_e32 v15, 29, v15
	s_delay_alu instid0(VALU_DEP_3) | instskip(NEXT) | instid1(VALU_DEP_3)
	v_cmp_eq_u32_e64 s1, 0, v16
	v_lshlrev_b32_e32 v17, v17, v51
	s_delay_alu instid0(VALU_DEP_1) | instskip(SKIP_1) | instid1(VALU_DEP_2)
	v_dual_cndmask_b32 v15, v16, v15, s1 :: v_dual_bitop2_b32 v17, 7, v17 bitop3:0x40
	v_and_b32_e32 v16, 0x80000000, v18
	v_cndmask_b32_e64 v11, v11, v17, s1
	s_delay_alu instid0(VALU_DEP_3) | instskip(NEXT) | instid1(VALU_DEP_2)
	v_lshl_add_u32 v15, v15, 23, 0x3b800000
	v_lshlrev_b32_e32 v11, 20, v11
	s_delay_alu instid0(VALU_DEP_1)
	v_or3_b32 v11, v16, v15, v11
.LBB287_130:
	s_or_b32 exec_lo, exec_lo, s6
	s_delay_alu instid0(VALU_DEP_1)
	v_cmp_neq_f32_e64 s4, v0, v11
                                        ; implicit-def: $vgpr51
                                        ; implicit-def: $vgpr52
.LBB287_131:
	s_and_not1_saveexec_b32 s5, s5
	s_cbranch_execz .LBB287_141
; %bb.132:
	s_wait_loadcnt_dscnt 0x0
	v_and_b32_e32 v11, 0xff, v52
	s_mov_b32 s6, 0
	s_mov_b32 s7, exec_lo
	s_delay_alu instid0(VALU_DEP_1)
	v_cmpx_lt_i16_e32 0x7f, v11
	s_xor_b32 s7, exec_lo, s7
	s_cbranch_execnz .LBB287_489
; %bb.133:
	s_or_saveexec_b32 s7, s7
	v_mov_b32_e32 v0, 0x7f800001
	s_xor_b32 exec_lo, exec_lo, s7
	s_cbranch_execnz .LBB287_492
.LBB287_134:
	s_or_b32 exec_lo, exec_lo, s7
	s_and_saveexec_b32 s7, s6
	s_cbranch_execz .LBB287_136
.LBB287_135:
	v_and_b32_e32 v0, 7, v52
	v_lshrrev_b16 v15, 3, v52
	v_lshlrev_b32_e32 v17, 24, v52
	s_delay_alu instid0(VALU_DEP_3) | instskip(NEXT) | instid1(VALU_DEP_3)
	v_clz_i32_u32_e32 v11, v0
	v_and_b32_e32 v15, 15, v15
	s_delay_alu instid0(VALU_DEP_2) | instskip(NEXT) | instid1(VALU_DEP_2)
	v_min_u32_e32 v11, 32, v11
	v_cmp_eq_u32_e64 s1, 0, v15
	s_delay_alu instid0(VALU_DEP_2) | instskip(NEXT) | instid1(VALU_DEP_1)
	v_subrev_nc_u32_e32 v16, 28, v11
	v_dual_lshlrev_b32 v16, v16, v52 :: v_dual_sub_nc_u32 v11, 29, v11
	s_delay_alu instid0(VALU_DEP_1) | instskip(SKIP_1) | instid1(VALU_DEP_2)
	v_dual_cndmask_b32 v11, v15, v11, s1 :: v_dual_bitop2_b32 v16, 7, v16 bitop3:0x40
	v_and_b32_e32 v15, 0x80000000, v17
	v_cndmask_b32_e64 v0, v0, v16, s1
	s_delay_alu instid0(VALU_DEP_3) | instskip(NEXT) | instid1(VALU_DEP_2)
	v_lshl_add_u32 v11, v11, 23, 0x3b800000
	v_lshlrev_b32_e32 v0, 20, v0
	s_delay_alu instid0(VALU_DEP_1)
	v_or3_b32 v0, v15, v11, v0
.LBB287_136:
	s_or_b32 exec_lo, exec_lo, s7
	v_and_b32_e32 v15, 0xff, v51
	s_mov_b32 s6, 0
	s_mov_b32 s7, exec_lo
	s_delay_alu instid0(VALU_DEP_1)
	v_cmpx_lt_i16_e32 0x7f, v15
	s_xor_b32 s7, exec_lo, s7
	s_cbranch_execnz .LBB287_493
; %bb.137:
	s_or_saveexec_b32 s7, s7
	v_mov_b32_e32 v11, 0x7f800001
	s_xor_b32 exec_lo, exec_lo, s7
	s_cbranch_execnz .LBB287_496
.LBB287_138:
	s_or_b32 exec_lo, exec_lo, s7
	s_and_saveexec_b32 s7, s6
	s_cbranch_execz .LBB287_140
.LBB287_139:
	v_and_b32_e32 v11, 7, v51
	v_lshrrev_b16 v16, 3, v51
	v_lshlrev_b32_e32 v18, 24, v51
	s_delay_alu instid0(VALU_DEP_3) | instskip(NEXT) | instid1(VALU_DEP_1)
	v_clz_i32_u32_e32 v15, v11
	v_min_u32_e32 v15, 32, v15
	s_delay_alu instid0(VALU_DEP_4) | instskip(NEXT) | instid1(VALU_DEP_2)
	v_and_b32_e32 v16, 15, v16
	v_subrev_nc_u32_e32 v17, 28, v15
	v_sub_nc_u32_e32 v15, 29, v15
	s_delay_alu instid0(VALU_DEP_3) | instskip(NEXT) | instid1(VALU_DEP_3)
	v_cmp_eq_u32_e64 s1, 0, v16
	v_lshlrev_b32_e32 v17, v17, v51
	s_delay_alu instid0(VALU_DEP_1) | instskip(SKIP_1) | instid1(VALU_DEP_2)
	v_dual_cndmask_b32 v15, v16, v15, s1 :: v_dual_bitop2_b32 v17, 7, v17 bitop3:0x40
	v_and_b32_e32 v16, 0x80000000, v18
	v_cndmask_b32_e64 v11, v11, v17, s1
	s_delay_alu instid0(VALU_DEP_3) | instskip(NEXT) | instid1(VALU_DEP_2)
	v_lshl_add_u32 v15, v15, 23, 0x3b800000
	v_lshlrev_b32_e32 v11, 20, v11
	s_delay_alu instid0(VALU_DEP_1)
	v_or3_b32 v11, v16, v15, v11
.LBB287_140:
	s_or_b32 exec_lo, exec_lo, s7
	s_delay_alu instid0(VALU_DEP_1) | instskip(SKIP_2) | instid1(SALU_CYCLE_1)
	v_cmp_eq_f32_e64 s1, v0, v11
	s_and_not1_b32 s4, s4, exec_lo
	s_and_b32 s1, s1, exec_lo
	s_or_b32 s4, s4, s1
.LBB287_141:
	s_or_b32 exec_lo, exec_lo, s5
	s_delay_alu instid0(VALU_DEP_1) | instskip(NEXT) | instid1(VALU_DEP_1)
	v_cndmask_b32_e64 v0, 0, 1, s4
	v_bitop3_b16 v0, v0, v1, 0xff00 bitop3:0xf8
	s_delay_alu instid0(VALU_DEP_1) | instskip(NEXT) | instid1(VALU_DEP_1)
	v_and_b32_e32 v0, 0xffff, v0
	v_and_or_b32 v1, 0xffff0000, v1, v0
.LBB287_142:
	s_or_b32 exec_lo, exec_lo, s3
	v_add_nc_u32_e32 v0, 0x500, v6
	s_mov_b32 s3, exec_lo
	s_delay_alu instid0(VALU_DEP_1)
	v_cmpx_lt_i32_e64 v0, v7
	s_cbranch_execz .LBB287_164
; %bb.143:
                                        ; implicit-def: $sgpr4
	s_and_saveexec_b32 s1, s0
	s_delay_alu instid0(SALU_CYCLE_1)
	s_xor_b32 s5, exec_lo, s1
	s_cbranch_execz .LBB287_153
; %bb.144:
	s_wait_loadcnt_dscnt 0x0
	v_and_b32_e32 v11, 0xff, v50
	s_mov_b32 s4, 0
	s_mov_b32 s6, exec_lo
	s_delay_alu instid0(VALU_DEP_1)
	v_cmpx_lt_i16_e32 0x7f, v11
	s_xor_b32 s6, exec_lo, s6
	s_cbranch_execnz .LBB287_497
; %bb.145:
	s_or_saveexec_b32 s6, s6
	v_mov_b32_e32 v0, 0x7f800001
	s_xor_b32 exec_lo, exec_lo, s6
	s_cbranch_execnz .LBB287_500
.LBB287_146:
	s_or_b32 exec_lo, exec_lo, s6
	s_and_saveexec_b32 s6, s4
	s_cbranch_execz .LBB287_148
.LBB287_147:
	v_and_b32_e32 v0, 7, v50
	v_lshrrev_b16 v15, 3, v50
	v_lshlrev_b32_e32 v17, 24, v50
	s_delay_alu instid0(VALU_DEP_3) | instskip(NEXT) | instid1(VALU_DEP_3)
	v_clz_i32_u32_e32 v11, v0
	v_and_b32_e32 v15, 15, v15
	s_delay_alu instid0(VALU_DEP_2) | instskip(NEXT) | instid1(VALU_DEP_2)
	v_min_u32_e32 v11, 32, v11
	v_cmp_eq_u32_e64 s1, 0, v15
	s_delay_alu instid0(VALU_DEP_2) | instskip(NEXT) | instid1(VALU_DEP_1)
	v_subrev_nc_u32_e32 v16, 28, v11
	v_dual_lshlrev_b32 v16, v16, v50 :: v_dual_sub_nc_u32 v11, 29, v11
	s_delay_alu instid0(VALU_DEP_1) | instskip(SKIP_1) | instid1(VALU_DEP_2)
	v_dual_cndmask_b32 v11, v15, v11, s1 :: v_dual_bitop2_b32 v16, 7, v16 bitop3:0x40
	v_and_b32_e32 v15, 0x80000000, v17
	v_cndmask_b32_e64 v0, v0, v16, s1
	s_delay_alu instid0(VALU_DEP_3) | instskip(NEXT) | instid1(VALU_DEP_2)
	v_lshl_add_u32 v11, v11, 23, 0x3b800000
	v_lshlrev_b32_e32 v0, 20, v0
	s_delay_alu instid0(VALU_DEP_1)
	v_or3_b32 v0, v15, v11, v0
.LBB287_148:
	s_or_b32 exec_lo, exec_lo, s6
	v_and_b32_e32 v15, 0xff, v49
	s_mov_b32 s4, 0
	s_mov_b32 s6, exec_lo
	s_delay_alu instid0(VALU_DEP_1)
	v_cmpx_lt_i16_e32 0x7f, v15
	s_xor_b32 s6, exec_lo, s6
	s_cbranch_execnz .LBB287_501
; %bb.149:
	s_or_saveexec_b32 s6, s6
	v_mov_b32_e32 v11, 0x7f800001
	s_xor_b32 exec_lo, exec_lo, s6
	s_cbranch_execnz .LBB287_504
.LBB287_150:
	s_or_b32 exec_lo, exec_lo, s6
	s_and_saveexec_b32 s6, s4
	s_cbranch_execz .LBB287_152
.LBB287_151:
	v_and_b32_e32 v11, 7, v49
	v_lshrrev_b16 v16, 3, v49
	s_delay_alu instid0(VALU_DEP_2) | instskip(NEXT) | instid1(VALU_DEP_1)
	v_clz_i32_u32_e32 v15, v11
	v_min_u32_e32 v15, 32, v15
	s_delay_alu instid0(VALU_DEP_3) | instskip(NEXT) | instid1(VALU_DEP_2)
	v_and_b32_e32 v16, 15, v16
	v_subrev_nc_u32_e32 v17, 28, v15
	v_sub_nc_u32_e32 v15, 29, v15
	s_delay_alu instid0(VALU_DEP_3) | instskip(NEXT) | instid1(VALU_DEP_1)
	v_cmp_eq_u32_e64 s1, 0, v16
	v_dual_lshlrev_b32 v17, v17, v49 :: v_dual_cndmask_b32 v15, v16, v15, s1
	s_delay_alu instid0(VALU_DEP_1) | instskip(NEXT) | instid1(VALU_DEP_2)
	v_and_b32_e32 v17, 7, v17
	v_lshl_add_u32 v15, v15, 23, 0x3b800000
	s_delay_alu instid0(VALU_DEP_2) | instskip(NEXT) | instid1(VALU_DEP_1)
	v_cndmask_b32_e64 v11, v11, v17, s1
	v_dual_lshlrev_b32 v18, 24, v49 :: v_dual_lshlrev_b32 v11, 20, v11
	s_delay_alu instid0(VALU_DEP_1) | instskip(NEXT) | instid1(VALU_DEP_1)
	v_and_b32_e32 v16, 0x80000000, v18
	v_or3_b32 v11, v16, v15, v11
.LBB287_152:
	s_or_b32 exec_lo, exec_lo, s6
	s_delay_alu instid0(VALU_DEP_1)
	v_cmp_neq_f32_e64 s4, v0, v11
                                        ; implicit-def: $vgpr49
                                        ; implicit-def: $vgpr50
.LBB287_153:
	s_and_not1_saveexec_b32 s5, s5
	s_cbranch_execz .LBB287_163
; %bb.154:
	s_wait_loadcnt_dscnt 0x0
	v_and_b32_e32 v11, 0xff, v50
	s_mov_b32 s6, 0
	s_mov_b32 s7, exec_lo
	s_delay_alu instid0(VALU_DEP_1)
	v_cmpx_lt_i16_e32 0x7f, v11
	s_xor_b32 s7, exec_lo, s7
	s_cbranch_execnz .LBB287_505
; %bb.155:
	s_or_saveexec_b32 s7, s7
	v_mov_b32_e32 v0, 0x7f800001
	s_xor_b32 exec_lo, exec_lo, s7
	s_cbranch_execnz .LBB287_508
.LBB287_156:
	s_or_b32 exec_lo, exec_lo, s7
	s_and_saveexec_b32 s7, s6
	s_cbranch_execz .LBB287_158
.LBB287_157:
	v_and_b32_e32 v0, 7, v50
	v_lshrrev_b16 v15, 3, v50
	v_lshlrev_b32_e32 v17, 24, v50
	s_delay_alu instid0(VALU_DEP_3) | instskip(NEXT) | instid1(VALU_DEP_3)
	v_clz_i32_u32_e32 v11, v0
	v_and_b32_e32 v15, 15, v15
	s_delay_alu instid0(VALU_DEP_2) | instskip(NEXT) | instid1(VALU_DEP_2)
	v_min_u32_e32 v11, 32, v11
	v_cmp_eq_u32_e64 s1, 0, v15
	s_delay_alu instid0(VALU_DEP_2) | instskip(NEXT) | instid1(VALU_DEP_1)
	v_subrev_nc_u32_e32 v16, 28, v11
	v_dual_lshlrev_b32 v16, v16, v50 :: v_dual_sub_nc_u32 v11, 29, v11
	s_delay_alu instid0(VALU_DEP_1) | instskip(SKIP_1) | instid1(VALU_DEP_2)
	v_dual_cndmask_b32 v11, v15, v11, s1 :: v_dual_bitop2_b32 v16, 7, v16 bitop3:0x40
	v_and_b32_e32 v15, 0x80000000, v17
	v_cndmask_b32_e64 v0, v0, v16, s1
	s_delay_alu instid0(VALU_DEP_3) | instskip(NEXT) | instid1(VALU_DEP_2)
	v_lshl_add_u32 v11, v11, 23, 0x3b800000
	v_lshlrev_b32_e32 v0, 20, v0
	s_delay_alu instid0(VALU_DEP_1)
	v_or3_b32 v0, v15, v11, v0
.LBB287_158:
	s_or_b32 exec_lo, exec_lo, s7
	v_and_b32_e32 v15, 0xff, v49
	s_mov_b32 s6, 0
	s_mov_b32 s7, exec_lo
	s_delay_alu instid0(VALU_DEP_1)
	v_cmpx_lt_i16_e32 0x7f, v15
	s_xor_b32 s7, exec_lo, s7
	s_cbranch_execnz .LBB287_509
; %bb.159:
	s_or_saveexec_b32 s7, s7
	v_mov_b32_e32 v11, 0x7f800001
	s_xor_b32 exec_lo, exec_lo, s7
	s_cbranch_execnz .LBB287_512
.LBB287_160:
	s_or_b32 exec_lo, exec_lo, s7
	s_and_saveexec_b32 s7, s6
	s_cbranch_execz .LBB287_162
.LBB287_161:
	v_and_b32_e32 v11, 7, v49
	v_lshrrev_b16 v16, 3, v49
	s_delay_alu instid0(VALU_DEP_2) | instskip(NEXT) | instid1(VALU_DEP_1)
	v_clz_i32_u32_e32 v15, v11
	v_min_u32_e32 v15, 32, v15
	s_delay_alu instid0(VALU_DEP_3) | instskip(NEXT) | instid1(VALU_DEP_2)
	v_and_b32_e32 v16, 15, v16
	v_subrev_nc_u32_e32 v17, 28, v15
	v_sub_nc_u32_e32 v15, 29, v15
	s_delay_alu instid0(VALU_DEP_3) | instskip(NEXT) | instid1(VALU_DEP_1)
	v_cmp_eq_u32_e64 s1, 0, v16
	v_dual_lshlrev_b32 v17, v17, v49 :: v_dual_cndmask_b32 v15, v16, v15, s1
	s_delay_alu instid0(VALU_DEP_1) | instskip(NEXT) | instid1(VALU_DEP_2)
	v_and_b32_e32 v17, 7, v17
	v_lshl_add_u32 v15, v15, 23, 0x3b800000
	s_delay_alu instid0(VALU_DEP_2) | instskip(NEXT) | instid1(VALU_DEP_1)
	v_cndmask_b32_e64 v11, v11, v17, s1
	v_dual_lshlrev_b32 v18, 24, v49 :: v_dual_lshlrev_b32 v11, 20, v11
	s_delay_alu instid0(VALU_DEP_1) | instskip(NEXT) | instid1(VALU_DEP_1)
	v_and_b32_e32 v16, 0x80000000, v18
	v_or3_b32 v11, v16, v15, v11
.LBB287_162:
	s_or_b32 exec_lo, exec_lo, s7
	s_delay_alu instid0(VALU_DEP_1) | instskip(SKIP_2) | instid1(SALU_CYCLE_1)
	v_cmp_eq_f32_e64 s1, v0, v11
	s_and_not1_b32 s4, s4, exec_lo
	s_and_b32 s1, s1, exec_lo
	s_or_b32 s4, s4, s1
.LBB287_163:
	s_or_b32 exec_lo, exec_lo, s5
	s_delay_alu instid0(VALU_DEP_1) | instskip(NEXT) | instid1(VALU_DEP_1)
	v_cndmask_b32_e64 v0, 0, 1, s4
	v_lshlrev_b16 v0, 8, v0
	s_delay_alu instid0(VALU_DEP_1) | instskip(NEXT) | instid1(VALU_DEP_1)
	v_bitop3_b16 v0, v1, v0, 0xff bitop3:0xec
	v_and_b32_e32 v0, 0xffff, v0
	s_delay_alu instid0(VALU_DEP_1)
	v_and_or_b32 v1, 0xffff0000, v1, v0
.LBB287_164:
	s_or_b32 exec_lo, exec_lo, s3
	v_add_nc_u32_e32 v0, 0x600, v6
	s_mov_b32 s3, exec_lo
	s_delay_alu instid0(VALU_DEP_1)
	v_cmpx_lt_i32_e64 v0, v7
	s_cbranch_execz .LBB287_186
; %bb.165:
                                        ; implicit-def: $sgpr4
	s_and_saveexec_b32 s1, s0
	s_delay_alu instid0(SALU_CYCLE_1)
	s_xor_b32 s5, exec_lo, s1
	s_cbranch_execz .LBB287_175
; %bb.166:
	s_wait_loadcnt_dscnt 0x0
	v_and_b32_e32 v11, 0xff, v48
	s_mov_b32 s4, 0
	s_mov_b32 s6, exec_lo
	s_delay_alu instid0(VALU_DEP_1)
	v_cmpx_lt_i16_e32 0x7f, v11
	s_xor_b32 s6, exec_lo, s6
	s_cbranch_execnz .LBB287_513
; %bb.167:
	s_or_saveexec_b32 s6, s6
	v_mov_b32_e32 v0, 0x7f800001
	s_xor_b32 exec_lo, exec_lo, s6
	s_cbranch_execnz .LBB287_516
.LBB287_168:
	s_or_b32 exec_lo, exec_lo, s6
	s_and_saveexec_b32 s6, s4
	s_cbranch_execz .LBB287_170
.LBB287_169:
	v_and_b32_e32 v0, 7, v48
	v_lshrrev_b16 v15, 3, v48
	v_lshlrev_b32_e32 v17, 24, v48
	s_delay_alu instid0(VALU_DEP_3) | instskip(NEXT) | instid1(VALU_DEP_3)
	v_clz_i32_u32_e32 v11, v0
	v_and_b32_e32 v15, 15, v15
	s_delay_alu instid0(VALU_DEP_2) | instskip(NEXT) | instid1(VALU_DEP_2)
	v_min_u32_e32 v11, 32, v11
	v_cmp_eq_u32_e64 s1, 0, v15
	s_delay_alu instid0(VALU_DEP_2) | instskip(NEXT) | instid1(VALU_DEP_1)
	v_subrev_nc_u32_e32 v16, 28, v11
	v_dual_lshlrev_b32 v16, v16, v48 :: v_dual_sub_nc_u32 v11, 29, v11
	s_delay_alu instid0(VALU_DEP_1) | instskip(SKIP_1) | instid1(VALU_DEP_2)
	v_dual_cndmask_b32 v11, v15, v11, s1 :: v_dual_bitop2_b32 v16, 7, v16 bitop3:0x40
	v_and_b32_e32 v15, 0x80000000, v17
	v_cndmask_b32_e64 v0, v0, v16, s1
	s_delay_alu instid0(VALU_DEP_3) | instskip(NEXT) | instid1(VALU_DEP_2)
	v_lshl_add_u32 v11, v11, 23, 0x3b800000
	v_lshlrev_b32_e32 v0, 20, v0
	s_delay_alu instid0(VALU_DEP_1)
	v_or3_b32 v0, v15, v11, v0
.LBB287_170:
	s_or_b32 exec_lo, exec_lo, s6
	v_and_b32_e32 v15, 0xff, v39
	s_mov_b32 s4, 0
	s_mov_b32 s6, exec_lo
	s_delay_alu instid0(VALU_DEP_1)
	v_cmpx_lt_i16_e32 0x7f, v15
	s_xor_b32 s6, exec_lo, s6
	s_cbranch_execnz .LBB287_517
; %bb.171:
	s_or_saveexec_b32 s6, s6
	v_mov_b32_e32 v11, 0x7f800001
	s_xor_b32 exec_lo, exec_lo, s6
	s_cbranch_execnz .LBB287_520
.LBB287_172:
	s_or_b32 exec_lo, exec_lo, s6
	s_and_saveexec_b32 s6, s4
	s_cbranch_execz .LBB287_174
.LBB287_173:
	v_and_b32_e32 v11, 7, v39
	v_lshrrev_b16 v16, 3, v39
	v_lshlrev_b32_e32 v18, 24, v39
	s_delay_alu instid0(VALU_DEP_3) | instskip(NEXT) | instid1(VALU_DEP_1)
	v_clz_i32_u32_e32 v15, v11
	v_min_u32_e32 v15, 32, v15
	s_delay_alu instid0(VALU_DEP_4) | instskip(NEXT) | instid1(VALU_DEP_2)
	v_and_b32_e32 v16, 15, v16
	v_subrev_nc_u32_e32 v17, 28, v15
	v_sub_nc_u32_e32 v15, 29, v15
	s_delay_alu instid0(VALU_DEP_3) | instskip(NEXT) | instid1(VALU_DEP_3)
	v_cmp_eq_u32_e64 s1, 0, v16
	v_lshlrev_b32_e32 v17, v17, v39
	s_delay_alu instid0(VALU_DEP_1) | instskip(SKIP_1) | instid1(VALU_DEP_2)
	v_dual_cndmask_b32 v15, v16, v15, s1 :: v_dual_bitop2_b32 v17, 7, v17 bitop3:0x40
	v_and_b32_e32 v16, 0x80000000, v18
	v_cndmask_b32_e64 v11, v11, v17, s1
	s_delay_alu instid0(VALU_DEP_3) | instskip(NEXT) | instid1(VALU_DEP_2)
	v_lshl_add_u32 v15, v15, 23, 0x3b800000
	v_lshlrev_b32_e32 v11, 20, v11
	s_delay_alu instid0(VALU_DEP_1)
	v_or3_b32 v11, v16, v15, v11
.LBB287_174:
	s_or_b32 exec_lo, exec_lo, s6
	s_delay_alu instid0(VALU_DEP_1)
	v_cmp_neq_f32_e64 s4, v0, v11
                                        ; implicit-def: $vgpr39
                                        ; implicit-def: $vgpr48
.LBB287_175:
	s_and_not1_saveexec_b32 s5, s5
	s_cbranch_execz .LBB287_185
; %bb.176:
	s_wait_loadcnt_dscnt 0x0
	v_and_b32_e32 v11, 0xff, v48
	s_mov_b32 s6, 0
	s_mov_b32 s7, exec_lo
	s_delay_alu instid0(VALU_DEP_1)
	v_cmpx_lt_i16_e32 0x7f, v11
	s_xor_b32 s7, exec_lo, s7
	s_cbranch_execnz .LBB287_521
; %bb.177:
	s_or_saveexec_b32 s7, s7
	v_mov_b32_e32 v0, 0x7f800001
	s_xor_b32 exec_lo, exec_lo, s7
	s_cbranch_execnz .LBB287_524
.LBB287_178:
	s_or_b32 exec_lo, exec_lo, s7
	s_and_saveexec_b32 s7, s6
	s_cbranch_execz .LBB287_180
.LBB287_179:
	v_and_b32_e32 v0, 7, v48
	v_lshrrev_b16 v15, 3, v48
	v_lshlrev_b32_e32 v17, 24, v48
	s_delay_alu instid0(VALU_DEP_3) | instskip(NEXT) | instid1(VALU_DEP_3)
	v_clz_i32_u32_e32 v11, v0
	v_and_b32_e32 v15, 15, v15
	s_delay_alu instid0(VALU_DEP_2) | instskip(NEXT) | instid1(VALU_DEP_2)
	v_min_u32_e32 v11, 32, v11
	v_cmp_eq_u32_e64 s1, 0, v15
	s_delay_alu instid0(VALU_DEP_2) | instskip(NEXT) | instid1(VALU_DEP_1)
	v_subrev_nc_u32_e32 v16, 28, v11
	v_dual_lshlrev_b32 v16, v16, v48 :: v_dual_sub_nc_u32 v11, 29, v11
	s_delay_alu instid0(VALU_DEP_1) | instskip(SKIP_1) | instid1(VALU_DEP_2)
	v_dual_cndmask_b32 v11, v15, v11, s1 :: v_dual_bitop2_b32 v16, 7, v16 bitop3:0x40
	v_and_b32_e32 v15, 0x80000000, v17
	v_cndmask_b32_e64 v0, v0, v16, s1
	s_delay_alu instid0(VALU_DEP_3) | instskip(NEXT) | instid1(VALU_DEP_2)
	v_lshl_add_u32 v11, v11, 23, 0x3b800000
	v_lshlrev_b32_e32 v0, 20, v0
	s_delay_alu instid0(VALU_DEP_1)
	v_or3_b32 v0, v15, v11, v0
.LBB287_180:
	s_or_b32 exec_lo, exec_lo, s7
	v_and_b32_e32 v15, 0xff, v39
	s_mov_b32 s6, 0
	s_mov_b32 s7, exec_lo
	s_delay_alu instid0(VALU_DEP_1)
	v_cmpx_lt_i16_e32 0x7f, v15
	s_xor_b32 s7, exec_lo, s7
	s_cbranch_execnz .LBB287_525
; %bb.181:
	s_or_saveexec_b32 s7, s7
	v_mov_b32_e32 v11, 0x7f800001
	s_xor_b32 exec_lo, exec_lo, s7
	s_cbranch_execnz .LBB287_528
.LBB287_182:
	s_or_b32 exec_lo, exec_lo, s7
	s_and_saveexec_b32 s7, s6
	s_cbranch_execz .LBB287_184
.LBB287_183:
	v_and_b32_e32 v11, 7, v39
	v_lshrrev_b16 v16, 3, v39
	v_lshlrev_b32_e32 v18, 24, v39
	s_delay_alu instid0(VALU_DEP_3) | instskip(NEXT) | instid1(VALU_DEP_1)
	v_clz_i32_u32_e32 v15, v11
	v_min_u32_e32 v15, 32, v15
	s_delay_alu instid0(VALU_DEP_4) | instskip(NEXT) | instid1(VALU_DEP_2)
	v_and_b32_e32 v16, 15, v16
	v_subrev_nc_u32_e32 v17, 28, v15
	v_sub_nc_u32_e32 v15, 29, v15
	s_delay_alu instid0(VALU_DEP_3) | instskip(NEXT) | instid1(VALU_DEP_3)
	v_cmp_eq_u32_e64 s1, 0, v16
	v_lshlrev_b32_e32 v17, v17, v39
	s_delay_alu instid0(VALU_DEP_1) | instskip(SKIP_1) | instid1(VALU_DEP_2)
	v_dual_cndmask_b32 v15, v16, v15, s1 :: v_dual_bitop2_b32 v17, 7, v17 bitop3:0x40
	v_and_b32_e32 v16, 0x80000000, v18
	v_cndmask_b32_e64 v11, v11, v17, s1
	s_delay_alu instid0(VALU_DEP_3) | instskip(NEXT) | instid1(VALU_DEP_2)
	v_lshl_add_u32 v15, v15, 23, 0x3b800000
	v_lshlrev_b32_e32 v11, 20, v11
	s_delay_alu instid0(VALU_DEP_1)
	v_or3_b32 v11, v16, v15, v11
.LBB287_184:
	s_or_b32 exec_lo, exec_lo, s7
	s_delay_alu instid0(VALU_DEP_1) | instskip(SKIP_2) | instid1(SALU_CYCLE_1)
	v_cmp_eq_f32_e64 s1, v0, v11
	s_and_not1_b32 s4, s4, exec_lo
	s_and_b32 s1, s1, exec_lo
	s_or_b32 s4, s4, s1
.LBB287_185:
	s_or_b32 exec_lo, exec_lo, s5
	v_lshrrev_b32_e32 v0, 16, v1
	s_wait_loadcnt_dscnt 0x0
	v_cndmask_b32_e64 v11, 0, 1, s4
	s_delay_alu instid0(VALU_DEP_1) | instskip(NEXT) | instid1(VALU_DEP_1)
	v_bitop3_b16 v0, v11, v0, 0xff00 bitop3:0xf8
	v_lshlrev_b32_e32 v0, 16, v0
	s_delay_alu instid0(VALU_DEP_1)
	v_and_or_b32 v1, 0xffff, v1, v0
.LBB287_186:
	s_or_b32 exec_lo, exec_lo, s3
	v_add_nc_u32_e32 v0, 0x700, v6
	s_mov_b32 s3, exec_lo
	s_delay_alu instid0(VALU_DEP_1)
	v_cmpx_lt_i32_e64 v0, v7
	s_cbranch_execz .LBB287_208
; %bb.187:
                                        ; implicit-def: $sgpr4
	s_and_saveexec_b32 s1, s0
	s_delay_alu instid0(SALU_CYCLE_1)
	s_xor_b32 s5, exec_lo, s1
	s_cbranch_execz .LBB287_197
; %bb.188:
	s_wait_loadcnt_dscnt 0x0
	v_and_b32_e32 v11, 0xff, v38
	s_mov_b32 s4, 0
	s_mov_b32 s6, exec_lo
	s_delay_alu instid0(VALU_DEP_1)
	v_cmpx_lt_i16_e32 0x7f, v11
	s_xor_b32 s6, exec_lo, s6
	s_cbranch_execnz .LBB287_529
; %bb.189:
	s_or_saveexec_b32 s6, s6
	v_mov_b32_e32 v0, 0x7f800001
	s_xor_b32 exec_lo, exec_lo, s6
	s_cbranch_execnz .LBB287_532
.LBB287_190:
	s_or_b32 exec_lo, exec_lo, s6
	s_and_saveexec_b32 s6, s4
	s_cbranch_execz .LBB287_192
.LBB287_191:
	v_and_b32_e32 v0, 7, v38
	v_lshrrev_b16 v15, 3, v38
	v_lshlrev_b32_e32 v17, 24, v38
	s_delay_alu instid0(VALU_DEP_3) | instskip(NEXT) | instid1(VALU_DEP_3)
	v_clz_i32_u32_e32 v11, v0
	v_and_b32_e32 v15, 15, v15
	s_delay_alu instid0(VALU_DEP_2) | instskip(NEXT) | instid1(VALU_DEP_2)
	v_min_u32_e32 v11, 32, v11
	v_cmp_eq_u32_e64 s1, 0, v15
	s_delay_alu instid0(VALU_DEP_2) | instskip(NEXT) | instid1(VALU_DEP_1)
	v_subrev_nc_u32_e32 v16, 28, v11
	v_dual_lshlrev_b32 v16, v16, v38 :: v_dual_sub_nc_u32 v11, 29, v11
	s_delay_alu instid0(VALU_DEP_1) | instskip(SKIP_1) | instid1(VALU_DEP_2)
	v_dual_cndmask_b32 v11, v15, v11, s1 :: v_dual_bitop2_b32 v16, 7, v16 bitop3:0x40
	v_and_b32_e32 v15, 0x80000000, v17
	v_cndmask_b32_e64 v0, v0, v16, s1
	s_delay_alu instid0(VALU_DEP_3) | instskip(NEXT) | instid1(VALU_DEP_2)
	v_lshl_add_u32 v11, v11, 23, 0x3b800000
	v_lshlrev_b32_e32 v0, 20, v0
	s_delay_alu instid0(VALU_DEP_1)
	v_or3_b32 v0, v15, v11, v0
.LBB287_192:
	s_or_b32 exec_lo, exec_lo, s6
	v_and_b32_e32 v15, 0xff, v37
	s_mov_b32 s4, 0
	s_mov_b32 s6, exec_lo
	s_delay_alu instid0(VALU_DEP_1)
	v_cmpx_lt_i16_e32 0x7f, v15
	s_xor_b32 s6, exec_lo, s6
	s_cbranch_execnz .LBB287_533
; %bb.193:
	s_or_saveexec_b32 s6, s6
	v_mov_b32_e32 v11, 0x7f800001
	s_xor_b32 exec_lo, exec_lo, s6
	s_cbranch_execnz .LBB287_536
.LBB287_194:
	s_or_b32 exec_lo, exec_lo, s6
	s_and_saveexec_b32 s6, s4
	s_cbranch_execz .LBB287_196
.LBB287_195:
	v_and_b32_e32 v11, 7, v37
	v_lshrrev_b16 v16, 3, v37
	s_delay_alu instid0(VALU_DEP_2) | instskip(NEXT) | instid1(VALU_DEP_1)
	v_clz_i32_u32_e32 v15, v11
	v_min_u32_e32 v15, 32, v15
	s_delay_alu instid0(VALU_DEP_3) | instskip(NEXT) | instid1(VALU_DEP_2)
	v_and_b32_e32 v16, 15, v16
	v_subrev_nc_u32_e32 v17, 28, v15
	v_sub_nc_u32_e32 v15, 29, v15
	s_delay_alu instid0(VALU_DEP_3) | instskip(NEXT) | instid1(VALU_DEP_1)
	v_cmp_eq_u32_e64 s1, 0, v16
	v_dual_lshlrev_b32 v17, v17, v37 :: v_dual_cndmask_b32 v15, v16, v15, s1
	s_delay_alu instid0(VALU_DEP_1) | instskip(NEXT) | instid1(VALU_DEP_2)
	v_and_b32_e32 v17, 7, v17
	v_lshl_add_u32 v15, v15, 23, 0x3b800000
	s_delay_alu instid0(VALU_DEP_2) | instskip(NEXT) | instid1(VALU_DEP_1)
	v_cndmask_b32_e64 v11, v11, v17, s1
	v_dual_lshlrev_b32 v18, 24, v37 :: v_dual_lshlrev_b32 v11, 20, v11
	s_delay_alu instid0(VALU_DEP_1) | instskip(NEXT) | instid1(VALU_DEP_1)
	v_and_b32_e32 v16, 0x80000000, v18
	v_or3_b32 v11, v16, v15, v11
.LBB287_196:
	s_or_b32 exec_lo, exec_lo, s6
	s_delay_alu instid0(VALU_DEP_1)
	v_cmp_neq_f32_e64 s4, v0, v11
                                        ; implicit-def: $vgpr37
                                        ; implicit-def: $vgpr38
.LBB287_197:
	s_and_not1_saveexec_b32 s5, s5
	s_cbranch_execz .LBB287_207
; %bb.198:
	s_wait_loadcnt_dscnt 0x0
	v_and_b32_e32 v11, 0xff, v38
	s_mov_b32 s6, 0
	s_mov_b32 s7, exec_lo
	s_delay_alu instid0(VALU_DEP_1)
	v_cmpx_lt_i16_e32 0x7f, v11
	s_xor_b32 s7, exec_lo, s7
	s_cbranch_execnz .LBB287_537
; %bb.199:
	s_or_saveexec_b32 s7, s7
	v_mov_b32_e32 v0, 0x7f800001
	s_xor_b32 exec_lo, exec_lo, s7
	s_cbranch_execnz .LBB287_540
.LBB287_200:
	s_or_b32 exec_lo, exec_lo, s7
	s_and_saveexec_b32 s7, s6
	s_cbranch_execz .LBB287_202
.LBB287_201:
	v_and_b32_e32 v0, 7, v38
	v_lshrrev_b16 v15, 3, v38
	v_lshlrev_b32_e32 v17, 24, v38
	s_delay_alu instid0(VALU_DEP_3) | instskip(NEXT) | instid1(VALU_DEP_3)
	v_clz_i32_u32_e32 v11, v0
	v_and_b32_e32 v15, 15, v15
	s_delay_alu instid0(VALU_DEP_2) | instskip(NEXT) | instid1(VALU_DEP_2)
	v_min_u32_e32 v11, 32, v11
	v_cmp_eq_u32_e64 s1, 0, v15
	s_delay_alu instid0(VALU_DEP_2) | instskip(NEXT) | instid1(VALU_DEP_1)
	v_subrev_nc_u32_e32 v16, 28, v11
	v_dual_lshlrev_b32 v16, v16, v38 :: v_dual_sub_nc_u32 v11, 29, v11
	s_delay_alu instid0(VALU_DEP_1) | instskip(SKIP_1) | instid1(VALU_DEP_2)
	v_dual_cndmask_b32 v11, v15, v11, s1 :: v_dual_bitop2_b32 v16, 7, v16 bitop3:0x40
	v_and_b32_e32 v15, 0x80000000, v17
	v_cndmask_b32_e64 v0, v0, v16, s1
	s_delay_alu instid0(VALU_DEP_3) | instskip(NEXT) | instid1(VALU_DEP_2)
	v_lshl_add_u32 v11, v11, 23, 0x3b800000
	v_lshlrev_b32_e32 v0, 20, v0
	s_delay_alu instid0(VALU_DEP_1)
	v_or3_b32 v0, v15, v11, v0
.LBB287_202:
	s_or_b32 exec_lo, exec_lo, s7
	v_and_b32_e32 v15, 0xff, v37
	s_mov_b32 s6, 0
	s_mov_b32 s7, exec_lo
	s_delay_alu instid0(VALU_DEP_1)
	v_cmpx_lt_i16_e32 0x7f, v15
	s_xor_b32 s7, exec_lo, s7
	s_cbranch_execnz .LBB287_541
; %bb.203:
	s_or_saveexec_b32 s7, s7
	v_mov_b32_e32 v11, 0x7f800001
	s_xor_b32 exec_lo, exec_lo, s7
	s_cbranch_execnz .LBB287_544
.LBB287_204:
	s_or_b32 exec_lo, exec_lo, s7
	s_and_saveexec_b32 s7, s6
	s_cbranch_execz .LBB287_206
.LBB287_205:
	v_and_b32_e32 v11, 7, v37
	v_lshrrev_b16 v16, 3, v37
	s_delay_alu instid0(VALU_DEP_2) | instskip(NEXT) | instid1(VALU_DEP_1)
	v_clz_i32_u32_e32 v15, v11
	v_min_u32_e32 v15, 32, v15
	s_delay_alu instid0(VALU_DEP_3) | instskip(NEXT) | instid1(VALU_DEP_2)
	v_and_b32_e32 v16, 15, v16
	v_subrev_nc_u32_e32 v17, 28, v15
	v_sub_nc_u32_e32 v15, 29, v15
	s_delay_alu instid0(VALU_DEP_3) | instskip(NEXT) | instid1(VALU_DEP_1)
	v_cmp_eq_u32_e64 s1, 0, v16
	v_dual_lshlrev_b32 v17, v17, v37 :: v_dual_cndmask_b32 v15, v16, v15, s1
	s_delay_alu instid0(VALU_DEP_1) | instskip(NEXT) | instid1(VALU_DEP_2)
	v_and_b32_e32 v17, 7, v17
	v_lshl_add_u32 v15, v15, 23, 0x3b800000
	s_delay_alu instid0(VALU_DEP_2) | instskip(NEXT) | instid1(VALU_DEP_1)
	v_cndmask_b32_e64 v11, v11, v17, s1
	v_dual_lshlrev_b32 v18, 24, v37 :: v_dual_lshlrev_b32 v11, 20, v11
	s_delay_alu instid0(VALU_DEP_1) | instskip(NEXT) | instid1(VALU_DEP_1)
	v_and_b32_e32 v16, 0x80000000, v18
	v_or3_b32 v11, v16, v15, v11
.LBB287_206:
	s_or_b32 exec_lo, exec_lo, s7
	s_delay_alu instid0(VALU_DEP_1) | instskip(SKIP_2) | instid1(SALU_CYCLE_1)
	v_cmp_eq_f32_e64 s1, v0, v11
	s_and_not1_b32 s4, s4, exec_lo
	s_and_b32 s1, s1, exec_lo
	s_or_b32 s4, s4, s1
.LBB287_207:
	s_or_b32 exec_lo, exec_lo, s5
	s_delay_alu instid0(VALU_DEP_1) | instskip(SKIP_2) | instid1(VALU_DEP_2)
	v_cndmask_b32_e64 v0, 0, 1, s4
	s_wait_loadcnt_dscnt 0x0
	v_lshrrev_b32_e32 v11, 16, v1
	v_lshlrev_b16 v0, 8, v0
	s_delay_alu instid0(VALU_DEP_1) | instskip(NEXT) | instid1(VALU_DEP_1)
	v_bitop3_b16 v0, v11, v0, 0xff bitop3:0xec
	v_lshlrev_b32_e32 v0, 16, v0
	s_delay_alu instid0(VALU_DEP_1)
	v_and_or_b32 v1, 0xffff, v1, v0
.LBB287_208:
	s_or_b32 exec_lo, exec_lo, s3
	v_or_b32_e32 v0, 0x800, v6
	s_mov_b32 s3, exec_lo
	s_delay_alu instid0(VALU_DEP_1)
	v_cmpx_lt_i32_e64 v0, v7
	s_cbranch_execz .LBB287_230
; %bb.209:
                                        ; implicit-def: $sgpr4
	s_and_saveexec_b32 s1, s0
	s_delay_alu instid0(SALU_CYCLE_1)
	s_xor_b32 s5, exec_lo, s1
	s_cbranch_execz .LBB287_219
; %bb.210:
	s_wait_loadcnt_dscnt 0x0
	v_and_b32_e32 v11, 0xff, v36
	s_mov_b32 s4, 0
	s_mov_b32 s6, exec_lo
	s_delay_alu instid0(VALU_DEP_1)
	v_cmpx_lt_i16_e32 0x7f, v11
	s_xor_b32 s6, exec_lo, s6
	s_cbranch_execnz .LBB287_545
; %bb.211:
	s_or_saveexec_b32 s6, s6
	v_mov_b32_e32 v0, 0x7f800001
	s_xor_b32 exec_lo, exec_lo, s6
	s_cbranch_execnz .LBB287_548
.LBB287_212:
	s_or_b32 exec_lo, exec_lo, s6
	s_and_saveexec_b32 s6, s4
	s_cbranch_execz .LBB287_214
.LBB287_213:
	v_and_b32_e32 v0, 7, v36
	v_lshrrev_b16 v15, 3, v36
	v_lshlrev_b32_e32 v17, 24, v36
	s_delay_alu instid0(VALU_DEP_3) | instskip(NEXT) | instid1(VALU_DEP_3)
	v_clz_i32_u32_e32 v11, v0
	v_and_b32_e32 v15, 15, v15
	s_delay_alu instid0(VALU_DEP_2) | instskip(NEXT) | instid1(VALU_DEP_2)
	v_min_u32_e32 v11, 32, v11
	v_cmp_eq_u32_e64 s1, 0, v15
	s_delay_alu instid0(VALU_DEP_2) | instskip(NEXT) | instid1(VALU_DEP_1)
	v_subrev_nc_u32_e32 v16, 28, v11
	v_dual_lshlrev_b32 v16, v16, v36 :: v_dual_sub_nc_u32 v11, 29, v11
	s_delay_alu instid0(VALU_DEP_1) | instskip(SKIP_1) | instid1(VALU_DEP_2)
	v_dual_cndmask_b32 v11, v15, v11, s1 :: v_dual_bitop2_b32 v16, 7, v16 bitop3:0x40
	v_and_b32_e32 v15, 0x80000000, v17
	v_cndmask_b32_e64 v0, v0, v16, s1
	s_delay_alu instid0(VALU_DEP_3) | instskip(NEXT) | instid1(VALU_DEP_2)
	v_lshl_add_u32 v11, v11, 23, 0x3b800000
	v_lshlrev_b32_e32 v0, 20, v0
	s_delay_alu instid0(VALU_DEP_1)
	v_or3_b32 v0, v15, v11, v0
.LBB287_214:
	s_or_b32 exec_lo, exec_lo, s6
	v_and_b32_e32 v15, 0xff, v35
	s_mov_b32 s4, 0
	s_mov_b32 s6, exec_lo
	s_delay_alu instid0(VALU_DEP_1)
	v_cmpx_lt_i16_e32 0x7f, v15
	s_xor_b32 s6, exec_lo, s6
	s_cbranch_execnz .LBB287_549
; %bb.215:
	s_or_saveexec_b32 s6, s6
	v_mov_b32_e32 v11, 0x7f800001
	s_xor_b32 exec_lo, exec_lo, s6
	s_cbranch_execnz .LBB287_552
.LBB287_216:
	s_or_b32 exec_lo, exec_lo, s6
	s_and_saveexec_b32 s6, s4
	s_cbranch_execz .LBB287_218
.LBB287_217:
	v_and_b32_e32 v11, 7, v35
	v_lshrrev_b16 v16, 3, v35
	v_lshlrev_b32_e32 v18, 24, v35
	s_delay_alu instid0(VALU_DEP_3) | instskip(NEXT) | instid1(VALU_DEP_1)
	v_clz_i32_u32_e32 v15, v11
	v_min_u32_e32 v15, 32, v15
	s_delay_alu instid0(VALU_DEP_4) | instskip(NEXT) | instid1(VALU_DEP_2)
	v_and_b32_e32 v16, 15, v16
	v_subrev_nc_u32_e32 v17, 28, v15
	v_sub_nc_u32_e32 v15, 29, v15
	s_delay_alu instid0(VALU_DEP_3) | instskip(NEXT) | instid1(VALU_DEP_3)
	v_cmp_eq_u32_e64 s1, 0, v16
	v_lshlrev_b32_e32 v17, v17, v35
	s_delay_alu instid0(VALU_DEP_1) | instskip(SKIP_1) | instid1(VALU_DEP_2)
	v_dual_cndmask_b32 v15, v16, v15, s1 :: v_dual_bitop2_b32 v17, 7, v17 bitop3:0x40
	v_and_b32_e32 v16, 0x80000000, v18
	v_cndmask_b32_e64 v11, v11, v17, s1
	s_delay_alu instid0(VALU_DEP_3) | instskip(NEXT) | instid1(VALU_DEP_2)
	v_lshl_add_u32 v15, v15, 23, 0x3b800000
	v_lshlrev_b32_e32 v11, 20, v11
	s_delay_alu instid0(VALU_DEP_1)
	v_or3_b32 v11, v16, v15, v11
.LBB287_218:
	s_or_b32 exec_lo, exec_lo, s6
	s_delay_alu instid0(VALU_DEP_1)
	v_cmp_neq_f32_e64 s4, v0, v11
                                        ; implicit-def: $vgpr35
                                        ; implicit-def: $vgpr36
.LBB287_219:
	s_and_not1_saveexec_b32 s5, s5
	s_cbranch_execz .LBB287_229
; %bb.220:
	s_wait_loadcnt_dscnt 0x0
	v_and_b32_e32 v11, 0xff, v36
	s_mov_b32 s6, 0
	s_mov_b32 s7, exec_lo
	s_delay_alu instid0(VALU_DEP_1)
	v_cmpx_lt_i16_e32 0x7f, v11
	s_xor_b32 s7, exec_lo, s7
	s_cbranch_execnz .LBB287_553
; %bb.221:
	s_or_saveexec_b32 s7, s7
	v_mov_b32_e32 v0, 0x7f800001
	s_xor_b32 exec_lo, exec_lo, s7
	s_cbranch_execnz .LBB287_556
.LBB287_222:
	s_or_b32 exec_lo, exec_lo, s7
	s_and_saveexec_b32 s7, s6
	s_cbranch_execz .LBB287_224
.LBB287_223:
	v_and_b32_e32 v0, 7, v36
	v_lshrrev_b16 v15, 3, v36
	v_lshlrev_b32_e32 v17, 24, v36
	s_delay_alu instid0(VALU_DEP_3) | instskip(NEXT) | instid1(VALU_DEP_3)
	v_clz_i32_u32_e32 v11, v0
	v_and_b32_e32 v15, 15, v15
	s_delay_alu instid0(VALU_DEP_2) | instskip(NEXT) | instid1(VALU_DEP_2)
	v_min_u32_e32 v11, 32, v11
	v_cmp_eq_u32_e64 s1, 0, v15
	s_delay_alu instid0(VALU_DEP_2) | instskip(NEXT) | instid1(VALU_DEP_1)
	v_subrev_nc_u32_e32 v16, 28, v11
	v_dual_lshlrev_b32 v16, v16, v36 :: v_dual_sub_nc_u32 v11, 29, v11
	s_delay_alu instid0(VALU_DEP_1) | instskip(SKIP_1) | instid1(VALU_DEP_2)
	v_dual_cndmask_b32 v11, v15, v11, s1 :: v_dual_bitop2_b32 v16, 7, v16 bitop3:0x40
	v_and_b32_e32 v15, 0x80000000, v17
	v_cndmask_b32_e64 v0, v0, v16, s1
	s_delay_alu instid0(VALU_DEP_3) | instskip(NEXT) | instid1(VALU_DEP_2)
	v_lshl_add_u32 v11, v11, 23, 0x3b800000
	v_lshlrev_b32_e32 v0, 20, v0
	s_delay_alu instid0(VALU_DEP_1)
	v_or3_b32 v0, v15, v11, v0
.LBB287_224:
	s_or_b32 exec_lo, exec_lo, s7
	v_and_b32_e32 v15, 0xff, v35
	s_mov_b32 s6, 0
	s_mov_b32 s7, exec_lo
	s_delay_alu instid0(VALU_DEP_1)
	v_cmpx_lt_i16_e32 0x7f, v15
	s_xor_b32 s7, exec_lo, s7
	s_cbranch_execnz .LBB287_557
; %bb.225:
	s_or_saveexec_b32 s7, s7
	v_mov_b32_e32 v11, 0x7f800001
	s_xor_b32 exec_lo, exec_lo, s7
	s_cbranch_execnz .LBB287_560
.LBB287_226:
	s_or_b32 exec_lo, exec_lo, s7
	s_and_saveexec_b32 s7, s6
	s_cbranch_execz .LBB287_228
.LBB287_227:
	v_and_b32_e32 v11, 7, v35
	v_lshrrev_b16 v16, 3, v35
	v_lshlrev_b32_e32 v18, 24, v35
	s_delay_alu instid0(VALU_DEP_3) | instskip(NEXT) | instid1(VALU_DEP_1)
	v_clz_i32_u32_e32 v15, v11
	v_min_u32_e32 v15, 32, v15
	s_delay_alu instid0(VALU_DEP_4) | instskip(NEXT) | instid1(VALU_DEP_2)
	v_and_b32_e32 v16, 15, v16
	v_subrev_nc_u32_e32 v17, 28, v15
	v_sub_nc_u32_e32 v15, 29, v15
	s_delay_alu instid0(VALU_DEP_3) | instskip(NEXT) | instid1(VALU_DEP_3)
	v_cmp_eq_u32_e64 s1, 0, v16
	v_lshlrev_b32_e32 v17, v17, v35
	s_delay_alu instid0(VALU_DEP_1) | instskip(SKIP_1) | instid1(VALU_DEP_2)
	v_dual_cndmask_b32 v15, v16, v15, s1 :: v_dual_bitop2_b32 v17, 7, v17 bitop3:0x40
	v_and_b32_e32 v16, 0x80000000, v18
	v_cndmask_b32_e64 v11, v11, v17, s1
	s_delay_alu instid0(VALU_DEP_3) | instskip(NEXT) | instid1(VALU_DEP_2)
	v_lshl_add_u32 v15, v15, 23, 0x3b800000
	v_lshlrev_b32_e32 v11, 20, v11
	s_delay_alu instid0(VALU_DEP_1)
	v_or3_b32 v11, v16, v15, v11
.LBB287_228:
	s_or_b32 exec_lo, exec_lo, s7
	s_delay_alu instid0(VALU_DEP_1) | instskip(SKIP_2) | instid1(SALU_CYCLE_1)
	v_cmp_eq_f32_e64 s1, v0, v11
	s_and_not1_b32 s4, s4, exec_lo
	s_and_b32 s1, s1, exec_lo
	s_or_b32 s4, s4, s1
.LBB287_229:
	s_or_b32 exec_lo, exec_lo, s5
	s_delay_alu instid0(VALU_DEP_1) | instskip(NEXT) | instid1(VALU_DEP_1)
	v_cndmask_b32_e64 v0, 0, 1, s4
	v_bitop3_b16 v0, v0, v4, 0xff00 bitop3:0xf8
	s_delay_alu instid0(VALU_DEP_1) | instskip(NEXT) | instid1(VALU_DEP_1)
	v_and_b32_e32 v0, 0xffff, v0
	v_and_or_b32 v4, 0xffff0000, v4, v0
.LBB287_230:
	s_or_b32 exec_lo, exec_lo, s3
	v_add_nc_u32_e32 v0, 0x900, v6
	s_mov_b32 s3, exec_lo
	s_delay_alu instid0(VALU_DEP_1)
	v_cmpx_lt_i32_e64 v0, v7
	s_cbranch_execz .LBB287_252
; %bb.231:
                                        ; implicit-def: $sgpr4
	s_and_saveexec_b32 s1, s0
	s_delay_alu instid0(SALU_CYCLE_1)
	s_xor_b32 s5, exec_lo, s1
	s_cbranch_execz .LBB287_241
; %bb.232:
	s_wait_loadcnt_dscnt 0x0
	v_and_b32_e32 v11, 0xff, v34
	s_mov_b32 s4, 0
	s_mov_b32 s6, exec_lo
	s_delay_alu instid0(VALU_DEP_1)
	v_cmpx_lt_i16_e32 0x7f, v11
	s_xor_b32 s6, exec_lo, s6
	s_cbranch_execnz .LBB287_561
; %bb.233:
	s_or_saveexec_b32 s6, s6
	v_mov_b32_e32 v0, 0x7f800001
	s_xor_b32 exec_lo, exec_lo, s6
	s_cbranch_execnz .LBB287_564
.LBB287_234:
	s_or_b32 exec_lo, exec_lo, s6
	s_and_saveexec_b32 s6, s4
	s_cbranch_execz .LBB287_236
.LBB287_235:
	v_and_b32_e32 v0, 7, v34
	v_lshrrev_b16 v15, 3, v34
	v_lshlrev_b32_e32 v17, 24, v34
	s_delay_alu instid0(VALU_DEP_3) | instskip(NEXT) | instid1(VALU_DEP_3)
	v_clz_i32_u32_e32 v11, v0
	v_and_b32_e32 v15, 15, v15
	s_delay_alu instid0(VALU_DEP_2) | instskip(NEXT) | instid1(VALU_DEP_2)
	v_min_u32_e32 v11, 32, v11
	v_cmp_eq_u32_e64 s1, 0, v15
	s_delay_alu instid0(VALU_DEP_2) | instskip(NEXT) | instid1(VALU_DEP_1)
	v_subrev_nc_u32_e32 v16, 28, v11
	v_dual_lshlrev_b32 v16, v16, v34 :: v_dual_sub_nc_u32 v11, 29, v11
	s_delay_alu instid0(VALU_DEP_1) | instskip(SKIP_1) | instid1(VALU_DEP_2)
	v_dual_cndmask_b32 v11, v15, v11, s1 :: v_dual_bitop2_b32 v16, 7, v16 bitop3:0x40
	v_and_b32_e32 v15, 0x80000000, v17
	v_cndmask_b32_e64 v0, v0, v16, s1
	s_delay_alu instid0(VALU_DEP_3) | instskip(NEXT) | instid1(VALU_DEP_2)
	v_lshl_add_u32 v11, v11, 23, 0x3b800000
	v_lshlrev_b32_e32 v0, 20, v0
	s_delay_alu instid0(VALU_DEP_1)
	v_or3_b32 v0, v15, v11, v0
.LBB287_236:
	s_or_b32 exec_lo, exec_lo, s6
	v_and_b32_e32 v15, 0xff, v33
	s_mov_b32 s4, 0
	s_mov_b32 s6, exec_lo
	s_delay_alu instid0(VALU_DEP_1)
	v_cmpx_lt_i16_e32 0x7f, v15
	s_xor_b32 s6, exec_lo, s6
	s_cbranch_execnz .LBB287_565
; %bb.237:
	s_or_saveexec_b32 s6, s6
	v_mov_b32_e32 v11, 0x7f800001
	s_xor_b32 exec_lo, exec_lo, s6
	s_cbranch_execnz .LBB287_568
.LBB287_238:
	s_or_b32 exec_lo, exec_lo, s6
	s_and_saveexec_b32 s6, s4
	s_cbranch_execz .LBB287_240
.LBB287_239:
	v_and_b32_e32 v11, 7, v33
	v_lshrrev_b16 v16, 3, v33
	s_delay_alu instid0(VALU_DEP_2) | instskip(NEXT) | instid1(VALU_DEP_1)
	v_clz_i32_u32_e32 v15, v11
	v_min_u32_e32 v15, 32, v15
	s_delay_alu instid0(VALU_DEP_3) | instskip(NEXT) | instid1(VALU_DEP_2)
	v_and_b32_e32 v16, 15, v16
	v_subrev_nc_u32_e32 v17, 28, v15
	v_sub_nc_u32_e32 v15, 29, v15
	s_delay_alu instid0(VALU_DEP_3) | instskip(NEXT) | instid1(VALU_DEP_1)
	v_cmp_eq_u32_e64 s1, 0, v16
	v_dual_lshlrev_b32 v17, v17, v33 :: v_dual_cndmask_b32 v15, v16, v15, s1
	s_delay_alu instid0(VALU_DEP_1) | instskip(NEXT) | instid1(VALU_DEP_2)
	v_and_b32_e32 v17, 7, v17
	v_lshl_add_u32 v15, v15, 23, 0x3b800000
	s_delay_alu instid0(VALU_DEP_2) | instskip(NEXT) | instid1(VALU_DEP_1)
	v_cndmask_b32_e64 v11, v11, v17, s1
	v_dual_lshlrev_b32 v18, 24, v33 :: v_dual_lshlrev_b32 v11, 20, v11
	s_delay_alu instid0(VALU_DEP_1) | instskip(NEXT) | instid1(VALU_DEP_1)
	v_and_b32_e32 v16, 0x80000000, v18
	v_or3_b32 v11, v16, v15, v11
.LBB287_240:
	s_or_b32 exec_lo, exec_lo, s6
	s_delay_alu instid0(VALU_DEP_1)
	v_cmp_neq_f32_e64 s4, v0, v11
                                        ; implicit-def: $vgpr33
                                        ; implicit-def: $vgpr34
.LBB287_241:
	s_and_not1_saveexec_b32 s5, s5
	s_cbranch_execz .LBB287_251
; %bb.242:
	s_wait_loadcnt_dscnt 0x0
	v_and_b32_e32 v11, 0xff, v34
	s_mov_b32 s6, 0
	s_mov_b32 s7, exec_lo
	s_delay_alu instid0(VALU_DEP_1)
	v_cmpx_lt_i16_e32 0x7f, v11
	s_xor_b32 s7, exec_lo, s7
	s_cbranch_execnz .LBB287_569
; %bb.243:
	s_or_saveexec_b32 s7, s7
	v_mov_b32_e32 v0, 0x7f800001
	s_xor_b32 exec_lo, exec_lo, s7
	s_cbranch_execnz .LBB287_572
.LBB287_244:
	s_or_b32 exec_lo, exec_lo, s7
	s_and_saveexec_b32 s7, s6
	s_cbranch_execz .LBB287_246
.LBB287_245:
	v_and_b32_e32 v0, 7, v34
	v_lshrrev_b16 v15, 3, v34
	v_lshlrev_b32_e32 v17, 24, v34
	s_delay_alu instid0(VALU_DEP_3) | instskip(NEXT) | instid1(VALU_DEP_3)
	v_clz_i32_u32_e32 v11, v0
	v_and_b32_e32 v15, 15, v15
	s_delay_alu instid0(VALU_DEP_2) | instskip(NEXT) | instid1(VALU_DEP_2)
	v_min_u32_e32 v11, 32, v11
	v_cmp_eq_u32_e64 s1, 0, v15
	s_delay_alu instid0(VALU_DEP_2) | instskip(NEXT) | instid1(VALU_DEP_1)
	v_subrev_nc_u32_e32 v16, 28, v11
	v_dual_lshlrev_b32 v16, v16, v34 :: v_dual_sub_nc_u32 v11, 29, v11
	s_delay_alu instid0(VALU_DEP_1) | instskip(SKIP_1) | instid1(VALU_DEP_2)
	v_dual_cndmask_b32 v11, v15, v11, s1 :: v_dual_bitop2_b32 v16, 7, v16 bitop3:0x40
	v_and_b32_e32 v15, 0x80000000, v17
	v_cndmask_b32_e64 v0, v0, v16, s1
	s_delay_alu instid0(VALU_DEP_3) | instskip(NEXT) | instid1(VALU_DEP_2)
	v_lshl_add_u32 v11, v11, 23, 0x3b800000
	v_lshlrev_b32_e32 v0, 20, v0
	s_delay_alu instid0(VALU_DEP_1)
	v_or3_b32 v0, v15, v11, v0
.LBB287_246:
	s_or_b32 exec_lo, exec_lo, s7
	v_and_b32_e32 v15, 0xff, v33
	s_mov_b32 s6, 0
	s_mov_b32 s7, exec_lo
	s_delay_alu instid0(VALU_DEP_1)
	v_cmpx_lt_i16_e32 0x7f, v15
	s_xor_b32 s7, exec_lo, s7
	s_cbranch_execnz .LBB287_573
; %bb.247:
	s_or_saveexec_b32 s7, s7
	v_mov_b32_e32 v11, 0x7f800001
	s_xor_b32 exec_lo, exec_lo, s7
	s_cbranch_execnz .LBB287_576
.LBB287_248:
	s_or_b32 exec_lo, exec_lo, s7
	s_and_saveexec_b32 s7, s6
	s_cbranch_execz .LBB287_250
.LBB287_249:
	v_and_b32_e32 v11, 7, v33
	v_lshrrev_b16 v16, 3, v33
	s_delay_alu instid0(VALU_DEP_2) | instskip(NEXT) | instid1(VALU_DEP_1)
	v_clz_i32_u32_e32 v15, v11
	v_min_u32_e32 v15, 32, v15
	s_delay_alu instid0(VALU_DEP_3) | instskip(NEXT) | instid1(VALU_DEP_2)
	v_and_b32_e32 v16, 15, v16
	v_subrev_nc_u32_e32 v17, 28, v15
	v_sub_nc_u32_e32 v15, 29, v15
	s_delay_alu instid0(VALU_DEP_3) | instskip(NEXT) | instid1(VALU_DEP_1)
	v_cmp_eq_u32_e64 s1, 0, v16
	v_dual_lshlrev_b32 v17, v17, v33 :: v_dual_cndmask_b32 v15, v16, v15, s1
	s_delay_alu instid0(VALU_DEP_1) | instskip(NEXT) | instid1(VALU_DEP_2)
	v_and_b32_e32 v17, 7, v17
	v_lshl_add_u32 v15, v15, 23, 0x3b800000
	s_delay_alu instid0(VALU_DEP_2) | instskip(NEXT) | instid1(VALU_DEP_1)
	v_cndmask_b32_e64 v11, v11, v17, s1
	v_dual_lshlrev_b32 v18, 24, v33 :: v_dual_lshlrev_b32 v11, 20, v11
	s_delay_alu instid0(VALU_DEP_1) | instskip(NEXT) | instid1(VALU_DEP_1)
	v_and_b32_e32 v16, 0x80000000, v18
	v_or3_b32 v11, v16, v15, v11
.LBB287_250:
	s_or_b32 exec_lo, exec_lo, s7
	s_delay_alu instid0(VALU_DEP_1) | instskip(SKIP_2) | instid1(SALU_CYCLE_1)
	v_cmp_eq_f32_e64 s1, v0, v11
	s_and_not1_b32 s4, s4, exec_lo
	s_and_b32 s1, s1, exec_lo
	s_or_b32 s4, s4, s1
.LBB287_251:
	s_or_b32 exec_lo, exec_lo, s5
	s_delay_alu instid0(VALU_DEP_1) | instskip(NEXT) | instid1(VALU_DEP_1)
	v_cndmask_b32_e64 v0, 0, 1, s4
	v_lshlrev_b16 v0, 8, v0
	s_delay_alu instid0(VALU_DEP_1) | instskip(NEXT) | instid1(VALU_DEP_1)
	v_bitop3_b16 v0, v4, v0, 0xff bitop3:0xec
	v_and_b32_e32 v0, 0xffff, v0
	s_delay_alu instid0(VALU_DEP_1)
	v_and_or_b32 v4, 0xffff0000, v4, v0
.LBB287_252:
	s_or_b32 exec_lo, exec_lo, s3
	v_add_nc_u32_e32 v0, 0xa00, v6
	s_mov_b32 s3, exec_lo
	s_delay_alu instid0(VALU_DEP_1)
	v_cmpx_lt_i32_e64 v0, v7
	s_cbranch_execz .LBB287_274
; %bb.253:
                                        ; implicit-def: $sgpr4
	s_and_saveexec_b32 s1, s0
	s_delay_alu instid0(SALU_CYCLE_1)
	s_xor_b32 s5, exec_lo, s1
	s_cbranch_execz .LBB287_263
; %bb.254:
	s_wait_loadcnt_dscnt 0x0
	v_and_b32_e32 v11, 0xff, v32
	s_mov_b32 s4, 0
	s_mov_b32 s6, exec_lo
	s_delay_alu instid0(VALU_DEP_1)
	v_cmpx_lt_i16_e32 0x7f, v11
	s_xor_b32 s6, exec_lo, s6
	s_cbranch_execnz .LBB287_577
; %bb.255:
	s_or_saveexec_b32 s6, s6
	v_mov_b32_e32 v0, 0x7f800001
	s_xor_b32 exec_lo, exec_lo, s6
	s_cbranch_execnz .LBB287_580
.LBB287_256:
	s_or_b32 exec_lo, exec_lo, s6
	s_and_saveexec_b32 s6, s4
	s_cbranch_execz .LBB287_258
.LBB287_257:
	v_and_b32_e32 v0, 7, v32
	v_lshrrev_b16 v15, 3, v32
	v_lshlrev_b32_e32 v17, 24, v32
	s_delay_alu instid0(VALU_DEP_3) | instskip(NEXT) | instid1(VALU_DEP_3)
	v_clz_i32_u32_e32 v11, v0
	v_and_b32_e32 v15, 15, v15
	s_delay_alu instid0(VALU_DEP_2) | instskip(NEXT) | instid1(VALU_DEP_2)
	v_min_u32_e32 v11, 32, v11
	v_cmp_eq_u32_e64 s1, 0, v15
	s_delay_alu instid0(VALU_DEP_2) | instskip(NEXT) | instid1(VALU_DEP_1)
	v_subrev_nc_u32_e32 v16, 28, v11
	v_dual_lshlrev_b32 v16, v16, v32 :: v_dual_sub_nc_u32 v11, 29, v11
	s_delay_alu instid0(VALU_DEP_1) | instskip(SKIP_1) | instid1(VALU_DEP_2)
	v_dual_cndmask_b32 v11, v15, v11, s1 :: v_dual_bitop2_b32 v16, 7, v16 bitop3:0x40
	v_and_b32_e32 v15, 0x80000000, v17
	v_cndmask_b32_e64 v0, v0, v16, s1
	s_delay_alu instid0(VALU_DEP_3) | instskip(NEXT) | instid1(VALU_DEP_2)
	v_lshl_add_u32 v11, v11, 23, 0x3b800000
	v_lshlrev_b32_e32 v0, 20, v0
	s_delay_alu instid0(VALU_DEP_1)
	v_or3_b32 v0, v15, v11, v0
.LBB287_258:
	s_or_b32 exec_lo, exec_lo, s6
	v_and_b32_e32 v15, 0xff, v31
	s_mov_b32 s4, 0
	s_mov_b32 s6, exec_lo
	s_delay_alu instid0(VALU_DEP_1)
	v_cmpx_lt_i16_e32 0x7f, v15
	s_xor_b32 s6, exec_lo, s6
	s_cbranch_execnz .LBB287_581
; %bb.259:
	s_or_saveexec_b32 s6, s6
	v_mov_b32_e32 v11, 0x7f800001
	s_xor_b32 exec_lo, exec_lo, s6
	s_cbranch_execnz .LBB287_584
.LBB287_260:
	s_or_b32 exec_lo, exec_lo, s6
	s_and_saveexec_b32 s6, s4
	s_cbranch_execz .LBB287_262
.LBB287_261:
	v_and_b32_e32 v11, 7, v31
	v_lshrrev_b16 v16, 3, v31
	v_lshlrev_b32_e32 v18, 24, v31
	s_delay_alu instid0(VALU_DEP_3) | instskip(NEXT) | instid1(VALU_DEP_1)
	v_clz_i32_u32_e32 v15, v11
	v_min_u32_e32 v15, 32, v15
	s_delay_alu instid0(VALU_DEP_4) | instskip(NEXT) | instid1(VALU_DEP_2)
	v_and_b32_e32 v16, 15, v16
	v_subrev_nc_u32_e32 v17, 28, v15
	v_sub_nc_u32_e32 v15, 29, v15
	s_delay_alu instid0(VALU_DEP_3) | instskip(NEXT) | instid1(VALU_DEP_3)
	v_cmp_eq_u32_e64 s1, 0, v16
	v_lshlrev_b32_e32 v17, v17, v31
	s_delay_alu instid0(VALU_DEP_1) | instskip(SKIP_1) | instid1(VALU_DEP_2)
	v_dual_cndmask_b32 v15, v16, v15, s1 :: v_dual_bitop2_b32 v17, 7, v17 bitop3:0x40
	v_and_b32_e32 v16, 0x80000000, v18
	v_cndmask_b32_e64 v11, v11, v17, s1
	s_delay_alu instid0(VALU_DEP_3) | instskip(NEXT) | instid1(VALU_DEP_2)
	v_lshl_add_u32 v15, v15, 23, 0x3b800000
	v_lshlrev_b32_e32 v11, 20, v11
	s_delay_alu instid0(VALU_DEP_1)
	v_or3_b32 v11, v16, v15, v11
.LBB287_262:
	s_or_b32 exec_lo, exec_lo, s6
	s_delay_alu instid0(VALU_DEP_1)
	v_cmp_neq_f32_e64 s4, v0, v11
                                        ; implicit-def: $vgpr31
                                        ; implicit-def: $vgpr32
.LBB287_263:
	s_and_not1_saveexec_b32 s5, s5
	s_cbranch_execz .LBB287_273
; %bb.264:
	s_wait_loadcnt_dscnt 0x0
	v_and_b32_e32 v11, 0xff, v32
	s_mov_b32 s6, 0
	s_mov_b32 s7, exec_lo
	s_delay_alu instid0(VALU_DEP_1)
	v_cmpx_lt_i16_e32 0x7f, v11
	s_xor_b32 s7, exec_lo, s7
	s_cbranch_execnz .LBB287_585
; %bb.265:
	s_or_saveexec_b32 s7, s7
	v_mov_b32_e32 v0, 0x7f800001
	s_xor_b32 exec_lo, exec_lo, s7
	s_cbranch_execnz .LBB287_588
.LBB287_266:
	s_or_b32 exec_lo, exec_lo, s7
	s_and_saveexec_b32 s7, s6
	s_cbranch_execz .LBB287_268
.LBB287_267:
	v_and_b32_e32 v0, 7, v32
	v_lshrrev_b16 v15, 3, v32
	v_lshlrev_b32_e32 v17, 24, v32
	s_delay_alu instid0(VALU_DEP_3) | instskip(NEXT) | instid1(VALU_DEP_3)
	v_clz_i32_u32_e32 v11, v0
	v_and_b32_e32 v15, 15, v15
	s_delay_alu instid0(VALU_DEP_2) | instskip(NEXT) | instid1(VALU_DEP_2)
	v_min_u32_e32 v11, 32, v11
	v_cmp_eq_u32_e64 s1, 0, v15
	s_delay_alu instid0(VALU_DEP_2) | instskip(NEXT) | instid1(VALU_DEP_1)
	v_subrev_nc_u32_e32 v16, 28, v11
	v_dual_lshlrev_b32 v16, v16, v32 :: v_dual_sub_nc_u32 v11, 29, v11
	s_delay_alu instid0(VALU_DEP_1) | instskip(SKIP_1) | instid1(VALU_DEP_2)
	v_dual_cndmask_b32 v11, v15, v11, s1 :: v_dual_bitop2_b32 v16, 7, v16 bitop3:0x40
	v_and_b32_e32 v15, 0x80000000, v17
	v_cndmask_b32_e64 v0, v0, v16, s1
	s_delay_alu instid0(VALU_DEP_3) | instskip(NEXT) | instid1(VALU_DEP_2)
	v_lshl_add_u32 v11, v11, 23, 0x3b800000
	v_lshlrev_b32_e32 v0, 20, v0
	s_delay_alu instid0(VALU_DEP_1)
	v_or3_b32 v0, v15, v11, v0
.LBB287_268:
	s_or_b32 exec_lo, exec_lo, s7
	v_and_b32_e32 v15, 0xff, v31
	s_mov_b32 s6, 0
	s_mov_b32 s7, exec_lo
	s_delay_alu instid0(VALU_DEP_1)
	v_cmpx_lt_i16_e32 0x7f, v15
	s_xor_b32 s7, exec_lo, s7
	s_cbranch_execnz .LBB287_589
; %bb.269:
	s_or_saveexec_b32 s7, s7
	v_mov_b32_e32 v11, 0x7f800001
	s_xor_b32 exec_lo, exec_lo, s7
	s_cbranch_execnz .LBB287_592
.LBB287_270:
	s_or_b32 exec_lo, exec_lo, s7
	s_and_saveexec_b32 s7, s6
	s_cbranch_execz .LBB287_272
.LBB287_271:
	v_and_b32_e32 v11, 7, v31
	v_lshrrev_b16 v16, 3, v31
	v_lshlrev_b32_e32 v18, 24, v31
	s_delay_alu instid0(VALU_DEP_3) | instskip(NEXT) | instid1(VALU_DEP_1)
	v_clz_i32_u32_e32 v15, v11
	v_min_u32_e32 v15, 32, v15
	s_delay_alu instid0(VALU_DEP_4) | instskip(NEXT) | instid1(VALU_DEP_2)
	v_and_b32_e32 v16, 15, v16
	v_subrev_nc_u32_e32 v17, 28, v15
	v_sub_nc_u32_e32 v15, 29, v15
	s_delay_alu instid0(VALU_DEP_3) | instskip(NEXT) | instid1(VALU_DEP_3)
	v_cmp_eq_u32_e64 s1, 0, v16
	v_lshlrev_b32_e32 v17, v17, v31
	s_delay_alu instid0(VALU_DEP_1) | instskip(SKIP_1) | instid1(VALU_DEP_2)
	v_dual_cndmask_b32 v15, v16, v15, s1 :: v_dual_bitop2_b32 v17, 7, v17 bitop3:0x40
	v_and_b32_e32 v16, 0x80000000, v18
	v_cndmask_b32_e64 v11, v11, v17, s1
	s_delay_alu instid0(VALU_DEP_3) | instskip(NEXT) | instid1(VALU_DEP_2)
	v_lshl_add_u32 v15, v15, 23, 0x3b800000
	v_lshlrev_b32_e32 v11, 20, v11
	s_delay_alu instid0(VALU_DEP_1)
	v_or3_b32 v11, v16, v15, v11
.LBB287_272:
	s_or_b32 exec_lo, exec_lo, s7
	s_delay_alu instid0(VALU_DEP_1) | instskip(SKIP_2) | instid1(SALU_CYCLE_1)
	v_cmp_eq_f32_e64 s1, v0, v11
	s_and_not1_b32 s4, s4, exec_lo
	s_and_b32 s1, s1, exec_lo
	s_or_b32 s4, s4, s1
.LBB287_273:
	s_or_b32 exec_lo, exec_lo, s5
	v_lshrrev_b32_e32 v0, 16, v4
	s_wait_loadcnt_dscnt 0x0
	v_cndmask_b32_e64 v11, 0, 1, s4
	s_delay_alu instid0(VALU_DEP_1) | instskip(NEXT) | instid1(VALU_DEP_1)
	v_bitop3_b16 v0, v11, v0, 0xff00 bitop3:0xf8
	v_lshlrev_b32_e32 v0, 16, v0
	s_delay_alu instid0(VALU_DEP_1)
	v_and_or_b32 v4, 0xffff, v4, v0
.LBB287_274:
	s_or_b32 exec_lo, exec_lo, s3
	v_add_nc_u32_e32 v0, 0xb00, v6
	s_mov_b32 s3, exec_lo
	s_delay_alu instid0(VALU_DEP_1)
	v_cmpx_lt_i32_e64 v0, v7
	s_cbranch_execz .LBB287_296
; %bb.275:
                                        ; implicit-def: $sgpr4
	s_and_saveexec_b32 s1, s0
	s_delay_alu instid0(SALU_CYCLE_1)
	s_xor_b32 s5, exec_lo, s1
	s_cbranch_execz .LBB287_285
; %bb.276:
	s_wait_loadcnt_dscnt 0x0
	v_and_b32_e32 v11, 0xff, v30
	s_mov_b32 s4, 0
	s_mov_b32 s6, exec_lo
	s_delay_alu instid0(VALU_DEP_1)
	v_cmpx_lt_i16_e32 0x7f, v11
	s_xor_b32 s6, exec_lo, s6
	s_cbranch_execnz .LBB287_593
; %bb.277:
	s_or_saveexec_b32 s6, s6
	v_mov_b32_e32 v0, 0x7f800001
	s_xor_b32 exec_lo, exec_lo, s6
	s_cbranch_execnz .LBB287_596
.LBB287_278:
	s_or_b32 exec_lo, exec_lo, s6
	s_and_saveexec_b32 s6, s4
	s_cbranch_execz .LBB287_280
.LBB287_279:
	v_and_b32_e32 v0, 7, v30
	v_lshrrev_b16 v15, 3, v30
	v_lshlrev_b32_e32 v17, 24, v30
	s_delay_alu instid0(VALU_DEP_3) | instskip(NEXT) | instid1(VALU_DEP_3)
	v_clz_i32_u32_e32 v11, v0
	v_and_b32_e32 v15, 15, v15
	s_delay_alu instid0(VALU_DEP_2) | instskip(NEXT) | instid1(VALU_DEP_2)
	v_min_u32_e32 v11, 32, v11
	v_cmp_eq_u32_e64 s1, 0, v15
	s_delay_alu instid0(VALU_DEP_2) | instskip(NEXT) | instid1(VALU_DEP_1)
	v_subrev_nc_u32_e32 v16, 28, v11
	v_dual_lshlrev_b32 v16, v16, v30 :: v_dual_sub_nc_u32 v11, 29, v11
	s_delay_alu instid0(VALU_DEP_1) | instskip(SKIP_1) | instid1(VALU_DEP_2)
	v_dual_cndmask_b32 v11, v15, v11, s1 :: v_dual_bitop2_b32 v16, 7, v16 bitop3:0x40
	v_and_b32_e32 v15, 0x80000000, v17
	v_cndmask_b32_e64 v0, v0, v16, s1
	s_delay_alu instid0(VALU_DEP_3) | instskip(NEXT) | instid1(VALU_DEP_2)
	v_lshl_add_u32 v11, v11, 23, 0x3b800000
	v_lshlrev_b32_e32 v0, 20, v0
	s_delay_alu instid0(VALU_DEP_1)
	v_or3_b32 v0, v15, v11, v0
.LBB287_280:
	s_or_b32 exec_lo, exec_lo, s6
	v_and_b32_e32 v15, 0xff, v29
	s_mov_b32 s4, 0
	s_mov_b32 s6, exec_lo
	s_delay_alu instid0(VALU_DEP_1)
	v_cmpx_lt_i16_e32 0x7f, v15
	s_xor_b32 s6, exec_lo, s6
	s_cbranch_execnz .LBB287_597
; %bb.281:
	s_or_saveexec_b32 s6, s6
	v_mov_b32_e32 v11, 0x7f800001
	s_xor_b32 exec_lo, exec_lo, s6
	s_cbranch_execnz .LBB287_600
.LBB287_282:
	s_or_b32 exec_lo, exec_lo, s6
	s_and_saveexec_b32 s6, s4
	s_cbranch_execz .LBB287_284
.LBB287_283:
	v_and_b32_e32 v11, 7, v29
	v_lshrrev_b16 v16, 3, v29
	s_delay_alu instid0(VALU_DEP_2) | instskip(NEXT) | instid1(VALU_DEP_1)
	v_clz_i32_u32_e32 v15, v11
	v_min_u32_e32 v15, 32, v15
	s_delay_alu instid0(VALU_DEP_3) | instskip(NEXT) | instid1(VALU_DEP_2)
	v_and_b32_e32 v16, 15, v16
	v_subrev_nc_u32_e32 v17, 28, v15
	v_sub_nc_u32_e32 v15, 29, v15
	s_delay_alu instid0(VALU_DEP_3) | instskip(NEXT) | instid1(VALU_DEP_1)
	v_cmp_eq_u32_e64 s1, 0, v16
	v_dual_lshlrev_b32 v17, v17, v29 :: v_dual_cndmask_b32 v15, v16, v15, s1
	s_delay_alu instid0(VALU_DEP_1) | instskip(NEXT) | instid1(VALU_DEP_2)
	v_and_b32_e32 v17, 7, v17
	v_lshl_add_u32 v15, v15, 23, 0x3b800000
	s_delay_alu instid0(VALU_DEP_2) | instskip(NEXT) | instid1(VALU_DEP_1)
	v_cndmask_b32_e64 v11, v11, v17, s1
	v_dual_lshlrev_b32 v18, 24, v29 :: v_dual_lshlrev_b32 v11, 20, v11
	s_delay_alu instid0(VALU_DEP_1) | instskip(NEXT) | instid1(VALU_DEP_1)
	v_and_b32_e32 v16, 0x80000000, v18
	v_or3_b32 v11, v16, v15, v11
.LBB287_284:
	s_or_b32 exec_lo, exec_lo, s6
	s_delay_alu instid0(VALU_DEP_1)
	v_cmp_neq_f32_e64 s4, v0, v11
                                        ; implicit-def: $vgpr29
                                        ; implicit-def: $vgpr30
.LBB287_285:
	s_and_not1_saveexec_b32 s5, s5
	s_cbranch_execz .LBB287_295
; %bb.286:
	s_wait_loadcnt_dscnt 0x0
	v_and_b32_e32 v11, 0xff, v30
	s_mov_b32 s6, 0
	s_mov_b32 s7, exec_lo
	s_delay_alu instid0(VALU_DEP_1)
	v_cmpx_lt_i16_e32 0x7f, v11
	s_xor_b32 s7, exec_lo, s7
	s_cbranch_execnz .LBB287_601
; %bb.287:
	s_or_saveexec_b32 s7, s7
	v_mov_b32_e32 v0, 0x7f800001
	s_xor_b32 exec_lo, exec_lo, s7
	s_cbranch_execnz .LBB287_604
.LBB287_288:
	s_or_b32 exec_lo, exec_lo, s7
	s_and_saveexec_b32 s7, s6
	s_cbranch_execz .LBB287_290
.LBB287_289:
	v_and_b32_e32 v0, 7, v30
	v_lshrrev_b16 v15, 3, v30
	v_lshlrev_b32_e32 v17, 24, v30
	s_delay_alu instid0(VALU_DEP_3) | instskip(NEXT) | instid1(VALU_DEP_3)
	v_clz_i32_u32_e32 v11, v0
	v_and_b32_e32 v15, 15, v15
	s_delay_alu instid0(VALU_DEP_2) | instskip(NEXT) | instid1(VALU_DEP_2)
	v_min_u32_e32 v11, 32, v11
	v_cmp_eq_u32_e64 s1, 0, v15
	s_delay_alu instid0(VALU_DEP_2) | instskip(NEXT) | instid1(VALU_DEP_1)
	v_subrev_nc_u32_e32 v16, 28, v11
	v_dual_lshlrev_b32 v16, v16, v30 :: v_dual_sub_nc_u32 v11, 29, v11
	s_delay_alu instid0(VALU_DEP_1) | instskip(SKIP_1) | instid1(VALU_DEP_2)
	v_dual_cndmask_b32 v11, v15, v11, s1 :: v_dual_bitop2_b32 v16, 7, v16 bitop3:0x40
	v_and_b32_e32 v15, 0x80000000, v17
	v_cndmask_b32_e64 v0, v0, v16, s1
	s_delay_alu instid0(VALU_DEP_3) | instskip(NEXT) | instid1(VALU_DEP_2)
	v_lshl_add_u32 v11, v11, 23, 0x3b800000
	v_lshlrev_b32_e32 v0, 20, v0
	s_delay_alu instid0(VALU_DEP_1)
	v_or3_b32 v0, v15, v11, v0
.LBB287_290:
	s_or_b32 exec_lo, exec_lo, s7
	v_and_b32_e32 v15, 0xff, v29
	s_mov_b32 s6, 0
	s_mov_b32 s7, exec_lo
	s_delay_alu instid0(VALU_DEP_1)
	v_cmpx_lt_i16_e32 0x7f, v15
	s_xor_b32 s7, exec_lo, s7
	s_cbranch_execnz .LBB287_605
; %bb.291:
	s_or_saveexec_b32 s7, s7
	v_mov_b32_e32 v11, 0x7f800001
	s_xor_b32 exec_lo, exec_lo, s7
	s_cbranch_execnz .LBB287_608
.LBB287_292:
	s_or_b32 exec_lo, exec_lo, s7
	s_and_saveexec_b32 s7, s6
	s_cbranch_execz .LBB287_294
.LBB287_293:
	v_and_b32_e32 v11, 7, v29
	v_lshrrev_b16 v16, 3, v29
	s_delay_alu instid0(VALU_DEP_2) | instskip(NEXT) | instid1(VALU_DEP_1)
	v_clz_i32_u32_e32 v15, v11
	v_min_u32_e32 v15, 32, v15
	s_delay_alu instid0(VALU_DEP_3) | instskip(NEXT) | instid1(VALU_DEP_2)
	v_and_b32_e32 v16, 15, v16
	v_subrev_nc_u32_e32 v17, 28, v15
	v_sub_nc_u32_e32 v15, 29, v15
	s_delay_alu instid0(VALU_DEP_3) | instskip(NEXT) | instid1(VALU_DEP_1)
	v_cmp_eq_u32_e64 s1, 0, v16
	v_dual_lshlrev_b32 v17, v17, v29 :: v_dual_cndmask_b32 v15, v16, v15, s1
	s_delay_alu instid0(VALU_DEP_1) | instskip(NEXT) | instid1(VALU_DEP_2)
	v_and_b32_e32 v17, 7, v17
	v_lshl_add_u32 v15, v15, 23, 0x3b800000
	s_delay_alu instid0(VALU_DEP_2) | instskip(NEXT) | instid1(VALU_DEP_1)
	v_cndmask_b32_e64 v11, v11, v17, s1
	v_dual_lshlrev_b32 v18, 24, v29 :: v_dual_lshlrev_b32 v11, 20, v11
	s_delay_alu instid0(VALU_DEP_1) | instskip(NEXT) | instid1(VALU_DEP_1)
	v_and_b32_e32 v16, 0x80000000, v18
	v_or3_b32 v11, v16, v15, v11
.LBB287_294:
	s_or_b32 exec_lo, exec_lo, s7
	s_delay_alu instid0(VALU_DEP_1) | instskip(SKIP_2) | instid1(SALU_CYCLE_1)
	v_cmp_eq_f32_e64 s1, v0, v11
	s_and_not1_b32 s4, s4, exec_lo
	s_and_b32 s1, s1, exec_lo
	s_or_b32 s4, s4, s1
.LBB287_295:
	s_or_b32 exec_lo, exec_lo, s5
	s_delay_alu instid0(VALU_DEP_1) | instskip(SKIP_2) | instid1(VALU_DEP_2)
	v_cndmask_b32_e64 v0, 0, 1, s4
	s_wait_loadcnt_dscnt 0x0
	v_lshrrev_b32_e32 v11, 16, v4
	v_lshlrev_b16 v0, 8, v0
	s_delay_alu instid0(VALU_DEP_1) | instskip(NEXT) | instid1(VALU_DEP_1)
	v_bitop3_b16 v0, v11, v0, 0xff bitop3:0xec
	v_lshlrev_b32_e32 v0, 16, v0
	s_delay_alu instid0(VALU_DEP_1)
	v_and_or_b32 v4, 0xffff, v4, v0
.LBB287_296:
	s_or_b32 exec_lo, exec_lo, s3
	v_or_b32_e32 v0, 0xc00, v6
	s_mov_b32 s3, exec_lo
	s_delay_alu instid0(VALU_DEP_1)
	v_cmpx_lt_i32_e64 v0, v7
	s_cbranch_execz .LBB287_318
; %bb.297:
                                        ; implicit-def: $sgpr4
	s_and_saveexec_b32 s1, s0
	s_delay_alu instid0(SALU_CYCLE_1)
	s_xor_b32 s5, exec_lo, s1
	s_cbranch_execz .LBB287_307
; %bb.298:
	s_wait_loadcnt_dscnt 0x0
	v_and_b32_e32 v11, 0xff, v28
	s_mov_b32 s4, 0
	s_mov_b32 s6, exec_lo
	s_delay_alu instid0(VALU_DEP_1)
	v_cmpx_lt_i16_e32 0x7f, v11
	s_xor_b32 s6, exec_lo, s6
	s_cbranch_execnz .LBB287_609
; %bb.299:
	s_or_saveexec_b32 s6, s6
	v_mov_b32_e32 v0, 0x7f800001
	s_xor_b32 exec_lo, exec_lo, s6
	s_cbranch_execnz .LBB287_612
.LBB287_300:
	s_or_b32 exec_lo, exec_lo, s6
	s_and_saveexec_b32 s6, s4
	s_cbranch_execz .LBB287_302
.LBB287_301:
	v_and_b32_e32 v0, 7, v28
	v_lshrrev_b16 v15, 3, v28
	v_lshlrev_b32_e32 v17, 24, v28
	s_delay_alu instid0(VALU_DEP_3) | instskip(NEXT) | instid1(VALU_DEP_3)
	v_clz_i32_u32_e32 v11, v0
	v_and_b32_e32 v15, 15, v15
	s_delay_alu instid0(VALU_DEP_2) | instskip(NEXT) | instid1(VALU_DEP_2)
	v_min_u32_e32 v11, 32, v11
	v_cmp_eq_u32_e64 s1, 0, v15
	s_delay_alu instid0(VALU_DEP_2) | instskip(NEXT) | instid1(VALU_DEP_1)
	v_subrev_nc_u32_e32 v16, 28, v11
	v_dual_lshlrev_b32 v16, v16, v28 :: v_dual_sub_nc_u32 v11, 29, v11
	s_delay_alu instid0(VALU_DEP_1) | instskip(SKIP_1) | instid1(VALU_DEP_2)
	v_dual_cndmask_b32 v11, v15, v11, s1 :: v_dual_bitop2_b32 v16, 7, v16 bitop3:0x40
	v_and_b32_e32 v15, 0x80000000, v17
	v_cndmask_b32_e64 v0, v0, v16, s1
	s_delay_alu instid0(VALU_DEP_3) | instskip(NEXT) | instid1(VALU_DEP_2)
	v_lshl_add_u32 v11, v11, 23, 0x3b800000
	v_lshlrev_b32_e32 v0, 20, v0
	s_delay_alu instid0(VALU_DEP_1)
	v_or3_b32 v0, v15, v11, v0
.LBB287_302:
	s_or_b32 exec_lo, exec_lo, s6
	v_and_b32_e32 v15, 0xff, v27
	s_mov_b32 s4, 0
	s_mov_b32 s6, exec_lo
	s_delay_alu instid0(VALU_DEP_1)
	v_cmpx_lt_i16_e32 0x7f, v15
	s_xor_b32 s6, exec_lo, s6
	s_cbranch_execnz .LBB287_613
; %bb.303:
	s_or_saveexec_b32 s6, s6
	v_mov_b32_e32 v11, 0x7f800001
	s_xor_b32 exec_lo, exec_lo, s6
	s_cbranch_execnz .LBB287_616
.LBB287_304:
	s_or_b32 exec_lo, exec_lo, s6
	s_and_saveexec_b32 s6, s4
	s_cbranch_execz .LBB287_306
.LBB287_305:
	v_and_b32_e32 v11, 7, v27
	v_lshrrev_b16 v16, 3, v27
	v_lshlrev_b32_e32 v18, 24, v27
	s_delay_alu instid0(VALU_DEP_3) | instskip(NEXT) | instid1(VALU_DEP_1)
	v_clz_i32_u32_e32 v15, v11
	v_min_u32_e32 v15, 32, v15
	s_delay_alu instid0(VALU_DEP_4) | instskip(NEXT) | instid1(VALU_DEP_2)
	v_and_b32_e32 v16, 15, v16
	v_subrev_nc_u32_e32 v17, 28, v15
	v_sub_nc_u32_e32 v15, 29, v15
	s_delay_alu instid0(VALU_DEP_3) | instskip(NEXT) | instid1(VALU_DEP_3)
	v_cmp_eq_u32_e64 s1, 0, v16
	v_lshlrev_b32_e32 v17, v17, v27
	s_delay_alu instid0(VALU_DEP_1) | instskip(SKIP_1) | instid1(VALU_DEP_2)
	v_dual_cndmask_b32 v15, v16, v15, s1 :: v_dual_bitop2_b32 v17, 7, v17 bitop3:0x40
	v_and_b32_e32 v16, 0x80000000, v18
	v_cndmask_b32_e64 v11, v11, v17, s1
	s_delay_alu instid0(VALU_DEP_3) | instskip(NEXT) | instid1(VALU_DEP_2)
	v_lshl_add_u32 v15, v15, 23, 0x3b800000
	v_lshlrev_b32_e32 v11, 20, v11
	s_delay_alu instid0(VALU_DEP_1)
	v_or3_b32 v11, v16, v15, v11
.LBB287_306:
	s_or_b32 exec_lo, exec_lo, s6
	s_delay_alu instid0(VALU_DEP_1)
	v_cmp_neq_f32_e64 s4, v0, v11
                                        ; implicit-def: $vgpr27
                                        ; implicit-def: $vgpr28
.LBB287_307:
	s_and_not1_saveexec_b32 s5, s5
	s_cbranch_execz .LBB287_317
; %bb.308:
	s_wait_loadcnt_dscnt 0x0
	v_and_b32_e32 v11, 0xff, v28
	s_mov_b32 s6, 0
	s_mov_b32 s7, exec_lo
	s_delay_alu instid0(VALU_DEP_1)
	v_cmpx_lt_i16_e32 0x7f, v11
	s_xor_b32 s7, exec_lo, s7
	s_cbranch_execnz .LBB287_617
; %bb.309:
	s_or_saveexec_b32 s7, s7
	v_mov_b32_e32 v0, 0x7f800001
	s_xor_b32 exec_lo, exec_lo, s7
	s_cbranch_execnz .LBB287_620
.LBB287_310:
	s_or_b32 exec_lo, exec_lo, s7
	s_and_saveexec_b32 s7, s6
	s_cbranch_execz .LBB287_312
.LBB287_311:
	v_and_b32_e32 v0, 7, v28
	v_lshrrev_b16 v15, 3, v28
	v_lshlrev_b32_e32 v17, 24, v28
	s_delay_alu instid0(VALU_DEP_3) | instskip(NEXT) | instid1(VALU_DEP_3)
	v_clz_i32_u32_e32 v11, v0
	v_and_b32_e32 v15, 15, v15
	s_delay_alu instid0(VALU_DEP_2) | instskip(NEXT) | instid1(VALU_DEP_2)
	v_min_u32_e32 v11, 32, v11
	v_cmp_eq_u32_e64 s1, 0, v15
	s_delay_alu instid0(VALU_DEP_2) | instskip(NEXT) | instid1(VALU_DEP_1)
	v_subrev_nc_u32_e32 v16, 28, v11
	v_dual_lshlrev_b32 v16, v16, v28 :: v_dual_sub_nc_u32 v11, 29, v11
	s_delay_alu instid0(VALU_DEP_1) | instskip(SKIP_1) | instid1(VALU_DEP_2)
	v_dual_cndmask_b32 v11, v15, v11, s1 :: v_dual_bitop2_b32 v16, 7, v16 bitop3:0x40
	v_and_b32_e32 v15, 0x80000000, v17
	v_cndmask_b32_e64 v0, v0, v16, s1
	s_delay_alu instid0(VALU_DEP_3) | instskip(NEXT) | instid1(VALU_DEP_2)
	v_lshl_add_u32 v11, v11, 23, 0x3b800000
	v_lshlrev_b32_e32 v0, 20, v0
	s_delay_alu instid0(VALU_DEP_1)
	v_or3_b32 v0, v15, v11, v0
.LBB287_312:
	s_or_b32 exec_lo, exec_lo, s7
	v_and_b32_e32 v15, 0xff, v27
	s_mov_b32 s6, 0
	s_mov_b32 s7, exec_lo
	s_delay_alu instid0(VALU_DEP_1)
	v_cmpx_lt_i16_e32 0x7f, v15
	s_xor_b32 s7, exec_lo, s7
	s_cbranch_execnz .LBB287_621
; %bb.313:
	s_or_saveexec_b32 s7, s7
	v_mov_b32_e32 v11, 0x7f800001
	s_xor_b32 exec_lo, exec_lo, s7
	s_cbranch_execnz .LBB287_624
.LBB287_314:
	s_or_b32 exec_lo, exec_lo, s7
	s_and_saveexec_b32 s7, s6
	s_cbranch_execz .LBB287_316
.LBB287_315:
	v_and_b32_e32 v11, 7, v27
	v_lshrrev_b16 v16, 3, v27
	v_lshlrev_b32_e32 v18, 24, v27
	s_delay_alu instid0(VALU_DEP_3) | instskip(NEXT) | instid1(VALU_DEP_1)
	v_clz_i32_u32_e32 v15, v11
	v_min_u32_e32 v15, 32, v15
	s_delay_alu instid0(VALU_DEP_4) | instskip(NEXT) | instid1(VALU_DEP_2)
	v_and_b32_e32 v16, 15, v16
	v_subrev_nc_u32_e32 v17, 28, v15
	v_sub_nc_u32_e32 v15, 29, v15
	s_delay_alu instid0(VALU_DEP_3) | instskip(NEXT) | instid1(VALU_DEP_3)
	v_cmp_eq_u32_e64 s1, 0, v16
	v_lshlrev_b32_e32 v17, v17, v27
	s_delay_alu instid0(VALU_DEP_1) | instskip(SKIP_1) | instid1(VALU_DEP_2)
	v_dual_cndmask_b32 v15, v16, v15, s1 :: v_dual_bitop2_b32 v17, 7, v17 bitop3:0x40
	v_and_b32_e32 v16, 0x80000000, v18
	v_cndmask_b32_e64 v11, v11, v17, s1
	s_delay_alu instid0(VALU_DEP_3) | instskip(NEXT) | instid1(VALU_DEP_2)
	v_lshl_add_u32 v15, v15, 23, 0x3b800000
	v_lshlrev_b32_e32 v11, 20, v11
	s_delay_alu instid0(VALU_DEP_1)
	v_or3_b32 v11, v16, v15, v11
.LBB287_316:
	s_or_b32 exec_lo, exec_lo, s7
	s_delay_alu instid0(VALU_DEP_1) | instskip(SKIP_2) | instid1(SALU_CYCLE_1)
	v_cmp_eq_f32_e64 s1, v0, v11
	s_and_not1_b32 s4, s4, exec_lo
	s_and_b32 s1, s1, exec_lo
	s_or_b32 s4, s4, s1
.LBB287_317:
	s_or_b32 exec_lo, exec_lo, s5
	s_delay_alu instid0(VALU_DEP_1) | instskip(NEXT) | instid1(VALU_DEP_1)
	v_cndmask_b32_e64 v0, 0, 1, s4
	v_bitop3_b16 v0, v0, v3, 0xff00 bitop3:0xf8
	s_delay_alu instid0(VALU_DEP_1) | instskip(NEXT) | instid1(VALU_DEP_1)
	v_and_b32_e32 v0, 0xffff, v0
	v_and_or_b32 v3, 0xffff0000, v3, v0
.LBB287_318:
	s_or_b32 exec_lo, exec_lo, s3
	v_add_nc_u32_e32 v0, 0xd00, v6
	s_mov_b32 s3, exec_lo
	s_delay_alu instid0(VALU_DEP_1)
	v_cmpx_lt_i32_e64 v0, v7
	s_cbranch_execz .LBB287_340
; %bb.319:
                                        ; implicit-def: $sgpr4
	s_and_saveexec_b32 s1, s0
	s_delay_alu instid0(SALU_CYCLE_1)
	s_xor_b32 s5, exec_lo, s1
	s_cbranch_execz .LBB287_329
; %bb.320:
	s_wait_loadcnt_dscnt 0x0
	v_and_b32_e32 v11, 0xff, v26
	s_mov_b32 s4, 0
	s_mov_b32 s6, exec_lo
	s_delay_alu instid0(VALU_DEP_1)
	v_cmpx_lt_i16_e32 0x7f, v11
	s_xor_b32 s6, exec_lo, s6
	s_cbranch_execnz .LBB287_625
; %bb.321:
	s_or_saveexec_b32 s6, s6
	v_mov_b32_e32 v0, 0x7f800001
	s_xor_b32 exec_lo, exec_lo, s6
	s_cbranch_execnz .LBB287_628
.LBB287_322:
	s_or_b32 exec_lo, exec_lo, s6
	s_and_saveexec_b32 s6, s4
	s_cbranch_execz .LBB287_324
.LBB287_323:
	v_and_b32_e32 v0, 7, v26
	v_lshrrev_b16 v15, 3, v26
	v_lshlrev_b32_e32 v17, 24, v26
	s_delay_alu instid0(VALU_DEP_3) | instskip(NEXT) | instid1(VALU_DEP_3)
	v_clz_i32_u32_e32 v11, v0
	v_and_b32_e32 v15, 15, v15
	s_delay_alu instid0(VALU_DEP_2) | instskip(NEXT) | instid1(VALU_DEP_2)
	v_min_u32_e32 v11, 32, v11
	v_cmp_eq_u32_e64 s1, 0, v15
	s_delay_alu instid0(VALU_DEP_2) | instskip(NEXT) | instid1(VALU_DEP_1)
	v_subrev_nc_u32_e32 v16, 28, v11
	v_dual_lshlrev_b32 v16, v16, v26 :: v_dual_sub_nc_u32 v11, 29, v11
	s_delay_alu instid0(VALU_DEP_1) | instskip(SKIP_1) | instid1(VALU_DEP_2)
	v_dual_cndmask_b32 v11, v15, v11, s1 :: v_dual_bitop2_b32 v16, 7, v16 bitop3:0x40
	v_and_b32_e32 v15, 0x80000000, v17
	v_cndmask_b32_e64 v0, v0, v16, s1
	s_delay_alu instid0(VALU_DEP_3) | instskip(NEXT) | instid1(VALU_DEP_2)
	v_lshl_add_u32 v11, v11, 23, 0x3b800000
	v_lshlrev_b32_e32 v0, 20, v0
	s_delay_alu instid0(VALU_DEP_1)
	v_or3_b32 v0, v15, v11, v0
.LBB287_324:
	s_or_b32 exec_lo, exec_lo, s6
	v_and_b32_e32 v15, 0xff, v25
	s_mov_b32 s4, 0
	s_mov_b32 s6, exec_lo
	s_delay_alu instid0(VALU_DEP_1)
	v_cmpx_lt_i16_e32 0x7f, v15
	s_xor_b32 s6, exec_lo, s6
	s_cbranch_execnz .LBB287_629
; %bb.325:
	s_or_saveexec_b32 s6, s6
	v_mov_b32_e32 v11, 0x7f800001
	s_xor_b32 exec_lo, exec_lo, s6
	s_cbranch_execnz .LBB287_632
.LBB287_326:
	s_or_b32 exec_lo, exec_lo, s6
	s_and_saveexec_b32 s6, s4
	s_cbranch_execz .LBB287_328
.LBB287_327:
	v_and_b32_e32 v11, 7, v25
	v_lshrrev_b16 v16, 3, v25
	s_delay_alu instid0(VALU_DEP_2) | instskip(NEXT) | instid1(VALU_DEP_1)
	v_clz_i32_u32_e32 v15, v11
	v_min_u32_e32 v15, 32, v15
	s_delay_alu instid0(VALU_DEP_3) | instskip(NEXT) | instid1(VALU_DEP_2)
	v_and_b32_e32 v16, 15, v16
	v_subrev_nc_u32_e32 v17, 28, v15
	v_sub_nc_u32_e32 v15, 29, v15
	s_delay_alu instid0(VALU_DEP_3) | instskip(NEXT) | instid1(VALU_DEP_1)
	v_cmp_eq_u32_e64 s1, 0, v16
	v_dual_lshlrev_b32 v17, v17, v25 :: v_dual_cndmask_b32 v15, v16, v15, s1
	s_delay_alu instid0(VALU_DEP_1) | instskip(NEXT) | instid1(VALU_DEP_2)
	v_and_b32_e32 v17, 7, v17
	v_lshl_add_u32 v15, v15, 23, 0x3b800000
	s_delay_alu instid0(VALU_DEP_2) | instskip(NEXT) | instid1(VALU_DEP_1)
	v_cndmask_b32_e64 v11, v11, v17, s1
	v_dual_lshlrev_b32 v18, 24, v25 :: v_dual_lshlrev_b32 v11, 20, v11
	s_delay_alu instid0(VALU_DEP_1) | instskip(NEXT) | instid1(VALU_DEP_1)
	v_and_b32_e32 v16, 0x80000000, v18
	v_or3_b32 v11, v16, v15, v11
.LBB287_328:
	s_or_b32 exec_lo, exec_lo, s6
	s_delay_alu instid0(VALU_DEP_1)
	v_cmp_neq_f32_e64 s4, v0, v11
                                        ; implicit-def: $vgpr25
                                        ; implicit-def: $vgpr26
.LBB287_329:
	s_and_not1_saveexec_b32 s5, s5
	s_cbranch_execz .LBB287_339
; %bb.330:
	s_wait_loadcnt_dscnt 0x0
	v_and_b32_e32 v11, 0xff, v26
	s_mov_b32 s6, 0
	s_mov_b32 s7, exec_lo
	s_delay_alu instid0(VALU_DEP_1)
	v_cmpx_lt_i16_e32 0x7f, v11
	s_xor_b32 s7, exec_lo, s7
	s_cbranch_execnz .LBB287_633
; %bb.331:
	s_or_saveexec_b32 s7, s7
	v_mov_b32_e32 v0, 0x7f800001
	s_xor_b32 exec_lo, exec_lo, s7
	s_cbranch_execnz .LBB287_636
.LBB287_332:
	s_or_b32 exec_lo, exec_lo, s7
	s_and_saveexec_b32 s7, s6
	s_cbranch_execz .LBB287_334
.LBB287_333:
	v_and_b32_e32 v0, 7, v26
	v_lshrrev_b16 v15, 3, v26
	v_lshlrev_b32_e32 v17, 24, v26
	s_delay_alu instid0(VALU_DEP_3) | instskip(NEXT) | instid1(VALU_DEP_3)
	v_clz_i32_u32_e32 v11, v0
	v_and_b32_e32 v15, 15, v15
	s_delay_alu instid0(VALU_DEP_2) | instskip(NEXT) | instid1(VALU_DEP_2)
	v_min_u32_e32 v11, 32, v11
	v_cmp_eq_u32_e64 s1, 0, v15
	s_delay_alu instid0(VALU_DEP_2) | instskip(NEXT) | instid1(VALU_DEP_1)
	v_subrev_nc_u32_e32 v16, 28, v11
	v_dual_lshlrev_b32 v16, v16, v26 :: v_dual_sub_nc_u32 v11, 29, v11
	s_delay_alu instid0(VALU_DEP_1) | instskip(SKIP_1) | instid1(VALU_DEP_2)
	v_dual_cndmask_b32 v11, v15, v11, s1 :: v_dual_bitop2_b32 v16, 7, v16 bitop3:0x40
	v_and_b32_e32 v15, 0x80000000, v17
	v_cndmask_b32_e64 v0, v0, v16, s1
	s_delay_alu instid0(VALU_DEP_3) | instskip(NEXT) | instid1(VALU_DEP_2)
	v_lshl_add_u32 v11, v11, 23, 0x3b800000
	v_lshlrev_b32_e32 v0, 20, v0
	s_delay_alu instid0(VALU_DEP_1)
	v_or3_b32 v0, v15, v11, v0
.LBB287_334:
	s_or_b32 exec_lo, exec_lo, s7
	v_and_b32_e32 v15, 0xff, v25
	s_mov_b32 s6, 0
	s_mov_b32 s7, exec_lo
	s_delay_alu instid0(VALU_DEP_1)
	v_cmpx_lt_i16_e32 0x7f, v15
	s_xor_b32 s7, exec_lo, s7
	s_cbranch_execnz .LBB287_637
; %bb.335:
	s_or_saveexec_b32 s7, s7
	v_mov_b32_e32 v11, 0x7f800001
	s_xor_b32 exec_lo, exec_lo, s7
	s_cbranch_execnz .LBB287_640
.LBB287_336:
	s_or_b32 exec_lo, exec_lo, s7
	s_and_saveexec_b32 s7, s6
	s_cbranch_execz .LBB287_338
.LBB287_337:
	v_and_b32_e32 v11, 7, v25
	v_lshrrev_b16 v16, 3, v25
	s_delay_alu instid0(VALU_DEP_2) | instskip(NEXT) | instid1(VALU_DEP_1)
	v_clz_i32_u32_e32 v15, v11
	v_min_u32_e32 v15, 32, v15
	s_delay_alu instid0(VALU_DEP_3) | instskip(NEXT) | instid1(VALU_DEP_2)
	v_and_b32_e32 v16, 15, v16
	v_subrev_nc_u32_e32 v17, 28, v15
	v_sub_nc_u32_e32 v15, 29, v15
	s_delay_alu instid0(VALU_DEP_3) | instskip(NEXT) | instid1(VALU_DEP_1)
	v_cmp_eq_u32_e64 s1, 0, v16
	v_dual_lshlrev_b32 v17, v17, v25 :: v_dual_cndmask_b32 v15, v16, v15, s1
	s_delay_alu instid0(VALU_DEP_1) | instskip(NEXT) | instid1(VALU_DEP_2)
	v_and_b32_e32 v17, 7, v17
	v_lshl_add_u32 v15, v15, 23, 0x3b800000
	s_delay_alu instid0(VALU_DEP_2) | instskip(NEXT) | instid1(VALU_DEP_1)
	v_cndmask_b32_e64 v11, v11, v17, s1
	v_dual_lshlrev_b32 v18, 24, v25 :: v_dual_lshlrev_b32 v11, 20, v11
	s_delay_alu instid0(VALU_DEP_1) | instskip(NEXT) | instid1(VALU_DEP_1)
	v_and_b32_e32 v16, 0x80000000, v18
	v_or3_b32 v11, v16, v15, v11
.LBB287_338:
	s_or_b32 exec_lo, exec_lo, s7
	s_delay_alu instid0(VALU_DEP_1) | instskip(SKIP_2) | instid1(SALU_CYCLE_1)
	v_cmp_eq_f32_e64 s1, v0, v11
	s_and_not1_b32 s4, s4, exec_lo
	s_and_b32 s1, s1, exec_lo
	s_or_b32 s4, s4, s1
.LBB287_339:
	s_or_b32 exec_lo, exec_lo, s5
	s_delay_alu instid0(VALU_DEP_1) | instskip(NEXT) | instid1(VALU_DEP_1)
	v_cndmask_b32_e64 v0, 0, 1, s4
	v_lshlrev_b16 v0, 8, v0
	s_delay_alu instid0(VALU_DEP_1) | instskip(NEXT) | instid1(VALU_DEP_1)
	v_bitop3_b16 v0, v3, v0, 0xff bitop3:0xec
	v_and_b32_e32 v0, 0xffff, v0
	s_delay_alu instid0(VALU_DEP_1)
	v_and_or_b32 v3, 0xffff0000, v3, v0
.LBB287_340:
	s_or_b32 exec_lo, exec_lo, s3
	v_add_nc_u32_e32 v0, 0xe00, v6
	s_mov_b32 s3, exec_lo
	s_delay_alu instid0(VALU_DEP_1)
	v_cmpx_lt_i32_e64 v0, v7
	s_cbranch_execz .LBB287_362
; %bb.341:
                                        ; implicit-def: $sgpr4
	s_and_saveexec_b32 s1, s0
	s_delay_alu instid0(SALU_CYCLE_1)
	s_xor_b32 s5, exec_lo, s1
	s_cbranch_execz .LBB287_351
; %bb.342:
	s_wait_loadcnt_dscnt 0x0
	v_and_b32_e32 v11, 0xff, v14
	s_mov_b32 s4, 0
	s_mov_b32 s6, exec_lo
	s_delay_alu instid0(VALU_DEP_1)
	v_cmpx_lt_i16_e32 0x7f, v11
	s_xor_b32 s6, exec_lo, s6
	s_cbranch_execnz .LBB287_641
; %bb.343:
	s_or_saveexec_b32 s6, s6
	v_mov_b32_e32 v0, 0x7f800001
	s_xor_b32 exec_lo, exec_lo, s6
	s_cbranch_execnz .LBB287_644
.LBB287_344:
	s_or_b32 exec_lo, exec_lo, s6
	s_and_saveexec_b32 s6, s4
	s_cbranch_execz .LBB287_346
.LBB287_345:
	v_and_b32_e32 v0, 7, v14
	v_lshrrev_b16 v15, 3, v14
	s_delay_alu instid0(VALU_DEP_2) | instskip(NEXT) | instid1(VALU_DEP_2)
	v_clz_i32_u32_e32 v11, v0
	v_and_b32_e32 v15, 15, v15
	s_delay_alu instid0(VALU_DEP_2) | instskip(NEXT) | instid1(VALU_DEP_1)
	v_min_u32_e32 v11, 32, v11
	v_subrev_nc_u32_e32 v16, 28, v11
	s_delay_alu instid0(VALU_DEP_1) | instskip(SKIP_2) | instid1(VALU_DEP_3)
	v_dual_lshlrev_b32 v16, v16, v14 :: v_dual_sub_nc_u32 v11, 29, v11
	v_lshlrev_b32_e32 v14, 24, v14
	v_cmp_eq_u32_e64 s1, 0, v15
	v_and_b32_e32 v16, 7, v16
	s_delay_alu instid0(VALU_DEP_3) | instskip(NEXT) | instid1(VALU_DEP_2)
	v_and_b32_e32 v14, 0x80000000, v14
	v_dual_cndmask_b32 v11, v15, v11, s1 :: v_dual_cndmask_b32 v0, v0, v16, s1
	s_delay_alu instid0(VALU_DEP_1) | instskip(NEXT) | instid1(VALU_DEP_2)
	v_lshl_add_u32 v11, v11, 23, 0x3b800000
	v_lshlrev_b32_e32 v0, 20, v0
	s_delay_alu instid0(VALU_DEP_1)
	v_or3_b32 v0, v14, v11, v0
.LBB287_346:
	s_or_b32 exec_lo, exec_lo, s6
	v_and_b32_e32 v14, 0xff, v13
	s_mov_b32 s4, 0
	s_mov_b32 s6, exec_lo
	s_delay_alu instid0(VALU_DEP_1)
	v_cmpx_lt_i16_e32 0x7f, v14
	s_xor_b32 s6, exec_lo, s6
	s_cbranch_execnz .LBB287_645
; %bb.347:
	s_or_saveexec_b32 s6, s6
	v_mov_b32_e32 v11, 0x7f800001
	s_xor_b32 exec_lo, exec_lo, s6
	s_cbranch_execnz .LBB287_648
.LBB287_348:
	s_or_b32 exec_lo, exec_lo, s6
	s_and_saveexec_b32 s6, s4
	s_cbranch_execz .LBB287_350
.LBB287_349:
	v_and_b32_e32 v11, 7, v13
	v_lshrrev_b16 v15, 3, v13
	s_delay_alu instid0(VALU_DEP_2) | instskip(NEXT) | instid1(VALU_DEP_1)
	v_clz_i32_u32_e32 v14, v11
	v_min_u32_e32 v14, 32, v14
	s_delay_alu instid0(VALU_DEP_3) | instskip(NEXT) | instid1(VALU_DEP_2)
	v_and_b32_e32 v15, 15, v15
	v_subrev_nc_u32_e32 v16, 28, v14
	v_sub_nc_u32_e32 v14, 29, v14
	s_delay_alu instid0(VALU_DEP_3) | instskip(NEXT) | instid1(VALU_DEP_3)
	v_cmp_eq_u32_e64 s1, 0, v15
	v_dual_lshlrev_b32 v16, v16, v13 :: v_dual_lshlrev_b32 v13, 24, v13
	s_delay_alu instid0(VALU_DEP_1) | instskip(NEXT) | instid1(VALU_DEP_2)
	v_and_b32_e32 v16, 7, v16
	v_and_b32_e32 v13, 0x80000000, v13
	s_delay_alu instid0(VALU_DEP_2) | instskip(NEXT) | instid1(VALU_DEP_1)
	v_cndmask_b32_e64 v11, v11, v16, s1
	v_dual_cndmask_b32 v14, v15, v14, s1 :: v_dual_lshlrev_b32 v11, 20, v11
	s_delay_alu instid0(VALU_DEP_1) | instskip(NEXT) | instid1(VALU_DEP_1)
	v_lshl_add_u32 v14, v14, 23, 0x3b800000
	v_or3_b32 v11, v13, v14, v11
.LBB287_350:
	s_or_b32 exec_lo, exec_lo, s6
	s_delay_alu instid0(VALU_DEP_1)
	v_cmp_neq_f32_e64 s4, v0, v11
                                        ; implicit-def: $vgpr13
                                        ; implicit-def: $vgpr14
.LBB287_351:
	s_and_not1_saveexec_b32 s5, s5
	s_cbranch_execz .LBB287_361
; %bb.352:
	s_wait_loadcnt_dscnt 0x0
	v_and_b32_e32 v11, 0xff, v14
	s_mov_b32 s6, 0
	s_mov_b32 s7, exec_lo
	s_delay_alu instid0(VALU_DEP_1)
	v_cmpx_lt_i16_e32 0x7f, v11
	s_xor_b32 s7, exec_lo, s7
	s_cbranch_execnz .LBB287_649
; %bb.353:
	s_or_saveexec_b32 s7, s7
	v_mov_b32_e32 v0, 0x7f800001
	s_xor_b32 exec_lo, exec_lo, s7
	s_cbranch_execnz .LBB287_652
.LBB287_354:
	s_or_b32 exec_lo, exec_lo, s7
	s_and_saveexec_b32 s7, s6
	s_cbranch_execz .LBB287_356
.LBB287_355:
	v_and_b32_e32 v0, 7, v14
	v_lshrrev_b16 v15, 3, v14
	s_delay_alu instid0(VALU_DEP_2) | instskip(NEXT) | instid1(VALU_DEP_2)
	v_clz_i32_u32_e32 v11, v0
	v_and_b32_e32 v15, 15, v15
	s_delay_alu instid0(VALU_DEP_2) | instskip(NEXT) | instid1(VALU_DEP_1)
	v_min_u32_e32 v11, 32, v11
	v_subrev_nc_u32_e32 v16, 28, v11
	s_delay_alu instid0(VALU_DEP_1) | instskip(SKIP_2) | instid1(VALU_DEP_3)
	v_dual_lshlrev_b32 v16, v16, v14 :: v_dual_sub_nc_u32 v11, 29, v11
	v_lshlrev_b32_e32 v14, 24, v14
	v_cmp_eq_u32_e64 s1, 0, v15
	v_and_b32_e32 v16, 7, v16
	s_delay_alu instid0(VALU_DEP_3) | instskip(NEXT) | instid1(VALU_DEP_2)
	v_and_b32_e32 v14, 0x80000000, v14
	v_dual_cndmask_b32 v11, v15, v11, s1 :: v_dual_cndmask_b32 v0, v0, v16, s1
	s_delay_alu instid0(VALU_DEP_1) | instskip(NEXT) | instid1(VALU_DEP_2)
	v_lshl_add_u32 v11, v11, 23, 0x3b800000
	v_lshlrev_b32_e32 v0, 20, v0
	s_delay_alu instid0(VALU_DEP_1)
	v_or3_b32 v0, v14, v11, v0
.LBB287_356:
	s_or_b32 exec_lo, exec_lo, s7
	v_and_b32_e32 v14, 0xff, v13
	s_mov_b32 s6, 0
	s_mov_b32 s7, exec_lo
	s_delay_alu instid0(VALU_DEP_1)
	v_cmpx_lt_i16_e32 0x7f, v14
	s_xor_b32 s7, exec_lo, s7
	s_cbranch_execnz .LBB287_653
; %bb.357:
	s_or_saveexec_b32 s7, s7
	v_mov_b32_e32 v11, 0x7f800001
	s_xor_b32 exec_lo, exec_lo, s7
	s_cbranch_execnz .LBB287_656
.LBB287_358:
	s_or_b32 exec_lo, exec_lo, s7
	s_and_saveexec_b32 s7, s6
	s_cbranch_execz .LBB287_360
.LBB287_359:
	v_and_b32_e32 v11, 7, v13
	v_lshrrev_b16 v15, 3, v13
	s_delay_alu instid0(VALU_DEP_2) | instskip(NEXT) | instid1(VALU_DEP_1)
	v_clz_i32_u32_e32 v14, v11
	v_min_u32_e32 v14, 32, v14
	s_delay_alu instid0(VALU_DEP_3) | instskip(NEXT) | instid1(VALU_DEP_2)
	v_and_b32_e32 v15, 15, v15
	v_subrev_nc_u32_e32 v16, 28, v14
	v_sub_nc_u32_e32 v14, 29, v14
	s_delay_alu instid0(VALU_DEP_3) | instskip(NEXT) | instid1(VALU_DEP_3)
	v_cmp_eq_u32_e64 s1, 0, v15
	v_dual_lshlrev_b32 v16, v16, v13 :: v_dual_lshlrev_b32 v13, 24, v13
	s_delay_alu instid0(VALU_DEP_1) | instskip(NEXT) | instid1(VALU_DEP_2)
	v_and_b32_e32 v16, 7, v16
	v_and_b32_e32 v13, 0x80000000, v13
	s_delay_alu instid0(VALU_DEP_2) | instskip(NEXT) | instid1(VALU_DEP_1)
	v_cndmask_b32_e64 v11, v11, v16, s1
	v_dual_cndmask_b32 v14, v15, v14, s1 :: v_dual_lshlrev_b32 v11, 20, v11
	s_delay_alu instid0(VALU_DEP_1) | instskip(NEXT) | instid1(VALU_DEP_1)
	v_lshl_add_u32 v14, v14, 23, 0x3b800000
	v_or3_b32 v11, v13, v14, v11
.LBB287_360:
	s_or_b32 exec_lo, exec_lo, s7
	s_delay_alu instid0(VALU_DEP_1) | instskip(SKIP_2) | instid1(SALU_CYCLE_1)
	v_cmp_eq_f32_e64 s1, v0, v11
	s_and_not1_b32 s4, s4, exec_lo
	s_and_b32 s1, s1, exec_lo
	s_or_b32 s4, s4, s1
.LBB287_361:
	s_or_b32 exec_lo, exec_lo, s5
	v_lshrrev_b32_e32 v0, 16, v3
	s_wait_loadcnt_dscnt 0x0
	v_cndmask_b32_e64 v11, 0, 1, s4
	s_delay_alu instid0(VALU_DEP_1) | instskip(NEXT) | instid1(VALU_DEP_1)
	v_bitop3_b16 v0, v11, v0, 0xff00 bitop3:0xf8
	v_lshlrev_b32_e32 v0, 16, v0
	s_delay_alu instid0(VALU_DEP_1)
	v_and_or_b32 v3, 0xffff, v3, v0
.LBB287_362:
	s_or_b32 exec_lo, exec_lo, s3
	v_add_nc_u32_e32 v0, 0xf00, v6
	s_mov_b32 s3, exec_lo
	s_delay_alu instid0(VALU_DEP_1)
	v_cmpx_lt_i32_e64 v0, v7
	s_cbranch_execnz .LBB287_380
; %bb.363:
	s_or_b32 exec_lo, exec_lo, s3
	s_and_saveexec_b32 s0, vcc_lo
	s_delay_alu instid0(SALU_CYCLE_1)
	s_xor_b32 s0, exec_lo, s0
	s_cbranch_execnz .LBB287_401
.LBB287_364:
	s_or_b32 exec_lo, exec_lo, s0
	s_delay_alu instid0(SALU_CYCLE_1)
	s_mov_b32 s0, exec_lo
	v_cmpx_lt_i32_e64 v6, v7
	s_cbranch_execnz .LBB287_402
.LBB287_365:
	s_or_b32 exec_lo, exec_lo, s0
	s_delay_alu instid0(SALU_CYCLE_1)
	s_mov_b32 s0, exec_lo
	v_cmpx_lt_i32_e64 v6, v7
	s_cbranch_execnz .LBB287_403
.LBB287_366:
	s_or_b32 exec_lo, exec_lo, s0
	s_delay_alu instid0(SALU_CYCLE_1)
	s_mov_b32 s0, exec_lo
	v_cmpx_lt_i32_e64 v6, v7
	s_cbranch_execnz .LBB287_404
.LBB287_367:
	s_or_b32 exec_lo, exec_lo, s0
	s_delay_alu instid0(SALU_CYCLE_1)
	s_mov_b32 s0, exec_lo
	v_cmpx_lt_i32_e64 v6, v7
	s_cbranch_execnz .LBB287_405
.LBB287_368:
	s_or_b32 exec_lo, exec_lo, s0
	s_delay_alu instid0(SALU_CYCLE_1)
	s_mov_b32 s0, exec_lo
	v_cmpx_lt_i32_e64 v6, v7
	s_cbranch_execnz .LBB287_406
.LBB287_369:
	s_or_b32 exec_lo, exec_lo, s0
	s_delay_alu instid0(SALU_CYCLE_1)
	s_mov_b32 s0, exec_lo
	v_cmpx_lt_i32_e64 v6, v7
	s_cbranch_execnz .LBB287_407
.LBB287_370:
	s_or_b32 exec_lo, exec_lo, s0
	s_delay_alu instid0(SALU_CYCLE_1)
	s_mov_b32 s0, exec_lo
	v_cmpx_lt_i32_e64 v6, v7
	s_cbranch_execnz .LBB287_408
.LBB287_371:
	s_or_b32 exec_lo, exec_lo, s0
	s_delay_alu instid0(SALU_CYCLE_1)
	s_mov_b32 s0, exec_lo
	v_cmpx_lt_i32_e64 v6, v7
	s_cbranch_execnz .LBB287_409
.LBB287_372:
	s_or_b32 exec_lo, exec_lo, s0
	s_delay_alu instid0(SALU_CYCLE_1)
	s_mov_b32 s0, exec_lo
	v_cmpx_lt_i32_e64 v6, v7
	s_cbranch_execnz .LBB287_410
.LBB287_373:
	s_or_b32 exec_lo, exec_lo, s0
	s_delay_alu instid0(SALU_CYCLE_1)
	s_mov_b32 s0, exec_lo
	v_cmpx_lt_i32_e64 v6, v7
	s_cbranch_execnz .LBB287_411
.LBB287_374:
	s_or_b32 exec_lo, exec_lo, s0
	s_delay_alu instid0(SALU_CYCLE_1)
	s_mov_b32 s0, exec_lo
	v_cmpx_lt_i32_e64 v6, v7
	s_cbranch_execnz .LBB287_412
.LBB287_375:
	s_or_b32 exec_lo, exec_lo, s0
	s_delay_alu instid0(SALU_CYCLE_1)
	s_mov_b32 s0, exec_lo
	v_cmpx_lt_i32_e64 v6, v7
	s_cbranch_execnz .LBB287_413
.LBB287_376:
	s_or_b32 exec_lo, exec_lo, s0
	s_delay_alu instid0(SALU_CYCLE_1)
	s_mov_b32 s0, exec_lo
	v_cmpx_lt_i32_e64 v6, v7
	s_cbranch_execnz .LBB287_414
.LBB287_377:
	s_or_b32 exec_lo, exec_lo, s0
	s_delay_alu instid0(SALU_CYCLE_1)
	s_mov_b32 s0, exec_lo
	v_cmpx_lt_i32_e64 v6, v7
	s_cbranch_execnz .LBB287_415
.LBB287_378:
	s_or_b32 exec_lo, exec_lo, s0
	s_delay_alu instid0(SALU_CYCLE_1)
	s_mov_b32 s0, exec_lo
	v_cmpx_lt_i32_e64 v6, v7
	s_cbranch_execnz .LBB287_416
.LBB287_379:
	s_or_b32 exec_lo, exec_lo, s0
	s_wait_loadcnt_dscnt 0x0
	s_set_pc_i64 s[30:31]
.LBB287_380:
                                        ; implicit-def: $sgpr1
	s_and_saveexec_b32 s4, s0
	s_delay_alu instid0(SALU_CYCLE_1)
	s_xor_b32 s4, exec_lo, s4
	s_cbranch_execz .LBB287_390
; %bb.381:
	s_wait_loadcnt_dscnt 0x0
	v_and_b32_e32 v11, 0xff, v12
	s_mov_b32 s1, 0
	s_mov_b32 s5, exec_lo
	s_delay_alu instid0(VALU_DEP_1)
	v_cmpx_lt_i16_e32 0x7f, v11
	s_xor_b32 s5, exec_lo, s5
	s_cbranch_execnz .LBB287_657
; %bb.382:
	s_or_saveexec_b32 s5, s5
	v_mov_b32_e32 v0, 0x7f800001
	s_xor_b32 exec_lo, exec_lo, s5
	s_cbranch_execnz .LBB287_660
.LBB287_383:
	s_or_b32 exec_lo, exec_lo, s5
	s_and_saveexec_b32 s5, s1
	s_cbranch_execz .LBB287_385
.LBB287_384:
	v_and_b32_e32 v0, 7, v12
	v_lshrrev_b16 v13, 3, v12
	s_delay_alu instid0(VALU_DEP_2) | instskip(NEXT) | instid1(VALU_DEP_1)
	v_clz_i32_u32_e32 v11, v0
	v_min_u32_e32 v11, 32, v11
	s_delay_alu instid0(VALU_DEP_3) | instskip(NEXT) | instid1(VALU_DEP_2)
	v_and_b32_e32 v13, 15, v13
	v_subrev_nc_u32_e32 v14, 28, v11
	v_sub_nc_u32_e32 v11, 29, v11
	s_delay_alu instid0(VALU_DEP_3) | instskip(NEXT) | instid1(VALU_DEP_3)
	v_cmp_eq_u32_e64 s0, 0, v13
	v_dual_lshlrev_b32 v14, v14, v12 :: v_dual_lshlrev_b32 v12, 24, v12
	s_delay_alu instid0(VALU_DEP_1) | instskip(NEXT) | instid1(VALU_DEP_2)
	v_dual_cndmask_b32 v11, v13, v11, s0 :: v_dual_bitop2_b32 v14, 7, v14 bitop3:0x40
	v_and_b32_e32 v12, 0x80000000, v12
	s_delay_alu instid0(VALU_DEP_2) | instskip(NEXT) | instid1(VALU_DEP_3)
	v_cndmask_b32_e64 v0, v0, v14, s0
	v_lshl_add_u32 v11, v11, 23, 0x3b800000
	s_delay_alu instid0(VALU_DEP_2) | instskip(NEXT) | instid1(VALU_DEP_1)
	v_lshlrev_b32_e32 v0, 20, v0
	v_or3_b32 v0, v12, v11, v0
.LBB287_385:
	s_or_b32 exec_lo, exec_lo, s5
	v_and_b32_e32 v12, 0xff, v5
	s_mov_b32 s1, 0
	s_mov_b32 s5, exec_lo
	s_delay_alu instid0(VALU_DEP_1)
	v_cmpx_lt_i16_e32 0x7f, v12
	s_xor_b32 s5, exec_lo, s5
	s_cbranch_execnz .LBB287_661
; %bb.386:
	s_or_saveexec_b32 s5, s5
	v_mov_b32_e32 v11, 0x7f800001
	s_xor_b32 exec_lo, exec_lo, s5
	s_cbranch_execnz .LBB287_664
.LBB287_387:
	s_or_b32 exec_lo, exec_lo, s5
	s_and_saveexec_b32 s5, s1
	s_cbranch_execz .LBB287_389
.LBB287_388:
	v_and_b32_e32 v11, 7, v5
	v_lshrrev_b16 v13, 3, v5
	s_delay_alu instid0(VALU_DEP_2) | instskip(NEXT) | instid1(VALU_DEP_1)
	v_clz_i32_u32_e32 v12, v11
	v_min_u32_e32 v12, 32, v12
	s_delay_alu instid0(VALU_DEP_3) | instskip(NEXT) | instid1(VALU_DEP_2)
	v_and_b32_e32 v13, 15, v13
	v_subrev_nc_u32_e32 v14, 28, v12
	v_sub_nc_u32_e32 v12, 29, v12
	s_delay_alu instid0(VALU_DEP_3) | instskip(NEXT) | instid1(VALU_DEP_3)
	v_cmp_eq_u32_e64 s0, 0, v13
	v_dual_lshlrev_b32 v14, v14, v5 :: v_dual_lshlrev_b32 v5, 24, v5
	s_delay_alu instid0(VALU_DEP_1) | instskip(NEXT) | instid1(VALU_DEP_2)
	v_dual_cndmask_b32 v12, v13, v12, s0 :: v_dual_bitop2_b32 v14, 7, v14 bitop3:0x40
	v_and_b32_e32 v5, 0x80000000, v5
	s_delay_alu instid0(VALU_DEP_2) | instskip(NEXT) | instid1(VALU_DEP_3)
	v_cndmask_b32_e64 v11, v11, v14, s0
	v_lshl_add_u32 v12, v12, 23, 0x3b800000
	s_delay_alu instid0(VALU_DEP_2) | instskip(NEXT) | instid1(VALU_DEP_1)
	v_lshlrev_b32_e32 v11, 20, v11
	v_or3_b32 v11, v5, v12, v11
.LBB287_389:
	s_or_b32 exec_lo, exec_lo, s5
	s_delay_alu instid0(VALU_DEP_1)
	v_cmp_neq_f32_e64 s1, v0, v11
                                        ; implicit-def: $vgpr5
                                        ; implicit-def: $vgpr12
.LBB287_390:
	s_and_not1_saveexec_b32 s4, s4
	s_cbranch_execz .LBB287_400
; %bb.391:
	s_wait_loadcnt_dscnt 0x0
	v_and_b32_e32 v11, 0xff, v12
	s_mov_b32 s5, 0
	s_mov_b32 s6, exec_lo
	s_delay_alu instid0(VALU_DEP_1)
	v_cmpx_lt_i16_e32 0x7f, v11
	s_xor_b32 s6, exec_lo, s6
	s_cbranch_execnz .LBB287_665
; %bb.392:
	s_or_saveexec_b32 s6, s6
	v_mov_b32_e32 v0, 0x7f800001
	s_xor_b32 exec_lo, exec_lo, s6
	s_cbranch_execnz .LBB287_668
.LBB287_393:
	s_or_b32 exec_lo, exec_lo, s6
	s_and_saveexec_b32 s6, s5
	s_cbranch_execz .LBB287_395
.LBB287_394:
	v_and_b32_e32 v0, 7, v12
	v_lshrrev_b16 v13, 3, v12
	s_delay_alu instid0(VALU_DEP_2) | instskip(NEXT) | instid1(VALU_DEP_1)
	v_clz_i32_u32_e32 v11, v0
	v_min_u32_e32 v11, 32, v11
	s_delay_alu instid0(VALU_DEP_3) | instskip(NEXT) | instid1(VALU_DEP_2)
	v_and_b32_e32 v13, 15, v13
	v_subrev_nc_u32_e32 v14, 28, v11
	v_sub_nc_u32_e32 v11, 29, v11
	s_delay_alu instid0(VALU_DEP_3) | instskip(NEXT) | instid1(VALU_DEP_3)
	v_cmp_eq_u32_e64 s0, 0, v13
	v_dual_lshlrev_b32 v14, v14, v12 :: v_dual_lshlrev_b32 v12, 24, v12
	s_delay_alu instid0(VALU_DEP_1) | instskip(NEXT) | instid1(VALU_DEP_2)
	v_dual_cndmask_b32 v11, v13, v11, s0 :: v_dual_bitop2_b32 v14, 7, v14 bitop3:0x40
	v_and_b32_e32 v12, 0x80000000, v12
	s_delay_alu instid0(VALU_DEP_2) | instskip(NEXT) | instid1(VALU_DEP_3)
	v_cndmask_b32_e64 v0, v0, v14, s0
	v_lshl_add_u32 v11, v11, 23, 0x3b800000
	s_delay_alu instid0(VALU_DEP_2) | instskip(NEXT) | instid1(VALU_DEP_1)
	v_lshlrev_b32_e32 v0, 20, v0
	v_or3_b32 v0, v12, v11, v0
.LBB287_395:
	s_or_b32 exec_lo, exec_lo, s6
	v_and_b32_e32 v12, 0xff, v5
	s_mov_b32 s5, 0
	s_mov_b32 s6, exec_lo
	s_delay_alu instid0(VALU_DEP_1)
	v_cmpx_lt_i16_e32 0x7f, v12
	s_xor_b32 s6, exec_lo, s6
	s_cbranch_execnz .LBB287_669
; %bb.396:
	s_or_saveexec_b32 s6, s6
	v_mov_b32_e32 v11, 0x7f800001
	s_xor_b32 exec_lo, exec_lo, s6
	s_cbranch_execnz .LBB287_672
.LBB287_397:
	s_or_b32 exec_lo, exec_lo, s6
	s_and_saveexec_b32 s6, s5
	s_cbranch_execz .LBB287_399
.LBB287_398:
	v_and_b32_e32 v11, 7, v5
	v_lshrrev_b16 v13, 3, v5
	s_delay_alu instid0(VALU_DEP_2) | instskip(NEXT) | instid1(VALU_DEP_1)
	v_clz_i32_u32_e32 v12, v11
	v_min_u32_e32 v12, 32, v12
	s_delay_alu instid0(VALU_DEP_3) | instskip(NEXT) | instid1(VALU_DEP_2)
	v_and_b32_e32 v13, 15, v13
	v_subrev_nc_u32_e32 v14, 28, v12
	v_sub_nc_u32_e32 v12, 29, v12
	s_delay_alu instid0(VALU_DEP_3) | instskip(NEXT) | instid1(VALU_DEP_3)
	v_cmp_eq_u32_e64 s0, 0, v13
	v_dual_lshlrev_b32 v14, v14, v5 :: v_dual_lshlrev_b32 v5, 24, v5
	s_delay_alu instid0(VALU_DEP_1) | instskip(NEXT) | instid1(VALU_DEP_2)
	v_dual_cndmask_b32 v12, v13, v12, s0 :: v_dual_bitop2_b32 v14, 7, v14 bitop3:0x40
	v_and_b32_e32 v5, 0x80000000, v5
	s_delay_alu instid0(VALU_DEP_2) | instskip(NEXT) | instid1(VALU_DEP_3)
	v_cndmask_b32_e64 v11, v11, v14, s0
	v_lshl_add_u32 v12, v12, 23, 0x3b800000
	s_delay_alu instid0(VALU_DEP_2) | instskip(NEXT) | instid1(VALU_DEP_1)
	v_lshlrev_b32_e32 v11, 20, v11
	v_or3_b32 v11, v5, v12, v11
.LBB287_399:
	s_or_b32 exec_lo, exec_lo, s6
	s_delay_alu instid0(VALU_DEP_1) | instskip(SKIP_2) | instid1(SALU_CYCLE_1)
	v_cmp_eq_f32_e64 s0, v0, v11
	s_and_not1_b32 s1, s1, exec_lo
	s_and_b32 s0, s0, exec_lo
	s_or_b32 s1, s1, s0
.LBB287_400:
	s_or_b32 exec_lo, exec_lo, s4
	s_delay_alu instid0(VALU_DEP_1) | instskip(SKIP_2) | instid1(VALU_DEP_2)
	v_cndmask_b32_e64 v0, 0, 1, s1
	s_wait_loadcnt_dscnt 0x0
	v_lshrrev_b32_e32 v5, 16, v3
	v_lshlrev_b16 v0, 8, v0
	s_delay_alu instid0(VALU_DEP_1) | instskip(NEXT) | instid1(VALU_DEP_1)
	v_bitop3_b16 v0, v5, v0, 0xff bitop3:0xec
	v_lshlrev_b32_e32 v0, 16, v0
	s_delay_alu instid0(VALU_DEP_1) | instskip(SKIP_2) | instid1(SALU_CYCLE_1)
	v_and_or_b32 v3, 0xffff, v3, v0
	s_or_b32 exec_lo, exec_lo, s3
	s_and_saveexec_b32 s0, vcc_lo
	s_xor_b32 s0, exec_lo, s0
	s_cbranch_execz .LBB287_364
.LBB287_401:
	s_wait_loadcnt_dscnt 0x0
	v_dual_mov_b32 v11, 0 :: v_dual_mov_b32 v6, v24
	s_delay_alu instid0(VALU_DEP_1) | instskip(SKIP_3) | instid1(SALU_CYCLE_1)
	v_add_nc_u64_e32 v[10:11], v[8:9], v[10:11]
	flat_store_b8 v[10:11], v2
	s_wait_xcnt 0x0
	s_or_b32 exec_lo, exec_lo, s0
	s_mov_b32 s0, exec_lo
	v_cmpx_lt_i32_e64 v6, v7
	s_cbranch_execz .LBB287_365
.LBB287_402:
	s_wait_loadcnt_dscnt 0x0
	v_dual_mov_b32 v11, 0 :: v_dual_add_nc_u32 v10, s2, v6
	v_lshrrev_b32_e32 v0, 8, v2
	v_add_nc_u32_e32 v6, 0x100, v6
	s_delay_alu instid0(VALU_DEP_3) | instskip(SKIP_3) | instid1(SALU_CYCLE_1)
	v_add_nc_u64_e32 v[10:11], v[8:9], v[10:11]
	flat_store_b8 v[10:11], v0
	s_wait_xcnt 0x0
	s_or_b32 exec_lo, exec_lo, s0
	s_mov_b32 s0, exec_lo
	v_cmpx_lt_i32_e64 v6, v7
	s_cbranch_execz .LBB287_366
.LBB287_403:
	s_wait_loadcnt_dscnt 0x0
	v_dual_mov_b32 v11, 0 :: v_dual_add_nc_u32 v10, s2, v6
	v_add_nc_u32_e32 v6, 0x100, v6
	s_delay_alu instid0(VALU_DEP_2) | instskip(SKIP_3) | instid1(SALU_CYCLE_1)
	v_add_nc_u64_e32 v[10:11], v[8:9], v[10:11]
	flat_store_d16_hi_b8 v[10:11], v2
	s_wait_xcnt 0x0
	s_or_b32 exec_lo, exec_lo, s0
	s_mov_b32 s0, exec_lo
	v_cmpx_lt_i32_e64 v6, v7
	s_cbranch_execz .LBB287_367
.LBB287_404:
	s_wait_loadcnt_dscnt 0x0
	v_dual_mov_b32 v11, 0 :: v_dual_add_nc_u32 v10, s2, v6
	v_lshrrev_b32_e32 v0, 24, v2
	v_add_nc_u32_e32 v6, 0x100, v6
	s_delay_alu instid0(VALU_DEP_3) | instskip(SKIP_3) | instid1(SALU_CYCLE_1)
	v_add_nc_u64_e32 v[10:11], v[8:9], v[10:11]
	flat_store_b8 v[10:11], v0
	s_wait_xcnt 0x0
	s_or_b32 exec_lo, exec_lo, s0
	s_mov_b32 s0, exec_lo
	v_cmpx_lt_i32_e64 v6, v7
	s_cbranch_execz .LBB287_368
.LBB287_405:
	s_wait_loadcnt_dscnt 0x0
	v_dual_mov_b32 v11, 0 :: v_dual_add_nc_u32 v10, s2, v6
	v_add_nc_u32_e32 v6, 0x100, v6
	s_delay_alu instid0(VALU_DEP_2) | instskip(SKIP_3) | instid1(SALU_CYCLE_1)
	v_add_nc_u64_e32 v[10:11], v[8:9], v[10:11]
	flat_store_b8 v[10:11], v1
	s_wait_xcnt 0x0
	s_or_b32 exec_lo, exec_lo, s0
	s_mov_b32 s0, exec_lo
	v_cmpx_lt_i32_e64 v6, v7
	s_cbranch_execz .LBB287_369
.LBB287_406:
	s_wait_loadcnt_dscnt 0x0
	v_dual_mov_b32 v11, 0 :: v_dual_add_nc_u32 v10, s2, v6
	v_lshrrev_b32_e32 v0, 8, v1
	v_add_nc_u32_e32 v6, 0x100, v6
	s_delay_alu instid0(VALU_DEP_3) | instskip(SKIP_3) | instid1(SALU_CYCLE_1)
	v_add_nc_u64_e32 v[10:11], v[8:9], v[10:11]
	flat_store_b8 v[10:11], v0
	s_wait_xcnt 0x0
	s_or_b32 exec_lo, exec_lo, s0
	s_mov_b32 s0, exec_lo
	v_cmpx_lt_i32_e64 v6, v7
	s_cbranch_execz .LBB287_370
.LBB287_407:
	s_wait_loadcnt_dscnt 0x0
	v_dual_mov_b32 v11, 0 :: v_dual_add_nc_u32 v10, s2, v6
	v_add_nc_u32_e32 v6, 0x100, v6
	s_delay_alu instid0(VALU_DEP_2) | instskip(SKIP_3) | instid1(SALU_CYCLE_1)
	v_add_nc_u64_e32 v[10:11], v[8:9], v[10:11]
	flat_store_d16_hi_b8 v[10:11], v1
	s_wait_xcnt 0x0
	s_or_b32 exec_lo, exec_lo, s0
	s_mov_b32 s0, exec_lo
	v_cmpx_lt_i32_e64 v6, v7
	s_cbranch_execz .LBB287_371
.LBB287_408:
	s_wait_loadcnt_dscnt 0x0
	v_dual_mov_b32 v11, 0 :: v_dual_add_nc_u32 v10, s2, v6
	v_lshrrev_b32_e32 v0, 24, v1
	v_add_nc_u32_e32 v6, 0x100, v6
	s_delay_alu instid0(VALU_DEP_3) | instskip(SKIP_3) | instid1(SALU_CYCLE_1)
	v_add_nc_u64_e32 v[10:11], v[8:9], v[10:11]
	flat_store_b8 v[10:11], v0
	s_wait_xcnt 0x0
	s_or_b32 exec_lo, exec_lo, s0
	s_mov_b32 s0, exec_lo
	v_cmpx_lt_i32_e64 v6, v7
	s_cbranch_execz .LBB287_372
.LBB287_409:
	v_dual_mov_b32 v1, 0 :: v_dual_add_nc_u32 v0, s2, v6
	v_add_nc_u32_e32 v6, 0x100, v6
	s_delay_alu instid0(VALU_DEP_2) | instskip(SKIP_3) | instid1(SALU_CYCLE_1)
	v_add_nc_u64_e32 v[0:1], v[8:9], v[0:1]
	flat_store_b8 v[0:1], v4
	s_wait_xcnt 0x0
	s_or_b32 exec_lo, exec_lo, s0
	s_mov_b32 s0, exec_lo
	v_cmpx_lt_i32_e64 v6, v7
	s_cbranch_execz .LBB287_373
.LBB287_410:
	v_dual_mov_b32 v1, 0 :: v_dual_add_nc_u32 v0, s2, v6
	v_lshrrev_b32_e32 v2, 8, v4
	v_add_nc_u32_e32 v6, 0x100, v6
	s_delay_alu instid0(VALU_DEP_3) | instskip(SKIP_3) | instid1(SALU_CYCLE_1)
	v_add_nc_u64_e32 v[0:1], v[8:9], v[0:1]
	flat_store_b8 v[0:1], v2
	s_wait_xcnt 0x0
	s_or_b32 exec_lo, exec_lo, s0
	s_mov_b32 s0, exec_lo
	v_cmpx_lt_i32_e64 v6, v7
	s_cbranch_execz .LBB287_374
.LBB287_411:
	v_dual_mov_b32 v1, 0 :: v_dual_add_nc_u32 v0, s2, v6
	v_add_nc_u32_e32 v6, 0x100, v6
	s_delay_alu instid0(VALU_DEP_2) | instskip(SKIP_3) | instid1(SALU_CYCLE_1)
	v_add_nc_u64_e32 v[0:1], v[8:9], v[0:1]
	flat_store_d16_hi_b8 v[0:1], v4
	s_wait_xcnt 0x0
	s_or_b32 exec_lo, exec_lo, s0
	s_mov_b32 s0, exec_lo
	v_cmpx_lt_i32_e64 v6, v7
	s_cbranch_execz .LBB287_375
.LBB287_412:
	v_dual_mov_b32 v1, 0 :: v_dual_add_nc_u32 v0, s2, v6
	v_lshrrev_b32_e32 v2, 24, v4
	v_add_nc_u32_e32 v6, 0x100, v6
	s_delay_alu instid0(VALU_DEP_3) | instskip(SKIP_3) | instid1(SALU_CYCLE_1)
	v_add_nc_u64_e32 v[0:1], v[8:9], v[0:1]
	flat_store_b8 v[0:1], v2
	s_wait_xcnt 0x0
	s_or_b32 exec_lo, exec_lo, s0
	s_mov_b32 s0, exec_lo
	v_cmpx_lt_i32_e64 v6, v7
	s_cbranch_execz .LBB287_376
.LBB287_413:
	v_dual_mov_b32 v1, 0 :: v_dual_add_nc_u32 v0, s2, v6
	v_add_nc_u32_e32 v6, 0x100, v6
	s_delay_alu instid0(VALU_DEP_2) | instskip(SKIP_3) | instid1(SALU_CYCLE_1)
	v_add_nc_u64_e32 v[0:1], v[8:9], v[0:1]
	flat_store_b8 v[0:1], v3
	s_wait_xcnt 0x0
	s_or_b32 exec_lo, exec_lo, s0
	s_mov_b32 s0, exec_lo
	v_cmpx_lt_i32_e64 v6, v7
	s_cbranch_execz .LBB287_377
.LBB287_414:
	v_dual_mov_b32 v1, 0 :: v_dual_add_nc_u32 v0, s2, v6
	v_lshrrev_b32_e32 v2, 8, v3
	v_add_nc_u32_e32 v6, 0x100, v6
	s_delay_alu instid0(VALU_DEP_3) | instskip(SKIP_3) | instid1(SALU_CYCLE_1)
	v_add_nc_u64_e32 v[0:1], v[8:9], v[0:1]
	flat_store_b8 v[0:1], v2
	s_wait_xcnt 0x0
	s_or_b32 exec_lo, exec_lo, s0
	s_mov_b32 s0, exec_lo
	v_cmpx_lt_i32_e64 v6, v7
	s_cbranch_execz .LBB287_378
.LBB287_415:
	v_dual_mov_b32 v1, 0 :: v_dual_add_nc_u32 v0, s2, v6
	v_add_nc_u32_e32 v6, 0x100, v6
	s_delay_alu instid0(VALU_DEP_2) | instskip(SKIP_3) | instid1(SALU_CYCLE_1)
	v_add_nc_u64_e32 v[0:1], v[8:9], v[0:1]
	flat_store_d16_hi_b8 v[0:1], v3
	s_wait_xcnt 0x0
	s_or_b32 exec_lo, exec_lo, s0
	s_mov_b32 s0, exec_lo
	v_cmpx_lt_i32_e64 v6, v7
	s_cbranch_execz .LBB287_379
.LBB287_416:
	v_dual_mov_b32 v1, 0 :: v_dual_add_nc_u32 v0, s2, v6
	v_lshrrev_b32_e32 v2, 24, v3
	s_delay_alu instid0(VALU_DEP_2)
	v_add_nc_u64_e32 v[0:1], v[8:9], v[0:1]
	flat_store_b8 v[0:1], v2
	s_wait_xcnt 0x0
	s_or_b32 exec_lo, exec_lo, s0
	s_wait_loadcnt_dscnt 0x0
	s_set_pc_i64 s[30:31]
.LBB287_417:
	s_mov_b32 s4, -1
	s_mov_b32 s7, exec_lo
	v_cmpx_eq_u16_e32 0x80, v1
; %bb.418:
	s_xor_b32 s4, exec_lo, -1
; %bb.419:
	s_or_b32 exec_lo, exec_lo, s7
	s_delay_alu instid0(SALU_CYCLE_1)
	s_and_b32 s4, s4, exec_lo
                                        ; implicit-def: $vgpr1
	s_or_saveexec_b32 s6, s6
	v_mov_b32_e32 v0, 0x7f800001
	s_xor_b32 exec_lo, exec_lo, s6
	s_cbranch_execz .LBB287_36
.LBB287_420:
	v_cmp_ne_u16_e64 s1, 0, v1
	v_mov_b32_e32 v0, 0
	s_and_not1_b32 s4, s4, exec_lo
	s_and_b32 s1, s1, exec_lo
	s_delay_alu instid0(SALU_CYCLE_1)
	s_or_b32 s4, s4, s1
	s_or_b32 exec_lo, exec_lo, s6
	s_and_saveexec_b32 s6, s4
	s_cbranch_execnz .LBB287_37
	s_branch .LBB287_38
.LBB287_421:
	s_mov_b32 s4, -1
	s_mov_b32 s7, exec_lo
	v_cmpx_eq_u16_e32 0x80, v2
; %bb.422:
	s_xor_b32 s4, exec_lo, -1
; %bb.423:
	s_or_b32 exec_lo, exec_lo, s7
	s_delay_alu instid0(SALU_CYCLE_1)
	s_and_b32 s4, s4, exec_lo
                                        ; implicit-def: $vgpr2
	s_or_saveexec_b32 s6, s6
	v_mov_b32_e32 v1, 0x7f800001
	s_xor_b32 exec_lo, exec_lo, s6
	s_cbranch_execz .LBB287_40
.LBB287_424:
	v_cmp_ne_u16_e64 s1, 0, v2
	v_mov_b32_e32 v1, 0
	s_and_not1_b32 s4, s4, exec_lo
	s_and_b32 s1, s1, exec_lo
	s_delay_alu instid0(SALU_CYCLE_1)
	s_or_b32 s4, s4, s1
	s_or_b32 exec_lo, exec_lo, s6
	s_and_saveexec_b32 s6, s4
	s_cbranch_execnz .LBB287_41
	s_branch .LBB287_42
.LBB287_425:
	s_mov_b32 s6, -1
	s_mov_b32 s8, exec_lo
	v_cmpx_eq_u16_e32 0x80, v1
; %bb.426:
	s_xor_b32 s6, exec_lo, -1
; %bb.427:
	s_or_b32 exec_lo, exec_lo, s8
	s_delay_alu instid0(SALU_CYCLE_1)
	s_and_b32 s6, s6, exec_lo
                                        ; implicit-def: $vgpr1
	s_or_saveexec_b32 s7, s7
	v_mov_b32_e32 v0, 0x7f800001
	s_xor_b32 exec_lo, exec_lo, s7
	s_cbranch_execz .LBB287_46
.LBB287_428:
	v_cmp_ne_u16_e64 s1, 0, v1
	v_mov_b32_e32 v0, 0
	s_and_not1_b32 s6, s6, exec_lo
	s_and_b32 s1, s1, exec_lo
	s_delay_alu instid0(SALU_CYCLE_1)
	s_or_b32 s6, s6, s1
	s_or_b32 exec_lo, exec_lo, s7
	s_and_saveexec_b32 s7, s6
	s_cbranch_execnz .LBB287_47
	s_branch .LBB287_48
.LBB287_429:
	s_mov_b32 s6, -1
	s_mov_b32 s8, exec_lo
	v_cmpx_eq_u16_e32 0x80, v2
; %bb.430:
	s_xor_b32 s6, exec_lo, -1
; %bb.431:
	s_or_b32 exec_lo, exec_lo, s8
	s_delay_alu instid0(SALU_CYCLE_1)
	s_and_b32 s6, s6, exec_lo
                                        ; implicit-def: $vgpr2
	s_or_saveexec_b32 s7, s7
	v_mov_b32_e32 v1, 0x7f800001
	s_xor_b32 exec_lo, exec_lo, s7
	s_cbranch_execz .LBB287_50
.LBB287_432:
	v_cmp_ne_u16_e64 s1, 0, v2
	v_mov_b32_e32 v1, 0
	s_and_not1_b32 s6, s6, exec_lo
	s_and_b32 s1, s1, exec_lo
	s_delay_alu instid0(SALU_CYCLE_1)
	s_or_b32 s6, s6, s1
	s_or_b32 exec_lo, exec_lo, s7
	s_and_saveexec_b32 s7, s6
	s_cbranch_execnz .LBB287_51
	s_branch .LBB287_52
.LBB287_433:
	s_mov_b32 s4, -1
	s_mov_b32 s7, exec_lo
	v_cmpx_eq_u16_e32 0x80, v16
; %bb.434:
	s_xor_b32 s4, exec_lo, -1
; %bb.435:
	s_or_b32 exec_lo, exec_lo, s7
	s_delay_alu instid0(SALU_CYCLE_1)
	s_and_b32 s4, s4, exec_lo
                                        ; implicit-def: $vgpr16
	s_or_saveexec_b32 s6, s6
	v_mov_b32_e32 v0, 0x7f800001
	s_xor_b32 exec_lo, exec_lo, s6
	s_cbranch_execz .LBB287_58
.LBB287_436:
	v_cmp_ne_u16_e64 s1, 0, v16
	v_mov_b32_e32 v0, 0
	s_and_not1_b32 s4, s4, exec_lo
	s_and_b32 s1, s1, exec_lo
	s_delay_alu instid0(SALU_CYCLE_1)
	s_or_b32 s4, s4, s1
	s_or_b32 exec_lo, exec_lo, s6
	s_and_saveexec_b32 s6, s4
	s_cbranch_execnz .LBB287_59
	s_branch .LBB287_60
.LBB287_437:
	s_mov_b32 s4, -1
	s_mov_b32 s7, exec_lo
	v_cmpx_eq_u16_e32 0x80, v17
; %bb.438:
	s_xor_b32 s4, exec_lo, -1
; %bb.439:
	s_or_b32 exec_lo, exec_lo, s7
	s_delay_alu instid0(SALU_CYCLE_1)
	s_and_b32 s4, s4, exec_lo
                                        ; implicit-def: $vgpr17
	s_or_saveexec_b32 s6, s6
	v_mov_b32_e32 v16, 0x7f800001
	s_xor_b32 exec_lo, exec_lo, s6
	s_cbranch_execz .LBB287_62
.LBB287_440:
	v_cmp_ne_u16_e64 s1, 0, v17
	v_mov_b32_e32 v16, 0
	s_and_not1_b32 s4, s4, exec_lo
	s_and_b32 s1, s1, exec_lo
	s_delay_alu instid0(SALU_CYCLE_1)
	s_or_b32 s4, s4, s1
	s_or_b32 exec_lo, exec_lo, s6
	s_and_saveexec_b32 s6, s4
	s_cbranch_execnz .LBB287_63
	s_branch .LBB287_64
.LBB287_441:
	s_mov_b32 s6, -1
	s_mov_b32 s8, exec_lo
	v_cmpx_eq_u16_e32 0x80, v16
; %bb.442:
	s_xor_b32 s6, exec_lo, -1
; %bb.443:
	s_or_b32 exec_lo, exec_lo, s8
	s_delay_alu instid0(SALU_CYCLE_1)
	s_and_b32 s6, s6, exec_lo
                                        ; implicit-def: $vgpr16
	s_or_saveexec_b32 s7, s7
	v_mov_b32_e32 v0, 0x7f800001
	s_xor_b32 exec_lo, exec_lo, s7
	s_cbranch_execz .LBB287_68
.LBB287_444:
	v_cmp_ne_u16_e64 s1, 0, v16
	v_mov_b32_e32 v0, 0
	s_and_not1_b32 s6, s6, exec_lo
	s_and_b32 s1, s1, exec_lo
	s_delay_alu instid0(SALU_CYCLE_1)
	s_or_b32 s6, s6, s1
	s_or_b32 exec_lo, exec_lo, s7
	s_and_saveexec_b32 s7, s6
	s_cbranch_execnz .LBB287_69
	s_branch .LBB287_70
.LBB287_445:
	s_mov_b32 s6, -1
	s_mov_b32 s8, exec_lo
	v_cmpx_eq_u16_e32 0x80, v17
; %bb.446:
	s_xor_b32 s6, exec_lo, -1
; %bb.447:
	s_or_b32 exec_lo, exec_lo, s8
	s_delay_alu instid0(SALU_CYCLE_1)
	s_and_b32 s6, s6, exec_lo
                                        ; implicit-def: $vgpr17
	s_or_saveexec_b32 s7, s7
	v_mov_b32_e32 v16, 0x7f800001
	s_xor_b32 exec_lo, exec_lo, s7
	s_cbranch_execz .LBB287_72
.LBB287_448:
	v_cmp_ne_u16_e64 s1, 0, v17
	v_mov_b32_e32 v16, 0
	s_and_not1_b32 s6, s6, exec_lo
	s_and_b32 s1, s1, exec_lo
	s_delay_alu instid0(SALU_CYCLE_1)
	s_or_b32 s6, s6, s1
	s_or_b32 exec_lo, exec_lo, s7
	s_and_saveexec_b32 s7, s6
	s_cbranch_execnz .LBB287_73
	s_branch .LBB287_74
.LBB287_449:
	s_mov_b32 s4, -1
	s_mov_b32 s7, exec_lo
	v_cmpx_eq_u16_e32 0x80, v11
; %bb.450:
	s_xor_b32 s4, exec_lo, -1
; %bb.451:
	s_or_b32 exec_lo, exec_lo, s7
	s_delay_alu instid0(SALU_CYCLE_1)
	s_and_b32 s4, s4, exec_lo
                                        ; implicit-def: $vgpr11
	s_or_saveexec_b32 s6, s6
	v_mov_b32_e32 v0, 0x7f800001
	s_xor_b32 exec_lo, exec_lo, s6
	s_cbranch_execz .LBB287_80
.LBB287_452:
	v_cmp_ne_u16_e64 s1, 0, v11
	v_mov_b32_e32 v0, 0
	s_and_not1_b32 s4, s4, exec_lo
	s_and_b32 s1, s1, exec_lo
	s_delay_alu instid0(SALU_CYCLE_1)
	s_or_b32 s4, s4, s1
	s_or_b32 exec_lo, exec_lo, s6
	s_and_saveexec_b32 s6, s4
	s_cbranch_execnz .LBB287_81
	s_branch .LBB287_82
.LBB287_453:
	s_mov_b32 s4, -1
	s_mov_b32 s7, exec_lo
	v_cmpx_eq_u16_e32 0x80, v16
; %bb.454:
	s_xor_b32 s4, exec_lo, -1
; %bb.455:
	s_or_b32 exec_lo, exec_lo, s7
	s_delay_alu instid0(SALU_CYCLE_1)
	s_and_b32 s4, s4, exec_lo
                                        ; implicit-def: $vgpr16
	s_or_saveexec_b32 s6, s6
	v_mov_b32_e32 v11, 0x7f800001
	s_xor_b32 exec_lo, exec_lo, s6
	s_cbranch_execz .LBB287_84
.LBB287_456:
	v_cmp_ne_u16_e64 s1, 0, v16
	v_mov_b32_e32 v11, 0
	s_and_not1_b32 s4, s4, exec_lo
	s_and_b32 s1, s1, exec_lo
	s_delay_alu instid0(SALU_CYCLE_1)
	s_or_b32 s4, s4, s1
	s_or_b32 exec_lo, exec_lo, s6
	s_and_saveexec_b32 s6, s4
	s_cbranch_execnz .LBB287_85
	s_branch .LBB287_86
.LBB287_457:
	s_mov_b32 s6, -1
	s_mov_b32 s8, exec_lo
	v_cmpx_eq_u16_e32 0x80, v11
; %bb.458:
	s_xor_b32 s6, exec_lo, -1
; %bb.459:
	s_or_b32 exec_lo, exec_lo, s8
	s_delay_alu instid0(SALU_CYCLE_1)
	s_and_b32 s6, s6, exec_lo
                                        ; implicit-def: $vgpr11
	s_or_saveexec_b32 s7, s7
	v_mov_b32_e32 v0, 0x7f800001
	s_xor_b32 exec_lo, exec_lo, s7
	s_cbranch_execz .LBB287_90
.LBB287_460:
	v_cmp_ne_u16_e64 s1, 0, v11
	v_mov_b32_e32 v0, 0
	s_and_not1_b32 s6, s6, exec_lo
	s_and_b32 s1, s1, exec_lo
	s_delay_alu instid0(SALU_CYCLE_1)
	s_or_b32 s6, s6, s1
	s_or_b32 exec_lo, exec_lo, s7
	s_and_saveexec_b32 s7, s6
	s_cbranch_execnz .LBB287_91
	s_branch .LBB287_92
.LBB287_461:
	s_mov_b32 s6, -1
	s_mov_b32 s8, exec_lo
	v_cmpx_eq_u16_e32 0x80, v16
; %bb.462:
	s_xor_b32 s6, exec_lo, -1
; %bb.463:
	s_or_b32 exec_lo, exec_lo, s8
	s_delay_alu instid0(SALU_CYCLE_1)
	s_and_b32 s6, s6, exec_lo
                                        ; implicit-def: $vgpr16
	s_or_saveexec_b32 s7, s7
	v_mov_b32_e32 v11, 0x7f800001
	s_xor_b32 exec_lo, exec_lo, s7
	s_cbranch_execz .LBB287_94
.LBB287_464:
	v_cmp_ne_u16_e64 s1, 0, v16
	v_mov_b32_e32 v11, 0
	s_and_not1_b32 s6, s6, exec_lo
	s_and_b32 s1, s1, exec_lo
	s_delay_alu instid0(SALU_CYCLE_1)
	s_or_b32 s6, s6, s1
	s_or_b32 exec_lo, exec_lo, s7
	s_and_saveexec_b32 s7, s6
	s_cbranch_execnz .LBB287_95
	s_branch .LBB287_96
.LBB287_465:
	s_mov_b32 s4, -1
	s_mov_b32 s7, exec_lo
	v_cmpx_eq_u16_e32 0x80, v11
; %bb.466:
	s_xor_b32 s4, exec_lo, -1
; %bb.467:
	s_or_b32 exec_lo, exec_lo, s7
	s_delay_alu instid0(SALU_CYCLE_1)
	s_and_b32 s4, s4, exec_lo
                                        ; implicit-def: $vgpr11
	s_or_saveexec_b32 s6, s6
	v_mov_b32_e32 v0, 0x7f800001
	s_xor_b32 exec_lo, exec_lo, s6
	s_cbranch_execz .LBB287_102
.LBB287_468:
	v_cmp_ne_u16_e64 s1, 0, v11
	v_mov_b32_e32 v0, 0
	s_and_not1_b32 s4, s4, exec_lo
	s_and_b32 s1, s1, exec_lo
	s_delay_alu instid0(SALU_CYCLE_1)
	s_or_b32 s4, s4, s1
	s_or_b32 exec_lo, exec_lo, s6
	s_and_saveexec_b32 s6, s4
	s_cbranch_execnz .LBB287_103
	s_branch .LBB287_104
.LBB287_469:
	s_mov_b32 s4, -1
	s_mov_b32 s7, exec_lo
	v_cmpx_eq_u16_e32 0x80, v15
; %bb.470:
	s_xor_b32 s4, exec_lo, -1
; %bb.471:
	s_or_b32 exec_lo, exec_lo, s7
	s_delay_alu instid0(SALU_CYCLE_1)
	s_and_b32 s4, s4, exec_lo
                                        ; implicit-def: $vgpr15
	s_or_saveexec_b32 s6, s6
	v_mov_b32_e32 v11, 0x7f800001
	s_xor_b32 exec_lo, exec_lo, s6
	s_cbranch_execz .LBB287_106
.LBB287_472:
	v_cmp_ne_u16_e64 s1, 0, v15
	v_mov_b32_e32 v11, 0
	s_and_not1_b32 s4, s4, exec_lo
	s_and_b32 s1, s1, exec_lo
	s_delay_alu instid0(SALU_CYCLE_1)
	s_or_b32 s4, s4, s1
	s_or_b32 exec_lo, exec_lo, s6
	s_and_saveexec_b32 s6, s4
	s_cbranch_execnz .LBB287_107
	s_branch .LBB287_108
.LBB287_473:
	s_mov_b32 s6, -1
	s_mov_b32 s8, exec_lo
	v_cmpx_eq_u16_e32 0x80, v11
; %bb.474:
	s_xor_b32 s6, exec_lo, -1
; %bb.475:
	s_or_b32 exec_lo, exec_lo, s8
	s_delay_alu instid0(SALU_CYCLE_1)
	s_and_b32 s6, s6, exec_lo
                                        ; implicit-def: $vgpr11
	s_or_saveexec_b32 s7, s7
	v_mov_b32_e32 v0, 0x7f800001
	s_xor_b32 exec_lo, exec_lo, s7
	s_cbranch_execz .LBB287_112
.LBB287_476:
	v_cmp_ne_u16_e64 s1, 0, v11
	v_mov_b32_e32 v0, 0
	s_and_not1_b32 s6, s6, exec_lo
	s_and_b32 s1, s1, exec_lo
	s_delay_alu instid0(SALU_CYCLE_1)
	s_or_b32 s6, s6, s1
	s_or_b32 exec_lo, exec_lo, s7
	s_and_saveexec_b32 s7, s6
	s_cbranch_execnz .LBB287_113
	s_branch .LBB287_114
.LBB287_477:
	s_mov_b32 s6, -1
	s_mov_b32 s8, exec_lo
	v_cmpx_eq_u16_e32 0x80, v15
; %bb.478:
	s_xor_b32 s6, exec_lo, -1
; %bb.479:
	s_or_b32 exec_lo, exec_lo, s8
	s_delay_alu instid0(SALU_CYCLE_1)
	s_and_b32 s6, s6, exec_lo
                                        ; implicit-def: $vgpr15
	s_or_saveexec_b32 s7, s7
	v_mov_b32_e32 v11, 0x7f800001
	s_xor_b32 exec_lo, exec_lo, s7
	s_cbranch_execz .LBB287_116
.LBB287_480:
	v_cmp_ne_u16_e64 s1, 0, v15
	v_mov_b32_e32 v11, 0
	s_and_not1_b32 s6, s6, exec_lo
	s_and_b32 s1, s1, exec_lo
	s_delay_alu instid0(SALU_CYCLE_1)
	s_or_b32 s6, s6, s1
	s_or_b32 exec_lo, exec_lo, s7
	s_and_saveexec_b32 s7, s6
	s_cbranch_execnz .LBB287_117
	s_branch .LBB287_118
.LBB287_481:
	s_mov_b32 s4, -1
	s_mov_b32 s7, exec_lo
	v_cmpx_eq_u16_e32 0x80, v11
; %bb.482:
	s_xor_b32 s4, exec_lo, -1
; %bb.483:
	s_or_b32 exec_lo, exec_lo, s7
	s_delay_alu instid0(SALU_CYCLE_1)
	s_and_b32 s4, s4, exec_lo
                                        ; implicit-def: $vgpr11
	s_or_saveexec_b32 s6, s6
	v_mov_b32_e32 v0, 0x7f800001
	s_xor_b32 exec_lo, exec_lo, s6
	s_cbranch_execz .LBB287_124
.LBB287_484:
	v_cmp_ne_u16_e64 s1, 0, v11
	v_mov_b32_e32 v0, 0
	s_and_not1_b32 s4, s4, exec_lo
	s_and_b32 s1, s1, exec_lo
	s_delay_alu instid0(SALU_CYCLE_1)
	s_or_b32 s4, s4, s1
	s_or_b32 exec_lo, exec_lo, s6
	s_and_saveexec_b32 s6, s4
	s_cbranch_execnz .LBB287_125
	s_branch .LBB287_126
.LBB287_485:
	s_mov_b32 s4, -1
	s_mov_b32 s7, exec_lo
	v_cmpx_eq_u16_e32 0x80, v15
; %bb.486:
	s_xor_b32 s4, exec_lo, -1
; %bb.487:
	s_or_b32 exec_lo, exec_lo, s7
	s_delay_alu instid0(SALU_CYCLE_1)
	s_and_b32 s4, s4, exec_lo
                                        ; implicit-def: $vgpr15
	s_or_saveexec_b32 s6, s6
	v_mov_b32_e32 v11, 0x7f800001
	s_xor_b32 exec_lo, exec_lo, s6
	s_cbranch_execz .LBB287_128
.LBB287_488:
	v_cmp_ne_u16_e64 s1, 0, v15
	v_mov_b32_e32 v11, 0
	s_and_not1_b32 s4, s4, exec_lo
	s_and_b32 s1, s1, exec_lo
	s_delay_alu instid0(SALU_CYCLE_1)
	s_or_b32 s4, s4, s1
	s_or_b32 exec_lo, exec_lo, s6
	s_and_saveexec_b32 s6, s4
	s_cbranch_execnz .LBB287_129
	s_branch .LBB287_130
.LBB287_489:
	s_mov_b32 s6, -1
	s_mov_b32 s8, exec_lo
	v_cmpx_eq_u16_e32 0x80, v11
; %bb.490:
	s_xor_b32 s6, exec_lo, -1
; %bb.491:
	s_or_b32 exec_lo, exec_lo, s8
	s_delay_alu instid0(SALU_CYCLE_1)
	s_and_b32 s6, s6, exec_lo
                                        ; implicit-def: $vgpr11
	s_or_saveexec_b32 s7, s7
	v_mov_b32_e32 v0, 0x7f800001
	s_xor_b32 exec_lo, exec_lo, s7
	s_cbranch_execz .LBB287_134
.LBB287_492:
	v_cmp_ne_u16_e64 s1, 0, v11
	v_mov_b32_e32 v0, 0
	s_and_not1_b32 s6, s6, exec_lo
	s_and_b32 s1, s1, exec_lo
	s_delay_alu instid0(SALU_CYCLE_1)
	s_or_b32 s6, s6, s1
	s_or_b32 exec_lo, exec_lo, s7
	s_and_saveexec_b32 s7, s6
	s_cbranch_execnz .LBB287_135
	s_branch .LBB287_136
.LBB287_493:
	s_mov_b32 s6, -1
	s_mov_b32 s8, exec_lo
	v_cmpx_eq_u16_e32 0x80, v15
; %bb.494:
	s_xor_b32 s6, exec_lo, -1
; %bb.495:
	s_or_b32 exec_lo, exec_lo, s8
	s_delay_alu instid0(SALU_CYCLE_1)
	s_and_b32 s6, s6, exec_lo
                                        ; implicit-def: $vgpr15
	s_or_saveexec_b32 s7, s7
	v_mov_b32_e32 v11, 0x7f800001
	s_xor_b32 exec_lo, exec_lo, s7
	s_cbranch_execz .LBB287_138
.LBB287_496:
	v_cmp_ne_u16_e64 s1, 0, v15
	v_mov_b32_e32 v11, 0
	s_and_not1_b32 s6, s6, exec_lo
	s_and_b32 s1, s1, exec_lo
	s_delay_alu instid0(SALU_CYCLE_1)
	s_or_b32 s6, s6, s1
	s_or_b32 exec_lo, exec_lo, s7
	s_and_saveexec_b32 s7, s6
	s_cbranch_execnz .LBB287_139
	s_branch .LBB287_140
.LBB287_497:
	s_mov_b32 s4, -1
	s_mov_b32 s7, exec_lo
	v_cmpx_eq_u16_e32 0x80, v11
; %bb.498:
	s_xor_b32 s4, exec_lo, -1
; %bb.499:
	s_or_b32 exec_lo, exec_lo, s7
	s_delay_alu instid0(SALU_CYCLE_1)
	s_and_b32 s4, s4, exec_lo
                                        ; implicit-def: $vgpr11
	s_or_saveexec_b32 s6, s6
	v_mov_b32_e32 v0, 0x7f800001
	s_xor_b32 exec_lo, exec_lo, s6
	s_cbranch_execz .LBB287_146
.LBB287_500:
	v_cmp_ne_u16_e64 s1, 0, v11
	v_mov_b32_e32 v0, 0
	s_and_not1_b32 s4, s4, exec_lo
	s_and_b32 s1, s1, exec_lo
	s_delay_alu instid0(SALU_CYCLE_1)
	s_or_b32 s4, s4, s1
	s_or_b32 exec_lo, exec_lo, s6
	s_and_saveexec_b32 s6, s4
	s_cbranch_execnz .LBB287_147
	s_branch .LBB287_148
.LBB287_501:
	s_mov_b32 s4, -1
	s_mov_b32 s7, exec_lo
	v_cmpx_eq_u16_e32 0x80, v15
; %bb.502:
	s_xor_b32 s4, exec_lo, -1
; %bb.503:
	s_or_b32 exec_lo, exec_lo, s7
	s_delay_alu instid0(SALU_CYCLE_1)
	s_and_b32 s4, s4, exec_lo
                                        ; implicit-def: $vgpr15
	s_or_saveexec_b32 s6, s6
	v_mov_b32_e32 v11, 0x7f800001
	s_xor_b32 exec_lo, exec_lo, s6
	s_cbranch_execz .LBB287_150
.LBB287_504:
	v_cmp_ne_u16_e64 s1, 0, v15
	v_mov_b32_e32 v11, 0
	s_and_not1_b32 s4, s4, exec_lo
	s_and_b32 s1, s1, exec_lo
	s_delay_alu instid0(SALU_CYCLE_1)
	s_or_b32 s4, s4, s1
	s_or_b32 exec_lo, exec_lo, s6
	s_and_saveexec_b32 s6, s4
	s_cbranch_execnz .LBB287_151
	s_branch .LBB287_152
.LBB287_505:
	s_mov_b32 s6, -1
	s_mov_b32 s8, exec_lo
	v_cmpx_eq_u16_e32 0x80, v11
; %bb.506:
	s_xor_b32 s6, exec_lo, -1
; %bb.507:
	s_or_b32 exec_lo, exec_lo, s8
	s_delay_alu instid0(SALU_CYCLE_1)
	s_and_b32 s6, s6, exec_lo
                                        ; implicit-def: $vgpr11
	s_or_saveexec_b32 s7, s7
	v_mov_b32_e32 v0, 0x7f800001
	s_xor_b32 exec_lo, exec_lo, s7
	s_cbranch_execz .LBB287_156
.LBB287_508:
	v_cmp_ne_u16_e64 s1, 0, v11
	v_mov_b32_e32 v0, 0
	s_and_not1_b32 s6, s6, exec_lo
	s_and_b32 s1, s1, exec_lo
	s_delay_alu instid0(SALU_CYCLE_1)
	s_or_b32 s6, s6, s1
	s_or_b32 exec_lo, exec_lo, s7
	s_and_saveexec_b32 s7, s6
	s_cbranch_execnz .LBB287_157
	s_branch .LBB287_158
.LBB287_509:
	s_mov_b32 s6, -1
	s_mov_b32 s8, exec_lo
	v_cmpx_eq_u16_e32 0x80, v15
; %bb.510:
	s_xor_b32 s6, exec_lo, -1
; %bb.511:
	s_or_b32 exec_lo, exec_lo, s8
	s_delay_alu instid0(SALU_CYCLE_1)
	s_and_b32 s6, s6, exec_lo
                                        ; implicit-def: $vgpr15
	s_or_saveexec_b32 s7, s7
	v_mov_b32_e32 v11, 0x7f800001
	s_xor_b32 exec_lo, exec_lo, s7
	s_cbranch_execz .LBB287_160
.LBB287_512:
	v_cmp_ne_u16_e64 s1, 0, v15
	v_mov_b32_e32 v11, 0
	s_and_not1_b32 s6, s6, exec_lo
	s_and_b32 s1, s1, exec_lo
	s_delay_alu instid0(SALU_CYCLE_1)
	s_or_b32 s6, s6, s1
	s_or_b32 exec_lo, exec_lo, s7
	s_and_saveexec_b32 s7, s6
	s_cbranch_execnz .LBB287_161
	s_branch .LBB287_162
.LBB287_513:
	s_mov_b32 s4, -1
	s_mov_b32 s7, exec_lo
	v_cmpx_eq_u16_e32 0x80, v11
; %bb.514:
	s_xor_b32 s4, exec_lo, -1
; %bb.515:
	s_or_b32 exec_lo, exec_lo, s7
	s_delay_alu instid0(SALU_CYCLE_1)
	s_and_b32 s4, s4, exec_lo
                                        ; implicit-def: $vgpr11
	s_or_saveexec_b32 s6, s6
	v_mov_b32_e32 v0, 0x7f800001
	s_xor_b32 exec_lo, exec_lo, s6
	s_cbranch_execz .LBB287_168
.LBB287_516:
	v_cmp_ne_u16_e64 s1, 0, v11
	v_mov_b32_e32 v0, 0
	s_and_not1_b32 s4, s4, exec_lo
	s_and_b32 s1, s1, exec_lo
	s_delay_alu instid0(SALU_CYCLE_1)
	s_or_b32 s4, s4, s1
	s_or_b32 exec_lo, exec_lo, s6
	s_and_saveexec_b32 s6, s4
	s_cbranch_execnz .LBB287_169
	s_branch .LBB287_170
.LBB287_517:
	s_mov_b32 s4, -1
	s_mov_b32 s7, exec_lo
	v_cmpx_eq_u16_e32 0x80, v15
; %bb.518:
	s_xor_b32 s4, exec_lo, -1
; %bb.519:
	s_or_b32 exec_lo, exec_lo, s7
	s_delay_alu instid0(SALU_CYCLE_1)
	s_and_b32 s4, s4, exec_lo
                                        ; implicit-def: $vgpr15
	s_or_saveexec_b32 s6, s6
	v_mov_b32_e32 v11, 0x7f800001
	s_xor_b32 exec_lo, exec_lo, s6
	s_cbranch_execz .LBB287_172
.LBB287_520:
	v_cmp_ne_u16_e64 s1, 0, v15
	v_mov_b32_e32 v11, 0
	s_and_not1_b32 s4, s4, exec_lo
	s_and_b32 s1, s1, exec_lo
	s_delay_alu instid0(SALU_CYCLE_1)
	s_or_b32 s4, s4, s1
	s_or_b32 exec_lo, exec_lo, s6
	s_and_saveexec_b32 s6, s4
	s_cbranch_execnz .LBB287_173
	s_branch .LBB287_174
.LBB287_521:
	s_mov_b32 s6, -1
	s_mov_b32 s8, exec_lo
	v_cmpx_eq_u16_e32 0x80, v11
; %bb.522:
	s_xor_b32 s6, exec_lo, -1
; %bb.523:
	s_or_b32 exec_lo, exec_lo, s8
	s_delay_alu instid0(SALU_CYCLE_1)
	s_and_b32 s6, s6, exec_lo
                                        ; implicit-def: $vgpr11
	s_or_saveexec_b32 s7, s7
	v_mov_b32_e32 v0, 0x7f800001
	s_xor_b32 exec_lo, exec_lo, s7
	s_cbranch_execz .LBB287_178
.LBB287_524:
	v_cmp_ne_u16_e64 s1, 0, v11
	v_mov_b32_e32 v0, 0
	s_and_not1_b32 s6, s6, exec_lo
	s_and_b32 s1, s1, exec_lo
	s_delay_alu instid0(SALU_CYCLE_1)
	s_or_b32 s6, s6, s1
	s_or_b32 exec_lo, exec_lo, s7
	s_and_saveexec_b32 s7, s6
	s_cbranch_execnz .LBB287_179
	s_branch .LBB287_180
.LBB287_525:
	s_mov_b32 s6, -1
	s_mov_b32 s8, exec_lo
	v_cmpx_eq_u16_e32 0x80, v15
; %bb.526:
	s_xor_b32 s6, exec_lo, -1
; %bb.527:
	s_or_b32 exec_lo, exec_lo, s8
	s_delay_alu instid0(SALU_CYCLE_1)
	s_and_b32 s6, s6, exec_lo
                                        ; implicit-def: $vgpr15
	s_or_saveexec_b32 s7, s7
	v_mov_b32_e32 v11, 0x7f800001
	s_xor_b32 exec_lo, exec_lo, s7
	s_cbranch_execz .LBB287_182
.LBB287_528:
	v_cmp_ne_u16_e64 s1, 0, v15
	v_mov_b32_e32 v11, 0
	s_and_not1_b32 s6, s6, exec_lo
	s_and_b32 s1, s1, exec_lo
	s_delay_alu instid0(SALU_CYCLE_1)
	s_or_b32 s6, s6, s1
	s_or_b32 exec_lo, exec_lo, s7
	s_and_saveexec_b32 s7, s6
	s_cbranch_execnz .LBB287_183
	s_branch .LBB287_184
.LBB287_529:
	s_mov_b32 s4, -1
	s_mov_b32 s7, exec_lo
	v_cmpx_eq_u16_e32 0x80, v11
; %bb.530:
	s_xor_b32 s4, exec_lo, -1
; %bb.531:
	s_or_b32 exec_lo, exec_lo, s7
	s_delay_alu instid0(SALU_CYCLE_1)
	s_and_b32 s4, s4, exec_lo
                                        ; implicit-def: $vgpr11
	s_or_saveexec_b32 s6, s6
	v_mov_b32_e32 v0, 0x7f800001
	s_xor_b32 exec_lo, exec_lo, s6
	s_cbranch_execz .LBB287_190
.LBB287_532:
	v_cmp_ne_u16_e64 s1, 0, v11
	v_mov_b32_e32 v0, 0
	s_and_not1_b32 s4, s4, exec_lo
	s_and_b32 s1, s1, exec_lo
	s_delay_alu instid0(SALU_CYCLE_1)
	s_or_b32 s4, s4, s1
	s_or_b32 exec_lo, exec_lo, s6
	s_and_saveexec_b32 s6, s4
	s_cbranch_execnz .LBB287_191
	s_branch .LBB287_192
.LBB287_533:
	s_mov_b32 s4, -1
	s_mov_b32 s7, exec_lo
	v_cmpx_eq_u16_e32 0x80, v15
; %bb.534:
	s_xor_b32 s4, exec_lo, -1
; %bb.535:
	s_or_b32 exec_lo, exec_lo, s7
	s_delay_alu instid0(SALU_CYCLE_1)
	s_and_b32 s4, s4, exec_lo
                                        ; implicit-def: $vgpr15
	s_or_saveexec_b32 s6, s6
	v_mov_b32_e32 v11, 0x7f800001
	s_xor_b32 exec_lo, exec_lo, s6
	s_cbranch_execz .LBB287_194
.LBB287_536:
	v_cmp_ne_u16_e64 s1, 0, v15
	v_mov_b32_e32 v11, 0
	s_and_not1_b32 s4, s4, exec_lo
	s_and_b32 s1, s1, exec_lo
	s_delay_alu instid0(SALU_CYCLE_1)
	s_or_b32 s4, s4, s1
	s_or_b32 exec_lo, exec_lo, s6
	s_and_saveexec_b32 s6, s4
	s_cbranch_execnz .LBB287_195
	s_branch .LBB287_196
.LBB287_537:
	s_mov_b32 s6, -1
	s_mov_b32 s8, exec_lo
	v_cmpx_eq_u16_e32 0x80, v11
; %bb.538:
	s_xor_b32 s6, exec_lo, -1
; %bb.539:
	s_or_b32 exec_lo, exec_lo, s8
	s_delay_alu instid0(SALU_CYCLE_1)
	s_and_b32 s6, s6, exec_lo
                                        ; implicit-def: $vgpr11
	s_or_saveexec_b32 s7, s7
	v_mov_b32_e32 v0, 0x7f800001
	s_xor_b32 exec_lo, exec_lo, s7
	s_cbranch_execz .LBB287_200
.LBB287_540:
	v_cmp_ne_u16_e64 s1, 0, v11
	v_mov_b32_e32 v0, 0
	s_and_not1_b32 s6, s6, exec_lo
	s_and_b32 s1, s1, exec_lo
	s_delay_alu instid0(SALU_CYCLE_1)
	s_or_b32 s6, s6, s1
	s_or_b32 exec_lo, exec_lo, s7
	s_and_saveexec_b32 s7, s6
	s_cbranch_execnz .LBB287_201
	s_branch .LBB287_202
.LBB287_541:
	s_mov_b32 s6, -1
	s_mov_b32 s8, exec_lo
	v_cmpx_eq_u16_e32 0x80, v15
; %bb.542:
	s_xor_b32 s6, exec_lo, -1
; %bb.543:
	s_or_b32 exec_lo, exec_lo, s8
	s_delay_alu instid0(SALU_CYCLE_1)
	s_and_b32 s6, s6, exec_lo
                                        ; implicit-def: $vgpr15
	s_or_saveexec_b32 s7, s7
	v_mov_b32_e32 v11, 0x7f800001
	s_xor_b32 exec_lo, exec_lo, s7
	s_cbranch_execz .LBB287_204
.LBB287_544:
	v_cmp_ne_u16_e64 s1, 0, v15
	v_mov_b32_e32 v11, 0
	s_and_not1_b32 s6, s6, exec_lo
	s_and_b32 s1, s1, exec_lo
	s_delay_alu instid0(SALU_CYCLE_1)
	s_or_b32 s6, s6, s1
	s_or_b32 exec_lo, exec_lo, s7
	s_and_saveexec_b32 s7, s6
	s_cbranch_execnz .LBB287_205
	s_branch .LBB287_206
.LBB287_545:
	s_mov_b32 s4, -1
	s_mov_b32 s7, exec_lo
	v_cmpx_eq_u16_e32 0x80, v11
; %bb.546:
	s_xor_b32 s4, exec_lo, -1
; %bb.547:
	s_or_b32 exec_lo, exec_lo, s7
	s_delay_alu instid0(SALU_CYCLE_1)
	s_and_b32 s4, s4, exec_lo
                                        ; implicit-def: $vgpr11
	s_or_saveexec_b32 s6, s6
	v_mov_b32_e32 v0, 0x7f800001
	s_xor_b32 exec_lo, exec_lo, s6
	s_cbranch_execz .LBB287_212
.LBB287_548:
	v_cmp_ne_u16_e64 s1, 0, v11
	v_mov_b32_e32 v0, 0
	s_and_not1_b32 s4, s4, exec_lo
	s_and_b32 s1, s1, exec_lo
	s_delay_alu instid0(SALU_CYCLE_1)
	s_or_b32 s4, s4, s1
	s_or_b32 exec_lo, exec_lo, s6
	s_and_saveexec_b32 s6, s4
	s_cbranch_execnz .LBB287_213
	s_branch .LBB287_214
.LBB287_549:
	s_mov_b32 s4, -1
	s_mov_b32 s7, exec_lo
	v_cmpx_eq_u16_e32 0x80, v15
; %bb.550:
	s_xor_b32 s4, exec_lo, -1
; %bb.551:
	s_or_b32 exec_lo, exec_lo, s7
	s_delay_alu instid0(SALU_CYCLE_1)
	s_and_b32 s4, s4, exec_lo
                                        ; implicit-def: $vgpr15
	s_or_saveexec_b32 s6, s6
	v_mov_b32_e32 v11, 0x7f800001
	s_xor_b32 exec_lo, exec_lo, s6
	s_cbranch_execz .LBB287_216
.LBB287_552:
	v_cmp_ne_u16_e64 s1, 0, v15
	v_mov_b32_e32 v11, 0
	s_and_not1_b32 s4, s4, exec_lo
	s_and_b32 s1, s1, exec_lo
	s_delay_alu instid0(SALU_CYCLE_1)
	s_or_b32 s4, s4, s1
	s_or_b32 exec_lo, exec_lo, s6
	s_and_saveexec_b32 s6, s4
	s_cbranch_execnz .LBB287_217
	s_branch .LBB287_218
.LBB287_553:
	s_mov_b32 s6, -1
	s_mov_b32 s8, exec_lo
	v_cmpx_eq_u16_e32 0x80, v11
; %bb.554:
	s_xor_b32 s6, exec_lo, -1
; %bb.555:
	s_or_b32 exec_lo, exec_lo, s8
	s_delay_alu instid0(SALU_CYCLE_1)
	s_and_b32 s6, s6, exec_lo
                                        ; implicit-def: $vgpr11
	s_or_saveexec_b32 s7, s7
	v_mov_b32_e32 v0, 0x7f800001
	s_xor_b32 exec_lo, exec_lo, s7
	s_cbranch_execz .LBB287_222
.LBB287_556:
	v_cmp_ne_u16_e64 s1, 0, v11
	v_mov_b32_e32 v0, 0
	s_and_not1_b32 s6, s6, exec_lo
	s_and_b32 s1, s1, exec_lo
	s_delay_alu instid0(SALU_CYCLE_1)
	s_or_b32 s6, s6, s1
	s_or_b32 exec_lo, exec_lo, s7
	s_and_saveexec_b32 s7, s6
	s_cbranch_execnz .LBB287_223
	s_branch .LBB287_224
.LBB287_557:
	s_mov_b32 s6, -1
	s_mov_b32 s8, exec_lo
	v_cmpx_eq_u16_e32 0x80, v15
; %bb.558:
	s_xor_b32 s6, exec_lo, -1
; %bb.559:
	s_or_b32 exec_lo, exec_lo, s8
	s_delay_alu instid0(SALU_CYCLE_1)
	s_and_b32 s6, s6, exec_lo
                                        ; implicit-def: $vgpr15
	s_or_saveexec_b32 s7, s7
	v_mov_b32_e32 v11, 0x7f800001
	s_xor_b32 exec_lo, exec_lo, s7
	s_cbranch_execz .LBB287_226
.LBB287_560:
	v_cmp_ne_u16_e64 s1, 0, v15
	v_mov_b32_e32 v11, 0
	s_and_not1_b32 s6, s6, exec_lo
	s_and_b32 s1, s1, exec_lo
	s_delay_alu instid0(SALU_CYCLE_1)
	s_or_b32 s6, s6, s1
	s_or_b32 exec_lo, exec_lo, s7
	s_and_saveexec_b32 s7, s6
	s_cbranch_execnz .LBB287_227
	s_branch .LBB287_228
.LBB287_561:
	s_mov_b32 s4, -1
	s_mov_b32 s7, exec_lo
	v_cmpx_eq_u16_e32 0x80, v11
; %bb.562:
	s_xor_b32 s4, exec_lo, -1
; %bb.563:
	s_or_b32 exec_lo, exec_lo, s7
	s_delay_alu instid0(SALU_CYCLE_1)
	s_and_b32 s4, s4, exec_lo
                                        ; implicit-def: $vgpr11
	s_or_saveexec_b32 s6, s6
	v_mov_b32_e32 v0, 0x7f800001
	s_xor_b32 exec_lo, exec_lo, s6
	s_cbranch_execz .LBB287_234
.LBB287_564:
	v_cmp_ne_u16_e64 s1, 0, v11
	v_mov_b32_e32 v0, 0
	s_and_not1_b32 s4, s4, exec_lo
	s_and_b32 s1, s1, exec_lo
	s_delay_alu instid0(SALU_CYCLE_1)
	s_or_b32 s4, s4, s1
	s_or_b32 exec_lo, exec_lo, s6
	s_and_saveexec_b32 s6, s4
	s_cbranch_execnz .LBB287_235
	s_branch .LBB287_236
.LBB287_565:
	s_mov_b32 s4, -1
	s_mov_b32 s7, exec_lo
	v_cmpx_eq_u16_e32 0x80, v15
; %bb.566:
	s_xor_b32 s4, exec_lo, -1
; %bb.567:
	s_or_b32 exec_lo, exec_lo, s7
	s_delay_alu instid0(SALU_CYCLE_1)
	s_and_b32 s4, s4, exec_lo
                                        ; implicit-def: $vgpr15
	s_or_saveexec_b32 s6, s6
	v_mov_b32_e32 v11, 0x7f800001
	s_xor_b32 exec_lo, exec_lo, s6
	s_cbranch_execz .LBB287_238
.LBB287_568:
	v_cmp_ne_u16_e64 s1, 0, v15
	v_mov_b32_e32 v11, 0
	s_and_not1_b32 s4, s4, exec_lo
	s_and_b32 s1, s1, exec_lo
	s_delay_alu instid0(SALU_CYCLE_1)
	s_or_b32 s4, s4, s1
	s_or_b32 exec_lo, exec_lo, s6
	s_and_saveexec_b32 s6, s4
	s_cbranch_execnz .LBB287_239
	s_branch .LBB287_240
.LBB287_569:
	s_mov_b32 s6, -1
	s_mov_b32 s8, exec_lo
	v_cmpx_eq_u16_e32 0x80, v11
; %bb.570:
	s_xor_b32 s6, exec_lo, -1
; %bb.571:
	s_or_b32 exec_lo, exec_lo, s8
	s_delay_alu instid0(SALU_CYCLE_1)
	s_and_b32 s6, s6, exec_lo
                                        ; implicit-def: $vgpr11
	s_or_saveexec_b32 s7, s7
	v_mov_b32_e32 v0, 0x7f800001
	s_xor_b32 exec_lo, exec_lo, s7
	s_cbranch_execz .LBB287_244
.LBB287_572:
	v_cmp_ne_u16_e64 s1, 0, v11
	v_mov_b32_e32 v0, 0
	s_and_not1_b32 s6, s6, exec_lo
	s_and_b32 s1, s1, exec_lo
	s_delay_alu instid0(SALU_CYCLE_1)
	s_or_b32 s6, s6, s1
	s_or_b32 exec_lo, exec_lo, s7
	s_and_saveexec_b32 s7, s6
	s_cbranch_execnz .LBB287_245
	s_branch .LBB287_246
.LBB287_573:
	s_mov_b32 s6, -1
	s_mov_b32 s8, exec_lo
	v_cmpx_eq_u16_e32 0x80, v15
; %bb.574:
	s_xor_b32 s6, exec_lo, -1
; %bb.575:
	s_or_b32 exec_lo, exec_lo, s8
	s_delay_alu instid0(SALU_CYCLE_1)
	s_and_b32 s6, s6, exec_lo
                                        ; implicit-def: $vgpr15
	s_or_saveexec_b32 s7, s7
	v_mov_b32_e32 v11, 0x7f800001
	s_xor_b32 exec_lo, exec_lo, s7
	s_cbranch_execz .LBB287_248
.LBB287_576:
	v_cmp_ne_u16_e64 s1, 0, v15
	v_mov_b32_e32 v11, 0
	s_and_not1_b32 s6, s6, exec_lo
	s_and_b32 s1, s1, exec_lo
	s_delay_alu instid0(SALU_CYCLE_1)
	s_or_b32 s6, s6, s1
	s_or_b32 exec_lo, exec_lo, s7
	s_and_saveexec_b32 s7, s6
	s_cbranch_execnz .LBB287_249
	s_branch .LBB287_250
.LBB287_577:
	s_mov_b32 s4, -1
	s_mov_b32 s7, exec_lo
	v_cmpx_eq_u16_e32 0x80, v11
; %bb.578:
	s_xor_b32 s4, exec_lo, -1
; %bb.579:
	s_or_b32 exec_lo, exec_lo, s7
	s_delay_alu instid0(SALU_CYCLE_1)
	s_and_b32 s4, s4, exec_lo
                                        ; implicit-def: $vgpr11
	s_or_saveexec_b32 s6, s6
	v_mov_b32_e32 v0, 0x7f800001
	s_xor_b32 exec_lo, exec_lo, s6
	s_cbranch_execz .LBB287_256
.LBB287_580:
	v_cmp_ne_u16_e64 s1, 0, v11
	v_mov_b32_e32 v0, 0
	s_and_not1_b32 s4, s4, exec_lo
	s_and_b32 s1, s1, exec_lo
	s_delay_alu instid0(SALU_CYCLE_1)
	s_or_b32 s4, s4, s1
	s_or_b32 exec_lo, exec_lo, s6
	s_and_saveexec_b32 s6, s4
	s_cbranch_execnz .LBB287_257
	s_branch .LBB287_258
.LBB287_581:
	s_mov_b32 s4, -1
	s_mov_b32 s7, exec_lo
	v_cmpx_eq_u16_e32 0x80, v15
; %bb.582:
	s_xor_b32 s4, exec_lo, -1
; %bb.583:
	s_or_b32 exec_lo, exec_lo, s7
	s_delay_alu instid0(SALU_CYCLE_1)
	s_and_b32 s4, s4, exec_lo
                                        ; implicit-def: $vgpr15
	s_or_saveexec_b32 s6, s6
	v_mov_b32_e32 v11, 0x7f800001
	s_xor_b32 exec_lo, exec_lo, s6
	s_cbranch_execz .LBB287_260
.LBB287_584:
	v_cmp_ne_u16_e64 s1, 0, v15
	v_mov_b32_e32 v11, 0
	s_and_not1_b32 s4, s4, exec_lo
	s_and_b32 s1, s1, exec_lo
	s_delay_alu instid0(SALU_CYCLE_1)
	s_or_b32 s4, s4, s1
	s_or_b32 exec_lo, exec_lo, s6
	s_and_saveexec_b32 s6, s4
	s_cbranch_execnz .LBB287_261
	s_branch .LBB287_262
.LBB287_585:
	s_mov_b32 s6, -1
	s_mov_b32 s8, exec_lo
	v_cmpx_eq_u16_e32 0x80, v11
; %bb.586:
	s_xor_b32 s6, exec_lo, -1
; %bb.587:
	s_or_b32 exec_lo, exec_lo, s8
	s_delay_alu instid0(SALU_CYCLE_1)
	s_and_b32 s6, s6, exec_lo
                                        ; implicit-def: $vgpr11
	s_or_saveexec_b32 s7, s7
	v_mov_b32_e32 v0, 0x7f800001
	s_xor_b32 exec_lo, exec_lo, s7
	s_cbranch_execz .LBB287_266
.LBB287_588:
	v_cmp_ne_u16_e64 s1, 0, v11
	v_mov_b32_e32 v0, 0
	s_and_not1_b32 s6, s6, exec_lo
	s_and_b32 s1, s1, exec_lo
	s_delay_alu instid0(SALU_CYCLE_1)
	s_or_b32 s6, s6, s1
	s_or_b32 exec_lo, exec_lo, s7
	s_and_saveexec_b32 s7, s6
	s_cbranch_execnz .LBB287_267
	s_branch .LBB287_268
.LBB287_589:
	s_mov_b32 s6, -1
	s_mov_b32 s8, exec_lo
	v_cmpx_eq_u16_e32 0x80, v15
; %bb.590:
	s_xor_b32 s6, exec_lo, -1
; %bb.591:
	s_or_b32 exec_lo, exec_lo, s8
	s_delay_alu instid0(SALU_CYCLE_1)
	s_and_b32 s6, s6, exec_lo
                                        ; implicit-def: $vgpr15
	s_or_saveexec_b32 s7, s7
	v_mov_b32_e32 v11, 0x7f800001
	s_xor_b32 exec_lo, exec_lo, s7
	s_cbranch_execz .LBB287_270
.LBB287_592:
	v_cmp_ne_u16_e64 s1, 0, v15
	v_mov_b32_e32 v11, 0
	s_and_not1_b32 s6, s6, exec_lo
	s_and_b32 s1, s1, exec_lo
	s_delay_alu instid0(SALU_CYCLE_1)
	s_or_b32 s6, s6, s1
	s_or_b32 exec_lo, exec_lo, s7
	s_and_saveexec_b32 s7, s6
	s_cbranch_execnz .LBB287_271
	s_branch .LBB287_272
.LBB287_593:
	s_mov_b32 s4, -1
	s_mov_b32 s7, exec_lo
	v_cmpx_eq_u16_e32 0x80, v11
; %bb.594:
	s_xor_b32 s4, exec_lo, -1
; %bb.595:
	s_or_b32 exec_lo, exec_lo, s7
	s_delay_alu instid0(SALU_CYCLE_1)
	s_and_b32 s4, s4, exec_lo
                                        ; implicit-def: $vgpr11
	s_or_saveexec_b32 s6, s6
	v_mov_b32_e32 v0, 0x7f800001
	s_xor_b32 exec_lo, exec_lo, s6
	s_cbranch_execz .LBB287_278
.LBB287_596:
	v_cmp_ne_u16_e64 s1, 0, v11
	v_mov_b32_e32 v0, 0
	s_and_not1_b32 s4, s4, exec_lo
	s_and_b32 s1, s1, exec_lo
	s_delay_alu instid0(SALU_CYCLE_1)
	s_or_b32 s4, s4, s1
	s_or_b32 exec_lo, exec_lo, s6
	s_and_saveexec_b32 s6, s4
	s_cbranch_execnz .LBB287_279
	s_branch .LBB287_280
.LBB287_597:
	s_mov_b32 s4, -1
	s_mov_b32 s7, exec_lo
	v_cmpx_eq_u16_e32 0x80, v15
; %bb.598:
	s_xor_b32 s4, exec_lo, -1
; %bb.599:
	s_or_b32 exec_lo, exec_lo, s7
	s_delay_alu instid0(SALU_CYCLE_1)
	s_and_b32 s4, s4, exec_lo
                                        ; implicit-def: $vgpr15
	s_or_saveexec_b32 s6, s6
	v_mov_b32_e32 v11, 0x7f800001
	s_xor_b32 exec_lo, exec_lo, s6
	s_cbranch_execz .LBB287_282
.LBB287_600:
	v_cmp_ne_u16_e64 s1, 0, v15
	v_mov_b32_e32 v11, 0
	s_and_not1_b32 s4, s4, exec_lo
	s_and_b32 s1, s1, exec_lo
	s_delay_alu instid0(SALU_CYCLE_1)
	s_or_b32 s4, s4, s1
	s_or_b32 exec_lo, exec_lo, s6
	s_and_saveexec_b32 s6, s4
	s_cbranch_execnz .LBB287_283
	s_branch .LBB287_284
.LBB287_601:
	s_mov_b32 s6, -1
	s_mov_b32 s8, exec_lo
	v_cmpx_eq_u16_e32 0x80, v11
; %bb.602:
	s_xor_b32 s6, exec_lo, -1
; %bb.603:
	s_or_b32 exec_lo, exec_lo, s8
	s_delay_alu instid0(SALU_CYCLE_1)
	s_and_b32 s6, s6, exec_lo
                                        ; implicit-def: $vgpr11
	s_or_saveexec_b32 s7, s7
	v_mov_b32_e32 v0, 0x7f800001
	s_xor_b32 exec_lo, exec_lo, s7
	s_cbranch_execz .LBB287_288
.LBB287_604:
	v_cmp_ne_u16_e64 s1, 0, v11
	v_mov_b32_e32 v0, 0
	s_and_not1_b32 s6, s6, exec_lo
	s_and_b32 s1, s1, exec_lo
	s_delay_alu instid0(SALU_CYCLE_1)
	s_or_b32 s6, s6, s1
	s_or_b32 exec_lo, exec_lo, s7
	s_and_saveexec_b32 s7, s6
	s_cbranch_execnz .LBB287_289
	s_branch .LBB287_290
.LBB287_605:
	s_mov_b32 s6, -1
	s_mov_b32 s8, exec_lo
	v_cmpx_eq_u16_e32 0x80, v15
; %bb.606:
	s_xor_b32 s6, exec_lo, -1
; %bb.607:
	s_or_b32 exec_lo, exec_lo, s8
	s_delay_alu instid0(SALU_CYCLE_1)
	s_and_b32 s6, s6, exec_lo
                                        ; implicit-def: $vgpr15
	s_or_saveexec_b32 s7, s7
	v_mov_b32_e32 v11, 0x7f800001
	s_xor_b32 exec_lo, exec_lo, s7
	s_cbranch_execz .LBB287_292
.LBB287_608:
	v_cmp_ne_u16_e64 s1, 0, v15
	v_mov_b32_e32 v11, 0
	s_and_not1_b32 s6, s6, exec_lo
	s_and_b32 s1, s1, exec_lo
	s_delay_alu instid0(SALU_CYCLE_1)
	s_or_b32 s6, s6, s1
	s_or_b32 exec_lo, exec_lo, s7
	s_and_saveexec_b32 s7, s6
	s_cbranch_execnz .LBB287_293
	s_branch .LBB287_294
.LBB287_609:
	s_mov_b32 s4, -1
	s_mov_b32 s7, exec_lo
	v_cmpx_eq_u16_e32 0x80, v11
; %bb.610:
	s_xor_b32 s4, exec_lo, -1
; %bb.611:
	s_or_b32 exec_lo, exec_lo, s7
	s_delay_alu instid0(SALU_CYCLE_1)
	s_and_b32 s4, s4, exec_lo
                                        ; implicit-def: $vgpr11
	s_or_saveexec_b32 s6, s6
	v_mov_b32_e32 v0, 0x7f800001
	s_xor_b32 exec_lo, exec_lo, s6
	s_cbranch_execz .LBB287_300
.LBB287_612:
	v_cmp_ne_u16_e64 s1, 0, v11
	v_mov_b32_e32 v0, 0
	s_and_not1_b32 s4, s4, exec_lo
	s_and_b32 s1, s1, exec_lo
	s_delay_alu instid0(SALU_CYCLE_1)
	s_or_b32 s4, s4, s1
	s_or_b32 exec_lo, exec_lo, s6
	s_and_saveexec_b32 s6, s4
	s_cbranch_execnz .LBB287_301
	s_branch .LBB287_302
.LBB287_613:
	s_mov_b32 s4, -1
	s_mov_b32 s7, exec_lo
	v_cmpx_eq_u16_e32 0x80, v15
; %bb.614:
	s_xor_b32 s4, exec_lo, -1
; %bb.615:
	s_or_b32 exec_lo, exec_lo, s7
	s_delay_alu instid0(SALU_CYCLE_1)
	s_and_b32 s4, s4, exec_lo
                                        ; implicit-def: $vgpr15
	s_or_saveexec_b32 s6, s6
	v_mov_b32_e32 v11, 0x7f800001
	s_xor_b32 exec_lo, exec_lo, s6
	s_cbranch_execz .LBB287_304
.LBB287_616:
	v_cmp_ne_u16_e64 s1, 0, v15
	v_mov_b32_e32 v11, 0
	s_and_not1_b32 s4, s4, exec_lo
	s_and_b32 s1, s1, exec_lo
	s_delay_alu instid0(SALU_CYCLE_1)
	s_or_b32 s4, s4, s1
	s_or_b32 exec_lo, exec_lo, s6
	s_and_saveexec_b32 s6, s4
	s_cbranch_execnz .LBB287_305
	s_branch .LBB287_306
.LBB287_617:
	s_mov_b32 s6, -1
	s_mov_b32 s8, exec_lo
	v_cmpx_eq_u16_e32 0x80, v11
; %bb.618:
	s_xor_b32 s6, exec_lo, -1
; %bb.619:
	s_or_b32 exec_lo, exec_lo, s8
	s_delay_alu instid0(SALU_CYCLE_1)
	s_and_b32 s6, s6, exec_lo
                                        ; implicit-def: $vgpr11
	s_or_saveexec_b32 s7, s7
	v_mov_b32_e32 v0, 0x7f800001
	s_xor_b32 exec_lo, exec_lo, s7
	s_cbranch_execz .LBB287_310
.LBB287_620:
	v_cmp_ne_u16_e64 s1, 0, v11
	v_mov_b32_e32 v0, 0
	s_and_not1_b32 s6, s6, exec_lo
	s_and_b32 s1, s1, exec_lo
	s_delay_alu instid0(SALU_CYCLE_1)
	s_or_b32 s6, s6, s1
	s_or_b32 exec_lo, exec_lo, s7
	s_and_saveexec_b32 s7, s6
	s_cbranch_execnz .LBB287_311
	s_branch .LBB287_312
.LBB287_621:
	s_mov_b32 s6, -1
	s_mov_b32 s8, exec_lo
	v_cmpx_eq_u16_e32 0x80, v15
; %bb.622:
	s_xor_b32 s6, exec_lo, -1
; %bb.623:
	s_or_b32 exec_lo, exec_lo, s8
	s_delay_alu instid0(SALU_CYCLE_1)
	s_and_b32 s6, s6, exec_lo
                                        ; implicit-def: $vgpr15
	s_or_saveexec_b32 s7, s7
	v_mov_b32_e32 v11, 0x7f800001
	s_xor_b32 exec_lo, exec_lo, s7
	s_cbranch_execz .LBB287_314
.LBB287_624:
	v_cmp_ne_u16_e64 s1, 0, v15
	v_mov_b32_e32 v11, 0
	s_and_not1_b32 s6, s6, exec_lo
	s_and_b32 s1, s1, exec_lo
	s_delay_alu instid0(SALU_CYCLE_1)
	s_or_b32 s6, s6, s1
	s_or_b32 exec_lo, exec_lo, s7
	s_and_saveexec_b32 s7, s6
	s_cbranch_execnz .LBB287_315
	s_branch .LBB287_316
.LBB287_625:
	s_mov_b32 s4, -1
	s_mov_b32 s7, exec_lo
	v_cmpx_eq_u16_e32 0x80, v11
; %bb.626:
	s_xor_b32 s4, exec_lo, -1
; %bb.627:
	s_or_b32 exec_lo, exec_lo, s7
	s_delay_alu instid0(SALU_CYCLE_1)
	s_and_b32 s4, s4, exec_lo
                                        ; implicit-def: $vgpr11
	s_or_saveexec_b32 s6, s6
	v_mov_b32_e32 v0, 0x7f800001
	s_xor_b32 exec_lo, exec_lo, s6
	s_cbranch_execz .LBB287_322
.LBB287_628:
	v_cmp_ne_u16_e64 s1, 0, v11
	v_mov_b32_e32 v0, 0
	s_and_not1_b32 s4, s4, exec_lo
	s_and_b32 s1, s1, exec_lo
	s_delay_alu instid0(SALU_CYCLE_1)
	s_or_b32 s4, s4, s1
	s_or_b32 exec_lo, exec_lo, s6
	s_and_saveexec_b32 s6, s4
	s_cbranch_execnz .LBB287_323
	s_branch .LBB287_324
.LBB287_629:
	s_mov_b32 s4, -1
	s_mov_b32 s7, exec_lo
	v_cmpx_eq_u16_e32 0x80, v15
; %bb.630:
	s_xor_b32 s4, exec_lo, -1
; %bb.631:
	s_or_b32 exec_lo, exec_lo, s7
	s_delay_alu instid0(SALU_CYCLE_1)
	s_and_b32 s4, s4, exec_lo
                                        ; implicit-def: $vgpr15
	s_or_saveexec_b32 s6, s6
	v_mov_b32_e32 v11, 0x7f800001
	s_xor_b32 exec_lo, exec_lo, s6
	s_cbranch_execz .LBB287_326
.LBB287_632:
	v_cmp_ne_u16_e64 s1, 0, v15
	v_mov_b32_e32 v11, 0
	s_and_not1_b32 s4, s4, exec_lo
	s_and_b32 s1, s1, exec_lo
	s_delay_alu instid0(SALU_CYCLE_1)
	s_or_b32 s4, s4, s1
	s_or_b32 exec_lo, exec_lo, s6
	s_and_saveexec_b32 s6, s4
	s_cbranch_execnz .LBB287_327
	s_branch .LBB287_328
.LBB287_633:
	s_mov_b32 s6, -1
	s_mov_b32 s8, exec_lo
	v_cmpx_eq_u16_e32 0x80, v11
; %bb.634:
	s_xor_b32 s6, exec_lo, -1
; %bb.635:
	s_or_b32 exec_lo, exec_lo, s8
	s_delay_alu instid0(SALU_CYCLE_1)
	s_and_b32 s6, s6, exec_lo
                                        ; implicit-def: $vgpr11
	s_or_saveexec_b32 s7, s7
	v_mov_b32_e32 v0, 0x7f800001
	s_xor_b32 exec_lo, exec_lo, s7
	s_cbranch_execz .LBB287_332
.LBB287_636:
	v_cmp_ne_u16_e64 s1, 0, v11
	v_mov_b32_e32 v0, 0
	s_and_not1_b32 s6, s6, exec_lo
	s_and_b32 s1, s1, exec_lo
	s_delay_alu instid0(SALU_CYCLE_1)
	s_or_b32 s6, s6, s1
	s_or_b32 exec_lo, exec_lo, s7
	s_and_saveexec_b32 s7, s6
	s_cbranch_execnz .LBB287_333
	s_branch .LBB287_334
.LBB287_637:
	s_mov_b32 s6, -1
	s_mov_b32 s8, exec_lo
	v_cmpx_eq_u16_e32 0x80, v15
; %bb.638:
	s_xor_b32 s6, exec_lo, -1
; %bb.639:
	s_or_b32 exec_lo, exec_lo, s8
	s_delay_alu instid0(SALU_CYCLE_1)
	s_and_b32 s6, s6, exec_lo
                                        ; implicit-def: $vgpr15
	s_or_saveexec_b32 s7, s7
	v_mov_b32_e32 v11, 0x7f800001
	s_xor_b32 exec_lo, exec_lo, s7
	s_cbranch_execz .LBB287_336
.LBB287_640:
	v_cmp_ne_u16_e64 s1, 0, v15
	v_mov_b32_e32 v11, 0
	s_and_not1_b32 s6, s6, exec_lo
	s_and_b32 s1, s1, exec_lo
	s_delay_alu instid0(SALU_CYCLE_1)
	s_or_b32 s6, s6, s1
	s_or_b32 exec_lo, exec_lo, s7
	s_and_saveexec_b32 s7, s6
	s_cbranch_execnz .LBB287_337
	s_branch .LBB287_338
.LBB287_641:
	s_mov_b32 s4, -1
	s_mov_b32 s7, exec_lo
	v_cmpx_eq_u16_e32 0x80, v11
; %bb.642:
	s_xor_b32 s4, exec_lo, -1
; %bb.643:
	s_or_b32 exec_lo, exec_lo, s7
	s_delay_alu instid0(SALU_CYCLE_1)
	s_and_b32 s4, s4, exec_lo
                                        ; implicit-def: $vgpr11
	s_or_saveexec_b32 s6, s6
	v_mov_b32_e32 v0, 0x7f800001
	s_xor_b32 exec_lo, exec_lo, s6
	s_cbranch_execz .LBB287_344
.LBB287_644:
	v_cmp_ne_u16_e64 s1, 0, v11
	v_mov_b32_e32 v0, 0
	s_and_not1_b32 s4, s4, exec_lo
	s_and_b32 s1, s1, exec_lo
	s_delay_alu instid0(SALU_CYCLE_1)
	s_or_b32 s4, s4, s1
	s_or_b32 exec_lo, exec_lo, s6
	s_and_saveexec_b32 s6, s4
	s_cbranch_execnz .LBB287_345
	s_branch .LBB287_346
.LBB287_645:
	s_mov_b32 s4, -1
	s_mov_b32 s7, exec_lo
	v_cmpx_eq_u16_e32 0x80, v14
; %bb.646:
	s_xor_b32 s4, exec_lo, -1
; %bb.647:
	s_or_b32 exec_lo, exec_lo, s7
	s_delay_alu instid0(SALU_CYCLE_1)
	s_and_b32 s4, s4, exec_lo
                                        ; implicit-def: $vgpr14
	s_or_saveexec_b32 s6, s6
	v_mov_b32_e32 v11, 0x7f800001
	s_xor_b32 exec_lo, exec_lo, s6
	s_cbranch_execz .LBB287_348
.LBB287_648:
	v_cmp_ne_u16_e64 s1, 0, v14
	v_mov_b32_e32 v11, 0
	s_and_not1_b32 s4, s4, exec_lo
	s_and_b32 s1, s1, exec_lo
	s_delay_alu instid0(SALU_CYCLE_1)
	s_or_b32 s4, s4, s1
	s_or_b32 exec_lo, exec_lo, s6
	s_and_saveexec_b32 s6, s4
	s_cbranch_execnz .LBB287_349
	s_branch .LBB287_350
.LBB287_649:
	s_mov_b32 s6, -1
	s_mov_b32 s8, exec_lo
	v_cmpx_eq_u16_e32 0x80, v11
; %bb.650:
	s_xor_b32 s6, exec_lo, -1
; %bb.651:
	s_or_b32 exec_lo, exec_lo, s8
	s_delay_alu instid0(SALU_CYCLE_1)
	s_and_b32 s6, s6, exec_lo
                                        ; implicit-def: $vgpr11
	s_or_saveexec_b32 s7, s7
	v_mov_b32_e32 v0, 0x7f800001
	s_xor_b32 exec_lo, exec_lo, s7
	s_cbranch_execz .LBB287_354
.LBB287_652:
	v_cmp_ne_u16_e64 s1, 0, v11
	v_mov_b32_e32 v0, 0
	s_and_not1_b32 s6, s6, exec_lo
	s_and_b32 s1, s1, exec_lo
	s_delay_alu instid0(SALU_CYCLE_1)
	s_or_b32 s6, s6, s1
	s_or_b32 exec_lo, exec_lo, s7
	s_and_saveexec_b32 s7, s6
	s_cbranch_execnz .LBB287_355
	s_branch .LBB287_356
.LBB287_653:
	s_mov_b32 s6, -1
	s_mov_b32 s8, exec_lo
	v_cmpx_eq_u16_e32 0x80, v14
; %bb.654:
	s_xor_b32 s6, exec_lo, -1
; %bb.655:
	s_or_b32 exec_lo, exec_lo, s8
	s_delay_alu instid0(SALU_CYCLE_1)
	s_and_b32 s6, s6, exec_lo
                                        ; implicit-def: $vgpr14
	s_or_saveexec_b32 s7, s7
	v_mov_b32_e32 v11, 0x7f800001
	s_xor_b32 exec_lo, exec_lo, s7
	s_cbranch_execz .LBB287_358
.LBB287_656:
	v_cmp_ne_u16_e64 s1, 0, v14
	v_mov_b32_e32 v11, 0
	s_and_not1_b32 s6, s6, exec_lo
	s_and_b32 s1, s1, exec_lo
	s_delay_alu instid0(SALU_CYCLE_1)
	s_or_b32 s6, s6, s1
	s_or_b32 exec_lo, exec_lo, s7
	s_and_saveexec_b32 s7, s6
	s_cbranch_execnz .LBB287_359
	s_branch .LBB287_360
.LBB287_657:
	s_mov_b32 s1, -1
	s_mov_b32 s6, exec_lo
	v_cmpx_eq_u16_e32 0x80, v11
; %bb.658:
	s_xor_b32 s1, exec_lo, -1
; %bb.659:
	s_or_b32 exec_lo, exec_lo, s6
	s_delay_alu instid0(SALU_CYCLE_1)
	s_and_b32 s1, s1, exec_lo
                                        ; implicit-def: $vgpr11
	s_or_saveexec_b32 s5, s5
	v_mov_b32_e32 v0, 0x7f800001
	s_xor_b32 exec_lo, exec_lo, s5
	s_cbranch_execz .LBB287_383
.LBB287_660:
	v_cmp_ne_u16_e64 s0, 0, v11
	v_mov_b32_e32 v0, 0
	s_and_not1_b32 s1, s1, exec_lo
	s_and_b32 s0, s0, exec_lo
	s_delay_alu instid0(SALU_CYCLE_1)
	s_or_b32 s1, s1, s0
	s_or_b32 exec_lo, exec_lo, s5
	s_and_saveexec_b32 s5, s1
	s_cbranch_execnz .LBB287_384
	s_branch .LBB287_385
.LBB287_661:
	s_mov_b32 s1, -1
	s_mov_b32 s6, exec_lo
	v_cmpx_eq_u16_e32 0x80, v12
; %bb.662:
	s_xor_b32 s1, exec_lo, -1
; %bb.663:
	s_or_b32 exec_lo, exec_lo, s6
	s_delay_alu instid0(SALU_CYCLE_1)
	s_and_b32 s1, s1, exec_lo
                                        ; implicit-def: $vgpr12
	s_or_saveexec_b32 s5, s5
	v_mov_b32_e32 v11, 0x7f800001
	s_xor_b32 exec_lo, exec_lo, s5
	s_cbranch_execz .LBB287_387
.LBB287_664:
	v_cmp_ne_u16_e64 s0, 0, v12
	v_mov_b32_e32 v11, 0
	s_and_not1_b32 s1, s1, exec_lo
	s_and_b32 s0, s0, exec_lo
	s_delay_alu instid0(SALU_CYCLE_1)
	s_or_b32 s1, s1, s0
	s_or_b32 exec_lo, exec_lo, s5
	s_and_saveexec_b32 s5, s1
	s_cbranch_execnz .LBB287_388
	s_branch .LBB287_389
.LBB287_665:
	s_mov_b32 s5, -1
	s_mov_b32 s7, exec_lo
	v_cmpx_eq_u16_e32 0x80, v11
; %bb.666:
	s_xor_b32 s5, exec_lo, -1
; %bb.667:
	s_or_b32 exec_lo, exec_lo, s7
	s_delay_alu instid0(SALU_CYCLE_1)
	s_and_b32 s5, s5, exec_lo
                                        ; implicit-def: $vgpr11
	s_or_saveexec_b32 s6, s6
	v_mov_b32_e32 v0, 0x7f800001
	s_xor_b32 exec_lo, exec_lo, s6
	s_cbranch_execz .LBB287_393
.LBB287_668:
	v_cmp_ne_u16_e64 s0, 0, v11
	v_mov_b32_e32 v0, 0
	s_and_not1_b32 s5, s5, exec_lo
	s_and_b32 s0, s0, exec_lo
	s_delay_alu instid0(SALU_CYCLE_1)
	s_or_b32 s5, s5, s0
	s_or_b32 exec_lo, exec_lo, s6
	s_and_saveexec_b32 s6, s5
	s_cbranch_execnz .LBB287_394
	s_branch .LBB287_395
.LBB287_669:
	s_mov_b32 s5, -1
	s_mov_b32 s7, exec_lo
	v_cmpx_eq_u16_e32 0x80, v12
; %bb.670:
	s_xor_b32 s5, exec_lo, -1
; %bb.671:
	s_or_b32 exec_lo, exec_lo, s7
	s_delay_alu instid0(SALU_CYCLE_1)
	s_and_b32 s5, s5, exec_lo
                                        ; implicit-def: $vgpr12
	s_or_saveexec_b32 s6, s6
	v_mov_b32_e32 v11, 0x7f800001
	s_xor_b32 exec_lo, exec_lo, s6
	s_cbranch_execz .LBB287_397
.LBB287_672:
	v_cmp_ne_u16_e64 s0, 0, v12
	v_mov_b32_e32 v11, 0
	s_and_not1_b32 s5, s5, exec_lo
	s_and_b32 s0, s0, exec_lo
	s_delay_alu instid0(SALU_CYCLE_1)
	s_or_b32 s5, s5, s0
	s_or_b32 exec_lo, exec_lo, s6
	s_and_saveexec_b32 s6, s5
	s_cbranch_execnz .LBB287_398
	s_branch .LBB287_399
.Lfunc_end287:
	.size	_ZN2at6native25elementwise_kernel_helperILb0ENS0_13BinaryFunctorIN3c1015Float8_e4m3fnuzES4_bNS0_12_GLOBAL__N_116CompareEqFunctorIS4_EEEENS0_6memory8policies11unroll_baseILi256ESt5arrayIPcLm3EE23TrivialOffsetCalculatorILi2EjESF_ILi1EjENS9_15LoadWithoutCastENS9_16StoreWithoutCastELi16ELi1EEEEEvT0_T1_, .Lfunc_end287-_ZN2at6native25elementwise_kernel_helperILb0ENS0_13BinaryFunctorIN3c1015Float8_e4m3fnuzES4_bNS0_12_GLOBAL__N_116CompareEqFunctorIS4_EEEENS0_6memory8policies11unroll_baseILi256ESt5arrayIPcLm3EE23TrivialOffsetCalculatorILi2EjESF_ILi1EjENS9_15LoadWithoutCastENS9_16StoreWithoutCastELi16ELi1EEEEEvT0_T1_
                                        ; -- End function
	.set .L_ZN2at6native25elementwise_kernel_helperILb0ENS0_13BinaryFunctorIN3c1015Float8_e4m3fnuzES4_bNS0_12_GLOBAL__N_116CompareEqFunctorIS4_EEEENS0_6memory8policies11unroll_baseILi256ESt5arrayIPcLm3EE23TrivialOffsetCalculatorILi2EjESF_ILi1EjENS9_15LoadWithoutCastENS9_16StoreWithoutCastELi16ELi1EEEEEvT0_T1_.num_vgpr, 67
	.set .L_ZN2at6native25elementwise_kernel_helperILb0ENS0_13BinaryFunctorIN3c1015Float8_e4m3fnuzES4_bNS0_12_GLOBAL__N_116CompareEqFunctorIS4_EEEENS0_6memory8policies11unroll_baseILi256ESt5arrayIPcLm3EE23TrivialOffsetCalculatorILi2EjESF_ILi1EjENS9_15LoadWithoutCastENS9_16StoreWithoutCastELi16ELi1EEEEEvT0_T1_.num_agpr, 0
	.set .L_ZN2at6native25elementwise_kernel_helperILb0ENS0_13BinaryFunctorIN3c1015Float8_e4m3fnuzES4_bNS0_12_GLOBAL__N_116CompareEqFunctorIS4_EEEENS0_6memory8policies11unroll_baseILi256ESt5arrayIPcLm3EE23TrivialOffsetCalculatorILi2EjESF_ILi1EjENS9_15LoadWithoutCastENS9_16StoreWithoutCastELi16ELi1EEEEEvT0_T1_.numbered_sgpr, 32
	.set .L_ZN2at6native25elementwise_kernel_helperILb0ENS0_13BinaryFunctorIN3c1015Float8_e4m3fnuzES4_bNS0_12_GLOBAL__N_116CompareEqFunctorIS4_EEEENS0_6memory8policies11unroll_baseILi256ESt5arrayIPcLm3EE23TrivialOffsetCalculatorILi2EjESF_ILi1EjENS9_15LoadWithoutCastENS9_16StoreWithoutCastELi16ELi1EEEEEvT0_T1_.num_named_barrier, 0
	.set .L_ZN2at6native25elementwise_kernel_helperILb0ENS0_13BinaryFunctorIN3c1015Float8_e4m3fnuzES4_bNS0_12_GLOBAL__N_116CompareEqFunctorIS4_EEEENS0_6memory8policies11unroll_baseILi256ESt5arrayIPcLm3EE23TrivialOffsetCalculatorILi2EjESF_ILi1EjENS9_15LoadWithoutCastENS9_16StoreWithoutCastELi16ELi1EEEEEvT0_T1_.private_seg_size, 0
	.set .L_ZN2at6native25elementwise_kernel_helperILb0ENS0_13BinaryFunctorIN3c1015Float8_e4m3fnuzES4_bNS0_12_GLOBAL__N_116CompareEqFunctorIS4_EEEENS0_6memory8policies11unroll_baseILi256ESt5arrayIPcLm3EE23TrivialOffsetCalculatorILi2EjESF_ILi1EjENS9_15LoadWithoutCastENS9_16StoreWithoutCastELi16ELi1EEEEEvT0_T1_.uses_vcc, 1
	.set .L_ZN2at6native25elementwise_kernel_helperILb0ENS0_13BinaryFunctorIN3c1015Float8_e4m3fnuzES4_bNS0_12_GLOBAL__N_116CompareEqFunctorIS4_EEEENS0_6memory8policies11unroll_baseILi256ESt5arrayIPcLm3EE23TrivialOffsetCalculatorILi2EjESF_ILi1EjENS9_15LoadWithoutCastENS9_16StoreWithoutCastELi16ELi1EEEEEvT0_T1_.uses_flat_scratch, 0
	.set .L_ZN2at6native25elementwise_kernel_helperILb0ENS0_13BinaryFunctorIN3c1015Float8_e4m3fnuzES4_bNS0_12_GLOBAL__N_116CompareEqFunctorIS4_EEEENS0_6memory8policies11unroll_baseILi256ESt5arrayIPcLm3EE23TrivialOffsetCalculatorILi2EjESF_ILi1EjENS9_15LoadWithoutCastENS9_16StoreWithoutCastELi16ELi1EEEEEvT0_T1_.has_dyn_sized_stack, 0
	.set .L_ZN2at6native25elementwise_kernel_helperILb0ENS0_13BinaryFunctorIN3c1015Float8_e4m3fnuzES4_bNS0_12_GLOBAL__N_116CompareEqFunctorIS4_EEEENS0_6memory8policies11unroll_baseILi256ESt5arrayIPcLm3EE23TrivialOffsetCalculatorILi2EjESF_ILi1EjENS9_15LoadWithoutCastENS9_16StoreWithoutCastELi16ELi1EEEEEvT0_T1_.has_recursion, 0
	.set .L_ZN2at6native25elementwise_kernel_helperILb0ENS0_13BinaryFunctorIN3c1015Float8_e4m3fnuzES4_bNS0_12_GLOBAL__N_116CompareEqFunctorIS4_EEEENS0_6memory8policies11unroll_baseILi256ESt5arrayIPcLm3EE23TrivialOffsetCalculatorILi2EjESF_ILi1EjENS9_15LoadWithoutCastENS9_16StoreWithoutCastELi16ELi1EEEEEvT0_T1_.has_indirect_call, 0
	.section	.AMDGPU.csdata,"",@progbits
; Function info:
; codeLenInByte = 25108
; TotalNumSgprs: 34
; NumVgprs: 67
; ScratchSize: 0
; MemoryBound: 0
	.section	.text._ZN2at6native29vectorized_elementwise_kernelILi16ENS0_13BinaryFunctorIN3c1015Float8_e4m3fnuzES4_bNS0_12_GLOBAL__N_116CompareEqFunctorIS4_EEEESt5arrayIPcLm3EEEEviT0_T1_,"axG",@progbits,_ZN2at6native29vectorized_elementwise_kernelILi16ENS0_13BinaryFunctorIN3c1015Float8_e4m3fnuzES4_bNS0_12_GLOBAL__N_116CompareEqFunctorIS4_EEEESt5arrayIPcLm3EEEEviT0_T1_,comdat
	.globl	_ZN2at6native29vectorized_elementwise_kernelILi16ENS0_13BinaryFunctorIN3c1015Float8_e4m3fnuzES4_bNS0_12_GLOBAL__N_116CompareEqFunctorIS4_EEEESt5arrayIPcLm3EEEEviT0_T1_ ; -- Begin function _ZN2at6native29vectorized_elementwise_kernelILi16ENS0_13BinaryFunctorIN3c1015Float8_e4m3fnuzES4_bNS0_12_GLOBAL__N_116CompareEqFunctorIS4_EEEESt5arrayIPcLm3EEEEviT0_T1_
	.p2align	8
	.type	_ZN2at6native29vectorized_elementwise_kernelILi16ENS0_13BinaryFunctorIN3c1015Float8_e4m3fnuzES4_bNS0_12_GLOBAL__N_116CompareEqFunctorIS4_EEEESt5arrayIPcLm3EEEEviT0_T1_,@function
_ZN2at6native29vectorized_elementwise_kernelILi16ENS0_13BinaryFunctorIN3c1015Float8_e4m3fnuzES4_bNS0_12_GLOBAL__N_116CompareEqFunctorIS4_EEEESt5arrayIPcLm3EEEEviT0_T1_: ; @_ZN2at6native29vectorized_elementwise_kernelILi16ENS0_13BinaryFunctorIN3c1015Float8_e4m3fnuzES4_bNS0_12_GLOBAL__N_116CompareEqFunctorIS4_EEEESt5arrayIPcLm3EEEEviT0_T1_
; %bb.0:
	s_clause 0x2
	s_load_b64 s[8:9], s[0:1], 0x0
	s_load_b128 s[4:7], s[0:1], 0x8
	s_load_b64 s[2:3], s[0:1], 0x18
	s_wait_xcnt 0x0
	s_bfe_u32 s0, ttmp6, 0x4000c
	s_and_b32 s1, ttmp6, 15
	s_add_co_i32 s0, s0, 1
	s_getreg_b32 s10, hwreg(HW_REG_IB_STS2, 6, 4)
	s_mul_i32 s0, ttmp9, s0
	s_mov_b32 s32, 0
	s_add_co_i32 s1, s1, s0
	s_cmp_eq_u32 s10, 0
	s_cselect_b32 s0, ttmp9, s1
	s_delay_alu instid0(SALU_CYCLE_1) | instskip(SKIP_3) | instid1(SALU_CYCLE_1)
	s_lshl_b32 s10, s0, 12
	s_mov_b32 s0, -1
	s_wait_kmcnt 0x0
	s_sub_co_i32 s1, s8, s10
	s_cmp_gt_i32 s1, 0xfff
	s_cbranch_scc1 .LBB288_3
; %bb.1:
	s_and_b32 vcc_lo, exec_lo, s0
	s_cbranch_vccnz .LBB288_324
.LBB288_2:
	s_sendmsg sendmsg(MSG_DEALLOC_VGPRS)
	s_endpgm
.LBB288_3:
	s_ashr_i32 s11, s10, 31
	s_cmp_lg_u32 s9, 0
	s_add_nc_u64 s[12:13], s[6:7], s[10:11]
	s_cselect_b32 s0, -1, 0
	global_load_b128 v[6:9], v0, s[12:13] scale_offset
	s_wait_xcnt 0x0
	s_add_nc_u64 s[12:13], s[2:3], s[10:11]
	s_and_b32 vcc_lo, exec_lo, s0
	global_load_b128 v[2:5], v0, s[12:13] scale_offset
	s_wait_loadcnt 0x1
	v_and_b32_e32 v1, 0xff, v6
	s_cbranch_vccz .LBB288_13
; %bb.4:
	s_mov_b32 s8, 0
	s_wait_xcnt 0x0
	s_mov_b32 s12, exec_lo
	v_cmpx_lt_i16_e32 0x7f, v1
	s_xor_b32 s12, exec_lo, s12
	s_cbranch_execnz .LBB288_325
; %bb.5:
	s_or_saveexec_b32 s12, s12
	v_mov_b32_e32 v10, 0x7f800001
	s_xor_b32 exec_lo, exec_lo, s12
	s_cbranch_execnz .LBB288_328
.LBB288_6:
	s_or_b32 exec_lo, exec_lo, s12
	s_and_saveexec_b32 s12, s8
	s_cbranch_execz .LBB288_8
.LBB288_7:
	v_and_b32_e32 v10, 7, v6
	v_lshrrev_b16 v12, 3, v6
	v_lshlrev_b32_e32 v14, 24, v6
	s_delay_alu instid0(VALU_DEP_3) | instskip(NEXT) | instid1(VALU_DEP_1)
	v_clz_i32_u32_e32 v11, v10
	v_min_u32_e32 v11, 32, v11
	s_delay_alu instid0(VALU_DEP_4) | instskip(NEXT) | instid1(VALU_DEP_2)
	v_and_b32_e32 v12, 15, v12
	v_subrev_nc_u32_e32 v13, 28, v11
	v_sub_nc_u32_e32 v11, 29, v11
	s_delay_alu instid0(VALU_DEP_3) | instskip(NEXT) | instid1(VALU_DEP_3)
	v_cmp_eq_u32_e32 vcc_lo, 0, v12
	v_lshlrev_b32_e32 v13, v13, v6
	s_delay_alu instid0(VALU_DEP_1) | instskip(SKIP_1) | instid1(VALU_DEP_2)
	v_dual_cndmask_b32 v11, v12, v11, vcc_lo :: v_dual_bitop2_b32 v13, 7, v13 bitop3:0x40
	v_and_b32_e32 v12, 0x80000000, v14
	v_cndmask_b32_e32 v10, v10, v13, vcc_lo
	s_delay_alu instid0(VALU_DEP_3) | instskip(NEXT) | instid1(VALU_DEP_2)
	v_lshl_add_u32 v11, v11, 23, 0x3b800000
	v_lshlrev_b32_e32 v10, 20, v10
	s_delay_alu instid0(VALU_DEP_1)
	v_or3_b32 v10, v12, v11, v10
.LBB288_8:
	s_or_b32 exec_lo, exec_lo, s12
	s_wait_loadcnt 0x0
	v_and_b32_e32 v12, 0xff, v2
	s_mov_b32 s8, 0
	s_mov_b32 s12, exec_lo
	s_delay_alu instid0(VALU_DEP_1)
	v_cmpx_lt_i16_e32 0x7f, v12
	s_xor_b32 s12, exec_lo, s12
	s_cbranch_execnz .LBB288_329
; %bb.9:
	s_or_saveexec_b32 s12, s12
	v_mov_b32_e32 v11, 0x7f800001
	s_xor_b32 exec_lo, exec_lo, s12
	s_cbranch_execnz .LBB288_332
.LBB288_10:
	s_or_b32 exec_lo, exec_lo, s12
	s_and_saveexec_b32 s12, s8
	s_cbranch_execz .LBB288_12
.LBB288_11:
	v_and_b32_e32 v11, 7, v2
	v_lshrrev_b16 v13, 3, v2
	s_delay_alu instid0(VALU_DEP_2) | instskip(NEXT) | instid1(VALU_DEP_1)
	v_clz_i32_u32_e32 v12, v11
	v_min_u32_e32 v12, 32, v12
	s_delay_alu instid0(VALU_DEP_3) | instskip(NEXT) | instid1(VALU_DEP_2)
	v_and_b32_e32 v13, 15, v13
	v_subrev_nc_u32_e32 v14, 28, v12
	v_sub_nc_u32_e32 v12, 29, v12
	s_delay_alu instid0(VALU_DEP_3) | instskip(NEXT) | instid1(VALU_DEP_2)
	v_cmp_eq_u32_e32 vcc_lo, 0, v13
	v_dual_lshlrev_b32 v14, v14, v2 :: v_dual_cndmask_b32 v12, v13, v12, vcc_lo
	s_delay_alu instid0(VALU_DEP_1) | instskip(NEXT) | instid1(VALU_DEP_2)
	v_and_b32_e32 v14, 7, v14
	v_lshl_add_u32 v12, v12, 23, 0x3b800000
	s_delay_alu instid0(VALU_DEP_2) | instskip(NEXT) | instid1(VALU_DEP_1)
	v_cndmask_b32_e32 v11, v11, v14, vcc_lo
	v_dual_lshlrev_b32 v15, 24, v2 :: v_dual_lshlrev_b32 v11, 20, v11
	s_delay_alu instid0(VALU_DEP_1) | instskip(NEXT) | instid1(VALU_DEP_1)
	v_and_b32_e32 v13, 0x80000000, v15
	v_or3_b32 v11, v13, v12, v11
.LBB288_12:
	s_or_b32 exec_lo, exec_lo, s12
	s_delay_alu instid0(VALU_DEP_1)
	v_cmp_neq_f32_e64 s8, v10, v11
	s_branch .LBB288_23
.LBB288_13:
	s_wait_xcnt 0x0
                                        ; implicit-def: $sgpr8
	s_cbranch_execz .LBB288_23
; %bb.14:
	s_mov_b32 s8, 0
	s_mov_b32 s12, exec_lo
	v_cmpx_lt_i16_e32 0x7f, v1
	s_xor_b32 s12, exec_lo, s12
	s_cbranch_execnz .LBB288_453
; %bb.15:
	s_or_saveexec_b32 s12, s12
	v_mov_b32_e32 v10, 0x7f800001
	s_xor_b32 exec_lo, exec_lo, s12
	s_cbranch_execnz .LBB288_456
.LBB288_16:
	s_or_b32 exec_lo, exec_lo, s12
	s_and_saveexec_b32 s12, s8
	s_cbranch_execz .LBB288_18
.LBB288_17:
	v_and_b32_e32 v1, 7, v6
	v_lshrrev_b16 v11, 3, v6
	v_lshlrev_b32_e32 v13, 24, v6
	s_delay_alu instid0(VALU_DEP_3) | instskip(NEXT) | instid1(VALU_DEP_1)
	v_clz_i32_u32_e32 v10, v1
	v_min_u32_e32 v10, 32, v10
	s_delay_alu instid0(VALU_DEP_4) | instskip(NEXT) | instid1(VALU_DEP_2)
	v_and_b32_e32 v11, 15, v11
	v_subrev_nc_u32_e32 v12, 28, v10
	v_sub_nc_u32_e32 v10, 29, v10
	s_delay_alu instid0(VALU_DEP_3) | instskip(NEXT) | instid1(VALU_DEP_3)
	v_cmp_eq_u32_e32 vcc_lo, 0, v11
	v_lshlrev_b32_e32 v12, v12, v6
	s_delay_alu instid0(VALU_DEP_1) | instskip(SKIP_1) | instid1(VALU_DEP_2)
	v_dual_cndmask_b32 v10, v11, v10, vcc_lo :: v_dual_bitop2_b32 v12, 7, v12 bitop3:0x40
	v_and_b32_e32 v11, 0x80000000, v13
	v_cndmask_b32_e32 v1, v1, v12, vcc_lo
	s_delay_alu instid0(VALU_DEP_3) | instskip(NEXT) | instid1(VALU_DEP_2)
	v_lshl_add_u32 v10, v10, 23, 0x3b800000
	v_lshlrev_b32_e32 v1, 20, v1
	s_delay_alu instid0(VALU_DEP_1)
	v_or3_b32 v10, v11, v10, v1
.LBB288_18:
	s_or_b32 exec_lo, exec_lo, s12
	s_wait_loadcnt 0x0
	v_and_b32_e32 v11, 0xff, v2
	s_mov_b32 s8, 0
	s_mov_b32 s12, exec_lo
	s_delay_alu instid0(VALU_DEP_1)
	v_cmpx_lt_i16_e32 0x7f, v11
	s_xor_b32 s12, exec_lo, s12
	s_cbranch_execnz .LBB288_457
; %bb.19:
	s_or_saveexec_b32 s12, s12
	v_mov_b32_e32 v1, 0x7f800001
	s_xor_b32 exec_lo, exec_lo, s12
	s_cbranch_execnz .LBB288_460
.LBB288_20:
	s_or_b32 exec_lo, exec_lo, s12
	s_and_saveexec_b32 s12, s8
	s_cbranch_execz .LBB288_22
.LBB288_21:
	v_and_b32_e32 v1, 7, v2
	v_lshrrev_b16 v12, 3, v2
	v_lshlrev_b32_e32 v14, 24, v2
	s_delay_alu instid0(VALU_DEP_3) | instskip(NEXT) | instid1(VALU_DEP_1)
	v_clz_i32_u32_e32 v11, v1
	v_min_u32_e32 v11, 32, v11
	s_delay_alu instid0(VALU_DEP_4) | instskip(NEXT) | instid1(VALU_DEP_2)
	v_and_b32_e32 v12, 15, v12
	v_subrev_nc_u32_e32 v13, 28, v11
	v_sub_nc_u32_e32 v11, 29, v11
	s_delay_alu instid0(VALU_DEP_3) | instskip(NEXT) | instid1(VALU_DEP_3)
	v_cmp_eq_u32_e32 vcc_lo, 0, v12
	v_lshlrev_b32_e32 v13, v13, v2
	s_delay_alu instid0(VALU_DEP_1) | instskip(SKIP_1) | instid1(VALU_DEP_2)
	v_dual_cndmask_b32 v11, v12, v11, vcc_lo :: v_dual_bitop2_b32 v13, 7, v13 bitop3:0x40
	v_and_b32_e32 v12, 0x80000000, v14
	v_cndmask_b32_e32 v1, v1, v13, vcc_lo
	s_delay_alu instid0(VALU_DEP_3) | instskip(NEXT) | instid1(VALU_DEP_2)
	v_lshl_add_u32 v11, v11, 23, 0x3b800000
	v_lshlrev_b32_e32 v1, 20, v1
	s_delay_alu instid0(VALU_DEP_1)
	v_or3_b32 v1, v12, v11, v1
.LBB288_22:
	s_or_b32 exec_lo, exec_lo, s12
	s_delay_alu instid0(VALU_DEP_1)
	v_cmp_eq_f32_e64 s8, v10, v1
.LBB288_23:
	v_dual_lshrrev_b32 v29, 16, v6 :: v_dual_lshrrev_b32 v31, 8, v6
	v_dual_lshrrev_b32 v10, 24, v9 :: v_dual_lshrrev_b32 v11, 16, v9
	;; [unrolled: 1-line block ×6, first 2 shown]
	s_wait_loadcnt 0x0
	v_dual_lshrrev_b32 v1, 24, v5 :: v_dual_lshrrev_b32 v6, 16, v5
	v_dual_lshrrev_b32 v12, 8, v5 :: v_dual_lshrrev_b32 v14, 24, v4
	;; [unrolled: 1-line block ×6, first 2 shown]
	v_cndmask_b32_e64 v2, 0, 1, s0
	v_and_b32_e32 v32, 0xff, v31
	s_and_not1_b32 vcc_lo, exec_lo, s0
	s_cbranch_vccnz .LBB288_173
; %bb.24:
	s_mov_b32 s0, 0
	s_mov_b32 s12, exec_lo
	v_cmpx_lt_i16_e32 0x7f, v32
	s_xor_b32 s12, exec_lo, s12
	s_cbranch_execnz .LBB288_333
; %bb.25:
	s_or_saveexec_b32 s12, s12
	v_mov_b32_e32 v33, 0x7f800001
	s_xor_b32 exec_lo, exec_lo, s12
	s_cbranch_execnz .LBB288_336
.LBB288_26:
	s_or_b32 exec_lo, exec_lo, s12
	s_and_saveexec_b32 s12, s0
	s_cbranch_execz .LBB288_28
.LBB288_27:
	v_and_b32_e32 v33, 7, v31
	v_lshrrev_b16 v35, 3, v31
	v_lshlrev_b32_e32 v37, 24, v31
	s_delay_alu instid0(VALU_DEP_3) | instskip(NEXT) | instid1(VALU_DEP_1)
	v_clz_i32_u32_e32 v34, v33
	v_min_u32_e32 v34, 32, v34
	s_delay_alu instid0(VALU_DEP_4) | instskip(NEXT) | instid1(VALU_DEP_2)
	v_and_b32_e32 v35, 15, v35
	v_subrev_nc_u32_e32 v36, 28, v34
	v_sub_nc_u32_e32 v34, 29, v34
	s_delay_alu instid0(VALU_DEP_3) | instskip(NEXT) | instid1(VALU_DEP_3)
	v_cmp_eq_u32_e32 vcc_lo, 0, v35
	v_lshlrev_b32_e32 v36, v36, v31
	s_delay_alu instid0(VALU_DEP_1) | instskip(SKIP_1) | instid1(VALU_DEP_2)
	v_dual_cndmask_b32 v34, v35, v34, vcc_lo :: v_dual_bitop2_b32 v36, 7, v36 bitop3:0x40
	v_and_b32_e32 v35, 0x80000000, v37
	v_cndmask_b32_e32 v33, v33, v36, vcc_lo
	s_delay_alu instid0(VALU_DEP_3) | instskip(NEXT) | instid1(VALU_DEP_2)
	v_lshl_add_u32 v34, v34, 23, 0x3b800000
	v_lshlrev_b32_e32 v33, 20, v33
	s_delay_alu instid0(VALU_DEP_1)
	v_or3_b32 v33, v35, v34, v33
.LBB288_28:
	s_or_b32 exec_lo, exec_lo, s12
	v_and_b32_e32 v35, 0xff, v30
	s_mov_b32 s0, 0
	s_mov_b32 s12, exec_lo
	s_delay_alu instid0(VALU_DEP_1)
	v_cmpx_lt_i16_e32 0x7f, v35
	s_xor_b32 s12, exec_lo, s12
	s_cbranch_execnz .LBB288_337
; %bb.29:
	s_or_saveexec_b32 s12, s12
	v_mov_b32_e32 v34, 0x7f800001
	s_xor_b32 exec_lo, exec_lo, s12
	s_cbranch_execnz .LBB288_340
.LBB288_30:
	s_or_b32 exec_lo, exec_lo, s12
	s_and_saveexec_b32 s12, s0
	s_cbranch_execz .LBB288_32
.LBB288_31:
	v_and_b32_e32 v34, 7, v30
	v_lshrrev_b16 v36, 3, v30
	v_lshlrev_b32_e32 v38, 24, v30
	s_delay_alu instid0(VALU_DEP_3) | instskip(NEXT) | instid1(VALU_DEP_1)
	v_clz_i32_u32_e32 v35, v34
	v_min_u32_e32 v35, 32, v35
	s_delay_alu instid0(VALU_DEP_4) | instskip(NEXT) | instid1(VALU_DEP_2)
	v_and_b32_e32 v36, 15, v36
	v_subrev_nc_u32_e32 v37, 28, v35
	v_sub_nc_u32_e32 v35, 29, v35
	s_delay_alu instid0(VALU_DEP_3) | instskip(NEXT) | instid1(VALU_DEP_3)
	v_cmp_eq_u32_e32 vcc_lo, 0, v36
	v_lshlrev_b32_e32 v37, v37, v30
	s_delay_alu instid0(VALU_DEP_1) | instskip(SKIP_1) | instid1(VALU_DEP_2)
	v_dual_cndmask_b32 v35, v36, v35, vcc_lo :: v_dual_bitop2_b32 v37, 7, v37 bitop3:0x40
	v_and_b32_e32 v36, 0x80000000, v38
	v_cndmask_b32_e32 v34, v34, v37, vcc_lo
	s_delay_alu instid0(VALU_DEP_3) | instskip(NEXT) | instid1(VALU_DEP_2)
	v_lshl_add_u32 v35, v35, 23, 0x3b800000
	v_lshlrev_b32_e32 v34, 20, v34
	s_delay_alu instid0(VALU_DEP_1)
	v_or3_b32 v34, v36, v35, v34
.LBB288_32:
	s_or_b32 exec_lo, exec_lo, s12
	s_delay_alu instid0(VALU_DEP_1)
	v_cmp_neq_f32_e64 s12, v33, v34
.LBB288_33:
	v_cmp_ne_u32_e32 vcc_lo, 1, v2
	v_and_b32_e32 v30, 0xff, v29
	s_cbranch_vccnz .LBB288_183
.LBB288_34:
	s_mov_b32 s0, 0
	s_mov_b32 s13, exec_lo
	s_delay_alu instid0(VALU_DEP_1)
	v_cmpx_lt_i16_e32 0x7f, v30
	s_xor_b32 s13, exec_lo, s13
	s_cbranch_execnz .LBB288_341
; %bb.35:
	s_or_saveexec_b32 s13, s13
	v_mov_b32_e32 v31, 0x7f800001
	s_xor_b32 exec_lo, exec_lo, s13
	s_cbranch_execnz .LBB288_344
.LBB288_36:
	s_or_b32 exec_lo, exec_lo, s13
	s_and_saveexec_b32 s13, s0
	s_cbranch_execz .LBB288_38
.LBB288_37:
	v_and_b32_e32 v31, 7, v29
	v_lshrrev_b16 v33, 3, v29
	v_lshlrev_b32_e32 v35, 24, v29
	s_delay_alu instid0(VALU_DEP_3) | instskip(NEXT) | instid1(VALU_DEP_1)
	v_clz_i32_u32_e32 v32, v31
	v_min_u32_e32 v32, 32, v32
	s_delay_alu instid0(VALU_DEP_4) | instskip(NEXT) | instid1(VALU_DEP_2)
	v_and_b32_e32 v33, 15, v33
	v_subrev_nc_u32_e32 v34, 28, v32
	v_sub_nc_u32_e32 v32, 29, v32
	s_delay_alu instid0(VALU_DEP_3) | instskip(NEXT) | instid1(VALU_DEP_3)
	v_cmp_eq_u32_e32 vcc_lo, 0, v33
	v_lshlrev_b32_e32 v34, v34, v29
	s_delay_alu instid0(VALU_DEP_1) | instskip(SKIP_1) | instid1(VALU_DEP_2)
	v_dual_cndmask_b32 v32, v33, v32, vcc_lo :: v_dual_bitop2_b32 v34, 7, v34 bitop3:0x40
	v_and_b32_e32 v33, 0x80000000, v35
	v_cndmask_b32_e32 v31, v31, v34, vcc_lo
	s_delay_alu instid0(VALU_DEP_3) | instskip(NEXT) | instid1(VALU_DEP_2)
	v_lshl_add_u32 v32, v32, 23, 0x3b800000
	v_lshlrev_b32_e32 v31, 20, v31
	s_delay_alu instid0(VALU_DEP_1)
	v_or3_b32 v31, v33, v32, v31
.LBB288_38:
	s_or_b32 exec_lo, exec_lo, s13
	v_and_b32_e32 v33, 0xff, v28
	s_mov_b32 s0, 0
	s_mov_b32 s13, exec_lo
	s_delay_alu instid0(VALU_DEP_1)
	v_cmpx_lt_i16_e32 0x7f, v33
	s_xor_b32 s13, exec_lo, s13
	s_cbranch_execnz .LBB288_345
; %bb.39:
	s_or_saveexec_b32 s13, s13
	v_mov_b32_e32 v32, 0x7f800001
	s_xor_b32 exec_lo, exec_lo, s13
	s_cbranch_execnz .LBB288_348
.LBB288_40:
	s_or_b32 exec_lo, exec_lo, s13
	s_and_saveexec_b32 s13, s0
	s_cbranch_execz .LBB288_42
.LBB288_41:
	v_and_b32_e32 v32, 7, v28
	v_lshrrev_b16 v34, 3, v28
	v_lshlrev_b32_e32 v36, 24, v28
	s_delay_alu instid0(VALU_DEP_3) | instskip(NEXT) | instid1(VALU_DEP_1)
	v_clz_i32_u32_e32 v33, v32
	v_min_u32_e32 v33, 32, v33
	s_delay_alu instid0(VALU_DEP_4) | instskip(NEXT) | instid1(VALU_DEP_2)
	v_and_b32_e32 v34, 15, v34
	v_subrev_nc_u32_e32 v35, 28, v33
	v_sub_nc_u32_e32 v33, 29, v33
	s_delay_alu instid0(VALU_DEP_3) | instskip(NEXT) | instid1(VALU_DEP_3)
	v_cmp_eq_u32_e32 vcc_lo, 0, v34
	v_lshlrev_b32_e32 v35, v35, v28
	s_delay_alu instid0(VALU_DEP_1) | instskip(SKIP_1) | instid1(VALU_DEP_2)
	v_dual_cndmask_b32 v33, v34, v33, vcc_lo :: v_dual_bitop2_b32 v35, 7, v35 bitop3:0x40
	v_and_b32_e32 v34, 0x80000000, v36
	v_cndmask_b32_e32 v32, v32, v35, vcc_lo
	s_delay_alu instid0(VALU_DEP_3) | instskip(NEXT) | instid1(VALU_DEP_2)
	v_lshl_add_u32 v33, v33, 23, 0x3b800000
	v_lshlrev_b32_e32 v32, 20, v32
	s_delay_alu instid0(VALU_DEP_1)
	v_or3_b32 v32, v34, v33, v32
.LBB288_42:
	s_or_b32 exec_lo, exec_lo, s13
	s_delay_alu instid0(VALU_DEP_1)
	v_cmp_neq_f32_e64 s13, v31, v32
.LBB288_43:
	v_cmp_ne_u32_e32 vcc_lo, 1, v2
	v_cmp_lt_i16_e64 s0, 0x7f, v27
	s_cbranch_vccnz .LBB288_193
.LBB288_44:
	s_mov_b32 s14, 0
	s_and_saveexec_b32 s15, s0
	s_delay_alu instid0(SALU_CYCLE_1)
	s_xor_b32 s0, exec_lo, s15
	s_cbranch_execnz .LBB288_349
; %bb.45:
	s_or_saveexec_b32 s0, s0
	v_mov_b32_e32 v28, 0x7f800001
	s_xor_b32 exec_lo, exec_lo, s0
	s_cbranch_execnz .LBB288_352
.LBB288_46:
	s_or_b32 exec_lo, exec_lo, s0
	s_and_saveexec_b32 s0, s14
	s_cbranch_execz .LBB288_48
.LBB288_47:
	v_and_b32_e32 v28, 0xffff, v27
	s_delay_alu instid0(VALU_DEP_1) | instskip(SKIP_1) | instid1(VALU_DEP_2)
	v_and_b32_e32 v29, 7, v28
	v_bfe_u32 v32, v28, 3, 4
	v_clz_i32_u32_e32 v30, v29
	s_delay_alu instid0(VALU_DEP_2) | instskip(NEXT) | instid1(VALU_DEP_2)
	v_cmp_eq_u32_e32 vcc_lo, 0, v32
	v_min_u32_e32 v30, 32, v30
	s_delay_alu instid0(VALU_DEP_1) | instskip(NEXT) | instid1(VALU_DEP_1)
	v_subrev_nc_u32_e32 v31, 28, v30
	v_dual_lshlrev_b32 v28, v31, v28 :: v_dual_sub_nc_u32 v30, 29, v30
	s_delay_alu instid0(VALU_DEP_1) | instskip(NEXT) | instid1(VALU_DEP_1)
	v_dual_lshlrev_b32 v31, 24, v27 :: v_dual_bitop2_b32 v28, 7, v28 bitop3:0x40
	v_dual_cndmask_b32 v30, v32, v30, vcc_lo :: v_dual_cndmask_b32 v28, v29, v28, vcc_lo
	s_delay_alu instid0(VALU_DEP_2) | instskip(NEXT) | instid1(VALU_DEP_2)
	v_and_b32_e32 v29, 0x80000000, v31
	v_lshl_add_u32 v30, v30, 23, 0x3b800000
	s_delay_alu instid0(VALU_DEP_3) | instskip(NEXT) | instid1(VALU_DEP_1)
	v_lshlrev_b32_e32 v28, 20, v28
	v_or3_b32 v28, v29, v30, v28
.LBB288_48:
	s_or_b32 exec_lo, exec_lo, s0
	s_mov_b32 s0, 0
	s_mov_b32 s14, exec_lo
	v_cmpx_lt_i16_e32 0x7f, v26
	s_xor_b32 s14, exec_lo, s14
	s_cbranch_execnz .LBB288_353
; %bb.49:
	s_or_saveexec_b32 s14, s14
	v_mov_b32_e32 v29, 0x7f800001
	s_xor_b32 exec_lo, exec_lo, s14
	s_cbranch_execnz .LBB288_356
.LBB288_50:
	s_or_b32 exec_lo, exec_lo, s14
	s_and_saveexec_b32 s14, s0
	s_cbranch_execz .LBB288_52
.LBB288_51:
	v_and_b32_e32 v29, 0xffff, v26
	s_delay_alu instid0(VALU_DEP_1) | instskip(SKIP_1) | instid1(VALU_DEP_2)
	v_and_b32_e32 v30, 7, v29
	v_bfe_u32 v33, v29, 3, 4
	v_clz_i32_u32_e32 v31, v30
	s_delay_alu instid0(VALU_DEP_2) | instskip(NEXT) | instid1(VALU_DEP_2)
	v_cmp_eq_u32_e32 vcc_lo, 0, v33
	v_min_u32_e32 v31, 32, v31
	s_delay_alu instid0(VALU_DEP_1) | instskip(NEXT) | instid1(VALU_DEP_1)
	v_subrev_nc_u32_e32 v32, 28, v31
	v_dual_lshlrev_b32 v29, v32, v29 :: v_dual_sub_nc_u32 v31, 29, v31
	s_delay_alu instid0(VALU_DEP_1) | instskip(NEXT) | instid1(VALU_DEP_1)
	v_dual_lshlrev_b32 v32, 24, v26 :: v_dual_bitop2_b32 v29, 7, v29 bitop3:0x40
	v_dual_cndmask_b32 v31, v33, v31, vcc_lo :: v_dual_cndmask_b32 v29, v30, v29, vcc_lo
	s_delay_alu instid0(VALU_DEP_2) | instskip(NEXT) | instid1(VALU_DEP_2)
	v_and_b32_e32 v30, 0x80000000, v32
	v_lshl_add_u32 v31, v31, 23, 0x3b800000
	s_delay_alu instid0(VALU_DEP_3) | instskip(NEXT) | instid1(VALU_DEP_1)
	v_lshlrev_b32_e32 v29, 20, v29
	v_or3_b32 v29, v30, v31, v29
.LBB288_52:
	s_or_b32 exec_lo, exec_lo, s14
	s_delay_alu instid0(VALU_DEP_1)
	v_cmp_neq_f32_e64 s14, v28, v29
.LBB288_53:
	v_cmp_ne_u32_e32 vcc_lo, 1, v2
	v_and_b32_e32 v26, 0xff, v7
	s_cbranch_vccnz .LBB288_203
.LBB288_54:
	s_mov_b32 s0, 0
	s_mov_b32 s15, exec_lo
	s_delay_alu instid0(VALU_DEP_1)
	v_cmpx_lt_i16_e32 0x7f, v26
	s_xor_b32 s15, exec_lo, s15
	s_cbranch_execnz .LBB288_357
; %bb.55:
	s_or_saveexec_b32 s15, s15
	v_mov_b32_e32 v27, 0x7f800001
	s_xor_b32 exec_lo, exec_lo, s15
	s_cbranch_execnz .LBB288_360
.LBB288_56:
	s_or_b32 exec_lo, exec_lo, s15
	s_and_saveexec_b32 s15, s0
	s_cbranch_execz .LBB288_58
.LBB288_57:
	v_and_b32_e32 v27, 7, v7
	v_lshrrev_b16 v29, 3, v7
	v_lshlrev_b32_e32 v31, 24, v7
	s_delay_alu instid0(VALU_DEP_3) | instskip(NEXT) | instid1(VALU_DEP_1)
	v_clz_i32_u32_e32 v28, v27
	v_min_u32_e32 v28, 32, v28
	s_delay_alu instid0(VALU_DEP_4) | instskip(NEXT) | instid1(VALU_DEP_2)
	v_and_b32_e32 v29, 15, v29
	v_subrev_nc_u32_e32 v30, 28, v28
	v_sub_nc_u32_e32 v28, 29, v28
	s_delay_alu instid0(VALU_DEP_3) | instskip(NEXT) | instid1(VALU_DEP_3)
	v_cmp_eq_u32_e32 vcc_lo, 0, v29
	v_lshlrev_b32_e32 v30, v30, v7
	s_delay_alu instid0(VALU_DEP_1) | instskip(SKIP_1) | instid1(VALU_DEP_2)
	v_dual_cndmask_b32 v28, v29, v28, vcc_lo :: v_dual_bitop2_b32 v30, 7, v30 bitop3:0x40
	v_and_b32_e32 v29, 0x80000000, v31
	v_cndmask_b32_e32 v27, v27, v30, vcc_lo
	s_delay_alu instid0(VALU_DEP_3) | instskip(NEXT) | instid1(VALU_DEP_2)
	v_lshl_add_u32 v28, v28, 23, 0x3b800000
	v_lshlrev_b32_e32 v27, 20, v27
	s_delay_alu instid0(VALU_DEP_1)
	v_or3_b32 v27, v29, v28, v27
.LBB288_58:
	s_or_b32 exec_lo, exec_lo, s15
	v_and_b32_e32 v29, 0xff, v3
	s_mov_b32 s0, 0
	s_mov_b32 s15, exec_lo
	s_delay_alu instid0(VALU_DEP_1)
	v_cmpx_lt_i16_e32 0x7f, v29
	s_xor_b32 s15, exec_lo, s15
	s_cbranch_execnz .LBB288_361
; %bb.59:
	s_or_saveexec_b32 s15, s15
	v_mov_b32_e32 v28, 0x7f800001
	s_xor_b32 exec_lo, exec_lo, s15
	s_cbranch_execnz .LBB288_364
.LBB288_60:
	s_or_b32 exec_lo, exec_lo, s15
	s_and_saveexec_b32 s15, s0
	s_cbranch_execz .LBB288_62
.LBB288_61:
	v_and_b32_e32 v28, 7, v3
	v_lshrrev_b16 v30, 3, v3
	s_delay_alu instid0(VALU_DEP_2) | instskip(NEXT) | instid1(VALU_DEP_1)
	v_clz_i32_u32_e32 v29, v28
	v_min_u32_e32 v29, 32, v29
	s_delay_alu instid0(VALU_DEP_3) | instskip(NEXT) | instid1(VALU_DEP_2)
	v_and_b32_e32 v30, 15, v30
	v_subrev_nc_u32_e32 v31, 28, v29
	v_sub_nc_u32_e32 v29, 29, v29
	s_delay_alu instid0(VALU_DEP_3) | instskip(NEXT) | instid1(VALU_DEP_2)
	v_cmp_eq_u32_e32 vcc_lo, 0, v30
	v_dual_lshlrev_b32 v31, v31, v3 :: v_dual_cndmask_b32 v29, v30, v29, vcc_lo
	s_delay_alu instid0(VALU_DEP_1) | instskip(NEXT) | instid1(VALU_DEP_2)
	v_and_b32_e32 v31, 7, v31
	v_lshl_add_u32 v29, v29, 23, 0x3b800000
	s_delay_alu instid0(VALU_DEP_2) | instskip(NEXT) | instid1(VALU_DEP_1)
	v_cndmask_b32_e32 v28, v28, v31, vcc_lo
	v_dual_lshlrev_b32 v32, 24, v3 :: v_dual_lshlrev_b32 v28, 20, v28
	s_delay_alu instid0(VALU_DEP_1) | instskip(NEXT) | instid1(VALU_DEP_1)
	v_and_b32_e32 v30, 0x80000000, v32
	v_or3_b32 v28, v30, v29, v28
.LBB288_62:
	s_or_b32 exec_lo, exec_lo, s15
	s_delay_alu instid0(VALU_DEP_1)
	v_cmp_neq_f32_e64 s15, v27, v28
.LBB288_63:
	v_cmp_ne_u32_e32 vcc_lo, 1, v2
	v_and_b32_e32 v3, 0xff, v25
	s_cbranch_vccnz .LBB288_213
.LBB288_64:
	s_mov_b32 s0, 0
	s_mov_b32 s16, exec_lo
	s_delay_alu instid0(VALU_DEP_1)
	v_cmpx_lt_i16_e32 0x7f, v3
	s_xor_b32 s16, exec_lo, s16
	s_cbranch_execnz .LBB288_365
; %bb.65:
	s_or_saveexec_b32 s16, s16
	v_mov_b32_e32 v7, 0x7f800001
	s_xor_b32 exec_lo, exec_lo, s16
	s_cbranch_execnz .LBB288_368
.LBB288_66:
	s_or_b32 exec_lo, exec_lo, s16
	s_and_saveexec_b32 s16, s0
	s_cbranch_execz .LBB288_68
.LBB288_67:
	v_and_b32_e32 v7, 7, v25
	v_lshrrev_b16 v27, 3, v25
	v_lshlrev_b32_e32 v29, 24, v25
	s_delay_alu instid0(VALU_DEP_3) | instskip(NEXT) | instid1(VALU_DEP_1)
	v_clz_i32_u32_e32 v26, v7
	v_min_u32_e32 v26, 32, v26
	s_delay_alu instid0(VALU_DEP_4) | instskip(NEXT) | instid1(VALU_DEP_2)
	v_and_b32_e32 v27, 15, v27
	v_subrev_nc_u32_e32 v28, 28, v26
	v_sub_nc_u32_e32 v26, 29, v26
	s_delay_alu instid0(VALU_DEP_3) | instskip(NEXT) | instid1(VALU_DEP_3)
	v_cmp_eq_u32_e32 vcc_lo, 0, v27
	v_lshlrev_b32_e32 v28, v28, v25
	s_delay_alu instid0(VALU_DEP_1) | instskip(NEXT) | instid1(VALU_DEP_1)
	v_and_b32_e32 v28, 7, v28
	v_cndmask_b32_e32 v7, v7, v28, vcc_lo
	v_cndmask_b32_e32 v26, v27, v26, vcc_lo
	v_and_b32_e32 v27, 0x80000000, v29
	s_delay_alu instid0(VALU_DEP_3) | instskip(NEXT) | instid1(VALU_DEP_3)
	v_lshlrev_b32_e32 v7, 20, v7
	v_lshl_add_u32 v26, v26, 23, 0x3b800000
	s_delay_alu instid0(VALU_DEP_1)
	v_or3_b32 v7, v27, v26, v7
.LBB288_68:
	s_or_b32 exec_lo, exec_lo, s16
	v_and_b32_e32 v27, 0xff, v24
	s_mov_b32 s0, 0
	s_mov_b32 s16, exec_lo
	s_delay_alu instid0(VALU_DEP_1)
	v_cmpx_lt_i16_e32 0x7f, v27
	s_xor_b32 s16, exec_lo, s16
	s_cbranch_execnz .LBB288_369
; %bb.69:
	s_or_saveexec_b32 s16, s16
	v_mov_b32_e32 v26, 0x7f800001
	s_xor_b32 exec_lo, exec_lo, s16
	s_cbranch_execnz .LBB288_372
.LBB288_70:
	s_or_b32 exec_lo, exec_lo, s16
	s_and_saveexec_b32 s16, s0
	s_cbranch_execz .LBB288_72
.LBB288_71:
	v_and_b32_e32 v26, 7, v24
	v_lshrrev_b16 v28, 3, v24
	v_lshlrev_b32_e32 v30, 24, v24
	s_delay_alu instid0(VALU_DEP_3) | instskip(NEXT) | instid1(VALU_DEP_1)
	v_clz_i32_u32_e32 v27, v26
	v_min_u32_e32 v27, 32, v27
	s_delay_alu instid0(VALU_DEP_4) | instskip(NEXT) | instid1(VALU_DEP_2)
	v_and_b32_e32 v28, 15, v28
	v_subrev_nc_u32_e32 v29, 28, v27
	v_sub_nc_u32_e32 v27, 29, v27
	s_delay_alu instid0(VALU_DEP_3) | instskip(NEXT) | instid1(VALU_DEP_3)
	v_cmp_eq_u32_e32 vcc_lo, 0, v28
	v_lshlrev_b32_e32 v29, v29, v24
	s_delay_alu instid0(VALU_DEP_1) | instskip(SKIP_1) | instid1(VALU_DEP_2)
	v_dual_cndmask_b32 v27, v28, v27, vcc_lo :: v_dual_bitop2_b32 v29, 7, v29 bitop3:0x40
	v_and_b32_e32 v28, 0x80000000, v30
	v_cndmask_b32_e32 v26, v26, v29, vcc_lo
	s_delay_alu instid0(VALU_DEP_3) | instskip(NEXT) | instid1(VALU_DEP_2)
	v_lshl_add_u32 v27, v27, 23, 0x3b800000
	v_lshlrev_b32_e32 v26, 20, v26
	s_delay_alu instid0(VALU_DEP_1)
	v_or3_b32 v26, v28, v27, v26
.LBB288_72:
	s_or_b32 exec_lo, exec_lo, s16
	s_delay_alu instid0(VALU_DEP_1)
	v_cmp_neq_f32_e64 s16, v7, v26
.LBB288_73:
	v_cmp_ne_u32_e32 vcc_lo, 1, v2
	v_and_b32_e32 v3, 0xff, v23
	s_cbranch_vccnz .LBB288_223
.LBB288_74:
	s_mov_b32 s0, 0
	s_mov_b32 s17, exec_lo
	s_delay_alu instid0(VALU_DEP_1)
	v_cmpx_lt_i16_e32 0x7f, v3
	s_xor_b32 s17, exec_lo, s17
	s_cbranch_execnz .LBB288_373
; %bb.75:
	s_or_saveexec_b32 s17, s17
	v_mov_b32_e32 v7, 0x7f800001
	s_xor_b32 exec_lo, exec_lo, s17
	s_cbranch_execnz .LBB288_376
.LBB288_76:
	s_or_b32 exec_lo, exec_lo, s17
	s_and_saveexec_b32 s17, s0
	s_cbranch_execz .LBB288_78
.LBB288_77:
	v_and_b32_e32 v7, 7, v23
	v_lshrrev_b16 v25, 3, v23
	v_lshlrev_b32_e32 v27, 24, v23
	s_delay_alu instid0(VALU_DEP_3) | instskip(NEXT) | instid1(VALU_DEP_1)
	v_clz_i32_u32_e32 v24, v7
	v_min_u32_e32 v24, 32, v24
	s_delay_alu instid0(VALU_DEP_4) | instskip(NEXT) | instid1(VALU_DEP_2)
	v_and_b32_e32 v25, 15, v25
	v_subrev_nc_u32_e32 v26, 28, v24
	v_sub_nc_u32_e32 v24, 29, v24
	s_delay_alu instid0(VALU_DEP_3) | instskip(NEXT) | instid1(VALU_DEP_3)
	v_cmp_eq_u32_e32 vcc_lo, 0, v25
	v_lshlrev_b32_e32 v26, v26, v23
	s_delay_alu instid0(VALU_DEP_1) | instskip(SKIP_1) | instid1(VALU_DEP_2)
	v_dual_cndmask_b32 v24, v25, v24, vcc_lo :: v_dual_bitop2_b32 v26, 7, v26 bitop3:0x40
	v_and_b32_e32 v25, 0x80000000, v27
	v_cndmask_b32_e32 v7, v7, v26, vcc_lo
	s_delay_alu instid0(VALU_DEP_3) | instskip(NEXT) | instid1(VALU_DEP_2)
	v_lshl_add_u32 v24, v24, 23, 0x3b800000
	v_lshlrev_b32_e32 v7, 20, v7
	s_delay_alu instid0(VALU_DEP_1)
	v_or3_b32 v7, v25, v24, v7
.LBB288_78:
	s_or_b32 exec_lo, exec_lo, s17
	v_and_b32_e32 v25, 0xff, v22
	s_mov_b32 s0, 0
	s_mov_b32 s17, exec_lo
	s_delay_alu instid0(VALU_DEP_1)
	v_cmpx_lt_i16_e32 0x7f, v25
	s_xor_b32 s17, exec_lo, s17
	s_cbranch_execnz .LBB288_377
; %bb.79:
	s_or_saveexec_b32 s17, s17
	v_mov_b32_e32 v24, 0x7f800001
	s_xor_b32 exec_lo, exec_lo, s17
	s_cbranch_execnz .LBB288_380
.LBB288_80:
	s_or_b32 exec_lo, exec_lo, s17
	s_and_saveexec_b32 s17, s0
	s_cbranch_execz .LBB288_82
.LBB288_81:
	v_and_b32_e32 v24, 7, v22
	v_lshrrev_b16 v26, 3, v22
	v_lshlrev_b32_e32 v28, 24, v22
	s_delay_alu instid0(VALU_DEP_3) | instskip(NEXT) | instid1(VALU_DEP_1)
	v_clz_i32_u32_e32 v25, v24
	v_min_u32_e32 v25, 32, v25
	s_delay_alu instid0(VALU_DEP_4) | instskip(NEXT) | instid1(VALU_DEP_2)
	v_and_b32_e32 v26, 15, v26
	v_subrev_nc_u32_e32 v27, 28, v25
	v_sub_nc_u32_e32 v25, 29, v25
	s_delay_alu instid0(VALU_DEP_3) | instskip(NEXT) | instid1(VALU_DEP_3)
	v_cmp_eq_u32_e32 vcc_lo, 0, v26
	v_lshlrev_b32_e32 v27, v27, v22
	s_delay_alu instid0(VALU_DEP_1) | instskip(SKIP_1) | instid1(VALU_DEP_2)
	v_dual_cndmask_b32 v25, v26, v25, vcc_lo :: v_dual_bitop2_b32 v27, 7, v27 bitop3:0x40
	v_and_b32_e32 v26, 0x80000000, v28
	v_cndmask_b32_e32 v24, v24, v27, vcc_lo
	s_delay_alu instid0(VALU_DEP_3) | instskip(NEXT) | instid1(VALU_DEP_2)
	v_lshl_add_u32 v25, v25, 23, 0x3b800000
	v_lshlrev_b32_e32 v24, 20, v24
	s_delay_alu instid0(VALU_DEP_1)
	v_or3_b32 v24, v26, v25, v24
.LBB288_82:
	s_or_b32 exec_lo, exec_lo, s17
	s_delay_alu instid0(VALU_DEP_1)
	v_cmp_neq_f32_e64 s17, v7, v24
.LBB288_83:
	v_cmp_ne_u32_e32 vcc_lo, 1, v2
	v_cmp_lt_i16_e64 s0, 0x7f, v21
	s_cbranch_vccnz .LBB288_233
.LBB288_84:
	s_mov_b32 s18, 0
	s_and_saveexec_b32 s19, s0
	s_delay_alu instid0(SALU_CYCLE_1)
	s_xor_b32 s0, exec_lo, s19
	s_cbranch_execnz .LBB288_381
; %bb.85:
	s_or_saveexec_b32 s0, s0
	v_mov_b32_e32 v3, 0x7f800001
	s_xor_b32 exec_lo, exec_lo, s0
	s_cbranch_execnz .LBB288_384
.LBB288_86:
	s_or_b32 exec_lo, exec_lo, s0
	s_and_saveexec_b32 s0, s18
	s_cbranch_execz .LBB288_88
.LBB288_87:
	v_and_b32_e32 v3, 0xffff, v21
	s_delay_alu instid0(VALU_DEP_1) | instskip(SKIP_1) | instid1(VALU_DEP_2)
	v_and_b32_e32 v7, 7, v3
	v_bfe_u32 v24, v3, 3, 4
	v_clz_i32_u32_e32 v22, v7
	s_delay_alu instid0(VALU_DEP_2) | instskip(NEXT) | instid1(VALU_DEP_2)
	v_cmp_eq_u32_e32 vcc_lo, 0, v24
	v_min_u32_e32 v22, 32, v22
	s_delay_alu instid0(VALU_DEP_1) | instskip(NEXT) | instid1(VALU_DEP_1)
	v_subrev_nc_u32_e32 v23, 28, v22
	v_dual_lshlrev_b32 v3, v23, v3 :: v_dual_sub_nc_u32 v22, 29, v22
	s_delay_alu instid0(VALU_DEP_1) | instskip(NEXT) | instid1(VALU_DEP_1)
	v_dual_lshlrev_b32 v23, 24, v21 :: v_dual_bitop2_b32 v3, 7, v3 bitop3:0x40
	v_dual_cndmask_b32 v22, v24, v22 :: v_dual_cndmask_b32 v3, v7, v3
	s_delay_alu instid0(VALU_DEP_2) | instskip(NEXT) | instid1(VALU_DEP_2)
	v_and_b32_e32 v7, 0x80000000, v23
	v_lshl_add_u32 v22, v22, 23, 0x3b800000
	s_delay_alu instid0(VALU_DEP_3) | instskip(NEXT) | instid1(VALU_DEP_1)
	v_lshlrev_b32_e32 v3, 20, v3
	v_or3_b32 v3, v7, v22, v3
.LBB288_88:
	s_or_b32 exec_lo, exec_lo, s0
	s_mov_b32 s0, 0
	s_mov_b32 s18, exec_lo
	v_cmpx_lt_i16_e32 0x7f, v20
	s_xor_b32 s18, exec_lo, s18
	s_cbranch_execnz .LBB288_385
; %bb.89:
	s_or_saveexec_b32 s18, s18
	v_mov_b32_e32 v7, 0x7f800001
	s_xor_b32 exec_lo, exec_lo, s18
	s_cbranch_execnz .LBB288_388
.LBB288_90:
	s_or_b32 exec_lo, exec_lo, s18
	s_and_saveexec_b32 s18, s0
	s_cbranch_execz .LBB288_92
.LBB288_91:
	v_and_b32_e32 v7, 0xffff, v20
	s_delay_alu instid0(VALU_DEP_1) | instskip(SKIP_1) | instid1(VALU_DEP_2)
	v_and_b32_e32 v22, 7, v7
	v_bfe_u32 v25, v7, 3, 4
	v_clz_i32_u32_e32 v23, v22
	s_delay_alu instid0(VALU_DEP_2) | instskip(NEXT) | instid1(VALU_DEP_2)
	v_cmp_eq_u32_e32 vcc_lo, 0, v25
	v_min_u32_e32 v23, 32, v23
	s_delay_alu instid0(VALU_DEP_1) | instskip(SKIP_1) | instid1(VALU_DEP_2)
	v_subrev_nc_u32_e32 v24, 28, v23
	v_sub_nc_u32_e32 v23, 29, v23
	v_dual_lshlrev_b32 v7, v24, v7 :: v_dual_lshlrev_b32 v24, 24, v20
	s_delay_alu instid0(VALU_DEP_2) | instskip(NEXT) | instid1(VALU_DEP_2)
	v_cndmask_b32_e32 v23, v25, v23, vcc_lo
	v_and_b32_e32 v7, 7, v7
	s_delay_alu instid0(VALU_DEP_2) | instskip(NEXT) | instid1(VALU_DEP_2)
	v_lshl_add_u32 v23, v23, 23, 0x3b800000
	v_cndmask_b32_e32 v7, v22, v7, vcc_lo
	v_and_b32_e32 v22, 0x80000000, v24
	s_delay_alu instid0(VALU_DEP_2) | instskip(NEXT) | instid1(VALU_DEP_1)
	v_lshlrev_b32_e32 v7, 20, v7
	v_or3_b32 v7, v22, v23, v7
.LBB288_92:
	s_or_b32 exec_lo, exec_lo, s18
	s_delay_alu instid0(VALU_DEP_1)
	v_cmp_neq_f32_e64 s18, v3, v7
.LBB288_93:
	v_cmp_ne_u32_e32 vcc_lo, 1, v2
	v_and_b32_e32 v3, 0xff, v8
	s_cbranch_vccnz .LBB288_243
.LBB288_94:
	s_mov_b32 s0, 0
	s_mov_b32 s19, exec_lo
	s_delay_alu instid0(VALU_DEP_1)
	v_cmpx_lt_i16_e32 0x7f, v3
	s_xor_b32 s19, exec_lo, s19
	s_cbranch_execnz .LBB288_389
; %bb.95:
	s_or_saveexec_b32 s19, s19
	v_mov_b32_e32 v7, 0x7f800001
	s_xor_b32 exec_lo, exec_lo, s19
	s_cbranch_execnz .LBB288_392
.LBB288_96:
	s_or_b32 exec_lo, exec_lo, s19
	s_and_saveexec_b32 s19, s0
	s_cbranch_execz .LBB288_98
.LBB288_97:
	v_and_b32_e32 v7, 7, v8
	v_lshrrev_b16 v21, 3, v8
	v_lshlrev_b32_e32 v23, 24, v8
	s_delay_alu instid0(VALU_DEP_3) | instskip(NEXT) | instid1(VALU_DEP_1)
	v_clz_i32_u32_e32 v20, v7
	v_min_u32_e32 v20, 32, v20
	s_delay_alu instid0(VALU_DEP_4) | instskip(NEXT) | instid1(VALU_DEP_2)
	v_and_b32_e32 v21, 15, v21
	v_subrev_nc_u32_e32 v22, 28, v20
	v_sub_nc_u32_e32 v20, 29, v20
	s_delay_alu instid0(VALU_DEP_3) | instskip(NEXT) | instid1(VALU_DEP_3)
	v_cmp_eq_u32_e32 vcc_lo, 0, v21
	v_lshlrev_b32_e32 v22, v22, v8
	s_delay_alu instid0(VALU_DEP_1) | instskip(SKIP_1) | instid1(VALU_DEP_2)
	v_dual_cndmask_b32 v20, v21, v20, vcc_lo :: v_dual_bitop2_b32 v22, 7, v22 bitop3:0x40
	v_and_b32_e32 v21, 0x80000000, v23
	v_cndmask_b32_e32 v7, v7, v22, vcc_lo
	s_delay_alu instid0(VALU_DEP_3) | instskip(NEXT) | instid1(VALU_DEP_2)
	v_lshl_add_u32 v20, v20, 23, 0x3b800000
	v_lshlrev_b32_e32 v7, 20, v7
	s_delay_alu instid0(VALU_DEP_1)
	v_or3_b32 v7, v21, v20, v7
.LBB288_98:
	s_or_b32 exec_lo, exec_lo, s19
	v_and_b32_e32 v21, 0xff, v4
	s_mov_b32 s0, 0
	s_mov_b32 s19, exec_lo
	s_delay_alu instid0(VALU_DEP_1)
	v_cmpx_lt_i16_e32 0x7f, v21
	s_xor_b32 s19, exec_lo, s19
	s_cbranch_execnz .LBB288_393
; %bb.99:
	s_or_saveexec_b32 s19, s19
	v_mov_b32_e32 v20, 0x7f800001
	s_xor_b32 exec_lo, exec_lo, s19
	s_cbranch_execnz .LBB288_396
.LBB288_100:
	s_or_b32 exec_lo, exec_lo, s19
	s_and_saveexec_b32 s19, s0
	s_cbranch_execz .LBB288_102
.LBB288_101:
	v_and_b32_e32 v20, 7, v4
	v_lshrrev_b16 v22, 3, v4
	v_lshlrev_b32_e32 v24, 24, v4
	s_delay_alu instid0(VALU_DEP_3) | instskip(NEXT) | instid1(VALU_DEP_1)
	v_clz_i32_u32_e32 v21, v20
	v_min_u32_e32 v21, 32, v21
	s_delay_alu instid0(VALU_DEP_4) | instskip(NEXT) | instid1(VALU_DEP_2)
	v_and_b32_e32 v22, 15, v22
	v_subrev_nc_u32_e32 v23, 28, v21
	v_sub_nc_u32_e32 v21, 29, v21
	s_delay_alu instid0(VALU_DEP_3) | instskip(NEXT) | instid1(VALU_DEP_3)
	v_cmp_eq_u32_e32 vcc_lo, 0, v22
	v_lshlrev_b32_e32 v23, v23, v4
	s_delay_alu instid0(VALU_DEP_1) | instskip(SKIP_1) | instid1(VALU_DEP_2)
	v_dual_cndmask_b32 v21, v22, v21, vcc_lo :: v_dual_bitop2_b32 v23, 7, v23 bitop3:0x40
	v_and_b32_e32 v22, 0x80000000, v24
	v_cndmask_b32_e32 v20, v20, v23, vcc_lo
	s_delay_alu instid0(VALU_DEP_3) | instskip(NEXT) | instid1(VALU_DEP_2)
	v_lshl_add_u32 v21, v21, 23, 0x3b800000
	v_lshlrev_b32_e32 v20, 20, v20
	s_delay_alu instid0(VALU_DEP_1)
	v_or3_b32 v20, v22, v21, v20
.LBB288_102:
	s_or_b32 exec_lo, exec_lo, s19
	s_delay_alu instid0(VALU_DEP_1)
	v_cmp_neq_f32_e64 s19, v7, v20
.LBB288_103:
	v_cmp_ne_u32_e32 vcc_lo, 1, v2
	v_and_b32_e32 v3, 0xff, v19
	s_cbranch_vccnz .LBB288_253
.LBB288_104:
	s_mov_b32 s0, 0
	s_mov_b32 s20, exec_lo
	s_delay_alu instid0(VALU_DEP_1)
	v_cmpx_lt_i16_e32 0x7f, v3
	s_xor_b32 s20, exec_lo, s20
	s_cbranch_execnz .LBB288_397
; %bb.105:
	s_or_saveexec_b32 s20, s20
	v_mov_b32_e32 v4, 0x7f800001
	s_xor_b32 exec_lo, exec_lo, s20
	s_cbranch_execnz .LBB288_400
.LBB288_106:
	s_or_b32 exec_lo, exec_lo, s20
	s_and_saveexec_b32 s20, s0
	s_cbranch_execz .LBB288_108
.LBB288_107:
	v_and_b32_e32 v4, 7, v19
	v_lshrrev_b16 v8, 3, v19
	v_lshlrev_b32_e32 v21, 24, v19
	s_delay_alu instid0(VALU_DEP_3) | instskip(NEXT) | instid1(VALU_DEP_1)
	v_clz_i32_u32_e32 v7, v4
	v_min_u32_e32 v7, 32, v7
	s_delay_alu instid0(VALU_DEP_4) | instskip(NEXT) | instid1(VALU_DEP_2)
	v_and_b32_e32 v8, 15, v8
	v_subrev_nc_u32_e32 v20, 28, v7
	v_sub_nc_u32_e32 v7, 29, v7
	s_delay_alu instid0(VALU_DEP_3) | instskip(NEXT) | instid1(VALU_DEP_3)
	v_cmp_eq_u32_e32 vcc_lo, 0, v8
	v_lshlrev_b32_e32 v20, v20, v19
	s_delay_alu instid0(VALU_DEP_1) | instskip(NEXT) | instid1(VALU_DEP_1)
	v_and_b32_e32 v20, 7, v20
	v_cndmask_b32_e32 v4, v4, v20, vcc_lo
	v_cndmask_b32_e32 v7, v8, v7, vcc_lo
	v_and_b32_e32 v8, 0x80000000, v21
	s_delay_alu instid0(VALU_DEP_3) | instskip(NEXT) | instid1(VALU_DEP_3)
	v_lshlrev_b32_e32 v4, 20, v4
	v_lshl_add_u32 v7, v7, 23, 0x3b800000
	s_delay_alu instid0(VALU_DEP_1)
	v_or3_b32 v4, v8, v7, v4
.LBB288_108:
	s_or_b32 exec_lo, exec_lo, s20
	v_and_b32_e32 v8, 0xff, v18
	s_mov_b32 s0, 0
	s_mov_b32 s20, exec_lo
	s_delay_alu instid0(VALU_DEP_1)
	v_cmpx_lt_i16_e32 0x7f, v8
	s_xor_b32 s20, exec_lo, s20
	s_cbranch_execnz .LBB288_401
; %bb.109:
	s_or_saveexec_b32 s20, s20
	v_mov_b32_e32 v7, 0x7f800001
	s_xor_b32 exec_lo, exec_lo, s20
	s_cbranch_execnz .LBB288_404
.LBB288_110:
	s_or_b32 exec_lo, exec_lo, s20
	s_and_saveexec_b32 s20, s0
	s_cbranch_execz .LBB288_112
.LBB288_111:
	v_and_b32_e32 v7, 7, v18
	v_lshrrev_b16 v20, 3, v18
	v_lshlrev_b32_e32 v22, 24, v18
	s_delay_alu instid0(VALU_DEP_3) | instskip(NEXT) | instid1(VALU_DEP_3)
	v_clz_i32_u32_e32 v8, v7
	v_and_b32_e32 v20, 15, v20
	s_delay_alu instid0(VALU_DEP_2) | instskip(NEXT) | instid1(VALU_DEP_2)
	v_min_u32_e32 v8, 32, v8
	v_cmp_eq_u32_e32 vcc_lo, 0, v20
	s_delay_alu instid0(VALU_DEP_2) | instskip(NEXT) | instid1(VALU_DEP_1)
	v_subrev_nc_u32_e32 v21, 28, v8
	v_dual_lshlrev_b32 v21, v21, v18 :: v_dual_sub_nc_u32 v8, 29, v8
	s_delay_alu instid0(VALU_DEP_1) | instskip(SKIP_1) | instid1(VALU_DEP_2)
	v_dual_cndmask_b32 v8, v20, v8, vcc_lo :: v_dual_bitop2_b32 v21, 7, v21 bitop3:0x40
	v_and_b32_e32 v20, 0x80000000, v22
	v_cndmask_b32_e32 v7, v7, v21, vcc_lo
	s_delay_alu instid0(VALU_DEP_3) | instskip(NEXT) | instid1(VALU_DEP_2)
	v_lshl_add_u32 v8, v8, 23, 0x3b800000
	v_lshlrev_b32_e32 v7, 20, v7
	s_delay_alu instid0(VALU_DEP_1)
	v_or3_b32 v7, v20, v8, v7
.LBB288_112:
	s_or_b32 exec_lo, exec_lo, s20
	s_delay_alu instid0(VALU_DEP_1)
	v_cmp_neq_f32_e64 s20, v4, v7
.LBB288_113:
	v_cmp_ne_u32_e32 vcc_lo, 1, v2
	v_and_b32_e32 v3, 0xff, v17
	s_cbranch_vccnz .LBB288_263
.LBB288_114:
	s_mov_b32 s0, 0
	s_mov_b32 s21, exec_lo
	s_delay_alu instid0(VALU_DEP_1)
	v_cmpx_lt_i16_e32 0x7f, v3
	s_xor_b32 s21, exec_lo, s21
	s_cbranch_execnz .LBB288_405
; %bb.115:
	s_or_saveexec_b32 s21, s21
	v_mov_b32_e32 v4, 0x7f800001
	s_xor_b32 exec_lo, exec_lo, s21
	s_cbranch_execnz .LBB288_408
.LBB288_116:
	s_or_b32 exec_lo, exec_lo, s21
	s_and_saveexec_b32 s21, s0
	s_cbranch_execz .LBB288_118
.LBB288_117:
	v_and_b32_e32 v4, 7, v17
	v_lshrrev_b16 v8, 3, v17
	v_lshlrev_b32_e32 v19, 24, v17
	s_delay_alu instid0(VALU_DEP_3) | instskip(NEXT) | instid1(VALU_DEP_1)
	v_clz_i32_u32_e32 v7, v4
	v_min_u32_e32 v7, 32, v7
	s_delay_alu instid0(VALU_DEP_4) | instskip(NEXT) | instid1(VALU_DEP_2)
	v_and_b32_e32 v8, 15, v8
	v_subrev_nc_u32_e32 v18, 28, v7
	v_sub_nc_u32_e32 v7, 29, v7
	s_delay_alu instid0(VALU_DEP_3) | instskip(NEXT) | instid1(VALU_DEP_3)
	v_cmp_eq_u32_e32 vcc_lo, 0, v8
	v_lshlrev_b32_e32 v18, v18, v17
	s_delay_alu instid0(VALU_DEP_1) | instskip(NEXT) | instid1(VALU_DEP_1)
	v_and_b32_e32 v18, 7, v18
	v_cndmask_b32_e32 v4, v4, v18, vcc_lo
	v_cndmask_b32_e32 v7, v8, v7, vcc_lo
	v_and_b32_e32 v8, 0x80000000, v19
	s_delay_alu instid0(VALU_DEP_3) | instskip(NEXT) | instid1(VALU_DEP_3)
	v_lshlrev_b32_e32 v4, 20, v4
	v_lshl_add_u32 v7, v7, 23, 0x3b800000
	s_delay_alu instid0(VALU_DEP_1)
	v_or3_b32 v4, v8, v7, v4
.LBB288_118:
	s_or_b32 exec_lo, exec_lo, s21
	v_and_b32_e32 v8, 0xff, v16
	s_mov_b32 s0, 0
	s_mov_b32 s21, exec_lo
	s_delay_alu instid0(VALU_DEP_1)
	v_cmpx_lt_i16_e32 0x7f, v8
	s_xor_b32 s21, exec_lo, s21
	s_cbranch_execnz .LBB288_409
; %bb.119:
	s_or_saveexec_b32 s21, s21
	v_mov_b32_e32 v7, 0x7f800001
	s_xor_b32 exec_lo, exec_lo, s21
	s_cbranch_execnz .LBB288_412
.LBB288_120:
	s_or_b32 exec_lo, exec_lo, s21
	s_and_saveexec_b32 s21, s0
	s_cbranch_execz .LBB288_122
.LBB288_121:
	v_and_b32_e32 v7, 7, v16
	v_lshrrev_b16 v18, 3, v16
	v_lshlrev_b32_e32 v20, 24, v16
	s_delay_alu instid0(VALU_DEP_3) | instskip(NEXT) | instid1(VALU_DEP_1)
	v_clz_i32_u32_e32 v8, v7
	v_min_u32_e32 v8, 32, v8
	s_delay_alu instid0(VALU_DEP_4) | instskip(NEXT) | instid1(VALU_DEP_2)
	v_and_b32_e32 v18, 15, v18
	v_subrev_nc_u32_e32 v19, 28, v8
	v_sub_nc_u32_e32 v8, 29, v8
	s_delay_alu instid0(VALU_DEP_3) | instskip(NEXT) | instid1(VALU_DEP_3)
	v_cmp_eq_u32_e32 vcc_lo, 0, v18
	v_lshlrev_b32_e32 v19, v19, v16
	s_delay_alu instid0(VALU_DEP_1) | instskip(SKIP_1) | instid1(VALU_DEP_2)
	v_dual_cndmask_b32 v8, v18, v8, vcc_lo :: v_dual_bitop2_b32 v19, 7, v19 bitop3:0x40
	v_and_b32_e32 v18, 0x80000000, v20
	v_cndmask_b32_e32 v7, v7, v19, vcc_lo
	s_delay_alu instid0(VALU_DEP_3) | instskip(NEXT) | instid1(VALU_DEP_2)
	v_lshl_add_u32 v8, v8, 23, 0x3b800000
	v_lshlrev_b32_e32 v7, 20, v7
	s_delay_alu instid0(VALU_DEP_1)
	v_or3_b32 v7, v18, v8, v7
.LBB288_122:
	s_or_b32 exec_lo, exec_lo, s21
	s_delay_alu instid0(VALU_DEP_1)
	v_cmp_neq_f32_e64 s21, v4, v7
.LBB288_123:
	v_cmp_ne_u32_e32 vcc_lo, 1, v2
	v_cmp_lt_i16_e64 s0, 0x7f, v15
	s_cbranch_vccnz .LBB288_273
.LBB288_124:
	s_mov_b32 s22, 0
	s_and_saveexec_b32 s23, s0
	s_delay_alu instid0(SALU_CYCLE_1)
	s_xor_b32 s0, exec_lo, s23
	s_cbranch_execnz .LBB288_413
; %bb.125:
	s_or_saveexec_b32 s0, s0
	v_mov_b32_e32 v3, 0x7f800001
	s_xor_b32 exec_lo, exec_lo, s0
	s_cbranch_execnz .LBB288_416
.LBB288_126:
	s_or_b32 exec_lo, exec_lo, s0
	s_and_saveexec_b32 s0, s22
	s_cbranch_execz .LBB288_128
.LBB288_127:
	v_and_b32_e32 v3, 0xffff, v15
	s_delay_alu instid0(VALU_DEP_1) | instskip(SKIP_1) | instid1(VALU_DEP_2)
	v_and_b32_e32 v4, 7, v3
	v_bfe_u32 v16, v3, 3, 4
	v_clz_i32_u32_e32 v7, v4
	s_delay_alu instid0(VALU_DEP_2) | instskip(NEXT) | instid1(VALU_DEP_2)
	v_cmp_eq_u32_e32 vcc_lo, 0, v16
	v_min_u32_e32 v7, 32, v7
	s_delay_alu instid0(VALU_DEP_1) | instskip(SKIP_1) | instid1(VALU_DEP_2)
	v_subrev_nc_u32_e32 v8, 28, v7
	v_sub_nc_u32_e32 v7, 29, v7
	v_lshlrev_b32_e32 v3, v8, v3
	v_lshlrev_b32_e32 v8, 24, v15
	s_delay_alu instid0(VALU_DEP_3) | instskip(NEXT) | instid1(VALU_DEP_3)
	v_cndmask_b32_e32 v7, v16, v7, vcc_lo
	v_and_b32_e32 v3, 7, v3
	s_delay_alu instid0(VALU_DEP_2) | instskip(NEXT) | instid1(VALU_DEP_2)
	v_lshl_add_u32 v7, v7, 23, 0x3b800000
	v_cndmask_b32_e32 v3, v4, v3, vcc_lo
	v_and_b32_e32 v4, 0x80000000, v8
	s_delay_alu instid0(VALU_DEP_2) | instskip(NEXT) | instid1(VALU_DEP_1)
	v_lshlrev_b32_e32 v3, 20, v3
	v_or3_b32 v3, v4, v7, v3
.LBB288_128:
	s_or_b32 exec_lo, exec_lo, s0
	s_mov_b32 s0, 0
	s_mov_b32 s22, exec_lo
	v_cmpx_lt_i16_e32 0x7f, v14
	s_xor_b32 s22, exec_lo, s22
	s_cbranch_execnz .LBB288_417
; %bb.129:
	s_or_saveexec_b32 s22, s22
	v_mov_b32_e32 v4, 0x7f800001
	s_xor_b32 exec_lo, exec_lo, s22
	s_cbranch_execnz .LBB288_420
.LBB288_130:
	s_or_b32 exec_lo, exec_lo, s22
	s_and_saveexec_b32 s22, s0
	s_cbranch_execz .LBB288_132
.LBB288_131:
	v_and_b32_e32 v4, 0xffff, v14
	s_delay_alu instid0(VALU_DEP_1) | instskip(SKIP_1) | instid1(VALU_DEP_2)
	v_and_b32_e32 v7, 7, v4
	v_bfe_u32 v17, v4, 3, 4
	v_clz_i32_u32_e32 v8, v7
	s_delay_alu instid0(VALU_DEP_2) | instskip(NEXT) | instid1(VALU_DEP_2)
	v_cmp_eq_u32_e32 vcc_lo, 0, v17
	v_min_u32_e32 v8, 32, v8
	s_delay_alu instid0(VALU_DEP_1) | instskip(SKIP_1) | instid1(VALU_DEP_2)
	v_subrev_nc_u32_e32 v16, 28, v8
	v_sub_nc_u32_e32 v8, 29, v8
	v_dual_lshlrev_b32 v4, v16, v4 :: v_dual_lshlrev_b32 v16, 24, v14
	s_delay_alu instid0(VALU_DEP_2) | instskip(NEXT) | instid1(VALU_DEP_2)
	v_cndmask_b32_e32 v8, v17, v8, vcc_lo
	v_and_b32_e32 v4, 7, v4
	s_delay_alu instid0(VALU_DEP_2) | instskip(NEXT) | instid1(VALU_DEP_2)
	v_lshl_add_u32 v8, v8, 23, 0x3b800000
	v_cndmask_b32_e32 v4, v7, v4, vcc_lo
	v_and_b32_e32 v7, 0x80000000, v16
	s_delay_alu instid0(VALU_DEP_2) | instskip(NEXT) | instid1(VALU_DEP_1)
	v_lshlrev_b32_e32 v4, 20, v4
	v_or3_b32 v4, v7, v8, v4
.LBB288_132:
	s_or_b32 exec_lo, exec_lo, s22
	s_delay_alu instid0(VALU_DEP_1)
	v_cmp_neq_f32_e64 s22, v3, v4
.LBB288_133:
	v_cmp_ne_u32_e32 vcc_lo, 1, v2
	v_and_b32_e32 v3, 0xff, v9
	s_cbranch_vccnz .LBB288_283
.LBB288_134:
	s_mov_b32 s0, 0
	s_mov_b32 s23, exec_lo
	s_delay_alu instid0(VALU_DEP_1)
	v_cmpx_lt_i16_e32 0x7f, v3
	s_xor_b32 s23, exec_lo, s23
	s_cbranch_execnz .LBB288_421
; %bb.135:
	s_or_saveexec_b32 s23, s23
	v_mov_b32_e32 v4, 0x7f800001
	s_xor_b32 exec_lo, exec_lo, s23
	s_cbranch_execnz .LBB288_424
.LBB288_136:
	s_or_b32 exec_lo, exec_lo, s23
	s_and_saveexec_b32 s23, s0
	s_cbranch_execz .LBB288_138
.LBB288_137:
	v_and_b32_e32 v4, 7, v9
	v_lshrrev_b16 v8, 3, v9
	v_lshlrev_b32_e32 v15, 24, v9
	s_delay_alu instid0(VALU_DEP_3) | instskip(NEXT) | instid1(VALU_DEP_1)
	v_clz_i32_u32_e32 v7, v4
	v_min_u32_e32 v7, 32, v7
	s_delay_alu instid0(VALU_DEP_4) | instskip(NEXT) | instid1(VALU_DEP_2)
	v_and_b32_e32 v8, 15, v8
	v_subrev_nc_u32_e32 v14, 28, v7
	v_sub_nc_u32_e32 v7, 29, v7
	s_delay_alu instid0(VALU_DEP_3) | instskip(NEXT) | instid1(VALU_DEP_3)
	v_cmp_eq_u32_e32 vcc_lo, 0, v8
	v_lshlrev_b32_e32 v14, v14, v9
	s_delay_alu instid0(VALU_DEP_1) | instskip(NEXT) | instid1(VALU_DEP_1)
	v_and_b32_e32 v14, 7, v14
	v_cndmask_b32_e32 v4, v4, v14, vcc_lo
	v_cndmask_b32_e32 v7, v8, v7, vcc_lo
	v_and_b32_e32 v8, 0x80000000, v15
	s_delay_alu instid0(VALU_DEP_3) | instskip(NEXT) | instid1(VALU_DEP_3)
	v_lshlrev_b32_e32 v4, 20, v4
	v_lshl_add_u32 v7, v7, 23, 0x3b800000
	s_delay_alu instid0(VALU_DEP_1)
	v_or3_b32 v4, v8, v7, v4
.LBB288_138:
	s_or_b32 exec_lo, exec_lo, s23
	v_and_b32_e32 v8, 0xff, v5
	s_mov_b32 s0, 0
	s_mov_b32 s23, exec_lo
	s_delay_alu instid0(VALU_DEP_1)
	v_cmpx_lt_i16_e32 0x7f, v8
	s_xor_b32 s23, exec_lo, s23
	s_cbranch_execnz .LBB288_425
; %bb.139:
	s_or_saveexec_b32 s23, s23
	v_mov_b32_e32 v7, 0x7f800001
	s_xor_b32 exec_lo, exec_lo, s23
	s_cbranch_execnz .LBB288_428
.LBB288_140:
	s_or_b32 exec_lo, exec_lo, s23
	s_and_saveexec_b32 s23, s0
	s_cbranch_execz .LBB288_142
.LBB288_141:
	v_and_b32_e32 v7, 7, v5
	v_lshrrev_b16 v14, 3, v5
	v_lshlrev_b32_e32 v16, 24, v5
	s_delay_alu instid0(VALU_DEP_3) | instskip(NEXT) | instid1(VALU_DEP_1)
	v_clz_i32_u32_e32 v8, v7
	v_min_u32_e32 v8, 32, v8
	s_delay_alu instid0(VALU_DEP_4) | instskip(NEXT) | instid1(VALU_DEP_2)
	v_and_b32_e32 v14, 15, v14
	v_subrev_nc_u32_e32 v15, 28, v8
	v_sub_nc_u32_e32 v8, 29, v8
	s_delay_alu instid0(VALU_DEP_3) | instskip(NEXT) | instid1(VALU_DEP_3)
	v_cmp_eq_u32_e32 vcc_lo, 0, v14
	v_lshlrev_b32_e32 v15, v15, v5
	s_delay_alu instid0(VALU_DEP_1) | instskip(SKIP_1) | instid1(VALU_DEP_2)
	v_dual_cndmask_b32 v8, v14, v8, vcc_lo :: v_dual_bitop2_b32 v15, 7, v15 bitop3:0x40
	v_and_b32_e32 v14, 0x80000000, v16
	v_cndmask_b32_e32 v7, v7, v15, vcc_lo
	s_delay_alu instid0(VALU_DEP_3) | instskip(NEXT) | instid1(VALU_DEP_2)
	v_lshl_add_u32 v8, v8, 23, 0x3b800000
	v_lshlrev_b32_e32 v7, 20, v7
	s_delay_alu instid0(VALU_DEP_1)
	v_or3_b32 v7, v14, v8, v7
.LBB288_142:
	s_or_b32 exec_lo, exec_lo, s23
	s_delay_alu instid0(VALU_DEP_1)
	v_cmp_neq_f32_e64 s23, v4, v7
.LBB288_143:
	v_cmp_ne_u32_e32 vcc_lo, 1, v2
	v_and_b32_e32 v3, 0xff, v13
	s_cbranch_vccnz .LBB288_293
.LBB288_144:
	s_mov_b32 s0, 0
	s_mov_b32 s24, exec_lo
	s_delay_alu instid0(VALU_DEP_1)
	v_cmpx_lt_i16_e32 0x7f, v3
	s_xor_b32 s24, exec_lo, s24
	s_cbranch_execnz .LBB288_429
; %bb.145:
	s_or_saveexec_b32 s24, s24
	v_mov_b32_e32 v4, 0x7f800001
	s_xor_b32 exec_lo, exec_lo, s24
	s_cbranch_execnz .LBB288_432
.LBB288_146:
	s_or_b32 exec_lo, exec_lo, s24
	s_and_saveexec_b32 s24, s0
	s_cbranch_execz .LBB288_148
.LBB288_147:
	v_and_b32_e32 v4, 7, v13
	v_lshrrev_b16 v7, 3, v13
	v_lshlrev_b32_e32 v9, 24, v13
	s_delay_alu instid0(VALU_DEP_3) | instskip(NEXT) | instid1(VALU_DEP_1)
	v_clz_i32_u32_e32 v5, v4
	v_min_u32_e32 v5, 32, v5
	s_delay_alu instid0(VALU_DEP_4) | instskip(NEXT) | instid1(VALU_DEP_2)
	v_and_b32_e32 v7, 15, v7
	v_subrev_nc_u32_e32 v8, 28, v5
	v_sub_nc_u32_e32 v5, 29, v5
	s_delay_alu instid0(VALU_DEP_3) | instskip(NEXT) | instid1(VALU_DEP_3)
	v_cmp_eq_u32_e32 vcc_lo, 0, v7
	v_lshlrev_b32_e32 v8, v8, v13
	s_delay_alu instid0(VALU_DEP_1) | instskip(SKIP_1) | instid1(VALU_DEP_2)
	v_dual_cndmask_b32 v5, v7, v5, vcc_lo :: v_dual_bitop2_b32 v8, 7, v8 bitop3:0x40
	v_and_b32_e32 v7, 0x80000000, v9
	v_cndmask_b32_e32 v4, v4, v8, vcc_lo
	s_delay_alu instid0(VALU_DEP_3) | instskip(NEXT) | instid1(VALU_DEP_2)
	v_lshl_add_u32 v5, v5, 23, 0x3b800000
	v_lshlrev_b32_e32 v4, 20, v4
	s_delay_alu instid0(VALU_DEP_1)
	v_or3_b32 v4, v7, v5, v4
.LBB288_148:
	s_or_b32 exec_lo, exec_lo, s24
	v_and_b32_e32 v7, 0xff, v12
	s_mov_b32 s0, 0
	s_mov_b32 s24, exec_lo
	s_delay_alu instid0(VALU_DEP_1)
	v_cmpx_lt_i16_e32 0x7f, v7
	s_xor_b32 s24, exec_lo, s24
	s_cbranch_execnz .LBB288_433
; %bb.149:
	s_or_saveexec_b32 s24, s24
	v_mov_b32_e32 v5, 0x7f800001
	s_xor_b32 exec_lo, exec_lo, s24
	s_cbranch_execnz .LBB288_436
.LBB288_150:
	s_or_b32 exec_lo, exec_lo, s24
	s_and_saveexec_b32 s24, s0
	s_cbranch_execz .LBB288_152
.LBB288_151:
	v_and_b32_e32 v5, 7, v12
	v_lshrrev_b16 v8, 3, v12
	v_lshlrev_b32_e32 v14, 24, v12
	s_delay_alu instid0(VALU_DEP_3) | instskip(NEXT) | instid1(VALU_DEP_1)
	v_clz_i32_u32_e32 v7, v5
	v_min_u32_e32 v7, 32, v7
	s_delay_alu instid0(VALU_DEP_4) | instskip(NEXT) | instid1(VALU_DEP_2)
	v_and_b32_e32 v8, 15, v8
	v_subrev_nc_u32_e32 v9, 28, v7
	v_sub_nc_u32_e32 v7, 29, v7
	s_delay_alu instid0(VALU_DEP_3) | instskip(NEXT) | instid1(VALU_DEP_3)
	v_cmp_eq_u32_e32 vcc_lo, 0, v8
	v_lshlrev_b32_e32 v9, v9, v12
	s_delay_alu instid0(VALU_DEP_1) | instskip(SKIP_1) | instid1(VALU_DEP_2)
	v_dual_cndmask_b32 v7, v8, v7, vcc_lo :: v_dual_bitop2_b32 v9, 7, v9 bitop3:0x40
	v_and_b32_e32 v8, 0x80000000, v14
	v_cndmask_b32_e32 v5, v5, v9, vcc_lo
	s_delay_alu instid0(VALU_DEP_3) | instskip(NEXT) | instid1(VALU_DEP_2)
	v_lshl_add_u32 v7, v7, 23, 0x3b800000
	v_lshlrev_b32_e32 v5, 20, v5
	s_delay_alu instid0(VALU_DEP_1)
	v_or3_b32 v5, v8, v7, v5
.LBB288_152:
	s_or_b32 exec_lo, exec_lo, s24
	s_delay_alu instid0(VALU_DEP_1)
	v_cmp_neq_f32_e64 s24, v4, v5
.LBB288_153:
	v_cmp_ne_u32_e32 vcc_lo, 1, v2
	v_and_b32_e32 v3, 0xff, v11
	s_cbranch_vccnz .LBB288_303
.LBB288_154:
	s_mov_b32 s0, 0
	s_mov_b32 s25, exec_lo
	s_delay_alu instid0(VALU_DEP_1)
	v_cmpx_lt_i16_e32 0x7f, v3
	s_xor_b32 s25, exec_lo, s25
	s_cbranch_execnz .LBB288_437
; %bb.155:
	s_or_saveexec_b32 s25, s25
	v_mov_b32_e32 v4, 0x7f800001
	s_xor_b32 exec_lo, exec_lo, s25
	s_cbranch_execnz .LBB288_440
.LBB288_156:
	s_or_b32 exec_lo, exec_lo, s25
	s_and_saveexec_b32 s25, s0
	s_cbranch_execz .LBB288_158
.LBB288_157:
	v_and_b32_e32 v4, 7, v11
	v_lshrrev_b16 v7, 3, v11
	v_lshlrev_b32_e32 v9, 24, v11
	s_delay_alu instid0(VALU_DEP_3) | instskip(NEXT) | instid1(VALU_DEP_1)
	v_clz_i32_u32_e32 v5, v4
	v_min_u32_e32 v5, 32, v5
	s_delay_alu instid0(VALU_DEP_4) | instskip(NEXT) | instid1(VALU_DEP_2)
	v_and_b32_e32 v7, 15, v7
	v_subrev_nc_u32_e32 v8, 28, v5
	v_sub_nc_u32_e32 v5, 29, v5
	s_delay_alu instid0(VALU_DEP_3) | instskip(NEXT) | instid1(VALU_DEP_3)
	v_cmp_eq_u32_e32 vcc_lo, 0, v7
	v_lshlrev_b32_e32 v8, v8, v11
	s_delay_alu instid0(VALU_DEP_1) | instskip(SKIP_1) | instid1(VALU_DEP_2)
	v_dual_cndmask_b32 v5, v7, v5, vcc_lo :: v_dual_bitop2_b32 v8, 7, v8 bitop3:0x40
	v_and_b32_e32 v7, 0x80000000, v9
	v_cndmask_b32_e32 v4, v4, v8, vcc_lo
	s_delay_alu instid0(VALU_DEP_3) | instskip(NEXT) | instid1(VALU_DEP_2)
	v_lshl_add_u32 v5, v5, 23, 0x3b800000
	v_lshlrev_b32_e32 v4, 20, v4
	s_delay_alu instid0(VALU_DEP_1)
	v_or3_b32 v4, v7, v5, v4
.LBB288_158:
	s_or_b32 exec_lo, exec_lo, s25
	v_and_b32_e32 v7, 0xff, v6
	s_mov_b32 s0, 0
	s_mov_b32 s25, exec_lo
	s_delay_alu instid0(VALU_DEP_1)
	v_cmpx_lt_i16_e32 0x7f, v7
	s_xor_b32 s25, exec_lo, s25
	s_cbranch_execnz .LBB288_441
; %bb.159:
	s_or_saveexec_b32 s25, s25
	v_mov_b32_e32 v5, 0x7f800001
	s_xor_b32 exec_lo, exec_lo, s25
	s_cbranch_execnz .LBB288_444
.LBB288_160:
	s_or_b32 exec_lo, exec_lo, s25
	s_and_saveexec_b32 s25, s0
	s_cbranch_execz .LBB288_162
.LBB288_161:
	v_and_b32_e32 v5, 7, v6
	v_lshrrev_b16 v8, 3, v6
	v_lshlrev_b32_e32 v12, 24, v6
	s_delay_alu instid0(VALU_DEP_3) | instskip(NEXT) | instid1(VALU_DEP_1)
	v_clz_i32_u32_e32 v7, v5
	v_min_u32_e32 v7, 32, v7
	s_delay_alu instid0(VALU_DEP_4) | instskip(NEXT) | instid1(VALU_DEP_2)
	v_and_b32_e32 v8, 15, v8
	v_subrev_nc_u32_e32 v9, 28, v7
	v_sub_nc_u32_e32 v7, 29, v7
	s_delay_alu instid0(VALU_DEP_3) | instskip(NEXT) | instid1(VALU_DEP_3)
	v_cmp_eq_u32_e32 vcc_lo, 0, v8
	v_lshlrev_b32_e32 v9, v9, v6
	s_delay_alu instid0(VALU_DEP_1) | instskip(SKIP_1) | instid1(VALU_DEP_2)
	v_dual_cndmask_b32 v7, v8, v7, vcc_lo :: v_dual_bitop2_b32 v9, 7, v9 bitop3:0x40
	v_and_b32_e32 v8, 0x80000000, v12
	v_cndmask_b32_e32 v5, v5, v9, vcc_lo
	s_delay_alu instid0(VALU_DEP_3) | instskip(NEXT) | instid1(VALU_DEP_2)
	v_lshl_add_u32 v7, v7, 23, 0x3b800000
	v_lshlrev_b32_e32 v5, 20, v5
	s_delay_alu instid0(VALU_DEP_1)
	v_or3_b32 v5, v8, v7, v5
.LBB288_162:
	s_or_b32 exec_lo, exec_lo, s25
	s_delay_alu instid0(VALU_DEP_1)
	v_cmp_neq_f32_e64 s25, v4, v5
.LBB288_163:
	v_cmp_ne_u32_e32 vcc_lo, 1, v2
	v_cmp_lt_i16_e64 s0, 0x7f, v10
	s_cbranch_vccnz .LBB288_313
.LBB288_164:
	s_mov_b32 s26, 0
	s_and_saveexec_b32 s27, s0
	s_delay_alu instid0(SALU_CYCLE_1)
	s_xor_b32 s0, exec_lo, s27
	s_cbranch_execnz .LBB288_445
; %bb.165:
	s_or_saveexec_b32 s0, s0
	v_mov_b32_e32 v2, 0x7f800001
	s_xor_b32 exec_lo, exec_lo, s0
	s_cbranch_execnz .LBB288_448
.LBB288_166:
	s_or_b32 exec_lo, exec_lo, s0
	s_and_saveexec_b32 s0, s26
	s_cbranch_execz .LBB288_168
.LBB288_167:
	v_and_b32_e32 v2, 0xffff, v10
	s_delay_alu instid0(VALU_DEP_1) | instskip(SKIP_1) | instid1(VALU_DEP_2)
	v_and_b32_e32 v3, 7, v2
	v_bfe_u32 v6, v2, 3, 4
	v_clz_i32_u32_e32 v4, v3
	s_delay_alu instid0(VALU_DEP_2) | instskip(NEXT) | instid1(VALU_DEP_2)
	v_cmp_eq_u32_e32 vcc_lo, 0, v6
	v_min_u32_e32 v4, 32, v4
	s_delay_alu instid0(VALU_DEP_1) | instskip(NEXT) | instid1(VALU_DEP_1)
	v_subrev_nc_u32_e32 v5, 28, v4
	v_dual_lshlrev_b32 v2, v5, v2 :: v_dual_sub_nc_u32 v4, 29, v4
	s_delay_alu instid0(VALU_DEP_1) | instskip(NEXT) | instid1(VALU_DEP_2)
	v_and_b32_e32 v2, 7, v2
	v_dual_cndmask_b32 v4, v6, v4 :: v_dual_lshlrev_b32 v5, 24, v10
	s_delay_alu instid0(VALU_DEP_2) | instskip(NEXT) | instid1(VALU_DEP_2)
	v_cndmask_b32_e32 v2, v3, v2, vcc_lo
	v_and_b32_e32 v3, 0x80000000, v5
	s_delay_alu instid0(VALU_DEP_3) | instskip(NEXT) | instid1(VALU_DEP_3)
	v_lshl_add_u32 v4, v4, 23, 0x3b800000
	v_lshlrev_b32_e32 v2, 20, v2
	s_delay_alu instid0(VALU_DEP_1)
	v_or3_b32 v2, v3, v4, v2
.LBB288_168:
	s_or_b32 exec_lo, exec_lo, s0
	s_mov_b32 s0, 0
	s_mov_b32 s26, exec_lo
	v_cmpx_lt_i16_e32 0x7f, v1
	s_xor_b32 s26, exec_lo, s26
	s_cbranch_execnz .LBB288_449
; %bb.169:
	s_or_saveexec_b32 s26, s26
	v_mov_b32_e32 v3, 0x7f800001
	s_xor_b32 exec_lo, exec_lo, s26
	s_cbranch_execnz .LBB288_452
.LBB288_170:
	s_or_b32 exec_lo, exec_lo, s26
	s_and_saveexec_b32 s26, s0
	s_cbranch_execz .LBB288_172
.LBB288_171:
	v_and_b32_e32 v3, 0xffff, v1
	s_delay_alu instid0(VALU_DEP_1) | instskip(SKIP_1) | instid1(VALU_DEP_2)
	v_and_b32_e32 v4, 7, v3
	v_bfe_u32 v7, v3, 3, 4
	v_clz_i32_u32_e32 v5, v4
	s_delay_alu instid0(VALU_DEP_2) | instskip(NEXT) | instid1(VALU_DEP_2)
	v_cmp_eq_u32_e32 vcc_lo, 0, v7
	v_min_u32_e32 v5, 32, v5
	s_delay_alu instid0(VALU_DEP_1) | instskip(NEXT) | instid1(VALU_DEP_1)
	v_subrev_nc_u32_e32 v6, 28, v5
	v_dual_lshlrev_b32 v3, v6, v3 :: v_dual_sub_nc_u32 v5, 29, v5
	s_delay_alu instid0(VALU_DEP_1) | instskip(NEXT) | instid1(VALU_DEP_1)
	v_dual_lshlrev_b32 v6, 24, v1 :: v_dual_bitop2_b32 v3, 7, v3 bitop3:0x40
	v_dual_cndmask_b32 v3, v4, v3, vcc_lo :: v_dual_cndmask_b32 v5, v7, v5, vcc_lo
	s_delay_alu instid0(VALU_DEP_2) | instskip(NEXT) | instid1(VALU_DEP_2)
	v_and_b32_e32 v4, 0x80000000, v6
	v_lshlrev_b32_e32 v3, 20, v3
	s_delay_alu instid0(VALU_DEP_3) | instskip(NEXT) | instid1(VALU_DEP_1)
	v_lshl_add_u32 v5, v5, 23, 0x3b800000
	v_or3_b32 v3, v4, v5, v3
.LBB288_172:
	s_or_b32 exec_lo, exec_lo, s26
	s_delay_alu instid0(VALU_DEP_1)
	v_cmp_neq_f32_e64 s0, v2, v3
	s_branch .LBB288_323
.LBB288_173:
                                        ; implicit-def: $sgpr12
	s_cbranch_execz .LBB288_33
; %bb.174:
	s_mov_b32 s0, 0
	s_mov_b32 s12, exec_lo
	v_cmpx_lt_i16_e32 0x7f, v32
	s_xor_b32 s12, exec_lo, s12
	s_cbranch_execnz .LBB288_461
; %bb.175:
	s_or_saveexec_b32 s12, s12
	v_mov_b32_e32 v33, 0x7f800001
	s_xor_b32 exec_lo, exec_lo, s12
	s_cbranch_execnz .LBB288_464
.LBB288_176:
	s_or_b32 exec_lo, exec_lo, s12
	s_and_saveexec_b32 s12, s0
	s_cbranch_execz .LBB288_178
.LBB288_177:
	v_and_b32_e32 v32, 7, v31
	v_lshrrev_b16 v34, 3, v31
	s_delay_alu instid0(VALU_DEP_2) | instskip(NEXT) | instid1(VALU_DEP_1)
	v_clz_i32_u32_e32 v33, v32
	v_min_u32_e32 v33, 32, v33
	s_delay_alu instid0(VALU_DEP_3) | instskip(NEXT) | instid1(VALU_DEP_2)
	v_and_b32_e32 v34, 15, v34
	v_subrev_nc_u32_e32 v35, 28, v33
	v_sub_nc_u32_e32 v33, 29, v33
	s_delay_alu instid0(VALU_DEP_3) | instskip(NEXT) | instid1(VALU_DEP_2)
	v_cmp_eq_u32_e32 vcc_lo, 0, v34
	v_dual_lshlrev_b32 v35, v35, v31 :: v_dual_cndmask_b32 v33, v34, v33, vcc_lo
	s_delay_alu instid0(VALU_DEP_1) | instskip(NEXT) | instid1(VALU_DEP_2)
	v_and_b32_e32 v35, 7, v35
	v_lshl_add_u32 v33, v33, 23, 0x3b800000
	s_delay_alu instid0(VALU_DEP_2) | instskip(NEXT) | instid1(VALU_DEP_1)
	v_cndmask_b32_e32 v32, v32, v35, vcc_lo
	v_dual_lshlrev_b32 v31, 24, v31 :: v_dual_lshlrev_b32 v32, 20, v32
	s_delay_alu instid0(VALU_DEP_1) | instskip(NEXT) | instid1(VALU_DEP_1)
	v_and_b32_e32 v31, 0x80000000, v31
	v_or3_b32 v33, v31, v33, v32
.LBB288_178:
	s_or_b32 exec_lo, exec_lo, s12
	v_and_b32_e32 v32, 0xff, v30
	s_mov_b32 s0, 0
	s_mov_b32 s12, exec_lo
	s_delay_alu instid0(VALU_DEP_1)
	v_cmpx_lt_i16_e32 0x7f, v32
	s_xor_b32 s12, exec_lo, s12
	s_cbranch_execnz .LBB288_465
; %bb.179:
	s_or_saveexec_b32 s12, s12
	v_mov_b32_e32 v31, 0x7f800001
	s_xor_b32 exec_lo, exec_lo, s12
	s_cbranch_execnz .LBB288_468
.LBB288_180:
	s_or_b32 exec_lo, exec_lo, s12
	s_and_saveexec_b32 s12, s0
	s_cbranch_execz .LBB288_182
.LBB288_181:
	v_and_b32_e32 v31, 7, v30
	v_lshrrev_b16 v34, 3, v30
	s_delay_alu instid0(VALU_DEP_2) | instskip(NEXT) | instid1(VALU_DEP_1)
	v_clz_i32_u32_e32 v32, v31
	v_min_u32_e32 v32, 32, v32
	s_delay_alu instid0(VALU_DEP_3) | instskip(NEXT) | instid1(VALU_DEP_2)
	v_and_b32_e32 v34, 15, v34
	v_subrev_nc_u32_e32 v35, 28, v32
	v_sub_nc_u32_e32 v32, 29, v32
	s_delay_alu instid0(VALU_DEP_3) | instskip(NEXT) | instid1(VALU_DEP_3)
	v_cmp_eq_u32_e32 vcc_lo, 0, v34
	v_dual_lshlrev_b32 v35, v35, v30 :: v_dual_lshlrev_b32 v30, 24, v30
	s_delay_alu instid0(VALU_DEP_1) | instskip(NEXT) | instid1(VALU_DEP_2)
	v_dual_cndmask_b32 v32, v34, v32, vcc_lo :: v_dual_bitop2_b32 v35, 7, v35 bitop3:0x40
	v_and_b32_e32 v30, 0x80000000, v30
	s_delay_alu instid0(VALU_DEP_2) | instskip(NEXT) | instid1(VALU_DEP_3)
	v_cndmask_b32_e32 v31, v31, v35, vcc_lo
	v_lshl_add_u32 v32, v32, 23, 0x3b800000
	s_delay_alu instid0(VALU_DEP_2) | instskip(NEXT) | instid1(VALU_DEP_1)
	v_lshlrev_b32_e32 v31, 20, v31
	v_or3_b32 v31, v30, v32, v31
.LBB288_182:
	s_or_b32 exec_lo, exec_lo, s12
	s_delay_alu instid0(VALU_DEP_1)
	v_cmp_eq_f32_e64 s12, v33, v31
	v_cmp_ne_u32_e32 vcc_lo, 1, v2
	v_and_b32_e32 v30, 0xff, v29
	s_cbranch_vccz .LBB288_34
.LBB288_183:
                                        ; implicit-def: $sgpr13
	s_cbranch_execz .LBB288_43
; %bb.184:
	s_mov_b32 s0, 0
	s_mov_b32 s13, exec_lo
	v_cmpx_lt_i16_e32 0x7f, v30
	s_xor_b32 s13, exec_lo, s13
	s_cbranch_execnz .LBB288_469
; %bb.185:
	s_or_saveexec_b32 s13, s13
	v_mov_b32_e32 v31, 0x7f800001
	s_xor_b32 exec_lo, exec_lo, s13
	s_cbranch_execnz .LBB288_472
.LBB288_186:
	s_or_b32 exec_lo, exec_lo, s13
	s_and_saveexec_b32 s13, s0
	s_cbranch_execz .LBB288_188
.LBB288_187:
	v_and_b32_e32 v30, 7, v29
	v_lshrrev_b16 v32, 3, v29
	s_delay_alu instid0(VALU_DEP_2) | instskip(NEXT) | instid1(VALU_DEP_1)
	v_clz_i32_u32_e32 v31, v30
	v_min_u32_e32 v31, 32, v31
	s_delay_alu instid0(VALU_DEP_3) | instskip(NEXT) | instid1(VALU_DEP_2)
	v_and_b32_e32 v32, 15, v32
	v_subrev_nc_u32_e32 v33, 28, v31
	v_sub_nc_u32_e32 v31, 29, v31
	s_delay_alu instid0(VALU_DEP_3) | instskip(NEXT) | instid1(VALU_DEP_2)
	v_cmp_eq_u32_e32 vcc_lo, 0, v32
	v_dual_lshlrev_b32 v33, v33, v29 :: v_dual_cndmask_b32 v31, v32, v31, vcc_lo
	s_delay_alu instid0(VALU_DEP_1) | instskip(NEXT) | instid1(VALU_DEP_2)
	v_and_b32_e32 v33, 7, v33
	v_lshl_add_u32 v31, v31, 23, 0x3b800000
	s_delay_alu instid0(VALU_DEP_2) | instskip(NEXT) | instid1(VALU_DEP_1)
	v_cndmask_b32_e32 v30, v30, v33, vcc_lo
	v_dual_lshlrev_b32 v29, 24, v29 :: v_dual_lshlrev_b32 v30, 20, v30
	s_delay_alu instid0(VALU_DEP_1) | instskip(NEXT) | instid1(VALU_DEP_1)
	v_and_b32_e32 v29, 0x80000000, v29
	v_or3_b32 v31, v29, v31, v30
.LBB288_188:
	s_or_b32 exec_lo, exec_lo, s13
	v_and_b32_e32 v30, 0xff, v28
	s_mov_b32 s0, 0
	s_mov_b32 s13, exec_lo
	s_delay_alu instid0(VALU_DEP_1)
	v_cmpx_lt_i16_e32 0x7f, v30
	s_xor_b32 s13, exec_lo, s13
	s_cbranch_execnz .LBB288_473
; %bb.189:
	s_or_saveexec_b32 s13, s13
	v_mov_b32_e32 v29, 0x7f800001
	s_xor_b32 exec_lo, exec_lo, s13
	s_cbranch_execnz .LBB288_476
.LBB288_190:
	s_or_b32 exec_lo, exec_lo, s13
	s_and_saveexec_b32 s13, s0
	s_cbranch_execz .LBB288_192
.LBB288_191:
	v_and_b32_e32 v29, 7, v28
	v_lshrrev_b16 v32, 3, v28
	s_delay_alu instid0(VALU_DEP_2) | instskip(NEXT) | instid1(VALU_DEP_1)
	v_clz_i32_u32_e32 v30, v29
	v_min_u32_e32 v30, 32, v30
	s_delay_alu instid0(VALU_DEP_3) | instskip(NEXT) | instid1(VALU_DEP_2)
	v_and_b32_e32 v32, 15, v32
	v_subrev_nc_u32_e32 v33, 28, v30
	v_sub_nc_u32_e32 v30, 29, v30
	s_delay_alu instid0(VALU_DEP_3) | instskip(NEXT) | instid1(VALU_DEP_3)
	v_cmp_eq_u32_e32 vcc_lo, 0, v32
	v_dual_lshlrev_b32 v33, v33, v28 :: v_dual_lshlrev_b32 v28, 24, v28
	s_delay_alu instid0(VALU_DEP_1) | instskip(NEXT) | instid1(VALU_DEP_2)
	v_dual_cndmask_b32 v30, v32, v30, vcc_lo :: v_dual_bitop2_b32 v33, 7, v33 bitop3:0x40
	v_and_b32_e32 v28, 0x80000000, v28
	s_delay_alu instid0(VALU_DEP_2) | instskip(NEXT) | instid1(VALU_DEP_3)
	v_cndmask_b32_e32 v29, v29, v33, vcc_lo
	v_lshl_add_u32 v30, v30, 23, 0x3b800000
	s_delay_alu instid0(VALU_DEP_2) | instskip(NEXT) | instid1(VALU_DEP_1)
	v_lshlrev_b32_e32 v29, 20, v29
	v_or3_b32 v29, v28, v30, v29
.LBB288_192:
	s_or_b32 exec_lo, exec_lo, s13
	s_delay_alu instid0(VALU_DEP_1)
	v_cmp_eq_f32_e64 s13, v31, v29
	v_cmp_ne_u32_e32 vcc_lo, 1, v2
	v_cmp_lt_i16_e64 s0, 0x7f, v27
	s_cbranch_vccz .LBB288_44
.LBB288_193:
                                        ; implicit-def: $sgpr14
	s_cbranch_execz .LBB288_53
; %bb.194:
	s_mov_b32 s0, 0
	s_mov_b32 s14, exec_lo
	v_cmpx_lt_i16_e32 0x7f, v27
	s_xor_b32 s14, exec_lo, s14
	s_cbranch_execnz .LBB288_477
; %bb.195:
	s_or_saveexec_b32 s14, s14
	v_mov_b32_e32 v28, 0x7f800001
	s_xor_b32 exec_lo, exec_lo, s14
	s_cbranch_execnz .LBB288_480
.LBB288_196:
	s_or_b32 exec_lo, exec_lo, s14
	s_and_saveexec_b32 s14, s0
	s_cbranch_execz .LBB288_198
.LBB288_197:
	v_and_b32_e32 v28, 0xffff, v27
	s_delay_alu instid0(VALU_DEP_1) | instskip(SKIP_1) | instid1(VALU_DEP_2)
	v_and_b32_e32 v29, 7, v28
	v_bfe_u32 v32, v28, 3, 4
	v_clz_i32_u32_e32 v30, v29
	s_delay_alu instid0(VALU_DEP_2) | instskip(NEXT) | instid1(VALU_DEP_2)
	v_cmp_eq_u32_e32 vcc_lo, 0, v32
	v_min_u32_e32 v30, 32, v30
	s_delay_alu instid0(VALU_DEP_1) | instskip(NEXT) | instid1(VALU_DEP_1)
	v_subrev_nc_u32_e32 v31, 28, v30
	v_dual_lshlrev_b32 v28, v31, v28 :: v_dual_sub_nc_u32 v30, 29, v30
	s_delay_alu instid0(VALU_DEP_1) | instskip(NEXT) | instid1(VALU_DEP_1)
	v_dual_lshlrev_b32 v27, 24, v27 :: v_dual_bitop2_b32 v28, 7, v28 bitop3:0x40
	v_dual_cndmask_b32 v30, v32, v30, vcc_lo :: v_dual_cndmask_b32 v28, v29, v28, vcc_lo
	s_delay_alu instid0(VALU_DEP_2) | instskip(NEXT) | instid1(VALU_DEP_2)
	v_and_b32_e32 v27, 0x80000000, v27
	v_lshl_add_u32 v29, v30, 23, 0x3b800000
	s_delay_alu instid0(VALU_DEP_3) | instskip(NEXT) | instid1(VALU_DEP_1)
	v_lshlrev_b32_e32 v28, 20, v28
	v_or3_b32 v28, v27, v29, v28
.LBB288_198:
	s_or_b32 exec_lo, exec_lo, s14
	s_mov_b32 s0, 0
	s_mov_b32 s14, exec_lo
	v_cmpx_lt_i16_e32 0x7f, v26
	s_xor_b32 s14, exec_lo, s14
	s_cbranch_execnz .LBB288_481
; %bb.199:
	s_or_saveexec_b32 s14, s14
	v_mov_b32_e32 v27, 0x7f800001
	s_xor_b32 exec_lo, exec_lo, s14
	s_cbranch_execnz .LBB288_484
.LBB288_200:
	s_or_b32 exec_lo, exec_lo, s14
	s_and_saveexec_b32 s14, s0
	s_cbranch_execz .LBB288_202
.LBB288_201:
	v_and_b32_e32 v27, 0xffff, v26
	s_delay_alu instid0(VALU_DEP_1) | instskip(SKIP_1) | instid1(VALU_DEP_2)
	v_and_b32_e32 v29, 7, v27
	v_bfe_u32 v32, v27, 3, 4
	v_clz_i32_u32_e32 v30, v29
	s_delay_alu instid0(VALU_DEP_2) | instskip(NEXT) | instid1(VALU_DEP_2)
	v_cmp_eq_u32_e32 vcc_lo, 0, v32
	v_min_u32_e32 v30, 32, v30
	s_delay_alu instid0(VALU_DEP_1) | instskip(NEXT) | instid1(VALU_DEP_1)
	v_subrev_nc_u32_e32 v31, 28, v30
	v_dual_lshlrev_b32 v27, v31, v27 :: v_dual_sub_nc_u32 v30, 29, v30
	s_delay_alu instid0(VALU_DEP_1) | instskip(NEXT) | instid1(VALU_DEP_1)
	v_dual_lshlrev_b32 v26, 24, v26 :: v_dual_bitop2_b32 v27, 7, v27 bitop3:0x40
	v_dual_cndmask_b32 v27, v29, v27 :: v_dual_cndmask_b32 v30, v32, v30
	s_delay_alu instid0(VALU_DEP_2) | instskip(NEXT) | instid1(VALU_DEP_2)
	v_and_b32_e32 v26, 0x80000000, v26
	v_lshlrev_b32_e32 v27, 20, v27
	s_delay_alu instid0(VALU_DEP_3) | instskip(NEXT) | instid1(VALU_DEP_1)
	v_lshl_add_u32 v29, v30, 23, 0x3b800000
	v_or3_b32 v27, v26, v29, v27
.LBB288_202:
	s_or_b32 exec_lo, exec_lo, s14
	s_delay_alu instid0(VALU_DEP_1)
	v_cmp_eq_f32_e64 s14, v28, v27
	v_cmp_ne_u32_e32 vcc_lo, 1, v2
	v_and_b32_e32 v26, 0xff, v7
	s_cbranch_vccz .LBB288_54
.LBB288_203:
                                        ; implicit-def: $sgpr15
	s_cbranch_execz .LBB288_63
; %bb.204:
	s_mov_b32 s0, 0
	s_mov_b32 s15, exec_lo
	v_cmpx_lt_i16_e32 0x7f, v26
	s_xor_b32 s15, exec_lo, s15
	s_cbranch_execnz .LBB288_485
; %bb.205:
	s_or_saveexec_b32 s15, s15
	v_mov_b32_e32 v27, 0x7f800001
	s_xor_b32 exec_lo, exec_lo, s15
	s_cbranch_execnz .LBB288_488
.LBB288_206:
	s_or_b32 exec_lo, exec_lo, s15
	s_and_saveexec_b32 s15, s0
	s_cbranch_execz .LBB288_208
.LBB288_207:
	v_and_b32_e32 v26, 7, v7
	v_lshrrev_b16 v28, 3, v7
	s_delay_alu instid0(VALU_DEP_2) | instskip(NEXT) | instid1(VALU_DEP_1)
	v_clz_i32_u32_e32 v27, v26
	v_min_u32_e32 v27, 32, v27
	s_delay_alu instid0(VALU_DEP_3) | instskip(NEXT) | instid1(VALU_DEP_2)
	v_and_b32_e32 v28, 15, v28
	v_subrev_nc_u32_e32 v29, 28, v27
	v_sub_nc_u32_e32 v27, 29, v27
	s_delay_alu instid0(VALU_DEP_3) | instskip(NEXT) | instid1(VALU_DEP_3)
	v_cmp_eq_u32_e32 vcc_lo, 0, v28
	v_dual_lshlrev_b32 v29, v29, v7 :: v_dual_lshlrev_b32 v7, 24, v7
	s_delay_alu instid0(VALU_DEP_1) | instskip(NEXT) | instid1(VALU_DEP_2)
	v_dual_cndmask_b32 v27, v28, v27, vcc_lo :: v_dual_bitop2_b32 v29, 7, v29 bitop3:0x40
	v_and_b32_e32 v7, 0x80000000, v7
	s_delay_alu instid0(VALU_DEP_2) | instskip(NEXT) | instid1(VALU_DEP_3)
	v_cndmask_b32_e32 v26, v26, v29, vcc_lo
	v_lshl_add_u32 v27, v27, 23, 0x3b800000
	s_delay_alu instid0(VALU_DEP_2) | instskip(NEXT) | instid1(VALU_DEP_1)
	v_lshlrev_b32_e32 v26, 20, v26
	v_or3_b32 v27, v7, v27, v26
.LBB288_208:
	s_or_b32 exec_lo, exec_lo, s15
	v_and_b32_e32 v26, 0xff, v3
	s_mov_b32 s0, 0
	s_mov_b32 s15, exec_lo
	s_delay_alu instid0(VALU_DEP_1)
	v_cmpx_lt_i16_e32 0x7f, v26
	s_xor_b32 s15, exec_lo, s15
	s_cbranch_execnz .LBB288_489
; %bb.209:
	s_or_saveexec_b32 s15, s15
	v_mov_b32_e32 v7, 0x7f800001
	s_xor_b32 exec_lo, exec_lo, s15
	s_cbranch_execnz .LBB288_492
.LBB288_210:
	s_or_b32 exec_lo, exec_lo, s15
	s_and_saveexec_b32 s15, s0
	s_cbranch_execz .LBB288_212
.LBB288_211:
	v_and_b32_e32 v7, 7, v3
	v_lshrrev_b16 v28, 3, v3
	s_delay_alu instid0(VALU_DEP_2) | instskip(NEXT) | instid1(VALU_DEP_1)
	v_clz_i32_u32_e32 v26, v7
	v_min_u32_e32 v26, 32, v26
	s_delay_alu instid0(VALU_DEP_3) | instskip(NEXT) | instid1(VALU_DEP_2)
	v_and_b32_e32 v28, 15, v28
	v_subrev_nc_u32_e32 v29, 28, v26
	v_sub_nc_u32_e32 v26, 29, v26
	s_delay_alu instid0(VALU_DEP_3) | instskip(NEXT) | instid1(VALU_DEP_3)
	v_cmp_eq_u32_e32 vcc_lo, 0, v28
	v_dual_lshlrev_b32 v29, v29, v3 :: v_dual_lshlrev_b32 v3, 24, v3
	s_delay_alu instid0(VALU_DEP_1) | instskip(NEXT) | instid1(VALU_DEP_2)
	v_dual_cndmask_b32 v26, v28, v26, vcc_lo :: v_dual_bitop2_b32 v29, 7, v29 bitop3:0x40
	v_and_b32_e32 v3, 0x80000000, v3
	s_delay_alu instid0(VALU_DEP_2) | instskip(NEXT) | instid1(VALU_DEP_3)
	v_cndmask_b32_e32 v7, v7, v29, vcc_lo
	v_lshl_add_u32 v26, v26, 23, 0x3b800000
	s_delay_alu instid0(VALU_DEP_2) | instskip(NEXT) | instid1(VALU_DEP_1)
	v_lshlrev_b32_e32 v7, 20, v7
	v_or3_b32 v7, v3, v26, v7
.LBB288_212:
	s_or_b32 exec_lo, exec_lo, s15
	s_delay_alu instid0(VALU_DEP_1)
	v_cmp_eq_f32_e64 s15, v27, v7
	v_cmp_ne_u32_e32 vcc_lo, 1, v2
	v_and_b32_e32 v3, 0xff, v25
	s_cbranch_vccz .LBB288_64
.LBB288_213:
                                        ; implicit-def: $sgpr16
	s_cbranch_execz .LBB288_73
; %bb.214:
	s_mov_b32 s0, 0
	s_mov_b32 s16, exec_lo
	v_cmpx_lt_i16_e32 0x7f, v3
	s_xor_b32 s16, exec_lo, s16
	s_cbranch_execnz .LBB288_493
; %bb.215:
	s_or_saveexec_b32 s16, s16
	v_mov_b32_e32 v7, 0x7f800001
	s_xor_b32 exec_lo, exec_lo, s16
	s_cbranch_execnz .LBB288_496
.LBB288_216:
	s_or_b32 exec_lo, exec_lo, s16
	s_and_saveexec_b32 s16, s0
	s_cbranch_execz .LBB288_218
.LBB288_217:
	v_and_b32_e32 v3, 7, v25
	v_lshrrev_b16 v26, 3, v25
	s_delay_alu instid0(VALU_DEP_2) | instskip(NEXT) | instid1(VALU_DEP_1)
	v_clz_i32_u32_e32 v7, v3
	v_min_u32_e32 v7, 32, v7
	s_delay_alu instid0(VALU_DEP_3) | instskip(NEXT) | instid1(VALU_DEP_2)
	v_and_b32_e32 v26, 15, v26
	v_subrev_nc_u32_e32 v27, 28, v7
	v_sub_nc_u32_e32 v7, 29, v7
	s_delay_alu instid0(VALU_DEP_3) | instskip(NEXT) | instid1(VALU_DEP_3)
	v_cmp_eq_u32_e32 vcc_lo, 0, v26
	v_dual_lshlrev_b32 v27, v27, v25 :: v_dual_lshlrev_b32 v25, 24, v25
	s_delay_alu instid0(VALU_DEP_3) | instskip(NEXT) | instid1(VALU_DEP_2)
	v_cndmask_b32_e32 v7, v26, v7, vcc_lo
	v_and_b32_e32 v27, 7, v27
	s_delay_alu instid0(VALU_DEP_3) | instskip(NEXT) | instid1(VALU_DEP_3)
	v_and_b32_e32 v25, 0x80000000, v25
	v_lshl_add_u32 v7, v7, 23, 0x3b800000
	s_delay_alu instid0(VALU_DEP_3) | instskip(NEXT) | instid1(VALU_DEP_1)
	v_cndmask_b32_e32 v3, v3, v27, vcc_lo
	v_lshlrev_b32_e32 v3, 20, v3
	s_delay_alu instid0(VALU_DEP_1)
	v_or3_b32 v7, v25, v7, v3
.LBB288_218:
	s_or_b32 exec_lo, exec_lo, s16
	v_and_b32_e32 v25, 0xff, v24
	s_mov_b32 s0, 0
	s_mov_b32 s16, exec_lo
	s_delay_alu instid0(VALU_DEP_1)
	v_cmpx_lt_i16_e32 0x7f, v25
	s_xor_b32 s16, exec_lo, s16
	s_cbranch_execnz .LBB288_497
; %bb.219:
	s_or_saveexec_b32 s16, s16
	v_mov_b32_e32 v3, 0x7f800001
	s_xor_b32 exec_lo, exec_lo, s16
	s_cbranch_execnz .LBB288_500
.LBB288_220:
	s_or_b32 exec_lo, exec_lo, s16
	s_and_saveexec_b32 s16, s0
	s_cbranch_execz .LBB288_222
.LBB288_221:
	v_and_b32_e32 v3, 7, v24
	v_lshrrev_b16 v26, 3, v24
	s_delay_alu instid0(VALU_DEP_2) | instskip(NEXT) | instid1(VALU_DEP_1)
	v_clz_i32_u32_e32 v25, v3
	v_min_u32_e32 v25, 32, v25
	s_delay_alu instid0(VALU_DEP_3) | instskip(NEXT) | instid1(VALU_DEP_2)
	v_and_b32_e32 v26, 15, v26
	v_subrev_nc_u32_e32 v27, 28, v25
	v_sub_nc_u32_e32 v25, 29, v25
	s_delay_alu instid0(VALU_DEP_3) | instskip(NEXT) | instid1(VALU_DEP_3)
	v_cmp_eq_u32_e32 vcc_lo, 0, v26
	v_dual_lshlrev_b32 v27, v27, v24 :: v_dual_lshlrev_b32 v24, 24, v24
	s_delay_alu instid0(VALU_DEP_1) | instskip(NEXT) | instid1(VALU_DEP_2)
	v_dual_cndmask_b32 v25, v26, v25, vcc_lo :: v_dual_bitop2_b32 v27, 7, v27 bitop3:0x40
	v_and_b32_e32 v24, 0x80000000, v24
	s_delay_alu instid0(VALU_DEP_2) | instskip(NEXT) | instid1(VALU_DEP_3)
	v_cndmask_b32_e32 v3, v3, v27, vcc_lo
	v_lshl_add_u32 v25, v25, 23, 0x3b800000
	s_delay_alu instid0(VALU_DEP_2) | instskip(NEXT) | instid1(VALU_DEP_1)
	v_lshlrev_b32_e32 v3, 20, v3
	v_or3_b32 v3, v24, v25, v3
.LBB288_222:
	s_or_b32 exec_lo, exec_lo, s16
	s_delay_alu instid0(VALU_DEP_1)
	v_cmp_eq_f32_e64 s16, v7, v3
	v_cmp_ne_u32_e32 vcc_lo, 1, v2
	v_and_b32_e32 v3, 0xff, v23
	s_cbranch_vccz .LBB288_74
.LBB288_223:
                                        ; implicit-def: $sgpr17
	s_cbranch_execz .LBB288_83
; %bb.224:
	s_mov_b32 s0, 0
	s_mov_b32 s17, exec_lo
	v_cmpx_lt_i16_e32 0x7f, v3
	s_xor_b32 s17, exec_lo, s17
	s_cbranch_execnz .LBB288_501
; %bb.225:
	s_or_saveexec_b32 s17, s17
	v_mov_b32_e32 v7, 0x7f800001
	s_xor_b32 exec_lo, exec_lo, s17
	s_cbranch_execnz .LBB288_504
.LBB288_226:
	s_or_b32 exec_lo, exec_lo, s17
	s_and_saveexec_b32 s17, s0
	s_cbranch_execz .LBB288_228
.LBB288_227:
	v_and_b32_e32 v3, 7, v23
	v_lshrrev_b16 v24, 3, v23
	s_delay_alu instid0(VALU_DEP_2) | instskip(NEXT) | instid1(VALU_DEP_1)
	v_clz_i32_u32_e32 v7, v3
	v_min_u32_e32 v7, 32, v7
	s_delay_alu instid0(VALU_DEP_3) | instskip(NEXT) | instid1(VALU_DEP_2)
	v_and_b32_e32 v24, 15, v24
	v_subrev_nc_u32_e32 v25, 28, v7
	v_sub_nc_u32_e32 v7, 29, v7
	s_delay_alu instid0(VALU_DEP_3) | instskip(NEXT) | instid1(VALU_DEP_3)
	v_cmp_eq_u32_e32 vcc_lo, 0, v24
	v_dual_lshlrev_b32 v25, v25, v23 :: v_dual_lshlrev_b32 v23, 24, v23
	s_delay_alu instid0(VALU_DEP_1) | instskip(NEXT) | instid1(VALU_DEP_2)
	v_dual_cndmask_b32 v7, v24, v7, vcc_lo :: v_dual_bitop2_b32 v25, 7, v25 bitop3:0x40
	v_and_b32_e32 v23, 0x80000000, v23
	s_delay_alu instid0(VALU_DEP_2) | instskip(NEXT) | instid1(VALU_DEP_3)
	v_cndmask_b32_e32 v3, v3, v25, vcc_lo
	v_lshl_add_u32 v7, v7, 23, 0x3b800000
	s_delay_alu instid0(VALU_DEP_2) | instskip(NEXT) | instid1(VALU_DEP_1)
	v_lshlrev_b32_e32 v3, 20, v3
	v_or3_b32 v7, v23, v7, v3
.LBB288_228:
	s_or_b32 exec_lo, exec_lo, s17
	v_and_b32_e32 v23, 0xff, v22
	s_mov_b32 s0, 0
	s_mov_b32 s17, exec_lo
	s_delay_alu instid0(VALU_DEP_1)
	v_cmpx_lt_i16_e32 0x7f, v23
	s_xor_b32 s17, exec_lo, s17
	s_cbranch_execnz .LBB288_505
; %bb.229:
	s_or_saveexec_b32 s17, s17
	v_mov_b32_e32 v3, 0x7f800001
	s_xor_b32 exec_lo, exec_lo, s17
	s_cbranch_execnz .LBB288_508
.LBB288_230:
	s_or_b32 exec_lo, exec_lo, s17
	s_and_saveexec_b32 s17, s0
	s_cbranch_execz .LBB288_232
.LBB288_231:
	v_and_b32_e32 v3, 7, v22
	v_lshrrev_b16 v24, 3, v22
	s_delay_alu instid0(VALU_DEP_2) | instskip(NEXT) | instid1(VALU_DEP_1)
	v_clz_i32_u32_e32 v23, v3
	v_min_u32_e32 v23, 32, v23
	s_delay_alu instid0(VALU_DEP_3) | instskip(NEXT) | instid1(VALU_DEP_2)
	v_and_b32_e32 v24, 15, v24
	v_subrev_nc_u32_e32 v25, 28, v23
	v_sub_nc_u32_e32 v23, 29, v23
	s_delay_alu instid0(VALU_DEP_3) | instskip(NEXT) | instid1(VALU_DEP_3)
	v_cmp_eq_u32_e32 vcc_lo, 0, v24
	v_dual_lshlrev_b32 v25, v25, v22 :: v_dual_lshlrev_b32 v22, 24, v22
	s_delay_alu instid0(VALU_DEP_1) | instskip(NEXT) | instid1(VALU_DEP_2)
	v_dual_cndmask_b32 v23, v24, v23, vcc_lo :: v_dual_bitop2_b32 v25, 7, v25 bitop3:0x40
	v_and_b32_e32 v22, 0x80000000, v22
	s_delay_alu instid0(VALU_DEP_2) | instskip(NEXT) | instid1(VALU_DEP_3)
	v_cndmask_b32_e32 v3, v3, v25, vcc_lo
	v_lshl_add_u32 v23, v23, 23, 0x3b800000
	s_delay_alu instid0(VALU_DEP_2) | instskip(NEXT) | instid1(VALU_DEP_1)
	v_lshlrev_b32_e32 v3, 20, v3
	v_or3_b32 v3, v22, v23, v3
.LBB288_232:
	s_or_b32 exec_lo, exec_lo, s17
	s_delay_alu instid0(VALU_DEP_1)
	v_cmp_eq_f32_e64 s17, v7, v3
	v_cmp_ne_u32_e32 vcc_lo, 1, v2
	v_cmp_lt_i16_e64 s0, 0x7f, v21
	s_cbranch_vccz .LBB288_84
.LBB288_233:
                                        ; implicit-def: $sgpr18
	s_cbranch_execz .LBB288_93
; %bb.234:
	s_mov_b32 s0, 0
	s_mov_b32 s18, exec_lo
	v_cmpx_lt_i16_e32 0x7f, v21
	s_xor_b32 s18, exec_lo, s18
	s_cbranch_execnz .LBB288_509
; %bb.235:
	s_or_saveexec_b32 s18, s18
	v_mov_b32_e32 v3, 0x7f800001
	s_xor_b32 exec_lo, exec_lo, s18
	s_cbranch_execnz .LBB288_512
.LBB288_236:
	s_or_b32 exec_lo, exec_lo, s18
	s_and_saveexec_b32 s18, s0
	s_cbranch_execz .LBB288_238
.LBB288_237:
	v_and_b32_e32 v3, 0xffff, v21
	s_delay_alu instid0(VALU_DEP_1) | instskip(SKIP_1) | instid1(VALU_DEP_2)
	v_and_b32_e32 v7, 7, v3
	v_bfe_u32 v24, v3, 3, 4
	v_clz_i32_u32_e32 v22, v7
	s_delay_alu instid0(VALU_DEP_2) | instskip(NEXT) | instid1(VALU_DEP_2)
	v_cmp_eq_u32_e32 vcc_lo, 0, v24
	v_min_u32_e32 v22, 32, v22
	s_delay_alu instid0(VALU_DEP_1) | instskip(NEXT) | instid1(VALU_DEP_1)
	v_subrev_nc_u32_e32 v23, 28, v22
	v_dual_lshlrev_b32 v3, v23, v3 :: v_dual_sub_nc_u32 v22, 29, v22
	s_delay_alu instid0(VALU_DEP_1) | instskip(NEXT) | instid1(VALU_DEP_1)
	v_dual_lshlrev_b32 v21, 24, v21 :: v_dual_bitop2_b32 v3, 7, v3 bitop3:0x40
	v_dual_cndmask_b32 v22, v24, v22 :: v_dual_cndmask_b32 v3, v7, v3
	s_delay_alu instid0(VALU_DEP_2) | instskip(NEXT) | instid1(VALU_DEP_2)
	v_and_b32_e32 v7, 0x80000000, v21
	v_lshl_add_u32 v21, v22, 23, 0x3b800000
	s_delay_alu instid0(VALU_DEP_3) | instskip(NEXT) | instid1(VALU_DEP_1)
	v_lshlrev_b32_e32 v3, 20, v3
	v_or3_b32 v3, v7, v21, v3
.LBB288_238:
	s_or_b32 exec_lo, exec_lo, s18
	s_mov_b32 s0, 0
	s_mov_b32 s18, exec_lo
	v_cmpx_lt_i16_e32 0x7f, v20
	s_xor_b32 s18, exec_lo, s18
	s_cbranch_execnz .LBB288_513
; %bb.239:
	s_or_saveexec_b32 s18, s18
	v_mov_b32_e32 v7, 0x7f800001
	s_xor_b32 exec_lo, exec_lo, s18
	s_cbranch_execnz .LBB288_516
.LBB288_240:
	s_or_b32 exec_lo, exec_lo, s18
	s_and_saveexec_b32 s18, s0
	s_cbranch_execz .LBB288_242
.LBB288_241:
	v_and_b32_e32 v7, 0xffff, v20
	s_delay_alu instid0(VALU_DEP_1) | instskip(SKIP_1) | instid1(VALU_DEP_2)
	v_and_b32_e32 v21, 7, v7
	v_bfe_u32 v24, v7, 3, 4
	v_clz_i32_u32_e32 v22, v21
	s_delay_alu instid0(VALU_DEP_2) | instskip(NEXT) | instid1(VALU_DEP_2)
	v_cmp_eq_u32_e32 vcc_lo, 0, v24
	v_min_u32_e32 v22, 32, v22
	s_delay_alu instid0(VALU_DEP_1) | instskip(NEXT) | instid1(VALU_DEP_1)
	v_subrev_nc_u32_e32 v23, 28, v22
	v_dual_lshlrev_b32 v7, v23, v7 :: v_dual_sub_nc_u32 v22, 29, v22
	s_delay_alu instid0(VALU_DEP_1) | instskip(NEXT) | instid1(VALU_DEP_1)
	v_dual_lshlrev_b32 v20, 24, v20 :: v_dual_bitop2_b32 v7, 7, v7 bitop3:0x40
	v_dual_cndmask_b32 v22, v24, v22 :: v_dual_cndmask_b32 v7, v21, v7
	s_delay_alu instid0(VALU_DEP_2) | instskip(NEXT) | instid1(VALU_DEP_2)
	v_and_b32_e32 v20, 0x80000000, v20
	v_lshl_add_u32 v21, v22, 23, 0x3b800000
	s_delay_alu instid0(VALU_DEP_3) | instskip(NEXT) | instid1(VALU_DEP_1)
	v_lshlrev_b32_e32 v7, 20, v7
	v_or3_b32 v7, v20, v21, v7
.LBB288_242:
	s_or_b32 exec_lo, exec_lo, s18
	s_delay_alu instid0(VALU_DEP_1)
	v_cmp_eq_f32_e64 s18, v3, v7
	v_cmp_ne_u32_e32 vcc_lo, 1, v2
	v_and_b32_e32 v3, 0xff, v8
	s_cbranch_vccz .LBB288_94
.LBB288_243:
                                        ; implicit-def: $sgpr19
	s_cbranch_execz .LBB288_103
; %bb.244:
	s_mov_b32 s0, 0
	s_mov_b32 s19, exec_lo
	v_cmpx_lt_i16_e32 0x7f, v3
	s_xor_b32 s19, exec_lo, s19
	s_cbranch_execnz .LBB288_517
; %bb.245:
	s_or_saveexec_b32 s19, s19
	v_mov_b32_e32 v7, 0x7f800001
	s_xor_b32 exec_lo, exec_lo, s19
	s_cbranch_execnz .LBB288_520
.LBB288_246:
	s_or_b32 exec_lo, exec_lo, s19
	s_and_saveexec_b32 s19, s0
	s_cbranch_execz .LBB288_248
.LBB288_247:
	v_and_b32_e32 v3, 7, v8
	v_lshrrev_b16 v20, 3, v8
	s_delay_alu instid0(VALU_DEP_2) | instskip(NEXT) | instid1(VALU_DEP_1)
	v_clz_i32_u32_e32 v7, v3
	v_min_u32_e32 v7, 32, v7
	s_delay_alu instid0(VALU_DEP_3) | instskip(NEXT) | instid1(VALU_DEP_2)
	v_and_b32_e32 v20, 15, v20
	v_subrev_nc_u32_e32 v21, 28, v7
	v_sub_nc_u32_e32 v7, 29, v7
	s_delay_alu instid0(VALU_DEP_3) | instskip(NEXT) | instid1(VALU_DEP_3)
	v_cmp_eq_u32_e32 vcc_lo, 0, v20
	v_dual_lshlrev_b32 v21, v21, v8 :: v_dual_lshlrev_b32 v8, 24, v8
	s_delay_alu instid0(VALU_DEP_1) | instskip(NEXT) | instid1(VALU_DEP_2)
	v_dual_cndmask_b32 v7, v20, v7, vcc_lo :: v_dual_bitop2_b32 v21, 7, v21 bitop3:0x40
	v_and_b32_e32 v8, 0x80000000, v8
	s_delay_alu instid0(VALU_DEP_2) | instskip(NEXT) | instid1(VALU_DEP_3)
	v_cndmask_b32_e32 v3, v3, v21, vcc_lo
	v_lshl_add_u32 v7, v7, 23, 0x3b800000
	s_delay_alu instid0(VALU_DEP_2) | instskip(NEXT) | instid1(VALU_DEP_1)
	v_lshlrev_b32_e32 v3, 20, v3
	v_or3_b32 v7, v8, v7, v3
.LBB288_248:
	s_or_b32 exec_lo, exec_lo, s19
	v_and_b32_e32 v8, 0xff, v4
	s_mov_b32 s0, 0
	s_mov_b32 s19, exec_lo
	s_delay_alu instid0(VALU_DEP_1)
	v_cmpx_lt_i16_e32 0x7f, v8
	s_xor_b32 s19, exec_lo, s19
	s_cbranch_execnz .LBB288_521
; %bb.249:
	s_or_saveexec_b32 s19, s19
	v_mov_b32_e32 v3, 0x7f800001
	s_xor_b32 exec_lo, exec_lo, s19
	s_cbranch_execnz .LBB288_524
.LBB288_250:
	s_or_b32 exec_lo, exec_lo, s19
	s_and_saveexec_b32 s19, s0
	s_cbranch_execz .LBB288_252
.LBB288_251:
	v_and_b32_e32 v3, 7, v4
	v_lshrrev_b16 v20, 3, v4
	s_delay_alu instid0(VALU_DEP_2) | instskip(NEXT) | instid1(VALU_DEP_1)
	v_clz_i32_u32_e32 v8, v3
	v_min_u32_e32 v8, 32, v8
	s_delay_alu instid0(VALU_DEP_1) | instskip(NEXT) | instid1(VALU_DEP_1)
	v_subrev_nc_u32_e32 v21, 28, v8
	v_lshlrev_b32_e32 v21, v21, v4
	s_delay_alu instid0(VALU_DEP_1) | instskip(SKIP_1) | instid1(VALU_DEP_1)
	v_dual_sub_nc_u32 v8, 29, v8 :: v_dual_bitop2_b32 v21, 7, v21 bitop3:0x40
	v_and_b32_e32 v20, 15, v20
	v_cmp_eq_u32_e32 vcc_lo, 0, v20
	s_delay_alu instid0(VALU_DEP_3) | instskip(NEXT) | instid1(VALU_DEP_1)
	v_dual_cndmask_b32 v3, v3, v21 :: v_dual_lshlrev_b32 v4, 24, v4
	v_dual_cndmask_b32 v8, v20, v8 :: v_dual_lshlrev_b32 v3, 20, v3
	s_delay_alu instid0(VALU_DEP_2) | instskip(NEXT) | instid1(VALU_DEP_2)
	v_and_b32_e32 v4, 0x80000000, v4
	v_lshl_add_u32 v8, v8, 23, 0x3b800000
	s_delay_alu instid0(VALU_DEP_1)
	v_or3_b32 v3, v4, v8, v3
.LBB288_252:
	s_or_b32 exec_lo, exec_lo, s19
	s_delay_alu instid0(VALU_DEP_1)
	v_cmp_eq_f32_e64 s19, v7, v3
	v_cmp_ne_u32_e32 vcc_lo, 1, v2
	v_and_b32_e32 v3, 0xff, v19
	s_cbranch_vccz .LBB288_104
.LBB288_253:
                                        ; implicit-def: $sgpr20
	s_cbranch_execz .LBB288_113
; %bb.254:
	s_mov_b32 s0, 0
	s_mov_b32 s20, exec_lo
	v_cmpx_lt_i16_e32 0x7f, v3
	s_xor_b32 s20, exec_lo, s20
	s_cbranch_execnz .LBB288_525
; %bb.255:
	s_or_saveexec_b32 s20, s20
	v_mov_b32_e32 v4, 0x7f800001
	s_xor_b32 exec_lo, exec_lo, s20
	s_cbranch_execnz .LBB288_528
.LBB288_256:
	s_or_b32 exec_lo, exec_lo, s20
	s_and_saveexec_b32 s20, s0
	s_cbranch_execz .LBB288_258
.LBB288_257:
	v_and_b32_e32 v3, 7, v19
	v_lshrrev_b16 v7, 3, v19
	s_delay_alu instid0(VALU_DEP_2) | instskip(NEXT) | instid1(VALU_DEP_1)
	v_clz_i32_u32_e32 v4, v3
	v_min_u32_e32 v4, 32, v4
	s_delay_alu instid0(VALU_DEP_3) | instskip(NEXT) | instid1(VALU_DEP_2)
	v_and_b32_e32 v7, 15, v7
	v_subrev_nc_u32_e32 v8, 28, v4
	v_sub_nc_u32_e32 v4, 29, v4
	s_delay_alu instid0(VALU_DEP_3) | instskip(NEXT) | instid1(VALU_DEP_3)
	v_cmp_eq_u32_e32 vcc_lo, 0, v7
	v_dual_lshlrev_b32 v8, v8, v19 :: v_dual_lshlrev_b32 v19, 24, v19
	s_delay_alu instid0(VALU_DEP_1) | instskip(NEXT) | instid1(VALU_DEP_1)
	v_and_b32_e32 v8, 7, v8
	v_cndmask_b32_e32 v3, v3, v8, vcc_lo
	v_cndmask_b32_e32 v4, v7, v4, vcc_lo
	s_delay_alu instid0(VALU_DEP_4) | instskip(NEXT) | instid1(VALU_DEP_3)
	v_and_b32_e32 v7, 0x80000000, v19
	v_lshlrev_b32_e32 v3, 20, v3
	s_delay_alu instid0(VALU_DEP_3) | instskip(NEXT) | instid1(VALU_DEP_1)
	v_lshl_add_u32 v4, v4, 23, 0x3b800000
	v_or3_b32 v4, v7, v4, v3
.LBB288_258:
	s_or_b32 exec_lo, exec_lo, s20
	v_and_b32_e32 v7, 0xff, v18
	s_mov_b32 s0, 0
	s_mov_b32 s20, exec_lo
	s_delay_alu instid0(VALU_DEP_1)
	v_cmpx_lt_i16_e32 0x7f, v7
	s_xor_b32 s20, exec_lo, s20
	s_cbranch_execnz .LBB288_529
; %bb.259:
	s_or_saveexec_b32 s20, s20
	v_mov_b32_e32 v3, 0x7f800001
	s_xor_b32 exec_lo, exec_lo, s20
	s_cbranch_execnz .LBB288_532
.LBB288_260:
	s_or_b32 exec_lo, exec_lo, s20
	s_and_saveexec_b32 s20, s0
	s_cbranch_execz .LBB288_262
.LBB288_261:
	v_and_b32_e32 v3, 7, v18
	v_lshrrev_b16 v8, 3, v18
	s_delay_alu instid0(VALU_DEP_2) | instskip(NEXT) | instid1(VALU_DEP_1)
	v_clz_i32_u32_e32 v7, v3
	v_min_u32_e32 v7, 32, v7
	s_delay_alu instid0(VALU_DEP_3) | instskip(NEXT) | instid1(VALU_DEP_2)
	v_and_b32_e32 v8, 15, v8
	v_subrev_nc_u32_e32 v19, 28, v7
	v_sub_nc_u32_e32 v7, 29, v7
	s_delay_alu instid0(VALU_DEP_3) | instskip(NEXT) | instid1(VALU_DEP_3)
	v_cmp_eq_u32_e32 vcc_lo, 0, v8
	v_dual_lshlrev_b32 v19, v19, v18 :: v_dual_lshlrev_b32 v18, 24, v18
	s_delay_alu instid0(VALU_DEP_3) | instskip(NEXT) | instid1(VALU_DEP_2)
	v_cndmask_b32_e32 v7, v8, v7, vcc_lo
	v_and_b32_e32 v19, 7, v19
	s_delay_alu instid0(VALU_DEP_3) | instskip(NEXT) | instid1(VALU_DEP_3)
	v_and_b32_e32 v8, 0x80000000, v18
	v_lshl_add_u32 v7, v7, 23, 0x3b800000
	s_delay_alu instid0(VALU_DEP_3) | instskip(NEXT) | instid1(VALU_DEP_1)
	v_cndmask_b32_e32 v3, v3, v19, vcc_lo
	v_lshlrev_b32_e32 v3, 20, v3
	s_delay_alu instid0(VALU_DEP_1)
	v_or3_b32 v3, v8, v7, v3
.LBB288_262:
	s_or_b32 exec_lo, exec_lo, s20
	s_delay_alu instid0(VALU_DEP_1)
	v_cmp_eq_f32_e64 s20, v4, v3
	v_cmp_ne_u32_e32 vcc_lo, 1, v2
	v_and_b32_e32 v3, 0xff, v17
	s_cbranch_vccz .LBB288_114
.LBB288_263:
                                        ; implicit-def: $sgpr21
	s_cbranch_execz .LBB288_123
; %bb.264:
	s_mov_b32 s0, 0
	s_mov_b32 s21, exec_lo
	v_cmpx_lt_i16_e32 0x7f, v3
	s_xor_b32 s21, exec_lo, s21
	s_cbranch_execnz .LBB288_533
; %bb.265:
	s_or_saveexec_b32 s21, s21
	v_mov_b32_e32 v4, 0x7f800001
	s_xor_b32 exec_lo, exec_lo, s21
	s_cbranch_execnz .LBB288_536
.LBB288_266:
	s_or_b32 exec_lo, exec_lo, s21
	s_and_saveexec_b32 s21, s0
	s_cbranch_execz .LBB288_268
.LBB288_267:
	v_and_b32_e32 v3, 7, v17
	v_lshrrev_b16 v7, 3, v17
	s_delay_alu instid0(VALU_DEP_2) | instskip(NEXT) | instid1(VALU_DEP_1)
	v_clz_i32_u32_e32 v4, v3
	v_min_u32_e32 v4, 32, v4
	s_delay_alu instid0(VALU_DEP_3) | instskip(NEXT) | instid1(VALU_DEP_2)
	v_and_b32_e32 v7, 15, v7
	v_subrev_nc_u32_e32 v8, 28, v4
	v_sub_nc_u32_e32 v4, 29, v4
	s_delay_alu instid0(VALU_DEP_3) | instskip(NEXT) | instid1(VALU_DEP_3)
	v_cmp_eq_u32_e32 vcc_lo, 0, v7
	v_dual_lshlrev_b32 v8, v8, v17 :: v_dual_lshlrev_b32 v17, 24, v17
	s_delay_alu instid0(VALU_DEP_1) | instskip(NEXT) | instid1(VALU_DEP_1)
	v_and_b32_e32 v8, 7, v8
	v_cndmask_b32_e32 v3, v3, v8, vcc_lo
	v_cndmask_b32_e32 v4, v7, v4, vcc_lo
	s_delay_alu instid0(VALU_DEP_4) | instskip(NEXT) | instid1(VALU_DEP_3)
	v_and_b32_e32 v7, 0x80000000, v17
	v_lshlrev_b32_e32 v3, 20, v3
	s_delay_alu instid0(VALU_DEP_3) | instskip(NEXT) | instid1(VALU_DEP_1)
	v_lshl_add_u32 v4, v4, 23, 0x3b800000
	v_or3_b32 v4, v7, v4, v3
.LBB288_268:
	s_or_b32 exec_lo, exec_lo, s21
	v_and_b32_e32 v7, 0xff, v16
	s_mov_b32 s0, 0
	s_mov_b32 s21, exec_lo
	s_delay_alu instid0(VALU_DEP_1)
	v_cmpx_lt_i16_e32 0x7f, v7
	s_xor_b32 s21, exec_lo, s21
	s_cbranch_execnz .LBB288_537
; %bb.269:
	s_or_saveexec_b32 s21, s21
	v_mov_b32_e32 v3, 0x7f800001
	s_xor_b32 exec_lo, exec_lo, s21
	s_cbranch_execnz .LBB288_540
.LBB288_270:
	s_or_b32 exec_lo, exec_lo, s21
	s_and_saveexec_b32 s21, s0
	s_cbranch_execz .LBB288_272
.LBB288_271:
	v_and_b32_e32 v3, 7, v16
	v_lshrrev_b16 v8, 3, v16
	s_delay_alu instid0(VALU_DEP_2) | instskip(NEXT) | instid1(VALU_DEP_1)
	v_clz_i32_u32_e32 v7, v3
	v_min_u32_e32 v7, 32, v7
	s_delay_alu instid0(VALU_DEP_3) | instskip(NEXT) | instid1(VALU_DEP_2)
	v_and_b32_e32 v8, 15, v8
	v_subrev_nc_u32_e32 v17, 28, v7
	v_sub_nc_u32_e32 v7, 29, v7
	s_delay_alu instid0(VALU_DEP_3) | instskip(NEXT) | instid1(VALU_DEP_3)
	v_cmp_eq_u32_e32 vcc_lo, 0, v8
	v_dual_lshlrev_b32 v17, v17, v16 :: v_dual_lshlrev_b32 v16, 24, v16
	s_delay_alu instid0(VALU_DEP_1) | instskip(NEXT) | instid1(VALU_DEP_2)
	v_dual_cndmask_b32 v7, v8, v7, vcc_lo :: v_dual_bitop2_b32 v17, 7, v17 bitop3:0x40
	v_and_b32_e32 v8, 0x80000000, v16
	s_delay_alu instid0(VALU_DEP_2) | instskip(NEXT) | instid1(VALU_DEP_3)
	v_cndmask_b32_e32 v3, v3, v17, vcc_lo
	v_lshl_add_u32 v7, v7, 23, 0x3b800000
	s_delay_alu instid0(VALU_DEP_2) | instskip(NEXT) | instid1(VALU_DEP_1)
	v_lshlrev_b32_e32 v3, 20, v3
	v_or3_b32 v3, v8, v7, v3
.LBB288_272:
	s_or_b32 exec_lo, exec_lo, s21
	s_delay_alu instid0(VALU_DEP_1)
	v_cmp_eq_f32_e64 s21, v4, v3
	v_cmp_ne_u32_e32 vcc_lo, 1, v2
	v_cmp_lt_i16_e64 s0, 0x7f, v15
	s_cbranch_vccz .LBB288_124
.LBB288_273:
                                        ; implicit-def: $sgpr22
	s_cbranch_execz .LBB288_133
; %bb.274:
	s_mov_b32 s0, 0
	s_mov_b32 s22, exec_lo
	v_cmpx_lt_i16_e32 0x7f, v15
	s_xor_b32 s22, exec_lo, s22
	s_cbranch_execnz .LBB288_541
; %bb.275:
	s_or_saveexec_b32 s22, s22
	v_mov_b32_e32 v3, 0x7f800001
	s_xor_b32 exec_lo, exec_lo, s22
	s_cbranch_execnz .LBB288_544
.LBB288_276:
	s_or_b32 exec_lo, exec_lo, s22
	s_and_saveexec_b32 s22, s0
	s_cbranch_execz .LBB288_278
.LBB288_277:
	v_and_b32_e32 v3, 0xffff, v15
	s_delay_alu instid0(VALU_DEP_1) | instskip(SKIP_1) | instid1(VALU_DEP_2)
	v_and_b32_e32 v4, 7, v3
	v_bfe_u32 v16, v3, 3, 4
	v_clz_i32_u32_e32 v7, v4
	s_delay_alu instid0(VALU_DEP_2) | instskip(NEXT) | instid1(VALU_DEP_2)
	v_cmp_eq_u32_e32 vcc_lo, 0, v16
	v_min_u32_e32 v7, 32, v7
	s_delay_alu instid0(VALU_DEP_1) | instskip(SKIP_1) | instid1(VALU_DEP_2)
	v_subrev_nc_u32_e32 v8, 28, v7
	v_sub_nc_u32_e32 v7, 29, v7
	v_lshlrev_b32_e32 v3, v8, v3
	v_lshlrev_b32_e32 v8, 24, v15
	s_delay_alu instid0(VALU_DEP_3) | instskip(NEXT) | instid1(VALU_DEP_3)
	v_cndmask_b32_e32 v7, v16, v7, vcc_lo
	v_and_b32_e32 v3, 7, v3
	s_delay_alu instid0(VALU_DEP_2) | instskip(NEXT) | instid1(VALU_DEP_2)
	v_lshl_add_u32 v7, v7, 23, 0x3b800000
	v_cndmask_b32_e32 v3, v4, v3, vcc_lo
	v_and_b32_e32 v4, 0x80000000, v8
	s_delay_alu instid0(VALU_DEP_2) | instskip(NEXT) | instid1(VALU_DEP_1)
	v_lshlrev_b32_e32 v3, 20, v3
	v_or3_b32 v3, v4, v7, v3
.LBB288_278:
	s_or_b32 exec_lo, exec_lo, s22
	s_mov_b32 s0, 0
	s_mov_b32 s22, exec_lo
	v_cmpx_lt_i16_e32 0x7f, v14
	s_xor_b32 s22, exec_lo, s22
	s_cbranch_execnz .LBB288_545
; %bb.279:
	s_or_saveexec_b32 s22, s22
	v_mov_b32_e32 v4, 0x7f800001
	s_xor_b32 exec_lo, exec_lo, s22
	s_cbranch_execnz .LBB288_548
.LBB288_280:
	s_or_b32 exec_lo, exec_lo, s22
	s_and_saveexec_b32 s22, s0
	s_cbranch_execz .LBB288_282
.LBB288_281:
	v_and_b32_e32 v4, 0xffff, v14
	s_delay_alu instid0(VALU_DEP_1) | instskip(SKIP_1) | instid1(VALU_DEP_2)
	v_dual_lshlrev_b32 v14, 24, v14 :: v_dual_bitop2_b32 v7, 7, v4 bitop3:0x40
	v_bfe_u32 v16, v4, 3, 4
	v_clz_i32_u32_e32 v8, v7
	s_delay_alu instid0(VALU_DEP_2) | instskip(NEXT) | instid1(VALU_DEP_2)
	v_cmp_eq_u32_e32 vcc_lo, 0, v16
	v_min_u32_e32 v8, 32, v8
	s_delay_alu instid0(VALU_DEP_1) | instskip(SKIP_1) | instid1(VALU_DEP_2)
	v_subrev_nc_u32_e32 v15, 28, v8
	v_sub_nc_u32_e32 v8, 29, v8
	v_lshlrev_b32_e32 v4, v15, v4
	s_delay_alu instid0(VALU_DEP_2) | instskip(NEXT) | instid1(VALU_DEP_2)
	v_cndmask_b32_e32 v8, v16, v8, vcc_lo
	v_and_b32_e32 v4, 7, v4
	s_delay_alu instid0(VALU_DEP_2) | instskip(NEXT) | instid1(VALU_DEP_2)
	v_lshl_add_u32 v8, v8, 23, 0x3b800000
	v_cndmask_b32_e32 v4, v7, v4, vcc_lo
	v_and_b32_e32 v7, 0x80000000, v14
	s_delay_alu instid0(VALU_DEP_2) | instskip(NEXT) | instid1(VALU_DEP_1)
	v_lshlrev_b32_e32 v4, 20, v4
	v_or3_b32 v4, v7, v8, v4
.LBB288_282:
	s_or_b32 exec_lo, exec_lo, s22
	s_delay_alu instid0(VALU_DEP_1)
	v_cmp_eq_f32_e64 s22, v3, v4
	v_cmp_ne_u32_e32 vcc_lo, 1, v2
	v_and_b32_e32 v3, 0xff, v9
	s_cbranch_vccz .LBB288_134
.LBB288_283:
                                        ; implicit-def: $sgpr23
	s_cbranch_execz .LBB288_143
; %bb.284:
	s_mov_b32 s0, 0
	s_mov_b32 s23, exec_lo
	v_cmpx_lt_i16_e32 0x7f, v3
	s_xor_b32 s23, exec_lo, s23
	s_cbranch_execnz .LBB288_549
; %bb.285:
	s_or_saveexec_b32 s23, s23
	v_mov_b32_e32 v4, 0x7f800001
	s_xor_b32 exec_lo, exec_lo, s23
	s_cbranch_execnz .LBB288_552
.LBB288_286:
	s_or_b32 exec_lo, exec_lo, s23
	s_and_saveexec_b32 s23, s0
	s_cbranch_execz .LBB288_288
.LBB288_287:
	v_and_b32_e32 v3, 7, v9
	v_lshrrev_b16 v7, 3, v9
	s_delay_alu instid0(VALU_DEP_2) | instskip(NEXT) | instid1(VALU_DEP_1)
	v_clz_i32_u32_e32 v4, v3
	v_min_u32_e32 v4, 32, v4
	s_delay_alu instid0(VALU_DEP_3) | instskip(NEXT) | instid1(VALU_DEP_2)
	v_and_b32_e32 v7, 15, v7
	v_subrev_nc_u32_e32 v8, 28, v4
	v_sub_nc_u32_e32 v4, 29, v4
	s_delay_alu instid0(VALU_DEP_3) | instskip(NEXT) | instid1(VALU_DEP_3)
	v_cmp_eq_u32_e32 vcc_lo, 0, v7
	v_dual_lshlrev_b32 v8, v8, v9 :: v_dual_lshlrev_b32 v9, 24, v9
	s_delay_alu instid0(VALU_DEP_1) | instskip(NEXT) | instid1(VALU_DEP_1)
	v_and_b32_e32 v8, 7, v8
	v_cndmask_b32_e32 v3, v3, v8, vcc_lo
	v_cndmask_b32_e32 v4, v7, v4, vcc_lo
	s_delay_alu instid0(VALU_DEP_4) | instskip(NEXT) | instid1(VALU_DEP_3)
	v_and_b32_e32 v7, 0x80000000, v9
	v_lshlrev_b32_e32 v3, 20, v3
	s_delay_alu instid0(VALU_DEP_3) | instskip(NEXT) | instid1(VALU_DEP_1)
	v_lshl_add_u32 v4, v4, 23, 0x3b800000
	v_or3_b32 v4, v7, v4, v3
.LBB288_288:
	s_or_b32 exec_lo, exec_lo, s23
	v_and_b32_e32 v7, 0xff, v5
	s_mov_b32 s0, 0
	s_mov_b32 s23, exec_lo
	s_delay_alu instid0(VALU_DEP_1)
	v_cmpx_lt_i16_e32 0x7f, v7
	s_xor_b32 s23, exec_lo, s23
	s_cbranch_execnz .LBB288_553
; %bb.289:
	s_or_saveexec_b32 s23, s23
	v_mov_b32_e32 v3, 0x7f800001
	s_xor_b32 exec_lo, exec_lo, s23
	s_cbranch_execnz .LBB288_556
.LBB288_290:
	s_or_b32 exec_lo, exec_lo, s23
	s_and_saveexec_b32 s23, s0
	s_cbranch_execz .LBB288_292
.LBB288_291:
	v_and_b32_e32 v3, 7, v5
	v_lshrrev_b16 v8, 3, v5
	s_delay_alu instid0(VALU_DEP_2) | instskip(NEXT) | instid1(VALU_DEP_1)
	v_clz_i32_u32_e32 v7, v3
	v_min_u32_e32 v7, 32, v7
	s_delay_alu instid0(VALU_DEP_3) | instskip(NEXT) | instid1(VALU_DEP_2)
	v_and_b32_e32 v8, 15, v8
	v_subrev_nc_u32_e32 v9, 28, v7
	v_sub_nc_u32_e32 v7, 29, v7
	s_delay_alu instid0(VALU_DEP_3) | instskip(NEXT) | instid1(VALU_DEP_2)
	v_cmp_eq_u32_e32 vcc_lo, 0, v8
	v_dual_lshlrev_b32 v9, v9, v5 :: v_dual_cndmask_b32 v7, v8, v7, vcc_lo
	s_delay_alu instid0(VALU_DEP_1) | instskip(NEXT) | instid1(VALU_DEP_2)
	v_and_b32_e32 v9, 7, v9
	v_lshl_add_u32 v7, v7, 23, 0x3b800000
	s_delay_alu instid0(VALU_DEP_2) | instskip(NEXT) | instid1(VALU_DEP_1)
	v_cndmask_b32_e32 v3, v3, v9, vcc_lo
	v_dual_lshlrev_b32 v5, 24, v5 :: v_dual_lshlrev_b32 v3, 20, v3
	s_delay_alu instid0(VALU_DEP_1) | instskip(NEXT) | instid1(VALU_DEP_1)
	v_and_b32_e32 v5, 0x80000000, v5
	v_or3_b32 v3, v5, v7, v3
.LBB288_292:
	s_or_b32 exec_lo, exec_lo, s23
	s_delay_alu instid0(VALU_DEP_1)
	v_cmp_eq_f32_e64 s23, v4, v3
	v_cmp_ne_u32_e32 vcc_lo, 1, v2
	v_and_b32_e32 v3, 0xff, v13
	s_cbranch_vccz .LBB288_144
.LBB288_293:
                                        ; implicit-def: $sgpr24
	s_cbranch_execz .LBB288_153
; %bb.294:
	s_mov_b32 s0, 0
	s_mov_b32 s24, exec_lo
	v_cmpx_lt_i16_e32 0x7f, v3
	s_xor_b32 s24, exec_lo, s24
	s_cbranch_execnz .LBB288_557
; %bb.295:
	s_or_saveexec_b32 s24, s24
	v_mov_b32_e32 v4, 0x7f800001
	s_xor_b32 exec_lo, exec_lo, s24
	s_cbranch_execnz .LBB288_560
.LBB288_296:
	s_or_b32 exec_lo, exec_lo, s24
	s_and_saveexec_b32 s24, s0
	s_cbranch_execz .LBB288_298
.LBB288_297:
	v_and_b32_e32 v3, 7, v13
	v_lshrrev_b16 v5, 3, v13
	v_lshlrev_b32_e32 v8, 24, v13
	s_delay_alu instid0(VALU_DEP_3) | instskip(NEXT) | instid1(VALU_DEP_1)
	v_clz_i32_u32_e32 v4, v3
	v_min_u32_e32 v4, 32, v4
	s_delay_alu instid0(VALU_DEP_4) | instskip(NEXT) | instid1(VALU_DEP_2)
	v_and_b32_e32 v5, 15, v5
	v_subrev_nc_u32_e32 v7, 28, v4
	v_sub_nc_u32_e32 v4, 29, v4
	s_delay_alu instid0(VALU_DEP_3) | instskip(NEXT) | instid1(VALU_DEP_3)
	v_cmp_eq_u32_e32 vcc_lo, 0, v5
	v_lshlrev_b32_e32 v7, v7, v13
	s_delay_alu instid0(VALU_DEP_1) | instskip(SKIP_1) | instid1(VALU_DEP_2)
	v_dual_cndmask_b32 v4, v5, v4, vcc_lo :: v_dual_bitop2_b32 v7, 7, v7 bitop3:0x40
	v_and_b32_e32 v5, 0x80000000, v8
	v_cndmask_b32_e32 v3, v3, v7, vcc_lo
	s_delay_alu instid0(VALU_DEP_3) | instskip(NEXT) | instid1(VALU_DEP_2)
	v_lshl_add_u32 v4, v4, 23, 0x3b800000
	v_lshlrev_b32_e32 v3, 20, v3
	s_delay_alu instid0(VALU_DEP_1)
	v_or3_b32 v4, v5, v4, v3
.LBB288_298:
	s_or_b32 exec_lo, exec_lo, s24
	v_and_b32_e32 v5, 0xff, v12
	s_mov_b32 s0, 0
	s_mov_b32 s24, exec_lo
	s_delay_alu instid0(VALU_DEP_1)
	v_cmpx_lt_i16_e32 0x7f, v5
	s_xor_b32 s24, exec_lo, s24
	s_cbranch_execnz .LBB288_561
; %bb.299:
	s_or_saveexec_b32 s24, s24
	v_mov_b32_e32 v3, 0x7f800001
	s_xor_b32 exec_lo, exec_lo, s24
	s_cbranch_execnz .LBB288_564
.LBB288_300:
	s_or_b32 exec_lo, exec_lo, s24
	s_and_saveexec_b32 s24, s0
	s_cbranch_execz .LBB288_302
.LBB288_301:
	v_and_b32_e32 v3, 7, v12
	v_lshrrev_b16 v7, 3, v12
	s_delay_alu instid0(VALU_DEP_2) | instskip(NEXT) | instid1(VALU_DEP_1)
	v_clz_i32_u32_e32 v5, v3
	v_min_u32_e32 v5, 32, v5
	s_delay_alu instid0(VALU_DEP_3) | instskip(NEXT) | instid1(VALU_DEP_2)
	v_and_b32_e32 v7, 15, v7
	v_subrev_nc_u32_e32 v8, 28, v5
	v_sub_nc_u32_e32 v5, 29, v5
	s_delay_alu instid0(VALU_DEP_3) | instskip(NEXT) | instid1(VALU_DEP_2)
	v_cmp_eq_u32_e32 vcc_lo, 0, v7
	v_dual_cndmask_b32 v5, v7, v5 :: v_dual_lshlrev_b32 v8, v8, v12
	s_delay_alu instid0(VALU_DEP_1) | instskip(NEXT) | instid1(VALU_DEP_2)
	v_and_b32_e32 v8, 7, v8
	v_lshl_add_u32 v5, v5, 23, 0x3b800000
	s_delay_alu instid0(VALU_DEP_2) | instskip(NEXT) | instid1(VALU_DEP_1)
	v_cndmask_b32_e32 v3, v3, v8, vcc_lo
	v_dual_lshlrev_b32 v9, 24, v12 :: v_dual_lshlrev_b32 v3, 20, v3
	s_delay_alu instid0(VALU_DEP_1) | instskip(NEXT) | instid1(VALU_DEP_1)
	v_and_b32_e32 v7, 0x80000000, v9
	v_or3_b32 v3, v7, v5, v3
.LBB288_302:
	s_or_b32 exec_lo, exec_lo, s24
	s_delay_alu instid0(VALU_DEP_1)
	v_cmp_eq_f32_e64 s24, v4, v3
	v_cmp_ne_u32_e32 vcc_lo, 1, v2
	v_and_b32_e32 v3, 0xff, v11
	s_cbranch_vccz .LBB288_154
.LBB288_303:
                                        ; implicit-def: $sgpr25
	s_cbranch_execz .LBB288_163
; %bb.304:
	s_mov_b32 s0, 0
	s_mov_b32 s25, exec_lo
	v_cmpx_lt_i16_e32 0x7f, v3
	s_xor_b32 s25, exec_lo, s25
	s_cbranch_execnz .LBB288_565
; %bb.305:
	s_or_saveexec_b32 s25, s25
	v_mov_b32_e32 v4, 0x7f800001
	s_xor_b32 exec_lo, exec_lo, s25
	s_cbranch_execnz .LBB288_568
.LBB288_306:
	s_or_b32 exec_lo, exec_lo, s25
	s_and_saveexec_b32 s25, s0
	s_cbranch_execz .LBB288_308
.LBB288_307:
	v_and_b32_e32 v3, 7, v11
	v_lshrrev_b16 v5, 3, v11
	v_lshlrev_b32_e32 v8, 24, v11
	s_delay_alu instid0(VALU_DEP_3) | instskip(NEXT) | instid1(VALU_DEP_1)
	v_clz_i32_u32_e32 v4, v3
	v_min_u32_e32 v4, 32, v4
	s_delay_alu instid0(VALU_DEP_4) | instskip(NEXT) | instid1(VALU_DEP_2)
	v_and_b32_e32 v5, 15, v5
	v_subrev_nc_u32_e32 v7, 28, v4
	v_sub_nc_u32_e32 v4, 29, v4
	s_delay_alu instid0(VALU_DEP_3) | instskip(NEXT) | instid1(VALU_DEP_2)
	v_cmp_eq_u32_e32 vcc_lo, 0, v5
	v_dual_cndmask_b32 v4, v5, v4 :: v_dual_lshlrev_b32 v7, v7, v11
	v_and_b32_e32 v5, 0x80000000, v8
	s_delay_alu instid0(VALU_DEP_2) | instskip(NEXT) | instid1(VALU_DEP_3)
	v_and_b32_e32 v7, 7, v7
	v_lshl_add_u32 v4, v4, 23, 0x3b800000
	s_delay_alu instid0(VALU_DEP_2) | instskip(NEXT) | instid1(VALU_DEP_1)
	v_cndmask_b32_e32 v3, v3, v7, vcc_lo
	v_lshlrev_b32_e32 v3, 20, v3
	s_delay_alu instid0(VALU_DEP_1)
	v_or3_b32 v4, v5, v4, v3
.LBB288_308:
	s_or_b32 exec_lo, exec_lo, s25
	v_and_b32_e32 v5, 0xff, v6
	s_mov_b32 s0, 0
	s_mov_b32 s25, exec_lo
	s_delay_alu instid0(VALU_DEP_1)
	v_cmpx_lt_i16_e32 0x7f, v5
	s_xor_b32 s25, exec_lo, s25
	s_cbranch_execnz .LBB288_569
; %bb.309:
	s_or_saveexec_b32 s25, s25
	v_mov_b32_e32 v3, 0x7f800001
	s_xor_b32 exec_lo, exec_lo, s25
	s_cbranch_execnz .LBB288_572
.LBB288_310:
	s_or_b32 exec_lo, exec_lo, s25
	s_and_saveexec_b32 s25, s0
	s_cbranch_execz .LBB288_312
.LBB288_311:
	v_and_b32_e32 v3, 7, v6
	v_lshrrev_b16 v7, 3, v6
	s_delay_alu instid0(VALU_DEP_2) | instskip(NEXT) | instid1(VALU_DEP_1)
	v_clz_i32_u32_e32 v5, v3
	v_min_u32_e32 v5, 32, v5
	s_delay_alu instid0(VALU_DEP_3) | instskip(NEXT) | instid1(VALU_DEP_2)
	v_and_b32_e32 v7, 15, v7
	v_subrev_nc_u32_e32 v8, 28, v5
	v_sub_nc_u32_e32 v5, 29, v5
	s_delay_alu instid0(VALU_DEP_3) | instskip(NEXT) | instid1(VALU_DEP_3)
	v_cmp_eq_u32_e32 vcc_lo, 0, v7
	v_dual_lshlrev_b32 v8, v8, v6 :: v_dual_lshlrev_b32 v6, 24, v6
	s_delay_alu instid0(VALU_DEP_1) | instskip(NEXT) | instid1(VALU_DEP_2)
	v_and_b32_e32 v8, 7, v8
	v_and_b32_e32 v6, 0x80000000, v6
	s_delay_alu instid0(VALU_DEP_2) | instskip(NEXT) | instid1(VALU_DEP_1)
	v_cndmask_b32_e32 v3, v3, v8, vcc_lo
	v_dual_cndmask_b32 v5, v7, v5, vcc_lo :: v_dual_lshlrev_b32 v3, 20, v3
	s_delay_alu instid0(VALU_DEP_1) | instskip(NEXT) | instid1(VALU_DEP_1)
	v_lshl_add_u32 v5, v5, 23, 0x3b800000
	v_or3_b32 v3, v6, v5, v3
.LBB288_312:
	s_or_b32 exec_lo, exec_lo, s25
	s_delay_alu instid0(VALU_DEP_1)
	v_cmp_eq_f32_e64 s25, v4, v3
	v_cmp_ne_u32_e32 vcc_lo, 1, v2
	v_cmp_lt_i16_e64 s0, 0x7f, v10
	s_cbranch_vccz .LBB288_164
.LBB288_313:
                                        ; implicit-def: $sgpr0
	s_cbranch_execz .LBB288_323
; %bb.314:
	s_mov_b32 s0, 0
	s_mov_b32 s26, exec_lo
	v_cmpx_lt_i16_e32 0x7f, v10
	s_xor_b32 s26, exec_lo, s26
	s_cbranch_execnz .LBB288_573
; %bb.315:
	s_or_saveexec_b32 s26, s26
	v_mov_b32_e32 v2, 0x7f800001
	s_xor_b32 exec_lo, exec_lo, s26
	s_cbranch_execnz .LBB288_576
.LBB288_316:
	s_or_b32 exec_lo, exec_lo, s26
	s_and_saveexec_b32 s26, s0
	s_cbranch_execz .LBB288_318
.LBB288_317:
	v_and_b32_e32 v2, 0xffff, v10
	s_delay_alu instid0(VALU_DEP_1) | instskip(SKIP_1) | instid1(VALU_DEP_2)
	v_and_b32_e32 v3, 7, v2
	v_bfe_u32 v6, v2, 3, 4
	v_clz_i32_u32_e32 v4, v3
	s_delay_alu instid0(VALU_DEP_2) | instskip(NEXT) | instid1(VALU_DEP_2)
	v_cmp_eq_u32_e32 vcc_lo, 0, v6
	v_min_u32_e32 v4, 32, v4
	s_delay_alu instid0(VALU_DEP_1) | instskip(NEXT) | instid1(VALU_DEP_1)
	v_subrev_nc_u32_e32 v5, 28, v4
	v_dual_lshlrev_b32 v2, v5, v2 :: v_dual_sub_nc_u32 v4, 29, v4
	s_delay_alu instid0(VALU_DEP_1) | instskip(NEXT) | instid1(VALU_DEP_2)
	v_and_b32_e32 v2, 7, v2
	v_dual_cndmask_b32 v4, v6, v4 :: v_dual_lshlrev_b32 v5, 24, v10
	s_delay_alu instid0(VALU_DEP_2) | instskip(NEXT) | instid1(VALU_DEP_2)
	v_cndmask_b32_e32 v2, v3, v2, vcc_lo
	v_and_b32_e32 v3, 0x80000000, v5
	s_delay_alu instid0(VALU_DEP_3) | instskip(NEXT) | instid1(VALU_DEP_3)
	v_lshl_add_u32 v4, v4, 23, 0x3b800000
	v_lshlrev_b32_e32 v2, 20, v2
	s_delay_alu instid0(VALU_DEP_1)
	v_or3_b32 v2, v3, v4, v2
.LBB288_318:
	s_or_b32 exec_lo, exec_lo, s26
	s_mov_b32 s0, 0
	s_mov_b32 s26, exec_lo
	v_cmpx_lt_i16_e32 0x7f, v1
	s_xor_b32 s26, exec_lo, s26
	s_cbranch_execnz .LBB288_577
; %bb.319:
	s_or_saveexec_b32 s26, s26
	v_mov_b32_e32 v3, 0x7f800001
	s_xor_b32 exec_lo, exec_lo, s26
	s_cbranch_execnz .LBB288_580
.LBB288_320:
	s_or_b32 exec_lo, exec_lo, s26
	s_and_saveexec_b32 s26, s0
	s_cbranch_execz .LBB288_322
.LBB288_321:
	v_and_b32_e32 v3, 0xffff, v1
	s_delay_alu instid0(VALU_DEP_1) | instskip(SKIP_1) | instid1(VALU_DEP_2)
	v_and_b32_e32 v4, 7, v3
	v_bfe_u32 v7, v3, 3, 4
	v_clz_i32_u32_e32 v5, v4
	s_delay_alu instid0(VALU_DEP_2) | instskip(NEXT) | instid1(VALU_DEP_2)
	v_cmp_eq_u32_e32 vcc_lo, 0, v7
	v_min_u32_e32 v5, 32, v5
	s_delay_alu instid0(VALU_DEP_1) | instskip(NEXT) | instid1(VALU_DEP_1)
	v_subrev_nc_u32_e32 v6, 28, v5
	v_dual_lshlrev_b32 v3, v6, v3 :: v_dual_sub_nc_u32 v5, 29, v5
	s_delay_alu instid0(VALU_DEP_1) | instskip(NEXT) | instid1(VALU_DEP_1)
	v_dual_lshlrev_b32 v1, 24, v1 :: v_dual_bitop2_b32 v3, 7, v3 bitop3:0x40
	v_dual_cndmask_b32 v3, v4, v3, vcc_lo :: v_dual_cndmask_b32 v5, v7, v5, vcc_lo
	s_delay_alu instid0(VALU_DEP_2) | instskip(NEXT) | instid1(VALU_DEP_2)
	v_and_b32_e32 v1, 0x80000000, v1
	v_lshlrev_b32_e32 v3, 20, v3
	s_delay_alu instid0(VALU_DEP_3) | instskip(NEXT) | instid1(VALU_DEP_1)
	v_lshl_add_u32 v4, v5, 23, 0x3b800000
	v_or3_b32 v3, v1, v4, v3
.LBB288_322:
	s_or_b32 exec_lo, exec_lo, s26
	s_delay_alu instid0(VALU_DEP_1)
	v_cmp_eq_f32_e64 s0, v2, v3
.LBB288_323:
	v_cndmask_b32_e64 v1, 0, 1, s16
	v_cndmask_b32_e64 v2, 0, 1, s18
	;; [unrolled: 1-line block ×5, first 2 shown]
	v_lshlrev_b16 v1, 8, v1
	v_lshlrev_b16 v2, 8, v2
	v_cndmask_b32_e64 v6, 0, 1, s8
	v_lshlrev_b16 v4, 8, v4
	v_cndmask_b32_e64 v7, 0, 1, s0
	v_cndmask_b32_e64 v8, 0, 1, s20
	v_or_b32_e32 v2, v5, v2
	v_or_b32_e32 v1, v3, v1
	;; [unrolled: 1-line block ×3, first 2 shown]
	v_cndmask_b32_e64 v4, 0, 1, s14
	v_cndmask_b32_e64 v5, 0, 1, s24
	;; [unrolled: 1-line block ×4, first 2 shown]
	v_and_b32_e32 v6, 0xffff, v3
	v_lshlrev_b16 v3, 8, v4
	v_cndmask_b32_e64 v4, 0, 1, s13
	v_lshlrev_b16 v5, 8, v5
	v_lshlrev_b16 v7, 8, v7
	v_cndmask_b32_e64 v11, 0, 1, s25
	v_lshlrev_b16 v8, 8, v8
	v_cndmask_b32_e64 v12, 0, 1, s19
	v_lshlrev_b16 v10, 8, v10
	v_cndmask_b32_e64 v13, 0, 1, s21
	v_or_b32_e32 v3, v4, v3
	v_or_b32_e32 v4, v9, v5
	;; [unrolled: 1-line block ×5, first 2 shown]
	s_add_nc_u64 s[10:11], s[4:5], s[10:11]
	v_and_b32_e32 v4, 0xffff, v4
	v_lshlrev_b32_e32 v5, 16, v5
	v_and_b32_e32 v7, 0xffff, v7
	v_dual_lshlrev_b32 v8, 16, v8 :: v_dual_lshlrev_b32 v9, 16, v3
	v_lshlrev_b32_e32 v2, 16, v2
	v_and_b32_e32 v1, 0xffff, v1
	v_or_b32_e32 v5, v4, v5
	s_delay_alu instid0(VALU_DEP_4) | instskip(NEXT) | instid1(VALU_DEP_3)
	v_or_b32_e32 v4, v7, v8
	v_or_b32_e32 v3, v1, v2
	;; [unrolled: 1-line block ×3, first 2 shown]
	global_store_b128 v0, v[2:5], s[10:11] scale_offset
	s_branch .LBB288_2
.LBB288_324:
	s_wait_xcnt 0x0
	v_dual_mov_b32 v31, v0 :: v_dual_mov_b32 v0, s9
	v_dual_mov_b32 v1, s4 :: v_dual_mov_b32 v2, s5
	;; [unrolled: 1-line block ×4, first 2 shown]
	v_mov_b32_e32 v7, s1
	s_get_pc_i64 s[10:11]
	s_add_nc_u64 s[10:11], s[10:11], _ZN2at6native25elementwise_kernel_helperILb0ENS0_13BinaryFunctorIN3c1015Float8_e4m3fnuzES4_bNS0_12_GLOBAL__N_116CompareEqFunctorIS4_EEEENS0_6memory8policies11unroll_baseILi256ESt5arrayIPcLm3EE23TrivialOffsetCalculatorILi2EjESF_ILi1EjENS9_15LoadWithoutCastENS9_16StoreWithoutCastELi16ELi1EEEEEvT0_T1_@rel64+4
	s_delay_alu instid0(SALU_CYCLE_1)
	s_swap_pc_i64 s[30:31], s[10:11]
	s_endpgm
.LBB288_325:
	s_mov_b32 s8, -1
	s_mov_b32 s13, exec_lo
	v_cmpx_eq_u16_e32 0x80, v1
; %bb.326:
	s_xor_b32 s8, exec_lo, -1
; %bb.327:
	s_or_b32 exec_lo, exec_lo, s13
	s_delay_alu instid0(SALU_CYCLE_1)
	s_and_b32 s8, s8, exec_lo
	s_or_saveexec_b32 s12, s12
	v_mov_b32_e32 v10, 0x7f800001
	s_xor_b32 exec_lo, exec_lo, s12
	s_cbranch_execz .LBB288_6
.LBB288_328:
	v_cmp_ne_u16_e32 vcc_lo, 0, v1
	v_mov_b32_e32 v10, 0
	s_and_not1_b32 s8, s8, exec_lo
	s_and_b32 s13, vcc_lo, exec_lo
	s_delay_alu instid0(SALU_CYCLE_1)
	s_or_b32 s8, s8, s13
	s_or_b32 exec_lo, exec_lo, s12
	s_and_saveexec_b32 s12, s8
	s_cbranch_execnz .LBB288_7
	s_branch .LBB288_8
.LBB288_329:
	s_mov_b32 s8, -1
	s_mov_b32 s13, exec_lo
	v_cmpx_eq_u16_e32 0x80, v12
; %bb.330:
	s_xor_b32 s8, exec_lo, -1
; %bb.331:
	s_or_b32 exec_lo, exec_lo, s13
	s_delay_alu instid0(SALU_CYCLE_1)
	s_and_b32 s8, s8, exec_lo
                                        ; implicit-def: $vgpr12
	s_or_saveexec_b32 s12, s12
	v_mov_b32_e32 v11, 0x7f800001
	s_xor_b32 exec_lo, exec_lo, s12
	s_cbranch_execz .LBB288_10
.LBB288_332:
	v_cmp_ne_u16_e32 vcc_lo, 0, v12
	v_mov_b32_e32 v11, 0
	s_and_not1_b32 s8, s8, exec_lo
	s_and_b32 s13, vcc_lo, exec_lo
	s_delay_alu instid0(SALU_CYCLE_1)
	s_or_b32 s8, s8, s13
	s_or_b32 exec_lo, exec_lo, s12
	s_and_saveexec_b32 s12, s8
	s_cbranch_execnz .LBB288_11
	s_branch .LBB288_12
.LBB288_333:
	s_mov_b32 s0, -1
	s_mov_b32 s13, exec_lo
	v_cmpx_eq_u16_e32 0x80, v32
; %bb.334:
	s_xor_b32 s0, exec_lo, -1
; %bb.335:
	s_or_b32 exec_lo, exec_lo, s13
	s_delay_alu instid0(SALU_CYCLE_1)
	s_and_b32 s0, s0, exec_lo
	s_or_saveexec_b32 s12, s12
	v_mov_b32_e32 v33, 0x7f800001
	s_xor_b32 exec_lo, exec_lo, s12
	s_cbranch_execz .LBB288_26
.LBB288_336:
	v_cmp_ne_u16_e32 vcc_lo, 0, v32
	v_mov_b32_e32 v33, 0
	s_and_not1_b32 s0, s0, exec_lo
	s_and_b32 s13, vcc_lo, exec_lo
	s_delay_alu instid0(SALU_CYCLE_1)
	s_or_b32 s0, s0, s13
	s_or_b32 exec_lo, exec_lo, s12
	s_and_saveexec_b32 s12, s0
	s_cbranch_execnz .LBB288_27
	s_branch .LBB288_28
.LBB288_337:
	s_mov_b32 s0, -1
	s_mov_b32 s13, exec_lo
	v_cmpx_eq_u16_e32 0x80, v35
; %bb.338:
	s_xor_b32 s0, exec_lo, -1
; %bb.339:
	s_or_b32 exec_lo, exec_lo, s13
	s_delay_alu instid0(SALU_CYCLE_1)
	s_and_b32 s0, s0, exec_lo
                                        ; implicit-def: $vgpr35
	s_or_saveexec_b32 s12, s12
	v_mov_b32_e32 v34, 0x7f800001
	s_xor_b32 exec_lo, exec_lo, s12
	s_cbranch_execz .LBB288_30
.LBB288_340:
	v_cmp_ne_u16_e32 vcc_lo, 0, v35
	v_mov_b32_e32 v34, 0
	s_and_not1_b32 s0, s0, exec_lo
	s_and_b32 s13, vcc_lo, exec_lo
	s_delay_alu instid0(SALU_CYCLE_1)
	s_or_b32 s0, s0, s13
	s_or_b32 exec_lo, exec_lo, s12
	s_and_saveexec_b32 s12, s0
	s_cbranch_execnz .LBB288_31
	s_branch .LBB288_32
.LBB288_341:
	s_mov_b32 s0, -1
	s_mov_b32 s14, exec_lo
	v_cmpx_eq_u16_e32 0x80, v30
; %bb.342:
	s_xor_b32 s0, exec_lo, -1
; %bb.343:
	s_or_b32 exec_lo, exec_lo, s14
	s_delay_alu instid0(SALU_CYCLE_1)
	s_and_b32 s0, s0, exec_lo
	s_or_saveexec_b32 s13, s13
	v_mov_b32_e32 v31, 0x7f800001
	s_xor_b32 exec_lo, exec_lo, s13
	s_cbranch_execz .LBB288_36
.LBB288_344:
	v_cmp_ne_u16_e32 vcc_lo, 0, v30
	v_mov_b32_e32 v31, 0
	s_and_not1_b32 s0, s0, exec_lo
	s_and_b32 s14, vcc_lo, exec_lo
	s_delay_alu instid0(SALU_CYCLE_1)
	s_or_b32 s0, s0, s14
	s_or_b32 exec_lo, exec_lo, s13
	s_and_saveexec_b32 s13, s0
	s_cbranch_execnz .LBB288_37
	s_branch .LBB288_38
.LBB288_345:
	s_mov_b32 s0, -1
	s_mov_b32 s14, exec_lo
	v_cmpx_eq_u16_e32 0x80, v33
; %bb.346:
	s_xor_b32 s0, exec_lo, -1
; %bb.347:
	s_or_b32 exec_lo, exec_lo, s14
	s_delay_alu instid0(SALU_CYCLE_1)
	s_and_b32 s0, s0, exec_lo
                                        ; implicit-def: $vgpr33
	s_or_saveexec_b32 s13, s13
	v_mov_b32_e32 v32, 0x7f800001
	s_xor_b32 exec_lo, exec_lo, s13
	s_cbranch_execz .LBB288_40
.LBB288_348:
	v_cmp_ne_u16_e32 vcc_lo, 0, v33
	v_mov_b32_e32 v32, 0
	s_and_not1_b32 s0, s0, exec_lo
	s_and_b32 s14, vcc_lo, exec_lo
	s_delay_alu instid0(SALU_CYCLE_1)
	s_or_b32 s0, s0, s14
	s_or_b32 exec_lo, exec_lo, s13
	s_and_saveexec_b32 s13, s0
	s_cbranch_execnz .LBB288_41
	s_branch .LBB288_42
.LBB288_349:
	s_mov_b32 s14, -1
	s_mov_b32 s15, exec_lo
	v_cmpx_eq_u16_e32 0x80, v27
; %bb.350:
	s_xor_b32 s14, exec_lo, -1
; %bb.351:
	s_or_b32 exec_lo, exec_lo, s15
	s_delay_alu instid0(SALU_CYCLE_1)
	s_and_b32 s14, s14, exec_lo
	s_or_saveexec_b32 s0, s0
	v_mov_b32_e32 v28, 0x7f800001
	s_xor_b32 exec_lo, exec_lo, s0
	s_cbranch_execz .LBB288_46
.LBB288_352:
	v_cmp_ne_u16_e32 vcc_lo, 0, v27
	v_mov_b32_e32 v28, 0
	s_and_not1_b32 s14, s14, exec_lo
	s_and_b32 s15, vcc_lo, exec_lo
	s_delay_alu instid0(SALU_CYCLE_1)
	s_or_b32 s14, s14, s15
	s_or_b32 exec_lo, exec_lo, s0
	s_and_saveexec_b32 s0, s14
	s_cbranch_execnz .LBB288_47
	s_branch .LBB288_48
.LBB288_353:
	s_mov_b32 s0, -1
	s_mov_b32 s15, exec_lo
	v_cmpx_eq_u16_e32 0x80, v26
; %bb.354:
	s_xor_b32 s0, exec_lo, -1
; %bb.355:
	s_or_b32 exec_lo, exec_lo, s15
	s_delay_alu instid0(SALU_CYCLE_1)
	s_and_b32 s0, s0, exec_lo
	s_or_saveexec_b32 s14, s14
	v_mov_b32_e32 v29, 0x7f800001
	s_xor_b32 exec_lo, exec_lo, s14
	s_cbranch_execz .LBB288_50
.LBB288_356:
	v_cmp_ne_u16_e32 vcc_lo, 0, v26
	v_mov_b32_e32 v29, 0
	s_and_not1_b32 s0, s0, exec_lo
	s_and_b32 s15, vcc_lo, exec_lo
	s_delay_alu instid0(SALU_CYCLE_1)
	s_or_b32 s0, s0, s15
	s_or_b32 exec_lo, exec_lo, s14
	s_and_saveexec_b32 s14, s0
	s_cbranch_execnz .LBB288_51
	s_branch .LBB288_52
.LBB288_357:
	s_mov_b32 s0, -1
	s_mov_b32 s16, exec_lo
	v_cmpx_eq_u16_e32 0x80, v26
; %bb.358:
	s_xor_b32 s0, exec_lo, -1
; %bb.359:
	s_or_b32 exec_lo, exec_lo, s16
	s_delay_alu instid0(SALU_CYCLE_1)
	s_and_b32 s0, s0, exec_lo
	s_or_saveexec_b32 s15, s15
	v_mov_b32_e32 v27, 0x7f800001
	s_xor_b32 exec_lo, exec_lo, s15
	s_cbranch_execz .LBB288_56
.LBB288_360:
	v_cmp_ne_u16_e32 vcc_lo, 0, v26
	v_mov_b32_e32 v27, 0
	s_and_not1_b32 s0, s0, exec_lo
	s_and_b32 s16, vcc_lo, exec_lo
	s_delay_alu instid0(SALU_CYCLE_1)
	s_or_b32 s0, s0, s16
	s_or_b32 exec_lo, exec_lo, s15
	s_and_saveexec_b32 s15, s0
	s_cbranch_execnz .LBB288_57
	s_branch .LBB288_58
.LBB288_361:
	s_mov_b32 s0, -1
	s_mov_b32 s16, exec_lo
	v_cmpx_eq_u16_e32 0x80, v29
; %bb.362:
	s_xor_b32 s0, exec_lo, -1
; %bb.363:
	s_or_b32 exec_lo, exec_lo, s16
	s_delay_alu instid0(SALU_CYCLE_1)
	s_and_b32 s0, s0, exec_lo
                                        ; implicit-def: $vgpr29
	s_or_saveexec_b32 s15, s15
	v_mov_b32_e32 v28, 0x7f800001
	s_xor_b32 exec_lo, exec_lo, s15
	s_cbranch_execz .LBB288_60
.LBB288_364:
	v_cmp_ne_u16_e32 vcc_lo, 0, v29
	v_mov_b32_e32 v28, 0
	s_and_not1_b32 s0, s0, exec_lo
	s_and_b32 s16, vcc_lo, exec_lo
	s_delay_alu instid0(SALU_CYCLE_1)
	s_or_b32 s0, s0, s16
	s_or_b32 exec_lo, exec_lo, s15
	s_and_saveexec_b32 s15, s0
	s_cbranch_execnz .LBB288_61
	s_branch .LBB288_62
.LBB288_365:
	s_mov_b32 s0, -1
	s_mov_b32 s17, exec_lo
	v_cmpx_eq_u16_e32 0x80, v3
; %bb.366:
	s_xor_b32 s0, exec_lo, -1
; %bb.367:
	s_or_b32 exec_lo, exec_lo, s17
	s_delay_alu instid0(SALU_CYCLE_1)
	s_and_b32 s0, s0, exec_lo
	s_or_saveexec_b32 s16, s16
	v_mov_b32_e32 v7, 0x7f800001
	s_xor_b32 exec_lo, exec_lo, s16
	s_cbranch_execz .LBB288_66
.LBB288_368:
	v_cmp_ne_u16_e32 vcc_lo, 0, v3
	v_mov_b32_e32 v7, 0
	s_and_not1_b32 s0, s0, exec_lo
	s_and_b32 s17, vcc_lo, exec_lo
	s_delay_alu instid0(SALU_CYCLE_1)
	s_or_b32 s0, s0, s17
	s_or_b32 exec_lo, exec_lo, s16
	s_and_saveexec_b32 s16, s0
	s_cbranch_execnz .LBB288_67
	s_branch .LBB288_68
.LBB288_369:
	s_mov_b32 s0, -1
	s_mov_b32 s17, exec_lo
	v_cmpx_eq_u16_e32 0x80, v27
; %bb.370:
	s_xor_b32 s0, exec_lo, -1
; %bb.371:
	s_or_b32 exec_lo, exec_lo, s17
	s_delay_alu instid0(SALU_CYCLE_1)
	s_and_b32 s0, s0, exec_lo
                                        ; implicit-def: $vgpr27
	s_or_saveexec_b32 s16, s16
	v_mov_b32_e32 v26, 0x7f800001
	s_xor_b32 exec_lo, exec_lo, s16
	s_cbranch_execz .LBB288_70
.LBB288_372:
	v_cmp_ne_u16_e32 vcc_lo, 0, v27
	v_mov_b32_e32 v26, 0
	s_and_not1_b32 s0, s0, exec_lo
	s_and_b32 s17, vcc_lo, exec_lo
	s_delay_alu instid0(SALU_CYCLE_1)
	s_or_b32 s0, s0, s17
	s_or_b32 exec_lo, exec_lo, s16
	s_and_saveexec_b32 s16, s0
	s_cbranch_execnz .LBB288_71
	s_branch .LBB288_72
.LBB288_373:
	s_mov_b32 s0, -1
	s_mov_b32 s18, exec_lo
	v_cmpx_eq_u16_e32 0x80, v3
; %bb.374:
	s_xor_b32 s0, exec_lo, -1
; %bb.375:
	s_or_b32 exec_lo, exec_lo, s18
	s_delay_alu instid0(SALU_CYCLE_1)
	s_and_b32 s0, s0, exec_lo
	s_or_saveexec_b32 s17, s17
	v_mov_b32_e32 v7, 0x7f800001
	s_xor_b32 exec_lo, exec_lo, s17
	s_cbranch_execz .LBB288_76
.LBB288_376:
	v_cmp_ne_u16_e32 vcc_lo, 0, v3
	v_mov_b32_e32 v7, 0
	s_and_not1_b32 s0, s0, exec_lo
	s_and_b32 s18, vcc_lo, exec_lo
	s_delay_alu instid0(SALU_CYCLE_1)
	s_or_b32 s0, s0, s18
	s_or_b32 exec_lo, exec_lo, s17
	s_and_saveexec_b32 s17, s0
	s_cbranch_execnz .LBB288_77
	s_branch .LBB288_78
.LBB288_377:
	s_mov_b32 s0, -1
	s_mov_b32 s18, exec_lo
	v_cmpx_eq_u16_e32 0x80, v25
; %bb.378:
	s_xor_b32 s0, exec_lo, -1
; %bb.379:
	s_or_b32 exec_lo, exec_lo, s18
	s_delay_alu instid0(SALU_CYCLE_1)
	s_and_b32 s0, s0, exec_lo
                                        ; implicit-def: $vgpr25
	s_or_saveexec_b32 s17, s17
	v_mov_b32_e32 v24, 0x7f800001
	s_xor_b32 exec_lo, exec_lo, s17
	s_cbranch_execz .LBB288_80
.LBB288_380:
	v_cmp_ne_u16_e32 vcc_lo, 0, v25
	v_mov_b32_e32 v24, 0
	s_and_not1_b32 s0, s0, exec_lo
	s_and_b32 s18, vcc_lo, exec_lo
	s_delay_alu instid0(SALU_CYCLE_1)
	s_or_b32 s0, s0, s18
	s_or_b32 exec_lo, exec_lo, s17
	s_and_saveexec_b32 s17, s0
	s_cbranch_execnz .LBB288_81
	s_branch .LBB288_82
.LBB288_381:
	s_mov_b32 s18, -1
	s_mov_b32 s19, exec_lo
	v_cmpx_eq_u16_e32 0x80, v21
; %bb.382:
	s_xor_b32 s18, exec_lo, -1
; %bb.383:
	s_or_b32 exec_lo, exec_lo, s19
	s_delay_alu instid0(SALU_CYCLE_1)
	s_and_b32 s18, s18, exec_lo
	s_or_saveexec_b32 s0, s0
	v_mov_b32_e32 v3, 0x7f800001
	s_xor_b32 exec_lo, exec_lo, s0
	s_cbranch_execz .LBB288_86
.LBB288_384:
	v_cmp_ne_u16_e32 vcc_lo, 0, v21
	v_mov_b32_e32 v3, 0
	s_and_not1_b32 s18, s18, exec_lo
	s_and_b32 s19, vcc_lo, exec_lo
	s_delay_alu instid0(SALU_CYCLE_1)
	s_or_b32 s18, s18, s19
	s_or_b32 exec_lo, exec_lo, s0
	s_and_saveexec_b32 s0, s18
	s_cbranch_execnz .LBB288_87
	s_branch .LBB288_88
.LBB288_385:
	s_mov_b32 s0, -1
	s_mov_b32 s19, exec_lo
	v_cmpx_eq_u16_e32 0x80, v20
; %bb.386:
	s_xor_b32 s0, exec_lo, -1
; %bb.387:
	s_or_b32 exec_lo, exec_lo, s19
	s_delay_alu instid0(SALU_CYCLE_1)
	s_and_b32 s0, s0, exec_lo
	s_or_saveexec_b32 s18, s18
	v_mov_b32_e32 v7, 0x7f800001
	s_xor_b32 exec_lo, exec_lo, s18
	s_cbranch_execz .LBB288_90
.LBB288_388:
	v_cmp_ne_u16_e32 vcc_lo, 0, v20
	v_mov_b32_e32 v7, 0
	s_and_not1_b32 s0, s0, exec_lo
	s_and_b32 s19, vcc_lo, exec_lo
	s_delay_alu instid0(SALU_CYCLE_1)
	s_or_b32 s0, s0, s19
	s_or_b32 exec_lo, exec_lo, s18
	s_and_saveexec_b32 s18, s0
	s_cbranch_execnz .LBB288_91
	s_branch .LBB288_92
.LBB288_389:
	s_mov_b32 s0, -1
	s_mov_b32 s20, exec_lo
	v_cmpx_eq_u16_e32 0x80, v3
; %bb.390:
	s_xor_b32 s0, exec_lo, -1
; %bb.391:
	s_or_b32 exec_lo, exec_lo, s20
	s_delay_alu instid0(SALU_CYCLE_1)
	s_and_b32 s0, s0, exec_lo
	s_or_saveexec_b32 s19, s19
	v_mov_b32_e32 v7, 0x7f800001
	s_xor_b32 exec_lo, exec_lo, s19
	s_cbranch_execz .LBB288_96
.LBB288_392:
	v_cmp_ne_u16_e32 vcc_lo, 0, v3
	v_mov_b32_e32 v7, 0
	s_and_not1_b32 s0, s0, exec_lo
	s_and_b32 s20, vcc_lo, exec_lo
	s_delay_alu instid0(SALU_CYCLE_1)
	s_or_b32 s0, s0, s20
	s_or_b32 exec_lo, exec_lo, s19
	s_and_saveexec_b32 s19, s0
	s_cbranch_execnz .LBB288_97
	s_branch .LBB288_98
.LBB288_393:
	s_mov_b32 s0, -1
	s_mov_b32 s20, exec_lo
	v_cmpx_eq_u16_e32 0x80, v21
; %bb.394:
	s_xor_b32 s0, exec_lo, -1
; %bb.395:
	s_or_b32 exec_lo, exec_lo, s20
	s_delay_alu instid0(SALU_CYCLE_1)
	s_and_b32 s0, s0, exec_lo
                                        ; implicit-def: $vgpr21
	s_or_saveexec_b32 s19, s19
	v_mov_b32_e32 v20, 0x7f800001
	s_xor_b32 exec_lo, exec_lo, s19
	s_cbranch_execz .LBB288_100
.LBB288_396:
	v_cmp_ne_u16_e32 vcc_lo, 0, v21
	v_mov_b32_e32 v20, 0
	s_and_not1_b32 s0, s0, exec_lo
	s_and_b32 s20, vcc_lo, exec_lo
	s_delay_alu instid0(SALU_CYCLE_1)
	s_or_b32 s0, s0, s20
	s_or_b32 exec_lo, exec_lo, s19
	s_and_saveexec_b32 s19, s0
	s_cbranch_execnz .LBB288_101
	s_branch .LBB288_102
.LBB288_397:
	s_mov_b32 s0, -1
	s_mov_b32 s21, exec_lo
	v_cmpx_eq_u16_e32 0x80, v3
; %bb.398:
	s_xor_b32 s0, exec_lo, -1
; %bb.399:
	s_or_b32 exec_lo, exec_lo, s21
	s_delay_alu instid0(SALU_CYCLE_1)
	s_and_b32 s0, s0, exec_lo
	s_or_saveexec_b32 s20, s20
	v_mov_b32_e32 v4, 0x7f800001
	s_xor_b32 exec_lo, exec_lo, s20
	s_cbranch_execz .LBB288_106
.LBB288_400:
	v_cmp_ne_u16_e32 vcc_lo, 0, v3
	v_mov_b32_e32 v4, 0
	s_and_not1_b32 s0, s0, exec_lo
	s_and_b32 s21, vcc_lo, exec_lo
	s_delay_alu instid0(SALU_CYCLE_1)
	s_or_b32 s0, s0, s21
	s_or_b32 exec_lo, exec_lo, s20
	s_and_saveexec_b32 s20, s0
	s_cbranch_execnz .LBB288_107
	s_branch .LBB288_108
.LBB288_401:
	s_mov_b32 s0, -1
	s_mov_b32 s21, exec_lo
	v_cmpx_eq_u16_e32 0x80, v8
; %bb.402:
	s_xor_b32 s0, exec_lo, -1
; %bb.403:
	s_or_b32 exec_lo, exec_lo, s21
	s_delay_alu instid0(SALU_CYCLE_1)
	s_and_b32 s0, s0, exec_lo
                                        ; implicit-def: $vgpr8
	s_or_saveexec_b32 s20, s20
	v_mov_b32_e32 v7, 0x7f800001
	s_xor_b32 exec_lo, exec_lo, s20
	s_cbranch_execz .LBB288_110
.LBB288_404:
	v_cmp_ne_u16_e32 vcc_lo, 0, v8
	v_mov_b32_e32 v7, 0
	s_and_not1_b32 s0, s0, exec_lo
	s_and_b32 s21, vcc_lo, exec_lo
	s_delay_alu instid0(SALU_CYCLE_1)
	s_or_b32 s0, s0, s21
	s_or_b32 exec_lo, exec_lo, s20
	s_and_saveexec_b32 s20, s0
	s_cbranch_execnz .LBB288_111
	s_branch .LBB288_112
.LBB288_405:
	s_mov_b32 s0, -1
	s_mov_b32 s22, exec_lo
	v_cmpx_eq_u16_e32 0x80, v3
; %bb.406:
	s_xor_b32 s0, exec_lo, -1
; %bb.407:
	s_or_b32 exec_lo, exec_lo, s22
	s_delay_alu instid0(SALU_CYCLE_1)
	s_and_b32 s0, s0, exec_lo
	s_or_saveexec_b32 s21, s21
	v_mov_b32_e32 v4, 0x7f800001
	s_xor_b32 exec_lo, exec_lo, s21
	s_cbranch_execz .LBB288_116
.LBB288_408:
	v_cmp_ne_u16_e32 vcc_lo, 0, v3
	v_mov_b32_e32 v4, 0
	s_and_not1_b32 s0, s0, exec_lo
	s_and_b32 s22, vcc_lo, exec_lo
	s_delay_alu instid0(SALU_CYCLE_1)
	s_or_b32 s0, s0, s22
	s_or_b32 exec_lo, exec_lo, s21
	s_and_saveexec_b32 s21, s0
	s_cbranch_execnz .LBB288_117
	s_branch .LBB288_118
.LBB288_409:
	s_mov_b32 s0, -1
	s_mov_b32 s22, exec_lo
	v_cmpx_eq_u16_e32 0x80, v8
; %bb.410:
	s_xor_b32 s0, exec_lo, -1
; %bb.411:
	s_or_b32 exec_lo, exec_lo, s22
	s_delay_alu instid0(SALU_CYCLE_1)
	s_and_b32 s0, s0, exec_lo
                                        ; implicit-def: $vgpr8
	s_or_saveexec_b32 s21, s21
	v_mov_b32_e32 v7, 0x7f800001
	s_xor_b32 exec_lo, exec_lo, s21
	s_cbranch_execz .LBB288_120
.LBB288_412:
	v_cmp_ne_u16_e32 vcc_lo, 0, v8
	v_mov_b32_e32 v7, 0
	s_and_not1_b32 s0, s0, exec_lo
	s_and_b32 s22, vcc_lo, exec_lo
	s_delay_alu instid0(SALU_CYCLE_1)
	s_or_b32 s0, s0, s22
	s_or_b32 exec_lo, exec_lo, s21
	s_and_saveexec_b32 s21, s0
	s_cbranch_execnz .LBB288_121
	s_branch .LBB288_122
.LBB288_413:
	s_mov_b32 s22, -1
	s_mov_b32 s23, exec_lo
	v_cmpx_eq_u16_e32 0x80, v15
; %bb.414:
	s_xor_b32 s22, exec_lo, -1
; %bb.415:
	s_or_b32 exec_lo, exec_lo, s23
	s_delay_alu instid0(SALU_CYCLE_1)
	s_and_b32 s22, s22, exec_lo
	s_or_saveexec_b32 s0, s0
	v_mov_b32_e32 v3, 0x7f800001
	s_xor_b32 exec_lo, exec_lo, s0
	s_cbranch_execz .LBB288_126
.LBB288_416:
	v_cmp_ne_u16_e32 vcc_lo, 0, v15
	v_mov_b32_e32 v3, 0
	s_and_not1_b32 s22, s22, exec_lo
	s_and_b32 s23, vcc_lo, exec_lo
	s_delay_alu instid0(SALU_CYCLE_1)
	s_or_b32 s22, s22, s23
	s_or_b32 exec_lo, exec_lo, s0
	s_and_saveexec_b32 s0, s22
	s_cbranch_execnz .LBB288_127
	s_branch .LBB288_128
.LBB288_417:
	s_mov_b32 s0, -1
	s_mov_b32 s23, exec_lo
	v_cmpx_eq_u16_e32 0x80, v14
; %bb.418:
	s_xor_b32 s0, exec_lo, -1
; %bb.419:
	s_or_b32 exec_lo, exec_lo, s23
	s_delay_alu instid0(SALU_CYCLE_1)
	s_and_b32 s0, s0, exec_lo
	s_or_saveexec_b32 s22, s22
	v_mov_b32_e32 v4, 0x7f800001
	s_xor_b32 exec_lo, exec_lo, s22
	s_cbranch_execz .LBB288_130
.LBB288_420:
	v_cmp_ne_u16_e32 vcc_lo, 0, v14
	v_mov_b32_e32 v4, 0
	s_and_not1_b32 s0, s0, exec_lo
	s_and_b32 s23, vcc_lo, exec_lo
	s_delay_alu instid0(SALU_CYCLE_1)
	s_or_b32 s0, s0, s23
	s_or_b32 exec_lo, exec_lo, s22
	s_and_saveexec_b32 s22, s0
	s_cbranch_execnz .LBB288_131
	s_branch .LBB288_132
.LBB288_421:
	s_mov_b32 s0, -1
	s_mov_b32 s24, exec_lo
	v_cmpx_eq_u16_e32 0x80, v3
; %bb.422:
	s_xor_b32 s0, exec_lo, -1
; %bb.423:
	s_or_b32 exec_lo, exec_lo, s24
	s_delay_alu instid0(SALU_CYCLE_1)
	s_and_b32 s0, s0, exec_lo
	s_or_saveexec_b32 s23, s23
	v_mov_b32_e32 v4, 0x7f800001
	s_xor_b32 exec_lo, exec_lo, s23
	s_cbranch_execz .LBB288_136
.LBB288_424:
	v_cmp_ne_u16_e32 vcc_lo, 0, v3
	v_mov_b32_e32 v4, 0
	s_and_not1_b32 s0, s0, exec_lo
	s_and_b32 s24, vcc_lo, exec_lo
	s_delay_alu instid0(SALU_CYCLE_1)
	s_or_b32 s0, s0, s24
	s_or_b32 exec_lo, exec_lo, s23
	s_and_saveexec_b32 s23, s0
	s_cbranch_execnz .LBB288_137
	s_branch .LBB288_138
.LBB288_425:
	s_mov_b32 s0, -1
	s_mov_b32 s24, exec_lo
	v_cmpx_eq_u16_e32 0x80, v8
; %bb.426:
	s_xor_b32 s0, exec_lo, -1
; %bb.427:
	s_or_b32 exec_lo, exec_lo, s24
	s_delay_alu instid0(SALU_CYCLE_1)
	s_and_b32 s0, s0, exec_lo
                                        ; implicit-def: $vgpr8
	s_or_saveexec_b32 s23, s23
	v_mov_b32_e32 v7, 0x7f800001
	s_xor_b32 exec_lo, exec_lo, s23
	s_cbranch_execz .LBB288_140
.LBB288_428:
	v_cmp_ne_u16_e32 vcc_lo, 0, v8
	v_mov_b32_e32 v7, 0
	s_and_not1_b32 s0, s0, exec_lo
	s_and_b32 s24, vcc_lo, exec_lo
	s_delay_alu instid0(SALU_CYCLE_1)
	s_or_b32 s0, s0, s24
	s_or_b32 exec_lo, exec_lo, s23
	s_and_saveexec_b32 s23, s0
	s_cbranch_execnz .LBB288_141
	s_branch .LBB288_142
.LBB288_429:
	s_mov_b32 s0, -1
	s_mov_b32 s25, exec_lo
	v_cmpx_eq_u16_e32 0x80, v3
; %bb.430:
	s_xor_b32 s0, exec_lo, -1
; %bb.431:
	s_or_b32 exec_lo, exec_lo, s25
	s_delay_alu instid0(SALU_CYCLE_1)
	s_and_b32 s0, s0, exec_lo
	s_or_saveexec_b32 s24, s24
	v_mov_b32_e32 v4, 0x7f800001
	s_xor_b32 exec_lo, exec_lo, s24
	s_cbranch_execz .LBB288_146
.LBB288_432:
	v_cmp_ne_u16_e32 vcc_lo, 0, v3
	v_mov_b32_e32 v4, 0
	s_and_not1_b32 s0, s0, exec_lo
	s_and_b32 s25, vcc_lo, exec_lo
	s_delay_alu instid0(SALU_CYCLE_1)
	s_or_b32 s0, s0, s25
	s_or_b32 exec_lo, exec_lo, s24
	s_and_saveexec_b32 s24, s0
	s_cbranch_execnz .LBB288_147
	s_branch .LBB288_148
.LBB288_433:
	s_mov_b32 s0, -1
	s_mov_b32 s25, exec_lo
	v_cmpx_eq_u16_e32 0x80, v7
; %bb.434:
	s_xor_b32 s0, exec_lo, -1
; %bb.435:
	s_or_b32 exec_lo, exec_lo, s25
	s_delay_alu instid0(SALU_CYCLE_1)
	s_and_b32 s0, s0, exec_lo
                                        ; implicit-def: $vgpr7
	s_or_saveexec_b32 s24, s24
	v_mov_b32_e32 v5, 0x7f800001
	s_xor_b32 exec_lo, exec_lo, s24
	s_cbranch_execz .LBB288_150
.LBB288_436:
	v_cmp_ne_u16_e32 vcc_lo, 0, v7
	v_mov_b32_e32 v5, 0
	s_and_not1_b32 s0, s0, exec_lo
	s_and_b32 s25, vcc_lo, exec_lo
	s_delay_alu instid0(SALU_CYCLE_1)
	s_or_b32 s0, s0, s25
	s_or_b32 exec_lo, exec_lo, s24
	s_and_saveexec_b32 s24, s0
	s_cbranch_execnz .LBB288_151
	s_branch .LBB288_152
.LBB288_437:
	s_mov_b32 s0, -1
	s_mov_b32 s26, exec_lo
	v_cmpx_eq_u16_e32 0x80, v3
; %bb.438:
	s_xor_b32 s0, exec_lo, -1
; %bb.439:
	s_or_b32 exec_lo, exec_lo, s26
	s_delay_alu instid0(SALU_CYCLE_1)
	s_and_b32 s0, s0, exec_lo
	s_or_saveexec_b32 s25, s25
	v_mov_b32_e32 v4, 0x7f800001
	s_xor_b32 exec_lo, exec_lo, s25
	s_cbranch_execz .LBB288_156
.LBB288_440:
	v_cmp_ne_u16_e32 vcc_lo, 0, v3
	v_mov_b32_e32 v4, 0
	s_and_not1_b32 s0, s0, exec_lo
	s_and_b32 s26, vcc_lo, exec_lo
	s_delay_alu instid0(SALU_CYCLE_1)
	s_or_b32 s0, s0, s26
	s_or_b32 exec_lo, exec_lo, s25
	s_and_saveexec_b32 s25, s0
	s_cbranch_execnz .LBB288_157
	s_branch .LBB288_158
.LBB288_441:
	s_mov_b32 s0, -1
	s_mov_b32 s26, exec_lo
	v_cmpx_eq_u16_e32 0x80, v7
; %bb.442:
	s_xor_b32 s0, exec_lo, -1
; %bb.443:
	s_or_b32 exec_lo, exec_lo, s26
	s_delay_alu instid0(SALU_CYCLE_1)
	s_and_b32 s0, s0, exec_lo
                                        ; implicit-def: $vgpr7
	s_or_saveexec_b32 s25, s25
	v_mov_b32_e32 v5, 0x7f800001
	s_xor_b32 exec_lo, exec_lo, s25
	s_cbranch_execz .LBB288_160
.LBB288_444:
	v_cmp_ne_u16_e32 vcc_lo, 0, v7
	v_mov_b32_e32 v5, 0
	s_and_not1_b32 s0, s0, exec_lo
	s_and_b32 s26, vcc_lo, exec_lo
	s_delay_alu instid0(SALU_CYCLE_1)
	s_or_b32 s0, s0, s26
	s_or_b32 exec_lo, exec_lo, s25
	s_and_saveexec_b32 s25, s0
	s_cbranch_execnz .LBB288_161
	s_branch .LBB288_162
.LBB288_445:
	s_mov_b32 s26, -1
	s_mov_b32 s27, exec_lo
	v_cmpx_eq_u16_e32 0x80, v10
; %bb.446:
	s_xor_b32 s26, exec_lo, -1
; %bb.447:
	s_or_b32 exec_lo, exec_lo, s27
	s_delay_alu instid0(SALU_CYCLE_1)
	s_and_b32 s26, s26, exec_lo
	s_or_saveexec_b32 s0, s0
	v_mov_b32_e32 v2, 0x7f800001
	s_xor_b32 exec_lo, exec_lo, s0
	s_cbranch_execz .LBB288_166
.LBB288_448:
	v_cmp_ne_u16_e32 vcc_lo, 0, v10
	v_mov_b32_e32 v2, 0
	s_and_not1_b32 s26, s26, exec_lo
	s_and_b32 s27, vcc_lo, exec_lo
	s_delay_alu instid0(SALU_CYCLE_1)
	s_or_b32 s26, s26, s27
	s_or_b32 exec_lo, exec_lo, s0
	s_and_saveexec_b32 s0, s26
	s_cbranch_execnz .LBB288_167
	s_branch .LBB288_168
.LBB288_449:
	s_mov_b32 s0, -1
	s_mov_b32 s27, exec_lo
	v_cmpx_eq_u16_e32 0x80, v1
; %bb.450:
	s_xor_b32 s0, exec_lo, -1
; %bb.451:
	s_or_b32 exec_lo, exec_lo, s27
	s_delay_alu instid0(SALU_CYCLE_1)
	s_and_b32 s0, s0, exec_lo
	s_or_saveexec_b32 s26, s26
	v_mov_b32_e32 v3, 0x7f800001
	s_xor_b32 exec_lo, exec_lo, s26
	s_cbranch_execz .LBB288_170
.LBB288_452:
	v_cmp_ne_u16_e32 vcc_lo, 0, v1
	v_mov_b32_e32 v3, 0
	s_and_not1_b32 s0, s0, exec_lo
	s_and_b32 s27, vcc_lo, exec_lo
	s_delay_alu instid0(SALU_CYCLE_1)
	s_or_b32 s0, s0, s27
	s_or_b32 exec_lo, exec_lo, s26
	s_and_saveexec_b32 s26, s0
	s_cbranch_execnz .LBB288_171
	s_branch .LBB288_172
.LBB288_453:
	s_mov_b32 s8, -1
	s_mov_b32 s13, exec_lo
	v_cmpx_eq_u16_e32 0x80, v1
; %bb.454:
	s_xor_b32 s8, exec_lo, -1
; %bb.455:
	s_or_b32 exec_lo, exec_lo, s13
	s_delay_alu instid0(SALU_CYCLE_1)
	s_and_b32 s8, s8, exec_lo
                                        ; implicit-def: $vgpr1
	s_or_saveexec_b32 s12, s12
	v_mov_b32_e32 v10, 0x7f800001
	s_xor_b32 exec_lo, exec_lo, s12
	s_cbranch_execz .LBB288_16
.LBB288_456:
	v_cmp_ne_u16_e32 vcc_lo, 0, v1
	v_mov_b32_e32 v10, 0
	s_and_not1_b32 s8, s8, exec_lo
	s_and_b32 s13, vcc_lo, exec_lo
	s_delay_alu instid0(SALU_CYCLE_1)
	s_or_b32 s8, s8, s13
	s_or_b32 exec_lo, exec_lo, s12
	s_and_saveexec_b32 s12, s8
	s_cbranch_execnz .LBB288_17
	s_branch .LBB288_18
.LBB288_457:
	s_mov_b32 s8, -1
	s_mov_b32 s13, exec_lo
	v_cmpx_eq_u16_e32 0x80, v11
; %bb.458:
	s_xor_b32 s8, exec_lo, -1
; %bb.459:
	s_or_b32 exec_lo, exec_lo, s13
	s_delay_alu instid0(SALU_CYCLE_1)
	s_and_b32 s8, s8, exec_lo
                                        ; implicit-def: $vgpr11
	s_or_saveexec_b32 s12, s12
	v_mov_b32_e32 v1, 0x7f800001
	s_xor_b32 exec_lo, exec_lo, s12
	s_cbranch_execz .LBB288_20
.LBB288_460:
	v_cmp_ne_u16_e32 vcc_lo, 0, v11
	v_mov_b32_e32 v1, 0
	s_and_not1_b32 s8, s8, exec_lo
	s_and_b32 s13, vcc_lo, exec_lo
	s_delay_alu instid0(SALU_CYCLE_1)
	s_or_b32 s8, s8, s13
	s_or_b32 exec_lo, exec_lo, s12
	s_and_saveexec_b32 s12, s8
	s_cbranch_execnz .LBB288_21
	s_branch .LBB288_22
.LBB288_461:
	s_mov_b32 s0, -1
	s_mov_b32 s13, exec_lo
	v_cmpx_eq_u16_e32 0x80, v32
; %bb.462:
	s_xor_b32 s0, exec_lo, -1
; %bb.463:
	s_or_b32 exec_lo, exec_lo, s13
	s_delay_alu instid0(SALU_CYCLE_1)
	s_and_b32 s0, s0, exec_lo
                                        ; implicit-def: $vgpr32
	s_or_saveexec_b32 s12, s12
	v_mov_b32_e32 v33, 0x7f800001
	s_xor_b32 exec_lo, exec_lo, s12
	s_cbranch_execz .LBB288_176
.LBB288_464:
	v_cmp_ne_u16_e32 vcc_lo, 0, v32
	v_mov_b32_e32 v33, 0
	s_and_not1_b32 s0, s0, exec_lo
	s_and_b32 s13, vcc_lo, exec_lo
	s_delay_alu instid0(SALU_CYCLE_1)
	s_or_b32 s0, s0, s13
	s_or_b32 exec_lo, exec_lo, s12
	s_and_saveexec_b32 s12, s0
	s_cbranch_execnz .LBB288_177
	s_branch .LBB288_178
.LBB288_465:
	s_mov_b32 s0, -1
	s_mov_b32 s13, exec_lo
	v_cmpx_eq_u16_e32 0x80, v32
; %bb.466:
	s_xor_b32 s0, exec_lo, -1
; %bb.467:
	s_or_b32 exec_lo, exec_lo, s13
	s_delay_alu instid0(SALU_CYCLE_1)
	s_and_b32 s0, s0, exec_lo
                                        ; implicit-def: $vgpr32
	s_or_saveexec_b32 s12, s12
	v_mov_b32_e32 v31, 0x7f800001
	s_xor_b32 exec_lo, exec_lo, s12
	s_cbranch_execz .LBB288_180
.LBB288_468:
	v_cmp_ne_u16_e32 vcc_lo, 0, v32
	v_mov_b32_e32 v31, 0
	s_and_not1_b32 s0, s0, exec_lo
	s_and_b32 s13, vcc_lo, exec_lo
	s_delay_alu instid0(SALU_CYCLE_1)
	s_or_b32 s0, s0, s13
	s_or_b32 exec_lo, exec_lo, s12
	s_and_saveexec_b32 s12, s0
	s_cbranch_execnz .LBB288_181
	s_branch .LBB288_182
.LBB288_469:
	s_mov_b32 s0, -1
	s_mov_b32 s14, exec_lo
	v_cmpx_eq_u16_e32 0x80, v30
; %bb.470:
	s_xor_b32 s0, exec_lo, -1
; %bb.471:
	s_or_b32 exec_lo, exec_lo, s14
	s_delay_alu instid0(SALU_CYCLE_1)
	s_and_b32 s0, s0, exec_lo
                                        ; implicit-def: $vgpr30
	s_or_saveexec_b32 s13, s13
	v_mov_b32_e32 v31, 0x7f800001
	s_xor_b32 exec_lo, exec_lo, s13
	s_cbranch_execz .LBB288_186
.LBB288_472:
	v_cmp_ne_u16_e32 vcc_lo, 0, v30
	v_mov_b32_e32 v31, 0
	s_and_not1_b32 s0, s0, exec_lo
	s_and_b32 s14, vcc_lo, exec_lo
	s_delay_alu instid0(SALU_CYCLE_1)
	s_or_b32 s0, s0, s14
	s_or_b32 exec_lo, exec_lo, s13
	s_and_saveexec_b32 s13, s0
	s_cbranch_execnz .LBB288_187
	s_branch .LBB288_188
.LBB288_473:
	s_mov_b32 s0, -1
	s_mov_b32 s14, exec_lo
	v_cmpx_eq_u16_e32 0x80, v30
; %bb.474:
	s_xor_b32 s0, exec_lo, -1
; %bb.475:
	s_or_b32 exec_lo, exec_lo, s14
	s_delay_alu instid0(SALU_CYCLE_1)
	s_and_b32 s0, s0, exec_lo
                                        ; implicit-def: $vgpr30
	s_or_saveexec_b32 s13, s13
	v_mov_b32_e32 v29, 0x7f800001
	s_xor_b32 exec_lo, exec_lo, s13
	s_cbranch_execz .LBB288_190
.LBB288_476:
	v_cmp_ne_u16_e32 vcc_lo, 0, v30
	v_mov_b32_e32 v29, 0
	s_and_not1_b32 s0, s0, exec_lo
	s_and_b32 s14, vcc_lo, exec_lo
	s_delay_alu instid0(SALU_CYCLE_1)
	s_or_b32 s0, s0, s14
	s_or_b32 exec_lo, exec_lo, s13
	s_and_saveexec_b32 s13, s0
	s_cbranch_execnz .LBB288_191
	s_branch .LBB288_192
.LBB288_477:
	s_mov_b32 s0, -1
	s_mov_b32 s15, exec_lo
	v_cmpx_eq_u16_e32 0x80, v27
; %bb.478:
	s_xor_b32 s0, exec_lo, -1
; %bb.479:
	s_or_b32 exec_lo, exec_lo, s15
	s_delay_alu instid0(SALU_CYCLE_1)
	s_and_b32 s0, s0, exec_lo
	s_or_saveexec_b32 s14, s14
	v_mov_b32_e32 v28, 0x7f800001
	s_xor_b32 exec_lo, exec_lo, s14
	s_cbranch_execz .LBB288_196
.LBB288_480:
	v_cmp_ne_u16_e32 vcc_lo, 0, v27
	v_mov_b32_e32 v28, 0
	s_and_not1_b32 s0, s0, exec_lo
	s_and_b32 s15, vcc_lo, exec_lo
	s_delay_alu instid0(SALU_CYCLE_1)
	s_or_b32 s0, s0, s15
	s_or_b32 exec_lo, exec_lo, s14
	s_and_saveexec_b32 s14, s0
	s_cbranch_execnz .LBB288_197
	s_branch .LBB288_198
.LBB288_481:
	s_mov_b32 s0, -1
	s_mov_b32 s15, exec_lo
	v_cmpx_eq_u16_e32 0x80, v26
; %bb.482:
	s_xor_b32 s0, exec_lo, -1
; %bb.483:
	s_or_b32 exec_lo, exec_lo, s15
	s_delay_alu instid0(SALU_CYCLE_1)
	s_and_b32 s0, s0, exec_lo
	s_or_saveexec_b32 s14, s14
	v_mov_b32_e32 v27, 0x7f800001
	s_xor_b32 exec_lo, exec_lo, s14
	s_cbranch_execz .LBB288_200
.LBB288_484:
	v_cmp_ne_u16_e32 vcc_lo, 0, v26
	v_mov_b32_e32 v27, 0
	s_and_not1_b32 s0, s0, exec_lo
	s_and_b32 s15, vcc_lo, exec_lo
	s_delay_alu instid0(SALU_CYCLE_1)
	s_or_b32 s0, s0, s15
	s_or_b32 exec_lo, exec_lo, s14
	s_and_saveexec_b32 s14, s0
	s_cbranch_execnz .LBB288_201
	s_branch .LBB288_202
.LBB288_485:
	s_mov_b32 s0, -1
	s_mov_b32 s16, exec_lo
	v_cmpx_eq_u16_e32 0x80, v26
; %bb.486:
	s_xor_b32 s0, exec_lo, -1
; %bb.487:
	s_or_b32 exec_lo, exec_lo, s16
	s_delay_alu instid0(SALU_CYCLE_1)
	s_and_b32 s0, s0, exec_lo
                                        ; implicit-def: $vgpr26
	s_or_saveexec_b32 s15, s15
	v_mov_b32_e32 v27, 0x7f800001
	s_xor_b32 exec_lo, exec_lo, s15
	s_cbranch_execz .LBB288_206
.LBB288_488:
	v_cmp_ne_u16_e32 vcc_lo, 0, v26
	v_mov_b32_e32 v27, 0
	s_and_not1_b32 s0, s0, exec_lo
	s_and_b32 s16, vcc_lo, exec_lo
	s_delay_alu instid0(SALU_CYCLE_1)
	s_or_b32 s0, s0, s16
	s_or_b32 exec_lo, exec_lo, s15
	s_and_saveexec_b32 s15, s0
	s_cbranch_execnz .LBB288_207
	s_branch .LBB288_208
.LBB288_489:
	s_mov_b32 s0, -1
	s_mov_b32 s16, exec_lo
	v_cmpx_eq_u16_e32 0x80, v26
; %bb.490:
	s_xor_b32 s0, exec_lo, -1
; %bb.491:
	s_or_b32 exec_lo, exec_lo, s16
	s_delay_alu instid0(SALU_CYCLE_1)
	s_and_b32 s0, s0, exec_lo
                                        ; implicit-def: $vgpr26
	s_or_saveexec_b32 s15, s15
	v_mov_b32_e32 v7, 0x7f800001
	s_xor_b32 exec_lo, exec_lo, s15
	s_cbranch_execz .LBB288_210
.LBB288_492:
	v_cmp_ne_u16_e32 vcc_lo, 0, v26
	v_mov_b32_e32 v7, 0
	s_and_not1_b32 s0, s0, exec_lo
	s_and_b32 s16, vcc_lo, exec_lo
	s_delay_alu instid0(SALU_CYCLE_1)
	s_or_b32 s0, s0, s16
	s_or_b32 exec_lo, exec_lo, s15
	s_and_saveexec_b32 s15, s0
	s_cbranch_execnz .LBB288_211
	s_branch .LBB288_212
.LBB288_493:
	s_mov_b32 s0, -1
	s_mov_b32 s17, exec_lo
	v_cmpx_eq_u16_e32 0x80, v3
; %bb.494:
	s_xor_b32 s0, exec_lo, -1
; %bb.495:
	s_or_b32 exec_lo, exec_lo, s17
	s_delay_alu instid0(SALU_CYCLE_1)
	s_and_b32 s0, s0, exec_lo
                                        ; implicit-def: $vgpr3
	s_or_saveexec_b32 s16, s16
	v_mov_b32_e32 v7, 0x7f800001
	s_xor_b32 exec_lo, exec_lo, s16
	s_cbranch_execz .LBB288_216
.LBB288_496:
	v_cmp_ne_u16_e32 vcc_lo, 0, v3
	v_mov_b32_e32 v7, 0
	s_and_not1_b32 s0, s0, exec_lo
	s_and_b32 s17, vcc_lo, exec_lo
	s_delay_alu instid0(SALU_CYCLE_1)
	s_or_b32 s0, s0, s17
	s_or_b32 exec_lo, exec_lo, s16
	s_and_saveexec_b32 s16, s0
	s_cbranch_execnz .LBB288_217
	s_branch .LBB288_218
.LBB288_497:
	s_mov_b32 s0, -1
	s_mov_b32 s17, exec_lo
	v_cmpx_eq_u16_e32 0x80, v25
; %bb.498:
	s_xor_b32 s0, exec_lo, -1
; %bb.499:
	s_or_b32 exec_lo, exec_lo, s17
	s_delay_alu instid0(SALU_CYCLE_1)
	s_and_b32 s0, s0, exec_lo
                                        ; implicit-def: $vgpr25
	s_or_saveexec_b32 s16, s16
	v_mov_b32_e32 v3, 0x7f800001
	s_xor_b32 exec_lo, exec_lo, s16
	s_cbranch_execz .LBB288_220
.LBB288_500:
	v_cmp_ne_u16_e32 vcc_lo, 0, v25
	v_mov_b32_e32 v3, 0
	s_and_not1_b32 s0, s0, exec_lo
	s_and_b32 s17, vcc_lo, exec_lo
	s_delay_alu instid0(SALU_CYCLE_1)
	s_or_b32 s0, s0, s17
	s_or_b32 exec_lo, exec_lo, s16
	s_and_saveexec_b32 s16, s0
	s_cbranch_execnz .LBB288_221
	s_branch .LBB288_222
.LBB288_501:
	s_mov_b32 s0, -1
	s_mov_b32 s18, exec_lo
	v_cmpx_eq_u16_e32 0x80, v3
; %bb.502:
	s_xor_b32 s0, exec_lo, -1
; %bb.503:
	s_or_b32 exec_lo, exec_lo, s18
	s_delay_alu instid0(SALU_CYCLE_1)
	s_and_b32 s0, s0, exec_lo
                                        ; implicit-def: $vgpr3
	s_or_saveexec_b32 s17, s17
	v_mov_b32_e32 v7, 0x7f800001
	s_xor_b32 exec_lo, exec_lo, s17
	s_cbranch_execz .LBB288_226
.LBB288_504:
	v_cmp_ne_u16_e32 vcc_lo, 0, v3
	v_mov_b32_e32 v7, 0
	s_and_not1_b32 s0, s0, exec_lo
	s_and_b32 s18, vcc_lo, exec_lo
	s_delay_alu instid0(SALU_CYCLE_1)
	s_or_b32 s0, s0, s18
	s_or_b32 exec_lo, exec_lo, s17
	s_and_saveexec_b32 s17, s0
	s_cbranch_execnz .LBB288_227
	s_branch .LBB288_228
.LBB288_505:
	s_mov_b32 s0, -1
	s_mov_b32 s18, exec_lo
	v_cmpx_eq_u16_e32 0x80, v23
; %bb.506:
	s_xor_b32 s0, exec_lo, -1
; %bb.507:
	s_or_b32 exec_lo, exec_lo, s18
	s_delay_alu instid0(SALU_CYCLE_1)
	s_and_b32 s0, s0, exec_lo
                                        ; implicit-def: $vgpr23
	s_or_saveexec_b32 s17, s17
	v_mov_b32_e32 v3, 0x7f800001
	s_xor_b32 exec_lo, exec_lo, s17
	s_cbranch_execz .LBB288_230
.LBB288_508:
	v_cmp_ne_u16_e32 vcc_lo, 0, v23
	v_mov_b32_e32 v3, 0
	s_and_not1_b32 s0, s0, exec_lo
	s_and_b32 s18, vcc_lo, exec_lo
	s_delay_alu instid0(SALU_CYCLE_1)
	s_or_b32 s0, s0, s18
	s_or_b32 exec_lo, exec_lo, s17
	s_and_saveexec_b32 s17, s0
	s_cbranch_execnz .LBB288_231
	s_branch .LBB288_232
.LBB288_509:
	s_mov_b32 s0, -1
	s_mov_b32 s19, exec_lo
	v_cmpx_eq_u16_e32 0x80, v21
; %bb.510:
	s_xor_b32 s0, exec_lo, -1
; %bb.511:
	s_or_b32 exec_lo, exec_lo, s19
	s_delay_alu instid0(SALU_CYCLE_1)
	s_and_b32 s0, s0, exec_lo
	s_or_saveexec_b32 s18, s18
	v_mov_b32_e32 v3, 0x7f800001
	s_xor_b32 exec_lo, exec_lo, s18
	s_cbranch_execz .LBB288_236
.LBB288_512:
	v_cmp_ne_u16_e32 vcc_lo, 0, v21
	v_mov_b32_e32 v3, 0
	s_and_not1_b32 s0, s0, exec_lo
	s_and_b32 s19, vcc_lo, exec_lo
	s_delay_alu instid0(SALU_CYCLE_1)
	s_or_b32 s0, s0, s19
	s_or_b32 exec_lo, exec_lo, s18
	s_and_saveexec_b32 s18, s0
	s_cbranch_execnz .LBB288_237
	s_branch .LBB288_238
.LBB288_513:
	s_mov_b32 s0, -1
	s_mov_b32 s19, exec_lo
	v_cmpx_eq_u16_e32 0x80, v20
; %bb.514:
	s_xor_b32 s0, exec_lo, -1
; %bb.515:
	s_or_b32 exec_lo, exec_lo, s19
	s_delay_alu instid0(SALU_CYCLE_1)
	s_and_b32 s0, s0, exec_lo
	s_or_saveexec_b32 s18, s18
	v_mov_b32_e32 v7, 0x7f800001
	s_xor_b32 exec_lo, exec_lo, s18
	s_cbranch_execz .LBB288_240
.LBB288_516:
	v_cmp_ne_u16_e32 vcc_lo, 0, v20
	v_mov_b32_e32 v7, 0
	s_and_not1_b32 s0, s0, exec_lo
	s_and_b32 s19, vcc_lo, exec_lo
	s_delay_alu instid0(SALU_CYCLE_1)
	s_or_b32 s0, s0, s19
	s_or_b32 exec_lo, exec_lo, s18
	s_and_saveexec_b32 s18, s0
	s_cbranch_execnz .LBB288_241
	s_branch .LBB288_242
.LBB288_517:
	s_mov_b32 s0, -1
	s_mov_b32 s20, exec_lo
	v_cmpx_eq_u16_e32 0x80, v3
; %bb.518:
	s_xor_b32 s0, exec_lo, -1
; %bb.519:
	s_or_b32 exec_lo, exec_lo, s20
	s_delay_alu instid0(SALU_CYCLE_1)
	s_and_b32 s0, s0, exec_lo
                                        ; implicit-def: $vgpr3
	s_or_saveexec_b32 s19, s19
	v_mov_b32_e32 v7, 0x7f800001
	s_xor_b32 exec_lo, exec_lo, s19
	s_cbranch_execz .LBB288_246
.LBB288_520:
	v_cmp_ne_u16_e32 vcc_lo, 0, v3
	v_mov_b32_e32 v7, 0
	s_and_not1_b32 s0, s0, exec_lo
	s_and_b32 s20, vcc_lo, exec_lo
	s_delay_alu instid0(SALU_CYCLE_1)
	s_or_b32 s0, s0, s20
	s_or_b32 exec_lo, exec_lo, s19
	s_and_saveexec_b32 s19, s0
	s_cbranch_execnz .LBB288_247
	s_branch .LBB288_248
.LBB288_521:
	s_mov_b32 s0, -1
	s_mov_b32 s20, exec_lo
	v_cmpx_eq_u16_e32 0x80, v8
; %bb.522:
	s_xor_b32 s0, exec_lo, -1
; %bb.523:
	s_or_b32 exec_lo, exec_lo, s20
	s_delay_alu instid0(SALU_CYCLE_1)
	s_and_b32 s0, s0, exec_lo
                                        ; implicit-def: $vgpr8
	s_or_saveexec_b32 s19, s19
	v_mov_b32_e32 v3, 0x7f800001
	s_xor_b32 exec_lo, exec_lo, s19
	s_cbranch_execz .LBB288_250
.LBB288_524:
	v_cmp_ne_u16_e32 vcc_lo, 0, v8
	v_mov_b32_e32 v3, 0
	s_and_not1_b32 s0, s0, exec_lo
	s_and_b32 s20, vcc_lo, exec_lo
	s_delay_alu instid0(SALU_CYCLE_1)
	s_or_b32 s0, s0, s20
	s_or_b32 exec_lo, exec_lo, s19
	s_and_saveexec_b32 s19, s0
	s_cbranch_execnz .LBB288_251
	s_branch .LBB288_252
.LBB288_525:
	s_mov_b32 s0, -1
	s_mov_b32 s21, exec_lo
	v_cmpx_eq_u16_e32 0x80, v3
; %bb.526:
	s_xor_b32 s0, exec_lo, -1
; %bb.527:
	s_or_b32 exec_lo, exec_lo, s21
	s_delay_alu instid0(SALU_CYCLE_1)
	s_and_b32 s0, s0, exec_lo
                                        ; implicit-def: $vgpr3
	s_or_saveexec_b32 s20, s20
	v_mov_b32_e32 v4, 0x7f800001
	s_xor_b32 exec_lo, exec_lo, s20
	s_cbranch_execz .LBB288_256
.LBB288_528:
	v_cmp_ne_u16_e32 vcc_lo, 0, v3
	v_mov_b32_e32 v4, 0
	s_and_not1_b32 s0, s0, exec_lo
	s_and_b32 s21, vcc_lo, exec_lo
	s_delay_alu instid0(SALU_CYCLE_1)
	s_or_b32 s0, s0, s21
	s_or_b32 exec_lo, exec_lo, s20
	s_and_saveexec_b32 s20, s0
	s_cbranch_execnz .LBB288_257
	s_branch .LBB288_258
.LBB288_529:
	s_mov_b32 s0, -1
	s_mov_b32 s21, exec_lo
	v_cmpx_eq_u16_e32 0x80, v7
; %bb.530:
	s_xor_b32 s0, exec_lo, -1
; %bb.531:
	s_or_b32 exec_lo, exec_lo, s21
	s_delay_alu instid0(SALU_CYCLE_1)
	s_and_b32 s0, s0, exec_lo
                                        ; implicit-def: $vgpr7
	s_or_saveexec_b32 s20, s20
	v_mov_b32_e32 v3, 0x7f800001
	s_xor_b32 exec_lo, exec_lo, s20
	s_cbranch_execz .LBB288_260
.LBB288_532:
	v_cmp_ne_u16_e32 vcc_lo, 0, v7
	v_mov_b32_e32 v3, 0
	s_and_not1_b32 s0, s0, exec_lo
	s_and_b32 s21, vcc_lo, exec_lo
	s_delay_alu instid0(SALU_CYCLE_1)
	s_or_b32 s0, s0, s21
	s_or_b32 exec_lo, exec_lo, s20
	s_and_saveexec_b32 s20, s0
	s_cbranch_execnz .LBB288_261
	s_branch .LBB288_262
.LBB288_533:
	s_mov_b32 s0, -1
	s_mov_b32 s22, exec_lo
	v_cmpx_eq_u16_e32 0x80, v3
; %bb.534:
	s_xor_b32 s0, exec_lo, -1
; %bb.535:
	s_or_b32 exec_lo, exec_lo, s22
	s_delay_alu instid0(SALU_CYCLE_1)
	s_and_b32 s0, s0, exec_lo
                                        ; implicit-def: $vgpr3
	s_or_saveexec_b32 s21, s21
	v_mov_b32_e32 v4, 0x7f800001
	s_xor_b32 exec_lo, exec_lo, s21
	s_cbranch_execz .LBB288_266
.LBB288_536:
	v_cmp_ne_u16_e32 vcc_lo, 0, v3
	v_mov_b32_e32 v4, 0
	s_and_not1_b32 s0, s0, exec_lo
	s_and_b32 s22, vcc_lo, exec_lo
	s_delay_alu instid0(SALU_CYCLE_1)
	s_or_b32 s0, s0, s22
	s_or_b32 exec_lo, exec_lo, s21
	s_and_saveexec_b32 s21, s0
	s_cbranch_execnz .LBB288_267
	s_branch .LBB288_268
.LBB288_537:
	s_mov_b32 s0, -1
	s_mov_b32 s22, exec_lo
	v_cmpx_eq_u16_e32 0x80, v7
; %bb.538:
	s_xor_b32 s0, exec_lo, -1
; %bb.539:
	s_or_b32 exec_lo, exec_lo, s22
	s_delay_alu instid0(SALU_CYCLE_1)
	s_and_b32 s0, s0, exec_lo
                                        ; implicit-def: $vgpr7
	s_or_saveexec_b32 s21, s21
	v_mov_b32_e32 v3, 0x7f800001
	s_xor_b32 exec_lo, exec_lo, s21
	s_cbranch_execz .LBB288_270
.LBB288_540:
	v_cmp_ne_u16_e32 vcc_lo, 0, v7
	v_mov_b32_e32 v3, 0
	s_and_not1_b32 s0, s0, exec_lo
	s_and_b32 s22, vcc_lo, exec_lo
	s_delay_alu instid0(SALU_CYCLE_1)
	s_or_b32 s0, s0, s22
	s_or_b32 exec_lo, exec_lo, s21
	s_and_saveexec_b32 s21, s0
	s_cbranch_execnz .LBB288_271
	s_branch .LBB288_272
.LBB288_541:
	s_mov_b32 s0, -1
	s_mov_b32 s23, exec_lo
	v_cmpx_eq_u16_e32 0x80, v15
; %bb.542:
	s_xor_b32 s0, exec_lo, -1
; %bb.543:
	s_or_b32 exec_lo, exec_lo, s23
	s_delay_alu instid0(SALU_CYCLE_1)
	s_and_b32 s0, s0, exec_lo
	s_or_saveexec_b32 s22, s22
	v_mov_b32_e32 v3, 0x7f800001
	s_xor_b32 exec_lo, exec_lo, s22
	s_cbranch_execz .LBB288_276
.LBB288_544:
	v_cmp_ne_u16_e32 vcc_lo, 0, v15
	v_mov_b32_e32 v3, 0
	s_and_not1_b32 s0, s0, exec_lo
	s_and_b32 s23, vcc_lo, exec_lo
	s_delay_alu instid0(SALU_CYCLE_1)
	s_or_b32 s0, s0, s23
	s_or_b32 exec_lo, exec_lo, s22
	s_and_saveexec_b32 s22, s0
	s_cbranch_execnz .LBB288_277
	s_branch .LBB288_278
.LBB288_545:
	s_mov_b32 s0, -1
	s_mov_b32 s23, exec_lo
	v_cmpx_eq_u16_e32 0x80, v14
; %bb.546:
	s_xor_b32 s0, exec_lo, -1
; %bb.547:
	s_or_b32 exec_lo, exec_lo, s23
	s_delay_alu instid0(SALU_CYCLE_1)
	s_and_b32 s0, s0, exec_lo
	s_or_saveexec_b32 s22, s22
	v_mov_b32_e32 v4, 0x7f800001
	s_xor_b32 exec_lo, exec_lo, s22
	s_cbranch_execz .LBB288_280
.LBB288_548:
	v_cmp_ne_u16_e32 vcc_lo, 0, v14
	v_mov_b32_e32 v4, 0
	s_and_not1_b32 s0, s0, exec_lo
	s_and_b32 s23, vcc_lo, exec_lo
	s_delay_alu instid0(SALU_CYCLE_1)
	s_or_b32 s0, s0, s23
	s_or_b32 exec_lo, exec_lo, s22
	s_and_saveexec_b32 s22, s0
	s_cbranch_execnz .LBB288_281
	s_branch .LBB288_282
.LBB288_549:
	s_mov_b32 s0, -1
	s_mov_b32 s24, exec_lo
	v_cmpx_eq_u16_e32 0x80, v3
; %bb.550:
	s_xor_b32 s0, exec_lo, -1
; %bb.551:
	s_or_b32 exec_lo, exec_lo, s24
	s_delay_alu instid0(SALU_CYCLE_1)
	s_and_b32 s0, s0, exec_lo
                                        ; implicit-def: $vgpr3
	s_or_saveexec_b32 s23, s23
	v_mov_b32_e32 v4, 0x7f800001
	s_xor_b32 exec_lo, exec_lo, s23
	s_cbranch_execz .LBB288_286
.LBB288_552:
	v_cmp_ne_u16_e32 vcc_lo, 0, v3
	v_mov_b32_e32 v4, 0
	s_and_not1_b32 s0, s0, exec_lo
	s_and_b32 s24, vcc_lo, exec_lo
	s_delay_alu instid0(SALU_CYCLE_1)
	s_or_b32 s0, s0, s24
	s_or_b32 exec_lo, exec_lo, s23
	s_and_saveexec_b32 s23, s0
	s_cbranch_execnz .LBB288_287
	s_branch .LBB288_288
.LBB288_553:
	s_mov_b32 s0, -1
	s_mov_b32 s24, exec_lo
	v_cmpx_eq_u16_e32 0x80, v7
; %bb.554:
	s_xor_b32 s0, exec_lo, -1
; %bb.555:
	s_or_b32 exec_lo, exec_lo, s24
	s_delay_alu instid0(SALU_CYCLE_1)
	s_and_b32 s0, s0, exec_lo
                                        ; implicit-def: $vgpr7
	s_or_saveexec_b32 s23, s23
	v_mov_b32_e32 v3, 0x7f800001
	s_xor_b32 exec_lo, exec_lo, s23
	s_cbranch_execz .LBB288_290
.LBB288_556:
	v_cmp_ne_u16_e32 vcc_lo, 0, v7
	v_mov_b32_e32 v3, 0
	s_and_not1_b32 s0, s0, exec_lo
	s_and_b32 s24, vcc_lo, exec_lo
	s_delay_alu instid0(SALU_CYCLE_1)
	s_or_b32 s0, s0, s24
	s_or_b32 exec_lo, exec_lo, s23
	s_and_saveexec_b32 s23, s0
	s_cbranch_execnz .LBB288_291
	s_branch .LBB288_292
.LBB288_557:
	s_mov_b32 s0, -1
	s_mov_b32 s25, exec_lo
	v_cmpx_eq_u16_e32 0x80, v3
; %bb.558:
	s_xor_b32 s0, exec_lo, -1
; %bb.559:
	s_or_b32 exec_lo, exec_lo, s25
	s_delay_alu instid0(SALU_CYCLE_1)
	s_and_b32 s0, s0, exec_lo
                                        ; implicit-def: $vgpr3
	s_or_saveexec_b32 s24, s24
	v_mov_b32_e32 v4, 0x7f800001
	s_xor_b32 exec_lo, exec_lo, s24
	s_cbranch_execz .LBB288_296
.LBB288_560:
	v_cmp_ne_u16_e32 vcc_lo, 0, v3
	v_mov_b32_e32 v4, 0
	s_and_not1_b32 s0, s0, exec_lo
	s_and_b32 s25, vcc_lo, exec_lo
	s_delay_alu instid0(SALU_CYCLE_1)
	s_or_b32 s0, s0, s25
	s_or_b32 exec_lo, exec_lo, s24
	s_and_saveexec_b32 s24, s0
	s_cbranch_execnz .LBB288_297
	s_branch .LBB288_298
.LBB288_561:
	s_mov_b32 s0, -1
	s_mov_b32 s25, exec_lo
	v_cmpx_eq_u16_e32 0x80, v5
; %bb.562:
	s_xor_b32 s0, exec_lo, -1
; %bb.563:
	s_or_b32 exec_lo, exec_lo, s25
	s_delay_alu instid0(SALU_CYCLE_1)
	s_and_b32 s0, s0, exec_lo
                                        ; implicit-def: $vgpr5
	s_or_saveexec_b32 s24, s24
	v_mov_b32_e32 v3, 0x7f800001
	s_xor_b32 exec_lo, exec_lo, s24
	s_cbranch_execz .LBB288_300
.LBB288_564:
	v_cmp_ne_u16_e32 vcc_lo, 0, v5
	v_mov_b32_e32 v3, 0
	s_and_not1_b32 s0, s0, exec_lo
	s_and_b32 s25, vcc_lo, exec_lo
	s_delay_alu instid0(SALU_CYCLE_1)
	s_or_b32 s0, s0, s25
	s_or_b32 exec_lo, exec_lo, s24
	s_and_saveexec_b32 s24, s0
	s_cbranch_execnz .LBB288_301
	s_branch .LBB288_302
.LBB288_565:
	s_mov_b32 s0, -1
	s_mov_b32 s26, exec_lo
	v_cmpx_eq_u16_e32 0x80, v3
; %bb.566:
	s_xor_b32 s0, exec_lo, -1
; %bb.567:
	s_or_b32 exec_lo, exec_lo, s26
	s_delay_alu instid0(SALU_CYCLE_1)
	s_and_b32 s0, s0, exec_lo
                                        ; implicit-def: $vgpr3
	s_or_saveexec_b32 s25, s25
	v_mov_b32_e32 v4, 0x7f800001
	s_xor_b32 exec_lo, exec_lo, s25
	s_cbranch_execz .LBB288_306
.LBB288_568:
	v_cmp_ne_u16_e32 vcc_lo, 0, v3
	v_mov_b32_e32 v4, 0
	s_and_not1_b32 s0, s0, exec_lo
	s_and_b32 s26, vcc_lo, exec_lo
	s_delay_alu instid0(SALU_CYCLE_1)
	s_or_b32 s0, s0, s26
	s_or_b32 exec_lo, exec_lo, s25
	s_and_saveexec_b32 s25, s0
	s_cbranch_execnz .LBB288_307
	s_branch .LBB288_308
.LBB288_569:
	s_mov_b32 s0, -1
	s_mov_b32 s26, exec_lo
	v_cmpx_eq_u16_e32 0x80, v5
; %bb.570:
	s_xor_b32 s0, exec_lo, -1
; %bb.571:
	s_or_b32 exec_lo, exec_lo, s26
	s_delay_alu instid0(SALU_CYCLE_1)
	s_and_b32 s0, s0, exec_lo
                                        ; implicit-def: $vgpr5
	s_or_saveexec_b32 s25, s25
	v_mov_b32_e32 v3, 0x7f800001
	s_xor_b32 exec_lo, exec_lo, s25
	s_cbranch_execz .LBB288_310
.LBB288_572:
	v_cmp_ne_u16_e32 vcc_lo, 0, v5
	v_mov_b32_e32 v3, 0
	s_and_not1_b32 s0, s0, exec_lo
	s_and_b32 s26, vcc_lo, exec_lo
	s_delay_alu instid0(SALU_CYCLE_1)
	s_or_b32 s0, s0, s26
	s_or_b32 exec_lo, exec_lo, s25
	s_and_saveexec_b32 s25, s0
	s_cbranch_execnz .LBB288_311
	s_branch .LBB288_312
.LBB288_573:
	s_mov_b32 s0, -1
	s_mov_b32 s27, exec_lo
	v_cmpx_eq_u16_e32 0x80, v10
; %bb.574:
	s_xor_b32 s0, exec_lo, -1
; %bb.575:
	s_or_b32 exec_lo, exec_lo, s27
	s_delay_alu instid0(SALU_CYCLE_1)
	s_and_b32 s0, s0, exec_lo
	s_or_saveexec_b32 s26, s26
	v_mov_b32_e32 v2, 0x7f800001
	s_xor_b32 exec_lo, exec_lo, s26
	s_cbranch_execz .LBB288_316
.LBB288_576:
	v_cmp_ne_u16_e32 vcc_lo, 0, v10
	v_mov_b32_e32 v2, 0
	s_and_not1_b32 s0, s0, exec_lo
	s_and_b32 s27, vcc_lo, exec_lo
	s_delay_alu instid0(SALU_CYCLE_1)
	s_or_b32 s0, s0, s27
	s_or_b32 exec_lo, exec_lo, s26
	s_and_saveexec_b32 s26, s0
	s_cbranch_execnz .LBB288_317
	s_branch .LBB288_318
.LBB288_577:
	s_mov_b32 s0, -1
	s_mov_b32 s27, exec_lo
	v_cmpx_eq_u16_e32 0x80, v1
; %bb.578:
	s_xor_b32 s0, exec_lo, -1
; %bb.579:
	s_or_b32 exec_lo, exec_lo, s27
	s_delay_alu instid0(SALU_CYCLE_1)
	s_and_b32 s0, s0, exec_lo
	s_or_saveexec_b32 s26, s26
	v_mov_b32_e32 v3, 0x7f800001
	s_xor_b32 exec_lo, exec_lo, s26
	s_cbranch_execz .LBB288_320
.LBB288_580:
	v_cmp_ne_u16_e32 vcc_lo, 0, v1
	v_mov_b32_e32 v3, 0
	s_and_not1_b32 s0, s0, exec_lo
	s_and_b32 s27, vcc_lo, exec_lo
	s_delay_alu instid0(SALU_CYCLE_1)
	s_or_b32 s0, s0, s27
	s_or_b32 exec_lo, exec_lo, s26
	s_and_saveexec_b32 s26, s0
	s_cbranch_execnz .LBB288_321
	s_branch .LBB288_322
	.section	.rodata,"a",@progbits
	.p2align	6, 0x0
	.amdhsa_kernel _ZN2at6native29vectorized_elementwise_kernelILi16ENS0_13BinaryFunctorIN3c1015Float8_e4m3fnuzES4_bNS0_12_GLOBAL__N_116CompareEqFunctorIS4_EEEESt5arrayIPcLm3EEEEviT0_T1_
		.amdhsa_group_segment_fixed_size 0
		.amdhsa_private_segment_fixed_size 0
		.amdhsa_kernarg_size 32
		.amdhsa_user_sgpr_count 2
		.amdhsa_user_sgpr_dispatch_ptr 0
		.amdhsa_user_sgpr_queue_ptr 0
		.amdhsa_user_sgpr_kernarg_segment_ptr 1
		.amdhsa_user_sgpr_dispatch_id 0
		.amdhsa_user_sgpr_kernarg_preload_length 0
		.amdhsa_user_sgpr_kernarg_preload_offset 0
		.amdhsa_user_sgpr_private_segment_size 0
		.amdhsa_wavefront_size32 1
		.amdhsa_uses_dynamic_stack 0
		.amdhsa_enable_private_segment 0
		.amdhsa_system_sgpr_workgroup_id_x 1
		.amdhsa_system_sgpr_workgroup_id_y 0
		.amdhsa_system_sgpr_workgroup_id_z 0
		.amdhsa_system_sgpr_workgroup_info 0
		.amdhsa_system_vgpr_workitem_id 0
		.amdhsa_next_free_vgpr 67
		.amdhsa_next_free_sgpr 33
		.amdhsa_named_barrier_count 0
		.amdhsa_reserve_vcc 1
		.amdhsa_float_round_mode_32 0
		.amdhsa_float_round_mode_16_64 0
		.amdhsa_float_denorm_mode_32 3
		.amdhsa_float_denorm_mode_16_64 3
		.amdhsa_fp16_overflow 0
		.amdhsa_memory_ordered 1
		.amdhsa_forward_progress 1
		.amdhsa_inst_pref_size 152
		.amdhsa_round_robin_scheduling 0
		.amdhsa_exception_fp_ieee_invalid_op 0
		.amdhsa_exception_fp_denorm_src 0
		.amdhsa_exception_fp_ieee_div_zero 0
		.amdhsa_exception_fp_ieee_overflow 0
		.amdhsa_exception_fp_ieee_underflow 0
		.amdhsa_exception_fp_ieee_inexact 0
		.amdhsa_exception_int_div_zero 0
	.end_amdhsa_kernel
	.section	.text._ZN2at6native29vectorized_elementwise_kernelILi16ENS0_13BinaryFunctorIN3c1015Float8_e4m3fnuzES4_bNS0_12_GLOBAL__N_116CompareEqFunctorIS4_EEEESt5arrayIPcLm3EEEEviT0_T1_,"axG",@progbits,_ZN2at6native29vectorized_elementwise_kernelILi16ENS0_13BinaryFunctorIN3c1015Float8_e4m3fnuzES4_bNS0_12_GLOBAL__N_116CompareEqFunctorIS4_EEEESt5arrayIPcLm3EEEEviT0_T1_,comdat
.Lfunc_end288:
	.size	_ZN2at6native29vectorized_elementwise_kernelILi16ENS0_13BinaryFunctorIN3c1015Float8_e4m3fnuzES4_bNS0_12_GLOBAL__N_116CompareEqFunctorIS4_EEEESt5arrayIPcLm3EEEEviT0_T1_, .Lfunc_end288-_ZN2at6native29vectorized_elementwise_kernelILi16ENS0_13BinaryFunctorIN3c1015Float8_e4m3fnuzES4_bNS0_12_GLOBAL__N_116CompareEqFunctorIS4_EEEESt5arrayIPcLm3EEEEviT0_T1_
                                        ; -- End function
	.set _ZN2at6native29vectorized_elementwise_kernelILi16ENS0_13BinaryFunctorIN3c1015Float8_e4m3fnuzES4_bNS0_12_GLOBAL__N_116CompareEqFunctorIS4_EEEESt5arrayIPcLm3EEEEviT0_T1_.num_vgpr, max(39, .L_ZN2at6native25elementwise_kernel_helperILb0ENS0_13BinaryFunctorIN3c1015Float8_e4m3fnuzES4_bNS0_12_GLOBAL__N_116CompareEqFunctorIS4_EEEENS0_6memory8policies11unroll_baseILi256ESt5arrayIPcLm3EE23TrivialOffsetCalculatorILi2EjESF_ILi1EjENS9_15LoadWithoutCastENS9_16StoreWithoutCastELi16ELi1EEEEEvT0_T1_.num_vgpr)
	.set _ZN2at6native29vectorized_elementwise_kernelILi16ENS0_13BinaryFunctorIN3c1015Float8_e4m3fnuzES4_bNS0_12_GLOBAL__N_116CompareEqFunctorIS4_EEEESt5arrayIPcLm3EEEEviT0_T1_.num_agpr, max(0, .L_ZN2at6native25elementwise_kernel_helperILb0ENS0_13BinaryFunctorIN3c1015Float8_e4m3fnuzES4_bNS0_12_GLOBAL__N_116CompareEqFunctorIS4_EEEENS0_6memory8policies11unroll_baseILi256ESt5arrayIPcLm3EE23TrivialOffsetCalculatorILi2EjESF_ILi1EjENS9_15LoadWithoutCastENS9_16StoreWithoutCastELi16ELi1EEEEEvT0_T1_.num_agpr)
	.set _ZN2at6native29vectorized_elementwise_kernelILi16ENS0_13BinaryFunctorIN3c1015Float8_e4m3fnuzES4_bNS0_12_GLOBAL__N_116CompareEqFunctorIS4_EEEESt5arrayIPcLm3EEEEviT0_T1_.numbered_sgpr, max(33, .L_ZN2at6native25elementwise_kernel_helperILb0ENS0_13BinaryFunctorIN3c1015Float8_e4m3fnuzES4_bNS0_12_GLOBAL__N_116CompareEqFunctorIS4_EEEENS0_6memory8policies11unroll_baseILi256ESt5arrayIPcLm3EE23TrivialOffsetCalculatorILi2EjESF_ILi1EjENS9_15LoadWithoutCastENS9_16StoreWithoutCastELi16ELi1EEEEEvT0_T1_.numbered_sgpr)
	.set _ZN2at6native29vectorized_elementwise_kernelILi16ENS0_13BinaryFunctorIN3c1015Float8_e4m3fnuzES4_bNS0_12_GLOBAL__N_116CompareEqFunctorIS4_EEEESt5arrayIPcLm3EEEEviT0_T1_.num_named_barrier, max(0, .L_ZN2at6native25elementwise_kernel_helperILb0ENS0_13BinaryFunctorIN3c1015Float8_e4m3fnuzES4_bNS0_12_GLOBAL__N_116CompareEqFunctorIS4_EEEENS0_6memory8policies11unroll_baseILi256ESt5arrayIPcLm3EE23TrivialOffsetCalculatorILi2EjESF_ILi1EjENS9_15LoadWithoutCastENS9_16StoreWithoutCastELi16ELi1EEEEEvT0_T1_.num_named_barrier)
	.set _ZN2at6native29vectorized_elementwise_kernelILi16ENS0_13BinaryFunctorIN3c1015Float8_e4m3fnuzES4_bNS0_12_GLOBAL__N_116CompareEqFunctorIS4_EEEESt5arrayIPcLm3EEEEviT0_T1_.private_seg_size, 0+max(.L_ZN2at6native25elementwise_kernel_helperILb0ENS0_13BinaryFunctorIN3c1015Float8_e4m3fnuzES4_bNS0_12_GLOBAL__N_116CompareEqFunctorIS4_EEEENS0_6memory8policies11unroll_baseILi256ESt5arrayIPcLm3EE23TrivialOffsetCalculatorILi2EjESF_ILi1EjENS9_15LoadWithoutCastENS9_16StoreWithoutCastELi16ELi1EEEEEvT0_T1_.private_seg_size)
	.set _ZN2at6native29vectorized_elementwise_kernelILi16ENS0_13BinaryFunctorIN3c1015Float8_e4m3fnuzES4_bNS0_12_GLOBAL__N_116CompareEqFunctorIS4_EEEESt5arrayIPcLm3EEEEviT0_T1_.uses_vcc, or(1, .L_ZN2at6native25elementwise_kernel_helperILb0ENS0_13BinaryFunctorIN3c1015Float8_e4m3fnuzES4_bNS0_12_GLOBAL__N_116CompareEqFunctorIS4_EEEENS0_6memory8policies11unroll_baseILi256ESt5arrayIPcLm3EE23TrivialOffsetCalculatorILi2EjESF_ILi1EjENS9_15LoadWithoutCastENS9_16StoreWithoutCastELi16ELi1EEEEEvT0_T1_.uses_vcc)
	.set _ZN2at6native29vectorized_elementwise_kernelILi16ENS0_13BinaryFunctorIN3c1015Float8_e4m3fnuzES4_bNS0_12_GLOBAL__N_116CompareEqFunctorIS4_EEEESt5arrayIPcLm3EEEEviT0_T1_.uses_flat_scratch, or(0, .L_ZN2at6native25elementwise_kernel_helperILb0ENS0_13BinaryFunctorIN3c1015Float8_e4m3fnuzES4_bNS0_12_GLOBAL__N_116CompareEqFunctorIS4_EEEENS0_6memory8policies11unroll_baseILi256ESt5arrayIPcLm3EE23TrivialOffsetCalculatorILi2EjESF_ILi1EjENS9_15LoadWithoutCastENS9_16StoreWithoutCastELi16ELi1EEEEEvT0_T1_.uses_flat_scratch)
	.set _ZN2at6native29vectorized_elementwise_kernelILi16ENS0_13BinaryFunctorIN3c1015Float8_e4m3fnuzES4_bNS0_12_GLOBAL__N_116CompareEqFunctorIS4_EEEESt5arrayIPcLm3EEEEviT0_T1_.has_dyn_sized_stack, or(0, .L_ZN2at6native25elementwise_kernel_helperILb0ENS0_13BinaryFunctorIN3c1015Float8_e4m3fnuzES4_bNS0_12_GLOBAL__N_116CompareEqFunctorIS4_EEEENS0_6memory8policies11unroll_baseILi256ESt5arrayIPcLm3EE23TrivialOffsetCalculatorILi2EjESF_ILi1EjENS9_15LoadWithoutCastENS9_16StoreWithoutCastELi16ELi1EEEEEvT0_T1_.has_dyn_sized_stack)
	.set _ZN2at6native29vectorized_elementwise_kernelILi16ENS0_13BinaryFunctorIN3c1015Float8_e4m3fnuzES4_bNS0_12_GLOBAL__N_116CompareEqFunctorIS4_EEEESt5arrayIPcLm3EEEEviT0_T1_.has_recursion, or(0, .L_ZN2at6native25elementwise_kernel_helperILb0ENS0_13BinaryFunctorIN3c1015Float8_e4m3fnuzES4_bNS0_12_GLOBAL__N_116CompareEqFunctorIS4_EEEENS0_6memory8policies11unroll_baseILi256ESt5arrayIPcLm3EE23TrivialOffsetCalculatorILi2EjESF_ILi1EjENS9_15LoadWithoutCastENS9_16StoreWithoutCastELi16ELi1EEEEEvT0_T1_.has_recursion)
	.set _ZN2at6native29vectorized_elementwise_kernelILi16ENS0_13BinaryFunctorIN3c1015Float8_e4m3fnuzES4_bNS0_12_GLOBAL__N_116CompareEqFunctorIS4_EEEESt5arrayIPcLm3EEEEviT0_T1_.has_indirect_call, or(0, .L_ZN2at6native25elementwise_kernel_helperILb0ENS0_13BinaryFunctorIN3c1015Float8_e4m3fnuzES4_bNS0_12_GLOBAL__N_116CompareEqFunctorIS4_EEEENS0_6memory8policies11unroll_baseILi256ESt5arrayIPcLm3EE23TrivialOffsetCalculatorILi2EjESF_ILi1EjENS9_15LoadWithoutCastENS9_16StoreWithoutCastELi16ELi1EEEEEvT0_T1_.has_indirect_call)
	.section	.AMDGPU.csdata,"",@progbits
; Kernel info:
; codeLenInByte = 19332
; TotalNumSgprs: 35
; NumVgprs: 67
; ScratchSize: 0
; MemoryBound: 1
; FloatMode: 240
; IeeeMode: 1
; LDSByteSize: 0 bytes/workgroup (compile time only)
; SGPRBlocks: 0
; VGPRBlocks: 4
; NumSGPRsForWavesPerEU: 35
; NumVGPRsForWavesPerEU: 67
; NamedBarCnt: 0
; Occupancy: 12
; WaveLimiterHint : 0
; COMPUTE_PGM_RSRC2:SCRATCH_EN: 0
; COMPUTE_PGM_RSRC2:USER_SGPR: 2
; COMPUTE_PGM_RSRC2:TRAP_HANDLER: 0
; COMPUTE_PGM_RSRC2:TGID_X_EN: 1
; COMPUTE_PGM_RSRC2:TGID_Y_EN: 0
; COMPUTE_PGM_RSRC2:TGID_Z_EN: 0
; COMPUTE_PGM_RSRC2:TIDIG_COMP_CNT: 0
	.section	.text._ZN2at6native29vectorized_elementwise_kernelILi8ENS0_13BinaryFunctorIN3c1015Float8_e4m3fnuzES4_bNS0_12_GLOBAL__N_116CompareEqFunctorIS4_EEEESt5arrayIPcLm3EEEEviT0_T1_,"axG",@progbits,_ZN2at6native29vectorized_elementwise_kernelILi8ENS0_13BinaryFunctorIN3c1015Float8_e4m3fnuzES4_bNS0_12_GLOBAL__N_116CompareEqFunctorIS4_EEEESt5arrayIPcLm3EEEEviT0_T1_,comdat
	.globl	_ZN2at6native29vectorized_elementwise_kernelILi8ENS0_13BinaryFunctorIN3c1015Float8_e4m3fnuzES4_bNS0_12_GLOBAL__N_116CompareEqFunctorIS4_EEEESt5arrayIPcLm3EEEEviT0_T1_ ; -- Begin function _ZN2at6native29vectorized_elementwise_kernelILi8ENS0_13BinaryFunctorIN3c1015Float8_e4m3fnuzES4_bNS0_12_GLOBAL__N_116CompareEqFunctorIS4_EEEESt5arrayIPcLm3EEEEviT0_T1_
	.p2align	8
	.type	_ZN2at6native29vectorized_elementwise_kernelILi8ENS0_13BinaryFunctorIN3c1015Float8_e4m3fnuzES4_bNS0_12_GLOBAL__N_116CompareEqFunctorIS4_EEEESt5arrayIPcLm3EEEEviT0_T1_,@function
_ZN2at6native29vectorized_elementwise_kernelILi8ENS0_13BinaryFunctorIN3c1015Float8_e4m3fnuzES4_bNS0_12_GLOBAL__N_116CompareEqFunctorIS4_EEEESt5arrayIPcLm3EEEEviT0_T1_: ; @_ZN2at6native29vectorized_elementwise_kernelILi8ENS0_13BinaryFunctorIN3c1015Float8_e4m3fnuzES4_bNS0_12_GLOBAL__N_116CompareEqFunctorIS4_EEEESt5arrayIPcLm3EEEEviT0_T1_
; %bb.0:
	s_clause 0x2
	s_load_b64 s[8:9], s[0:1], 0x0
	s_load_b128 s[4:7], s[0:1], 0x8
	s_load_b64 s[2:3], s[0:1], 0x18
	s_wait_xcnt 0x0
	s_bfe_u32 s0, ttmp6, 0x4000c
	s_and_b32 s1, ttmp6, 15
	s_add_co_i32 s0, s0, 1
	s_getreg_b32 s10, hwreg(HW_REG_IB_STS2, 6, 4)
	s_mul_i32 s0, ttmp9, s0
	s_mov_b32 s32, 0
	s_add_co_i32 s1, s1, s0
	s_cmp_eq_u32 s10, 0
	s_cselect_b32 s0, ttmp9, s1
	s_delay_alu instid0(SALU_CYCLE_1) | instskip(SKIP_3) | instid1(SALU_CYCLE_1)
	s_lshl_b32 s10, s0, 12
	s_mov_b32 s0, -1
	s_wait_kmcnt 0x0
	s_sub_co_i32 s1, s8, s10
	s_cmp_gt_i32 s1, 0xfff
	s_cbranch_scc1 .LBB289_3
; %bb.1:
	s_and_b32 vcc_lo, exec_lo, s0
	s_cbranch_vccnz .LBB289_324
.LBB289_2:
	s_sendmsg sendmsg(MSG_DEALLOC_VGPRS)
	s_endpgm
.LBB289_3:
	s_ashr_i32 s11, s10, 31
	s_cmp_lg_u32 s9, 0
	s_add_nc_u64 s[12:13], s[6:7], s[10:11]
	s_add_nc_u64 s[14:15], s[2:3], s[10:11]
	s_clause 0x3
	global_load_b64 v[8:9], v0, s[12:13] scale_offset
	global_load_b64 v[4:5], v0, s[12:13] offset:2048 scale_offset
	global_load_b64 v[6:7], v0, s[14:15] scale_offset
	global_load_b64 v[2:3], v0, s[14:15] offset:2048 scale_offset
	s_cselect_b32 s0, -1, 0
	s_delay_alu instid0(SALU_CYCLE_1)
	s_and_b32 vcc_lo, exec_lo, s0
	s_wait_loadcnt 0x3
	v_and_b32_e32 v1, 0xff, v8
	s_cbranch_vccz .LBB289_13
; %bb.4:
	s_mov_b32 s8, 0
	s_wait_xcnt 0x2
	s_mov_b32 s12, exec_lo
	s_wait_xcnt 0x0
	v_cmpx_lt_i16_e32 0x7f, v1
	s_xor_b32 s12, exec_lo, s12
	s_cbranch_execnz .LBB289_325
; %bb.5:
	s_or_saveexec_b32 s12, s12
	v_mov_b32_e32 v10, 0x7f800001
	s_xor_b32 exec_lo, exec_lo, s12
	s_cbranch_execnz .LBB289_328
.LBB289_6:
	s_or_b32 exec_lo, exec_lo, s12
	s_and_saveexec_b32 s12, s8
	s_cbranch_execz .LBB289_8
.LBB289_7:
	v_and_b32_e32 v10, 7, v8
	v_bfe_u32 v13, v8, 3, 4
	s_delay_alu instid0(VALU_DEP_2) | instskip(NEXT) | instid1(VALU_DEP_2)
	v_clz_i32_u32_e32 v11, v10
	v_cmp_eq_u32_e32 vcc_lo, 0, v13
	s_delay_alu instid0(VALU_DEP_2) | instskip(NEXT) | instid1(VALU_DEP_1)
	v_min_u32_e32 v11, 32, v11
	v_subrev_nc_u32_e32 v12, 28, v11
	s_delay_alu instid0(VALU_DEP_1) | instskip(NEXT) | instid1(VALU_DEP_1)
	v_dual_lshlrev_b32 v12, v12, v8 :: v_dual_sub_nc_u32 v11, 29, v11
	v_and_b32_e32 v12, 7, v12
	s_delay_alu instid0(VALU_DEP_2) | instskip(NEXT) | instid1(VALU_DEP_2)
	v_dual_cndmask_b32 v11, v13, v11 :: v_dual_lshlrev_b32 v14, 24, v8
	v_cndmask_b32_e32 v10, v10, v12, vcc_lo
	s_delay_alu instid0(VALU_DEP_2) | instskip(NEXT) | instid1(VALU_DEP_3)
	v_and_b32_e32 v12, 0x80000000, v14
	v_lshl_add_u32 v11, v11, 23, 0x3b800000
	s_delay_alu instid0(VALU_DEP_3) | instskip(NEXT) | instid1(VALU_DEP_1)
	v_lshlrev_b32_e32 v10, 20, v10
	v_or3_b32 v10, v12, v11, v10
.LBB289_8:
	s_or_b32 exec_lo, exec_lo, s12
	s_wait_loadcnt 0x1
	v_and_b32_e32 v12, 0xff, v6
	s_mov_b32 s8, 0
	s_mov_b32 s12, exec_lo
	s_delay_alu instid0(VALU_DEP_1)
	v_cmpx_lt_i16_e32 0x7f, v12
	s_xor_b32 s12, exec_lo, s12
	s_cbranch_execnz .LBB289_329
; %bb.9:
	s_or_saveexec_b32 s12, s12
	v_mov_b32_e32 v11, 0x7f800001
	s_xor_b32 exec_lo, exec_lo, s12
	s_cbranch_execnz .LBB289_332
.LBB289_10:
	s_or_b32 exec_lo, exec_lo, s12
	s_and_saveexec_b32 s12, s8
	s_cbranch_execz .LBB289_12
.LBB289_11:
	v_and_b32_e32 v11, 7, v6
	v_bfe_u32 v14, v6, 3, 4
	s_delay_alu instid0(VALU_DEP_2) | instskip(NEXT) | instid1(VALU_DEP_2)
	v_clz_i32_u32_e32 v12, v11
	v_cmp_eq_u32_e32 vcc_lo, 0, v14
	s_delay_alu instid0(VALU_DEP_2) | instskip(NEXT) | instid1(VALU_DEP_1)
	v_min_u32_e32 v12, 32, v12
	v_subrev_nc_u32_e32 v13, 28, v12
	s_delay_alu instid0(VALU_DEP_1) | instskip(NEXT) | instid1(VALU_DEP_1)
	v_dual_lshlrev_b32 v13, v13, v6 :: v_dual_sub_nc_u32 v12, 29, v12
	v_dual_lshlrev_b32 v15, 24, v6 :: v_dual_bitop2_b32 v13, 7, v13 bitop3:0x40
	s_delay_alu instid0(VALU_DEP_1) | instskip(NEXT) | instid1(VALU_DEP_2)
	v_dual_cndmask_b32 v12, v14, v12 :: v_dual_cndmask_b32 v11, v11, v13
	v_and_b32_e32 v13, 0x80000000, v15
	s_delay_alu instid0(VALU_DEP_2) | instskip(NEXT) | instid1(VALU_DEP_3)
	v_lshl_add_u32 v12, v12, 23, 0x3b800000
	v_lshlrev_b32_e32 v11, 20, v11
	s_delay_alu instid0(VALU_DEP_1)
	v_or3_b32 v11, v13, v12, v11
.LBB289_12:
	s_or_b32 exec_lo, exec_lo, s12
	s_delay_alu instid0(VALU_DEP_1)
	v_cmp_neq_f32_e64 s8, v10, v11
	s_branch .LBB289_23
.LBB289_13:
	s_wait_xcnt 0x2
                                        ; implicit-def: $sgpr8
	s_cbranch_execz .LBB289_23
; %bb.14:
	s_mov_b32 s8, 0
	s_mov_b32 s12, exec_lo
	s_wait_xcnt 0x0
	v_cmpx_lt_i16_e32 0x7f, v1
	s_xor_b32 s12, exec_lo, s12
	s_cbranch_execnz .LBB289_453
; %bb.15:
	s_or_saveexec_b32 s12, s12
	v_mov_b32_e32 v10, 0x7f800001
	s_xor_b32 exec_lo, exec_lo, s12
	s_cbranch_execnz .LBB289_456
.LBB289_16:
	s_or_b32 exec_lo, exec_lo, s12
	s_and_saveexec_b32 s12, s8
	s_cbranch_execz .LBB289_18
.LBB289_17:
	v_and_b32_e32 v1, 7, v8
	v_bfe_u32 v12, v8, 3, 4
	s_delay_alu instid0(VALU_DEP_2) | instskip(NEXT) | instid1(VALU_DEP_2)
	v_clz_i32_u32_e32 v10, v1
	v_cmp_eq_u32_e32 vcc_lo, 0, v12
	s_delay_alu instid0(VALU_DEP_2) | instskip(NEXT) | instid1(VALU_DEP_1)
	v_min_u32_e32 v10, 32, v10
	v_subrev_nc_u32_e32 v11, 28, v10
	s_delay_alu instid0(VALU_DEP_1) | instskip(NEXT) | instid1(VALU_DEP_1)
	v_dual_lshlrev_b32 v11, v11, v8 :: v_dual_sub_nc_u32 v10, 29, v10
	v_dual_lshlrev_b32 v13, 24, v8 :: v_dual_bitop2_b32 v11, 7, v11 bitop3:0x40
	s_delay_alu instid0(VALU_DEP_1) | instskip(NEXT) | instid1(VALU_DEP_2)
	v_dual_cndmask_b32 v10, v12, v10 :: v_dual_cndmask_b32 v1, v1, v11
	v_and_b32_e32 v11, 0x80000000, v13
	s_delay_alu instid0(VALU_DEP_2) | instskip(NEXT) | instid1(VALU_DEP_3)
	v_lshl_add_u32 v10, v10, 23, 0x3b800000
	v_lshlrev_b32_e32 v1, 20, v1
	s_delay_alu instid0(VALU_DEP_1)
	v_or3_b32 v10, v11, v10, v1
.LBB289_18:
	s_or_b32 exec_lo, exec_lo, s12
	s_wait_loadcnt 0x1
	v_and_b32_e32 v11, 0xff, v6
	s_mov_b32 s8, 0
	s_mov_b32 s12, exec_lo
	s_delay_alu instid0(VALU_DEP_1)
	v_cmpx_lt_i16_e32 0x7f, v11
	s_xor_b32 s12, exec_lo, s12
	s_cbranch_execnz .LBB289_457
; %bb.19:
	s_or_saveexec_b32 s12, s12
	v_mov_b32_e32 v1, 0x7f800001
	s_xor_b32 exec_lo, exec_lo, s12
	s_cbranch_execnz .LBB289_460
.LBB289_20:
	s_or_b32 exec_lo, exec_lo, s12
	s_and_saveexec_b32 s12, s8
	s_cbranch_execz .LBB289_22
.LBB289_21:
	v_and_b32_e32 v1, 7, v6
	v_bfe_u32 v13, v6, 3, 4
	s_delay_alu instid0(VALU_DEP_2) | instskip(NEXT) | instid1(VALU_DEP_2)
	v_clz_i32_u32_e32 v11, v1
	v_cmp_eq_u32_e32 vcc_lo, 0, v13
	s_delay_alu instid0(VALU_DEP_2) | instskip(NEXT) | instid1(VALU_DEP_1)
	v_min_u32_e32 v11, 32, v11
	v_subrev_nc_u32_e32 v12, 28, v11
	s_delay_alu instid0(VALU_DEP_1) | instskip(NEXT) | instid1(VALU_DEP_1)
	v_dual_lshlrev_b32 v12, v12, v6 :: v_dual_sub_nc_u32 v11, 29, v11
	v_dual_lshlrev_b32 v14, 24, v6 :: v_dual_bitop2_b32 v12, 7, v12 bitop3:0x40
	s_delay_alu instid0(VALU_DEP_2) | instskip(NEXT) | instid1(VALU_DEP_2)
	v_cndmask_b32_e32 v11, v13, v11, vcc_lo
	v_cndmask_b32_e32 v1, v1, v12, vcc_lo
	s_delay_alu instid0(VALU_DEP_3) | instskip(NEXT) | instid1(VALU_DEP_3)
	v_and_b32_e32 v12, 0x80000000, v14
	v_lshl_add_u32 v11, v11, 23, 0x3b800000
	s_delay_alu instid0(VALU_DEP_3) | instskip(NEXT) | instid1(VALU_DEP_1)
	v_lshlrev_b32_e32 v1, 20, v1
	v_or3_b32 v1, v12, v11, v1
.LBB289_22:
	s_or_b32 exec_lo, exec_lo, s12
	s_delay_alu instid0(VALU_DEP_1)
	v_cmp_eq_f32_e64 s8, v10, v1
.LBB289_23:
	s_wait_loadcnt 0x1
	v_dual_lshrrev_b32 v11, 8, v8 :: v_dual_lshrrev_b32 v10, 8, v6
	v_cndmask_b32_e64 v1, 0, 1, s0
	s_and_not1_b32 vcc_lo, exec_lo, s0
	s_delay_alu instid0(VALU_DEP_2)
	v_and_b32_e32 v12, 0xff, v11
	s_cbranch_vccnz .LBB289_33
; %bb.24:
	s_mov_b32 s0, 0
	s_mov_b32 s12, exec_lo
	s_wait_xcnt 0x0
	v_cmpx_lt_i16_e32 0x7f, v12
	s_xor_b32 s12, exec_lo, s12
	s_cbranch_execnz .LBB289_333
; %bb.25:
	s_or_saveexec_b32 s12, s12
	v_mov_b32_e32 v13, 0x7f800001
	s_xor_b32 exec_lo, exec_lo, s12
	s_cbranch_execnz .LBB289_336
.LBB289_26:
	s_or_b32 exec_lo, exec_lo, s12
	s_and_saveexec_b32 s12, s0
	s_cbranch_execz .LBB289_28
.LBB289_27:
	v_bfe_u32 v13, v8, 8, 3
	v_bfe_u32 v16, v8, 11, 4
	s_delay_alu instid0(VALU_DEP_2) | instskip(NEXT) | instid1(VALU_DEP_2)
	v_clz_i32_u32_e32 v14, v13
	v_cmp_eq_u32_e32 vcc_lo, 0, v16
	s_delay_alu instid0(VALU_DEP_2) | instskip(NEXT) | instid1(VALU_DEP_1)
	v_min_u32_e32 v14, 32, v14
	v_subrev_nc_u32_e32 v15, 28, v14
	s_delay_alu instid0(VALU_DEP_1) | instskip(NEXT) | instid1(VALU_DEP_1)
	v_dual_sub_nc_u32 v14, 29, v14 :: v_dual_lshlrev_b32 v15, v15, v11
	v_dual_cndmask_b32 v14, v16, v14, vcc_lo :: v_dual_bitop2_b32 v15, 7, v15 bitop3:0x40
	s_delay_alu instid0(VALU_DEP_1) | instskip(NEXT) | instid1(VALU_DEP_2)
	v_lshl_add_u32 v14, v14, 23, 0x3b800000
	v_cndmask_b32_e32 v13, v13, v15, vcc_lo
	s_delay_alu instid0(VALU_DEP_1) | instskip(NEXT) | instid1(VALU_DEP_1)
	v_dual_lshlrev_b32 v17, 24, v11 :: v_dual_lshlrev_b32 v13, 20, v13
	v_and_b32_e32 v15, 0x80000000, v17
	s_delay_alu instid0(VALU_DEP_1)
	v_or3_b32 v13, v15, v14, v13
.LBB289_28:
	s_or_b32 exec_lo, exec_lo, s12
	v_and_b32_e32 v15, 0xff, v10
	s_mov_b32 s0, 0
	s_mov_b32 s12, exec_lo
	s_delay_alu instid0(VALU_DEP_1)
	v_cmpx_lt_i16_e32 0x7f, v15
	s_xor_b32 s12, exec_lo, s12
	s_cbranch_execnz .LBB289_337
; %bb.29:
	s_or_saveexec_b32 s12, s12
	v_mov_b32_e32 v14, 0x7f800001
	s_xor_b32 exec_lo, exec_lo, s12
	s_cbranch_execnz .LBB289_340
.LBB289_30:
	s_or_b32 exec_lo, exec_lo, s12
	s_and_saveexec_b32 s12, s0
	s_cbranch_execz .LBB289_32
.LBB289_31:
	v_bfe_u32 v14, v6, 8, 3
	v_bfe_u32 v17, v6, 11, 4
	v_lshlrev_b32_e32 v18, 24, v10
	s_delay_alu instid0(VALU_DEP_3) | instskip(NEXT) | instid1(VALU_DEP_3)
	v_clz_i32_u32_e32 v15, v14
	v_cmp_eq_u32_e32 vcc_lo, 0, v17
	s_delay_alu instid0(VALU_DEP_2) | instskip(NEXT) | instid1(VALU_DEP_1)
	v_min_u32_e32 v15, 32, v15
	v_subrev_nc_u32_e32 v16, 28, v15
	s_delay_alu instid0(VALU_DEP_1) | instskip(NEXT) | instid1(VALU_DEP_1)
	v_dual_sub_nc_u32 v15, 29, v15 :: v_dual_lshlrev_b32 v16, v16, v10
	v_dual_cndmask_b32 v15, v17, v15, vcc_lo :: v_dual_bitop2_b32 v16, 7, v16 bitop3:0x40
	s_delay_alu instid0(VALU_DEP_1) | instskip(SKIP_1) | instid1(VALU_DEP_3)
	v_cndmask_b32_e32 v14, v14, v16, vcc_lo
	v_and_b32_e32 v16, 0x80000000, v18
	v_lshl_add_u32 v15, v15, 23, 0x3b800000
	s_delay_alu instid0(VALU_DEP_3) | instskip(NEXT) | instid1(VALU_DEP_1)
	v_lshlrev_b32_e32 v14, 20, v14
	v_or3_b32 v14, v16, v15, v14
.LBB289_32:
	s_or_b32 exec_lo, exec_lo, s12
	s_delay_alu instid0(VALU_DEP_1)
	v_cmp_neq_f32_e64 s12, v13, v14
	s_branch .LBB289_43
.LBB289_33:
                                        ; implicit-def: $sgpr12
	s_cbranch_execz .LBB289_43
; %bb.34:
	s_mov_b32 s0, 0
	s_mov_b32 s12, exec_lo
	s_wait_xcnt 0x0
	v_cmpx_lt_i16_e32 0x7f, v12
	s_xor_b32 s12, exec_lo, s12
	s_cbranch_execnz .LBB289_461
; %bb.35:
	s_or_saveexec_b32 s12, s12
	v_mov_b32_e32 v13, 0x7f800001
	s_xor_b32 exec_lo, exec_lo, s12
	s_cbranch_execnz .LBB289_464
.LBB289_36:
	s_or_b32 exec_lo, exec_lo, s12
	s_and_saveexec_b32 s12, s0
	s_cbranch_execz .LBB289_38
.LBB289_37:
	v_bfe_u32 v12, v8, 8, 3
	v_bfe_u32 v15, v8, 11, 4
	s_delay_alu instid0(VALU_DEP_2) | instskip(NEXT) | instid1(VALU_DEP_2)
	v_clz_i32_u32_e32 v13, v12
	v_cmp_eq_u32_e32 vcc_lo, 0, v15
	s_delay_alu instid0(VALU_DEP_2) | instskip(NEXT) | instid1(VALU_DEP_1)
	v_min_u32_e32 v13, 32, v13
	v_subrev_nc_u32_e32 v14, 28, v13
	s_delay_alu instid0(VALU_DEP_1) | instskip(NEXT) | instid1(VALU_DEP_1)
	v_dual_sub_nc_u32 v13, 29, v13 :: v_dual_lshlrev_b32 v14, v14, v11
	v_dual_lshlrev_b32 v11, 24, v11 :: v_dual_bitop2_b32 v14, 7, v14 bitop3:0x40
	s_delay_alu instid0(VALU_DEP_2) | instskip(NEXT) | instid1(VALU_DEP_2)
	v_cndmask_b32_e32 v13, v15, v13, vcc_lo
	v_and_b32_e32 v11, 0x80000000, v11
	s_delay_alu instid0(VALU_DEP_3) | instskip(NEXT) | instid1(VALU_DEP_3)
	v_cndmask_b32_e32 v12, v12, v14, vcc_lo
	v_lshl_add_u32 v13, v13, 23, 0x3b800000
	s_delay_alu instid0(VALU_DEP_2) | instskip(NEXT) | instid1(VALU_DEP_1)
	v_lshlrev_b32_e32 v12, 20, v12
	v_or3_b32 v13, v11, v13, v12
.LBB289_38:
	s_or_b32 exec_lo, exec_lo, s12
	v_and_b32_e32 v12, 0xff, v10
	s_mov_b32 s0, 0
	s_mov_b32 s12, exec_lo
	s_delay_alu instid0(VALU_DEP_1)
	v_cmpx_lt_i16_e32 0x7f, v12
	s_xor_b32 s12, exec_lo, s12
	s_cbranch_execnz .LBB289_465
; %bb.39:
	s_or_saveexec_b32 s12, s12
	v_mov_b32_e32 v11, 0x7f800001
	s_xor_b32 exec_lo, exec_lo, s12
	s_cbranch_execnz .LBB289_468
.LBB289_40:
	s_or_b32 exec_lo, exec_lo, s12
	s_and_saveexec_b32 s12, s0
	s_cbranch_execz .LBB289_42
.LBB289_41:
	v_bfe_u32 v11, v6, 8, 3
	v_bfe_u32 v15, v6, 11, 4
	s_delay_alu instid0(VALU_DEP_2) | instskip(NEXT) | instid1(VALU_DEP_2)
	v_clz_i32_u32_e32 v12, v11
	v_cmp_eq_u32_e32 vcc_lo, 0, v15
	s_delay_alu instid0(VALU_DEP_2) | instskip(NEXT) | instid1(VALU_DEP_1)
	v_min_u32_e32 v12, 32, v12
	v_subrev_nc_u32_e32 v14, 28, v12
	s_delay_alu instid0(VALU_DEP_1) | instskip(NEXT) | instid1(VALU_DEP_1)
	v_dual_sub_nc_u32 v12, 29, v12 :: v_dual_lshlrev_b32 v14, v14, v10
	v_dual_cndmask_b32 v12, v15, v12, vcc_lo :: v_dual_bitop2_b32 v14, 7, v14 bitop3:0x40
	s_delay_alu instid0(VALU_DEP_1) | instskip(NEXT) | instid1(VALU_DEP_2)
	v_lshl_add_u32 v12, v12, 23, 0x3b800000
	v_cndmask_b32_e32 v11, v11, v14, vcc_lo
	s_delay_alu instid0(VALU_DEP_1) | instskip(NEXT) | instid1(VALU_DEP_1)
	v_dual_lshlrev_b32 v10, 24, v10 :: v_dual_lshlrev_b32 v11, 20, v11
	v_and_b32_e32 v10, 0x80000000, v10
	s_delay_alu instid0(VALU_DEP_1)
	v_or3_b32 v11, v10, v12, v11
.LBB289_42:
	s_or_b32 exec_lo, exec_lo, s12
	s_delay_alu instid0(VALU_DEP_1)
	v_cmp_eq_f32_e64 s12, v13, v11
.LBB289_43:
	v_dual_lshrrev_b32 v11, 16, v8 :: v_dual_lshrrev_b32 v10, 16, v6
	v_cmp_ne_u32_e32 vcc_lo, 1, v1
	s_delay_alu instid0(VALU_DEP_2)
	v_and_b32_e32 v12, 0xff, v11
	s_cbranch_vccnz .LBB289_53
; %bb.44:
	s_mov_b32 s0, 0
	s_mov_b32 s13, exec_lo
	s_wait_xcnt 0x0
	v_cmpx_lt_i16_e32 0x7f, v12
	s_xor_b32 s13, exec_lo, s13
	s_cbranch_execnz .LBB289_341
; %bb.45:
	s_or_saveexec_b32 s13, s13
	v_mov_b32_e32 v13, 0x7f800001
	s_xor_b32 exec_lo, exec_lo, s13
	s_cbranch_execnz .LBB289_344
.LBB289_46:
	s_or_b32 exec_lo, exec_lo, s13
	s_and_saveexec_b32 s13, s0
	s_cbranch_execz .LBB289_48
.LBB289_47:
	v_bfe_u32 v13, v8, 16, 3
	v_bfe_u32 v16, v8, 19, 4
	s_delay_alu instid0(VALU_DEP_2) | instskip(NEXT) | instid1(VALU_DEP_2)
	v_clz_i32_u32_e32 v14, v13
	v_cmp_eq_u32_e32 vcc_lo, 0, v16
	s_delay_alu instid0(VALU_DEP_2) | instskip(NEXT) | instid1(VALU_DEP_1)
	v_min_u32_e32 v14, 32, v14
	v_subrev_nc_u32_e32 v15, 28, v14
	s_delay_alu instid0(VALU_DEP_1) | instskip(NEXT) | instid1(VALU_DEP_1)
	v_dual_sub_nc_u32 v14, 29, v14 :: v_dual_lshlrev_b32 v15, v15, v11
	v_dual_cndmask_b32 v14, v16, v14, vcc_lo :: v_dual_bitop2_b32 v15, 7, v15 bitop3:0x40
	s_delay_alu instid0(VALU_DEP_1) | instskip(NEXT) | instid1(VALU_DEP_2)
	v_lshl_add_u32 v14, v14, 23, 0x3b800000
	v_cndmask_b32_e32 v13, v13, v15, vcc_lo
	s_delay_alu instid0(VALU_DEP_1) | instskip(NEXT) | instid1(VALU_DEP_1)
	v_dual_lshlrev_b32 v17, 24, v11 :: v_dual_lshlrev_b32 v13, 20, v13
	v_and_b32_e32 v15, 0x80000000, v17
	s_delay_alu instid0(VALU_DEP_1)
	v_or3_b32 v13, v15, v14, v13
.LBB289_48:
	s_or_b32 exec_lo, exec_lo, s13
	v_and_b32_e32 v15, 0xff, v10
	s_mov_b32 s0, 0
	s_mov_b32 s13, exec_lo
	s_delay_alu instid0(VALU_DEP_1)
	v_cmpx_lt_i16_e32 0x7f, v15
	s_xor_b32 s13, exec_lo, s13
	s_cbranch_execnz .LBB289_345
; %bb.49:
	s_or_saveexec_b32 s13, s13
	v_mov_b32_e32 v14, 0x7f800001
	s_xor_b32 exec_lo, exec_lo, s13
	s_cbranch_execnz .LBB289_348
.LBB289_50:
	s_or_b32 exec_lo, exec_lo, s13
	s_and_saveexec_b32 s13, s0
	s_cbranch_execz .LBB289_52
.LBB289_51:
	v_bfe_u32 v14, v6, 16, 3
	v_bfe_u32 v17, v6, 19, 4
	v_lshlrev_b32_e32 v18, 24, v10
	s_delay_alu instid0(VALU_DEP_3) | instskip(NEXT) | instid1(VALU_DEP_3)
	v_clz_i32_u32_e32 v15, v14
	v_cmp_eq_u32_e32 vcc_lo, 0, v17
	s_delay_alu instid0(VALU_DEP_2) | instskip(NEXT) | instid1(VALU_DEP_1)
	v_min_u32_e32 v15, 32, v15
	v_subrev_nc_u32_e32 v16, 28, v15
	s_delay_alu instid0(VALU_DEP_1) | instskip(NEXT) | instid1(VALU_DEP_1)
	v_dual_sub_nc_u32 v15, 29, v15 :: v_dual_lshlrev_b32 v16, v16, v10
	v_dual_cndmask_b32 v15, v17, v15, vcc_lo :: v_dual_bitop2_b32 v16, 7, v16 bitop3:0x40
	s_delay_alu instid0(VALU_DEP_1) | instskip(SKIP_1) | instid1(VALU_DEP_3)
	v_cndmask_b32_e32 v14, v14, v16, vcc_lo
	v_and_b32_e32 v16, 0x80000000, v18
	v_lshl_add_u32 v15, v15, 23, 0x3b800000
	s_delay_alu instid0(VALU_DEP_3) | instskip(NEXT) | instid1(VALU_DEP_1)
	v_lshlrev_b32_e32 v14, 20, v14
	v_or3_b32 v14, v16, v15, v14
.LBB289_52:
	s_or_b32 exec_lo, exec_lo, s13
	s_delay_alu instid0(VALU_DEP_1)
	v_cmp_neq_f32_e64 s13, v13, v14
	s_branch .LBB289_63
.LBB289_53:
                                        ; implicit-def: $sgpr13
	s_cbranch_execz .LBB289_63
; %bb.54:
	s_mov_b32 s0, 0
	s_mov_b32 s13, exec_lo
	s_wait_xcnt 0x0
	v_cmpx_lt_i16_e32 0x7f, v12
	s_xor_b32 s13, exec_lo, s13
	s_cbranch_execnz .LBB289_469
; %bb.55:
	s_or_saveexec_b32 s13, s13
	v_mov_b32_e32 v13, 0x7f800001
	s_xor_b32 exec_lo, exec_lo, s13
	s_cbranch_execnz .LBB289_472
.LBB289_56:
	s_or_b32 exec_lo, exec_lo, s13
	s_and_saveexec_b32 s13, s0
	s_cbranch_execz .LBB289_58
.LBB289_57:
	v_bfe_u32 v12, v8, 16, 3
	v_bfe_u32 v15, v8, 19, 4
	s_delay_alu instid0(VALU_DEP_2) | instskip(NEXT) | instid1(VALU_DEP_2)
	v_clz_i32_u32_e32 v13, v12
	v_cmp_eq_u32_e32 vcc_lo, 0, v15
	s_delay_alu instid0(VALU_DEP_2) | instskip(NEXT) | instid1(VALU_DEP_1)
	v_min_u32_e32 v13, 32, v13
	v_subrev_nc_u32_e32 v14, 28, v13
	s_delay_alu instid0(VALU_DEP_1) | instskip(NEXT) | instid1(VALU_DEP_1)
	v_dual_sub_nc_u32 v13, 29, v13 :: v_dual_lshlrev_b32 v14, v14, v11
	v_dual_lshlrev_b32 v11, 24, v11 :: v_dual_bitop2_b32 v14, 7, v14 bitop3:0x40
	s_delay_alu instid0(VALU_DEP_2) | instskip(NEXT) | instid1(VALU_DEP_2)
	v_cndmask_b32_e32 v13, v15, v13, vcc_lo
	v_and_b32_e32 v11, 0x80000000, v11
	s_delay_alu instid0(VALU_DEP_3) | instskip(NEXT) | instid1(VALU_DEP_3)
	v_cndmask_b32_e32 v12, v12, v14, vcc_lo
	v_lshl_add_u32 v13, v13, 23, 0x3b800000
	s_delay_alu instid0(VALU_DEP_2) | instskip(NEXT) | instid1(VALU_DEP_1)
	v_lshlrev_b32_e32 v12, 20, v12
	v_or3_b32 v13, v11, v13, v12
.LBB289_58:
	s_or_b32 exec_lo, exec_lo, s13
	v_and_b32_e32 v12, 0xff, v10
	s_mov_b32 s0, 0
	s_mov_b32 s13, exec_lo
	s_delay_alu instid0(VALU_DEP_1)
	v_cmpx_lt_i16_e32 0x7f, v12
	s_xor_b32 s13, exec_lo, s13
	s_cbranch_execnz .LBB289_473
; %bb.59:
	s_or_saveexec_b32 s13, s13
	v_mov_b32_e32 v11, 0x7f800001
	s_xor_b32 exec_lo, exec_lo, s13
	s_cbranch_execnz .LBB289_476
.LBB289_60:
	s_or_b32 exec_lo, exec_lo, s13
	s_and_saveexec_b32 s13, s0
	s_cbranch_execz .LBB289_62
.LBB289_61:
	v_bfe_u32 v11, v6, 16, 3
	v_bfe_u32 v15, v6, 19, 4
	s_delay_alu instid0(VALU_DEP_2) | instskip(NEXT) | instid1(VALU_DEP_2)
	v_clz_i32_u32_e32 v12, v11
	v_cmp_eq_u32_e32 vcc_lo, 0, v15
	s_delay_alu instid0(VALU_DEP_2) | instskip(NEXT) | instid1(VALU_DEP_1)
	v_min_u32_e32 v12, 32, v12
	v_subrev_nc_u32_e32 v14, 28, v12
	s_delay_alu instid0(VALU_DEP_1) | instskip(NEXT) | instid1(VALU_DEP_1)
	v_dual_sub_nc_u32 v12, 29, v12 :: v_dual_lshlrev_b32 v14, v14, v10
	v_dual_cndmask_b32 v12, v15, v12, vcc_lo :: v_dual_bitop2_b32 v14, 7, v14 bitop3:0x40
	s_delay_alu instid0(VALU_DEP_1) | instskip(NEXT) | instid1(VALU_DEP_2)
	v_lshl_add_u32 v12, v12, 23, 0x3b800000
	v_cndmask_b32_e32 v11, v11, v14, vcc_lo
	s_delay_alu instid0(VALU_DEP_1) | instskip(NEXT) | instid1(VALU_DEP_1)
	v_dual_lshlrev_b32 v10, 24, v10 :: v_dual_lshlrev_b32 v11, 20, v11
	v_and_b32_e32 v10, 0x80000000, v10
	s_delay_alu instid0(VALU_DEP_1)
	v_or3_b32 v11, v10, v12, v11
.LBB289_62:
	s_or_b32 exec_lo, exec_lo, s13
	s_delay_alu instid0(VALU_DEP_1)
	v_cmp_eq_f32_e64 s13, v13, v11
.LBB289_63:
	v_dual_lshrrev_b32 v11, 24, v8 :: v_dual_lshrrev_b32 v10, 24, v6
	v_cmp_ne_u32_e32 vcc_lo, 1, v1
	s_delay_alu instid0(VALU_DEP_2)
	v_cmp_lt_i16_e64 s0, 0x7f, v11
	s_cbranch_vccnz .LBB289_83
; %bb.64:
	s_wait_xcnt 0x0
	s_mov_b32 s14, 0
	s_and_saveexec_b32 s15, s0
	s_delay_alu instid0(SALU_CYCLE_1)
	s_xor_b32 s0, exec_lo, s15
	s_cbranch_execnz .LBB289_349
; %bb.65:
	s_or_saveexec_b32 s0, s0
	v_mov_b32_e32 v12, 0x7f800001
	s_xor_b32 exec_lo, exec_lo, s0
	s_cbranch_execnz .LBB289_352
.LBB289_66:
	s_or_b32 exec_lo, exec_lo, s0
	s_and_saveexec_b32 s0, s14
	s_cbranch_execz .LBB289_68
.LBB289_67:
	v_bfe_u32 v12, v8, 24, 3
	v_bfe_u32 v15, v8, 27, 4
	s_delay_alu instid0(VALU_DEP_2) | instskip(NEXT) | instid1(VALU_DEP_2)
	v_clz_i32_u32_e32 v13, v12
	v_cmp_eq_u32_e32 vcc_lo, 0, v15
	s_delay_alu instid0(VALU_DEP_2) | instskip(NEXT) | instid1(VALU_DEP_1)
	v_min_u32_e32 v13, 32, v13
	v_subrev_nc_u32_e32 v14, 28, v13
	s_delay_alu instid0(VALU_DEP_1) | instskip(NEXT) | instid1(VALU_DEP_1)
	v_dual_sub_nc_u32 v13, 29, v13 :: v_dual_lshlrev_b32 v14, v14, v11
	v_dual_cndmask_b32 v13, v15, v13, vcc_lo :: v_dual_bitop2_b32 v14, 7, v14 bitop3:0x40
	s_delay_alu instid0(VALU_DEP_1) | instskip(NEXT) | instid1(VALU_DEP_2)
	v_lshl_add_u32 v13, v13, 23, 0x3b800000
	v_cndmask_b32_e32 v12, v12, v14, vcc_lo
	v_and_b32_e32 v14, 0x80000000, v8
	s_delay_alu instid0(VALU_DEP_2) | instskip(NEXT) | instid1(VALU_DEP_1)
	v_lshlrev_b32_e32 v12, 20, v12
	v_or3_b32 v12, v14, v13, v12
.LBB289_68:
	s_or_b32 exec_lo, exec_lo, s0
	s_mov_b32 s0, 0
	s_mov_b32 s14, exec_lo
	v_cmpx_lt_i16_e32 0x7f, v10
	s_xor_b32 s14, exec_lo, s14
	s_cbranch_execnz .LBB289_353
; %bb.69:
	s_or_saveexec_b32 s14, s14
	v_mov_b32_e32 v13, 0x7f800001
	s_xor_b32 exec_lo, exec_lo, s14
	s_cbranch_execnz .LBB289_356
.LBB289_70:
	s_or_b32 exec_lo, exec_lo, s14
	s_and_saveexec_b32 s14, s0
	s_cbranch_execz .LBB289_72
.LBB289_71:
	v_bfe_u32 v13, v6, 24, 3
	v_bfe_u32 v16, v6, 27, 4
	s_delay_alu instid0(VALU_DEP_2) | instskip(NEXT) | instid1(VALU_DEP_2)
	v_clz_i32_u32_e32 v14, v13
	v_cmp_eq_u32_e32 vcc_lo, 0, v16
	s_delay_alu instid0(VALU_DEP_2) | instskip(NEXT) | instid1(VALU_DEP_1)
	v_min_u32_e32 v14, 32, v14
	v_subrev_nc_u32_e32 v15, 28, v14
	s_delay_alu instid0(VALU_DEP_1) | instskip(NEXT) | instid1(VALU_DEP_1)
	v_lshlrev_b32_e32 v15, v15, v10
	v_dual_sub_nc_u32 v14, 29, v14 :: v_dual_bitop2_b32 v15, 7, v15 bitop3:0x40
	s_delay_alu instid0(VALU_DEP_1) | instskip(SKIP_1) | instid1(VALU_DEP_2)
	v_dual_cndmask_b32 v14, v16, v14 :: v_dual_cndmask_b32 v13, v13, v15
	v_and_b32_e32 v15, 0x80000000, v6
	v_lshl_add_u32 v14, v14, 23, 0x3b800000
	s_delay_alu instid0(VALU_DEP_3) | instskip(NEXT) | instid1(VALU_DEP_1)
	v_lshlrev_b32_e32 v13, 20, v13
	v_or3_b32 v13, v15, v14, v13
.LBB289_72:
	s_or_b32 exec_lo, exec_lo, s14
	s_delay_alu instid0(VALU_DEP_1)
	v_cmp_neq_f32_e64 s14, v12, v13
.LBB289_73:
	v_cmp_ne_u32_e32 vcc_lo, 1, v1
	v_and_b32_e32 v6, 0xff, v9
	s_cbranch_vccnz .LBB289_93
.LBB289_74:
	s_mov_b32 s0, 0
	s_wait_xcnt 0x0
	s_mov_b32 s15, exec_lo
	v_cmpx_lt_i16_e32 0x7f, v6
	s_xor_b32 s15, exec_lo, s15
	s_cbranch_execnz .LBB289_357
; %bb.75:
	s_or_saveexec_b32 s15, s15
	v_mov_b32_e32 v8, 0x7f800001
	s_xor_b32 exec_lo, exec_lo, s15
	s_cbranch_execnz .LBB289_360
.LBB289_76:
	s_or_b32 exec_lo, exec_lo, s15
	s_and_saveexec_b32 s15, s0
	s_cbranch_execz .LBB289_78
.LBB289_77:
	v_and_b32_e32 v8, 7, v9
	v_bfe_u32 v12, v9, 3, 4
	s_delay_alu instid0(VALU_DEP_2) | instskip(NEXT) | instid1(VALU_DEP_2)
	v_clz_i32_u32_e32 v10, v8
	v_cmp_eq_u32_e32 vcc_lo, 0, v12
	s_delay_alu instid0(VALU_DEP_2) | instskip(NEXT) | instid1(VALU_DEP_1)
	v_min_u32_e32 v10, 32, v10
	v_subrev_nc_u32_e32 v11, 28, v10
	s_delay_alu instid0(VALU_DEP_1) | instskip(NEXT) | instid1(VALU_DEP_1)
	v_dual_lshlrev_b32 v11, v11, v9 :: v_dual_sub_nc_u32 v10, 29, v10
	v_dual_lshlrev_b32 v13, 24, v9 :: v_dual_bitop2_b32 v11, 7, v11 bitop3:0x40
	s_delay_alu instid0(VALU_DEP_2) | instskip(NEXT) | instid1(VALU_DEP_2)
	v_cndmask_b32_e32 v10, v12, v10, vcc_lo
	v_cndmask_b32_e32 v8, v8, v11, vcc_lo
	s_delay_alu instid0(VALU_DEP_3) | instskip(NEXT) | instid1(VALU_DEP_3)
	v_and_b32_e32 v11, 0x80000000, v13
	v_lshl_add_u32 v10, v10, 23, 0x3b800000
	s_delay_alu instid0(VALU_DEP_3) | instskip(NEXT) | instid1(VALU_DEP_1)
	v_lshlrev_b32_e32 v8, 20, v8
	v_or3_b32 v8, v11, v10, v8
.LBB289_78:
	s_or_b32 exec_lo, exec_lo, s15
	v_and_b32_e32 v11, 0xff, v7
	s_mov_b32 s0, 0
	s_mov_b32 s15, exec_lo
	s_delay_alu instid0(VALU_DEP_1)
	v_cmpx_lt_i16_e32 0x7f, v11
	s_xor_b32 s15, exec_lo, s15
	s_cbranch_execnz .LBB289_361
; %bb.79:
	s_or_saveexec_b32 s15, s15
	v_mov_b32_e32 v10, 0x7f800001
	s_xor_b32 exec_lo, exec_lo, s15
	s_cbranch_execnz .LBB289_364
.LBB289_80:
	s_or_b32 exec_lo, exec_lo, s15
	s_and_saveexec_b32 s15, s0
	s_cbranch_execz .LBB289_82
.LBB289_81:
	v_and_b32_e32 v10, 7, v7
	v_bfe_u32 v13, v7, 3, 4
	s_delay_alu instid0(VALU_DEP_2) | instskip(NEXT) | instid1(VALU_DEP_2)
	v_clz_i32_u32_e32 v11, v10
	v_cmp_eq_u32_e32 vcc_lo, 0, v13
	s_delay_alu instid0(VALU_DEP_2) | instskip(NEXT) | instid1(VALU_DEP_1)
	v_min_u32_e32 v11, 32, v11
	v_subrev_nc_u32_e32 v12, 28, v11
	s_delay_alu instid0(VALU_DEP_1) | instskip(NEXT) | instid1(VALU_DEP_1)
	v_lshlrev_b32_e32 v12, v12, v7
	v_dual_sub_nc_u32 v11, 29, v11 :: v_dual_bitop2_b32 v12, 7, v12 bitop3:0x40
	s_delay_alu instid0(VALU_DEP_1) | instskip(NEXT) | instid1(VALU_DEP_2)
	v_dual_lshlrev_b32 v14, 24, v7 :: v_dual_cndmask_b32 v10, v10, v12, vcc_lo
	v_cndmask_b32_e32 v11, v13, v11, vcc_lo
	s_delay_alu instid0(VALU_DEP_2) | instskip(NEXT) | instid1(VALU_DEP_3)
	v_and_b32_e32 v12, 0x80000000, v14
	v_lshlrev_b32_e32 v10, 20, v10
	s_delay_alu instid0(VALU_DEP_3) | instskip(NEXT) | instid1(VALU_DEP_1)
	v_lshl_add_u32 v11, v11, 23, 0x3b800000
	v_or3_b32 v10, v12, v11, v10
.LBB289_82:
	s_or_b32 exec_lo, exec_lo, s15
	s_delay_alu instid0(VALU_DEP_1)
	v_cmp_neq_f32_e64 s15, v8, v10
	s_branch .LBB289_103
.LBB289_83:
                                        ; implicit-def: $sgpr14
	s_cbranch_execz .LBB289_73
; %bb.84:
	s_mov_b32 s0, 0
	s_wait_xcnt 0x0
	s_mov_b32 s14, exec_lo
	v_cmpx_lt_i16_e32 0x7f, v11
	s_xor_b32 s14, exec_lo, s14
	s_cbranch_execnz .LBB289_477
; %bb.85:
	s_or_saveexec_b32 s14, s14
	v_mov_b32_e32 v12, 0x7f800001
	s_xor_b32 exec_lo, exec_lo, s14
	s_cbranch_execnz .LBB289_480
.LBB289_86:
	s_or_b32 exec_lo, exec_lo, s14
	s_and_saveexec_b32 s14, s0
	s_cbranch_execz .LBB289_88
.LBB289_87:
	v_bfe_u32 v12, v8, 24, 3
	s_delay_alu instid0(VALU_DEP_1) | instskip(NEXT) | instid1(VALU_DEP_1)
	v_clz_i32_u32_e32 v13, v12
	v_min_u32_e32 v13, 32, v13
	s_delay_alu instid0(VALU_DEP_1) | instskip(NEXT) | instid1(VALU_DEP_1)
	v_subrev_nc_u32_e32 v14, 28, v13
	v_dual_sub_nc_u32 v13, 29, v13 :: v_dual_lshlrev_b32 v11, v14, v11
	v_bfe_u32 v14, v8, 27, 4
	v_and_b32_e32 v8, 0x80000000, v8
	s_delay_alu instid0(VALU_DEP_2) | instskip(NEXT) | instid1(VALU_DEP_4)
	v_cmp_eq_u32_e32 vcc_lo, 0, v14
	v_dual_cndmask_b32 v13, v14, v13, vcc_lo :: v_dual_bitop2_b32 v11, 7, v11 bitop3:0x40
	s_delay_alu instid0(VALU_DEP_1) | instskip(NEXT) | instid1(VALU_DEP_2)
	v_cndmask_b32_e32 v11, v12, v11, vcc_lo
	v_lshl_add_u32 v12, v13, 23, 0x3b800000
	s_delay_alu instid0(VALU_DEP_2) | instskip(NEXT) | instid1(VALU_DEP_1)
	v_lshlrev_b32_e32 v11, 20, v11
	v_or3_b32 v12, v8, v12, v11
.LBB289_88:
	s_or_b32 exec_lo, exec_lo, s14
	s_mov_b32 s0, 0
	s_mov_b32 s14, exec_lo
	v_cmpx_lt_i16_e32 0x7f, v10
	s_xor_b32 s14, exec_lo, s14
	s_cbranch_execnz .LBB289_481
; %bb.89:
	s_or_saveexec_b32 s14, s14
	v_mov_b32_e32 v8, 0x7f800001
	s_xor_b32 exec_lo, exec_lo, s14
	s_cbranch_execnz .LBB289_484
.LBB289_90:
	s_or_b32 exec_lo, exec_lo, s14
	s_and_saveexec_b32 s14, s0
	s_cbranch_execz .LBB289_92
.LBB289_91:
	v_bfe_u32 v8, v6, 24, 3
	s_delay_alu instid0(VALU_DEP_1) | instskip(NEXT) | instid1(VALU_DEP_1)
	v_clz_i32_u32_e32 v11, v8
	v_min_u32_e32 v11, 32, v11
	s_delay_alu instid0(VALU_DEP_1) | instskip(NEXT) | instid1(VALU_DEP_1)
	v_subrev_nc_u32_e32 v13, 28, v11
	v_dual_sub_nc_u32 v11, 29, v11 :: v_dual_lshlrev_b32 v10, v13, v10
	v_bfe_u32 v13, v6, 27, 4
	v_and_b32_e32 v6, 0x80000000, v6
	s_delay_alu instid0(VALU_DEP_2) | instskip(NEXT) | instid1(VALU_DEP_4)
	v_cmp_eq_u32_e32 vcc_lo, 0, v13
	v_dual_cndmask_b32 v11, v13, v11, vcc_lo :: v_dual_bitop2_b32 v10, 7, v10 bitop3:0x40
	s_delay_alu instid0(VALU_DEP_1) | instskip(NEXT) | instid1(VALU_DEP_2)
	v_cndmask_b32_e32 v8, v8, v10, vcc_lo
	v_lshl_add_u32 v10, v11, 23, 0x3b800000
	s_delay_alu instid0(VALU_DEP_2) | instskip(NEXT) | instid1(VALU_DEP_1)
	v_lshlrev_b32_e32 v8, 20, v8
	v_or3_b32 v8, v6, v10, v8
.LBB289_92:
	s_or_b32 exec_lo, exec_lo, s14
	s_delay_alu instid0(VALU_DEP_1)
	v_cmp_eq_f32_e64 s14, v12, v8
	v_cmp_ne_u32_e32 vcc_lo, 1, v1
	v_and_b32_e32 v6, 0xff, v9
	s_cbranch_vccz .LBB289_74
.LBB289_93:
                                        ; implicit-def: $sgpr15
	s_cbranch_execz .LBB289_103
; %bb.94:
	s_mov_b32 s0, 0
	s_wait_xcnt 0x0
	s_mov_b32 s15, exec_lo
	v_cmpx_lt_i16_e32 0x7f, v6
	s_xor_b32 s15, exec_lo, s15
	s_cbranch_execnz .LBB289_485
; %bb.95:
	s_or_saveexec_b32 s15, s15
	v_mov_b32_e32 v8, 0x7f800001
	s_xor_b32 exec_lo, exec_lo, s15
	s_cbranch_execnz .LBB289_488
.LBB289_96:
	s_or_b32 exec_lo, exec_lo, s15
	s_and_saveexec_b32 s15, s0
	s_cbranch_execz .LBB289_98
.LBB289_97:
	v_and_b32_e32 v6, 7, v9
	v_bfe_u32 v11, v9, 3, 4
	s_delay_alu instid0(VALU_DEP_2) | instskip(NEXT) | instid1(VALU_DEP_2)
	v_clz_i32_u32_e32 v8, v6
	v_cmp_eq_u32_e32 vcc_lo, 0, v11
	s_delay_alu instid0(VALU_DEP_2) | instskip(NEXT) | instid1(VALU_DEP_1)
	v_min_u32_e32 v8, 32, v8
	v_subrev_nc_u32_e32 v10, 28, v8
	s_delay_alu instid0(VALU_DEP_1) | instskip(NEXT) | instid1(VALU_DEP_1)
	v_dual_lshlrev_b32 v10, v10, v9 :: v_dual_sub_nc_u32 v8, 29, v8
	v_dual_lshlrev_b32 v12, 24, v9 :: v_dual_bitop2_b32 v10, 7, v10 bitop3:0x40
	s_delay_alu instid0(VALU_DEP_1) | instskip(NEXT) | instid1(VALU_DEP_2)
	v_dual_cndmask_b32 v8, v11, v8, vcc_lo :: v_dual_cndmask_b32 v6, v6, v10, vcc_lo
	v_and_b32_e32 v10, 0x80000000, v12
	s_delay_alu instid0(VALU_DEP_2) | instskip(NEXT) | instid1(VALU_DEP_3)
	v_lshl_add_u32 v8, v8, 23, 0x3b800000
	v_lshlrev_b32_e32 v6, 20, v6
	s_delay_alu instid0(VALU_DEP_1)
	v_or3_b32 v8, v10, v8, v6
.LBB289_98:
	s_or_b32 exec_lo, exec_lo, s15
	v_and_b32_e32 v10, 0xff, v7
	s_mov_b32 s0, 0
	s_mov_b32 s15, exec_lo
	s_delay_alu instid0(VALU_DEP_1)
	v_cmpx_lt_i16_e32 0x7f, v10
	s_xor_b32 s15, exec_lo, s15
	s_cbranch_execnz .LBB289_489
; %bb.99:
	s_or_saveexec_b32 s15, s15
	v_mov_b32_e32 v6, 0x7f800001
	s_xor_b32 exec_lo, exec_lo, s15
	s_cbranch_execnz .LBB289_492
.LBB289_100:
	s_or_b32 exec_lo, exec_lo, s15
	s_and_saveexec_b32 s15, s0
	s_cbranch_execz .LBB289_102
.LBB289_101:
	v_and_b32_e32 v6, 7, v7
	v_bfe_u32 v12, v7, 3, 4
	s_delay_alu instid0(VALU_DEP_2) | instskip(NEXT) | instid1(VALU_DEP_2)
	v_clz_i32_u32_e32 v10, v6
	v_cmp_eq_u32_e32 vcc_lo, 0, v12
	s_delay_alu instid0(VALU_DEP_2) | instskip(NEXT) | instid1(VALU_DEP_1)
	v_min_u32_e32 v10, 32, v10
	v_subrev_nc_u32_e32 v11, 28, v10
	s_delay_alu instid0(VALU_DEP_1) | instskip(NEXT) | instid1(VALU_DEP_1)
	v_dual_lshlrev_b32 v11, v11, v7 :: v_dual_sub_nc_u32 v10, 29, v10
	v_and_b32_e32 v11, 7, v11
	s_delay_alu instid0(VALU_DEP_2) | instskip(NEXT) | instid1(VALU_DEP_2)
	v_dual_cndmask_b32 v10, v12, v10 :: v_dual_lshlrev_b32 v13, 24, v7
	v_cndmask_b32_e32 v6, v6, v11, vcc_lo
	s_delay_alu instid0(VALU_DEP_2) | instskip(NEXT) | instid1(VALU_DEP_3)
	v_and_b32_e32 v11, 0x80000000, v13
	v_lshl_add_u32 v10, v10, 23, 0x3b800000
	s_delay_alu instid0(VALU_DEP_3) | instskip(NEXT) | instid1(VALU_DEP_1)
	v_lshlrev_b32_e32 v6, 20, v6
	v_or3_b32 v6, v11, v10, v6
.LBB289_102:
	s_or_b32 exec_lo, exec_lo, s15
	s_delay_alu instid0(VALU_DEP_1)
	v_cmp_eq_f32_e64 s15, v8, v6
.LBB289_103:
	v_dual_lshrrev_b32 v8, 8, v9 :: v_dual_lshrrev_b32 v6, 8, v7
	v_cmp_ne_u32_e32 vcc_lo, 1, v1
	s_delay_alu instid0(VALU_DEP_2)
	v_and_b32_e32 v10, 0xff, v8
	s_cbranch_vccnz .LBB289_113
; %bb.104:
	s_mov_b32 s0, 0
	s_mov_b32 s16, exec_lo
	s_wait_xcnt 0x0
	v_cmpx_lt_i16_e32 0x7f, v10
	s_xor_b32 s16, exec_lo, s16
	s_cbranch_execnz .LBB289_365
; %bb.105:
	s_or_saveexec_b32 s16, s16
	v_mov_b32_e32 v11, 0x7f800001
	s_xor_b32 exec_lo, exec_lo, s16
	s_cbranch_execnz .LBB289_368
.LBB289_106:
	s_or_b32 exec_lo, exec_lo, s16
	s_and_saveexec_b32 s16, s0
	s_cbranch_execz .LBB289_108
.LBB289_107:
	v_bfe_u32 v11, v9, 8, 3
	v_bfe_u32 v14, v9, 11, 4
	v_lshlrev_b32_e32 v15, 24, v8
	s_delay_alu instid0(VALU_DEP_3) | instskip(NEXT) | instid1(VALU_DEP_3)
	v_clz_i32_u32_e32 v12, v11
	v_cmp_eq_u32_e32 vcc_lo, 0, v14
	s_delay_alu instid0(VALU_DEP_2) | instskip(NEXT) | instid1(VALU_DEP_1)
	v_min_u32_e32 v12, 32, v12
	v_subrev_nc_u32_e32 v13, 28, v12
	s_delay_alu instid0(VALU_DEP_1) | instskip(NEXT) | instid1(VALU_DEP_1)
	v_lshlrev_b32_e32 v13, v13, v8
	v_dual_sub_nc_u32 v12, 29, v12 :: v_dual_bitop2_b32 v13, 7, v13 bitop3:0x40
	s_delay_alu instid0(VALU_DEP_1) | instskip(SKIP_1) | instid1(VALU_DEP_2)
	v_dual_cndmask_b32 v12, v14, v12 :: v_dual_cndmask_b32 v11, v11, v13
	v_and_b32_e32 v13, 0x80000000, v15
	v_lshl_add_u32 v12, v12, 23, 0x3b800000
	s_delay_alu instid0(VALU_DEP_3) | instskip(NEXT) | instid1(VALU_DEP_1)
	v_lshlrev_b32_e32 v11, 20, v11
	v_or3_b32 v11, v13, v12, v11
.LBB289_108:
	s_or_b32 exec_lo, exec_lo, s16
	v_and_b32_e32 v13, 0xff, v6
	s_mov_b32 s0, 0
	s_mov_b32 s16, exec_lo
	s_delay_alu instid0(VALU_DEP_1)
	v_cmpx_lt_i16_e32 0x7f, v13
	s_xor_b32 s16, exec_lo, s16
	s_cbranch_execnz .LBB289_369
; %bb.109:
	s_or_saveexec_b32 s16, s16
	v_mov_b32_e32 v12, 0x7f800001
	s_xor_b32 exec_lo, exec_lo, s16
	s_cbranch_execnz .LBB289_372
.LBB289_110:
	s_or_b32 exec_lo, exec_lo, s16
	s_and_saveexec_b32 s16, s0
	s_cbranch_execz .LBB289_112
.LBB289_111:
	v_bfe_u32 v12, v7, 8, 3
	v_bfe_u32 v15, v7, 11, 4
	s_delay_alu instid0(VALU_DEP_2) | instskip(NEXT) | instid1(VALU_DEP_2)
	v_clz_i32_u32_e32 v13, v12
	v_cmp_eq_u32_e32 vcc_lo, 0, v15
	s_delay_alu instid0(VALU_DEP_2) | instskip(NEXT) | instid1(VALU_DEP_1)
	v_min_u32_e32 v13, 32, v13
	v_subrev_nc_u32_e32 v14, 28, v13
	s_delay_alu instid0(VALU_DEP_1) | instskip(NEXT) | instid1(VALU_DEP_1)
	v_dual_sub_nc_u32 v13, 29, v13 :: v_dual_lshlrev_b32 v14, v14, v6
	v_dual_cndmask_b32 v13, v15, v13, vcc_lo :: v_dual_bitop2_b32 v14, 7, v14 bitop3:0x40
	s_delay_alu instid0(VALU_DEP_1) | instskip(NEXT) | instid1(VALU_DEP_2)
	v_lshl_add_u32 v13, v13, 23, 0x3b800000
	v_cndmask_b32_e32 v12, v12, v14, vcc_lo
	s_delay_alu instid0(VALU_DEP_1) | instskip(NEXT) | instid1(VALU_DEP_1)
	v_dual_lshlrev_b32 v16, 24, v6 :: v_dual_lshlrev_b32 v12, 20, v12
	v_and_b32_e32 v14, 0x80000000, v16
	s_delay_alu instid0(VALU_DEP_1)
	v_or3_b32 v12, v14, v13, v12
.LBB289_112:
	s_or_b32 exec_lo, exec_lo, s16
	s_delay_alu instid0(VALU_DEP_1)
	v_cmp_neq_f32_e64 s16, v11, v12
	s_branch .LBB289_123
.LBB289_113:
                                        ; implicit-def: $sgpr16
	s_cbranch_execz .LBB289_123
; %bb.114:
	s_mov_b32 s0, 0
	s_mov_b32 s16, exec_lo
	s_wait_xcnt 0x0
	v_cmpx_lt_i16_e32 0x7f, v10
	s_xor_b32 s16, exec_lo, s16
	s_cbranch_execnz .LBB289_493
; %bb.115:
	s_or_saveexec_b32 s16, s16
	v_mov_b32_e32 v11, 0x7f800001
	s_xor_b32 exec_lo, exec_lo, s16
	s_cbranch_execnz .LBB289_496
.LBB289_116:
	s_or_b32 exec_lo, exec_lo, s16
	s_and_saveexec_b32 s16, s0
	s_cbranch_execz .LBB289_118
.LBB289_117:
	v_bfe_u32 v10, v9, 8, 3
	v_bfe_u32 v13, v9, 11, 4
	s_delay_alu instid0(VALU_DEP_2) | instskip(NEXT) | instid1(VALU_DEP_2)
	v_clz_i32_u32_e32 v11, v10
	v_cmp_eq_u32_e32 vcc_lo, 0, v13
	s_delay_alu instid0(VALU_DEP_2) | instskip(NEXT) | instid1(VALU_DEP_1)
	v_min_u32_e32 v11, 32, v11
	v_subrev_nc_u32_e32 v12, 28, v11
	s_delay_alu instid0(VALU_DEP_1) | instskip(NEXT) | instid1(VALU_DEP_1)
	v_dual_sub_nc_u32 v11, 29, v11 :: v_dual_lshlrev_b32 v12, v12, v8
	v_dual_cndmask_b32 v11, v13, v11, vcc_lo :: v_dual_bitop2_b32 v12, 7, v12 bitop3:0x40
	s_delay_alu instid0(VALU_DEP_1) | instskip(NEXT) | instid1(VALU_DEP_2)
	v_lshl_add_u32 v11, v11, 23, 0x3b800000
	v_cndmask_b32_e32 v10, v10, v12, vcc_lo
	s_delay_alu instid0(VALU_DEP_1) | instskip(NEXT) | instid1(VALU_DEP_1)
	v_dual_lshlrev_b32 v8, 24, v8 :: v_dual_lshlrev_b32 v10, 20, v10
	v_and_b32_e32 v8, 0x80000000, v8
	s_delay_alu instid0(VALU_DEP_1)
	v_or3_b32 v11, v8, v11, v10
.LBB289_118:
	s_or_b32 exec_lo, exec_lo, s16
	v_and_b32_e32 v10, 0xff, v6
	s_mov_b32 s0, 0
	s_mov_b32 s16, exec_lo
	s_delay_alu instid0(VALU_DEP_1)
	v_cmpx_lt_i16_e32 0x7f, v10
	s_xor_b32 s16, exec_lo, s16
	s_cbranch_execnz .LBB289_497
; %bb.119:
	s_or_saveexec_b32 s16, s16
	v_mov_b32_e32 v8, 0x7f800001
	s_xor_b32 exec_lo, exec_lo, s16
	s_cbranch_execnz .LBB289_500
.LBB289_120:
	s_or_b32 exec_lo, exec_lo, s16
	s_and_saveexec_b32 s16, s0
	s_cbranch_execz .LBB289_122
.LBB289_121:
	v_bfe_u32 v8, v7, 8, 3
	v_bfe_u32 v13, v7, 11, 4
	s_delay_alu instid0(VALU_DEP_2) | instskip(NEXT) | instid1(VALU_DEP_2)
	v_clz_i32_u32_e32 v10, v8
	v_cmp_eq_u32_e32 vcc_lo, 0, v13
	s_delay_alu instid0(VALU_DEP_2) | instskip(NEXT) | instid1(VALU_DEP_1)
	v_min_u32_e32 v10, 32, v10
	v_subrev_nc_u32_e32 v12, 28, v10
	s_delay_alu instid0(VALU_DEP_1) | instskip(NEXT) | instid1(VALU_DEP_1)
	v_dual_lshlrev_b32 v12, v12, v6 :: v_dual_lshlrev_b32 v6, 24, v6
	v_dual_sub_nc_u32 v10, 29, v10 :: v_dual_bitop2_b32 v12, 7, v12 bitop3:0x40
	s_delay_alu instid0(VALU_DEP_2) | instskip(NEXT) | instid1(VALU_DEP_2)
	v_and_b32_e32 v6, 0x80000000, v6
	v_dual_cndmask_b32 v10, v13, v10, vcc_lo :: v_dual_cndmask_b32 v8, v8, v12, vcc_lo
	s_delay_alu instid0(VALU_DEP_1) | instskip(NEXT) | instid1(VALU_DEP_2)
	v_lshl_add_u32 v10, v10, 23, 0x3b800000
	v_lshlrev_b32_e32 v8, 20, v8
	s_delay_alu instid0(VALU_DEP_1)
	v_or3_b32 v8, v6, v10, v8
.LBB289_122:
	s_or_b32 exec_lo, exec_lo, s16
	s_delay_alu instid0(VALU_DEP_1)
	v_cmp_eq_f32_e64 s16, v11, v8
.LBB289_123:
	v_dual_lshrrev_b32 v8, 16, v9 :: v_dual_lshrrev_b32 v6, 16, v7
	v_cmp_ne_u32_e32 vcc_lo, 1, v1
	s_delay_alu instid0(VALU_DEP_2)
	v_and_b32_e32 v10, 0xff, v8
	s_cbranch_vccnz .LBB289_133
; %bb.124:
	s_mov_b32 s0, 0
	s_mov_b32 s17, exec_lo
	s_wait_xcnt 0x0
	v_cmpx_lt_i16_e32 0x7f, v10
	s_xor_b32 s17, exec_lo, s17
	s_cbranch_execnz .LBB289_373
; %bb.125:
	s_or_saveexec_b32 s17, s17
	v_mov_b32_e32 v11, 0x7f800001
	s_xor_b32 exec_lo, exec_lo, s17
	s_cbranch_execnz .LBB289_376
.LBB289_126:
	s_or_b32 exec_lo, exec_lo, s17
	s_and_saveexec_b32 s17, s0
	s_cbranch_execz .LBB289_128
.LBB289_127:
	v_bfe_u32 v11, v9, 16, 3
	v_bfe_u32 v14, v9, 19, 4
	v_lshlrev_b32_e32 v15, 24, v8
	s_delay_alu instid0(VALU_DEP_3) | instskip(NEXT) | instid1(VALU_DEP_3)
	v_clz_i32_u32_e32 v12, v11
	v_cmp_eq_u32_e32 vcc_lo, 0, v14
	s_delay_alu instid0(VALU_DEP_2) | instskip(NEXT) | instid1(VALU_DEP_1)
	v_min_u32_e32 v12, 32, v12
	v_subrev_nc_u32_e32 v13, 28, v12
	s_delay_alu instid0(VALU_DEP_1) | instskip(NEXT) | instid1(VALU_DEP_1)
	v_lshlrev_b32_e32 v13, v13, v8
	v_dual_sub_nc_u32 v12, 29, v12 :: v_dual_bitop2_b32 v13, 7, v13 bitop3:0x40
	s_delay_alu instid0(VALU_DEP_1) | instskip(SKIP_1) | instid1(VALU_DEP_2)
	v_dual_cndmask_b32 v12, v14, v12 :: v_dual_cndmask_b32 v11, v11, v13
	v_and_b32_e32 v13, 0x80000000, v15
	v_lshl_add_u32 v12, v12, 23, 0x3b800000
	s_delay_alu instid0(VALU_DEP_3) | instskip(NEXT) | instid1(VALU_DEP_1)
	v_lshlrev_b32_e32 v11, 20, v11
	v_or3_b32 v11, v13, v12, v11
.LBB289_128:
	s_or_b32 exec_lo, exec_lo, s17
	v_and_b32_e32 v13, 0xff, v6
	s_mov_b32 s0, 0
	s_mov_b32 s17, exec_lo
	s_delay_alu instid0(VALU_DEP_1)
	v_cmpx_lt_i16_e32 0x7f, v13
	s_xor_b32 s17, exec_lo, s17
	s_cbranch_execnz .LBB289_377
; %bb.129:
	s_or_saveexec_b32 s17, s17
	v_mov_b32_e32 v12, 0x7f800001
	s_xor_b32 exec_lo, exec_lo, s17
	s_cbranch_execnz .LBB289_380
.LBB289_130:
	s_or_b32 exec_lo, exec_lo, s17
	s_and_saveexec_b32 s17, s0
	s_cbranch_execz .LBB289_132
.LBB289_131:
	v_bfe_u32 v12, v7, 16, 3
	v_bfe_u32 v15, v7, 19, 4
	s_delay_alu instid0(VALU_DEP_2) | instskip(NEXT) | instid1(VALU_DEP_2)
	v_clz_i32_u32_e32 v13, v12
	v_cmp_eq_u32_e32 vcc_lo, 0, v15
	s_delay_alu instid0(VALU_DEP_2) | instskip(NEXT) | instid1(VALU_DEP_1)
	v_min_u32_e32 v13, 32, v13
	v_subrev_nc_u32_e32 v14, 28, v13
	s_delay_alu instid0(VALU_DEP_1) | instskip(NEXT) | instid1(VALU_DEP_1)
	v_dual_sub_nc_u32 v13, 29, v13 :: v_dual_lshlrev_b32 v14, v14, v6
	v_dual_cndmask_b32 v13, v15, v13, vcc_lo :: v_dual_bitop2_b32 v14, 7, v14 bitop3:0x40
	s_delay_alu instid0(VALU_DEP_1) | instskip(NEXT) | instid1(VALU_DEP_2)
	v_lshl_add_u32 v13, v13, 23, 0x3b800000
	v_cndmask_b32_e32 v12, v12, v14, vcc_lo
	s_delay_alu instid0(VALU_DEP_1) | instskip(NEXT) | instid1(VALU_DEP_1)
	v_dual_lshlrev_b32 v16, 24, v6 :: v_dual_lshlrev_b32 v12, 20, v12
	v_and_b32_e32 v14, 0x80000000, v16
	s_delay_alu instid0(VALU_DEP_1)
	v_or3_b32 v12, v14, v13, v12
.LBB289_132:
	s_or_b32 exec_lo, exec_lo, s17
	s_delay_alu instid0(VALU_DEP_1)
	v_cmp_neq_f32_e64 s17, v11, v12
	s_branch .LBB289_143
.LBB289_133:
                                        ; implicit-def: $sgpr17
	s_cbranch_execz .LBB289_143
; %bb.134:
	s_mov_b32 s0, 0
	s_mov_b32 s17, exec_lo
	s_wait_xcnt 0x0
	v_cmpx_lt_i16_e32 0x7f, v10
	s_xor_b32 s17, exec_lo, s17
	s_cbranch_execnz .LBB289_501
; %bb.135:
	s_or_saveexec_b32 s17, s17
	v_mov_b32_e32 v11, 0x7f800001
	s_xor_b32 exec_lo, exec_lo, s17
	s_cbranch_execnz .LBB289_504
.LBB289_136:
	s_or_b32 exec_lo, exec_lo, s17
	s_and_saveexec_b32 s17, s0
	s_cbranch_execz .LBB289_138
.LBB289_137:
	v_bfe_u32 v10, v9, 16, 3
	v_bfe_u32 v13, v9, 19, 4
	s_delay_alu instid0(VALU_DEP_2) | instskip(NEXT) | instid1(VALU_DEP_2)
	v_clz_i32_u32_e32 v11, v10
	v_cmp_eq_u32_e32 vcc_lo, 0, v13
	s_delay_alu instid0(VALU_DEP_2) | instskip(NEXT) | instid1(VALU_DEP_1)
	v_min_u32_e32 v11, 32, v11
	v_subrev_nc_u32_e32 v12, 28, v11
	s_delay_alu instid0(VALU_DEP_1) | instskip(NEXT) | instid1(VALU_DEP_1)
	v_dual_sub_nc_u32 v11, 29, v11 :: v_dual_lshlrev_b32 v12, v12, v8
	v_dual_cndmask_b32 v11, v13, v11, vcc_lo :: v_dual_bitop2_b32 v12, 7, v12 bitop3:0x40
	s_delay_alu instid0(VALU_DEP_1) | instskip(NEXT) | instid1(VALU_DEP_2)
	v_lshl_add_u32 v11, v11, 23, 0x3b800000
	v_cndmask_b32_e32 v10, v10, v12, vcc_lo
	s_delay_alu instid0(VALU_DEP_1) | instskip(NEXT) | instid1(VALU_DEP_1)
	v_dual_lshlrev_b32 v8, 24, v8 :: v_dual_lshlrev_b32 v10, 20, v10
	v_and_b32_e32 v8, 0x80000000, v8
	s_delay_alu instid0(VALU_DEP_1)
	v_or3_b32 v11, v8, v11, v10
.LBB289_138:
	s_or_b32 exec_lo, exec_lo, s17
	v_and_b32_e32 v10, 0xff, v6
	s_mov_b32 s0, 0
	s_mov_b32 s17, exec_lo
	s_delay_alu instid0(VALU_DEP_1)
	v_cmpx_lt_i16_e32 0x7f, v10
	s_xor_b32 s17, exec_lo, s17
	s_cbranch_execnz .LBB289_505
; %bb.139:
	s_or_saveexec_b32 s17, s17
	v_mov_b32_e32 v8, 0x7f800001
	s_xor_b32 exec_lo, exec_lo, s17
	s_cbranch_execnz .LBB289_508
.LBB289_140:
	s_or_b32 exec_lo, exec_lo, s17
	s_and_saveexec_b32 s17, s0
	s_cbranch_execz .LBB289_142
.LBB289_141:
	v_bfe_u32 v8, v7, 16, 3
	v_bfe_u32 v13, v7, 19, 4
	s_delay_alu instid0(VALU_DEP_2) | instskip(NEXT) | instid1(VALU_DEP_2)
	v_clz_i32_u32_e32 v10, v8
	v_cmp_eq_u32_e32 vcc_lo, 0, v13
	s_delay_alu instid0(VALU_DEP_2) | instskip(NEXT) | instid1(VALU_DEP_1)
	v_min_u32_e32 v10, 32, v10
	v_subrev_nc_u32_e32 v12, 28, v10
	s_delay_alu instid0(VALU_DEP_1) | instskip(NEXT) | instid1(VALU_DEP_1)
	v_dual_lshlrev_b32 v12, v12, v6 :: v_dual_lshlrev_b32 v6, 24, v6
	v_dual_sub_nc_u32 v10, 29, v10 :: v_dual_bitop2_b32 v12, 7, v12 bitop3:0x40
	s_delay_alu instid0(VALU_DEP_2) | instskip(NEXT) | instid1(VALU_DEP_2)
	v_and_b32_e32 v6, 0x80000000, v6
	v_dual_cndmask_b32 v10, v13, v10, vcc_lo :: v_dual_cndmask_b32 v8, v8, v12, vcc_lo
	s_delay_alu instid0(VALU_DEP_1) | instskip(NEXT) | instid1(VALU_DEP_2)
	v_lshl_add_u32 v10, v10, 23, 0x3b800000
	v_lshlrev_b32_e32 v8, 20, v8
	s_delay_alu instid0(VALU_DEP_1)
	v_or3_b32 v8, v6, v10, v8
.LBB289_142:
	s_or_b32 exec_lo, exec_lo, s17
	s_delay_alu instid0(VALU_DEP_1)
	v_cmp_eq_f32_e64 s17, v11, v8
.LBB289_143:
	v_dual_lshrrev_b32 v8, 24, v9 :: v_dual_lshrrev_b32 v6, 24, v7
	v_cmp_ne_u32_e32 vcc_lo, 1, v1
	s_delay_alu instid0(VALU_DEP_2)
	v_cmp_lt_i16_e64 s0, 0x7f, v8
	s_cbranch_vccnz .LBB289_163
; %bb.144:
	s_mov_b32 s18, 0
	s_wait_xcnt 0x0
	s_and_saveexec_b32 s19, s0
	s_delay_alu instid0(SALU_CYCLE_1)
	s_xor_b32 s0, exec_lo, s19
	s_cbranch_execnz .LBB289_381
; %bb.145:
	s_or_saveexec_b32 s0, s0
	v_mov_b32_e32 v10, 0x7f800001
	s_xor_b32 exec_lo, exec_lo, s0
	s_cbranch_execnz .LBB289_384
.LBB289_146:
	s_or_b32 exec_lo, exec_lo, s0
	s_and_saveexec_b32 s0, s18
	s_cbranch_execz .LBB289_148
.LBB289_147:
	v_bfe_u32 v10, v9, 24, 3
	v_bfe_u32 v13, v9, 27, 4
	s_delay_alu instid0(VALU_DEP_2) | instskip(NEXT) | instid1(VALU_DEP_2)
	v_clz_i32_u32_e32 v11, v10
	v_cmp_eq_u32_e32 vcc_lo, 0, v13
	s_delay_alu instid0(VALU_DEP_2) | instskip(NEXT) | instid1(VALU_DEP_1)
	v_min_u32_e32 v11, 32, v11
	v_subrev_nc_u32_e32 v12, 28, v11
	s_delay_alu instid0(VALU_DEP_1) | instskip(NEXT) | instid1(VALU_DEP_1)
	v_dual_sub_nc_u32 v11, 29, v11 :: v_dual_lshlrev_b32 v12, v12, v8
	v_dual_cndmask_b32 v11, v13, v11, vcc_lo :: v_dual_bitop2_b32 v12, 7, v12 bitop3:0x40
	s_delay_alu instid0(VALU_DEP_1) | instskip(NEXT) | instid1(VALU_DEP_2)
	v_lshl_add_u32 v11, v11, 23, 0x3b800000
	v_cndmask_b32_e32 v10, v10, v12, vcc_lo
	v_and_b32_e32 v12, 0x80000000, v9
	s_delay_alu instid0(VALU_DEP_2) | instskip(NEXT) | instid1(VALU_DEP_1)
	v_lshlrev_b32_e32 v10, 20, v10
	v_or3_b32 v10, v12, v11, v10
.LBB289_148:
	s_or_b32 exec_lo, exec_lo, s0
	s_mov_b32 s0, 0
	s_mov_b32 s18, exec_lo
	v_cmpx_lt_i16_e32 0x7f, v6
	s_xor_b32 s18, exec_lo, s18
	s_cbranch_execnz .LBB289_385
; %bb.149:
	s_or_saveexec_b32 s18, s18
	v_mov_b32_e32 v11, 0x7f800001
	s_xor_b32 exec_lo, exec_lo, s18
	s_cbranch_execnz .LBB289_388
.LBB289_150:
	s_or_b32 exec_lo, exec_lo, s18
	s_and_saveexec_b32 s18, s0
	s_cbranch_execz .LBB289_152
.LBB289_151:
	v_bfe_u32 v11, v7, 24, 3
	v_bfe_u32 v14, v7, 27, 4
	s_delay_alu instid0(VALU_DEP_2) | instskip(NEXT) | instid1(VALU_DEP_2)
	v_clz_i32_u32_e32 v12, v11
	v_cmp_eq_u32_e32 vcc_lo, 0, v14
	s_delay_alu instid0(VALU_DEP_2) | instskip(NEXT) | instid1(VALU_DEP_1)
	v_min_u32_e32 v12, 32, v12
	v_subrev_nc_u32_e32 v13, 28, v12
	s_delay_alu instid0(VALU_DEP_1) | instskip(NEXT) | instid1(VALU_DEP_1)
	v_dual_sub_nc_u32 v12, 29, v12 :: v_dual_lshlrev_b32 v13, v13, v6
	v_dual_cndmask_b32 v12, v14, v12, vcc_lo :: v_dual_bitop2_b32 v13, 7, v13 bitop3:0x40
	s_delay_alu instid0(VALU_DEP_1) | instskip(NEXT) | instid1(VALU_DEP_2)
	v_lshl_add_u32 v12, v12, 23, 0x3b800000
	v_cndmask_b32_e32 v11, v11, v13, vcc_lo
	v_and_b32_e32 v13, 0x80000000, v7
	s_delay_alu instid0(VALU_DEP_2) | instskip(NEXT) | instid1(VALU_DEP_1)
	v_lshlrev_b32_e32 v11, 20, v11
	v_or3_b32 v11, v13, v12, v11
.LBB289_152:
	s_or_b32 exec_lo, exec_lo, s18
	s_delay_alu instid0(VALU_DEP_1)
	v_cmp_neq_f32_e64 s18, v10, v11
.LBB289_153:
	v_cmp_ne_u32_e32 vcc_lo, 1, v1
	v_and_b32_e32 v6, 0xff, v4
	s_cbranch_vccnz .LBB289_173
.LBB289_154:
	s_mov_b32 s0, 0
	s_mov_b32 s19, exec_lo
	s_wait_xcnt 0x0
	v_cmpx_lt_i16_e32 0x7f, v6
	s_xor_b32 s19, exec_lo, s19
	s_cbranch_execnz .LBB289_389
; %bb.155:
	s_or_saveexec_b32 s19, s19
	v_mov_b32_e32 v7, 0x7f800001
	s_xor_b32 exec_lo, exec_lo, s19
	s_cbranch_execnz .LBB289_392
.LBB289_156:
	s_or_b32 exec_lo, exec_lo, s19
	s_and_saveexec_b32 s19, s0
	s_cbranch_execz .LBB289_158
.LBB289_157:
	v_and_b32_e32 v7, 7, v4
	v_bfe_u32 v10, v4, 3, 4
	s_delay_alu instid0(VALU_DEP_2) | instskip(NEXT) | instid1(VALU_DEP_2)
	v_clz_i32_u32_e32 v8, v7
	v_cmp_eq_u32_e32 vcc_lo, 0, v10
	s_delay_alu instid0(VALU_DEP_2) | instskip(NEXT) | instid1(VALU_DEP_1)
	v_min_u32_e32 v8, 32, v8
	v_subrev_nc_u32_e32 v9, 28, v8
	s_delay_alu instid0(VALU_DEP_1) | instskip(NEXT) | instid1(VALU_DEP_1)
	v_lshlrev_b32_e32 v9, v9, v4
	v_dual_sub_nc_u32 v8, 29, v8 :: v_dual_bitop2_b32 v9, 7, v9 bitop3:0x40
	s_delay_alu instid0(VALU_DEP_1) | instskip(NEXT) | instid1(VALU_DEP_2)
	v_dual_lshlrev_b32 v11, 24, v4 :: v_dual_cndmask_b32 v7, v7, v9, vcc_lo
	v_cndmask_b32_e32 v8, v10, v8, vcc_lo
	s_delay_alu instid0(VALU_DEP_2) | instskip(NEXT) | instid1(VALU_DEP_3)
	v_and_b32_e32 v9, 0x80000000, v11
	v_lshlrev_b32_e32 v7, 20, v7
	s_delay_alu instid0(VALU_DEP_3) | instskip(NEXT) | instid1(VALU_DEP_1)
	v_lshl_add_u32 v8, v8, 23, 0x3b800000
	v_or3_b32 v7, v9, v8, v7
.LBB289_158:
	s_or_b32 exec_lo, exec_lo, s19
	s_wait_loadcnt 0x0
	v_and_b32_e32 v9, 0xff, v2
	s_mov_b32 s0, 0
	s_mov_b32 s19, exec_lo
	s_delay_alu instid0(VALU_DEP_1)
	v_cmpx_lt_i16_e32 0x7f, v9
	s_xor_b32 s19, exec_lo, s19
	s_cbranch_execnz .LBB289_393
; %bb.159:
	s_or_saveexec_b32 s19, s19
	v_mov_b32_e32 v8, 0x7f800001
	s_xor_b32 exec_lo, exec_lo, s19
	s_cbranch_execnz .LBB289_396
.LBB289_160:
	s_or_b32 exec_lo, exec_lo, s19
	s_and_saveexec_b32 s19, s0
	s_cbranch_execz .LBB289_162
.LBB289_161:
	v_and_b32_e32 v8, 7, v2
	v_bfe_u32 v11, v2, 3, 4
	s_delay_alu instid0(VALU_DEP_2) | instskip(NEXT) | instid1(VALU_DEP_2)
	v_clz_i32_u32_e32 v9, v8
	v_cmp_eq_u32_e32 vcc_lo, 0, v11
	s_delay_alu instid0(VALU_DEP_2) | instskip(NEXT) | instid1(VALU_DEP_1)
	v_min_u32_e32 v9, 32, v9
	v_subrev_nc_u32_e32 v10, 28, v9
	s_delay_alu instid0(VALU_DEP_1) | instskip(NEXT) | instid1(VALU_DEP_1)
	v_dual_lshlrev_b32 v10, v10, v2 :: v_dual_sub_nc_u32 v9, 29, v9
	v_and_b32_e32 v10, 7, v10
	s_delay_alu instid0(VALU_DEP_2) | instskip(NEXT) | instid1(VALU_DEP_2)
	v_dual_cndmask_b32 v9, v11, v9 :: v_dual_lshlrev_b32 v12, 24, v2
	v_cndmask_b32_e32 v8, v8, v10, vcc_lo
	s_delay_alu instid0(VALU_DEP_2) | instskip(NEXT) | instid1(VALU_DEP_3)
	v_and_b32_e32 v10, 0x80000000, v12
	v_lshl_add_u32 v9, v9, 23, 0x3b800000
	s_delay_alu instid0(VALU_DEP_3) | instskip(NEXT) | instid1(VALU_DEP_1)
	v_lshlrev_b32_e32 v8, 20, v8
	v_or3_b32 v8, v10, v9, v8
.LBB289_162:
	s_or_b32 exec_lo, exec_lo, s19
	s_delay_alu instid0(VALU_DEP_1)
	v_cmp_neq_f32_e64 s19, v7, v8
	s_branch .LBB289_183
.LBB289_163:
                                        ; implicit-def: $sgpr18
	s_cbranch_execz .LBB289_153
; %bb.164:
	s_mov_b32 s0, 0
	s_mov_b32 s18, exec_lo
	s_wait_xcnt 0x0
	v_cmpx_lt_i16_e32 0x7f, v8
	s_xor_b32 s18, exec_lo, s18
	s_cbranch_execnz .LBB289_509
; %bb.165:
	s_or_saveexec_b32 s18, s18
	v_mov_b32_e32 v10, 0x7f800001
	s_xor_b32 exec_lo, exec_lo, s18
	s_cbranch_execnz .LBB289_512
.LBB289_166:
	s_or_b32 exec_lo, exec_lo, s18
	s_and_saveexec_b32 s18, s0
	s_cbranch_execz .LBB289_168
.LBB289_167:
	v_bfe_u32 v10, v9, 24, 3
	s_delay_alu instid0(VALU_DEP_1) | instskip(NEXT) | instid1(VALU_DEP_1)
	v_clz_i32_u32_e32 v11, v10
	v_min_u32_e32 v11, 32, v11
	s_delay_alu instid0(VALU_DEP_1) | instskip(NEXT) | instid1(VALU_DEP_1)
	v_subrev_nc_u32_e32 v12, 28, v11
	v_dual_sub_nc_u32 v11, 29, v11 :: v_dual_lshlrev_b32 v8, v12, v8
	v_bfe_u32 v12, v9, 27, 4
	v_and_b32_e32 v9, 0x80000000, v9
	s_delay_alu instid0(VALU_DEP_2) | instskip(NEXT) | instid1(VALU_DEP_4)
	v_cmp_eq_u32_e32 vcc_lo, 0, v12
	v_dual_cndmask_b32 v11, v12, v11, vcc_lo :: v_dual_bitop2_b32 v8, 7, v8 bitop3:0x40
	s_delay_alu instid0(VALU_DEP_1) | instskip(NEXT) | instid1(VALU_DEP_2)
	v_cndmask_b32_e32 v8, v10, v8, vcc_lo
	v_lshl_add_u32 v10, v11, 23, 0x3b800000
	s_delay_alu instid0(VALU_DEP_2) | instskip(NEXT) | instid1(VALU_DEP_1)
	v_lshlrev_b32_e32 v8, 20, v8
	v_or3_b32 v10, v9, v10, v8
.LBB289_168:
	s_or_b32 exec_lo, exec_lo, s18
	s_mov_b32 s0, 0
	s_mov_b32 s18, exec_lo
	v_cmpx_lt_i16_e32 0x7f, v6
	s_xor_b32 s18, exec_lo, s18
	s_cbranch_execnz .LBB289_513
; %bb.169:
	s_or_saveexec_b32 s18, s18
	v_mov_b32_e32 v8, 0x7f800001
	s_xor_b32 exec_lo, exec_lo, s18
	s_cbranch_execnz .LBB289_516
.LBB289_170:
	s_or_b32 exec_lo, exec_lo, s18
	s_and_saveexec_b32 s18, s0
	s_cbranch_execz .LBB289_172
.LBB289_171:
	v_bfe_u32 v8, v7, 24, 3
	s_delay_alu instid0(VALU_DEP_1) | instskip(NEXT) | instid1(VALU_DEP_1)
	v_clz_i32_u32_e32 v9, v8
	v_min_u32_e32 v9, 32, v9
	s_delay_alu instid0(VALU_DEP_1) | instskip(NEXT) | instid1(VALU_DEP_1)
	v_subrev_nc_u32_e32 v11, 28, v9
	v_dual_sub_nc_u32 v9, 29, v9 :: v_dual_lshlrev_b32 v6, v11, v6
	v_bfe_u32 v11, v7, 27, 4
	v_and_b32_e32 v7, 0x80000000, v7
	s_delay_alu instid0(VALU_DEP_2) | instskip(NEXT) | instid1(VALU_DEP_4)
	v_cmp_eq_u32_e32 vcc_lo, 0, v11
	v_dual_cndmask_b32 v9, v11, v9, vcc_lo :: v_dual_bitop2_b32 v6, 7, v6 bitop3:0x40
	s_delay_alu instid0(VALU_DEP_1) | instskip(NEXT) | instid1(VALU_DEP_2)
	v_cndmask_b32_e32 v6, v8, v6, vcc_lo
	v_lshl_add_u32 v8, v9, 23, 0x3b800000
	s_delay_alu instid0(VALU_DEP_2) | instskip(NEXT) | instid1(VALU_DEP_1)
	v_lshlrev_b32_e32 v6, 20, v6
	v_or3_b32 v8, v7, v8, v6
.LBB289_172:
	s_or_b32 exec_lo, exec_lo, s18
	s_delay_alu instid0(VALU_DEP_1)
	v_cmp_eq_f32_e64 s18, v10, v8
	v_cmp_ne_u32_e32 vcc_lo, 1, v1
	v_and_b32_e32 v6, 0xff, v4
	s_cbranch_vccz .LBB289_154
.LBB289_173:
                                        ; implicit-def: $sgpr19
	s_cbranch_execz .LBB289_183
; %bb.174:
	s_mov_b32 s0, 0
	s_mov_b32 s19, exec_lo
	s_wait_xcnt 0x0
	v_cmpx_lt_i16_e32 0x7f, v6
	s_xor_b32 s19, exec_lo, s19
	s_cbranch_execnz .LBB289_517
; %bb.175:
	s_or_saveexec_b32 s19, s19
	v_mov_b32_e32 v7, 0x7f800001
	s_xor_b32 exec_lo, exec_lo, s19
	s_cbranch_execnz .LBB289_520
.LBB289_176:
	s_or_b32 exec_lo, exec_lo, s19
	s_and_saveexec_b32 s19, s0
	s_cbranch_execz .LBB289_178
.LBB289_177:
	v_and_b32_e32 v6, 7, v4
	v_bfe_u32 v9, v4, 3, 4
	s_delay_alu instid0(VALU_DEP_2) | instskip(NEXT) | instid1(VALU_DEP_2)
	v_clz_i32_u32_e32 v7, v6
	v_cmp_eq_u32_e32 vcc_lo, 0, v9
	s_delay_alu instid0(VALU_DEP_2) | instskip(NEXT) | instid1(VALU_DEP_1)
	v_min_u32_e32 v7, 32, v7
	v_subrev_nc_u32_e32 v8, 28, v7
	s_delay_alu instid0(VALU_DEP_1) | instskip(NEXT) | instid1(VALU_DEP_1)
	v_dual_lshlrev_b32 v8, v8, v4 :: v_dual_sub_nc_u32 v7, 29, v7
	v_and_b32_e32 v8, 7, v8
	s_delay_alu instid0(VALU_DEP_2) | instskip(NEXT) | instid1(VALU_DEP_2)
	v_dual_cndmask_b32 v7, v9, v7 :: v_dual_lshlrev_b32 v10, 24, v4
	v_cndmask_b32_e32 v6, v6, v8, vcc_lo
	s_delay_alu instid0(VALU_DEP_2) | instskip(NEXT) | instid1(VALU_DEP_3)
	v_and_b32_e32 v8, 0x80000000, v10
	v_lshl_add_u32 v7, v7, 23, 0x3b800000
	s_delay_alu instid0(VALU_DEP_3) | instskip(NEXT) | instid1(VALU_DEP_1)
	v_lshlrev_b32_e32 v6, 20, v6
	v_or3_b32 v7, v8, v7, v6
.LBB289_178:
	s_or_b32 exec_lo, exec_lo, s19
	s_wait_loadcnt 0x0
	v_and_b32_e32 v8, 0xff, v2
	s_mov_b32 s0, 0
	s_mov_b32 s19, exec_lo
	s_delay_alu instid0(VALU_DEP_1)
	v_cmpx_lt_i16_e32 0x7f, v8
	s_xor_b32 s19, exec_lo, s19
	s_cbranch_execnz .LBB289_521
; %bb.179:
	s_or_saveexec_b32 s19, s19
	v_mov_b32_e32 v6, 0x7f800001
	s_xor_b32 exec_lo, exec_lo, s19
	s_cbranch_execnz .LBB289_524
.LBB289_180:
	s_or_b32 exec_lo, exec_lo, s19
	s_and_saveexec_b32 s19, s0
	s_cbranch_execz .LBB289_182
.LBB289_181:
	v_and_b32_e32 v6, 7, v2
	v_bfe_u32 v10, v2, 3, 4
	s_delay_alu instid0(VALU_DEP_2) | instskip(NEXT) | instid1(VALU_DEP_2)
	v_clz_i32_u32_e32 v8, v6
	v_cmp_eq_u32_e32 vcc_lo, 0, v10
	s_delay_alu instid0(VALU_DEP_2) | instskip(NEXT) | instid1(VALU_DEP_1)
	v_min_u32_e32 v8, 32, v8
	v_subrev_nc_u32_e32 v9, 28, v8
	s_delay_alu instid0(VALU_DEP_1) | instskip(NEXT) | instid1(VALU_DEP_1)
	v_dual_lshlrev_b32 v9, v9, v2 :: v_dual_sub_nc_u32 v8, 29, v8
	v_dual_lshlrev_b32 v11, 24, v2 :: v_dual_bitop2_b32 v9, 7, v9 bitop3:0x40
	s_delay_alu instid0(VALU_DEP_2) | instskip(NEXT) | instid1(VALU_DEP_2)
	v_cndmask_b32_e32 v8, v10, v8, vcc_lo
	v_cndmask_b32_e32 v6, v6, v9, vcc_lo
	s_delay_alu instid0(VALU_DEP_3) | instskip(NEXT) | instid1(VALU_DEP_3)
	v_and_b32_e32 v9, 0x80000000, v11
	v_lshl_add_u32 v8, v8, 23, 0x3b800000
	s_delay_alu instid0(VALU_DEP_3) | instskip(NEXT) | instid1(VALU_DEP_1)
	v_lshlrev_b32_e32 v6, 20, v6
	v_or3_b32 v6, v9, v8, v6
.LBB289_182:
	s_or_b32 exec_lo, exec_lo, s19
	s_delay_alu instid0(VALU_DEP_1)
	v_cmp_eq_f32_e64 s19, v7, v6
.LBB289_183:
	s_wait_loadcnt 0x0
	v_dual_lshrrev_b32 v7, 8, v4 :: v_dual_lshrrev_b32 v6, 8, v2
	v_cmp_ne_u32_e32 vcc_lo, 1, v1
	s_delay_alu instid0(VALU_DEP_2)
	v_and_b32_e32 v8, 0xff, v7
	s_cbranch_vccnz .LBB289_193
; %bb.184:
	s_mov_b32 s0, 0
	s_mov_b32 s20, exec_lo
	s_delay_alu instid0(VALU_DEP_1)
	v_cmpx_lt_i16_e32 0x7f, v8
	s_xor_b32 s20, exec_lo, s20
	s_cbranch_execnz .LBB289_397
; %bb.185:
	s_or_saveexec_b32 s20, s20
	v_mov_b32_e32 v9, 0x7f800001
	s_xor_b32 exec_lo, exec_lo, s20
	s_cbranch_execnz .LBB289_400
.LBB289_186:
	s_or_b32 exec_lo, exec_lo, s20
	s_and_saveexec_b32 s20, s0
	s_cbranch_execz .LBB289_188
.LBB289_187:
	v_bfe_u32 v9, v4, 8, 3
	v_bfe_u32 v12, v4, 11, 4
	s_delay_alu instid0(VALU_DEP_2) | instskip(NEXT) | instid1(VALU_DEP_2)
	v_clz_i32_u32_e32 v10, v9
	v_cmp_eq_u32_e32 vcc_lo, 0, v12
	s_delay_alu instid0(VALU_DEP_2) | instskip(NEXT) | instid1(VALU_DEP_1)
	v_min_u32_e32 v10, 32, v10
	v_subrev_nc_u32_e32 v11, 28, v10
	s_delay_alu instid0(VALU_DEP_1) | instskip(NEXT) | instid1(VALU_DEP_1)
	v_dual_sub_nc_u32 v10, 29, v10 :: v_dual_lshlrev_b32 v11, v11, v7
	v_dual_cndmask_b32 v10, v12, v10, vcc_lo :: v_dual_bitop2_b32 v11, 7, v11 bitop3:0x40
	s_delay_alu instid0(VALU_DEP_1) | instskip(NEXT) | instid1(VALU_DEP_2)
	v_lshl_add_u32 v10, v10, 23, 0x3b800000
	v_cndmask_b32_e32 v9, v9, v11, vcc_lo
	s_delay_alu instid0(VALU_DEP_1) | instskip(NEXT) | instid1(VALU_DEP_1)
	v_dual_lshlrev_b32 v13, 24, v7 :: v_dual_lshlrev_b32 v9, 20, v9
	v_and_b32_e32 v11, 0x80000000, v13
	s_delay_alu instid0(VALU_DEP_1)
	v_or3_b32 v9, v11, v10, v9
.LBB289_188:
	s_or_b32 exec_lo, exec_lo, s20
	v_and_b32_e32 v11, 0xff, v6
	s_mov_b32 s0, 0
	s_mov_b32 s20, exec_lo
	s_delay_alu instid0(VALU_DEP_1)
	v_cmpx_lt_i16_e32 0x7f, v11
	s_xor_b32 s20, exec_lo, s20
	s_cbranch_execnz .LBB289_401
; %bb.189:
	s_or_saveexec_b32 s20, s20
	v_mov_b32_e32 v10, 0x7f800001
	s_xor_b32 exec_lo, exec_lo, s20
	s_cbranch_execnz .LBB289_404
.LBB289_190:
	s_or_b32 exec_lo, exec_lo, s20
	s_and_saveexec_b32 s20, s0
	s_cbranch_execz .LBB289_192
.LBB289_191:
	v_bfe_u32 v10, v2, 8, 3
	v_bfe_u32 v13, v2, 11, 4
	v_lshlrev_b32_e32 v14, 24, v6
	s_delay_alu instid0(VALU_DEP_3) | instskip(NEXT) | instid1(VALU_DEP_3)
	v_clz_i32_u32_e32 v11, v10
	v_cmp_eq_u32_e32 vcc_lo, 0, v13
	s_delay_alu instid0(VALU_DEP_2) | instskip(NEXT) | instid1(VALU_DEP_1)
	v_min_u32_e32 v11, 32, v11
	v_subrev_nc_u32_e32 v12, 28, v11
	s_delay_alu instid0(VALU_DEP_1) | instskip(NEXT) | instid1(VALU_DEP_1)
	v_dual_sub_nc_u32 v11, 29, v11 :: v_dual_lshlrev_b32 v12, v12, v6
	v_dual_cndmask_b32 v11, v13, v11, vcc_lo :: v_dual_bitop2_b32 v12, 7, v12 bitop3:0x40
	s_delay_alu instid0(VALU_DEP_1) | instskip(SKIP_1) | instid1(VALU_DEP_3)
	v_cndmask_b32_e32 v10, v10, v12, vcc_lo
	v_and_b32_e32 v12, 0x80000000, v14
	v_lshl_add_u32 v11, v11, 23, 0x3b800000
	s_delay_alu instid0(VALU_DEP_3) | instskip(NEXT) | instid1(VALU_DEP_1)
	v_lshlrev_b32_e32 v10, 20, v10
	v_or3_b32 v10, v12, v11, v10
.LBB289_192:
	s_or_b32 exec_lo, exec_lo, s20
	s_delay_alu instid0(VALU_DEP_1)
	v_cmp_neq_f32_e64 s20, v9, v10
	s_branch .LBB289_203
.LBB289_193:
                                        ; implicit-def: $sgpr20
	s_cbranch_execz .LBB289_203
; %bb.194:
	s_mov_b32 s0, 0
	s_mov_b32 s20, exec_lo
	v_cmpx_lt_i16_e32 0x7f, v8
	s_xor_b32 s20, exec_lo, s20
	s_cbranch_execnz .LBB289_525
; %bb.195:
	s_or_saveexec_b32 s20, s20
	v_mov_b32_e32 v9, 0x7f800001
	s_xor_b32 exec_lo, exec_lo, s20
	s_cbranch_execnz .LBB289_528
.LBB289_196:
	s_or_b32 exec_lo, exec_lo, s20
	s_and_saveexec_b32 s20, s0
	s_cbranch_execz .LBB289_198
.LBB289_197:
	v_bfe_u32 v8, v4, 8, 3
	v_bfe_u32 v11, v4, 11, 4
	s_delay_alu instid0(VALU_DEP_2) | instskip(NEXT) | instid1(VALU_DEP_2)
	v_clz_i32_u32_e32 v9, v8
	v_cmp_eq_u32_e32 vcc_lo, 0, v11
	s_delay_alu instid0(VALU_DEP_2) | instskip(NEXT) | instid1(VALU_DEP_1)
	v_min_u32_e32 v9, 32, v9
	v_subrev_nc_u32_e32 v10, 28, v9
	s_delay_alu instid0(VALU_DEP_1) | instskip(NEXT) | instid1(VALU_DEP_1)
	v_dual_sub_nc_u32 v9, 29, v9 :: v_dual_lshlrev_b32 v10, v10, v7
	v_dual_lshlrev_b32 v7, 24, v7 :: v_dual_bitop2_b32 v10, 7, v10 bitop3:0x40
	s_delay_alu instid0(VALU_DEP_2) | instskip(NEXT) | instid1(VALU_DEP_2)
	v_cndmask_b32_e32 v9, v11, v9, vcc_lo
	v_and_b32_e32 v7, 0x80000000, v7
	s_delay_alu instid0(VALU_DEP_3) | instskip(NEXT) | instid1(VALU_DEP_3)
	v_cndmask_b32_e32 v8, v8, v10, vcc_lo
	v_lshl_add_u32 v9, v9, 23, 0x3b800000
	s_delay_alu instid0(VALU_DEP_2) | instskip(NEXT) | instid1(VALU_DEP_1)
	v_lshlrev_b32_e32 v8, 20, v8
	v_or3_b32 v9, v7, v9, v8
.LBB289_198:
	s_or_b32 exec_lo, exec_lo, s20
	v_and_b32_e32 v8, 0xff, v6
	s_mov_b32 s0, 0
	s_mov_b32 s20, exec_lo
	s_delay_alu instid0(VALU_DEP_1)
	v_cmpx_lt_i16_e32 0x7f, v8
	s_xor_b32 s20, exec_lo, s20
	s_cbranch_execnz .LBB289_529
; %bb.199:
	s_or_saveexec_b32 s20, s20
	v_mov_b32_e32 v7, 0x7f800001
	s_xor_b32 exec_lo, exec_lo, s20
	s_cbranch_execnz .LBB289_532
.LBB289_200:
	s_or_b32 exec_lo, exec_lo, s20
	s_and_saveexec_b32 s20, s0
	s_cbranch_execz .LBB289_202
.LBB289_201:
	v_bfe_u32 v7, v2, 8, 3
	v_bfe_u32 v11, v2, 11, 4
	s_delay_alu instid0(VALU_DEP_2) | instskip(NEXT) | instid1(VALU_DEP_2)
	v_clz_i32_u32_e32 v8, v7
	v_cmp_eq_u32_e32 vcc_lo, 0, v11
	s_delay_alu instid0(VALU_DEP_2) | instskip(NEXT) | instid1(VALU_DEP_1)
	v_min_u32_e32 v8, 32, v8
	v_subrev_nc_u32_e32 v10, 28, v8
	s_delay_alu instid0(VALU_DEP_1) | instskip(NEXT) | instid1(VALU_DEP_1)
	v_dual_sub_nc_u32 v8, 29, v8 :: v_dual_lshlrev_b32 v10, v10, v6
	v_dual_cndmask_b32 v8, v11, v8, vcc_lo :: v_dual_bitop2_b32 v10, 7, v10 bitop3:0x40
	s_delay_alu instid0(VALU_DEP_1) | instskip(NEXT) | instid1(VALU_DEP_2)
	v_lshl_add_u32 v8, v8, 23, 0x3b800000
	v_cndmask_b32_e32 v7, v7, v10, vcc_lo
	s_delay_alu instid0(VALU_DEP_1) | instskip(NEXT) | instid1(VALU_DEP_1)
	v_dual_lshlrev_b32 v6, 24, v6 :: v_dual_lshlrev_b32 v7, 20, v7
	v_and_b32_e32 v6, 0x80000000, v6
	s_delay_alu instid0(VALU_DEP_1)
	v_or3_b32 v7, v6, v8, v7
.LBB289_202:
	s_or_b32 exec_lo, exec_lo, s20
	s_delay_alu instid0(VALU_DEP_1)
	v_cmp_eq_f32_e64 s20, v9, v7
.LBB289_203:
	v_dual_lshrrev_b32 v7, 16, v4 :: v_dual_lshrrev_b32 v6, 16, v2
	v_cmp_ne_u32_e32 vcc_lo, 1, v1
	s_delay_alu instid0(VALU_DEP_2)
	v_and_b32_e32 v8, 0xff, v7
	s_cbranch_vccnz .LBB289_213
; %bb.204:
	s_mov_b32 s0, 0
	s_mov_b32 s21, exec_lo
	s_delay_alu instid0(VALU_DEP_1)
	v_cmpx_lt_i16_e32 0x7f, v8
	s_xor_b32 s21, exec_lo, s21
	s_cbranch_execnz .LBB289_405
; %bb.205:
	s_or_saveexec_b32 s21, s21
	v_mov_b32_e32 v9, 0x7f800001
	s_xor_b32 exec_lo, exec_lo, s21
	s_cbranch_execnz .LBB289_408
.LBB289_206:
	s_or_b32 exec_lo, exec_lo, s21
	s_and_saveexec_b32 s21, s0
	s_cbranch_execz .LBB289_208
.LBB289_207:
	v_bfe_u32 v9, v4, 16, 3
	v_bfe_u32 v12, v4, 19, 4
	s_delay_alu instid0(VALU_DEP_2) | instskip(NEXT) | instid1(VALU_DEP_2)
	v_clz_i32_u32_e32 v10, v9
	v_cmp_eq_u32_e32 vcc_lo, 0, v12
	s_delay_alu instid0(VALU_DEP_2) | instskip(NEXT) | instid1(VALU_DEP_1)
	v_min_u32_e32 v10, 32, v10
	v_subrev_nc_u32_e32 v11, 28, v10
	s_delay_alu instid0(VALU_DEP_1) | instskip(NEXT) | instid1(VALU_DEP_1)
	v_dual_sub_nc_u32 v10, 29, v10 :: v_dual_lshlrev_b32 v11, v11, v7
	v_dual_cndmask_b32 v10, v12, v10, vcc_lo :: v_dual_bitop2_b32 v11, 7, v11 bitop3:0x40
	s_delay_alu instid0(VALU_DEP_1) | instskip(NEXT) | instid1(VALU_DEP_2)
	v_lshl_add_u32 v10, v10, 23, 0x3b800000
	v_cndmask_b32_e32 v9, v9, v11, vcc_lo
	s_delay_alu instid0(VALU_DEP_1) | instskip(NEXT) | instid1(VALU_DEP_1)
	v_dual_lshlrev_b32 v13, 24, v7 :: v_dual_lshlrev_b32 v9, 20, v9
	v_and_b32_e32 v11, 0x80000000, v13
	s_delay_alu instid0(VALU_DEP_1)
	v_or3_b32 v9, v11, v10, v9
.LBB289_208:
	s_or_b32 exec_lo, exec_lo, s21
	v_and_b32_e32 v11, 0xff, v6
	s_mov_b32 s0, 0
	s_mov_b32 s21, exec_lo
	s_delay_alu instid0(VALU_DEP_1)
	v_cmpx_lt_i16_e32 0x7f, v11
	s_xor_b32 s21, exec_lo, s21
	s_cbranch_execnz .LBB289_409
; %bb.209:
	s_or_saveexec_b32 s21, s21
	v_mov_b32_e32 v10, 0x7f800001
	s_xor_b32 exec_lo, exec_lo, s21
	s_cbranch_execnz .LBB289_412
.LBB289_210:
	s_or_b32 exec_lo, exec_lo, s21
	s_and_saveexec_b32 s21, s0
	s_cbranch_execz .LBB289_212
.LBB289_211:
	v_bfe_u32 v10, v2, 16, 3
	v_bfe_u32 v13, v2, 19, 4
	v_lshlrev_b32_e32 v14, 24, v6
	s_delay_alu instid0(VALU_DEP_3) | instskip(NEXT) | instid1(VALU_DEP_3)
	v_clz_i32_u32_e32 v11, v10
	v_cmp_eq_u32_e32 vcc_lo, 0, v13
	s_delay_alu instid0(VALU_DEP_2) | instskip(NEXT) | instid1(VALU_DEP_1)
	v_min_u32_e32 v11, 32, v11
	v_subrev_nc_u32_e32 v12, 28, v11
	s_delay_alu instid0(VALU_DEP_1) | instskip(NEXT) | instid1(VALU_DEP_1)
	v_dual_sub_nc_u32 v11, 29, v11 :: v_dual_lshlrev_b32 v12, v12, v6
	v_dual_cndmask_b32 v11, v13, v11, vcc_lo :: v_dual_bitop2_b32 v12, 7, v12 bitop3:0x40
	s_delay_alu instid0(VALU_DEP_1) | instskip(SKIP_1) | instid1(VALU_DEP_3)
	v_cndmask_b32_e32 v10, v10, v12, vcc_lo
	v_and_b32_e32 v12, 0x80000000, v14
	v_lshl_add_u32 v11, v11, 23, 0x3b800000
	s_delay_alu instid0(VALU_DEP_3) | instskip(NEXT) | instid1(VALU_DEP_1)
	v_lshlrev_b32_e32 v10, 20, v10
	v_or3_b32 v10, v12, v11, v10
.LBB289_212:
	s_or_b32 exec_lo, exec_lo, s21
	s_delay_alu instid0(VALU_DEP_1)
	v_cmp_neq_f32_e64 s21, v9, v10
	s_branch .LBB289_223
.LBB289_213:
                                        ; implicit-def: $sgpr21
	s_cbranch_execz .LBB289_223
; %bb.214:
	s_mov_b32 s0, 0
	s_mov_b32 s21, exec_lo
	v_cmpx_lt_i16_e32 0x7f, v8
	s_xor_b32 s21, exec_lo, s21
	s_cbranch_execnz .LBB289_533
; %bb.215:
	s_or_saveexec_b32 s21, s21
	v_mov_b32_e32 v9, 0x7f800001
	s_xor_b32 exec_lo, exec_lo, s21
	s_cbranch_execnz .LBB289_536
.LBB289_216:
	s_or_b32 exec_lo, exec_lo, s21
	s_and_saveexec_b32 s21, s0
	s_cbranch_execz .LBB289_218
.LBB289_217:
	v_bfe_u32 v8, v4, 16, 3
	v_bfe_u32 v11, v4, 19, 4
	s_delay_alu instid0(VALU_DEP_2) | instskip(NEXT) | instid1(VALU_DEP_2)
	v_clz_i32_u32_e32 v9, v8
	v_cmp_eq_u32_e32 vcc_lo, 0, v11
	s_delay_alu instid0(VALU_DEP_2) | instskip(NEXT) | instid1(VALU_DEP_1)
	v_min_u32_e32 v9, 32, v9
	v_subrev_nc_u32_e32 v10, 28, v9
	s_delay_alu instid0(VALU_DEP_1) | instskip(NEXT) | instid1(VALU_DEP_1)
	v_dual_sub_nc_u32 v9, 29, v9 :: v_dual_lshlrev_b32 v10, v10, v7
	v_dual_lshlrev_b32 v7, 24, v7 :: v_dual_bitop2_b32 v10, 7, v10 bitop3:0x40
	s_delay_alu instid0(VALU_DEP_2) | instskip(NEXT) | instid1(VALU_DEP_2)
	v_cndmask_b32_e32 v9, v11, v9, vcc_lo
	v_and_b32_e32 v7, 0x80000000, v7
	s_delay_alu instid0(VALU_DEP_3) | instskip(NEXT) | instid1(VALU_DEP_3)
	v_cndmask_b32_e32 v8, v8, v10, vcc_lo
	v_lshl_add_u32 v9, v9, 23, 0x3b800000
	s_delay_alu instid0(VALU_DEP_2) | instskip(NEXT) | instid1(VALU_DEP_1)
	v_lshlrev_b32_e32 v8, 20, v8
	v_or3_b32 v9, v7, v9, v8
.LBB289_218:
	s_or_b32 exec_lo, exec_lo, s21
	v_and_b32_e32 v8, 0xff, v6
	s_mov_b32 s0, 0
	s_mov_b32 s21, exec_lo
	s_delay_alu instid0(VALU_DEP_1)
	v_cmpx_lt_i16_e32 0x7f, v8
	s_xor_b32 s21, exec_lo, s21
	s_cbranch_execnz .LBB289_537
; %bb.219:
	s_or_saveexec_b32 s21, s21
	v_mov_b32_e32 v7, 0x7f800001
	s_xor_b32 exec_lo, exec_lo, s21
	s_cbranch_execnz .LBB289_540
.LBB289_220:
	s_or_b32 exec_lo, exec_lo, s21
	s_and_saveexec_b32 s21, s0
	s_cbranch_execz .LBB289_222
.LBB289_221:
	v_bfe_u32 v7, v2, 16, 3
	v_bfe_u32 v11, v2, 19, 4
	s_delay_alu instid0(VALU_DEP_2) | instskip(NEXT) | instid1(VALU_DEP_2)
	v_clz_i32_u32_e32 v8, v7
	v_cmp_eq_u32_e32 vcc_lo, 0, v11
	s_delay_alu instid0(VALU_DEP_2) | instskip(NEXT) | instid1(VALU_DEP_1)
	v_min_u32_e32 v8, 32, v8
	v_subrev_nc_u32_e32 v10, 28, v8
	s_delay_alu instid0(VALU_DEP_1) | instskip(NEXT) | instid1(VALU_DEP_1)
	v_dual_sub_nc_u32 v8, 29, v8 :: v_dual_lshlrev_b32 v10, v10, v6
	v_dual_cndmask_b32 v8, v11, v8, vcc_lo :: v_dual_bitop2_b32 v10, 7, v10 bitop3:0x40
	s_delay_alu instid0(VALU_DEP_1) | instskip(NEXT) | instid1(VALU_DEP_2)
	v_lshl_add_u32 v8, v8, 23, 0x3b800000
	v_cndmask_b32_e32 v7, v7, v10, vcc_lo
	s_delay_alu instid0(VALU_DEP_1) | instskip(NEXT) | instid1(VALU_DEP_1)
	v_dual_lshlrev_b32 v6, 24, v6 :: v_dual_lshlrev_b32 v7, 20, v7
	v_and_b32_e32 v6, 0x80000000, v6
	s_delay_alu instid0(VALU_DEP_1)
	v_or3_b32 v7, v6, v8, v7
.LBB289_222:
	s_or_b32 exec_lo, exec_lo, s21
	s_delay_alu instid0(VALU_DEP_1)
	v_cmp_eq_f32_e64 s21, v9, v7
.LBB289_223:
	v_dual_lshrrev_b32 v7, 24, v4 :: v_dual_lshrrev_b32 v6, 24, v2
	v_cmp_ne_u32_e32 vcc_lo, 1, v1
	s_delay_alu instid0(VALU_DEP_2)
	v_cmp_lt_i16_e64 s0, 0x7f, v7
	s_cbranch_vccnz .LBB289_243
; %bb.224:
	s_mov_b32 s22, 0
	s_and_saveexec_b32 s23, s0
	s_delay_alu instid0(SALU_CYCLE_1)
	s_xor_b32 s0, exec_lo, s23
	s_cbranch_execnz .LBB289_413
; %bb.225:
	s_or_saveexec_b32 s0, s0
	v_mov_b32_e32 v8, 0x7f800001
	s_xor_b32 exec_lo, exec_lo, s0
	s_cbranch_execnz .LBB289_416
.LBB289_226:
	s_or_b32 exec_lo, exec_lo, s0
	s_and_saveexec_b32 s0, s22
	s_cbranch_execz .LBB289_228
.LBB289_227:
	v_bfe_u32 v8, v4, 24, 3
	v_bfe_u32 v11, v4, 27, 4
	s_delay_alu instid0(VALU_DEP_2) | instskip(NEXT) | instid1(VALU_DEP_2)
	v_clz_i32_u32_e32 v9, v8
	v_cmp_eq_u32_e32 vcc_lo, 0, v11
	s_delay_alu instid0(VALU_DEP_2) | instskip(NEXT) | instid1(VALU_DEP_1)
	v_min_u32_e32 v9, 32, v9
	v_subrev_nc_u32_e32 v10, 28, v9
	s_delay_alu instid0(VALU_DEP_1) | instskip(NEXT) | instid1(VALU_DEP_1)
	v_dual_sub_nc_u32 v9, 29, v9 :: v_dual_lshlrev_b32 v10, v10, v7
	v_dual_cndmask_b32 v9, v11, v9, vcc_lo :: v_dual_bitop2_b32 v10, 7, v10 bitop3:0x40
	s_delay_alu instid0(VALU_DEP_1) | instskip(NEXT) | instid1(VALU_DEP_2)
	v_lshl_add_u32 v9, v9, 23, 0x3b800000
	v_cndmask_b32_e32 v8, v8, v10, vcc_lo
	v_and_b32_e32 v10, 0x80000000, v4
	s_delay_alu instid0(VALU_DEP_2) | instskip(NEXT) | instid1(VALU_DEP_1)
	v_lshlrev_b32_e32 v8, 20, v8
	v_or3_b32 v8, v10, v9, v8
.LBB289_228:
	s_or_b32 exec_lo, exec_lo, s0
	s_mov_b32 s0, 0
	s_mov_b32 s22, exec_lo
	v_cmpx_lt_i16_e32 0x7f, v6
	s_xor_b32 s22, exec_lo, s22
	s_cbranch_execnz .LBB289_417
; %bb.229:
	s_or_saveexec_b32 s22, s22
	v_mov_b32_e32 v9, 0x7f800001
	s_xor_b32 exec_lo, exec_lo, s22
	s_cbranch_execnz .LBB289_420
.LBB289_230:
	s_or_b32 exec_lo, exec_lo, s22
	s_and_saveexec_b32 s22, s0
	s_cbranch_execz .LBB289_232
.LBB289_231:
	v_bfe_u32 v9, v2, 24, 3
	v_bfe_u32 v12, v2, 27, 4
	s_delay_alu instid0(VALU_DEP_2) | instskip(NEXT) | instid1(VALU_DEP_2)
	v_clz_i32_u32_e32 v10, v9
	v_cmp_eq_u32_e32 vcc_lo, 0, v12
	s_delay_alu instid0(VALU_DEP_2) | instskip(NEXT) | instid1(VALU_DEP_1)
	v_min_u32_e32 v10, 32, v10
	v_subrev_nc_u32_e32 v11, 28, v10
	s_delay_alu instid0(VALU_DEP_1) | instskip(NEXT) | instid1(VALU_DEP_1)
	v_lshlrev_b32_e32 v11, v11, v6
	v_dual_sub_nc_u32 v10, 29, v10 :: v_dual_bitop2_b32 v11, 7, v11 bitop3:0x40
	s_delay_alu instid0(VALU_DEP_1) | instskip(SKIP_1) | instid1(VALU_DEP_2)
	v_dual_cndmask_b32 v10, v12, v10 :: v_dual_cndmask_b32 v9, v9, v11
	v_and_b32_e32 v11, 0x80000000, v2
	v_lshl_add_u32 v10, v10, 23, 0x3b800000
	s_delay_alu instid0(VALU_DEP_3) | instskip(NEXT) | instid1(VALU_DEP_1)
	v_lshlrev_b32_e32 v9, 20, v9
	v_or3_b32 v9, v11, v10, v9
.LBB289_232:
	s_or_b32 exec_lo, exec_lo, s22
	s_delay_alu instid0(VALU_DEP_1)
	v_cmp_neq_f32_e64 s22, v8, v9
.LBB289_233:
	v_cmp_ne_u32_e32 vcc_lo, 1, v1
	v_and_b32_e32 v2, 0xff, v5
	s_cbranch_vccnz .LBB289_253
.LBB289_234:
	s_mov_b32 s0, 0
	s_mov_b32 s23, exec_lo
	s_delay_alu instid0(VALU_DEP_1)
	v_cmpx_lt_i16_e32 0x7f, v2
	s_xor_b32 s23, exec_lo, s23
	s_cbranch_execnz .LBB289_421
; %bb.235:
	s_or_saveexec_b32 s23, s23
	v_mov_b32_e32 v4, 0x7f800001
	s_xor_b32 exec_lo, exec_lo, s23
	s_cbranch_execnz .LBB289_424
.LBB289_236:
	s_or_b32 exec_lo, exec_lo, s23
	s_and_saveexec_b32 s23, s0
	s_cbranch_execz .LBB289_238
.LBB289_237:
	v_and_b32_e32 v4, 7, v5
	v_bfe_u32 v8, v5, 3, 4
	s_delay_alu instid0(VALU_DEP_2) | instskip(NEXT) | instid1(VALU_DEP_2)
	v_clz_i32_u32_e32 v6, v4
	v_cmp_eq_u32_e32 vcc_lo, 0, v8
	s_delay_alu instid0(VALU_DEP_2) | instskip(NEXT) | instid1(VALU_DEP_1)
	v_min_u32_e32 v6, 32, v6
	v_subrev_nc_u32_e32 v7, 28, v6
	s_delay_alu instid0(VALU_DEP_1) | instskip(NEXT) | instid1(VALU_DEP_1)
	v_dual_lshlrev_b32 v7, v7, v5 :: v_dual_sub_nc_u32 v6, 29, v6
	v_dual_lshlrev_b32 v9, 24, v5 :: v_dual_bitop2_b32 v7, 7, v7 bitop3:0x40
	s_delay_alu instid0(VALU_DEP_2) | instskip(NEXT) | instid1(VALU_DEP_2)
	v_cndmask_b32_e32 v6, v8, v6, vcc_lo
	v_cndmask_b32_e32 v4, v4, v7, vcc_lo
	s_delay_alu instid0(VALU_DEP_3) | instskip(NEXT) | instid1(VALU_DEP_3)
	v_and_b32_e32 v7, 0x80000000, v9
	v_lshl_add_u32 v6, v6, 23, 0x3b800000
	s_delay_alu instid0(VALU_DEP_3) | instskip(NEXT) | instid1(VALU_DEP_1)
	v_lshlrev_b32_e32 v4, 20, v4
	v_or3_b32 v4, v7, v6, v4
.LBB289_238:
	s_or_b32 exec_lo, exec_lo, s23
	v_and_b32_e32 v7, 0xff, v3
	s_mov_b32 s0, 0
	s_mov_b32 s23, exec_lo
	s_delay_alu instid0(VALU_DEP_1)
	v_cmpx_lt_i16_e32 0x7f, v7
	s_xor_b32 s23, exec_lo, s23
	s_cbranch_execnz .LBB289_425
; %bb.239:
	s_or_saveexec_b32 s23, s23
	v_mov_b32_e32 v6, 0x7f800001
	s_xor_b32 exec_lo, exec_lo, s23
	s_cbranch_execnz .LBB289_428
.LBB289_240:
	s_or_b32 exec_lo, exec_lo, s23
	s_and_saveexec_b32 s23, s0
	s_cbranch_execz .LBB289_242
.LBB289_241:
	v_and_b32_e32 v6, 7, v3
	v_bfe_u32 v9, v3, 3, 4
	s_delay_alu instid0(VALU_DEP_2) | instskip(NEXT) | instid1(VALU_DEP_2)
	v_clz_i32_u32_e32 v7, v6
	v_cmp_eq_u32_e32 vcc_lo, 0, v9
	s_delay_alu instid0(VALU_DEP_2) | instskip(NEXT) | instid1(VALU_DEP_1)
	v_min_u32_e32 v7, 32, v7
	v_subrev_nc_u32_e32 v8, 28, v7
	s_delay_alu instid0(VALU_DEP_1) | instskip(NEXT) | instid1(VALU_DEP_1)
	v_lshlrev_b32_e32 v8, v8, v3
	v_dual_sub_nc_u32 v7, 29, v7 :: v_dual_bitop2_b32 v8, 7, v8 bitop3:0x40
	s_delay_alu instid0(VALU_DEP_1) | instskip(NEXT) | instid1(VALU_DEP_2)
	v_dual_lshlrev_b32 v10, 24, v3 :: v_dual_cndmask_b32 v6, v6, v8, vcc_lo
	v_cndmask_b32_e32 v7, v9, v7, vcc_lo
	s_delay_alu instid0(VALU_DEP_2) | instskip(NEXT) | instid1(VALU_DEP_3)
	v_and_b32_e32 v8, 0x80000000, v10
	v_lshlrev_b32_e32 v6, 20, v6
	s_delay_alu instid0(VALU_DEP_3) | instskip(NEXT) | instid1(VALU_DEP_1)
	v_lshl_add_u32 v7, v7, 23, 0x3b800000
	v_or3_b32 v6, v8, v7, v6
.LBB289_242:
	s_or_b32 exec_lo, exec_lo, s23
	s_delay_alu instid0(VALU_DEP_1)
	v_cmp_neq_f32_e64 s23, v4, v6
	s_branch .LBB289_263
.LBB289_243:
                                        ; implicit-def: $sgpr22
	s_cbranch_execz .LBB289_233
; %bb.244:
	s_mov_b32 s0, 0
	s_mov_b32 s22, exec_lo
	v_cmpx_lt_i16_e32 0x7f, v7
	s_xor_b32 s22, exec_lo, s22
	s_cbranch_execnz .LBB289_541
; %bb.245:
	s_or_saveexec_b32 s22, s22
	v_mov_b32_e32 v8, 0x7f800001
	s_xor_b32 exec_lo, exec_lo, s22
	s_cbranch_execnz .LBB289_544
.LBB289_246:
	s_or_b32 exec_lo, exec_lo, s22
	s_and_saveexec_b32 s22, s0
	s_cbranch_execz .LBB289_248
.LBB289_247:
	v_bfe_u32 v8, v4, 24, 3
	s_delay_alu instid0(VALU_DEP_1) | instskip(NEXT) | instid1(VALU_DEP_1)
	v_clz_i32_u32_e32 v9, v8
	v_min_u32_e32 v9, 32, v9
	s_delay_alu instid0(VALU_DEP_1) | instskip(NEXT) | instid1(VALU_DEP_1)
	v_subrev_nc_u32_e32 v10, 28, v9
	v_dual_sub_nc_u32 v9, 29, v9 :: v_dual_lshlrev_b32 v7, v10, v7
	v_bfe_u32 v10, v4, 27, 4
	v_and_b32_e32 v4, 0x80000000, v4
	s_delay_alu instid0(VALU_DEP_2) | instskip(NEXT) | instid1(VALU_DEP_4)
	v_cmp_eq_u32_e32 vcc_lo, 0, v10
	v_dual_cndmask_b32 v9, v10, v9, vcc_lo :: v_dual_bitop2_b32 v7, 7, v7 bitop3:0x40
	s_delay_alu instid0(VALU_DEP_1) | instskip(NEXT) | instid1(VALU_DEP_2)
	v_cndmask_b32_e32 v7, v8, v7, vcc_lo
	v_lshl_add_u32 v8, v9, 23, 0x3b800000
	s_delay_alu instid0(VALU_DEP_2) | instskip(NEXT) | instid1(VALU_DEP_1)
	v_lshlrev_b32_e32 v7, 20, v7
	v_or3_b32 v8, v4, v8, v7
.LBB289_248:
	s_or_b32 exec_lo, exec_lo, s22
	s_mov_b32 s0, 0
	s_mov_b32 s22, exec_lo
	v_cmpx_lt_i16_e32 0x7f, v6
	s_xor_b32 s22, exec_lo, s22
	s_cbranch_execnz .LBB289_545
; %bb.249:
	s_or_saveexec_b32 s22, s22
	v_mov_b32_e32 v4, 0x7f800001
	s_xor_b32 exec_lo, exec_lo, s22
	s_cbranch_execnz .LBB289_548
.LBB289_250:
	s_or_b32 exec_lo, exec_lo, s22
	s_and_saveexec_b32 s22, s0
	s_cbranch_execz .LBB289_252
.LBB289_251:
	v_bfe_u32 v4, v2, 24, 3
	s_delay_alu instid0(VALU_DEP_1) | instskip(NEXT) | instid1(VALU_DEP_1)
	v_clz_i32_u32_e32 v7, v4
	v_min_u32_e32 v7, 32, v7
	s_delay_alu instid0(VALU_DEP_1) | instskip(NEXT) | instid1(VALU_DEP_1)
	v_subrev_nc_u32_e32 v9, 28, v7
	v_dual_sub_nc_u32 v7, 29, v7 :: v_dual_lshlrev_b32 v6, v9, v6
	v_bfe_u32 v9, v2, 27, 4
	v_and_b32_e32 v2, 0x80000000, v2
	s_delay_alu instid0(VALU_DEP_2) | instskip(NEXT) | instid1(VALU_DEP_4)
	v_cmp_eq_u32_e32 vcc_lo, 0, v9
	v_dual_cndmask_b32 v7, v9, v7, vcc_lo :: v_dual_bitop2_b32 v6, 7, v6 bitop3:0x40
	s_delay_alu instid0(VALU_DEP_1) | instskip(NEXT) | instid1(VALU_DEP_2)
	v_cndmask_b32_e32 v4, v4, v6, vcc_lo
	v_lshl_add_u32 v6, v7, 23, 0x3b800000
	s_delay_alu instid0(VALU_DEP_2) | instskip(NEXT) | instid1(VALU_DEP_1)
	v_lshlrev_b32_e32 v4, 20, v4
	v_or3_b32 v4, v2, v6, v4
.LBB289_252:
	s_or_b32 exec_lo, exec_lo, s22
	s_delay_alu instid0(VALU_DEP_1)
	v_cmp_eq_f32_e64 s22, v8, v4
	v_cmp_ne_u32_e32 vcc_lo, 1, v1
	v_and_b32_e32 v2, 0xff, v5
	s_cbranch_vccz .LBB289_234
.LBB289_253:
                                        ; implicit-def: $sgpr23
	s_cbranch_execz .LBB289_263
; %bb.254:
	s_mov_b32 s0, 0
	s_mov_b32 s23, exec_lo
	v_cmpx_lt_i16_e32 0x7f, v2
	s_xor_b32 s23, exec_lo, s23
	s_cbranch_execnz .LBB289_549
; %bb.255:
	s_or_saveexec_b32 s23, s23
	v_mov_b32_e32 v4, 0x7f800001
	s_xor_b32 exec_lo, exec_lo, s23
	s_cbranch_execnz .LBB289_552
.LBB289_256:
	s_or_b32 exec_lo, exec_lo, s23
	s_and_saveexec_b32 s23, s0
	s_cbranch_execz .LBB289_258
.LBB289_257:
	v_and_b32_e32 v2, 7, v5
	v_bfe_u32 v7, v5, 3, 4
	s_delay_alu instid0(VALU_DEP_2) | instskip(NEXT) | instid1(VALU_DEP_2)
	v_clz_i32_u32_e32 v4, v2
	v_cmp_eq_u32_e32 vcc_lo, 0, v7
	s_delay_alu instid0(VALU_DEP_2) | instskip(NEXT) | instid1(VALU_DEP_1)
	v_min_u32_e32 v4, 32, v4
	v_subrev_nc_u32_e32 v6, 28, v4
	s_delay_alu instid0(VALU_DEP_1) | instskip(NEXT) | instid1(VALU_DEP_1)
	v_dual_lshlrev_b32 v6, v6, v5 :: v_dual_sub_nc_u32 v4, 29, v4
	v_dual_lshlrev_b32 v8, 24, v5 :: v_dual_bitop2_b32 v6, 7, v6 bitop3:0x40
	s_delay_alu instid0(VALU_DEP_1) | instskip(NEXT) | instid1(VALU_DEP_2)
	v_dual_cndmask_b32 v4, v7, v4, vcc_lo :: v_dual_cndmask_b32 v2, v2, v6, vcc_lo
	v_and_b32_e32 v6, 0x80000000, v8
	s_delay_alu instid0(VALU_DEP_2) | instskip(NEXT) | instid1(VALU_DEP_3)
	v_lshl_add_u32 v4, v4, 23, 0x3b800000
	v_lshlrev_b32_e32 v2, 20, v2
	s_delay_alu instid0(VALU_DEP_1)
	v_or3_b32 v4, v6, v4, v2
.LBB289_258:
	s_or_b32 exec_lo, exec_lo, s23
	v_and_b32_e32 v6, 0xff, v3
	s_mov_b32 s0, 0
	s_mov_b32 s23, exec_lo
	s_delay_alu instid0(VALU_DEP_1)
	v_cmpx_lt_i16_e32 0x7f, v6
	s_xor_b32 s23, exec_lo, s23
	s_cbranch_execnz .LBB289_553
; %bb.259:
	s_or_saveexec_b32 s23, s23
	v_mov_b32_e32 v2, 0x7f800001
	s_xor_b32 exec_lo, exec_lo, s23
	s_cbranch_execnz .LBB289_556
.LBB289_260:
	s_or_b32 exec_lo, exec_lo, s23
	s_and_saveexec_b32 s23, s0
	s_cbranch_execz .LBB289_262
.LBB289_261:
	v_and_b32_e32 v2, 7, v3
	v_bfe_u32 v8, v3, 3, 4
	s_delay_alu instid0(VALU_DEP_2) | instskip(NEXT) | instid1(VALU_DEP_2)
	v_clz_i32_u32_e32 v6, v2
	v_cmp_eq_u32_e32 vcc_lo, 0, v8
	s_delay_alu instid0(VALU_DEP_2) | instskip(NEXT) | instid1(VALU_DEP_1)
	v_min_u32_e32 v6, 32, v6
	v_subrev_nc_u32_e32 v7, 28, v6
	s_delay_alu instid0(VALU_DEP_1) | instskip(NEXT) | instid1(VALU_DEP_1)
	v_dual_lshlrev_b32 v7, v7, v3 :: v_dual_sub_nc_u32 v6, 29, v6
	v_and_b32_e32 v7, 7, v7
	s_delay_alu instid0(VALU_DEP_2) | instskip(NEXT) | instid1(VALU_DEP_2)
	v_dual_cndmask_b32 v6, v8, v6 :: v_dual_lshlrev_b32 v9, 24, v3
	v_cndmask_b32_e32 v2, v2, v7, vcc_lo
	s_delay_alu instid0(VALU_DEP_2) | instskip(NEXT) | instid1(VALU_DEP_3)
	v_and_b32_e32 v7, 0x80000000, v9
	v_lshl_add_u32 v6, v6, 23, 0x3b800000
	s_delay_alu instid0(VALU_DEP_3) | instskip(NEXT) | instid1(VALU_DEP_1)
	v_lshlrev_b32_e32 v2, 20, v2
	v_or3_b32 v2, v7, v6, v2
.LBB289_262:
	s_or_b32 exec_lo, exec_lo, s23
	s_delay_alu instid0(VALU_DEP_1)
	v_cmp_eq_f32_e64 s23, v4, v2
.LBB289_263:
	v_dual_lshrrev_b32 v4, 8, v5 :: v_dual_lshrrev_b32 v2, 8, v3
	v_cmp_ne_u32_e32 vcc_lo, 1, v1
	s_delay_alu instid0(VALU_DEP_2)
	v_and_b32_e32 v6, 0xff, v4
	s_cbranch_vccnz .LBB289_273
; %bb.264:
	s_mov_b32 s0, 0
	s_mov_b32 s24, exec_lo
	s_delay_alu instid0(VALU_DEP_1)
	v_cmpx_lt_i16_e32 0x7f, v6
	s_xor_b32 s24, exec_lo, s24
	s_cbranch_execnz .LBB289_429
; %bb.265:
	s_or_saveexec_b32 s24, s24
	v_mov_b32_e32 v7, 0x7f800001
	s_xor_b32 exec_lo, exec_lo, s24
	s_cbranch_execnz .LBB289_432
.LBB289_266:
	s_or_b32 exec_lo, exec_lo, s24
	s_and_saveexec_b32 s24, s0
	s_cbranch_execz .LBB289_268
.LBB289_267:
	v_bfe_u32 v7, v5, 8, 3
	v_bfe_u32 v10, v5, 11, 4
	v_lshlrev_b32_e32 v11, 24, v4
	s_delay_alu instid0(VALU_DEP_3) | instskip(NEXT) | instid1(VALU_DEP_3)
	v_clz_i32_u32_e32 v8, v7
	v_cmp_eq_u32_e32 vcc_lo, 0, v10
	s_delay_alu instid0(VALU_DEP_2) | instskip(NEXT) | instid1(VALU_DEP_1)
	v_min_u32_e32 v8, 32, v8
	v_subrev_nc_u32_e32 v9, 28, v8
	s_delay_alu instid0(VALU_DEP_1) | instskip(NEXT) | instid1(VALU_DEP_1)
	v_lshlrev_b32_e32 v9, v9, v4
	v_dual_sub_nc_u32 v8, 29, v8 :: v_dual_bitop2_b32 v9, 7, v9 bitop3:0x40
	s_delay_alu instid0(VALU_DEP_1) | instskip(SKIP_1) | instid1(VALU_DEP_2)
	v_dual_cndmask_b32 v8, v10, v8 :: v_dual_cndmask_b32 v7, v7, v9
	v_and_b32_e32 v9, 0x80000000, v11
	v_lshl_add_u32 v8, v8, 23, 0x3b800000
	s_delay_alu instid0(VALU_DEP_3) | instskip(NEXT) | instid1(VALU_DEP_1)
	v_lshlrev_b32_e32 v7, 20, v7
	v_or3_b32 v7, v9, v8, v7
.LBB289_268:
	s_or_b32 exec_lo, exec_lo, s24
	v_and_b32_e32 v9, 0xff, v2
	s_mov_b32 s0, 0
	s_mov_b32 s24, exec_lo
	s_delay_alu instid0(VALU_DEP_1)
	v_cmpx_lt_i16_e32 0x7f, v9
	s_xor_b32 s24, exec_lo, s24
	s_cbranch_execnz .LBB289_433
; %bb.269:
	s_or_saveexec_b32 s24, s24
	v_mov_b32_e32 v8, 0x7f800001
	s_xor_b32 exec_lo, exec_lo, s24
	s_cbranch_execnz .LBB289_436
.LBB289_270:
	s_or_b32 exec_lo, exec_lo, s24
	s_and_saveexec_b32 s24, s0
	s_cbranch_execz .LBB289_272
.LBB289_271:
	v_bfe_u32 v8, v3, 8, 3
	v_bfe_u32 v11, v3, 11, 4
	s_delay_alu instid0(VALU_DEP_2) | instskip(NEXT) | instid1(VALU_DEP_2)
	v_clz_i32_u32_e32 v9, v8
	v_cmp_eq_u32_e32 vcc_lo, 0, v11
	s_delay_alu instid0(VALU_DEP_2) | instskip(NEXT) | instid1(VALU_DEP_1)
	v_min_u32_e32 v9, 32, v9
	v_subrev_nc_u32_e32 v10, 28, v9
	s_delay_alu instid0(VALU_DEP_1) | instskip(NEXT) | instid1(VALU_DEP_1)
	v_dual_sub_nc_u32 v9, 29, v9 :: v_dual_lshlrev_b32 v10, v10, v2
	v_dual_cndmask_b32 v9, v11, v9, vcc_lo :: v_dual_bitop2_b32 v10, 7, v10 bitop3:0x40
	s_delay_alu instid0(VALU_DEP_1) | instskip(NEXT) | instid1(VALU_DEP_2)
	v_lshl_add_u32 v9, v9, 23, 0x3b800000
	v_cndmask_b32_e32 v8, v8, v10, vcc_lo
	s_delay_alu instid0(VALU_DEP_1) | instskip(NEXT) | instid1(VALU_DEP_1)
	v_dual_lshlrev_b32 v12, 24, v2 :: v_dual_lshlrev_b32 v8, 20, v8
	v_and_b32_e32 v10, 0x80000000, v12
	s_delay_alu instid0(VALU_DEP_1)
	v_or3_b32 v8, v10, v9, v8
.LBB289_272:
	s_or_b32 exec_lo, exec_lo, s24
	s_delay_alu instid0(VALU_DEP_1)
	v_cmp_neq_f32_e64 s24, v7, v8
	s_branch .LBB289_283
.LBB289_273:
                                        ; implicit-def: $sgpr24
	s_cbranch_execz .LBB289_283
; %bb.274:
	s_mov_b32 s0, 0
	s_mov_b32 s24, exec_lo
	v_cmpx_lt_i16_e32 0x7f, v6
	s_xor_b32 s24, exec_lo, s24
	s_cbranch_execnz .LBB289_557
; %bb.275:
	s_or_saveexec_b32 s24, s24
	v_mov_b32_e32 v7, 0x7f800001
	s_xor_b32 exec_lo, exec_lo, s24
	s_cbranch_execnz .LBB289_560
.LBB289_276:
	s_or_b32 exec_lo, exec_lo, s24
	s_and_saveexec_b32 s24, s0
	s_cbranch_execz .LBB289_278
.LBB289_277:
	v_bfe_u32 v6, v5, 8, 3
	v_bfe_u32 v9, v5, 11, 4
	s_delay_alu instid0(VALU_DEP_2) | instskip(NEXT) | instid1(VALU_DEP_2)
	v_clz_i32_u32_e32 v7, v6
	v_cmp_eq_u32_e32 vcc_lo, 0, v9
	s_delay_alu instid0(VALU_DEP_2) | instskip(NEXT) | instid1(VALU_DEP_1)
	v_min_u32_e32 v7, 32, v7
	v_subrev_nc_u32_e32 v8, 28, v7
	s_delay_alu instid0(VALU_DEP_1) | instskip(NEXT) | instid1(VALU_DEP_1)
	v_dual_sub_nc_u32 v7, 29, v7 :: v_dual_lshlrev_b32 v8, v8, v4
	v_dual_cndmask_b32 v7, v9, v7, vcc_lo :: v_dual_bitop2_b32 v8, 7, v8 bitop3:0x40
	s_delay_alu instid0(VALU_DEP_1) | instskip(NEXT) | instid1(VALU_DEP_2)
	v_lshl_add_u32 v7, v7, 23, 0x3b800000
	v_cndmask_b32_e32 v6, v6, v8, vcc_lo
	s_delay_alu instid0(VALU_DEP_1) | instskip(NEXT) | instid1(VALU_DEP_1)
	v_dual_lshlrev_b32 v4, 24, v4 :: v_dual_lshlrev_b32 v6, 20, v6
	v_and_b32_e32 v4, 0x80000000, v4
	s_delay_alu instid0(VALU_DEP_1)
	v_or3_b32 v7, v4, v7, v6
.LBB289_278:
	s_or_b32 exec_lo, exec_lo, s24
	v_and_b32_e32 v6, 0xff, v2
	s_mov_b32 s0, 0
	s_mov_b32 s24, exec_lo
	s_delay_alu instid0(VALU_DEP_1)
	v_cmpx_lt_i16_e32 0x7f, v6
	s_xor_b32 s24, exec_lo, s24
	s_cbranch_execnz .LBB289_561
; %bb.279:
	s_or_saveexec_b32 s24, s24
	v_mov_b32_e32 v4, 0x7f800001
	s_xor_b32 exec_lo, exec_lo, s24
	s_cbranch_execnz .LBB289_564
.LBB289_280:
	s_or_b32 exec_lo, exec_lo, s24
	s_and_saveexec_b32 s24, s0
	s_cbranch_execz .LBB289_282
.LBB289_281:
	v_bfe_u32 v4, v3, 8, 3
	v_bfe_u32 v9, v3, 11, 4
	s_delay_alu instid0(VALU_DEP_2) | instskip(NEXT) | instid1(VALU_DEP_2)
	v_clz_i32_u32_e32 v6, v4
	v_cmp_eq_u32_e32 vcc_lo, 0, v9
	s_delay_alu instid0(VALU_DEP_2) | instskip(NEXT) | instid1(VALU_DEP_1)
	v_min_u32_e32 v6, 32, v6
	v_subrev_nc_u32_e32 v8, 28, v6
	s_delay_alu instid0(VALU_DEP_1) | instskip(NEXT) | instid1(VALU_DEP_1)
	v_dual_lshlrev_b32 v8, v8, v2 :: v_dual_lshlrev_b32 v2, 24, v2
	v_dual_sub_nc_u32 v6, 29, v6 :: v_dual_bitop2_b32 v8, 7, v8 bitop3:0x40
	s_delay_alu instid0(VALU_DEP_2) | instskip(NEXT) | instid1(VALU_DEP_2)
	v_and_b32_e32 v2, 0x80000000, v2
	v_dual_cndmask_b32 v6, v9, v6, vcc_lo :: v_dual_cndmask_b32 v4, v4, v8, vcc_lo
	s_delay_alu instid0(VALU_DEP_1) | instskip(NEXT) | instid1(VALU_DEP_2)
	v_lshl_add_u32 v6, v6, 23, 0x3b800000
	v_lshlrev_b32_e32 v4, 20, v4
	s_delay_alu instid0(VALU_DEP_1)
	v_or3_b32 v4, v2, v6, v4
.LBB289_282:
	s_or_b32 exec_lo, exec_lo, s24
	s_delay_alu instid0(VALU_DEP_1)
	v_cmp_eq_f32_e64 s24, v7, v4
.LBB289_283:
	v_dual_lshrrev_b32 v4, 16, v5 :: v_dual_lshrrev_b32 v2, 16, v3
	v_cmp_ne_u32_e32 vcc_lo, 1, v1
	s_delay_alu instid0(VALU_DEP_2)
	v_and_b32_e32 v6, 0xff, v4
	s_cbranch_vccnz .LBB289_293
; %bb.284:
	s_mov_b32 s0, 0
	s_mov_b32 s25, exec_lo
	s_delay_alu instid0(VALU_DEP_1)
	v_cmpx_lt_i16_e32 0x7f, v6
	s_xor_b32 s25, exec_lo, s25
	s_cbranch_execnz .LBB289_437
; %bb.285:
	s_or_saveexec_b32 s25, s25
	v_mov_b32_e32 v7, 0x7f800001
	s_xor_b32 exec_lo, exec_lo, s25
	s_cbranch_execnz .LBB289_440
.LBB289_286:
	s_or_b32 exec_lo, exec_lo, s25
	s_and_saveexec_b32 s25, s0
	s_cbranch_execz .LBB289_288
.LBB289_287:
	v_bfe_u32 v7, v5, 16, 3
	v_bfe_u32 v10, v5, 19, 4
	v_lshlrev_b32_e32 v11, 24, v4
	s_delay_alu instid0(VALU_DEP_3) | instskip(NEXT) | instid1(VALU_DEP_3)
	v_clz_i32_u32_e32 v8, v7
	v_cmp_eq_u32_e32 vcc_lo, 0, v10
	s_delay_alu instid0(VALU_DEP_2) | instskip(NEXT) | instid1(VALU_DEP_1)
	v_min_u32_e32 v8, 32, v8
	v_subrev_nc_u32_e32 v9, 28, v8
	s_delay_alu instid0(VALU_DEP_1) | instskip(NEXT) | instid1(VALU_DEP_1)
	v_lshlrev_b32_e32 v9, v9, v4
	v_dual_sub_nc_u32 v8, 29, v8 :: v_dual_bitop2_b32 v9, 7, v9 bitop3:0x40
	s_delay_alu instid0(VALU_DEP_1) | instskip(SKIP_1) | instid1(VALU_DEP_2)
	v_dual_cndmask_b32 v8, v10, v8 :: v_dual_cndmask_b32 v7, v7, v9
	v_and_b32_e32 v9, 0x80000000, v11
	v_lshl_add_u32 v8, v8, 23, 0x3b800000
	s_delay_alu instid0(VALU_DEP_3) | instskip(NEXT) | instid1(VALU_DEP_1)
	v_lshlrev_b32_e32 v7, 20, v7
	v_or3_b32 v7, v9, v8, v7
.LBB289_288:
	s_or_b32 exec_lo, exec_lo, s25
	v_and_b32_e32 v9, 0xff, v2
	s_mov_b32 s0, 0
	s_mov_b32 s25, exec_lo
	s_delay_alu instid0(VALU_DEP_1)
	v_cmpx_lt_i16_e32 0x7f, v9
	s_xor_b32 s25, exec_lo, s25
	s_cbranch_execnz .LBB289_441
; %bb.289:
	s_or_saveexec_b32 s25, s25
	v_mov_b32_e32 v8, 0x7f800001
	s_xor_b32 exec_lo, exec_lo, s25
	s_cbranch_execnz .LBB289_444
.LBB289_290:
	s_or_b32 exec_lo, exec_lo, s25
	s_and_saveexec_b32 s25, s0
	s_cbranch_execz .LBB289_292
.LBB289_291:
	v_bfe_u32 v8, v3, 16, 3
	v_bfe_u32 v11, v3, 19, 4
	s_delay_alu instid0(VALU_DEP_2) | instskip(NEXT) | instid1(VALU_DEP_2)
	v_clz_i32_u32_e32 v9, v8
	v_cmp_eq_u32_e32 vcc_lo, 0, v11
	s_delay_alu instid0(VALU_DEP_2) | instskip(NEXT) | instid1(VALU_DEP_1)
	v_min_u32_e32 v9, 32, v9
	v_subrev_nc_u32_e32 v10, 28, v9
	s_delay_alu instid0(VALU_DEP_1) | instskip(NEXT) | instid1(VALU_DEP_1)
	v_dual_sub_nc_u32 v9, 29, v9 :: v_dual_lshlrev_b32 v10, v10, v2
	v_dual_cndmask_b32 v9, v11, v9, vcc_lo :: v_dual_bitop2_b32 v10, 7, v10 bitop3:0x40
	s_delay_alu instid0(VALU_DEP_1) | instskip(NEXT) | instid1(VALU_DEP_2)
	v_lshl_add_u32 v9, v9, 23, 0x3b800000
	v_cndmask_b32_e32 v8, v8, v10, vcc_lo
	s_delay_alu instid0(VALU_DEP_1) | instskip(NEXT) | instid1(VALU_DEP_1)
	v_dual_lshlrev_b32 v12, 24, v2 :: v_dual_lshlrev_b32 v8, 20, v8
	v_and_b32_e32 v10, 0x80000000, v12
	s_delay_alu instid0(VALU_DEP_1)
	v_or3_b32 v8, v10, v9, v8
.LBB289_292:
	s_or_b32 exec_lo, exec_lo, s25
	s_delay_alu instid0(VALU_DEP_1)
	v_cmp_neq_f32_e64 s25, v7, v8
	s_branch .LBB289_303
.LBB289_293:
                                        ; implicit-def: $sgpr25
	s_cbranch_execz .LBB289_303
; %bb.294:
	s_mov_b32 s0, 0
	s_mov_b32 s25, exec_lo
	v_cmpx_lt_i16_e32 0x7f, v6
	s_xor_b32 s25, exec_lo, s25
	s_cbranch_execnz .LBB289_565
; %bb.295:
	s_or_saveexec_b32 s25, s25
	v_mov_b32_e32 v7, 0x7f800001
	s_xor_b32 exec_lo, exec_lo, s25
	s_cbranch_execnz .LBB289_568
.LBB289_296:
	s_or_b32 exec_lo, exec_lo, s25
	s_and_saveexec_b32 s25, s0
	s_cbranch_execz .LBB289_298
.LBB289_297:
	v_bfe_u32 v6, v5, 16, 3
	v_bfe_u32 v9, v5, 19, 4
	s_delay_alu instid0(VALU_DEP_2) | instskip(NEXT) | instid1(VALU_DEP_2)
	v_clz_i32_u32_e32 v7, v6
	v_cmp_eq_u32_e32 vcc_lo, 0, v9
	s_delay_alu instid0(VALU_DEP_2) | instskip(NEXT) | instid1(VALU_DEP_1)
	v_min_u32_e32 v7, 32, v7
	v_subrev_nc_u32_e32 v8, 28, v7
	s_delay_alu instid0(VALU_DEP_1) | instskip(NEXT) | instid1(VALU_DEP_1)
	v_dual_sub_nc_u32 v7, 29, v7 :: v_dual_lshlrev_b32 v8, v8, v4
	v_dual_cndmask_b32 v7, v9, v7, vcc_lo :: v_dual_bitop2_b32 v8, 7, v8 bitop3:0x40
	s_delay_alu instid0(VALU_DEP_1) | instskip(NEXT) | instid1(VALU_DEP_2)
	v_lshl_add_u32 v7, v7, 23, 0x3b800000
	v_cndmask_b32_e32 v6, v6, v8, vcc_lo
	s_delay_alu instid0(VALU_DEP_1) | instskip(NEXT) | instid1(VALU_DEP_1)
	v_dual_lshlrev_b32 v4, 24, v4 :: v_dual_lshlrev_b32 v6, 20, v6
	v_and_b32_e32 v4, 0x80000000, v4
	s_delay_alu instid0(VALU_DEP_1)
	v_or3_b32 v7, v4, v7, v6
.LBB289_298:
	s_or_b32 exec_lo, exec_lo, s25
	v_and_b32_e32 v6, 0xff, v2
	s_mov_b32 s0, 0
	s_mov_b32 s25, exec_lo
	s_delay_alu instid0(VALU_DEP_1)
	v_cmpx_lt_i16_e32 0x7f, v6
	s_xor_b32 s25, exec_lo, s25
	s_cbranch_execnz .LBB289_569
; %bb.299:
	s_or_saveexec_b32 s25, s25
	v_mov_b32_e32 v4, 0x7f800001
	s_xor_b32 exec_lo, exec_lo, s25
	s_cbranch_execnz .LBB289_572
.LBB289_300:
	s_or_b32 exec_lo, exec_lo, s25
	s_and_saveexec_b32 s25, s0
	s_cbranch_execz .LBB289_302
.LBB289_301:
	v_bfe_u32 v4, v3, 16, 3
	v_bfe_u32 v9, v3, 19, 4
	s_delay_alu instid0(VALU_DEP_2) | instskip(NEXT) | instid1(VALU_DEP_2)
	v_clz_i32_u32_e32 v6, v4
	v_cmp_eq_u32_e32 vcc_lo, 0, v9
	s_delay_alu instid0(VALU_DEP_2) | instskip(NEXT) | instid1(VALU_DEP_1)
	v_min_u32_e32 v6, 32, v6
	v_subrev_nc_u32_e32 v8, 28, v6
	s_delay_alu instid0(VALU_DEP_1) | instskip(NEXT) | instid1(VALU_DEP_1)
	v_dual_lshlrev_b32 v8, v8, v2 :: v_dual_lshlrev_b32 v2, 24, v2
	v_dual_sub_nc_u32 v6, 29, v6 :: v_dual_bitop2_b32 v8, 7, v8 bitop3:0x40
	s_delay_alu instid0(VALU_DEP_2) | instskip(NEXT) | instid1(VALU_DEP_2)
	v_and_b32_e32 v2, 0x80000000, v2
	v_dual_cndmask_b32 v6, v9, v6, vcc_lo :: v_dual_cndmask_b32 v4, v4, v8, vcc_lo
	s_delay_alu instid0(VALU_DEP_1) | instskip(NEXT) | instid1(VALU_DEP_2)
	v_lshl_add_u32 v6, v6, 23, 0x3b800000
	v_lshlrev_b32_e32 v4, 20, v4
	s_delay_alu instid0(VALU_DEP_1)
	v_or3_b32 v4, v2, v6, v4
.LBB289_302:
	s_or_b32 exec_lo, exec_lo, s25
	s_delay_alu instid0(VALU_DEP_1)
	v_cmp_eq_f32_e64 s25, v7, v4
.LBB289_303:
	v_lshrrev_b32_e32 v2, 24, v5
	v_cmp_ne_u32_e32 vcc_lo, 1, v1
	v_lshrrev_b32_e32 v1, 24, v3
	s_delay_alu instid0(VALU_DEP_3)
	v_cmp_lt_i16_e64 s0, 0x7f, v2
	s_cbranch_vccnz .LBB289_313
; %bb.304:
	s_mov_b32 s26, 0
	s_and_saveexec_b32 s27, s0
	s_delay_alu instid0(SALU_CYCLE_1)
	s_xor_b32 s0, exec_lo, s27
	s_cbranch_execnz .LBB289_445
; %bb.305:
	s_or_saveexec_b32 s0, s0
	v_mov_b32_e32 v4, 0x7f800001
	s_xor_b32 exec_lo, exec_lo, s0
	s_cbranch_execnz .LBB289_448
.LBB289_306:
	s_or_b32 exec_lo, exec_lo, s0
	s_and_saveexec_b32 s0, s26
	s_cbranch_execz .LBB289_308
.LBB289_307:
	v_bfe_u32 v4, v5, 24, 3
	v_bfe_u32 v8, v5, 27, 4
	s_delay_alu instid0(VALU_DEP_2) | instskip(NEXT) | instid1(VALU_DEP_2)
	v_clz_i32_u32_e32 v6, v4
	v_cmp_eq_u32_e32 vcc_lo, 0, v8
	s_delay_alu instid0(VALU_DEP_2) | instskip(NEXT) | instid1(VALU_DEP_1)
	v_min_u32_e32 v6, 32, v6
	v_subrev_nc_u32_e32 v7, 28, v6
	s_delay_alu instid0(VALU_DEP_1) | instskip(NEXT) | instid1(VALU_DEP_1)
	v_lshlrev_b32_e32 v7, v7, v2
	v_dual_sub_nc_u32 v6, 29, v6 :: v_dual_bitop2_b32 v7, 7, v7 bitop3:0x40
	s_delay_alu instid0(VALU_DEP_1) | instskip(NEXT) | instid1(VALU_DEP_2)
	v_cndmask_b32_e32 v6, v8, v6, vcc_lo
	v_cndmask_b32_e32 v4, v4, v7, vcc_lo
	v_and_b32_e32 v7, 0x80000000, v5
	s_delay_alu instid0(VALU_DEP_3) | instskip(NEXT) | instid1(VALU_DEP_3)
	v_lshl_add_u32 v6, v6, 23, 0x3b800000
	v_lshlrev_b32_e32 v4, 20, v4
	s_delay_alu instid0(VALU_DEP_1)
	v_or3_b32 v4, v7, v6, v4
.LBB289_308:
	s_or_b32 exec_lo, exec_lo, s0
	s_mov_b32 s0, 0
	s_mov_b32 s26, exec_lo
	v_cmpx_lt_i16_e32 0x7f, v1
	s_xor_b32 s26, exec_lo, s26
	s_cbranch_execnz .LBB289_449
; %bb.309:
	s_or_saveexec_b32 s26, s26
	v_mov_b32_e32 v6, 0x7f800001
	s_xor_b32 exec_lo, exec_lo, s26
	s_cbranch_execnz .LBB289_452
.LBB289_310:
	s_or_b32 exec_lo, exec_lo, s26
	s_and_saveexec_b32 s26, s0
	s_cbranch_execz .LBB289_312
.LBB289_311:
	v_bfe_u32 v6, v3, 24, 3
	v_bfe_u32 v9, v3, 27, 4
	s_delay_alu instid0(VALU_DEP_2) | instskip(NEXT) | instid1(VALU_DEP_2)
	v_clz_i32_u32_e32 v7, v6
	v_cmp_eq_u32_e32 vcc_lo, 0, v9
	s_delay_alu instid0(VALU_DEP_2) | instskip(NEXT) | instid1(VALU_DEP_1)
	v_min_u32_e32 v7, 32, v7
	v_subrev_nc_u32_e32 v8, 28, v7
	s_delay_alu instid0(VALU_DEP_1) | instskip(NEXT) | instid1(VALU_DEP_1)
	v_dual_sub_nc_u32 v7, 29, v7 :: v_dual_lshlrev_b32 v8, v8, v1
	v_dual_cndmask_b32 v7, v9, v7, vcc_lo :: v_dual_bitop2_b32 v8, 7, v8 bitop3:0x40
	s_delay_alu instid0(VALU_DEP_1) | instskip(NEXT) | instid1(VALU_DEP_2)
	v_lshl_add_u32 v7, v7, 23, 0x3b800000
	v_cndmask_b32_e32 v6, v6, v8, vcc_lo
	v_and_b32_e32 v8, 0x80000000, v3
	s_delay_alu instid0(VALU_DEP_2) | instskip(NEXT) | instid1(VALU_DEP_1)
	v_lshlrev_b32_e32 v6, 20, v6
	v_or3_b32 v6, v8, v7, v6
.LBB289_312:
	s_or_b32 exec_lo, exec_lo, s26
	s_delay_alu instid0(VALU_DEP_1)
	v_cmp_neq_f32_e64 s0, v4, v6
	s_branch .LBB289_323
.LBB289_313:
                                        ; implicit-def: $sgpr0
	s_cbranch_execz .LBB289_323
; %bb.314:
	s_mov_b32 s0, 0
	s_mov_b32 s26, exec_lo
	v_cmpx_lt_i16_e32 0x7f, v2
	s_xor_b32 s26, exec_lo, s26
	s_cbranch_execnz .LBB289_573
; %bb.315:
	s_or_saveexec_b32 s26, s26
	v_mov_b32_e32 v4, 0x7f800001
	s_xor_b32 exec_lo, exec_lo, s26
	s_cbranch_execnz .LBB289_576
.LBB289_316:
	s_or_b32 exec_lo, exec_lo, s26
	s_and_saveexec_b32 s26, s0
	s_cbranch_execz .LBB289_318
.LBB289_317:
	v_bfe_u32 v4, v5, 24, 3
	s_delay_alu instid0(VALU_DEP_1) | instskip(NEXT) | instid1(VALU_DEP_1)
	v_clz_i32_u32_e32 v6, v4
	v_min_u32_e32 v6, 32, v6
	s_delay_alu instid0(VALU_DEP_1) | instskip(SKIP_1) | instid1(VALU_DEP_2)
	v_subrev_nc_u32_e32 v7, 28, v6
	v_sub_nc_u32_e32 v6, 29, v6
	v_lshlrev_b32_e32 v2, v7, v2
	v_bfe_u32 v7, v5, 27, 4
	s_delay_alu instid0(VALU_DEP_2) | instskip(NEXT) | instid1(VALU_DEP_2)
	v_and_b32_e32 v2, 7, v2
	v_cmp_eq_u32_e32 vcc_lo, 0, v7
	v_cndmask_b32_e32 v6, v7, v6, vcc_lo
	s_delay_alu instid0(VALU_DEP_3) | instskip(SKIP_1) | instid1(VALU_DEP_3)
	v_cndmask_b32_e32 v2, v4, v2, vcc_lo
	v_and_b32_e32 v4, 0x80000000, v5
	v_lshl_add_u32 v5, v6, 23, 0x3b800000
	s_delay_alu instid0(VALU_DEP_3) | instskip(NEXT) | instid1(VALU_DEP_1)
	v_lshlrev_b32_e32 v2, 20, v2
	v_or3_b32 v4, v4, v5, v2
.LBB289_318:
	s_or_b32 exec_lo, exec_lo, s26
	s_mov_b32 s0, 0
	s_mov_b32 s26, exec_lo
	v_cmpx_lt_i16_e32 0x7f, v1
	s_xor_b32 s26, exec_lo, s26
	s_cbranch_execnz .LBB289_577
; %bb.319:
	s_or_saveexec_b32 s26, s26
	v_mov_b32_e32 v2, 0x7f800001
	s_xor_b32 exec_lo, exec_lo, s26
	s_cbranch_execnz .LBB289_580
.LBB289_320:
	s_or_b32 exec_lo, exec_lo, s26
	s_and_saveexec_b32 s26, s0
	s_cbranch_execz .LBB289_322
.LBB289_321:
	v_bfe_u32 v2, v3, 24, 3
	s_delay_alu instid0(VALU_DEP_1) | instskip(NEXT) | instid1(VALU_DEP_1)
	v_clz_i32_u32_e32 v5, v2
	v_min_u32_e32 v5, 32, v5
	s_delay_alu instid0(VALU_DEP_1) | instskip(SKIP_1) | instid1(VALU_DEP_2)
	v_subrev_nc_u32_e32 v6, 28, v5
	v_sub_nc_u32_e32 v5, 29, v5
	v_lshlrev_b32_e32 v1, v6, v1
	v_bfe_u32 v6, v3, 27, 4
	s_delay_alu instid0(VALU_DEP_2) | instskip(NEXT) | instid1(VALU_DEP_2)
	v_and_b32_e32 v1, 7, v1
	v_cmp_eq_u32_e32 vcc_lo, 0, v6
	v_cndmask_b32_e32 v5, v6, v5, vcc_lo
	s_delay_alu instid0(VALU_DEP_3) | instskip(SKIP_1) | instid1(VALU_DEP_3)
	v_cndmask_b32_e32 v1, v2, v1, vcc_lo
	v_and_b32_e32 v2, 0x80000000, v3
	v_lshl_add_u32 v3, v5, 23, 0x3b800000
	s_delay_alu instid0(VALU_DEP_3) | instskip(NEXT) | instid1(VALU_DEP_1)
	v_lshlrev_b32_e32 v1, 20, v1
	v_or3_b32 v2, v2, v3, v1
.LBB289_322:
	s_or_b32 exec_lo, exec_lo, s26
	s_delay_alu instid0(VALU_DEP_1)
	v_cmp_eq_f32_e64 s0, v4, v2
.LBB289_323:
	v_cndmask_b32_e64 v1, 0, 1, s12
	v_cndmask_b32_e64 v2, 0, 1, s14
	;; [unrolled: 1-line block ×5, first 2 shown]
	v_lshlrev_b16 v1, 8, v1
	v_lshlrev_b16 v2, 8, v2
	v_cndmask_b32_e64 v6, 0, 1, s15
	v_lshlrev_b16 v4, 8, v4
	v_cndmask_b32_e64 v7, 0, 1, s22
	v_cndmask_b32_e64 v8, 0, 1, s24
	v_or_b32_e32 v2, v5, v2
	v_or_b32_e32 v1, v3, v1
	;; [unrolled: 1-line block ×3, first 2 shown]
	v_cndmask_b32_e64 v4, 0, 1, s18
	v_cndmask_b32_e64 v5, 0, 1, s20
	;; [unrolled: 1-line block ×4, first 2 shown]
	v_lshlrev_b16 v7, 8, v7
	v_lshlrev_b16 v4, 8, v4
	v_cndmask_b32_e64 v11, 0, 1, s21
	v_lshlrev_b16 v5, 8, v5
	v_cndmask_b32_e64 v9, 0, 1, s19
	;; [unrolled: 2-line block ×4, first 2 shown]
	v_or_b32_e32 v4, v6, v4
	v_or_b32_e32 v6, v11, v7
	;; [unrolled: 1-line block ×3, first 2 shown]
	s_add_nc_u64 s[10:11], s[4:5], s[10:11]
	v_or_b32_e32 v8, v13, v10
	v_dual_lshlrev_b32 v4, 16, v4 :: v_dual_bitop2_b32 v5, v9, v5 bitop3:0x54
	v_lshlrev_b32_e32 v2, 16, v2
	v_and_b32_e32 v1, 0xffff, v1
	v_lshlrev_b32_e32 v6, 16, v6
	v_and_b32_e32 v3, 0xffff, v3
	v_and_b32_e32 v7, 0xffff, v7
	v_lshlrev_b32_e32 v8, 16, v8
	v_and_b32_e32 v5, 0xffff, v5
	v_or_b32_e32 v2, v1, v2
	v_or_b32_e32 v3, v3, v4
	s_delay_alu instid0(VALU_DEP_3)
	v_or_b32_e32 v4, v5, v6
	v_or_b32_e32 v5, v7, v8
	s_clause 0x1
	global_store_b64 v0, v[2:3], s[10:11] scale_offset
	global_store_b64 v0, v[4:5], s[10:11] offset:2048 scale_offset
	s_branch .LBB289_2
.LBB289_324:
	s_wait_xcnt 0x0
	v_dual_mov_b32 v31, v0 :: v_dual_mov_b32 v0, s9
	v_dual_mov_b32 v1, s4 :: v_dual_mov_b32 v2, s5
	;; [unrolled: 1-line block ×4, first 2 shown]
	v_mov_b32_e32 v7, s1
	s_get_pc_i64 s[10:11]
	s_add_nc_u64 s[10:11], s[10:11], _ZN2at6native25elementwise_kernel_helperILb0ENS0_13BinaryFunctorIN3c1015Float8_e4m3fnuzES4_bNS0_12_GLOBAL__N_116CompareEqFunctorIS4_EEEENS0_6memory8policies11unroll_baseILi256ESt5arrayIPcLm3EE23TrivialOffsetCalculatorILi2EjESF_ILi1EjENS9_15LoadWithoutCastENS9_16StoreWithoutCastELi16ELi1EEEEEvT0_T1_@rel64+4
	s_delay_alu instid0(SALU_CYCLE_1)
	s_swap_pc_i64 s[30:31], s[10:11]
	s_endpgm
.LBB289_325:
	s_mov_b32 s8, -1
	s_mov_b32 s13, exec_lo
	v_cmpx_eq_u16_e32 0x80, v1
; %bb.326:
	s_xor_b32 s8, exec_lo, -1
; %bb.327:
	s_or_b32 exec_lo, exec_lo, s13
	s_delay_alu instid0(SALU_CYCLE_1)
	s_and_b32 s8, s8, exec_lo
	s_or_saveexec_b32 s12, s12
	v_mov_b32_e32 v10, 0x7f800001
	s_xor_b32 exec_lo, exec_lo, s12
	s_cbranch_execz .LBB289_6
.LBB289_328:
	v_cmp_ne_u16_e32 vcc_lo, 0, v1
	v_mov_b32_e32 v10, 0
	s_and_not1_b32 s8, s8, exec_lo
	s_and_b32 s13, vcc_lo, exec_lo
	s_delay_alu instid0(SALU_CYCLE_1)
	s_or_b32 s8, s8, s13
	s_or_b32 exec_lo, exec_lo, s12
	s_and_saveexec_b32 s12, s8
	s_cbranch_execnz .LBB289_7
	s_branch .LBB289_8
.LBB289_329:
	s_mov_b32 s8, -1
	s_mov_b32 s13, exec_lo
	v_cmpx_eq_u16_e32 0x80, v12
; %bb.330:
	s_xor_b32 s8, exec_lo, -1
; %bb.331:
	s_or_b32 exec_lo, exec_lo, s13
	s_delay_alu instid0(SALU_CYCLE_1)
	s_and_b32 s8, s8, exec_lo
                                        ; implicit-def: $vgpr12
	s_or_saveexec_b32 s12, s12
	v_mov_b32_e32 v11, 0x7f800001
	s_xor_b32 exec_lo, exec_lo, s12
	s_cbranch_execz .LBB289_10
.LBB289_332:
	v_cmp_ne_u16_e32 vcc_lo, 0, v12
	v_mov_b32_e32 v11, 0
	s_and_not1_b32 s8, s8, exec_lo
	s_and_b32 s13, vcc_lo, exec_lo
	s_delay_alu instid0(SALU_CYCLE_1)
	s_or_b32 s8, s8, s13
	s_or_b32 exec_lo, exec_lo, s12
	s_and_saveexec_b32 s12, s8
	s_cbranch_execnz .LBB289_11
	s_branch .LBB289_12
.LBB289_333:
	s_mov_b32 s0, -1
	s_mov_b32 s13, exec_lo
	v_cmpx_eq_u16_e32 0x80, v12
; %bb.334:
	s_xor_b32 s0, exec_lo, -1
; %bb.335:
	s_or_b32 exec_lo, exec_lo, s13
	s_delay_alu instid0(SALU_CYCLE_1)
	s_and_b32 s0, s0, exec_lo
	s_or_saveexec_b32 s12, s12
	v_mov_b32_e32 v13, 0x7f800001
	s_xor_b32 exec_lo, exec_lo, s12
	s_cbranch_execz .LBB289_26
.LBB289_336:
	v_cmp_ne_u16_e32 vcc_lo, 0, v12
	v_mov_b32_e32 v13, 0
	s_and_not1_b32 s0, s0, exec_lo
	s_and_b32 s13, vcc_lo, exec_lo
	s_delay_alu instid0(SALU_CYCLE_1)
	s_or_b32 s0, s0, s13
	s_or_b32 exec_lo, exec_lo, s12
	s_and_saveexec_b32 s12, s0
	s_cbranch_execnz .LBB289_27
	s_branch .LBB289_28
.LBB289_337:
	s_mov_b32 s0, -1
	s_mov_b32 s13, exec_lo
	v_cmpx_eq_u16_e32 0x80, v15
; %bb.338:
	s_xor_b32 s0, exec_lo, -1
; %bb.339:
	s_or_b32 exec_lo, exec_lo, s13
	s_delay_alu instid0(SALU_CYCLE_1)
	s_and_b32 s0, s0, exec_lo
                                        ; implicit-def: $vgpr15
	s_or_saveexec_b32 s12, s12
	v_mov_b32_e32 v14, 0x7f800001
	s_xor_b32 exec_lo, exec_lo, s12
	s_cbranch_execz .LBB289_30
.LBB289_340:
	v_cmp_ne_u16_e32 vcc_lo, 0, v15
	v_mov_b32_e32 v14, 0
	s_and_not1_b32 s0, s0, exec_lo
	s_and_b32 s13, vcc_lo, exec_lo
	s_delay_alu instid0(SALU_CYCLE_1)
	s_or_b32 s0, s0, s13
	s_or_b32 exec_lo, exec_lo, s12
	s_and_saveexec_b32 s12, s0
	s_cbranch_execnz .LBB289_31
	s_branch .LBB289_32
.LBB289_341:
	s_mov_b32 s0, -1
	s_mov_b32 s14, exec_lo
	v_cmpx_eq_u16_e32 0x80, v12
; %bb.342:
	s_xor_b32 s0, exec_lo, -1
; %bb.343:
	s_or_b32 exec_lo, exec_lo, s14
	s_delay_alu instid0(SALU_CYCLE_1)
	s_and_b32 s0, s0, exec_lo
	s_or_saveexec_b32 s13, s13
	v_mov_b32_e32 v13, 0x7f800001
	s_xor_b32 exec_lo, exec_lo, s13
	s_cbranch_execz .LBB289_46
.LBB289_344:
	v_cmp_ne_u16_e32 vcc_lo, 0, v12
	v_mov_b32_e32 v13, 0
	s_and_not1_b32 s0, s0, exec_lo
	s_and_b32 s14, vcc_lo, exec_lo
	s_delay_alu instid0(SALU_CYCLE_1)
	s_or_b32 s0, s0, s14
	s_or_b32 exec_lo, exec_lo, s13
	s_and_saveexec_b32 s13, s0
	s_cbranch_execnz .LBB289_47
	s_branch .LBB289_48
.LBB289_345:
	s_mov_b32 s0, -1
	s_mov_b32 s14, exec_lo
	v_cmpx_eq_u16_e32 0x80, v15
; %bb.346:
	s_xor_b32 s0, exec_lo, -1
; %bb.347:
	s_or_b32 exec_lo, exec_lo, s14
	s_delay_alu instid0(SALU_CYCLE_1)
	s_and_b32 s0, s0, exec_lo
                                        ; implicit-def: $vgpr15
	s_or_saveexec_b32 s13, s13
	v_mov_b32_e32 v14, 0x7f800001
	s_xor_b32 exec_lo, exec_lo, s13
	s_cbranch_execz .LBB289_50
.LBB289_348:
	v_cmp_ne_u16_e32 vcc_lo, 0, v15
	v_mov_b32_e32 v14, 0
	s_and_not1_b32 s0, s0, exec_lo
	s_and_b32 s14, vcc_lo, exec_lo
	s_delay_alu instid0(SALU_CYCLE_1)
	s_or_b32 s0, s0, s14
	s_or_b32 exec_lo, exec_lo, s13
	s_and_saveexec_b32 s13, s0
	s_cbranch_execnz .LBB289_51
	s_branch .LBB289_52
.LBB289_349:
	s_mov_b32 s14, -1
	s_mov_b32 s15, exec_lo
	v_cmpx_eq_u16_e32 0x80, v11
; %bb.350:
	s_xor_b32 s14, exec_lo, -1
; %bb.351:
	s_or_b32 exec_lo, exec_lo, s15
	s_delay_alu instid0(SALU_CYCLE_1)
	s_and_b32 s14, s14, exec_lo
	s_or_saveexec_b32 s0, s0
	v_mov_b32_e32 v12, 0x7f800001
	s_xor_b32 exec_lo, exec_lo, s0
	s_cbranch_execz .LBB289_66
.LBB289_352:
	v_cmp_ne_u16_e32 vcc_lo, 0, v11
	v_mov_b32_e32 v12, 0
	s_and_not1_b32 s14, s14, exec_lo
	s_and_b32 s15, vcc_lo, exec_lo
	s_delay_alu instid0(SALU_CYCLE_1)
	s_or_b32 s14, s14, s15
	s_or_b32 exec_lo, exec_lo, s0
	s_and_saveexec_b32 s0, s14
	s_cbranch_execnz .LBB289_67
	s_branch .LBB289_68
.LBB289_353:
	s_mov_b32 s0, -1
	s_mov_b32 s15, exec_lo
	v_cmpx_eq_u16_e32 0x80, v10
; %bb.354:
	s_xor_b32 s0, exec_lo, -1
; %bb.355:
	s_or_b32 exec_lo, exec_lo, s15
	s_delay_alu instid0(SALU_CYCLE_1)
	s_and_b32 s0, s0, exec_lo
	s_or_saveexec_b32 s14, s14
	v_mov_b32_e32 v13, 0x7f800001
	s_xor_b32 exec_lo, exec_lo, s14
	s_cbranch_execz .LBB289_70
.LBB289_356:
	v_cmp_ne_u16_e32 vcc_lo, 0, v10
	v_mov_b32_e32 v13, 0
	s_and_not1_b32 s0, s0, exec_lo
	s_and_b32 s15, vcc_lo, exec_lo
	s_delay_alu instid0(SALU_CYCLE_1)
	s_or_b32 s0, s0, s15
	s_or_b32 exec_lo, exec_lo, s14
	s_and_saveexec_b32 s14, s0
	s_cbranch_execnz .LBB289_71
	s_branch .LBB289_72
.LBB289_357:
	s_mov_b32 s0, -1
	s_mov_b32 s16, exec_lo
	v_cmpx_eq_u16_e32 0x80, v6
; %bb.358:
	s_xor_b32 s0, exec_lo, -1
; %bb.359:
	s_or_b32 exec_lo, exec_lo, s16
	s_delay_alu instid0(SALU_CYCLE_1)
	s_and_b32 s0, s0, exec_lo
	s_or_saveexec_b32 s15, s15
	v_mov_b32_e32 v8, 0x7f800001
	s_xor_b32 exec_lo, exec_lo, s15
	s_cbranch_execz .LBB289_76
.LBB289_360:
	v_cmp_ne_u16_e32 vcc_lo, 0, v6
	v_mov_b32_e32 v8, 0
	s_and_not1_b32 s0, s0, exec_lo
	s_and_b32 s16, vcc_lo, exec_lo
	s_delay_alu instid0(SALU_CYCLE_1)
	s_or_b32 s0, s0, s16
	s_or_b32 exec_lo, exec_lo, s15
	s_and_saveexec_b32 s15, s0
	s_cbranch_execnz .LBB289_77
	s_branch .LBB289_78
.LBB289_361:
	s_mov_b32 s0, -1
	s_mov_b32 s16, exec_lo
	v_cmpx_eq_u16_e32 0x80, v11
; %bb.362:
	s_xor_b32 s0, exec_lo, -1
; %bb.363:
	s_or_b32 exec_lo, exec_lo, s16
	s_delay_alu instid0(SALU_CYCLE_1)
	s_and_b32 s0, s0, exec_lo
                                        ; implicit-def: $vgpr11
	s_or_saveexec_b32 s15, s15
	v_mov_b32_e32 v10, 0x7f800001
	s_xor_b32 exec_lo, exec_lo, s15
	s_cbranch_execz .LBB289_80
.LBB289_364:
	v_cmp_ne_u16_e32 vcc_lo, 0, v11
	v_mov_b32_e32 v10, 0
	s_and_not1_b32 s0, s0, exec_lo
	s_and_b32 s16, vcc_lo, exec_lo
	s_delay_alu instid0(SALU_CYCLE_1)
	s_or_b32 s0, s0, s16
	s_or_b32 exec_lo, exec_lo, s15
	s_and_saveexec_b32 s15, s0
	s_cbranch_execnz .LBB289_81
	s_branch .LBB289_82
.LBB289_365:
	s_mov_b32 s0, -1
	s_mov_b32 s17, exec_lo
	v_cmpx_eq_u16_e32 0x80, v10
; %bb.366:
	s_xor_b32 s0, exec_lo, -1
; %bb.367:
	s_or_b32 exec_lo, exec_lo, s17
	s_delay_alu instid0(SALU_CYCLE_1)
	s_and_b32 s0, s0, exec_lo
	s_or_saveexec_b32 s16, s16
	v_mov_b32_e32 v11, 0x7f800001
	s_xor_b32 exec_lo, exec_lo, s16
	s_cbranch_execz .LBB289_106
.LBB289_368:
	v_cmp_ne_u16_e32 vcc_lo, 0, v10
	v_mov_b32_e32 v11, 0
	s_and_not1_b32 s0, s0, exec_lo
	s_and_b32 s17, vcc_lo, exec_lo
	s_delay_alu instid0(SALU_CYCLE_1)
	s_or_b32 s0, s0, s17
	s_or_b32 exec_lo, exec_lo, s16
	s_and_saveexec_b32 s16, s0
	s_cbranch_execnz .LBB289_107
	s_branch .LBB289_108
.LBB289_369:
	s_mov_b32 s0, -1
	s_mov_b32 s17, exec_lo
	v_cmpx_eq_u16_e32 0x80, v13
; %bb.370:
	s_xor_b32 s0, exec_lo, -1
; %bb.371:
	s_or_b32 exec_lo, exec_lo, s17
	s_delay_alu instid0(SALU_CYCLE_1)
	s_and_b32 s0, s0, exec_lo
                                        ; implicit-def: $vgpr13
	s_or_saveexec_b32 s16, s16
	v_mov_b32_e32 v12, 0x7f800001
	s_xor_b32 exec_lo, exec_lo, s16
	s_cbranch_execz .LBB289_110
.LBB289_372:
	v_cmp_ne_u16_e32 vcc_lo, 0, v13
	v_mov_b32_e32 v12, 0
	s_and_not1_b32 s0, s0, exec_lo
	s_and_b32 s17, vcc_lo, exec_lo
	s_delay_alu instid0(SALU_CYCLE_1)
	s_or_b32 s0, s0, s17
	s_or_b32 exec_lo, exec_lo, s16
	s_and_saveexec_b32 s16, s0
	s_cbranch_execnz .LBB289_111
	s_branch .LBB289_112
.LBB289_373:
	s_mov_b32 s0, -1
	s_mov_b32 s18, exec_lo
	v_cmpx_eq_u16_e32 0x80, v10
; %bb.374:
	s_xor_b32 s0, exec_lo, -1
; %bb.375:
	s_or_b32 exec_lo, exec_lo, s18
	s_delay_alu instid0(SALU_CYCLE_1)
	s_and_b32 s0, s0, exec_lo
	s_or_saveexec_b32 s17, s17
	v_mov_b32_e32 v11, 0x7f800001
	s_xor_b32 exec_lo, exec_lo, s17
	s_cbranch_execz .LBB289_126
.LBB289_376:
	v_cmp_ne_u16_e32 vcc_lo, 0, v10
	v_mov_b32_e32 v11, 0
	s_and_not1_b32 s0, s0, exec_lo
	s_and_b32 s18, vcc_lo, exec_lo
	s_delay_alu instid0(SALU_CYCLE_1)
	s_or_b32 s0, s0, s18
	s_or_b32 exec_lo, exec_lo, s17
	s_and_saveexec_b32 s17, s0
	s_cbranch_execnz .LBB289_127
	s_branch .LBB289_128
.LBB289_377:
	s_mov_b32 s0, -1
	s_mov_b32 s18, exec_lo
	v_cmpx_eq_u16_e32 0x80, v13
; %bb.378:
	s_xor_b32 s0, exec_lo, -1
; %bb.379:
	s_or_b32 exec_lo, exec_lo, s18
	s_delay_alu instid0(SALU_CYCLE_1)
	s_and_b32 s0, s0, exec_lo
                                        ; implicit-def: $vgpr13
	s_or_saveexec_b32 s17, s17
	v_mov_b32_e32 v12, 0x7f800001
	s_xor_b32 exec_lo, exec_lo, s17
	s_cbranch_execz .LBB289_130
.LBB289_380:
	v_cmp_ne_u16_e32 vcc_lo, 0, v13
	v_mov_b32_e32 v12, 0
	s_and_not1_b32 s0, s0, exec_lo
	s_and_b32 s18, vcc_lo, exec_lo
	s_delay_alu instid0(SALU_CYCLE_1)
	s_or_b32 s0, s0, s18
	s_or_b32 exec_lo, exec_lo, s17
	s_and_saveexec_b32 s17, s0
	s_cbranch_execnz .LBB289_131
	s_branch .LBB289_132
.LBB289_381:
	s_mov_b32 s18, -1
	s_mov_b32 s19, exec_lo
	v_cmpx_eq_u16_e32 0x80, v8
; %bb.382:
	s_xor_b32 s18, exec_lo, -1
; %bb.383:
	s_or_b32 exec_lo, exec_lo, s19
	s_delay_alu instid0(SALU_CYCLE_1)
	s_and_b32 s18, s18, exec_lo
	s_or_saveexec_b32 s0, s0
	v_mov_b32_e32 v10, 0x7f800001
	s_xor_b32 exec_lo, exec_lo, s0
	s_cbranch_execz .LBB289_146
.LBB289_384:
	v_cmp_ne_u16_e32 vcc_lo, 0, v8
	v_mov_b32_e32 v10, 0
	s_and_not1_b32 s18, s18, exec_lo
	s_and_b32 s19, vcc_lo, exec_lo
	s_delay_alu instid0(SALU_CYCLE_1)
	s_or_b32 s18, s18, s19
	s_or_b32 exec_lo, exec_lo, s0
	s_and_saveexec_b32 s0, s18
	s_cbranch_execnz .LBB289_147
	s_branch .LBB289_148
.LBB289_385:
	s_mov_b32 s0, -1
	s_mov_b32 s19, exec_lo
	v_cmpx_eq_u16_e32 0x80, v6
; %bb.386:
	s_xor_b32 s0, exec_lo, -1
; %bb.387:
	s_or_b32 exec_lo, exec_lo, s19
	s_delay_alu instid0(SALU_CYCLE_1)
	s_and_b32 s0, s0, exec_lo
	s_or_saveexec_b32 s18, s18
	v_mov_b32_e32 v11, 0x7f800001
	s_xor_b32 exec_lo, exec_lo, s18
	s_cbranch_execz .LBB289_150
.LBB289_388:
	v_cmp_ne_u16_e32 vcc_lo, 0, v6
	v_mov_b32_e32 v11, 0
	s_and_not1_b32 s0, s0, exec_lo
	s_and_b32 s19, vcc_lo, exec_lo
	s_delay_alu instid0(SALU_CYCLE_1)
	s_or_b32 s0, s0, s19
	s_or_b32 exec_lo, exec_lo, s18
	s_and_saveexec_b32 s18, s0
	s_cbranch_execnz .LBB289_151
	s_branch .LBB289_152
.LBB289_389:
	s_mov_b32 s0, -1
	s_mov_b32 s20, exec_lo
	v_cmpx_eq_u16_e32 0x80, v6
; %bb.390:
	s_xor_b32 s0, exec_lo, -1
; %bb.391:
	s_or_b32 exec_lo, exec_lo, s20
	s_delay_alu instid0(SALU_CYCLE_1)
	s_and_b32 s0, s0, exec_lo
	s_or_saveexec_b32 s19, s19
	v_mov_b32_e32 v7, 0x7f800001
	s_xor_b32 exec_lo, exec_lo, s19
	s_cbranch_execz .LBB289_156
.LBB289_392:
	v_cmp_ne_u16_e32 vcc_lo, 0, v6
	v_mov_b32_e32 v7, 0
	s_and_not1_b32 s0, s0, exec_lo
	s_and_b32 s20, vcc_lo, exec_lo
	s_delay_alu instid0(SALU_CYCLE_1)
	s_or_b32 s0, s0, s20
	s_or_b32 exec_lo, exec_lo, s19
	s_and_saveexec_b32 s19, s0
	s_cbranch_execnz .LBB289_157
	s_branch .LBB289_158
.LBB289_393:
	s_mov_b32 s0, -1
	s_mov_b32 s20, exec_lo
	v_cmpx_eq_u16_e32 0x80, v9
; %bb.394:
	s_xor_b32 s0, exec_lo, -1
; %bb.395:
	s_or_b32 exec_lo, exec_lo, s20
	s_delay_alu instid0(SALU_CYCLE_1)
	s_and_b32 s0, s0, exec_lo
                                        ; implicit-def: $vgpr9
	s_or_saveexec_b32 s19, s19
	v_mov_b32_e32 v8, 0x7f800001
	s_xor_b32 exec_lo, exec_lo, s19
	s_cbranch_execz .LBB289_160
.LBB289_396:
	v_cmp_ne_u16_e32 vcc_lo, 0, v9
	v_mov_b32_e32 v8, 0
	s_and_not1_b32 s0, s0, exec_lo
	s_and_b32 s20, vcc_lo, exec_lo
	s_delay_alu instid0(SALU_CYCLE_1)
	s_or_b32 s0, s0, s20
	s_or_b32 exec_lo, exec_lo, s19
	s_and_saveexec_b32 s19, s0
	s_cbranch_execnz .LBB289_161
	s_branch .LBB289_162
.LBB289_397:
	s_mov_b32 s0, -1
	s_mov_b32 s21, exec_lo
	v_cmpx_eq_u16_e32 0x80, v8
; %bb.398:
	s_xor_b32 s0, exec_lo, -1
; %bb.399:
	s_or_b32 exec_lo, exec_lo, s21
	s_delay_alu instid0(SALU_CYCLE_1)
	s_and_b32 s0, s0, exec_lo
	s_or_saveexec_b32 s20, s20
	v_mov_b32_e32 v9, 0x7f800001
	s_xor_b32 exec_lo, exec_lo, s20
	s_cbranch_execz .LBB289_186
.LBB289_400:
	v_cmp_ne_u16_e32 vcc_lo, 0, v8
	v_mov_b32_e32 v9, 0
	s_and_not1_b32 s0, s0, exec_lo
	s_and_b32 s21, vcc_lo, exec_lo
	s_delay_alu instid0(SALU_CYCLE_1)
	s_or_b32 s0, s0, s21
	s_or_b32 exec_lo, exec_lo, s20
	s_and_saveexec_b32 s20, s0
	s_cbranch_execnz .LBB289_187
	s_branch .LBB289_188
.LBB289_401:
	s_mov_b32 s0, -1
	s_mov_b32 s21, exec_lo
	v_cmpx_eq_u16_e32 0x80, v11
; %bb.402:
	s_xor_b32 s0, exec_lo, -1
; %bb.403:
	s_or_b32 exec_lo, exec_lo, s21
	s_delay_alu instid0(SALU_CYCLE_1)
	s_and_b32 s0, s0, exec_lo
                                        ; implicit-def: $vgpr11
	s_or_saveexec_b32 s20, s20
	v_mov_b32_e32 v10, 0x7f800001
	s_xor_b32 exec_lo, exec_lo, s20
	s_cbranch_execz .LBB289_190
.LBB289_404:
	v_cmp_ne_u16_e32 vcc_lo, 0, v11
	v_mov_b32_e32 v10, 0
	s_and_not1_b32 s0, s0, exec_lo
	s_and_b32 s21, vcc_lo, exec_lo
	s_delay_alu instid0(SALU_CYCLE_1)
	s_or_b32 s0, s0, s21
	s_or_b32 exec_lo, exec_lo, s20
	s_and_saveexec_b32 s20, s0
	s_cbranch_execnz .LBB289_191
	s_branch .LBB289_192
.LBB289_405:
	s_mov_b32 s0, -1
	s_mov_b32 s22, exec_lo
	v_cmpx_eq_u16_e32 0x80, v8
; %bb.406:
	s_xor_b32 s0, exec_lo, -1
; %bb.407:
	s_or_b32 exec_lo, exec_lo, s22
	s_delay_alu instid0(SALU_CYCLE_1)
	s_and_b32 s0, s0, exec_lo
	s_or_saveexec_b32 s21, s21
	v_mov_b32_e32 v9, 0x7f800001
	s_xor_b32 exec_lo, exec_lo, s21
	s_cbranch_execz .LBB289_206
.LBB289_408:
	v_cmp_ne_u16_e32 vcc_lo, 0, v8
	v_mov_b32_e32 v9, 0
	s_and_not1_b32 s0, s0, exec_lo
	s_and_b32 s22, vcc_lo, exec_lo
	s_delay_alu instid0(SALU_CYCLE_1)
	s_or_b32 s0, s0, s22
	s_or_b32 exec_lo, exec_lo, s21
	s_and_saveexec_b32 s21, s0
	s_cbranch_execnz .LBB289_207
	s_branch .LBB289_208
.LBB289_409:
	s_mov_b32 s0, -1
	s_mov_b32 s22, exec_lo
	v_cmpx_eq_u16_e32 0x80, v11
; %bb.410:
	s_xor_b32 s0, exec_lo, -1
; %bb.411:
	s_or_b32 exec_lo, exec_lo, s22
	s_delay_alu instid0(SALU_CYCLE_1)
	s_and_b32 s0, s0, exec_lo
                                        ; implicit-def: $vgpr11
	s_or_saveexec_b32 s21, s21
	v_mov_b32_e32 v10, 0x7f800001
	s_xor_b32 exec_lo, exec_lo, s21
	s_cbranch_execz .LBB289_210
.LBB289_412:
	v_cmp_ne_u16_e32 vcc_lo, 0, v11
	v_mov_b32_e32 v10, 0
	s_and_not1_b32 s0, s0, exec_lo
	s_and_b32 s22, vcc_lo, exec_lo
	s_delay_alu instid0(SALU_CYCLE_1)
	s_or_b32 s0, s0, s22
	s_or_b32 exec_lo, exec_lo, s21
	s_and_saveexec_b32 s21, s0
	s_cbranch_execnz .LBB289_211
	s_branch .LBB289_212
.LBB289_413:
	s_mov_b32 s22, -1
	s_mov_b32 s23, exec_lo
	v_cmpx_eq_u16_e32 0x80, v7
; %bb.414:
	s_xor_b32 s22, exec_lo, -1
; %bb.415:
	s_or_b32 exec_lo, exec_lo, s23
	s_delay_alu instid0(SALU_CYCLE_1)
	s_and_b32 s22, s22, exec_lo
	s_or_saveexec_b32 s0, s0
	v_mov_b32_e32 v8, 0x7f800001
	s_xor_b32 exec_lo, exec_lo, s0
	s_cbranch_execz .LBB289_226
.LBB289_416:
	v_cmp_ne_u16_e32 vcc_lo, 0, v7
	v_mov_b32_e32 v8, 0
	s_and_not1_b32 s22, s22, exec_lo
	s_and_b32 s23, vcc_lo, exec_lo
	s_delay_alu instid0(SALU_CYCLE_1)
	s_or_b32 s22, s22, s23
	s_or_b32 exec_lo, exec_lo, s0
	s_and_saveexec_b32 s0, s22
	s_cbranch_execnz .LBB289_227
	s_branch .LBB289_228
.LBB289_417:
	s_mov_b32 s0, -1
	s_mov_b32 s23, exec_lo
	v_cmpx_eq_u16_e32 0x80, v6
; %bb.418:
	s_xor_b32 s0, exec_lo, -1
; %bb.419:
	s_or_b32 exec_lo, exec_lo, s23
	s_delay_alu instid0(SALU_CYCLE_1)
	s_and_b32 s0, s0, exec_lo
	s_or_saveexec_b32 s22, s22
	v_mov_b32_e32 v9, 0x7f800001
	s_xor_b32 exec_lo, exec_lo, s22
	s_cbranch_execz .LBB289_230
.LBB289_420:
	v_cmp_ne_u16_e32 vcc_lo, 0, v6
	v_mov_b32_e32 v9, 0
	s_and_not1_b32 s0, s0, exec_lo
	s_and_b32 s23, vcc_lo, exec_lo
	s_delay_alu instid0(SALU_CYCLE_1)
	s_or_b32 s0, s0, s23
	s_or_b32 exec_lo, exec_lo, s22
	s_and_saveexec_b32 s22, s0
	s_cbranch_execnz .LBB289_231
	s_branch .LBB289_232
.LBB289_421:
	s_mov_b32 s0, -1
	s_mov_b32 s24, exec_lo
	v_cmpx_eq_u16_e32 0x80, v2
; %bb.422:
	s_xor_b32 s0, exec_lo, -1
; %bb.423:
	s_or_b32 exec_lo, exec_lo, s24
	s_delay_alu instid0(SALU_CYCLE_1)
	s_and_b32 s0, s0, exec_lo
	s_or_saveexec_b32 s23, s23
	v_mov_b32_e32 v4, 0x7f800001
	s_xor_b32 exec_lo, exec_lo, s23
	s_cbranch_execz .LBB289_236
.LBB289_424:
	v_cmp_ne_u16_e32 vcc_lo, 0, v2
	v_mov_b32_e32 v4, 0
	s_and_not1_b32 s0, s0, exec_lo
	s_and_b32 s24, vcc_lo, exec_lo
	s_delay_alu instid0(SALU_CYCLE_1)
	s_or_b32 s0, s0, s24
	s_or_b32 exec_lo, exec_lo, s23
	s_and_saveexec_b32 s23, s0
	s_cbranch_execnz .LBB289_237
	s_branch .LBB289_238
.LBB289_425:
	s_mov_b32 s0, -1
	s_mov_b32 s24, exec_lo
	v_cmpx_eq_u16_e32 0x80, v7
; %bb.426:
	s_xor_b32 s0, exec_lo, -1
; %bb.427:
	s_or_b32 exec_lo, exec_lo, s24
	s_delay_alu instid0(SALU_CYCLE_1)
	s_and_b32 s0, s0, exec_lo
                                        ; implicit-def: $vgpr7
	s_or_saveexec_b32 s23, s23
	v_mov_b32_e32 v6, 0x7f800001
	s_xor_b32 exec_lo, exec_lo, s23
	s_cbranch_execz .LBB289_240
.LBB289_428:
	v_cmp_ne_u16_e32 vcc_lo, 0, v7
	v_mov_b32_e32 v6, 0
	s_and_not1_b32 s0, s0, exec_lo
	s_and_b32 s24, vcc_lo, exec_lo
	s_delay_alu instid0(SALU_CYCLE_1)
	s_or_b32 s0, s0, s24
	s_or_b32 exec_lo, exec_lo, s23
	s_and_saveexec_b32 s23, s0
	s_cbranch_execnz .LBB289_241
	s_branch .LBB289_242
.LBB289_429:
	s_mov_b32 s0, -1
	s_mov_b32 s25, exec_lo
	v_cmpx_eq_u16_e32 0x80, v6
; %bb.430:
	s_xor_b32 s0, exec_lo, -1
; %bb.431:
	s_or_b32 exec_lo, exec_lo, s25
	s_delay_alu instid0(SALU_CYCLE_1)
	s_and_b32 s0, s0, exec_lo
	s_or_saveexec_b32 s24, s24
	v_mov_b32_e32 v7, 0x7f800001
	s_xor_b32 exec_lo, exec_lo, s24
	s_cbranch_execz .LBB289_266
.LBB289_432:
	v_cmp_ne_u16_e32 vcc_lo, 0, v6
	v_mov_b32_e32 v7, 0
	s_and_not1_b32 s0, s0, exec_lo
	s_and_b32 s25, vcc_lo, exec_lo
	s_delay_alu instid0(SALU_CYCLE_1)
	s_or_b32 s0, s0, s25
	s_or_b32 exec_lo, exec_lo, s24
	s_and_saveexec_b32 s24, s0
	s_cbranch_execnz .LBB289_267
	s_branch .LBB289_268
.LBB289_433:
	s_mov_b32 s0, -1
	s_mov_b32 s25, exec_lo
	v_cmpx_eq_u16_e32 0x80, v9
; %bb.434:
	s_xor_b32 s0, exec_lo, -1
; %bb.435:
	s_or_b32 exec_lo, exec_lo, s25
	s_delay_alu instid0(SALU_CYCLE_1)
	s_and_b32 s0, s0, exec_lo
                                        ; implicit-def: $vgpr9
	s_or_saveexec_b32 s24, s24
	v_mov_b32_e32 v8, 0x7f800001
	s_xor_b32 exec_lo, exec_lo, s24
	s_cbranch_execz .LBB289_270
.LBB289_436:
	v_cmp_ne_u16_e32 vcc_lo, 0, v9
	v_mov_b32_e32 v8, 0
	s_and_not1_b32 s0, s0, exec_lo
	s_and_b32 s25, vcc_lo, exec_lo
	s_delay_alu instid0(SALU_CYCLE_1)
	s_or_b32 s0, s0, s25
	s_or_b32 exec_lo, exec_lo, s24
	s_and_saveexec_b32 s24, s0
	s_cbranch_execnz .LBB289_271
	s_branch .LBB289_272
.LBB289_437:
	s_mov_b32 s0, -1
	s_mov_b32 s26, exec_lo
	v_cmpx_eq_u16_e32 0x80, v6
; %bb.438:
	s_xor_b32 s0, exec_lo, -1
; %bb.439:
	s_or_b32 exec_lo, exec_lo, s26
	s_delay_alu instid0(SALU_CYCLE_1)
	s_and_b32 s0, s0, exec_lo
	s_or_saveexec_b32 s25, s25
	v_mov_b32_e32 v7, 0x7f800001
	s_xor_b32 exec_lo, exec_lo, s25
	s_cbranch_execz .LBB289_286
.LBB289_440:
	v_cmp_ne_u16_e32 vcc_lo, 0, v6
	v_mov_b32_e32 v7, 0
	s_and_not1_b32 s0, s0, exec_lo
	s_and_b32 s26, vcc_lo, exec_lo
	s_delay_alu instid0(SALU_CYCLE_1)
	s_or_b32 s0, s0, s26
	s_or_b32 exec_lo, exec_lo, s25
	s_and_saveexec_b32 s25, s0
	s_cbranch_execnz .LBB289_287
	s_branch .LBB289_288
.LBB289_441:
	s_mov_b32 s0, -1
	s_mov_b32 s26, exec_lo
	v_cmpx_eq_u16_e32 0x80, v9
; %bb.442:
	s_xor_b32 s0, exec_lo, -1
; %bb.443:
	s_or_b32 exec_lo, exec_lo, s26
	s_delay_alu instid0(SALU_CYCLE_1)
	s_and_b32 s0, s0, exec_lo
                                        ; implicit-def: $vgpr9
	s_or_saveexec_b32 s25, s25
	v_mov_b32_e32 v8, 0x7f800001
	s_xor_b32 exec_lo, exec_lo, s25
	s_cbranch_execz .LBB289_290
.LBB289_444:
	v_cmp_ne_u16_e32 vcc_lo, 0, v9
	v_mov_b32_e32 v8, 0
	s_and_not1_b32 s0, s0, exec_lo
	s_and_b32 s26, vcc_lo, exec_lo
	s_delay_alu instid0(SALU_CYCLE_1)
	s_or_b32 s0, s0, s26
	s_or_b32 exec_lo, exec_lo, s25
	s_and_saveexec_b32 s25, s0
	s_cbranch_execnz .LBB289_291
	s_branch .LBB289_292
.LBB289_445:
	s_mov_b32 s26, -1
	s_mov_b32 s27, exec_lo
	v_cmpx_eq_u16_e32 0x80, v2
; %bb.446:
	s_xor_b32 s26, exec_lo, -1
; %bb.447:
	s_or_b32 exec_lo, exec_lo, s27
	s_delay_alu instid0(SALU_CYCLE_1)
	s_and_b32 s26, s26, exec_lo
	s_or_saveexec_b32 s0, s0
	v_mov_b32_e32 v4, 0x7f800001
	s_xor_b32 exec_lo, exec_lo, s0
	s_cbranch_execz .LBB289_306
.LBB289_448:
	v_cmp_ne_u16_e32 vcc_lo, 0, v2
	v_mov_b32_e32 v4, 0
	s_and_not1_b32 s26, s26, exec_lo
	s_and_b32 s27, vcc_lo, exec_lo
	s_delay_alu instid0(SALU_CYCLE_1)
	s_or_b32 s26, s26, s27
	s_or_b32 exec_lo, exec_lo, s0
	s_and_saveexec_b32 s0, s26
	s_cbranch_execnz .LBB289_307
	s_branch .LBB289_308
.LBB289_449:
	s_mov_b32 s0, -1
	s_mov_b32 s27, exec_lo
	v_cmpx_eq_u16_e32 0x80, v1
; %bb.450:
	s_xor_b32 s0, exec_lo, -1
; %bb.451:
	s_or_b32 exec_lo, exec_lo, s27
	s_delay_alu instid0(SALU_CYCLE_1)
	s_and_b32 s0, s0, exec_lo
	s_or_saveexec_b32 s26, s26
	v_mov_b32_e32 v6, 0x7f800001
	s_xor_b32 exec_lo, exec_lo, s26
	s_cbranch_execz .LBB289_310
.LBB289_452:
	v_cmp_ne_u16_e32 vcc_lo, 0, v1
	v_mov_b32_e32 v6, 0
	s_and_not1_b32 s0, s0, exec_lo
	s_and_b32 s27, vcc_lo, exec_lo
	s_delay_alu instid0(SALU_CYCLE_1)
	s_or_b32 s0, s0, s27
	s_or_b32 exec_lo, exec_lo, s26
	s_and_saveexec_b32 s26, s0
	s_cbranch_execnz .LBB289_311
	s_branch .LBB289_312
.LBB289_453:
	s_mov_b32 s8, -1
	s_mov_b32 s13, exec_lo
	v_cmpx_eq_u16_e32 0x80, v1
; %bb.454:
	s_xor_b32 s8, exec_lo, -1
; %bb.455:
	s_or_b32 exec_lo, exec_lo, s13
	s_delay_alu instid0(SALU_CYCLE_1)
	s_and_b32 s8, s8, exec_lo
                                        ; implicit-def: $vgpr1
	s_or_saveexec_b32 s12, s12
	v_mov_b32_e32 v10, 0x7f800001
	s_xor_b32 exec_lo, exec_lo, s12
	s_cbranch_execz .LBB289_16
.LBB289_456:
	v_cmp_ne_u16_e32 vcc_lo, 0, v1
	v_mov_b32_e32 v10, 0
	s_and_not1_b32 s8, s8, exec_lo
	s_and_b32 s13, vcc_lo, exec_lo
	s_delay_alu instid0(SALU_CYCLE_1)
	s_or_b32 s8, s8, s13
	s_or_b32 exec_lo, exec_lo, s12
	s_and_saveexec_b32 s12, s8
	s_cbranch_execnz .LBB289_17
	s_branch .LBB289_18
.LBB289_457:
	s_mov_b32 s8, -1
	s_mov_b32 s13, exec_lo
	v_cmpx_eq_u16_e32 0x80, v11
; %bb.458:
	s_xor_b32 s8, exec_lo, -1
; %bb.459:
	s_or_b32 exec_lo, exec_lo, s13
	s_delay_alu instid0(SALU_CYCLE_1)
	s_and_b32 s8, s8, exec_lo
                                        ; implicit-def: $vgpr11
	s_or_saveexec_b32 s12, s12
	v_mov_b32_e32 v1, 0x7f800001
	s_xor_b32 exec_lo, exec_lo, s12
	s_cbranch_execz .LBB289_20
.LBB289_460:
	v_cmp_ne_u16_e32 vcc_lo, 0, v11
	v_mov_b32_e32 v1, 0
	s_and_not1_b32 s8, s8, exec_lo
	s_and_b32 s13, vcc_lo, exec_lo
	s_delay_alu instid0(SALU_CYCLE_1)
	s_or_b32 s8, s8, s13
	s_or_b32 exec_lo, exec_lo, s12
	s_and_saveexec_b32 s12, s8
	s_cbranch_execnz .LBB289_21
	s_branch .LBB289_22
.LBB289_461:
	s_mov_b32 s0, -1
	s_mov_b32 s13, exec_lo
	v_cmpx_eq_u16_e32 0x80, v12
; %bb.462:
	s_xor_b32 s0, exec_lo, -1
; %bb.463:
	s_or_b32 exec_lo, exec_lo, s13
	s_delay_alu instid0(SALU_CYCLE_1)
	s_and_b32 s0, s0, exec_lo
                                        ; implicit-def: $vgpr12
	s_or_saveexec_b32 s12, s12
	v_mov_b32_e32 v13, 0x7f800001
	s_xor_b32 exec_lo, exec_lo, s12
	s_cbranch_execz .LBB289_36
.LBB289_464:
	v_cmp_ne_u16_e32 vcc_lo, 0, v12
	v_mov_b32_e32 v13, 0
	s_and_not1_b32 s0, s0, exec_lo
	s_and_b32 s13, vcc_lo, exec_lo
	s_delay_alu instid0(SALU_CYCLE_1)
	s_or_b32 s0, s0, s13
	s_or_b32 exec_lo, exec_lo, s12
	s_and_saveexec_b32 s12, s0
	s_cbranch_execnz .LBB289_37
	s_branch .LBB289_38
.LBB289_465:
	s_mov_b32 s0, -1
	s_mov_b32 s13, exec_lo
	v_cmpx_eq_u16_e32 0x80, v12
; %bb.466:
	s_xor_b32 s0, exec_lo, -1
; %bb.467:
	s_or_b32 exec_lo, exec_lo, s13
	s_delay_alu instid0(SALU_CYCLE_1)
	s_and_b32 s0, s0, exec_lo
                                        ; implicit-def: $vgpr12
	s_or_saveexec_b32 s12, s12
	v_mov_b32_e32 v11, 0x7f800001
	s_xor_b32 exec_lo, exec_lo, s12
	s_cbranch_execz .LBB289_40
.LBB289_468:
	v_cmp_ne_u16_e32 vcc_lo, 0, v12
	v_mov_b32_e32 v11, 0
	s_and_not1_b32 s0, s0, exec_lo
	s_and_b32 s13, vcc_lo, exec_lo
	s_delay_alu instid0(SALU_CYCLE_1)
	s_or_b32 s0, s0, s13
	s_or_b32 exec_lo, exec_lo, s12
	s_and_saveexec_b32 s12, s0
	s_cbranch_execnz .LBB289_41
	s_branch .LBB289_42
.LBB289_469:
	s_mov_b32 s0, -1
	s_mov_b32 s14, exec_lo
	v_cmpx_eq_u16_e32 0x80, v12
; %bb.470:
	s_xor_b32 s0, exec_lo, -1
; %bb.471:
	s_or_b32 exec_lo, exec_lo, s14
	s_delay_alu instid0(SALU_CYCLE_1)
	s_and_b32 s0, s0, exec_lo
                                        ; implicit-def: $vgpr12
	s_or_saveexec_b32 s13, s13
	v_mov_b32_e32 v13, 0x7f800001
	s_xor_b32 exec_lo, exec_lo, s13
	s_cbranch_execz .LBB289_56
.LBB289_472:
	v_cmp_ne_u16_e32 vcc_lo, 0, v12
	v_mov_b32_e32 v13, 0
	s_and_not1_b32 s0, s0, exec_lo
	s_and_b32 s14, vcc_lo, exec_lo
	s_delay_alu instid0(SALU_CYCLE_1)
	s_or_b32 s0, s0, s14
	s_or_b32 exec_lo, exec_lo, s13
	s_and_saveexec_b32 s13, s0
	s_cbranch_execnz .LBB289_57
	s_branch .LBB289_58
.LBB289_473:
	s_mov_b32 s0, -1
	s_mov_b32 s14, exec_lo
	v_cmpx_eq_u16_e32 0x80, v12
; %bb.474:
	s_xor_b32 s0, exec_lo, -1
; %bb.475:
	s_or_b32 exec_lo, exec_lo, s14
	s_delay_alu instid0(SALU_CYCLE_1)
	s_and_b32 s0, s0, exec_lo
                                        ; implicit-def: $vgpr12
	s_or_saveexec_b32 s13, s13
	v_mov_b32_e32 v11, 0x7f800001
	s_xor_b32 exec_lo, exec_lo, s13
	s_cbranch_execz .LBB289_60
.LBB289_476:
	v_cmp_ne_u16_e32 vcc_lo, 0, v12
	v_mov_b32_e32 v11, 0
	s_and_not1_b32 s0, s0, exec_lo
	s_and_b32 s14, vcc_lo, exec_lo
	s_delay_alu instid0(SALU_CYCLE_1)
	s_or_b32 s0, s0, s14
	s_or_b32 exec_lo, exec_lo, s13
	s_and_saveexec_b32 s13, s0
	s_cbranch_execnz .LBB289_61
	s_branch .LBB289_62
.LBB289_477:
	s_mov_b32 s0, -1
	s_mov_b32 s15, exec_lo
	v_cmpx_eq_u16_e32 0x80, v11
; %bb.478:
	s_xor_b32 s0, exec_lo, -1
; %bb.479:
	s_or_b32 exec_lo, exec_lo, s15
	s_delay_alu instid0(SALU_CYCLE_1)
	s_and_b32 s0, s0, exec_lo
	s_or_saveexec_b32 s14, s14
	v_mov_b32_e32 v12, 0x7f800001
	s_xor_b32 exec_lo, exec_lo, s14
	s_cbranch_execz .LBB289_86
.LBB289_480:
	v_cmp_ne_u16_e32 vcc_lo, 0, v11
	v_mov_b32_e32 v12, 0
	s_and_not1_b32 s0, s0, exec_lo
	s_and_b32 s15, vcc_lo, exec_lo
	s_delay_alu instid0(SALU_CYCLE_1)
	s_or_b32 s0, s0, s15
	s_or_b32 exec_lo, exec_lo, s14
	s_and_saveexec_b32 s14, s0
	s_cbranch_execnz .LBB289_87
	s_branch .LBB289_88
.LBB289_481:
	s_mov_b32 s0, -1
	s_mov_b32 s15, exec_lo
	v_cmpx_eq_u16_e32 0x80, v10
; %bb.482:
	s_xor_b32 s0, exec_lo, -1
; %bb.483:
	s_or_b32 exec_lo, exec_lo, s15
	s_delay_alu instid0(SALU_CYCLE_1)
	s_and_b32 s0, s0, exec_lo
	s_or_saveexec_b32 s14, s14
	v_mov_b32_e32 v8, 0x7f800001
	s_xor_b32 exec_lo, exec_lo, s14
	s_cbranch_execz .LBB289_90
.LBB289_484:
	v_cmp_ne_u16_e32 vcc_lo, 0, v10
	v_mov_b32_e32 v8, 0
	s_and_not1_b32 s0, s0, exec_lo
	s_and_b32 s15, vcc_lo, exec_lo
	s_delay_alu instid0(SALU_CYCLE_1)
	s_or_b32 s0, s0, s15
	s_or_b32 exec_lo, exec_lo, s14
	s_and_saveexec_b32 s14, s0
	s_cbranch_execnz .LBB289_91
	s_branch .LBB289_92
.LBB289_485:
	s_mov_b32 s0, -1
	s_mov_b32 s16, exec_lo
	v_cmpx_eq_u16_e32 0x80, v6
; %bb.486:
	s_xor_b32 s0, exec_lo, -1
; %bb.487:
	s_or_b32 exec_lo, exec_lo, s16
	s_delay_alu instid0(SALU_CYCLE_1)
	s_and_b32 s0, s0, exec_lo
                                        ; implicit-def: $vgpr6
	s_or_saveexec_b32 s15, s15
	v_mov_b32_e32 v8, 0x7f800001
	s_xor_b32 exec_lo, exec_lo, s15
	s_cbranch_execz .LBB289_96
.LBB289_488:
	v_cmp_ne_u16_e32 vcc_lo, 0, v6
	v_mov_b32_e32 v8, 0
	s_and_not1_b32 s0, s0, exec_lo
	s_and_b32 s16, vcc_lo, exec_lo
	s_delay_alu instid0(SALU_CYCLE_1)
	s_or_b32 s0, s0, s16
	s_or_b32 exec_lo, exec_lo, s15
	s_and_saveexec_b32 s15, s0
	s_cbranch_execnz .LBB289_97
	s_branch .LBB289_98
.LBB289_489:
	s_mov_b32 s0, -1
	s_mov_b32 s16, exec_lo
	v_cmpx_eq_u16_e32 0x80, v10
; %bb.490:
	s_xor_b32 s0, exec_lo, -1
; %bb.491:
	s_or_b32 exec_lo, exec_lo, s16
	s_delay_alu instid0(SALU_CYCLE_1)
	s_and_b32 s0, s0, exec_lo
                                        ; implicit-def: $vgpr10
	s_or_saveexec_b32 s15, s15
	v_mov_b32_e32 v6, 0x7f800001
	s_xor_b32 exec_lo, exec_lo, s15
	s_cbranch_execz .LBB289_100
.LBB289_492:
	v_cmp_ne_u16_e32 vcc_lo, 0, v10
	v_mov_b32_e32 v6, 0
	s_and_not1_b32 s0, s0, exec_lo
	s_and_b32 s16, vcc_lo, exec_lo
	s_delay_alu instid0(SALU_CYCLE_1)
	s_or_b32 s0, s0, s16
	s_or_b32 exec_lo, exec_lo, s15
	s_and_saveexec_b32 s15, s0
	s_cbranch_execnz .LBB289_101
	s_branch .LBB289_102
.LBB289_493:
	s_mov_b32 s0, -1
	s_mov_b32 s17, exec_lo
	v_cmpx_eq_u16_e32 0x80, v10
; %bb.494:
	s_xor_b32 s0, exec_lo, -1
; %bb.495:
	s_or_b32 exec_lo, exec_lo, s17
	s_delay_alu instid0(SALU_CYCLE_1)
	s_and_b32 s0, s0, exec_lo
                                        ; implicit-def: $vgpr10
	s_or_saveexec_b32 s16, s16
	v_mov_b32_e32 v11, 0x7f800001
	s_xor_b32 exec_lo, exec_lo, s16
	s_cbranch_execz .LBB289_116
.LBB289_496:
	v_cmp_ne_u16_e32 vcc_lo, 0, v10
	v_mov_b32_e32 v11, 0
	s_and_not1_b32 s0, s0, exec_lo
	s_and_b32 s17, vcc_lo, exec_lo
	s_delay_alu instid0(SALU_CYCLE_1)
	s_or_b32 s0, s0, s17
	s_or_b32 exec_lo, exec_lo, s16
	s_and_saveexec_b32 s16, s0
	s_cbranch_execnz .LBB289_117
	s_branch .LBB289_118
.LBB289_497:
	s_mov_b32 s0, -1
	s_mov_b32 s17, exec_lo
	v_cmpx_eq_u16_e32 0x80, v10
; %bb.498:
	s_xor_b32 s0, exec_lo, -1
; %bb.499:
	s_or_b32 exec_lo, exec_lo, s17
	s_delay_alu instid0(SALU_CYCLE_1)
	s_and_b32 s0, s0, exec_lo
                                        ; implicit-def: $vgpr10
	s_or_saveexec_b32 s16, s16
	v_mov_b32_e32 v8, 0x7f800001
	s_xor_b32 exec_lo, exec_lo, s16
	s_cbranch_execz .LBB289_120
.LBB289_500:
	v_cmp_ne_u16_e32 vcc_lo, 0, v10
	v_mov_b32_e32 v8, 0
	s_and_not1_b32 s0, s0, exec_lo
	s_and_b32 s17, vcc_lo, exec_lo
	s_delay_alu instid0(SALU_CYCLE_1)
	s_or_b32 s0, s0, s17
	s_or_b32 exec_lo, exec_lo, s16
	s_and_saveexec_b32 s16, s0
	s_cbranch_execnz .LBB289_121
	s_branch .LBB289_122
.LBB289_501:
	s_mov_b32 s0, -1
	s_mov_b32 s18, exec_lo
	v_cmpx_eq_u16_e32 0x80, v10
; %bb.502:
	s_xor_b32 s0, exec_lo, -1
; %bb.503:
	s_or_b32 exec_lo, exec_lo, s18
	s_delay_alu instid0(SALU_CYCLE_1)
	s_and_b32 s0, s0, exec_lo
                                        ; implicit-def: $vgpr10
	s_or_saveexec_b32 s17, s17
	v_mov_b32_e32 v11, 0x7f800001
	s_xor_b32 exec_lo, exec_lo, s17
	s_cbranch_execz .LBB289_136
.LBB289_504:
	v_cmp_ne_u16_e32 vcc_lo, 0, v10
	v_mov_b32_e32 v11, 0
	s_and_not1_b32 s0, s0, exec_lo
	s_and_b32 s18, vcc_lo, exec_lo
	s_delay_alu instid0(SALU_CYCLE_1)
	s_or_b32 s0, s0, s18
	s_or_b32 exec_lo, exec_lo, s17
	s_and_saveexec_b32 s17, s0
	s_cbranch_execnz .LBB289_137
	s_branch .LBB289_138
.LBB289_505:
	s_mov_b32 s0, -1
	s_mov_b32 s18, exec_lo
	v_cmpx_eq_u16_e32 0x80, v10
; %bb.506:
	s_xor_b32 s0, exec_lo, -1
; %bb.507:
	s_or_b32 exec_lo, exec_lo, s18
	s_delay_alu instid0(SALU_CYCLE_1)
	s_and_b32 s0, s0, exec_lo
                                        ; implicit-def: $vgpr10
	s_or_saveexec_b32 s17, s17
	v_mov_b32_e32 v8, 0x7f800001
	s_xor_b32 exec_lo, exec_lo, s17
	s_cbranch_execz .LBB289_140
.LBB289_508:
	v_cmp_ne_u16_e32 vcc_lo, 0, v10
	v_mov_b32_e32 v8, 0
	s_and_not1_b32 s0, s0, exec_lo
	s_and_b32 s18, vcc_lo, exec_lo
	s_delay_alu instid0(SALU_CYCLE_1)
	s_or_b32 s0, s0, s18
	s_or_b32 exec_lo, exec_lo, s17
	s_and_saveexec_b32 s17, s0
	s_cbranch_execnz .LBB289_141
	s_branch .LBB289_142
.LBB289_509:
	s_mov_b32 s0, -1
	s_mov_b32 s19, exec_lo
	v_cmpx_eq_u16_e32 0x80, v8
; %bb.510:
	s_xor_b32 s0, exec_lo, -1
; %bb.511:
	s_or_b32 exec_lo, exec_lo, s19
	s_delay_alu instid0(SALU_CYCLE_1)
	s_and_b32 s0, s0, exec_lo
	s_or_saveexec_b32 s18, s18
	v_mov_b32_e32 v10, 0x7f800001
	s_xor_b32 exec_lo, exec_lo, s18
	s_cbranch_execz .LBB289_166
.LBB289_512:
	v_cmp_ne_u16_e32 vcc_lo, 0, v8
	v_mov_b32_e32 v10, 0
	s_and_not1_b32 s0, s0, exec_lo
	s_and_b32 s19, vcc_lo, exec_lo
	s_delay_alu instid0(SALU_CYCLE_1)
	s_or_b32 s0, s0, s19
	s_or_b32 exec_lo, exec_lo, s18
	s_and_saveexec_b32 s18, s0
	s_cbranch_execnz .LBB289_167
	s_branch .LBB289_168
.LBB289_513:
	s_mov_b32 s0, -1
	s_mov_b32 s19, exec_lo
	v_cmpx_eq_u16_e32 0x80, v6
; %bb.514:
	s_xor_b32 s0, exec_lo, -1
; %bb.515:
	s_or_b32 exec_lo, exec_lo, s19
	s_delay_alu instid0(SALU_CYCLE_1)
	s_and_b32 s0, s0, exec_lo
	s_or_saveexec_b32 s18, s18
	v_mov_b32_e32 v8, 0x7f800001
	s_xor_b32 exec_lo, exec_lo, s18
	s_cbranch_execz .LBB289_170
.LBB289_516:
	v_cmp_ne_u16_e32 vcc_lo, 0, v6
	v_mov_b32_e32 v8, 0
	s_and_not1_b32 s0, s0, exec_lo
	s_and_b32 s19, vcc_lo, exec_lo
	s_delay_alu instid0(SALU_CYCLE_1)
	s_or_b32 s0, s0, s19
	s_or_b32 exec_lo, exec_lo, s18
	s_and_saveexec_b32 s18, s0
	s_cbranch_execnz .LBB289_171
	s_branch .LBB289_172
.LBB289_517:
	s_mov_b32 s0, -1
	s_mov_b32 s20, exec_lo
	v_cmpx_eq_u16_e32 0x80, v6
; %bb.518:
	s_xor_b32 s0, exec_lo, -1
; %bb.519:
	s_or_b32 exec_lo, exec_lo, s20
	s_delay_alu instid0(SALU_CYCLE_1)
	s_and_b32 s0, s0, exec_lo
                                        ; implicit-def: $vgpr6
	s_or_saveexec_b32 s19, s19
	v_mov_b32_e32 v7, 0x7f800001
	s_xor_b32 exec_lo, exec_lo, s19
	s_cbranch_execz .LBB289_176
.LBB289_520:
	v_cmp_ne_u16_e32 vcc_lo, 0, v6
	v_mov_b32_e32 v7, 0
	s_and_not1_b32 s0, s0, exec_lo
	s_and_b32 s20, vcc_lo, exec_lo
	s_delay_alu instid0(SALU_CYCLE_1)
	s_or_b32 s0, s0, s20
	s_or_b32 exec_lo, exec_lo, s19
	s_and_saveexec_b32 s19, s0
	s_cbranch_execnz .LBB289_177
	s_branch .LBB289_178
.LBB289_521:
	s_mov_b32 s0, -1
	s_mov_b32 s20, exec_lo
	v_cmpx_eq_u16_e32 0x80, v8
; %bb.522:
	s_xor_b32 s0, exec_lo, -1
; %bb.523:
	s_or_b32 exec_lo, exec_lo, s20
	s_delay_alu instid0(SALU_CYCLE_1)
	s_and_b32 s0, s0, exec_lo
                                        ; implicit-def: $vgpr8
	s_or_saveexec_b32 s19, s19
	v_mov_b32_e32 v6, 0x7f800001
	s_xor_b32 exec_lo, exec_lo, s19
	s_cbranch_execz .LBB289_180
.LBB289_524:
	v_cmp_ne_u16_e32 vcc_lo, 0, v8
	v_mov_b32_e32 v6, 0
	s_and_not1_b32 s0, s0, exec_lo
	s_and_b32 s20, vcc_lo, exec_lo
	s_delay_alu instid0(SALU_CYCLE_1)
	s_or_b32 s0, s0, s20
	s_or_b32 exec_lo, exec_lo, s19
	s_and_saveexec_b32 s19, s0
	s_cbranch_execnz .LBB289_181
	s_branch .LBB289_182
.LBB289_525:
	s_mov_b32 s0, -1
	s_mov_b32 s21, exec_lo
	v_cmpx_eq_u16_e32 0x80, v8
; %bb.526:
	s_xor_b32 s0, exec_lo, -1
; %bb.527:
	s_or_b32 exec_lo, exec_lo, s21
	s_delay_alu instid0(SALU_CYCLE_1)
	s_and_b32 s0, s0, exec_lo
                                        ; implicit-def: $vgpr8
	s_or_saveexec_b32 s20, s20
	v_mov_b32_e32 v9, 0x7f800001
	s_xor_b32 exec_lo, exec_lo, s20
	s_cbranch_execz .LBB289_196
.LBB289_528:
	v_cmp_ne_u16_e32 vcc_lo, 0, v8
	v_mov_b32_e32 v9, 0
	s_and_not1_b32 s0, s0, exec_lo
	s_and_b32 s21, vcc_lo, exec_lo
	s_delay_alu instid0(SALU_CYCLE_1)
	s_or_b32 s0, s0, s21
	s_or_b32 exec_lo, exec_lo, s20
	s_and_saveexec_b32 s20, s0
	s_cbranch_execnz .LBB289_197
	s_branch .LBB289_198
.LBB289_529:
	s_mov_b32 s0, -1
	s_mov_b32 s21, exec_lo
	v_cmpx_eq_u16_e32 0x80, v8
; %bb.530:
	s_xor_b32 s0, exec_lo, -1
; %bb.531:
	s_or_b32 exec_lo, exec_lo, s21
	s_delay_alu instid0(SALU_CYCLE_1)
	s_and_b32 s0, s0, exec_lo
                                        ; implicit-def: $vgpr8
	s_or_saveexec_b32 s20, s20
	v_mov_b32_e32 v7, 0x7f800001
	s_xor_b32 exec_lo, exec_lo, s20
	s_cbranch_execz .LBB289_200
.LBB289_532:
	v_cmp_ne_u16_e32 vcc_lo, 0, v8
	v_mov_b32_e32 v7, 0
	s_and_not1_b32 s0, s0, exec_lo
	s_and_b32 s21, vcc_lo, exec_lo
	s_delay_alu instid0(SALU_CYCLE_1)
	s_or_b32 s0, s0, s21
	s_or_b32 exec_lo, exec_lo, s20
	s_and_saveexec_b32 s20, s0
	s_cbranch_execnz .LBB289_201
	s_branch .LBB289_202
.LBB289_533:
	s_mov_b32 s0, -1
	s_mov_b32 s22, exec_lo
	v_cmpx_eq_u16_e32 0x80, v8
; %bb.534:
	s_xor_b32 s0, exec_lo, -1
; %bb.535:
	s_or_b32 exec_lo, exec_lo, s22
	s_delay_alu instid0(SALU_CYCLE_1)
	s_and_b32 s0, s0, exec_lo
                                        ; implicit-def: $vgpr8
	s_or_saveexec_b32 s21, s21
	v_mov_b32_e32 v9, 0x7f800001
	s_xor_b32 exec_lo, exec_lo, s21
	s_cbranch_execz .LBB289_216
.LBB289_536:
	v_cmp_ne_u16_e32 vcc_lo, 0, v8
	v_mov_b32_e32 v9, 0
	s_and_not1_b32 s0, s0, exec_lo
	s_and_b32 s22, vcc_lo, exec_lo
	s_delay_alu instid0(SALU_CYCLE_1)
	s_or_b32 s0, s0, s22
	s_or_b32 exec_lo, exec_lo, s21
	s_and_saveexec_b32 s21, s0
	s_cbranch_execnz .LBB289_217
	s_branch .LBB289_218
.LBB289_537:
	s_mov_b32 s0, -1
	s_mov_b32 s22, exec_lo
	v_cmpx_eq_u16_e32 0x80, v8
; %bb.538:
	s_xor_b32 s0, exec_lo, -1
; %bb.539:
	s_or_b32 exec_lo, exec_lo, s22
	s_delay_alu instid0(SALU_CYCLE_1)
	s_and_b32 s0, s0, exec_lo
                                        ; implicit-def: $vgpr8
	s_or_saveexec_b32 s21, s21
	v_mov_b32_e32 v7, 0x7f800001
	s_xor_b32 exec_lo, exec_lo, s21
	s_cbranch_execz .LBB289_220
.LBB289_540:
	v_cmp_ne_u16_e32 vcc_lo, 0, v8
	v_mov_b32_e32 v7, 0
	s_and_not1_b32 s0, s0, exec_lo
	s_and_b32 s22, vcc_lo, exec_lo
	s_delay_alu instid0(SALU_CYCLE_1)
	s_or_b32 s0, s0, s22
	s_or_b32 exec_lo, exec_lo, s21
	s_and_saveexec_b32 s21, s0
	s_cbranch_execnz .LBB289_221
	s_branch .LBB289_222
.LBB289_541:
	s_mov_b32 s0, -1
	s_mov_b32 s23, exec_lo
	v_cmpx_eq_u16_e32 0x80, v7
; %bb.542:
	s_xor_b32 s0, exec_lo, -1
; %bb.543:
	s_or_b32 exec_lo, exec_lo, s23
	s_delay_alu instid0(SALU_CYCLE_1)
	s_and_b32 s0, s0, exec_lo
	s_or_saveexec_b32 s22, s22
	v_mov_b32_e32 v8, 0x7f800001
	s_xor_b32 exec_lo, exec_lo, s22
	s_cbranch_execz .LBB289_246
.LBB289_544:
	v_cmp_ne_u16_e32 vcc_lo, 0, v7
	v_mov_b32_e32 v8, 0
	s_and_not1_b32 s0, s0, exec_lo
	s_and_b32 s23, vcc_lo, exec_lo
	s_delay_alu instid0(SALU_CYCLE_1)
	s_or_b32 s0, s0, s23
	s_or_b32 exec_lo, exec_lo, s22
	s_and_saveexec_b32 s22, s0
	s_cbranch_execnz .LBB289_247
	s_branch .LBB289_248
.LBB289_545:
	s_mov_b32 s0, -1
	s_mov_b32 s23, exec_lo
	v_cmpx_eq_u16_e32 0x80, v6
; %bb.546:
	s_xor_b32 s0, exec_lo, -1
; %bb.547:
	s_or_b32 exec_lo, exec_lo, s23
	s_delay_alu instid0(SALU_CYCLE_1)
	s_and_b32 s0, s0, exec_lo
	s_or_saveexec_b32 s22, s22
	v_mov_b32_e32 v4, 0x7f800001
	s_xor_b32 exec_lo, exec_lo, s22
	s_cbranch_execz .LBB289_250
.LBB289_548:
	v_cmp_ne_u16_e32 vcc_lo, 0, v6
	v_mov_b32_e32 v4, 0
	s_and_not1_b32 s0, s0, exec_lo
	s_and_b32 s23, vcc_lo, exec_lo
	s_delay_alu instid0(SALU_CYCLE_1)
	s_or_b32 s0, s0, s23
	s_or_b32 exec_lo, exec_lo, s22
	s_and_saveexec_b32 s22, s0
	s_cbranch_execnz .LBB289_251
	s_branch .LBB289_252
.LBB289_549:
	s_mov_b32 s0, -1
	s_mov_b32 s24, exec_lo
	v_cmpx_eq_u16_e32 0x80, v2
; %bb.550:
	s_xor_b32 s0, exec_lo, -1
; %bb.551:
	s_or_b32 exec_lo, exec_lo, s24
	s_delay_alu instid0(SALU_CYCLE_1)
	s_and_b32 s0, s0, exec_lo
                                        ; implicit-def: $vgpr2
	s_or_saveexec_b32 s23, s23
	v_mov_b32_e32 v4, 0x7f800001
	s_xor_b32 exec_lo, exec_lo, s23
	s_cbranch_execz .LBB289_256
.LBB289_552:
	v_cmp_ne_u16_e32 vcc_lo, 0, v2
	v_mov_b32_e32 v4, 0
	s_and_not1_b32 s0, s0, exec_lo
	s_and_b32 s24, vcc_lo, exec_lo
	s_delay_alu instid0(SALU_CYCLE_1)
	s_or_b32 s0, s0, s24
	s_or_b32 exec_lo, exec_lo, s23
	s_and_saveexec_b32 s23, s0
	s_cbranch_execnz .LBB289_257
	s_branch .LBB289_258
.LBB289_553:
	s_mov_b32 s0, -1
	s_mov_b32 s24, exec_lo
	v_cmpx_eq_u16_e32 0x80, v6
; %bb.554:
	s_xor_b32 s0, exec_lo, -1
; %bb.555:
	s_or_b32 exec_lo, exec_lo, s24
	s_delay_alu instid0(SALU_CYCLE_1)
	s_and_b32 s0, s0, exec_lo
                                        ; implicit-def: $vgpr6
	s_or_saveexec_b32 s23, s23
	v_mov_b32_e32 v2, 0x7f800001
	s_xor_b32 exec_lo, exec_lo, s23
	s_cbranch_execz .LBB289_260
.LBB289_556:
	v_cmp_ne_u16_e32 vcc_lo, 0, v6
	v_mov_b32_e32 v2, 0
	s_and_not1_b32 s0, s0, exec_lo
	s_and_b32 s24, vcc_lo, exec_lo
	s_delay_alu instid0(SALU_CYCLE_1)
	s_or_b32 s0, s0, s24
	s_or_b32 exec_lo, exec_lo, s23
	s_and_saveexec_b32 s23, s0
	s_cbranch_execnz .LBB289_261
	s_branch .LBB289_262
.LBB289_557:
	s_mov_b32 s0, -1
	s_mov_b32 s25, exec_lo
	v_cmpx_eq_u16_e32 0x80, v6
; %bb.558:
	s_xor_b32 s0, exec_lo, -1
; %bb.559:
	s_or_b32 exec_lo, exec_lo, s25
	s_delay_alu instid0(SALU_CYCLE_1)
	s_and_b32 s0, s0, exec_lo
                                        ; implicit-def: $vgpr6
	s_or_saveexec_b32 s24, s24
	v_mov_b32_e32 v7, 0x7f800001
	s_xor_b32 exec_lo, exec_lo, s24
	s_cbranch_execz .LBB289_276
.LBB289_560:
	v_cmp_ne_u16_e32 vcc_lo, 0, v6
	v_mov_b32_e32 v7, 0
	s_and_not1_b32 s0, s0, exec_lo
	s_and_b32 s25, vcc_lo, exec_lo
	s_delay_alu instid0(SALU_CYCLE_1)
	s_or_b32 s0, s0, s25
	s_or_b32 exec_lo, exec_lo, s24
	s_and_saveexec_b32 s24, s0
	s_cbranch_execnz .LBB289_277
	s_branch .LBB289_278
.LBB289_561:
	s_mov_b32 s0, -1
	s_mov_b32 s25, exec_lo
	v_cmpx_eq_u16_e32 0x80, v6
; %bb.562:
	s_xor_b32 s0, exec_lo, -1
; %bb.563:
	s_or_b32 exec_lo, exec_lo, s25
	s_delay_alu instid0(SALU_CYCLE_1)
	s_and_b32 s0, s0, exec_lo
                                        ; implicit-def: $vgpr6
	s_or_saveexec_b32 s24, s24
	v_mov_b32_e32 v4, 0x7f800001
	s_xor_b32 exec_lo, exec_lo, s24
	s_cbranch_execz .LBB289_280
.LBB289_564:
	v_cmp_ne_u16_e32 vcc_lo, 0, v6
	v_mov_b32_e32 v4, 0
	s_and_not1_b32 s0, s0, exec_lo
	s_and_b32 s25, vcc_lo, exec_lo
	s_delay_alu instid0(SALU_CYCLE_1)
	s_or_b32 s0, s0, s25
	s_or_b32 exec_lo, exec_lo, s24
	s_and_saveexec_b32 s24, s0
	s_cbranch_execnz .LBB289_281
	s_branch .LBB289_282
.LBB289_565:
	s_mov_b32 s0, -1
	s_mov_b32 s26, exec_lo
	v_cmpx_eq_u16_e32 0x80, v6
; %bb.566:
	s_xor_b32 s0, exec_lo, -1
; %bb.567:
	s_or_b32 exec_lo, exec_lo, s26
	s_delay_alu instid0(SALU_CYCLE_1)
	s_and_b32 s0, s0, exec_lo
                                        ; implicit-def: $vgpr6
	s_or_saveexec_b32 s25, s25
	v_mov_b32_e32 v7, 0x7f800001
	s_xor_b32 exec_lo, exec_lo, s25
	s_cbranch_execz .LBB289_296
.LBB289_568:
	v_cmp_ne_u16_e32 vcc_lo, 0, v6
	v_mov_b32_e32 v7, 0
	s_and_not1_b32 s0, s0, exec_lo
	s_and_b32 s26, vcc_lo, exec_lo
	s_delay_alu instid0(SALU_CYCLE_1)
	s_or_b32 s0, s0, s26
	s_or_b32 exec_lo, exec_lo, s25
	s_and_saveexec_b32 s25, s0
	s_cbranch_execnz .LBB289_297
	s_branch .LBB289_298
.LBB289_569:
	s_mov_b32 s0, -1
	s_mov_b32 s26, exec_lo
	v_cmpx_eq_u16_e32 0x80, v6
; %bb.570:
	s_xor_b32 s0, exec_lo, -1
; %bb.571:
	s_or_b32 exec_lo, exec_lo, s26
	s_delay_alu instid0(SALU_CYCLE_1)
	s_and_b32 s0, s0, exec_lo
                                        ; implicit-def: $vgpr6
	s_or_saveexec_b32 s25, s25
	v_mov_b32_e32 v4, 0x7f800001
	s_xor_b32 exec_lo, exec_lo, s25
	s_cbranch_execz .LBB289_300
.LBB289_572:
	v_cmp_ne_u16_e32 vcc_lo, 0, v6
	v_mov_b32_e32 v4, 0
	s_and_not1_b32 s0, s0, exec_lo
	s_and_b32 s26, vcc_lo, exec_lo
	s_delay_alu instid0(SALU_CYCLE_1)
	s_or_b32 s0, s0, s26
	s_or_b32 exec_lo, exec_lo, s25
	s_and_saveexec_b32 s25, s0
	s_cbranch_execnz .LBB289_301
	s_branch .LBB289_302
.LBB289_573:
	s_mov_b32 s0, -1
	s_mov_b32 s27, exec_lo
	v_cmpx_eq_u16_e32 0x80, v2
; %bb.574:
	s_xor_b32 s0, exec_lo, -1
; %bb.575:
	s_or_b32 exec_lo, exec_lo, s27
	s_delay_alu instid0(SALU_CYCLE_1)
	s_and_b32 s0, s0, exec_lo
	s_or_saveexec_b32 s26, s26
	v_mov_b32_e32 v4, 0x7f800001
	s_xor_b32 exec_lo, exec_lo, s26
	s_cbranch_execz .LBB289_316
.LBB289_576:
	v_cmp_ne_u16_e32 vcc_lo, 0, v2
	v_mov_b32_e32 v4, 0
	s_and_not1_b32 s0, s0, exec_lo
	s_and_b32 s27, vcc_lo, exec_lo
	s_delay_alu instid0(SALU_CYCLE_1)
	s_or_b32 s0, s0, s27
	s_or_b32 exec_lo, exec_lo, s26
	s_and_saveexec_b32 s26, s0
	s_cbranch_execnz .LBB289_317
	s_branch .LBB289_318
.LBB289_577:
	s_mov_b32 s0, -1
	s_mov_b32 s27, exec_lo
	v_cmpx_eq_u16_e32 0x80, v1
; %bb.578:
	s_xor_b32 s0, exec_lo, -1
; %bb.579:
	s_or_b32 exec_lo, exec_lo, s27
	s_delay_alu instid0(SALU_CYCLE_1)
	s_and_b32 s0, s0, exec_lo
	s_or_saveexec_b32 s26, s26
	v_mov_b32_e32 v2, 0x7f800001
	s_xor_b32 exec_lo, exec_lo, s26
	s_cbranch_execz .LBB289_320
.LBB289_580:
	v_cmp_ne_u16_e32 vcc_lo, 0, v1
	v_mov_b32_e32 v2, 0
	s_and_not1_b32 s0, s0, exec_lo
	s_and_b32 s27, vcc_lo, exec_lo
	s_delay_alu instid0(SALU_CYCLE_1)
	s_or_b32 s0, s0, s27
	s_or_b32 exec_lo, exec_lo, s26
	s_and_saveexec_b32 s26, s0
	s_cbranch_execnz .LBB289_321
	s_branch .LBB289_322
	.section	.rodata,"a",@progbits
	.p2align	6, 0x0
	.amdhsa_kernel _ZN2at6native29vectorized_elementwise_kernelILi8ENS0_13BinaryFunctorIN3c1015Float8_e4m3fnuzES4_bNS0_12_GLOBAL__N_116CompareEqFunctorIS4_EEEESt5arrayIPcLm3EEEEviT0_T1_
		.amdhsa_group_segment_fixed_size 0
		.amdhsa_private_segment_fixed_size 0
		.amdhsa_kernarg_size 32
		.amdhsa_user_sgpr_count 2
		.amdhsa_user_sgpr_dispatch_ptr 0
		.amdhsa_user_sgpr_queue_ptr 0
		.amdhsa_user_sgpr_kernarg_segment_ptr 1
		.amdhsa_user_sgpr_dispatch_id 0
		.amdhsa_user_sgpr_kernarg_preload_length 0
		.amdhsa_user_sgpr_kernarg_preload_offset 0
		.amdhsa_user_sgpr_private_segment_size 0
		.amdhsa_wavefront_size32 1
		.amdhsa_uses_dynamic_stack 0
		.amdhsa_enable_private_segment 0
		.amdhsa_system_sgpr_workgroup_id_x 1
		.amdhsa_system_sgpr_workgroup_id_y 0
		.amdhsa_system_sgpr_workgroup_id_z 0
		.amdhsa_system_sgpr_workgroup_info 0
		.amdhsa_system_vgpr_workitem_id 0
		.amdhsa_next_free_vgpr 67
		.amdhsa_next_free_sgpr 33
		.amdhsa_named_barrier_count 0
		.amdhsa_reserve_vcc 1
		.amdhsa_float_round_mode_32 0
		.amdhsa_float_round_mode_16_64 0
		.amdhsa_float_denorm_mode_32 3
		.amdhsa_float_denorm_mode_16_64 3
		.amdhsa_fp16_overflow 0
		.amdhsa_memory_ordered 1
		.amdhsa_forward_progress 1
		.amdhsa_inst_pref_size 151
		.amdhsa_round_robin_scheduling 0
		.amdhsa_exception_fp_ieee_invalid_op 0
		.amdhsa_exception_fp_denorm_src 0
		.amdhsa_exception_fp_ieee_div_zero 0
		.amdhsa_exception_fp_ieee_overflow 0
		.amdhsa_exception_fp_ieee_underflow 0
		.amdhsa_exception_fp_ieee_inexact 0
		.amdhsa_exception_int_div_zero 0
	.end_amdhsa_kernel
	.section	.text._ZN2at6native29vectorized_elementwise_kernelILi8ENS0_13BinaryFunctorIN3c1015Float8_e4m3fnuzES4_bNS0_12_GLOBAL__N_116CompareEqFunctorIS4_EEEESt5arrayIPcLm3EEEEviT0_T1_,"axG",@progbits,_ZN2at6native29vectorized_elementwise_kernelILi8ENS0_13BinaryFunctorIN3c1015Float8_e4m3fnuzES4_bNS0_12_GLOBAL__N_116CompareEqFunctorIS4_EEEESt5arrayIPcLm3EEEEviT0_T1_,comdat
.Lfunc_end289:
	.size	_ZN2at6native29vectorized_elementwise_kernelILi8ENS0_13BinaryFunctorIN3c1015Float8_e4m3fnuzES4_bNS0_12_GLOBAL__N_116CompareEqFunctorIS4_EEEESt5arrayIPcLm3EEEEviT0_T1_, .Lfunc_end289-_ZN2at6native29vectorized_elementwise_kernelILi8ENS0_13BinaryFunctorIN3c1015Float8_e4m3fnuzES4_bNS0_12_GLOBAL__N_116CompareEqFunctorIS4_EEEESt5arrayIPcLm3EEEEviT0_T1_
                                        ; -- End function
	.set _ZN2at6native29vectorized_elementwise_kernelILi8ENS0_13BinaryFunctorIN3c1015Float8_e4m3fnuzES4_bNS0_12_GLOBAL__N_116CompareEqFunctorIS4_EEEESt5arrayIPcLm3EEEEviT0_T1_.num_vgpr, max(32, .L_ZN2at6native25elementwise_kernel_helperILb0ENS0_13BinaryFunctorIN3c1015Float8_e4m3fnuzES4_bNS0_12_GLOBAL__N_116CompareEqFunctorIS4_EEEENS0_6memory8policies11unroll_baseILi256ESt5arrayIPcLm3EE23TrivialOffsetCalculatorILi2EjESF_ILi1EjENS9_15LoadWithoutCastENS9_16StoreWithoutCastELi16ELi1EEEEEvT0_T1_.num_vgpr)
	.set _ZN2at6native29vectorized_elementwise_kernelILi8ENS0_13BinaryFunctorIN3c1015Float8_e4m3fnuzES4_bNS0_12_GLOBAL__N_116CompareEqFunctorIS4_EEEESt5arrayIPcLm3EEEEviT0_T1_.num_agpr, max(0, .L_ZN2at6native25elementwise_kernel_helperILb0ENS0_13BinaryFunctorIN3c1015Float8_e4m3fnuzES4_bNS0_12_GLOBAL__N_116CompareEqFunctorIS4_EEEENS0_6memory8policies11unroll_baseILi256ESt5arrayIPcLm3EE23TrivialOffsetCalculatorILi2EjESF_ILi1EjENS9_15LoadWithoutCastENS9_16StoreWithoutCastELi16ELi1EEEEEvT0_T1_.num_agpr)
	.set _ZN2at6native29vectorized_elementwise_kernelILi8ENS0_13BinaryFunctorIN3c1015Float8_e4m3fnuzES4_bNS0_12_GLOBAL__N_116CompareEqFunctorIS4_EEEESt5arrayIPcLm3EEEEviT0_T1_.numbered_sgpr, max(33, .L_ZN2at6native25elementwise_kernel_helperILb0ENS0_13BinaryFunctorIN3c1015Float8_e4m3fnuzES4_bNS0_12_GLOBAL__N_116CompareEqFunctorIS4_EEEENS0_6memory8policies11unroll_baseILi256ESt5arrayIPcLm3EE23TrivialOffsetCalculatorILi2EjESF_ILi1EjENS9_15LoadWithoutCastENS9_16StoreWithoutCastELi16ELi1EEEEEvT0_T1_.numbered_sgpr)
	.set _ZN2at6native29vectorized_elementwise_kernelILi8ENS0_13BinaryFunctorIN3c1015Float8_e4m3fnuzES4_bNS0_12_GLOBAL__N_116CompareEqFunctorIS4_EEEESt5arrayIPcLm3EEEEviT0_T1_.num_named_barrier, max(0, .L_ZN2at6native25elementwise_kernel_helperILb0ENS0_13BinaryFunctorIN3c1015Float8_e4m3fnuzES4_bNS0_12_GLOBAL__N_116CompareEqFunctorIS4_EEEENS0_6memory8policies11unroll_baseILi256ESt5arrayIPcLm3EE23TrivialOffsetCalculatorILi2EjESF_ILi1EjENS9_15LoadWithoutCastENS9_16StoreWithoutCastELi16ELi1EEEEEvT0_T1_.num_named_barrier)
	.set _ZN2at6native29vectorized_elementwise_kernelILi8ENS0_13BinaryFunctorIN3c1015Float8_e4m3fnuzES4_bNS0_12_GLOBAL__N_116CompareEqFunctorIS4_EEEESt5arrayIPcLm3EEEEviT0_T1_.private_seg_size, 0+max(.L_ZN2at6native25elementwise_kernel_helperILb0ENS0_13BinaryFunctorIN3c1015Float8_e4m3fnuzES4_bNS0_12_GLOBAL__N_116CompareEqFunctorIS4_EEEENS0_6memory8policies11unroll_baseILi256ESt5arrayIPcLm3EE23TrivialOffsetCalculatorILi2EjESF_ILi1EjENS9_15LoadWithoutCastENS9_16StoreWithoutCastELi16ELi1EEEEEvT0_T1_.private_seg_size)
	.set _ZN2at6native29vectorized_elementwise_kernelILi8ENS0_13BinaryFunctorIN3c1015Float8_e4m3fnuzES4_bNS0_12_GLOBAL__N_116CompareEqFunctorIS4_EEEESt5arrayIPcLm3EEEEviT0_T1_.uses_vcc, or(1, .L_ZN2at6native25elementwise_kernel_helperILb0ENS0_13BinaryFunctorIN3c1015Float8_e4m3fnuzES4_bNS0_12_GLOBAL__N_116CompareEqFunctorIS4_EEEENS0_6memory8policies11unroll_baseILi256ESt5arrayIPcLm3EE23TrivialOffsetCalculatorILi2EjESF_ILi1EjENS9_15LoadWithoutCastENS9_16StoreWithoutCastELi16ELi1EEEEEvT0_T1_.uses_vcc)
	.set _ZN2at6native29vectorized_elementwise_kernelILi8ENS0_13BinaryFunctorIN3c1015Float8_e4m3fnuzES4_bNS0_12_GLOBAL__N_116CompareEqFunctorIS4_EEEESt5arrayIPcLm3EEEEviT0_T1_.uses_flat_scratch, or(0, .L_ZN2at6native25elementwise_kernel_helperILb0ENS0_13BinaryFunctorIN3c1015Float8_e4m3fnuzES4_bNS0_12_GLOBAL__N_116CompareEqFunctorIS4_EEEENS0_6memory8policies11unroll_baseILi256ESt5arrayIPcLm3EE23TrivialOffsetCalculatorILi2EjESF_ILi1EjENS9_15LoadWithoutCastENS9_16StoreWithoutCastELi16ELi1EEEEEvT0_T1_.uses_flat_scratch)
	.set _ZN2at6native29vectorized_elementwise_kernelILi8ENS0_13BinaryFunctorIN3c1015Float8_e4m3fnuzES4_bNS0_12_GLOBAL__N_116CompareEqFunctorIS4_EEEESt5arrayIPcLm3EEEEviT0_T1_.has_dyn_sized_stack, or(0, .L_ZN2at6native25elementwise_kernel_helperILb0ENS0_13BinaryFunctorIN3c1015Float8_e4m3fnuzES4_bNS0_12_GLOBAL__N_116CompareEqFunctorIS4_EEEENS0_6memory8policies11unroll_baseILi256ESt5arrayIPcLm3EE23TrivialOffsetCalculatorILi2EjESF_ILi1EjENS9_15LoadWithoutCastENS9_16StoreWithoutCastELi16ELi1EEEEEvT0_T1_.has_dyn_sized_stack)
	.set _ZN2at6native29vectorized_elementwise_kernelILi8ENS0_13BinaryFunctorIN3c1015Float8_e4m3fnuzES4_bNS0_12_GLOBAL__N_116CompareEqFunctorIS4_EEEESt5arrayIPcLm3EEEEviT0_T1_.has_recursion, or(0, .L_ZN2at6native25elementwise_kernel_helperILb0ENS0_13BinaryFunctorIN3c1015Float8_e4m3fnuzES4_bNS0_12_GLOBAL__N_116CompareEqFunctorIS4_EEEENS0_6memory8policies11unroll_baseILi256ESt5arrayIPcLm3EE23TrivialOffsetCalculatorILi2EjESF_ILi1EjENS9_15LoadWithoutCastENS9_16StoreWithoutCastELi16ELi1EEEEEvT0_T1_.has_recursion)
	.set _ZN2at6native29vectorized_elementwise_kernelILi8ENS0_13BinaryFunctorIN3c1015Float8_e4m3fnuzES4_bNS0_12_GLOBAL__N_116CompareEqFunctorIS4_EEEESt5arrayIPcLm3EEEEviT0_T1_.has_indirect_call, or(0, .L_ZN2at6native25elementwise_kernel_helperILb0ENS0_13BinaryFunctorIN3c1015Float8_e4m3fnuzES4_bNS0_12_GLOBAL__N_116CompareEqFunctorIS4_EEEENS0_6memory8policies11unroll_baseILi256ESt5arrayIPcLm3EE23TrivialOffsetCalculatorILi2EjESF_ILi1EjENS9_15LoadWithoutCastENS9_16StoreWithoutCastELi16ELi1EEEEEvT0_T1_.has_indirect_call)
	.section	.AMDGPU.csdata,"",@progbits
; Kernel info:
; codeLenInByte = 19224
; TotalNumSgprs: 35
; NumVgprs: 67
; ScratchSize: 0
; MemoryBound: 0
; FloatMode: 240
; IeeeMode: 1
; LDSByteSize: 0 bytes/workgroup (compile time only)
; SGPRBlocks: 0
; VGPRBlocks: 4
; NumSGPRsForWavesPerEU: 35
; NumVGPRsForWavesPerEU: 67
; NamedBarCnt: 0
; Occupancy: 12
; WaveLimiterHint : 1
; COMPUTE_PGM_RSRC2:SCRATCH_EN: 0
; COMPUTE_PGM_RSRC2:USER_SGPR: 2
; COMPUTE_PGM_RSRC2:TRAP_HANDLER: 0
; COMPUTE_PGM_RSRC2:TGID_X_EN: 1
; COMPUTE_PGM_RSRC2:TGID_Y_EN: 0
; COMPUTE_PGM_RSRC2:TGID_Z_EN: 0
; COMPUTE_PGM_RSRC2:TIDIG_COMP_CNT: 0
	.section	.text._ZN2at6native29vectorized_elementwise_kernelILi4ENS0_13BinaryFunctorIN3c1015Float8_e4m3fnuzES4_bNS0_12_GLOBAL__N_116CompareEqFunctorIS4_EEEESt5arrayIPcLm3EEEEviT0_T1_,"axG",@progbits,_ZN2at6native29vectorized_elementwise_kernelILi4ENS0_13BinaryFunctorIN3c1015Float8_e4m3fnuzES4_bNS0_12_GLOBAL__N_116CompareEqFunctorIS4_EEEESt5arrayIPcLm3EEEEviT0_T1_,comdat
	.globl	_ZN2at6native29vectorized_elementwise_kernelILi4ENS0_13BinaryFunctorIN3c1015Float8_e4m3fnuzES4_bNS0_12_GLOBAL__N_116CompareEqFunctorIS4_EEEESt5arrayIPcLm3EEEEviT0_T1_ ; -- Begin function _ZN2at6native29vectorized_elementwise_kernelILi4ENS0_13BinaryFunctorIN3c1015Float8_e4m3fnuzES4_bNS0_12_GLOBAL__N_116CompareEqFunctorIS4_EEEESt5arrayIPcLm3EEEEviT0_T1_
	.p2align	8
	.type	_ZN2at6native29vectorized_elementwise_kernelILi4ENS0_13BinaryFunctorIN3c1015Float8_e4m3fnuzES4_bNS0_12_GLOBAL__N_116CompareEqFunctorIS4_EEEESt5arrayIPcLm3EEEEviT0_T1_,@function
_ZN2at6native29vectorized_elementwise_kernelILi4ENS0_13BinaryFunctorIN3c1015Float8_e4m3fnuzES4_bNS0_12_GLOBAL__N_116CompareEqFunctorIS4_EEEESt5arrayIPcLm3EEEEviT0_T1_: ; @_ZN2at6native29vectorized_elementwise_kernelILi4ENS0_13BinaryFunctorIN3c1015Float8_e4m3fnuzES4_bNS0_12_GLOBAL__N_116CompareEqFunctorIS4_EEEESt5arrayIPcLm3EEEEviT0_T1_
; %bb.0:
	s_clause 0x2
	s_load_b64 s[8:9], s[0:1], 0x0
	s_load_b128 s[4:7], s[0:1], 0x8
	s_load_b64 s[2:3], s[0:1], 0x18
	s_wait_xcnt 0x0
	s_bfe_u32 s0, ttmp6, 0x4000c
	s_and_b32 s1, ttmp6, 15
	s_add_co_i32 s0, s0, 1
	s_getreg_b32 s10, hwreg(HW_REG_IB_STS2, 6, 4)
	s_mul_i32 s0, ttmp9, s0
	s_mov_b32 s32, 0
	s_add_co_i32 s1, s1, s0
	s_cmp_eq_u32 s10, 0
	s_cselect_b32 s0, ttmp9, s1
	s_delay_alu instid0(SALU_CYCLE_1) | instskip(SKIP_3) | instid1(SALU_CYCLE_1)
	s_lshl_b32 s10, s0, 12
	s_mov_b32 s0, -1
	s_wait_kmcnt 0x0
	s_sub_co_i32 s1, s8, s10
	s_cmp_gt_i32 s1, 0xfff
	s_cbranch_scc1 .LBB290_3
; %bb.1:
	s_and_b32 vcc_lo, exec_lo, s0
	s_cbranch_vccnz .LBB290_324
.LBB290_2:
	s_sendmsg sendmsg(MSG_DEALLOC_VGPRS)
	s_endpgm
.LBB290_3:
	s_ashr_i32 s11, s10, 31
	s_cmp_lg_u32 s9, 0
	s_add_nc_u64 s[12:13], s[6:7], s[10:11]
	s_add_nc_u64 s[14:15], s[2:3], s[10:11]
	s_clause 0x7
	global_load_b32 v9, v0, s[12:13] scale_offset
	global_load_b32 v7, v0, s[12:13] offset:1024 scale_offset
	global_load_b32 v5, v0, s[12:13] offset:2048 scale_offset
	;; [unrolled: 1-line block ×3, first 2 shown]
	global_load_b32 v8, v0, s[14:15] scale_offset
	global_load_b32 v6, v0, s[14:15] offset:1024 scale_offset
	global_load_b32 v4, v0, s[14:15] offset:2048 scale_offset
	;; [unrolled: 1-line block ×3, first 2 shown]
	s_cselect_b32 s0, -1, 0
	s_delay_alu instid0(SALU_CYCLE_1)
	s_and_b32 vcc_lo, exec_lo, s0
	s_wait_loadcnt 0x7
	v_and_b32_e32 v3, 0xff, v9
	s_cbranch_vccz .LBB290_13
; %bb.4:
	s_mov_b32 s8, 0
	s_wait_xcnt 0x4
	s_mov_b32 s12, exec_lo
	s_wait_xcnt 0x0
	v_cmpx_lt_i16_e32 0x7f, v3
	s_xor_b32 s12, exec_lo, s12
	s_cbranch_execnz .LBB290_325
; %bb.5:
	s_or_saveexec_b32 s12, s12
	v_mov_b32_e32 v10, 0x7f800001
	s_xor_b32 exec_lo, exec_lo, s12
	s_cbranch_execnz .LBB290_328
.LBB290_6:
	s_or_b32 exec_lo, exec_lo, s12
	s_and_saveexec_b32 s12, s8
	s_cbranch_execz .LBB290_8
.LBB290_7:
	v_and_b32_e32 v10, 7, v9
	v_bfe_u32 v13, v9, 3, 4
	s_delay_alu instid0(VALU_DEP_2) | instskip(NEXT) | instid1(VALU_DEP_2)
	v_clz_i32_u32_e32 v11, v10
	v_cmp_eq_u32_e32 vcc_lo, 0, v13
	s_delay_alu instid0(VALU_DEP_2) | instskip(NEXT) | instid1(VALU_DEP_1)
	v_min_u32_e32 v11, 32, v11
	v_subrev_nc_u32_e32 v12, 28, v11
	s_delay_alu instid0(VALU_DEP_1) | instskip(NEXT) | instid1(VALU_DEP_1)
	v_dual_lshlrev_b32 v12, v12, v9 :: v_dual_sub_nc_u32 v11, 29, v11
	v_dual_lshlrev_b32 v14, 24, v9 :: v_dual_bitop2_b32 v12, 7, v12 bitop3:0x40
	s_delay_alu instid0(VALU_DEP_1) | instskip(NEXT) | instid1(VALU_DEP_2)
	v_dual_cndmask_b32 v11, v13, v11 :: v_dual_cndmask_b32 v10, v10, v12
	v_and_b32_e32 v12, 0x80000000, v14
	s_delay_alu instid0(VALU_DEP_2) | instskip(NEXT) | instid1(VALU_DEP_3)
	v_lshl_add_u32 v11, v11, 23, 0x3b800000
	v_lshlrev_b32_e32 v10, 20, v10
	s_delay_alu instid0(VALU_DEP_1)
	v_or3_b32 v10, v12, v11, v10
.LBB290_8:
	s_or_b32 exec_lo, exec_lo, s12
	s_wait_loadcnt 0x3
	v_and_b32_e32 v12, 0xff, v8
	s_mov_b32 s8, 0
	s_mov_b32 s12, exec_lo
	s_delay_alu instid0(VALU_DEP_1)
	v_cmpx_lt_i16_e32 0x7f, v12
	s_xor_b32 s12, exec_lo, s12
	s_cbranch_execnz .LBB290_329
; %bb.9:
	s_or_saveexec_b32 s12, s12
	v_mov_b32_e32 v11, 0x7f800001
	s_xor_b32 exec_lo, exec_lo, s12
	s_cbranch_execnz .LBB290_332
.LBB290_10:
	s_or_b32 exec_lo, exec_lo, s12
	s_and_saveexec_b32 s12, s8
	s_cbranch_execz .LBB290_12
.LBB290_11:
	v_and_b32_e32 v11, 7, v8
	v_bfe_u32 v14, v8, 3, 4
	s_delay_alu instid0(VALU_DEP_2) | instskip(NEXT) | instid1(VALU_DEP_2)
	v_clz_i32_u32_e32 v12, v11
	v_cmp_eq_u32_e32 vcc_lo, 0, v14
	s_delay_alu instid0(VALU_DEP_2) | instskip(NEXT) | instid1(VALU_DEP_1)
	v_min_u32_e32 v12, 32, v12
	v_subrev_nc_u32_e32 v13, 28, v12
	s_delay_alu instid0(VALU_DEP_1) | instskip(NEXT) | instid1(VALU_DEP_1)
	v_lshlrev_b32_e32 v13, v13, v8
	v_dual_sub_nc_u32 v12, 29, v12 :: v_dual_bitop2_b32 v13, 7, v13 bitop3:0x40
	s_delay_alu instid0(VALU_DEP_1) | instskip(NEXT) | instid1(VALU_DEP_2)
	v_dual_lshlrev_b32 v15, 24, v8 :: v_dual_cndmask_b32 v11, v11, v13, vcc_lo
	v_cndmask_b32_e32 v12, v14, v12, vcc_lo
	s_delay_alu instid0(VALU_DEP_2) | instskip(NEXT) | instid1(VALU_DEP_3)
	v_and_b32_e32 v13, 0x80000000, v15
	v_lshlrev_b32_e32 v11, 20, v11
	s_delay_alu instid0(VALU_DEP_3) | instskip(NEXT) | instid1(VALU_DEP_1)
	v_lshl_add_u32 v12, v12, 23, 0x3b800000
	v_or3_b32 v11, v13, v12, v11
.LBB290_12:
	s_or_b32 exec_lo, exec_lo, s12
	s_delay_alu instid0(VALU_DEP_1)
	v_cmp_neq_f32_e64 s8, v10, v11
	s_branch .LBB290_23
.LBB290_13:
	s_wait_xcnt 0x4
                                        ; implicit-def: $sgpr8
	s_cbranch_execz .LBB290_23
; %bb.14:
	s_mov_b32 s8, 0
	s_mov_b32 s12, exec_lo
	s_wait_xcnt 0x0
	v_cmpx_lt_i16_e32 0x7f, v3
	s_xor_b32 s12, exec_lo, s12
	s_cbranch_execnz .LBB290_453
; %bb.15:
	s_or_saveexec_b32 s12, s12
	v_mov_b32_e32 v10, 0x7f800001
	s_xor_b32 exec_lo, exec_lo, s12
	s_cbranch_execnz .LBB290_456
.LBB290_16:
	s_or_b32 exec_lo, exec_lo, s12
	s_and_saveexec_b32 s12, s8
	s_cbranch_execz .LBB290_18
.LBB290_17:
	v_and_b32_e32 v3, 7, v9
	v_bfe_u32 v12, v9, 3, 4
	s_delay_alu instid0(VALU_DEP_2) | instskip(NEXT) | instid1(VALU_DEP_2)
	v_clz_i32_u32_e32 v10, v3
	v_cmp_eq_u32_e32 vcc_lo, 0, v12
	s_delay_alu instid0(VALU_DEP_2) | instskip(NEXT) | instid1(VALU_DEP_1)
	v_min_u32_e32 v10, 32, v10
	v_subrev_nc_u32_e32 v11, 28, v10
	s_delay_alu instid0(VALU_DEP_1) | instskip(NEXT) | instid1(VALU_DEP_1)
	v_dual_lshlrev_b32 v11, v11, v9 :: v_dual_sub_nc_u32 v10, 29, v10
	v_dual_lshlrev_b32 v13, 24, v9 :: v_dual_bitop2_b32 v11, 7, v11 bitop3:0x40
	s_delay_alu instid0(VALU_DEP_1) | instskip(NEXT) | instid1(VALU_DEP_2)
	v_dual_cndmask_b32 v10, v12, v10 :: v_dual_cndmask_b32 v3, v3, v11
	v_and_b32_e32 v11, 0x80000000, v13
	s_delay_alu instid0(VALU_DEP_2) | instskip(NEXT) | instid1(VALU_DEP_3)
	v_lshl_add_u32 v10, v10, 23, 0x3b800000
	v_lshlrev_b32_e32 v3, 20, v3
	s_delay_alu instid0(VALU_DEP_1)
	v_or3_b32 v10, v11, v10, v3
.LBB290_18:
	s_or_b32 exec_lo, exec_lo, s12
	s_wait_loadcnt 0x3
	v_and_b32_e32 v11, 0xff, v8
	s_mov_b32 s8, 0
	s_mov_b32 s12, exec_lo
	s_delay_alu instid0(VALU_DEP_1)
	v_cmpx_lt_i16_e32 0x7f, v11
	s_xor_b32 s12, exec_lo, s12
	s_cbranch_execnz .LBB290_457
; %bb.19:
	s_or_saveexec_b32 s12, s12
	v_mov_b32_e32 v3, 0x7f800001
	s_xor_b32 exec_lo, exec_lo, s12
	s_cbranch_execnz .LBB290_460
.LBB290_20:
	s_or_b32 exec_lo, exec_lo, s12
	s_and_saveexec_b32 s12, s8
	s_cbranch_execz .LBB290_22
.LBB290_21:
	v_and_b32_e32 v3, 7, v8
	v_bfe_u32 v13, v8, 3, 4
	s_delay_alu instid0(VALU_DEP_2) | instskip(NEXT) | instid1(VALU_DEP_2)
	v_clz_i32_u32_e32 v11, v3
	v_cmp_eq_u32_e32 vcc_lo, 0, v13
	s_delay_alu instid0(VALU_DEP_2) | instskip(NEXT) | instid1(VALU_DEP_1)
	v_min_u32_e32 v11, 32, v11
	v_subrev_nc_u32_e32 v12, 28, v11
	s_delay_alu instid0(VALU_DEP_1) | instskip(NEXT) | instid1(VALU_DEP_1)
	v_dual_lshlrev_b32 v12, v12, v8 :: v_dual_sub_nc_u32 v11, 29, v11
	v_and_b32_e32 v12, 7, v12
	s_delay_alu instid0(VALU_DEP_2) | instskip(NEXT) | instid1(VALU_DEP_2)
	v_dual_cndmask_b32 v11, v13, v11 :: v_dual_lshlrev_b32 v14, 24, v8
	v_cndmask_b32_e32 v3, v3, v12, vcc_lo
	s_delay_alu instid0(VALU_DEP_2) | instskip(NEXT) | instid1(VALU_DEP_3)
	v_and_b32_e32 v12, 0x80000000, v14
	v_lshl_add_u32 v11, v11, 23, 0x3b800000
	s_delay_alu instid0(VALU_DEP_3) | instskip(NEXT) | instid1(VALU_DEP_1)
	v_lshlrev_b32_e32 v3, 20, v3
	v_or3_b32 v3, v12, v11, v3
.LBB290_22:
	s_or_b32 exec_lo, exec_lo, s12
	s_delay_alu instid0(VALU_DEP_1)
	v_cmp_eq_f32_e64 s8, v10, v3
.LBB290_23:
	s_wait_loadcnt 0x3
	v_dual_lshrrev_b32 v11, 8, v9 :: v_dual_lshrrev_b32 v10, 8, v8
	v_cndmask_b32_e64 v3, 0, 1, s0
	s_and_not1_b32 vcc_lo, exec_lo, s0
	s_delay_alu instid0(VALU_DEP_2)
	v_and_b32_e32 v12, 0xff, v11
	s_cbranch_vccnz .LBB290_33
; %bb.24:
	s_mov_b32 s0, 0
	s_mov_b32 s12, exec_lo
	s_wait_xcnt 0x0
	v_cmpx_lt_i16_e32 0x7f, v12
	s_xor_b32 s12, exec_lo, s12
	s_cbranch_execnz .LBB290_333
; %bb.25:
	s_or_saveexec_b32 s12, s12
	v_mov_b32_e32 v13, 0x7f800001
	s_xor_b32 exec_lo, exec_lo, s12
	s_cbranch_execnz .LBB290_336
.LBB290_26:
	s_or_b32 exec_lo, exec_lo, s12
	s_and_saveexec_b32 s12, s0
	s_cbranch_execz .LBB290_28
.LBB290_27:
	v_bfe_u32 v13, v9, 8, 3
	v_bfe_u32 v16, v9, 11, 4
	s_delay_alu instid0(VALU_DEP_2) | instskip(NEXT) | instid1(VALU_DEP_2)
	v_clz_i32_u32_e32 v14, v13
	v_cmp_eq_u32_e32 vcc_lo, 0, v16
	s_delay_alu instid0(VALU_DEP_2) | instskip(NEXT) | instid1(VALU_DEP_1)
	v_min_u32_e32 v14, 32, v14
	v_subrev_nc_u32_e32 v15, 28, v14
	s_delay_alu instid0(VALU_DEP_1) | instskip(NEXT) | instid1(VALU_DEP_1)
	v_dual_sub_nc_u32 v14, 29, v14 :: v_dual_lshlrev_b32 v15, v15, v11
	v_dual_cndmask_b32 v14, v16, v14, vcc_lo :: v_dual_bitop2_b32 v15, 7, v15 bitop3:0x40
	s_delay_alu instid0(VALU_DEP_1) | instskip(NEXT) | instid1(VALU_DEP_2)
	v_lshl_add_u32 v14, v14, 23, 0x3b800000
	v_cndmask_b32_e32 v13, v13, v15, vcc_lo
	s_delay_alu instid0(VALU_DEP_1) | instskip(NEXT) | instid1(VALU_DEP_1)
	v_dual_lshlrev_b32 v17, 24, v11 :: v_dual_lshlrev_b32 v13, 20, v13
	v_and_b32_e32 v15, 0x80000000, v17
	s_delay_alu instid0(VALU_DEP_1)
	v_or3_b32 v13, v15, v14, v13
.LBB290_28:
	s_or_b32 exec_lo, exec_lo, s12
	v_and_b32_e32 v15, 0xff, v10
	s_mov_b32 s0, 0
	s_mov_b32 s12, exec_lo
	s_delay_alu instid0(VALU_DEP_1)
	v_cmpx_lt_i16_e32 0x7f, v15
	s_xor_b32 s12, exec_lo, s12
	s_cbranch_execnz .LBB290_337
; %bb.29:
	s_or_saveexec_b32 s12, s12
	v_mov_b32_e32 v14, 0x7f800001
	s_xor_b32 exec_lo, exec_lo, s12
	s_cbranch_execnz .LBB290_340
.LBB290_30:
	s_or_b32 exec_lo, exec_lo, s12
	s_and_saveexec_b32 s12, s0
	s_cbranch_execz .LBB290_32
.LBB290_31:
	v_bfe_u32 v14, v8, 8, 3
	v_bfe_u32 v17, v8, 11, 4
	v_lshlrev_b32_e32 v18, 24, v10
	s_delay_alu instid0(VALU_DEP_3) | instskip(NEXT) | instid1(VALU_DEP_3)
	v_clz_i32_u32_e32 v15, v14
	v_cmp_eq_u32_e32 vcc_lo, 0, v17
	s_delay_alu instid0(VALU_DEP_2) | instskip(NEXT) | instid1(VALU_DEP_1)
	v_min_u32_e32 v15, 32, v15
	v_subrev_nc_u32_e32 v16, 28, v15
	s_delay_alu instid0(VALU_DEP_1) | instskip(NEXT) | instid1(VALU_DEP_1)
	v_dual_sub_nc_u32 v15, 29, v15 :: v_dual_lshlrev_b32 v16, v16, v10
	v_dual_cndmask_b32 v15, v17, v15, vcc_lo :: v_dual_bitop2_b32 v16, 7, v16 bitop3:0x40
	s_delay_alu instid0(VALU_DEP_1) | instskip(SKIP_1) | instid1(VALU_DEP_3)
	v_cndmask_b32_e32 v14, v14, v16, vcc_lo
	v_and_b32_e32 v16, 0x80000000, v18
	v_lshl_add_u32 v15, v15, 23, 0x3b800000
	s_delay_alu instid0(VALU_DEP_3) | instskip(NEXT) | instid1(VALU_DEP_1)
	v_lshlrev_b32_e32 v14, 20, v14
	v_or3_b32 v14, v16, v15, v14
.LBB290_32:
	s_or_b32 exec_lo, exec_lo, s12
	s_delay_alu instid0(VALU_DEP_1)
	v_cmp_neq_f32_e64 s12, v13, v14
	s_branch .LBB290_43
.LBB290_33:
                                        ; implicit-def: $sgpr12
	s_cbranch_execz .LBB290_43
; %bb.34:
	s_mov_b32 s0, 0
	s_mov_b32 s12, exec_lo
	s_wait_xcnt 0x0
	v_cmpx_lt_i16_e32 0x7f, v12
	s_xor_b32 s12, exec_lo, s12
	s_cbranch_execnz .LBB290_461
; %bb.35:
	s_or_saveexec_b32 s12, s12
	v_mov_b32_e32 v13, 0x7f800001
	s_xor_b32 exec_lo, exec_lo, s12
	s_cbranch_execnz .LBB290_464
.LBB290_36:
	s_or_b32 exec_lo, exec_lo, s12
	s_and_saveexec_b32 s12, s0
	s_cbranch_execz .LBB290_38
.LBB290_37:
	v_bfe_u32 v12, v9, 8, 3
	v_bfe_u32 v15, v9, 11, 4
	s_delay_alu instid0(VALU_DEP_2) | instskip(NEXT) | instid1(VALU_DEP_2)
	v_clz_i32_u32_e32 v13, v12
	v_cmp_eq_u32_e32 vcc_lo, 0, v15
	s_delay_alu instid0(VALU_DEP_2) | instskip(NEXT) | instid1(VALU_DEP_1)
	v_min_u32_e32 v13, 32, v13
	v_subrev_nc_u32_e32 v14, 28, v13
	s_delay_alu instid0(VALU_DEP_1) | instskip(NEXT) | instid1(VALU_DEP_1)
	v_dual_sub_nc_u32 v13, 29, v13 :: v_dual_lshlrev_b32 v14, v14, v11
	v_dual_lshlrev_b32 v11, 24, v11 :: v_dual_bitop2_b32 v14, 7, v14 bitop3:0x40
	s_delay_alu instid0(VALU_DEP_2) | instskip(NEXT) | instid1(VALU_DEP_2)
	v_cndmask_b32_e32 v13, v15, v13, vcc_lo
	v_and_b32_e32 v11, 0x80000000, v11
	s_delay_alu instid0(VALU_DEP_3) | instskip(NEXT) | instid1(VALU_DEP_3)
	v_cndmask_b32_e32 v12, v12, v14, vcc_lo
	v_lshl_add_u32 v13, v13, 23, 0x3b800000
	s_delay_alu instid0(VALU_DEP_2) | instskip(NEXT) | instid1(VALU_DEP_1)
	v_lshlrev_b32_e32 v12, 20, v12
	v_or3_b32 v13, v11, v13, v12
.LBB290_38:
	s_or_b32 exec_lo, exec_lo, s12
	v_and_b32_e32 v12, 0xff, v10
	s_mov_b32 s0, 0
	s_mov_b32 s12, exec_lo
	s_delay_alu instid0(VALU_DEP_1)
	v_cmpx_lt_i16_e32 0x7f, v12
	s_xor_b32 s12, exec_lo, s12
	s_cbranch_execnz .LBB290_465
; %bb.39:
	s_or_saveexec_b32 s12, s12
	v_mov_b32_e32 v11, 0x7f800001
	s_xor_b32 exec_lo, exec_lo, s12
	s_cbranch_execnz .LBB290_468
.LBB290_40:
	s_or_b32 exec_lo, exec_lo, s12
	s_and_saveexec_b32 s12, s0
	s_cbranch_execz .LBB290_42
.LBB290_41:
	v_bfe_u32 v11, v8, 8, 3
	v_bfe_u32 v15, v8, 11, 4
	s_delay_alu instid0(VALU_DEP_2) | instskip(NEXT) | instid1(VALU_DEP_2)
	v_clz_i32_u32_e32 v12, v11
	v_cmp_eq_u32_e32 vcc_lo, 0, v15
	s_delay_alu instid0(VALU_DEP_2) | instskip(NEXT) | instid1(VALU_DEP_1)
	v_min_u32_e32 v12, 32, v12
	v_subrev_nc_u32_e32 v14, 28, v12
	s_delay_alu instid0(VALU_DEP_1) | instskip(NEXT) | instid1(VALU_DEP_1)
	v_dual_sub_nc_u32 v12, 29, v12 :: v_dual_lshlrev_b32 v14, v14, v10
	v_dual_cndmask_b32 v12, v15, v12, vcc_lo :: v_dual_bitop2_b32 v14, 7, v14 bitop3:0x40
	s_delay_alu instid0(VALU_DEP_1) | instskip(NEXT) | instid1(VALU_DEP_2)
	v_lshl_add_u32 v12, v12, 23, 0x3b800000
	v_cndmask_b32_e32 v11, v11, v14, vcc_lo
	s_delay_alu instid0(VALU_DEP_1) | instskip(NEXT) | instid1(VALU_DEP_1)
	v_dual_lshlrev_b32 v10, 24, v10 :: v_dual_lshlrev_b32 v11, 20, v11
	v_and_b32_e32 v10, 0x80000000, v10
	s_delay_alu instid0(VALU_DEP_1)
	v_or3_b32 v11, v10, v12, v11
.LBB290_42:
	s_or_b32 exec_lo, exec_lo, s12
	s_delay_alu instid0(VALU_DEP_1)
	v_cmp_eq_f32_e64 s12, v13, v11
.LBB290_43:
	v_dual_lshrrev_b32 v11, 16, v9 :: v_dual_lshrrev_b32 v10, 16, v8
	v_cmp_ne_u32_e32 vcc_lo, 1, v3
	s_delay_alu instid0(VALU_DEP_2)
	v_and_b32_e32 v12, 0xff, v11
	s_cbranch_vccnz .LBB290_53
; %bb.44:
	s_mov_b32 s0, 0
	s_mov_b32 s13, exec_lo
	s_wait_xcnt 0x0
	v_cmpx_lt_i16_e32 0x7f, v12
	s_xor_b32 s13, exec_lo, s13
	s_cbranch_execnz .LBB290_341
; %bb.45:
	s_or_saveexec_b32 s13, s13
	v_mov_b32_e32 v13, 0x7f800001
	s_xor_b32 exec_lo, exec_lo, s13
	s_cbranch_execnz .LBB290_344
.LBB290_46:
	s_or_b32 exec_lo, exec_lo, s13
	s_and_saveexec_b32 s13, s0
	s_cbranch_execz .LBB290_48
.LBB290_47:
	v_bfe_u32 v13, v9, 16, 3
	v_bfe_u32 v16, v9, 19, 4
	s_delay_alu instid0(VALU_DEP_2) | instskip(NEXT) | instid1(VALU_DEP_2)
	v_clz_i32_u32_e32 v14, v13
	v_cmp_eq_u32_e32 vcc_lo, 0, v16
	s_delay_alu instid0(VALU_DEP_2) | instskip(NEXT) | instid1(VALU_DEP_1)
	v_min_u32_e32 v14, 32, v14
	v_subrev_nc_u32_e32 v15, 28, v14
	s_delay_alu instid0(VALU_DEP_1) | instskip(NEXT) | instid1(VALU_DEP_1)
	v_dual_sub_nc_u32 v14, 29, v14 :: v_dual_lshlrev_b32 v15, v15, v11
	v_dual_cndmask_b32 v14, v16, v14, vcc_lo :: v_dual_bitop2_b32 v15, 7, v15 bitop3:0x40
	s_delay_alu instid0(VALU_DEP_1) | instskip(NEXT) | instid1(VALU_DEP_2)
	v_lshl_add_u32 v14, v14, 23, 0x3b800000
	v_cndmask_b32_e32 v13, v13, v15, vcc_lo
	s_delay_alu instid0(VALU_DEP_1) | instskip(NEXT) | instid1(VALU_DEP_1)
	v_dual_lshlrev_b32 v17, 24, v11 :: v_dual_lshlrev_b32 v13, 20, v13
	v_and_b32_e32 v15, 0x80000000, v17
	s_delay_alu instid0(VALU_DEP_1)
	v_or3_b32 v13, v15, v14, v13
.LBB290_48:
	s_or_b32 exec_lo, exec_lo, s13
	v_and_b32_e32 v15, 0xff, v10
	s_mov_b32 s0, 0
	s_mov_b32 s13, exec_lo
	s_delay_alu instid0(VALU_DEP_1)
	v_cmpx_lt_i16_e32 0x7f, v15
	s_xor_b32 s13, exec_lo, s13
	s_cbranch_execnz .LBB290_345
; %bb.49:
	s_or_saveexec_b32 s13, s13
	v_mov_b32_e32 v14, 0x7f800001
	s_xor_b32 exec_lo, exec_lo, s13
	s_cbranch_execnz .LBB290_348
.LBB290_50:
	s_or_b32 exec_lo, exec_lo, s13
	s_and_saveexec_b32 s13, s0
	s_cbranch_execz .LBB290_52
.LBB290_51:
	v_bfe_u32 v14, v8, 16, 3
	v_bfe_u32 v17, v8, 19, 4
	v_lshlrev_b32_e32 v18, 24, v10
	s_delay_alu instid0(VALU_DEP_3) | instskip(NEXT) | instid1(VALU_DEP_3)
	v_clz_i32_u32_e32 v15, v14
	v_cmp_eq_u32_e32 vcc_lo, 0, v17
	s_delay_alu instid0(VALU_DEP_2) | instskip(NEXT) | instid1(VALU_DEP_1)
	v_min_u32_e32 v15, 32, v15
	v_subrev_nc_u32_e32 v16, 28, v15
	s_delay_alu instid0(VALU_DEP_1) | instskip(NEXT) | instid1(VALU_DEP_1)
	v_dual_sub_nc_u32 v15, 29, v15 :: v_dual_lshlrev_b32 v16, v16, v10
	v_dual_cndmask_b32 v15, v17, v15, vcc_lo :: v_dual_bitop2_b32 v16, 7, v16 bitop3:0x40
	s_delay_alu instid0(VALU_DEP_1) | instskip(SKIP_1) | instid1(VALU_DEP_3)
	v_cndmask_b32_e32 v14, v14, v16, vcc_lo
	v_and_b32_e32 v16, 0x80000000, v18
	v_lshl_add_u32 v15, v15, 23, 0x3b800000
	s_delay_alu instid0(VALU_DEP_3) | instskip(NEXT) | instid1(VALU_DEP_1)
	v_lshlrev_b32_e32 v14, 20, v14
	v_or3_b32 v14, v16, v15, v14
.LBB290_52:
	s_or_b32 exec_lo, exec_lo, s13
	s_delay_alu instid0(VALU_DEP_1)
	v_cmp_neq_f32_e64 s13, v13, v14
	s_branch .LBB290_63
.LBB290_53:
                                        ; implicit-def: $sgpr13
	s_cbranch_execz .LBB290_63
; %bb.54:
	s_mov_b32 s0, 0
	s_mov_b32 s13, exec_lo
	s_wait_xcnt 0x0
	v_cmpx_lt_i16_e32 0x7f, v12
	s_xor_b32 s13, exec_lo, s13
	s_cbranch_execnz .LBB290_469
; %bb.55:
	s_or_saveexec_b32 s13, s13
	v_mov_b32_e32 v13, 0x7f800001
	s_xor_b32 exec_lo, exec_lo, s13
	s_cbranch_execnz .LBB290_472
.LBB290_56:
	s_or_b32 exec_lo, exec_lo, s13
	s_and_saveexec_b32 s13, s0
	s_cbranch_execz .LBB290_58
.LBB290_57:
	v_bfe_u32 v12, v9, 16, 3
	v_bfe_u32 v15, v9, 19, 4
	s_delay_alu instid0(VALU_DEP_2) | instskip(NEXT) | instid1(VALU_DEP_2)
	v_clz_i32_u32_e32 v13, v12
	v_cmp_eq_u32_e32 vcc_lo, 0, v15
	s_delay_alu instid0(VALU_DEP_2) | instskip(NEXT) | instid1(VALU_DEP_1)
	v_min_u32_e32 v13, 32, v13
	v_subrev_nc_u32_e32 v14, 28, v13
	s_delay_alu instid0(VALU_DEP_1) | instskip(NEXT) | instid1(VALU_DEP_1)
	v_dual_sub_nc_u32 v13, 29, v13 :: v_dual_lshlrev_b32 v14, v14, v11
	v_dual_lshlrev_b32 v11, 24, v11 :: v_dual_bitop2_b32 v14, 7, v14 bitop3:0x40
	s_delay_alu instid0(VALU_DEP_2) | instskip(NEXT) | instid1(VALU_DEP_2)
	v_cndmask_b32_e32 v13, v15, v13, vcc_lo
	v_and_b32_e32 v11, 0x80000000, v11
	s_delay_alu instid0(VALU_DEP_3) | instskip(NEXT) | instid1(VALU_DEP_3)
	v_cndmask_b32_e32 v12, v12, v14, vcc_lo
	v_lshl_add_u32 v13, v13, 23, 0x3b800000
	s_delay_alu instid0(VALU_DEP_2) | instskip(NEXT) | instid1(VALU_DEP_1)
	v_lshlrev_b32_e32 v12, 20, v12
	v_or3_b32 v13, v11, v13, v12
.LBB290_58:
	s_or_b32 exec_lo, exec_lo, s13
	v_and_b32_e32 v12, 0xff, v10
	s_mov_b32 s0, 0
	s_mov_b32 s13, exec_lo
	s_delay_alu instid0(VALU_DEP_1)
	v_cmpx_lt_i16_e32 0x7f, v12
	s_xor_b32 s13, exec_lo, s13
	s_cbranch_execnz .LBB290_473
; %bb.59:
	s_or_saveexec_b32 s13, s13
	v_mov_b32_e32 v11, 0x7f800001
	s_xor_b32 exec_lo, exec_lo, s13
	s_cbranch_execnz .LBB290_476
.LBB290_60:
	s_or_b32 exec_lo, exec_lo, s13
	s_and_saveexec_b32 s13, s0
	s_cbranch_execz .LBB290_62
.LBB290_61:
	v_bfe_u32 v11, v8, 16, 3
	v_bfe_u32 v15, v8, 19, 4
	s_delay_alu instid0(VALU_DEP_2) | instskip(NEXT) | instid1(VALU_DEP_2)
	v_clz_i32_u32_e32 v12, v11
	v_cmp_eq_u32_e32 vcc_lo, 0, v15
	s_delay_alu instid0(VALU_DEP_2) | instskip(NEXT) | instid1(VALU_DEP_1)
	v_min_u32_e32 v12, 32, v12
	v_subrev_nc_u32_e32 v14, 28, v12
	s_delay_alu instid0(VALU_DEP_1) | instskip(NEXT) | instid1(VALU_DEP_1)
	v_dual_sub_nc_u32 v12, 29, v12 :: v_dual_lshlrev_b32 v14, v14, v10
	v_dual_cndmask_b32 v12, v15, v12, vcc_lo :: v_dual_bitop2_b32 v14, 7, v14 bitop3:0x40
	s_delay_alu instid0(VALU_DEP_1) | instskip(NEXT) | instid1(VALU_DEP_2)
	v_lshl_add_u32 v12, v12, 23, 0x3b800000
	v_cndmask_b32_e32 v11, v11, v14, vcc_lo
	s_delay_alu instid0(VALU_DEP_1) | instskip(NEXT) | instid1(VALU_DEP_1)
	v_dual_lshlrev_b32 v10, 24, v10 :: v_dual_lshlrev_b32 v11, 20, v11
	v_and_b32_e32 v10, 0x80000000, v10
	s_delay_alu instid0(VALU_DEP_1)
	v_or3_b32 v11, v10, v12, v11
.LBB290_62:
	s_or_b32 exec_lo, exec_lo, s13
	s_delay_alu instid0(VALU_DEP_1)
	v_cmp_eq_f32_e64 s13, v13, v11
.LBB290_63:
	v_dual_lshrrev_b32 v11, 24, v9 :: v_dual_lshrrev_b32 v10, 24, v8
	v_cmp_ne_u32_e32 vcc_lo, 1, v3
	s_delay_alu instid0(VALU_DEP_2)
	v_cmp_lt_i16_e64 s0, 0x7f, v11
	s_cbranch_vccnz .LBB290_83
; %bb.64:
	s_wait_xcnt 0x0
	s_mov_b32 s14, 0
	s_and_saveexec_b32 s15, s0
	s_delay_alu instid0(SALU_CYCLE_1)
	s_xor_b32 s0, exec_lo, s15
	s_cbranch_execnz .LBB290_349
; %bb.65:
	s_or_saveexec_b32 s0, s0
	v_mov_b32_e32 v12, 0x7f800001
	s_xor_b32 exec_lo, exec_lo, s0
	s_cbranch_execnz .LBB290_352
.LBB290_66:
	s_or_b32 exec_lo, exec_lo, s0
	s_and_saveexec_b32 s0, s14
	s_cbranch_execz .LBB290_68
.LBB290_67:
	v_bfe_u32 v12, v9, 24, 3
	v_bfe_u32 v15, v9, 27, 4
	s_delay_alu instid0(VALU_DEP_2) | instskip(NEXT) | instid1(VALU_DEP_2)
	v_clz_i32_u32_e32 v13, v12
	v_cmp_eq_u32_e32 vcc_lo, 0, v15
	s_delay_alu instid0(VALU_DEP_2) | instskip(NEXT) | instid1(VALU_DEP_1)
	v_min_u32_e32 v13, 32, v13
	v_subrev_nc_u32_e32 v14, 28, v13
	s_delay_alu instid0(VALU_DEP_1) | instskip(NEXT) | instid1(VALU_DEP_1)
	v_dual_sub_nc_u32 v13, 29, v13 :: v_dual_lshlrev_b32 v14, v14, v11
	v_dual_cndmask_b32 v13, v15, v13, vcc_lo :: v_dual_bitop2_b32 v14, 7, v14 bitop3:0x40
	s_delay_alu instid0(VALU_DEP_1) | instskip(NEXT) | instid1(VALU_DEP_2)
	v_lshl_add_u32 v13, v13, 23, 0x3b800000
	v_cndmask_b32_e32 v12, v12, v14, vcc_lo
	v_and_b32_e32 v14, 0x80000000, v9
	s_delay_alu instid0(VALU_DEP_2) | instskip(NEXT) | instid1(VALU_DEP_1)
	v_lshlrev_b32_e32 v12, 20, v12
	v_or3_b32 v12, v14, v13, v12
.LBB290_68:
	s_or_b32 exec_lo, exec_lo, s0
	s_mov_b32 s0, 0
	s_mov_b32 s14, exec_lo
	v_cmpx_lt_i16_e32 0x7f, v10
	s_xor_b32 s14, exec_lo, s14
	s_cbranch_execnz .LBB290_353
; %bb.69:
	s_or_saveexec_b32 s14, s14
	v_mov_b32_e32 v13, 0x7f800001
	s_xor_b32 exec_lo, exec_lo, s14
	s_cbranch_execnz .LBB290_356
.LBB290_70:
	s_or_b32 exec_lo, exec_lo, s14
	s_and_saveexec_b32 s14, s0
	s_cbranch_execz .LBB290_72
.LBB290_71:
	v_bfe_u32 v13, v8, 24, 3
	v_bfe_u32 v16, v8, 27, 4
	s_delay_alu instid0(VALU_DEP_2) | instskip(NEXT) | instid1(VALU_DEP_2)
	v_clz_i32_u32_e32 v14, v13
	v_cmp_eq_u32_e32 vcc_lo, 0, v16
	s_delay_alu instid0(VALU_DEP_2) | instskip(NEXT) | instid1(VALU_DEP_1)
	v_min_u32_e32 v14, 32, v14
	v_subrev_nc_u32_e32 v15, 28, v14
	s_delay_alu instid0(VALU_DEP_1) | instskip(NEXT) | instid1(VALU_DEP_1)
	v_lshlrev_b32_e32 v15, v15, v10
	v_dual_sub_nc_u32 v14, 29, v14 :: v_dual_bitop2_b32 v15, 7, v15 bitop3:0x40
	s_delay_alu instid0(VALU_DEP_1) | instskip(SKIP_1) | instid1(VALU_DEP_2)
	v_dual_cndmask_b32 v14, v16, v14 :: v_dual_cndmask_b32 v13, v13, v15
	v_and_b32_e32 v15, 0x80000000, v8
	v_lshl_add_u32 v14, v14, 23, 0x3b800000
	s_delay_alu instid0(VALU_DEP_3) | instskip(NEXT) | instid1(VALU_DEP_1)
	v_lshlrev_b32_e32 v13, 20, v13
	v_or3_b32 v13, v15, v14, v13
.LBB290_72:
	s_or_b32 exec_lo, exec_lo, s14
	s_delay_alu instid0(VALU_DEP_1)
	v_cmp_neq_f32_e64 s14, v12, v13
.LBB290_73:
	v_cmp_ne_u32_e32 vcc_lo, 1, v3
	v_and_b32_e32 v8, 0xff, v7
	s_cbranch_vccnz .LBB290_93
.LBB290_74:
	s_mov_b32 s0, 0
	s_wait_xcnt 0x0
	s_mov_b32 s15, exec_lo
	v_cmpx_lt_i16_e32 0x7f, v8
	s_xor_b32 s15, exec_lo, s15
	s_cbranch_execnz .LBB290_357
; %bb.75:
	s_or_saveexec_b32 s15, s15
	v_mov_b32_e32 v9, 0x7f800001
	s_xor_b32 exec_lo, exec_lo, s15
	s_cbranch_execnz .LBB290_360
.LBB290_76:
	s_or_b32 exec_lo, exec_lo, s15
	s_and_saveexec_b32 s15, s0
	s_cbranch_execz .LBB290_78
.LBB290_77:
	v_and_b32_e32 v9, 7, v7
	v_bfe_u32 v12, v7, 3, 4
	s_delay_alu instid0(VALU_DEP_2) | instskip(NEXT) | instid1(VALU_DEP_2)
	v_clz_i32_u32_e32 v10, v9
	v_cmp_eq_u32_e32 vcc_lo, 0, v12
	s_delay_alu instid0(VALU_DEP_2) | instskip(NEXT) | instid1(VALU_DEP_1)
	v_min_u32_e32 v10, 32, v10
	v_subrev_nc_u32_e32 v11, 28, v10
	s_delay_alu instid0(VALU_DEP_1) | instskip(NEXT) | instid1(VALU_DEP_1)
	v_dual_lshlrev_b32 v11, v11, v7 :: v_dual_sub_nc_u32 v10, 29, v10
	v_and_b32_e32 v11, 7, v11
	s_delay_alu instid0(VALU_DEP_2) | instskip(NEXT) | instid1(VALU_DEP_2)
	v_dual_cndmask_b32 v10, v12, v10 :: v_dual_lshlrev_b32 v13, 24, v7
	v_cndmask_b32_e32 v9, v9, v11, vcc_lo
	s_delay_alu instid0(VALU_DEP_2) | instskip(NEXT) | instid1(VALU_DEP_3)
	v_and_b32_e32 v11, 0x80000000, v13
	v_lshl_add_u32 v10, v10, 23, 0x3b800000
	s_delay_alu instid0(VALU_DEP_3) | instskip(NEXT) | instid1(VALU_DEP_1)
	v_lshlrev_b32_e32 v9, 20, v9
	v_or3_b32 v9, v11, v10, v9
.LBB290_78:
	s_or_b32 exec_lo, exec_lo, s15
	s_wait_loadcnt 0x2
	v_and_b32_e32 v11, 0xff, v6
	s_mov_b32 s0, 0
	s_mov_b32 s15, exec_lo
	s_delay_alu instid0(VALU_DEP_1)
	v_cmpx_lt_i16_e32 0x7f, v11
	s_xor_b32 s15, exec_lo, s15
	s_cbranch_execnz .LBB290_361
; %bb.79:
	s_or_saveexec_b32 s15, s15
	v_mov_b32_e32 v10, 0x7f800001
	s_xor_b32 exec_lo, exec_lo, s15
	s_cbranch_execnz .LBB290_364
.LBB290_80:
	s_or_b32 exec_lo, exec_lo, s15
	s_and_saveexec_b32 s15, s0
	s_cbranch_execz .LBB290_82
.LBB290_81:
	v_and_b32_e32 v10, 7, v6
	v_bfe_u32 v13, v6, 3, 4
	s_delay_alu instid0(VALU_DEP_2) | instskip(NEXT) | instid1(VALU_DEP_2)
	v_clz_i32_u32_e32 v11, v10
	v_cmp_eq_u32_e32 vcc_lo, 0, v13
	s_delay_alu instid0(VALU_DEP_2) | instskip(NEXT) | instid1(VALU_DEP_1)
	v_min_u32_e32 v11, 32, v11
	v_subrev_nc_u32_e32 v12, 28, v11
	s_delay_alu instid0(VALU_DEP_1) | instskip(NEXT) | instid1(VALU_DEP_1)
	v_dual_lshlrev_b32 v12, v12, v6 :: v_dual_sub_nc_u32 v11, 29, v11
	v_dual_lshlrev_b32 v14, 24, v6 :: v_dual_bitop2_b32 v12, 7, v12 bitop3:0x40
	s_delay_alu instid0(VALU_DEP_1) | instskip(NEXT) | instid1(VALU_DEP_2)
	v_dual_cndmask_b32 v11, v13, v11 :: v_dual_cndmask_b32 v10, v10, v12
	v_and_b32_e32 v12, 0x80000000, v14
	s_delay_alu instid0(VALU_DEP_2) | instskip(NEXT) | instid1(VALU_DEP_3)
	v_lshl_add_u32 v11, v11, 23, 0x3b800000
	v_lshlrev_b32_e32 v10, 20, v10
	s_delay_alu instid0(VALU_DEP_1)
	v_or3_b32 v10, v12, v11, v10
.LBB290_82:
	s_or_b32 exec_lo, exec_lo, s15
	s_delay_alu instid0(VALU_DEP_1)
	v_cmp_neq_f32_e64 s15, v9, v10
	s_branch .LBB290_103
.LBB290_83:
                                        ; implicit-def: $sgpr14
	s_cbranch_execz .LBB290_73
; %bb.84:
	s_mov_b32 s0, 0
	s_wait_xcnt 0x0
	s_mov_b32 s14, exec_lo
	v_cmpx_lt_i16_e32 0x7f, v11
	s_xor_b32 s14, exec_lo, s14
	s_cbranch_execnz .LBB290_477
; %bb.85:
	s_or_saveexec_b32 s14, s14
	v_mov_b32_e32 v12, 0x7f800001
	s_xor_b32 exec_lo, exec_lo, s14
	s_cbranch_execnz .LBB290_480
.LBB290_86:
	s_or_b32 exec_lo, exec_lo, s14
	s_and_saveexec_b32 s14, s0
	s_cbranch_execz .LBB290_88
.LBB290_87:
	v_bfe_u32 v12, v9, 24, 3
	s_delay_alu instid0(VALU_DEP_1) | instskip(NEXT) | instid1(VALU_DEP_1)
	v_clz_i32_u32_e32 v13, v12
	v_min_u32_e32 v13, 32, v13
	s_delay_alu instid0(VALU_DEP_1) | instskip(NEXT) | instid1(VALU_DEP_1)
	v_subrev_nc_u32_e32 v14, 28, v13
	v_dual_sub_nc_u32 v13, 29, v13 :: v_dual_lshlrev_b32 v11, v14, v11
	v_bfe_u32 v14, v9, 27, 4
	v_and_b32_e32 v9, 0x80000000, v9
	s_delay_alu instid0(VALU_DEP_2) | instskip(NEXT) | instid1(VALU_DEP_4)
	v_cmp_eq_u32_e32 vcc_lo, 0, v14
	v_dual_cndmask_b32 v13, v14, v13, vcc_lo :: v_dual_bitop2_b32 v11, 7, v11 bitop3:0x40
	s_delay_alu instid0(VALU_DEP_1) | instskip(NEXT) | instid1(VALU_DEP_2)
	v_cndmask_b32_e32 v11, v12, v11, vcc_lo
	v_lshl_add_u32 v12, v13, 23, 0x3b800000
	s_delay_alu instid0(VALU_DEP_2) | instskip(NEXT) | instid1(VALU_DEP_1)
	v_lshlrev_b32_e32 v11, 20, v11
	v_or3_b32 v12, v9, v12, v11
.LBB290_88:
	s_or_b32 exec_lo, exec_lo, s14
	s_mov_b32 s0, 0
	s_mov_b32 s14, exec_lo
	v_cmpx_lt_i16_e32 0x7f, v10
	s_xor_b32 s14, exec_lo, s14
	s_cbranch_execnz .LBB290_481
; %bb.89:
	s_or_saveexec_b32 s14, s14
	v_mov_b32_e32 v9, 0x7f800001
	s_xor_b32 exec_lo, exec_lo, s14
	s_cbranch_execnz .LBB290_484
.LBB290_90:
	s_or_b32 exec_lo, exec_lo, s14
	s_and_saveexec_b32 s14, s0
	s_cbranch_execz .LBB290_92
.LBB290_91:
	v_bfe_u32 v9, v8, 24, 3
	s_delay_alu instid0(VALU_DEP_1) | instskip(NEXT) | instid1(VALU_DEP_1)
	v_clz_i32_u32_e32 v11, v9
	v_min_u32_e32 v11, 32, v11
	s_delay_alu instid0(VALU_DEP_1) | instskip(NEXT) | instid1(VALU_DEP_1)
	v_subrev_nc_u32_e32 v13, 28, v11
	v_dual_sub_nc_u32 v11, 29, v11 :: v_dual_lshlrev_b32 v10, v13, v10
	v_bfe_u32 v13, v8, 27, 4
	v_and_b32_e32 v8, 0x80000000, v8
	s_delay_alu instid0(VALU_DEP_2) | instskip(NEXT) | instid1(VALU_DEP_4)
	v_cmp_eq_u32_e32 vcc_lo, 0, v13
	v_dual_cndmask_b32 v11, v13, v11, vcc_lo :: v_dual_bitop2_b32 v10, 7, v10 bitop3:0x40
	s_delay_alu instid0(VALU_DEP_1) | instskip(NEXT) | instid1(VALU_DEP_2)
	v_cndmask_b32_e32 v9, v9, v10, vcc_lo
	v_lshl_add_u32 v10, v11, 23, 0x3b800000
	s_delay_alu instid0(VALU_DEP_2) | instskip(NEXT) | instid1(VALU_DEP_1)
	v_lshlrev_b32_e32 v9, 20, v9
	v_or3_b32 v9, v8, v10, v9
.LBB290_92:
	s_or_b32 exec_lo, exec_lo, s14
	s_delay_alu instid0(VALU_DEP_1)
	v_cmp_eq_f32_e64 s14, v12, v9
	v_cmp_ne_u32_e32 vcc_lo, 1, v3
	v_and_b32_e32 v8, 0xff, v7
	s_cbranch_vccz .LBB290_74
.LBB290_93:
                                        ; implicit-def: $sgpr15
	s_cbranch_execz .LBB290_103
; %bb.94:
	s_mov_b32 s0, 0
	s_wait_xcnt 0x0
	s_mov_b32 s15, exec_lo
	v_cmpx_lt_i16_e32 0x7f, v8
	s_xor_b32 s15, exec_lo, s15
	s_cbranch_execnz .LBB290_485
; %bb.95:
	s_or_saveexec_b32 s15, s15
	v_mov_b32_e32 v9, 0x7f800001
	s_xor_b32 exec_lo, exec_lo, s15
	s_cbranch_execnz .LBB290_488
.LBB290_96:
	s_or_b32 exec_lo, exec_lo, s15
	s_and_saveexec_b32 s15, s0
	s_cbranch_execz .LBB290_98
.LBB290_97:
	v_and_b32_e32 v8, 7, v7
	v_bfe_u32 v11, v7, 3, 4
	s_delay_alu instid0(VALU_DEP_2) | instskip(NEXT) | instid1(VALU_DEP_2)
	v_clz_i32_u32_e32 v9, v8
	v_cmp_eq_u32_e32 vcc_lo, 0, v11
	s_delay_alu instid0(VALU_DEP_2) | instskip(NEXT) | instid1(VALU_DEP_1)
	v_min_u32_e32 v9, 32, v9
	v_subrev_nc_u32_e32 v10, 28, v9
	s_delay_alu instid0(VALU_DEP_1) | instskip(NEXT) | instid1(VALU_DEP_1)
	v_dual_lshlrev_b32 v10, v10, v7 :: v_dual_sub_nc_u32 v9, 29, v9
	v_dual_lshlrev_b32 v12, 24, v7 :: v_dual_bitop2_b32 v10, 7, v10 bitop3:0x40
	s_delay_alu instid0(VALU_DEP_1) | instskip(NEXT) | instid1(VALU_DEP_2)
	v_dual_cndmask_b32 v9, v11, v9 :: v_dual_cndmask_b32 v8, v8, v10
	v_and_b32_e32 v10, 0x80000000, v12
	s_delay_alu instid0(VALU_DEP_2) | instskip(NEXT) | instid1(VALU_DEP_3)
	v_lshl_add_u32 v9, v9, 23, 0x3b800000
	v_lshlrev_b32_e32 v8, 20, v8
	s_delay_alu instid0(VALU_DEP_1)
	v_or3_b32 v9, v10, v9, v8
.LBB290_98:
	s_or_b32 exec_lo, exec_lo, s15
	s_wait_loadcnt 0x2
	v_and_b32_e32 v10, 0xff, v6
	s_mov_b32 s0, 0
	s_mov_b32 s15, exec_lo
	s_delay_alu instid0(VALU_DEP_1)
	v_cmpx_lt_i16_e32 0x7f, v10
	s_xor_b32 s15, exec_lo, s15
	s_cbranch_execnz .LBB290_489
; %bb.99:
	s_or_saveexec_b32 s15, s15
	v_mov_b32_e32 v8, 0x7f800001
	s_xor_b32 exec_lo, exec_lo, s15
	s_cbranch_execnz .LBB290_492
.LBB290_100:
	s_or_b32 exec_lo, exec_lo, s15
	s_and_saveexec_b32 s15, s0
	s_cbranch_execz .LBB290_102
.LBB290_101:
	v_and_b32_e32 v8, 7, v6
	v_bfe_u32 v12, v6, 3, 4
	s_delay_alu instid0(VALU_DEP_2) | instskip(NEXT) | instid1(VALU_DEP_2)
	v_clz_i32_u32_e32 v10, v8
	v_cmp_eq_u32_e32 vcc_lo, 0, v12
	s_delay_alu instid0(VALU_DEP_2) | instskip(NEXT) | instid1(VALU_DEP_1)
	v_min_u32_e32 v10, 32, v10
	v_subrev_nc_u32_e32 v11, 28, v10
	s_delay_alu instid0(VALU_DEP_1) | instskip(NEXT) | instid1(VALU_DEP_1)
	v_lshlrev_b32_e32 v11, v11, v6
	v_dual_sub_nc_u32 v10, 29, v10 :: v_dual_bitop2_b32 v11, 7, v11 bitop3:0x40
	s_delay_alu instid0(VALU_DEP_1) | instskip(NEXT) | instid1(VALU_DEP_2)
	v_dual_cndmask_b32 v8, v8, v11 :: v_dual_lshlrev_b32 v13, 24, v6
	v_cndmask_b32_e32 v10, v12, v10, vcc_lo
	s_delay_alu instid0(VALU_DEP_2) | instskip(NEXT) | instid1(VALU_DEP_3)
	v_and_b32_e32 v11, 0x80000000, v13
	v_lshlrev_b32_e32 v8, 20, v8
	s_delay_alu instid0(VALU_DEP_3) | instskip(NEXT) | instid1(VALU_DEP_1)
	v_lshl_add_u32 v10, v10, 23, 0x3b800000
	v_or3_b32 v8, v11, v10, v8
.LBB290_102:
	s_or_b32 exec_lo, exec_lo, s15
	s_delay_alu instid0(VALU_DEP_1)
	v_cmp_eq_f32_e64 s15, v9, v8
.LBB290_103:
	s_wait_loadcnt 0x2
	v_dual_lshrrev_b32 v9, 8, v7 :: v_dual_lshrrev_b32 v8, 8, v6
	v_cmp_ne_u32_e32 vcc_lo, 1, v3
	s_delay_alu instid0(VALU_DEP_2)
	v_and_b32_e32 v10, 0xff, v9
	s_cbranch_vccnz .LBB290_113
; %bb.104:
	s_mov_b32 s0, 0
	s_mov_b32 s16, exec_lo
	s_wait_xcnt 0x0
	v_cmpx_lt_i16_e32 0x7f, v10
	s_xor_b32 s16, exec_lo, s16
	s_cbranch_execnz .LBB290_365
; %bb.105:
	s_or_saveexec_b32 s16, s16
	v_mov_b32_e32 v11, 0x7f800001
	s_xor_b32 exec_lo, exec_lo, s16
	s_cbranch_execnz .LBB290_368
.LBB290_106:
	s_or_b32 exec_lo, exec_lo, s16
	s_and_saveexec_b32 s16, s0
	s_cbranch_execz .LBB290_108
.LBB290_107:
	v_bfe_u32 v11, v7, 8, 3
	v_bfe_u32 v14, v7, 11, 4
	s_delay_alu instid0(VALU_DEP_2) | instskip(NEXT) | instid1(VALU_DEP_2)
	v_clz_i32_u32_e32 v12, v11
	v_cmp_eq_u32_e32 vcc_lo, 0, v14
	s_delay_alu instid0(VALU_DEP_2) | instskip(NEXT) | instid1(VALU_DEP_1)
	v_min_u32_e32 v12, 32, v12
	v_subrev_nc_u32_e32 v13, 28, v12
	s_delay_alu instid0(VALU_DEP_1) | instskip(NEXT) | instid1(VALU_DEP_1)
	v_dual_sub_nc_u32 v12, 29, v12 :: v_dual_lshlrev_b32 v13, v13, v9
	v_dual_cndmask_b32 v12, v14, v12, vcc_lo :: v_dual_bitop2_b32 v13, 7, v13 bitop3:0x40
	s_delay_alu instid0(VALU_DEP_1) | instskip(NEXT) | instid1(VALU_DEP_2)
	v_lshl_add_u32 v12, v12, 23, 0x3b800000
	v_cndmask_b32_e32 v11, v11, v13, vcc_lo
	s_delay_alu instid0(VALU_DEP_1) | instskip(NEXT) | instid1(VALU_DEP_1)
	v_dual_lshlrev_b32 v15, 24, v9 :: v_dual_lshlrev_b32 v11, 20, v11
	v_and_b32_e32 v13, 0x80000000, v15
	s_delay_alu instid0(VALU_DEP_1)
	v_or3_b32 v11, v13, v12, v11
.LBB290_108:
	s_or_b32 exec_lo, exec_lo, s16
	v_and_b32_e32 v13, 0xff, v8
	s_mov_b32 s0, 0
	s_mov_b32 s16, exec_lo
	s_delay_alu instid0(VALU_DEP_1)
	v_cmpx_lt_i16_e32 0x7f, v13
	s_xor_b32 s16, exec_lo, s16
	s_cbranch_execnz .LBB290_369
; %bb.109:
	s_or_saveexec_b32 s16, s16
	v_mov_b32_e32 v12, 0x7f800001
	s_xor_b32 exec_lo, exec_lo, s16
	s_cbranch_execnz .LBB290_372
.LBB290_110:
	s_or_b32 exec_lo, exec_lo, s16
	s_and_saveexec_b32 s16, s0
	s_cbranch_execz .LBB290_112
.LBB290_111:
	v_bfe_u32 v12, v6, 8, 3
	v_bfe_u32 v15, v6, 11, 4
	v_lshlrev_b32_e32 v16, 24, v8
	s_delay_alu instid0(VALU_DEP_3) | instskip(NEXT) | instid1(VALU_DEP_3)
	v_clz_i32_u32_e32 v13, v12
	v_cmp_eq_u32_e32 vcc_lo, 0, v15
	s_delay_alu instid0(VALU_DEP_2) | instskip(NEXT) | instid1(VALU_DEP_1)
	v_min_u32_e32 v13, 32, v13
	v_subrev_nc_u32_e32 v14, 28, v13
	s_delay_alu instid0(VALU_DEP_1) | instskip(NEXT) | instid1(VALU_DEP_1)
	v_dual_sub_nc_u32 v13, 29, v13 :: v_dual_lshlrev_b32 v14, v14, v8
	v_dual_cndmask_b32 v13, v15, v13, vcc_lo :: v_dual_bitop2_b32 v14, 7, v14 bitop3:0x40
	s_delay_alu instid0(VALU_DEP_1) | instskip(SKIP_1) | instid1(VALU_DEP_3)
	v_cndmask_b32_e32 v12, v12, v14, vcc_lo
	v_and_b32_e32 v14, 0x80000000, v16
	v_lshl_add_u32 v13, v13, 23, 0x3b800000
	s_delay_alu instid0(VALU_DEP_3) | instskip(NEXT) | instid1(VALU_DEP_1)
	v_lshlrev_b32_e32 v12, 20, v12
	v_or3_b32 v12, v14, v13, v12
.LBB290_112:
	s_or_b32 exec_lo, exec_lo, s16
	s_delay_alu instid0(VALU_DEP_1)
	v_cmp_neq_f32_e64 s16, v11, v12
	s_branch .LBB290_123
.LBB290_113:
                                        ; implicit-def: $sgpr16
	s_cbranch_execz .LBB290_123
; %bb.114:
	s_mov_b32 s0, 0
	s_mov_b32 s16, exec_lo
	s_wait_xcnt 0x0
	v_cmpx_lt_i16_e32 0x7f, v10
	s_xor_b32 s16, exec_lo, s16
	s_cbranch_execnz .LBB290_493
; %bb.115:
	s_or_saveexec_b32 s16, s16
	v_mov_b32_e32 v11, 0x7f800001
	s_xor_b32 exec_lo, exec_lo, s16
	s_cbranch_execnz .LBB290_496
.LBB290_116:
	s_or_b32 exec_lo, exec_lo, s16
	s_and_saveexec_b32 s16, s0
	s_cbranch_execz .LBB290_118
.LBB290_117:
	v_bfe_u32 v10, v7, 8, 3
	v_bfe_u32 v13, v7, 11, 4
	s_delay_alu instid0(VALU_DEP_2) | instskip(NEXT) | instid1(VALU_DEP_2)
	v_clz_i32_u32_e32 v11, v10
	v_cmp_eq_u32_e32 vcc_lo, 0, v13
	s_delay_alu instid0(VALU_DEP_2) | instskip(NEXT) | instid1(VALU_DEP_1)
	v_min_u32_e32 v11, 32, v11
	v_subrev_nc_u32_e32 v12, 28, v11
	s_delay_alu instid0(VALU_DEP_1) | instskip(NEXT) | instid1(VALU_DEP_1)
	v_dual_sub_nc_u32 v11, 29, v11 :: v_dual_lshlrev_b32 v12, v12, v9
	v_dual_lshlrev_b32 v9, 24, v9 :: v_dual_bitop2_b32 v12, 7, v12 bitop3:0x40
	s_delay_alu instid0(VALU_DEP_2) | instskip(NEXT) | instid1(VALU_DEP_2)
	v_cndmask_b32_e32 v11, v13, v11, vcc_lo
	v_and_b32_e32 v9, 0x80000000, v9
	s_delay_alu instid0(VALU_DEP_3) | instskip(NEXT) | instid1(VALU_DEP_3)
	v_cndmask_b32_e32 v10, v10, v12, vcc_lo
	v_lshl_add_u32 v11, v11, 23, 0x3b800000
	s_delay_alu instid0(VALU_DEP_2) | instskip(NEXT) | instid1(VALU_DEP_1)
	v_lshlrev_b32_e32 v10, 20, v10
	v_or3_b32 v11, v9, v11, v10
.LBB290_118:
	s_or_b32 exec_lo, exec_lo, s16
	v_and_b32_e32 v10, 0xff, v8
	s_mov_b32 s0, 0
	s_mov_b32 s16, exec_lo
	s_delay_alu instid0(VALU_DEP_1)
	v_cmpx_lt_i16_e32 0x7f, v10
	s_xor_b32 s16, exec_lo, s16
	s_cbranch_execnz .LBB290_497
; %bb.119:
	s_or_saveexec_b32 s16, s16
	v_mov_b32_e32 v9, 0x7f800001
	s_xor_b32 exec_lo, exec_lo, s16
	s_cbranch_execnz .LBB290_500
.LBB290_120:
	s_or_b32 exec_lo, exec_lo, s16
	s_and_saveexec_b32 s16, s0
	s_cbranch_execz .LBB290_122
.LBB290_121:
	v_bfe_u32 v9, v6, 8, 3
	v_bfe_u32 v13, v6, 11, 4
	s_delay_alu instid0(VALU_DEP_2) | instskip(NEXT) | instid1(VALU_DEP_2)
	v_clz_i32_u32_e32 v10, v9
	v_cmp_eq_u32_e32 vcc_lo, 0, v13
	s_delay_alu instid0(VALU_DEP_2) | instskip(NEXT) | instid1(VALU_DEP_1)
	v_min_u32_e32 v10, 32, v10
	v_subrev_nc_u32_e32 v12, 28, v10
	s_delay_alu instid0(VALU_DEP_1) | instskip(NEXT) | instid1(VALU_DEP_1)
	v_dual_sub_nc_u32 v10, 29, v10 :: v_dual_lshlrev_b32 v12, v12, v8
	v_dual_cndmask_b32 v10, v13, v10, vcc_lo :: v_dual_bitop2_b32 v12, 7, v12 bitop3:0x40
	s_delay_alu instid0(VALU_DEP_1) | instskip(NEXT) | instid1(VALU_DEP_2)
	v_lshl_add_u32 v10, v10, 23, 0x3b800000
	v_cndmask_b32_e32 v9, v9, v12, vcc_lo
	s_delay_alu instid0(VALU_DEP_1) | instskip(NEXT) | instid1(VALU_DEP_1)
	v_dual_lshlrev_b32 v8, 24, v8 :: v_dual_lshlrev_b32 v9, 20, v9
	v_and_b32_e32 v8, 0x80000000, v8
	s_delay_alu instid0(VALU_DEP_1)
	v_or3_b32 v9, v8, v10, v9
.LBB290_122:
	s_or_b32 exec_lo, exec_lo, s16
	s_delay_alu instid0(VALU_DEP_1)
	v_cmp_eq_f32_e64 s16, v11, v9
.LBB290_123:
	v_dual_lshrrev_b32 v9, 16, v7 :: v_dual_lshrrev_b32 v8, 16, v6
	v_cmp_ne_u32_e32 vcc_lo, 1, v3
	s_delay_alu instid0(VALU_DEP_2)
	v_and_b32_e32 v10, 0xff, v9
	s_cbranch_vccnz .LBB290_133
; %bb.124:
	s_mov_b32 s0, 0
	s_mov_b32 s17, exec_lo
	s_wait_xcnt 0x0
	v_cmpx_lt_i16_e32 0x7f, v10
	s_xor_b32 s17, exec_lo, s17
	s_cbranch_execnz .LBB290_373
; %bb.125:
	s_or_saveexec_b32 s17, s17
	v_mov_b32_e32 v11, 0x7f800001
	s_xor_b32 exec_lo, exec_lo, s17
	s_cbranch_execnz .LBB290_376
.LBB290_126:
	s_or_b32 exec_lo, exec_lo, s17
	s_and_saveexec_b32 s17, s0
	s_cbranch_execz .LBB290_128
.LBB290_127:
	v_bfe_u32 v11, v7, 16, 3
	v_bfe_u32 v14, v7, 19, 4
	s_delay_alu instid0(VALU_DEP_2) | instskip(NEXT) | instid1(VALU_DEP_2)
	v_clz_i32_u32_e32 v12, v11
	v_cmp_eq_u32_e32 vcc_lo, 0, v14
	s_delay_alu instid0(VALU_DEP_2) | instskip(NEXT) | instid1(VALU_DEP_1)
	v_min_u32_e32 v12, 32, v12
	v_subrev_nc_u32_e32 v13, 28, v12
	s_delay_alu instid0(VALU_DEP_1) | instskip(NEXT) | instid1(VALU_DEP_1)
	v_dual_sub_nc_u32 v12, 29, v12 :: v_dual_lshlrev_b32 v13, v13, v9
	v_dual_cndmask_b32 v12, v14, v12, vcc_lo :: v_dual_bitop2_b32 v13, 7, v13 bitop3:0x40
	s_delay_alu instid0(VALU_DEP_1) | instskip(NEXT) | instid1(VALU_DEP_2)
	v_lshl_add_u32 v12, v12, 23, 0x3b800000
	v_cndmask_b32_e32 v11, v11, v13, vcc_lo
	s_delay_alu instid0(VALU_DEP_1) | instskip(NEXT) | instid1(VALU_DEP_1)
	v_dual_lshlrev_b32 v15, 24, v9 :: v_dual_lshlrev_b32 v11, 20, v11
	v_and_b32_e32 v13, 0x80000000, v15
	s_delay_alu instid0(VALU_DEP_1)
	v_or3_b32 v11, v13, v12, v11
.LBB290_128:
	s_or_b32 exec_lo, exec_lo, s17
	v_and_b32_e32 v13, 0xff, v8
	s_mov_b32 s0, 0
	s_mov_b32 s17, exec_lo
	s_delay_alu instid0(VALU_DEP_1)
	v_cmpx_lt_i16_e32 0x7f, v13
	s_xor_b32 s17, exec_lo, s17
	s_cbranch_execnz .LBB290_377
; %bb.129:
	s_or_saveexec_b32 s17, s17
	v_mov_b32_e32 v12, 0x7f800001
	s_xor_b32 exec_lo, exec_lo, s17
	s_cbranch_execnz .LBB290_380
.LBB290_130:
	s_or_b32 exec_lo, exec_lo, s17
	s_and_saveexec_b32 s17, s0
	s_cbranch_execz .LBB290_132
.LBB290_131:
	v_bfe_u32 v12, v6, 16, 3
	v_bfe_u32 v15, v6, 19, 4
	v_lshlrev_b32_e32 v16, 24, v8
	s_delay_alu instid0(VALU_DEP_3) | instskip(NEXT) | instid1(VALU_DEP_3)
	v_clz_i32_u32_e32 v13, v12
	v_cmp_eq_u32_e32 vcc_lo, 0, v15
	s_delay_alu instid0(VALU_DEP_2) | instskip(NEXT) | instid1(VALU_DEP_1)
	v_min_u32_e32 v13, 32, v13
	v_subrev_nc_u32_e32 v14, 28, v13
	s_delay_alu instid0(VALU_DEP_1) | instskip(NEXT) | instid1(VALU_DEP_1)
	v_dual_sub_nc_u32 v13, 29, v13 :: v_dual_lshlrev_b32 v14, v14, v8
	v_dual_cndmask_b32 v13, v15, v13, vcc_lo :: v_dual_bitop2_b32 v14, 7, v14 bitop3:0x40
	s_delay_alu instid0(VALU_DEP_1) | instskip(SKIP_1) | instid1(VALU_DEP_3)
	v_cndmask_b32_e32 v12, v12, v14, vcc_lo
	v_and_b32_e32 v14, 0x80000000, v16
	v_lshl_add_u32 v13, v13, 23, 0x3b800000
	s_delay_alu instid0(VALU_DEP_3) | instskip(NEXT) | instid1(VALU_DEP_1)
	v_lshlrev_b32_e32 v12, 20, v12
	v_or3_b32 v12, v14, v13, v12
.LBB290_132:
	s_or_b32 exec_lo, exec_lo, s17
	s_delay_alu instid0(VALU_DEP_1)
	v_cmp_neq_f32_e64 s17, v11, v12
	s_branch .LBB290_143
.LBB290_133:
                                        ; implicit-def: $sgpr17
	s_cbranch_execz .LBB290_143
; %bb.134:
	s_mov_b32 s0, 0
	s_mov_b32 s17, exec_lo
	s_wait_xcnt 0x0
	v_cmpx_lt_i16_e32 0x7f, v10
	s_xor_b32 s17, exec_lo, s17
	s_cbranch_execnz .LBB290_501
; %bb.135:
	s_or_saveexec_b32 s17, s17
	v_mov_b32_e32 v11, 0x7f800001
	s_xor_b32 exec_lo, exec_lo, s17
	s_cbranch_execnz .LBB290_504
.LBB290_136:
	s_or_b32 exec_lo, exec_lo, s17
	s_and_saveexec_b32 s17, s0
	s_cbranch_execz .LBB290_138
.LBB290_137:
	v_bfe_u32 v10, v7, 16, 3
	v_bfe_u32 v13, v7, 19, 4
	s_delay_alu instid0(VALU_DEP_2) | instskip(NEXT) | instid1(VALU_DEP_2)
	v_clz_i32_u32_e32 v11, v10
	v_cmp_eq_u32_e32 vcc_lo, 0, v13
	s_delay_alu instid0(VALU_DEP_2) | instskip(NEXT) | instid1(VALU_DEP_1)
	v_min_u32_e32 v11, 32, v11
	v_subrev_nc_u32_e32 v12, 28, v11
	s_delay_alu instid0(VALU_DEP_1) | instskip(NEXT) | instid1(VALU_DEP_1)
	v_dual_sub_nc_u32 v11, 29, v11 :: v_dual_lshlrev_b32 v12, v12, v9
	v_dual_lshlrev_b32 v9, 24, v9 :: v_dual_bitop2_b32 v12, 7, v12 bitop3:0x40
	s_delay_alu instid0(VALU_DEP_2) | instskip(NEXT) | instid1(VALU_DEP_2)
	v_cndmask_b32_e32 v11, v13, v11, vcc_lo
	v_and_b32_e32 v9, 0x80000000, v9
	s_delay_alu instid0(VALU_DEP_3) | instskip(NEXT) | instid1(VALU_DEP_3)
	v_cndmask_b32_e32 v10, v10, v12, vcc_lo
	v_lshl_add_u32 v11, v11, 23, 0x3b800000
	s_delay_alu instid0(VALU_DEP_2) | instskip(NEXT) | instid1(VALU_DEP_1)
	v_lshlrev_b32_e32 v10, 20, v10
	v_or3_b32 v11, v9, v11, v10
.LBB290_138:
	s_or_b32 exec_lo, exec_lo, s17
	v_and_b32_e32 v10, 0xff, v8
	s_mov_b32 s0, 0
	s_mov_b32 s17, exec_lo
	s_delay_alu instid0(VALU_DEP_1)
	v_cmpx_lt_i16_e32 0x7f, v10
	s_xor_b32 s17, exec_lo, s17
	s_cbranch_execnz .LBB290_505
; %bb.139:
	s_or_saveexec_b32 s17, s17
	v_mov_b32_e32 v9, 0x7f800001
	s_xor_b32 exec_lo, exec_lo, s17
	s_cbranch_execnz .LBB290_508
.LBB290_140:
	s_or_b32 exec_lo, exec_lo, s17
	s_and_saveexec_b32 s17, s0
	s_cbranch_execz .LBB290_142
.LBB290_141:
	v_bfe_u32 v9, v6, 16, 3
	v_bfe_u32 v13, v6, 19, 4
	s_delay_alu instid0(VALU_DEP_2) | instskip(NEXT) | instid1(VALU_DEP_2)
	v_clz_i32_u32_e32 v10, v9
	v_cmp_eq_u32_e32 vcc_lo, 0, v13
	s_delay_alu instid0(VALU_DEP_2) | instskip(NEXT) | instid1(VALU_DEP_1)
	v_min_u32_e32 v10, 32, v10
	v_subrev_nc_u32_e32 v12, 28, v10
	s_delay_alu instid0(VALU_DEP_1) | instskip(NEXT) | instid1(VALU_DEP_1)
	v_dual_sub_nc_u32 v10, 29, v10 :: v_dual_lshlrev_b32 v12, v12, v8
	v_dual_cndmask_b32 v10, v13, v10, vcc_lo :: v_dual_bitop2_b32 v12, 7, v12 bitop3:0x40
	s_delay_alu instid0(VALU_DEP_1) | instskip(NEXT) | instid1(VALU_DEP_2)
	v_lshl_add_u32 v10, v10, 23, 0x3b800000
	v_cndmask_b32_e32 v9, v9, v12, vcc_lo
	s_delay_alu instid0(VALU_DEP_1) | instskip(NEXT) | instid1(VALU_DEP_1)
	v_dual_lshlrev_b32 v8, 24, v8 :: v_dual_lshlrev_b32 v9, 20, v9
	v_and_b32_e32 v8, 0x80000000, v8
	s_delay_alu instid0(VALU_DEP_1)
	v_or3_b32 v9, v8, v10, v9
.LBB290_142:
	s_or_b32 exec_lo, exec_lo, s17
	s_delay_alu instid0(VALU_DEP_1)
	v_cmp_eq_f32_e64 s17, v11, v9
.LBB290_143:
	v_dual_lshrrev_b32 v9, 24, v7 :: v_dual_lshrrev_b32 v8, 24, v6
	v_cmp_ne_u32_e32 vcc_lo, 1, v3
	s_delay_alu instid0(VALU_DEP_2)
	v_cmp_lt_i16_e64 s0, 0x7f, v9
	s_cbranch_vccnz .LBB290_163
; %bb.144:
	s_mov_b32 s18, 0
	s_wait_xcnt 0x0
	s_and_saveexec_b32 s19, s0
	s_delay_alu instid0(SALU_CYCLE_1)
	s_xor_b32 s0, exec_lo, s19
	s_cbranch_execnz .LBB290_381
; %bb.145:
	s_or_saveexec_b32 s0, s0
	v_mov_b32_e32 v10, 0x7f800001
	s_xor_b32 exec_lo, exec_lo, s0
	s_cbranch_execnz .LBB290_384
.LBB290_146:
	s_or_b32 exec_lo, exec_lo, s0
	s_and_saveexec_b32 s0, s18
	s_cbranch_execz .LBB290_148
.LBB290_147:
	v_bfe_u32 v10, v7, 24, 3
	v_bfe_u32 v13, v7, 27, 4
	s_delay_alu instid0(VALU_DEP_2) | instskip(NEXT) | instid1(VALU_DEP_2)
	v_clz_i32_u32_e32 v11, v10
	v_cmp_eq_u32_e32 vcc_lo, 0, v13
	s_delay_alu instid0(VALU_DEP_2) | instskip(NEXT) | instid1(VALU_DEP_1)
	v_min_u32_e32 v11, 32, v11
	v_subrev_nc_u32_e32 v12, 28, v11
	s_delay_alu instid0(VALU_DEP_1) | instskip(NEXT) | instid1(VALU_DEP_1)
	v_dual_sub_nc_u32 v11, 29, v11 :: v_dual_lshlrev_b32 v12, v12, v9
	v_dual_cndmask_b32 v11, v13, v11, vcc_lo :: v_dual_bitop2_b32 v12, 7, v12 bitop3:0x40
	s_delay_alu instid0(VALU_DEP_1) | instskip(NEXT) | instid1(VALU_DEP_2)
	v_lshl_add_u32 v11, v11, 23, 0x3b800000
	v_cndmask_b32_e32 v10, v10, v12, vcc_lo
	v_and_b32_e32 v12, 0x80000000, v7
	s_delay_alu instid0(VALU_DEP_2) | instskip(NEXT) | instid1(VALU_DEP_1)
	v_lshlrev_b32_e32 v10, 20, v10
	v_or3_b32 v10, v12, v11, v10
.LBB290_148:
	s_or_b32 exec_lo, exec_lo, s0
	s_mov_b32 s0, 0
	s_mov_b32 s18, exec_lo
	v_cmpx_lt_i16_e32 0x7f, v8
	s_xor_b32 s18, exec_lo, s18
	s_cbranch_execnz .LBB290_385
; %bb.149:
	s_or_saveexec_b32 s18, s18
	v_mov_b32_e32 v11, 0x7f800001
	s_xor_b32 exec_lo, exec_lo, s18
	s_cbranch_execnz .LBB290_388
.LBB290_150:
	s_or_b32 exec_lo, exec_lo, s18
	s_and_saveexec_b32 s18, s0
	s_cbranch_execz .LBB290_152
.LBB290_151:
	v_bfe_u32 v11, v6, 24, 3
	v_bfe_u32 v14, v6, 27, 4
	s_delay_alu instid0(VALU_DEP_2) | instskip(NEXT) | instid1(VALU_DEP_2)
	v_clz_i32_u32_e32 v12, v11
	v_cmp_eq_u32_e32 vcc_lo, 0, v14
	s_delay_alu instid0(VALU_DEP_2) | instskip(NEXT) | instid1(VALU_DEP_1)
	v_min_u32_e32 v12, 32, v12
	v_subrev_nc_u32_e32 v13, 28, v12
	s_delay_alu instid0(VALU_DEP_1) | instskip(NEXT) | instid1(VALU_DEP_1)
	v_lshlrev_b32_e32 v13, v13, v8
	v_dual_sub_nc_u32 v12, 29, v12 :: v_dual_bitop2_b32 v13, 7, v13 bitop3:0x40
	s_delay_alu instid0(VALU_DEP_1) | instskip(SKIP_1) | instid1(VALU_DEP_2)
	v_dual_cndmask_b32 v12, v14, v12 :: v_dual_cndmask_b32 v11, v11, v13
	v_and_b32_e32 v13, 0x80000000, v6
	v_lshl_add_u32 v12, v12, 23, 0x3b800000
	s_delay_alu instid0(VALU_DEP_3) | instskip(NEXT) | instid1(VALU_DEP_1)
	v_lshlrev_b32_e32 v11, 20, v11
	v_or3_b32 v11, v13, v12, v11
.LBB290_152:
	s_or_b32 exec_lo, exec_lo, s18
	s_delay_alu instid0(VALU_DEP_1)
	v_cmp_neq_f32_e64 s18, v10, v11
.LBB290_153:
	v_cmp_ne_u32_e32 vcc_lo, 1, v3
	v_and_b32_e32 v6, 0xff, v5
	s_cbranch_vccnz .LBB290_173
.LBB290_154:
	s_mov_b32 s0, 0
	s_mov_b32 s19, exec_lo
	s_wait_xcnt 0x0
	v_cmpx_lt_i16_e32 0x7f, v6
	s_xor_b32 s19, exec_lo, s19
	s_cbranch_execnz .LBB290_389
; %bb.155:
	s_or_saveexec_b32 s19, s19
	v_mov_b32_e32 v7, 0x7f800001
	s_xor_b32 exec_lo, exec_lo, s19
	s_cbranch_execnz .LBB290_392
.LBB290_156:
	s_or_b32 exec_lo, exec_lo, s19
	s_and_saveexec_b32 s19, s0
	s_cbranch_execz .LBB290_158
.LBB290_157:
	v_and_b32_e32 v7, 7, v5
	v_bfe_u32 v10, v5, 3, 4
	s_delay_alu instid0(VALU_DEP_2) | instskip(NEXT) | instid1(VALU_DEP_2)
	v_clz_i32_u32_e32 v8, v7
	v_cmp_eq_u32_e32 vcc_lo, 0, v10
	s_delay_alu instid0(VALU_DEP_2) | instskip(NEXT) | instid1(VALU_DEP_1)
	v_min_u32_e32 v8, 32, v8
	v_subrev_nc_u32_e32 v9, 28, v8
	s_delay_alu instid0(VALU_DEP_1) | instskip(NEXT) | instid1(VALU_DEP_1)
	v_dual_lshlrev_b32 v9, v9, v5 :: v_dual_sub_nc_u32 v8, 29, v8
	v_and_b32_e32 v9, 7, v9
	s_delay_alu instid0(VALU_DEP_2) | instskip(NEXT) | instid1(VALU_DEP_2)
	v_dual_cndmask_b32 v8, v10, v8 :: v_dual_lshlrev_b32 v11, 24, v5
	v_cndmask_b32_e32 v7, v7, v9, vcc_lo
	s_delay_alu instid0(VALU_DEP_2) | instskip(NEXT) | instid1(VALU_DEP_3)
	v_and_b32_e32 v9, 0x80000000, v11
	v_lshl_add_u32 v8, v8, 23, 0x3b800000
	s_delay_alu instid0(VALU_DEP_3) | instskip(NEXT) | instid1(VALU_DEP_1)
	v_lshlrev_b32_e32 v7, 20, v7
	v_or3_b32 v7, v9, v8, v7
.LBB290_158:
	s_or_b32 exec_lo, exec_lo, s19
	s_wait_loadcnt 0x1
	v_and_b32_e32 v9, 0xff, v4
	s_mov_b32 s0, 0
	s_mov_b32 s19, exec_lo
	s_delay_alu instid0(VALU_DEP_1)
	v_cmpx_lt_i16_e32 0x7f, v9
	s_xor_b32 s19, exec_lo, s19
	s_cbranch_execnz .LBB290_393
; %bb.159:
	s_or_saveexec_b32 s19, s19
	v_mov_b32_e32 v8, 0x7f800001
	s_xor_b32 exec_lo, exec_lo, s19
	s_cbranch_execnz .LBB290_396
.LBB290_160:
	s_or_b32 exec_lo, exec_lo, s19
	s_and_saveexec_b32 s19, s0
	s_cbranch_execz .LBB290_162
.LBB290_161:
	v_and_b32_e32 v8, 7, v4
	v_bfe_u32 v11, v4, 3, 4
	s_delay_alu instid0(VALU_DEP_2) | instskip(NEXT) | instid1(VALU_DEP_2)
	v_clz_i32_u32_e32 v9, v8
	v_cmp_eq_u32_e32 vcc_lo, 0, v11
	s_delay_alu instid0(VALU_DEP_2) | instskip(NEXT) | instid1(VALU_DEP_1)
	v_min_u32_e32 v9, 32, v9
	v_subrev_nc_u32_e32 v10, 28, v9
	s_delay_alu instid0(VALU_DEP_1) | instskip(NEXT) | instid1(VALU_DEP_1)
	v_dual_lshlrev_b32 v10, v10, v4 :: v_dual_sub_nc_u32 v9, 29, v9
	v_dual_lshlrev_b32 v12, 24, v4 :: v_dual_bitop2_b32 v10, 7, v10 bitop3:0x40
	s_delay_alu instid0(VALU_DEP_1) | instskip(NEXT) | instid1(VALU_DEP_2)
	v_dual_cndmask_b32 v9, v11, v9 :: v_dual_cndmask_b32 v8, v8, v10
	v_and_b32_e32 v10, 0x80000000, v12
	s_delay_alu instid0(VALU_DEP_2) | instskip(NEXT) | instid1(VALU_DEP_3)
	v_lshl_add_u32 v9, v9, 23, 0x3b800000
	v_lshlrev_b32_e32 v8, 20, v8
	s_delay_alu instid0(VALU_DEP_1)
	v_or3_b32 v8, v10, v9, v8
.LBB290_162:
	s_or_b32 exec_lo, exec_lo, s19
	s_delay_alu instid0(VALU_DEP_1)
	v_cmp_neq_f32_e64 s19, v7, v8
	s_branch .LBB290_183
.LBB290_163:
                                        ; implicit-def: $sgpr18
	s_cbranch_execz .LBB290_153
; %bb.164:
	s_mov_b32 s0, 0
	s_mov_b32 s18, exec_lo
	s_wait_xcnt 0x0
	v_cmpx_lt_i16_e32 0x7f, v9
	s_xor_b32 s18, exec_lo, s18
	s_cbranch_execnz .LBB290_509
; %bb.165:
	s_or_saveexec_b32 s18, s18
	v_mov_b32_e32 v10, 0x7f800001
	s_xor_b32 exec_lo, exec_lo, s18
	s_cbranch_execnz .LBB290_512
.LBB290_166:
	s_or_b32 exec_lo, exec_lo, s18
	s_and_saveexec_b32 s18, s0
	s_cbranch_execz .LBB290_168
.LBB290_167:
	v_bfe_u32 v10, v7, 24, 3
	s_delay_alu instid0(VALU_DEP_1) | instskip(NEXT) | instid1(VALU_DEP_1)
	v_clz_i32_u32_e32 v11, v10
	v_min_u32_e32 v11, 32, v11
	s_delay_alu instid0(VALU_DEP_1) | instskip(NEXT) | instid1(VALU_DEP_1)
	v_subrev_nc_u32_e32 v12, 28, v11
	v_dual_sub_nc_u32 v11, 29, v11 :: v_dual_lshlrev_b32 v9, v12, v9
	v_bfe_u32 v12, v7, 27, 4
	v_and_b32_e32 v7, 0x80000000, v7
	s_delay_alu instid0(VALU_DEP_2) | instskip(NEXT) | instid1(VALU_DEP_4)
	v_cmp_eq_u32_e32 vcc_lo, 0, v12
	v_dual_cndmask_b32 v11, v12, v11, vcc_lo :: v_dual_bitop2_b32 v9, 7, v9 bitop3:0x40
	s_delay_alu instid0(VALU_DEP_1) | instskip(NEXT) | instid1(VALU_DEP_2)
	v_cndmask_b32_e32 v9, v10, v9, vcc_lo
	v_lshl_add_u32 v10, v11, 23, 0x3b800000
	s_delay_alu instid0(VALU_DEP_2) | instskip(NEXT) | instid1(VALU_DEP_1)
	v_lshlrev_b32_e32 v9, 20, v9
	v_or3_b32 v10, v7, v10, v9
.LBB290_168:
	s_or_b32 exec_lo, exec_lo, s18
	s_mov_b32 s0, 0
	s_mov_b32 s18, exec_lo
	v_cmpx_lt_i16_e32 0x7f, v8
	s_xor_b32 s18, exec_lo, s18
	s_cbranch_execnz .LBB290_513
; %bb.169:
	s_or_saveexec_b32 s18, s18
	v_mov_b32_e32 v7, 0x7f800001
	s_xor_b32 exec_lo, exec_lo, s18
	s_cbranch_execnz .LBB290_516
.LBB290_170:
	s_or_b32 exec_lo, exec_lo, s18
	s_and_saveexec_b32 s18, s0
	s_cbranch_execz .LBB290_172
.LBB290_171:
	v_bfe_u32 v7, v6, 24, 3
	s_delay_alu instid0(VALU_DEP_1) | instskip(NEXT) | instid1(VALU_DEP_1)
	v_clz_i32_u32_e32 v9, v7
	v_min_u32_e32 v9, 32, v9
	s_delay_alu instid0(VALU_DEP_1) | instskip(NEXT) | instid1(VALU_DEP_1)
	v_subrev_nc_u32_e32 v11, 28, v9
	v_dual_sub_nc_u32 v9, 29, v9 :: v_dual_lshlrev_b32 v8, v11, v8
	v_bfe_u32 v11, v6, 27, 4
	v_and_b32_e32 v6, 0x80000000, v6
	s_delay_alu instid0(VALU_DEP_2) | instskip(NEXT) | instid1(VALU_DEP_4)
	v_cmp_eq_u32_e32 vcc_lo, 0, v11
	v_dual_cndmask_b32 v9, v11, v9, vcc_lo :: v_dual_bitop2_b32 v8, 7, v8 bitop3:0x40
	s_delay_alu instid0(VALU_DEP_1) | instskip(NEXT) | instid1(VALU_DEP_2)
	v_cndmask_b32_e32 v7, v7, v8, vcc_lo
	v_lshl_add_u32 v8, v9, 23, 0x3b800000
	s_delay_alu instid0(VALU_DEP_2) | instskip(NEXT) | instid1(VALU_DEP_1)
	v_lshlrev_b32_e32 v7, 20, v7
	v_or3_b32 v7, v6, v8, v7
.LBB290_172:
	s_or_b32 exec_lo, exec_lo, s18
	s_delay_alu instid0(VALU_DEP_1)
	v_cmp_eq_f32_e64 s18, v10, v7
	v_cmp_ne_u32_e32 vcc_lo, 1, v3
	v_and_b32_e32 v6, 0xff, v5
	s_cbranch_vccz .LBB290_154
.LBB290_173:
                                        ; implicit-def: $sgpr19
	s_cbranch_execz .LBB290_183
; %bb.174:
	s_mov_b32 s0, 0
	s_mov_b32 s19, exec_lo
	s_wait_xcnt 0x0
	v_cmpx_lt_i16_e32 0x7f, v6
	s_xor_b32 s19, exec_lo, s19
	s_cbranch_execnz .LBB290_517
; %bb.175:
	s_or_saveexec_b32 s19, s19
	v_mov_b32_e32 v7, 0x7f800001
	s_xor_b32 exec_lo, exec_lo, s19
	s_cbranch_execnz .LBB290_520
.LBB290_176:
	s_or_b32 exec_lo, exec_lo, s19
	s_and_saveexec_b32 s19, s0
	s_cbranch_execz .LBB290_178
.LBB290_177:
	v_and_b32_e32 v6, 7, v5
	v_bfe_u32 v9, v5, 3, 4
	s_delay_alu instid0(VALU_DEP_2) | instskip(NEXT) | instid1(VALU_DEP_2)
	v_clz_i32_u32_e32 v7, v6
	v_cmp_eq_u32_e32 vcc_lo, 0, v9
	s_delay_alu instid0(VALU_DEP_2) | instskip(NEXT) | instid1(VALU_DEP_1)
	v_min_u32_e32 v7, 32, v7
	v_subrev_nc_u32_e32 v8, 28, v7
	s_delay_alu instid0(VALU_DEP_1) | instskip(NEXT) | instid1(VALU_DEP_1)
	v_dual_lshlrev_b32 v8, v8, v5 :: v_dual_sub_nc_u32 v7, 29, v7
	v_dual_lshlrev_b32 v10, 24, v5 :: v_dual_bitop2_b32 v8, 7, v8 bitop3:0x40
	s_delay_alu instid0(VALU_DEP_1) | instskip(NEXT) | instid1(VALU_DEP_2)
	v_dual_cndmask_b32 v7, v9, v7 :: v_dual_cndmask_b32 v6, v6, v8
	v_and_b32_e32 v8, 0x80000000, v10
	s_delay_alu instid0(VALU_DEP_2) | instskip(NEXT) | instid1(VALU_DEP_3)
	v_lshl_add_u32 v7, v7, 23, 0x3b800000
	v_lshlrev_b32_e32 v6, 20, v6
	s_delay_alu instid0(VALU_DEP_1)
	v_or3_b32 v7, v8, v7, v6
.LBB290_178:
	s_or_b32 exec_lo, exec_lo, s19
	s_wait_loadcnt 0x1
	v_and_b32_e32 v8, 0xff, v4
	s_mov_b32 s0, 0
	s_mov_b32 s19, exec_lo
	s_delay_alu instid0(VALU_DEP_1)
	v_cmpx_lt_i16_e32 0x7f, v8
	s_xor_b32 s19, exec_lo, s19
	s_cbranch_execnz .LBB290_521
; %bb.179:
	s_or_saveexec_b32 s19, s19
	v_mov_b32_e32 v6, 0x7f800001
	s_xor_b32 exec_lo, exec_lo, s19
	s_cbranch_execnz .LBB290_524
.LBB290_180:
	s_or_b32 exec_lo, exec_lo, s19
	s_and_saveexec_b32 s19, s0
	s_cbranch_execz .LBB290_182
.LBB290_181:
	v_and_b32_e32 v6, 7, v4
	v_bfe_u32 v10, v4, 3, 4
	s_delay_alu instid0(VALU_DEP_2) | instskip(NEXT) | instid1(VALU_DEP_2)
	v_clz_i32_u32_e32 v8, v6
	v_cmp_eq_u32_e32 vcc_lo, 0, v10
	s_delay_alu instid0(VALU_DEP_2) | instskip(NEXT) | instid1(VALU_DEP_1)
	v_min_u32_e32 v8, 32, v8
	v_subrev_nc_u32_e32 v9, 28, v8
	s_delay_alu instid0(VALU_DEP_1) | instskip(NEXT) | instid1(VALU_DEP_1)
	v_lshlrev_b32_e32 v9, v9, v4
	v_dual_sub_nc_u32 v8, 29, v8 :: v_dual_bitop2_b32 v9, 7, v9 bitop3:0x40
	s_delay_alu instid0(VALU_DEP_1) | instskip(NEXT) | instid1(VALU_DEP_2)
	v_dual_cndmask_b32 v6, v6, v9 :: v_dual_lshlrev_b32 v11, 24, v4
	v_cndmask_b32_e32 v8, v10, v8, vcc_lo
	s_delay_alu instid0(VALU_DEP_2) | instskip(NEXT) | instid1(VALU_DEP_3)
	v_and_b32_e32 v9, 0x80000000, v11
	v_lshlrev_b32_e32 v6, 20, v6
	s_delay_alu instid0(VALU_DEP_3) | instskip(NEXT) | instid1(VALU_DEP_1)
	v_lshl_add_u32 v8, v8, 23, 0x3b800000
	v_or3_b32 v6, v9, v8, v6
.LBB290_182:
	s_or_b32 exec_lo, exec_lo, s19
	s_delay_alu instid0(VALU_DEP_1)
	v_cmp_eq_f32_e64 s19, v7, v6
.LBB290_183:
	s_wait_loadcnt 0x1
	v_dual_lshrrev_b32 v7, 8, v5 :: v_dual_lshrrev_b32 v6, 8, v4
	v_cmp_ne_u32_e32 vcc_lo, 1, v3
	s_delay_alu instid0(VALU_DEP_2)
	v_and_b32_e32 v8, 0xff, v7
	s_cbranch_vccnz .LBB290_193
; %bb.184:
	s_mov_b32 s0, 0
	s_mov_b32 s20, exec_lo
	s_wait_xcnt 0x0
	v_cmpx_lt_i16_e32 0x7f, v8
	s_xor_b32 s20, exec_lo, s20
	s_cbranch_execnz .LBB290_397
; %bb.185:
	s_or_saveexec_b32 s20, s20
	v_mov_b32_e32 v9, 0x7f800001
	s_xor_b32 exec_lo, exec_lo, s20
	s_cbranch_execnz .LBB290_400
.LBB290_186:
	s_or_b32 exec_lo, exec_lo, s20
	s_and_saveexec_b32 s20, s0
	s_cbranch_execz .LBB290_188
.LBB290_187:
	v_bfe_u32 v9, v5, 8, 3
	v_bfe_u32 v12, v5, 11, 4
	s_delay_alu instid0(VALU_DEP_2) | instskip(NEXT) | instid1(VALU_DEP_2)
	v_clz_i32_u32_e32 v10, v9
	v_cmp_eq_u32_e32 vcc_lo, 0, v12
	s_delay_alu instid0(VALU_DEP_2) | instskip(NEXT) | instid1(VALU_DEP_1)
	v_min_u32_e32 v10, 32, v10
	v_subrev_nc_u32_e32 v11, 28, v10
	s_delay_alu instid0(VALU_DEP_1) | instskip(NEXT) | instid1(VALU_DEP_1)
	v_dual_sub_nc_u32 v10, 29, v10 :: v_dual_lshlrev_b32 v11, v11, v7
	v_dual_cndmask_b32 v10, v12, v10, vcc_lo :: v_dual_bitop2_b32 v11, 7, v11 bitop3:0x40
	s_delay_alu instid0(VALU_DEP_1) | instskip(NEXT) | instid1(VALU_DEP_2)
	v_lshl_add_u32 v10, v10, 23, 0x3b800000
	v_cndmask_b32_e32 v9, v9, v11, vcc_lo
	s_delay_alu instid0(VALU_DEP_1) | instskip(NEXT) | instid1(VALU_DEP_1)
	v_dual_lshlrev_b32 v13, 24, v7 :: v_dual_lshlrev_b32 v9, 20, v9
	v_and_b32_e32 v11, 0x80000000, v13
	s_delay_alu instid0(VALU_DEP_1)
	v_or3_b32 v9, v11, v10, v9
.LBB290_188:
	s_or_b32 exec_lo, exec_lo, s20
	v_and_b32_e32 v11, 0xff, v6
	s_mov_b32 s0, 0
	s_mov_b32 s20, exec_lo
	s_delay_alu instid0(VALU_DEP_1)
	v_cmpx_lt_i16_e32 0x7f, v11
	s_xor_b32 s20, exec_lo, s20
	s_cbranch_execnz .LBB290_401
; %bb.189:
	s_or_saveexec_b32 s20, s20
	v_mov_b32_e32 v10, 0x7f800001
	s_xor_b32 exec_lo, exec_lo, s20
	s_cbranch_execnz .LBB290_404
.LBB290_190:
	s_or_b32 exec_lo, exec_lo, s20
	s_and_saveexec_b32 s20, s0
	s_cbranch_execz .LBB290_192
.LBB290_191:
	v_bfe_u32 v10, v4, 8, 3
	v_bfe_u32 v13, v4, 11, 4
	v_lshlrev_b32_e32 v14, 24, v6
	s_delay_alu instid0(VALU_DEP_3) | instskip(NEXT) | instid1(VALU_DEP_3)
	v_clz_i32_u32_e32 v11, v10
	v_cmp_eq_u32_e32 vcc_lo, 0, v13
	s_delay_alu instid0(VALU_DEP_2) | instskip(NEXT) | instid1(VALU_DEP_1)
	v_min_u32_e32 v11, 32, v11
	v_subrev_nc_u32_e32 v12, 28, v11
	s_delay_alu instid0(VALU_DEP_1) | instskip(NEXT) | instid1(VALU_DEP_1)
	v_dual_sub_nc_u32 v11, 29, v11 :: v_dual_lshlrev_b32 v12, v12, v6
	v_dual_cndmask_b32 v11, v13, v11, vcc_lo :: v_dual_bitop2_b32 v12, 7, v12 bitop3:0x40
	s_delay_alu instid0(VALU_DEP_1) | instskip(SKIP_1) | instid1(VALU_DEP_3)
	v_cndmask_b32_e32 v10, v10, v12, vcc_lo
	v_and_b32_e32 v12, 0x80000000, v14
	v_lshl_add_u32 v11, v11, 23, 0x3b800000
	s_delay_alu instid0(VALU_DEP_3) | instskip(NEXT) | instid1(VALU_DEP_1)
	v_lshlrev_b32_e32 v10, 20, v10
	v_or3_b32 v10, v12, v11, v10
.LBB290_192:
	s_or_b32 exec_lo, exec_lo, s20
	s_delay_alu instid0(VALU_DEP_1)
	v_cmp_neq_f32_e64 s20, v9, v10
	s_branch .LBB290_203
.LBB290_193:
                                        ; implicit-def: $sgpr20
	s_cbranch_execz .LBB290_203
; %bb.194:
	s_mov_b32 s0, 0
	s_mov_b32 s20, exec_lo
	s_wait_xcnt 0x0
	v_cmpx_lt_i16_e32 0x7f, v8
	s_xor_b32 s20, exec_lo, s20
	s_cbranch_execnz .LBB290_525
; %bb.195:
	s_or_saveexec_b32 s20, s20
	v_mov_b32_e32 v9, 0x7f800001
	s_xor_b32 exec_lo, exec_lo, s20
	s_cbranch_execnz .LBB290_528
.LBB290_196:
	s_or_b32 exec_lo, exec_lo, s20
	s_and_saveexec_b32 s20, s0
	s_cbranch_execz .LBB290_198
.LBB290_197:
	v_bfe_u32 v8, v5, 8, 3
	v_bfe_u32 v11, v5, 11, 4
	s_delay_alu instid0(VALU_DEP_2) | instskip(NEXT) | instid1(VALU_DEP_2)
	v_clz_i32_u32_e32 v9, v8
	v_cmp_eq_u32_e32 vcc_lo, 0, v11
	s_delay_alu instid0(VALU_DEP_2) | instskip(NEXT) | instid1(VALU_DEP_1)
	v_min_u32_e32 v9, 32, v9
	v_subrev_nc_u32_e32 v10, 28, v9
	s_delay_alu instid0(VALU_DEP_1) | instskip(NEXT) | instid1(VALU_DEP_1)
	v_dual_sub_nc_u32 v9, 29, v9 :: v_dual_lshlrev_b32 v10, v10, v7
	v_dual_lshlrev_b32 v7, 24, v7 :: v_dual_bitop2_b32 v10, 7, v10 bitop3:0x40
	s_delay_alu instid0(VALU_DEP_2) | instskip(NEXT) | instid1(VALU_DEP_2)
	v_cndmask_b32_e32 v9, v11, v9, vcc_lo
	v_and_b32_e32 v7, 0x80000000, v7
	s_delay_alu instid0(VALU_DEP_3) | instskip(NEXT) | instid1(VALU_DEP_3)
	v_cndmask_b32_e32 v8, v8, v10, vcc_lo
	v_lshl_add_u32 v9, v9, 23, 0x3b800000
	s_delay_alu instid0(VALU_DEP_2) | instskip(NEXT) | instid1(VALU_DEP_1)
	v_lshlrev_b32_e32 v8, 20, v8
	v_or3_b32 v9, v7, v9, v8
.LBB290_198:
	s_or_b32 exec_lo, exec_lo, s20
	v_and_b32_e32 v8, 0xff, v6
	s_mov_b32 s0, 0
	s_mov_b32 s20, exec_lo
	s_delay_alu instid0(VALU_DEP_1)
	v_cmpx_lt_i16_e32 0x7f, v8
	s_xor_b32 s20, exec_lo, s20
	s_cbranch_execnz .LBB290_529
; %bb.199:
	s_or_saveexec_b32 s20, s20
	v_mov_b32_e32 v7, 0x7f800001
	s_xor_b32 exec_lo, exec_lo, s20
	s_cbranch_execnz .LBB290_532
.LBB290_200:
	s_or_b32 exec_lo, exec_lo, s20
	s_and_saveexec_b32 s20, s0
	s_cbranch_execz .LBB290_202
.LBB290_201:
	v_bfe_u32 v7, v4, 8, 3
	v_bfe_u32 v11, v4, 11, 4
	s_delay_alu instid0(VALU_DEP_2) | instskip(NEXT) | instid1(VALU_DEP_2)
	v_clz_i32_u32_e32 v8, v7
	v_cmp_eq_u32_e32 vcc_lo, 0, v11
	s_delay_alu instid0(VALU_DEP_2) | instskip(NEXT) | instid1(VALU_DEP_1)
	v_min_u32_e32 v8, 32, v8
	v_subrev_nc_u32_e32 v10, 28, v8
	s_delay_alu instid0(VALU_DEP_1) | instskip(NEXT) | instid1(VALU_DEP_1)
	v_dual_sub_nc_u32 v8, 29, v8 :: v_dual_lshlrev_b32 v10, v10, v6
	v_dual_cndmask_b32 v8, v11, v8, vcc_lo :: v_dual_bitop2_b32 v10, 7, v10 bitop3:0x40
	s_delay_alu instid0(VALU_DEP_1) | instskip(NEXT) | instid1(VALU_DEP_2)
	v_lshl_add_u32 v8, v8, 23, 0x3b800000
	v_cndmask_b32_e32 v7, v7, v10, vcc_lo
	s_delay_alu instid0(VALU_DEP_1) | instskip(NEXT) | instid1(VALU_DEP_1)
	v_dual_lshlrev_b32 v6, 24, v6 :: v_dual_lshlrev_b32 v7, 20, v7
	v_and_b32_e32 v6, 0x80000000, v6
	s_delay_alu instid0(VALU_DEP_1)
	v_or3_b32 v7, v6, v8, v7
.LBB290_202:
	s_or_b32 exec_lo, exec_lo, s20
	s_delay_alu instid0(VALU_DEP_1)
	v_cmp_eq_f32_e64 s20, v9, v7
.LBB290_203:
	v_dual_lshrrev_b32 v7, 16, v5 :: v_dual_lshrrev_b32 v6, 16, v4
	v_cmp_ne_u32_e32 vcc_lo, 1, v3
	s_delay_alu instid0(VALU_DEP_2)
	v_and_b32_e32 v8, 0xff, v7
	s_cbranch_vccnz .LBB290_213
; %bb.204:
	s_mov_b32 s0, 0
	s_mov_b32 s21, exec_lo
	s_wait_xcnt 0x0
	v_cmpx_lt_i16_e32 0x7f, v8
	s_xor_b32 s21, exec_lo, s21
	s_cbranch_execnz .LBB290_405
; %bb.205:
	s_or_saveexec_b32 s21, s21
	v_mov_b32_e32 v9, 0x7f800001
	s_xor_b32 exec_lo, exec_lo, s21
	s_cbranch_execnz .LBB290_408
.LBB290_206:
	s_or_b32 exec_lo, exec_lo, s21
	s_and_saveexec_b32 s21, s0
	s_cbranch_execz .LBB290_208
.LBB290_207:
	v_bfe_u32 v9, v5, 16, 3
	v_bfe_u32 v12, v5, 19, 4
	s_delay_alu instid0(VALU_DEP_2) | instskip(NEXT) | instid1(VALU_DEP_2)
	v_clz_i32_u32_e32 v10, v9
	v_cmp_eq_u32_e32 vcc_lo, 0, v12
	s_delay_alu instid0(VALU_DEP_2) | instskip(NEXT) | instid1(VALU_DEP_1)
	v_min_u32_e32 v10, 32, v10
	v_subrev_nc_u32_e32 v11, 28, v10
	s_delay_alu instid0(VALU_DEP_1) | instskip(NEXT) | instid1(VALU_DEP_1)
	v_dual_sub_nc_u32 v10, 29, v10 :: v_dual_lshlrev_b32 v11, v11, v7
	v_dual_cndmask_b32 v10, v12, v10, vcc_lo :: v_dual_bitop2_b32 v11, 7, v11 bitop3:0x40
	s_delay_alu instid0(VALU_DEP_1) | instskip(NEXT) | instid1(VALU_DEP_2)
	v_lshl_add_u32 v10, v10, 23, 0x3b800000
	v_cndmask_b32_e32 v9, v9, v11, vcc_lo
	s_delay_alu instid0(VALU_DEP_1) | instskip(NEXT) | instid1(VALU_DEP_1)
	v_dual_lshlrev_b32 v13, 24, v7 :: v_dual_lshlrev_b32 v9, 20, v9
	v_and_b32_e32 v11, 0x80000000, v13
	s_delay_alu instid0(VALU_DEP_1)
	v_or3_b32 v9, v11, v10, v9
.LBB290_208:
	s_or_b32 exec_lo, exec_lo, s21
	v_and_b32_e32 v11, 0xff, v6
	s_mov_b32 s0, 0
	s_mov_b32 s21, exec_lo
	s_delay_alu instid0(VALU_DEP_1)
	v_cmpx_lt_i16_e32 0x7f, v11
	s_xor_b32 s21, exec_lo, s21
	s_cbranch_execnz .LBB290_409
; %bb.209:
	s_or_saveexec_b32 s21, s21
	v_mov_b32_e32 v10, 0x7f800001
	s_xor_b32 exec_lo, exec_lo, s21
	s_cbranch_execnz .LBB290_412
.LBB290_210:
	s_or_b32 exec_lo, exec_lo, s21
	s_and_saveexec_b32 s21, s0
	s_cbranch_execz .LBB290_212
.LBB290_211:
	v_bfe_u32 v10, v4, 16, 3
	v_bfe_u32 v13, v4, 19, 4
	v_lshlrev_b32_e32 v14, 24, v6
	s_delay_alu instid0(VALU_DEP_3) | instskip(NEXT) | instid1(VALU_DEP_3)
	v_clz_i32_u32_e32 v11, v10
	v_cmp_eq_u32_e32 vcc_lo, 0, v13
	s_delay_alu instid0(VALU_DEP_2) | instskip(NEXT) | instid1(VALU_DEP_1)
	v_min_u32_e32 v11, 32, v11
	v_subrev_nc_u32_e32 v12, 28, v11
	s_delay_alu instid0(VALU_DEP_1) | instskip(NEXT) | instid1(VALU_DEP_1)
	v_dual_sub_nc_u32 v11, 29, v11 :: v_dual_lshlrev_b32 v12, v12, v6
	v_dual_cndmask_b32 v11, v13, v11, vcc_lo :: v_dual_bitop2_b32 v12, 7, v12 bitop3:0x40
	s_delay_alu instid0(VALU_DEP_1) | instskip(SKIP_1) | instid1(VALU_DEP_3)
	v_cndmask_b32_e32 v10, v10, v12, vcc_lo
	v_and_b32_e32 v12, 0x80000000, v14
	v_lshl_add_u32 v11, v11, 23, 0x3b800000
	s_delay_alu instid0(VALU_DEP_3) | instskip(NEXT) | instid1(VALU_DEP_1)
	v_lshlrev_b32_e32 v10, 20, v10
	v_or3_b32 v10, v12, v11, v10
.LBB290_212:
	s_or_b32 exec_lo, exec_lo, s21
	s_delay_alu instid0(VALU_DEP_1)
	v_cmp_neq_f32_e64 s21, v9, v10
	s_branch .LBB290_223
.LBB290_213:
                                        ; implicit-def: $sgpr21
	s_cbranch_execz .LBB290_223
; %bb.214:
	s_mov_b32 s0, 0
	s_mov_b32 s21, exec_lo
	s_wait_xcnt 0x0
	v_cmpx_lt_i16_e32 0x7f, v8
	s_xor_b32 s21, exec_lo, s21
	s_cbranch_execnz .LBB290_533
; %bb.215:
	s_or_saveexec_b32 s21, s21
	v_mov_b32_e32 v9, 0x7f800001
	s_xor_b32 exec_lo, exec_lo, s21
	s_cbranch_execnz .LBB290_536
.LBB290_216:
	s_or_b32 exec_lo, exec_lo, s21
	s_and_saveexec_b32 s21, s0
	s_cbranch_execz .LBB290_218
.LBB290_217:
	v_bfe_u32 v8, v5, 16, 3
	v_bfe_u32 v11, v5, 19, 4
	s_delay_alu instid0(VALU_DEP_2) | instskip(NEXT) | instid1(VALU_DEP_2)
	v_clz_i32_u32_e32 v9, v8
	v_cmp_eq_u32_e32 vcc_lo, 0, v11
	s_delay_alu instid0(VALU_DEP_2) | instskip(NEXT) | instid1(VALU_DEP_1)
	v_min_u32_e32 v9, 32, v9
	v_subrev_nc_u32_e32 v10, 28, v9
	s_delay_alu instid0(VALU_DEP_1) | instskip(NEXT) | instid1(VALU_DEP_1)
	v_dual_sub_nc_u32 v9, 29, v9 :: v_dual_lshlrev_b32 v10, v10, v7
	v_dual_lshlrev_b32 v7, 24, v7 :: v_dual_bitop2_b32 v10, 7, v10 bitop3:0x40
	s_delay_alu instid0(VALU_DEP_2) | instskip(NEXT) | instid1(VALU_DEP_2)
	v_cndmask_b32_e32 v9, v11, v9, vcc_lo
	v_and_b32_e32 v7, 0x80000000, v7
	s_delay_alu instid0(VALU_DEP_3) | instskip(NEXT) | instid1(VALU_DEP_3)
	v_cndmask_b32_e32 v8, v8, v10, vcc_lo
	v_lshl_add_u32 v9, v9, 23, 0x3b800000
	s_delay_alu instid0(VALU_DEP_2) | instskip(NEXT) | instid1(VALU_DEP_1)
	v_lshlrev_b32_e32 v8, 20, v8
	v_or3_b32 v9, v7, v9, v8
.LBB290_218:
	s_or_b32 exec_lo, exec_lo, s21
	v_and_b32_e32 v8, 0xff, v6
	s_mov_b32 s0, 0
	s_mov_b32 s21, exec_lo
	s_delay_alu instid0(VALU_DEP_1)
	v_cmpx_lt_i16_e32 0x7f, v8
	s_xor_b32 s21, exec_lo, s21
	s_cbranch_execnz .LBB290_537
; %bb.219:
	s_or_saveexec_b32 s21, s21
	v_mov_b32_e32 v7, 0x7f800001
	s_xor_b32 exec_lo, exec_lo, s21
	s_cbranch_execnz .LBB290_540
.LBB290_220:
	s_or_b32 exec_lo, exec_lo, s21
	s_and_saveexec_b32 s21, s0
	s_cbranch_execz .LBB290_222
.LBB290_221:
	v_bfe_u32 v7, v4, 16, 3
	v_bfe_u32 v11, v4, 19, 4
	s_delay_alu instid0(VALU_DEP_2) | instskip(NEXT) | instid1(VALU_DEP_2)
	v_clz_i32_u32_e32 v8, v7
	v_cmp_eq_u32_e32 vcc_lo, 0, v11
	s_delay_alu instid0(VALU_DEP_2) | instskip(NEXT) | instid1(VALU_DEP_1)
	v_min_u32_e32 v8, 32, v8
	v_subrev_nc_u32_e32 v10, 28, v8
	s_delay_alu instid0(VALU_DEP_1) | instskip(NEXT) | instid1(VALU_DEP_1)
	v_dual_sub_nc_u32 v8, 29, v8 :: v_dual_lshlrev_b32 v10, v10, v6
	v_dual_cndmask_b32 v8, v11, v8, vcc_lo :: v_dual_bitop2_b32 v10, 7, v10 bitop3:0x40
	s_delay_alu instid0(VALU_DEP_1) | instskip(NEXT) | instid1(VALU_DEP_2)
	v_lshl_add_u32 v8, v8, 23, 0x3b800000
	v_cndmask_b32_e32 v7, v7, v10, vcc_lo
	s_delay_alu instid0(VALU_DEP_1) | instskip(NEXT) | instid1(VALU_DEP_1)
	v_dual_lshlrev_b32 v6, 24, v6 :: v_dual_lshlrev_b32 v7, 20, v7
	v_and_b32_e32 v6, 0x80000000, v6
	s_delay_alu instid0(VALU_DEP_1)
	v_or3_b32 v7, v6, v8, v7
.LBB290_222:
	s_or_b32 exec_lo, exec_lo, s21
	s_delay_alu instid0(VALU_DEP_1)
	v_cmp_eq_f32_e64 s21, v9, v7
.LBB290_223:
	v_dual_lshrrev_b32 v7, 24, v5 :: v_dual_lshrrev_b32 v6, 24, v4
	v_cmp_ne_u32_e32 vcc_lo, 1, v3
	s_delay_alu instid0(VALU_DEP_2)
	v_cmp_lt_i16_e64 s0, 0x7f, v7
	s_cbranch_vccnz .LBB290_243
; %bb.224:
	s_mov_b32 s22, 0
	s_wait_xcnt 0x0
	s_and_saveexec_b32 s23, s0
	s_delay_alu instid0(SALU_CYCLE_1)
	s_xor_b32 s0, exec_lo, s23
	s_cbranch_execnz .LBB290_413
; %bb.225:
	s_or_saveexec_b32 s0, s0
	v_mov_b32_e32 v8, 0x7f800001
	s_xor_b32 exec_lo, exec_lo, s0
	s_cbranch_execnz .LBB290_416
.LBB290_226:
	s_or_b32 exec_lo, exec_lo, s0
	s_and_saveexec_b32 s0, s22
	s_cbranch_execz .LBB290_228
.LBB290_227:
	v_bfe_u32 v8, v5, 24, 3
	v_bfe_u32 v11, v5, 27, 4
	s_delay_alu instid0(VALU_DEP_2) | instskip(NEXT) | instid1(VALU_DEP_2)
	v_clz_i32_u32_e32 v9, v8
	v_cmp_eq_u32_e32 vcc_lo, 0, v11
	s_delay_alu instid0(VALU_DEP_2) | instskip(NEXT) | instid1(VALU_DEP_1)
	v_min_u32_e32 v9, 32, v9
	v_subrev_nc_u32_e32 v10, 28, v9
	s_delay_alu instid0(VALU_DEP_1) | instskip(NEXT) | instid1(VALU_DEP_1)
	v_dual_sub_nc_u32 v9, 29, v9 :: v_dual_lshlrev_b32 v10, v10, v7
	v_dual_cndmask_b32 v9, v11, v9, vcc_lo :: v_dual_bitop2_b32 v10, 7, v10 bitop3:0x40
	s_delay_alu instid0(VALU_DEP_1) | instskip(NEXT) | instid1(VALU_DEP_2)
	v_lshl_add_u32 v9, v9, 23, 0x3b800000
	v_cndmask_b32_e32 v8, v8, v10, vcc_lo
	v_and_b32_e32 v10, 0x80000000, v5
	s_delay_alu instid0(VALU_DEP_2) | instskip(NEXT) | instid1(VALU_DEP_1)
	v_lshlrev_b32_e32 v8, 20, v8
	v_or3_b32 v8, v10, v9, v8
.LBB290_228:
	s_or_b32 exec_lo, exec_lo, s0
	s_mov_b32 s0, 0
	s_mov_b32 s22, exec_lo
	v_cmpx_lt_i16_e32 0x7f, v6
	s_xor_b32 s22, exec_lo, s22
	s_cbranch_execnz .LBB290_417
; %bb.229:
	s_or_saveexec_b32 s22, s22
	v_mov_b32_e32 v9, 0x7f800001
	s_xor_b32 exec_lo, exec_lo, s22
	s_cbranch_execnz .LBB290_420
.LBB290_230:
	s_or_b32 exec_lo, exec_lo, s22
	s_and_saveexec_b32 s22, s0
	s_cbranch_execz .LBB290_232
.LBB290_231:
	v_bfe_u32 v9, v4, 24, 3
	v_bfe_u32 v12, v4, 27, 4
	s_delay_alu instid0(VALU_DEP_2) | instskip(NEXT) | instid1(VALU_DEP_2)
	v_clz_i32_u32_e32 v10, v9
	v_cmp_eq_u32_e32 vcc_lo, 0, v12
	s_delay_alu instid0(VALU_DEP_2) | instskip(NEXT) | instid1(VALU_DEP_1)
	v_min_u32_e32 v10, 32, v10
	v_subrev_nc_u32_e32 v11, 28, v10
	s_delay_alu instid0(VALU_DEP_1) | instskip(NEXT) | instid1(VALU_DEP_1)
	v_lshlrev_b32_e32 v11, v11, v6
	v_dual_sub_nc_u32 v10, 29, v10 :: v_dual_bitop2_b32 v11, 7, v11 bitop3:0x40
	s_delay_alu instid0(VALU_DEP_1) | instskip(SKIP_1) | instid1(VALU_DEP_2)
	v_dual_cndmask_b32 v10, v12, v10 :: v_dual_cndmask_b32 v9, v9, v11
	v_and_b32_e32 v11, 0x80000000, v4
	v_lshl_add_u32 v10, v10, 23, 0x3b800000
	s_delay_alu instid0(VALU_DEP_3) | instskip(NEXT) | instid1(VALU_DEP_1)
	v_lshlrev_b32_e32 v9, 20, v9
	v_or3_b32 v9, v11, v10, v9
.LBB290_232:
	s_or_b32 exec_lo, exec_lo, s22
	s_delay_alu instid0(VALU_DEP_1)
	v_cmp_neq_f32_e64 s22, v8, v9
.LBB290_233:
	v_cmp_ne_u32_e32 vcc_lo, 1, v3
	v_and_b32_e32 v4, 0xff, v2
	s_cbranch_vccnz .LBB290_253
.LBB290_234:
	s_mov_b32 s0, 0
	s_mov_b32 s23, exec_lo
	s_wait_xcnt 0x0
	v_cmpx_lt_i16_e32 0x7f, v4
	s_xor_b32 s23, exec_lo, s23
	s_cbranch_execnz .LBB290_421
; %bb.235:
	s_or_saveexec_b32 s23, s23
	v_mov_b32_e32 v5, 0x7f800001
	s_xor_b32 exec_lo, exec_lo, s23
	s_cbranch_execnz .LBB290_424
.LBB290_236:
	s_or_b32 exec_lo, exec_lo, s23
	s_and_saveexec_b32 s23, s0
	s_cbranch_execz .LBB290_238
.LBB290_237:
	v_and_b32_e32 v5, 7, v2
	v_bfe_u32 v8, v2, 3, 4
	s_delay_alu instid0(VALU_DEP_2) | instskip(NEXT) | instid1(VALU_DEP_2)
	v_clz_i32_u32_e32 v6, v5
	v_cmp_eq_u32_e32 vcc_lo, 0, v8
	s_delay_alu instid0(VALU_DEP_2) | instskip(NEXT) | instid1(VALU_DEP_1)
	v_min_u32_e32 v6, 32, v6
	v_subrev_nc_u32_e32 v7, 28, v6
	s_delay_alu instid0(VALU_DEP_1) | instskip(NEXT) | instid1(VALU_DEP_1)
	v_lshlrev_b32_e32 v7, v7, v2
	v_dual_sub_nc_u32 v6, 29, v6 :: v_dual_bitop2_b32 v7, 7, v7 bitop3:0x40
	s_delay_alu instid0(VALU_DEP_1) | instskip(NEXT) | instid1(VALU_DEP_2)
	v_dual_lshlrev_b32 v9, 24, v2 :: v_dual_cndmask_b32 v5, v5, v7, vcc_lo
	v_cndmask_b32_e32 v6, v8, v6, vcc_lo
	s_delay_alu instid0(VALU_DEP_2) | instskip(NEXT) | instid1(VALU_DEP_3)
	v_and_b32_e32 v7, 0x80000000, v9
	v_lshlrev_b32_e32 v5, 20, v5
	s_delay_alu instid0(VALU_DEP_3) | instskip(NEXT) | instid1(VALU_DEP_1)
	v_lshl_add_u32 v6, v6, 23, 0x3b800000
	v_or3_b32 v5, v7, v6, v5
.LBB290_238:
	s_or_b32 exec_lo, exec_lo, s23
	s_wait_loadcnt 0x0
	v_and_b32_e32 v7, 0xff, v1
	s_mov_b32 s0, 0
	s_mov_b32 s23, exec_lo
	s_delay_alu instid0(VALU_DEP_1)
	v_cmpx_lt_i16_e32 0x7f, v7
	s_xor_b32 s23, exec_lo, s23
	s_cbranch_execnz .LBB290_425
; %bb.239:
	s_or_saveexec_b32 s23, s23
	v_mov_b32_e32 v6, 0x7f800001
	s_xor_b32 exec_lo, exec_lo, s23
	s_cbranch_execnz .LBB290_428
.LBB290_240:
	s_or_b32 exec_lo, exec_lo, s23
	s_and_saveexec_b32 s23, s0
	s_cbranch_execz .LBB290_242
.LBB290_241:
	v_and_b32_e32 v6, 7, v1
	v_bfe_u32 v9, v1, 3, 4
	s_delay_alu instid0(VALU_DEP_2) | instskip(NEXT) | instid1(VALU_DEP_2)
	v_clz_i32_u32_e32 v7, v6
	v_cmp_eq_u32_e32 vcc_lo, 0, v9
	s_delay_alu instid0(VALU_DEP_2) | instskip(NEXT) | instid1(VALU_DEP_1)
	v_min_u32_e32 v7, 32, v7
	v_subrev_nc_u32_e32 v8, 28, v7
	s_delay_alu instid0(VALU_DEP_1) | instskip(NEXT) | instid1(VALU_DEP_1)
	v_dual_lshlrev_b32 v8, v8, v1 :: v_dual_sub_nc_u32 v7, 29, v7
	v_dual_lshlrev_b32 v10, 24, v1 :: v_dual_bitop2_b32 v8, 7, v8 bitop3:0x40
	s_delay_alu instid0(VALU_DEP_1) | instskip(NEXT) | instid1(VALU_DEP_2)
	v_dual_cndmask_b32 v7, v9, v7 :: v_dual_cndmask_b32 v6, v6, v8
	v_and_b32_e32 v8, 0x80000000, v10
	s_delay_alu instid0(VALU_DEP_2) | instskip(NEXT) | instid1(VALU_DEP_3)
	v_lshl_add_u32 v7, v7, 23, 0x3b800000
	v_lshlrev_b32_e32 v6, 20, v6
	s_delay_alu instid0(VALU_DEP_1)
	v_or3_b32 v6, v8, v7, v6
.LBB290_242:
	s_or_b32 exec_lo, exec_lo, s23
	s_delay_alu instid0(VALU_DEP_1)
	v_cmp_neq_f32_e64 s23, v5, v6
	s_branch .LBB290_263
.LBB290_243:
                                        ; implicit-def: $sgpr22
	s_cbranch_execz .LBB290_233
; %bb.244:
	s_mov_b32 s0, 0
	s_mov_b32 s22, exec_lo
	s_wait_xcnt 0x0
	v_cmpx_lt_i16_e32 0x7f, v7
	s_xor_b32 s22, exec_lo, s22
	s_cbranch_execnz .LBB290_541
; %bb.245:
	s_or_saveexec_b32 s22, s22
	v_mov_b32_e32 v8, 0x7f800001
	s_xor_b32 exec_lo, exec_lo, s22
	s_cbranch_execnz .LBB290_544
.LBB290_246:
	s_or_b32 exec_lo, exec_lo, s22
	s_and_saveexec_b32 s22, s0
	s_cbranch_execz .LBB290_248
.LBB290_247:
	v_bfe_u32 v8, v5, 24, 3
	s_delay_alu instid0(VALU_DEP_1) | instskip(NEXT) | instid1(VALU_DEP_1)
	v_clz_i32_u32_e32 v9, v8
	v_min_u32_e32 v9, 32, v9
	s_delay_alu instid0(VALU_DEP_1) | instskip(NEXT) | instid1(VALU_DEP_1)
	v_subrev_nc_u32_e32 v10, 28, v9
	v_dual_sub_nc_u32 v9, 29, v9 :: v_dual_lshlrev_b32 v7, v10, v7
	v_bfe_u32 v10, v5, 27, 4
	v_and_b32_e32 v5, 0x80000000, v5
	s_delay_alu instid0(VALU_DEP_2) | instskip(NEXT) | instid1(VALU_DEP_4)
	v_cmp_eq_u32_e32 vcc_lo, 0, v10
	v_dual_cndmask_b32 v9, v10, v9, vcc_lo :: v_dual_bitop2_b32 v7, 7, v7 bitop3:0x40
	s_delay_alu instid0(VALU_DEP_1) | instskip(NEXT) | instid1(VALU_DEP_2)
	v_cndmask_b32_e32 v7, v8, v7, vcc_lo
	v_lshl_add_u32 v8, v9, 23, 0x3b800000
	s_delay_alu instid0(VALU_DEP_2) | instskip(NEXT) | instid1(VALU_DEP_1)
	v_lshlrev_b32_e32 v7, 20, v7
	v_or3_b32 v8, v5, v8, v7
.LBB290_248:
	s_or_b32 exec_lo, exec_lo, s22
	s_mov_b32 s0, 0
	s_mov_b32 s22, exec_lo
	v_cmpx_lt_i16_e32 0x7f, v6
	s_xor_b32 s22, exec_lo, s22
	s_cbranch_execnz .LBB290_545
; %bb.249:
	s_or_saveexec_b32 s22, s22
	v_mov_b32_e32 v5, 0x7f800001
	s_xor_b32 exec_lo, exec_lo, s22
	s_cbranch_execnz .LBB290_548
.LBB290_250:
	s_or_b32 exec_lo, exec_lo, s22
	s_and_saveexec_b32 s22, s0
	s_cbranch_execz .LBB290_252
.LBB290_251:
	v_bfe_u32 v5, v4, 24, 3
	s_delay_alu instid0(VALU_DEP_1) | instskip(NEXT) | instid1(VALU_DEP_1)
	v_clz_i32_u32_e32 v7, v5
	v_min_u32_e32 v7, 32, v7
	s_delay_alu instid0(VALU_DEP_1) | instskip(NEXT) | instid1(VALU_DEP_1)
	v_subrev_nc_u32_e32 v9, 28, v7
	v_dual_sub_nc_u32 v7, 29, v7 :: v_dual_lshlrev_b32 v6, v9, v6
	v_bfe_u32 v9, v4, 27, 4
	v_and_b32_e32 v4, 0x80000000, v4
	s_delay_alu instid0(VALU_DEP_2) | instskip(NEXT) | instid1(VALU_DEP_4)
	v_cmp_eq_u32_e32 vcc_lo, 0, v9
	v_dual_cndmask_b32 v7, v9, v7, vcc_lo :: v_dual_bitop2_b32 v6, 7, v6 bitop3:0x40
	s_delay_alu instid0(VALU_DEP_1) | instskip(NEXT) | instid1(VALU_DEP_2)
	v_cndmask_b32_e32 v5, v5, v6, vcc_lo
	v_lshl_add_u32 v6, v7, 23, 0x3b800000
	s_delay_alu instid0(VALU_DEP_2) | instskip(NEXT) | instid1(VALU_DEP_1)
	v_lshlrev_b32_e32 v5, 20, v5
	v_or3_b32 v5, v4, v6, v5
.LBB290_252:
	s_or_b32 exec_lo, exec_lo, s22
	s_delay_alu instid0(VALU_DEP_1)
	v_cmp_eq_f32_e64 s22, v8, v5
	v_cmp_ne_u32_e32 vcc_lo, 1, v3
	v_and_b32_e32 v4, 0xff, v2
	s_cbranch_vccz .LBB290_234
.LBB290_253:
                                        ; implicit-def: $sgpr23
	s_cbranch_execz .LBB290_263
; %bb.254:
	s_mov_b32 s0, 0
	s_mov_b32 s23, exec_lo
	s_wait_xcnt 0x0
	v_cmpx_lt_i16_e32 0x7f, v4
	s_xor_b32 s23, exec_lo, s23
	s_cbranch_execnz .LBB290_549
; %bb.255:
	s_or_saveexec_b32 s23, s23
	v_mov_b32_e32 v5, 0x7f800001
	s_xor_b32 exec_lo, exec_lo, s23
	s_cbranch_execnz .LBB290_552
.LBB290_256:
	s_or_b32 exec_lo, exec_lo, s23
	s_and_saveexec_b32 s23, s0
	s_cbranch_execz .LBB290_258
.LBB290_257:
	v_and_b32_e32 v4, 7, v2
	v_bfe_u32 v7, v2, 3, 4
	s_delay_alu instid0(VALU_DEP_2) | instskip(NEXT) | instid1(VALU_DEP_2)
	v_clz_i32_u32_e32 v5, v4
	v_cmp_eq_u32_e32 vcc_lo, 0, v7
	s_delay_alu instid0(VALU_DEP_2) | instskip(NEXT) | instid1(VALU_DEP_1)
	v_min_u32_e32 v5, 32, v5
	v_subrev_nc_u32_e32 v6, 28, v5
	s_delay_alu instid0(VALU_DEP_1) | instskip(NEXT) | instid1(VALU_DEP_1)
	v_dual_lshlrev_b32 v6, v6, v2 :: v_dual_sub_nc_u32 v5, 29, v5
	v_and_b32_e32 v6, 7, v6
	s_delay_alu instid0(VALU_DEP_2) | instskip(NEXT) | instid1(VALU_DEP_2)
	v_dual_cndmask_b32 v5, v7, v5 :: v_dual_lshlrev_b32 v8, 24, v2
	v_cndmask_b32_e32 v4, v4, v6, vcc_lo
	s_delay_alu instid0(VALU_DEP_2) | instskip(NEXT) | instid1(VALU_DEP_3)
	v_and_b32_e32 v6, 0x80000000, v8
	v_lshl_add_u32 v5, v5, 23, 0x3b800000
	s_delay_alu instid0(VALU_DEP_3) | instskip(NEXT) | instid1(VALU_DEP_1)
	v_lshlrev_b32_e32 v4, 20, v4
	v_or3_b32 v5, v6, v5, v4
.LBB290_258:
	s_or_b32 exec_lo, exec_lo, s23
	s_wait_loadcnt 0x0
	v_and_b32_e32 v6, 0xff, v1
	s_mov_b32 s0, 0
	s_mov_b32 s23, exec_lo
	s_delay_alu instid0(VALU_DEP_1)
	v_cmpx_lt_i16_e32 0x7f, v6
	s_xor_b32 s23, exec_lo, s23
	s_cbranch_execnz .LBB290_553
; %bb.259:
	s_or_saveexec_b32 s23, s23
	v_mov_b32_e32 v4, 0x7f800001
	s_xor_b32 exec_lo, exec_lo, s23
	s_cbranch_execnz .LBB290_556
.LBB290_260:
	s_or_b32 exec_lo, exec_lo, s23
	s_and_saveexec_b32 s23, s0
	s_cbranch_execz .LBB290_262
.LBB290_261:
	v_and_b32_e32 v4, 7, v1
	v_bfe_u32 v8, v1, 3, 4
	s_delay_alu instid0(VALU_DEP_2) | instskip(NEXT) | instid1(VALU_DEP_2)
	v_clz_i32_u32_e32 v6, v4
	v_cmp_eq_u32_e32 vcc_lo, 0, v8
	s_delay_alu instid0(VALU_DEP_2) | instskip(NEXT) | instid1(VALU_DEP_1)
	v_min_u32_e32 v6, 32, v6
	v_subrev_nc_u32_e32 v7, 28, v6
	s_delay_alu instid0(VALU_DEP_1) | instskip(NEXT) | instid1(VALU_DEP_1)
	v_dual_lshlrev_b32 v7, v7, v1 :: v_dual_sub_nc_u32 v6, 29, v6
	v_dual_lshlrev_b32 v9, 24, v1 :: v_dual_bitop2_b32 v7, 7, v7 bitop3:0x40
	s_delay_alu instid0(VALU_DEP_2) | instskip(NEXT) | instid1(VALU_DEP_2)
	v_cndmask_b32_e32 v6, v8, v6, vcc_lo
	v_cndmask_b32_e32 v4, v4, v7, vcc_lo
	s_delay_alu instid0(VALU_DEP_3) | instskip(NEXT) | instid1(VALU_DEP_3)
	v_and_b32_e32 v7, 0x80000000, v9
	v_lshl_add_u32 v6, v6, 23, 0x3b800000
	s_delay_alu instid0(VALU_DEP_3) | instskip(NEXT) | instid1(VALU_DEP_1)
	v_lshlrev_b32_e32 v4, 20, v4
	v_or3_b32 v4, v7, v6, v4
.LBB290_262:
	s_or_b32 exec_lo, exec_lo, s23
	s_delay_alu instid0(VALU_DEP_1)
	v_cmp_eq_f32_e64 s23, v5, v4
.LBB290_263:
	s_wait_loadcnt 0x0
	v_dual_lshrrev_b32 v5, 8, v2 :: v_dual_lshrrev_b32 v4, 8, v1
	v_cmp_ne_u32_e32 vcc_lo, 1, v3
	s_delay_alu instid0(VALU_DEP_2)
	v_and_b32_e32 v6, 0xff, v5
	s_cbranch_vccnz .LBB290_273
; %bb.264:
	s_mov_b32 s0, 0
	s_mov_b32 s24, exec_lo
	s_delay_alu instid0(VALU_DEP_1)
	v_cmpx_lt_i16_e32 0x7f, v6
	s_xor_b32 s24, exec_lo, s24
	s_cbranch_execnz .LBB290_429
; %bb.265:
	s_or_saveexec_b32 s24, s24
	v_mov_b32_e32 v7, 0x7f800001
	s_xor_b32 exec_lo, exec_lo, s24
	s_cbranch_execnz .LBB290_432
.LBB290_266:
	s_or_b32 exec_lo, exec_lo, s24
	s_and_saveexec_b32 s24, s0
	s_cbranch_execz .LBB290_268
.LBB290_267:
	v_bfe_u32 v7, v2, 8, 3
	v_bfe_u32 v10, v2, 11, 4
	s_delay_alu instid0(VALU_DEP_2) | instskip(NEXT) | instid1(VALU_DEP_2)
	v_clz_i32_u32_e32 v8, v7
	v_cmp_eq_u32_e32 vcc_lo, 0, v10
	s_delay_alu instid0(VALU_DEP_2) | instskip(NEXT) | instid1(VALU_DEP_1)
	v_min_u32_e32 v8, 32, v8
	v_subrev_nc_u32_e32 v9, 28, v8
	s_delay_alu instid0(VALU_DEP_1) | instskip(NEXT) | instid1(VALU_DEP_1)
	v_dual_sub_nc_u32 v8, 29, v8 :: v_dual_lshlrev_b32 v9, v9, v5
	v_dual_cndmask_b32 v8, v10, v8, vcc_lo :: v_dual_bitop2_b32 v9, 7, v9 bitop3:0x40
	s_delay_alu instid0(VALU_DEP_1) | instskip(NEXT) | instid1(VALU_DEP_2)
	v_lshl_add_u32 v8, v8, 23, 0x3b800000
	v_cndmask_b32_e32 v7, v7, v9, vcc_lo
	s_delay_alu instid0(VALU_DEP_1) | instskip(NEXT) | instid1(VALU_DEP_1)
	v_dual_lshlrev_b32 v11, 24, v5 :: v_dual_lshlrev_b32 v7, 20, v7
	v_and_b32_e32 v9, 0x80000000, v11
	s_delay_alu instid0(VALU_DEP_1)
	v_or3_b32 v7, v9, v8, v7
.LBB290_268:
	s_or_b32 exec_lo, exec_lo, s24
	v_and_b32_e32 v9, 0xff, v4
	s_mov_b32 s0, 0
	s_mov_b32 s24, exec_lo
	s_delay_alu instid0(VALU_DEP_1)
	v_cmpx_lt_i16_e32 0x7f, v9
	s_xor_b32 s24, exec_lo, s24
	s_cbranch_execnz .LBB290_433
; %bb.269:
	s_or_saveexec_b32 s24, s24
	v_mov_b32_e32 v8, 0x7f800001
	s_xor_b32 exec_lo, exec_lo, s24
	s_cbranch_execnz .LBB290_436
.LBB290_270:
	s_or_b32 exec_lo, exec_lo, s24
	s_and_saveexec_b32 s24, s0
	s_cbranch_execz .LBB290_272
.LBB290_271:
	v_bfe_u32 v8, v1, 8, 3
	v_bfe_u32 v11, v1, 11, 4
	v_lshlrev_b32_e32 v12, 24, v4
	s_delay_alu instid0(VALU_DEP_3) | instskip(NEXT) | instid1(VALU_DEP_3)
	v_clz_i32_u32_e32 v9, v8
	v_cmp_eq_u32_e32 vcc_lo, 0, v11
	s_delay_alu instid0(VALU_DEP_2) | instskip(NEXT) | instid1(VALU_DEP_1)
	v_min_u32_e32 v9, 32, v9
	v_subrev_nc_u32_e32 v10, 28, v9
	s_delay_alu instid0(VALU_DEP_1) | instskip(NEXT) | instid1(VALU_DEP_1)
	v_dual_sub_nc_u32 v9, 29, v9 :: v_dual_lshlrev_b32 v10, v10, v4
	v_dual_cndmask_b32 v9, v11, v9, vcc_lo :: v_dual_bitop2_b32 v10, 7, v10 bitop3:0x40
	s_delay_alu instid0(VALU_DEP_1) | instskip(SKIP_1) | instid1(VALU_DEP_3)
	v_cndmask_b32_e32 v8, v8, v10, vcc_lo
	v_and_b32_e32 v10, 0x80000000, v12
	v_lshl_add_u32 v9, v9, 23, 0x3b800000
	s_delay_alu instid0(VALU_DEP_3) | instskip(NEXT) | instid1(VALU_DEP_1)
	v_lshlrev_b32_e32 v8, 20, v8
	v_or3_b32 v8, v10, v9, v8
.LBB290_272:
	s_or_b32 exec_lo, exec_lo, s24
	s_delay_alu instid0(VALU_DEP_1)
	v_cmp_neq_f32_e64 s24, v7, v8
	s_branch .LBB290_283
.LBB290_273:
                                        ; implicit-def: $sgpr24
	s_cbranch_execz .LBB290_283
; %bb.274:
	s_mov_b32 s0, 0
	s_mov_b32 s24, exec_lo
	v_cmpx_lt_i16_e32 0x7f, v6
	s_xor_b32 s24, exec_lo, s24
	s_cbranch_execnz .LBB290_557
; %bb.275:
	s_or_saveexec_b32 s24, s24
	v_mov_b32_e32 v7, 0x7f800001
	s_xor_b32 exec_lo, exec_lo, s24
	s_cbranch_execnz .LBB290_560
.LBB290_276:
	s_or_b32 exec_lo, exec_lo, s24
	s_and_saveexec_b32 s24, s0
	s_cbranch_execz .LBB290_278
.LBB290_277:
	v_bfe_u32 v6, v2, 8, 3
	v_bfe_u32 v9, v2, 11, 4
	s_delay_alu instid0(VALU_DEP_2) | instskip(NEXT) | instid1(VALU_DEP_2)
	v_clz_i32_u32_e32 v7, v6
	v_cmp_eq_u32_e32 vcc_lo, 0, v9
	s_delay_alu instid0(VALU_DEP_2) | instskip(NEXT) | instid1(VALU_DEP_1)
	v_min_u32_e32 v7, 32, v7
	v_subrev_nc_u32_e32 v8, 28, v7
	s_delay_alu instid0(VALU_DEP_1) | instskip(NEXT) | instid1(VALU_DEP_1)
	v_dual_sub_nc_u32 v7, 29, v7 :: v_dual_lshlrev_b32 v8, v8, v5
	v_dual_lshlrev_b32 v5, 24, v5 :: v_dual_bitop2_b32 v8, 7, v8 bitop3:0x40
	s_delay_alu instid0(VALU_DEP_2) | instskip(NEXT) | instid1(VALU_DEP_2)
	v_cndmask_b32_e32 v7, v9, v7, vcc_lo
	v_and_b32_e32 v5, 0x80000000, v5
	s_delay_alu instid0(VALU_DEP_3) | instskip(NEXT) | instid1(VALU_DEP_3)
	v_cndmask_b32_e32 v6, v6, v8, vcc_lo
	v_lshl_add_u32 v7, v7, 23, 0x3b800000
	s_delay_alu instid0(VALU_DEP_2) | instskip(NEXT) | instid1(VALU_DEP_1)
	v_lshlrev_b32_e32 v6, 20, v6
	v_or3_b32 v7, v5, v7, v6
.LBB290_278:
	s_or_b32 exec_lo, exec_lo, s24
	v_and_b32_e32 v6, 0xff, v4
	s_mov_b32 s0, 0
	s_mov_b32 s24, exec_lo
	s_delay_alu instid0(VALU_DEP_1)
	v_cmpx_lt_i16_e32 0x7f, v6
	s_xor_b32 s24, exec_lo, s24
	s_cbranch_execnz .LBB290_561
; %bb.279:
	s_or_saveexec_b32 s24, s24
	v_mov_b32_e32 v5, 0x7f800001
	s_xor_b32 exec_lo, exec_lo, s24
	s_cbranch_execnz .LBB290_564
.LBB290_280:
	s_or_b32 exec_lo, exec_lo, s24
	s_and_saveexec_b32 s24, s0
	s_cbranch_execz .LBB290_282
.LBB290_281:
	v_bfe_u32 v5, v1, 8, 3
	v_bfe_u32 v9, v1, 11, 4
	s_delay_alu instid0(VALU_DEP_2) | instskip(NEXT) | instid1(VALU_DEP_2)
	v_clz_i32_u32_e32 v6, v5
	v_cmp_eq_u32_e32 vcc_lo, 0, v9
	s_delay_alu instid0(VALU_DEP_2) | instskip(NEXT) | instid1(VALU_DEP_1)
	v_min_u32_e32 v6, 32, v6
	v_subrev_nc_u32_e32 v8, 28, v6
	s_delay_alu instid0(VALU_DEP_1) | instskip(NEXT) | instid1(VALU_DEP_1)
	v_dual_sub_nc_u32 v6, 29, v6 :: v_dual_lshlrev_b32 v8, v8, v4
	v_dual_cndmask_b32 v6, v9, v6, vcc_lo :: v_dual_bitop2_b32 v8, 7, v8 bitop3:0x40
	s_delay_alu instid0(VALU_DEP_1) | instskip(NEXT) | instid1(VALU_DEP_2)
	v_lshl_add_u32 v6, v6, 23, 0x3b800000
	v_cndmask_b32_e32 v5, v5, v8, vcc_lo
	s_delay_alu instid0(VALU_DEP_1) | instskip(NEXT) | instid1(VALU_DEP_1)
	v_dual_lshlrev_b32 v4, 24, v4 :: v_dual_lshlrev_b32 v5, 20, v5
	v_and_b32_e32 v4, 0x80000000, v4
	s_delay_alu instid0(VALU_DEP_1)
	v_or3_b32 v5, v4, v6, v5
.LBB290_282:
	s_or_b32 exec_lo, exec_lo, s24
	s_delay_alu instid0(VALU_DEP_1)
	v_cmp_eq_f32_e64 s24, v7, v5
.LBB290_283:
	v_dual_lshrrev_b32 v5, 16, v2 :: v_dual_lshrrev_b32 v4, 16, v1
	v_cmp_ne_u32_e32 vcc_lo, 1, v3
	s_delay_alu instid0(VALU_DEP_2)
	v_and_b32_e32 v6, 0xff, v5
	s_cbranch_vccnz .LBB290_293
; %bb.284:
	s_mov_b32 s0, 0
	s_mov_b32 s25, exec_lo
	s_delay_alu instid0(VALU_DEP_1)
	v_cmpx_lt_i16_e32 0x7f, v6
	s_xor_b32 s25, exec_lo, s25
	s_cbranch_execnz .LBB290_437
; %bb.285:
	s_or_saveexec_b32 s25, s25
	v_mov_b32_e32 v7, 0x7f800001
	s_xor_b32 exec_lo, exec_lo, s25
	s_cbranch_execnz .LBB290_440
.LBB290_286:
	s_or_b32 exec_lo, exec_lo, s25
	s_and_saveexec_b32 s25, s0
	s_cbranch_execz .LBB290_288
.LBB290_287:
	v_bfe_u32 v7, v2, 16, 3
	v_bfe_u32 v10, v2, 19, 4
	s_delay_alu instid0(VALU_DEP_2) | instskip(NEXT) | instid1(VALU_DEP_2)
	v_clz_i32_u32_e32 v8, v7
	v_cmp_eq_u32_e32 vcc_lo, 0, v10
	s_delay_alu instid0(VALU_DEP_2) | instskip(NEXT) | instid1(VALU_DEP_1)
	v_min_u32_e32 v8, 32, v8
	v_subrev_nc_u32_e32 v9, 28, v8
	s_delay_alu instid0(VALU_DEP_1) | instskip(NEXT) | instid1(VALU_DEP_1)
	v_dual_sub_nc_u32 v8, 29, v8 :: v_dual_lshlrev_b32 v9, v9, v5
	v_dual_cndmask_b32 v8, v10, v8, vcc_lo :: v_dual_bitop2_b32 v9, 7, v9 bitop3:0x40
	s_delay_alu instid0(VALU_DEP_1) | instskip(NEXT) | instid1(VALU_DEP_2)
	v_lshl_add_u32 v8, v8, 23, 0x3b800000
	v_cndmask_b32_e32 v7, v7, v9, vcc_lo
	s_delay_alu instid0(VALU_DEP_1) | instskip(NEXT) | instid1(VALU_DEP_1)
	v_dual_lshlrev_b32 v11, 24, v5 :: v_dual_lshlrev_b32 v7, 20, v7
	v_and_b32_e32 v9, 0x80000000, v11
	s_delay_alu instid0(VALU_DEP_1)
	v_or3_b32 v7, v9, v8, v7
.LBB290_288:
	s_or_b32 exec_lo, exec_lo, s25
	v_and_b32_e32 v9, 0xff, v4
	s_mov_b32 s0, 0
	s_mov_b32 s25, exec_lo
	s_delay_alu instid0(VALU_DEP_1)
	v_cmpx_lt_i16_e32 0x7f, v9
	s_xor_b32 s25, exec_lo, s25
	s_cbranch_execnz .LBB290_441
; %bb.289:
	s_or_saveexec_b32 s25, s25
	v_mov_b32_e32 v8, 0x7f800001
	s_xor_b32 exec_lo, exec_lo, s25
	s_cbranch_execnz .LBB290_444
.LBB290_290:
	s_or_b32 exec_lo, exec_lo, s25
	s_and_saveexec_b32 s25, s0
	s_cbranch_execz .LBB290_292
.LBB290_291:
	v_bfe_u32 v8, v1, 16, 3
	v_bfe_u32 v11, v1, 19, 4
	v_lshlrev_b32_e32 v12, 24, v4
	s_delay_alu instid0(VALU_DEP_3) | instskip(NEXT) | instid1(VALU_DEP_3)
	v_clz_i32_u32_e32 v9, v8
	v_cmp_eq_u32_e32 vcc_lo, 0, v11
	s_delay_alu instid0(VALU_DEP_2) | instskip(NEXT) | instid1(VALU_DEP_1)
	v_min_u32_e32 v9, 32, v9
	v_subrev_nc_u32_e32 v10, 28, v9
	s_delay_alu instid0(VALU_DEP_1) | instskip(NEXT) | instid1(VALU_DEP_1)
	v_dual_sub_nc_u32 v9, 29, v9 :: v_dual_lshlrev_b32 v10, v10, v4
	v_dual_cndmask_b32 v9, v11, v9, vcc_lo :: v_dual_bitop2_b32 v10, 7, v10 bitop3:0x40
	s_delay_alu instid0(VALU_DEP_1) | instskip(SKIP_1) | instid1(VALU_DEP_3)
	v_cndmask_b32_e32 v8, v8, v10, vcc_lo
	v_and_b32_e32 v10, 0x80000000, v12
	v_lshl_add_u32 v9, v9, 23, 0x3b800000
	s_delay_alu instid0(VALU_DEP_3) | instskip(NEXT) | instid1(VALU_DEP_1)
	v_lshlrev_b32_e32 v8, 20, v8
	v_or3_b32 v8, v10, v9, v8
.LBB290_292:
	s_or_b32 exec_lo, exec_lo, s25
	s_delay_alu instid0(VALU_DEP_1)
	v_cmp_neq_f32_e64 s25, v7, v8
	s_branch .LBB290_303
.LBB290_293:
                                        ; implicit-def: $sgpr25
	s_cbranch_execz .LBB290_303
; %bb.294:
	s_mov_b32 s0, 0
	s_mov_b32 s25, exec_lo
	v_cmpx_lt_i16_e32 0x7f, v6
	s_xor_b32 s25, exec_lo, s25
	s_cbranch_execnz .LBB290_565
; %bb.295:
	s_or_saveexec_b32 s25, s25
	v_mov_b32_e32 v7, 0x7f800001
	s_xor_b32 exec_lo, exec_lo, s25
	s_cbranch_execnz .LBB290_568
.LBB290_296:
	s_or_b32 exec_lo, exec_lo, s25
	s_and_saveexec_b32 s25, s0
	s_cbranch_execz .LBB290_298
.LBB290_297:
	v_bfe_u32 v6, v2, 16, 3
	v_bfe_u32 v9, v2, 19, 4
	s_delay_alu instid0(VALU_DEP_2) | instskip(NEXT) | instid1(VALU_DEP_2)
	v_clz_i32_u32_e32 v7, v6
	v_cmp_eq_u32_e32 vcc_lo, 0, v9
	s_delay_alu instid0(VALU_DEP_2) | instskip(NEXT) | instid1(VALU_DEP_1)
	v_min_u32_e32 v7, 32, v7
	v_subrev_nc_u32_e32 v8, 28, v7
	s_delay_alu instid0(VALU_DEP_1) | instskip(NEXT) | instid1(VALU_DEP_1)
	v_dual_sub_nc_u32 v7, 29, v7 :: v_dual_lshlrev_b32 v8, v8, v5
	v_dual_lshlrev_b32 v5, 24, v5 :: v_dual_bitop2_b32 v8, 7, v8 bitop3:0x40
	s_delay_alu instid0(VALU_DEP_2) | instskip(NEXT) | instid1(VALU_DEP_2)
	v_cndmask_b32_e32 v7, v9, v7, vcc_lo
	v_and_b32_e32 v5, 0x80000000, v5
	s_delay_alu instid0(VALU_DEP_3) | instskip(NEXT) | instid1(VALU_DEP_3)
	v_cndmask_b32_e32 v6, v6, v8, vcc_lo
	v_lshl_add_u32 v7, v7, 23, 0x3b800000
	s_delay_alu instid0(VALU_DEP_2) | instskip(NEXT) | instid1(VALU_DEP_1)
	v_lshlrev_b32_e32 v6, 20, v6
	v_or3_b32 v7, v5, v7, v6
.LBB290_298:
	s_or_b32 exec_lo, exec_lo, s25
	v_and_b32_e32 v6, 0xff, v4
	s_mov_b32 s0, 0
	s_mov_b32 s25, exec_lo
	s_delay_alu instid0(VALU_DEP_1)
	v_cmpx_lt_i16_e32 0x7f, v6
	s_xor_b32 s25, exec_lo, s25
	s_cbranch_execnz .LBB290_569
; %bb.299:
	s_or_saveexec_b32 s25, s25
	v_mov_b32_e32 v5, 0x7f800001
	s_xor_b32 exec_lo, exec_lo, s25
	s_cbranch_execnz .LBB290_572
.LBB290_300:
	s_or_b32 exec_lo, exec_lo, s25
	s_and_saveexec_b32 s25, s0
	s_cbranch_execz .LBB290_302
.LBB290_301:
	v_bfe_u32 v5, v1, 16, 3
	v_bfe_u32 v9, v1, 19, 4
	s_delay_alu instid0(VALU_DEP_2) | instskip(NEXT) | instid1(VALU_DEP_2)
	v_clz_i32_u32_e32 v6, v5
	v_cmp_eq_u32_e32 vcc_lo, 0, v9
	s_delay_alu instid0(VALU_DEP_2) | instskip(NEXT) | instid1(VALU_DEP_1)
	v_min_u32_e32 v6, 32, v6
	v_subrev_nc_u32_e32 v8, 28, v6
	s_delay_alu instid0(VALU_DEP_1) | instskip(NEXT) | instid1(VALU_DEP_1)
	v_dual_sub_nc_u32 v6, 29, v6 :: v_dual_lshlrev_b32 v8, v8, v4
	v_dual_cndmask_b32 v6, v9, v6, vcc_lo :: v_dual_bitop2_b32 v8, 7, v8 bitop3:0x40
	s_delay_alu instid0(VALU_DEP_1) | instskip(NEXT) | instid1(VALU_DEP_2)
	v_lshl_add_u32 v6, v6, 23, 0x3b800000
	v_cndmask_b32_e32 v5, v5, v8, vcc_lo
	s_delay_alu instid0(VALU_DEP_1) | instskip(NEXT) | instid1(VALU_DEP_1)
	v_dual_lshlrev_b32 v4, 24, v4 :: v_dual_lshlrev_b32 v5, 20, v5
	v_and_b32_e32 v4, 0x80000000, v4
	s_delay_alu instid0(VALU_DEP_1)
	v_or3_b32 v5, v4, v6, v5
.LBB290_302:
	s_or_b32 exec_lo, exec_lo, s25
	s_delay_alu instid0(VALU_DEP_1)
	v_cmp_eq_f32_e64 s25, v7, v5
.LBB290_303:
	v_lshrrev_b32_e32 v4, 24, v2
	v_cmp_ne_u32_e32 vcc_lo, 1, v3
	v_lshrrev_b32_e32 v3, 24, v1
	s_delay_alu instid0(VALU_DEP_3)
	v_cmp_lt_i16_e64 s0, 0x7f, v4
	s_cbranch_vccnz .LBB290_313
; %bb.304:
	s_mov_b32 s26, 0
	s_and_saveexec_b32 s27, s0
	s_delay_alu instid0(SALU_CYCLE_1)
	s_xor_b32 s0, exec_lo, s27
	s_cbranch_execnz .LBB290_445
; %bb.305:
	s_or_saveexec_b32 s0, s0
	v_mov_b32_e32 v5, 0x7f800001
	s_xor_b32 exec_lo, exec_lo, s0
	s_cbranch_execnz .LBB290_448
.LBB290_306:
	s_or_b32 exec_lo, exec_lo, s0
	s_and_saveexec_b32 s0, s26
	s_cbranch_execz .LBB290_308
.LBB290_307:
	v_bfe_u32 v5, v2, 24, 3
	v_bfe_u32 v8, v2, 27, 4
	s_delay_alu instid0(VALU_DEP_2) | instskip(NEXT) | instid1(VALU_DEP_2)
	v_clz_i32_u32_e32 v6, v5
	v_cmp_eq_u32_e32 vcc_lo, 0, v8
	s_delay_alu instid0(VALU_DEP_2) | instskip(NEXT) | instid1(VALU_DEP_1)
	v_min_u32_e32 v6, 32, v6
	v_subrev_nc_u32_e32 v7, 28, v6
	s_delay_alu instid0(VALU_DEP_1) | instskip(NEXT) | instid1(VALU_DEP_1)
	v_dual_sub_nc_u32 v6, 29, v6 :: v_dual_lshlrev_b32 v7, v7, v4
	v_dual_cndmask_b32 v6, v8, v6, vcc_lo :: v_dual_bitop2_b32 v7, 7, v7 bitop3:0x40
	s_delay_alu instid0(VALU_DEP_1) | instskip(NEXT) | instid1(VALU_DEP_2)
	v_lshl_add_u32 v6, v6, 23, 0x3b800000
	v_cndmask_b32_e32 v5, v5, v7, vcc_lo
	v_and_b32_e32 v7, 0x80000000, v2
	s_delay_alu instid0(VALU_DEP_2) | instskip(NEXT) | instid1(VALU_DEP_1)
	v_lshlrev_b32_e32 v5, 20, v5
	v_or3_b32 v5, v7, v6, v5
.LBB290_308:
	s_or_b32 exec_lo, exec_lo, s0
	s_mov_b32 s0, 0
	s_mov_b32 s26, exec_lo
	v_cmpx_lt_i16_e32 0x7f, v3
	s_xor_b32 s26, exec_lo, s26
	s_cbranch_execnz .LBB290_449
; %bb.309:
	s_or_saveexec_b32 s26, s26
	v_mov_b32_e32 v6, 0x7f800001
	s_xor_b32 exec_lo, exec_lo, s26
	s_cbranch_execnz .LBB290_452
.LBB290_310:
	s_or_b32 exec_lo, exec_lo, s26
	s_and_saveexec_b32 s26, s0
	s_cbranch_execz .LBB290_312
.LBB290_311:
	v_bfe_u32 v6, v1, 24, 3
	v_bfe_u32 v9, v1, 27, 4
	s_delay_alu instid0(VALU_DEP_2) | instskip(NEXT) | instid1(VALU_DEP_2)
	v_clz_i32_u32_e32 v7, v6
	v_cmp_eq_u32_e32 vcc_lo, 0, v9
	s_delay_alu instid0(VALU_DEP_2) | instskip(NEXT) | instid1(VALU_DEP_1)
	v_min_u32_e32 v7, 32, v7
	v_subrev_nc_u32_e32 v8, 28, v7
	s_delay_alu instid0(VALU_DEP_1) | instskip(NEXT) | instid1(VALU_DEP_1)
	v_lshlrev_b32_e32 v8, v8, v3
	v_dual_sub_nc_u32 v7, 29, v7 :: v_dual_bitop2_b32 v8, 7, v8 bitop3:0x40
	s_delay_alu instid0(VALU_DEP_1) | instskip(SKIP_1) | instid1(VALU_DEP_2)
	v_dual_cndmask_b32 v7, v9, v7 :: v_dual_cndmask_b32 v6, v6, v8
	v_and_b32_e32 v8, 0x80000000, v1
	v_lshl_add_u32 v7, v7, 23, 0x3b800000
	s_delay_alu instid0(VALU_DEP_3) | instskip(NEXT) | instid1(VALU_DEP_1)
	v_lshlrev_b32_e32 v6, 20, v6
	v_or3_b32 v6, v8, v7, v6
.LBB290_312:
	s_or_b32 exec_lo, exec_lo, s26
	s_delay_alu instid0(VALU_DEP_1)
	v_cmp_neq_f32_e64 s0, v5, v6
	s_branch .LBB290_323
.LBB290_313:
                                        ; implicit-def: $sgpr0
	s_cbranch_execz .LBB290_323
; %bb.314:
	s_mov_b32 s0, 0
	s_mov_b32 s26, exec_lo
	v_cmpx_lt_i16_e32 0x7f, v4
	s_xor_b32 s26, exec_lo, s26
	s_cbranch_execnz .LBB290_573
; %bb.315:
	s_or_saveexec_b32 s26, s26
	v_mov_b32_e32 v5, 0x7f800001
	s_xor_b32 exec_lo, exec_lo, s26
	s_cbranch_execnz .LBB290_576
.LBB290_316:
	s_or_b32 exec_lo, exec_lo, s26
	s_and_saveexec_b32 s26, s0
	s_cbranch_execz .LBB290_318
.LBB290_317:
	v_bfe_u32 v5, v2, 24, 3
	s_delay_alu instid0(VALU_DEP_1) | instskip(NEXT) | instid1(VALU_DEP_1)
	v_clz_i32_u32_e32 v6, v5
	v_min_u32_e32 v6, 32, v6
	s_delay_alu instid0(VALU_DEP_1) | instskip(NEXT) | instid1(VALU_DEP_1)
	v_subrev_nc_u32_e32 v7, 28, v6
	v_dual_sub_nc_u32 v6, 29, v6 :: v_dual_lshlrev_b32 v4, v7, v4
	v_bfe_u32 v7, v2, 27, 4
	v_and_b32_e32 v2, 0x80000000, v2
	s_delay_alu instid0(VALU_DEP_2) | instskip(NEXT) | instid1(VALU_DEP_4)
	v_cmp_eq_u32_e32 vcc_lo, 0, v7
	v_dual_cndmask_b32 v6, v7, v6, vcc_lo :: v_dual_bitop2_b32 v4, 7, v4 bitop3:0x40
	s_delay_alu instid0(VALU_DEP_1) | instskip(NEXT) | instid1(VALU_DEP_2)
	v_cndmask_b32_e32 v4, v5, v4, vcc_lo
	v_lshl_add_u32 v5, v6, 23, 0x3b800000
	s_delay_alu instid0(VALU_DEP_2) | instskip(NEXT) | instid1(VALU_DEP_1)
	v_lshlrev_b32_e32 v4, 20, v4
	v_or3_b32 v5, v2, v5, v4
.LBB290_318:
	s_or_b32 exec_lo, exec_lo, s26
	s_mov_b32 s0, 0
	s_mov_b32 s26, exec_lo
	v_cmpx_lt_i16_e32 0x7f, v3
	s_xor_b32 s26, exec_lo, s26
	s_cbranch_execnz .LBB290_577
; %bb.319:
	s_or_saveexec_b32 s26, s26
	v_mov_b32_e32 v2, 0x7f800001
	s_xor_b32 exec_lo, exec_lo, s26
	s_cbranch_execnz .LBB290_580
.LBB290_320:
	s_or_b32 exec_lo, exec_lo, s26
	s_and_saveexec_b32 s26, s0
	s_cbranch_execz .LBB290_322
.LBB290_321:
	v_bfe_u32 v2, v1, 24, 3
	s_delay_alu instid0(VALU_DEP_1) | instskip(NEXT) | instid1(VALU_DEP_1)
	v_clz_i32_u32_e32 v4, v2
	v_min_u32_e32 v4, 32, v4
	s_delay_alu instid0(VALU_DEP_1) | instskip(NEXT) | instid1(VALU_DEP_1)
	v_subrev_nc_u32_e32 v6, 28, v4
	v_dual_sub_nc_u32 v4, 29, v4 :: v_dual_lshlrev_b32 v3, v6, v3
	v_bfe_u32 v6, v1, 27, 4
	v_and_b32_e32 v1, 0x80000000, v1
	s_delay_alu instid0(VALU_DEP_2) | instskip(NEXT) | instid1(VALU_DEP_4)
	v_cmp_eq_u32_e32 vcc_lo, 0, v6
	v_dual_cndmask_b32 v4, v6, v4, vcc_lo :: v_dual_bitop2_b32 v3, 7, v3 bitop3:0x40
	s_delay_alu instid0(VALU_DEP_1) | instskip(NEXT) | instid1(VALU_DEP_2)
	v_cndmask_b32_e32 v2, v2, v3, vcc_lo
	v_lshl_add_u32 v3, v4, 23, 0x3b800000
	s_delay_alu instid0(VALU_DEP_2) | instskip(NEXT) | instid1(VALU_DEP_1)
	v_lshlrev_b32_e32 v2, 20, v2
	v_or3_b32 v2, v1, v3, v2
.LBB290_322:
	s_or_b32 exec_lo, exec_lo, s26
	s_delay_alu instid0(VALU_DEP_1)
	v_cmp_eq_f32_e64 s0, v5, v2
.LBB290_323:
	v_cndmask_b32_e64 v1, 0, 1, s12
	v_cndmask_b32_e64 v2, 0, 1, s14
	;; [unrolled: 1-line block ×5, first 2 shown]
	v_lshlrev_b16 v1, 8, v1
	v_lshlrev_b16 v2, 8, v2
	v_cndmask_b32_e64 v6, 0, 1, s15
	v_lshlrev_b16 v4, 8, v4
	v_cndmask_b32_e64 v7, 0, 1, s22
	v_cndmask_b32_e64 v8, 0, 1, s24
	v_or_b32_e32 v2, v5, v2
	v_or_b32_e32 v1, v3, v1
	;; [unrolled: 1-line block ×3, first 2 shown]
	v_cndmask_b32_e64 v4, 0, 1, s18
	v_cndmask_b32_e64 v5, 0, 1, s20
	;; [unrolled: 1-line block ×4, first 2 shown]
	v_lshlrev_b16 v7, 8, v7
	v_lshlrev_b16 v4, 8, v4
	v_cndmask_b32_e64 v11, 0, 1, s21
	v_lshlrev_b16 v5, 8, v5
	v_cndmask_b32_e64 v9, 0, 1, s19
	;; [unrolled: 2-line block ×4, first 2 shown]
	v_or_b32_e32 v4, v6, v4
	v_or_b32_e32 v6, v11, v7
	;; [unrolled: 1-line block ×3, first 2 shown]
	s_add_nc_u64 s[10:11], s[4:5], s[10:11]
	v_or_b32_e32 v8, v13, v10
	v_dual_lshlrev_b32 v4, 16, v4 :: v_dual_bitop2_b32 v5, v9, v5 bitop3:0x54
	v_lshlrev_b32_e32 v2, 16, v2
	v_and_b32_e32 v1, 0xffff, v1
	v_lshlrev_b32_e32 v6, 16, v6
	v_and_b32_e32 v3, 0xffff, v3
	;; [unrolled: 2-line block ×3, first 2 shown]
	v_and_b32_e32 v7, 0xffff, v7
	v_or_b32_e32 v1, v1, v2
	v_or_b32_e32 v2, v3, v4
	s_delay_alu instid0(VALU_DEP_4) | instskip(NEXT) | instid1(VALU_DEP_4)
	v_or_b32_e32 v3, v5, v6
	v_or_b32_e32 v4, v7, v8
	s_clause 0x3
	global_store_b32 v0, v1, s[10:11] scale_offset
	global_store_b32 v0, v2, s[10:11] offset:1024 scale_offset
	global_store_b32 v0, v3, s[10:11] offset:2048 scale_offset
	;; [unrolled: 1-line block ×3, first 2 shown]
	s_branch .LBB290_2
.LBB290_324:
	s_wait_xcnt 0x0
	v_dual_mov_b32 v31, v0 :: v_dual_mov_b32 v0, s9
	v_dual_mov_b32 v1, s4 :: v_dual_mov_b32 v2, s5
	;; [unrolled: 1-line block ×4, first 2 shown]
	v_mov_b32_e32 v7, s1
	s_get_pc_i64 s[10:11]
	s_add_nc_u64 s[10:11], s[10:11], _ZN2at6native25elementwise_kernel_helperILb0ENS0_13BinaryFunctorIN3c1015Float8_e4m3fnuzES4_bNS0_12_GLOBAL__N_116CompareEqFunctorIS4_EEEENS0_6memory8policies11unroll_baseILi256ESt5arrayIPcLm3EE23TrivialOffsetCalculatorILi2EjESF_ILi1EjENS9_15LoadWithoutCastENS9_16StoreWithoutCastELi16ELi1EEEEEvT0_T1_@rel64+4
	s_delay_alu instid0(SALU_CYCLE_1)
	s_swap_pc_i64 s[30:31], s[10:11]
	s_endpgm
.LBB290_325:
	s_mov_b32 s8, -1
	s_mov_b32 s13, exec_lo
	v_cmpx_eq_u16_e32 0x80, v3
; %bb.326:
	s_xor_b32 s8, exec_lo, -1
; %bb.327:
	s_or_b32 exec_lo, exec_lo, s13
	s_delay_alu instid0(SALU_CYCLE_1)
	s_and_b32 s8, s8, exec_lo
	s_or_saveexec_b32 s12, s12
	v_mov_b32_e32 v10, 0x7f800001
	s_xor_b32 exec_lo, exec_lo, s12
	s_cbranch_execz .LBB290_6
.LBB290_328:
	v_cmp_ne_u16_e32 vcc_lo, 0, v3
	v_mov_b32_e32 v10, 0
	s_and_not1_b32 s8, s8, exec_lo
	s_and_b32 s13, vcc_lo, exec_lo
	s_delay_alu instid0(SALU_CYCLE_1)
	s_or_b32 s8, s8, s13
	s_or_b32 exec_lo, exec_lo, s12
	s_and_saveexec_b32 s12, s8
	s_cbranch_execnz .LBB290_7
	s_branch .LBB290_8
.LBB290_329:
	s_mov_b32 s8, -1
	s_mov_b32 s13, exec_lo
	v_cmpx_eq_u16_e32 0x80, v12
; %bb.330:
	s_xor_b32 s8, exec_lo, -1
; %bb.331:
	s_or_b32 exec_lo, exec_lo, s13
	s_delay_alu instid0(SALU_CYCLE_1)
	s_and_b32 s8, s8, exec_lo
                                        ; implicit-def: $vgpr12
	s_or_saveexec_b32 s12, s12
	v_mov_b32_e32 v11, 0x7f800001
	s_xor_b32 exec_lo, exec_lo, s12
	s_cbranch_execz .LBB290_10
.LBB290_332:
	v_cmp_ne_u16_e32 vcc_lo, 0, v12
	v_mov_b32_e32 v11, 0
	s_and_not1_b32 s8, s8, exec_lo
	s_and_b32 s13, vcc_lo, exec_lo
	s_delay_alu instid0(SALU_CYCLE_1)
	s_or_b32 s8, s8, s13
	s_or_b32 exec_lo, exec_lo, s12
	s_and_saveexec_b32 s12, s8
	s_cbranch_execnz .LBB290_11
	s_branch .LBB290_12
.LBB290_333:
	s_mov_b32 s0, -1
	s_mov_b32 s13, exec_lo
	v_cmpx_eq_u16_e32 0x80, v12
; %bb.334:
	s_xor_b32 s0, exec_lo, -1
; %bb.335:
	s_or_b32 exec_lo, exec_lo, s13
	s_delay_alu instid0(SALU_CYCLE_1)
	s_and_b32 s0, s0, exec_lo
	s_or_saveexec_b32 s12, s12
	v_mov_b32_e32 v13, 0x7f800001
	s_xor_b32 exec_lo, exec_lo, s12
	s_cbranch_execz .LBB290_26
.LBB290_336:
	v_cmp_ne_u16_e32 vcc_lo, 0, v12
	v_mov_b32_e32 v13, 0
	s_and_not1_b32 s0, s0, exec_lo
	s_and_b32 s13, vcc_lo, exec_lo
	s_delay_alu instid0(SALU_CYCLE_1)
	s_or_b32 s0, s0, s13
	s_or_b32 exec_lo, exec_lo, s12
	s_and_saveexec_b32 s12, s0
	s_cbranch_execnz .LBB290_27
	s_branch .LBB290_28
.LBB290_337:
	s_mov_b32 s0, -1
	s_mov_b32 s13, exec_lo
	v_cmpx_eq_u16_e32 0x80, v15
; %bb.338:
	s_xor_b32 s0, exec_lo, -1
; %bb.339:
	s_or_b32 exec_lo, exec_lo, s13
	s_delay_alu instid0(SALU_CYCLE_1)
	s_and_b32 s0, s0, exec_lo
                                        ; implicit-def: $vgpr15
	s_or_saveexec_b32 s12, s12
	v_mov_b32_e32 v14, 0x7f800001
	s_xor_b32 exec_lo, exec_lo, s12
	s_cbranch_execz .LBB290_30
.LBB290_340:
	v_cmp_ne_u16_e32 vcc_lo, 0, v15
	v_mov_b32_e32 v14, 0
	s_and_not1_b32 s0, s0, exec_lo
	s_and_b32 s13, vcc_lo, exec_lo
	s_delay_alu instid0(SALU_CYCLE_1)
	s_or_b32 s0, s0, s13
	s_or_b32 exec_lo, exec_lo, s12
	s_and_saveexec_b32 s12, s0
	s_cbranch_execnz .LBB290_31
	s_branch .LBB290_32
.LBB290_341:
	s_mov_b32 s0, -1
	s_mov_b32 s14, exec_lo
	v_cmpx_eq_u16_e32 0x80, v12
; %bb.342:
	s_xor_b32 s0, exec_lo, -1
; %bb.343:
	s_or_b32 exec_lo, exec_lo, s14
	s_delay_alu instid0(SALU_CYCLE_1)
	s_and_b32 s0, s0, exec_lo
	s_or_saveexec_b32 s13, s13
	v_mov_b32_e32 v13, 0x7f800001
	s_xor_b32 exec_lo, exec_lo, s13
	s_cbranch_execz .LBB290_46
.LBB290_344:
	v_cmp_ne_u16_e32 vcc_lo, 0, v12
	v_mov_b32_e32 v13, 0
	s_and_not1_b32 s0, s0, exec_lo
	s_and_b32 s14, vcc_lo, exec_lo
	s_delay_alu instid0(SALU_CYCLE_1)
	s_or_b32 s0, s0, s14
	s_or_b32 exec_lo, exec_lo, s13
	s_and_saveexec_b32 s13, s0
	s_cbranch_execnz .LBB290_47
	s_branch .LBB290_48
.LBB290_345:
	s_mov_b32 s0, -1
	s_mov_b32 s14, exec_lo
	v_cmpx_eq_u16_e32 0x80, v15
; %bb.346:
	s_xor_b32 s0, exec_lo, -1
; %bb.347:
	s_or_b32 exec_lo, exec_lo, s14
	s_delay_alu instid0(SALU_CYCLE_1)
	s_and_b32 s0, s0, exec_lo
                                        ; implicit-def: $vgpr15
	s_or_saveexec_b32 s13, s13
	v_mov_b32_e32 v14, 0x7f800001
	s_xor_b32 exec_lo, exec_lo, s13
	s_cbranch_execz .LBB290_50
.LBB290_348:
	v_cmp_ne_u16_e32 vcc_lo, 0, v15
	v_mov_b32_e32 v14, 0
	s_and_not1_b32 s0, s0, exec_lo
	s_and_b32 s14, vcc_lo, exec_lo
	s_delay_alu instid0(SALU_CYCLE_1)
	s_or_b32 s0, s0, s14
	s_or_b32 exec_lo, exec_lo, s13
	s_and_saveexec_b32 s13, s0
	s_cbranch_execnz .LBB290_51
	s_branch .LBB290_52
.LBB290_349:
	s_mov_b32 s14, -1
	s_mov_b32 s15, exec_lo
	v_cmpx_eq_u16_e32 0x80, v11
; %bb.350:
	s_xor_b32 s14, exec_lo, -1
; %bb.351:
	s_or_b32 exec_lo, exec_lo, s15
	s_delay_alu instid0(SALU_CYCLE_1)
	s_and_b32 s14, s14, exec_lo
	s_or_saveexec_b32 s0, s0
	v_mov_b32_e32 v12, 0x7f800001
	s_xor_b32 exec_lo, exec_lo, s0
	s_cbranch_execz .LBB290_66
.LBB290_352:
	v_cmp_ne_u16_e32 vcc_lo, 0, v11
	v_mov_b32_e32 v12, 0
	s_and_not1_b32 s14, s14, exec_lo
	s_and_b32 s15, vcc_lo, exec_lo
	s_delay_alu instid0(SALU_CYCLE_1)
	s_or_b32 s14, s14, s15
	s_or_b32 exec_lo, exec_lo, s0
	s_and_saveexec_b32 s0, s14
	s_cbranch_execnz .LBB290_67
	s_branch .LBB290_68
.LBB290_353:
	s_mov_b32 s0, -1
	s_mov_b32 s15, exec_lo
	v_cmpx_eq_u16_e32 0x80, v10
; %bb.354:
	s_xor_b32 s0, exec_lo, -1
; %bb.355:
	s_or_b32 exec_lo, exec_lo, s15
	s_delay_alu instid0(SALU_CYCLE_1)
	s_and_b32 s0, s0, exec_lo
	s_or_saveexec_b32 s14, s14
	v_mov_b32_e32 v13, 0x7f800001
	s_xor_b32 exec_lo, exec_lo, s14
	s_cbranch_execz .LBB290_70
.LBB290_356:
	v_cmp_ne_u16_e32 vcc_lo, 0, v10
	v_mov_b32_e32 v13, 0
	s_and_not1_b32 s0, s0, exec_lo
	s_and_b32 s15, vcc_lo, exec_lo
	s_delay_alu instid0(SALU_CYCLE_1)
	s_or_b32 s0, s0, s15
	s_or_b32 exec_lo, exec_lo, s14
	s_and_saveexec_b32 s14, s0
	s_cbranch_execnz .LBB290_71
	s_branch .LBB290_72
.LBB290_357:
	s_mov_b32 s0, -1
	s_mov_b32 s16, exec_lo
	v_cmpx_eq_u16_e32 0x80, v8
; %bb.358:
	s_xor_b32 s0, exec_lo, -1
; %bb.359:
	s_or_b32 exec_lo, exec_lo, s16
	s_delay_alu instid0(SALU_CYCLE_1)
	s_and_b32 s0, s0, exec_lo
	s_or_saveexec_b32 s15, s15
	v_mov_b32_e32 v9, 0x7f800001
	s_xor_b32 exec_lo, exec_lo, s15
	s_cbranch_execz .LBB290_76
.LBB290_360:
	v_cmp_ne_u16_e32 vcc_lo, 0, v8
	v_mov_b32_e32 v9, 0
	s_and_not1_b32 s0, s0, exec_lo
	s_and_b32 s16, vcc_lo, exec_lo
	s_delay_alu instid0(SALU_CYCLE_1)
	s_or_b32 s0, s0, s16
	s_or_b32 exec_lo, exec_lo, s15
	s_and_saveexec_b32 s15, s0
	s_cbranch_execnz .LBB290_77
	s_branch .LBB290_78
.LBB290_361:
	s_mov_b32 s0, -1
	s_mov_b32 s16, exec_lo
	v_cmpx_eq_u16_e32 0x80, v11
; %bb.362:
	s_xor_b32 s0, exec_lo, -1
; %bb.363:
	s_or_b32 exec_lo, exec_lo, s16
	s_delay_alu instid0(SALU_CYCLE_1)
	s_and_b32 s0, s0, exec_lo
                                        ; implicit-def: $vgpr11
	s_or_saveexec_b32 s15, s15
	v_mov_b32_e32 v10, 0x7f800001
	s_xor_b32 exec_lo, exec_lo, s15
	s_cbranch_execz .LBB290_80
.LBB290_364:
	v_cmp_ne_u16_e32 vcc_lo, 0, v11
	v_mov_b32_e32 v10, 0
	s_and_not1_b32 s0, s0, exec_lo
	s_and_b32 s16, vcc_lo, exec_lo
	s_delay_alu instid0(SALU_CYCLE_1)
	s_or_b32 s0, s0, s16
	s_or_b32 exec_lo, exec_lo, s15
	s_and_saveexec_b32 s15, s0
	s_cbranch_execnz .LBB290_81
	s_branch .LBB290_82
.LBB290_365:
	s_mov_b32 s0, -1
	s_mov_b32 s17, exec_lo
	v_cmpx_eq_u16_e32 0x80, v10
; %bb.366:
	s_xor_b32 s0, exec_lo, -1
; %bb.367:
	s_or_b32 exec_lo, exec_lo, s17
	s_delay_alu instid0(SALU_CYCLE_1)
	s_and_b32 s0, s0, exec_lo
	s_or_saveexec_b32 s16, s16
	v_mov_b32_e32 v11, 0x7f800001
	s_xor_b32 exec_lo, exec_lo, s16
	s_cbranch_execz .LBB290_106
.LBB290_368:
	v_cmp_ne_u16_e32 vcc_lo, 0, v10
	v_mov_b32_e32 v11, 0
	s_and_not1_b32 s0, s0, exec_lo
	s_and_b32 s17, vcc_lo, exec_lo
	s_delay_alu instid0(SALU_CYCLE_1)
	s_or_b32 s0, s0, s17
	s_or_b32 exec_lo, exec_lo, s16
	s_and_saveexec_b32 s16, s0
	s_cbranch_execnz .LBB290_107
	s_branch .LBB290_108
.LBB290_369:
	s_mov_b32 s0, -1
	s_mov_b32 s17, exec_lo
	v_cmpx_eq_u16_e32 0x80, v13
; %bb.370:
	s_xor_b32 s0, exec_lo, -1
; %bb.371:
	s_or_b32 exec_lo, exec_lo, s17
	s_delay_alu instid0(SALU_CYCLE_1)
	s_and_b32 s0, s0, exec_lo
                                        ; implicit-def: $vgpr13
	s_or_saveexec_b32 s16, s16
	v_mov_b32_e32 v12, 0x7f800001
	s_xor_b32 exec_lo, exec_lo, s16
	s_cbranch_execz .LBB290_110
.LBB290_372:
	v_cmp_ne_u16_e32 vcc_lo, 0, v13
	v_mov_b32_e32 v12, 0
	s_and_not1_b32 s0, s0, exec_lo
	s_and_b32 s17, vcc_lo, exec_lo
	s_delay_alu instid0(SALU_CYCLE_1)
	s_or_b32 s0, s0, s17
	s_or_b32 exec_lo, exec_lo, s16
	s_and_saveexec_b32 s16, s0
	s_cbranch_execnz .LBB290_111
	s_branch .LBB290_112
.LBB290_373:
	s_mov_b32 s0, -1
	s_mov_b32 s18, exec_lo
	v_cmpx_eq_u16_e32 0x80, v10
; %bb.374:
	s_xor_b32 s0, exec_lo, -1
; %bb.375:
	s_or_b32 exec_lo, exec_lo, s18
	s_delay_alu instid0(SALU_CYCLE_1)
	s_and_b32 s0, s0, exec_lo
	s_or_saveexec_b32 s17, s17
	v_mov_b32_e32 v11, 0x7f800001
	s_xor_b32 exec_lo, exec_lo, s17
	s_cbranch_execz .LBB290_126
.LBB290_376:
	v_cmp_ne_u16_e32 vcc_lo, 0, v10
	v_mov_b32_e32 v11, 0
	s_and_not1_b32 s0, s0, exec_lo
	s_and_b32 s18, vcc_lo, exec_lo
	s_delay_alu instid0(SALU_CYCLE_1)
	s_or_b32 s0, s0, s18
	s_or_b32 exec_lo, exec_lo, s17
	s_and_saveexec_b32 s17, s0
	s_cbranch_execnz .LBB290_127
	s_branch .LBB290_128
.LBB290_377:
	s_mov_b32 s0, -1
	s_mov_b32 s18, exec_lo
	v_cmpx_eq_u16_e32 0x80, v13
; %bb.378:
	s_xor_b32 s0, exec_lo, -1
; %bb.379:
	s_or_b32 exec_lo, exec_lo, s18
	s_delay_alu instid0(SALU_CYCLE_1)
	s_and_b32 s0, s0, exec_lo
                                        ; implicit-def: $vgpr13
	s_or_saveexec_b32 s17, s17
	v_mov_b32_e32 v12, 0x7f800001
	s_xor_b32 exec_lo, exec_lo, s17
	s_cbranch_execz .LBB290_130
.LBB290_380:
	v_cmp_ne_u16_e32 vcc_lo, 0, v13
	v_mov_b32_e32 v12, 0
	s_and_not1_b32 s0, s0, exec_lo
	s_and_b32 s18, vcc_lo, exec_lo
	s_delay_alu instid0(SALU_CYCLE_1)
	s_or_b32 s0, s0, s18
	s_or_b32 exec_lo, exec_lo, s17
	s_and_saveexec_b32 s17, s0
	s_cbranch_execnz .LBB290_131
	s_branch .LBB290_132
.LBB290_381:
	s_mov_b32 s18, -1
	s_mov_b32 s19, exec_lo
	v_cmpx_eq_u16_e32 0x80, v9
; %bb.382:
	s_xor_b32 s18, exec_lo, -1
; %bb.383:
	s_or_b32 exec_lo, exec_lo, s19
	s_delay_alu instid0(SALU_CYCLE_1)
	s_and_b32 s18, s18, exec_lo
	s_or_saveexec_b32 s0, s0
	v_mov_b32_e32 v10, 0x7f800001
	s_xor_b32 exec_lo, exec_lo, s0
	s_cbranch_execz .LBB290_146
.LBB290_384:
	v_cmp_ne_u16_e32 vcc_lo, 0, v9
	v_mov_b32_e32 v10, 0
	s_and_not1_b32 s18, s18, exec_lo
	s_and_b32 s19, vcc_lo, exec_lo
	s_delay_alu instid0(SALU_CYCLE_1)
	s_or_b32 s18, s18, s19
	s_or_b32 exec_lo, exec_lo, s0
	s_and_saveexec_b32 s0, s18
	s_cbranch_execnz .LBB290_147
	s_branch .LBB290_148
.LBB290_385:
	s_mov_b32 s0, -1
	s_mov_b32 s19, exec_lo
	v_cmpx_eq_u16_e32 0x80, v8
; %bb.386:
	s_xor_b32 s0, exec_lo, -1
; %bb.387:
	s_or_b32 exec_lo, exec_lo, s19
	s_delay_alu instid0(SALU_CYCLE_1)
	s_and_b32 s0, s0, exec_lo
	s_or_saveexec_b32 s18, s18
	v_mov_b32_e32 v11, 0x7f800001
	s_xor_b32 exec_lo, exec_lo, s18
	s_cbranch_execz .LBB290_150
.LBB290_388:
	v_cmp_ne_u16_e32 vcc_lo, 0, v8
	v_mov_b32_e32 v11, 0
	s_and_not1_b32 s0, s0, exec_lo
	s_and_b32 s19, vcc_lo, exec_lo
	s_delay_alu instid0(SALU_CYCLE_1)
	s_or_b32 s0, s0, s19
	s_or_b32 exec_lo, exec_lo, s18
	s_and_saveexec_b32 s18, s0
	s_cbranch_execnz .LBB290_151
	s_branch .LBB290_152
.LBB290_389:
	s_mov_b32 s0, -1
	s_mov_b32 s20, exec_lo
	v_cmpx_eq_u16_e32 0x80, v6
; %bb.390:
	s_xor_b32 s0, exec_lo, -1
; %bb.391:
	s_or_b32 exec_lo, exec_lo, s20
	s_delay_alu instid0(SALU_CYCLE_1)
	s_and_b32 s0, s0, exec_lo
	s_or_saveexec_b32 s19, s19
	v_mov_b32_e32 v7, 0x7f800001
	s_xor_b32 exec_lo, exec_lo, s19
	s_cbranch_execz .LBB290_156
.LBB290_392:
	v_cmp_ne_u16_e32 vcc_lo, 0, v6
	v_mov_b32_e32 v7, 0
	s_and_not1_b32 s0, s0, exec_lo
	s_and_b32 s20, vcc_lo, exec_lo
	s_delay_alu instid0(SALU_CYCLE_1)
	s_or_b32 s0, s0, s20
	s_or_b32 exec_lo, exec_lo, s19
	s_and_saveexec_b32 s19, s0
	s_cbranch_execnz .LBB290_157
	s_branch .LBB290_158
.LBB290_393:
	s_mov_b32 s0, -1
	s_mov_b32 s20, exec_lo
	v_cmpx_eq_u16_e32 0x80, v9
; %bb.394:
	s_xor_b32 s0, exec_lo, -1
; %bb.395:
	s_or_b32 exec_lo, exec_lo, s20
	s_delay_alu instid0(SALU_CYCLE_1)
	s_and_b32 s0, s0, exec_lo
                                        ; implicit-def: $vgpr9
	s_or_saveexec_b32 s19, s19
	v_mov_b32_e32 v8, 0x7f800001
	s_xor_b32 exec_lo, exec_lo, s19
	s_cbranch_execz .LBB290_160
.LBB290_396:
	v_cmp_ne_u16_e32 vcc_lo, 0, v9
	v_mov_b32_e32 v8, 0
	s_and_not1_b32 s0, s0, exec_lo
	s_and_b32 s20, vcc_lo, exec_lo
	s_delay_alu instid0(SALU_CYCLE_1)
	s_or_b32 s0, s0, s20
	s_or_b32 exec_lo, exec_lo, s19
	s_and_saveexec_b32 s19, s0
	s_cbranch_execnz .LBB290_161
	s_branch .LBB290_162
.LBB290_397:
	s_mov_b32 s0, -1
	s_mov_b32 s21, exec_lo
	v_cmpx_eq_u16_e32 0x80, v8
; %bb.398:
	s_xor_b32 s0, exec_lo, -1
; %bb.399:
	s_or_b32 exec_lo, exec_lo, s21
	s_delay_alu instid0(SALU_CYCLE_1)
	s_and_b32 s0, s0, exec_lo
	s_or_saveexec_b32 s20, s20
	v_mov_b32_e32 v9, 0x7f800001
	s_xor_b32 exec_lo, exec_lo, s20
	s_cbranch_execz .LBB290_186
.LBB290_400:
	v_cmp_ne_u16_e32 vcc_lo, 0, v8
	v_mov_b32_e32 v9, 0
	s_and_not1_b32 s0, s0, exec_lo
	s_and_b32 s21, vcc_lo, exec_lo
	s_delay_alu instid0(SALU_CYCLE_1)
	s_or_b32 s0, s0, s21
	s_or_b32 exec_lo, exec_lo, s20
	s_and_saveexec_b32 s20, s0
	s_cbranch_execnz .LBB290_187
	s_branch .LBB290_188
.LBB290_401:
	s_mov_b32 s0, -1
	s_mov_b32 s21, exec_lo
	v_cmpx_eq_u16_e32 0x80, v11
; %bb.402:
	s_xor_b32 s0, exec_lo, -1
; %bb.403:
	s_or_b32 exec_lo, exec_lo, s21
	s_delay_alu instid0(SALU_CYCLE_1)
	s_and_b32 s0, s0, exec_lo
                                        ; implicit-def: $vgpr11
	s_or_saveexec_b32 s20, s20
	v_mov_b32_e32 v10, 0x7f800001
	s_xor_b32 exec_lo, exec_lo, s20
	s_cbranch_execz .LBB290_190
.LBB290_404:
	v_cmp_ne_u16_e32 vcc_lo, 0, v11
	v_mov_b32_e32 v10, 0
	s_and_not1_b32 s0, s0, exec_lo
	s_and_b32 s21, vcc_lo, exec_lo
	s_delay_alu instid0(SALU_CYCLE_1)
	s_or_b32 s0, s0, s21
	s_or_b32 exec_lo, exec_lo, s20
	s_and_saveexec_b32 s20, s0
	s_cbranch_execnz .LBB290_191
	s_branch .LBB290_192
.LBB290_405:
	s_mov_b32 s0, -1
	s_mov_b32 s22, exec_lo
	v_cmpx_eq_u16_e32 0x80, v8
; %bb.406:
	s_xor_b32 s0, exec_lo, -1
; %bb.407:
	s_or_b32 exec_lo, exec_lo, s22
	s_delay_alu instid0(SALU_CYCLE_1)
	s_and_b32 s0, s0, exec_lo
	s_or_saveexec_b32 s21, s21
	v_mov_b32_e32 v9, 0x7f800001
	s_xor_b32 exec_lo, exec_lo, s21
	s_cbranch_execz .LBB290_206
.LBB290_408:
	v_cmp_ne_u16_e32 vcc_lo, 0, v8
	v_mov_b32_e32 v9, 0
	s_and_not1_b32 s0, s0, exec_lo
	s_and_b32 s22, vcc_lo, exec_lo
	s_delay_alu instid0(SALU_CYCLE_1)
	s_or_b32 s0, s0, s22
	s_or_b32 exec_lo, exec_lo, s21
	s_and_saveexec_b32 s21, s0
	s_cbranch_execnz .LBB290_207
	s_branch .LBB290_208
.LBB290_409:
	s_mov_b32 s0, -1
	s_mov_b32 s22, exec_lo
	v_cmpx_eq_u16_e32 0x80, v11
; %bb.410:
	s_xor_b32 s0, exec_lo, -1
; %bb.411:
	s_or_b32 exec_lo, exec_lo, s22
	s_delay_alu instid0(SALU_CYCLE_1)
	s_and_b32 s0, s0, exec_lo
                                        ; implicit-def: $vgpr11
	s_or_saveexec_b32 s21, s21
	v_mov_b32_e32 v10, 0x7f800001
	s_xor_b32 exec_lo, exec_lo, s21
	s_cbranch_execz .LBB290_210
.LBB290_412:
	v_cmp_ne_u16_e32 vcc_lo, 0, v11
	v_mov_b32_e32 v10, 0
	s_and_not1_b32 s0, s0, exec_lo
	s_and_b32 s22, vcc_lo, exec_lo
	s_delay_alu instid0(SALU_CYCLE_1)
	s_or_b32 s0, s0, s22
	s_or_b32 exec_lo, exec_lo, s21
	s_and_saveexec_b32 s21, s0
	s_cbranch_execnz .LBB290_211
	s_branch .LBB290_212
.LBB290_413:
	s_mov_b32 s22, -1
	s_mov_b32 s23, exec_lo
	v_cmpx_eq_u16_e32 0x80, v7
; %bb.414:
	s_xor_b32 s22, exec_lo, -1
; %bb.415:
	s_or_b32 exec_lo, exec_lo, s23
	s_delay_alu instid0(SALU_CYCLE_1)
	s_and_b32 s22, s22, exec_lo
	s_or_saveexec_b32 s0, s0
	v_mov_b32_e32 v8, 0x7f800001
	s_xor_b32 exec_lo, exec_lo, s0
	s_cbranch_execz .LBB290_226
.LBB290_416:
	v_cmp_ne_u16_e32 vcc_lo, 0, v7
	v_mov_b32_e32 v8, 0
	s_and_not1_b32 s22, s22, exec_lo
	s_and_b32 s23, vcc_lo, exec_lo
	s_delay_alu instid0(SALU_CYCLE_1)
	s_or_b32 s22, s22, s23
	s_or_b32 exec_lo, exec_lo, s0
	s_and_saveexec_b32 s0, s22
	s_cbranch_execnz .LBB290_227
	s_branch .LBB290_228
.LBB290_417:
	s_mov_b32 s0, -1
	s_mov_b32 s23, exec_lo
	v_cmpx_eq_u16_e32 0x80, v6
; %bb.418:
	s_xor_b32 s0, exec_lo, -1
; %bb.419:
	s_or_b32 exec_lo, exec_lo, s23
	s_delay_alu instid0(SALU_CYCLE_1)
	s_and_b32 s0, s0, exec_lo
	s_or_saveexec_b32 s22, s22
	v_mov_b32_e32 v9, 0x7f800001
	s_xor_b32 exec_lo, exec_lo, s22
	s_cbranch_execz .LBB290_230
.LBB290_420:
	v_cmp_ne_u16_e32 vcc_lo, 0, v6
	v_mov_b32_e32 v9, 0
	s_and_not1_b32 s0, s0, exec_lo
	s_and_b32 s23, vcc_lo, exec_lo
	s_delay_alu instid0(SALU_CYCLE_1)
	s_or_b32 s0, s0, s23
	s_or_b32 exec_lo, exec_lo, s22
	s_and_saveexec_b32 s22, s0
	s_cbranch_execnz .LBB290_231
	s_branch .LBB290_232
.LBB290_421:
	s_mov_b32 s0, -1
	s_mov_b32 s24, exec_lo
	v_cmpx_eq_u16_e32 0x80, v4
; %bb.422:
	s_xor_b32 s0, exec_lo, -1
; %bb.423:
	s_or_b32 exec_lo, exec_lo, s24
	s_delay_alu instid0(SALU_CYCLE_1)
	s_and_b32 s0, s0, exec_lo
	s_or_saveexec_b32 s23, s23
	v_mov_b32_e32 v5, 0x7f800001
	s_xor_b32 exec_lo, exec_lo, s23
	s_cbranch_execz .LBB290_236
.LBB290_424:
	v_cmp_ne_u16_e32 vcc_lo, 0, v4
	v_mov_b32_e32 v5, 0
	s_and_not1_b32 s0, s0, exec_lo
	s_and_b32 s24, vcc_lo, exec_lo
	s_delay_alu instid0(SALU_CYCLE_1)
	s_or_b32 s0, s0, s24
	s_or_b32 exec_lo, exec_lo, s23
	s_and_saveexec_b32 s23, s0
	s_cbranch_execnz .LBB290_237
	s_branch .LBB290_238
.LBB290_425:
	s_mov_b32 s0, -1
	s_mov_b32 s24, exec_lo
	v_cmpx_eq_u16_e32 0x80, v7
; %bb.426:
	s_xor_b32 s0, exec_lo, -1
; %bb.427:
	s_or_b32 exec_lo, exec_lo, s24
	s_delay_alu instid0(SALU_CYCLE_1)
	s_and_b32 s0, s0, exec_lo
                                        ; implicit-def: $vgpr7
	s_or_saveexec_b32 s23, s23
	v_mov_b32_e32 v6, 0x7f800001
	s_xor_b32 exec_lo, exec_lo, s23
	s_cbranch_execz .LBB290_240
.LBB290_428:
	v_cmp_ne_u16_e32 vcc_lo, 0, v7
	v_mov_b32_e32 v6, 0
	s_and_not1_b32 s0, s0, exec_lo
	s_and_b32 s24, vcc_lo, exec_lo
	s_delay_alu instid0(SALU_CYCLE_1)
	s_or_b32 s0, s0, s24
	s_or_b32 exec_lo, exec_lo, s23
	s_and_saveexec_b32 s23, s0
	s_cbranch_execnz .LBB290_241
	s_branch .LBB290_242
.LBB290_429:
	s_mov_b32 s0, -1
	s_mov_b32 s25, exec_lo
	v_cmpx_eq_u16_e32 0x80, v6
; %bb.430:
	s_xor_b32 s0, exec_lo, -1
; %bb.431:
	s_or_b32 exec_lo, exec_lo, s25
	s_delay_alu instid0(SALU_CYCLE_1)
	s_and_b32 s0, s0, exec_lo
	s_or_saveexec_b32 s24, s24
	v_mov_b32_e32 v7, 0x7f800001
	s_xor_b32 exec_lo, exec_lo, s24
	s_cbranch_execz .LBB290_266
.LBB290_432:
	v_cmp_ne_u16_e32 vcc_lo, 0, v6
	v_mov_b32_e32 v7, 0
	s_and_not1_b32 s0, s0, exec_lo
	s_and_b32 s25, vcc_lo, exec_lo
	s_delay_alu instid0(SALU_CYCLE_1)
	s_or_b32 s0, s0, s25
	s_or_b32 exec_lo, exec_lo, s24
	s_and_saveexec_b32 s24, s0
	s_cbranch_execnz .LBB290_267
	s_branch .LBB290_268
.LBB290_433:
	s_mov_b32 s0, -1
	s_mov_b32 s25, exec_lo
	v_cmpx_eq_u16_e32 0x80, v9
; %bb.434:
	s_xor_b32 s0, exec_lo, -1
; %bb.435:
	s_or_b32 exec_lo, exec_lo, s25
	s_delay_alu instid0(SALU_CYCLE_1)
	s_and_b32 s0, s0, exec_lo
                                        ; implicit-def: $vgpr9
	s_or_saveexec_b32 s24, s24
	v_mov_b32_e32 v8, 0x7f800001
	s_xor_b32 exec_lo, exec_lo, s24
	s_cbranch_execz .LBB290_270
.LBB290_436:
	v_cmp_ne_u16_e32 vcc_lo, 0, v9
	v_mov_b32_e32 v8, 0
	s_and_not1_b32 s0, s0, exec_lo
	s_and_b32 s25, vcc_lo, exec_lo
	s_delay_alu instid0(SALU_CYCLE_1)
	s_or_b32 s0, s0, s25
	s_or_b32 exec_lo, exec_lo, s24
	s_and_saveexec_b32 s24, s0
	s_cbranch_execnz .LBB290_271
	s_branch .LBB290_272
.LBB290_437:
	s_mov_b32 s0, -1
	s_mov_b32 s26, exec_lo
	v_cmpx_eq_u16_e32 0x80, v6
; %bb.438:
	s_xor_b32 s0, exec_lo, -1
; %bb.439:
	s_or_b32 exec_lo, exec_lo, s26
	s_delay_alu instid0(SALU_CYCLE_1)
	s_and_b32 s0, s0, exec_lo
	s_or_saveexec_b32 s25, s25
	v_mov_b32_e32 v7, 0x7f800001
	s_xor_b32 exec_lo, exec_lo, s25
	s_cbranch_execz .LBB290_286
.LBB290_440:
	v_cmp_ne_u16_e32 vcc_lo, 0, v6
	v_mov_b32_e32 v7, 0
	s_and_not1_b32 s0, s0, exec_lo
	s_and_b32 s26, vcc_lo, exec_lo
	s_delay_alu instid0(SALU_CYCLE_1)
	s_or_b32 s0, s0, s26
	s_or_b32 exec_lo, exec_lo, s25
	s_and_saveexec_b32 s25, s0
	s_cbranch_execnz .LBB290_287
	s_branch .LBB290_288
.LBB290_441:
	s_mov_b32 s0, -1
	s_mov_b32 s26, exec_lo
	v_cmpx_eq_u16_e32 0x80, v9
; %bb.442:
	s_xor_b32 s0, exec_lo, -1
; %bb.443:
	s_or_b32 exec_lo, exec_lo, s26
	s_delay_alu instid0(SALU_CYCLE_1)
	s_and_b32 s0, s0, exec_lo
                                        ; implicit-def: $vgpr9
	s_or_saveexec_b32 s25, s25
	v_mov_b32_e32 v8, 0x7f800001
	s_xor_b32 exec_lo, exec_lo, s25
	s_cbranch_execz .LBB290_290
.LBB290_444:
	v_cmp_ne_u16_e32 vcc_lo, 0, v9
	v_mov_b32_e32 v8, 0
	s_and_not1_b32 s0, s0, exec_lo
	s_and_b32 s26, vcc_lo, exec_lo
	s_delay_alu instid0(SALU_CYCLE_1)
	s_or_b32 s0, s0, s26
	s_or_b32 exec_lo, exec_lo, s25
	s_and_saveexec_b32 s25, s0
	s_cbranch_execnz .LBB290_291
	s_branch .LBB290_292
.LBB290_445:
	s_mov_b32 s26, -1
	s_mov_b32 s27, exec_lo
	v_cmpx_eq_u16_e32 0x80, v4
; %bb.446:
	s_xor_b32 s26, exec_lo, -1
; %bb.447:
	s_or_b32 exec_lo, exec_lo, s27
	s_delay_alu instid0(SALU_CYCLE_1)
	s_and_b32 s26, s26, exec_lo
	s_or_saveexec_b32 s0, s0
	v_mov_b32_e32 v5, 0x7f800001
	s_xor_b32 exec_lo, exec_lo, s0
	s_cbranch_execz .LBB290_306
.LBB290_448:
	v_cmp_ne_u16_e32 vcc_lo, 0, v4
	v_mov_b32_e32 v5, 0
	s_and_not1_b32 s26, s26, exec_lo
	s_and_b32 s27, vcc_lo, exec_lo
	s_delay_alu instid0(SALU_CYCLE_1)
	s_or_b32 s26, s26, s27
	s_or_b32 exec_lo, exec_lo, s0
	s_and_saveexec_b32 s0, s26
	s_cbranch_execnz .LBB290_307
	s_branch .LBB290_308
.LBB290_449:
	s_mov_b32 s0, -1
	s_mov_b32 s27, exec_lo
	v_cmpx_eq_u16_e32 0x80, v3
; %bb.450:
	s_xor_b32 s0, exec_lo, -1
; %bb.451:
	s_or_b32 exec_lo, exec_lo, s27
	s_delay_alu instid0(SALU_CYCLE_1)
	s_and_b32 s0, s0, exec_lo
	s_or_saveexec_b32 s26, s26
	v_mov_b32_e32 v6, 0x7f800001
	s_xor_b32 exec_lo, exec_lo, s26
	s_cbranch_execz .LBB290_310
.LBB290_452:
	v_cmp_ne_u16_e32 vcc_lo, 0, v3
	v_mov_b32_e32 v6, 0
	s_and_not1_b32 s0, s0, exec_lo
	s_and_b32 s27, vcc_lo, exec_lo
	s_delay_alu instid0(SALU_CYCLE_1)
	s_or_b32 s0, s0, s27
	s_or_b32 exec_lo, exec_lo, s26
	s_and_saveexec_b32 s26, s0
	s_cbranch_execnz .LBB290_311
	s_branch .LBB290_312
.LBB290_453:
	s_mov_b32 s8, -1
	s_mov_b32 s13, exec_lo
	v_cmpx_eq_u16_e32 0x80, v3
; %bb.454:
	s_xor_b32 s8, exec_lo, -1
; %bb.455:
	s_or_b32 exec_lo, exec_lo, s13
	s_delay_alu instid0(SALU_CYCLE_1)
	s_and_b32 s8, s8, exec_lo
                                        ; implicit-def: $vgpr3
	s_or_saveexec_b32 s12, s12
	v_mov_b32_e32 v10, 0x7f800001
	s_xor_b32 exec_lo, exec_lo, s12
	s_cbranch_execz .LBB290_16
.LBB290_456:
	v_cmp_ne_u16_e32 vcc_lo, 0, v3
	v_mov_b32_e32 v10, 0
	s_and_not1_b32 s8, s8, exec_lo
	s_and_b32 s13, vcc_lo, exec_lo
	s_delay_alu instid0(SALU_CYCLE_1)
	s_or_b32 s8, s8, s13
	s_or_b32 exec_lo, exec_lo, s12
	s_and_saveexec_b32 s12, s8
	s_cbranch_execnz .LBB290_17
	s_branch .LBB290_18
.LBB290_457:
	s_mov_b32 s8, -1
	s_mov_b32 s13, exec_lo
	v_cmpx_eq_u16_e32 0x80, v11
; %bb.458:
	s_xor_b32 s8, exec_lo, -1
; %bb.459:
	s_or_b32 exec_lo, exec_lo, s13
	s_delay_alu instid0(SALU_CYCLE_1)
	s_and_b32 s8, s8, exec_lo
                                        ; implicit-def: $vgpr11
	s_or_saveexec_b32 s12, s12
	v_mov_b32_e32 v3, 0x7f800001
	s_xor_b32 exec_lo, exec_lo, s12
	s_cbranch_execz .LBB290_20
.LBB290_460:
	v_cmp_ne_u16_e32 vcc_lo, 0, v11
	v_mov_b32_e32 v3, 0
	s_and_not1_b32 s8, s8, exec_lo
	s_and_b32 s13, vcc_lo, exec_lo
	s_delay_alu instid0(SALU_CYCLE_1)
	s_or_b32 s8, s8, s13
	s_or_b32 exec_lo, exec_lo, s12
	s_and_saveexec_b32 s12, s8
	s_cbranch_execnz .LBB290_21
	s_branch .LBB290_22
.LBB290_461:
	s_mov_b32 s0, -1
	s_mov_b32 s13, exec_lo
	v_cmpx_eq_u16_e32 0x80, v12
; %bb.462:
	s_xor_b32 s0, exec_lo, -1
; %bb.463:
	s_or_b32 exec_lo, exec_lo, s13
	s_delay_alu instid0(SALU_CYCLE_1)
	s_and_b32 s0, s0, exec_lo
                                        ; implicit-def: $vgpr12
	s_or_saveexec_b32 s12, s12
	v_mov_b32_e32 v13, 0x7f800001
	s_xor_b32 exec_lo, exec_lo, s12
	s_cbranch_execz .LBB290_36
.LBB290_464:
	v_cmp_ne_u16_e32 vcc_lo, 0, v12
	v_mov_b32_e32 v13, 0
	s_and_not1_b32 s0, s0, exec_lo
	s_and_b32 s13, vcc_lo, exec_lo
	s_delay_alu instid0(SALU_CYCLE_1)
	s_or_b32 s0, s0, s13
	s_or_b32 exec_lo, exec_lo, s12
	s_and_saveexec_b32 s12, s0
	s_cbranch_execnz .LBB290_37
	s_branch .LBB290_38
.LBB290_465:
	s_mov_b32 s0, -1
	s_mov_b32 s13, exec_lo
	v_cmpx_eq_u16_e32 0x80, v12
; %bb.466:
	s_xor_b32 s0, exec_lo, -1
; %bb.467:
	s_or_b32 exec_lo, exec_lo, s13
	s_delay_alu instid0(SALU_CYCLE_1)
	s_and_b32 s0, s0, exec_lo
                                        ; implicit-def: $vgpr12
	s_or_saveexec_b32 s12, s12
	v_mov_b32_e32 v11, 0x7f800001
	s_xor_b32 exec_lo, exec_lo, s12
	s_cbranch_execz .LBB290_40
.LBB290_468:
	v_cmp_ne_u16_e32 vcc_lo, 0, v12
	v_mov_b32_e32 v11, 0
	s_and_not1_b32 s0, s0, exec_lo
	s_and_b32 s13, vcc_lo, exec_lo
	s_delay_alu instid0(SALU_CYCLE_1)
	s_or_b32 s0, s0, s13
	s_or_b32 exec_lo, exec_lo, s12
	s_and_saveexec_b32 s12, s0
	s_cbranch_execnz .LBB290_41
	s_branch .LBB290_42
.LBB290_469:
	s_mov_b32 s0, -1
	s_mov_b32 s14, exec_lo
	v_cmpx_eq_u16_e32 0x80, v12
; %bb.470:
	s_xor_b32 s0, exec_lo, -1
; %bb.471:
	s_or_b32 exec_lo, exec_lo, s14
	s_delay_alu instid0(SALU_CYCLE_1)
	s_and_b32 s0, s0, exec_lo
                                        ; implicit-def: $vgpr12
	s_or_saveexec_b32 s13, s13
	v_mov_b32_e32 v13, 0x7f800001
	s_xor_b32 exec_lo, exec_lo, s13
	s_cbranch_execz .LBB290_56
.LBB290_472:
	v_cmp_ne_u16_e32 vcc_lo, 0, v12
	v_mov_b32_e32 v13, 0
	s_and_not1_b32 s0, s0, exec_lo
	s_and_b32 s14, vcc_lo, exec_lo
	s_delay_alu instid0(SALU_CYCLE_1)
	s_or_b32 s0, s0, s14
	s_or_b32 exec_lo, exec_lo, s13
	s_and_saveexec_b32 s13, s0
	s_cbranch_execnz .LBB290_57
	s_branch .LBB290_58
.LBB290_473:
	s_mov_b32 s0, -1
	s_mov_b32 s14, exec_lo
	v_cmpx_eq_u16_e32 0x80, v12
; %bb.474:
	s_xor_b32 s0, exec_lo, -1
; %bb.475:
	s_or_b32 exec_lo, exec_lo, s14
	s_delay_alu instid0(SALU_CYCLE_1)
	s_and_b32 s0, s0, exec_lo
                                        ; implicit-def: $vgpr12
	s_or_saveexec_b32 s13, s13
	v_mov_b32_e32 v11, 0x7f800001
	s_xor_b32 exec_lo, exec_lo, s13
	s_cbranch_execz .LBB290_60
.LBB290_476:
	v_cmp_ne_u16_e32 vcc_lo, 0, v12
	v_mov_b32_e32 v11, 0
	s_and_not1_b32 s0, s0, exec_lo
	s_and_b32 s14, vcc_lo, exec_lo
	s_delay_alu instid0(SALU_CYCLE_1)
	s_or_b32 s0, s0, s14
	s_or_b32 exec_lo, exec_lo, s13
	s_and_saveexec_b32 s13, s0
	s_cbranch_execnz .LBB290_61
	s_branch .LBB290_62
.LBB290_477:
	s_mov_b32 s0, -1
	s_mov_b32 s15, exec_lo
	v_cmpx_eq_u16_e32 0x80, v11
; %bb.478:
	s_xor_b32 s0, exec_lo, -1
; %bb.479:
	s_or_b32 exec_lo, exec_lo, s15
	s_delay_alu instid0(SALU_CYCLE_1)
	s_and_b32 s0, s0, exec_lo
	s_or_saveexec_b32 s14, s14
	v_mov_b32_e32 v12, 0x7f800001
	s_xor_b32 exec_lo, exec_lo, s14
	s_cbranch_execz .LBB290_86
.LBB290_480:
	v_cmp_ne_u16_e32 vcc_lo, 0, v11
	v_mov_b32_e32 v12, 0
	s_and_not1_b32 s0, s0, exec_lo
	s_and_b32 s15, vcc_lo, exec_lo
	s_delay_alu instid0(SALU_CYCLE_1)
	s_or_b32 s0, s0, s15
	s_or_b32 exec_lo, exec_lo, s14
	s_and_saveexec_b32 s14, s0
	s_cbranch_execnz .LBB290_87
	s_branch .LBB290_88
.LBB290_481:
	s_mov_b32 s0, -1
	s_mov_b32 s15, exec_lo
	v_cmpx_eq_u16_e32 0x80, v10
; %bb.482:
	s_xor_b32 s0, exec_lo, -1
; %bb.483:
	s_or_b32 exec_lo, exec_lo, s15
	s_delay_alu instid0(SALU_CYCLE_1)
	s_and_b32 s0, s0, exec_lo
	s_or_saveexec_b32 s14, s14
	v_mov_b32_e32 v9, 0x7f800001
	s_xor_b32 exec_lo, exec_lo, s14
	s_cbranch_execz .LBB290_90
.LBB290_484:
	v_cmp_ne_u16_e32 vcc_lo, 0, v10
	v_mov_b32_e32 v9, 0
	s_and_not1_b32 s0, s0, exec_lo
	s_and_b32 s15, vcc_lo, exec_lo
	s_delay_alu instid0(SALU_CYCLE_1)
	s_or_b32 s0, s0, s15
	s_or_b32 exec_lo, exec_lo, s14
	s_and_saveexec_b32 s14, s0
	s_cbranch_execnz .LBB290_91
	s_branch .LBB290_92
.LBB290_485:
	s_mov_b32 s0, -1
	s_mov_b32 s16, exec_lo
	v_cmpx_eq_u16_e32 0x80, v8
; %bb.486:
	s_xor_b32 s0, exec_lo, -1
; %bb.487:
	s_or_b32 exec_lo, exec_lo, s16
	s_delay_alu instid0(SALU_CYCLE_1)
	s_and_b32 s0, s0, exec_lo
                                        ; implicit-def: $vgpr8
	s_or_saveexec_b32 s15, s15
	v_mov_b32_e32 v9, 0x7f800001
	s_xor_b32 exec_lo, exec_lo, s15
	s_cbranch_execz .LBB290_96
.LBB290_488:
	v_cmp_ne_u16_e32 vcc_lo, 0, v8
	v_mov_b32_e32 v9, 0
	s_and_not1_b32 s0, s0, exec_lo
	s_and_b32 s16, vcc_lo, exec_lo
	s_delay_alu instid0(SALU_CYCLE_1)
	s_or_b32 s0, s0, s16
	s_or_b32 exec_lo, exec_lo, s15
	s_and_saveexec_b32 s15, s0
	s_cbranch_execnz .LBB290_97
	s_branch .LBB290_98
.LBB290_489:
	s_mov_b32 s0, -1
	s_mov_b32 s16, exec_lo
	v_cmpx_eq_u16_e32 0x80, v10
; %bb.490:
	s_xor_b32 s0, exec_lo, -1
; %bb.491:
	s_or_b32 exec_lo, exec_lo, s16
	s_delay_alu instid0(SALU_CYCLE_1)
	s_and_b32 s0, s0, exec_lo
                                        ; implicit-def: $vgpr10
	s_or_saveexec_b32 s15, s15
	v_mov_b32_e32 v8, 0x7f800001
	s_xor_b32 exec_lo, exec_lo, s15
	s_cbranch_execz .LBB290_100
.LBB290_492:
	v_cmp_ne_u16_e32 vcc_lo, 0, v10
	v_mov_b32_e32 v8, 0
	s_and_not1_b32 s0, s0, exec_lo
	s_and_b32 s16, vcc_lo, exec_lo
	s_delay_alu instid0(SALU_CYCLE_1)
	s_or_b32 s0, s0, s16
	s_or_b32 exec_lo, exec_lo, s15
	s_and_saveexec_b32 s15, s0
	s_cbranch_execnz .LBB290_101
	s_branch .LBB290_102
.LBB290_493:
	s_mov_b32 s0, -1
	s_mov_b32 s17, exec_lo
	v_cmpx_eq_u16_e32 0x80, v10
; %bb.494:
	s_xor_b32 s0, exec_lo, -1
; %bb.495:
	s_or_b32 exec_lo, exec_lo, s17
	s_delay_alu instid0(SALU_CYCLE_1)
	s_and_b32 s0, s0, exec_lo
                                        ; implicit-def: $vgpr10
	s_or_saveexec_b32 s16, s16
	v_mov_b32_e32 v11, 0x7f800001
	s_xor_b32 exec_lo, exec_lo, s16
	s_cbranch_execz .LBB290_116
.LBB290_496:
	v_cmp_ne_u16_e32 vcc_lo, 0, v10
	v_mov_b32_e32 v11, 0
	s_and_not1_b32 s0, s0, exec_lo
	s_and_b32 s17, vcc_lo, exec_lo
	s_delay_alu instid0(SALU_CYCLE_1)
	s_or_b32 s0, s0, s17
	s_or_b32 exec_lo, exec_lo, s16
	s_and_saveexec_b32 s16, s0
	s_cbranch_execnz .LBB290_117
	s_branch .LBB290_118
.LBB290_497:
	s_mov_b32 s0, -1
	s_mov_b32 s17, exec_lo
	v_cmpx_eq_u16_e32 0x80, v10
; %bb.498:
	s_xor_b32 s0, exec_lo, -1
; %bb.499:
	s_or_b32 exec_lo, exec_lo, s17
	s_delay_alu instid0(SALU_CYCLE_1)
	s_and_b32 s0, s0, exec_lo
                                        ; implicit-def: $vgpr10
	s_or_saveexec_b32 s16, s16
	v_mov_b32_e32 v9, 0x7f800001
	s_xor_b32 exec_lo, exec_lo, s16
	s_cbranch_execz .LBB290_120
.LBB290_500:
	v_cmp_ne_u16_e32 vcc_lo, 0, v10
	v_mov_b32_e32 v9, 0
	s_and_not1_b32 s0, s0, exec_lo
	s_and_b32 s17, vcc_lo, exec_lo
	s_delay_alu instid0(SALU_CYCLE_1)
	s_or_b32 s0, s0, s17
	s_or_b32 exec_lo, exec_lo, s16
	s_and_saveexec_b32 s16, s0
	s_cbranch_execnz .LBB290_121
	s_branch .LBB290_122
.LBB290_501:
	s_mov_b32 s0, -1
	s_mov_b32 s18, exec_lo
	v_cmpx_eq_u16_e32 0x80, v10
; %bb.502:
	s_xor_b32 s0, exec_lo, -1
; %bb.503:
	s_or_b32 exec_lo, exec_lo, s18
	s_delay_alu instid0(SALU_CYCLE_1)
	s_and_b32 s0, s0, exec_lo
                                        ; implicit-def: $vgpr10
	s_or_saveexec_b32 s17, s17
	v_mov_b32_e32 v11, 0x7f800001
	s_xor_b32 exec_lo, exec_lo, s17
	s_cbranch_execz .LBB290_136
.LBB290_504:
	v_cmp_ne_u16_e32 vcc_lo, 0, v10
	v_mov_b32_e32 v11, 0
	s_and_not1_b32 s0, s0, exec_lo
	s_and_b32 s18, vcc_lo, exec_lo
	s_delay_alu instid0(SALU_CYCLE_1)
	s_or_b32 s0, s0, s18
	s_or_b32 exec_lo, exec_lo, s17
	s_and_saveexec_b32 s17, s0
	s_cbranch_execnz .LBB290_137
	s_branch .LBB290_138
.LBB290_505:
	s_mov_b32 s0, -1
	s_mov_b32 s18, exec_lo
	v_cmpx_eq_u16_e32 0x80, v10
; %bb.506:
	s_xor_b32 s0, exec_lo, -1
; %bb.507:
	s_or_b32 exec_lo, exec_lo, s18
	s_delay_alu instid0(SALU_CYCLE_1)
	s_and_b32 s0, s0, exec_lo
                                        ; implicit-def: $vgpr10
	s_or_saveexec_b32 s17, s17
	v_mov_b32_e32 v9, 0x7f800001
	s_xor_b32 exec_lo, exec_lo, s17
	s_cbranch_execz .LBB290_140
.LBB290_508:
	v_cmp_ne_u16_e32 vcc_lo, 0, v10
	v_mov_b32_e32 v9, 0
	s_and_not1_b32 s0, s0, exec_lo
	s_and_b32 s18, vcc_lo, exec_lo
	s_delay_alu instid0(SALU_CYCLE_1)
	s_or_b32 s0, s0, s18
	s_or_b32 exec_lo, exec_lo, s17
	s_and_saveexec_b32 s17, s0
	s_cbranch_execnz .LBB290_141
	s_branch .LBB290_142
.LBB290_509:
	s_mov_b32 s0, -1
	s_mov_b32 s19, exec_lo
	v_cmpx_eq_u16_e32 0x80, v9
; %bb.510:
	s_xor_b32 s0, exec_lo, -1
; %bb.511:
	s_or_b32 exec_lo, exec_lo, s19
	s_delay_alu instid0(SALU_CYCLE_1)
	s_and_b32 s0, s0, exec_lo
	s_or_saveexec_b32 s18, s18
	v_mov_b32_e32 v10, 0x7f800001
	s_xor_b32 exec_lo, exec_lo, s18
	s_cbranch_execz .LBB290_166
.LBB290_512:
	v_cmp_ne_u16_e32 vcc_lo, 0, v9
	v_mov_b32_e32 v10, 0
	s_and_not1_b32 s0, s0, exec_lo
	s_and_b32 s19, vcc_lo, exec_lo
	s_delay_alu instid0(SALU_CYCLE_1)
	s_or_b32 s0, s0, s19
	s_or_b32 exec_lo, exec_lo, s18
	s_and_saveexec_b32 s18, s0
	s_cbranch_execnz .LBB290_167
	s_branch .LBB290_168
.LBB290_513:
	s_mov_b32 s0, -1
	s_mov_b32 s19, exec_lo
	v_cmpx_eq_u16_e32 0x80, v8
; %bb.514:
	s_xor_b32 s0, exec_lo, -1
; %bb.515:
	s_or_b32 exec_lo, exec_lo, s19
	s_delay_alu instid0(SALU_CYCLE_1)
	s_and_b32 s0, s0, exec_lo
	s_or_saveexec_b32 s18, s18
	v_mov_b32_e32 v7, 0x7f800001
	s_xor_b32 exec_lo, exec_lo, s18
	s_cbranch_execz .LBB290_170
.LBB290_516:
	v_cmp_ne_u16_e32 vcc_lo, 0, v8
	v_mov_b32_e32 v7, 0
	s_and_not1_b32 s0, s0, exec_lo
	s_and_b32 s19, vcc_lo, exec_lo
	s_delay_alu instid0(SALU_CYCLE_1)
	s_or_b32 s0, s0, s19
	s_or_b32 exec_lo, exec_lo, s18
	s_and_saveexec_b32 s18, s0
	s_cbranch_execnz .LBB290_171
	s_branch .LBB290_172
.LBB290_517:
	s_mov_b32 s0, -1
	s_mov_b32 s20, exec_lo
	v_cmpx_eq_u16_e32 0x80, v6
; %bb.518:
	s_xor_b32 s0, exec_lo, -1
; %bb.519:
	s_or_b32 exec_lo, exec_lo, s20
	s_delay_alu instid0(SALU_CYCLE_1)
	s_and_b32 s0, s0, exec_lo
                                        ; implicit-def: $vgpr6
	s_or_saveexec_b32 s19, s19
	v_mov_b32_e32 v7, 0x7f800001
	s_xor_b32 exec_lo, exec_lo, s19
	s_cbranch_execz .LBB290_176
.LBB290_520:
	v_cmp_ne_u16_e32 vcc_lo, 0, v6
	v_mov_b32_e32 v7, 0
	s_and_not1_b32 s0, s0, exec_lo
	s_and_b32 s20, vcc_lo, exec_lo
	s_delay_alu instid0(SALU_CYCLE_1)
	s_or_b32 s0, s0, s20
	s_or_b32 exec_lo, exec_lo, s19
	s_and_saveexec_b32 s19, s0
	s_cbranch_execnz .LBB290_177
	s_branch .LBB290_178
.LBB290_521:
	s_mov_b32 s0, -1
	s_mov_b32 s20, exec_lo
	v_cmpx_eq_u16_e32 0x80, v8
; %bb.522:
	s_xor_b32 s0, exec_lo, -1
; %bb.523:
	s_or_b32 exec_lo, exec_lo, s20
	s_delay_alu instid0(SALU_CYCLE_1)
	s_and_b32 s0, s0, exec_lo
                                        ; implicit-def: $vgpr8
	s_or_saveexec_b32 s19, s19
	v_mov_b32_e32 v6, 0x7f800001
	s_xor_b32 exec_lo, exec_lo, s19
	s_cbranch_execz .LBB290_180
.LBB290_524:
	v_cmp_ne_u16_e32 vcc_lo, 0, v8
	v_mov_b32_e32 v6, 0
	s_and_not1_b32 s0, s0, exec_lo
	s_and_b32 s20, vcc_lo, exec_lo
	s_delay_alu instid0(SALU_CYCLE_1)
	s_or_b32 s0, s0, s20
	s_or_b32 exec_lo, exec_lo, s19
	s_and_saveexec_b32 s19, s0
	s_cbranch_execnz .LBB290_181
	s_branch .LBB290_182
.LBB290_525:
	s_mov_b32 s0, -1
	s_mov_b32 s21, exec_lo
	v_cmpx_eq_u16_e32 0x80, v8
; %bb.526:
	s_xor_b32 s0, exec_lo, -1
; %bb.527:
	s_or_b32 exec_lo, exec_lo, s21
	s_delay_alu instid0(SALU_CYCLE_1)
	s_and_b32 s0, s0, exec_lo
                                        ; implicit-def: $vgpr8
	s_or_saveexec_b32 s20, s20
	v_mov_b32_e32 v9, 0x7f800001
	s_xor_b32 exec_lo, exec_lo, s20
	s_cbranch_execz .LBB290_196
.LBB290_528:
	v_cmp_ne_u16_e32 vcc_lo, 0, v8
	v_mov_b32_e32 v9, 0
	s_and_not1_b32 s0, s0, exec_lo
	s_and_b32 s21, vcc_lo, exec_lo
	s_delay_alu instid0(SALU_CYCLE_1)
	s_or_b32 s0, s0, s21
	s_or_b32 exec_lo, exec_lo, s20
	s_and_saveexec_b32 s20, s0
	s_cbranch_execnz .LBB290_197
	s_branch .LBB290_198
.LBB290_529:
	s_mov_b32 s0, -1
	s_mov_b32 s21, exec_lo
	v_cmpx_eq_u16_e32 0x80, v8
; %bb.530:
	s_xor_b32 s0, exec_lo, -1
; %bb.531:
	s_or_b32 exec_lo, exec_lo, s21
	s_delay_alu instid0(SALU_CYCLE_1)
	s_and_b32 s0, s0, exec_lo
                                        ; implicit-def: $vgpr8
	s_or_saveexec_b32 s20, s20
	v_mov_b32_e32 v7, 0x7f800001
	s_xor_b32 exec_lo, exec_lo, s20
	s_cbranch_execz .LBB290_200
.LBB290_532:
	v_cmp_ne_u16_e32 vcc_lo, 0, v8
	v_mov_b32_e32 v7, 0
	s_and_not1_b32 s0, s0, exec_lo
	s_and_b32 s21, vcc_lo, exec_lo
	s_delay_alu instid0(SALU_CYCLE_1)
	s_or_b32 s0, s0, s21
	s_or_b32 exec_lo, exec_lo, s20
	s_and_saveexec_b32 s20, s0
	s_cbranch_execnz .LBB290_201
	s_branch .LBB290_202
.LBB290_533:
	s_mov_b32 s0, -1
	s_mov_b32 s22, exec_lo
	v_cmpx_eq_u16_e32 0x80, v8
; %bb.534:
	s_xor_b32 s0, exec_lo, -1
; %bb.535:
	s_or_b32 exec_lo, exec_lo, s22
	s_delay_alu instid0(SALU_CYCLE_1)
	s_and_b32 s0, s0, exec_lo
                                        ; implicit-def: $vgpr8
	s_or_saveexec_b32 s21, s21
	v_mov_b32_e32 v9, 0x7f800001
	s_xor_b32 exec_lo, exec_lo, s21
	s_cbranch_execz .LBB290_216
.LBB290_536:
	v_cmp_ne_u16_e32 vcc_lo, 0, v8
	v_mov_b32_e32 v9, 0
	s_and_not1_b32 s0, s0, exec_lo
	s_and_b32 s22, vcc_lo, exec_lo
	s_delay_alu instid0(SALU_CYCLE_1)
	s_or_b32 s0, s0, s22
	s_or_b32 exec_lo, exec_lo, s21
	s_and_saveexec_b32 s21, s0
	s_cbranch_execnz .LBB290_217
	s_branch .LBB290_218
.LBB290_537:
	s_mov_b32 s0, -1
	s_mov_b32 s22, exec_lo
	v_cmpx_eq_u16_e32 0x80, v8
; %bb.538:
	s_xor_b32 s0, exec_lo, -1
; %bb.539:
	s_or_b32 exec_lo, exec_lo, s22
	s_delay_alu instid0(SALU_CYCLE_1)
	s_and_b32 s0, s0, exec_lo
                                        ; implicit-def: $vgpr8
	s_or_saveexec_b32 s21, s21
	v_mov_b32_e32 v7, 0x7f800001
	s_xor_b32 exec_lo, exec_lo, s21
	s_cbranch_execz .LBB290_220
.LBB290_540:
	v_cmp_ne_u16_e32 vcc_lo, 0, v8
	v_mov_b32_e32 v7, 0
	s_and_not1_b32 s0, s0, exec_lo
	s_and_b32 s22, vcc_lo, exec_lo
	s_delay_alu instid0(SALU_CYCLE_1)
	s_or_b32 s0, s0, s22
	s_or_b32 exec_lo, exec_lo, s21
	s_and_saveexec_b32 s21, s0
	s_cbranch_execnz .LBB290_221
	s_branch .LBB290_222
.LBB290_541:
	s_mov_b32 s0, -1
	s_mov_b32 s23, exec_lo
	v_cmpx_eq_u16_e32 0x80, v7
; %bb.542:
	s_xor_b32 s0, exec_lo, -1
; %bb.543:
	s_or_b32 exec_lo, exec_lo, s23
	s_delay_alu instid0(SALU_CYCLE_1)
	s_and_b32 s0, s0, exec_lo
	s_or_saveexec_b32 s22, s22
	v_mov_b32_e32 v8, 0x7f800001
	s_xor_b32 exec_lo, exec_lo, s22
	s_cbranch_execz .LBB290_246
.LBB290_544:
	v_cmp_ne_u16_e32 vcc_lo, 0, v7
	v_mov_b32_e32 v8, 0
	s_and_not1_b32 s0, s0, exec_lo
	s_and_b32 s23, vcc_lo, exec_lo
	s_delay_alu instid0(SALU_CYCLE_1)
	s_or_b32 s0, s0, s23
	s_or_b32 exec_lo, exec_lo, s22
	s_and_saveexec_b32 s22, s0
	s_cbranch_execnz .LBB290_247
	s_branch .LBB290_248
.LBB290_545:
	s_mov_b32 s0, -1
	s_mov_b32 s23, exec_lo
	v_cmpx_eq_u16_e32 0x80, v6
; %bb.546:
	s_xor_b32 s0, exec_lo, -1
; %bb.547:
	s_or_b32 exec_lo, exec_lo, s23
	s_delay_alu instid0(SALU_CYCLE_1)
	s_and_b32 s0, s0, exec_lo
	s_or_saveexec_b32 s22, s22
	v_mov_b32_e32 v5, 0x7f800001
	s_xor_b32 exec_lo, exec_lo, s22
	s_cbranch_execz .LBB290_250
.LBB290_548:
	v_cmp_ne_u16_e32 vcc_lo, 0, v6
	v_mov_b32_e32 v5, 0
	s_and_not1_b32 s0, s0, exec_lo
	s_and_b32 s23, vcc_lo, exec_lo
	s_delay_alu instid0(SALU_CYCLE_1)
	s_or_b32 s0, s0, s23
	s_or_b32 exec_lo, exec_lo, s22
	s_and_saveexec_b32 s22, s0
	s_cbranch_execnz .LBB290_251
	s_branch .LBB290_252
.LBB290_549:
	s_mov_b32 s0, -1
	s_mov_b32 s24, exec_lo
	v_cmpx_eq_u16_e32 0x80, v4
; %bb.550:
	s_xor_b32 s0, exec_lo, -1
; %bb.551:
	s_or_b32 exec_lo, exec_lo, s24
	s_delay_alu instid0(SALU_CYCLE_1)
	s_and_b32 s0, s0, exec_lo
                                        ; implicit-def: $vgpr4
	s_or_saveexec_b32 s23, s23
	v_mov_b32_e32 v5, 0x7f800001
	s_xor_b32 exec_lo, exec_lo, s23
	s_cbranch_execz .LBB290_256
.LBB290_552:
	v_cmp_ne_u16_e32 vcc_lo, 0, v4
	v_mov_b32_e32 v5, 0
	s_and_not1_b32 s0, s0, exec_lo
	s_and_b32 s24, vcc_lo, exec_lo
	s_delay_alu instid0(SALU_CYCLE_1)
	s_or_b32 s0, s0, s24
	s_or_b32 exec_lo, exec_lo, s23
	s_and_saveexec_b32 s23, s0
	s_cbranch_execnz .LBB290_257
	s_branch .LBB290_258
.LBB290_553:
	s_mov_b32 s0, -1
	s_mov_b32 s24, exec_lo
	v_cmpx_eq_u16_e32 0x80, v6
; %bb.554:
	s_xor_b32 s0, exec_lo, -1
; %bb.555:
	s_or_b32 exec_lo, exec_lo, s24
	s_delay_alu instid0(SALU_CYCLE_1)
	s_and_b32 s0, s0, exec_lo
                                        ; implicit-def: $vgpr6
	s_or_saveexec_b32 s23, s23
	v_mov_b32_e32 v4, 0x7f800001
	s_xor_b32 exec_lo, exec_lo, s23
	s_cbranch_execz .LBB290_260
.LBB290_556:
	v_cmp_ne_u16_e32 vcc_lo, 0, v6
	v_mov_b32_e32 v4, 0
	s_and_not1_b32 s0, s0, exec_lo
	s_and_b32 s24, vcc_lo, exec_lo
	s_delay_alu instid0(SALU_CYCLE_1)
	s_or_b32 s0, s0, s24
	s_or_b32 exec_lo, exec_lo, s23
	s_and_saveexec_b32 s23, s0
	s_cbranch_execnz .LBB290_261
	s_branch .LBB290_262
.LBB290_557:
	s_mov_b32 s0, -1
	s_mov_b32 s25, exec_lo
	v_cmpx_eq_u16_e32 0x80, v6
; %bb.558:
	s_xor_b32 s0, exec_lo, -1
; %bb.559:
	s_or_b32 exec_lo, exec_lo, s25
	s_delay_alu instid0(SALU_CYCLE_1)
	s_and_b32 s0, s0, exec_lo
                                        ; implicit-def: $vgpr6
	s_or_saveexec_b32 s24, s24
	v_mov_b32_e32 v7, 0x7f800001
	s_xor_b32 exec_lo, exec_lo, s24
	s_cbranch_execz .LBB290_276
.LBB290_560:
	v_cmp_ne_u16_e32 vcc_lo, 0, v6
	v_mov_b32_e32 v7, 0
	s_and_not1_b32 s0, s0, exec_lo
	s_and_b32 s25, vcc_lo, exec_lo
	s_delay_alu instid0(SALU_CYCLE_1)
	s_or_b32 s0, s0, s25
	s_or_b32 exec_lo, exec_lo, s24
	s_and_saveexec_b32 s24, s0
	s_cbranch_execnz .LBB290_277
	s_branch .LBB290_278
.LBB290_561:
	s_mov_b32 s0, -1
	s_mov_b32 s25, exec_lo
	v_cmpx_eq_u16_e32 0x80, v6
; %bb.562:
	s_xor_b32 s0, exec_lo, -1
; %bb.563:
	s_or_b32 exec_lo, exec_lo, s25
	s_delay_alu instid0(SALU_CYCLE_1)
	s_and_b32 s0, s0, exec_lo
                                        ; implicit-def: $vgpr6
	s_or_saveexec_b32 s24, s24
	v_mov_b32_e32 v5, 0x7f800001
	s_xor_b32 exec_lo, exec_lo, s24
	s_cbranch_execz .LBB290_280
.LBB290_564:
	v_cmp_ne_u16_e32 vcc_lo, 0, v6
	v_mov_b32_e32 v5, 0
	s_and_not1_b32 s0, s0, exec_lo
	s_and_b32 s25, vcc_lo, exec_lo
	s_delay_alu instid0(SALU_CYCLE_1)
	s_or_b32 s0, s0, s25
	s_or_b32 exec_lo, exec_lo, s24
	s_and_saveexec_b32 s24, s0
	s_cbranch_execnz .LBB290_281
	s_branch .LBB290_282
.LBB290_565:
	s_mov_b32 s0, -1
	s_mov_b32 s26, exec_lo
	v_cmpx_eq_u16_e32 0x80, v6
; %bb.566:
	s_xor_b32 s0, exec_lo, -1
; %bb.567:
	s_or_b32 exec_lo, exec_lo, s26
	s_delay_alu instid0(SALU_CYCLE_1)
	s_and_b32 s0, s0, exec_lo
                                        ; implicit-def: $vgpr6
	s_or_saveexec_b32 s25, s25
	v_mov_b32_e32 v7, 0x7f800001
	s_xor_b32 exec_lo, exec_lo, s25
	s_cbranch_execz .LBB290_296
.LBB290_568:
	v_cmp_ne_u16_e32 vcc_lo, 0, v6
	v_mov_b32_e32 v7, 0
	s_and_not1_b32 s0, s0, exec_lo
	s_and_b32 s26, vcc_lo, exec_lo
	s_delay_alu instid0(SALU_CYCLE_1)
	s_or_b32 s0, s0, s26
	s_or_b32 exec_lo, exec_lo, s25
	s_and_saveexec_b32 s25, s0
	s_cbranch_execnz .LBB290_297
	s_branch .LBB290_298
.LBB290_569:
	s_mov_b32 s0, -1
	s_mov_b32 s26, exec_lo
	v_cmpx_eq_u16_e32 0x80, v6
; %bb.570:
	s_xor_b32 s0, exec_lo, -1
; %bb.571:
	s_or_b32 exec_lo, exec_lo, s26
	s_delay_alu instid0(SALU_CYCLE_1)
	s_and_b32 s0, s0, exec_lo
                                        ; implicit-def: $vgpr6
	s_or_saveexec_b32 s25, s25
	v_mov_b32_e32 v5, 0x7f800001
	s_xor_b32 exec_lo, exec_lo, s25
	s_cbranch_execz .LBB290_300
.LBB290_572:
	v_cmp_ne_u16_e32 vcc_lo, 0, v6
	v_mov_b32_e32 v5, 0
	s_and_not1_b32 s0, s0, exec_lo
	s_and_b32 s26, vcc_lo, exec_lo
	s_delay_alu instid0(SALU_CYCLE_1)
	s_or_b32 s0, s0, s26
	s_or_b32 exec_lo, exec_lo, s25
	s_and_saveexec_b32 s25, s0
	s_cbranch_execnz .LBB290_301
	s_branch .LBB290_302
.LBB290_573:
	s_mov_b32 s0, -1
	s_mov_b32 s27, exec_lo
	v_cmpx_eq_u16_e32 0x80, v4
; %bb.574:
	s_xor_b32 s0, exec_lo, -1
; %bb.575:
	s_or_b32 exec_lo, exec_lo, s27
	s_delay_alu instid0(SALU_CYCLE_1)
	s_and_b32 s0, s0, exec_lo
	s_or_saveexec_b32 s26, s26
	v_mov_b32_e32 v5, 0x7f800001
	s_xor_b32 exec_lo, exec_lo, s26
	s_cbranch_execz .LBB290_316
.LBB290_576:
	v_cmp_ne_u16_e32 vcc_lo, 0, v4
	v_mov_b32_e32 v5, 0
	s_and_not1_b32 s0, s0, exec_lo
	s_and_b32 s27, vcc_lo, exec_lo
	s_delay_alu instid0(SALU_CYCLE_1)
	s_or_b32 s0, s0, s27
	s_or_b32 exec_lo, exec_lo, s26
	s_and_saveexec_b32 s26, s0
	s_cbranch_execnz .LBB290_317
	s_branch .LBB290_318
.LBB290_577:
	s_mov_b32 s0, -1
	s_mov_b32 s27, exec_lo
	v_cmpx_eq_u16_e32 0x80, v3
; %bb.578:
	s_xor_b32 s0, exec_lo, -1
; %bb.579:
	s_or_b32 exec_lo, exec_lo, s27
	s_delay_alu instid0(SALU_CYCLE_1)
	s_and_b32 s0, s0, exec_lo
	s_or_saveexec_b32 s26, s26
	v_mov_b32_e32 v2, 0x7f800001
	s_xor_b32 exec_lo, exec_lo, s26
	s_cbranch_execz .LBB290_320
.LBB290_580:
	v_cmp_ne_u16_e32 vcc_lo, 0, v3
	v_mov_b32_e32 v2, 0
	s_and_not1_b32 s0, s0, exec_lo
	s_and_b32 s27, vcc_lo, exec_lo
	s_delay_alu instid0(SALU_CYCLE_1)
	s_or_b32 s0, s0, s27
	s_or_b32 exec_lo, exec_lo, s26
	s_and_saveexec_b32 s26, s0
	s_cbranch_execnz .LBB290_321
	s_branch .LBB290_322
	.section	.rodata,"a",@progbits
	.p2align	6, 0x0
	.amdhsa_kernel _ZN2at6native29vectorized_elementwise_kernelILi4ENS0_13BinaryFunctorIN3c1015Float8_e4m3fnuzES4_bNS0_12_GLOBAL__N_116CompareEqFunctorIS4_EEEESt5arrayIPcLm3EEEEviT0_T1_
		.amdhsa_group_segment_fixed_size 0
		.amdhsa_private_segment_fixed_size 0
		.amdhsa_kernarg_size 32
		.amdhsa_user_sgpr_count 2
		.amdhsa_user_sgpr_dispatch_ptr 0
		.amdhsa_user_sgpr_queue_ptr 0
		.amdhsa_user_sgpr_kernarg_segment_ptr 1
		.amdhsa_user_sgpr_dispatch_id 0
		.amdhsa_user_sgpr_kernarg_preload_length 0
		.amdhsa_user_sgpr_kernarg_preload_offset 0
		.amdhsa_user_sgpr_private_segment_size 0
		.amdhsa_wavefront_size32 1
		.amdhsa_uses_dynamic_stack 0
		.amdhsa_enable_private_segment 0
		.amdhsa_system_sgpr_workgroup_id_x 1
		.amdhsa_system_sgpr_workgroup_id_y 0
		.amdhsa_system_sgpr_workgroup_id_z 0
		.amdhsa_system_sgpr_workgroup_info 0
		.amdhsa_system_vgpr_workitem_id 0
		.amdhsa_next_free_vgpr 67
		.amdhsa_next_free_sgpr 33
		.amdhsa_named_barrier_count 0
		.amdhsa_reserve_vcc 1
		.amdhsa_float_round_mode_32 0
		.amdhsa_float_round_mode_16_64 0
		.amdhsa_float_denorm_mode_32 3
		.amdhsa_float_denorm_mode_16_64 3
		.amdhsa_fp16_overflow 0
		.amdhsa_memory_ordered 1
		.amdhsa_forward_progress 1
		.amdhsa_inst_pref_size 152
		.amdhsa_round_robin_scheduling 0
		.amdhsa_exception_fp_ieee_invalid_op 0
		.amdhsa_exception_fp_denorm_src 0
		.amdhsa_exception_fp_ieee_div_zero 0
		.amdhsa_exception_fp_ieee_overflow 0
		.amdhsa_exception_fp_ieee_underflow 0
		.amdhsa_exception_fp_ieee_inexact 0
		.amdhsa_exception_int_div_zero 0
	.end_amdhsa_kernel
	.section	.text._ZN2at6native29vectorized_elementwise_kernelILi4ENS0_13BinaryFunctorIN3c1015Float8_e4m3fnuzES4_bNS0_12_GLOBAL__N_116CompareEqFunctorIS4_EEEESt5arrayIPcLm3EEEEviT0_T1_,"axG",@progbits,_ZN2at6native29vectorized_elementwise_kernelILi4ENS0_13BinaryFunctorIN3c1015Float8_e4m3fnuzES4_bNS0_12_GLOBAL__N_116CompareEqFunctorIS4_EEEESt5arrayIPcLm3EEEEviT0_T1_,comdat
.Lfunc_end290:
	.size	_ZN2at6native29vectorized_elementwise_kernelILi4ENS0_13BinaryFunctorIN3c1015Float8_e4m3fnuzES4_bNS0_12_GLOBAL__N_116CompareEqFunctorIS4_EEEESt5arrayIPcLm3EEEEviT0_T1_, .Lfunc_end290-_ZN2at6native29vectorized_elementwise_kernelILi4ENS0_13BinaryFunctorIN3c1015Float8_e4m3fnuzES4_bNS0_12_GLOBAL__N_116CompareEqFunctorIS4_EEEESt5arrayIPcLm3EEEEviT0_T1_
                                        ; -- End function
	.set _ZN2at6native29vectorized_elementwise_kernelILi4ENS0_13BinaryFunctorIN3c1015Float8_e4m3fnuzES4_bNS0_12_GLOBAL__N_116CompareEqFunctorIS4_EEEESt5arrayIPcLm3EEEEviT0_T1_.num_vgpr, max(32, .L_ZN2at6native25elementwise_kernel_helperILb0ENS0_13BinaryFunctorIN3c1015Float8_e4m3fnuzES4_bNS0_12_GLOBAL__N_116CompareEqFunctorIS4_EEEENS0_6memory8policies11unroll_baseILi256ESt5arrayIPcLm3EE23TrivialOffsetCalculatorILi2EjESF_ILi1EjENS9_15LoadWithoutCastENS9_16StoreWithoutCastELi16ELi1EEEEEvT0_T1_.num_vgpr)
	.set _ZN2at6native29vectorized_elementwise_kernelILi4ENS0_13BinaryFunctorIN3c1015Float8_e4m3fnuzES4_bNS0_12_GLOBAL__N_116CompareEqFunctorIS4_EEEESt5arrayIPcLm3EEEEviT0_T1_.num_agpr, max(0, .L_ZN2at6native25elementwise_kernel_helperILb0ENS0_13BinaryFunctorIN3c1015Float8_e4m3fnuzES4_bNS0_12_GLOBAL__N_116CompareEqFunctorIS4_EEEENS0_6memory8policies11unroll_baseILi256ESt5arrayIPcLm3EE23TrivialOffsetCalculatorILi2EjESF_ILi1EjENS9_15LoadWithoutCastENS9_16StoreWithoutCastELi16ELi1EEEEEvT0_T1_.num_agpr)
	.set _ZN2at6native29vectorized_elementwise_kernelILi4ENS0_13BinaryFunctorIN3c1015Float8_e4m3fnuzES4_bNS0_12_GLOBAL__N_116CompareEqFunctorIS4_EEEESt5arrayIPcLm3EEEEviT0_T1_.numbered_sgpr, max(33, .L_ZN2at6native25elementwise_kernel_helperILb0ENS0_13BinaryFunctorIN3c1015Float8_e4m3fnuzES4_bNS0_12_GLOBAL__N_116CompareEqFunctorIS4_EEEENS0_6memory8policies11unroll_baseILi256ESt5arrayIPcLm3EE23TrivialOffsetCalculatorILi2EjESF_ILi1EjENS9_15LoadWithoutCastENS9_16StoreWithoutCastELi16ELi1EEEEEvT0_T1_.numbered_sgpr)
	.set _ZN2at6native29vectorized_elementwise_kernelILi4ENS0_13BinaryFunctorIN3c1015Float8_e4m3fnuzES4_bNS0_12_GLOBAL__N_116CompareEqFunctorIS4_EEEESt5arrayIPcLm3EEEEviT0_T1_.num_named_barrier, max(0, .L_ZN2at6native25elementwise_kernel_helperILb0ENS0_13BinaryFunctorIN3c1015Float8_e4m3fnuzES4_bNS0_12_GLOBAL__N_116CompareEqFunctorIS4_EEEENS0_6memory8policies11unroll_baseILi256ESt5arrayIPcLm3EE23TrivialOffsetCalculatorILi2EjESF_ILi1EjENS9_15LoadWithoutCastENS9_16StoreWithoutCastELi16ELi1EEEEEvT0_T1_.num_named_barrier)
	.set _ZN2at6native29vectorized_elementwise_kernelILi4ENS0_13BinaryFunctorIN3c1015Float8_e4m3fnuzES4_bNS0_12_GLOBAL__N_116CompareEqFunctorIS4_EEEESt5arrayIPcLm3EEEEviT0_T1_.private_seg_size, 0+max(.L_ZN2at6native25elementwise_kernel_helperILb0ENS0_13BinaryFunctorIN3c1015Float8_e4m3fnuzES4_bNS0_12_GLOBAL__N_116CompareEqFunctorIS4_EEEENS0_6memory8policies11unroll_baseILi256ESt5arrayIPcLm3EE23TrivialOffsetCalculatorILi2EjESF_ILi1EjENS9_15LoadWithoutCastENS9_16StoreWithoutCastELi16ELi1EEEEEvT0_T1_.private_seg_size)
	.set _ZN2at6native29vectorized_elementwise_kernelILi4ENS0_13BinaryFunctorIN3c1015Float8_e4m3fnuzES4_bNS0_12_GLOBAL__N_116CompareEqFunctorIS4_EEEESt5arrayIPcLm3EEEEviT0_T1_.uses_vcc, or(1, .L_ZN2at6native25elementwise_kernel_helperILb0ENS0_13BinaryFunctorIN3c1015Float8_e4m3fnuzES4_bNS0_12_GLOBAL__N_116CompareEqFunctorIS4_EEEENS0_6memory8policies11unroll_baseILi256ESt5arrayIPcLm3EE23TrivialOffsetCalculatorILi2EjESF_ILi1EjENS9_15LoadWithoutCastENS9_16StoreWithoutCastELi16ELi1EEEEEvT0_T1_.uses_vcc)
	.set _ZN2at6native29vectorized_elementwise_kernelILi4ENS0_13BinaryFunctorIN3c1015Float8_e4m3fnuzES4_bNS0_12_GLOBAL__N_116CompareEqFunctorIS4_EEEESt5arrayIPcLm3EEEEviT0_T1_.uses_flat_scratch, or(0, .L_ZN2at6native25elementwise_kernel_helperILb0ENS0_13BinaryFunctorIN3c1015Float8_e4m3fnuzES4_bNS0_12_GLOBAL__N_116CompareEqFunctorIS4_EEEENS0_6memory8policies11unroll_baseILi256ESt5arrayIPcLm3EE23TrivialOffsetCalculatorILi2EjESF_ILi1EjENS9_15LoadWithoutCastENS9_16StoreWithoutCastELi16ELi1EEEEEvT0_T1_.uses_flat_scratch)
	.set _ZN2at6native29vectorized_elementwise_kernelILi4ENS0_13BinaryFunctorIN3c1015Float8_e4m3fnuzES4_bNS0_12_GLOBAL__N_116CompareEqFunctorIS4_EEEESt5arrayIPcLm3EEEEviT0_T1_.has_dyn_sized_stack, or(0, .L_ZN2at6native25elementwise_kernel_helperILb0ENS0_13BinaryFunctorIN3c1015Float8_e4m3fnuzES4_bNS0_12_GLOBAL__N_116CompareEqFunctorIS4_EEEENS0_6memory8policies11unroll_baseILi256ESt5arrayIPcLm3EE23TrivialOffsetCalculatorILi2EjESF_ILi1EjENS9_15LoadWithoutCastENS9_16StoreWithoutCastELi16ELi1EEEEEvT0_T1_.has_dyn_sized_stack)
	.set _ZN2at6native29vectorized_elementwise_kernelILi4ENS0_13BinaryFunctorIN3c1015Float8_e4m3fnuzES4_bNS0_12_GLOBAL__N_116CompareEqFunctorIS4_EEEESt5arrayIPcLm3EEEEviT0_T1_.has_recursion, or(0, .L_ZN2at6native25elementwise_kernel_helperILb0ENS0_13BinaryFunctorIN3c1015Float8_e4m3fnuzES4_bNS0_12_GLOBAL__N_116CompareEqFunctorIS4_EEEENS0_6memory8policies11unroll_baseILi256ESt5arrayIPcLm3EE23TrivialOffsetCalculatorILi2EjESF_ILi1EjENS9_15LoadWithoutCastENS9_16StoreWithoutCastELi16ELi1EEEEEvT0_T1_.has_recursion)
	.set _ZN2at6native29vectorized_elementwise_kernelILi4ENS0_13BinaryFunctorIN3c1015Float8_e4m3fnuzES4_bNS0_12_GLOBAL__N_116CompareEqFunctorIS4_EEEESt5arrayIPcLm3EEEEviT0_T1_.has_indirect_call, or(0, .L_ZN2at6native25elementwise_kernel_helperILb0ENS0_13BinaryFunctorIN3c1015Float8_e4m3fnuzES4_bNS0_12_GLOBAL__N_116CompareEqFunctorIS4_EEEENS0_6memory8policies11unroll_baseILi256ESt5arrayIPcLm3EE23TrivialOffsetCalculatorILi2EjESF_ILi1EjENS9_15LoadWithoutCastENS9_16StoreWithoutCastELi16ELi1EEEEEvT0_T1_.has_indirect_call)
	.section	.AMDGPU.csdata,"",@progbits
; Kernel info:
; codeLenInByte = 19336
; TotalNumSgprs: 35
; NumVgprs: 67
; ScratchSize: 0
; MemoryBound: 0
; FloatMode: 240
; IeeeMode: 1
; LDSByteSize: 0 bytes/workgroup (compile time only)
; SGPRBlocks: 0
; VGPRBlocks: 4
; NumSGPRsForWavesPerEU: 35
; NumVGPRsForWavesPerEU: 67
; NamedBarCnt: 0
; Occupancy: 12
; WaveLimiterHint : 1
; COMPUTE_PGM_RSRC2:SCRATCH_EN: 0
; COMPUTE_PGM_RSRC2:USER_SGPR: 2
; COMPUTE_PGM_RSRC2:TRAP_HANDLER: 0
; COMPUTE_PGM_RSRC2:TGID_X_EN: 1
; COMPUTE_PGM_RSRC2:TGID_Y_EN: 0
; COMPUTE_PGM_RSRC2:TGID_Z_EN: 0
; COMPUTE_PGM_RSRC2:TIDIG_COMP_CNT: 0
	.section	.text._ZN2at6native29vectorized_elementwise_kernelILi2ENS0_13BinaryFunctorIN3c1015Float8_e4m3fnuzES4_bNS0_12_GLOBAL__N_116CompareEqFunctorIS4_EEEESt5arrayIPcLm3EEEEviT0_T1_,"axG",@progbits,_ZN2at6native29vectorized_elementwise_kernelILi2ENS0_13BinaryFunctorIN3c1015Float8_e4m3fnuzES4_bNS0_12_GLOBAL__N_116CompareEqFunctorIS4_EEEESt5arrayIPcLm3EEEEviT0_T1_,comdat
	.globl	_ZN2at6native29vectorized_elementwise_kernelILi2ENS0_13BinaryFunctorIN3c1015Float8_e4m3fnuzES4_bNS0_12_GLOBAL__N_116CompareEqFunctorIS4_EEEESt5arrayIPcLm3EEEEviT0_T1_ ; -- Begin function _ZN2at6native29vectorized_elementwise_kernelILi2ENS0_13BinaryFunctorIN3c1015Float8_e4m3fnuzES4_bNS0_12_GLOBAL__N_116CompareEqFunctorIS4_EEEESt5arrayIPcLm3EEEEviT0_T1_
	.p2align	8
	.type	_ZN2at6native29vectorized_elementwise_kernelILi2ENS0_13BinaryFunctorIN3c1015Float8_e4m3fnuzES4_bNS0_12_GLOBAL__N_116CompareEqFunctorIS4_EEEESt5arrayIPcLm3EEEEviT0_T1_,@function
_ZN2at6native29vectorized_elementwise_kernelILi2ENS0_13BinaryFunctorIN3c1015Float8_e4m3fnuzES4_bNS0_12_GLOBAL__N_116CompareEqFunctorIS4_EEEESt5arrayIPcLm3EEEEviT0_T1_: ; @_ZN2at6native29vectorized_elementwise_kernelILi2ENS0_13BinaryFunctorIN3c1015Float8_e4m3fnuzES4_bNS0_12_GLOBAL__N_116CompareEqFunctorIS4_EEEESt5arrayIPcLm3EEEEviT0_T1_
; %bb.0:
	s_clause 0x2
	s_load_b64 s[8:9], s[0:1], 0x0
	s_load_b128 s[4:7], s[0:1], 0x8
	s_load_b64 s[2:3], s[0:1], 0x18
	s_wait_xcnt 0x0
	s_bfe_u32 s0, ttmp6, 0x4000c
	s_and_b32 s1, ttmp6, 15
	s_add_co_i32 s0, s0, 1
	s_getreg_b32 s10, hwreg(HW_REG_IB_STS2, 6, 4)
	s_mul_i32 s0, ttmp9, s0
	s_mov_b32 s32, 0
	s_add_co_i32 s1, s1, s0
	s_cmp_eq_u32 s10, 0
	s_cselect_b32 s0, ttmp9, s1
	s_mov_b32 s1, -1
	s_lshl_b32 s0, s0, 12
	s_wait_kmcnt 0x0
	s_sub_co_i32 s8, s8, s0
	s_delay_alu instid0(SALU_CYCLE_1)
	s_cmp_gt_i32 s8, 0xfff
	s_cbranch_scc1 .LBB291_3
; %bb.1:
	s_and_b32 vcc_lo, exec_lo, s1
	s_cbranch_vccnz .LBB291_324
.LBB291_2:
	s_sendmsg sendmsg(MSG_DEALLOC_VGPRS)
	s_endpgm
.LBB291_3:
	s_ashr_i32 s1, s0, 31
	s_cmp_lg_u32 s9, 0
	s_add_nc_u64 s[10:11], s[6:7], s[0:1]
	s_add_nc_u64 s[12:13], s[2:3], s[0:1]
	s_clause 0xf
	global_load_u16 v17, v0, s[10:11] scale_offset
	global_load_u16 v15, v0, s[10:11] offset:512 scale_offset
	global_load_u16 v13, v0, s[10:11] offset:1024 scale_offset
	;; [unrolled: 1-line block ×7, first 2 shown]
	global_load_u16 v16, v0, s[12:13] scale_offset
	global_load_u16 v14, v0, s[12:13] offset:512 scale_offset
	global_load_u16 v12, v0, s[12:13] offset:1024 scale_offset
	;; [unrolled: 1-line block ×6, first 2 shown]
	; meta instruction
	global_load_u16 v1, v0, s[12:13] offset:3584 scale_offset
	s_wait_xcnt 0x8
	s_cselect_b32 s11, -1, 0
	s_delay_alu instid0(SALU_CYCLE_1)
	s_and_b32 vcc_lo, exec_lo, s11
	s_wait_loadcnt 0xf
	v_and_b32_e32 v3, 0xff, v17
	s_cbranch_vccz .LBB291_13
; %bb.4:
	s_mov_b32 s10, 0
	s_wait_xcnt 0x0
	s_mov_b32 s12, exec_lo
	v_cmpx_lt_i16_e32 0x7f, v3
	s_xor_b32 s12, exec_lo, s12
	s_cbranch_execnz .LBB291_325
; %bb.5:
	s_or_saveexec_b32 s12, s12
	v_mov_b32_e32 v18, 0x7f800001
	s_xor_b32 exec_lo, exec_lo, s12
	s_cbranch_execnz .LBB291_328
.LBB291_6:
	s_or_b32 exec_lo, exec_lo, s12
	s_and_saveexec_b32 s12, s10
	s_cbranch_execz .LBB291_8
.LBB291_7:
	v_and_b32_e32 v18, 0xffff, v3
	s_delay_alu instid0(VALU_DEP_1) | instskip(SKIP_1) | instid1(VALU_DEP_2)
	v_and_b32_e32 v19, 7, v18
	v_bfe_u32 v22, v18, 3, 4
	v_clz_i32_u32_e32 v20, v19
	s_delay_alu instid0(VALU_DEP_2) | instskip(NEXT) | instid1(VALU_DEP_2)
	v_cmp_eq_u32_e32 vcc_lo, 0, v22
	v_min_u32_e32 v20, 32, v20
	s_delay_alu instid0(VALU_DEP_1) | instskip(NEXT) | instid1(VALU_DEP_1)
	v_subrev_nc_u32_e32 v21, 28, v20
	v_dual_lshlrev_b32 v18, v21, v18 :: v_dual_sub_nc_u32 v20, 29, v20
	s_delay_alu instid0(VALU_DEP_1) | instskip(NEXT) | instid1(VALU_DEP_1)
	v_dual_lshlrev_b32 v21, 24, v17 :: v_dual_bitop2_b32 v18, 7, v18 bitop3:0x40
	v_dual_cndmask_b32 v20, v22, v20, vcc_lo :: v_dual_cndmask_b32 v18, v19, v18, vcc_lo
	s_delay_alu instid0(VALU_DEP_2) | instskip(NEXT) | instid1(VALU_DEP_2)
	v_and_b32_e32 v19, 0x80000000, v21
	v_lshl_add_u32 v20, v20, 23, 0x3b800000
	s_delay_alu instid0(VALU_DEP_3) | instskip(NEXT) | instid1(VALU_DEP_1)
	v_lshlrev_b32_e32 v18, 20, v18
	v_or3_b32 v18, v19, v20, v18
.LBB291_8:
	s_or_b32 exec_lo, exec_lo, s12
	s_wait_loadcnt 0x7
	v_and_b32_e32 v19, 0xff, v16
	s_mov_b32 s10, 0
	s_mov_b32 s12, exec_lo
	s_delay_alu instid0(VALU_DEP_1)
	v_cmpx_lt_i16_e32 0x7f, v19
	s_xor_b32 s12, exec_lo, s12
	s_cbranch_execnz .LBB291_329
; %bb.9:
	s_or_saveexec_b32 s12, s12
	v_mov_b32_e32 v20, 0x7f800001
	s_xor_b32 exec_lo, exec_lo, s12
	s_cbranch_execnz .LBB291_332
.LBB291_10:
	s_or_b32 exec_lo, exec_lo, s12
	s_and_saveexec_b32 s12, s10
	s_cbranch_execz .LBB291_12
.LBB291_11:
	v_and_b32_e32 v19, 0xffff, v19
	s_delay_alu instid0(VALU_DEP_1) | instskip(SKIP_1) | instid1(VALU_DEP_2)
	v_and_b32_e32 v20, 7, v19
	v_bfe_u32 v23, v19, 3, 4
	v_clz_i32_u32_e32 v21, v20
	s_delay_alu instid0(VALU_DEP_2) | instskip(NEXT) | instid1(VALU_DEP_2)
	v_cmp_eq_u32_e32 vcc_lo, 0, v23
	v_min_u32_e32 v21, 32, v21
	s_delay_alu instid0(VALU_DEP_1) | instskip(NEXT) | instid1(VALU_DEP_1)
	v_subrev_nc_u32_e32 v22, 28, v21
	v_dual_lshlrev_b32 v19, v22, v19 :: v_dual_sub_nc_u32 v21, 29, v21
	s_delay_alu instid0(VALU_DEP_1) | instskip(NEXT) | instid1(VALU_DEP_1)
	v_dual_lshlrev_b32 v22, 24, v16 :: v_dual_bitop2_b32 v19, 7, v19 bitop3:0x40
	v_dual_cndmask_b32 v21, v23, v21, vcc_lo :: v_dual_cndmask_b32 v19, v20, v19, vcc_lo
	s_delay_alu instid0(VALU_DEP_2) | instskip(NEXT) | instid1(VALU_DEP_2)
	v_and_b32_e32 v20, 0x80000000, v22
	v_lshl_add_u32 v21, v21, 23, 0x3b800000
	s_delay_alu instid0(VALU_DEP_3) | instskip(NEXT) | instid1(VALU_DEP_1)
	v_lshlrev_b32_e32 v19, 20, v19
	v_or3_b32 v20, v20, v21, v19
.LBB291_12:
	s_or_b32 exec_lo, exec_lo, s12
	s_delay_alu instid0(VALU_DEP_1)
	v_cmp_neq_f32_e64 s10, v18, v20
	s_branch .LBB291_23
.LBB291_13:
	s_wait_xcnt 0x0
                                        ; implicit-def: $sgpr10
	s_cbranch_execz .LBB291_23
; %bb.14:
	s_mov_b32 s10, 0
	s_mov_b32 s12, exec_lo
	v_cmpx_lt_i16_e32 0x7f, v3
	s_xor_b32 s12, exec_lo, s12
	s_cbranch_execnz .LBB291_453
; %bb.15:
	s_or_saveexec_b32 s12, s12
	v_mov_b32_e32 v18, 0x7f800001
	s_xor_b32 exec_lo, exec_lo, s12
	s_cbranch_execnz .LBB291_456
.LBB291_16:
	s_or_b32 exec_lo, exec_lo, s12
	s_and_saveexec_b32 s12, s10
	s_cbranch_execz .LBB291_18
.LBB291_17:
	v_and_b32_e32 v3, 0xffff, v3
	s_delay_alu instid0(VALU_DEP_1) | instskip(SKIP_1) | instid1(VALU_DEP_2)
	v_and_b32_e32 v18, 7, v3
	v_bfe_u32 v21, v3, 3, 4
	v_clz_i32_u32_e32 v19, v18
	s_delay_alu instid0(VALU_DEP_2) | instskip(NEXT) | instid1(VALU_DEP_2)
	v_cmp_eq_u32_e32 vcc_lo, 0, v21
	v_min_u32_e32 v19, 32, v19
	s_delay_alu instid0(VALU_DEP_1) | instskip(SKIP_1) | instid1(VALU_DEP_2)
	v_subrev_nc_u32_e32 v20, 28, v19
	v_sub_nc_u32_e32 v19, 29, v19
	v_dual_lshlrev_b32 v3, v20, v3 :: v_dual_lshlrev_b32 v20, 24, v17
	s_delay_alu instid0(VALU_DEP_2) | instskip(NEXT) | instid1(VALU_DEP_2)
	v_cndmask_b32_e32 v19, v21, v19, vcc_lo
	v_and_b32_e32 v3, 7, v3
	s_delay_alu instid0(VALU_DEP_2) | instskip(NEXT) | instid1(VALU_DEP_2)
	v_lshl_add_u32 v19, v19, 23, 0x3b800000
	v_cndmask_b32_e32 v3, v18, v3, vcc_lo
	v_and_b32_e32 v18, 0x80000000, v20
	s_delay_alu instid0(VALU_DEP_2) | instskip(NEXT) | instid1(VALU_DEP_1)
	v_lshlrev_b32_e32 v3, 20, v3
	v_or3_b32 v18, v18, v19, v3
.LBB291_18:
	s_or_b32 exec_lo, exec_lo, s12
	s_wait_loadcnt 0x7
	v_and_b32_e32 v3, 0xff, v16
	s_mov_b32 s10, 0
	s_mov_b32 s12, exec_lo
	s_delay_alu instid0(VALU_DEP_1)
	v_cmpx_lt_i16_e32 0x7f, v3
	s_xor_b32 s12, exec_lo, s12
	s_cbranch_execnz .LBB291_457
; %bb.19:
	s_or_saveexec_b32 s12, s12
	v_mov_b32_e32 v19, 0x7f800001
	s_xor_b32 exec_lo, exec_lo, s12
	s_cbranch_execnz .LBB291_460
.LBB291_20:
	s_or_b32 exec_lo, exec_lo, s12
	s_and_saveexec_b32 s12, s10
	s_cbranch_execz .LBB291_22
.LBB291_21:
	v_and_b32_e32 v3, 0xffff, v3
	s_delay_alu instid0(VALU_DEP_1) | instskip(SKIP_1) | instid1(VALU_DEP_2)
	v_and_b32_e32 v19, 7, v3
	v_bfe_u32 v22, v3, 3, 4
	v_clz_i32_u32_e32 v20, v19
	s_delay_alu instid0(VALU_DEP_2) | instskip(NEXT) | instid1(VALU_DEP_2)
	v_cmp_eq_u32_e32 vcc_lo, 0, v22
	v_min_u32_e32 v20, 32, v20
	s_delay_alu instid0(VALU_DEP_1) | instskip(NEXT) | instid1(VALU_DEP_1)
	v_subrev_nc_u32_e32 v21, 28, v20
	v_dual_lshlrev_b32 v3, v21, v3 :: v_dual_sub_nc_u32 v20, 29, v20
	s_delay_alu instid0(VALU_DEP_1) | instskip(NEXT) | instid1(VALU_DEP_1)
	v_dual_lshlrev_b32 v21, 24, v16 :: v_dual_bitop2_b32 v3, 7, v3 bitop3:0x40
	v_dual_cndmask_b32 v3, v19, v3 :: v_dual_cndmask_b32 v20, v22, v20
	s_delay_alu instid0(VALU_DEP_2) | instskip(NEXT) | instid1(VALU_DEP_2)
	v_and_b32_e32 v19, 0x80000000, v21
	v_lshlrev_b32_e32 v3, 20, v3
	s_delay_alu instid0(VALU_DEP_3) | instskip(NEXT) | instid1(VALU_DEP_1)
	v_lshl_add_u32 v20, v20, 23, 0x3b800000
	v_or3_b32 v19, v19, v20, v3
.LBB291_22:
	s_or_b32 exec_lo, exec_lo, s12
	s_delay_alu instid0(VALU_DEP_1)
	v_cmp_eq_f32_e64 s10, v18, v19
.LBB291_23:
	v_cndmask_b32_e64 v3, 0, 1, s11
	v_lshrrev_b16 v19, 8, v17
	s_wait_loadcnt 0x7
	v_lshrrev_b16 v18, 8, v16
	s_and_not1_b32 vcc_lo, exec_lo, s11
	s_cbranch_vccnz .LBB291_43
; %bb.24:
	s_mov_b32 s11, 0
	s_mov_b32 s12, exec_lo
	v_cmpx_lt_i16_e32 0x7f, v19
	s_xor_b32 s12, exec_lo, s12
	s_cbranch_execnz .LBB291_333
; %bb.25:
	s_or_saveexec_b32 s12, s12
	v_mov_b32_e32 v20, 0x7f800001
	s_xor_b32 exec_lo, exec_lo, s12
	s_cbranch_execnz .LBB291_336
.LBB291_26:
	s_or_b32 exec_lo, exec_lo, s12
	s_and_saveexec_b32 s12, s11
	s_cbranch_execz .LBB291_28
.LBB291_27:
	v_and_b32_e32 v20, 0xffff, v19
	s_delay_alu instid0(VALU_DEP_1) | instskip(SKIP_1) | instid1(VALU_DEP_2)
	v_and_b32_e32 v21, 7, v20
	v_bfe_u32 v24, v20, 3, 4
	v_clz_i32_u32_e32 v22, v21
	s_delay_alu instid0(VALU_DEP_2) | instskip(NEXT) | instid1(VALU_DEP_2)
	v_cmp_eq_u32_e32 vcc_lo, 0, v24
	v_min_u32_e32 v22, 32, v22
	s_delay_alu instid0(VALU_DEP_1) | instskip(NEXT) | instid1(VALU_DEP_1)
	v_subrev_nc_u32_e32 v23, 28, v22
	v_dual_lshlrev_b32 v20, v23, v20 :: v_dual_sub_nc_u32 v22, 29, v22
	s_delay_alu instid0(VALU_DEP_1) | instskip(NEXT) | instid1(VALU_DEP_1)
	v_dual_lshlrev_b32 v23, 16, v17 :: v_dual_bitop2_b32 v20, 7, v20 bitop3:0x40
	v_dual_cndmask_b32 v22, v24, v22, vcc_lo :: v_dual_cndmask_b32 v20, v21, v20, vcc_lo
	s_delay_alu instid0(VALU_DEP_2) | instskip(NEXT) | instid1(VALU_DEP_2)
	v_and_b32_e32 v21, 0x80000000, v23
	v_lshl_add_u32 v22, v22, 23, 0x3b800000
	s_delay_alu instid0(VALU_DEP_3) | instskip(NEXT) | instid1(VALU_DEP_1)
	v_lshlrev_b32_e32 v20, 20, v20
	v_or3_b32 v20, v21, v22, v20
.LBB291_28:
	s_or_b32 exec_lo, exec_lo, s12
	s_mov_b32 s11, 0
	s_mov_b32 s12, exec_lo
	v_cmpx_lt_i16_e32 0x7f, v18
	s_xor_b32 s12, exec_lo, s12
	s_cbranch_execnz .LBB291_337
; %bb.29:
	s_or_saveexec_b32 s12, s12
	v_mov_b32_e32 v21, 0x7f800001
	s_xor_b32 exec_lo, exec_lo, s12
	s_cbranch_execnz .LBB291_340
.LBB291_30:
	s_or_b32 exec_lo, exec_lo, s12
	s_and_saveexec_b32 s12, s11
	s_cbranch_execz .LBB291_32
.LBB291_31:
	v_and_b32_e32 v21, 0xffff, v18
	s_delay_alu instid0(VALU_DEP_1) | instskip(SKIP_1) | instid1(VALU_DEP_2)
	v_and_b32_e32 v22, 7, v21
	v_bfe_u32 v25, v21, 3, 4
	v_clz_i32_u32_e32 v23, v22
	s_delay_alu instid0(VALU_DEP_2) | instskip(NEXT) | instid1(VALU_DEP_2)
	v_cmp_eq_u32_e32 vcc_lo, 0, v25
	v_min_u32_e32 v23, 32, v23
	s_delay_alu instid0(VALU_DEP_1) | instskip(NEXT) | instid1(VALU_DEP_1)
	v_subrev_nc_u32_e32 v24, 28, v23
	v_dual_lshlrev_b32 v21, v24, v21 :: v_dual_sub_nc_u32 v23, 29, v23
	s_delay_alu instid0(VALU_DEP_1) | instskip(NEXT) | instid1(VALU_DEP_1)
	v_dual_lshlrev_b32 v24, 16, v16 :: v_dual_bitop2_b32 v21, 7, v21 bitop3:0x40
	v_dual_cndmask_b32 v23, v25, v23, vcc_lo :: v_dual_cndmask_b32 v21, v22, v21, vcc_lo
	s_delay_alu instid0(VALU_DEP_2) | instskip(NEXT) | instid1(VALU_DEP_2)
	v_and_b32_e32 v22, 0x80000000, v24
	v_lshl_add_u32 v23, v23, 23, 0x3b800000
	s_delay_alu instid0(VALU_DEP_3) | instskip(NEXT) | instid1(VALU_DEP_1)
	v_lshlrev_b32_e32 v21, 20, v21
	v_or3_b32 v21, v22, v23, v21
.LBB291_32:
	s_or_b32 exec_lo, exec_lo, s12
	s_delay_alu instid0(VALU_DEP_1)
	v_cmp_neq_f32_e64 s11, v20, v21
.LBB291_33:
	v_cmp_ne_u32_e32 vcc_lo, 1, v3
	v_and_b32_e32 v16, 0xff, v15
	s_cbranch_vccnz .LBB291_53
.LBB291_34:
	s_mov_b32 s12, 0
	s_mov_b32 s13, exec_lo
	s_delay_alu instid0(VALU_DEP_1)
	v_cmpx_lt_i16_e32 0x7f, v16
	s_xor_b32 s13, exec_lo, s13
	s_cbranch_execnz .LBB291_341
; %bb.35:
	s_or_saveexec_b32 s13, s13
	v_mov_b32_e32 v17, 0x7f800001
	s_xor_b32 exec_lo, exec_lo, s13
	s_cbranch_execnz .LBB291_344
.LBB291_36:
	s_or_b32 exec_lo, exec_lo, s13
	s_and_saveexec_b32 s13, s12
	s_cbranch_execz .LBB291_38
.LBB291_37:
	v_and_b32_e32 v17, 0xffff, v16
	s_delay_alu instid0(VALU_DEP_1) | instskip(SKIP_1) | instid1(VALU_DEP_2)
	v_and_b32_e32 v18, 7, v17
	v_bfe_u32 v21, v17, 3, 4
	v_clz_i32_u32_e32 v19, v18
	s_delay_alu instid0(VALU_DEP_2) | instskip(NEXT) | instid1(VALU_DEP_2)
	v_cmp_eq_u32_e32 vcc_lo, 0, v21
	v_min_u32_e32 v19, 32, v19
	s_delay_alu instid0(VALU_DEP_1) | instskip(NEXT) | instid1(VALU_DEP_1)
	v_subrev_nc_u32_e32 v20, 28, v19
	v_dual_lshlrev_b32 v17, v20, v17 :: v_dual_sub_nc_u32 v19, 29, v19
	s_delay_alu instid0(VALU_DEP_1) | instskip(NEXT) | instid1(VALU_DEP_1)
	v_dual_lshlrev_b32 v20, 24, v15 :: v_dual_bitop2_b32 v17, 7, v17 bitop3:0x40
	v_dual_cndmask_b32 v17, v18, v17, vcc_lo :: v_dual_cndmask_b32 v19, v21, v19, vcc_lo
	s_delay_alu instid0(VALU_DEP_2) | instskip(NEXT) | instid1(VALU_DEP_2)
	v_and_b32_e32 v18, 0x80000000, v20
	v_lshlrev_b32_e32 v17, 20, v17
	s_delay_alu instid0(VALU_DEP_3) | instskip(NEXT) | instid1(VALU_DEP_1)
	v_lshl_add_u32 v19, v19, 23, 0x3b800000
	v_or3_b32 v17, v18, v19, v17
.LBB291_38:
	s_or_b32 exec_lo, exec_lo, s13
	s_wait_loadcnt 0x6
	v_and_b32_e32 v18, 0xff, v14
	s_mov_b32 s12, 0
	s_mov_b32 s13, exec_lo
	s_delay_alu instid0(VALU_DEP_1)
	v_cmpx_lt_i16_e32 0x7f, v18
	s_xor_b32 s13, exec_lo, s13
	s_cbranch_execnz .LBB291_345
; %bb.39:
	s_or_saveexec_b32 s13, s13
	v_mov_b32_e32 v19, 0x7f800001
	s_xor_b32 exec_lo, exec_lo, s13
	s_cbranch_execnz .LBB291_348
.LBB291_40:
	s_or_b32 exec_lo, exec_lo, s13
	s_and_saveexec_b32 s13, s12
	s_cbranch_execz .LBB291_42
.LBB291_41:
	v_and_b32_e32 v18, 0xffff, v18
	s_delay_alu instid0(VALU_DEP_1) | instskip(SKIP_1) | instid1(VALU_DEP_2)
	v_and_b32_e32 v19, 7, v18
	v_bfe_u32 v22, v18, 3, 4
	v_clz_i32_u32_e32 v20, v19
	s_delay_alu instid0(VALU_DEP_2) | instskip(NEXT) | instid1(VALU_DEP_2)
	v_cmp_eq_u32_e32 vcc_lo, 0, v22
	v_min_u32_e32 v20, 32, v20
	s_delay_alu instid0(VALU_DEP_1) | instskip(NEXT) | instid1(VALU_DEP_1)
	v_subrev_nc_u32_e32 v21, 28, v20
	v_dual_lshlrev_b32 v18, v21, v18 :: v_dual_sub_nc_u32 v20, 29, v20
	s_delay_alu instid0(VALU_DEP_1) | instskip(NEXT) | instid1(VALU_DEP_2)
	v_and_b32_e32 v18, 7, v18
	v_dual_cndmask_b32 v20, v22, v20 :: v_dual_lshlrev_b32 v21, 24, v14
	s_delay_alu instid0(VALU_DEP_2) | instskip(NEXT) | instid1(VALU_DEP_2)
	v_cndmask_b32_e32 v18, v19, v18, vcc_lo
	v_and_b32_e32 v19, 0x80000000, v21
	s_delay_alu instid0(VALU_DEP_3) | instskip(NEXT) | instid1(VALU_DEP_3)
	v_lshl_add_u32 v20, v20, 23, 0x3b800000
	v_lshlrev_b32_e32 v18, 20, v18
	s_delay_alu instid0(VALU_DEP_1)
	v_or3_b32 v19, v19, v20, v18
.LBB291_42:
	s_or_b32 exec_lo, exec_lo, s13
	s_delay_alu instid0(VALU_DEP_1)
	v_cmp_neq_f32_e64 s12, v17, v19
	s_branch .LBB291_63
.LBB291_43:
                                        ; implicit-def: $sgpr11
	s_cbranch_execz .LBB291_33
; %bb.44:
	s_mov_b32 s11, 0
	s_mov_b32 s12, exec_lo
	v_cmpx_lt_i16_e32 0x7f, v19
	s_xor_b32 s12, exec_lo, s12
	s_cbranch_execnz .LBB291_461
; %bb.45:
	s_or_saveexec_b32 s12, s12
	v_mov_b32_e32 v20, 0x7f800001
	s_xor_b32 exec_lo, exec_lo, s12
	s_cbranch_execnz .LBB291_464
.LBB291_46:
	s_or_b32 exec_lo, exec_lo, s12
	s_and_saveexec_b32 s12, s11
	s_cbranch_execz .LBB291_48
.LBB291_47:
	v_and_b32_e32 v19, 0xffff, v19
	s_delay_alu instid0(VALU_DEP_1) | instskip(SKIP_1) | instid1(VALU_DEP_2)
	v_and_b32_e32 v20, 7, v19
	v_bfe_u32 v23, v19, 3, 4
	v_clz_i32_u32_e32 v21, v20
	s_delay_alu instid0(VALU_DEP_2) | instskip(NEXT) | instid1(VALU_DEP_2)
	v_cmp_eq_u32_e32 vcc_lo, 0, v23
	v_min_u32_e32 v21, 32, v21
	s_delay_alu instid0(VALU_DEP_1) | instskip(NEXT) | instid1(VALU_DEP_1)
	v_subrev_nc_u32_e32 v22, 28, v21
	v_dual_lshlrev_b32 v19, v22, v19 :: v_dual_sub_nc_u32 v21, 29, v21
	s_delay_alu instid0(VALU_DEP_1) | instskip(NEXT) | instid1(VALU_DEP_1)
	v_dual_lshlrev_b32 v17, 16, v17 :: v_dual_bitop2_b32 v19, 7, v19 bitop3:0x40
	v_dual_cndmask_b32 v19, v20, v19, vcc_lo :: v_dual_cndmask_b32 v21, v23, v21, vcc_lo
	s_delay_alu instid0(VALU_DEP_2) | instskip(NEXT) | instid1(VALU_DEP_2)
	v_and_b32_e32 v17, 0x80000000, v17
	v_lshlrev_b32_e32 v19, 20, v19
	s_delay_alu instid0(VALU_DEP_3) | instskip(NEXT) | instid1(VALU_DEP_1)
	v_lshl_add_u32 v20, v21, 23, 0x3b800000
	v_or3_b32 v20, v17, v20, v19
.LBB291_48:
	s_or_b32 exec_lo, exec_lo, s12
	s_mov_b32 s11, 0
	s_mov_b32 s12, exec_lo
	v_cmpx_lt_i16_e32 0x7f, v18
	s_xor_b32 s12, exec_lo, s12
	s_cbranch_execnz .LBB291_465
; %bb.49:
	s_or_saveexec_b32 s12, s12
	v_mov_b32_e32 v17, 0x7f800001
	s_xor_b32 exec_lo, exec_lo, s12
	s_cbranch_execnz .LBB291_468
.LBB291_50:
	s_or_b32 exec_lo, exec_lo, s12
	s_and_saveexec_b32 s12, s11
	s_cbranch_execz .LBB291_52
.LBB291_51:
	v_and_b32_e32 v17, 0xffff, v18
	s_delay_alu instid0(VALU_DEP_1) | instskip(SKIP_1) | instid1(VALU_DEP_2)
	v_and_b32_e32 v18, 7, v17
	v_bfe_u32 v22, v17, 3, 4
	v_clz_i32_u32_e32 v19, v18
	s_delay_alu instid0(VALU_DEP_2) | instskip(NEXT) | instid1(VALU_DEP_2)
	v_cmp_eq_u32_e32 vcc_lo, 0, v22
	v_min_u32_e32 v19, 32, v19
	s_delay_alu instid0(VALU_DEP_1) | instskip(NEXT) | instid1(VALU_DEP_1)
	v_subrev_nc_u32_e32 v21, 28, v19
	v_dual_lshlrev_b32 v17, v21, v17 :: v_dual_sub_nc_u32 v19, 29, v19
	s_delay_alu instid0(VALU_DEP_1) | instskip(NEXT) | instid1(VALU_DEP_2)
	v_dual_lshlrev_b32 v16, 16, v16 :: v_dual_bitop2_b32 v17, 7, v17 bitop3:0x40
	v_cndmask_b32_e32 v19, v22, v19, vcc_lo
	s_delay_alu instid0(VALU_DEP_2) | instskip(NEXT) | instid1(VALU_DEP_3)
	v_cndmask_b32_e32 v17, v18, v17, vcc_lo
	v_and_b32_e32 v16, 0x80000000, v16
	s_delay_alu instid0(VALU_DEP_3) | instskip(NEXT) | instid1(VALU_DEP_3)
	v_lshl_add_u32 v18, v19, 23, 0x3b800000
	v_lshlrev_b32_e32 v17, 20, v17
	s_delay_alu instid0(VALU_DEP_1)
	v_or3_b32 v17, v16, v18, v17
.LBB291_52:
	s_or_b32 exec_lo, exec_lo, s12
	s_delay_alu instid0(VALU_DEP_1)
	v_cmp_eq_f32_e64 s11, v20, v17
	v_cmp_ne_u32_e32 vcc_lo, 1, v3
	v_and_b32_e32 v16, 0xff, v15
	s_cbranch_vccz .LBB291_34
.LBB291_53:
                                        ; implicit-def: $sgpr12
	s_cbranch_execz .LBB291_63
; %bb.54:
	s_mov_b32 s12, 0
	s_mov_b32 s13, exec_lo
	v_cmpx_lt_i16_e32 0x7f, v16
	s_xor_b32 s13, exec_lo, s13
	s_cbranch_execnz .LBB291_469
; %bb.55:
	s_or_saveexec_b32 s13, s13
	v_mov_b32_e32 v17, 0x7f800001
	s_xor_b32 exec_lo, exec_lo, s13
	s_cbranch_execnz .LBB291_472
.LBB291_56:
	s_or_b32 exec_lo, exec_lo, s13
	s_and_saveexec_b32 s13, s12
	s_cbranch_execz .LBB291_58
.LBB291_57:
	v_and_b32_e32 v16, 0xffff, v16
	s_delay_alu instid0(VALU_DEP_1) | instskip(SKIP_1) | instid1(VALU_DEP_2)
	v_and_b32_e32 v17, 7, v16
	v_bfe_u32 v20, v16, 3, 4
	v_clz_i32_u32_e32 v18, v17
	s_delay_alu instid0(VALU_DEP_2) | instskip(NEXT) | instid1(VALU_DEP_2)
	v_cmp_eq_u32_e32 vcc_lo, 0, v20
	v_min_u32_e32 v18, 32, v18
	s_delay_alu instid0(VALU_DEP_1) | instskip(NEXT) | instid1(VALU_DEP_1)
	v_subrev_nc_u32_e32 v19, 28, v18
	v_dual_lshlrev_b32 v16, v19, v16 :: v_dual_sub_nc_u32 v18, 29, v18
	s_delay_alu instid0(VALU_DEP_1) | instskip(NEXT) | instid1(VALU_DEP_1)
	v_dual_lshlrev_b32 v19, 24, v15 :: v_dual_bitop2_b32 v16, 7, v16 bitop3:0x40
	v_dual_cndmask_b32 v18, v20, v18, vcc_lo :: v_dual_cndmask_b32 v16, v17, v16, vcc_lo
	s_delay_alu instid0(VALU_DEP_2) | instskip(NEXT) | instid1(VALU_DEP_2)
	v_and_b32_e32 v17, 0x80000000, v19
	v_lshl_add_u32 v18, v18, 23, 0x3b800000
	s_delay_alu instid0(VALU_DEP_3) | instskip(NEXT) | instid1(VALU_DEP_1)
	v_lshlrev_b32_e32 v16, 20, v16
	v_or3_b32 v17, v17, v18, v16
.LBB291_58:
	s_or_b32 exec_lo, exec_lo, s13
	s_wait_loadcnt 0x6
	v_and_b32_e32 v16, 0xff, v14
	s_mov_b32 s12, 0
	s_mov_b32 s13, exec_lo
	s_delay_alu instid0(VALU_DEP_1)
	v_cmpx_lt_i16_e32 0x7f, v16
	s_xor_b32 s13, exec_lo, s13
	s_cbranch_execnz .LBB291_473
; %bb.59:
	s_or_saveexec_b32 s13, s13
	v_mov_b32_e32 v18, 0x7f800001
	s_xor_b32 exec_lo, exec_lo, s13
	s_cbranch_execnz .LBB291_476
.LBB291_60:
	s_or_b32 exec_lo, exec_lo, s13
	s_and_saveexec_b32 s13, s12
	s_cbranch_execz .LBB291_62
.LBB291_61:
	v_and_b32_e32 v16, 0xffff, v16
	s_delay_alu instid0(VALU_DEP_1) | instskip(SKIP_1) | instid1(VALU_DEP_2)
	v_and_b32_e32 v18, 7, v16
	v_bfe_u32 v21, v16, 3, 4
	v_clz_i32_u32_e32 v19, v18
	s_delay_alu instid0(VALU_DEP_2) | instskip(NEXT) | instid1(VALU_DEP_2)
	v_cmp_eq_u32_e32 vcc_lo, 0, v21
	v_min_u32_e32 v19, 32, v19
	s_delay_alu instid0(VALU_DEP_1) | instskip(NEXT) | instid1(VALU_DEP_1)
	v_subrev_nc_u32_e32 v20, 28, v19
	v_dual_lshlrev_b32 v16, v20, v16 :: v_dual_sub_nc_u32 v19, 29, v19
	s_delay_alu instid0(VALU_DEP_1) | instskip(NEXT) | instid1(VALU_DEP_1)
	v_dual_lshlrev_b32 v20, 24, v14 :: v_dual_bitop2_b32 v16, 7, v16 bitop3:0x40
	v_dual_cndmask_b32 v19, v21, v19 :: v_dual_cndmask_b32 v16, v18, v16
	s_delay_alu instid0(VALU_DEP_2) | instskip(NEXT) | instid1(VALU_DEP_2)
	v_and_b32_e32 v18, 0x80000000, v20
	v_lshl_add_u32 v19, v19, 23, 0x3b800000
	s_delay_alu instid0(VALU_DEP_3) | instskip(NEXT) | instid1(VALU_DEP_1)
	v_lshlrev_b32_e32 v16, 20, v16
	v_or3_b32 v18, v18, v19, v16
.LBB291_62:
	s_or_b32 exec_lo, exec_lo, s13
	s_delay_alu instid0(VALU_DEP_1)
	v_cmp_eq_f32_e64 s12, v17, v18
.LBB291_63:
	v_cmp_ne_u32_e32 vcc_lo, 1, v3
	v_lshrrev_b16 v17, 8, v15
	s_wait_loadcnt 0x6
	v_lshrrev_b16 v16, 8, v14
	s_cbranch_vccnz .LBB291_83
; %bb.64:
	s_mov_b32 s13, 0
	s_mov_b32 s14, exec_lo
	v_cmpx_lt_i16_e32 0x7f, v17
	s_xor_b32 s14, exec_lo, s14
	s_cbranch_execnz .LBB291_349
; %bb.65:
	s_or_saveexec_b32 s14, s14
	v_mov_b32_e32 v18, 0x7f800001
	s_xor_b32 exec_lo, exec_lo, s14
	s_cbranch_execnz .LBB291_352
.LBB291_66:
	s_or_b32 exec_lo, exec_lo, s14
	s_and_saveexec_b32 s14, s13
	s_cbranch_execz .LBB291_68
.LBB291_67:
	v_and_b32_e32 v18, 0xffff, v17
	s_delay_alu instid0(VALU_DEP_1) | instskip(SKIP_1) | instid1(VALU_DEP_2)
	v_and_b32_e32 v19, 7, v18
	v_bfe_u32 v22, v18, 3, 4
	v_clz_i32_u32_e32 v20, v19
	s_delay_alu instid0(VALU_DEP_2) | instskip(NEXT) | instid1(VALU_DEP_2)
	v_cmp_eq_u32_e32 vcc_lo, 0, v22
	v_min_u32_e32 v20, 32, v20
	s_delay_alu instid0(VALU_DEP_1) | instskip(NEXT) | instid1(VALU_DEP_1)
	v_subrev_nc_u32_e32 v21, 28, v20
	v_dual_lshlrev_b32 v18, v21, v18 :: v_dual_sub_nc_u32 v20, 29, v20
	s_delay_alu instid0(VALU_DEP_1) | instskip(NEXT) | instid1(VALU_DEP_1)
	v_dual_lshlrev_b32 v21, 16, v15 :: v_dual_bitop2_b32 v18, 7, v18 bitop3:0x40
	v_dual_cndmask_b32 v20, v22, v20, vcc_lo :: v_dual_cndmask_b32 v18, v19, v18, vcc_lo
	s_delay_alu instid0(VALU_DEP_2) | instskip(NEXT) | instid1(VALU_DEP_2)
	v_and_b32_e32 v19, 0x80000000, v21
	v_lshl_add_u32 v20, v20, 23, 0x3b800000
	s_delay_alu instid0(VALU_DEP_3) | instskip(NEXT) | instid1(VALU_DEP_1)
	v_lshlrev_b32_e32 v18, 20, v18
	v_or3_b32 v18, v19, v20, v18
.LBB291_68:
	s_or_b32 exec_lo, exec_lo, s14
	s_mov_b32 s13, 0
	s_mov_b32 s14, exec_lo
	v_cmpx_lt_i16_e32 0x7f, v16
	s_xor_b32 s14, exec_lo, s14
	s_cbranch_execnz .LBB291_353
; %bb.69:
	s_or_saveexec_b32 s14, s14
	v_mov_b32_e32 v19, 0x7f800001
	s_xor_b32 exec_lo, exec_lo, s14
	s_cbranch_execnz .LBB291_356
.LBB291_70:
	s_or_b32 exec_lo, exec_lo, s14
	s_and_saveexec_b32 s14, s13
	s_cbranch_execz .LBB291_72
.LBB291_71:
	v_and_b32_e32 v19, 0xffff, v16
	s_delay_alu instid0(VALU_DEP_1) | instskip(SKIP_1) | instid1(VALU_DEP_2)
	v_and_b32_e32 v20, 7, v19
	v_bfe_u32 v23, v19, 3, 4
	v_clz_i32_u32_e32 v21, v20
	s_delay_alu instid0(VALU_DEP_2) | instskip(NEXT) | instid1(VALU_DEP_2)
	v_cmp_eq_u32_e32 vcc_lo, 0, v23
	v_min_u32_e32 v21, 32, v21
	s_delay_alu instid0(VALU_DEP_1) | instskip(NEXT) | instid1(VALU_DEP_1)
	v_subrev_nc_u32_e32 v22, 28, v21
	v_dual_lshlrev_b32 v19, v22, v19 :: v_dual_sub_nc_u32 v21, 29, v21
	s_delay_alu instid0(VALU_DEP_1) | instskip(NEXT) | instid1(VALU_DEP_1)
	v_dual_lshlrev_b32 v22, 16, v14 :: v_dual_bitop2_b32 v19, 7, v19 bitop3:0x40
	v_dual_cndmask_b32 v21, v23, v21, vcc_lo :: v_dual_cndmask_b32 v19, v20, v19, vcc_lo
	s_delay_alu instid0(VALU_DEP_2) | instskip(NEXT) | instid1(VALU_DEP_2)
	v_and_b32_e32 v20, 0x80000000, v22
	v_lshl_add_u32 v21, v21, 23, 0x3b800000
	s_delay_alu instid0(VALU_DEP_3) | instskip(NEXT) | instid1(VALU_DEP_1)
	v_lshlrev_b32_e32 v19, 20, v19
	v_or3_b32 v19, v20, v21, v19
.LBB291_72:
	s_or_b32 exec_lo, exec_lo, s14
	s_delay_alu instid0(VALU_DEP_1)
	v_cmp_neq_f32_e64 s13, v18, v19
.LBB291_73:
	v_cmp_ne_u32_e32 vcc_lo, 1, v3
	v_and_b32_e32 v14, 0xff, v13
	s_cbranch_vccnz .LBB291_93
.LBB291_74:
	s_mov_b32 s14, 0
	s_mov_b32 s15, exec_lo
	s_delay_alu instid0(VALU_DEP_1)
	v_cmpx_lt_i16_e32 0x7f, v14
	s_xor_b32 s15, exec_lo, s15
	s_cbranch_execnz .LBB291_357
; %bb.75:
	s_or_saveexec_b32 s15, s15
	v_mov_b32_e32 v15, 0x7f800001
	s_xor_b32 exec_lo, exec_lo, s15
	s_cbranch_execnz .LBB291_360
.LBB291_76:
	s_or_b32 exec_lo, exec_lo, s15
	s_and_saveexec_b32 s15, s14
	s_cbranch_execz .LBB291_78
.LBB291_77:
	v_and_b32_e32 v15, 0xffff, v14
	s_delay_alu instid0(VALU_DEP_1) | instskip(SKIP_1) | instid1(VALU_DEP_2)
	v_and_b32_e32 v16, 7, v15
	v_bfe_u32 v19, v15, 3, 4
	v_clz_i32_u32_e32 v17, v16
	s_delay_alu instid0(VALU_DEP_2) | instskip(NEXT) | instid1(VALU_DEP_2)
	v_cmp_eq_u32_e32 vcc_lo, 0, v19
	v_min_u32_e32 v17, 32, v17
	s_delay_alu instid0(VALU_DEP_1) | instskip(NEXT) | instid1(VALU_DEP_1)
	v_subrev_nc_u32_e32 v18, 28, v17
	v_dual_lshlrev_b32 v15, v18, v15 :: v_dual_sub_nc_u32 v17, 29, v17
	s_delay_alu instid0(VALU_DEP_1) | instskip(NEXT) | instid1(VALU_DEP_1)
	v_dual_lshlrev_b32 v18, 24, v13 :: v_dual_bitop2_b32 v15, 7, v15 bitop3:0x40
	v_dual_cndmask_b32 v15, v16, v15, vcc_lo :: v_dual_cndmask_b32 v17, v19, v17, vcc_lo
	s_delay_alu instid0(VALU_DEP_2) | instskip(NEXT) | instid1(VALU_DEP_2)
	v_and_b32_e32 v16, 0x80000000, v18
	v_lshlrev_b32_e32 v15, 20, v15
	s_delay_alu instid0(VALU_DEP_3) | instskip(NEXT) | instid1(VALU_DEP_1)
	v_lshl_add_u32 v17, v17, 23, 0x3b800000
	v_or3_b32 v15, v16, v17, v15
.LBB291_78:
	s_or_b32 exec_lo, exec_lo, s15
	s_wait_loadcnt 0x5
	v_and_b32_e32 v16, 0xff, v12
	s_mov_b32 s14, 0
	s_mov_b32 s15, exec_lo
	s_delay_alu instid0(VALU_DEP_1)
	v_cmpx_lt_i16_e32 0x7f, v16
	s_xor_b32 s15, exec_lo, s15
	s_cbranch_execnz .LBB291_361
; %bb.79:
	s_or_saveexec_b32 s15, s15
	v_mov_b32_e32 v17, 0x7f800001
	s_xor_b32 exec_lo, exec_lo, s15
	s_cbranch_execnz .LBB291_364
.LBB291_80:
	s_or_b32 exec_lo, exec_lo, s15
	s_and_saveexec_b32 s15, s14
	s_cbranch_execz .LBB291_82
.LBB291_81:
	v_and_b32_e32 v16, 0xffff, v16
	s_delay_alu instid0(VALU_DEP_1) | instskip(SKIP_1) | instid1(VALU_DEP_2)
	v_and_b32_e32 v17, 7, v16
	v_bfe_u32 v20, v16, 3, 4
	v_clz_i32_u32_e32 v18, v17
	s_delay_alu instid0(VALU_DEP_2) | instskip(NEXT) | instid1(VALU_DEP_2)
	v_cmp_eq_u32_e32 vcc_lo, 0, v20
	v_min_u32_e32 v18, 32, v18
	s_delay_alu instid0(VALU_DEP_1) | instskip(NEXT) | instid1(VALU_DEP_1)
	v_subrev_nc_u32_e32 v19, 28, v18
	v_dual_lshlrev_b32 v16, v19, v16 :: v_dual_sub_nc_u32 v18, 29, v18
	s_delay_alu instid0(VALU_DEP_1) | instskip(NEXT) | instid1(VALU_DEP_2)
	v_and_b32_e32 v16, 7, v16
	v_dual_cndmask_b32 v18, v20, v18 :: v_dual_lshlrev_b32 v19, 24, v12
	s_delay_alu instid0(VALU_DEP_2) | instskip(NEXT) | instid1(VALU_DEP_2)
	v_cndmask_b32_e32 v16, v17, v16, vcc_lo
	v_and_b32_e32 v17, 0x80000000, v19
	s_delay_alu instid0(VALU_DEP_3) | instskip(NEXT) | instid1(VALU_DEP_3)
	v_lshl_add_u32 v18, v18, 23, 0x3b800000
	v_lshlrev_b32_e32 v16, 20, v16
	s_delay_alu instid0(VALU_DEP_1)
	v_or3_b32 v17, v17, v18, v16
.LBB291_82:
	s_or_b32 exec_lo, exec_lo, s15
	s_delay_alu instid0(VALU_DEP_1)
	v_cmp_neq_f32_e64 s14, v15, v17
	s_branch .LBB291_103
.LBB291_83:
                                        ; implicit-def: $sgpr13
	s_cbranch_execz .LBB291_73
; %bb.84:
	s_mov_b32 s13, 0
	s_mov_b32 s14, exec_lo
	v_cmpx_lt_i16_e32 0x7f, v17
	s_xor_b32 s14, exec_lo, s14
	s_cbranch_execnz .LBB291_477
; %bb.85:
	s_or_saveexec_b32 s14, s14
	v_mov_b32_e32 v18, 0x7f800001
	s_xor_b32 exec_lo, exec_lo, s14
	s_cbranch_execnz .LBB291_480
.LBB291_86:
	s_or_b32 exec_lo, exec_lo, s14
	s_and_saveexec_b32 s14, s13
	s_cbranch_execz .LBB291_88
.LBB291_87:
	v_and_b32_e32 v17, 0xffff, v17
	s_delay_alu instid0(VALU_DEP_1) | instskip(SKIP_1) | instid1(VALU_DEP_2)
	v_and_b32_e32 v18, 7, v17
	v_bfe_u32 v21, v17, 3, 4
	v_clz_i32_u32_e32 v19, v18
	s_delay_alu instid0(VALU_DEP_2) | instskip(NEXT) | instid1(VALU_DEP_2)
	v_cmp_eq_u32_e32 vcc_lo, 0, v21
	v_min_u32_e32 v19, 32, v19
	s_delay_alu instid0(VALU_DEP_1) | instskip(NEXT) | instid1(VALU_DEP_1)
	v_subrev_nc_u32_e32 v20, 28, v19
	v_dual_lshlrev_b32 v17, v20, v17 :: v_dual_sub_nc_u32 v19, 29, v19
	s_delay_alu instid0(VALU_DEP_1) | instskip(NEXT) | instid1(VALU_DEP_1)
	v_dual_lshlrev_b32 v15, 16, v15 :: v_dual_bitop2_b32 v17, 7, v17 bitop3:0x40
	v_dual_cndmask_b32 v17, v18, v17, vcc_lo :: v_dual_cndmask_b32 v19, v21, v19, vcc_lo
	s_delay_alu instid0(VALU_DEP_2) | instskip(NEXT) | instid1(VALU_DEP_2)
	v_and_b32_e32 v15, 0x80000000, v15
	v_lshlrev_b32_e32 v17, 20, v17
	s_delay_alu instid0(VALU_DEP_3) | instskip(NEXT) | instid1(VALU_DEP_1)
	v_lshl_add_u32 v18, v19, 23, 0x3b800000
	v_or3_b32 v18, v15, v18, v17
.LBB291_88:
	s_or_b32 exec_lo, exec_lo, s14
	s_mov_b32 s13, 0
	s_mov_b32 s14, exec_lo
	v_cmpx_lt_i16_e32 0x7f, v16
	s_xor_b32 s14, exec_lo, s14
	s_cbranch_execnz .LBB291_481
; %bb.89:
	s_or_saveexec_b32 s14, s14
	v_mov_b32_e32 v15, 0x7f800001
	s_xor_b32 exec_lo, exec_lo, s14
	s_cbranch_execnz .LBB291_484
.LBB291_90:
	s_or_b32 exec_lo, exec_lo, s14
	s_and_saveexec_b32 s14, s13
	s_cbranch_execz .LBB291_92
.LBB291_91:
	v_and_b32_e32 v15, 0xffff, v16
	s_delay_alu instid0(VALU_DEP_1) | instskip(SKIP_1) | instid1(VALU_DEP_2)
	v_and_b32_e32 v16, 7, v15
	v_bfe_u32 v20, v15, 3, 4
	v_clz_i32_u32_e32 v17, v16
	s_delay_alu instid0(VALU_DEP_2) | instskip(NEXT) | instid1(VALU_DEP_2)
	v_cmp_eq_u32_e32 vcc_lo, 0, v20
	v_min_u32_e32 v17, 32, v17
	s_delay_alu instid0(VALU_DEP_1) | instskip(NEXT) | instid1(VALU_DEP_1)
	v_subrev_nc_u32_e32 v19, 28, v17
	v_dual_lshlrev_b32 v15, v19, v15 :: v_dual_sub_nc_u32 v17, 29, v17
	s_delay_alu instid0(VALU_DEP_1) | instskip(NEXT) | instid1(VALU_DEP_2)
	v_dual_lshlrev_b32 v14, 16, v14 :: v_dual_bitop2_b32 v15, 7, v15 bitop3:0x40
	v_cndmask_b32_e32 v17, v20, v17, vcc_lo
	s_delay_alu instid0(VALU_DEP_2) | instskip(NEXT) | instid1(VALU_DEP_3)
	v_cndmask_b32_e32 v15, v16, v15, vcc_lo
	v_and_b32_e32 v14, 0x80000000, v14
	s_delay_alu instid0(VALU_DEP_3) | instskip(NEXT) | instid1(VALU_DEP_3)
	v_lshl_add_u32 v16, v17, 23, 0x3b800000
	v_lshlrev_b32_e32 v15, 20, v15
	s_delay_alu instid0(VALU_DEP_1)
	v_or3_b32 v15, v14, v16, v15
.LBB291_92:
	s_or_b32 exec_lo, exec_lo, s14
	s_delay_alu instid0(VALU_DEP_1)
	v_cmp_eq_f32_e64 s13, v18, v15
	v_cmp_ne_u32_e32 vcc_lo, 1, v3
	v_and_b32_e32 v14, 0xff, v13
	s_cbranch_vccz .LBB291_74
.LBB291_93:
                                        ; implicit-def: $sgpr14
	s_cbranch_execz .LBB291_103
; %bb.94:
	s_mov_b32 s14, 0
	s_mov_b32 s15, exec_lo
	v_cmpx_lt_i16_e32 0x7f, v14
	s_xor_b32 s15, exec_lo, s15
	s_cbranch_execnz .LBB291_485
; %bb.95:
	s_or_saveexec_b32 s15, s15
	v_mov_b32_e32 v15, 0x7f800001
	s_xor_b32 exec_lo, exec_lo, s15
	s_cbranch_execnz .LBB291_488
.LBB291_96:
	s_or_b32 exec_lo, exec_lo, s15
	s_and_saveexec_b32 s15, s14
	s_cbranch_execz .LBB291_98
.LBB291_97:
	v_and_b32_e32 v14, 0xffff, v14
	s_delay_alu instid0(VALU_DEP_1) | instskip(SKIP_1) | instid1(VALU_DEP_2)
	v_and_b32_e32 v15, 7, v14
	v_bfe_u32 v18, v14, 3, 4
	v_clz_i32_u32_e32 v16, v15
	s_delay_alu instid0(VALU_DEP_2) | instskip(NEXT) | instid1(VALU_DEP_2)
	v_cmp_eq_u32_e32 vcc_lo, 0, v18
	v_min_u32_e32 v16, 32, v16
	s_delay_alu instid0(VALU_DEP_1) | instskip(NEXT) | instid1(VALU_DEP_1)
	v_subrev_nc_u32_e32 v17, 28, v16
	v_dual_lshlrev_b32 v14, v17, v14 :: v_dual_sub_nc_u32 v16, 29, v16
	s_delay_alu instid0(VALU_DEP_1) | instskip(NEXT) | instid1(VALU_DEP_1)
	v_dual_lshlrev_b32 v17, 24, v13 :: v_dual_bitop2_b32 v14, 7, v14 bitop3:0x40
	v_dual_cndmask_b32 v16, v18, v16, vcc_lo :: v_dual_cndmask_b32 v14, v15, v14, vcc_lo
	s_delay_alu instid0(VALU_DEP_2) | instskip(NEXT) | instid1(VALU_DEP_2)
	v_and_b32_e32 v15, 0x80000000, v17
	v_lshl_add_u32 v16, v16, 23, 0x3b800000
	s_delay_alu instid0(VALU_DEP_3) | instskip(NEXT) | instid1(VALU_DEP_1)
	v_lshlrev_b32_e32 v14, 20, v14
	v_or3_b32 v15, v15, v16, v14
.LBB291_98:
	s_or_b32 exec_lo, exec_lo, s15
	s_wait_loadcnt 0x5
	v_and_b32_e32 v14, 0xff, v12
	s_mov_b32 s14, 0
	s_mov_b32 s15, exec_lo
	s_delay_alu instid0(VALU_DEP_1)
	v_cmpx_lt_i16_e32 0x7f, v14
	s_xor_b32 s15, exec_lo, s15
	s_cbranch_execnz .LBB291_489
; %bb.99:
	s_or_saveexec_b32 s15, s15
	v_mov_b32_e32 v16, 0x7f800001
	s_xor_b32 exec_lo, exec_lo, s15
	s_cbranch_execnz .LBB291_492
.LBB291_100:
	s_or_b32 exec_lo, exec_lo, s15
	s_and_saveexec_b32 s15, s14
	s_cbranch_execz .LBB291_102
.LBB291_101:
	v_and_b32_e32 v14, 0xffff, v14
	s_delay_alu instid0(VALU_DEP_1) | instskip(SKIP_1) | instid1(VALU_DEP_2)
	v_and_b32_e32 v16, 7, v14
	v_bfe_u32 v19, v14, 3, 4
	v_clz_i32_u32_e32 v17, v16
	s_delay_alu instid0(VALU_DEP_2) | instskip(NEXT) | instid1(VALU_DEP_2)
	v_cmp_eq_u32_e32 vcc_lo, 0, v19
	v_min_u32_e32 v17, 32, v17
	s_delay_alu instid0(VALU_DEP_1) | instskip(NEXT) | instid1(VALU_DEP_1)
	v_subrev_nc_u32_e32 v18, 28, v17
	v_dual_lshlrev_b32 v14, v18, v14 :: v_dual_sub_nc_u32 v17, 29, v17
	s_delay_alu instid0(VALU_DEP_1) | instskip(NEXT) | instid1(VALU_DEP_1)
	v_dual_lshlrev_b32 v18, 24, v12 :: v_dual_bitop2_b32 v14, 7, v14 bitop3:0x40
	v_dual_cndmask_b32 v17, v19, v17 :: v_dual_cndmask_b32 v14, v16, v14
	s_delay_alu instid0(VALU_DEP_2) | instskip(NEXT) | instid1(VALU_DEP_2)
	v_and_b32_e32 v16, 0x80000000, v18
	v_lshl_add_u32 v17, v17, 23, 0x3b800000
	s_delay_alu instid0(VALU_DEP_3) | instskip(NEXT) | instid1(VALU_DEP_1)
	v_lshlrev_b32_e32 v14, 20, v14
	v_or3_b32 v16, v16, v17, v14
.LBB291_102:
	s_or_b32 exec_lo, exec_lo, s15
	s_delay_alu instid0(VALU_DEP_1)
	v_cmp_eq_f32_e64 s14, v15, v16
.LBB291_103:
	v_cmp_ne_u32_e32 vcc_lo, 1, v3
	v_lshrrev_b16 v15, 8, v13
	s_wait_loadcnt 0x5
	v_lshrrev_b16 v14, 8, v12
	s_cbranch_vccnz .LBB291_123
; %bb.104:
	s_mov_b32 s15, 0
	s_mov_b32 s16, exec_lo
	v_cmpx_lt_i16_e32 0x7f, v15
	s_xor_b32 s16, exec_lo, s16
	s_cbranch_execnz .LBB291_365
; %bb.105:
	s_or_saveexec_b32 s16, s16
	v_mov_b32_e32 v16, 0x7f800001
	s_xor_b32 exec_lo, exec_lo, s16
	s_cbranch_execnz .LBB291_368
.LBB291_106:
	s_or_b32 exec_lo, exec_lo, s16
	s_and_saveexec_b32 s16, s15
	s_cbranch_execz .LBB291_108
.LBB291_107:
	v_and_b32_e32 v16, 0xffff, v15
	s_delay_alu instid0(VALU_DEP_1) | instskip(SKIP_1) | instid1(VALU_DEP_2)
	v_and_b32_e32 v17, 7, v16
	v_bfe_u32 v20, v16, 3, 4
	v_clz_i32_u32_e32 v18, v17
	s_delay_alu instid0(VALU_DEP_2) | instskip(NEXT) | instid1(VALU_DEP_2)
	v_cmp_eq_u32_e32 vcc_lo, 0, v20
	v_min_u32_e32 v18, 32, v18
	s_delay_alu instid0(VALU_DEP_1) | instskip(NEXT) | instid1(VALU_DEP_1)
	v_subrev_nc_u32_e32 v19, 28, v18
	v_dual_lshlrev_b32 v16, v19, v16 :: v_dual_sub_nc_u32 v18, 29, v18
	s_delay_alu instid0(VALU_DEP_1) | instskip(NEXT) | instid1(VALU_DEP_1)
	v_dual_lshlrev_b32 v19, 16, v13 :: v_dual_bitop2_b32 v16, 7, v16 bitop3:0x40
	v_dual_cndmask_b32 v18, v20, v18, vcc_lo :: v_dual_cndmask_b32 v16, v17, v16, vcc_lo
	s_delay_alu instid0(VALU_DEP_2) | instskip(NEXT) | instid1(VALU_DEP_2)
	v_and_b32_e32 v17, 0x80000000, v19
	v_lshl_add_u32 v18, v18, 23, 0x3b800000
	s_delay_alu instid0(VALU_DEP_3) | instskip(NEXT) | instid1(VALU_DEP_1)
	v_lshlrev_b32_e32 v16, 20, v16
	v_or3_b32 v16, v17, v18, v16
.LBB291_108:
	s_or_b32 exec_lo, exec_lo, s16
	s_mov_b32 s15, 0
	s_mov_b32 s16, exec_lo
	v_cmpx_lt_i16_e32 0x7f, v14
	s_xor_b32 s16, exec_lo, s16
	s_cbranch_execnz .LBB291_369
; %bb.109:
	s_or_saveexec_b32 s16, s16
	v_mov_b32_e32 v17, 0x7f800001
	s_xor_b32 exec_lo, exec_lo, s16
	s_cbranch_execnz .LBB291_372
.LBB291_110:
	s_or_b32 exec_lo, exec_lo, s16
	s_and_saveexec_b32 s16, s15
	s_cbranch_execz .LBB291_112
.LBB291_111:
	v_and_b32_e32 v17, 0xffff, v14
	s_delay_alu instid0(VALU_DEP_1) | instskip(SKIP_1) | instid1(VALU_DEP_2)
	v_and_b32_e32 v18, 7, v17
	v_bfe_u32 v21, v17, 3, 4
	v_clz_i32_u32_e32 v19, v18
	s_delay_alu instid0(VALU_DEP_2) | instskip(NEXT) | instid1(VALU_DEP_2)
	v_cmp_eq_u32_e32 vcc_lo, 0, v21
	v_min_u32_e32 v19, 32, v19
	s_delay_alu instid0(VALU_DEP_1) | instskip(NEXT) | instid1(VALU_DEP_1)
	v_subrev_nc_u32_e32 v20, 28, v19
	v_dual_lshlrev_b32 v17, v20, v17 :: v_dual_sub_nc_u32 v19, 29, v19
	s_delay_alu instid0(VALU_DEP_1) | instskip(NEXT) | instid1(VALU_DEP_1)
	v_dual_lshlrev_b32 v20, 16, v12 :: v_dual_bitop2_b32 v17, 7, v17 bitop3:0x40
	v_dual_cndmask_b32 v19, v21, v19, vcc_lo :: v_dual_cndmask_b32 v17, v18, v17, vcc_lo
	s_delay_alu instid0(VALU_DEP_2) | instskip(NEXT) | instid1(VALU_DEP_2)
	v_and_b32_e32 v18, 0x80000000, v20
	v_lshl_add_u32 v19, v19, 23, 0x3b800000
	s_delay_alu instid0(VALU_DEP_3) | instskip(NEXT) | instid1(VALU_DEP_1)
	v_lshlrev_b32_e32 v17, 20, v17
	v_or3_b32 v17, v18, v19, v17
.LBB291_112:
	s_or_b32 exec_lo, exec_lo, s16
	s_delay_alu instid0(VALU_DEP_1)
	v_cmp_neq_f32_e64 s15, v16, v17
.LBB291_113:
	v_cmp_ne_u32_e32 vcc_lo, 1, v3
	v_and_b32_e32 v12, 0xff, v11
	s_cbranch_vccnz .LBB291_133
.LBB291_114:
	s_mov_b32 s16, 0
	s_mov_b32 s17, exec_lo
	s_delay_alu instid0(VALU_DEP_1)
	v_cmpx_lt_i16_e32 0x7f, v12
	s_xor_b32 s17, exec_lo, s17
	s_cbranch_execnz .LBB291_373
; %bb.115:
	s_or_saveexec_b32 s17, s17
	v_mov_b32_e32 v13, 0x7f800001
	s_xor_b32 exec_lo, exec_lo, s17
	s_cbranch_execnz .LBB291_376
.LBB291_116:
	s_or_b32 exec_lo, exec_lo, s17
	s_and_saveexec_b32 s17, s16
	s_cbranch_execz .LBB291_118
.LBB291_117:
	v_and_b32_e32 v13, 0xffff, v12
	s_delay_alu instid0(VALU_DEP_1) | instskip(SKIP_1) | instid1(VALU_DEP_2)
	v_and_b32_e32 v14, 7, v13
	v_bfe_u32 v17, v13, 3, 4
	v_clz_i32_u32_e32 v15, v14
	s_delay_alu instid0(VALU_DEP_2) | instskip(NEXT) | instid1(VALU_DEP_2)
	v_cmp_eq_u32_e32 vcc_lo, 0, v17
	v_min_u32_e32 v15, 32, v15
	s_delay_alu instid0(VALU_DEP_1) | instskip(NEXT) | instid1(VALU_DEP_1)
	v_subrev_nc_u32_e32 v16, 28, v15
	v_dual_lshlrev_b32 v13, v16, v13 :: v_dual_sub_nc_u32 v15, 29, v15
	s_delay_alu instid0(VALU_DEP_1) | instskip(NEXT) | instid1(VALU_DEP_1)
	v_dual_lshlrev_b32 v16, 24, v11 :: v_dual_bitop2_b32 v13, 7, v13 bitop3:0x40
	v_dual_cndmask_b32 v13, v14, v13, vcc_lo :: v_dual_cndmask_b32 v15, v17, v15, vcc_lo
	s_delay_alu instid0(VALU_DEP_2) | instskip(NEXT) | instid1(VALU_DEP_2)
	v_and_b32_e32 v14, 0x80000000, v16
	v_lshlrev_b32_e32 v13, 20, v13
	s_delay_alu instid0(VALU_DEP_3) | instskip(NEXT) | instid1(VALU_DEP_1)
	v_lshl_add_u32 v15, v15, 23, 0x3b800000
	v_or3_b32 v13, v14, v15, v13
.LBB291_118:
	s_or_b32 exec_lo, exec_lo, s17
	s_wait_loadcnt 0x4
	v_and_b32_e32 v14, 0xff, v10
	s_mov_b32 s16, 0
	s_mov_b32 s17, exec_lo
	s_delay_alu instid0(VALU_DEP_1)
	v_cmpx_lt_i16_e32 0x7f, v14
	s_xor_b32 s17, exec_lo, s17
	s_cbranch_execnz .LBB291_377
; %bb.119:
	s_or_saveexec_b32 s17, s17
	v_mov_b32_e32 v15, 0x7f800001
	s_xor_b32 exec_lo, exec_lo, s17
	s_cbranch_execnz .LBB291_380
.LBB291_120:
	s_or_b32 exec_lo, exec_lo, s17
	s_and_saveexec_b32 s17, s16
	s_cbranch_execz .LBB291_122
.LBB291_121:
	v_and_b32_e32 v14, 0xffff, v14
	s_delay_alu instid0(VALU_DEP_1) | instskip(SKIP_1) | instid1(VALU_DEP_2)
	v_and_b32_e32 v15, 7, v14
	v_bfe_u32 v18, v14, 3, 4
	v_clz_i32_u32_e32 v16, v15
	s_delay_alu instid0(VALU_DEP_2) | instskip(NEXT) | instid1(VALU_DEP_2)
	v_cmp_eq_u32_e32 vcc_lo, 0, v18
	v_min_u32_e32 v16, 32, v16
	s_delay_alu instid0(VALU_DEP_1) | instskip(NEXT) | instid1(VALU_DEP_1)
	v_subrev_nc_u32_e32 v17, 28, v16
	v_dual_lshlrev_b32 v14, v17, v14 :: v_dual_sub_nc_u32 v16, 29, v16
	s_delay_alu instid0(VALU_DEP_1) | instskip(NEXT) | instid1(VALU_DEP_2)
	v_and_b32_e32 v14, 7, v14
	v_dual_cndmask_b32 v16, v18, v16 :: v_dual_lshlrev_b32 v17, 24, v10
	s_delay_alu instid0(VALU_DEP_2) | instskip(NEXT) | instid1(VALU_DEP_2)
	v_cndmask_b32_e32 v14, v15, v14, vcc_lo
	v_and_b32_e32 v15, 0x80000000, v17
	s_delay_alu instid0(VALU_DEP_3) | instskip(NEXT) | instid1(VALU_DEP_3)
	v_lshl_add_u32 v16, v16, 23, 0x3b800000
	v_lshlrev_b32_e32 v14, 20, v14
	s_delay_alu instid0(VALU_DEP_1)
	v_or3_b32 v15, v15, v16, v14
.LBB291_122:
	s_or_b32 exec_lo, exec_lo, s17
	s_delay_alu instid0(VALU_DEP_1)
	v_cmp_neq_f32_e64 s16, v13, v15
	s_branch .LBB291_143
.LBB291_123:
                                        ; implicit-def: $sgpr15
	s_cbranch_execz .LBB291_113
; %bb.124:
	s_mov_b32 s15, 0
	s_mov_b32 s16, exec_lo
	v_cmpx_lt_i16_e32 0x7f, v15
	s_xor_b32 s16, exec_lo, s16
	s_cbranch_execnz .LBB291_493
; %bb.125:
	s_or_saveexec_b32 s16, s16
	v_mov_b32_e32 v16, 0x7f800001
	s_xor_b32 exec_lo, exec_lo, s16
	s_cbranch_execnz .LBB291_496
.LBB291_126:
	s_or_b32 exec_lo, exec_lo, s16
	s_and_saveexec_b32 s16, s15
	s_cbranch_execz .LBB291_128
.LBB291_127:
	v_and_b32_e32 v15, 0xffff, v15
	s_delay_alu instid0(VALU_DEP_1) | instskip(SKIP_1) | instid1(VALU_DEP_2)
	v_and_b32_e32 v16, 7, v15
	v_bfe_u32 v19, v15, 3, 4
	v_clz_i32_u32_e32 v17, v16
	s_delay_alu instid0(VALU_DEP_2) | instskip(NEXT) | instid1(VALU_DEP_2)
	v_cmp_eq_u32_e32 vcc_lo, 0, v19
	v_min_u32_e32 v17, 32, v17
	s_delay_alu instid0(VALU_DEP_1) | instskip(NEXT) | instid1(VALU_DEP_1)
	v_subrev_nc_u32_e32 v18, 28, v17
	v_dual_lshlrev_b32 v15, v18, v15 :: v_dual_sub_nc_u32 v17, 29, v17
	s_delay_alu instid0(VALU_DEP_1) | instskip(NEXT) | instid1(VALU_DEP_1)
	v_dual_lshlrev_b32 v13, 16, v13 :: v_dual_bitop2_b32 v15, 7, v15 bitop3:0x40
	v_dual_cndmask_b32 v15, v16, v15, vcc_lo :: v_dual_cndmask_b32 v17, v19, v17, vcc_lo
	s_delay_alu instid0(VALU_DEP_2) | instskip(NEXT) | instid1(VALU_DEP_2)
	v_and_b32_e32 v13, 0x80000000, v13
	v_lshlrev_b32_e32 v15, 20, v15
	s_delay_alu instid0(VALU_DEP_3) | instskip(NEXT) | instid1(VALU_DEP_1)
	v_lshl_add_u32 v16, v17, 23, 0x3b800000
	v_or3_b32 v16, v13, v16, v15
.LBB291_128:
	s_or_b32 exec_lo, exec_lo, s16
	s_mov_b32 s15, 0
	s_mov_b32 s16, exec_lo
	v_cmpx_lt_i16_e32 0x7f, v14
	s_xor_b32 s16, exec_lo, s16
	s_cbranch_execnz .LBB291_497
; %bb.129:
	s_or_saveexec_b32 s16, s16
	v_mov_b32_e32 v13, 0x7f800001
	s_xor_b32 exec_lo, exec_lo, s16
	s_cbranch_execnz .LBB291_500
.LBB291_130:
	s_or_b32 exec_lo, exec_lo, s16
	s_and_saveexec_b32 s16, s15
	s_cbranch_execz .LBB291_132
.LBB291_131:
	v_and_b32_e32 v13, 0xffff, v14
	s_delay_alu instid0(VALU_DEP_1) | instskip(SKIP_1) | instid1(VALU_DEP_2)
	v_and_b32_e32 v14, 7, v13
	v_bfe_u32 v18, v13, 3, 4
	v_clz_i32_u32_e32 v15, v14
	s_delay_alu instid0(VALU_DEP_2) | instskip(NEXT) | instid1(VALU_DEP_2)
	v_cmp_eq_u32_e32 vcc_lo, 0, v18
	v_min_u32_e32 v15, 32, v15
	s_delay_alu instid0(VALU_DEP_1) | instskip(NEXT) | instid1(VALU_DEP_1)
	v_subrev_nc_u32_e32 v17, 28, v15
	v_dual_lshlrev_b32 v13, v17, v13 :: v_dual_sub_nc_u32 v15, 29, v15
	s_delay_alu instid0(VALU_DEP_1) | instskip(NEXT) | instid1(VALU_DEP_2)
	v_dual_lshlrev_b32 v12, 16, v12 :: v_dual_bitop2_b32 v13, 7, v13 bitop3:0x40
	v_cndmask_b32_e32 v15, v18, v15, vcc_lo
	s_delay_alu instid0(VALU_DEP_2) | instskip(NEXT) | instid1(VALU_DEP_3)
	v_cndmask_b32_e32 v13, v14, v13, vcc_lo
	v_and_b32_e32 v12, 0x80000000, v12
	s_delay_alu instid0(VALU_DEP_3) | instskip(NEXT) | instid1(VALU_DEP_3)
	v_lshl_add_u32 v14, v15, 23, 0x3b800000
	v_lshlrev_b32_e32 v13, 20, v13
	s_delay_alu instid0(VALU_DEP_1)
	v_or3_b32 v13, v12, v14, v13
.LBB291_132:
	s_or_b32 exec_lo, exec_lo, s16
	s_delay_alu instid0(VALU_DEP_1)
	v_cmp_eq_f32_e64 s15, v16, v13
	v_cmp_ne_u32_e32 vcc_lo, 1, v3
	v_and_b32_e32 v12, 0xff, v11
	s_cbranch_vccz .LBB291_114
.LBB291_133:
                                        ; implicit-def: $sgpr16
	s_cbranch_execz .LBB291_143
; %bb.134:
	s_mov_b32 s16, 0
	s_mov_b32 s17, exec_lo
	v_cmpx_lt_i16_e32 0x7f, v12
	s_xor_b32 s17, exec_lo, s17
	s_cbranch_execnz .LBB291_501
; %bb.135:
	s_or_saveexec_b32 s17, s17
	v_mov_b32_e32 v13, 0x7f800001
	s_xor_b32 exec_lo, exec_lo, s17
	s_cbranch_execnz .LBB291_504
.LBB291_136:
	s_or_b32 exec_lo, exec_lo, s17
	s_and_saveexec_b32 s17, s16
	s_cbranch_execz .LBB291_138
.LBB291_137:
	v_and_b32_e32 v12, 0xffff, v12
	s_delay_alu instid0(VALU_DEP_1) | instskip(SKIP_1) | instid1(VALU_DEP_2)
	v_and_b32_e32 v13, 7, v12
	v_bfe_u32 v16, v12, 3, 4
	v_clz_i32_u32_e32 v14, v13
	s_delay_alu instid0(VALU_DEP_2) | instskip(NEXT) | instid1(VALU_DEP_2)
	v_cmp_eq_u32_e32 vcc_lo, 0, v16
	v_min_u32_e32 v14, 32, v14
	s_delay_alu instid0(VALU_DEP_1) | instskip(NEXT) | instid1(VALU_DEP_1)
	v_subrev_nc_u32_e32 v15, 28, v14
	v_dual_lshlrev_b32 v12, v15, v12 :: v_dual_sub_nc_u32 v14, 29, v14
	s_delay_alu instid0(VALU_DEP_1) | instskip(NEXT) | instid1(VALU_DEP_1)
	v_dual_lshlrev_b32 v15, 24, v11 :: v_dual_bitop2_b32 v12, 7, v12 bitop3:0x40
	v_dual_cndmask_b32 v14, v16, v14, vcc_lo :: v_dual_cndmask_b32 v12, v13, v12, vcc_lo
	s_delay_alu instid0(VALU_DEP_2) | instskip(NEXT) | instid1(VALU_DEP_2)
	v_and_b32_e32 v13, 0x80000000, v15
	v_lshl_add_u32 v14, v14, 23, 0x3b800000
	s_delay_alu instid0(VALU_DEP_3) | instskip(NEXT) | instid1(VALU_DEP_1)
	v_lshlrev_b32_e32 v12, 20, v12
	v_or3_b32 v13, v13, v14, v12
.LBB291_138:
	s_or_b32 exec_lo, exec_lo, s17
	s_wait_loadcnt 0x4
	v_and_b32_e32 v12, 0xff, v10
	s_mov_b32 s16, 0
	s_mov_b32 s17, exec_lo
	s_delay_alu instid0(VALU_DEP_1)
	v_cmpx_lt_i16_e32 0x7f, v12
	s_xor_b32 s17, exec_lo, s17
	s_cbranch_execnz .LBB291_505
; %bb.139:
	s_or_saveexec_b32 s17, s17
	v_mov_b32_e32 v14, 0x7f800001
	s_xor_b32 exec_lo, exec_lo, s17
	s_cbranch_execnz .LBB291_508
.LBB291_140:
	s_or_b32 exec_lo, exec_lo, s17
	s_and_saveexec_b32 s17, s16
	s_cbranch_execz .LBB291_142
.LBB291_141:
	v_and_b32_e32 v12, 0xffff, v12
	s_delay_alu instid0(VALU_DEP_1) | instskip(SKIP_1) | instid1(VALU_DEP_2)
	v_and_b32_e32 v14, 7, v12
	v_bfe_u32 v17, v12, 3, 4
	v_clz_i32_u32_e32 v15, v14
	s_delay_alu instid0(VALU_DEP_2) | instskip(NEXT) | instid1(VALU_DEP_2)
	v_cmp_eq_u32_e32 vcc_lo, 0, v17
	v_min_u32_e32 v15, 32, v15
	s_delay_alu instid0(VALU_DEP_1) | instskip(NEXT) | instid1(VALU_DEP_1)
	v_subrev_nc_u32_e32 v16, 28, v15
	v_dual_lshlrev_b32 v12, v16, v12 :: v_dual_sub_nc_u32 v15, 29, v15
	s_delay_alu instid0(VALU_DEP_1) | instskip(NEXT) | instid1(VALU_DEP_1)
	v_dual_lshlrev_b32 v16, 24, v10 :: v_dual_bitop2_b32 v12, 7, v12 bitop3:0x40
	v_dual_cndmask_b32 v15, v17, v15 :: v_dual_cndmask_b32 v12, v14, v12
	s_delay_alu instid0(VALU_DEP_2) | instskip(NEXT) | instid1(VALU_DEP_2)
	v_and_b32_e32 v14, 0x80000000, v16
	v_lshl_add_u32 v15, v15, 23, 0x3b800000
	s_delay_alu instid0(VALU_DEP_3) | instskip(NEXT) | instid1(VALU_DEP_1)
	v_lshlrev_b32_e32 v12, 20, v12
	v_or3_b32 v14, v14, v15, v12
.LBB291_142:
	s_or_b32 exec_lo, exec_lo, s17
	s_delay_alu instid0(VALU_DEP_1)
	v_cmp_eq_f32_e64 s16, v13, v14
.LBB291_143:
	v_cmp_ne_u32_e32 vcc_lo, 1, v3
	v_lshrrev_b16 v13, 8, v11
	s_wait_loadcnt 0x4
	v_lshrrev_b16 v12, 8, v10
	s_cbranch_vccnz .LBB291_163
; %bb.144:
	s_mov_b32 s17, 0
	s_mov_b32 s18, exec_lo
	v_cmpx_lt_i16_e32 0x7f, v13
	s_xor_b32 s18, exec_lo, s18
	s_cbranch_execnz .LBB291_381
; %bb.145:
	s_or_saveexec_b32 s18, s18
	v_mov_b32_e32 v14, 0x7f800001
	s_xor_b32 exec_lo, exec_lo, s18
	s_cbranch_execnz .LBB291_384
.LBB291_146:
	s_or_b32 exec_lo, exec_lo, s18
	s_and_saveexec_b32 s18, s17
	s_cbranch_execz .LBB291_148
.LBB291_147:
	v_and_b32_e32 v14, 0xffff, v13
	s_delay_alu instid0(VALU_DEP_1) | instskip(SKIP_1) | instid1(VALU_DEP_2)
	v_and_b32_e32 v15, 7, v14
	v_bfe_u32 v18, v14, 3, 4
	v_clz_i32_u32_e32 v16, v15
	s_delay_alu instid0(VALU_DEP_2) | instskip(NEXT) | instid1(VALU_DEP_2)
	v_cmp_eq_u32_e32 vcc_lo, 0, v18
	v_min_u32_e32 v16, 32, v16
	s_delay_alu instid0(VALU_DEP_1) | instskip(NEXT) | instid1(VALU_DEP_1)
	v_subrev_nc_u32_e32 v17, 28, v16
	v_dual_lshlrev_b32 v14, v17, v14 :: v_dual_sub_nc_u32 v16, 29, v16
	s_delay_alu instid0(VALU_DEP_1) | instskip(NEXT) | instid1(VALU_DEP_1)
	v_dual_lshlrev_b32 v17, 16, v11 :: v_dual_bitop2_b32 v14, 7, v14 bitop3:0x40
	v_dual_cndmask_b32 v16, v18, v16, vcc_lo :: v_dual_cndmask_b32 v14, v15, v14, vcc_lo
	s_delay_alu instid0(VALU_DEP_2) | instskip(NEXT) | instid1(VALU_DEP_2)
	v_and_b32_e32 v15, 0x80000000, v17
	v_lshl_add_u32 v16, v16, 23, 0x3b800000
	s_delay_alu instid0(VALU_DEP_3) | instskip(NEXT) | instid1(VALU_DEP_1)
	v_lshlrev_b32_e32 v14, 20, v14
	v_or3_b32 v14, v15, v16, v14
.LBB291_148:
	s_or_b32 exec_lo, exec_lo, s18
	s_mov_b32 s17, 0
	s_mov_b32 s18, exec_lo
	v_cmpx_lt_i16_e32 0x7f, v12
	s_xor_b32 s18, exec_lo, s18
	s_cbranch_execnz .LBB291_385
; %bb.149:
	s_or_saveexec_b32 s18, s18
	v_mov_b32_e32 v15, 0x7f800001
	s_xor_b32 exec_lo, exec_lo, s18
	s_cbranch_execnz .LBB291_388
.LBB291_150:
	s_or_b32 exec_lo, exec_lo, s18
	s_and_saveexec_b32 s18, s17
	s_cbranch_execz .LBB291_152
.LBB291_151:
	v_and_b32_e32 v15, 0xffff, v12
	s_delay_alu instid0(VALU_DEP_1) | instskip(SKIP_1) | instid1(VALU_DEP_2)
	v_and_b32_e32 v16, 7, v15
	v_bfe_u32 v19, v15, 3, 4
	v_clz_i32_u32_e32 v17, v16
	s_delay_alu instid0(VALU_DEP_2) | instskip(NEXT) | instid1(VALU_DEP_2)
	v_cmp_eq_u32_e32 vcc_lo, 0, v19
	v_min_u32_e32 v17, 32, v17
	s_delay_alu instid0(VALU_DEP_1) | instskip(NEXT) | instid1(VALU_DEP_1)
	v_subrev_nc_u32_e32 v18, 28, v17
	v_dual_lshlrev_b32 v15, v18, v15 :: v_dual_sub_nc_u32 v17, 29, v17
	s_delay_alu instid0(VALU_DEP_1) | instskip(NEXT) | instid1(VALU_DEP_1)
	v_dual_lshlrev_b32 v18, 16, v10 :: v_dual_bitop2_b32 v15, 7, v15 bitop3:0x40
	v_dual_cndmask_b32 v17, v19, v17, vcc_lo :: v_dual_cndmask_b32 v15, v16, v15, vcc_lo
	s_delay_alu instid0(VALU_DEP_2) | instskip(NEXT) | instid1(VALU_DEP_2)
	v_and_b32_e32 v16, 0x80000000, v18
	v_lshl_add_u32 v17, v17, 23, 0x3b800000
	s_delay_alu instid0(VALU_DEP_3) | instskip(NEXT) | instid1(VALU_DEP_1)
	v_lshlrev_b32_e32 v15, 20, v15
	v_or3_b32 v15, v16, v17, v15
.LBB291_152:
	s_or_b32 exec_lo, exec_lo, s18
	s_delay_alu instid0(VALU_DEP_1)
	v_cmp_neq_f32_e64 s17, v14, v15
.LBB291_153:
	v_cmp_ne_u32_e32 vcc_lo, 1, v3
	v_and_b32_e32 v10, 0xff, v9
	s_cbranch_vccnz .LBB291_173
.LBB291_154:
	s_mov_b32 s18, 0
	s_mov_b32 s19, exec_lo
	s_delay_alu instid0(VALU_DEP_1)
	v_cmpx_lt_i16_e32 0x7f, v10
	s_xor_b32 s19, exec_lo, s19
	s_cbranch_execnz .LBB291_389
; %bb.155:
	s_or_saveexec_b32 s19, s19
	v_mov_b32_e32 v11, 0x7f800001
	s_xor_b32 exec_lo, exec_lo, s19
	s_cbranch_execnz .LBB291_392
.LBB291_156:
	s_or_b32 exec_lo, exec_lo, s19
	s_and_saveexec_b32 s19, s18
	s_cbranch_execz .LBB291_158
.LBB291_157:
	v_and_b32_e32 v11, 0xffff, v10
	s_delay_alu instid0(VALU_DEP_1) | instskip(SKIP_1) | instid1(VALU_DEP_2)
	v_and_b32_e32 v12, 7, v11
	v_bfe_u32 v15, v11, 3, 4
	v_clz_i32_u32_e32 v13, v12
	s_delay_alu instid0(VALU_DEP_2) | instskip(NEXT) | instid1(VALU_DEP_2)
	v_cmp_eq_u32_e32 vcc_lo, 0, v15
	v_min_u32_e32 v13, 32, v13
	s_delay_alu instid0(VALU_DEP_1) | instskip(NEXT) | instid1(VALU_DEP_1)
	v_subrev_nc_u32_e32 v14, 28, v13
	v_dual_lshlrev_b32 v11, v14, v11 :: v_dual_sub_nc_u32 v13, 29, v13
	s_delay_alu instid0(VALU_DEP_1) | instskip(NEXT) | instid1(VALU_DEP_1)
	v_dual_lshlrev_b32 v14, 24, v9 :: v_dual_bitop2_b32 v11, 7, v11 bitop3:0x40
	v_dual_cndmask_b32 v11, v12, v11, vcc_lo :: v_dual_cndmask_b32 v13, v15, v13, vcc_lo
	s_delay_alu instid0(VALU_DEP_2) | instskip(NEXT) | instid1(VALU_DEP_2)
	v_and_b32_e32 v12, 0x80000000, v14
	v_lshlrev_b32_e32 v11, 20, v11
	s_delay_alu instid0(VALU_DEP_3) | instskip(NEXT) | instid1(VALU_DEP_1)
	v_lshl_add_u32 v13, v13, 23, 0x3b800000
	v_or3_b32 v11, v12, v13, v11
.LBB291_158:
	s_or_b32 exec_lo, exec_lo, s19
	s_wait_loadcnt 0x3
	v_and_b32_e32 v12, 0xff, v8
	s_mov_b32 s18, 0
	s_mov_b32 s19, exec_lo
	s_delay_alu instid0(VALU_DEP_1)
	v_cmpx_lt_i16_e32 0x7f, v12
	s_xor_b32 s19, exec_lo, s19
	s_cbranch_execnz .LBB291_393
; %bb.159:
	s_or_saveexec_b32 s19, s19
	v_mov_b32_e32 v13, 0x7f800001
	s_xor_b32 exec_lo, exec_lo, s19
	s_cbranch_execnz .LBB291_396
.LBB291_160:
	s_or_b32 exec_lo, exec_lo, s19
	s_and_saveexec_b32 s19, s18
	s_cbranch_execz .LBB291_162
.LBB291_161:
	v_and_b32_e32 v12, 0xffff, v12
	s_delay_alu instid0(VALU_DEP_1) | instskip(SKIP_1) | instid1(VALU_DEP_2)
	v_and_b32_e32 v13, 7, v12
	v_bfe_u32 v16, v12, 3, 4
	v_clz_i32_u32_e32 v14, v13
	s_delay_alu instid0(VALU_DEP_2) | instskip(NEXT) | instid1(VALU_DEP_2)
	v_cmp_eq_u32_e32 vcc_lo, 0, v16
	v_min_u32_e32 v14, 32, v14
	s_delay_alu instid0(VALU_DEP_1) | instskip(NEXT) | instid1(VALU_DEP_1)
	v_subrev_nc_u32_e32 v15, 28, v14
	v_dual_lshlrev_b32 v12, v15, v12 :: v_dual_sub_nc_u32 v14, 29, v14
	s_delay_alu instid0(VALU_DEP_1) | instskip(NEXT) | instid1(VALU_DEP_2)
	v_and_b32_e32 v12, 7, v12
	v_dual_cndmask_b32 v14, v16, v14 :: v_dual_lshlrev_b32 v15, 24, v8
	s_delay_alu instid0(VALU_DEP_2) | instskip(NEXT) | instid1(VALU_DEP_2)
	v_cndmask_b32_e32 v12, v13, v12, vcc_lo
	v_and_b32_e32 v13, 0x80000000, v15
	s_delay_alu instid0(VALU_DEP_3) | instskip(NEXT) | instid1(VALU_DEP_3)
	v_lshl_add_u32 v14, v14, 23, 0x3b800000
	v_lshlrev_b32_e32 v12, 20, v12
	s_delay_alu instid0(VALU_DEP_1)
	v_or3_b32 v13, v13, v14, v12
.LBB291_162:
	s_or_b32 exec_lo, exec_lo, s19
	s_delay_alu instid0(VALU_DEP_1)
	v_cmp_neq_f32_e64 s18, v11, v13
	s_branch .LBB291_183
.LBB291_163:
                                        ; implicit-def: $sgpr17
	s_cbranch_execz .LBB291_153
; %bb.164:
	s_mov_b32 s17, 0
	s_mov_b32 s18, exec_lo
	v_cmpx_lt_i16_e32 0x7f, v13
	s_xor_b32 s18, exec_lo, s18
	s_cbranch_execnz .LBB291_509
; %bb.165:
	s_or_saveexec_b32 s18, s18
	v_mov_b32_e32 v14, 0x7f800001
	s_xor_b32 exec_lo, exec_lo, s18
	s_cbranch_execnz .LBB291_512
.LBB291_166:
	s_or_b32 exec_lo, exec_lo, s18
	s_and_saveexec_b32 s18, s17
	s_cbranch_execz .LBB291_168
.LBB291_167:
	v_and_b32_e32 v13, 0xffff, v13
	s_delay_alu instid0(VALU_DEP_1) | instskip(SKIP_1) | instid1(VALU_DEP_2)
	v_and_b32_e32 v14, 7, v13
	v_bfe_u32 v17, v13, 3, 4
	v_clz_i32_u32_e32 v15, v14
	s_delay_alu instid0(VALU_DEP_2) | instskip(NEXT) | instid1(VALU_DEP_2)
	v_cmp_eq_u32_e32 vcc_lo, 0, v17
	v_min_u32_e32 v15, 32, v15
	s_delay_alu instid0(VALU_DEP_1) | instskip(NEXT) | instid1(VALU_DEP_1)
	v_subrev_nc_u32_e32 v16, 28, v15
	v_dual_lshlrev_b32 v13, v16, v13 :: v_dual_sub_nc_u32 v15, 29, v15
	s_delay_alu instid0(VALU_DEP_1) | instskip(NEXT) | instid1(VALU_DEP_1)
	v_dual_lshlrev_b32 v11, 16, v11 :: v_dual_bitop2_b32 v13, 7, v13 bitop3:0x40
	v_dual_cndmask_b32 v13, v14, v13, vcc_lo :: v_dual_cndmask_b32 v15, v17, v15, vcc_lo
	s_delay_alu instid0(VALU_DEP_2) | instskip(NEXT) | instid1(VALU_DEP_2)
	v_and_b32_e32 v11, 0x80000000, v11
	v_lshlrev_b32_e32 v13, 20, v13
	s_delay_alu instid0(VALU_DEP_3) | instskip(NEXT) | instid1(VALU_DEP_1)
	v_lshl_add_u32 v14, v15, 23, 0x3b800000
	v_or3_b32 v14, v11, v14, v13
.LBB291_168:
	s_or_b32 exec_lo, exec_lo, s18
	s_mov_b32 s17, 0
	s_mov_b32 s18, exec_lo
	v_cmpx_lt_i16_e32 0x7f, v12
	s_xor_b32 s18, exec_lo, s18
	s_cbranch_execnz .LBB291_513
; %bb.169:
	s_or_saveexec_b32 s18, s18
	v_mov_b32_e32 v11, 0x7f800001
	s_xor_b32 exec_lo, exec_lo, s18
	s_cbranch_execnz .LBB291_516
.LBB291_170:
	s_or_b32 exec_lo, exec_lo, s18
	s_and_saveexec_b32 s18, s17
	s_cbranch_execz .LBB291_172
.LBB291_171:
	v_and_b32_e32 v11, 0xffff, v12
	s_delay_alu instid0(VALU_DEP_1) | instskip(SKIP_1) | instid1(VALU_DEP_2)
	v_and_b32_e32 v12, 7, v11
	v_bfe_u32 v16, v11, 3, 4
	v_clz_i32_u32_e32 v13, v12
	s_delay_alu instid0(VALU_DEP_2) | instskip(NEXT) | instid1(VALU_DEP_2)
	v_cmp_eq_u32_e32 vcc_lo, 0, v16
	v_min_u32_e32 v13, 32, v13
	s_delay_alu instid0(VALU_DEP_1) | instskip(NEXT) | instid1(VALU_DEP_1)
	v_subrev_nc_u32_e32 v15, 28, v13
	v_dual_lshlrev_b32 v11, v15, v11 :: v_dual_sub_nc_u32 v13, 29, v13
	s_delay_alu instid0(VALU_DEP_1) | instskip(NEXT) | instid1(VALU_DEP_2)
	v_dual_lshlrev_b32 v10, 16, v10 :: v_dual_bitop2_b32 v11, 7, v11 bitop3:0x40
	v_cndmask_b32_e32 v13, v16, v13, vcc_lo
	s_delay_alu instid0(VALU_DEP_2) | instskip(NEXT) | instid1(VALU_DEP_3)
	v_cndmask_b32_e32 v11, v12, v11, vcc_lo
	v_and_b32_e32 v10, 0x80000000, v10
	s_delay_alu instid0(VALU_DEP_3) | instskip(NEXT) | instid1(VALU_DEP_3)
	v_lshl_add_u32 v12, v13, 23, 0x3b800000
	v_lshlrev_b32_e32 v11, 20, v11
	s_delay_alu instid0(VALU_DEP_1)
	v_or3_b32 v11, v10, v12, v11
.LBB291_172:
	s_or_b32 exec_lo, exec_lo, s18
	s_delay_alu instid0(VALU_DEP_1)
	v_cmp_eq_f32_e64 s17, v14, v11
	v_cmp_ne_u32_e32 vcc_lo, 1, v3
	v_and_b32_e32 v10, 0xff, v9
	s_cbranch_vccz .LBB291_154
.LBB291_173:
                                        ; implicit-def: $sgpr18
	s_cbranch_execz .LBB291_183
; %bb.174:
	s_mov_b32 s18, 0
	s_mov_b32 s19, exec_lo
	v_cmpx_lt_i16_e32 0x7f, v10
	s_xor_b32 s19, exec_lo, s19
	s_cbranch_execnz .LBB291_517
; %bb.175:
	s_or_saveexec_b32 s19, s19
	v_mov_b32_e32 v11, 0x7f800001
	s_xor_b32 exec_lo, exec_lo, s19
	s_cbranch_execnz .LBB291_520
.LBB291_176:
	s_or_b32 exec_lo, exec_lo, s19
	s_and_saveexec_b32 s19, s18
	s_cbranch_execz .LBB291_178
.LBB291_177:
	v_and_b32_e32 v10, 0xffff, v10
	s_delay_alu instid0(VALU_DEP_1) | instskip(SKIP_1) | instid1(VALU_DEP_2)
	v_and_b32_e32 v11, 7, v10
	v_bfe_u32 v14, v10, 3, 4
	v_clz_i32_u32_e32 v12, v11
	s_delay_alu instid0(VALU_DEP_2) | instskip(NEXT) | instid1(VALU_DEP_2)
	v_cmp_eq_u32_e32 vcc_lo, 0, v14
	v_min_u32_e32 v12, 32, v12
	s_delay_alu instid0(VALU_DEP_1) | instskip(NEXT) | instid1(VALU_DEP_1)
	v_subrev_nc_u32_e32 v13, 28, v12
	v_dual_lshlrev_b32 v10, v13, v10 :: v_dual_sub_nc_u32 v12, 29, v12
	s_delay_alu instid0(VALU_DEP_1) | instskip(NEXT) | instid1(VALU_DEP_1)
	v_dual_lshlrev_b32 v13, 24, v9 :: v_dual_bitop2_b32 v10, 7, v10 bitop3:0x40
	v_dual_cndmask_b32 v12, v14, v12, vcc_lo :: v_dual_cndmask_b32 v10, v11, v10, vcc_lo
	s_delay_alu instid0(VALU_DEP_2) | instskip(NEXT) | instid1(VALU_DEP_2)
	v_and_b32_e32 v11, 0x80000000, v13
	v_lshl_add_u32 v12, v12, 23, 0x3b800000
	s_delay_alu instid0(VALU_DEP_3) | instskip(NEXT) | instid1(VALU_DEP_1)
	v_lshlrev_b32_e32 v10, 20, v10
	v_or3_b32 v11, v11, v12, v10
.LBB291_178:
	s_or_b32 exec_lo, exec_lo, s19
	s_wait_loadcnt 0x3
	v_and_b32_e32 v10, 0xff, v8
	s_mov_b32 s18, 0
	s_mov_b32 s19, exec_lo
	s_delay_alu instid0(VALU_DEP_1)
	v_cmpx_lt_i16_e32 0x7f, v10
	s_xor_b32 s19, exec_lo, s19
	s_cbranch_execnz .LBB291_521
; %bb.179:
	s_or_saveexec_b32 s19, s19
	v_mov_b32_e32 v12, 0x7f800001
	s_xor_b32 exec_lo, exec_lo, s19
	s_cbranch_execnz .LBB291_524
.LBB291_180:
	s_or_b32 exec_lo, exec_lo, s19
	s_and_saveexec_b32 s19, s18
	s_cbranch_execz .LBB291_182
.LBB291_181:
	v_and_b32_e32 v10, 0xffff, v10
	s_delay_alu instid0(VALU_DEP_1) | instskip(SKIP_1) | instid1(VALU_DEP_2)
	v_and_b32_e32 v12, 7, v10
	v_bfe_u32 v15, v10, 3, 4
	v_clz_i32_u32_e32 v13, v12
	s_delay_alu instid0(VALU_DEP_2) | instskip(NEXT) | instid1(VALU_DEP_2)
	v_cmp_eq_u32_e32 vcc_lo, 0, v15
	v_min_u32_e32 v13, 32, v13
	s_delay_alu instid0(VALU_DEP_1) | instskip(NEXT) | instid1(VALU_DEP_1)
	v_subrev_nc_u32_e32 v14, 28, v13
	v_dual_lshlrev_b32 v10, v14, v10 :: v_dual_sub_nc_u32 v13, 29, v13
	s_delay_alu instid0(VALU_DEP_1) | instskip(NEXT) | instid1(VALU_DEP_1)
	v_dual_lshlrev_b32 v14, 24, v8 :: v_dual_bitop2_b32 v10, 7, v10 bitop3:0x40
	v_dual_cndmask_b32 v13, v15, v13 :: v_dual_cndmask_b32 v10, v12, v10
	s_delay_alu instid0(VALU_DEP_2) | instskip(NEXT) | instid1(VALU_DEP_2)
	v_and_b32_e32 v12, 0x80000000, v14
	v_lshl_add_u32 v13, v13, 23, 0x3b800000
	s_delay_alu instid0(VALU_DEP_3) | instskip(NEXT) | instid1(VALU_DEP_1)
	v_lshlrev_b32_e32 v10, 20, v10
	v_or3_b32 v12, v12, v13, v10
.LBB291_182:
	s_or_b32 exec_lo, exec_lo, s19
	s_delay_alu instid0(VALU_DEP_1)
	v_cmp_eq_f32_e64 s18, v11, v12
.LBB291_183:
	v_cmp_ne_u32_e32 vcc_lo, 1, v3
	v_lshrrev_b16 v11, 8, v9
	s_wait_loadcnt 0x3
	v_lshrrev_b16 v10, 8, v8
	s_cbranch_vccnz .LBB291_203
; %bb.184:
	s_mov_b32 s19, 0
	s_mov_b32 s20, exec_lo
	v_cmpx_lt_i16_e32 0x7f, v11
	s_xor_b32 s20, exec_lo, s20
	s_cbranch_execnz .LBB291_397
; %bb.185:
	s_or_saveexec_b32 s20, s20
	v_mov_b32_e32 v12, 0x7f800001
	s_xor_b32 exec_lo, exec_lo, s20
	s_cbranch_execnz .LBB291_400
.LBB291_186:
	s_or_b32 exec_lo, exec_lo, s20
	s_and_saveexec_b32 s20, s19
	s_cbranch_execz .LBB291_188
.LBB291_187:
	v_and_b32_e32 v12, 0xffff, v11
	s_delay_alu instid0(VALU_DEP_1) | instskip(SKIP_1) | instid1(VALU_DEP_2)
	v_and_b32_e32 v13, 7, v12
	v_bfe_u32 v16, v12, 3, 4
	v_clz_i32_u32_e32 v14, v13
	s_delay_alu instid0(VALU_DEP_2) | instskip(NEXT) | instid1(VALU_DEP_2)
	v_cmp_eq_u32_e32 vcc_lo, 0, v16
	v_min_u32_e32 v14, 32, v14
	s_delay_alu instid0(VALU_DEP_1) | instskip(NEXT) | instid1(VALU_DEP_1)
	v_subrev_nc_u32_e32 v15, 28, v14
	v_dual_lshlrev_b32 v12, v15, v12 :: v_dual_sub_nc_u32 v14, 29, v14
	s_delay_alu instid0(VALU_DEP_1) | instskip(NEXT) | instid1(VALU_DEP_1)
	v_dual_lshlrev_b32 v15, 16, v9 :: v_dual_bitop2_b32 v12, 7, v12 bitop3:0x40
	v_dual_cndmask_b32 v14, v16, v14, vcc_lo :: v_dual_cndmask_b32 v12, v13, v12, vcc_lo
	s_delay_alu instid0(VALU_DEP_2) | instskip(NEXT) | instid1(VALU_DEP_2)
	v_and_b32_e32 v13, 0x80000000, v15
	v_lshl_add_u32 v14, v14, 23, 0x3b800000
	s_delay_alu instid0(VALU_DEP_3) | instskip(NEXT) | instid1(VALU_DEP_1)
	v_lshlrev_b32_e32 v12, 20, v12
	v_or3_b32 v12, v13, v14, v12
.LBB291_188:
	s_or_b32 exec_lo, exec_lo, s20
	s_mov_b32 s19, 0
	s_mov_b32 s20, exec_lo
	v_cmpx_lt_i16_e32 0x7f, v10
	s_xor_b32 s20, exec_lo, s20
	s_cbranch_execnz .LBB291_401
; %bb.189:
	s_or_saveexec_b32 s20, s20
	v_mov_b32_e32 v13, 0x7f800001
	s_xor_b32 exec_lo, exec_lo, s20
	s_cbranch_execnz .LBB291_404
.LBB291_190:
	s_or_b32 exec_lo, exec_lo, s20
	s_and_saveexec_b32 s20, s19
	s_cbranch_execz .LBB291_192
.LBB291_191:
	v_and_b32_e32 v13, 0xffff, v10
	s_delay_alu instid0(VALU_DEP_1) | instskip(SKIP_1) | instid1(VALU_DEP_2)
	v_and_b32_e32 v14, 7, v13
	v_bfe_u32 v17, v13, 3, 4
	v_clz_i32_u32_e32 v15, v14
	s_delay_alu instid0(VALU_DEP_2) | instskip(NEXT) | instid1(VALU_DEP_2)
	v_cmp_eq_u32_e32 vcc_lo, 0, v17
	v_min_u32_e32 v15, 32, v15
	s_delay_alu instid0(VALU_DEP_1) | instskip(NEXT) | instid1(VALU_DEP_1)
	v_subrev_nc_u32_e32 v16, 28, v15
	v_dual_lshlrev_b32 v13, v16, v13 :: v_dual_sub_nc_u32 v15, 29, v15
	s_delay_alu instid0(VALU_DEP_1) | instskip(NEXT) | instid1(VALU_DEP_1)
	v_dual_lshlrev_b32 v16, 16, v8 :: v_dual_bitop2_b32 v13, 7, v13 bitop3:0x40
	v_dual_cndmask_b32 v15, v17, v15, vcc_lo :: v_dual_cndmask_b32 v13, v14, v13, vcc_lo
	s_delay_alu instid0(VALU_DEP_2) | instskip(NEXT) | instid1(VALU_DEP_2)
	v_and_b32_e32 v14, 0x80000000, v16
	v_lshl_add_u32 v15, v15, 23, 0x3b800000
	s_delay_alu instid0(VALU_DEP_3) | instskip(NEXT) | instid1(VALU_DEP_1)
	v_lshlrev_b32_e32 v13, 20, v13
	v_or3_b32 v13, v14, v15, v13
.LBB291_192:
	s_or_b32 exec_lo, exec_lo, s20
	s_delay_alu instid0(VALU_DEP_1)
	v_cmp_neq_f32_e64 s19, v12, v13
.LBB291_193:
	v_cmp_ne_u32_e32 vcc_lo, 1, v3
	v_and_b32_e32 v8, 0xff, v7
	s_cbranch_vccnz .LBB291_213
.LBB291_194:
	s_mov_b32 s20, 0
	s_mov_b32 s21, exec_lo
	s_delay_alu instid0(VALU_DEP_1)
	v_cmpx_lt_i16_e32 0x7f, v8
	s_xor_b32 s21, exec_lo, s21
	s_cbranch_execnz .LBB291_405
; %bb.195:
	s_or_saveexec_b32 s21, s21
	v_mov_b32_e32 v9, 0x7f800001
	s_xor_b32 exec_lo, exec_lo, s21
	s_cbranch_execnz .LBB291_408
.LBB291_196:
	s_or_b32 exec_lo, exec_lo, s21
	s_and_saveexec_b32 s21, s20
	s_cbranch_execz .LBB291_198
.LBB291_197:
	v_and_b32_e32 v9, 0xffff, v8
	s_delay_alu instid0(VALU_DEP_1) | instskip(SKIP_1) | instid1(VALU_DEP_2)
	v_and_b32_e32 v10, 7, v9
	v_bfe_u32 v13, v9, 3, 4
	v_clz_i32_u32_e32 v11, v10
	s_delay_alu instid0(VALU_DEP_2) | instskip(NEXT) | instid1(VALU_DEP_2)
	v_cmp_eq_u32_e32 vcc_lo, 0, v13
	v_min_u32_e32 v11, 32, v11
	s_delay_alu instid0(VALU_DEP_1) | instskip(NEXT) | instid1(VALU_DEP_1)
	v_subrev_nc_u32_e32 v12, 28, v11
	v_dual_lshlrev_b32 v9, v12, v9 :: v_dual_sub_nc_u32 v11, 29, v11
	s_delay_alu instid0(VALU_DEP_1) | instskip(NEXT) | instid1(VALU_DEP_1)
	v_dual_lshlrev_b32 v12, 24, v7 :: v_dual_bitop2_b32 v9, 7, v9 bitop3:0x40
	v_dual_cndmask_b32 v9, v10, v9, vcc_lo :: v_dual_cndmask_b32 v11, v13, v11, vcc_lo
	s_delay_alu instid0(VALU_DEP_2) | instskip(NEXT) | instid1(VALU_DEP_2)
	v_and_b32_e32 v10, 0x80000000, v12
	v_lshlrev_b32_e32 v9, 20, v9
	s_delay_alu instid0(VALU_DEP_3) | instskip(NEXT) | instid1(VALU_DEP_1)
	v_lshl_add_u32 v11, v11, 23, 0x3b800000
	v_or3_b32 v9, v10, v11, v9
.LBB291_198:
	s_or_b32 exec_lo, exec_lo, s21
	s_wait_loadcnt 0x2
	v_and_b32_e32 v10, 0xff, v6
	s_mov_b32 s20, 0
	s_mov_b32 s21, exec_lo
	s_delay_alu instid0(VALU_DEP_1)
	v_cmpx_lt_i16_e32 0x7f, v10
	s_xor_b32 s21, exec_lo, s21
	s_cbranch_execnz .LBB291_409
; %bb.199:
	s_or_saveexec_b32 s21, s21
	v_mov_b32_e32 v11, 0x7f800001
	s_xor_b32 exec_lo, exec_lo, s21
	s_cbranch_execnz .LBB291_412
.LBB291_200:
	s_or_b32 exec_lo, exec_lo, s21
	s_and_saveexec_b32 s21, s20
	s_cbranch_execz .LBB291_202
.LBB291_201:
	v_and_b32_e32 v10, 0xffff, v10
	s_delay_alu instid0(VALU_DEP_1) | instskip(SKIP_1) | instid1(VALU_DEP_2)
	v_and_b32_e32 v11, 7, v10
	v_bfe_u32 v14, v10, 3, 4
	v_clz_i32_u32_e32 v12, v11
	s_delay_alu instid0(VALU_DEP_2) | instskip(NEXT) | instid1(VALU_DEP_2)
	v_cmp_eq_u32_e32 vcc_lo, 0, v14
	v_min_u32_e32 v12, 32, v12
	s_delay_alu instid0(VALU_DEP_1) | instskip(NEXT) | instid1(VALU_DEP_1)
	v_subrev_nc_u32_e32 v13, 28, v12
	v_dual_lshlrev_b32 v10, v13, v10 :: v_dual_sub_nc_u32 v12, 29, v12
	s_delay_alu instid0(VALU_DEP_1) | instskip(NEXT) | instid1(VALU_DEP_2)
	v_and_b32_e32 v10, 7, v10
	v_dual_cndmask_b32 v12, v14, v12 :: v_dual_lshlrev_b32 v13, 24, v6
	s_delay_alu instid0(VALU_DEP_2) | instskip(NEXT) | instid1(VALU_DEP_2)
	v_cndmask_b32_e32 v10, v11, v10, vcc_lo
	v_and_b32_e32 v11, 0x80000000, v13
	s_delay_alu instid0(VALU_DEP_3) | instskip(NEXT) | instid1(VALU_DEP_3)
	v_lshl_add_u32 v12, v12, 23, 0x3b800000
	v_lshlrev_b32_e32 v10, 20, v10
	s_delay_alu instid0(VALU_DEP_1)
	v_or3_b32 v11, v11, v12, v10
.LBB291_202:
	s_or_b32 exec_lo, exec_lo, s21
	s_delay_alu instid0(VALU_DEP_1)
	v_cmp_neq_f32_e64 s20, v9, v11
	s_branch .LBB291_223
.LBB291_203:
                                        ; implicit-def: $sgpr19
	s_cbranch_execz .LBB291_193
; %bb.204:
	s_mov_b32 s19, 0
	s_mov_b32 s20, exec_lo
	v_cmpx_lt_i16_e32 0x7f, v11
	s_xor_b32 s20, exec_lo, s20
	s_cbranch_execnz .LBB291_525
; %bb.205:
	s_or_saveexec_b32 s20, s20
	v_mov_b32_e32 v12, 0x7f800001
	s_xor_b32 exec_lo, exec_lo, s20
	s_cbranch_execnz .LBB291_528
.LBB291_206:
	s_or_b32 exec_lo, exec_lo, s20
	s_and_saveexec_b32 s20, s19
	s_cbranch_execz .LBB291_208
.LBB291_207:
	v_and_b32_e32 v11, 0xffff, v11
	s_delay_alu instid0(VALU_DEP_1) | instskip(SKIP_1) | instid1(VALU_DEP_2)
	v_and_b32_e32 v12, 7, v11
	v_bfe_u32 v15, v11, 3, 4
	v_clz_i32_u32_e32 v13, v12
	s_delay_alu instid0(VALU_DEP_2) | instskip(NEXT) | instid1(VALU_DEP_2)
	v_cmp_eq_u32_e32 vcc_lo, 0, v15
	v_min_u32_e32 v13, 32, v13
	s_delay_alu instid0(VALU_DEP_1) | instskip(NEXT) | instid1(VALU_DEP_1)
	v_subrev_nc_u32_e32 v14, 28, v13
	v_dual_lshlrev_b32 v11, v14, v11 :: v_dual_sub_nc_u32 v13, 29, v13
	s_delay_alu instid0(VALU_DEP_1) | instskip(NEXT) | instid1(VALU_DEP_1)
	v_dual_lshlrev_b32 v9, 16, v9 :: v_dual_bitop2_b32 v11, 7, v11 bitop3:0x40
	v_dual_cndmask_b32 v11, v12, v11, vcc_lo :: v_dual_cndmask_b32 v13, v15, v13, vcc_lo
	s_delay_alu instid0(VALU_DEP_2) | instskip(NEXT) | instid1(VALU_DEP_2)
	v_and_b32_e32 v9, 0x80000000, v9
	v_lshlrev_b32_e32 v11, 20, v11
	s_delay_alu instid0(VALU_DEP_3) | instskip(NEXT) | instid1(VALU_DEP_1)
	v_lshl_add_u32 v12, v13, 23, 0x3b800000
	v_or3_b32 v12, v9, v12, v11
.LBB291_208:
	s_or_b32 exec_lo, exec_lo, s20
	s_mov_b32 s19, 0
	s_mov_b32 s20, exec_lo
	v_cmpx_lt_i16_e32 0x7f, v10
	s_xor_b32 s20, exec_lo, s20
	s_cbranch_execnz .LBB291_529
; %bb.209:
	s_or_saveexec_b32 s20, s20
	v_mov_b32_e32 v9, 0x7f800001
	s_xor_b32 exec_lo, exec_lo, s20
	s_cbranch_execnz .LBB291_532
.LBB291_210:
	s_or_b32 exec_lo, exec_lo, s20
	s_and_saveexec_b32 s20, s19
	s_cbranch_execz .LBB291_212
.LBB291_211:
	v_and_b32_e32 v9, 0xffff, v10
	s_delay_alu instid0(VALU_DEP_1) | instskip(SKIP_1) | instid1(VALU_DEP_2)
	v_and_b32_e32 v10, 7, v9
	v_bfe_u32 v14, v9, 3, 4
	v_clz_i32_u32_e32 v11, v10
	s_delay_alu instid0(VALU_DEP_2) | instskip(NEXT) | instid1(VALU_DEP_2)
	v_cmp_eq_u32_e32 vcc_lo, 0, v14
	v_min_u32_e32 v11, 32, v11
	s_delay_alu instid0(VALU_DEP_1) | instskip(NEXT) | instid1(VALU_DEP_1)
	v_subrev_nc_u32_e32 v13, 28, v11
	v_dual_lshlrev_b32 v9, v13, v9 :: v_dual_sub_nc_u32 v11, 29, v11
	s_delay_alu instid0(VALU_DEP_1) | instskip(NEXT) | instid1(VALU_DEP_2)
	v_dual_lshlrev_b32 v8, 16, v8 :: v_dual_bitop2_b32 v9, 7, v9 bitop3:0x40
	v_cndmask_b32_e32 v11, v14, v11, vcc_lo
	s_delay_alu instid0(VALU_DEP_2) | instskip(NEXT) | instid1(VALU_DEP_3)
	v_cndmask_b32_e32 v9, v10, v9, vcc_lo
	v_and_b32_e32 v8, 0x80000000, v8
	s_delay_alu instid0(VALU_DEP_3) | instskip(NEXT) | instid1(VALU_DEP_3)
	v_lshl_add_u32 v10, v11, 23, 0x3b800000
	v_lshlrev_b32_e32 v9, 20, v9
	s_delay_alu instid0(VALU_DEP_1)
	v_or3_b32 v9, v8, v10, v9
.LBB291_212:
	s_or_b32 exec_lo, exec_lo, s20
	s_delay_alu instid0(VALU_DEP_1)
	v_cmp_eq_f32_e64 s19, v12, v9
	v_cmp_ne_u32_e32 vcc_lo, 1, v3
	v_and_b32_e32 v8, 0xff, v7
	s_cbranch_vccz .LBB291_194
.LBB291_213:
                                        ; implicit-def: $sgpr20
	s_cbranch_execz .LBB291_223
; %bb.214:
	s_mov_b32 s20, 0
	s_mov_b32 s21, exec_lo
	v_cmpx_lt_i16_e32 0x7f, v8
	s_xor_b32 s21, exec_lo, s21
	s_cbranch_execnz .LBB291_533
; %bb.215:
	s_or_saveexec_b32 s21, s21
	v_mov_b32_e32 v9, 0x7f800001
	s_xor_b32 exec_lo, exec_lo, s21
	s_cbranch_execnz .LBB291_536
.LBB291_216:
	s_or_b32 exec_lo, exec_lo, s21
	s_and_saveexec_b32 s21, s20
	s_cbranch_execz .LBB291_218
.LBB291_217:
	v_and_b32_e32 v8, 0xffff, v8
	s_delay_alu instid0(VALU_DEP_1) | instskip(SKIP_1) | instid1(VALU_DEP_2)
	v_and_b32_e32 v9, 7, v8
	v_bfe_u32 v12, v8, 3, 4
	v_clz_i32_u32_e32 v10, v9
	s_delay_alu instid0(VALU_DEP_2) | instskip(NEXT) | instid1(VALU_DEP_2)
	v_cmp_eq_u32_e32 vcc_lo, 0, v12
	v_min_u32_e32 v10, 32, v10
	s_delay_alu instid0(VALU_DEP_1) | instskip(NEXT) | instid1(VALU_DEP_1)
	v_subrev_nc_u32_e32 v11, 28, v10
	v_dual_lshlrev_b32 v8, v11, v8 :: v_dual_sub_nc_u32 v10, 29, v10
	s_delay_alu instid0(VALU_DEP_1) | instskip(NEXT) | instid1(VALU_DEP_1)
	v_dual_lshlrev_b32 v11, 24, v7 :: v_dual_bitop2_b32 v8, 7, v8 bitop3:0x40
	v_dual_cndmask_b32 v10, v12, v10, vcc_lo :: v_dual_cndmask_b32 v8, v9, v8, vcc_lo
	s_delay_alu instid0(VALU_DEP_2) | instskip(NEXT) | instid1(VALU_DEP_2)
	v_and_b32_e32 v9, 0x80000000, v11
	v_lshl_add_u32 v10, v10, 23, 0x3b800000
	s_delay_alu instid0(VALU_DEP_3) | instskip(NEXT) | instid1(VALU_DEP_1)
	v_lshlrev_b32_e32 v8, 20, v8
	v_or3_b32 v9, v9, v10, v8
.LBB291_218:
	s_or_b32 exec_lo, exec_lo, s21
	s_wait_loadcnt 0x2
	v_and_b32_e32 v8, 0xff, v6
	s_mov_b32 s20, 0
	s_mov_b32 s21, exec_lo
	s_delay_alu instid0(VALU_DEP_1)
	v_cmpx_lt_i16_e32 0x7f, v8
	s_xor_b32 s21, exec_lo, s21
	s_cbranch_execnz .LBB291_537
; %bb.219:
	s_or_saveexec_b32 s21, s21
	v_mov_b32_e32 v10, 0x7f800001
	s_xor_b32 exec_lo, exec_lo, s21
	s_cbranch_execnz .LBB291_540
.LBB291_220:
	s_or_b32 exec_lo, exec_lo, s21
	s_and_saveexec_b32 s21, s20
	s_cbranch_execz .LBB291_222
.LBB291_221:
	v_and_b32_e32 v8, 0xffff, v8
	s_delay_alu instid0(VALU_DEP_1) | instskip(SKIP_1) | instid1(VALU_DEP_2)
	v_and_b32_e32 v10, 7, v8
	v_bfe_u32 v13, v8, 3, 4
	v_clz_i32_u32_e32 v11, v10
	s_delay_alu instid0(VALU_DEP_2) | instskip(NEXT) | instid1(VALU_DEP_2)
	v_cmp_eq_u32_e32 vcc_lo, 0, v13
	v_min_u32_e32 v11, 32, v11
	s_delay_alu instid0(VALU_DEP_1) | instskip(NEXT) | instid1(VALU_DEP_1)
	v_subrev_nc_u32_e32 v12, 28, v11
	v_dual_lshlrev_b32 v8, v12, v8 :: v_dual_sub_nc_u32 v11, 29, v11
	s_delay_alu instid0(VALU_DEP_1) | instskip(NEXT) | instid1(VALU_DEP_1)
	v_dual_lshlrev_b32 v12, 24, v6 :: v_dual_bitop2_b32 v8, 7, v8 bitop3:0x40
	v_dual_cndmask_b32 v11, v13, v11 :: v_dual_cndmask_b32 v8, v10, v8
	s_delay_alu instid0(VALU_DEP_2) | instskip(NEXT) | instid1(VALU_DEP_2)
	v_and_b32_e32 v10, 0x80000000, v12
	v_lshl_add_u32 v11, v11, 23, 0x3b800000
	s_delay_alu instid0(VALU_DEP_3) | instskip(NEXT) | instid1(VALU_DEP_1)
	v_lshlrev_b32_e32 v8, 20, v8
	v_or3_b32 v10, v10, v11, v8
.LBB291_222:
	s_or_b32 exec_lo, exec_lo, s21
	s_delay_alu instid0(VALU_DEP_1)
	v_cmp_eq_f32_e64 s20, v9, v10
.LBB291_223:
	v_cmp_ne_u32_e32 vcc_lo, 1, v3
	v_lshrrev_b16 v9, 8, v7
	s_wait_loadcnt 0x2
	v_lshrrev_b16 v8, 8, v6
	s_cbranch_vccnz .LBB291_243
; %bb.224:
	s_mov_b32 s21, 0
	s_mov_b32 s22, exec_lo
	v_cmpx_lt_i16_e32 0x7f, v9
	s_xor_b32 s22, exec_lo, s22
	s_cbranch_execnz .LBB291_413
; %bb.225:
	s_or_saveexec_b32 s22, s22
	v_mov_b32_e32 v10, 0x7f800001
	s_xor_b32 exec_lo, exec_lo, s22
	s_cbranch_execnz .LBB291_416
.LBB291_226:
	s_or_b32 exec_lo, exec_lo, s22
	s_and_saveexec_b32 s22, s21
	s_cbranch_execz .LBB291_228
.LBB291_227:
	v_and_b32_e32 v10, 0xffff, v9
	s_delay_alu instid0(VALU_DEP_1) | instskip(SKIP_1) | instid1(VALU_DEP_2)
	v_and_b32_e32 v11, 7, v10
	v_bfe_u32 v14, v10, 3, 4
	v_clz_i32_u32_e32 v12, v11
	s_delay_alu instid0(VALU_DEP_2) | instskip(NEXT) | instid1(VALU_DEP_2)
	v_cmp_eq_u32_e32 vcc_lo, 0, v14
	v_min_u32_e32 v12, 32, v12
	s_delay_alu instid0(VALU_DEP_1) | instskip(NEXT) | instid1(VALU_DEP_1)
	v_subrev_nc_u32_e32 v13, 28, v12
	v_dual_lshlrev_b32 v10, v13, v10 :: v_dual_sub_nc_u32 v12, 29, v12
	s_delay_alu instid0(VALU_DEP_1) | instskip(NEXT) | instid1(VALU_DEP_1)
	v_dual_lshlrev_b32 v13, 16, v7 :: v_dual_bitop2_b32 v10, 7, v10 bitop3:0x40
	v_dual_cndmask_b32 v12, v14, v12, vcc_lo :: v_dual_cndmask_b32 v10, v11, v10, vcc_lo
	s_delay_alu instid0(VALU_DEP_2) | instskip(NEXT) | instid1(VALU_DEP_2)
	v_and_b32_e32 v11, 0x80000000, v13
	v_lshl_add_u32 v12, v12, 23, 0x3b800000
	s_delay_alu instid0(VALU_DEP_3) | instskip(NEXT) | instid1(VALU_DEP_1)
	v_lshlrev_b32_e32 v10, 20, v10
	v_or3_b32 v10, v11, v12, v10
.LBB291_228:
	s_or_b32 exec_lo, exec_lo, s22
	s_mov_b32 s21, 0
	s_mov_b32 s22, exec_lo
	v_cmpx_lt_i16_e32 0x7f, v8
	s_xor_b32 s22, exec_lo, s22
	s_cbranch_execnz .LBB291_417
; %bb.229:
	s_or_saveexec_b32 s22, s22
	v_mov_b32_e32 v11, 0x7f800001
	s_xor_b32 exec_lo, exec_lo, s22
	s_cbranch_execnz .LBB291_420
.LBB291_230:
	s_or_b32 exec_lo, exec_lo, s22
	s_and_saveexec_b32 s22, s21
	s_cbranch_execz .LBB291_232
.LBB291_231:
	v_and_b32_e32 v11, 0xffff, v8
	s_delay_alu instid0(VALU_DEP_1) | instskip(SKIP_1) | instid1(VALU_DEP_2)
	v_and_b32_e32 v12, 7, v11
	v_bfe_u32 v15, v11, 3, 4
	v_clz_i32_u32_e32 v13, v12
	s_delay_alu instid0(VALU_DEP_2) | instskip(NEXT) | instid1(VALU_DEP_2)
	v_cmp_eq_u32_e32 vcc_lo, 0, v15
	v_min_u32_e32 v13, 32, v13
	s_delay_alu instid0(VALU_DEP_1) | instskip(NEXT) | instid1(VALU_DEP_1)
	v_subrev_nc_u32_e32 v14, 28, v13
	v_dual_lshlrev_b32 v11, v14, v11 :: v_dual_sub_nc_u32 v13, 29, v13
	s_delay_alu instid0(VALU_DEP_1) | instskip(NEXT) | instid1(VALU_DEP_1)
	v_dual_lshlrev_b32 v14, 16, v6 :: v_dual_bitop2_b32 v11, 7, v11 bitop3:0x40
	v_dual_cndmask_b32 v13, v15, v13, vcc_lo :: v_dual_cndmask_b32 v11, v12, v11, vcc_lo
	s_delay_alu instid0(VALU_DEP_2) | instskip(NEXT) | instid1(VALU_DEP_2)
	v_and_b32_e32 v12, 0x80000000, v14
	v_lshl_add_u32 v13, v13, 23, 0x3b800000
	s_delay_alu instid0(VALU_DEP_3) | instskip(NEXT) | instid1(VALU_DEP_1)
	v_lshlrev_b32_e32 v11, 20, v11
	v_or3_b32 v11, v12, v13, v11
.LBB291_232:
	s_or_b32 exec_lo, exec_lo, s22
	s_delay_alu instid0(VALU_DEP_1)
	v_cmp_neq_f32_e64 s21, v10, v11
.LBB291_233:
	v_cmp_ne_u32_e32 vcc_lo, 1, v3
	v_and_b32_e32 v6, 0xff, v5
	s_cbranch_vccnz .LBB291_253
.LBB291_234:
	s_mov_b32 s22, 0
	s_mov_b32 s23, exec_lo
	s_delay_alu instid0(VALU_DEP_1)
	v_cmpx_lt_i16_e32 0x7f, v6
	s_xor_b32 s23, exec_lo, s23
	s_cbranch_execnz .LBB291_421
; %bb.235:
	s_or_saveexec_b32 s23, s23
	v_mov_b32_e32 v7, 0x7f800001
	s_xor_b32 exec_lo, exec_lo, s23
	s_cbranch_execnz .LBB291_424
.LBB291_236:
	s_or_b32 exec_lo, exec_lo, s23
	s_and_saveexec_b32 s23, s22
	s_cbranch_execz .LBB291_238
.LBB291_237:
	v_and_b32_e32 v7, 0xffff, v6
	s_delay_alu instid0(VALU_DEP_1) | instskip(SKIP_1) | instid1(VALU_DEP_2)
	v_and_b32_e32 v8, 7, v7
	v_bfe_u32 v11, v7, 3, 4
	v_clz_i32_u32_e32 v9, v8
	s_delay_alu instid0(VALU_DEP_2) | instskip(NEXT) | instid1(VALU_DEP_2)
	v_cmp_eq_u32_e32 vcc_lo, 0, v11
	v_min_u32_e32 v9, 32, v9
	s_delay_alu instid0(VALU_DEP_1) | instskip(NEXT) | instid1(VALU_DEP_1)
	v_subrev_nc_u32_e32 v10, 28, v9
	v_dual_lshlrev_b32 v7, v10, v7 :: v_dual_sub_nc_u32 v9, 29, v9
	s_delay_alu instid0(VALU_DEP_1) | instskip(NEXT) | instid1(VALU_DEP_1)
	v_dual_lshlrev_b32 v10, 24, v5 :: v_dual_bitop2_b32 v7, 7, v7 bitop3:0x40
	v_dual_cndmask_b32 v7, v8, v7, vcc_lo :: v_dual_cndmask_b32 v9, v11, v9, vcc_lo
	s_delay_alu instid0(VALU_DEP_2) | instskip(NEXT) | instid1(VALU_DEP_2)
	v_and_b32_e32 v8, 0x80000000, v10
	v_lshlrev_b32_e32 v7, 20, v7
	s_delay_alu instid0(VALU_DEP_3) | instskip(NEXT) | instid1(VALU_DEP_1)
	v_lshl_add_u32 v9, v9, 23, 0x3b800000
	v_or3_b32 v7, v8, v9, v7
.LBB291_238:
	s_or_b32 exec_lo, exec_lo, s23
	s_wait_loadcnt 0x1
	v_and_b32_e32 v8, 0xff, v4
	s_mov_b32 s22, 0
	s_mov_b32 s23, exec_lo
	s_delay_alu instid0(VALU_DEP_1)
	v_cmpx_lt_i16_e32 0x7f, v8
	s_xor_b32 s23, exec_lo, s23
	s_cbranch_execnz .LBB291_425
; %bb.239:
	s_or_saveexec_b32 s23, s23
	v_mov_b32_e32 v9, 0x7f800001
	s_xor_b32 exec_lo, exec_lo, s23
	s_cbranch_execnz .LBB291_428
.LBB291_240:
	s_or_b32 exec_lo, exec_lo, s23
	s_and_saveexec_b32 s23, s22
	s_cbranch_execz .LBB291_242
.LBB291_241:
	v_and_b32_e32 v8, 0xffff, v8
	s_delay_alu instid0(VALU_DEP_1) | instskip(SKIP_1) | instid1(VALU_DEP_2)
	v_and_b32_e32 v9, 7, v8
	v_bfe_u32 v12, v8, 3, 4
	v_clz_i32_u32_e32 v10, v9
	s_delay_alu instid0(VALU_DEP_2) | instskip(NEXT) | instid1(VALU_DEP_2)
	v_cmp_eq_u32_e32 vcc_lo, 0, v12
	v_min_u32_e32 v10, 32, v10
	s_delay_alu instid0(VALU_DEP_1) | instskip(NEXT) | instid1(VALU_DEP_1)
	v_subrev_nc_u32_e32 v11, 28, v10
	v_dual_lshlrev_b32 v8, v11, v8 :: v_dual_sub_nc_u32 v10, 29, v10
	s_delay_alu instid0(VALU_DEP_1) | instskip(NEXT) | instid1(VALU_DEP_2)
	v_and_b32_e32 v8, 7, v8
	v_dual_cndmask_b32 v10, v12, v10 :: v_dual_lshlrev_b32 v11, 24, v4
	s_delay_alu instid0(VALU_DEP_2) | instskip(NEXT) | instid1(VALU_DEP_2)
	v_cndmask_b32_e32 v8, v9, v8, vcc_lo
	v_and_b32_e32 v9, 0x80000000, v11
	s_delay_alu instid0(VALU_DEP_3) | instskip(NEXT) | instid1(VALU_DEP_3)
	v_lshl_add_u32 v10, v10, 23, 0x3b800000
	v_lshlrev_b32_e32 v8, 20, v8
	s_delay_alu instid0(VALU_DEP_1)
	v_or3_b32 v9, v9, v10, v8
.LBB291_242:
	s_or_b32 exec_lo, exec_lo, s23
	s_delay_alu instid0(VALU_DEP_1)
	v_cmp_neq_f32_e64 s22, v7, v9
	s_branch .LBB291_263
.LBB291_243:
                                        ; implicit-def: $sgpr21
	s_cbranch_execz .LBB291_233
; %bb.244:
	s_mov_b32 s21, 0
	s_mov_b32 s22, exec_lo
	v_cmpx_lt_i16_e32 0x7f, v9
	s_xor_b32 s22, exec_lo, s22
	s_cbranch_execnz .LBB291_541
; %bb.245:
	s_or_saveexec_b32 s22, s22
	v_mov_b32_e32 v10, 0x7f800001
	s_xor_b32 exec_lo, exec_lo, s22
	s_cbranch_execnz .LBB291_544
.LBB291_246:
	s_or_b32 exec_lo, exec_lo, s22
	s_and_saveexec_b32 s22, s21
	s_cbranch_execz .LBB291_248
.LBB291_247:
	v_and_b32_e32 v9, 0xffff, v9
	s_delay_alu instid0(VALU_DEP_1) | instskip(SKIP_1) | instid1(VALU_DEP_2)
	v_and_b32_e32 v10, 7, v9
	v_bfe_u32 v13, v9, 3, 4
	v_clz_i32_u32_e32 v11, v10
	s_delay_alu instid0(VALU_DEP_2) | instskip(NEXT) | instid1(VALU_DEP_2)
	v_cmp_eq_u32_e32 vcc_lo, 0, v13
	v_min_u32_e32 v11, 32, v11
	s_delay_alu instid0(VALU_DEP_1) | instskip(NEXT) | instid1(VALU_DEP_1)
	v_subrev_nc_u32_e32 v12, 28, v11
	v_dual_lshlrev_b32 v9, v12, v9 :: v_dual_sub_nc_u32 v11, 29, v11
	s_delay_alu instid0(VALU_DEP_1) | instskip(NEXT) | instid1(VALU_DEP_1)
	v_dual_lshlrev_b32 v7, 16, v7 :: v_dual_bitop2_b32 v9, 7, v9 bitop3:0x40
	v_dual_cndmask_b32 v9, v10, v9, vcc_lo :: v_dual_cndmask_b32 v11, v13, v11, vcc_lo
	s_delay_alu instid0(VALU_DEP_2) | instskip(NEXT) | instid1(VALU_DEP_2)
	v_and_b32_e32 v7, 0x80000000, v7
	v_lshlrev_b32_e32 v9, 20, v9
	s_delay_alu instid0(VALU_DEP_3) | instskip(NEXT) | instid1(VALU_DEP_1)
	v_lshl_add_u32 v10, v11, 23, 0x3b800000
	v_or3_b32 v10, v7, v10, v9
.LBB291_248:
	s_or_b32 exec_lo, exec_lo, s22
	s_mov_b32 s21, 0
	s_mov_b32 s22, exec_lo
	v_cmpx_lt_i16_e32 0x7f, v8
	s_xor_b32 s22, exec_lo, s22
	s_cbranch_execnz .LBB291_545
; %bb.249:
	s_or_saveexec_b32 s22, s22
	v_mov_b32_e32 v7, 0x7f800001
	s_xor_b32 exec_lo, exec_lo, s22
	s_cbranch_execnz .LBB291_548
.LBB291_250:
	s_or_b32 exec_lo, exec_lo, s22
	s_and_saveexec_b32 s22, s21
	s_cbranch_execz .LBB291_252
.LBB291_251:
	v_and_b32_e32 v7, 0xffff, v8
	s_delay_alu instid0(VALU_DEP_1) | instskip(SKIP_1) | instid1(VALU_DEP_2)
	v_and_b32_e32 v8, 7, v7
	v_bfe_u32 v12, v7, 3, 4
	v_clz_i32_u32_e32 v9, v8
	s_delay_alu instid0(VALU_DEP_2) | instskip(NEXT) | instid1(VALU_DEP_2)
	v_cmp_eq_u32_e32 vcc_lo, 0, v12
	v_min_u32_e32 v9, 32, v9
	s_delay_alu instid0(VALU_DEP_1) | instskip(NEXT) | instid1(VALU_DEP_1)
	v_subrev_nc_u32_e32 v11, 28, v9
	v_dual_lshlrev_b32 v7, v11, v7 :: v_dual_sub_nc_u32 v9, 29, v9
	s_delay_alu instid0(VALU_DEP_1) | instskip(NEXT) | instid1(VALU_DEP_2)
	v_dual_lshlrev_b32 v6, 16, v6 :: v_dual_bitop2_b32 v7, 7, v7 bitop3:0x40
	v_cndmask_b32_e32 v9, v12, v9, vcc_lo
	s_delay_alu instid0(VALU_DEP_2) | instskip(NEXT) | instid1(VALU_DEP_3)
	v_cndmask_b32_e32 v7, v8, v7, vcc_lo
	v_and_b32_e32 v6, 0x80000000, v6
	s_delay_alu instid0(VALU_DEP_3) | instskip(NEXT) | instid1(VALU_DEP_3)
	v_lshl_add_u32 v8, v9, 23, 0x3b800000
	v_lshlrev_b32_e32 v7, 20, v7
	s_delay_alu instid0(VALU_DEP_1)
	v_or3_b32 v7, v6, v8, v7
.LBB291_252:
	s_or_b32 exec_lo, exec_lo, s22
	s_delay_alu instid0(VALU_DEP_1)
	v_cmp_eq_f32_e64 s21, v10, v7
	v_cmp_ne_u32_e32 vcc_lo, 1, v3
	v_and_b32_e32 v6, 0xff, v5
	s_cbranch_vccz .LBB291_234
.LBB291_253:
                                        ; implicit-def: $sgpr22
	s_cbranch_execz .LBB291_263
; %bb.254:
	s_mov_b32 s22, 0
	s_mov_b32 s23, exec_lo
	v_cmpx_lt_i16_e32 0x7f, v6
	s_xor_b32 s23, exec_lo, s23
	s_cbranch_execnz .LBB291_549
; %bb.255:
	s_or_saveexec_b32 s23, s23
	v_mov_b32_e32 v7, 0x7f800001
	s_xor_b32 exec_lo, exec_lo, s23
	s_cbranch_execnz .LBB291_552
.LBB291_256:
	s_or_b32 exec_lo, exec_lo, s23
	s_and_saveexec_b32 s23, s22
	s_cbranch_execz .LBB291_258
.LBB291_257:
	v_and_b32_e32 v6, 0xffff, v6
	s_delay_alu instid0(VALU_DEP_1) | instskip(SKIP_1) | instid1(VALU_DEP_2)
	v_and_b32_e32 v7, 7, v6
	v_bfe_u32 v10, v6, 3, 4
	v_clz_i32_u32_e32 v8, v7
	s_delay_alu instid0(VALU_DEP_2) | instskip(NEXT) | instid1(VALU_DEP_2)
	v_cmp_eq_u32_e32 vcc_lo, 0, v10
	v_min_u32_e32 v8, 32, v8
	s_delay_alu instid0(VALU_DEP_1) | instskip(NEXT) | instid1(VALU_DEP_1)
	v_subrev_nc_u32_e32 v9, 28, v8
	v_dual_lshlrev_b32 v6, v9, v6 :: v_dual_sub_nc_u32 v8, 29, v8
	s_delay_alu instid0(VALU_DEP_1) | instskip(NEXT) | instid1(VALU_DEP_1)
	v_dual_lshlrev_b32 v9, 24, v5 :: v_dual_bitop2_b32 v6, 7, v6 bitop3:0x40
	v_dual_cndmask_b32 v8, v10, v8, vcc_lo :: v_dual_cndmask_b32 v6, v7, v6, vcc_lo
	s_delay_alu instid0(VALU_DEP_2) | instskip(NEXT) | instid1(VALU_DEP_2)
	v_and_b32_e32 v7, 0x80000000, v9
	v_lshl_add_u32 v8, v8, 23, 0x3b800000
	s_delay_alu instid0(VALU_DEP_3) | instskip(NEXT) | instid1(VALU_DEP_1)
	v_lshlrev_b32_e32 v6, 20, v6
	v_or3_b32 v7, v7, v8, v6
.LBB291_258:
	s_or_b32 exec_lo, exec_lo, s23
	s_wait_loadcnt 0x1
	v_and_b32_e32 v6, 0xff, v4
	s_mov_b32 s22, 0
	s_mov_b32 s23, exec_lo
	s_delay_alu instid0(VALU_DEP_1)
	v_cmpx_lt_i16_e32 0x7f, v6
	s_xor_b32 s23, exec_lo, s23
	s_cbranch_execnz .LBB291_553
; %bb.259:
	s_or_saveexec_b32 s23, s23
	v_mov_b32_e32 v8, 0x7f800001
	s_xor_b32 exec_lo, exec_lo, s23
	s_cbranch_execnz .LBB291_556
.LBB291_260:
	s_or_b32 exec_lo, exec_lo, s23
	s_and_saveexec_b32 s23, s22
	s_cbranch_execz .LBB291_262
.LBB291_261:
	v_and_b32_e32 v6, 0xffff, v6
	s_delay_alu instid0(VALU_DEP_1) | instskip(SKIP_1) | instid1(VALU_DEP_2)
	v_and_b32_e32 v8, 7, v6
	v_bfe_u32 v11, v6, 3, 4
	v_clz_i32_u32_e32 v9, v8
	s_delay_alu instid0(VALU_DEP_2) | instskip(NEXT) | instid1(VALU_DEP_2)
	v_cmp_eq_u32_e32 vcc_lo, 0, v11
	v_min_u32_e32 v9, 32, v9
	s_delay_alu instid0(VALU_DEP_1) | instskip(NEXT) | instid1(VALU_DEP_1)
	v_subrev_nc_u32_e32 v10, 28, v9
	v_dual_lshlrev_b32 v6, v10, v6 :: v_dual_sub_nc_u32 v9, 29, v9
	s_delay_alu instid0(VALU_DEP_1) | instskip(NEXT) | instid1(VALU_DEP_1)
	v_dual_lshlrev_b32 v10, 24, v4 :: v_dual_bitop2_b32 v6, 7, v6 bitop3:0x40
	v_dual_cndmask_b32 v9, v11, v9 :: v_dual_cndmask_b32 v6, v8, v6
	s_delay_alu instid0(VALU_DEP_2) | instskip(NEXT) | instid1(VALU_DEP_2)
	v_and_b32_e32 v8, 0x80000000, v10
	v_lshl_add_u32 v9, v9, 23, 0x3b800000
	s_delay_alu instid0(VALU_DEP_3) | instskip(NEXT) | instid1(VALU_DEP_1)
	v_lshlrev_b32_e32 v6, 20, v6
	v_or3_b32 v8, v8, v9, v6
.LBB291_262:
	s_or_b32 exec_lo, exec_lo, s23
	s_delay_alu instid0(VALU_DEP_1)
	v_cmp_eq_f32_e64 s22, v7, v8
.LBB291_263:
	v_cmp_ne_u32_e32 vcc_lo, 1, v3
	v_lshrrev_b16 v7, 8, v5
	s_wait_loadcnt 0x1
	v_lshrrev_b16 v6, 8, v4
	s_cbranch_vccnz .LBB291_283
; %bb.264:
	s_mov_b32 s23, 0
	s_mov_b32 s24, exec_lo
	v_cmpx_lt_i16_e32 0x7f, v7
	s_xor_b32 s24, exec_lo, s24
	s_cbranch_execnz .LBB291_429
; %bb.265:
	s_or_saveexec_b32 s24, s24
	v_mov_b32_e32 v8, 0x7f800001
	s_xor_b32 exec_lo, exec_lo, s24
	s_cbranch_execnz .LBB291_432
.LBB291_266:
	s_or_b32 exec_lo, exec_lo, s24
	s_and_saveexec_b32 s24, s23
	s_cbranch_execz .LBB291_268
.LBB291_267:
	v_and_b32_e32 v8, 0xffff, v7
	s_delay_alu instid0(VALU_DEP_1) | instskip(SKIP_1) | instid1(VALU_DEP_2)
	v_and_b32_e32 v9, 7, v8
	v_bfe_u32 v12, v8, 3, 4
	v_clz_i32_u32_e32 v10, v9
	s_delay_alu instid0(VALU_DEP_2) | instskip(NEXT) | instid1(VALU_DEP_2)
	v_cmp_eq_u32_e32 vcc_lo, 0, v12
	v_min_u32_e32 v10, 32, v10
	s_delay_alu instid0(VALU_DEP_1) | instskip(NEXT) | instid1(VALU_DEP_1)
	v_subrev_nc_u32_e32 v11, 28, v10
	v_dual_lshlrev_b32 v8, v11, v8 :: v_dual_sub_nc_u32 v10, 29, v10
	s_delay_alu instid0(VALU_DEP_1) | instskip(NEXT) | instid1(VALU_DEP_1)
	v_dual_lshlrev_b32 v11, 16, v5 :: v_dual_bitop2_b32 v8, 7, v8 bitop3:0x40
	v_dual_cndmask_b32 v10, v12, v10, vcc_lo :: v_dual_cndmask_b32 v8, v9, v8, vcc_lo
	s_delay_alu instid0(VALU_DEP_2) | instskip(NEXT) | instid1(VALU_DEP_2)
	v_and_b32_e32 v9, 0x80000000, v11
	v_lshl_add_u32 v10, v10, 23, 0x3b800000
	s_delay_alu instid0(VALU_DEP_3) | instskip(NEXT) | instid1(VALU_DEP_1)
	v_lshlrev_b32_e32 v8, 20, v8
	v_or3_b32 v8, v9, v10, v8
.LBB291_268:
	s_or_b32 exec_lo, exec_lo, s24
	s_mov_b32 s23, 0
	s_mov_b32 s24, exec_lo
	v_cmpx_lt_i16_e32 0x7f, v6
	s_xor_b32 s24, exec_lo, s24
	s_cbranch_execnz .LBB291_433
; %bb.269:
	s_or_saveexec_b32 s24, s24
	v_mov_b32_e32 v9, 0x7f800001
	s_xor_b32 exec_lo, exec_lo, s24
	s_cbranch_execnz .LBB291_436
.LBB291_270:
	s_or_b32 exec_lo, exec_lo, s24
	s_and_saveexec_b32 s24, s23
	s_cbranch_execz .LBB291_272
.LBB291_271:
	v_and_b32_e32 v9, 0xffff, v6
	s_delay_alu instid0(VALU_DEP_1) | instskip(SKIP_1) | instid1(VALU_DEP_2)
	v_and_b32_e32 v10, 7, v9
	v_bfe_u32 v13, v9, 3, 4
	v_clz_i32_u32_e32 v11, v10
	s_delay_alu instid0(VALU_DEP_2) | instskip(NEXT) | instid1(VALU_DEP_2)
	v_cmp_eq_u32_e32 vcc_lo, 0, v13
	v_min_u32_e32 v11, 32, v11
	s_delay_alu instid0(VALU_DEP_1) | instskip(NEXT) | instid1(VALU_DEP_1)
	v_subrev_nc_u32_e32 v12, 28, v11
	v_dual_lshlrev_b32 v9, v12, v9 :: v_dual_sub_nc_u32 v11, 29, v11
	s_delay_alu instid0(VALU_DEP_1) | instskip(NEXT) | instid1(VALU_DEP_1)
	v_dual_lshlrev_b32 v12, 16, v4 :: v_dual_bitop2_b32 v9, 7, v9 bitop3:0x40
	v_dual_cndmask_b32 v11, v13, v11, vcc_lo :: v_dual_cndmask_b32 v9, v10, v9, vcc_lo
	s_delay_alu instid0(VALU_DEP_2) | instskip(NEXT) | instid1(VALU_DEP_2)
	v_and_b32_e32 v10, 0x80000000, v12
	v_lshl_add_u32 v11, v11, 23, 0x3b800000
	s_delay_alu instid0(VALU_DEP_3) | instskip(NEXT) | instid1(VALU_DEP_1)
	v_lshlrev_b32_e32 v9, 20, v9
	v_or3_b32 v9, v10, v11, v9
.LBB291_272:
	s_or_b32 exec_lo, exec_lo, s24
	s_delay_alu instid0(VALU_DEP_1)
	v_cmp_neq_f32_e64 s23, v8, v9
.LBB291_273:
	v_cmp_ne_u32_e32 vcc_lo, 1, v3
	v_and_b32_e32 v4, 0xff, v2
	s_cbranch_vccnz .LBB291_293
.LBB291_274:
	s_mov_b32 s24, 0
	s_mov_b32 s25, exec_lo
	s_delay_alu instid0(VALU_DEP_1)
	v_cmpx_lt_i16_e32 0x7f, v4
	s_xor_b32 s25, exec_lo, s25
	s_cbranch_execnz .LBB291_437
; %bb.275:
	s_or_saveexec_b32 s25, s25
	v_mov_b32_e32 v5, 0x7f800001
	s_xor_b32 exec_lo, exec_lo, s25
	s_cbranch_execnz .LBB291_440
.LBB291_276:
	s_or_b32 exec_lo, exec_lo, s25
	s_and_saveexec_b32 s25, s24
	s_cbranch_execz .LBB291_278
.LBB291_277:
	v_and_b32_e32 v5, 0xffff, v4
	s_delay_alu instid0(VALU_DEP_1) | instskip(SKIP_1) | instid1(VALU_DEP_2)
	v_and_b32_e32 v6, 7, v5
	v_bfe_u32 v9, v5, 3, 4
	v_clz_i32_u32_e32 v7, v6
	s_delay_alu instid0(VALU_DEP_2) | instskip(NEXT) | instid1(VALU_DEP_2)
	v_cmp_eq_u32_e32 vcc_lo, 0, v9
	v_min_u32_e32 v7, 32, v7
	s_delay_alu instid0(VALU_DEP_1) | instskip(NEXT) | instid1(VALU_DEP_1)
	v_subrev_nc_u32_e32 v8, 28, v7
	v_dual_lshlrev_b32 v5, v8, v5 :: v_dual_sub_nc_u32 v7, 29, v7
	s_delay_alu instid0(VALU_DEP_1) | instskip(NEXT) | instid1(VALU_DEP_1)
	v_dual_lshlrev_b32 v8, 24, v2 :: v_dual_bitop2_b32 v5, 7, v5 bitop3:0x40
	v_dual_cndmask_b32 v7, v9, v7, vcc_lo :: v_dual_cndmask_b32 v5, v6, v5, vcc_lo
	s_delay_alu instid0(VALU_DEP_2) | instskip(NEXT) | instid1(VALU_DEP_2)
	v_and_b32_e32 v6, 0x80000000, v8
	v_lshl_add_u32 v7, v7, 23, 0x3b800000
	s_delay_alu instid0(VALU_DEP_3) | instskip(NEXT) | instid1(VALU_DEP_1)
	v_lshlrev_b32_e32 v5, 20, v5
	v_or3_b32 v5, v6, v7, v5
.LBB291_278:
	s_or_b32 exec_lo, exec_lo, s25
	s_wait_loadcnt 0x0
	v_and_b32_e32 v6, 0xff, v1
	s_mov_b32 s24, 0
	s_mov_b32 s25, exec_lo
	s_delay_alu instid0(VALU_DEP_1)
	v_cmpx_lt_i16_e32 0x7f, v6
	s_xor_b32 s25, exec_lo, s25
	s_cbranch_execnz .LBB291_441
; %bb.279:
	s_or_saveexec_b32 s25, s25
	v_mov_b32_e32 v7, 0x7f800001
	s_xor_b32 exec_lo, exec_lo, s25
	s_cbranch_execnz .LBB291_444
.LBB291_280:
	s_or_b32 exec_lo, exec_lo, s25
	s_and_saveexec_b32 s25, s24
	s_cbranch_execz .LBB291_282
.LBB291_281:
	v_and_b32_e32 v6, 0xffff, v6
	s_delay_alu instid0(VALU_DEP_1) | instskip(SKIP_1) | instid1(VALU_DEP_2)
	v_and_b32_e32 v7, 7, v6
	v_bfe_u32 v10, v6, 3, 4
	v_clz_i32_u32_e32 v8, v7
	s_delay_alu instid0(VALU_DEP_2) | instskip(NEXT) | instid1(VALU_DEP_2)
	v_cmp_eq_u32_e32 vcc_lo, 0, v10
	v_min_u32_e32 v8, 32, v8
	s_delay_alu instid0(VALU_DEP_1) | instskip(NEXT) | instid1(VALU_DEP_1)
	v_subrev_nc_u32_e32 v9, 28, v8
	v_dual_lshlrev_b32 v6, v9, v6 :: v_dual_sub_nc_u32 v8, 29, v8
	s_delay_alu instid0(VALU_DEP_1) | instskip(NEXT) | instid1(VALU_DEP_1)
	v_dual_lshlrev_b32 v9, 24, v1 :: v_dual_bitop2_b32 v6, 7, v6 bitop3:0x40
	v_dual_cndmask_b32 v8, v10, v8, vcc_lo :: v_dual_cndmask_b32 v6, v7, v6, vcc_lo
	s_delay_alu instid0(VALU_DEP_2) | instskip(NEXT) | instid1(VALU_DEP_2)
	v_and_b32_e32 v7, 0x80000000, v9
	v_lshl_add_u32 v8, v8, 23, 0x3b800000
	s_delay_alu instid0(VALU_DEP_3) | instskip(NEXT) | instid1(VALU_DEP_1)
	v_lshlrev_b32_e32 v6, 20, v6
	v_or3_b32 v7, v7, v8, v6
.LBB291_282:
	s_or_b32 exec_lo, exec_lo, s25
	s_delay_alu instid0(VALU_DEP_1)
	v_cmp_neq_f32_e64 s24, v5, v7
	s_branch .LBB291_303
.LBB291_283:
                                        ; implicit-def: $sgpr23
	s_cbranch_execz .LBB291_273
; %bb.284:
	s_mov_b32 s23, 0
	s_mov_b32 s24, exec_lo
	v_cmpx_lt_i16_e32 0x7f, v7
	s_xor_b32 s24, exec_lo, s24
	s_cbranch_execnz .LBB291_557
; %bb.285:
	s_or_saveexec_b32 s24, s24
	v_mov_b32_e32 v8, 0x7f800001
	s_xor_b32 exec_lo, exec_lo, s24
	s_cbranch_execnz .LBB291_560
.LBB291_286:
	s_or_b32 exec_lo, exec_lo, s24
	s_and_saveexec_b32 s24, s23
	s_cbranch_execz .LBB291_288
.LBB291_287:
	v_and_b32_e32 v7, 0xffff, v7
	s_delay_alu instid0(VALU_DEP_1) | instskip(SKIP_1) | instid1(VALU_DEP_2)
	v_and_b32_e32 v8, 7, v7
	v_bfe_u32 v11, v7, 3, 4
	v_clz_i32_u32_e32 v9, v8
	s_delay_alu instid0(VALU_DEP_2) | instskip(NEXT) | instid1(VALU_DEP_2)
	v_cmp_eq_u32_e32 vcc_lo, 0, v11
	v_min_u32_e32 v9, 32, v9
	s_delay_alu instid0(VALU_DEP_1) | instskip(NEXT) | instid1(VALU_DEP_1)
	v_subrev_nc_u32_e32 v10, 28, v9
	v_dual_lshlrev_b32 v7, v10, v7 :: v_dual_sub_nc_u32 v9, 29, v9
	s_delay_alu instid0(VALU_DEP_1) | instskip(NEXT) | instid1(VALU_DEP_1)
	v_dual_lshlrev_b32 v5, 16, v5 :: v_dual_bitop2_b32 v7, 7, v7 bitop3:0x40
	v_dual_cndmask_b32 v7, v8, v7, vcc_lo :: v_dual_cndmask_b32 v9, v11, v9, vcc_lo
	s_delay_alu instid0(VALU_DEP_2) | instskip(NEXT) | instid1(VALU_DEP_2)
	v_and_b32_e32 v5, 0x80000000, v5
	v_lshlrev_b32_e32 v7, 20, v7
	s_delay_alu instid0(VALU_DEP_3) | instskip(NEXT) | instid1(VALU_DEP_1)
	v_lshl_add_u32 v8, v9, 23, 0x3b800000
	v_or3_b32 v8, v5, v8, v7
.LBB291_288:
	s_or_b32 exec_lo, exec_lo, s24
	s_mov_b32 s23, 0
	s_mov_b32 s24, exec_lo
	v_cmpx_lt_i16_e32 0x7f, v6
	s_xor_b32 s24, exec_lo, s24
	s_cbranch_execnz .LBB291_561
; %bb.289:
	s_or_saveexec_b32 s24, s24
	v_mov_b32_e32 v5, 0x7f800001
	s_xor_b32 exec_lo, exec_lo, s24
	s_cbranch_execnz .LBB291_564
.LBB291_290:
	s_or_b32 exec_lo, exec_lo, s24
	s_and_saveexec_b32 s24, s23
	s_cbranch_execz .LBB291_292
.LBB291_291:
	v_and_b32_e32 v5, 0xffff, v6
	s_delay_alu instid0(VALU_DEP_1) | instskip(SKIP_1) | instid1(VALU_DEP_2)
	v_and_b32_e32 v6, 7, v5
	v_bfe_u32 v10, v5, 3, 4
	v_clz_i32_u32_e32 v7, v6
	s_delay_alu instid0(VALU_DEP_2) | instskip(NEXT) | instid1(VALU_DEP_2)
	v_cmp_eq_u32_e32 vcc_lo, 0, v10
	v_min_u32_e32 v7, 32, v7
	s_delay_alu instid0(VALU_DEP_1) | instskip(NEXT) | instid1(VALU_DEP_1)
	v_subrev_nc_u32_e32 v9, 28, v7
	v_dual_lshlrev_b32 v5, v9, v5 :: v_dual_sub_nc_u32 v7, 29, v7
	s_delay_alu instid0(VALU_DEP_1) | instskip(NEXT) | instid1(VALU_DEP_2)
	v_dual_lshlrev_b32 v4, 16, v4 :: v_dual_bitop2_b32 v5, 7, v5 bitop3:0x40
	v_cndmask_b32_e32 v7, v10, v7, vcc_lo
	s_delay_alu instid0(VALU_DEP_2) | instskip(NEXT) | instid1(VALU_DEP_3)
	v_cndmask_b32_e32 v5, v6, v5, vcc_lo
	v_and_b32_e32 v4, 0x80000000, v4
	s_delay_alu instid0(VALU_DEP_3) | instskip(NEXT) | instid1(VALU_DEP_3)
	v_lshl_add_u32 v6, v7, 23, 0x3b800000
	v_lshlrev_b32_e32 v5, 20, v5
	s_delay_alu instid0(VALU_DEP_1)
	v_or3_b32 v5, v4, v6, v5
.LBB291_292:
	s_or_b32 exec_lo, exec_lo, s24
	s_delay_alu instid0(VALU_DEP_1)
	v_cmp_eq_f32_e64 s23, v8, v5
	v_cmp_ne_u32_e32 vcc_lo, 1, v3
	v_and_b32_e32 v4, 0xff, v2
	s_cbranch_vccz .LBB291_274
.LBB291_293:
                                        ; implicit-def: $sgpr24
	s_cbranch_execz .LBB291_303
; %bb.294:
	s_mov_b32 s24, 0
	s_mov_b32 s25, exec_lo
	v_cmpx_lt_i16_e32 0x7f, v4
	s_xor_b32 s25, exec_lo, s25
	s_cbranch_execnz .LBB291_565
; %bb.295:
	s_or_saveexec_b32 s25, s25
	v_mov_b32_e32 v5, 0x7f800001
	s_xor_b32 exec_lo, exec_lo, s25
	s_cbranch_execnz .LBB291_568
.LBB291_296:
	s_or_b32 exec_lo, exec_lo, s25
	s_and_saveexec_b32 s25, s24
	s_cbranch_execz .LBB291_298
.LBB291_297:
	v_and_b32_e32 v4, 0xffff, v4
	s_delay_alu instid0(VALU_DEP_1) | instskip(SKIP_1) | instid1(VALU_DEP_2)
	v_and_b32_e32 v5, 7, v4
	v_bfe_u32 v8, v4, 3, 4
	v_clz_i32_u32_e32 v6, v5
	s_delay_alu instid0(VALU_DEP_2) | instskip(NEXT) | instid1(VALU_DEP_2)
	v_cmp_eq_u32_e32 vcc_lo, 0, v8
	v_min_u32_e32 v6, 32, v6
	s_delay_alu instid0(VALU_DEP_1) | instskip(NEXT) | instid1(VALU_DEP_1)
	v_subrev_nc_u32_e32 v7, 28, v6
	v_dual_lshlrev_b32 v4, v7, v4 :: v_dual_sub_nc_u32 v6, 29, v6
	s_delay_alu instid0(VALU_DEP_1) | instskip(NEXT) | instid1(VALU_DEP_1)
	v_dual_lshlrev_b32 v7, 24, v2 :: v_dual_bitop2_b32 v4, 7, v4 bitop3:0x40
	v_dual_cndmask_b32 v4, v5, v4, vcc_lo :: v_dual_cndmask_b32 v6, v8, v6, vcc_lo
	s_delay_alu instid0(VALU_DEP_2) | instskip(NEXT) | instid1(VALU_DEP_2)
	v_and_b32_e32 v5, 0x80000000, v7
	v_lshlrev_b32_e32 v4, 20, v4
	s_delay_alu instid0(VALU_DEP_3) | instskip(NEXT) | instid1(VALU_DEP_1)
	v_lshl_add_u32 v6, v6, 23, 0x3b800000
	v_or3_b32 v5, v5, v6, v4
.LBB291_298:
	s_or_b32 exec_lo, exec_lo, s25
	s_wait_loadcnt 0x0
	v_and_b32_e32 v4, 0xff, v1
	s_mov_b32 s24, 0
	s_mov_b32 s25, exec_lo
	s_delay_alu instid0(VALU_DEP_1)
	v_cmpx_lt_i16_e32 0x7f, v4
	s_xor_b32 s25, exec_lo, s25
	s_cbranch_execnz .LBB291_569
; %bb.299:
	s_or_saveexec_b32 s25, s25
	v_mov_b32_e32 v6, 0x7f800001
	s_xor_b32 exec_lo, exec_lo, s25
	s_cbranch_execnz .LBB291_572
.LBB291_300:
	s_or_b32 exec_lo, exec_lo, s25
	s_and_saveexec_b32 s25, s24
	s_cbranch_execz .LBB291_302
.LBB291_301:
	v_and_b32_e32 v4, 0xffff, v4
	s_delay_alu instid0(VALU_DEP_1) | instskip(SKIP_1) | instid1(VALU_DEP_2)
	v_and_b32_e32 v6, 7, v4
	v_bfe_u32 v9, v4, 3, 4
	v_clz_i32_u32_e32 v7, v6
	s_delay_alu instid0(VALU_DEP_2) | instskip(NEXT) | instid1(VALU_DEP_2)
	v_cmp_eq_u32_e32 vcc_lo, 0, v9
	v_min_u32_e32 v7, 32, v7
	s_delay_alu instid0(VALU_DEP_1) | instskip(NEXT) | instid1(VALU_DEP_1)
	v_subrev_nc_u32_e32 v8, 28, v7
	v_dual_lshlrev_b32 v4, v8, v4 :: v_dual_sub_nc_u32 v7, 29, v7
	s_delay_alu instid0(VALU_DEP_1) | instskip(NEXT) | instid1(VALU_DEP_1)
	v_dual_lshlrev_b32 v8, 24, v1 :: v_dual_bitop2_b32 v4, 7, v4 bitop3:0x40
	v_dual_cndmask_b32 v7, v9, v7 :: v_dual_cndmask_b32 v4, v6, v4
	s_delay_alu instid0(VALU_DEP_2) | instskip(NEXT) | instid1(VALU_DEP_2)
	v_and_b32_e32 v6, 0x80000000, v8
	v_lshl_add_u32 v7, v7, 23, 0x3b800000
	s_delay_alu instid0(VALU_DEP_3) | instskip(NEXT) | instid1(VALU_DEP_1)
	v_lshlrev_b32_e32 v4, 20, v4
	v_or3_b32 v6, v6, v7, v4
.LBB291_302:
	s_or_b32 exec_lo, exec_lo, s25
	s_delay_alu instid0(VALU_DEP_1)
	v_cmp_eq_f32_e64 s24, v5, v6
.LBB291_303:
	v_cmp_ne_u32_e32 vcc_lo, 1, v3
	v_lshrrev_b16 v4, 8, v2
	s_wait_loadcnt 0x0
	v_lshrrev_b16 v3, 8, v1
	s_cbranch_vccnz .LBB291_313
; %bb.304:
	s_mov_b32 s25, 0
	s_mov_b32 s26, exec_lo
	v_cmpx_lt_i16_e32 0x7f, v4
	s_xor_b32 s26, exec_lo, s26
	s_cbranch_execnz .LBB291_445
; %bb.305:
	s_or_saveexec_b32 s26, s26
	v_mov_b32_e32 v5, 0x7f800001
	s_xor_b32 exec_lo, exec_lo, s26
	s_cbranch_execnz .LBB291_448
.LBB291_306:
	s_or_b32 exec_lo, exec_lo, s26
	s_and_saveexec_b32 s26, s25
	s_cbranch_execz .LBB291_308
.LBB291_307:
	v_and_b32_e32 v5, 0xffff, v4
	s_delay_alu instid0(VALU_DEP_1) | instskip(SKIP_1) | instid1(VALU_DEP_2)
	v_and_b32_e32 v6, 7, v5
	v_bfe_u32 v9, v5, 3, 4
	v_clz_i32_u32_e32 v7, v6
	s_delay_alu instid0(VALU_DEP_2) | instskip(NEXT) | instid1(VALU_DEP_2)
	v_cmp_eq_u32_e32 vcc_lo, 0, v9
	v_min_u32_e32 v7, 32, v7
	s_delay_alu instid0(VALU_DEP_1) | instskip(NEXT) | instid1(VALU_DEP_1)
	v_subrev_nc_u32_e32 v8, 28, v7
	v_dual_lshlrev_b32 v5, v8, v5 :: v_dual_sub_nc_u32 v7, 29, v7
	s_delay_alu instid0(VALU_DEP_1) | instskip(NEXT) | instid1(VALU_DEP_1)
	v_dual_lshlrev_b32 v8, 16, v2 :: v_dual_bitop2_b32 v5, 7, v5 bitop3:0x40
	v_dual_cndmask_b32 v7, v9, v7, vcc_lo :: v_dual_cndmask_b32 v5, v6, v5, vcc_lo
	s_delay_alu instid0(VALU_DEP_2) | instskip(NEXT) | instid1(VALU_DEP_2)
	v_and_b32_e32 v6, 0x80000000, v8
	v_lshl_add_u32 v7, v7, 23, 0x3b800000
	s_delay_alu instid0(VALU_DEP_3) | instskip(NEXT) | instid1(VALU_DEP_1)
	v_lshlrev_b32_e32 v5, 20, v5
	v_or3_b32 v5, v6, v7, v5
.LBB291_308:
	s_or_b32 exec_lo, exec_lo, s26
	s_mov_b32 s25, 0
	s_mov_b32 s26, exec_lo
	v_cmpx_lt_i16_e32 0x7f, v3
	s_xor_b32 s26, exec_lo, s26
	s_cbranch_execnz .LBB291_449
; %bb.309:
	s_or_saveexec_b32 s26, s26
	v_mov_b32_e32 v6, 0x7f800001
	s_xor_b32 exec_lo, exec_lo, s26
	s_cbranch_execnz .LBB291_452
.LBB291_310:
	s_or_b32 exec_lo, exec_lo, s26
	s_and_saveexec_b32 s26, s25
	s_cbranch_execz .LBB291_312
.LBB291_311:
	v_and_b32_e32 v6, 0xffff, v3
	s_delay_alu instid0(VALU_DEP_1) | instskip(SKIP_1) | instid1(VALU_DEP_2)
	v_and_b32_e32 v7, 7, v6
	v_bfe_u32 v10, v6, 3, 4
	v_clz_i32_u32_e32 v8, v7
	s_delay_alu instid0(VALU_DEP_2) | instskip(NEXT) | instid1(VALU_DEP_2)
	v_cmp_eq_u32_e32 vcc_lo, 0, v10
	v_min_u32_e32 v8, 32, v8
	s_delay_alu instid0(VALU_DEP_1) | instskip(NEXT) | instid1(VALU_DEP_1)
	v_subrev_nc_u32_e32 v9, 28, v8
	v_dual_lshlrev_b32 v6, v9, v6 :: v_dual_sub_nc_u32 v8, 29, v8
	s_delay_alu instid0(VALU_DEP_1) | instskip(NEXT) | instid1(VALU_DEP_1)
	v_dual_lshlrev_b32 v9, 16, v1 :: v_dual_bitop2_b32 v6, 7, v6 bitop3:0x40
	v_dual_cndmask_b32 v8, v10, v8, vcc_lo :: v_dual_cndmask_b32 v6, v7, v6, vcc_lo
	s_delay_alu instid0(VALU_DEP_2) | instskip(NEXT) | instid1(VALU_DEP_2)
	v_and_b32_e32 v7, 0x80000000, v9
	v_lshl_add_u32 v8, v8, 23, 0x3b800000
	s_delay_alu instid0(VALU_DEP_3) | instskip(NEXT) | instid1(VALU_DEP_1)
	v_lshlrev_b32_e32 v6, 20, v6
	v_or3_b32 v6, v7, v8, v6
.LBB291_312:
	s_or_b32 exec_lo, exec_lo, s26
	s_delay_alu instid0(VALU_DEP_1)
	v_cmp_neq_f32_e64 s25, v5, v6
	s_branch .LBB291_323
.LBB291_313:
                                        ; implicit-def: $sgpr25
	s_cbranch_execz .LBB291_323
; %bb.314:
	s_mov_b32 s25, 0
	s_mov_b32 s26, exec_lo
	v_cmpx_lt_i16_e32 0x7f, v4
	s_xor_b32 s26, exec_lo, s26
	s_cbranch_execnz .LBB291_573
; %bb.315:
	s_or_saveexec_b32 s26, s26
	v_mov_b32_e32 v5, 0x7f800001
	s_xor_b32 exec_lo, exec_lo, s26
	s_cbranch_execnz .LBB291_576
.LBB291_316:
	s_or_b32 exec_lo, exec_lo, s26
	s_and_saveexec_b32 s26, s25
	s_cbranch_execz .LBB291_318
.LBB291_317:
	v_and_b32_e32 v4, 0xffff, v4
	s_delay_alu instid0(VALU_DEP_1) | instskip(SKIP_1) | instid1(VALU_DEP_2)
	v_and_b32_e32 v5, 7, v4
	v_bfe_u32 v8, v4, 3, 4
	v_clz_i32_u32_e32 v6, v5
	s_delay_alu instid0(VALU_DEP_2) | instskip(NEXT) | instid1(VALU_DEP_2)
	v_cmp_eq_u32_e32 vcc_lo, 0, v8
	v_min_u32_e32 v6, 32, v6
	s_delay_alu instid0(VALU_DEP_1) | instskip(NEXT) | instid1(VALU_DEP_1)
	v_subrev_nc_u32_e32 v7, 28, v6
	v_dual_lshlrev_b32 v4, v7, v4 :: v_dual_sub_nc_u32 v6, 29, v6
	s_delay_alu instid0(VALU_DEP_1) | instskip(NEXT) | instid1(VALU_DEP_1)
	v_dual_lshlrev_b32 v2, 16, v2 :: v_dual_bitop2_b32 v4, 7, v4 bitop3:0x40
	v_dual_cndmask_b32 v4, v5, v4, vcc_lo :: v_dual_cndmask_b32 v6, v8, v6, vcc_lo
	s_delay_alu instid0(VALU_DEP_2) | instskip(NEXT) | instid1(VALU_DEP_2)
	v_and_b32_e32 v2, 0x80000000, v2
	v_lshlrev_b32_e32 v4, 20, v4
	s_delay_alu instid0(VALU_DEP_3) | instskip(NEXT) | instid1(VALU_DEP_1)
	v_lshl_add_u32 v5, v6, 23, 0x3b800000
	v_or3_b32 v5, v2, v5, v4
.LBB291_318:
	s_or_b32 exec_lo, exec_lo, s26
	s_mov_b32 s25, 0
	s_mov_b32 s26, exec_lo
	v_cmpx_lt_i16_e32 0x7f, v3
	s_xor_b32 s26, exec_lo, s26
	s_cbranch_execnz .LBB291_577
; %bb.319:
	s_or_saveexec_b32 s26, s26
	v_mov_b32_e32 v2, 0x7f800001
	s_xor_b32 exec_lo, exec_lo, s26
	s_cbranch_execnz .LBB291_580
.LBB291_320:
	s_or_b32 exec_lo, exec_lo, s26
	s_and_saveexec_b32 s26, s25
	s_cbranch_execz .LBB291_322
.LBB291_321:
	v_and_b32_e32 v2, 0xffff, v3
	s_delay_alu instid0(VALU_DEP_1) | instskip(SKIP_1) | instid1(VALU_DEP_2)
	v_and_b32_e32 v3, 7, v2
	v_bfe_u32 v7, v2, 3, 4
	v_clz_i32_u32_e32 v4, v3
	s_delay_alu instid0(VALU_DEP_2) | instskip(NEXT) | instid1(VALU_DEP_2)
	v_cmp_eq_u32_e32 vcc_lo, 0, v7
	v_min_u32_e32 v4, 32, v4
	s_delay_alu instid0(VALU_DEP_1) | instskip(NEXT) | instid1(VALU_DEP_1)
	v_subrev_nc_u32_e32 v6, 28, v4
	v_dual_lshlrev_b32 v2, v6, v2 :: v_dual_sub_nc_u32 v4, 29, v4
	s_delay_alu instid0(VALU_DEP_1) | instskip(NEXT) | instid1(VALU_DEP_2)
	v_dual_lshlrev_b32 v1, 16, v1 :: v_dual_bitop2_b32 v2, 7, v2 bitop3:0x40
	v_cndmask_b32_e32 v4, v7, v4, vcc_lo
	s_delay_alu instid0(VALU_DEP_2) | instskip(NEXT) | instid1(VALU_DEP_3)
	v_cndmask_b32_e32 v2, v3, v2, vcc_lo
	v_and_b32_e32 v1, 0x80000000, v1
	s_delay_alu instid0(VALU_DEP_3) | instskip(NEXT) | instid1(VALU_DEP_3)
	v_lshl_add_u32 v3, v4, 23, 0x3b800000
	v_lshlrev_b32_e32 v2, 20, v2
	s_delay_alu instid0(VALU_DEP_1)
	v_or3_b32 v2, v1, v3, v2
.LBB291_322:
	s_or_b32 exec_lo, exec_lo, s26
	s_delay_alu instid0(VALU_DEP_1)
	v_cmp_eq_f32_e64 s25, v5, v2
.LBB291_323:
	v_cndmask_b32_e64 v2, 0, 1, s11
	v_cndmask_b32_e64 v1, 0, 1, s13
	;; [unrolled: 1-line block ×5, first 2 shown]
	v_lshlrev_b16 v2, 8, v2
	v_cndmask_b32_e64 v3, 0, 1, s12
	v_lshlrev_b16 v1, 8, v1
	v_cndmask_b32_e64 v6, 0, 1, s16
	v_lshlrev_b16 v4, 8, v4
	v_or_b32_e32 v2, v5, v2
	v_lshlrev_b16 v5, 8, v7
	v_cndmask_b32_e64 v7, 0, 1, s19
	v_or_b32_e32 v1, v3, v1
	v_cndmask_b32_e64 v3, 0, 1, s21
	v_cndmask_b32_e64 v8, 0, 1, s25
	;; [unrolled: 1-line block ×3, first 2 shown]
	v_or_b32_e32 v4, v6, v4
	v_cndmask_b32_e64 v6, 0, 1, s14
	v_lshlrev_b16 v7, 8, v7
	v_cndmask_b32_e64 v11, 0, 1, s18
	v_lshlrev_b16 v3, 8, v3
	;; [unrolled: 2-line block ×4, first 2 shown]
	v_cndmask_b32_e64 v13, 0, 1, s22
	v_or_b32_e32 v5, v6, v5
	s_add_nc_u64 s[10:11], s[4:5], s[0:1]
	v_or_b32_e32 v6, v11, v7
	v_or_b32_e32 v3, v9, v3
	;; [unrolled: 1-line block ×4, first 2 shown]
	s_clause 0x7
	global_store_b16 v0, v2, s[10:11] scale_offset
	global_store_b16 v0, v1, s[10:11] offset:512 scale_offset
	global_store_b16 v0, v5, s[10:11] offset:1024 scale_offset
	;; [unrolled: 1-line block ×7, first 2 shown]
	s_branch .LBB291_2
.LBB291_324:
	s_wait_xcnt 0x0
	v_dual_mov_b32 v31, v0 :: v_dual_mov_b32 v0, s9
	v_dual_mov_b32 v1, s4 :: v_dual_mov_b32 v2, s5
	;; [unrolled: 1-line block ×4, first 2 shown]
	v_mov_b32_e32 v7, s8
	s_get_pc_i64 s[0:1]
	s_add_nc_u64 s[0:1], s[0:1], _ZN2at6native25elementwise_kernel_helperILb0ENS0_13BinaryFunctorIN3c1015Float8_e4m3fnuzES4_bNS0_12_GLOBAL__N_116CompareEqFunctorIS4_EEEENS0_6memory8policies11unroll_baseILi256ESt5arrayIPcLm3EE23TrivialOffsetCalculatorILi2EjESF_ILi1EjENS9_15LoadWithoutCastENS9_16StoreWithoutCastELi16ELi1EEEEEvT0_T1_@rel64+4
	s_delay_alu instid0(SALU_CYCLE_1)
	s_swap_pc_i64 s[30:31], s[0:1]
	s_endpgm
.LBB291_325:
	s_mov_b32 s10, -1
	s_mov_b32 s13, exec_lo
	v_cmpx_eq_u16_e32 0x80, v3
; %bb.326:
	s_xor_b32 s10, exec_lo, -1
; %bb.327:
	s_or_b32 exec_lo, exec_lo, s13
	s_delay_alu instid0(SALU_CYCLE_1)
	s_and_b32 s10, s10, exec_lo
	s_or_saveexec_b32 s12, s12
	v_mov_b32_e32 v18, 0x7f800001
	s_xor_b32 exec_lo, exec_lo, s12
	s_cbranch_execz .LBB291_6
.LBB291_328:
	v_cmp_ne_u16_e32 vcc_lo, 0, v3
	v_mov_b32_e32 v18, 0
	s_and_not1_b32 s10, s10, exec_lo
	s_and_b32 s13, vcc_lo, exec_lo
	s_delay_alu instid0(SALU_CYCLE_1)
	s_or_b32 s10, s10, s13
	s_or_b32 exec_lo, exec_lo, s12
	s_and_saveexec_b32 s12, s10
	s_cbranch_execnz .LBB291_7
	s_branch .LBB291_8
.LBB291_329:
	s_mov_b32 s10, -1
	s_mov_b32 s13, exec_lo
	v_cmpx_eq_u16_e32 0x80, v19
; %bb.330:
	s_xor_b32 s10, exec_lo, -1
; %bb.331:
	s_or_b32 exec_lo, exec_lo, s13
	s_delay_alu instid0(SALU_CYCLE_1)
	s_and_b32 s10, s10, exec_lo
	s_or_saveexec_b32 s12, s12
	v_mov_b32_e32 v20, 0x7f800001
	s_xor_b32 exec_lo, exec_lo, s12
	s_cbranch_execz .LBB291_10
.LBB291_332:
	v_cmp_ne_u16_e32 vcc_lo, 0, v19
	v_mov_b32_e32 v20, 0
	s_and_not1_b32 s10, s10, exec_lo
	s_and_b32 s13, vcc_lo, exec_lo
	s_delay_alu instid0(SALU_CYCLE_1)
	s_or_b32 s10, s10, s13
	s_or_b32 exec_lo, exec_lo, s12
	s_and_saveexec_b32 s12, s10
	s_cbranch_execnz .LBB291_11
	s_branch .LBB291_12
.LBB291_333:
	s_mov_b32 s11, -1
	s_mov_b32 s13, exec_lo
	v_cmpx_eq_u16_e32 0x80, v19
; %bb.334:
	s_xor_b32 s11, exec_lo, -1
; %bb.335:
	s_or_b32 exec_lo, exec_lo, s13
	s_delay_alu instid0(SALU_CYCLE_1)
	s_and_b32 s11, s11, exec_lo
	s_or_saveexec_b32 s12, s12
	v_mov_b32_e32 v20, 0x7f800001
	s_xor_b32 exec_lo, exec_lo, s12
	s_cbranch_execz .LBB291_26
.LBB291_336:
	v_cmp_ne_u16_e32 vcc_lo, 0, v19
	v_mov_b32_e32 v20, 0
	s_and_not1_b32 s11, s11, exec_lo
	s_and_b32 s13, vcc_lo, exec_lo
	s_delay_alu instid0(SALU_CYCLE_1)
	s_or_b32 s11, s11, s13
	s_or_b32 exec_lo, exec_lo, s12
	s_and_saveexec_b32 s12, s11
	s_cbranch_execnz .LBB291_27
	s_branch .LBB291_28
.LBB291_337:
	s_mov_b32 s11, -1
	s_mov_b32 s13, exec_lo
	v_cmpx_eq_u16_e32 0x80, v18
; %bb.338:
	s_xor_b32 s11, exec_lo, -1
; %bb.339:
	s_or_b32 exec_lo, exec_lo, s13
	s_delay_alu instid0(SALU_CYCLE_1)
	s_and_b32 s11, s11, exec_lo
	s_or_saveexec_b32 s12, s12
	v_mov_b32_e32 v21, 0x7f800001
	s_xor_b32 exec_lo, exec_lo, s12
	s_cbranch_execz .LBB291_30
.LBB291_340:
	v_cmp_ne_u16_e32 vcc_lo, 0, v18
	v_mov_b32_e32 v21, 0
	s_and_not1_b32 s11, s11, exec_lo
	s_and_b32 s13, vcc_lo, exec_lo
	s_delay_alu instid0(SALU_CYCLE_1)
	s_or_b32 s11, s11, s13
	s_or_b32 exec_lo, exec_lo, s12
	s_and_saveexec_b32 s12, s11
	s_cbranch_execnz .LBB291_31
	s_branch .LBB291_32
.LBB291_341:
	s_mov_b32 s12, -1
	s_mov_b32 s14, exec_lo
	v_cmpx_eq_u16_e32 0x80, v16
; %bb.342:
	s_xor_b32 s12, exec_lo, -1
; %bb.343:
	s_or_b32 exec_lo, exec_lo, s14
	s_delay_alu instid0(SALU_CYCLE_1)
	s_and_b32 s12, s12, exec_lo
	s_or_saveexec_b32 s13, s13
	v_mov_b32_e32 v17, 0x7f800001
	s_xor_b32 exec_lo, exec_lo, s13
	s_cbranch_execz .LBB291_36
.LBB291_344:
	v_cmp_ne_u16_e32 vcc_lo, 0, v16
	v_mov_b32_e32 v17, 0
	s_and_not1_b32 s12, s12, exec_lo
	s_and_b32 s14, vcc_lo, exec_lo
	s_delay_alu instid0(SALU_CYCLE_1)
	s_or_b32 s12, s12, s14
	s_or_b32 exec_lo, exec_lo, s13
	s_and_saveexec_b32 s13, s12
	s_cbranch_execnz .LBB291_37
	s_branch .LBB291_38
.LBB291_345:
	s_mov_b32 s12, -1
	s_mov_b32 s14, exec_lo
	v_cmpx_eq_u16_e32 0x80, v18
; %bb.346:
	s_xor_b32 s12, exec_lo, -1
; %bb.347:
	s_or_b32 exec_lo, exec_lo, s14
	s_delay_alu instid0(SALU_CYCLE_1)
	s_and_b32 s12, s12, exec_lo
	s_or_saveexec_b32 s13, s13
	v_mov_b32_e32 v19, 0x7f800001
	s_xor_b32 exec_lo, exec_lo, s13
	s_cbranch_execz .LBB291_40
.LBB291_348:
	v_cmp_ne_u16_e32 vcc_lo, 0, v18
	v_mov_b32_e32 v19, 0
	s_and_not1_b32 s12, s12, exec_lo
	s_and_b32 s14, vcc_lo, exec_lo
	s_delay_alu instid0(SALU_CYCLE_1)
	s_or_b32 s12, s12, s14
	s_or_b32 exec_lo, exec_lo, s13
	s_and_saveexec_b32 s13, s12
	s_cbranch_execnz .LBB291_41
	s_branch .LBB291_42
.LBB291_349:
	s_mov_b32 s13, -1
	s_mov_b32 s15, exec_lo
	v_cmpx_eq_u16_e32 0x80, v17
; %bb.350:
	s_xor_b32 s13, exec_lo, -1
; %bb.351:
	s_or_b32 exec_lo, exec_lo, s15
	s_delay_alu instid0(SALU_CYCLE_1)
	s_and_b32 s13, s13, exec_lo
	s_or_saveexec_b32 s14, s14
	v_mov_b32_e32 v18, 0x7f800001
	s_xor_b32 exec_lo, exec_lo, s14
	s_cbranch_execz .LBB291_66
.LBB291_352:
	v_cmp_ne_u16_e32 vcc_lo, 0, v17
	v_mov_b32_e32 v18, 0
	s_and_not1_b32 s13, s13, exec_lo
	s_and_b32 s15, vcc_lo, exec_lo
	s_delay_alu instid0(SALU_CYCLE_1)
	s_or_b32 s13, s13, s15
	s_or_b32 exec_lo, exec_lo, s14
	s_and_saveexec_b32 s14, s13
	s_cbranch_execnz .LBB291_67
	s_branch .LBB291_68
.LBB291_353:
	s_mov_b32 s13, -1
	s_mov_b32 s15, exec_lo
	v_cmpx_eq_u16_e32 0x80, v16
; %bb.354:
	s_xor_b32 s13, exec_lo, -1
; %bb.355:
	s_or_b32 exec_lo, exec_lo, s15
	s_delay_alu instid0(SALU_CYCLE_1)
	s_and_b32 s13, s13, exec_lo
	s_or_saveexec_b32 s14, s14
	v_mov_b32_e32 v19, 0x7f800001
	s_xor_b32 exec_lo, exec_lo, s14
	s_cbranch_execz .LBB291_70
.LBB291_356:
	v_cmp_ne_u16_e32 vcc_lo, 0, v16
	v_mov_b32_e32 v19, 0
	s_and_not1_b32 s13, s13, exec_lo
	s_and_b32 s15, vcc_lo, exec_lo
	s_delay_alu instid0(SALU_CYCLE_1)
	s_or_b32 s13, s13, s15
	s_or_b32 exec_lo, exec_lo, s14
	s_and_saveexec_b32 s14, s13
	s_cbranch_execnz .LBB291_71
	s_branch .LBB291_72
.LBB291_357:
	s_mov_b32 s14, -1
	s_mov_b32 s16, exec_lo
	v_cmpx_eq_u16_e32 0x80, v14
; %bb.358:
	s_xor_b32 s14, exec_lo, -1
; %bb.359:
	s_or_b32 exec_lo, exec_lo, s16
	s_delay_alu instid0(SALU_CYCLE_1)
	s_and_b32 s14, s14, exec_lo
	s_or_saveexec_b32 s15, s15
	v_mov_b32_e32 v15, 0x7f800001
	s_xor_b32 exec_lo, exec_lo, s15
	s_cbranch_execz .LBB291_76
.LBB291_360:
	v_cmp_ne_u16_e32 vcc_lo, 0, v14
	v_mov_b32_e32 v15, 0
	s_and_not1_b32 s14, s14, exec_lo
	s_and_b32 s16, vcc_lo, exec_lo
	s_delay_alu instid0(SALU_CYCLE_1)
	s_or_b32 s14, s14, s16
	s_or_b32 exec_lo, exec_lo, s15
	s_and_saveexec_b32 s15, s14
	s_cbranch_execnz .LBB291_77
	s_branch .LBB291_78
.LBB291_361:
	s_mov_b32 s14, -1
	s_mov_b32 s16, exec_lo
	v_cmpx_eq_u16_e32 0x80, v16
; %bb.362:
	s_xor_b32 s14, exec_lo, -1
; %bb.363:
	s_or_b32 exec_lo, exec_lo, s16
	s_delay_alu instid0(SALU_CYCLE_1)
	s_and_b32 s14, s14, exec_lo
	s_or_saveexec_b32 s15, s15
	v_mov_b32_e32 v17, 0x7f800001
	s_xor_b32 exec_lo, exec_lo, s15
	s_cbranch_execz .LBB291_80
.LBB291_364:
	v_cmp_ne_u16_e32 vcc_lo, 0, v16
	v_mov_b32_e32 v17, 0
	s_and_not1_b32 s14, s14, exec_lo
	s_and_b32 s16, vcc_lo, exec_lo
	s_delay_alu instid0(SALU_CYCLE_1)
	s_or_b32 s14, s14, s16
	s_or_b32 exec_lo, exec_lo, s15
	s_and_saveexec_b32 s15, s14
	s_cbranch_execnz .LBB291_81
	s_branch .LBB291_82
.LBB291_365:
	s_mov_b32 s15, -1
	s_mov_b32 s17, exec_lo
	v_cmpx_eq_u16_e32 0x80, v15
; %bb.366:
	s_xor_b32 s15, exec_lo, -1
; %bb.367:
	s_or_b32 exec_lo, exec_lo, s17
	s_delay_alu instid0(SALU_CYCLE_1)
	s_and_b32 s15, s15, exec_lo
	s_or_saveexec_b32 s16, s16
	v_mov_b32_e32 v16, 0x7f800001
	s_xor_b32 exec_lo, exec_lo, s16
	s_cbranch_execz .LBB291_106
.LBB291_368:
	v_cmp_ne_u16_e32 vcc_lo, 0, v15
	v_mov_b32_e32 v16, 0
	s_and_not1_b32 s15, s15, exec_lo
	s_and_b32 s17, vcc_lo, exec_lo
	s_delay_alu instid0(SALU_CYCLE_1)
	s_or_b32 s15, s15, s17
	s_or_b32 exec_lo, exec_lo, s16
	s_and_saveexec_b32 s16, s15
	s_cbranch_execnz .LBB291_107
	s_branch .LBB291_108
.LBB291_369:
	s_mov_b32 s15, -1
	s_mov_b32 s17, exec_lo
	v_cmpx_eq_u16_e32 0x80, v14
; %bb.370:
	s_xor_b32 s15, exec_lo, -1
; %bb.371:
	s_or_b32 exec_lo, exec_lo, s17
	s_delay_alu instid0(SALU_CYCLE_1)
	s_and_b32 s15, s15, exec_lo
	s_or_saveexec_b32 s16, s16
	v_mov_b32_e32 v17, 0x7f800001
	s_xor_b32 exec_lo, exec_lo, s16
	s_cbranch_execz .LBB291_110
.LBB291_372:
	v_cmp_ne_u16_e32 vcc_lo, 0, v14
	v_mov_b32_e32 v17, 0
	s_and_not1_b32 s15, s15, exec_lo
	s_and_b32 s17, vcc_lo, exec_lo
	s_delay_alu instid0(SALU_CYCLE_1)
	s_or_b32 s15, s15, s17
	s_or_b32 exec_lo, exec_lo, s16
	s_and_saveexec_b32 s16, s15
	s_cbranch_execnz .LBB291_111
	s_branch .LBB291_112
.LBB291_373:
	s_mov_b32 s16, -1
	s_mov_b32 s18, exec_lo
	v_cmpx_eq_u16_e32 0x80, v12
; %bb.374:
	s_xor_b32 s16, exec_lo, -1
; %bb.375:
	s_or_b32 exec_lo, exec_lo, s18
	s_delay_alu instid0(SALU_CYCLE_1)
	s_and_b32 s16, s16, exec_lo
	s_or_saveexec_b32 s17, s17
	v_mov_b32_e32 v13, 0x7f800001
	s_xor_b32 exec_lo, exec_lo, s17
	s_cbranch_execz .LBB291_116
.LBB291_376:
	v_cmp_ne_u16_e32 vcc_lo, 0, v12
	v_mov_b32_e32 v13, 0
	s_and_not1_b32 s16, s16, exec_lo
	s_and_b32 s18, vcc_lo, exec_lo
	s_delay_alu instid0(SALU_CYCLE_1)
	s_or_b32 s16, s16, s18
	s_or_b32 exec_lo, exec_lo, s17
	s_and_saveexec_b32 s17, s16
	s_cbranch_execnz .LBB291_117
	s_branch .LBB291_118
.LBB291_377:
	s_mov_b32 s16, -1
	s_mov_b32 s18, exec_lo
	v_cmpx_eq_u16_e32 0x80, v14
; %bb.378:
	s_xor_b32 s16, exec_lo, -1
; %bb.379:
	s_or_b32 exec_lo, exec_lo, s18
	s_delay_alu instid0(SALU_CYCLE_1)
	s_and_b32 s16, s16, exec_lo
	s_or_saveexec_b32 s17, s17
	v_mov_b32_e32 v15, 0x7f800001
	s_xor_b32 exec_lo, exec_lo, s17
	s_cbranch_execz .LBB291_120
.LBB291_380:
	v_cmp_ne_u16_e32 vcc_lo, 0, v14
	v_mov_b32_e32 v15, 0
	s_and_not1_b32 s16, s16, exec_lo
	s_and_b32 s18, vcc_lo, exec_lo
	s_delay_alu instid0(SALU_CYCLE_1)
	s_or_b32 s16, s16, s18
	s_or_b32 exec_lo, exec_lo, s17
	s_and_saveexec_b32 s17, s16
	s_cbranch_execnz .LBB291_121
	s_branch .LBB291_122
.LBB291_381:
	s_mov_b32 s17, -1
	s_mov_b32 s19, exec_lo
	v_cmpx_eq_u16_e32 0x80, v13
; %bb.382:
	s_xor_b32 s17, exec_lo, -1
; %bb.383:
	s_or_b32 exec_lo, exec_lo, s19
	s_delay_alu instid0(SALU_CYCLE_1)
	s_and_b32 s17, s17, exec_lo
	s_or_saveexec_b32 s18, s18
	v_mov_b32_e32 v14, 0x7f800001
	s_xor_b32 exec_lo, exec_lo, s18
	s_cbranch_execz .LBB291_146
.LBB291_384:
	v_cmp_ne_u16_e32 vcc_lo, 0, v13
	v_mov_b32_e32 v14, 0
	s_and_not1_b32 s17, s17, exec_lo
	s_and_b32 s19, vcc_lo, exec_lo
	s_delay_alu instid0(SALU_CYCLE_1)
	s_or_b32 s17, s17, s19
	s_or_b32 exec_lo, exec_lo, s18
	s_and_saveexec_b32 s18, s17
	s_cbranch_execnz .LBB291_147
	s_branch .LBB291_148
.LBB291_385:
	s_mov_b32 s17, -1
	s_mov_b32 s19, exec_lo
	v_cmpx_eq_u16_e32 0x80, v12
; %bb.386:
	s_xor_b32 s17, exec_lo, -1
; %bb.387:
	s_or_b32 exec_lo, exec_lo, s19
	s_delay_alu instid0(SALU_CYCLE_1)
	s_and_b32 s17, s17, exec_lo
	s_or_saveexec_b32 s18, s18
	v_mov_b32_e32 v15, 0x7f800001
	s_xor_b32 exec_lo, exec_lo, s18
	s_cbranch_execz .LBB291_150
.LBB291_388:
	v_cmp_ne_u16_e32 vcc_lo, 0, v12
	v_mov_b32_e32 v15, 0
	s_and_not1_b32 s17, s17, exec_lo
	s_and_b32 s19, vcc_lo, exec_lo
	s_delay_alu instid0(SALU_CYCLE_1)
	s_or_b32 s17, s17, s19
	s_or_b32 exec_lo, exec_lo, s18
	s_and_saveexec_b32 s18, s17
	s_cbranch_execnz .LBB291_151
	s_branch .LBB291_152
.LBB291_389:
	s_mov_b32 s18, -1
	s_mov_b32 s20, exec_lo
	v_cmpx_eq_u16_e32 0x80, v10
; %bb.390:
	s_xor_b32 s18, exec_lo, -1
; %bb.391:
	s_or_b32 exec_lo, exec_lo, s20
	s_delay_alu instid0(SALU_CYCLE_1)
	s_and_b32 s18, s18, exec_lo
	s_or_saveexec_b32 s19, s19
	v_mov_b32_e32 v11, 0x7f800001
	s_xor_b32 exec_lo, exec_lo, s19
	s_cbranch_execz .LBB291_156
.LBB291_392:
	v_cmp_ne_u16_e32 vcc_lo, 0, v10
	v_mov_b32_e32 v11, 0
	s_and_not1_b32 s18, s18, exec_lo
	s_and_b32 s20, vcc_lo, exec_lo
	s_delay_alu instid0(SALU_CYCLE_1)
	s_or_b32 s18, s18, s20
	s_or_b32 exec_lo, exec_lo, s19
	s_and_saveexec_b32 s19, s18
	s_cbranch_execnz .LBB291_157
	s_branch .LBB291_158
.LBB291_393:
	s_mov_b32 s18, -1
	s_mov_b32 s20, exec_lo
	v_cmpx_eq_u16_e32 0x80, v12
; %bb.394:
	s_xor_b32 s18, exec_lo, -1
; %bb.395:
	s_or_b32 exec_lo, exec_lo, s20
	s_delay_alu instid0(SALU_CYCLE_1)
	s_and_b32 s18, s18, exec_lo
	s_or_saveexec_b32 s19, s19
	v_mov_b32_e32 v13, 0x7f800001
	s_xor_b32 exec_lo, exec_lo, s19
	s_cbranch_execz .LBB291_160
.LBB291_396:
	v_cmp_ne_u16_e32 vcc_lo, 0, v12
	v_mov_b32_e32 v13, 0
	s_and_not1_b32 s18, s18, exec_lo
	s_and_b32 s20, vcc_lo, exec_lo
	s_delay_alu instid0(SALU_CYCLE_1)
	s_or_b32 s18, s18, s20
	s_or_b32 exec_lo, exec_lo, s19
	s_and_saveexec_b32 s19, s18
	s_cbranch_execnz .LBB291_161
	s_branch .LBB291_162
.LBB291_397:
	s_mov_b32 s19, -1
	s_mov_b32 s21, exec_lo
	v_cmpx_eq_u16_e32 0x80, v11
; %bb.398:
	s_xor_b32 s19, exec_lo, -1
; %bb.399:
	s_or_b32 exec_lo, exec_lo, s21
	s_delay_alu instid0(SALU_CYCLE_1)
	s_and_b32 s19, s19, exec_lo
	s_or_saveexec_b32 s20, s20
	v_mov_b32_e32 v12, 0x7f800001
	s_xor_b32 exec_lo, exec_lo, s20
	s_cbranch_execz .LBB291_186
.LBB291_400:
	v_cmp_ne_u16_e32 vcc_lo, 0, v11
	v_mov_b32_e32 v12, 0
	s_and_not1_b32 s19, s19, exec_lo
	s_and_b32 s21, vcc_lo, exec_lo
	s_delay_alu instid0(SALU_CYCLE_1)
	s_or_b32 s19, s19, s21
	s_or_b32 exec_lo, exec_lo, s20
	s_and_saveexec_b32 s20, s19
	s_cbranch_execnz .LBB291_187
	s_branch .LBB291_188
.LBB291_401:
	s_mov_b32 s19, -1
	s_mov_b32 s21, exec_lo
	v_cmpx_eq_u16_e32 0x80, v10
; %bb.402:
	s_xor_b32 s19, exec_lo, -1
; %bb.403:
	s_or_b32 exec_lo, exec_lo, s21
	s_delay_alu instid0(SALU_CYCLE_1)
	s_and_b32 s19, s19, exec_lo
	s_or_saveexec_b32 s20, s20
	v_mov_b32_e32 v13, 0x7f800001
	s_xor_b32 exec_lo, exec_lo, s20
	s_cbranch_execz .LBB291_190
.LBB291_404:
	v_cmp_ne_u16_e32 vcc_lo, 0, v10
	v_mov_b32_e32 v13, 0
	s_and_not1_b32 s19, s19, exec_lo
	s_and_b32 s21, vcc_lo, exec_lo
	s_delay_alu instid0(SALU_CYCLE_1)
	s_or_b32 s19, s19, s21
	s_or_b32 exec_lo, exec_lo, s20
	s_and_saveexec_b32 s20, s19
	s_cbranch_execnz .LBB291_191
	s_branch .LBB291_192
.LBB291_405:
	s_mov_b32 s20, -1
	s_mov_b32 s22, exec_lo
	v_cmpx_eq_u16_e32 0x80, v8
; %bb.406:
	s_xor_b32 s20, exec_lo, -1
; %bb.407:
	s_or_b32 exec_lo, exec_lo, s22
	s_delay_alu instid0(SALU_CYCLE_1)
	s_and_b32 s20, s20, exec_lo
	s_or_saveexec_b32 s21, s21
	v_mov_b32_e32 v9, 0x7f800001
	s_xor_b32 exec_lo, exec_lo, s21
	s_cbranch_execz .LBB291_196
.LBB291_408:
	v_cmp_ne_u16_e32 vcc_lo, 0, v8
	v_mov_b32_e32 v9, 0
	s_and_not1_b32 s20, s20, exec_lo
	s_and_b32 s22, vcc_lo, exec_lo
	s_delay_alu instid0(SALU_CYCLE_1)
	s_or_b32 s20, s20, s22
	s_or_b32 exec_lo, exec_lo, s21
	s_and_saveexec_b32 s21, s20
	s_cbranch_execnz .LBB291_197
	s_branch .LBB291_198
.LBB291_409:
	s_mov_b32 s20, -1
	s_mov_b32 s22, exec_lo
	v_cmpx_eq_u16_e32 0x80, v10
; %bb.410:
	s_xor_b32 s20, exec_lo, -1
; %bb.411:
	s_or_b32 exec_lo, exec_lo, s22
	s_delay_alu instid0(SALU_CYCLE_1)
	s_and_b32 s20, s20, exec_lo
	s_or_saveexec_b32 s21, s21
	v_mov_b32_e32 v11, 0x7f800001
	s_xor_b32 exec_lo, exec_lo, s21
	s_cbranch_execz .LBB291_200
.LBB291_412:
	v_cmp_ne_u16_e32 vcc_lo, 0, v10
	v_mov_b32_e32 v11, 0
	s_and_not1_b32 s20, s20, exec_lo
	s_and_b32 s22, vcc_lo, exec_lo
	s_delay_alu instid0(SALU_CYCLE_1)
	s_or_b32 s20, s20, s22
	s_or_b32 exec_lo, exec_lo, s21
	s_and_saveexec_b32 s21, s20
	s_cbranch_execnz .LBB291_201
	s_branch .LBB291_202
.LBB291_413:
	s_mov_b32 s21, -1
	s_mov_b32 s23, exec_lo
	v_cmpx_eq_u16_e32 0x80, v9
; %bb.414:
	s_xor_b32 s21, exec_lo, -1
; %bb.415:
	s_or_b32 exec_lo, exec_lo, s23
	s_delay_alu instid0(SALU_CYCLE_1)
	s_and_b32 s21, s21, exec_lo
	s_or_saveexec_b32 s22, s22
	v_mov_b32_e32 v10, 0x7f800001
	s_xor_b32 exec_lo, exec_lo, s22
	s_cbranch_execz .LBB291_226
.LBB291_416:
	v_cmp_ne_u16_e32 vcc_lo, 0, v9
	v_mov_b32_e32 v10, 0
	s_and_not1_b32 s21, s21, exec_lo
	s_and_b32 s23, vcc_lo, exec_lo
	s_delay_alu instid0(SALU_CYCLE_1)
	s_or_b32 s21, s21, s23
	s_or_b32 exec_lo, exec_lo, s22
	s_and_saveexec_b32 s22, s21
	s_cbranch_execnz .LBB291_227
	s_branch .LBB291_228
.LBB291_417:
	s_mov_b32 s21, -1
	s_mov_b32 s23, exec_lo
	v_cmpx_eq_u16_e32 0x80, v8
; %bb.418:
	s_xor_b32 s21, exec_lo, -1
; %bb.419:
	s_or_b32 exec_lo, exec_lo, s23
	s_delay_alu instid0(SALU_CYCLE_1)
	s_and_b32 s21, s21, exec_lo
	s_or_saveexec_b32 s22, s22
	v_mov_b32_e32 v11, 0x7f800001
	s_xor_b32 exec_lo, exec_lo, s22
	s_cbranch_execz .LBB291_230
.LBB291_420:
	v_cmp_ne_u16_e32 vcc_lo, 0, v8
	v_mov_b32_e32 v11, 0
	s_and_not1_b32 s21, s21, exec_lo
	s_and_b32 s23, vcc_lo, exec_lo
	s_delay_alu instid0(SALU_CYCLE_1)
	s_or_b32 s21, s21, s23
	s_or_b32 exec_lo, exec_lo, s22
	s_and_saveexec_b32 s22, s21
	s_cbranch_execnz .LBB291_231
	s_branch .LBB291_232
.LBB291_421:
	s_mov_b32 s22, -1
	s_mov_b32 s24, exec_lo
	v_cmpx_eq_u16_e32 0x80, v6
; %bb.422:
	s_xor_b32 s22, exec_lo, -1
; %bb.423:
	s_or_b32 exec_lo, exec_lo, s24
	s_delay_alu instid0(SALU_CYCLE_1)
	s_and_b32 s22, s22, exec_lo
	s_or_saveexec_b32 s23, s23
	v_mov_b32_e32 v7, 0x7f800001
	s_xor_b32 exec_lo, exec_lo, s23
	s_cbranch_execz .LBB291_236
.LBB291_424:
	v_cmp_ne_u16_e32 vcc_lo, 0, v6
	v_mov_b32_e32 v7, 0
	s_and_not1_b32 s22, s22, exec_lo
	s_and_b32 s24, vcc_lo, exec_lo
	s_delay_alu instid0(SALU_CYCLE_1)
	s_or_b32 s22, s22, s24
	s_or_b32 exec_lo, exec_lo, s23
	s_and_saveexec_b32 s23, s22
	s_cbranch_execnz .LBB291_237
	s_branch .LBB291_238
.LBB291_425:
	s_mov_b32 s22, -1
	s_mov_b32 s24, exec_lo
	v_cmpx_eq_u16_e32 0x80, v8
; %bb.426:
	s_xor_b32 s22, exec_lo, -1
; %bb.427:
	s_or_b32 exec_lo, exec_lo, s24
	s_delay_alu instid0(SALU_CYCLE_1)
	s_and_b32 s22, s22, exec_lo
	s_or_saveexec_b32 s23, s23
	v_mov_b32_e32 v9, 0x7f800001
	s_xor_b32 exec_lo, exec_lo, s23
	s_cbranch_execz .LBB291_240
.LBB291_428:
	v_cmp_ne_u16_e32 vcc_lo, 0, v8
	v_mov_b32_e32 v9, 0
	s_and_not1_b32 s22, s22, exec_lo
	s_and_b32 s24, vcc_lo, exec_lo
	s_delay_alu instid0(SALU_CYCLE_1)
	s_or_b32 s22, s22, s24
	s_or_b32 exec_lo, exec_lo, s23
	s_and_saveexec_b32 s23, s22
	s_cbranch_execnz .LBB291_241
	s_branch .LBB291_242
.LBB291_429:
	s_mov_b32 s23, -1
	s_mov_b32 s25, exec_lo
	v_cmpx_eq_u16_e32 0x80, v7
; %bb.430:
	s_xor_b32 s23, exec_lo, -1
; %bb.431:
	s_or_b32 exec_lo, exec_lo, s25
	s_delay_alu instid0(SALU_CYCLE_1)
	s_and_b32 s23, s23, exec_lo
	s_or_saveexec_b32 s24, s24
	v_mov_b32_e32 v8, 0x7f800001
	s_xor_b32 exec_lo, exec_lo, s24
	s_cbranch_execz .LBB291_266
.LBB291_432:
	v_cmp_ne_u16_e32 vcc_lo, 0, v7
	v_mov_b32_e32 v8, 0
	s_and_not1_b32 s23, s23, exec_lo
	s_and_b32 s25, vcc_lo, exec_lo
	s_delay_alu instid0(SALU_CYCLE_1)
	s_or_b32 s23, s23, s25
	s_or_b32 exec_lo, exec_lo, s24
	s_and_saveexec_b32 s24, s23
	s_cbranch_execnz .LBB291_267
	s_branch .LBB291_268
.LBB291_433:
	s_mov_b32 s23, -1
	s_mov_b32 s25, exec_lo
	v_cmpx_eq_u16_e32 0x80, v6
; %bb.434:
	s_xor_b32 s23, exec_lo, -1
; %bb.435:
	s_or_b32 exec_lo, exec_lo, s25
	s_delay_alu instid0(SALU_CYCLE_1)
	s_and_b32 s23, s23, exec_lo
	s_or_saveexec_b32 s24, s24
	v_mov_b32_e32 v9, 0x7f800001
	s_xor_b32 exec_lo, exec_lo, s24
	s_cbranch_execz .LBB291_270
.LBB291_436:
	v_cmp_ne_u16_e32 vcc_lo, 0, v6
	v_mov_b32_e32 v9, 0
	s_and_not1_b32 s23, s23, exec_lo
	s_and_b32 s25, vcc_lo, exec_lo
	s_delay_alu instid0(SALU_CYCLE_1)
	s_or_b32 s23, s23, s25
	s_or_b32 exec_lo, exec_lo, s24
	s_and_saveexec_b32 s24, s23
	s_cbranch_execnz .LBB291_271
	s_branch .LBB291_272
.LBB291_437:
	s_mov_b32 s24, -1
	s_mov_b32 s26, exec_lo
	v_cmpx_eq_u16_e32 0x80, v4
; %bb.438:
	s_xor_b32 s24, exec_lo, -1
; %bb.439:
	s_or_b32 exec_lo, exec_lo, s26
	s_delay_alu instid0(SALU_CYCLE_1)
	s_and_b32 s24, s24, exec_lo
	s_or_saveexec_b32 s25, s25
	v_mov_b32_e32 v5, 0x7f800001
	s_xor_b32 exec_lo, exec_lo, s25
	s_cbranch_execz .LBB291_276
.LBB291_440:
	v_cmp_ne_u16_e32 vcc_lo, 0, v4
	v_mov_b32_e32 v5, 0
	s_and_not1_b32 s24, s24, exec_lo
	s_and_b32 s26, vcc_lo, exec_lo
	s_delay_alu instid0(SALU_CYCLE_1)
	s_or_b32 s24, s24, s26
	s_or_b32 exec_lo, exec_lo, s25
	s_and_saveexec_b32 s25, s24
	s_cbranch_execnz .LBB291_277
	s_branch .LBB291_278
.LBB291_441:
	s_mov_b32 s24, -1
	s_mov_b32 s26, exec_lo
	v_cmpx_eq_u16_e32 0x80, v6
; %bb.442:
	s_xor_b32 s24, exec_lo, -1
; %bb.443:
	s_or_b32 exec_lo, exec_lo, s26
	s_delay_alu instid0(SALU_CYCLE_1)
	s_and_b32 s24, s24, exec_lo
	s_or_saveexec_b32 s25, s25
	v_mov_b32_e32 v7, 0x7f800001
	s_xor_b32 exec_lo, exec_lo, s25
	s_cbranch_execz .LBB291_280
.LBB291_444:
	v_cmp_ne_u16_e32 vcc_lo, 0, v6
	v_mov_b32_e32 v7, 0
	s_and_not1_b32 s24, s24, exec_lo
	s_and_b32 s26, vcc_lo, exec_lo
	s_delay_alu instid0(SALU_CYCLE_1)
	s_or_b32 s24, s24, s26
	s_or_b32 exec_lo, exec_lo, s25
	s_and_saveexec_b32 s25, s24
	s_cbranch_execnz .LBB291_281
	s_branch .LBB291_282
.LBB291_445:
	s_mov_b32 s25, -1
	s_mov_b32 s27, exec_lo
	v_cmpx_eq_u16_e32 0x80, v4
; %bb.446:
	s_xor_b32 s25, exec_lo, -1
; %bb.447:
	s_or_b32 exec_lo, exec_lo, s27
	s_delay_alu instid0(SALU_CYCLE_1)
	s_and_b32 s25, s25, exec_lo
	s_or_saveexec_b32 s26, s26
	v_mov_b32_e32 v5, 0x7f800001
	s_xor_b32 exec_lo, exec_lo, s26
	s_cbranch_execz .LBB291_306
.LBB291_448:
	v_cmp_ne_u16_e32 vcc_lo, 0, v4
	v_mov_b32_e32 v5, 0
	s_and_not1_b32 s25, s25, exec_lo
	s_and_b32 s27, vcc_lo, exec_lo
	s_delay_alu instid0(SALU_CYCLE_1)
	s_or_b32 s25, s25, s27
	s_or_b32 exec_lo, exec_lo, s26
	s_and_saveexec_b32 s26, s25
	s_cbranch_execnz .LBB291_307
	s_branch .LBB291_308
.LBB291_449:
	s_mov_b32 s25, -1
	s_mov_b32 s27, exec_lo
	v_cmpx_eq_u16_e32 0x80, v3
; %bb.450:
	s_xor_b32 s25, exec_lo, -1
; %bb.451:
	s_or_b32 exec_lo, exec_lo, s27
	s_delay_alu instid0(SALU_CYCLE_1)
	s_and_b32 s25, s25, exec_lo
	s_or_saveexec_b32 s26, s26
	v_mov_b32_e32 v6, 0x7f800001
	s_xor_b32 exec_lo, exec_lo, s26
	s_cbranch_execz .LBB291_310
.LBB291_452:
	v_cmp_ne_u16_e32 vcc_lo, 0, v3
	v_mov_b32_e32 v6, 0
	s_and_not1_b32 s25, s25, exec_lo
	s_and_b32 s27, vcc_lo, exec_lo
	s_delay_alu instid0(SALU_CYCLE_1)
	s_or_b32 s25, s25, s27
	s_or_b32 exec_lo, exec_lo, s26
	s_and_saveexec_b32 s26, s25
	s_cbranch_execnz .LBB291_311
	s_branch .LBB291_312
.LBB291_453:
	s_mov_b32 s10, -1
	s_mov_b32 s13, exec_lo
	v_cmpx_eq_u16_e32 0x80, v3
; %bb.454:
	s_xor_b32 s10, exec_lo, -1
; %bb.455:
	s_or_b32 exec_lo, exec_lo, s13
	s_delay_alu instid0(SALU_CYCLE_1)
	s_and_b32 s10, s10, exec_lo
	s_or_saveexec_b32 s12, s12
	v_mov_b32_e32 v18, 0x7f800001
	s_xor_b32 exec_lo, exec_lo, s12
	s_cbranch_execz .LBB291_16
.LBB291_456:
	v_cmp_ne_u16_e32 vcc_lo, 0, v3
	v_mov_b32_e32 v18, 0
	s_and_not1_b32 s10, s10, exec_lo
	s_and_b32 s13, vcc_lo, exec_lo
	s_delay_alu instid0(SALU_CYCLE_1)
	s_or_b32 s10, s10, s13
	s_or_b32 exec_lo, exec_lo, s12
	s_and_saveexec_b32 s12, s10
	s_cbranch_execnz .LBB291_17
	s_branch .LBB291_18
.LBB291_457:
	s_mov_b32 s10, -1
	s_mov_b32 s13, exec_lo
	v_cmpx_eq_u16_e32 0x80, v3
; %bb.458:
	s_xor_b32 s10, exec_lo, -1
; %bb.459:
	s_or_b32 exec_lo, exec_lo, s13
	s_delay_alu instid0(SALU_CYCLE_1)
	s_and_b32 s10, s10, exec_lo
	s_or_saveexec_b32 s12, s12
	v_mov_b32_e32 v19, 0x7f800001
	s_xor_b32 exec_lo, exec_lo, s12
	s_cbranch_execz .LBB291_20
.LBB291_460:
	v_cmp_ne_u16_e32 vcc_lo, 0, v3
	v_mov_b32_e32 v19, 0
	s_and_not1_b32 s10, s10, exec_lo
	s_and_b32 s13, vcc_lo, exec_lo
	s_delay_alu instid0(SALU_CYCLE_1)
	s_or_b32 s10, s10, s13
	s_or_b32 exec_lo, exec_lo, s12
	s_and_saveexec_b32 s12, s10
	s_cbranch_execnz .LBB291_21
	s_branch .LBB291_22
.LBB291_461:
	s_mov_b32 s11, -1
	s_mov_b32 s13, exec_lo
	v_cmpx_eq_u16_e32 0x80, v19
; %bb.462:
	s_xor_b32 s11, exec_lo, -1
; %bb.463:
	s_or_b32 exec_lo, exec_lo, s13
	s_delay_alu instid0(SALU_CYCLE_1)
	s_and_b32 s11, s11, exec_lo
	s_or_saveexec_b32 s12, s12
	v_mov_b32_e32 v20, 0x7f800001
	s_xor_b32 exec_lo, exec_lo, s12
	s_cbranch_execz .LBB291_46
.LBB291_464:
	v_cmp_ne_u16_e32 vcc_lo, 0, v19
	v_mov_b32_e32 v20, 0
	s_and_not1_b32 s11, s11, exec_lo
	s_and_b32 s13, vcc_lo, exec_lo
	s_delay_alu instid0(SALU_CYCLE_1)
	s_or_b32 s11, s11, s13
	s_or_b32 exec_lo, exec_lo, s12
	s_and_saveexec_b32 s12, s11
	s_cbranch_execnz .LBB291_47
	s_branch .LBB291_48
.LBB291_465:
	s_mov_b32 s11, -1
	s_mov_b32 s13, exec_lo
	v_cmpx_eq_u16_e32 0x80, v18
; %bb.466:
	s_xor_b32 s11, exec_lo, -1
; %bb.467:
	s_or_b32 exec_lo, exec_lo, s13
	s_delay_alu instid0(SALU_CYCLE_1)
	s_and_b32 s11, s11, exec_lo
	s_or_saveexec_b32 s12, s12
	v_mov_b32_e32 v17, 0x7f800001
	s_xor_b32 exec_lo, exec_lo, s12
	s_cbranch_execz .LBB291_50
.LBB291_468:
	v_cmp_ne_u16_e32 vcc_lo, 0, v18
	v_mov_b32_e32 v17, 0
	s_and_not1_b32 s11, s11, exec_lo
	s_and_b32 s13, vcc_lo, exec_lo
	s_delay_alu instid0(SALU_CYCLE_1)
	s_or_b32 s11, s11, s13
	s_or_b32 exec_lo, exec_lo, s12
	s_and_saveexec_b32 s12, s11
	s_cbranch_execnz .LBB291_51
	s_branch .LBB291_52
.LBB291_469:
	s_mov_b32 s12, -1
	s_mov_b32 s14, exec_lo
	v_cmpx_eq_u16_e32 0x80, v16
; %bb.470:
	s_xor_b32 s12, exec_lo, -1
; %bb.471:
	s_or_b32 exec_lo, exec_lo, s14
	s_delay_alu instid0(SALU_CYCLE_1)
	s_and_b32 s12, s12, exec_lo
	s_or_saveexec_b32 s13, s13
	v_mov_b32_e32 v17, 0x7f800001
	s_xor_b32 exec_lo, exec_lo, s13
	s_cbranch_execz .LBB291_56
.LBB291_472:
	v_cmp_ne_u16_e32 vcc_lo, 0, v16
	v_mov_b32_e32 v17, 0
	s_and_not1_b32 s12, s12, exec_lo
	s_and_b32 s14, vcc_lo, exec_lo
	s_delay_alu instid0(SALU_CYCLE_1)
	s_or_b32 s12, s12, s14
	s_or_b32 exec_lo, exec_lo, s13
	s_and_saveexec_b32 s13, s12
	s_cbranch_execnz .LBB291_57
	s_branch .LBB291_58
.LBB291_473:
	s_mov_b32 s12, -1
	s_mov_b32 s14, exec_lo
	v_cmpx_eq_u16_e32 0x80, v16
; %bb.474:
	s_xor_b32 s12, exec_lo, -1
; %bb.475:
	s_or_b32 exec_lo, exec_lo, s14
	s_delay_alu instid0(SALU_CYCLE_1)
	s_and_b32 s12, s12, exec_lo
	s_or_saveexec_b32 s13, s13
	v_mov_b32_e32 v18, 0x7f800001
	s_xor_b32 exec_lo, exec_lo, s13
	s_cbranch_execz .LBB291_60
.LBB291_476:
	v_cmp_ne_u16_e32 vcc_lo, 0, v16
	v_mov_b32_e32 v18, 0
	s_and_not1_b32 s12, s12, exec_lo
	s_and_b32 s14, vcc_lo, exec_lo
	s_delay_alu instid0(SALU_CYCLE_1)
	s_or_b32 s12, s12, s14
	s_or_b32 exec_lo, exec_lo, s13
	s_and_saveexec_b32 s13, s12
	s_cbranch_execnz .LBB291_61
	s_branch .LBB291_62
.LBB291_477:
	s_mov_b32 s13, -1
	s_mov_b32 s15, exec_lo
	v_cmpx_eq_u16_e32 0x80, v17
; %bb.478:
	s_xor_b32 s13, exec_lo, -1
; %bb.479:
	s_or_b32 exec_lo, exec_lo, s15
	s_delay_alu instid0(SALU_CYCLE_1)
	s_and_b32 s13, s13, exec_lo
	s_or_saveexec_b32 s14, s14
	v_mov_b32_e32 v18, 0x7f800001
	s_xor_b32 exec_lo, exec_lo, s14
	s_cbranch_execz .LBB291_86
.LBB291_480:
	v_cmp_ne_u16_e32 vcc_lo, 0, v17
	v_mov_b32_e32 v18, 0
	s_and_not1_b32 s13, s13, exec_lo
	s_and_b32 s15, vcc_lo, exec_lo
	s_delay_alu instid0(SALU_CYCLE_1)
	s_or_b32 s13, s13, s15
	s_or_b32 exec_lo, exec_lo, s14
	s_and_saveexec_b32 s14, s13
	s_cbranch_execnz .LBB291_87
	s_branch .LBB291_88
.LBB291_481:
	s_mov_b32 s13, -1
	s_mov_b32 s15, exec_lo
	v_cmpx_eq_u16_e32 0x80, v16
; %bb.482:
	s_xor_b32 s13, exec_lo, -1
; %bb.483:
	s_or_b32 exec_lo, exec_lo, s15
	s_delay_alu instid0(SALU_CYCLE_1)
	s_and_b32 s13, s13, exec_lo
	s_or_saveexec_b32 s14, s14
	v_mov_b32_e32 v15, 0x7f800001
	s_xor_b32 exec_lo, exec_lo, s14
	s_cbranch_execz .LBB291_90
.LBB291_484:
	v_cmp_ne_u16_e32 vcc_lo, 0, v16
	v_mov_b32_e32 v15, 0
	s_and_not1_b32 s13, s13, exec_lo
	s_and_b32 s15, vcc_lo, exec_lo
	s_delay_alu instid0(SALU_CYCLE_1)
	s_or_b32 s13, s13, s15
	s_or_b32 exec_lo, exec_lo, s14
	s_and_saveexec_b32 s14, s13
	s_cbranch_execnz .LBB291_91
	s_branch .LBB291_92
.LBB291_485:
	s_mov_b32 s14, -1
	s_mov_b32 s16, exec_lo
	v_cmpx_eq_u16_e32 0x80, v14
; %bb.486:
	s_xor_b32 s14, exec_lo, -1
; %bb.487:
	s_or_b32 exec_lo, exec_lo, s16
	s_delay_alu instid0(SALU_CYCLE_1)
	s_and_b32 s14, s14, exec_lo
	s_or_saveexec_b32 s15, s15
	v_mov_b32_e32 v15, 0x7f800001
	s_xor_b32 exec_lo, exec_lo, s15
	s_cbranch_execz .LBB291_96
.LBB291_488:
	v_cmp_ne_u16_e32 vcc_lo, 0, v14
	v_mov_b32_e32 v15, 0
	s_and_not1_b32 s14, s14, exec_lo
	s_and_b32 s16, vcc_lo, exec_lo
	s_delay_alu instid0(SALU_CYCLE_1)
	s_or_b32 s14, s14, s16
	s_or_b32 exec_lo, exec_lo, s15
	s_and_saveexec_b32 s15, s14
	s_cbranch_execnz .LBB291_97
	s_branch .LBB291_98
.LBB291_489:
	s_mov_b32 s14, -1
	s_mov_b32 s16, exec_lo
	v_cmpx_eq_u16_e32 0x80, v14
; %bb.490:
	s_xor_b32 s14, exec_lo, -1
; %bb.491:
	s_or_b32 exec_lo, exec_lo, s16
	s_delay_alu instid0(SALU_CYCLE_1)
	s_and_b32 s14, s14, exec_lo
	s_or_saveexec_b32 s15, s15
	v_mov_b32_e32 v16, 0x7f800001
	s_xor_b32 exec_lo, exec_lo, s15
	s_cbranch_execz .LBB291_100
.LBB291_492:
	v_cmp_ne_u16_e32 vcc_lo, 0, v14
	v_mov_b32_e32 v16, 0
	s_and_not1_b32 s14, s14, exec_lo
	s_and_b32 s16, vcc_lo, exec_lo
	s_delay_alu instid0(SALU_CYCLE_1)
	s_or_b32 s14, s14, s16
	s_or_b32 exec_lo, exec_lo, s15
	s_and_saveexec_b32 s15, s14
	s_cbranch_execnz .LBB291_101
	s_branch .LBB291_102
.LBB291_493:
	s_mov_b32 s15, -1
	s_mov_b32 s17, exec_lo
	v_cmpx_eq_u16_e32 0x80, v15
; %bb.494:
	s_xor_b32 s15, exec_lo, -1
; %bb.495:
	s_or_b32 exec_lo, exec_lo, s17
	s_delay_alu instid0(SALU_CYCLE_1)
	s_and_b32 s15, s15, exec_lo
	s_or_saveexec_b32 s16, s16
	v_mov_b32_e32 v16, 0x7f800001
	s_xor_b32 exec_lo, exec_lo, s16
	s_cbranch_execz .LBB291_126
.LBB291_496:
	v_cmp_ne_u16_e32 vcc_lo, 0, v15
	v_mov_b32_e32 v16, 0
	s_and_not1_b32 s15, s15, exec_lo
	s_and_b32 s17, vcc_lo, exec_lo
	s_delay_alu instid0(SALU_CYCLE_1)
	s_or_b32 s15, s15, s17
	s_or_b32 exec_lo, exec_lo, s16
	s_and_saveexec_b32 s16, s15
	s_cbranch_execnz .LBB291_127
	s_branch .LBB291_128
.LBB291_497:
	s_mov_b32 s15, -1
	s_mov_b32 s17, exec_lo
	v_cmpx_eq_u16_e32 0x80, v14
; %bb.498:
	s_xor_b32 s15, exec_lo, -1
; %bb.499:
	s_or_b32 exec_lo, exec_lo, s17
	s_delay_alu instid0(SALU_CYCLE_1)
	s_and_b32 s15, s15, exec_lo
	s_or_saveexec_b32 s16, s16
	v_mov_b32_e32 v13, 0x7f800001
	s_xor_b32 exec_lo, exec_lo, s16
	s_cbranch_execz .LBB291_130
.LBB291_500:
	v_cmp_ne_u16_e32 vcc_lo, 0, v14
	v_mov_b32_e32 v13, 0
	s_and_not1_b32 s15, s15, exec_lo
	s_and_b32 s17, vcc_lo, exec_lo
	s_delay_alu instid0(SALU_CYCLE_1)
	s_or_b32 s15, s15, s17
	s_or_b32 exec_lo, exec_lo, s16
	s_and_saveexec_b32 s16, s15
	s_cbranch_execnz .LBB291_131
	s_branch .LBB291_132
.LBB291_501:
	s_mov_b32 s16, -1
	s_mov_b32 s18, exec_lo
	v_cmpx_eq_u16_e32 0x80, v12
; %bb.502:
	s_xor_b32 s16, exec_lo, -1
; %bb.503:
	s_or_b32 exec_lo, exec_lo, s18
	s_delay_alu instid0(SALU_CYCLE_1)
	s_and_b32 s16, s16, exec_lo
	s_or_saveexec_b32 s17, s17
	v_mov_b32_e32 v13, 0x7f800001
	s_xor_b32 exec_lo, exec_lo, s17
	s_cbranch_execz .LBB291_136
.LBB291_504:
	v_cmp_ne_u16_e32 vcc_lo, 0, v12
	v_mov_b32_e32 v13, 0
	s_and_not1_b32 s16, s16, exec_lo
	s_and_b32 s18, vcc_lo, exec_lo
	s_delay_alu instid0(SALU_CYCLE_1)
	s_or_b32 s16, s16, s18
	s_or_b32 exec_lo, exec_lo, s17
	s_and_saveexec_b32 s17, s16
	s_cbranch_execnz .LBB291_137
	s_branch .LBB291_138
.LBB291_505:
	s_mov_b32 s16, -1
	s_mov_b32 s18, exec_lo
	v_cmpx_eq_u16_e32 0x80, v12
; %bb.506:
	s_xor_b32 s16, exec_lo, -1
; %bb.507:
	s_or_b32 exec_lo, exec_lo, s18
	s_delay_alu instid0(SALU_CYCLE_1)
	s_and_b32 s16, s16, exec_lo
	s_or_saveexec_b32 s17, s17
	v_mov_b32_e32 v14, 0x7f800001
	s_xor_b32 exec_lo, exec_lo, s17
	s_cbranch_execz .LBB291_140
.LBB291_508:
	v_cmp_ne_u16_e32 vcc_lo, 0, v12
	v_mov_b32_e32 v14, 0
	s_and_not1_b32 s16, s16, exec_lo
	s_and_b32 s18, vcc_lo, exec_lo
	s_delay_alu instid0(SALU_CYCLE_1)
	s_or_b32 s16, s16, s18
	s_or_b32 exec_lo, exec_lo, s17
	s_and_saveexec_b32 s17, s16
	s_cbranch_execnz .LBB291_141
	s_branch .LBB291_142
.LBB291_509:
	s_mov_b32 s17, -1
	s_mov_b32 s19, exec_lo
	v_cmpx_eq_u16_e32 0x80, v13
; %bb.510:
	s_xor_b32 s17, exec_lo, -1
; %bb.511:
	s_or_b32 exec_lo, exec_lo, s19
	s_delay_alu instid0(SALU_CYCLE_1)
	s_and_b32 s17, s17, exec_lo
	s_or_saveexec_b32 s18, s18
	v_mov_b32_e32 v14, 0x7f800001
	s_xor_b32 exec_lo, exec_lo, s18
	s_cbranch_execz .LBB291_166
.LBB291_512:
	v_cmp_ne_u16_e32 vcc_lo, 0, v13
	v_mov_b32_e32 v14, 0
	s_and_not1_b32 s17, s17, exec_lo
	s_and_b32 s19, vcc_lo, exec_lo
	s_delay_alu instid0(SALU_CYCLE_1)
	s_or_b32 s17, s17, s19
	s_or_b32 exec_lo, exec_lo, s18
	s_and_saveexec_b32 s18, s17
	s_cbranch_execnz .LBB291_167
	s_branch .LBB291_168
.LBB291_513:
	s_mov_b32 s17, -1
	s_mov_b32 s19, exec_lo
	v_cmpx_eq_u16_e32 0x80, v12
; %bb.514:
	s_xor_b32 s17, exec_lo, -1
; %bb.515:
	s_or_b32 exec_lo, exec_lo, s19
	s_delay_alu instid0(SALU_CYCLE_1)
	s_and_b32 s17, s17, exec_lo
	s_or_saveexec_b32 s18, s18
	v_mov_b32_e32 v11, 0x7f800001
	s_xor_b32 exec_lo, exec_lo, s18
	s_cbranch_execz .LBB291_170
.LBB291_516:
	v_cmp_ne_u16_e32 vcc_lo, 0, v12
	v_mov_b32_e32 v11, 0
	s_and_not1_b32 s17, s17, exec_lo
	s_and_b32 s19, vcc_lo, exec_lo
	s_delay_alu instid0(SALU_CYCLE_1)
	s_or_b32 s17, s17, s19
	s_or_b32 exec_lo, exec_lo, s18
	s_and_saveexec_b32 s18, s17
	s_cbranch_execnz .LBB291_171
	s_branch .LBB291_172
.LBB291_517:
	s_mov_b32 s18, -1
	s_mov_b32 s20, exec_lo
	v_cmpx_eq_u16_e32 0x80, v10
; %bb.518:
	s_xor_b32 s18, exec_lo, -1
; %bb.519:
	s_or_b32 exec_lo, exec_lo, s20
	s_delay_alu instid0(SALU_CYCLE_1)
	s_and_b32 s18, s18, exec_lo
	s_or_saveexec_b32 s19, s19
	v_mov_b32_e32 v11, 0x7f800001
	s_xor_b32 exec_lo, exec_lo, s19
	s_cbranch_execz .LBB291_176
.LBB291_520:
	v_cmp_ne_u16_e32 vcc_lo, 0, v10
	v_mov_b32_e32 v11, 0
	s_and_not1_b32 s18, s18, exec_lo
	s_and_b32 s20, vcc_lo, exec_lo
	s_delay_alu instid0(SALU_CYCLE_1)
	s_or_b32 s18, s18, s20
	s_or_b32 exec_lo, exec_lo, s19
	s_and_saveexec_b32 s19, s18
	s_cbranch_execnz .LBB291_177
	s_branch .LBB291_178
.LBB291_521:
	s_mov_b32 s18, -1
	s_mov_b32 s20, exec_lo
	v_cmpx_eq_u16_e32 0x80, v10
; %bb.522:
	s_xor_b32 s18, exec_lo, -1
; %bb.523:
	s_or_b32 exec_lo, exec_lo, s20
	s_delay_alu instid0(SALU_CYCLE_1)
	s_and_b32 s18, s18, exec_lo
	s_or_saveexec_b32 s19, s19
	v_mov_b32_e32 v12, 0x7f800001
	s_xor_b32 exec_lo, exec_lo, s19
	s_cbranch_execz .LBB291_180
.LBB291_524:
	v_cmp_ne_u16_e32 vcc_lo, 0, v10
	v_mov_b32_e32 v12, 0
	s_and_not1_b32 s18, s18, exec_lo
	s_and_b32 s20, vcc_lo, exec_lo
	s_delay_alu instid0(SALU_CYCLE_1)
	s_or_b32 s18, s18, s20
	s_or_b32 exec_lo, exec_lo, s19
	s_and_saveexec_b32 s19, s18
	s_cbranch_execnz .LBB291_181
	s_branch .LBB291_182
.LBB291_525:
	s_mov_b32 s19, -1
	s_mov_b32 s21, exec_lo
	v_cmpx_eq_u16_e32 0x80, v11
; %bb.526:
	s_xor_b32 s19, exec_lo, -1
; %bb.527:
	s_or_b32 exec_lo, exec_lo, s21
	s_delay_alu instid0(SALU_CYCLE_1)
	s_and_b32 s19, s19, exec_lo
	s_or_saveexec_b32 s20, s20
	v_mov_b32_e32 v12, 0x7f800001
	s_xor_b32 exec_lo, exec_lo, s20
	s_cbranch_execz .LBB291_206
.LBB291_528:
	v_cmp_ne_u16_e32 vcc_lo, 0, v11
	v_mov_b32_e32 v12, 0
	s_and_not1_b32 s19, s19, exec_lo
	s_and_b32 s21, vcc_lo, exec_lo
	s_delay_alu instid0(SALU_CYCLE_1)
	s_or_b32 s19, s19, s21
	s_or_b32 exec_lo, exec_lo, s20
	s_and_saveexec_b32 s20, s19
	s_cbranch_execnz .LBB291_207
	s_branch .LBB291_208
.LBB291_529:
	s_mov_b32 s19, -1
	s_mov_b32 s21, exec_lo
	v_cmpx_eq_u16_e32 0x80, v10
; %bb.530:
	s_xor_b32 s19, exec_lo, -1
; %bb.531:
	s_or_b32 exec_lo, exec_lo, s21
	s_delay_alu instid0(SALU_CYCLE_1)
	s_and_b32 s19, s19, exec_lo
	s_or_saveexec_b32 s20, s20
	v_mov_b32_e32 v9, 0x7f800001
	s_xor_b32 exec_lo, exec_lo, s20
	s_cbranch_execz .LBB291_210
.LBB291_532:
	v_cmp_ne_u16_e32 vcc_lo, 0, v10
	v_mov_b32_e32 v9, 0
	s_and_not1_b32 s19, s19, exec_lo
	s_and_b32 s21, vcc_lo, exec_lo
	s_delay_alu instid0(SALU_CYCLE_1)
	s_or_b32 s19, s19, s21
	s_or_b32 exec_lo, exec_lo, s20
	s_and_saveexec_b32 s20, s19
	s_cbranch_execnz .LBB291_211
	s_branch .LBB291_212
.LBB291_533:
	s_mov_b32 s20, -1
	s_mov_b32 s22, exec_lo
	v_cmpx_eq_u16_e32 0x80, v8
; %bb.534:
	s_xor_b32 s20, exec_lo, -1
; %bb.535:
	s_or_b32 exec_lo, exec_lo, s22
	s_delay_alu instid0(SALU_CYCLE_1)
	s_and_b32 s20, s20, exec_lo
	s_or_saveexec_b32 s21, s21
	v_mov_b32_e32 v9, 0x7f800001
	s_xor_b32 exec_lo, exec_lo, s21
	s_cbranch_execz .LBB291_216
.LBB291_536:
	v_cmp_ne_u16_e32 vcc_lo, 0, v8
	v_mov_b32_e32 v9, 0
	s_and_not1_b32 s20, s20, exec_lo
	s_and_b32 s22, vcc_lo, exec_lo
	s_delay_alu instid0(SALU_CYCLE_1)
	s_or_b32 s20, s20, s22
	s_or_b32 exec_lo, exec_lo, s21
	s_and_saveexec_b32 s21, s20
	s_cbranch_execnz .LBB291_217
	s_branch .LBB291_218
.LBB291_537:
	s_mov_b32 s20, -1
	s_mov_b32 s22, exec_lo
	v_cmpx_eq_u16_e32 0x80, v8
; %bb.538:
	s_xor_b32 s20, exec_lo, -1
; %bb.539:
	s_or_b32 exec_lo, exec_lo, s22
	s_delay_alu instid0(SALU_CYCLE_1)
	s_and_b32 s20, s20, exec_lo
	s_or_saveexec_b32 s21, s21
	v_mov_b32_e32 v10, 0x7f800001
	s_xor_b32 exec_lo, exec_lo, s21
	s_cbranch_execz .LBB291_220
.LBB291_540:
	v_cmp_ne_u16_e32 vcc_lo, 0, v8
	v_mov_b32_e32 v10, 0
	s_and_not1_b32 s20, s20, exec_lo
	s_and_b32 s22, vcc_lo, exec_lo
	s_delay_alu instid0(SALU_CYCLE_1)
	s_or_b32 s20, s20, s22
	s_or_b32 exec_lo, exec_lo, s21
	s_and_saveexec_b32 s21, s20
	s_cbranch_execnz .LBB291_221
	s_branch .LBB291_222
.LBB291_541:
	s_mov_b32 s21, -1
	s_mov_b32 s23, exec_lo
	v_cmpx_eq_u16_e32 0x80, v9
; %bb.542:
	s_xor_b32 s21, exec_lo, -1
; %bb.543:
	s_or_b32 exec_lo, exec_lo, s23
	s_delay_alu instid0(SALU_CYCLE_1)
	s_and_b32 s21, s21, exec_lo
	s_or_saveexec_b32 s22, s22
	v_mov_b32_e32 v10, 0x7f800001
	s_xor_b32 exec_lo, exec_lo, s22
	s_cbranch_execz .LBB291_246
.LBB291_544:
	v_cmp_ne_u16_e32 vcc_lo, 0, v9
	v_mov_b32_e32 v10, 0
	s_and_not1_b32 s21, s21, exec_lo
	s_and_b32 s23, vcc_lo, exec_lo
	s_delay_alu instid0(SALU_CYCLE_1)
	s_or_b32 s21, s21, s23
	s_or_b32 exec_lo, exec_lo, s22
	s_and_saveexec_b32 s22, s21
	s_cbranch_execnz .LBB291_247
	s_branch .LBB291_248
.LBB291_545:
	s_mov_b32 s21, -1
	s_mov_b32 s23, exec_lo
	v_cmpx_eq_u16_e32 0x80, v8
; %bb.546:
	s_xor_b32 s21, exec_lo, -1
; %bb.547:
	s_or_b32 exec_lo, exec_lo, s23
	s_delay_alu instid0(SALU_CYCLE_1)
	s_and_b32 s21, s21, exec_lo
	s_or_saveexec_b32 s22, s22
	v_mov_b32_e32 v7, 0x7f800001
	s_xor_b32 exec_lo, exec_lo, s22
	s_cbranch_execz .LBB291_250
.LBB291_548:
	v_cmp_ne_u16_e32 vcc_lo, 0, v8
	v_mov_b32_e32 v7, 0
	s_and_not1_b32 s21, s21, exec_lo
	s_and_b32 s23, vcc_lo, exec_lo
	s_delay_alu instid0(SALU_CYCLE_1)
	s_or_b32 s21, s21, s23
	s_or_b32 exec_lo, exec_lo, s22
	s_and_saveexec_b32 s22, s21
	s_cbranch_execnz .LBB291_251
	s_branch .LBB291_252
.LBB291_549:
	s_mov_b32 s22, -1
	s_mov_b32 s24, exec_lo
	v_cmpx_eq_u16_e32 0x80, v6
; %bb.550:
	s_xor_b32 s22, exec_lo, -1
; %bb.551:
	s_or_b32 exec_lo, exec_lo, s24
	s_delay_alu instid0(SALU_CYCLE_1)
	s_and_b32 s22, s22, exec_lo
	s_or_saveexec_b32 s23, s23
	v_mov_b32_e32 v7, 0x7f800001
	s_xor_b32 exec_lo, exec_lo, s23
	s_cbranch_execz .LBB291_256
.LBB291_552:
	v_cmp_ne_u16_e32 vcc_lo, 0, v6
	v_mov_b32_e32 v7, 0
	s_and_not1_b32 s22, s22, exec_lo
	s_and_b32 s24, vcc_lo, exec_lo
	s_delay_alu instid0(SALU_CYCLE_1)
	s_or_b32 s22, s22, s24
	s_or_b32 exec_lo, exec_lo, s23
	s_and_saveexec_b32 s23, s22
	s_cbranch_execnz .LBB291_257
	s_branch .LBB291_258
.LBB291_553:
	s_mov_b32 s22, -1
	s_mov_b32 s24, exec_lo
	v_cmpx_eq_u16_e32 0x80, v6
; %bb.554:
	s_xor_b32 s22, exec_lo, -1
; %bb.555:
	s_or_b32 exec_lo, exec_lo, s24
	s_delay_alu instid0(SALU_CYCLE_1)
	s_and_b32 s22, s22, exec_lo
	s_or_saveexec_b32 s23, s23
	v_mov_b32_e32 v8, 0x7f800001
	s_xor_b32 exec_lo, exec_lo, s23
	s_cbranch_execz .LBB291_260
.LBB291_556:
	v_cmp_ne_u16_e32 vcc_lo, 0, v6
	v_mov_b32_e32 v8, 0
	s_and_not1_b32 s22, s22, exec_lo
	s_and_b32 s24, vcc_lo, exec_lo
	s_delay_alu instid0(SALU_CYCLE_1)
	s_or_b32 s22, s22, s24
	s_or_b32 exec_lo, exec_lo, s23
	s_and_saveexec_b32 s23, s22
	s_cbranch_execnz .LBB291_261
	s_branch .LBB291_262
.LBB291_557:
	s_mov_b32 s23, -1
	s_mov_b32 s25, exec_lo
	v_cmpx_eq_u16_e32 0x80, v7
; %bb.558:
	s_xor_b32 s23, exec_lo, -1
; %bb.559:
	s_or_b32 exec_lo, exec_lo, s25
	s_delay_alu instid0(SALU_CYCLE_1)
	s_and_b32 s23, s23, exec_lo
	s_or_saveexec_b32 s24, s24
	v_mov_b32_e32 v8, 0x7f800001
	s_xor_b32 exec_lo, exec_lo, s24
	s_cbranch_execz .LBB291_286
.LBB291_560:
	v_cmp_ne_u16_e32 vcc_lo, 0, v7
	v_mov_b32_e32 v8, 0
	s_and_not1_b32 s23, s23, exec_lo
	s_and_b32 s25, vcc_lo, exec_lo
	s_delay_alu instid0(SALU_CYCLE_1)
	s_or_b32 s23, s23, s25
	s_or_b32 exec_lo, exec_lo, s24
	s_and_saveexec_b32 s24, s23
	s_cbranch_execnz .LBB291_287
	s_branch .LBB291_288
.LBB291_561:
	s_mov_b32 s23, -1
	s_mov_b32 s25, exec_lo
	v_cmpx_eq_u16_e32 0x80, v6
; %bb.562:
	s_xor_b32 s23, exec_lo, -1
; %bb.563:
	s_or_b32 exec_lo, exec_lo, s25
	s_delay_alu instid0(SALU_CYCLE_1)
	s_and_b32 s23, s23, exec_lo
	s_or_saveexec_b32 s24, s24
	v_mov_b32_e32 v5, 0x7f800001
	s_xor_b32 exec_lo, exec_lo, s24
	s_cbranch_execz .LBB291_290
.LBB291_564:
	v_cmp_ne_u16_e32 vcc_lo, 0, v6
	v_mov_b32_e32 v5, 0
	s_and_not1_b32 s23, s23, exec_lo
	s_and_b32 s25, vcc_lo, exec_lo
	s_delay_alu instid0(SALU_CYCLE_1)
	s_or_b32 s23, s23, s25
	s_or_b32 exec_lo, exec_lo, s24
	s_and_saveexec_b32 s24, s23
	s_cbranch_execnz .LBB291_291
	s_branch .LBB291_292
.LBB291_565:
	s_mov_b32 s24, -1
	s_mov_b32 s26, exec_lo
	v_cmpx_eq_u16_e32 0x80, v4
; %bb.566:
	s_xor_b32 s24, exec_lo, -1
; %bb.567:
	s_or_b32 exec_lo, exec_lo, s26
	s_delay_alu instid0(SALU_CYCLE_1)
	s_and_b32 s24, s24, exec_lo
	s_or_saveexec_b32 s25, s25
	v_mov_b32_e32 v5, 0x7f800001
	s_xor_b32 exec_lo, exec_lo, s25
	s_cbranch_execz .LBB291_296
.LBB291_568:
	v_cmp_ne_u16_e32 vcc_lo, 0, v4
	v_mov_b32_e32 v5, 0
	s_and_not1_b32 s24, s24, exec_lo
	s_and_b32 s26, vcc_lo, exec_lo
	s_delay_alu instid0(SALU_CYCLE_1)
	s_or_b32 s24, s24, s26
	s_or_b32 exec_lo, exec_lo, s25
	s_and_saveexec_b32 s25, s24
	s_cbranch_execnz .LBB291_297
	s_branch .LBB291_298
.LBB291_569:
	s_mov_b32 s24, -1
	s_mov_b32 s26, exec_lo
	v_cmpx_eq_u16_e32 0x80, v4
; %bb.570:
	s_xor_b32 s24, exec_lo, -1
; %bb.571:
	s_or_b32 exec_lo, exec_lo, s26
	s_delay_alu instid0(SALU_CYCLE_1)
	s_and_b32 s24, s24, exec_lo
	s_or_saveexec_b32 s25, s25
	v_mov_b32_e32 v6, 0x7f800001
	s_xor_b32 exec_lo, exec_lo, s25
	s_cbranch_execz .LBB291_300
.LBB291_572:
	v_cmp_ne_u16_e32 vcc_lo, 0, v4
	v_mov_b32_e32 v6, 0
	s_and_not1_b32 s24, s24, exec_lo
	s_and_b32 s26, vcc_lo, exec_lo
	s_delay_alu instid0(SALU_CYCLE_1)
	s_or_b32 s24, s24, s26
	s_or_b32 exec_lo, exec_lo, s25
	s_and_saveexec_b32 s25, s24
	s_cbranch_execnz .LBB291_301
	s_branch .LBB291_302
.LBB291_573:
	s_mov_b32 s25, -1
	s_mov_b32 s27, exec_lo
	v_cmpx_eq_u16_e32 0x80, v4
; %bb.574:
	s_xor_b32 s25, exec_lo, -1
; %bb.575:
	s_or_b32 exec_lo, exec_lo, s27
	s_delay_alu instid0(SALU_CYCLE_1)
	s_and_b32 s25, s25, exec_lo
	s_or_saveexec_b32 s26, s26
	v_mov_b32_e32 v5, 0x7f800001
	s_xor_b32 exec_lo, exec_lo, s26
	s_cbranch_execz .LBB291_316
.LBB291_576:
	v_cmp_ne_u16_e32 vcc_lo, 0, v4
	v_mov_b32_e32 v5, 0
	s_and_not1_b32 s25, s25, exec_lo
	s_and_b32 s27, vcc_lo, exec_lo
	s_delay_alu instid0(SALU_CYCLE_1)
	s_or_b32 s25, s25, s27
	s_or_b32 exec_lo, exec_lo, s26
	s_and_saveexec_b32 s26, s25
	s_cbranch_execnz .LBB291_317
	s_branch .LBB291_318
.LBB291_577:
	s_mov_b32 s25, -1
	s_mov_b32 s27, exec_lo
	v_cmpx_eq_u16_e32 0x80, v3
; %bb.578:
	s_xor_b32 s25, exec_lo, -1
; %bb.579:
	s_or_b32 exec_lo, exec_lo, s27
	s_delay_alu instid0(SALU_CYCLE_1)
	s_and_b32 s25, s25, exec_lo
	s_or_saveexec_b32 s26, s26
	v_mov_b32_e32 v2, 0x7f800001
	s_xor_b32 exec_lo, exec_lo, s26
	s_cbranch_execz .LBB291_320
.LBB291_580:
	v_cmp_ne_u16_e32 vcc_lo, 0, v3
	v_mov_b32_e32 v2, 0
	s_and_not1_b32 s25, s25, exec_lo
	s_and_b32 s27, vcc_lo, exec_lo
	s_delay_alu instid0(SALU_CYCLE_1)
	s_or_b32 s25, s25, s27
	s_or_b32 exec_lo, exec_lo, s26
	s_and_saveexec_b32 s26, s25
	s_cbranch_execnz .LBB291_321
	s_branch .LBB291_322
	.section	.rodata,"a",@progbits
	.p2align	6, 0x0
	.amdhsa_kernel _ZN2at6native29vectorized_elementwise_kernelILi2ENS0_13BinaryFunctorIN3c1015Float8_e4m3fnuzES4_bNS0_12_GLOBAL__N_116CompareEqFunctorIS4_EEEESt5arrayIPcLm3EEEEviT0_T1_
		.amdhsa_group_segment_fixed_size 0
		.amdhsa_private_segment_fixed_size 0
		.amdhsa_kernarg_size 32
		.amdhsa_user_sgpr_count 2
		.amdhsa_user_sgpr_dispatch_ptr 0
		.amdhsa_user_sgpr_queue_ptr 0
		.amdhsa_user_sgpr_kernarg_segment_ptr 1
		.amdhsa_user_sgpr_dispatch_id 0
		.amdhsa_user_sgpr_kernarg_preload_length 0
		.amdhsa_user_sgpr_kernarg_preload_offset 0
		.amdhsa_user_sgpr_private_segment_size 0
		.amdhsa_wavefront_size32 1
		.amdhsa_uses_dynamic_stack 0
		.amdhsa_enable_private_segment 0
		.amdhsa_system_sgpr_workgroup_id_x 1
		.amdhsa_system_sgpr_workgroup_id_y 0
		.amdhsa_system_sgpr_workgroup_id_z 0
		.amdhsa_system_sgpr_workgroup_info 0
		.amdhsa_system_vgpr_workitem_id 0
		.amdhsa_next_free_vgpr 67
		.amdhsa_next_free_sgpr 33
		.amdhsa_named_barrier_count 0
		.amdhsa_reserve_vcc 1
		.amdhsa_float_round_mode_32 0
		.amdhsa_float_round_mode_16_64 0
		.amdhsa_float_denorm_mode_32 3
		.amdhsa_float_denorm_mode_16_64 3
		.amdhsa_fp16_overflow 0
		.amdhsa_memory_ordered 1
		.amdhsa_forward_progress 1
		.amdhsa_inst_pref_size 156
		.amdhsa_round_robin_scheduling 0
		.amdhsa_exception_fp_ieee_invalid_op 0
		.amdhsa_exception_fp_denorm_src 0
		.amdhsa_exception_fp_ieee_div_zero 0
		.amdhsa_exception_fp_ieee_overflow 0
		.amdhsa_exception_fp_ieee_underflow 0
		.amdhsa_exception_fp_ieee_inexact 0
		.amdhsa_exception_int_div_zero 0
	.end_amdhsa_kernel
	.section	.text._ZN2at6native29vectorized_elementwise_kernelILi2ENS0_13BinaryFunctorIN3c1015Float8_e4m3fnuzES4_bNS0_12_GLOBAL__N_116CompareEqFunctorIS4_EEEESt5arrayIPcLm3EEEEviT0_T1_,"axG",@progbits,_ZN2at6native29vectorized_elementwise_kernelILi2ENS0_13BinaryFunctorIN3c1015Float8_e4m3fnuzES4_bNS0_12_GLOBAL__N_116CompareEqFunctorIS4_EEEESt5arrayIPcLm3EEEEviT0_T1_,comdat
.Lfunc_end291:
	.size	_ZN2at6native29vectorized_elementwise_kernelILi2ENS0_13BinaryFunctorIN3c1015Float8_e4m3fnuzES4_bNS0_12_GLOBAL__N_116CompareEqFunctorIS4_EEEESt5arrayIPcLm3EEEEviT0_T1_, .Lfunc_end291-_ZN2at6native29vectorized_elementwise_kernelILi2ENS0_13BinaryFunctorIN3c1015Float8_e4m3fnuzES4_bNS0_12_GLOBAL__N_116CompareEqFunctorIS4_EEEESt5arrayIPcLm3EEEEviT0_T1_
                                        ; -- End function
	.set _ZN2at6native29vectorized_elementwise_kernelILi2ENS0_13BinaryFunctorIN3c1015Float8_e4m3fnuzES4_bNS0_12_GLOBAL__N_116CompareEqFunctorIS4_EEEESt5arrayIPcLm3EEEEviT0_T1_.num_vgpr, max(32, .L_ZN2at6native25elementwise_kernel_helperILb0ENS0_13BinaryFunctorIN3c1015Float8_e4m3fnuzES4_bNS0_12_GLOBAL__N_116CompareEqFunctorIS4_EEEENS0_6memory8policies11unroll_baseILi256ESt5arrayIPcLm3EE23TrivialOffsetCalculatorILi2EjESF_ILi1EjENS9_15LoadWithoutCastENS9_16StoreWithoutCastELi16ELi1EEEEEvT0_T1_.num_vgpr)
	.set _ZN2at6native29vectorized_elementwise_kernelILi2ENS0_13BinaryFunctorIN3c1015Float8_e4m3fnuzES4_bNS0_12_GLOBAL__N_116CompareEqFunctorIS4_EEEESt5arrayIPcLm3EEEEviT0_T1_.num_agpr, max(0, .L_ZN2at6native25elementwise_kernel_helperILb0ENS0_13BinaryFunctorIN3c1015Float8_e4m3fnuzES4_bNS0_12_GLOBAL__N_116CompareEqFunctorIS4_EEEENS0_6memory8policies11unroll_baseILi256ESt5arrayIPcLm3EE23TrivialOffsetCalculatorILi2EjESF_ILi1EjENS9_15LoadWithoutCastENS9_16StoreWithoutCastELi16ELi1EEEEEvT0_T1_.num_agpr)
	.set _ZN2at6native29vectorized_elementwise_kernelILi2ENS0_13BinaryFunctorIN3c1015Float8_e4m3fnuzES4_bNS0_12_GLOBAL__N_116CompareEqFunctorIS4_EEEESt5arrayIPcLm3EEEEviT0_T1_.numbered_sgpr, max(33, .L_ZN2at6native25elementwise_kernel_helperILb0ENS0_13BinaryFunctorIN3c1015Float8_e4m3fnuzES4_bNS0_12_GLOBAL__N_116CompareEqFunctorIS4_EEEENS0_6memory8policies11unroll_baseILi256ESt5arrayIPcLm3EE23TrivialOffsetCalculatorILi2EjESF_ILi1EjENS9_15LoadWithoutCastENS9_16StoreWithoutCastELi16ELi1EEEEEvT0_T1_.numbered_sgpr)
	.set _ZN2at6native29vectorized_elementwise_kernelILi2ENS0_13BinaryFunctorIN3c1015Float8_e4m3fnuzES4_bNS0_12_GLOBAL__N_116CompareEqFunctorIS4_EEEESt5arrayIPcLm3EEEEviT0_T1_.num_named_barrier, max(0, .L_ZN2at6native25elementwise_kernel_helperILb0ENS0_13BinaryFunctorIN3c1015Float8_e4m3fnuzES4_bNS0_12_GLOBAL__N_116CompareEqFunctorIS4_EEEENS0_6memory8policies11unroll_baseILi256ESt5arrayIPcLm3EE23TrivialOffsetCalculatorILi2EjESF_ILi1EjENS9_15LoadWithoutCastENS9_16StoreWithoutCastELi16ELi1EEEEEvT0_T1_.num_named_barrier)
	.set _ZN2at6native29vectorized_elementwise_kernelILi2ENS0_13BinaryFunctorIN3c1015Float8_e4m3fnuzES4_bNS0_12_GLOBAL__N_116CompareEqFunctorIS4_EEEESt5arrayIPcLm3EEEEviT0_T1_.private_seg_size, 0+max(.L_ZN2at6native25elementwise_kernel_helperILb0ENS0_13BinaryFunctorIN3c1015Float8_e4m3fnuzES4_bNS0_12_GLOBAL__N_116CompareEqFunctorIS4_EEEENS0_6memory8policies11unroll_baseILi256ESt5arrayIPcLm3EE23TrivialOffsetCalculatorILi2EjESF_ILi1EjENS9_15LoadWithoutCastENS9_16StoreWithoutCastELi16ELi1EEEEEvT0_T1_.private_seg_size)
	.set _ZN2at6native29vectorized_elementwise_kernelILi2ENS0_13BinaryFunctorIN3c1015Float8_e4m3fnuzES4_bNS0_12_GLOBAL__N_116CompareEqFunctorIS4_EEEESt5arrayIPcLm3EEEEviT0_T1_.uses_vcc, or(1, .L_ZN2at6native25elementwise_kernel_helperILb0ENS0_13BinaryFunctorIN3c1015Float8_e4m3fnuzES4_bNS0_12_GLOBAL__N_116CompareEqFunctorIS4_EEEENS0_6memory8policies11unroll_baseILi256ESt5arrayIPcLm3EE23TrivialOffsetCalculatorILi2EjESF_ILi1EjENS9_15LoadWithoutCastENS9_16StoreWithoutCastELi16ELi1EEEEEvT0_T1_.uses_vcc)
	.set _ZN2at6native29vectorized_elementwise_kernelILi2ENS0_13BinaryFunctorIN3c1015Float8_e4m3fnuzES4_bNS0_12_GLOBAL__N_116CompareEqFunctorIS4_EEEESt5arrayIPcLm3EEEEviT0_T1_.uses_flat_scratch, or(0, .L_ZN2at6native25elementwise_kernel_helperILb0ENS0_13BinaryFunctorIN3c1015Float8_e4m3fnuzES4_bNS0_12_GLOBAL__N_116CompareEqFunctorIS4_EEEENS0_6memory8policies11unroll_baseILi256ESt5arrayIPcLm3EE23TrivialOffsetCalculatorILi2EjESF_ILi1EjENS9_15LoadWithoutCastENS9_16StoreWithoutCastELi16ELi1EEEEEvT0_T1_.uses_flat_scratch)
	.set _ZN2at6native29vectorized_elementwise_kernelILi2ENS0_13BinaryFunctorIN3c1015Float8_e4m3fnuzES4_bNS0_12_GLOBAL__N_116CompareEqFunctorIS4_EEEESt5arrayIPcLm3EEEEviT0_T1_.has_dyn_sized_stack, or(0, .L_ZN2at6native25elementwise_kernel_helperILb0ENS0_13BinaryFunctorIN3c1015Float8_e4m3fnuzES4_bNS0_12_GLOBAL__N_116CompareEqFunctorIS4_EEEENS0_6memory8policies11unroll_baseILi256ESt5arrayIPcLm3EE23TrivialOffsetCalculatorILi2EjESF_ILi1EjENS9_15LoadWithoutCastENS9_16StoreWithoutCastELi16ELi1EEEEEvT0_T1_.has_dyn_sized_stack)
	.set _ZN2at6native29vectorized_elementwise_kernelILi2ENS0_13BinaryFunctorIN3c1015Float8_e4m3fnuzES4_bNS0_12_GLOBAL__N_116CompareEqFunctorIS4_EEEESt5arrayIPcLm3EEEEviT0_T1_.has_recursion, or(0, .L_ZN2at6native25elementwise_kernel_helperILb0ENS0_13BinaryFunctorIN3c1015Float8_e4m3fnuzES4_bNS0_12_GLOBAL__N_116CompareEqFunctorIS4_EEEENS0_6memory8policies11unroll_baseILi256ESt5arrayIPcLm3EE23TrivialOffsetCalculatorILi2EjESF_ILi1EjENS9_15LoadWithoutCastENS9_16StoreWithoutCastELi16ELi1EEEEEvT0_T1_.has_recursion)
	.set _ZN2at6native29vectorized_elementwise_kernelILi2ENS0_13BinaryFunctorIN3c1015Float8_e4m3fnuzES4_bNS0_12_GLOBAL__N_116CompareEqFunctorIS4_EEEESt5arrayIPcLm3EEEEviT0_T1_.has_indirect_call, or(0, .L_ZN2at6native25elementwise_kernel_helperILb0ENS0_13BinaryFunctorIN3c1015Float8_e4m3fnuzES4_bNS0_12_GLOBAL__N_116CompareEqFunctorIS4_EEEENS0_6memory8policies11unroll_baseILi256ESt5arrayIPcLm3EE23TrivialOffsetCalculatorILi2EjESF_ILi1EjENS9_15LoadWithoutCastENS9_16StoreWithoutCastELi16ELi1EEEEEvT0_T1_.has_indirect_call)
	.section	.AMDGPU.csdata,"",@progbits
; Kernel info:
; codeLenInByte = 19852
; TotalNumSgprs: 35
; NumVgprs: 67
; ScratchSize: 0
; MemoryBound: 0
; FloatMode: 240
; IeeeMode: 1
; LDSByteSize: 0 bytes/workgroup (compile time only)
; SGPRBlocks: 0
; VGPRBlocks: 4
; NumSGPRsForWavesPerEU: 35
; NumVGPRsForWavesPerEU: 67
; NamedBarCnt: 0
; Occupancy: 12
; WaveLimiterHint : 1
; COMPUTE_PGM_RSRC2:SCRATCH_EN: 0
; COMPUTE_PGM_RSRC2:USER_SGPR: 2
; COMPUTE_PGM_RSRC2:TRAP_HANDLER: 0
; COMPUTE_PGM_RSRC2:TGID_X_EN: 1
; COMPUTE_PGM_RSRC2:TGID_Y_EN: 0
; COMPUTE_PGM_RSRC2:TGID_Z_EN: 0
; COMPUTE_PGM_RSRC2:TIDIG_COMP_CNT: 0
	.section	.text._ZN2at6native27unrolled_elementwise_kernelINS0_13BinaryFunctorIN3c1015Float8_e4m3fnuzES4_bNS0_12_GLOBAL__N_116CompareEqFunctorIS4_EEEESt5arrayIPcLm3EELi4E23TrivialOffsetCalculatorILi2EjESC_ILi1EjENS0_6memory15LoadWithoutCastENSF_16StoreWithoutCastEEEviT_T0_T2_T3_T4_T5_,"axG",@progbits,_ZN2at6native27unrolled_elementwise_kernelINS0_13BinaryFunctorIN3c1015Float8_e4m3fnuzES4_bNS0_12_GLOBAL__N_116CompareEqFunctorIS4_EEEESt5arrayIPcLm3EELi4E23TrivialOffsetCalculatorILi2EjESC_ILi1EjENS0_6memory15LoadWithoutCastENSF_16StoreWithoutCastEEEviT_T0_T2_T3_T4_T5_,comdat
	.globl	_ZN2at6native27unrolled_elementwise_kernelINS0_13BinaryFunctorIN3c1015Float8_e4m3fnuzES4_bNS0_12_GLOBAL__N_116CompareEqFunctorIS4_EEEESt5arrayIPcLm3EELi4E23TrivialOffsetCalculatorILi2EjESC_ILi1EjENS0_6memory15LoadWithoutCastENSF_16StoreWithoutCastEEEviT_T0_T2_T3_T4_T5_ ; -- Begin function _ZN2at6native27unrolled_elementwise_kernelINS0_13BinaryFunctorIN3c1015Float8_e4m3fnuzES4_bNS0_12_GLOBAL__N_116CompareEqFunctorIS4_EEEESt5arrayIPcLm3EELi4E23TrivialOffsetCalculatorILi2EjESC_ILi1EjENS0_6memory15LoadWithoutCastENSF_16StoreWithoutCastEEEviT_T0_T2_T3_T4_T5_
	.p2align	8
	.type	_ZN2at6native27unrolled_elementwise_kernelINS0_13BinaryFunctorIN3c1015Float8_e4m3fnuzES4_bNS0_12_GLOBAL__N_116CompareEqFunctorIS4_EEEESt5arrayIPcLm3EELi4E23TrivialOffsetCalculatorILi2EjESC_ILi1EjENS0_6memory15LoadWithoutCastENSF_16StoreWithoutCastEEEviT_T0_T2_T3_T4_T5_,@function
_ZN2at6native27unrolled_elementwise_kernelINS0_13BinaryFunctorIN3c1015Float8_e4m3fnuzES4_bNS0_12_GLOBAL__N_116CompareEqFunctorIS4_EEEESt5arrayIPcLm3EELi4E23TrivialOffsetCalculatorILi2EjESC_ILi1EjENS0_6memory15LoadWithoutCastENSF_16StoreWithoutCastEEEviT_T0_T2_T3_T4_T5_: ; @_ZN2at6native27unrolled_elementwise_kernelINS0_13BinaryFunctorIN3c1015Float8_e4m3fnuzES4_bNS0_12_GLOBAL__N_116CompareEqFunctorIS4_EEEESt5arrayIPcLm3EELi4E23TrivialOffsetCalculatorILi2EjESC_ILi1EjENS0_6memory15LoadWithoutCastENSF_16StoreWithoutCastEEEviT_T0_T2_T3_T4_T5_
; %bb.0:
	s_load_b64 s[2:3], s[0:1], 0x0
	s_bfe_u32 s11, ttmp6, 0x4000c
	s_clause 0x1
	s_load_b128 s[4:7], s[0:1], 0x8
	s_load_b64 s[8:9], s[0:1], 0x18
	s_add_co_i32 s11, s11, 1
	s_and_b32 s10, ttmp6, 15
	s_wait_xcnt 0x0
	s_mul_i32 s0, ttmp9, s11
	s_getreg_b32 s12, hwreg(HW_REG_IB_STS2, 6, 4)
	s_add_co_i32 s10, s10, s0
	s_cmp_eq_u32 s12, 0
	v_dual_mov_b32 v5, 0 :: v_dual_mov_b32 v4, 0
	s_cselect_b32 s0, ttmp9, s10
	v_dual_mov_b32 v3, 0 :: v_dual_mov_b32 v7, 0
	s_lshl_b32 s1, s0, 10
	v_dual_mov_b32 v6, 0 :: v_dual_mov_b32 v10, 0
	v_dual_mov_b32 v8, 0 :: v_dual_bitop2_b32 v2, s1, v0 bitop3:0x54
	v_or_b32_e32 v1, 0x100, v0
	s_wait_kmcnt 0x0
	s_sub_co_i32 s2, s2, s1
	v_dual_mov_b32 v11, 0 :: v_dual_mov_b32 v9, 0
	v_cmp_gt_i32_e64 s0, s2, v0
	s_and_saveexec_b32 s10, s0
	s_cbranch_execz .LBB292_8
; %bb.1:
	s_clause 0x1
	global_load_u8 v11, v2, s[6:7]
	global_load_u8 v9, v2, s[8:9]
	v_or_b32_e32 v12, 0x100, v0
	v_dual_mov_b32 v8, 0 :: v_dual_mov_b32 v10, 0
	v_dual_mov_b32 v6, 0 :: v_dual_mov_b32 v7, 0
	;; [unrolled: 1-line block ×3, first 2 shown]
	s_mov_b32 s11, exec_lo
	s_wait_xcnt 0x0
	v_cmpx_gt_u32_e64 s2, v12
	s_cbranch_execz .LBB292_7
; %bb.2:
	v_dual_mov_b32 v6, 0 :: v_dual_add_nc_u32 v3, s1, v12
	v_or_b32_e32 v12, 0x200, v0
	v_dual_mov_b32 v7, 0 :: v_dual_mov_b32 v4, 0
	s_clause 0x1
	global_load_u8 v10, v3, s[6:7]
	global_load_u8 v8, v3, s[8:9]
	s_wait_xcnt 0x0
	v_mov_b32_e32 v3, 0
	s_mov_b32 s12, exec_lo
	v_cmpx_gt_u32_e64 s2, v12
	s_cbranch_execz .LBB292_6
; %bb.3:
	v_dual_mov_b32 v4, 0 :: v_dual_add_nc_u32 v3, s1, v12
	v_or_b32_e32 v12, 0x300, v0
	s_mov_b32 s13, exec_lo
	s_clause 0x1
	global_load_u8 v7, v3, s[6:7]
	global_load_u8 v6, v3, s[8:9]
	s_wait_xcnt 0x0
	v_mov_b32_e32 v3, 0
	v_cmpx_gt_u32_e64 s2, v12
	s_cbranch_execz .LBB292_5
; %bb.4:
	v_add_nc_u32_e32 v12, s1, v12
	s_clause 0x1
	global_load_u8 v4, v12, s[6:7]
	global_load_u8 v3, v12, s[8:9]
.LBB292_5:
	s_wait_xcnt 0x0
	s_or_b32 exec_lo, exec_lo, s13
.LBB292_6:
	s_delay_alu instid0(SALU_CYCLE_1)
	s_or_b32 exec_lo, exec_lo, s12
.LBB292_7:
	s_delay_alu instid0(SALU_CYCLE_1)
	s_or_b32 exec_lo, exec_lo, s11
.LBB292_8:
	s_delay_alu instid0(SALU_CYCLE_1)
	s_or_b32 exec_lo, exec_lo, s10
	s_cmp_lg_u32 s3, 0
	s_cselect_b32 s3, -1, 0
	s_and_saveexec_b32 s6, s0
	s_cbranch_execz .LBB292_30
; %bb.9:
	s_wait_loadcnt 0x1
	v_and_b32_e32 v5, 0xff, v11
	s_and_b32 vcc_lo, exec_lo, s3
	s_cbranch_vccz .LBB292_19
; %bb.10:
	s_mov_b32 s7, 0
	s_mov_b32 s8, exec_lo
	v_cmpx_lt_i16_e32 0x7f, v5
	s_xor_b32 s8, exec_lo, s8
	s_cbranch_execnz .LBB292_105
; %bb.11:
	s_or_saveexec_b32 s8, s8
	v_mov_b32_e32 v12, 0x7f800001
	s_xor_b32 exec_lo, exec_lo, s8
	s_cbranch_execnz .LBB292_108
.LBB292_12:
	s_or_b32 exec_lo, exec_lo, s8
	s_and_saveexec_b32 s8, s7
	s_cbranch_execz .LBB292_14
.LBB292_13:
	v_and_b32_e32 v12, 7, v11
	v_lshrrev_b16 v14, 3, v11
	s_delay_alu instid0(VALU_DEP_2) | instskip(NEXT) | instid1(VALU_DEP_1)
	v_clz_i32_u32_e32 v13, v12
	v_min_u32_e32 v13, 32, v13
	s_delay_alu instid0(VALU_DEP_3) | instskip(NEXT) | instid1(VALU_DEP_2)
	v_and_b32_e32 v14, 15, v14
	v_subrev_nc_u32_e32 v15, 28, v13
	v_sub_nc_u32_e32 v13, 29, v13
	s_delay_alu instid0(VALU_DEP_3) | instskip(NEXT) | instid1(VALU_DEP_2)
	v_cmp_eq_u32_e32 vcc_lo, 0, v14
	v_dual_lshlrev_b32 v15, v15, v11 :: v_dual_cndmask_b32 v13, v14, v13, vcc_lo
	s_delay_alu instid0(VALU_DEP_1) | instskip(NEXT) | instid1(VALU_DEP_2)
	v_and_b32_e32 v15, 7, v15
	v_lshl_add_u32 v13, v13, 23, 0x3b800000
	s_delay_alu instid0(VALU_DEP_2) | instskip(NEXT) | instid1(VALU_DEP_1)
	v_cndmask_b32_e32 v12, v12, v15, vcc_lo
	v_dual_lshlrev_b32 v16, 24, v11 :: v_dual_lshlrev_b32 v12, 20, v12
	s_delay_alu instid0(VALU_DEP_1) | instskip(NEXT) | instid1(VALU_DEP_1)
	v_and_b32_e32 v14, 0x80000000, v16
	v_or3_b32 v12, v14, v13, v12
.LBB292_14:
	s_or_b32 exec_lo, exec_lo, s8
	s_wait_loadcnt 0x0
	v_and_b32_e32 v14, 0xff, v9
	s_mov_b32 s7, 0
	s_mov_b32 s8, exec_lo
	s_delay_alu instid0(VALU_DEP_1)
	v_cmpx_lt_i16_e32 0x7f, v14
	s_xor_b32 s8, exec_lo, s8
	s_cbranch_execnz .LBB292_109
; %bb.15:
	s_or_saveexec_b32 s8, s8
	v_mov_b32_e32 v13, 0x7f800001
	s_xor_b32 exec_lo, exec_lo, s8
	s_cbranch_execnz .LBB292_112
.LBB292_16:
	s_or_b32 exec_lo, exec_lo, s8
	s_and_saveexec_b32 s8, s7
	s_cbranch_execz .LBB292_18
.LBB292_17:
	v_and_b32_e32 v13, 7, v9
	v_lshrrev_b16 v15, 3, v9
	v_lshlrev_b32_e32 v17, 24, v9
	s_delay_alu instid0(VALU_DEP_3) | instskip(NEXT) | instid1(VALU_DEP_1)
	v_clz_i32_u32_e32 v14, v13
	v_min_u32_e32 v14, 32, v14
	s_delay_alu instid0(VALU_DEP_4) | instskip(NEXT) | instid1(VALU_DEP_2)
	v_and_b32_e32 v15, 15, v15
	v_subrev_nc_u32_e32 v16, 28, v14
	v_sub_nc_u32_e32 v14, 29, v14
	s_delay_alu instid0(VALU_DEP_3) | instskip(NEXT) | instid1(VALU_DEP_3)
	v_cmp_eq_u32_e32 vcc_lo, 0, v15
	v_lshlrev_b32_e32 v16, v16, v9
	s_delay_alu instid0(VALU_DEP_1) | instskip(SKIP_1) | instid1(VALU_DEP_2)
	v_dual_cndmask_b32 v14, v15, v14, vcc_lo :: v_dual_bitop2_b32 v16, 7, v16 bitop3:0x40
	v_and_b32_e32 v15, 0x80000000, v17
	v_cndmask_b32_e32 v13, v13, v16, vcc_lo
	s_delay_alu instid0(VALU_DEP_3) | instskip(NEXT) | instid1(VALU_DEP_2)
	v_lshl_add_u32 v14, v14, 23, 0x3b800000
	v_lshlrev_b32_e32 v13, 20, v13
	s_delay_alu instid0(VALU_DEP_1)
	v_or3_b32 v13, v15, v14, v13
.LBB292_18:
	s_or_b32 exec_lo, exec_lo, s8
	s_delay_alu instid0(VALU_DEP_1)
	v_cmp_neq_f32_e64 s7, v12, v13
	s_branch .LBB292_29
.LBB292_19:
                                        ; implicit-def: $sgpr7
	s_cbranch_execz .LBB292_29
; %bb.20:
	s_mov_b32 s7, 0
	s_mov_b32 s8, exec_lo
	v_cmpx_lt_i16_e32 0x7f, v5
	s_xor_b32 s8, exec_lo, s8
	s_cbranch_execnz .LBB292_137
; %bb.21:
	s_or_saveexec_b32 s8, s8
	v_mov_b32_e32 v12, 0x7f800001
	s_xor_b32 exec_lo, exec_lo, s8
	s_cbranch_execnz .LBB292_140
.LBB292_22:
	s_or_b32 exec_lo, exec_lo, s8
	s_and_saveexec_b32 s8, s7
	s_cbranch_execz .LBB292_24
.LBB292_23:
	v_and_b32_e32 v5, 7, v11
	v_lshrrev_b16 v13, 3, v11
	s_delay_alu instid0(VALU_DEP_2) | instskip(NEXT) | instid1(VALU_DEP_1)
	v_clz_i32_u32_e32 v12, v5
	v_min_u32_e32 v12, 32, v12
	s_delay_alu instid0(VALU_DEP_3) | instskip(NEXT) | instid1(VALU_DEP_2)
	v_and_b32_e32 v13, 15, v13
	v_subrev_nc_u32_e32 v14, 28, v12
	v_sub_nc_u32_e32 v12, 29, v12
	s_delay_alu instid0(VALU_DEP_3) | instskip(NEXT) | instid1(VALU_DEP_3)
	v_cmp_eq_u32_e32 vcc_lo, 0, v13
	v_dual_lshlrev_b32 v14, v14, v11 :: v_dual_lshlrev_b32 v11, 24, v11
	s_delay_alu instid0(VALU_DEP_1) | instskip(NEXT) | instid1(VALU_DEP_2)
	v_and_b32_e32 v14, 7, v14
	v_and_b32_e32 v11, 0x80000000, v11
	s_delay_alu instid0(VALU_DEP_2) | instskip(NEXT) | instid1(VALU_DEP_1)
	v_cndmask_b32_e32 v5, v5, v14, vcc_lo
	v_dual_cndmask_b32 v12, v13, v12 :: v_dual_lshlrev_b32 v5, 20, v5
	s_delay_alu instid0(VALU_DEP_1) | instskip(NEXT) | instid1(VALU_DEP_1)
	v_lshl_add_u32 v12, v12, 23, 0x3b800000
	v_or3_b32 v12, v11, v12, v5
.LBB292_24:
	s_or_b32 exec_lo, exec_lo, s8
	s_wait_loadcnt 0x0
	v_and_b32_e32 v11, 0xff, v9
	s_mov_b32 s7, 0
	s_mov_b32 s8, exec_lo
	s_delay_alu instid0(VALU_DEP_1)
	v_cmpx_lt_i16_e32 0x7f, v11
	s_xor_b32 s8, exec_lo, s8
	s_cbranch_execnz .LBB292_141
; %bb.25:
	s_or_saveexec_b32 s8, s8
	v_mov_b32_e32 v5, 0x7f800001
	s_xor_b32 exec_lo, exec_lo, s8
	s_cbranch_execnz .LBB292_144
.LBB292_26:
	s_or_b32 exec_lo, exec_lo, s8
	s_and_saveexec_b32 s8, s7
	s_cbranch_execz .LBB292_28
.LBB292_27:
	v_and_b32_e32 v5, 7, v9
	v_lshrrev_b16 v13, 3, v9
	s_delay_alu instid0(VALU_DEP_2) | instskip(NEXT) | instid1(VALU_DEP_1)
	v_clz_i32_u32_e32 v11, v5
	v_min_u32_e32 v11, 32, v11
	s_delay_alu instid0(VALU_DEP_3) | instskip(NEXT) | instid1(VALU_DEP_2)
	v_and_b32_e32 v13, 15, v13
	v_subrev_nc_u32_e32 v14, 28, v11
	v_sub_nc_u32_e32 v11, 29, v11
	s_delay_alu instid0(VALU_DEP_3) | instskip(NEXT) | instid1(VALU_DEP_3)
	v_cmp_eq_u32_e32 vcc_lo, 0, v13
	v_dual_lshlrev_b32 v14, v14, v9 :: v_dual_lshlrev_b32 v9, 24, v9
	s_delay_alu instid0(VALU_DEP_1) | instskip(NEXT) | instid1(VALU_DEP_2)
	v_and_b32_e32 v14, 7, v14
	v_and_b32_e32 v9, 0x80000000, v9
	s_delay_alu instid0(VALU_DEP_2) | instskip(NEXT) | instid1(VALU_DEP_1)
	v_cndmask_b32_e32 v5, v5, v14, vcc_lo
	v_dual_cndmask_b32 v11, v13, v11, vcc_lo :: v_dual_lshlrev_b32 v5, 20, v5
	s_delay_alu instid0(VALU_DEP_1) | instskip(NEXT) | instid1(VALU_DEP_1)
	v_lshl_add_u32 v11, v11, 23, 0x3b800000
	v_or3_b32 v5, v9, v11, v5
.LBB292_28:
	s_or_b32 exec_lo, exec_lo, s8
	s_delay_alu instid0(VALU_DEP_1)
	v_cmp_eq_f32_e64 s7, v12, v5
.LBB292_29:
	s_delay_alu instid0(VALU_DEP_1)
	v_cndmask_b32_e64 v5, 0, 1, s7
.LBB292_30:
	s_or_b32 exec_lo, exec_lo, s6
	s_wait_loadcnt 0x0
	v_cndmask_b32_e64 v9, 0, 1, s3
	s_mov_b32 s6, exec_lo
	v_cmpx_gt_i32_e64 s2, v1
	s_cbranch_execz .LBB292_52
; %bb.31:
	v_and_b32_e32 v11, 0xff, v10
	s_and_not1_b32 vcc_lo, exec_lo, s3
	s_cbranch_vccnz .LBB292_41
; %bb.32:
	s_mov_b32 s3, 0
	s_mov_b32 s7, exec_lo
	v_cmpx_lt_i16_e32 0x7f, v11
	s_xor_b32 s7, exec_lo, s7
	s_cbranch_execnz .LBB292_113
; %bb.33:
	s_or_saveexec_b32 s7, s7
	v_mov_b32_e32 v12, 0x7f800001
	s_xor_b32 exec_lo, exec_lo, s7
	s_cbranch_execnz .LBB292_116
.LBB292_34:
	s_or_b32 exec_lo, exec_lo, s7
	s_and_saveexec_b32 s7, s3
	s_cbranch_execz .LBB292_36
.LBB292_35:
	v_and_b32_e32 v12, 7, v10
	v_lshrrev_b16 v14, 3, v10
	v_lshlrev_b32_e32 v16, 24, v10
	s_delay_alu instid0(VALU_DEP_3) | instskip(NEXT) | instid1(VALU_DEP_1)
	v_clz_i32_u32_e32 v13, v12
	v_min_u32_e32 v13, 32, v13
	s_delay_alu instid0(VALU_DEP_4) | instskip(NEXT) | instid1(VALU_DEP_2)
	v_and_b32_e32 v14, 15, v14
	v_subrev_nc_u32_e32 v15, 28, v13
	v_sub_nc_u32_e32 v13, 29, v13
	s_delay_alu instid0(VALU_DEP_3) | instskip(NEXT) | instid1(VALU_DEP_3)
	v_cmp_eq_u32_e32 vcc_lo, 0, v14
	v_lshlrev_b32_e32 v15, v15, v10
	s_delay_alu instid0(VALU_DEP_1) | instskip(SKIP_1) | instid1(VALU_DEP_2)
	v_dual_cndmask_b32 v13, v14, v13, vcc_lo :: v_dual_bitop2_b32 v15, 7, v15 bitop3:0x40
	v_and_b32_e32 v14, 0x80000000, v16
	v_cndmask_b32_e32 v12, v12, v15, vcc_lo
	s_delay_alu instid0(VALU_DEP_3) | instskip(NEXT) | instid1(VALU_DEP_2)
	v_lshl_add_u32 v13, v13, 23, 0x3b800000
	v_lshlrev_b32_e32 v12, 20, v12
	s_delay_alu instid0(VALU_DEP_1)
	v_or3_b32 v12, v14, v13, v12
.LBB292_36:
	s_or_b32 exec_lo, exec_lo, s7
	v_and_b32_e32 v14, 0xff, v8
	s_mov_b32 s3, 0
	s_mov_b32 s7, exec_lo
	s_delay_alu instid0(VALU_DEP_1)
	v_cmpx_lt_i16_e32 0x7f, v14
	s_xor_b32 s7, exec_lo, s7
	s_cbranch_execnz .LBB292_117
; %bb.37:
	s_or_saveexec_b32 s7, s7
	v_mov_b32_e32 v13, 0x7f800001
	s_xor_b32 exec_lo, exec_lo, s7
	s_cbranch_execnz .LBB292_120
.LBB292_38:
	s_or_b32 exec_lo, exec_lo, s7
	s_and_saveexec_b32 s7, s3
	s_cbranch_execz .LBB292_40
.LBB292_39:
	v_and_b32_e32 v13, 7, v8
	v_lshrrev_b16 v15, 3, v8
	s_delay_alu instid0(VALU_DEP_2) | instskip(NEXT) | instid1(VALU_DEP_1)
	v_clz_i32_u32_e32 v14, v13
	v_min_u32_e32 v14, 32, v14
	s_delay_alu instid0(VALU_DEP_3) | instskip(NEXT) | instid1(VALU_DEP_2)
	v_and_b32_e32 v15, 15, v15
	v_subrev_nc_u32_e32 v16, 28, v14
	v_sub_nc_u32_e32 v14, 29, v14
	s_delay_alu instid0(VALU_DEP_3) | instskip(NEXT) | instid1(VALU_DEP_2)
	v_cmp_eq_u32_e32 vcc_lo, 0, v15
	v_dual_lshlrev_b32 v16, v16, v8 :: v_dual_cndmask_b32 v14, v15, v14, vcc_lo
	s_delay_alu instid0(VALU_DEP_1) | instskip(NEXT) | instid1(VALU_DEP_2)
	v_and_b32_e32 v16, 7, v16
	v_lshl_add_u32 v14, v14, 23, 0x3b800000
	s_delay_alu instid0(VALU_DEP_2) | instskip(NEXT) | instid1(VALU_DEP_1)
	v_cndmask_b32_e32 v13, v13, v16, vcc_lo
	v_dual_lshlrev_b32 v17, 24, v8 :: v_dual_lshlrev_b32 v13, 20, v13
	s_delay_alu instid0(VALU_DEP_1) | instskip(NEXT) | instid1(VALU_DEP_1)
	v_and_b32_e32 v15, 0x80000000, v17
	v_or3_b32 v13, v15, v14, v13
.LBB292_40:
	s_or_b32 exec_lo, exec_lo, s7
	s_delay_alu instid0(VALU_DEP_1)
	v_cmp_neq_f32_e64 s3, v12, v13
	s_branch .LBB292_51
.LBB292_41:
                                        ; implicit-def: $sgpr3
	s_cbranch_execz .LBB292_51
; %bb.42:
	s_mov_b32 s3, 0
	s_mov_b32 s7, exec_lo
	v_cmpx_lt_i16_e32 0x7f, v11
	s_xor_b32 s7, exec_lo, s7
	s_cbranch_execnz .LBB292_145
; %bb.43:
	s_or_saveexec_b32 s7, s7
	v_mov_b32_e32 v12, 0x7f800001
	s_xor_b32 exec_lo, exec_lo, s7
	s_cbranch_execnz .LBB292_148
.LBB292_44:
	s_or_b32 exec_lo, exec_lo, s7
	s_and_saveexec_b32 s7, s3
	s_cbranch_execz .LBB292_46
.LBB292_45:
	v_and_b32_e32 v11, 7, v10
	v_lshrrev_b16 v13, 3, v10
	s_delay_alu instid0(VALU_DEP_2) | instskip(NEXT) | instid1(VALU_DEP_1)
	v_clz_i32_u32_e32 v12, v11
	v_min_u32_e32 v12, 32, v12
	s_delay_alu instid0(VALU_DEP_3) | instskip(NEXT) | instid1(VALU_DEP_2)
	v_and_b32_e32 v13, 15, v13
	v_subrev_nc_u32_e32 v14, 28, v12
	v_sub_nc_u32_e32 v12, 29, v12
	s_delay_alu instid0(VALU_DEP_3) | instskip(NEXT) | instid1(VALU_DEP_2)
	v_cmp_eq_u32_e32 vcc_lo, 0, v13
	v_dual_lshlrev_b32 v14, v14, v10 :: v_dual_cndmask_b32 v12, v13, v12, vcc_lo
	s_delay_alu instid0(VALU_DEP_1) | instskip(NEXT) | instid1(VALU_DEP_2)
	v_and_b32_e32 v14, 7, v14
	v_lshl_add_u32 v12, v12, 23, 0x3b800000
	s_delay_alu instid0(VALU_DEP_2) | instskip(NEXT) | instid1(VALU_DEP_1)
	v_cndmask_b32_e32 v11, v11, v14, vcc_lo
	v_dual_lshlrev_b32 v10, 24, v10 :: v_dual_lshlrev_b32 v11, 20, v11
	s_delay_alu instid0(VALU_DEP_1) | instskip(NEXT) | instid1(VALU_DEP_1)
	v_and_b32_e32 v10, 0x80000000, v10
	v_or3_b32 v12, v10, v12, v11
.LBB292_46:
	s_or_b32 exec_lo, exec_lo, s7
	v_and_b32_e32 v11, 0xff, v8
	s_mov_b32 s3, 0
	s_mov_b32 s7, exec_lo
	s_delay_alu instid0(VALU_DEP_1)
	v_cmpx_lt_i16_e32 0x7f, v11
	s_xor_b32 s7, exec_lo, s7
	s_cbranch_execnz .LBB292_149
; %bb.47:
	s_or_saveexec_b32 s7, s7
	v_mov_b32_e32 v10, 0x7f800001
	s_xor_b32 exec_lo, exec_lo, s7
	s_cbranch_execnz .LBB292_152
.LBB292_48:
	s_or_b32 exec_lo, exec_lo, s7
	s_and_saveexec_b32 s7, s3
	s_cbranch_execz .LBB292_50
.LBB292_49:
	v_and_b32_e32 v10, 7, v8
	v_lshrrev_b16 v13, 3, v8
	s_delay_alu instid0(VALU_DEP_2) | instskip(NEXT) | instid1(VALU_DEP_1)
	v_clz_i32_u32_e32 v11, v10
	v_min_u32_e32 v11, 32, v11
	s_delay_alu instid0(VALU_DEP_3) | instskip(NEXT) | instid1(VALU_DEP_2)
	v_and_b32_e32 v13, 15, v13
	v_subrev_nc_u32_e32 v14, 28, v11
	v_sub_nc_u32_e32 v11, 29, v11
	s_delay_alu instid0(VALU_DEP_3) | instskip(NEXT) | instid1(VALU_DEP_3)
	v_cmp_eq_u32_e32 vcc_lo, 0, v13
	v_dual_lshlrev_b32 v14, v14, v8 :: v_dual_lshlrev_b32 v8, 24, v8
	s_delay_alu instid0(VALU_DEP_1) | instskip(NEXT) | instid1(VALU_DEP_2)
	v_dual_cndmask_b32 v11, v13, v11, vcc_lo :: v_dual_bitop2_b32 v14, 7, v14 bitop3:0x40
	v_and_b32_e32 v8, 0x80000000, v8
	s_delay_alu instid0(VALU_DEP_2) | instskip(NEXT) | instid1(VALU_DEP_3)
	v_cndmask_b32_e32 v10, v10, v14, vcc_lo
	v_lshl_add_u32 v11, v11, 23, 0x3b800000
	s_delay_alu instid0(VALU_DEP_2) | instskip(NEXT) | instid1(VALU_DEP_1)
	v_lshlrev_b32_e32 v10, 20, v10
	v_or3_b32 v10, v8, v11, v10
.LBB292_50:
	s_or_b32 exec_lo, exec_lo, s7
	s_delay_alu instid0(VALU_DEP_1)
	v_cmp_eq_f32_e64 s3, v12, v10
.LBB292_51:
	s_delay_alu instid0(VALU_DEP_1) | instskip(NEXT) | instid1(VALU_DEP_1)
	v_cndmask_b32_e64 v8, 0, 1, s3
	v_lshlrev_b16 v8, 8, v8
	s_delay_alu instid0(VALU_DEP_1) | instskip(NEXT) | instid1(VALU_DEP_1)
	v_or_b32_e32 v5, v5, v8
	v_and_b32_e32 v5, 0xffff, v5
.LBB292_52:
	s_or_b32 exec_lo, exec_lo, s6
	v_or_b32_e32 v8, 0x200, v0
	s_mov_b32 s3, exec_lo
	s_delay_alu instid0(VALU_DEP_1)
	v_cmpx_gt_i32_e64 s2, v8
	s_cbranch_execz .LBB292_74
; %bb.53:
	v_cmp_ne_u32_e32 vcc_lo, 1, v9
	v_and_b32_e32 v8, 0xff, v7
	s_cbranch_vccnz .LBB292_63
; %bb.54:
	s_mov_b32 s6, 0
	s_mov_b32 s7, exec_lo
	s_delay_alu instid0(VALU_DEP_1)
	v_cmpx_lt_i16_e32 0x7f, v8
	s_xor_b32 s7, exec_lo, s7
	s_cbranch_execnz .LBB292_121
; %bb.55:
	s_or_saveexec_b32 s7, s7
	v_mov_b32_e32 v10, 0x7f800001
	s_xor_b32 exec_lo, exec_lo, s7
	s_cbranch_execnz .LBB292_124
.LBB292_56:
	s_or_b32 exec_lo, exec_lo, s7
	s_and_saveexec_b32 s7, s6
	s_cbranch_execz .LBB292_58
.LBB292_57:
	v_and_b32_e32 v10, 7, v7
	v_lshrrev_b16 v12, 3, v7
	v_lshlrev_b32_e32 v14, 24, v7
	s_delay_alu instid0(VALU_DEP_3) | instskip(NEXT) | instid1(VALU_DEP_1)
	v_clz_i32_u32_e32 v11, v10
	v_min_u32_e32 v11, 32, v11
	s_delay_alu instid0(VALU_DEP_4) | instskip(NEXT) | instid1(VALU_DEP_2)
	v_and_b32_e32 v12, 15, v12
	v_subrev_nc_u32_e32 v13, 28, v11
	v_sub_nc_u32_e32 v11, 29, v11
	s_delay_alu instid0(VALU_DEP_3) | instskip(NEXT) | instid1(VALU_DEP_3)
	v_cmp_eq_u32_e32 vcc_lo, 0, v12
	v_lshlrev_b32_e32 v13, v13, v7
	s_delay_alu instid0(VALU_DEP_1) | instskip(SKIP_1) | instid1(VALU_DEP_2)
	v_dual_cndmask_b32 v11, v12, v11, vcc_lo :: v_dual_bitop2_b32 v13, 7, v13 bitop3:0x40
	v_and_b32_e32 v12, 0x80000000, v14
	v_cndmask_b32_e32 v10, v10, v13, vcc_lo
	s_delay_alu instid0(VALU_DEP_3) | instskip(NEXT) | instid1(VALU_DEP_2)
	v_lshl_add_u32 v11, v11, 23, 0x3b800000
	v_lshlrev_b32_e32 v10, 20, v10
	s_delay_alu instid0(VALU_DEP_1)
	v_or3_b32 v10, v12, v11, v10
.LBB292_58:
	s_or_b32 exec_lo, exec_lo, s7
	v_and_b32_e32 v12, 0xff, v6
	s_mov_b32 s6, 0
	s_mov_b32 s7, exec_lo
	s_delay_alu instid0(VALU_DEP_1)
	v_cmpx_lt_i16_e32 0x7f, v12
	s_xor_b32 s7, exec_lo, s7
	s_cbranch_execnz .LBB292_125
; %bb.59:
	s_or_saveexec_b32 s7, s7
	v_mov_b32_e32 v11, 0x7f800001
	s_xor_b32 exec_lo, exec_lo, s7
	s_cbranch_execnz .LBB292_128
.LBB292_60:
	s_or_b32 exec_lo, exec_lo, s7
	s_and_saveexec_b32 s7, s6
	s_cbranch_execz .LBB292_62
.LBB292_61:
	v_and_b32_e32 v11, 7, v6
	v_lshrrev_b16 v13, 3, v6
	s_delay_alu instid0(VALU_DEP_2) | instskip(NEXT) | instid1(VALU_DEP_1)
	v_clz_i32_u32_e32 v12, v11
	v_min_u32_e32 v12, 32, v12
	s_delay_alu instid0(VALU_DEP_3) | instskip(NEXT) | instid1(VALU_DEP_2)
	v_and_b32_e32 v13, 15, v13
	v_subrev_nc_u32_e32 v14, 28, v12
	v_sub_nc_u32_e32 v12, 29, v12
	s_delay_alu instid0(VALU_DEP_3) | instskip(NEXT) | instid1(VALU_DEP_2)
	v_cmp_eq_u32_e32 vcc_lo, 0, v13
	v_dual_lshlrev_b32 v14, v14, v6 :: v_dual_cndmask_b32 v12, v13, v12, vcc_lo
	s_delay_alu instid0(VALU_DEP_1) | instskip(NEXT) | instid1(VALU_DEP_2)
	v_and_b32_e32 v14, 7, v14
	v_lshl_add_u32 v12, v12, 23, 0x3b800000
	s_delay_alu instid0(VALU_DEP_2) | instskip(NEXT) | instid1(VALU_DEP_1)
	v_cndmask_b32_e32 v11, v11, v14, vcc_lo
	v_dual_lshlrev_b32 v15, 24, v6 :: v_dual_lshlrev_b32 v11, 20, v11
	s_delay_alu instid0(VALU_DEP_1) | instskip(NEXT) | instid1(VALU_DEP_1)
	v_and_b32_e32 v13, 0x80000000, v15
	v_or3_b32 v11, v13, v12, v11
.LBB292_62:
	s_or_b32 exec_lo, exec_lo, s7
	s_delay_alu instid0(VALU_DEP_1)
	v_cmp_neq_f32_e64 s6, v10, v11
	s_branch .LBB292_73
.LBB292_63:
                                        ; implicit-def: $sgpr6
	s_cbranch_execz .LBB292_73
; %bb.64:
	s_mov_b32 s6, 0
	s_mov_b32 s7, exec_lo
	v_cmpx_lt_i16_e32 0x7f, v8
	s_xor_b32 s7, exec_lo, s7
	s_cbranch_execnz .LBB292_153
; %bb.65:
	s_or_saveexec_b32 s7, s7
	v_mov_b32_e32 v10, 0x7f800001
	s_xor_b32 exec_lo, exec_lo, s7
	s_cbranch_execnz .LBB292_156
.LBB292_66:
	s_or_b32 exec_lo, exec_lo, s7
	s_and_saveexec_b32 s7, s6
	s_cbranch_execz .LBB292_68
.LBB292_67:
	v_and_b32_e32 v8, 7, v7
	v_lshrrev_b16 v11, 3, v7
	s_delay_alu instid0(VALU_DEP_2) | instskip(NEXT) | instid1(VALU_DEP_1)
	v_clz_i32_u32_e32 v10, v8
	v_min_u32_e32 v10, 32, v10
	s_delay_alu instid0(VALU_DEP_3) | instskip(NEXT) | instid1(VALU_DEP_2)
	v_and_b32_e32 v11, 15, v11
	v_subrev_nc_u32_e32 v12, 28, v10
	v_sub_nc_u32_e32 v10, 29, v10
	s_delay_alu instid0(VALU_DEP_3) | instskip(NEXT) | instid1(VALU_DEP_3)
	v_cmp_eq_u32_e32 vcc_lo, 0, v11
	v_dual_lshlrev_b32 v12, v12, v7 :: v_dual_lshlrev_b32 v7, 24, v7
	s_delay_alu instid0(VALU_DEP_1) | instskip(NEXT) | instid1(VALU_DEP_2)
	v_dual_cndmask_b32 v10, v11, v10, vcc_lo :: v_dual_bitop2_b32 v12, 7, v12 bitop3:0x40
	v_and_b32_e32 v7, 0x80000000, v7
	s_delay_alu instid0(VALU_DEP_2) | instskip(NEXT) | instid1(VALU_DEP_3)
	v_cndmask_b32_e32 v8, v8, v12, vcc_lo
	v_lshl_add_u32 v10, v10, 23, 0x3b800000
	s_delay_alu instid0(VALU_DEP_2) | instskip(NEXT) | instid1(VALU_DEP_1)
	v_lshlrev_b32_e32 v8, 20, v8
	v_or3_b32 v10, v7, v10, v8
.LBB292_68:
	s_or_b32 exec_lo, exec_lo, s7
	v_and_b32_e32 v8, 0xff, v6
	s_mov_b32 s6, 0
	s_mov_b32 s7, exec_lo
	s_delay_alu instid0(VALU_DEP_1)
	v_cmpx_lt_i16_e32 0x7f, v8
	s_xor_b32 s7, exec_lo, s7
	s_cbranch_execnz .LBB292_157
; %bb.69:
	s_or_saveexec_b32 s7, s7
	v_mov_b32_e32 v7, 0x7f800001
	s_xor_b32 exec_lo, exec_lo, s7
	s_cbranch_execnz .LBB292_160
.LBB292_70:
	s_or_b32 exec_lo, exec_lo, s7
	s_and_saveexec_b32 s7, s6
	s_cbranch_execz .LBB292_72
.LBB292_71:
	v_and_b32_e32 v7, 7, v6
	v_lshrrev_b16 v11, 3, v6
	s_delay_alu instid0(VALU_DEP_2) | instskip(NEXT) | instid1(VALU_DEP_1)
	v_clz_i32_u32_e32 v8, v7
	v_min_u32_e32 v8, 32, v8
	s_delay_alu instid0(VALU_DEP_3) | instskip(NEXT) | instid1(VALU_DEP_2)
	v_and_b32_e32 v11, 15, v11
	v_subrev_nc_u32_e32 v12, 28, v8
	v_sub_nc_u32_e32 v8, 29, v8
	s_delay_alu instid0(VALU_DEP_3) | instskip(NEXT) | instid1(VALU_DEP_3)
	v_cmp_eq_u32_e32 vcc_lo, 0, v11
	v_dual_lshlrev_b32 v12, v12, v6 :: v_dual_lshlrev_b32 v6, 24, v6
	s_delay_alu instid0(VALU_DEP_1) | instskip(NEXT) | instid1(VALU_DEP_2)
	v_and_b32_e32 v12, 7, v12
	v_and_b32_e32 v6, 0x80000000, v6
	s_delay_alu instid0(VALU_DEP_2) | instskip(NEXT) | instid1(VALU_DEP_1)
	v_cndmask_b32_e32 v7, v7, v12, vcc_lo
	v_dual_cndmask_b32 v8, v11, v8 :: v_dual_lshlrev_b32 v7, 20, v7
	s_delay_alu instid0(VALU_DEP_1) | instskip(NEXT) | instid1(VALU_DEP_1)
	v_lshl_add_u32 v8, v8, 23, 0x3b800000
	v_or3_b32 v7, v6, v8, v7
.LBB292_72:
	s_or_b32 exec_lo, exec_lo, s7
	s_delay_alu instid0(VALU_DEP_1)
	v_cmp_eq_f32_e64 s6, v10, v7
.LBB292_73:
	s_delay_alu instid0(VALU_DEP_1) | instskip(NEXT) | instid1(VALU_DEP_1)
	v_cndmask_b32_e64 v6, 0, 1, s6
	v_lshl_or_b32 v5, v6, 16, v5
.LBB292_74:
	s_or_b32 exec_lo, exec_lo, s3
	v_or_b32_e32 v6, 0x300, v0
	s_mov_b32 s3, exec_lo
	s_delay_alu instid0(VALU_DEP_1)
	v_cmpx_gt_i32_e64 s2, v6
	s_cbranch_execz .LBB292_96
; %bb.75:
	v_cmp_ne_u32_e32 vcc_lo, 1, v9
	v_and_b32_e32 v6, 0xff, v4
	s_cbranch_vccnz .LBB292_85
; %bb.76:
	s_mov_b32 s6, 0
	s_mov_b32 s7, exec_lo
	s_delay_alu instid0(VALU_DEP_1)
	v_cmpx_lt_i16_e32 0x7f, v6
	s_xor_b32 s7, exec_lo, s7
	s_cbranch_execnz .LBB292_129
; %bb.77:
	s_or_saveexec_b32 s7, s7
	v_mov_b32_e32 v7, 0x7f800001
	s_xor_b32 exec_lo, exec_lo, s7
	s_cbranch_execnz .LBB292_132
.LBB292_78:
	s_or_b32 exec_lo, exec_lo, s7
	s_and_saveexec_b32 s7, s6
	s_cbranch_execz .LBB292_80
.LBB292_79:
	v_and_b32_e32 v7, 7, v4
	v_lshrrev_b16 v9, 3, v4
	v_lshlrev_b32_e32 v11, 24, v4
	s_delay_alu instid0(VALU_DEP_3) | instskip(NEXT) | instid1(VALU_DEP_1)
	v_clz_i32_u32_e32 v8, v7
	v_min_u32_e32 v8, 32, v8
	s_delay_alu instid0(VALU_DEP_4) | instskip(NEXT) | instid1(VALU_DEP_2)
	v_and_b32_e32 v9, 15, v9
	v_subrev_nc_u32_e32 v10, 28, v8
	v_sub_nc_u32_e32 v8, 29, v8
	s_delay_alu instid0(VALU_DEP_3) | instskip(NEXT) | instid1(VALU_DEP_3)
	v_cmp_eq_u32_e32 vcc_lo, 0, v9
	v_lshlrev_b32_e32 v10, v10, v4
	s_delay_alu instid0(VALU_DEP_1) | instskip(SKIP_1) | instid1(VALU_DEP_2)
	v_dual_cndmask_b32 v8, v9, v8, vcc_lo :: v_dual_bitop2_b32 v10, 7, v10 bitop3:0x40
	v_and_b32_e32 v9, 0x80000000, v11
	v_cndmask_b32_e32 v7, v7, v10, vcc_lo
	s_delay_alu instid0(VALU_DEP_3) | instskip(NEXT) | instid1(VALU_DEP_2)
	v_lshl_add_u32 v8, v8, 23, 0x3b800000
	v_lshlrev_b32_e32 v7, 20, v7
	s_delay_alu instid0(VALU_DEP_1)
	v_or3_b32 v7, v9, v8, v7
.LBB292_80:
	s_or_b32 exec_lo, exec_lo, s7
	v_and_b32_e32 v9, 0xff, v3
	s_mov_b32 s6, 0
	s_mov_b32 s7, exec_lo
	s_delay_alu instid0(VALU_DEP_1)
	v_cmpx_lt_i16_e32 0x7f, v9
	s_xor_b32 s7, exec_lo, s7
	s_cbranch_execnz .LBB292_133
; %bb.81:
	s_or_saveexec_b32 s7, s7
	v_mov_b32_e32 v8, 0x7f800001
	s_xor_b32 exec_lo, exec_lo, s7
	s_cbranch_execnz .LBB292_136
.LBB292_82:
	s_or_b32 exec_lo, exec_lo, s7
	s_and_saveexec_b32 s7, s6
	s_cbranch_execz .LBB292_84
.LBB292_83:
	v_and_b32_e32 v8, 7, v3
	v_lshrrev_b16 v10, 3, v3
	s_delay_alu instid0(VALU_DEP_2) | instskip(NEXT) | instid1(VALU_DEP_1)
	v_clz_i32_u32_e32 v9, v8
	v_min_u32_e32 v9, 32, v9
	s_delay_alu instid0(VALU_DEP_3) | instskip(NEXT) | instid1(VALU_DEP_2)
	v_and_b32_e32 v10, 15, v10
	v_subrev_nc_u32_e32 v11, 28, v9
	v_sub_nc_u32_e32 v9, 29, v9
	s_delay_alu instid0(VALU_DEP_3) | instskip(NEXT) | instid1(VALU_DEP_2)
	v_cmp_eq_u32_e32 vcc_lo, 0, v10
	v_dual_lshlrev_b32 v11, v11, v3 :: v_dual_cndmask_b32 v9, v10, v9, vcc_lo
	s_delay_alu instid0(VALU_DEP_1) | instskip(NEXT) | instid1(VALU_DEP_2)
	v_and_b32_e32 v11, 7, v11
	v_lshl_add_u32 v9, v9, 23, 0x3b800000
	s_delay_alu instid0(VALU_DEP_2) | instskip(NEXT) | instid1(VALU_DEP_1)
	v_cndmask_b32_e32 v8, v8, v11, vcc_lo
	v_dual_lshlrev_b32 v12, 24, v3 :: v_dual_lshlrev_b32 v8, 20, v8
	s_delay_alu instid0(VALU_DEP_1) | instskip(NEXT) | instid1(VALU_DEP_1)
	v_and_b32_e32 v10, 0x80000000, v12
	v_or3_b32 v8, v10, v9, v8
.LBB292_84:
	s_or_b32 exec_lo, exec_lo, s7
	s_delay_alu instid0(VALU_DEP_1)
	v_cmp_neq_f32_e64 s6, v7, v8
	s_branch .LBB292_95
.LBB292_85:
                                        ; implicit-def: $sgpr6
	s_cbranch_execz .LBB292_95
; %bb.86:
	s_mov_b32 s6, 0
	s_mov_b32 s7, exec_lo
	v_cmpx_lt_i16_e32 0x7f, v6
	s_xor_b32 s7, exec_lo, s7
	s_cbranch_execnz .LBB292_161
; %bb.87:
	s_or_saveexec_b32 s7, s7
	v_mov_b32_e32 v7, 0x7f800001
	s_xor_b32 exec_lo, exec_lo, s7
	s_cbranch_execnz .LBB292_164
.LBB292_88:
	s_or_b32 exec_lo, exec_lo, s7
	s_and_saveexec_b32 s7, s6
	s_cbranch_execz .LBB292_90
.LBB292_89:
	v_and_b32_e32 v6, 7, v4
	v_lshrrev_b16 v8, 3, v4
	s_delay_alu instid0(VALU_DEP_2) | instskip(NEXT) | instid1(VALU_DEP_1)
	v_clz_i32_u32_e32 v7, v6
	v_min_u32_e32 v7, 32, v7
	s_delay_alu instid0(VALU_DEP_3) | instskip(NEXT) | instid1(VALU_DEP_2)
	v_and_b32_e32 v8, 15, v8
	v_subrev_nc_u32_e32 v9, 28, v7
	v_sub_nc_u32_e32 v7, 29, v7
	s_delay_alu instid0(VALU_DEP_3) | instskip(NEXT) | instid1(VALU_DEP_3)
	v_cmp_eq_u32_e32 vcc_lo, 0, v8
	v_dual_lshlrev_b32 v9, v9, v4 :: v_dual_lshlrev_b32 v4, 24, v4
	s_delay_alu instid0(VALU_DEP_1) | instskip(NEXT) | instid1(VALU_DEP_2)
	v_dual_cndmask_b32 v7, v8, v7, vcc_lo :: v_dual_bitop2_b32 v9, 7, v9 bitop3:0x40
	v_and_b32_e32 v4, 0x80000000, v4
	s_delay_alu instid0(VALU_DEP_2) | instskip(NEXT) | instid1(VALU_DEP_3)
	v_cndmask_b32_e32 v6, v6, v9, vcc_lo
	v_lshl_add_u32 v7, v7, 23, 0x3b800000
	s_delay_alu instid0(VALU_DEP_2) | instskip(NEXT) | instid1(VALU_DEP_1)
	v_lshlrev_b32_e32 v6, 20, v6
	v_or3_b32 v7, v4, v7, v6
.LBB292_90:
	s_or_b32 exec_lo, exec_lo, s7
	v_and_b32_e32 v6, 0xff, v3
	s_mov_b32 s6, 0
	s_mov_b32 s7, exec_lo
	s_delay_alu instid0(VALU_DEP_1)
	v_cmpx_lt_i16_e32 0x7f, v6
	s_xor_b32 s7, exec_lo, s7
	s_cbranch_execnz .LBB292_165
; %bb.91:
	s_or_saveexec_b32 s7, s7
	v_mov_b32_e32 v4, 0x7f800001
	s_xor_b32 exec_lo, exec_lo, s7
	s_cbranch_execnz .LBB292_168
.LBB292_92:
	s_or_b32 exec_lo, exec_lo, s7
	s_and_saveexec_b32 s7, s6
	s_cbranch_execz .LBB292_94
.LBB292_93:
	v_and_b32_e32 v4, 7, v3
	v_lshrrev_b16 v8, 3, v3
	s_delay_alu instid0(VALU_DEP_2) | instskip(NEXT) | instid1(VALU_DEP_1)
	v_clz_i32_u32_e32 v6, v4
	v_min_u32_e32 v6, 32, v6
	s_delay_alu instid0(VALU_DEP_3) | instskip(NEXT) | instid1(VALU_DEP_2)
	v_and_b32_e32 v8, 15, v8
	v_subrev_nc_u32_e32 v9, 28, v6
	v_sub_nc_u32_e32 v6, 29, v6
	s_delay_alu instid0(VALU_DEP_3) | instskip(NEXT) | instid1(VALU_DEP_3)
	v_cmp_eq_u32_e32 vcc_lo, 0, v8
	v_dual_lshlrev_b32 v9, v9, v3 :: v_dual_lshlrev_b32 v3, 24, v3
	s_delay_alu instid0(VALU_DEP_1) | instskip(NEXT) | instid1(VALU_DEP_2)
	v_and_b32_e32 v9, 7, v9
	v_and_b32_e32 v3, 0x80000000, v3
	s_delay_alu instid0(VALU_DEP_2) | instskip(NEXT) | instid1(VALU_DEP_1)
	v_cndmask_b32_e32 v4, v4, v9, vcc_lo
	v_dual_cndmask_b32 v6, v8, v6, vcc_lo :: v_dual_lshlrev_b32 v4, 20, v4
	s_delay_alu instid0(VALU_DEP_1) | instskip(NEXT) | instid1(VALU_DEP_1)
	v_lshl_add_u32 v6, v6, 23, 0x3b800000
	v_or3_b32 v4, v3, v6, v4
.LBB292_94:
	s_or_b32 exec_lo, exec_lo, s7
	s_delay_alu instid0(VALU_DEP_1)
	v_cmp_eq_f32_e64 s6, v7, v4
.LBB292_95:
	s_delay_alu instid0(VALU_DEP_1) | instskip(SKIP_1) | instid1(VALU_DEP_2)
	v_cndmask_b32_e64 v3, 0, 1, s6
	v_lshrrev_b32_e32 v4, 16, v5
	v_lshlrev_b16 v3, 8, v3
	s_delay_alu instid0(VALU_DEP_1) | instskip(NEXT) | instid1(VALU_DEP_1)
	v_or_b32_e32 v3, v4, v3
	v_lshlrev_b32_e32 v3, 16, v3
	s_delay_alu instid0(VALU_DEP_1)
	v_and_or_b32 v5, 0xffff, v5, v3
.LBB292_96:
	s_or_b32 exec_lo, exec_lo, s3
	s_and_saveexec_b32 s3, s0
	s_delay_alu instid0(SALU_CYCLE_1)
	s_xor_b32 s0, exec_lo, s3
	s_cbranch_execz .LBB292_98
; %bb.97:
	v_mov_b32_e32 v0, v1
	global_store_b8 v2, v5, s[4:5]
.LBB292_98:
	s_wait_xcnt 0x0
	s_or_b32 exec_lo, exec_lo, s0
	s_delay_alu instid0(SALU_CYCLE_1)
	s_mov_b32 s0, exec_lo
	v_cmpx_gt_i32_e64 s2, v0
	s_cbranch_execnz .LBB292_102
; %bb.99:
	s_or_b32 exec_lo, exec_lo, s0
	s_delay_alu instid0(SALU_CYCLE_1)
	s_mov_b32 s0, exec_lo
	v_cmpx_gt_i32_e64 s2, v0
	s_cbranch_execnz .LBB292_103
.LBB292_100:
	s_or_b32 exec_lo, exec_lo, s0
	s_delay_alu instid0(SALU_CYCLE_1)
	s_mov_b32 s0, exec_lo
	v_cmpx_gt_i32_e64 s2, v0
	s_cbranch_execnz .LBB292_104
.LBB292_101:
	s_endpgm
.LBB292_102:
	v_add_nc_u32_e32 v1, 0x100, v0
	v_dual_add_nc_u32 v2, s1, v0 :: v_dual_lshrrev_b32 v3, 8, v5
	s_delay_alu instid0(VALU_DEP_2) | instskip(SKIP_3) | instid1(SALU_CYCLE_1)
	v_mov_b32_e32 v0, v1
	global_store_b8 v2, v3, s[4:5]
	s_wait_xcnt 0x0
	s_or_b32 exec_lo, exec_lo, s0
	s_mov_b32 s0, exec_lo
	v_cmpx_gt_i32_e64 s2, v0
	s_cbranch_execz .LBB292_100
.LBB292_103:
	v_add_nc_u32_e32 v1, 0x100, v0
	s_delay_alu instid0(VALU_DEP_1) | instskip(SKIP_3) | instid1(SALU_CYCLE_1)
	v_dual_add_nc_u32 v2, s1, v0 :: v_dual_mov_b32 v0, v1
	global_store_d16_hi_b8 v2, v5, s[4:5]
	s_wait_xcnt 0x0
	s_or_b32 exec_lo, exec_lo, s0
	s_mov_b32 s0, exec_lo
	v_cmpx_gt_i32_e64 s2, v0
	s_cbranch_execz .LBB292_101
.LBB292_104:
	v_dual_add_nc_u32 v0, s1, v0 :: v_dual_lshrrev_b32 v1, 24, v5
	global_store_b8 v0, v1, s[4:5]
	s_endpgm
.LBB292_105:
	s_mov_b32 s7, -1
	s_mov_b32 s9, exec_lo
	v_cmpx_eq_u16_e32 0x80, v5
; %bb.106:
	s_xor_b32 s7, exec_lo, -1
; %bb.107:
	s_or_b32 exec_lo, exec_lo, s9
	s_delay_alu instid0(SALU_CYCLE_1)
	s_and_b32 s7, s7, exec_lo
	s_or_saveexec_b32 s8, s8
	v_mov_b32_e32 v12, 0x7f800001
	s_xor_b32 exec_lo, exec_lo, s8
	s_cbranch_execz .LBB292_12
.LBB292_108:
	v_cmp_ne_u16_e32 vcc_lo, 0, v5
	v_mov_b32_e32 v12, 0
	s_and_not1_b32 s7, s7, exec_lo
	s_and_b32 s9, vcc_lo, exec_lo
	s_delay_alu instid0(SALU_CYCLE_1)
	s_or_b32 s7, s7, s9
	s_or_b32 exec_lo, exec_lo, s8
	s_and_saveexec_b32 s8, s7
	s_cbranch_execnz .LBB292_13
	s_branch .LBB292_14
.LBB292_109:
	s_mov_b32 s7, -1
	s_mov_b32 s9, exec_lo
	v_cmpx_eq_u16_e32 0x80, v14
; %bb.110:
	s_xor_b32 s7, exec_lo, -1
; %bb.111:
	s_or_b32 exec_lo, exec_lo, s9
	s_delay_alu instid0(SALU_CYCLE_1)
	s_and_b32 s7, s7, exec_lo
                                        ; implicit-def: $vgpr14
	s_or_saveexec_b32 s8, s8
	v_mov_b32_e32 v13, 0x7f800001
	s_xor_b32 exec_lo, exec_lo, s8
	s_cbranch_execz .LBB292_16
.LBB292_112:
	v_cmp_ne_u16_e32 vcc_lo, 0, v14
	v_mov_b32_e32 v13, 0
	s_and_not1_b32 s7, s7, exec_lo
	s_and_b32 s9, vcc_lo, exec_lo
	s_delay_alu instid0(SALU_CYCLE_1)
	s_or_b32 s7, s7, s9
	s_or_b32 exec_lo, exec_lo, s8
	s_and_saveexec_b32 s8, s7
	s_cbranch_execnz .LBB292_17
	s_branch .LBB292_18
.LBB292_113:
	s_mov_b32 s3, -1
	s_mov_b32 s8, exec_lo
	v_cmpx_eq_u16_e32 0x80, v11
; %bb.114:
	s_xor_b32 s3, exec_lo, -1
; %bb.115:
	s_or_b32 exec_lo, exec_lo, s8
	s_delay_alu instid0(SALU_CYCLE_1)
	s_and_b32 s3, s3, exec_lo
	s_or_saveexec_b32 s7, s7
	v_mov_b32_e32 v12, 0x7f800001
	s_xor_b32 exec_lo, exec_lo, s7
	s_cbranch_execz .LBB292_34
.LBB292_116:
	v_cmp_ne_u16_e32 vcc_lo, 0, v11
	v_mov_b32_e32 v12, 0
	s_and_not1_b32 s3, s3, exec_lo
	s_and_b32 s8, vcc_lo, exec_lo
	s_delay_alu instid0(SALU_CYCLE_1)
	s_or_b32 s3, s3, s8
	s_or_b32 exec_lo, exec_lo, s7
	s_and_saveexec_b32 s7, s3
	s_cbranch_execnz .LBB292_35
	s_branch .LBB292_36
.LBB292_117:
	s_mov_b32 s3, -1
	s_mov_b32 s8, exec_lo
	v_cmpx_eq_u16_e32 0x80, v14
; %bb.118:
	s_xor_b32 s3, exec_lo, -1
; %bb.119:
	s_or_b32 exec_lo, exec_lo, s8
	s_delay_alu instid0(SALU_CYCLE_1)
	s_and_b32 s3, s3, exec_lo
                                        ; implicit-def: $vgpr14
	s_or_saveexec_b32 s7, s7
	v_mov_b32_e32 v13, 0x7f800001
	s_xor_b32 exec_lo, exec_lo, s7
	s_cbranch_execz .LBB292_38
.LBB292_120:
	v_cmp_ne_u16_e32 vcc_lo, 0, v14
	v_mov_b32_e32 v13, 0
	s_and_not1_b32 s3, s3, exec_lo
	s_and_b32 s8, vcc_lo, exec_lo
	s_delay_alu instid0(SALU_CYCLE_1)
	s_or_b32 s3, s3, s8
	s_or_b32 exec_lo, exec_lo, s7
	s_and_saveexec_b32 s7, s3
	s_cbranch_execnz .LBB292_39
	s_branch .LBB292_40
.LBB292_121:
	s_mov_b32 s6, -1
	s_mov_b32 s8, exec_lo
	v_cmpx_eq_u16_e32 0x80, v8
; %bb.122:
	s_xor_b32 s6, exec_lo, -1
; %bb.123:
	s_or_b32 exec_lo, exec_lo, s8
	s_delay_alu instid0(SALU_CYCLE_1)
	s_and_b32 s6, s6, exec_lo
	s_or_saveexec_b32 s7, s7
	v_mov_b32_e32 v10, 0x7f800001
	s_xor_b32 exec_lo, exec_lo, s7
	s_cbranch_execz .LBB292_56
.LBB292_124:
	v_cmp_ne_u16_e32 vcc_lo, 0, v8
	v_mov_b32_e32 v10, 0
	s_and_not1_b32 s6, s6, exec_lo
	s_and_b32 s8, vcc_lo, exec_lo
	s_delay_alu instid0(SALU_CYCLE_1)
	s_or_b32 s6, s6, s8
	s_or_b32 exec_lo, exec_lo, s7
	s_and_saveexec_b32 s7, s6
	s_cbranch_execnz .LBB292_57
	s_branch .LBB292_58
.LBB292_125:
	s_mov_b32 s6, -1
	s_mov_b32 s8, exec_lo
	v_cmpx_eq_u16_e32 0x80, v12
; %bb.126:
	s_xor_b32 s6, exec_lo, -1
; %bb.127:
	s_or_b32 exec_lo, exec_lo, s8
	s_delay_alu instid0(SALU_CYCLE_1)
	s_and_b32 s6, s6, exec_lo
                                        ; implicit-def: $vgpr12
	s_or_saveexec_b32 s7, s7
	v_mov_b32_e32 v11, 0x7f800001
	s_xor_b32 exec_lo, exec_lo, s7
	s_cbranch_execz .LBB292_60
.LBB292_128:
	v_cmp_ne_u16_e32 vcc_lo, 0, v12
	v_mov_b32_e32 v11, 0
	s_and_not1_b32 s6, s6, exec_lo
	s_and_b32 s8, vcc_lo, exec_lo
	s_delay_alu instid0(SALU_CYCLE_1)
	s_or_b32 s6, s6, s8
	s_or_b32 exec_lo, exec_lo, s7
	s_and_saveexec_b32 s7, s6
	s_cbranch_execnz .LBB292_61
	s_branch .LBB292_62
.LBB292_129:
	s_mov_b32 s6, -1
	s_mov_b32 s8, exec_lo
	v_cmpx_eq_u16_e32 0x80, v6
; %bb.130:
	s_xor_b32 s6, exec_lo, -1
; %bb.131:
	s_or_b32 exec_lo, exec_lo, s8
	s_delay_alu instid0(SALU_CYCLE_1)
	s_and_b32 s6, s6, exec_lo
	s_or_saveexec_b32 s7, s7
	v_mov_b32_e32 v7, 0x7f800001
	s_xor_b32 exec_lo, exec_lo, s7
	s_cbranch_execz .LBB292_78
.LBB292_132:
	v_cmp_ne_u16_e32 vcc_lo, 0, v6
	v_mov_b32_e32 v7, 0
	s_and_not1_b32 s6, s6, exec_lo
	s_and_b32 s8, vcc_lo, exec_lo
	s_delay_alu instid0(SALU_CYCLE_1)
	s_or_b32 s6, s6, s8
	s_or_b32 exec_lo, exec_lo, s7
	s_and_saveexec_b32 s7, s6
	s_cbranch_execnz .LBB292_79
	s_branch .LBB292_80
.LBB292_133:
	s_mov_b32 s6, -1
	s_mov_b32 s8, exec_lo
	v_cmpx_eq_u16_e32 0x80, v9
; %bb.134:
	s_xor_b32 s6, exec_lo, -1
; %bb.135:
	s_or_b32 exec_lo, exec_lo, s8
	s_delay_alu instid0(SALU_CYCLE_1)
	s_and_b32 s6, s6, exec_lo
                                        ; implicit-def: $vgpr9
	s_or_saveexec_b32 s7, s7
	v_mov_b32_e32 v8, 0x7f800001
	s_xor_b32 exec_lo, exec_lo, s7
	s_cbranch_execz .LBB292_82
.LBB292_136:
	v_cmp_ne_u16_e32 vcc_lo, 0, v9
	v_mov_b32_e32 v8, 0
	s_and_not1_b32 s6, s6, exec_lo
	s_and_b32 s8, vcc_lo, exec_lo
	s_delay_alu instid0(SALU_CYCLE_1)
	s_or_b32 s6, s6, s8
	s_or_b32 exec_lo, exec_lo, s7
	s_and_saveexec_b32 s7, s6
	s_cbranch_execnz .LBB292_83
	s_branch .LBB292_84
.LBB292_137:
	s_mov_b32 s7, -1
	s_mov_b32 s9, exec_lo
	v_cmpx_eq_u16_e32 0x80, v5
; %bb.138:
	s_xor_b32 s7, exec_lo, -1
; %bb.139:
	s_or_b32 exec_lo, exec_lo, s9
	s_delay_alu instid0(SALU_CYCLE_1)
	s_and_b32 s7, s7, exec_lo
                                        ; implicit-def: $vgpr5
	s_or_saveexec_b32 s8, s8
	v_mov_b32_e32 v12, 0x7f800001
	s_xor_b32 exec_lo, exec_lo, s8
	s_cbranch_execz .LBB292_22
.LBB292_140:
	v_cmp_ne_u16_e32 vcc_lo, 0, v5
	v_mov_b32_e32 v12, 0
	s_and_not1_b32 s7, s7, exec_lo
	s_and_b32 s9, vcc_lo, exec_lo
	s_delay_alu instid0(SALU_CYCLE_1)
	s_or_b32 s7, s7, s9
	s_or_b32 exec_lo, exec_lo, s8
	s_and_saveexec_b32 s8, s7
	s_cbranch_execnz .LBB292_23
	s_branch .LBB292_24
.LBB292_141:
	s_mov_b32 s7, -1
	s_mov_b32 s9, exec_lo
	v_cmpx_eq_u16_e32 0x80, v11
; %bb.142:
	s_xor_b32 s7, exec_lo, -1
; %bb.143:
	s_or_b32 exec_lo, exec_lo, s9
	s_delay_alu instid0(SALU_CYCLE_1)
	s_and_b32 s7, s7, exec_lo
                                        ; implicit-def: $vgpr11
	s_or_saveexec_b32 s8, s8
	v_mov_b32_e32 v5, 0x7f800001
	s_xor_b32 exec_lo, exec_lo, s8
	s_cbranch_execz .LBB292_26
.LBB292_144:
	v_cmp_ne_u16_e32 vcc_lo, 0, v11
	v_mov_b32_e32 v5, 0
	s_and_not1_b32 s7, s7, exec_lo
	s_and_b32 s9, vcc_lo, exec_lo
	s_delay_alu instid0(SALU_CYCLE_1)
	s_or_b32 s7, s7, s9
	s_or_b32 exec_lo, exec_lo, s8
	s_and_saveexec_b32 s8, s7
	s_cbranch_execnz .LBB292_27
	s_branch .LBB292_28
.LBB292_145:
	s_mov_b32 s3, -1
	s_mov_b32 s8, exec_lo
	v_cmpx_eq_u16_e32 0x80, v11
; %bb.146:
	s_xor_b32 s3, exec_lo, -1
; %bb.147:
	s_or_b32 exec_lo, exec_lo, s8
	s_delay_alu instid0(SALU_CYCLE_1)
	s_and_b32 s3, s3, exec_lo
                                        ; implicit-def: $vgpr11
	s_or_saveexec_b32 s7, s7
	v_mov_b32_e32 v12, 0x7f800001
	s_xor_b32 exec_lo, exec_lo, s7
	s_cbranch_execz .LBB292_44
.LBB292_148:
	v_cmp_ne_u16_e32 vcc_lo, 0, v11
	v_mov_b32_e32 v12, 0
	s_and_not1_b32 s3, s3, exec_lo
	s_and_b32 s8, vcc_lo, exec_lo
	s_delay_alu instid0(SALU_CYCLE_1)
	s_or_b32 s3, s3, s8
	s_or_b32 exec_lo, exec_lo, s7
	s_and_saveexec_b32 s7, s3
	s_cbranch_execnz .LBB292_45
	s_branch .LBB292_46
.LBB292_149:
	s_mov_b32 s3, -1
	s_mov_b32 s8, exec_lo
	v_cmpx_eq_u16_e32 0x80, v11
; %bb.150:
	s_xor_b32 s3, exec_lo, -1
; %bb.151:
	s_or_b32 exec_lo, exec_lo, s8
	s_delay_alu instid0(SALU_CYCLE_1)
	s_and_b32 s3, s3, exec_lo
                                        ; implicit-def: $vgpr11
	s_or_saveexec_b32 s7, s7
	v_mov_b32_e32 v10, 0x7f800001
	s_xor_b32 exec_lo, exec_lo, s7
	s_cbranch_execz .LBB292_48
.LBB292_152:
	v_cmp_ne_u16_e32 vcc_lo, 0, v11
	v_mov_b32_e32 v10, 0
	s_and_not1_b32 s3, s3, exec_lo
	s_and_b32 s8, vcc_lo, exec_lo
	s_delay_alu instid0(SALU_CYCLE_1)
	s_or_b32 s3, s3, s8
	s_or_b32 exec_lo, exec_lo, s7
	s_and_saveexec_b32 s7, s3
	s_cbranch_execnz .LBB292_49
	s_branch .LBB292_50
.LBB292_153:
	s_mov_b32 s6, -1
	s_mov_b32 s8, exec_lo
	v_cmpx_eq_u16_e32 0x80, v8
; %bb.154:
	s_xor_b32 s6, exec_lo, -1
; %bb.155:
	s_or_b32 exec_lo, exec_lo, s8
	s_delay_alu instid0(SALU_CYCLE_1)
	s_and_b32 s6, s6, exec_lo
                                        ; implicit-def: $vgpr8
	s_or_saveexec_b32 s7, s7
	v_mov_b32_e32 v10, 0x7f800001
	s_xor_b32 exec_lo, exec_lo, s7
	s_cbranch_execz .LBB292_66
.LBB292_156:
	v_cmp_ne_u16_e32 vcc_lo, 0, v8
	v_mov_b32_e32 v10, 0
	s_and_not1_b32 s6, s6, exec_lo
	s_and_b32 s8, vcc_lo, exec_lo
	s_delay_alu instid0(SALU_CYCLE_1)
	s_or_b32 s6, s6, s8
	s_or_b32 exec_lo, exec_lo, s7
	s_and_saveexec_b32 s7, s6
	s_cbranch_execnz .LBB292_67
	s_branch .LBB292_68
.LBB292_157:
	s_mov_b32 s6, -1
	s_mov_b32 s8, exec_lo
	v_cmpx_eq_u16_e32 0x80, v8
; %bb.158:
	s_xor_b32 s6, exec_lo, -1
; %bb.159:
	s_or_b32 exec_lo, exec_lo, s8
	s_delay_alu instid0(SALU_CYCLE_1)
	s_and_b32 s6, s6, exec_lo
                                        ; implicit-def: $vgpr8
	s_or_saveexec_b32 s7, s7
	v_mov_b32_e32 v7, 0x7f800001
	s_xor_b32 exec_lo, exec_lo, s7
	s_cbranch_execz .LBB292_70
.LBB292_160:
	v_cmp_ne_u16_e32 vcc_lo, 0, v8
	v_mov_b32_e32 v7, 0
	s_and_not1_b32 s6, s6, exec_lo
	s_and_b32 s8, vcc_lo, exec_lo
	s_delay_alu instid0(SALU_CYCLE_1)
	s_or_b32 s6, s6, s8
	s_or_b32 exec_lo, exec_lo, s7
	s_and_saveexec_b32 s7, s6
	s_cbranch_execnz .LBB292_71
	s_branch .LBB292_72
.LBB292_161:
	s_mov_b32 s6, -1
	s_mov_b32 s8, exec_lo
	v_cmpx_eq_u16_e32 0x80, v6
; %bb.162:
	s_xor_b32 s6, exec_lo, -1
; %bb.163:
	s_or_b32 exec_lo, exec_lo, s8
	s_delay_alu instid0(SALU_CYCLE_1)
	s_and_b32 s6, s6, exec_lo
                                        ; implicit-def: $vgpr6
	s_or_saveexec_b32 s7, s7
	v_mov_b32_e32 v7, 0x7f800001
	s_xor_b32 exec_lo, exec_lo, s7
	s_cbranch_execz .LBB292_88
.LBB292_164:
	v_cmp_ne_u16_e32 vcc_lo, 0, v6
	v_mov_b32_e32 v7, 0
	s_and_not1_b32 s6, s6, exec_lo
	s_and_b32 s8, vcc_lo, exec_lo
	s_delay_alu instid0(SALU_CYCLE_1)
	s_or_b32 s6, s6, s8
	s_or_b32 exec_lo, exec_lo, s7
	s_and_saveexec_b32 s7, s6
	s_cbranch_execnz .LBB292_89
	s_branch .LBB292_90
.LBB292_165:
	s_mov_b32 s6, -1
	s_mov_b32 s8, exec_lo
	v_cmpx_eq_u16_e32 0x80, v6
; %bb.166:
	s_xor_b32 s6, exec_lo, -1
; %bb.167:
	s_or_b32 exec_lo, exec_lo, s8
	s_delay_alu instid0(SALU_CYCLE_1)
	s_and_b32 s6, s6, exec_lo
                                        ; implicit-def: $vgpr6
	s_or_saveexec_b32 s7, s7
	v_mov_b32_e32 v4, 0x7f800001
	s_xor_b32 exec_lo, exec_lo, s7
	s_cbranch_execz .LBB292_92
.LBB292_168:
	v_cmp_ne_u16_e32 vcc_lo, 0, v6
	v_mov_b32_e32 v4, 0
	s_and_not1_b32 s6, s6, exec_lo
	s_and_b32 s8, vcc_lo, exec_lo
	s_delay_alu instid0(SALU_CYCLE_1)
	s_or_b32 s6, s6, s8
	s_or_b32 exec_lo, exec_lo, s7
	s_and_saveexec_b32 s7, s6
	s_cbranch_execnz .LBB292_93
	s_branch .LBB292_94
	.section	.rodata,"a",@progbits
	.p2align	6, 0x0
	.amdhsa_kernel _ZN2at6native27unrolled_elementwise_kernelINS0_13BinaryFunctorIN3c1015Float8_e4m3fnuzES4_bNS0_12_GLOBAL__N_116CompareEqFunctorIS4_EEEESt5arrayIPcLm3EELi4E23TrivialOffsetCalculatorILi2EjESC_ILi1EjENS0_6memory15LoadWithoutCastENSF_16StoreWithoutCastEEEviT_T0_T2_T3_T4_T5_
		.amdhsa_group_segment_fixed_size 0
		.amdhsa_private_segment_fixed_size 0
		.amdhsa_kernarg_size 36
		.amdhsa_user_sgpr_count 2
		.amdhsa_user_sgpr_dispatch_ptr 0
		.amdhsa_user_sgpr_queue_ptr 0
		.amdhsa_user_sgpr_kernarg_segment_ptr 1
		.amdhsa_user_sgpr_dispatch_id 0
		.amdhsa_user_sgpr_kernarg_preload_length 0
		.amdhsa_user_sgpr_kernarg_preload_offset 0
		.amdhsa_user_sgpr_private_segment_size 0
		.amdhsa_wavefront_size32 1
		.amdhsa_uses_dynamic_stack 0
		.amdhsa_enable_private_segment 0
		.amdhsa_system_sgpr_workgroup_id_x 1
		.amdhsa_system_sgpr_workgroup_id_y 0
		.amdhsa_system_sgpr_workgroup_id_z 0
		.amdhsa_system_sgpr_workgroup_info 0
		.amdhsa_system_vgpr_workitem_id 0
		.amdhsa_next_free_vgpr 18
		.amdhsa_next_free_sgpr 14
		.amdhsa_named_barrier_count 0
		.amdhsa_reserve_vcc 1
		.amdhsa_float_round_mode_32 0
		.amdhsa_float_round_mode_16_64 0
		.amdhsa_float_denorm_mode_32 3
		.amdhsa_float_denorm_mode_16_64 3
		.amdhsa_fp16_overflow 0
		.amdhsa_memory_ordered 1
		.amdhsa_forward_progress 1
		.amdhsa_inst_pref_size 44
		.amdhsa_round_robin_scheduling 0
		.amdhsa_exception_fp_ieee_invalid_op 0
		.amdhsa_exception_fp_denorm_src 0
		.amdhsa_exception_fp_ieee_div_zero 0
		.amdhsa_exception_fp_ieee_overflow 0
		.amdhsa_exception_fp_ieee_underflow 0
		.amdhsa_exception_fp_ieee_inexact 0
		.amdhsa_exception_int_div_zero 0
	.end_amdhsa_kernel
	.section	.text._ZN2at6native27unrolled_elementwise_kernelINS0_13BinaryFunctorIN3c1015Float8_e4m3fnuzES4_bNS0_12_GLOBAL__N_116CompareEqFunctorIS4_EEEESt5arrayIPcLm3EELi4E23TrivialOffsetCalculatorILi2EjESC_ILi1EjENS0_6memory15LoadWithoutCastENSF_16StoreWithoutCastEEEviT_T0_T2_T3_T4_T5_,"axG",@progbits,_ZN2at6native27unrolled_elementwise_kernelINS0_13BinaryFunctorIN3c1015Float8_e4m3fnuzES4_bNS0_12_GLOBAL__N_116CompareEqFunctorIS4_EEEESt5arrayIPcLm3EELi4E23TrivialOffsetCalculatorILi2EjESC_ILi1EjENS0_6memory15LoadWithoutCastENSF_16StoreWithoutCastEEEviT_T0_T2_T3_T4_T5_,comdat
.Lfunc_end292:
	.size	_ZN2at6native27unrolled_elementwise_kernelINS0_13BinaryFunctorIN3c1015Float8_e4m3fnuzES4_bNS0_12_GLOBAL__N_116CompareEqFunctorIS4_EEEESt5arrayIPcLm3EELi4E23TrivialOffsetCalculatorILi2EjESC_ILi1EjENS0_6memory15LoadWithoutCastENSF_16StoreWithoutCastEEEviT_T0_T2_T3_T4_T5_, .Lfunc_end292-_ZN2at6native27unrolled_elementwise_kernelINS0_13BinaryFunctorIN3c1015Float8_e4m3fnuzES4_bNS0_12_GLOBAL__N_116CompareEqFunctorIS4_EEEESt5arrayIPcLm3EELi4E23TrivialOffsetCalculatorILi2EjESC_ILi1EjENS0_6memory15LoadWithoutCastENSF_16StoreWithoutCastEEEviT_T0_T2_T3_T4_T5_
                                        ; -- End function
	.set _ZN2at6native27unrolled_elementwise_kernelINS0_13BinaryFunctorIN3c1015Float8_e4m3fnuzES4_bNS0_12_GLOBAL__N_116CompareEqFunctorIS4_EEEESt5arrayIPcLm3EELi4E23TrivialOffsetCalculatorILi2EjESC_ILi1EjENS0_6memory15LoadWithoutCastENSF_16StoreWithoutCastEEEviT_T0_T2_T3_T4_T5_.num_vgpr, 18
	.set _ZN2at6native27unrolled_elementwise_kernelINS0_13BinaryFunctorIN3c1015Float8_e4m3fnuzES4_bNS0_12_GLOBAL__N_116CompareEqFunctorIS4_EEEESt5arrayIPcLm3EELi4E23TrivialOffsetCalculatorILi2EjESC_ILi1EjENS0_6memory15LoadWithoutCastENSF_16StoreWithoutCastEEEviT_T0_T2_T3_T4_T5_.num_agpr, 0
	.set _ZN2at6native27unrolled_elementwise_kernelINS0_13BinaryFunctorIN3c1015Float8_e4m3fnuzES4_bNS0_12_GLOBAL__N_116CompareEqFunctorIS4_EEEESt5arrayIPcLm3EELi4E23TrivialOffsetCalculatorILi2EjESC_ILi1EjENS0_6memory15LoadWithoutCastENSF_16StoreWithoutCastEEEviT_T0_T2_T3_T4_T5_.numbered_sgpr, 14
	.set _ZN2at6native27unrolled_elementwise_kernelINS0_13BinaryFunctorIN3c1015Float8_e4m3fnuzES4_bNS0_12_GLOBAL__N_116CompareEqFunctorIS4_EEEESt5arrayIPcLm3EELi4E23TrivialOffsetCalculatorILi2EjESC_ILi1EjENS0_6memory15LoadWithoutCastENSF_16StoreWithoutCastEEEviT_T0_T2_T3_T4_T5_.num_named_barrier, 0
	.set _ZN2at6native27unrolled_elementwise_kernelINS0_13BinaryFunctorIN3c1015Float8_e4m3fnuzES4_bNS0_12_GLOBAL__N_116CompareEqFunctorIS4_EEEESt5arrayIPcLm3EELi4E23TrivialOffsetCalculatorILi2EjESC_ILi1EjENS0_6memory15LoadWithoutCastENSF_16StoreWithoutCastEEEviT_T0_T2_T3_T4_T5_.private_seg_size, 0
	.set _ZN2at6native27unrolled_elementwise_kernelINS0_13BinaryFunctorIN3c1015Float8_e4m3fnuzES4_bNS0_12_GLOBAL__N_116CompareEqFunctorIS4_EEEESt5arrayIPcLm3EELi4E23TrivialOffsetCalculatorILi2EjESC_ILi1EjENS0_6memory15LoadWithoutCastENSF_16StoreWithoutCastEEEviT_T0_T2_T3_T4_T5_.uses_vcc, 1
	.set _ZN2at6native27unrolled_elementwise_kernelINS0_13BinaryFunctorIN3c1015Float8_e4m3fnuzES4_bNS0_12_GLOBAL__N_116CompareEqFunctorIS4_EEEESt5arrayIPcLm3EELi4E23TrivialOffsetCalculatorILi2EjESC_ILi1EjENS0_6memory15LoadWithoutCastENSF_16StoreWithoutCastEEEviT_T0_T2_T3_T4_T5_.uses_flat_scratch, 0
	.set _ZN2at6native27unrolled_elementwise_kernelINS0_13BinaryFunctorIN3c1015Float8_e4m3fnuzES4_bNS0_12_GLOBAL__N_116CompareEqFunctorIS4_EEEESt5arrayIPcLm3EELi4E23TrivialOffsetCalculatorILi2EjESC_ILi1EjENS0_6memory15LoadWithoutCastENSF_16StoreWithoutCastEEEviT_T0_T2_T3_T4_T5_.has_dyn_sized_stack, 0
	.set _ZN2at6native27unrolled_elementwise_kernelINS0_13BinaryFunctorIN3c1015Float8_e4m3fnuzES4_bNS0_12_GLOBAL__N_116CompareEqFunctorIS4_EEEESt5arrayIPcLm3EELi4E23TrivialOffsetCalculatorILi2EjESC_ILi1EjENS0_6memory15LoadWithoutCastENSF_16StoreWithoutCastEEEviT_T0_T2_T3_T4_T5_.has_recursion, 0
	.set _ZN2at6native27unrolled_elementwise_kernelINS0_13BinaryFunctorIN3c1015Float8_e4m3fnuzES4_bNS0_12_GLOBAL__N_116CompareEqFunctorIS4_EEEESt5arrayIPcLm3EELi4E23TrivialOffsetCalculatorILi2EjESC_ILi1EjENS0_6memory15LoadWithoutCastENSF_16StoreWithoutCastEEEviT_T0_T2_T3_T4_T5_.has_indirect_call, 0
	.section	.AMDGPU.csdata,"",@progbits
; Kernel info:
; codeLenInByte = 5588
; TotalNumSgprs: 16
; NumVgprs: 18
; ScratchSize: 0
; MemoryBound: 0
; FloatMode: 240
; IeeeMode: 1
; LDSByteSize: 0 bytes/workgroup (compile time only)
; SGPRBlocks: 0
; VGPRBlocks: 1
; NumSGPRsForWavesPerEU: 16
; NumVGPRsForWavesPerEU: 18
; NamedBarCnt: 0
; Occupancy: 16
; WaveLimiterHint : 0
; COMPUTE_PGM_RSRC2:SCRATCH_EN: 0
; COMPUTE_PGM_RSRC2:USER_SGPR: 2
; COMPUTE_PGM_RSRC2:TRAP_HANDLER: 0
; COMPUTE_PGM_RSRC2:TGID_X_EN: 1
; COMPUTE_PGM_RSRC2:TGID_Y_EN: 0
; COMPUTE_PGM_RSRC2:TGID_Z_EN: 0
; COMPUTE_PGM_RSRC2:TIDIG_COMP_CNT: 0
	.section	.text._ZN2at6native32elementwise_kernel_manual_unrollILi128ELi8EZNS0_22gpu_kernel_impl_nocastINS0_13BinaryFunctorIN3c1015Float8_e4m3fnuzES5_bNS0_12_GLOBAL__N_116CompareEqFunctorIS5_EEEEEEvRNS_18TensorIteratorBaseERKT_EUlibE_EEviT1_,"axG",@progbits,_ZN2at6native32elementwise_kernel_manual_unrollILi128ELi8EZNS0_22gpu_kernel_impl_nocastINS0_13BinaryFunctorIN3c1015Float8_e4m3fnuzES5_bNS0_12_GLOBAL__N_116CompareEqFunctorIS5_EEEEEEvRNS_18TensorIteratorBaseERKT_EUlibE_EEviT1_,comdat
	.globl	_ZN2at6native32elementwise_kernel_manual_unrollILi128ELi8EZNS0_22gpu_kernel_impl_nocastINS0_13BinaryFunctorIN3c1015Float8_e4m3fnuzES5_bNS0_12_GLOBAL__N_116CompareEqFunctorIS5_EEEEEEvRNS_18TensorIteratorBaseERKT_EUlibE_EEviT1_ ; -- Begin function _ZN2at6native32elementwise_kernel_manual_unrollILi128ELi8EZNS0_22gpu_kernel_impl_nocastINS0_13BinaryFunctorIN3c1015Float8_e4m3fnuzES5_bNS0_12_GLOBAL__N_116CompareEqFunctorIS5_EEEEEEvRNS_18TensorIteratorBaseERKT_EUlibE_EEviT1_
	.p2align	8
	.type	_ZN2at6native32elementwise_kernel_manual_unrollILi128ELi8EZNS0_22gpu_kernel_impl_nocastINS0_13BinaryFunctorIN3c1015Float8_e4m3fnuzES5_bNS0_12_GLOBAL__N_116CompareEqFunctorIS5_EEEEEEvRNS_18TensorIteratorBaseERKT_EUlibE_EEviT1_,@function
_ZN2at6native32elementwise_kernel_manual_unrollILi128ELi8EZNS0_22gpu_kernel_impl_nocastINS0_13BinaryFunctorIN3c1015Float8_e4m3fnuzES5_bNS0_12_GLOBAL__N_116CompareEqFunctorIS5_EEEEEEvRNS_18TensorIteratorBaseERKT_EUlibE_EEviT1_: ; @_ZN2at6native32elementwise_kernel_manual_unrollILi128ELi8EZNS0_22gpu_kernel_impl_nocastINS0_13BinaryFunctorIN3c1015Float8_e4m3fnuzES5_bNS0_12_GLOBAL__N_116CompareEqFunctorIS5_EEEEEEvRNS_18TensorIteratorBaseERKT_EUlibE_EEviT1_
; %bb.0:
	s_clause 0x1
	s_load_b32 s26, s[0:1], 0x8
	s_load_b32 s33, s[0:1], 0x0
	s_bfe_u32 s2, ttmp6, 0x4000c
	s_and_b32 s3, ttmp6, 15
	s_add_co_i32 s2, s2, 1
	s_getreg_b32 s4, hwreg(HW_REG_IB_STS2, 6, 4)
	s_mul_i32 s2, ttmp9, s2
	s_add_nc_u64 s[16:17], s[0:1], 8
	s_add_co_i32 s3, s3, s2
	s_cmp_eq_u32 s4, 0
	s_mov_b32 s21, 0
	s_cselect_b32 s2, ttmp9, s3
	s_wait_xcnt 0x0
	s_mov_b32 s0, exec_lo
	v_lshl_or_b32 v0, s2, 10, v0
	s_delay_alu instid0(VALU_DEP_1) | instskip(SKIP_2) | instid1(SALU_CYCLE_1)
	v_or_b32_e32 v22, 0x380, v0
	s_wait_kmcnt 0x0
	s_add_co_i32 s27, s26, -1
	s_cmp_gt_u32 s27, 1
	s_cselect_b32 s28, -1, 0
	v_cmpx_le_i32_e64 s33, v22
	s_xor_b32 s29, exec_lo, s0
	s_cbranch_execz .LBB293_378
; %bb.1:
	s_clause 0x5
	s_load_b128 s[4:7], s[16:17], 0x4
	s_load_b64 s[18:19], s[16:17], 0x14
	s_load_b96 s[12:14], s[16:17], 0x198
	s_load_b128 s[8:11], s[16:17], 0xc4
	s_load_b64 s[22:23], s[16:17], 0xd4
	s_load_b128 s[0:3], s[16:17], 0x188
	s_cmp_lg_u32 s26, 0
	s_mov_b32 s25, s21
	s_cselect_b32 s34, -1, 0
	s_min_u32 s31, s27, 15
	s_cmp_gt_u32 s26, 1
	s_cselect_b32 s30, -1, 0
	s_wait_kmcnt 0x0
	s_mov_b32 s20, s5
	s_mov_b32 s24, s18
	s_cmp_lg_u32 s14, 0
	s_mov_b32 s18, exec_lo
	s_cselect_b32 s5, -1, 0
	v_cmpx_gt_i32_e64 s33, v0
	s_cbranch_execnz .LBB293_9
; %bb.2:
	s_or_b32 exec_lo, exec_lo, s18
	s_delay_alu instid0(SALU_CYCLE_1)
	s_mov_b32 s18, exec_lo
	v_cmpx_gt_i32_e64 s33, v0
	s_cbranch_execnz .LBB293_41
.LBB293_3:
	s_or_b32 exec_lo, exec_lo, s18
	s_delay_alu instid0(SALU_CYCLE_1)
	s_mov_b32 s18, exec_lo
	v_cmpx_gt_i32_e64 s33, v0
	s_cbranch_execnz .LBB293_89
.LBB293_4:
	s_or_b32 exec_lo, exec_lo, s18
	s_delay_alu instid0(SALU_CYCLE_1)
	s_mov_b32 s18, exec_lo
	v_cmpx_gt_i32_e64 s33, v0
	s_cbranch_execnz .LBB293_137
.LBB293_5:
	s_or_b32 exec_lo, exec_lo, s18
	s_delay_alu instid0(SALU_CYCLE_1)
	s_mov_b32 s18, exec_lo
	v_cmpx_gt_i32_e64 s33, v0
	s_cbranch_execnz .LBB293_185
.LBB293_6:
	s_or_b32 exec_lo, exec_lo, s18
	s_delay_alu instid0(SALU_CYCLE_1)
	s_mov_b32 s18, exec_lo
	v_cmpx_gt_i32_e64 s33, v0
	s_cbranch_execnz .LBB293_233
.LBB293_7:
	s_or_b32 exec_lo, exec_lo, s18
	s_delay_alu instid0(SALU_CYCLE_1)
	s_mov_b32 s18, exec_lo
	v_cmpx_gt_i32_e64 s33, v0
	s_cbranch_execnz .LBB293_281
.LBB293_8:
	s_or_b32 exec_lo, exec_lo, s18
	s_delay_alu instid0(SALU_CYCLE_1)
	s_mov_b32 s18, exec_lo
	v_cmpx_gt_i32_e64 s33, v0
	s_cbranch_execnz .LBB293_329
	s_branch .LBB293_377
.LBB293_9:
	s_and_not1_b32 vcc_lo, exec_lo, s28
	s_cbranch_vccnz .LBB293_15
; %bb.10:
	s_and_not1_b32 vcc_lo, exec_lo, s34
	s_cbranch_vccnz .LBB293_16
; %bb.11:
	v_dual_mov_b32 v4, 0 :: v_dual_mov_b32 v1, v0
	v_dual_mov_b32 v6, 0 :: v_dual_mov_b32 v5, 0
	s_add_co_i32 s35, s31, 1
	s_mov_b64 s[14:15], 0xffffffffffffffe8
	s_and_b32 s35, s35, 30
	s_add_nc_u64 s[14:15], s[16:17], s[14:15]
.LBB293_12:                             ; =>This Inner Loop Header: Depth=1
	s_clause 0x1
	s_load_b128 s[36:39], s[14:15], 0x1c
	s_load_b64 s[44:45], s[14:15], 0x2c
	s_add_co_i32 s35, s35, -2
	s_delay_alu instid0(SALU_CYCLE_1) | instskip(SKIP_2) | instid1(VALU_DEP_1)
	s_cmp_lg_u32 s35, 0
	s_wait_kmcnt 0x0
	v_mul_hi_u32 v2, s37, v1
	v_add_nc_u32_e32 v2, v1, v2
	s_delay_alu instid0(VALU_DEP_1) | instskip(NEXT) | instid1(VALU_DEP_1)
	v_lshrrev_b32_e32 v2, s38, v2
	v_mul_hi_u32 v3, s44, v2
	v_mul_lo_u32 v7, v2, s36
	s_clause 0x1
	s_load_b128 s[40:43], s[14:15], 0xdc
	s_load_b64 s[36:37], s[14:15], 0xec
	s_wait_xcnt 0x0
	s_add_nc_u64 s[14:15], s[14:15], 24
	s_delay_alu instid0(VALU_DEP_2) | instskip(NEXT) | instid1(VALU_DEP_2)
	v_add_nc_u32_e32 v3, v2, v3
	v_sub_nc_u32_e32 v7, v1, v7
	s_delay_alu instid0(VALU_DEP_2) | instskip(SKIP_1) | instid1(VALU_DEP_2)
	v_lshrrev_b32_e32 v1, s45, v3
	s_wait_kmcnt 0x0
	v_mad_u32 v4, v7, s40, v4
	s_delay_alu instid0(VALU_DEP_2) | instskip(SKIP_2) | instid1(VALU_DEP_3)
	v_mul_lo_u32 v3, v1, s39
	v_mad_u32 v5, v7, s42, v5
	v_mad_u32 v6, v7, s41, v6
	v_sub_nc_u32_e32 v2, v2, v3
	s_delay_alu instid0(VALU_DEP_1) | instskip(NEXT) | instid1(VALU_DEP_4)
	v_mad_u32 v4, v2, s43, v4
	v_mad_u32 v5, v2, s37, v5
	s_delay_alu instid0(VALU_DEP_4)
	v_mad_u32 v6, v2, s36, v6
	s_cbranch_scc1 .LBB293_12
; %bb.13:
	s_bitcmp1_b32 s31, 0
	s_cselect_b32 s35, -1, 0
	s_delay_alu instid0(SALU_CYCLE_1)
	s_and_b32 vcc_lo, exec_lo, s35
	s_cbranch_vccnz .LBB293_17
; %bb.14:
	s_clause 0x1
	s_load_b96 s[36:38], s[14:15], 0x1c
	s_load_b96 s[40:42], s[14:15], 0xdc
	s_wait_xcnt 0x0
	s_wait_kmcnt 0x0
	v_mul_hi_u32 v2, s37, v1
	s_delay_alu instid0(VALU_DEP_1) | instskip(NEXT) | instid1(VALU_DEP_1)
	v_add_nc_u32_e32 v2, v1, v2
	v_lshrrev_b32_e32 v2, s38, v2
	s_delay_alu instid0(VALU_DEP_1) | instskip(NEXT) | instid1(VALU_DEP_1)
	v_mul_lo_u32 v2, v2, s36
	v_sub_nc_u32_e32 v1, v1, v2
	s_delay_alu instid0(VALU_DEP_1)
	v_mad_u32 v4, v1, s40, v4
	v_mad_u32 v6, v1, s41, v6
	;; [unrolled: 1-line block ×3, first 2 shown]
	s_cbranch_execz .LBB293_18
	s_branch .LBB293_20
.LBB293_15:
                                        ; implicit-def: $vgpr5
                                        ; implicit-def: $vgpr6
                                        ; implicit-def: $vgpr4
	s_branch .LBB293_18
.LBB293_16:
	v_dual_mov_b32 v5, 0 :: v_dual_mov_b32 v6, 0
	v_mov_b32_e32 v4, 0
.LBB293_17:
	s_cbranch_execnz .LBB293_20
.LBB293_18:
	v_mov_b32_e32 v1, 0
	s_and_not1_b32 vcc_lo, exec_lo, s30
	s_delay_alu instid0(VALU_DEP_1) | instskip(NEXT) | instid1(VALU_DEP_1)
	v_mul_u64_e32 v[2:3], s[20:21], v[0:1]
	v_add_nc_u32_e32 v2, v0, v3
	s_delay_alu instid0(VALU_DEP_1) | instskip(NEXT) | instid1(VALU_DEP_1)
	v_lshrrev_b32_e32 v2, s6, v2
	v_mul_lo_u32 v3, v2, s4
	s_delay_alu instid0(VALU_DEP_1) | instskip(NEXT) | instid1(VALU_DEP_1)
	v_sub_nc_u32_e32 v3, v0, v3
	v_mul_lo_u32 v4, v3, s8
	v_mul_lo_u32 v5, v3, s10
	;; [unrolled: 1-line block ×3, first 2 shown]
	s_cbranch_vccnz .LBB293_20
; %bb.19:
	v_mov_b32_e32 v3, v1
	s_delay_alu instid0(VALU_DEP_1) | instskip(NEXT) | instid1(VALU_DEP_1)
	v_mul_u64_e32 v[8:9], s[24:25], v[2:3]
	v_add_nc_u32_e32 v1, v2, v9
	s_delay_alu instid0(VALU_DEP_1) | instskip(NEXT) | instid1(VALU_DEP_1)
	v_lshrrev_b32_e32 v1, s19, v1
	v_mul_lo_u32 v1, v1, s7
	s_delay_alu instid0(VALU_DEP_1) | instskip(NEXT) | instid1(VALU_DEP_1)
	v_sub_nc_u32_e32 v1, v2, v1
	v_mad_u32 v4, v1, s11, v4
	v_mad_u32 v6, v1, s22, v6
	;; [unrolled: 1-line block ×3, first 2 shown]
.LBB293_20:
	global_load_u8 v2, v6, s[2:3]
	global_load_u8 v1, v5, s[12:13]
	s_and_b32 vcc_lo, exec_lo, s5
	s_wait_loadcnt 0x1
	v_and_b32_e32 v3, 0xff, v2
	s_cbranch_vccz .LBB293_30
; %bb.21:
	s_mov_b32 s14, 0
	s_mov_b32 s15, exec_lo
	s_wait_xcnt 0x0
	v_cmpx_lt_i16_e32 0x7f, v3
	s_xor_b32 s15, exec_lo, s15
	s_cbranch_execnz .LBB293_48
; %bb.22:
	s_or_saveexec_b32 s15, s15
	v_mov_b32_e32 v5, 0x7f800001
	s_xor_b32 exec_lo, exec_lo, s15
	s_cbranch_execnz .LBB293_51
.LBB293_23:
	s_or_b32 exec_lo, exec_lo, s15
	s_and_saveexec_b32 s15, s14
	s_cbranch_execz .LBB293_25
.LBB293_24:
	v_and_b32_e32 v5, 7, v2
	v_lshrrev_b16 v7, 3, v2
	v_lshlrev_b32_e32 v9, 24, v2
	s_delay_alu instid0(VALU_DEP_3) | instskip(NEXT) | instid1(VALU_DEP_1)
	v_clz_i32_u32_e32 v6, v5
	v_min_u32_e32 v6, 32, v6
	s_delay_alu instid0(VALU_DEP_4) | instskip(NEXT) | instid1(VALU_DEP_2)
	v_and_b32_e32 v7, 15, v7
	v_subrev_nc_u32_e32 v8, 28, v6
	v_sub_nc_u32_e32 v6, 29, v6
	s_delay_alu instid0(VALU_DEP_3) | instskip(NEXT) | instid1(VALU_DEP_3)
	v_cmp_eq_u32_e32 vcc_lo, 0, v7
	v_lshlrev_b32_e32 v8, v8, v2
	s_delay_alu instid0(VALU_DEP_1) | instskip(SKIP_1) | instid1(VALU_DEP_2)
	v_dual_cndmask_b32 v6, v7, v6, vcc_lo :: v_dual_bitop2_b32 v8, 7, v8 bitop3:0x40
	v_and_b32_e32 v7, 0x80000000, v9
	v_cndmask_b32_e32 v5, v5, v8, vcc_lo
	s_delay_alu instid0(VALU_DEP_3) | instskip(NEXT) | instid1(VALU_DEP_2)
	v_lshl_add_u32 v6, v6, 23, 0x3b800000
	v_lshlrev_b32_e32 v5, 20, v5
	s_delay_alu instid0(VALU_DEP_1)
	v_or3_b32 v5, v7, v6, v5
.LBB293_25:
	s_or_b32 exec_lo, exec_lo, s15
	s_wait_loadcnt 0x0
	v_and_b32_e32 v7, 0xff, v1
	s_mov_b32 s14, 0
	s_mov_b32 s15, exec_lo
	s_delay_alu instid0(VALU_DEP_1)
	v_cmpx_lt_i16_e32 0x7f, v7
	s_xor_b32 s15, exec_lo, s15
	s_cbranch_execnz .LBB293_52
; %bb.26:
	s_or_saveexec_b32 s15, s15
	v_mov_b32_e32 v6, 0x7f800001
	s_xor_b32 exec_lo, exec_lo, s15
	s_cbranch_execnz .LBB293_55
.LBB293_27:
	s_or_b32 exec_lo, exec_lo, s15
	s_and_saveexec_b32 s15, s14
	s_cbranch_execz .LBB293_29
.LBB293_28:
	v_and_b32_e32 v6, 7, v1
	v_lshrrev_b16 v8, 3, v1
	s_delay_alu instid0(VALU_DEP_2) | instskip(NEXT) | instid1(VALU_DEP_1)
	v_clz_i32_u32_e32 v7, v6
	v_min_u32_e32 v7, 32, v7
	s_delay_alu instid0(VALU_DEP_3) | instskip(NEXT) | instid1(VALU_DEP_2)
	v_and_b32_e32 v8, 15, v8
	v_subrev_nc_u32_e32 v9, 28, v7
	v_sub_nc_u32_e32 v7, 29, v7
	s_delay_alu instid0(VALU_DEP_3) | instskip(NEXT) | instid1(VALU_DEP_2)
	v_cmp_eq_u32_e32 vcc_lo, 0, v8
	v_dual_lshlrev_b32 v9, v9, v1 :: v_dual_cndmask_b32 v7, v8, v7, vcc_lo
	s_delay_alu instid0(VALU_DEP_1) | instskip(NEXT) | instid1(VALU_DEP_2)
	v_and_b32_e32 v9, 7, v9
	v_lshl_add_u32 v7, v7, 23, 0x3b800000
	s_delay_alu instid0(VALU_DEP_2) | instskip(NEXT) | instid1(VALU_DEP_1)
	v_cndmask_b32_e32 v6, v6, v9, vcc_lo
	v_dual_lshlrev_b32 v10, 24, v1 :: v_dual_lshlrev_b32 v6, 20, v6
	s_delay_alu instid0(VALU_DEP_1) | instskip(NEXT) | instid1(VALU_DEP_1)
	v_and_b32_e32 v8, 0x80000000, v10
	v_or3_b32 v6, v8, v7, v6
.LBB293_29:
	s_or_b32 exec_lo, exec_lo, s15
	s_delay_alu instid0(VALU_DEP_1)
	v_cmp_neq_f32_e64 s14, v5, v6
	s_branch .LBB293_40
.LBB293_30:
                                        ; implicit-def: $sgpr14
	s_cbranch_execz .LBB293_40
; %bb.31:
	s_mov_b32 s14, 0
	s_mov_b32 s15, exec_lo
	s_wait_xcnt 0x0
	v_cmpx_lt_i16_e32 0x7f, v3
	s_xor_b32 s15, exec_lo, s15
	s_cbranch_execnz .LBB293_56
; %bb.32:
	s_or_saveexec_b32 s15, s15
	v_mov_b32_e32 v5, 0x7f800001
	s_xor_b32 exec_lo, exec_lo, s15
	s_cbranch_execnz .LBB293_59
.LBB293_33:
	s_or_b32 exec_lo, exec_lo, s15
	s_and_saveexec_b32 s15, s14
	s_cbranch_execz .LBB293_35
.LBB293_34:
	v_and_b32_e32 v3, 7, v2
	v_lshrrev_b16 v6, 3, v2
	s_delay_alu instid0(VALU_DEP_2) | instskip(NEXT) | instid1(VALU_DEP_1)
	v_clz_i32_u32_e32 v5, v3
	v_min_u32_e32 v5, 32, v5
	s_delay_alu instid0(VALU_DEP_3) | instskip(NEXT) | instid1(VALU_DEP_2)
	v_and_b32_e32 v6, 15, v6
	v_subrev_nc_u32_e32 v7, 28, v5
	v_sub_nc_u32_e32 v5, 29, v5
	s_delay_alu instid0(VALU_DEP_3) | instskip(NEXT) | instid1(VALU_DEP_3)
	v_cmp_eq_u32_e32 vcc_lo, 0, v6
	v_dual_lshlrev_b32 v7, v7, v2 :: v_dual_lshlrev_b32 v2, 24, v2
	s_delay_alu instid0(VALU_DEP_1) | instskip(NEXT) | instid1(VALU_DEP_2)
	v_dual_cndmask_b32 v5, v6, v5, vcc_lo :: v_dual_bitop2_b32 v7, 7, v7 bitop3:0x40
	v_and_b32_e32 v2, 0x80000000, v2
	s_delay_alu instid0(VALU_DEP_2) | instskip(NEXT) | instid1(VALU_DEP_3)
	v_cndmask_b32_e32 v3, v3, v7, vcc_lo
	v_lshl_add_u32 v5, v5, 23, 0x3b800000
	s_delay_alu instid0(VALU_DEP_2) | instskip(NEXT) | instid1(VALU_DEP_1)
	v_lshlrev_b32_e32 v3, 20, v3
	v_or3_b32 v5, v2, v5, v3
.LBB293_35:
	s_or_b32 exec_lo, exec_lo, s15
	s_wait_loadcnt 0x0
	v_and_b32_e32 v3, 0xff, v1
	s_mov_b32 s14, 0
	s_mov_b32 s15, exec_lo
	s_delay_alu instid0(VALU_DEP_1)
	v_cmpx_lt_i16_e32 0x7f, v3
	s_xor_b32 s15, exec_lo, s15
	s_cbranch_execnz .LBB293_60
; %bb.36:
	s_or_saveexec_b32 s15, s15
	v_mov_b32_e32 v2, 0x7f800001
	s_xor_b32 exec_lo, exec_lo, s15
	s_cbranch_execnz .LBB293_63
.LBB293_37:
	s_or_b32 exec_lo, exec_lo, s15
	s_and_saveexec_b32 s15, s14
	s_cbranch_execz .LBB293_39
.LBB293_38:
	v_and_b32_e32 v2, 7, v1
	v_lshrrev_b16 v6, 3, v1
	s_delay_alu instid0(VALU_DEP_2) | instskip(NEXT) | instid1(VALU_DEP_1)
	v_clz_i32_u32_e32 v3, v2
	v_min_u32_e32 v3, 32, v3
	s_delay_alu instid0(VALU_DEP_3) | instskip(NEXT) | instid1(VALU_DEP_2)
	v_and_b32_e32 v6, 15, v6
	v_subrev_nc_u32_e32 v7, 28, v3
	v_sub_nc_u32_e32 v3, 29, v3
	s_delay_alu instid0(VALU_DEP_3) | instskip(NEXT) | instid1(VALU_DEP_3)
	v_cmp_eq_u32_e32 vcc_lo, 0, v6
	v_dual_lshlrev_b32 v7, v7, v1 :: v_dual_lshlrev_b32 v1, 24, v1
	s_delay_alu instid0(VALU_DEP_1) | instskip(NEXT) | instid1(VALU_DEP_2)
	v_and_b32_e32 v7, 7, v7
	v_and_b32_e32 v1, 0x80000000, v1
	s_delay_alu instid0(VALU_DEP_2) | instskip(NEXT) | instid1(VALU_DEP_1)
	v_cndmask_b32_e32 v2, v2, v7, vcc_lo
	v_dual_cndmask_b32 v3, v6, v3 :: v_dual_lshlrev_b32 v2, 20, v2
	s_delay_alu instid0(VALU_DEP_1) | instskip(NEXT) | instid1(VALU_DEP_1)
	v_lshl_add_u32 v3, v3, 23, 0x3b800000
	v_or3_b32 v2, v1, v3, v2
.LBB293_39:
	s_or_b32 exec_lo, exec_lo, s15
	s_delay_alu instid0(VALU_DEP_1)
	v_cmp_eq_f32_e64 s14, v5, v2
.LBB293_40:
	s_wait_loadcnt 0x0
	s_delay_alu instid0(VALU_DEP_1) | instskip(SKIP_4) | instid1(SALU_CYCLE_1)
	v_cndmask_b32_e64 v1, 0, 1, s14
	v_add_nc_u32_e32 v0, 0x80, v0
	global_store_b8 v4, v1, s[0:1]
	s_wait_xcnt 0x0
	s_or_b32 exec_lo, exec_lo, s18
	s_mov_b32 s18, exec_lo
	v_cmpx_gt_i32_e64 s33, v0
	s_cbranch_execz .LBB293_3
.LBB293_41:
	s_and_not1_b32 vcc_lo, exec_lo, s28
	s_cbranch_vccnz .LBB293_47
; %bb.42:
	s_and_not1_b32 vcc_lo, exec_lo, s34
	s_cbranch_vccnz .LBB293_64
; %bb.43:
	v_dual_mov_b32 v4, 0 :: v_dual_mov_b32 v1, v0
	v_dual_mov_b32 v6, 0 :: v_dual_mov_b32 v5, 0
	s_add_co_i32 s35, s31, 1
	s_mov_b64 s[14:15], 0xffffffffffffffe8
	s_and_b32 s35, s35, 30
	s_add_nc_u64 s[14:15], s[16:17], s[14:15]
.LBB293_44:                             ; =>This Inner Loop Header: Depth=1
	s_clause 0x1
	s_load_b128 s[36:39], s[14:15], 0x1c
	s_load_b64 s[44:45], s[14:15], 0x2c
	s_add_co_i32 s35, s35, -2
	s_delay_alu instid0(SALU_CYCLE_1) | instskip(SKIP_2) | instid1(VALU_DEP_1)
	s_cmp_eq_u32 s35, 0
	s_wait_kmcnt 0x0
	v_mul_hi_u32 v2, s37, v1
	v_add_nc_u32_e32 v2, v1, v2
	s_delay_alu instid0(VALU_DEP_1) | instskip(NEXT) | instid1(VALU_DEP_1)
	v_lshrrev_b32_e32 v2, s38, v2
	v_mul_hi_u32 v3, s44, v2
	v_mul_lo_u32 v7, v2, s36
	s_clause 0x1
	s_load_b128 s[40:43], s[14:15], 0xdc
	s_load_b64 s[36:37], s[14:15], 0xec
	s_wait_xcnt 0x0
	s_add_nc_u64 s[14:15], s[14:15], 24
	s_delay_alu instid0(VALU_DEP_2) | instskip(NEXT) | instid1(VALU_DEP_2)
	v_add_nc_u32_e32 v3, v2, v3
	v_sub_nc_u32_e32 v7, v1, v7
	s_delay_alu instid0(VALU_DEP_2) | instskip(SKIP_1) | instid1(VALU_DEP_2)
	v_lshrrev_b32_e32 v1, s45, v3
	s_wait_kmcnt 0x0
	v_mad_u32 v4, v7, s40, v4
	s_delay_alu instid0(VALU_DEP_2) | instskip(SKIP_2) | instid1(VALU_DEP_3)
	v_mul_lo_u32 v3, v1, s39
	v_mad_u32 v5, v7, s42, v5
	v_mad_u32 v6, v7, s41, v6
	v_sub_nc_u32_e32 v2, v2, v3
	s_delay_alu instid0(VALU_DEP_1) | instskip(NEXT) | instid1(VALU_DEP_4)
	v_mad_u32 v4, v2, s43, v4
	v_mad_u32 v5, v2, s37, v5
	s_delay_alu instid0(VALU_DEP_4)
	v_mad_u32 v6, v2, s36, v6
	s_cbranch_scc0 .LBB293_44
; %bb.45:
	s_bitcmp1_b32 s31, 0
	s_cselect_b32 s35, -1, 0
	s_delay_alu instid0(SALU_CYCLE_1)
	s_and_b32 vcc_lo, exec_lo, s35
	s_cbranch_vccnz .LBB293_65
; %bb.46:
	s_clause 0x1
	s_load_b96 s[36:38], s[14:15], 0x1c
	s_load_b96 s[40:42], s[14:15], 0xdc
	s_wait_kmcnt 0x0
	v_mul_hi_u32 v2, s37, v1
	s_delay_alu instid0(VALU_DEP_1) | instskip(NEXT) | instid1(VALU_DEP_1)
	v_add_nc_u32_e32 v2, v1, v2
	v_lshrrev_b32_e32 v2, s38, v2
	s_delay_alu instid0(VALU_DEP_1) | instskip(NEXT) | instid1(VALU_DEP_1)
	v_mul_lo_u32 v2, v2, s36
	v_sub_nc_u32_e32 v1, v1, v2
	s_delay_alu instid0(VALU_DEP_1)
	v_mad_u32 v4, v1, s40, v4
	v_mad_u32 v6, v1, s41, v6
	;; [unrolled: 1-line block ×3, first 2 shown]
	s_branch .LBB293_65
.LBB293_47:
                                        ; implicit-def: $vgpr5
                                        ; implicit-def: $vgpr6
                                        ; implicit-def: $vgpr4
	s_branch .LBB293_66
.LBB293_48:
	s_mov_b32 s14, -1
	s_mov_b32 s35, exec_lo
	v_cmpx_eq_u16_e32 0x80, v3
; %bb.49:
	s_xor_b32 s14, exec_lo, -1
; %bb.50:
	s_or_b32 exec_lo, exec_lo, s35
	s_delay_alu instid0(SALU_CYCLE_1)
	s_and_b32 s14, s14, exec_lo
	s_or_saveexec_b32 s15, s15
	v_mov_b32_e32 v5, 0x7f800001
	s_xor_b32 exec_lo, exec_lo, s15
	s_cbranch_execz .LBB293_23
.LBB293_51:
	v_cmp_ne_u16_e32 vcc_lo, 0, v3
	v_mov_b32_e32 v5, 0
	s_and_not1_b32 s14, s14, exec_lo
	s_and_b32 s35, vcc_lo, exec_lo
	s_delay_alu instid0(SALU_CYCLE_1)
	s_or_b32 s14, s14, s35
	s_or_b32 exec_lo, exec_lo, s15
	s_and_saveexec_b32 s15, s14
	s_cbranch_execnz .LBB293_24
	s_branch .LBB293_25
.LBB293_52:
	s_mov_b32 s14, -1
	s_mov_b32 s35, exec_lo
	v_cmpx_eq_u16_e32 0x80, v7
; %bb.53:
	s_xor_b32 s14, exec_lo, -1
; %bb.54:
	s_or_b32 exec_lo, exec_lo, s35
	s_delay_alu instid0(SALU_CYCLE_1)
	s_and_b32 s14, s14, exec_lo
                                        ; implicit-def: $vgpr7
	s_or_saveexec_b32 s15, s15
	v_mov_b32_e32 v6, 0x7f800001
	s_xor_b32 exec_lo, exec_lo, s15
	s_cbranch_execz .LBB293_27
.LBB293_55:
	v_cmp_ne_u16_e32 vcc_lo, 0, v7
	v_mov_b32_e32 v6, 0
	s_and_not1_b32 s14, s14, exec_lo
	s_and_b32 s35, vcc_lo, exec_lo
	s_delay_alu instid0(SALU_CYCLE_1)
	s_or_b32 s14, s14, s35
	s_or_b32 exec_lo, exec_lo, s15
	s_and_saveexec_b32 s15, s14
	s_cbranch_execnz .LBB293_28
	s_branch .LBB293_29
.LBB293_56:
	s_mov_b32 s14, -1
	s_mov_b32 s35, exec_lo
	v_cmpx_eq_u16_e32 0x80, v3
; %bb.57:
	s_xor_b32 s14, exec_lo, -1
; %bb.58:
	s_or_b32 exec_lo, exec_lo, s35
	s_delay_alu instid0(SALU_CYCLE_1)
	s_and_b32 s14, s14, exec_lo
                                        ; implicit-def: $vgpr3
	s_or_saveexec_b32 s15, s15
	v_mov_b32_e32 v5, 0x7f800001
	s_xor_b32 exec_lo, exec_lo, s15
	s_cbranch_execz .LBB293_33
.LBB293_59:
	v_cmp_ne_u16_e32 vcc_lo, 0, v3
	v_mov_b32_e32 v5, 0
	s_and_not1_b32 s14, s14, exec_lo
	s_and_b32 s35, vcc_lo, exec_lo
	s_delay_alu instid0(SALU_CYCLE_1)
	s_or_b32 s14, s14, s35
	s_or_b32 exec_lo, exec_lo, s15
	s_and_saveexec_b32 s15, s14
	s_cbranch_execnz .LBB293_34
	s_branch .LBB293_35
.LBB293_60:
	s_mov_b32 s14, -1
	s_mov_b32 s35, exec_lo
	v_cmpx_eq_u16_e32 0x80, v3
; %bb.61:
	s_xor_b32 s14, exec_lo, -1
; %bb.62:
	s_or_b32 exec_lo, exec_lo, s35
	s_delay_alu instid0(SALU_CYCLE_1)
	s_and_b32 s14, s14, exec_lo
                                        ; implicit-def: $vgpr3
	s_or_saveexec_b32 s15, s15
	v_mov_b32_e32 v2, 0x7f800001
	s_xor_b32 exec_lo, exec_lo, s15
	s_cbranch_execz .LBB293_37
.LBB293_63:
	v_cmp_ne_u16_e32 vcc_lo, 0, v3
	v_mov_b32_e32 v2, 0
	s_and_not1_b32 s14, s14, exec_lo
	s_and_b32 s35, vcc_lo, exec_lo
	s_delay_alu instid0(SALU_CYCLE_1)
	s_or_b32 s14, s14, s35
	s_or_b32 exec_lo, exec_lo, s15
	s_and_saveexec_b32 s15, s14
	s_cbranch_execnz .LBB293_38
	s_branch .LBB293_39
.LBB293_64:
	v_dual_mov_b32 v5, 0 :: v_dual_mov_b32 v6, 0
	v_mov_b32_e32 v4, 0
.LBB293_65:
	s_cbranch_execnz .LBB293_68
.LBB293_66:
	v_mov_b32_e32 v1, 0
	s_and_not1_b32 vcc_lo, exec_lo, s30
	s_delay_alu instid0(VALU_DEP_1) | instskip(NEXT) | instid1(VALU_DEP_1)
	v_mul_u64_e32 v[2:3], s[20:21], v[0:1]
	v_add_nc_u32_e32 v2, v0, v3
	s_delay_alu instid0(VALU_DEP_1) | instskip(NEXT) | instid1(VALU_DEP_1)
	v_lshrrev_b32_e32 v2, s6, v2
	v_mul_lo_u32 v3, v2, s4
	s_delay_alu instid0(VALU_DEP_1) | instskip(NEXT) | instid1(VALU_DEP_1)
	v_sub_nc_u32_e32 v3, v0, v3
	v_mul_lo_u32 v4, v3, s8
	v_mul_lo_u32 v5, v3, s10
	;; [unrolled: 1-line block ×3, first 2 shown]
	s_cbranch_vccnz .LBB293_68
; %bb.67:
	v_mov_b32_e32 v3, v1
	s_delay_alu instid0(VALU_DEP_1) | instskip(NEXT) | instid1(VALU_DEP_1)
	v_mul_u64_e32 v[8:9], s[24:25], v[2:3]
	v_add_nc_u32_e32 v1, v2, v9
	s_delay_alu instid0(VALU_DEP_1) | instskip(NEXT) | instid1(VALU_DEP_1)
	v_lshrrev_b32_e32 v1, s19, v1
	v_mul_lo_u32 v1, v1, s7
	s_delay_alu instid0(VALU_DEP_1) | instskip(NEXT) | instid1(VALU_DEP_1)
	v_sub_nc_u32_e32 v1, v2, v1
	v_mad_u32 v4, v1, s11, v4
	v_mad_u32 v6, v1, s22, v6
	;; [unrolled: 1-line block ×3, first 2 shown]
.LBB293_68:
	global_load_u8 v2, v6, s[2:3]
	global_load_u8 v1, v5, s[12:13]
	s_and_not1_b32 vcc_lo, exec_lo, s5
	s_wait_loadcnt 0x1
	v_and_b32_e32 v3, 0xff, v2
	s_cbranch_vccnz .LBB293_78
; %bb.69:
	s_mov_b32 s14, 0
	s_mov_b32 s15, exec_lo
	s_wait_xcnt 0x0
	v_cmpx_lt_i16_e32 0x7f, v3
	s_xor_b32 s15, exec_lo, s15
	s_cbranch_execnz .LBB293_96
; %bb.70:
	s_or_saveexec_b32 s15, s15
	v_mov_b32_e32 v5, 0x7f800001
	s_xor_b32 exec_lo, exec_lo, s15
	s_cbranch_execnz .LBB293_99
.LBB293_71:
	s_or_b32 exec_lo, exec_lo, s15
	s_and_saveexec_b32 s15, s14
	s_cbranch_execz .LBB293_73
.LBB293_72:
	v_and_b32_e32 v5, 7, v2
	v_lshrrev_b16 v7, 3, v2
	v_lshlrev_b32_e32 v9, 24, v2
	s_delay_alu instid0(VALU_DEP_3) | instskip(NEXT) | instid1(VALU_DEP_1)
	v_clz_i32_u32_e32 v6, v5
	v_min_u32_e32 v6, 32, v6
	s_delay_alu instid0(VALU_DEP_4) | instskip(NEXT) | instid1(VALU_DEP_2)
	v_and_b32_e32 v7, 15, v7
	v_subrev_nc_u32_e32 v8, 28, v6
	v_sub_nc_u32_e32 v6, 29, v6
	s_delay_alu instid0(VALU_DEP_3) | instskip(NEXT) | instid1(VALU_DEP_3)
	v_cmp_eq_u32_e32 vcc_lo, 0, v7
	v_lshlrev_b32_e32 v8, v8, v2
	s_delay_alu instid0(VALU_DEP_1) | instskip(SKIP_1) | instid1(VALU_DEP_2)
	v_dual_cndmask_b32 v6, v7, v6, vcc_lo :: v_dual_bitop2_b32 v8, 7, v8 bitop3:0x40
	v_and_b32_e32 v7, 0x80000000, v9
	v_cndmask_b32_e32 v5, v5, v8, vcc_lo
	s_delay_alu instid0(VALU_DEP_3) | instskip(NEXT) | instid1(VALU_DEP_2)
	v_lshl_add_u32 v6, v6, 23, 0x3b800000
	v_lshlrev_b32_e32 v5, 20, v5
	s_delay_alu instid0(VALU_DEP_1)
	v_or3_b32 v5, v7, v6, v5
.LBB293_73:
	s_or_b32 exec_lo, exec_lo, s15
	s_wait_loadcnt 0x0
	v_and_b32_e32 v7, 0xff, v1
	s_mov_b32 s14, 0
	s_mov_b32 s15, exec_lo
	s_delay_alu instid0(VALU_DEP_1)
	v_cmpx_lt_i16_e32 0x7f, v7
	s_xor_b32 s15, exec_lo, s15
	s_cbranch_execnz .LBB293_100
; %bb.74:
	s_or_saveexec_b32 s15, s15
	v_mov_b32_e32 v6, 0x7f800001
	s_xor_b32 exec_lo, exec_lo, s15
	s_cbranch_execnz .LBB293_103
.LBB293_75:
	s_or_b32 exec_lo, exec_lo, s15
	s_and_saveexec_b32 s15, s14
	s_cbranch_execz .LBB293_77
.LBB293_76:
	v_and_b32_e32 v6, 7, v1
	v_lshrrev_b16 v8, 3, v1
	s_delay_alu instid0(VALU_DEP_2) | instskip(NEXT) | instid1(VALU_DEP_1)
	v_clz_i32_u32_e32 v7, v6
	v_min_u32_e32 v7, 32, v7
	s_delay_alu instid0(VALU_DEP_3) | instskip(NEXT) | instid1(VALU_DEP_2)
	v_and_b32_e32 v8, 15, v8
	v_subrev_nc_u32_e32 v9, 28, v7
	v_sub_nc_u32_e32 v7, 29, v7
	s_delay_alu instid0(VALU_DEP_3) | instskip(NEXT) | instid1(VALU_DEP_2)
	v_cmp_eq_u32_e32 vcc_lo, 0, v8
	v_dual_lshlrev_b32 v9, v9, v1 :: v_dual_cndmask_b32 v7, v8, v7, vcc_lo
	s_delay_alu instid0(VALU_DEP_1) | instskip(NEXT) | instid1(VALU_DEP_2)
	v_and_b32_e32 v9, 7, v9
	v_lshl_add_u32 v7, v7, 23, 0x3b800000
	s_delay_alu instid0(VALU_DEP_2) | instskip(NEXT) | instid1(VALU_DEP_1)
	v_cndmask_b32_e32 v6, v6, v9, vcc_lo
	v_dual_lshlrev_b32 v10, 24, v1 :: v_dual_lshlrev_b32 v6, 20, v6
	s_delay_alu instid0(VALU_DEP_1) | instskip(NEXT) | instid1(VALU_DEP_1)
	v_and_b32_e32 v8, 0x80000000, v10
	v_or3_b32 v6, v8, v7, v6
.LBB293_77:
	s_or_b32 exec_lo, exec_lo, s15
	s_delay_alu instid0(VALU_DEP_1)
	v_cmp_neq_f32_e64 s14, v5, v6
	s_branch .LBB293_88
.LBB293_78:
                                        ; implicit-def: $sgpr14
	s_cbranch_execz .LBB293_88
; %bb.79:
	s_mov_b32 s14, 0
	s_mov_b32 s15, exec_lo
	s_wait_xcnt 0x0
	v_cmpx_lt_i16_e32 0x7f, v3
	s_xor_b32 s15, exec_lo, s15
	s_cbranch_execnz .LBB293_104
; %bb.80:
	s_or_saveexec_b32 s15, s15
	v_mov_b32_e32 v5, 0x7f800001
	s_xor_b32 exec_lo, exec_lo, s15
	s_cbranch_execnz .LBB293_107
.LBB293_81:
	s_or_b32 exec_lo, exec_lo, s15
	s_and_saveexec_b32 s15, s14
	s_cbranch_execz .LBB293_83
.LBB293_82:
	v_and_b32_e32 v3, 7, v2
	v_lshrrev_b16 v6, 3, v2
	s_delay_alu instid0(VALU_DEP_2) | instskip(NEXT) | instid1(VALU_DEP_1)
	v_clz_i32_u32_e32 v5, v3
	v_min_u32_e32 v5, 32, v5
	s_delay_alu instid0(VALU_DEP_3) | instskip(NEXT) | instid1(VALU_DEP_2)
	v_and_b32_e32 v6, 15, v6
	v_subrev_nc_u32_e32 v7, 28, v5
	v_sub_nc_u32_e32 v5, 29, v5
	s_delay_alu instid0(VALU_DEP_3) | instskip(NEXT) | instid1(VALU_DEP_3)
	v_cmp_eq_u32_e32 vcc_lo, 0, v6
	v_dual_lshlrev_b32 v7, v7, v2 :: v_dual_lshlrev_b32 v2, 24, v2
	s_delay_alu instid0(VALU_DEP_1) | instskip(NEXT) | instid1(VALU_DEP_2)
	v_dual_cndmask_b32 v5, v6, v5, vcc_lo :: v_dual_bitop2_b32 v7, 7, v7 bitop3:0x40
	v_and_b32_e32 v2, 0x80000000, v2
	s_delay_alu instid0(VALU_DEP_2) | instskip(NEXT) | instid1(VALU_DEP_3)
	v_cndmask_b32_e32 v3, v3, v7, vcc_lo
	v_lshl_add_u32 v5, v5, 23, 0x3b800000
	s_delay_alu instid0(VALU_DEP_2) | instskip(NEXT) | instid1(VALU_DEP_1)
	v_lshlrev_b32_e32 v3, 20, v3
	v_or3_b32 v5, v2, v5, v3
.LBB293_83:
	s_or_b32 exec_lo, exec_lo, s15
	s_wait_loadcnt 0x0
	v_and_b32_e32 v3, 0xff, v1
	s_mov_b32 s14, 0
	s_mov_b32 s15, exec_lo
	s_delay_alu instid0(VALU_DEP_1)
	v_cmpx_lt_i16_e32 0x7f, v3
	s_xor_b32 s15, exec_lo, s15
	s_cbranch_execnz .LBB293_108
; %bb.84:
	s_or_saveexec_b32 s15, s15
	v_mov_b32_e32 v2, 0x7f800001
	s_xor_b32 exec_lo, exec_lo, s15
	s_cbranch_execnz .LBB293_111
.LBB293_85:
	s_or_b32 exec_lo, exec_lo, s15
	s_and_saveexec_b32 s15, s14
	s_cbranch_execz .LBB293_87
.LBB293_86:
	v_and_b32_e32 v2, 7, v1
	v_lshrrev_b16 v6, 3, v1
	s_delay_alu instid0(VALU_DEP_2) | instskip(NEXT) | instid1(VALU_DEP_1)
	v_clz_i32_u32_e32 v3, v2
	v_min_u32_e32 v3, 32, v3
	s_delay_alu instid0(VALU_DEP_3) | instskip(NEXT) | instid1(VALU_DEP_2)
	v_and_b32_e32 v6, 15, v6
	v_subrev_nc_u32_e32 v7, 28, v3
	v_sub_nc_u32_e32 v3, 29, v3
	s_delay_alu instid0(VALU_DEP_3) | instskip(NEXT) | instid1(VALU_DEP_3)
	v_cmp_eq_u32_e32 vcc_lo, 0, v6
	v_dual_lshlrev_b32 v7, v7, v1 :: v_dual_lshlrev_b32 v1, 24, v1
	s_delay_alu instid0(VALU_DEP_1) | instskip(NEXT) | instid1(VALU_DEP_2)
	v_and_b32_e32 v7, 7, v7
	v_and_b32_e32 v1, 0x80000000, v1
	s_delay_alu instid0(VALU_DEP_2) | instskip(NEXT) | instid1(VALU_DEP_1)
	v_cndmask_b32_e32 v2, v2, v7, vcc_lo
	v_dual_cndmask_b32 v3, v6, v3 :: v_dual_lshlrev_b32 v2, 20, v2
	s_delay_alu instid0(VALU_DEP_1) | instskip(NEXT) | instid1(VALU_DEP_1)
	v_lshl_add_u32 v3, v3, 23, 0x3b800000
	v_or3_b32 v2, v1, v3, v2
.LBB293_87:
	s_or_b32 exec_lo, exec_lo, s15
	s_delay_alu instid0(VALU_DEP_1)
	v_cmp_eq_f32_e64 s14, v5, v2
.LBB293_88:
	s_wait_loadcnt 0x0
	s_delay_alu instid0(VALU_DEP_1) | instskip(SKIP_4) | instid1(SALU_CYCLE_1)
	v_cndmask_b32_e64 v1, 0, 1, s14
	v_add_nc_u32_e32 v0, 0x80, v0
	global_store_b8 v4, v1, s[0:1]
	s_wait_xcnt 0x0
	s_or_b32 exec_lo, exec_lo, s18
	s_mov_b32 s18, exec_lo
	v_cmpx_gt_i32_e64 s33, v0
	s_cbranch_execz .LBB293_4
.LBB293_89:
	s_and_not1_b32 vcc_lo, exec_lo, s28
	s_cbranch_vccnz .LBB293_95
; %bb.90:
	s_and_not1_b32 vcc_lo, exec_lo, s34
	s_cbranch_vccnz .LBB293_112
; %bb.91:
	v_dual_mov_b32 v4, 0 :: v_dual_mov_b32 v1, v0
	v_dual_mov_b32 v6, 0 :: v_dual_mov_b32 v5, 0
	s_add_co_i32 s35, s31, 1
	s_mov_b64 s[14:15], 0xffffffffffffffe8
	s_and_b32 s35, s35, 30
	s_add_nc_u64 s[14:15], s[16:17], s[14:15]
.LBB293_92:                             ; =>This Inner Loop Header: Depth=1
	s_clause 0x1
	s_load_b128 s[36:39], s[14:15], 0x1c
	s_load_b64 s[44:45], s[14:15], 0x2c
	s_add_co_i32 s35, s35, -2
	s_delay_alu instid0(SALU_CYCLE_1) | instskip(SKIP_2) | instid1(VALU_DEP_1)
	s_cmp_eq_u32 s35, 0
	s_wait_kmcnt 0x0
	v_mul_hi_u32 v2, s37, v1
	v_add_nc_u32_e32 v2, v1, v2
	s_delay_alu instid0(VALU_DEP_1) | instskip(NEXT) | instid1(VALU_DEP_1)
	v_lshrrev_b32_e32 v2, s38, v2
	v_mul_hi_u32 v3, s44, v2
	v_mul_lo_u32 v7, v2, s36
	s_clause 0x1
	s_load_b128 s[40:43], s[14:15], 0xdc
	s_load_b64 s[36:37], s[14:15], 0xec
	s_wait_xcnt 0x0
	s_add_nc_u64 s[14:15], s[14:15], 24
	s_delay_alu instid0(VALU_DEP_2) | instskip(NEXT) | instid1(VALU_DEP_2)
	v_add_nc_u32_e32 v3, v2, v3
	v_sub_nc_u32_e32 v7, v1, v7
	s_delay_alu instid0(VALU_DEP_2) | instskip(SKIP_1) | instid1(VALU_DEP_2)
	v_lshrrev_b32_e32 v1, s45, v3
	s_wait_kmcnt 0x0
	v_mad_u32 v4, v7, s40, v4
	s_delay_alu instid0(VALU_DEP_2) | instskip(SKIP_2) | instid1(VALU_DEP_3)
	v_mul_lo_u32 v3, v1, s39
	v_mad_u32 v5, v7, s42, v5
	v_mad_u32 v6, v7, s41, v6
	v_sub_nc_u32_e32 v2, v2, v3
	s_delay_alu instid0(VALU_DEP_1) | instskip(NEXT) | instid1(VALU_DEP_4)
	v_mad_u32 v4, v2, s43, v4
	v_mad_u32 v5, v2, s37, v5
	s_delay_alu instid0(VALU_DEP_4)
	v_mad_u32 v6, v2, s36, v6
	s_cbranch_scc0 .LBB293_92
; %bb.93:
	s_bitcmp1_b32 s31, 0
	s_cselect_b32 s35, -1, 0
	s_delay_alu instid0(SALU_CYCLE_1)
	s_and_b32 vcc_lo, exec_lo, s35
	s_cbranch_vccnz .LBB293_113
; %bb.94:
	s_clause 0x1
	s_load_b96 s[36:38], s[14:15], 0x1c
	s_load_b96 s[40:42], s[14:15], 0xdc
	s_wait_kmcnt 0x0
	v_mul_hi_u32 v2, s37, v1
	s_delay_alu instid0(VALU_DEP_1) | instskip(NEXT) | instid1(VALU_DEP_1)
	v_add_nc_u32_e32 v2, v1, v2
	v_lshrrev_b32_e32 v2, s38, v2
	s_delay_alu instid0(VALU_DEP_1) | instskip(NEXT) | instid1(VALU_DEP_1)
	v_mul_lo_u32 v2, v2, s36
	v_sub_nc_u32_e32 v1, v1, v2
	s_delay_alu instid0(VALU_DEP_1)
	v_mad_u32 v4, v1, s40, v4
	v_mad_u32 v6, v1, s41, v6
	;; [unrolled: 1-line block ×3, first 2 shown]
	s_branch .LBB293_113
.LBB293_95:
                                        ; implicit-def: $vgpr5
                                        ; implicit-def: $vgpr6
                                        ; implicit-def: $vgpr4
	s_branch .LBB293_114
.LBB293_96:
	s_mov_b32 s14, -1
	s_mov_b32 s35, exec_lo
	v_cmpx_eq_u16_e32 0x80, v3
; %bb.97:
	s_xor_b32 s14, exec_lo, -1
; %bb.98:
	s_or_b32 exec_lo, exec_lo, s35
	s_delay_alu instid0(SALU_CYCLE_1)
	s_and_b32 s14, s14, exec_lo
	s_or_saveexec_b32 s15, s15
	v_mov_b32_e32 v5, 0x7f800001
	s_xor_b32 exec_lo, exec_lo, s15
	s_cbranch_execz .LBB293_71
.LBB293_99:
	v_cmp_ne_u16_e32 vcc_lo, 0, v3
	v_mov_b32_e32 v5, 0
	s_and_not1_b32 s14, s14, exec_lo
	s_and_b32 s35, vcc_lo, exec_lo
	s_delay_alu instid0(SALU_CYCLE_1)
	s_or_b32 s14, s14, s35
	s_or_b32 exec_lo, exec_lo, s15
	s_and_saveexec_b32 s15, s14
	s_cbranch_execnz .LBB293_72
	s_branch .LBB293_73
.LBB293_100:
	s_mov_b32 s14, -1
	s_mov_b32 s35, exec_lo
	v_cmpx_eq_u16_e32 0x80, v7
; %bb.101:
	s_xor_b32 s14, exec_lo, -1
; %bb.102:
	s_or_b32 exec_lo, exec_lo, s35
	s_delay_alu instid0(SALU_CYCLE_1)
	s_and_b32 s14, s14, exec_lo
                                        ; implicit-def: $vgpr7
	s_or_saveexec_b32 s15, s15
	v_mov_b32_e32 v6, 0x7f800001
	s_xor_b32 exec_lo, exec_lo, s15
	s_cbranch_execz .LBB293_75
.LBB293_103:
	v_cmp_ne_u16_e32 vcc_lo, 0, v7
	v_mov_b32_e32 v6, 0
	s_and_not1_b32 s14, s14, exec_lo
	s_and_b32 s35, vcc_lo, exec_lo
	s_delay_alu instid0(SALU_CYCLE_1)
	s_or_b32 s14, s14, s35
	s_or_b32 exec_lo, exec_lo, s15
	s_and_saveexec_b32 s15, s14
	s_cbranch_execnz .LBB293_76
	s_branch .LBB293_77
.LBB293_104:
	s_mov_b32 s14, -1
	s_mov_b32 s35, exec_lo
	v_cmpx_eq_u16_e32 0x80, v3
; %bb.105:
	s_xor_b32 s14, exec_lo, -1
; %bb.106:
	s_or_b32 exec_lo, exec_lo, s35
	s_delay_alu instid0(SALU_CYCLE_1)
	s_and_b32 s14, s14, exec_lo
                                        ; implicit-def: $vgpr3
	s_or_saveexec_b32 s15, s15
	v_mov_b32_e32 v5, 0x7f800001
	s_xor_b32 exec_lo, exec_lo, s15
	s_cbranch_execz .LBB293_81
.LBB293_107:
	v_cmp_ne_u16_e32 vcc_lo, 0, v3
	v_mov_b32_e32 v5, 0
	s_and_not1_b32 s14, s14, exec_lo
	s_and_b32 s35, vcc_lo, exec_lo
	s_delay_alu instid0(SALU_CYCLE_1)
	s_or_b32 s14, s14, s35
	s_or_b32 exec_lo, exec_lo, s15
	s_and_saveexec_b32 s15, s14
	s_cbranch_execnz .LBB293_82
	s_branch .LBB293_83
.LBB293_108:
	s_mov_b32 s14, -1
	s_mov_b32 s35, exec_lo
	v_cmpx_eq_u16_e32 0x80, v3
; %bb.109:
	s_xor_b32 s14, exec_lo, -1
; %bb.110:
	s_or_b32 exec_lo, exec_lo, s35
	s_delay_alu instid0(SALU_CYCLE_1)
	s_and_b32 s14, s14, exec_lo
                                        ; implicit-def: $vgpr3
	s_or_saveexec_b32 s15, s15
	v_mov_b32_e32 v2, 0x7f800001
	s_xor_b32 exec_lo, exec_lo, s15
	s_cbranch_execz .LBB293_85
.LBB293_111:
	v_cmp_ne_u16_e32 vcc_lo, 0, v3
	v_mov_b32_e32 v2, 0
	s_and_not1_b32 s14, s14, exec_lo
	s_and_b32 s35, vcc_lo, exec_lo
	s_delay_alu instid0(SALU_CYCLE_1)
	s_or_b32 s14, s14, s35
	s_or_b32 exec_lo, exec_lo, s15
	s_and_saveexec_b32 s15, s14
	s_cbranch_execnz .LBB293_86
	s_branch .LBB293_87
.LBB293_112:
	v_dual_mov_b32 v5, 0 :: v_dual_mov_b32 v6, 0
	v_mov_b32_e32 v4, 0
.LBB293_113:
	s_cbranch_execnz .LBB293_116
.LBB293_114:
	v_mov_b32_e32 v1, 0
	s_and_not1_b32 vcc_lo, exec_lo, s30
	s_delay_alu instid0(VALU_DEP_1) | instskip(NEXT) | instid1(VALU_DEP_1)
	v_mul_u64_e32 v[2:3], s[20:21], v[0:1]
	v_add_nc_u32_e32 v2, v0, v3
	s_delay_alu instid0(VALU_DEP_1) | instskip(NEXT) | instid1(VALU_DEP_1)
	v_lshrrev_b32_e32 v2, s6, v2
	v_mul_lo_u32 v3, v2, s4
	s_delay_alu instid0(VALU_DEP_1) | instskip(NEXT) | instid1(VALU_DEP_1)
	v_sub_nc_u32_e32 v3, v0, v3
	v_mul_lo_u32 v4, v3, s8
	v_mul_lo_u32 v5, v3, s10
	v_mul_lo_u32 v6, v3, s9
	s_cbranch_vccnz .LBB293_116
; %bb.115:
	v_mov_b32_e32 v3, v1
	s_delay_alu instid0(VALU_DEP_1) | instskip(NEXT) | instid1(VALU_DEP_1)
	v_mul_u64_e32 v[8:9], s[24:25], v[2:3]
	v_add_nc_u32_e32 v1, v2, v9
	s_delay_alu instid0(VALU_DEP_1) | instskip(NEXT) | instid1(VALU_DEP_1)
	v_lshrrev_b32_e32 v1, s19, v1
	v_mul_lo_u32 v1, v1, s7
	s_delay_alu instid0(VALU_DEP_1) | instskip(NEXT) | instid1(VALU_DEP_1)
	v_sub_nc_u32_e32 v1, v2, v1
	v_mad_u32 v4, v1, s11, v4
	v_mad_u32 v6, v1, s22, v6
	;; [unrolled: 1-line block ×3, first 2 shown]
.LBB293_116:
	global_load_u8 v2, v6, s[2:3]
	global_load_u8 v1, v5, s[12:13]
	s_and_not1_b32 vcc_lo, exec_lo, s5
	s_wait_loadcnt 0x1
	v_and_b32_e32 v3, 0xff, v2
	s_cbranch_vccnz .LBB293_126
; %bb.117:
	s_mov_b32 s14, 0
	s_mov_b32 s15, exec_lo
	s_wait_xcnt 0x0
	v_cmpx_lt_i16_e32 0x7f, v3
	s_xor_b32 s15, exec_lo, s15
	s_cbranch_execnz .LBB293_144
; %bb.118:
	s_or_saveexec_b32 s15, s15
	v_mov_b32_e32 v5, 0x7f800001
	s_xor_b32 exec_lo, exec_lo, s15
	s_cbranch_execnz .LBB293_147
.LBB293_119:
	s_or_b32 exec_lo, exec_lo, s15
	s_and_saveexec_b32 s15, s14
	s_cbranch_execz .LBB293_121
.LBB293_120:
	v_and_b32_e32 v5, 7, v2
	v_lshrrev_b16 v7, 3, v2
	v_lshlrev_b32_e32 v9, 24, v2
	s_delay_alu instid0(VALU_DEP_3) | instskip(NEXT) | instid1(VALU_DEP_1)
	v_clz_i32_u32_e32 v6, v5
	v_min_u32_e32 v6, 32, v6
	s_delay_alu instid0(VALU_DEP_4) | instskip(NEXT) | instid1(VALU_DEP_2)
	v_and_b32_e32 v7, 15, v7
	v_subrev_nc_u32_e32 v8, 28, v6
	v_sub_nc_u32_e32 v6, 29, v6
	s_delay_alu instid0(VALU_DEP_3) | instskip(NEXT) | instid1(VALU_DEP_3)
	v_cmp_eq_u32_e32 vcc_lo, 0, v7
	v_lshlrev_b32_e32 v8, v8, v2
	s_delay_alu instid0(VALU_DEP_1) | instskip(SKIP_1) | instid1(VALU_DEP_2)
	v_dual_cndmask_b32 v6, v7, v6, vcc_lo :: v_dual_bitop2_b32 v8, 7, v8 bitop3:0x40
	v_and_b32_e32 v7, 0x80000000, v9
	v_cndmask_b32_e32 v5, v5, v8, vcc_lo
	s_delay_alu instid0(VALU_DEP_3) | instskip(NEXT) | instid1(VALU_DEP_2)
	v_lshl_add_u32 v6, v6, 23, 0x3b800000
	v_lshlrev_b32_e32 v5, 20, v5
	s_delay_alu instid0(VALU_DEP_1)
	v_or3_b32 v5, v7, v6, v5
.LBB293_121:
	s_or_b32 exec_lo, exec_lo, s15
	s_wait_loadcnt 0x0
	v_and_b32_e32 v7, 0xff, v1
	s_mov_b32 s14, 0
	s_mov_b32 s15, exec_lo
	s_delay_alu instid0(VALU_DEP_1)
	v_cmpx_lt_i16_e32 0x7f, v7
	s_xor_b32 s15, exec_lo, s15
	s_cbranch_execnz .LBB293_148
; %bb.122:
	s_or_saveexec_b32 s15, s15
	v_mov_b32_e32 v6, 0x7f800001
	s_xor_b32 exec_lo, exec_lo, s15
	s_cbranch_execnz .LBB293_151
.LBB293_123:
	s_or_b32 exec_lo, exec_lo, s15
	s_and_saveexec_b32 s15, s14
	s_cbranch_execz .LBB293_125
.LBB293_124:
	v_and_b32_e32 v6, 7, v1
	v_lshrrev_b16 v8, 3, v1
	s_delay_alu instid0(VALU_DEP_2) | instskip(NEXT) | instid1(VALU_DEP_1)
	v_clz_i32_u32_e32 v7, v6
	v_min_u32_e32 v7, 32, v7
	s_delay_alu instid0(VALU_DEP_3) | instskip(NEXT) | instid1(VALU_DEP_2)
	v_and_b32_e32 v8, 15, v8
	v_subrev_nc_u32_e32 v9, 28, v7
	v_sub_nc_u32_e32 v7, 29, v7
	s_delay_alu instid0(VALU_DEP_3) | instskip(NEXT) | instid1(VALU_DEP_2)
	v_cmp_eq_u32_e32 vcc_lo, 0, v8
	v_dual_lshlrev_b32 v9, v9, v1 :: v_dual_cndmask_b32 v7, v8, v7, vcc_lo
	s_delay_alu instid0(VALU_DEP_1) | instskip(NEXT) | instid1(VALU_DEP_2)
	v_and_b32_e32 v9, 7, v9
	v_lshl_add_u32 v7, v7, 23, 0x3b800000
	s_delay_alu instid0(VALU_DEP_2) | instskip(NEXT) | instid1(VALU_DEP_1)
	v_cndmask_b32_e32 v6, v6, v9, vcc_lo
	v_dual_lshlrev_b32 v10, 24, v1 :: v_dual_lshlrev_b32 v6, 20, v6
	s_delay_alu instid0(VALU_DEP_1) | instskip(NEXT) | instid1(VALU_DEP_1)
	v_and_b32_e32 v8, 0x80000000, v10
	v_or3_b32 v6, v8, v7, v6
.LBB293_125:
	s_or_b32 exec_lo, exec_lo, s15
	s_delay_alu instid0(VALU_DEP_1)
	v_cmp_neq_f32_e64 s14, v5, v6
	s_branch .LBB293_136
.LBB293_126:
                                        ; implicit-def: $sgpr14
	s_cbranch_execz .LBB293_136
; %bb.127:
	s_mov_b32 s14, 0
	s_mov_b32 s15, exec_lo
	s_wait_xcnt 0x0
	v_cmpx_lt_i16_e32 0x7f, v3
	s_xor_b32 s15, exec_lo, s15
	s_cbranch_execnz .LBB293_152
; %bb.128:
	s_or_saveexec_b32 s15, s15
	v_mov_b32_e32 v5, 0x7f800001
	s_xor_b32 exec_lo, exec_lo, s15
	s_cbranch_execnz .LBB293_155
.LBB293_129:
	s_or_b32 exec_lo, exec_lo, s15
	s_and_saveexec_b32 s15, s14
	s_cbranch_execz .LBB293_131
.LBB293_130:
	v_and_b32_e32 v3, 7, v2
	v_lshrrev_b16 v6, 3, v2
	s_delay_alu instid0(VALU_DEP_2) | instskip(NEXT) | instid1(VALU_DEP_1)
	v_clz_i32_u32_e32 v5, v3
	v_min_u32_e32 v5, 32, v5
	s_delay_alu instid0(VALU_DEP_3) | instskip(NEXT) | instid1(VALU_DEP_2)
	v_and_b32_e32 v6, 15, v6
	v_subrev_nc_u32_e32 v7, 28, v5
	v_sub_nc_u32_e32 v5, 29, v5
	s_delay_alu instid0(VALU_DEP_3) | instskip(NEXT) | instid1(VALU_DEP_3)
	v_cmp_eq_u32_e32 vcc_lo, 0, v6
	v_dual_lshlrev_b32 v7, v7, v2 :: v_dual_lshlrev_b32 v2, 24, v2
	s_delay_alu instid0(VALU_DEP_1) | instskip(NEXT) | instid1(VALU_DEP_2)
	v_dual_cndmask_b32 v5, v6, v5, vcc_lo :: v_dual_bitop2_b32 v7, 7, v7 bitop3:0x40
	v_and_b32_e32 v2, 0x80000000, v2
	s_delay_alu instid0(VALU_DEP_2) | instskip(NEXT) | instid1(VALU_DEP_3)
	v_cndmask_b32_e32 v3, v3, v7, vcc_lo
	v_lshl_add_u32 v5, v5, 23, 0x3b800000
	s_delay_alu instid0(VALU_DEP_2) | instskip(NEXT) | instid1(VALU_DEP_1)
	v_lshlrev_b32_e32 v3, 20, v3
	v_or3_b32 v5, v2, v5, v3
.LBB293_131:
	s_or_b32 exec_lo, exec_lo, s15
	s_wait_loadcnt 0x0
	v_and_b32_e32 v3, 0xff, v1
	s_mov_b32 s14, 0
	s_mov_b32 s15, exec_lo
	s_delay_alu instid0(VALU_DEP_1)
	v_cmpx_lt_i16_e32 0x7f, v3
	s_xor_b32 s15, exec_lo, s15
	s_cbranch_execnz .LBB293_156
; %bb.132:
	s_or_saveexec_b32 s15, s15
	v_mov_b32_e32 v2, 0x7f800001
	s_xor_b32 exec_lo, exec_lo, s15
	s_cbranch_execnz .LBB293_159
.LBB293_133:
	s_or_b32 exec_lo, exec_lo, s15
	s_and_saveexec_b32 s15, s14
	s_cbranch_execz .LBB293_135
.LBB293_134:
	v_and_b32_e32 v2, 7, v1
	v_lshrrev_b16 v6, 3, v1
	s_delay_alu instid0(VALU_DEP_2) | instskip(NEXT) | instid1(VALU_DEP_1)
	v_clz_i32_u32_e32 v3, v2
	v_min_u32_e32 v3, 32, v3
	s_delay_alu instid0(VALU_DEP_3) | instskip(NEXT) | instid1(VALU_DEP_2)
	v_and_b32_e32 v6, 15, v6
	v_subrev_nc_u32_e32 v7, 28, v3
	v_sub_nc_u32_e32 v3, 29, v3
	s_delay_alu instid0(VALU_DEP_3) | instskip(NEXT) | instid1(VALU_DEP_3)
	v_cmp_eq_u32_e32 vcc_lo, 0, v6
	v_dual_lshlrev_b32 v7, v7, v1 :: v_dual_lshlrev_b32 v1, 24, v1
	s_delay_alu instid0(VALU_DEP_1) | instskip(NEXT) | instid1(VALU_DEP_2)
	v_and_b32_e32 v7, 7, v7
	v_and_b32_e32 v1, 0x80000000, v1
	s_delay_alu instid0(VALU_DEP_2) | instskip(NEXT) | instid1(VALU_DEP_1)
	v_cndmask_b32_e32 v2, v2, v7, vcc_lo
	v_dual_cndmask_b32 v3, v6, v3 :: v_dual_lshlrev_b32 v2, 20, v2
	s_delay_alu instid0(VALU_DEP_1) | instskip(NEXT) | instid1(VALU_DEP_1)
	v_lshl_add_u32 v3, v3, 23, 0x3b800000
	v_or3_b32 v2, v1, v3, v2
.LBB293_135:
	s_or_b32 exec_lo, exec_lo, s15
	s_delay_alu instid0(VALU_DEP_1)
	v_cmp_eq_f32_e64 s14, v5, v2
.LBB293_136:
	s_wait_loadcnt 0x0
	s_delay_alu instid0(VALU_DEP_1) | instskip(SKIP_4) | instid1(SALU_CYCLE_1)
	v_cndmask_b32_e64 v1, 0, 1, s14
	v_add_nc_u32_e32 v0, 0x80, v0
	global_store_b8 v4, v1, s[0:1]
	s_wait_xcnt 0x0
	s_or_b32 exec_lo, exec_lo, s18
	s_mov_b32 s18, exec_lo
	v_cmpx_gt_i32_e64 s33, v0
	s_cbranch_execz .LBB293_5
.LBB293_137:
	s_and_not1_b32 vcc_lo, exec_lo, s28
	s_cbranch_vccnz .LBB293_143
; %bb.138:
	s_and_not1_b32 vcc_lo, exec_lo, s34
	s_cbranch_vccnz .LBB293_160
; %bb.139:
	v_dual_mov_b32 v4, 0 :: v_dual_mov_b32 v1, v0
	v_dual_mov_b32 v6, 0 :: v_dual_mov_b32 v5, 0
	s_add_co_i32 s35, s31, 1
	s_mov_b64 s[14:15], 0xffffffffffffffe8
	s_and_b32 s35, s35, 30
	s_add_nc_u64 s[14:15], s[16:17], s[14:15]
.LBB293_140:                            ; =>This Inner Loop Header: Depth=1
	s_clause 0x1
	s_load_b128 s[36:39], s[14:15], 0x1c
	s_load_b64 s[44:45], s[14:15], 0x2c
	s_add_co_i32 s35, s35, -2
	s_delay_alu instid0(SALU_CYCLE_1) | instskip(SKIP_2) | instid1(VALU_DEP_1)
	s_cmp_eq_u32 s35, 0
	s_wait_kmcnt 0x0
	v_mul_hi_u32 v2, s37, v1
	v_add_nc_u32_e32 v2, v1, v2
	s_delay_alu instid0(VALU_DEP_1) | instskip(NEXT) | instid1(VALU_DEP_1)
	v_lshrrev_b32_e32 v2, s38, v2
	v_mul_hi_u32 v3, s44, v2
	v_mul_lo_u32 v7, v2, s36
	s_clause 0x1
	s_load_b128 s[40:43], s[14:15], 0xdc
	s_load_b64 s[36:37], s[14:15], 0xec
	s_wait_xcnt 0x0
	s_add_nc_u64 s[14:15], s[14:15], 24
	s_delay_alu instid0(VALU_DEP_2) | instskip(NEXT) | instid1(VALU_DEP_2)
	v_add_nc_u32_e32 v3, v2, v3
	v_sub_nc_u32_e32 v7, v1, v7
	s_delay_alu instid0(VALU_DEP_2) | instskip(SKIP_1) | instid1(VALU_DEP_2)
	v_lshrrev_b32_e32 v1, s45, v3
	s_wait_kmcnt 0x0
	v_mad_u32 v4, v7, s40, v4
	s_delay_alu instid0(VALU_DEP_2) | instskip(SKIP_2) | instid1(VALU_DEP_3)
	v_mul_lo_u32 v3, v1, s39
	v_mad_u32 v5, v7, s42, v5
	v_mad_u32 v6, v7, s41, v6
	v_sub_nc_u32_e32 v2, v2, v3
	s_delay_alu instid0(VALU_DEP_1) | instskip(NEXT) | instid1(VALU_DEP_4)
	v_mad_u32 v4, v2, s43, v4
	v_mad_u32 v5, v2, s37, v5
	s_delay_alu instid0(VALU_DEP_4)
	v_mad_u32 v6, v2, s36, v6
	s_cbranch_scc0 .LBB293_140
; %bb.141:
	s_bitcmp1_b32 s31, 0
	s_cselect_b32 s35, -1, 0
	s_delay_alu instid0(SALU_CYCLE_1)
	s_and_b32 vcc_lo, exec_lo, s35
	s_cbranch_vccnz .LBB293_161
; %bb.142:
	s_clause 0x1
	s_load_b96 s[36:38], s[14:15], 0x1c
	s_load_b96 s[40:42], s[14:15], 0xdc
	s_wait_kmcnt 0x0
	v_mul_hi_u32 v2, s37, v1
	s_delay_alu instid0(VALU_DEP_1) | instskip(NEXT) | instid1(VALU_DEP_1)
	v_add_nc_u32_e32 v2, v1, v2
	v_lshrrev_b32_e32 v2, s38, v2
	s_delay_alu instid0(VALU_DEP_1) | instskip(NEXT) | instid1(VALU_DEP_1)
	v_mul_lo_u32 v2, v2, s36
	v_sub_nc_u32_e32 v1, v1, v2
	s_delay_alu instid0(VALU_DEP_1)
	v_mad_u32 v4, v1, s40, v4
	v_mad_u32 v6, v1, s41, v6
	;; [unrolled: 1-line block ×3, first 2 shown]
	s_branch .LBB293_161
.LBB293_143:
                                        ; implicit-def: $vgpr5
                                        ; implicit-def: $vgpr6
                                        ; implicit-def: $vgpr4
	s_branch .LBB293_162
.LBB293_144:
	s_mov_b32 s14, -1
	s_mov_b32 s35, exec_lo
	v_cmpx_eq_u16_e32 0x80, v3
; %bb.145:
	s_xor_b32 s14, exec_lo, -1
; %bb.146:
	s_or_b32 exec_lo, exec_lo, s35
	s_delay_alu instid0(SALU_CYCLE_1)
	s_and_b32 s14, s14, exec_lo
	s_or_saveexec_b32 s15, s15
	v_mov_b32_e32 v5, 0x7f800001
	s_xor_b32 exec_lo, exec_lo, s15
	s_cbranch_execz .LBB293_119
.LBB293_147:
	v_cmp_ne_u16_e32 vcc_lo, 0, v3
	v_mov_b32_e32 v5, 0
	s_and_not1_b32 s14, s14, exec_lo
	s_and_b32 s35, vcc_lo, exec_lo
	s_delay_alu instid0(SALU_CYCLE_1)
	s_or_b32 s14, s14, s35
	s_or_b32 exec_lo, exec_lo, s15
	s_and_saveexec_b32 s15, s14
	s_cbranch_execnz .LBB293_120
	s_branch .LBB293_121
.LBB293_148:
	s_mov_b32 s14, -1
	s_mov_b32 s35, exec_lo
	v_cmpx_eq_u16_e32 0x80, v7
; %bb.149:
	s_xor_b32 s14, exec_lo, -1
; %bb.150:
	s_or_b32 exec_lo, exec_lo, s35
	s_delay_alu instid0(SALU_CYCLE_1)
	s_and_b32 s14, s14, exec_lo
                                        ; implicit-def: $vgpr7
	s_or_saveexec_b32 s15, s15
	v_mov_b32_e32 v6, 0x7f800001
	s_xor_b32 exec_lo, exec_lo, s15
	s_cbranch_execz .LBB293_123
.LBB293_151:
	v_cmp_ne_u16_e32 vcc_lo, 0, v7
	v_mov_b32_e32 v6, 0
	s_and_not1_b32 s14, s14, exec_lo
	s_and_b32 s35, vcc_lo, exec_lo
	s_delay_alu instid0(SALU_CYCLE_1)
	s_or_b32 s14, s14, s35
	s_or_b32 exec_lo, exec_lo, s15
	s_and_saveexec_b32 s15, s14
	s_cbranch_execnz .LBB293_124
	s_branch .LBB293_125
.LBB293_152:
	s_mov_b32 s14, -1
	s_mov_b32 s35, exec_lo
	v_cmpx_eq_u16_e32 0x80, v3
; %bb.153:
	s_xor_b32 s14, exec_lo, -1
; %bb.154:
	s_or_b32 exec_lo, exec_lo, s35
	s_delay_alu instid0(SALU_CYCLE_1)
	s_and_b32 s14, s14, exec_lo
                                        ; implicit-def: $vgpr3
	s_or_saveexec_b32 s15, s15
	v_mov_b32_e32 v5, 0x7f800001
	s_xor_b32 exec_lo, exec_lo, s15
	s_cbranch_execz .LBB293_129
.LBB293_155:
	v_cmp_ne_u16_e32 vcc_lo, 0, v3
	v_mov_b32_e32 v5, 0
	s_and_not1_b32 s14, s14, exec_lo
	s_and_b32 s35, vcc_lo, exec_lo
	s_delay_alu instid0(SALU_CYCLE_1)
	s_or_b32 s14, s14, s35
	s_or_b32 exec_lo, exec_lo, s15
	s_and_saveexec_b32 s15, s14
	s_cbranch_execnz .LBB293_130
	s_branch .LBB293_131
.LBB293_156:
	s_mov_b32 s14, -1
	s_mov_b32 s35, exec_lo
	v_cmpx_eq_u16_e32 0x80, v3
; %bb.157:
	s_xor_b32 s14, exec_lo, -1
; %bb.158:
	s_or_b32 exec_lo, exec_lo, s35
	s_delay_alu instid0(SALU_CYCLE_1)
	s_and_b32 s14, s14, exec_lo
                                        ; implicit-def: $vgpr3
	s_or_saveexec_b32 s15, s15
	v_mov_b32_e32 v2, 0x7f800001
	s_xor_b32 exec_lo, exec_lo, s15
	s_cbranch_execz .LBB293_133
.LBB293_159:
	v_cmp_ne_u16_e32 vcc_lo, 0, v3
	v_mov_b32_e32 v2, 0
	s_and_not1_b32 s14, s14, exec_lo
	s_and_b32 s35, vcc_lo, exec_lo
	s_delay_alu instid0(SALU_CYCLE_1)
	s_or_b32 s14, s14, s35
	s_or_b32 exec_lo, exec_lo, s15
	s_and_saveexec_b32 s15, s14
	s_cbranch_execnz .LBB293_134
	s_branch .LBB293_135
.LBB293_160:
	v_dual_mov_b32 v5, 0 :: v_dual_mov_b32 v6, 0
	v_mov_b32_e32 v4, 0
.LBB293_161:
	s_cbranch_execnz .LBB293_164
.LBB293_162:
	v_mov_b32_e32 v1, 0
	s_and_not1_b32 vcc_lo, exec_lo, s30
	s_delay_alu instid0(VALU_DEP_1) | instskip(NEXT) | instid1(VALU_DEP_1)
	v_mul_u64_e32 v[2:3], s[20:21], v[0:1]
	v_add_nc_u32_e32 v2, v0, v3
	s_delay_alu instid0(VALU_DEP_1) | instskip(NEXT) | instid1(VALU_DEP_1)
	v_lshrrev_b32_e32 v2, s6, v2
	v_mul_lo_u32 v3, v2, s4
	s_delay_alu instid0(VALU_DEP_1) | instskip(NEXT) | instid1(VALU_DEP_1)
	v_sub_nc_u32_e32 v3, v0, v3
	v_mul_lo_u32 v4, v3, s8
	v_mul_lo_u32 v5, v3, s10
	;; [unrolled: 1-line block ×3, first 2 shown]
	s_cbranch_vccnz .LBB293_164
; %bb.163:
	v_mov_b32_e32 v3, v1
	s_delay_alu instid0(VALU_DEP_1) | instskip(NEXT) | instid1(VALU_DEP_1)
	v_mul_u64_e32 v[8:9], s[24:25], v[2:3]
	v_add_nc_u32_e32 v1, v2, v9
	s_delay_alu instid0(VALU_DEP_1) | instskip(NEXT) | instid1(VALU_DEP_1)
	v_lshrrev_b32_e32 v1, s19, v1
	v_mul_lo_u32 v1, v1, s7
	s_delay_alu instid0(VALU_DEP_1) | instskip(NEXT) | instid1(VALU_DEP_1)
	v_sub_nc_u32_e32 v1, v2, v1
	v_mad_u32 v4, v1, s11, v4
	v_mad_u32 v6, v1, s22, v6
	;; [unrolled: 1-line block ×3, first 2 shown]
.LBB293_164:
	global_load_u8 v2, v6, s[2:3]
	global_load_u8 v1, v5, s[12:13]
	s_and_not1_b32 vcc_lo, exec_lo, s5
	s_wait_loadcnt 0x1
	v_and_b32_e32 v3, 0xff, v2
	s_cbranch_vccnz .LBB293_174
; %bb.165:
	s_mov_b32 s14, 0
	s_mov_b32 s15, exec_lo
	s_wait_xcnt 0x0
	v_cmpx_lt_i16_e32 0x7f, v3
	s_xor_b32 s15, exec_lo, s15
	s_cbranch_execnz .LBB293_192
; %bb.166:
	s_or_saveexec_b32 s15, s15
	v_mov_b32_e32 v5, 0x7f800001
	s_xor_b32 exec_lo, exec_lo, s15
	s_cbranch_execnz .LBB293_195
.LBB293_167:
	s_or_b32 exec_lo, exec_lo, s15
	s_and_saveexec_b32 s15, s14
	s_cbranch_execz .LBB293_169
.LBB293_168:
	v_and_b32_e32 v5, 7, v2
	v_lshrrev_b16 v7, 3, v2
	v_lshlrev_b32_e32 v9, 24, v2
	s_delay_alu instid0(VALU_DEP_3) | instskip(NEXT) | instid1(VALU_DEP_1)
	v_clz_i32_u32_e32 v6, v5
	v_min_u32_e32 v6, 32, v6
	s_delay_alu instid0(VALU_DEP_4) | instskip(NEXT) | instid1(VALU_DEP_2)
	v_and_b32_e32 v7, 15, v7
	v_subrev_nc_u32_e32 v8, 28, v6
	v_sub_nc_u32_e32 v6, 29, v6
	s_delay_alu instid0(VALU_DEP_3) | instskip(NEXT) | instid1(VALU_DEP_3)
	v_cmp_eq_u32_e32 vcc_lo, 0, v7
	v_lshlrev_b32_e32 v8, v8, v2
	s_delay_alu instid0(VALU_DEP_1) | instskip(SKIP_1) | instid1(VALU_DEP_2)
	v_dual_cndmask_b32 v6, v7, v6, vcc_lo :: v_dual_bitop2_b32 v8, 7, v8 bitop3:0x40
	v_and_b32_e32 v7, 0x80000000, v9
	v_cndmask_b32_e32 v5, v5, v8, vcc_lo
	s_delay_alu instid0(VALU_DEP_3) | instskip(NEXT) | instid1(VALU_DEP_2)
	v_lshl_add_u32 v6, v6, 23, 0x3b800000
	v_lshlrev_b32_e32 v5, 20, v5
	s_delay_alu instid0(VALU_DEP_1)
	v_or3_b32 v5, v7, v6, v5
.LBB293_169:
	s_or_b32 exec_lo, exec_lo, s15
	s_wait_loadcnt 0x0
	v_and_b32_e32 v7, 0xff, v1
	s_mov_b32 s14, 0
	s_mov_b32 s15, exec_lo
	s_delay_alu instid0(VALU_DEP_1)
	v_cmpx_lt_i16_e32 0x7f, v7
	s_xor_b32 s15, exec_lo, s15
	s_cbranch_execnz .LBB293_196
; %bb.170:
	s_or_saveexec_b32 s15, s15
	v_mov_b32_e32 v6, 0x7f800001
	s_xor_b32 exec_lo, exec_lo, s15
	s_cbranch_execnz .LBB293_199
.LBB293_171:
	s_or_b32 exec_lo, exec_lo, s15
	s_and_saveexec_b32 s15, s14
	s_cbranch_execz .LBB293_173
.LBB293_172:
	v_and_b32_e32 v6, 7, v1
	v_lshrrev_b16 v8, 3, v1
	s_delay_alu instid0(VALU_DEP_2) | instskip(NEXT) | instid1(VALU_DEP_1)
	v_clz_i32_u32_e32 v7, v6
	v_min_u32_e32 v7, 32, v7
	s_delay_alu instid0(VALU_DEP_3) | instskip(NEXT) | instid1(VALU_DEP_2)
	v_and_b32_e32 v8, 15, v8
	v_subrev_nc_u32_e32 v9, 28, v7
	v_sub_nc_u32_e32 v7, 29, v7
	s_delay_alu instid0(VALU_DEP_3) | instskip(NEXT) | instid1(VALU_DEP_2)
	v_cmp_eq_u32_e32 vcc_lo, 0, v8
	v_dual_lshlrev_b32 v9, v9, v1 :: v_dual_cndmask_b32 v7, v8, v7, vcc_lo
	s_delay_alu instid0(VALU_DEP_1) | instskip(NEXT) | instid1(VALU_DEP_2)
	v_and_b32_e32 v9, 7, v9
	v_lshl_add_u32 v7, v7, 23, 0x3b800000
	s_delay_alu instid0(VALU_DEP_2) | instskip(NEXT) | instid1(VALU_DEP_1)
	v_cndmask_b32_e32 v6, v6, v9, vcc_lo
	v_dual_lshlrev_b32 v10, 24, v1 :: v_dual_lshlrev_b32 v6, 20, v6
	s_delay_alu instid0(VALU_DEP_1) | instskip(NEXT) | instid1(VALU_DEP_1)
	v_and_b32_e32 v8, 0x80000000, v10
	v_or3_b32 v6, v8, v7, v6
.LBB293_173:
	s_or_b32 exec_lo, exec_lo, s15
	s_delay_alu instid0(VALU_DEP_1)
	v_cmp_neq_f32_e64 s14, v5, v6
	s_branch .LBB293_184
.LBB293_174:
                                        ; implicit-def: $sgpr14
	s_cbranch_execz .LBB293_184
; %bb.175:
	s_mov_b32 s14, 0
	s_mov_b32 s15, exec_lo
	s_wait_xcnt 0x0
	v_cmpx_lt_i16_e32 0x7f, v3
	s_xor_b32 s15, exec_lo, s15
	s_cbranch_execnz .LBB293_200
; %bb.176:
	s_or_saveexec_b32 s15, s15
	v_mov_b32_e32 v5, 0x7f800001
	s_xor_b32 exec_lo, exec_lo, s15
	s_cbranch_execnz .LBB293_203
.LBB293_177:
	s_or_b32 exec_lo, exec_lo, s15
	s_and_saveexec_b32 s15, s14
	s_cbranch_execz .LBB293_179
.LBB293_178:
	v_and_b32_e32 v3, 7, v2
	v_lshrrev_b16 v6, 3, v2
	s_delay_alu instid0(VALU_DEP_2) | instskip(NEXT) | instid1(VALU_DEP_1)
	v_clz_i32_u32_e32 v5, v3
	v_min_u32_e32 v5, 32, v5
	s_delay_alu instid0(VALU_DEP_3) | instskip(NEXT) | instid1(VALU_DEP_2)
	v_and_b32_e32 v6, 15, v6
	v_subrev_nc_u32_e32 v7, 28, v5
	v_sub_nc_u32_e32 v5, 29, v5
	s_delay_alu instid0(VALU_DEP_3) | instskip(NEXT) | instid1(VALU_DEP_3)
	v_cmp_eq_u32_e32 vcc_lo, 0, v6
	v_dual_lshlrev_b32 v7, v7, v2 :: v_dual_lshlrev_b32 v2, 24, v2
	s_delay_alu instid0(VALU_DEP_1) | instskip(NEXT) | instid1(VALU_DEP_2)
	v_dual_cndmask_b32 v5, v6, v5, vcc_lo :: v_dual_bitop2_b32 v7, 7, v7 bitop3:0x40
	v_and_b32_e32 v2, 0x80000000, v2
	s_delay_alu instid0(VALU_DEP_2) | instskip(NEXT) | instid1(VALU_DEP_3)
	v_cndmask_b32_e32 v3, v3, v7, vcc_lo
	v_lshl_add_u32 v5, v5, 23, 0x3b800000
	s_delay_alu instid0(VALU_DEP_2) | instskip(NEXT) | instid1(VALU_DEP_1)
	v_lshlrev_b32_e32 v3, 20, v3
	v_or3_b32 v5, v2, v5, v3
.LBB293_179:
	s_or_b32 exec_lo, exec_lo, s15
	s_wait_loadcnt 0x0
	v_and_b32_e32 v3, 0xff, v1
	s_mov_b32 s14, 0
	s_mov_b32 s15, exec_lo
	s_delay_alu instid0(VALU_DEP_1)
	v_cmpx_lt_i16_e32 0x7f, v3
	s_xor_b32 s15, exec_lo, s15
	s_cbranch_execnz .LBB293_204
; %bb.180:
	s_or_saveexec_b32 s15, s15
	v_mov_b32_e32 v2, 0x7f800001
	s_xor_b32 exec_lo, exec_lo, s15
	s_cbranch_execnz .LBB293_207
.LBB293_181:
	s_or_b32 exec_lo, exec_lo, s15
	s_and_saveexec_b32 s15, s14
	s_cbranch_execz .LBB293_183
.LBB293_182:
	v_and_b32_e32 v2, 7, v1
	v_lshrrev_b16 v6, 3, v1
	s_delay_alu instid0(VALU_DEP_2) | instskip(NEXT) | instid1(VALU_DEP_1)
	v_clz_i32_u32_e32 v3, v2
	v_min_u32_e32 v3, 32, v3
	s_delay_alu instid0(VALU_DEP_3) | instskip(NEXT) | instid1(VALU_DEP_2)
	v_and_b32_e32 v6, 15, v6
	v_subrev_nc_u32_e32 v7, 28, v3
	v_sub_nc_u32_e32 v3, 29, v3
	s_delay_alu instid0(VALU_DEP_3) | instskip(NEXT) | instid1(VALU_DEP_3)
	v_cmp_eq_u32_e32 vcc_lo, 0, v6
	v_dual_lshlrev_b32 v7, v7, v1 :: v_dual_lshlrev_b32 v1, 24, v1
	s_delay_alu instid0(VALU_DEP_1) | instskip(NEXT) | instid1(VALU_DEP_2)
	v_and_b32_e32 v7, 7, v7
	v_and_b32_e32 v1, 0x80000000, v1
	s_delay_alu instid0(VALU_DEP_2) | instskip(NEXT) | instid1(VALU_DEP_1)
	v_cndmask_b32_e32 v2, v2, v7, vcc_lo
	v_dual_cndmask_b32 v3, v6, v3 :: v_dual_lshlrev_b32 v2, 20, v2
	s_delay_alu instid0(VALU_DEP_1) | instskip(NEXT) | instid1(VALU_DEP_1)
	v_lshl_add_u32 v3, v3, 23, 0x3b800000
	v_or3_b32 v2, v1, v3, v2
.LBB293_183:
	s_or_b32 exec_lo, exec_lo, s15
	s_delay_alu instid0(VALU_DEP_1)
	v_cmp_eq_f32_e64 s14, v5, v2
.LBB293_184:
	s_wait_loadcnt 0x0
	s_delay_alu instid0(VALU_DEP_1) | instskip(SKIP_4) | instid1(SALU_CYCLE_1)
	v_cndmask_b32_e64 v1, 0, 1, s14
	v_add_nc_u32_e32 v0, 0x80, v0
	global_store_b8 v4, v1, s[0:1]
	s_wait_xcnt 0x0
	s_or_b32 exec_lo, exec_lo, s18
	s_mov_b32 s18, exec_lo
	v_cmpx_gt_i32_e64 s33, v0
	s_cbranch_execz .LBB293_6
.LBB293_185:
	s_and_not1_b32 vcc_lo, exec_lo, s28
	s_cbranch_vccnz .LBB293_191
; %bb.186:
	s_and_not1_b32 vcc_lo, exec_lo, s34
	s_cbranch_vccnz .LBB293_208
; %bb.187:
	v_dual_mov_b32 v4, 0 :: v_dual_mov_b32 v1, v0
	v_dual_mov_b32 v6, 0 :: v_dual_mov_b32 v5, 0
	s_add_co_i32 s35, s31, 1
	s_mov_b64 s[14:15], 0xffffffffffffffe8
	s_and_b32 s35, s35, 30
	s_add_nc_u64 s[14:15], s[16:17], s[14:15]
.LBB293_188:                            ; =>This Inner Loop Header: Depth=1
	s_clause 0x1
	s_load_b128 s[36:39], s[14:15], 0x1c
	s_load_b64 s[44:45], s[14:15], 0x2c
	s_add_co_i32 s35, s35, -2
	s_delay_alu instid0(SALU_CYCLE_1) | instskip(SKIP_2) | instid1(VALU_DEP_1)
	s_cmp_eq_u32 s35, 0
	s_wait_kmcnt 0x0
	v_mul_hi_u32 v2, s37, v1
	v_add_nc_u32_e32 v2, v1, v2
	s_delay_alu instid0(VALU_DEP_1) | instskip(NEXT) | instid1(VALU_DEP_1)
	v_lshrrev_b32_e32 v2, s38, v2
	v_mul_hi_u32 v3, s44, v2
	v_mul_lo_u32 v7, v2, s36
	s_clause 0x1
	s_load_b128 s[40:43], s[14:15], 0xdc
	s_load_b64 s[36:37], s[14:15], 0xec
	s_wait_xcnt 0x0
	s_add_nc_u64 s[14:15], s[14:15], 24
	s_delay_alu instid0(VALU_DEP_2) | instskip(NEXT) | instid1(VALU_DEP_2)
	v_add_nc_u32_e32 v3, v2, v3
	v_sub_nc_u32_e32 v7, v1, v7
	s_delay_alu instid0(VALU_DEP_2) | instskip(SKIP_1) | instid1(VALU_DEP_2)
	v_lshrrev_b32_e32 v1, s45, v3
	s_wait_kmcnt 0x0
	v_mad_u32 v4, v7, s40, v4
	s_delay_alu instid0(VALU_DEP_2) | instskip(SKIP_2) | instid1(VALU_DEP_3)
	v_mul_lo_u32 v3, v1, s39
	v_mad_u32 v5, v7, s42, v5
	v_mad_u32 v6, v7, s41, v6
	v_sub_nc_u32_e32 v2, v2, v3
	s_delay_alu instid0(VALU_DEP_1) | instskip(NEXT) | instid1(VALU_DEP_4)
	v_mad_u32 v4, v2, s43, v4
	v_mad_u32 v5, v2, s37, v5
	s_delay_alu instid0(VALU_DEP_4)
	v_mad_u32 v6, v2, s36, v6
	s_cbranch_scc0 .LBB293_188
; %bb.189:
	s_bitcmp1_b32 s31, 0
	s_cselect_b32 s35, -1, 0
	s_delay_alu instid0(SALU_CYCLE_1)
	s_and_b32 vcc_lo, exec_lo, s35
	s_cbranch_vccnz .LBB293_209
; %bb.190:
	s_clause 0x1
	s_load_b96 s[36:38], s[14:15], 0x1c
	s_load_b96 s[40:42], s[14:15], 0xdc
	s_wait_kmcnt 0x0
	v_mul_hi_u32 v2, s37, v1
	s_delay_alu instid0(VALU_DEP_1) | instskip(NEXT) | instid1(VALU_DEP_1)
	v_add_nc_u32_e32 v2, v1, v2
	v_lshrrev_b32_e32 v2, s38, v2
	s_delay_alu instid0(VALU_DEP_1) | instskip(NEXT) | instid1(VALU_DEP_1)
	v_mul_lo_u32 v2, v2, s36
	v_sub_nc_u32_e32 v1, v1, v2
	s_delay_alu instid0(VALU_DEP_1)
	v_mad_u32 v4, v1, s40, v4
	v_mad_u32 v6, v1, s41, v6
	;; [unrolled: 1-line block ×3, first 2 shown]
	s_branch .LBB293_209
.LBB293_191:
                                        ; implicit-def: $vgpr5
                                        ; implicit-def: $vgpr6
                                        ; implicit-def: $vgpr4
	s_branch .LBB293_210
.LBB293_192:
	s_mov_b32 s14, -1
	s_mov_b32 s35, exec_lo
	v_cmpx_eq_u16_e32 0x80, v3
; %bb.193:
	s_xor_b32 s14, exec_lo, -1
; %bb.194:
	s_or_b32 exec_lo, exec_lo, s35
	s_delay_alu instid0(SALU_CYCLE_1)
	s_and_b32 s14, s14, exec_lo
	s_or_saveexec_b32 s15, s15
	v_mov_b32_e32 v5, 0x7f800001
	s_xor_b32 exec_lo, exec_lo, s15
	s_cbranch_execz .LBB293_167
.LBB293_195:
	v_cmp_ne_u16_e32 vcc_lo, 0, v3
	v_mov_b32_e32 v5, 0
	s_and_not1_b32 s14, s14, exec_lo
	s_and_b32 s35, vcc_lo, exec_lo
	s_delay_alu instid0(SALU_CYCLE_1)
	s_or_b32 s14, s14, s35
	s_or_b32 exec_lo, exec_lo, s15
	s_and_saveexec_b32 s15, s14
	s_cbranch_execnz .LBB293_168
	s_branch .LBB293_169
.LBB293_196:
	s_mov_b32 s14, -1
	s_mov_b32 s35, exec_lo
	v_cmpx_eq_u16_e32 0x80, v7
; %bb.197:
	s_xor_b32 s14, exec_lo, -1
; %bb.198:
	s_or_b32 exec_lo, exec_lo, s35
	s_delay_alu instid0(SALU_CYCLE_1)
	s_and_b32 s14, s14, exec_lo
                                        ; implicit-def: $vgpr7
	s_or_saveexec_b32 s15, s15
	v_mov_b32_e32 v6, 0x7f800001
	s_xor_b32 exec_lo, exec_lo, s15
	s_cbranch_execz .LBB293_171
.LBB293_199:
	v_cmp_ne_u16_e32 vcc_lo, 0, v7
	v_mov_b32_e32 v6, 0
	s_and_not1_b32 s14, s14, exec_lo
	s_and_b32 s35, vcc_lo, exec_lo
	s_delay_alu instid0(SALU_CYCLE_1)
	s_or_b32 s14, s14, s35
	s_or_b32 exec_lo, exec_lo, s15
	s_and_saveexec_b32 s15, s14
	s_cbranch_execnz .LBB293_172
	s_branch .LBB293_173
.LBB293_200:
	s_mov_b32 s14, -1
	s_mov_b32 s35, exec_lo
	v_cmpx_eq_u16_e32 0x80, v3
; %bb.201:
	s_xor_b32 s14, exec_lo, -1
; %bb.202:
	s_or_b32 exec_lo, exec_lo, s35
	s_delay_alu instid0(SALU_CYCLE_1)
	s_and_b32 s14, s14, exec_lo
                                        ; implicit-def: $vgpr3
	s_or_saveexec_b32 s15, s15
	v_mov_b32_e32 v5, 0x7f800001
	s_xor_b32 exec_lo, exec_lo, s15
	s_cbranch_execz .LBB293_177
.LBB293_203:
	v_cmp_ne_u16_e32 vcc_lo, 0, v3
	v_mov_b32_e32 v5, 0
	s_and_not1_b32 s14, s14, exec_lo
	s_and_b32 s35, vcc_lo, exec_lo
	s_delay_alu instid0(SALU_CYCLE_1)
	s_or_b32 s14, s14, s35
	s_or_b32 exec_lo, exec_lo, s15
	s_and_saveexec_b32 s15, s14
	s_cbranch_execnz .LBB293_178
	s_branch .LBB293_179
.LBB293_204:
	s_mov_b32 s14, -1
	s_mov_b32 s35, exec_lo
	v_cmpx_eq_u16_e32 0x80, v3
; %bb.205:
	s_xor_b32 s14, exec_lo, -1
; %bb.206:
	s_or_b32 exec_lo, exec_lo, s35
	s_delay_alu instid0(SALU_CYCLE_1)
	s_and_b32 s14, s14, exec_lo
                                        ; implicit-def: $vgpr3
	s_or_saveexec_b32 s15, s15
	v_mov_b32_e32 v2, 0x7f800001
	s_xor_b32 exec_lo, exec_lo, s15
	s_cbranch_execz .LBB293_181
.LBB293_207:
	v_cmp_ne_u16_e32 vcc_lo, 0, v3
	v_mov_b32_e32 v2, 0
	s_and_not1_b32 s14, s14, exec_lo
	s_and_b32 s35, vcc_lo, exec_lo
	s_delay_alu instid0(SALU_CYCLE_1)
	s_or_b32 s14, s14, s35
	s_or_b32 exec_lo, exec_lo, s15
	s_and_saveexec_b32 s15, s14
	s_cbranch_execnz .LBB293_182
	s_branch .LBB293_183
.LBB293_208:
	v_dual_mov_b32 v5, 0 :: v_dual_mov_b32 v6, 0
	v_mov_b32_e32 v4, 0
.LBB293_209:
	s_cbranch_execnz .LBB293_212
.LBB293_210:
	v_mov_b32_e32 v1, 0
	s_and_not1_b32 vcc_lo, exec_lo, s30
	s_delay_alu instid0(VALU_DEP_1) | instskip(NEXT) | instid1(VALU_DEP_1)
	v_mul_u64_e32 v[2:3], s[20:21], v[0:1]
	v_add_nc_u32_e32 v2, v0, v3
	s_delay_alu instid0(VALU_DEP_1) | instskip(NEXT) | instid1(VALU_DEP_1)
	v_lshrrev_b32_e32 v2, s6, v2
	v_mul_lo_u32 v3, v2, s4
	s_delay_alu instid0(VALU_DEP_1) | instskip(NEXT) | instid1(VALU_DEP_1)
	v_sub_nc_u32_e32 v3, v0, v3
	v_mul_lo_u32 v4, v3, s8
	v_mul_lo_u32 v5, v3, s10
	v_mul_lo_u32 v6, v3, s9
	s_cbranch_vccnz .LBB293_212
; %bb.211:
	v_mov_b32_e32 v3, v1
	s_delay_alu instid0(VALU_DEP_1) | instskip(NEXT) | instid1(VALU_DEP_1)
	v_mul_u64_e32 v[8:9], s[24:25], v[2:3]
	v_add_nc_u32_e32 v1, v2, v9
	s_delay_alu instid0(VALU_DEP_1) | instskip(NEXT) | instid1(VALU_DEP_1)
	v_lshrrev_b32_e32 v1, s19, v1
	v_mul_lo_u32 v1, v1, s7
	s_delay_alu instid0(VALU_DEP_1) | instskip(NEXT) | instid1(VALU_DEP_1)
	v_sub_nc_u32_e32 v1, v2, v1
	v_mad_u32 v4, v1, s11, v4
	v_mad_u32 v6, v1, s22, v6
	;; [unrolled: 1-line block ×3, first 2 shown]
.LBB293_212:
	global_load_u8 v2, v6, s[2:3]
	global_load_u8 v1, v5, s[12:13]
	s_and_not1_b32 vcc_lo, exec_lo, s5
	s_wait_loadcnt 0x1
	v_and_b32_e32 v3, 0xff, v2
	s_cbranch_vccnz .LBB293_222
; %bb.213:
	s_mov_b32 s14, 0
	s_mov_b32 s15, exec_lo
	s_wait_xcnt 0x0
	v_cmpx_lt_i16_e32 0x7f, v3
	s_xor_b32 s15, exec_lo, s15
	s_cbranch_execnz .LBB293_240
; %bb.214:
	s_or_saveexec_b32 s15, s15
	v_mov_b32_e32 v5, 0x7f800001
	s_xor_b32 exec_lo, exec_lo, s15
	s_cbranch_execnz .LBB293_243
.LBB293_215:
	s_or_b32 exec_lo, exec_lo, s15
	s_and_saveexec_b32 s15, s14
	s_cbranch_execz .LBB293_217
.LBB293_216:
	v_and_b32_e32 v5, 7, v2
	v_lshrrev_b16 v7, 3, v2
	v_lshlrev_b32_e32 v9, 24, v2
	s_delay_alu instid0(VALU_DEP_3) | instskip(NEXT) | instid1(VALU_DEP_1)
	v_clz_i32_u32_e32 v6, v5
	v_min_u32_e32 v6, 32, v6
	s_delay_alu instid0(VALU_DEP_4) | instskip(NEXT) | instid1(VALU_DEP_2)
	v_and_b32_e32 v7, 15, v7
	v_subrev_nc_u32_e32 v8, 28, v6
	v_sub_nc_u32_e32 v6, 29, v6
	s_delay_alu instid0(VALU_DEP_3) | instskip(NEXT) | instid1(VALU_DEP_3)
	v_cmp_eq_u32_e32 vcc_lo, 0, v7
	v_lshlrev_b32_e32 v8, v8, v2
	s_delay_alu instid0(VALU_DEP_1) | instskip(SKIP_1) | instid1(VALU_DEP_2)
	v_dual_cndmask_b32 v6, v7, v6, vcc_lo :: v_dual_bitop2_b32 v8, 7, v8 bitop3:0x40
	v_and_b32_e32 v7, 0x80000000, v9
	v_cndmask_b32_e32 v5, v5, v8, vcc_lo
	s_delay_alu instid0(VALU_DEP_3) | instskip(NEXT) | instid1(VALU_DEP_2)
	v_lshl_add_u32 v6, v6, 23, 0x3b800000
	v_lshlrev_b32_e32 v5, 20, v5
	s_delay_alu instid0(VALU_DEP_1)
	v_or3_b32 v5, v7, v6, v5
.LBB293_217:
	s_or_b32 exec_lo, exec_lo, s15
	s_wait_loadcnt 0x0
	v_and_b32_e32 v7, 0xff, v1
	s_mov_b32 s14, 0
	s_mov_b32 s15, exec_lo
	s_delay_alu instid0(VALU_DEP_1)
	v_cmpx_lt_i16_e32 0x7f, v7
	s_xor_b32 s15, exec_lo, s15
	s_cbranch_execnz .LBB293_244
; %bb.218:
	s_or_saveexec_b32 s15, s15
	v_mov_b32_e32 v6, 0x7f800001
	s_xor_b32 exec_lo, exec_lo, s15
	s_cbranch_execnz .LBB293_247
.LBB293_219:
	s_or_b32 exec_lo, exec_lo, s15
	s_and_saveexec_b32 s15, s14
	s_cbranch_execz .LBB293_221
.LBB293_220:
	v_and_b32_e32 v6, 7, v1
	v_lshrrev_b16 v8, 3, v1
	s_delay_alu instid0(VALU_DEP_2) | instskip(NEXT) | instid1(VALU_DEP_1)
	v_clz_i32_u32_e32 v7, v6
	v_min_u32_e32 v7, 32, v7
	s_delay_alu instid0(VALU_DEP_3) | instskip(NEXT) | instid1(VALU_DEP_2)
	v_and_b32_e32 v8, 15, v8
	v_subrev_nc_u32_e32 v9, 28, v7
	v_sub_nc_u32_e32 v7, 29, v7
	s_delay_alu instid0(VALU_DEP_3) | instskip(NEXT) | instid1(VALU_DEP_2)
	v_cmp_eq_u32_e32 vcc_lo, 0, v8
	v_dual_lshlrev_b32 v9, v9, v1 :: v_dual_cndmask_b32 v7, v8, v7, vcc_lo
	s_delay_alu instid0(VALU_DEP_1) | instskip(NEXT) | instid1(VALU_DEP_2)
	v_and_b32_e32 v9, 7, v9
	v_lshl_add_u32 v7, v7, 23, 0x3b800000
	s_delay_alu instid0(VALU_DEP_2) | instskip(NEXT) | instid1(VALU_DEP_1)
	v_cndmask_b32_e32 v6, v6, v9, vcc_lo
	v_dual_lshlrev_b32 v10, 24, v1 :: v_dual_lshlrev_b32 v6, 20, v6
	s_delay_alu instid0(VALU_DEP_1) | instskip(NEXT) | instid1(VALU_DEP_1)
	v_and_b32_e32 v8, 0x80000000, v10
	v_or3_b32 v6, v8, v7, v6
.LBB293_221:
	s_or_b32 exec_lo, exec_lo, s15
	s_delay_alu instid0(VALU_DEP_1)
	v_cmp_neq_f32_e64 s14, v5, v6
	s_branch .LBB293_232
.LBB293_222:
                                        ; implicit-def: $sgpr14
	s_cbranch_execz .LBB293_232
; %bb.223:
	s_mov_b32 s14, 0
	s_mov_b32 s15, exec_lo
	s_wait_xcnt 0x0
	v_cmpx_lt_i16_e32 0x7f, v3
	s_xor_b32 s15, exec_lo, s15
	s_cbranch_execnz .LBB293_248
; %bb.224:
	s_or_saveexec_b32 s15, s15
	v_mov_b32_e32 v5, 0x7f800001
	s_xor_b32 exec_lo, exec_lo, s15
	s_cbranch_execnz .LBB293_251
.LBB293_225:
	s_or_b32 exec_lo, exec_lo, s15
	s_and_saveexec_b32 s15, s14
	s_cbranch_execz .LBB293_227
.LBB293_226:
	v_and_b32_e32 v3, 7, v2
	v_lshrrev_b16 v6, 3, v2
	s_delay_alu instid0(VALU_DEP_2) | instskip(NEXT) | instid1(VALU_DEP_1)
	v_clz_i32_u32_e32 v5, v3
	v_min_u32_e32 v5, 32, v5
	s_delay_alu instid0(VALU_DEP_3) | instskip(NEXT) | instid1(VALU_DEP_2)
	v_and_b32_e32 v6, 15, v6
	v_subrev_nc_u32_e32 v7, 28, v5
	v_sub_nc_u32_e32 v5, 29, v5
	s_delay_alu instid0(VALU_DEP_3) | instskip(NEXT) | instid1(VALU_DEP_3)
	v_cmp_eq_u32_e32 vcc_lo, 0, v6
	v_dual_lshlrev_b32 v7, v7, v2 :: v_dual_lshlrev_b32 v2, 24, v2
	s_delay_alu instid0(VALU_DEP_1) | instskip(NEXT) | instid1(VALU_DEP_2)
	v_dual_cndmask_b32 v5, v6, v5, vcc_lo :: v_dual_bitop2_b32 v7, 7, v7 bitop3:0x40
	v_and_b32_e32 v2, 0x80000000, v2
	s_delay_alu instid0(VALU_DEP_2) | instskip(NEXT) | instid1(VALU_DEP_3)
	v_cndmask_b32_e32 v3, v3, v7, vcc_lo
	v_lshl_add_u32 v5, v5, 23, 0x3b800000
	s_delay_alu instid0(VALU_DEP_2) | instskip(NEXT) | instid1(VALU_DEP_1)
	v_lshlrev_b32_e32 v3, 20, v3
	v_or3_b32 v5, v2, v5, v3
.LBB293_227:
	s_or_b32 exec_lo, exec_lo, s15
	s_wait_loadcnt 0x0
	v_and_b32_e32 v3, 0xff, v1
	s_mov_b32 s14, 0
	s_mov_b32 s15, exec_lo
	s_delay_alu instid0(VALU_DEP_1)
	v_cmpx_lt_i16_e32 0x7f, v3
	s_xor_b32 s15, exec_lo, s15
	s_cbranch_execnz .LBB293_252
; %bb.228:
	s_or_saveexec_b32 s15, s15
	v_mov_b32_e32 v2, 0x7f800001
	s_xor_b32 exec_lo, exec_lo, s15
	s_cbranch_execnz .LBB293_255
.LBB293_229:
	s_or_b32 exec_lo, exec_lo, s15
	s_and_saveexec_b32 s15, s14
	s_cbranch_execz .LBB293_231
.LBB293_230:
	v_and_b32_e32 v2, 7, v1
	v_lshrrev_b16 v6, 3, v1
	s_delay_alu instid0(VALU_DEP_2) | instskip(NEXT) | instid1(VALU_DEP_1)
	v_clz_i32_u32_e32 v3, v2
	v_min_u32_e32 v3, 32, v3
	s_delay_alu instid0(VALU_DEP_3) | instskip(NEXT) | instid1(VALU_DEP_2)
	v_and_b32_e32 v6, 15, v6
	v_subrev_nc_u32_e32 v7, 28, v3
	v_sub_nc_u32_e32 v3, 29, v3
	s_delay_alu instid0(VALU_DEP_3) | instskip(NEXT) | instid1(VALU_DEP_3)
	v_cmp_eq_u32_e32 vcc_lo, 0, v6
	v_dual_lshlrev_b32 v7, v7, v1 :: v_dual_lshlrev_b32 v1, 24, v1
	s_delay_alu instid0(VALU_DEP_1) | instskip(NEXT) | instid1(VALU_DEP_2)
	v_and_b32_e32 v7, 7, v7
	v_and_b32_e32 v1, 0x80000000, v1
	s_delay_alu instid0(VALU_DEP_2) | instskip(NEXT) | instid1(VALU_DEP_1)
	v_cndmask_b32_e32 v2, v2, v7, vcc_lo
	v_dual_cndmask_b32 v3, v6, v3 :: v_dual_lshlrev_b32 v2, 20, v2
	s_delay_alu instid0(VALU_DEP_1) | instskip(NEXT) | instid1(VALU_DEP_1)
	v_lshl_add_u32 v3, v3, 23, 0x3b800000
	v_or3_b32 v2, v1, v3, v2
.LBB293_231:
	s_or_b32 exec_lo, exec_lo, s15
	s_delay_alu instid0(VALU_DEP_1)
	v_cmp_eq_f32_e64 s14, v5, v2
.LBB293_232:
	s_wait_loadcnt 0x0
	s_delay_alu instid0(VALU_DEP_1) | instskip(SKIP_4) | instid1(SALU_CYCLE_1)
	v_cndmask_b32_e64 v1, 0, 1, s14
	v_add_nc_u32_e32 v0, 0x80, v0
	global_store_b8 v4, v1, s[0:1]
	s_wait_xcnt 0x0
	s_or_b32 exec_lo, exec_lo, s18
	s_mov_b32 s18, exec_lo
	v_cmpx_gt_i32_e64 s33, v0
	s_cbranch_execz .LBB293_7
.LBB293_233:
	s_and_not1_b32 vcc_lo, exec_lo, s28
	s_cbranch_vccnz .LBB293_239
; %bb.234:
	s_and_not1_b32 vcc_lo, exec_lo, s34
	s_cbranch_vccnz .LBB293_256
; %bb.235:
	v_dual_mov_b32 v4, 0 :: v_dual_mov_b32 v1, v0
	v_dual_mov_b32 v6, 0 :: v_dual_mov_b32 v5, 0
	s_add_co_i32 s35, s31, 1
	s_mov_b64 s[14:15], 0xffffffffffffffe8
	s_and_b32 s35, s35, 30
	s_add_nc_u64 s[14:15], s[16:17], s[14:15]
.LBB293_236:                            ; =>This Inner Loop Header: Depth=1
	s_clause 0x1
	s_load_b128 s[36:39], s[14:15], 0x1c
	s_load_b64 s[44:45], s[14:15], 0x2c
	s_add_co_i32 s35, s35, -2
	s_delay_alu instid0(SALU_CYCLE_1) | instskip(SKIP_2) | instid1(VALU_DEP_1)
	s_cmp_eq_u32 s35, 0
	s_wait_kmcnt 0x0
	v_mul_hi_u32 v2, s37, v1
	v_add_nc_u32_e32 v2, v1, v2
	s_delay_alu instid0(VALU_DEP_1) | instskip(NEXT) | instid1(VALU_DEP_1)
	v_lshrrev_b32_e32 v2, s38, v2
	v_mul_hi_u32 v3, s44, v2
	v_mul_lo_u32 v7, v2, s36
	s_clause 0x1
	s_load_b128 s[40:43], s[14:15], 0xdc
	s_load_b64 s[36:37], s[14:15], 0xec
	s_wait_xcnt 0x0
	s_add_nc_u64 s[14:15], s[14:15], 24
	s_delay_alu instid0(VALU_DEP_2) | instskip(NEXT) | instid1(VALU_DEP_2)
	v_add_nc_u32_e32 v3, v2, v3
	v_sub_nc_u32_e32 v7, v1, v7
	s_delay_alu instid0(VALU_DEP_2) | instskip(SKIP_1) | instid1(VALU_DEP_2)
	v_lshrrev_b32_e32 v1, s45, v3
	s_wait_kmcnt 0x0
	v_mad_u32 v4, v7, s40, v4
	s_delay_alu instid0(VALU_DEP_2) | instskip(SKIP_2) | instid1(VALU_DEP_3)
	v_mul_lo_u32 v3, v1, s39
	v_mad_u32 v5, v7, s42, v5
	v_mad_u32 v6, v7, s41, v6
	v_sub_nc_u32_e32 v2, v2, v3
	s_delay_alu instid0(VALU_DEP_1) | instskip(NEXT) | instid1(VALU_DEP_4)
	v_mad_u32 v4, v2, s43, v4
	v_mad_u32 v5, v2, s37, v5
	s_delay_alu instid0(VALU_DEP_4)
	v_mad_u32 v6, v2, s36, v6
	s_cbranch_scc0 .LBB293_236
; %bb.237:
	s_bitcmp1_b32 s31, 0
	s_cselect_b32 s35, -1, 0
	s_delay_alu instid0(SALU_CYCLE_1)
	s_and_b32 vcc_lo, exec_lo, s35
	s_cbranch_vccnz .LBB293_257
; %bb.238:
	s_clause 0x1
	s_load_b96 s[36:38], s[14:15], 0x1c
	s_load_b96 s[40:42], s[14:15], 0xdc
	s_wait_kmcnt 0x0
	v_mul_hi_u32 v2, s37, v1
	s_delay_alu instid0(VALU_DEP_1) | instskip(NEXT) | instid1(VALU_DEP_1)
	v_add_nc_u32_e32 v2, v1, v2
	v_lshrrev_b32_e32 v2, s38, v2
	s_delay_alu instid0(VALU_DEP_1) | instskip(NEXT) | instid1(VALU_DEP_1)
	v_mul_lo_u32 v2, v2, s36
	v_sub_nc_u32_e32 v1, v1, v2
	s_delay_alu instid0(VALU_DEP_1)
	v_mad_u32 v4, v1, s40, v4
	v_mad_u32 v6, v1, s41, v6
	;; [unrolled: 1-line block ×3, first 2 shown]
	s_branch .LBB293_257
.LBB293_239:
                                        ; implicit-def: $vgpr5
                                        ; implicit-def: $vgpr6
                                        ; implicit-def: $vgpr4
	s_branch .LBB293_258
.LBB293_240:
	s_mov_b32 s14, -1
	s_mov_b32 s35, exec_lo
	v_cmpx_eq_u16_e32 0x80, v3
; %bb.241:
	s_xor_b32 s14, exec_lo, -1
; %bb.242:
	s_or_b32 exec_lo, exec_lo, s35
	s_delay_alu instid0(SALU_CYCLE_1)
	s_and_b32 s14, s14, exec_lo
	s_or_saveexec_b32 s15, s15
	v_mov_b32_e32 v5, 0x7f800001
	s_xor_b32 exec_lo, exec_lo, s15
	s_cbranch_execz .LBB293_215
.LBB293_243:
	v_cmp_ne_u16_e32 vcc_lo, 0, v3
	v_mov_b32_e32 v5, 0
	s_and_not1_b32 s14, s14, exec_lo
	s_and_b32 s35, vcc_lo, exec_lo
	s_delay_alu instid0(SALU_CYCLE_1)
	s_or_b32 s14, s14, s35
	s_or_b32 exec_lo, exec_lo, s15
	s_and_saveexec_b32 s15, s14
	s_cbranch_execnz .LBB293_216
	s_branch .LBB293_217
.LBB293_244:
	s_mov_b32 s14, -1
	s_mov_b32 s35, exec_lo
	v_cmpx_eq_u16_e32 0x80, v7
; %bb.245:
	s_xor_b32 s14, exec_lo, -1
; %bb.246:
	s_or_b32 exec_lo, exec_lo, s35
	s_delay_alu instid0(SALU_CYCLE_1)
	s_and_b32 s14, s14, exec_lo
                                        ; implicit-def: $vgpr7
	s_or_saveexec_b32 s15, s15
	v_mov_b32_e32 v6, 0x7f800001
	s_xor_b32 exec_lo, exec_lo, s15
	s_cbranch_execz .LBB293_219
.LBB293_247:
	v_cmp_ne_u16_e32 vcc_lo, 0, v7
	v_mov_b32_e32 v6, 0
	s_and_not1_b32 s14, s14, exec_lo
	s_and_b32 s35, vcc_lo, exec_lo
	s_delay_alu instid0(SALU_CYCLE_1)
	s_or_b32 s14, s14, s35
	s_or_b32 exec_lo, exec_lo, s15
	s_and_saveexec_b32 s15, s14
	s_cbranch_execnz .LBB293_220
	s_branch .LBB293_221
.LBB293_248:
	s_mov_b32 s14, -1
	s_mov_b32 s35, exec_lo
	v_cmpx_eq_u16_e32 0x80, v3
; %bb.249:
	s_xor_b32 s14, exec_lo, -1
; %bb.250:
	s_or_b32 exec_lo, exec_lo, s35
	s_delay_alu instid0(SALU_CYCLE_1)
	s_and_b32 s14, s14, exec_lo
                                        ; implicit-def: $vgpr3
	s_or_saveexec_b32 s15, s15
	v_mov_b32_e32 v5, 0x7f800001
	s_xor_b32 exec_lo, exec_lo, s15
	s_cbranch_execz .LBB293_225
.LBB293_251:
	v_cmp_ne_u16_e32 vcc_lo, 0, v3
	v_mov_b32_e32 v5, 0
	s_and_not1_b32 s14, s14, exec_lo
	s_and_b32 s35, vcc_lo, exec_lo
	s_delay_alu instid0(SALU_CYCLE_1)
	s_or_b32 s14, s14, s35
	s_or_b32 exec_lo, exec_lo, s15
	s_and_saveexec_b32 s15, s14
	s_cbranch_execnz .LBB293_226
	s_branch .LBB293_227
.LBB293_252:
	s_mov_b32 s14, -1
	s_mov_b32 s35, exec_lo
	v_cmpx_eq_u16_e32 0x80, v3
; %bb.253:
	s_xor_b32 s14, exec_lo, -1
; %bb.254:
	s_or_b32 exec_lo, exec_lo, s35
	s_delay_alu instid0(SALU_CYCLE_1)
	s_and_b32 s14, s14, exec_lo
                                        ; implicit-def: $vgpr3
	s_or_saveexec_b32 s15, s15
	v_mov_b32_e32 v2, 0x7f800001
	s_xor_b32 exec_lo, exec_lo, s15
	s_cbranch_execz .LBB293_229
.LBB293_255:
	v_cmp_ne_u16_e32 vcc_lo, 0, v3
	v_mov_b32_e32 v2, 0
	s_and_not1_b32 s14, s14, exec_lo
	s_and_b32 s35, vcc_lo, exec_lo
	s_delay_alu instid0(SALU_CYCLE_1)
	s_or_b32 s14, s14, s35
	s_or_b32 exec_lo, exec_lo, s15
	s_and_saveexec_b32 s15, s14
	s_cbranch_execnz .LBB293_230
	s_branch .LBB293_231
.LBB293_256:
	v_dual_mov_b32 v5, 0 :: v_dual_mov_b32 v6, 0
	v_mov_b32_e32 v4, 0
.LBB293_257:
	s_cbranch_execnz .LBB293_260
.LBB293_258:
	v_mov_b32_e32 v1, 0
	s_and_not1_b32 vcc_lo, exec_lo, s30
	s_delay_alu instid0(VALU_DEP_1) | instskip(NEXT) | instid1(VALU_DEP_1)
	v_mul_u64_e32 v[2:3], s[20:21], v[0:1]
	v_add_nc_u32_e32 v2, v0, v3
	s_delay_alu instid0(VALU_DEP_1) | instskip(NEXT) | instid1(VALU_DEP_1)
	v_lshrrev_b32_e32 v2, s6, v2
	v_mul_lo_u32 v3, v2, s4
	s_delay_alu instid0(VALU_DEP_1) | instskip(NEXT) | instid1(VALU_DEP_1)
	v_sub_nc_u32_e32 v3, v0, v3
	v_mul_lo_u32 v4, v3, s8
	v_mul_lo_u32 v5, v3, s10
	;; [unrolled: 1-line block ×3, first 2 shown]
	s_cbranch_vccnz .LBB293_260
; %bb.259:
	v_mov_b32_e32 v3, v1
	s_delay_alu instid0(VALU_DEP_1) | instskip(NEXT) | instid1(VALU_DEP_1)
	v_mul_u64_e32 v[8:9], s[24:25], v[2:3]
	v_add_nc_u32_e32 v1, v2, v9
	s_delay_alu instid0(VALU_DEP_1) | instskip(NEXT) | instid1(VALU_DEP_1)
	v_lshrrev_b32_e32 v1, s19, v1
	v_mul_lo_u32 v1, v1, s7
	s_delay_alu instid0(VALU_DEP_1) | instskip(NEXT) | instid1(VALU_DEP_1)
	v_sub_nc_u32_e32 v1, v2, v1
	v_mad_u32 v4, v1, s11, v4
	v_mad_u32 v6, v1, s22, v6
	;; [unrolled: 1-line block ×3, first 2 shown]
.LBB293_260:
	global_load_u8 v2, v6, s[2:3]
	global_load_u8 v1, v5, s[12:13]
	s_and_not1_b32 vcc_lo, exec_lo, s5
	s_wait_loadcnt 0x1
	v_and_b32_e32 v3, 0xff, v2
	s_cbranch_vccnz .LBB293_270
; %bb.261:
	s_mov_b32 s14, 0
	s_mov_b32 s15, exec_lo
	s_wait_xcnt 0x0
	v_cmpx_lt_i16_e32 0x7f, v3
	s_xor_b32 s15, exec_lo, s15
	s_cbranch_execnz .LBB293_288
; %bb.262:
	s_or_saveexec_b32 s15, s15
	v_mov_b32_e32 v5, 0x7f800001
	s_xor_b32 exec_lo, exec_lo, s15
	s_cbranch_execnz .LBB293_291
.LBB293_263:
	s_or_b32 exec_lo, exec_lo, s15
	s_and_saveexec_b32 s15, s14
	s_cbranch_execz .LBB293_265
.LBB293_264:
	v_and_b32_e32 v5, 7, v2
	v_lshrrev_b16 v7, 3, v2
	v_lshlrev_b32_e32 v9, 24, v2
	s_delay_alu instid0(VALU_DEP_3) | instskip(NEXT) | instid1(VALU_DEP_1)
	v_clz_i32_u32_e32 v6, v5
	v_min_u32_e32 v6, 32, v6
	s_delay_alu instid0(VALU_DEP_4) | instskip(NEXT) | instid1(VALU_DEP_2)
	v_and_b32_e32 v7, 15, v7
	v_subrev_nc_u32_e32 v8, 28, v6
	v_sub_nc_u32_e32 v6, 29, v6
	s_delay_alu instid0(VALU_DEP_3) | instskip(NEXT) | instid1(VALU_DEP_3)
	v_cmp_eq_u32_e32 vcc_lo, 0, v7
	v_lshlrev_b32_e32 v8, v8, v2
	s_delay_alu instid0(VALU_DEP_1) | instskip(SKIP_1) | instid1(VALU_DEP_2)
	v_dual_cndmask_b32 v6, v7, v6, vcc_lo :: v_dual_bitop2_b32 v8, 7, v8 bitop3:0x40
	v_and_b32_e32 v7, 0x80000000, v9
	v_cndmask_b32_e32 v5, v5, v8, vcc_lo
	s_delay_alu instid0(VALU_DEP_3) | instskip(NEXT) | instid1(VALU_DEP_2)
	v_lshl_add_u32 v6, v6, 23, 0x3b800000
	v_lshlrev_b32_e32 v5, 20, v5
	s_delay_alu instid0(VALU_DEP_1)
	v_or3_b32 v5, v7, v6, v5
.LBB293_265:
	s_or_b32 exec_lo, exec_lo, s15
	s_wait_loadcnt 0x0
	v_and_b32_e32 v7, 0xff, v1
	s_mov_b32 s14, 0
	s_mov_b32 s15, exec_lo
	s_delay_alu instid0(VALU_DEP_1)
	v_cmpx_lt_i16_e32 0x7f, v7
	s_xor_b32 s15, exec_lo, s15
	s_cbranch_execnz .LBB293_292
; %bb.266:
	s_or_saveexec_b32 s15, s15
	v_mov_b32_e32 v6, 0x7f800001
	s_xor_b32 exec_lo, exec_lo, s15
	s_cbranch_execnz .LBB293_295
.LBB293_267:
	s_or_b32 exec_lo, exec_lo, s15
	s_and_saveexec_b32 s15, s14
	s_cbranch_execz .LBB293_269
.LBB293_268:
	v_and_b32_e32 v6, 7, v1
	v_lshrrev_b16 v8, 3, v1
	s_delay_alu instid0(VALU_DEP_2) | instskip(NEXT) | instid1(VALU_DEP_1)
	v_clz_i32_u32_e32 v7, v6
	v_min_u32_e32 v7, 32, v7
	s_delay_alu instid0(VALU_DEP_3) | instskip(NEXT) | instid1(VALU_DEP_2)
	v_and_b32_e32 v8, 15, v8
	v_subrev_nc_u32_e32 v9, 28, v7
	v_sub_nc_u32_e32 v7, 29, v7
	s_delay_alu instid0(VALU_DEP_3) | instskip(NEXT) | instid1(VALU_DEP_2)
	v_cmp_eq_u32_e32 vcc_lo, 0, v8
	v_dual_lshlrev_b32 v9, v9, v1 :: v_dual_cndmask_b32 v7, v8, v7, vcc_lo
	s_delay_alu instid0(VALU_DEP_1) | instskip(NEXT) | instid1(VALU_DEP_2)
	v_and_b32_e32 v9, 7, v9
	v_lshl_add_u32 v7, v7, 23, 0x3b800000
	s_delay_alu instid0(VALU_DEP_2) | instskip(NEXT) | instid1(VALU_DEP_1)
	v_cndmask_b32_e32 v6, v6, v9, vcc_lo
	v_dual_lshlrev_b32 v10, 24, v1 :: v_dual_lshlrev_b32 v6, 20, v6
	s_delay_alu instid0(VALU_DEP_1) | instskip(NEXT) | instid1(VALU_DEP_1)
	v_and_b32_e32 v8, 0x80000000, v10
	v_or3_b32 v6, v8, v7, v6
.LBB293_269:
	s_or_b32 exec_lo, exec_lo, s15
	s_delay_alu instid0(VALU_DEP_1)
	v_cmp_neq_f32_e64 s14, v5, v6
	s_branch .LBB293_280
.LBB293_270:
                                        ; implicit-def: $sgpr14
	s_cbranch_execz .LBB293_280
; %bb.271:
	s_mov_b32 s14, 0
	s_mov_b32 s15, exec_lo
	s_wait_xcnt 0x0
	v_cmpx_lt_i16_e32 0x7f, v3
	s_xor_b32 s15, exec_lo, s15
	s_cbranch_execnz .LBB293_296
; %bb.272:
	s_or_saveexec_b32 s15, s15
	v_mov_b32_e32 v5, 0x7f800001
	s_xor_b32 exec_lo, exec_lo, s15
	s_cbranch_execnz .LBB293_299
.LBB293_273:
	s_or_b32 exec_lo, exec_lo, s15
	s_and_saveexec_b32 s15, s14
	s_cbranch_execz .LBB293_275
.LBB293_274:
	v_and_b32_e32 v3, 7, v2
	v_lshrrev_b16 v6, 3, v2
	s_delay_alu instid0(VALU_DEP_2) | instskip(NEXT) | instid1(VALU_DEP_1)
	v_clz_i32_u32_e32 v5, v3
	v_min_u32_e32 v5, 32, v5
	s_delay_alu instid0(VALU_DEP_3) | instskip(NEXT) | instid1(VALU_DEP_2)
	v_and_b32_e32 v6, 15, v6
	v_subrev_nc_u32_e32 v7, 28, v5
	v_sub_nc_u32_e32 v5, 29, v5
	s_delay_alu instid0(VALU_DEP_3) | instskip(NEXT) | instid1(VALU_DEP_3)
	v_cmp_eq_u32_e32 vcc_lo, 0, v6
	v_dual_lshlrev_b32 v7, v7, v2 :: v_dual_lshlrev_b32 v2, 24, v2
	s_delay_alu instid0(VALU_DEP_1) | instskip(NEXT) | instid1(VALU_DEP_2)
	v_dual_cndmask_b32 v5, v6, v5, vcc_lo :: v_dual_bitop2_b32 v7, 7, v7 bitop3:0x40
	v_and_b32_e32 v2, 0x80000000, v2
	s_delay_alu instid0(VALU_DEP_2) | instskip(NEXT) | instid1(VALU_DEP_3)
	v_cndmask_b32_e32 v3, v3, v7, vcc_lo
	v_lshl_add_u32 v5, v5, 23, 0x3b800000
	s_delay_alu instid0(VALU_DEP_2) | instskip(NEXT) | instid1(VALU_DEP_1)
	v_lshlrev_b32_e32 v3, 20, v3
	v_or3_b32 v5, v2, v5, v3
.LBB293_275:
	s_or_b32 exec_lo, exec_lo, s15
	s_wait_loadcnt 0x0
	v_and_b32_e32 v3, 0xff, v1
	s_mov_b32 s14, 0
	s_mov_b32 s15, exec_lo
	s_delay_alu instid0(VALU_DEP_1)
	v_cmpx_lt_i16_e32 0x7f, v3
	s_xor_b32 s15, exec_lo, s15
	s_cbranch_execnz .LBB293_300
; %bb.276:
	s_or_saveexec_b32 s15, s15
	v_mov_b32_e32 v2, 0x7f800001
	s_xor_b32 exec_lo, exec_lo, s15
	s_cbranch_execnz .LBB293_303
.LBB293_277:
	s_or_b32 exec_lo, exec_lo, s15
	s_and_saveexec_b32 s15, s14
	s_cbranch_execz .LBB293_279
.LBB293_278:
	v_and_b32_e32 v2, 7, v1
	v_lshrrev_b16 v6, 3, v1
	s_delay_alu instid0(VALU_DEP_2) | instskip(NEXT) | instid1(VALU_DEP_1)
	v_clz_i32_u32_e32 v3, v2
	v_min_u32_e32 v3, 32, v3
	s_delay_alu instid0(VALU_DEP_3) | instskip(NEXT) | instid1(VALU_DEP_2)
	v_and_b32_e32 v6, 15, v6
	v_subrev_nc_u32_e32 v7, 28, v3
	v_sub_nc_u32_e32 v3, 29, v3
	s_delay_alu instid0(VALU_DEP_3) | instskip(NEXT) | instid1(VALU_DEP_3)
	v_cmp_eq_u32_e32 vcc_lo, 0, v6
	v_dual_lshlrev_b32 v7, v7, v1 :: v_dual_lshlrev_b32 v1, 24, v1
	s_delay_alu instid0(VALU_DEP_1) | instskip(NEXT) | instid1(VALU_DEP_2)
	v_and_b32_e32 v7, 7, v7
	v_and_b32_e32 v1, 0x80000000, v1
	s_delay_alu instid0(VALU_DEP_2) | instskip(NEXT) | instid1(VALU_DEP_1)
	v_cndmask_b32_e32 v2, v2, v7, vcc_lo
	v_dual_cndmask_b32 v3, v6, v3 :: v_dual_lshlrev_b32 v2, 20, v2
	s_delay_alu instid0(VALU_DEP_1) | instskip(NEXT) | instid1(VALU_DEP_1)
	v_lshl_add_u32 v3, v3, 23, 0x3b800000
	v_or3_b32 v2, v1, v3, v2
.LBB293_279:
	s_or_b32 exec_lo, exec_lo, s15
	s_delay_alu instid0(VALU_DEP_1)
	v_cmp_eq_f32_e64 s14, v5, v2
.LBB293_280:
	s_wait_loadcnt 0x0
	s_delay_alu instid0(VALU_DEP_1) | instskip(SKIP_4) | instid1(SALU_CYCLE_1)
	v_cndmask_b32_e64 v1, 0, 1, s14
	v_add_nc_u32_e32 v0, 0x80, v0
	global_store_b8 v4, v1, s[0:1]
	s_wait_xcnt 0x0
	s_or_b32 exec_lo, exec_lo, s18
	s_mov_b32 s18, exec_lo
	v_cmpx_gt_i32_e64 s33, v0
	s_cbranch_execz .LBB293_8
.LBB293_281:
	s_and_not1_b32 vcc_lo, exec_lo, s28
	s_cbranch_vccnz .LBB293_287
; %bb.282:
	s_and_not1_b32 vcc_lo, exec_lo, s34
	s_cbranch_vccnz .LBB293_304
; %bb.283:
	v_dual_mov_b32 v4, 0 :: v_dual_mov_b32 v1, v0
	v_dual_mov_b32 v6, 0 :: v_dual_mov_b32 v5, 0
	s_add_co_i32 s35, s31, 1
	s_mov_b64 s[14:15], 0xffffffffffffffe8
	s_and_b32 s35, s35, 30
	s_add_nc_u64 s[14:15], s[16:17], s[14:15]
.LBB293_284:                            ; =>This Inner Loop Header: Depth=1
	s_clause 0x1
	s_load_b128 s[36:39], s[14:15], 0x1c
	s_load_b64 s[44:45], s[14:15], 0x2c
	s_add_co_i32 s35, s35, -2
	s_delay_alu instid0(SALU_CYCLE_1) | instskip(SKIP_2) | instid1(VALU_DEP_1)
	s_cmp_eq_u32 s35, 0
	s_wait_kmcnt 0x0
	v_mul_hi_u32 v2, s37, v1
	v_add_nc_u32_e32 v2, v1, v2
	s_delay_alu instid0(VALU_DEP_1) | instskip(NEXT) | instid1(VALU_DEP_1)
	v_lshrrev_b32_e32 v2, s38, v2
	v_mul_hi_u32 v3, s44, v2
	v_mul_lo_u32 v7, v2, s36
	s_clause 0x1
	s_load_b128 s[40:43], s[14:15], 0xdc
	s_load_b64 s[36:37], s[14:15], 0xec
	s_wait_xcnt 0x0
	s_add_nc_u64 s[14:15], s[14:15], 24
	s_delay_alu instid0(VALU_DEP_2) | instskip(NEXT) | instid1(VALU_DEP_2)
	v_add_nc_u32_e32 v3, v2, v3
	v_sub_nc_u32_e32 v7, v1, v7
	s_delay_alu instid0(VALU_DEP_2) | instskip(SKIP_1) | instid1(VALU_DEP_2)
	v_lshrrev_b32_e32 v1, s45, v3
	s_wait_kmcnt 0x0
	v_mad_u32 v4, v7, s40, v4
	s_delay_alu instid0(VALU_DEP_2) | instskip(SKIP_2) | instid1(VALU_DEP_3)
	v_mul_lo_u32 v3, v1, s39
	v_mad_u32 v5, v7, s42, v5
	v_mad_u32 v6, v7, s41, v6
	v_sub_nc_u32_e32 v2, v2, v3
	s_delay_alu instid0(VALU_DEP_1) | instskip(NEXT) | instid1(VALU_DEP_4)
	v_mad_u32 v4, v2, s43, v4
	v_mad_u32 v5, v2, s37, v5
	s_delay_alu instid0(VALU_DEP_4)
	v_mad_u32 v6, v2, s36, v6
	s_cbranch_scc0 .LBB293_284
; %bb.285:
	s_bitcmp1_b32 s31, 0
	s_cselect_b32 s35, -1, 0
	s_delay_alu instid0(SALU_CYCLE_1)
	s_and_b32 vcc_lo, exec_lo, s35
	s_cbranch_vccnz .LBB293_305
; %bb.286:
	s_clause 0x1
	s_load_b96 s[36:38], s[14:15], 0x1c
	s_load_b96 s[40:42], s[14:15], 0xdc
	s_wait_kmcnt 0x0
	v_mul_hi_u32 v2, s37, v1
	s_delay_alu instid0(VALU_DEP_1) | instskip(NEXT) | instid1(VALU_DEP_1)
	v_add_nc_u32_e32 v2, v1, v2
	v_lshrrev_b32_e32 v2, s38, v2
	s_delay_alu instid0(VALU_DEP_1) | instskip(NEXT) | instid1(VALU_DEP_1)
	v_mul_lo_u32 v2, v2, s36
	v_sub_nc_u32_e32 v1, v1, v2
	s_delay_alu instid0(VALU_DEP_1)
	v_mad_u32 v4, v1, s40, v4
	v_mad_u32 v6, v1, s41, v6
	;; [unrolled: 1-line block ×3, first 2 shown]
	s_branch .LBB293_305
.LBB293_287:
                                        ; implicit-def: $vgpr5
                                        ; implicit-def: $vgpr6
                                        ; implicit-def: $vgpr4
	s_branch .LBB293_306
.LBB293_288:
	s_mov_b32 s14, -1
	s_mov_b32 s35, exec_lo
	v_cmpx_eq_u16_e32 0x80, v3
; %bb.289:
	s_xor_b32 s14, exec_lo, -1
; %bb.290:
	s_or_b32 exec_lo, exec_lo, s35
	s_delay_alu instid0(SALU_CYCLE_1)
	s_and_b32 s14, s14, exec_lo
	s_or_saveexec_b32 s15, s15
	v_mov_b32_e32 v5, 0x7f800001
	s_xor_b32 exec_lo, exec_lo, s15
	s_cbranch_execz .LBB293_263
.LBB293_291:
	v_cmp_ne_u16_e32 vcc_lo, 0, v3
	v_mov_b32_e32 v5, 0
	s_and_not1_b32 s14, s14, exec_lo
	s_and_b32 s35, vcc_lo, exec_lo
	s_delay_alu instid0(SALU_CYCLE_1)
	s_or_b32 s14, s14, s35
	s_or_b32 exec_lo, exec_lo, s15
	s_and_saveexec_b32 s15, s14
	s_cbranch_execnz .LBB293_264
	s_branch .LBB293_265
.LBB293_292:
	s_mov_b32 s14, -1
	s_mov_b32 s35, exec_lo
	v_cmpx_eq_u16_e32 0x80, v7
; %bb.293:
	s_xor_b32 s14, exec_lo, -1
; %bb.294:
	s_or_b32 exec_lo, exec_lo, s35
	s_delay_alu instid0(SALU_CYCLE_1)
	s_and_b32 s14, s14, exec_lo
                                        ; implicit-def: $vgpr7
	s_or_saveexec_b32 s15, s15
	v_mov_b32_e32 v6, 0x7f800001
	s_xor_b32 exec_lo, exec_lo, s15
	s_cbranch_execz .LBB293_267
.LBB293_295:
	v_cmp_ne_u16_e32 vcc_lo, 0, v7
	v_mov_b32_e32 v6, 0
	s_and_not1_b32 s14, s14, exec_lo
	s_and_b32 s35, vcc_lo, exec_lo
	s_delay_alu instid0(SALU_CYCLE_1)
	s_or_b32 s14, s14, s35
	s_or_b32 exec_lo, exec_lo, s15
	s_and_saveexec_b32 s15, s14
	s_cbranch_execnz .LBB293_268
	s_branch .LBB293_269
.LBB293_296:
	s_mov_b32 s14, -1
	s_mov_b32 s35, exec_lo
	v_cmpx_eq_u16_e32 0x80, v3
; %bb.297:
	s_xor_b32 s14, exec_lo, -1
; %bb.298:
	s_or_b32 exec_lo, exec_lo, s35
	s_delay_alu instid0(SALU_CYCLE_1)
	s_and_b32 s14, s14, exec_lo
                                        ; implicit-def: $vgpr3
	s_or_saveexec_b32 s15, s15
	v_mov_b32_e32 v5, 0x7f800001
	s_xor_b32 exec_lo, exec_lo, s15
	s_cbranch_execz .LBB293_273
.LBB293_299:
	v_cmp_ne_u16_e32 vcc_lo, 0, v3
	v_mov_b32_e32 v5, 0
	s_and_not1_b32 s14, s14, exec_lo
	s_and_b32 s35, vcc_lo, exec_lo
	s_delay_alu instid0(SALU_CYCLE_1)
	s_or_b32 s14, s14, s35
	s_or_b32 exec_lo, exec_lo, s15
	s_and_saveexec_b32 s15, s14
	s_cbranch_execnz .LBB293_274
	s_branch .LBB293_275
.LBB293_300:
	s_mov_b32 s14, -1
	s_mov_b32 s35, exec_lo
	v_cmpx_eq_u16_e32 0x80, v3
; %bb.301:
	s_xor_b32 s14, exec_lo, -1
; %bb.302:
	s_or_b32 exec_lo, exec_lo, s35
	s_delay_alu instid0(SALU_CYCLE_1)
	s_and_b32 s14, s14, exec_lo
                                        ; implicit-def: $vgpr3
	s_or_saveexec_b32 s15, s15
	v_mov_b32_e32 v2, 0x7f800001
	s_xor_b32 exec_lo, exec_lo, s15
	s_cbranch_execz .LBB293_277
.LBB293_303:
	v_cmp_ne_u16_e32 vcc_lo, 0, v3
	v_mov_b32_e32 v2, 0
	s_and_not1_b32 s14, s14, exec_lo
	s_and_b32 s35, vcc_lo, exec_lo
	s_delay_alu instid0(SALU_CYCLE_1)
	s_or_b32 s14, s14, s35
	s_or_b32 exec_lo, exec_lo, s15
	s_and_saveexec_b32 s15, s14
	s_cbranch_execnz .LBB293_278
	s_branch .LBB293_279
.LBB293_304:
	v_dual_mov_b32 v5, 0 :: v_dual_mov_b32 v6, 0
	v_mov_b32_e32 v4, 0
.LBB293_305:
	s_cbranch_execnz .LBB293_308
.LBB293_306:
	v_mov_b32_e32 v1, 0
	s_and_not1_b32 vcc_lo, exec_lo, s30
	s_delay_alu instid0(VALU_DEP_1) | instskip(NEXT) | instid1(VALU_DEP_1)
	v_mul_u64_e32 v[2:3], s[20:21], v[0:1]
	v_add_nc_u32_e32 v2, v0, v3
	s_delay_alu instid0(VALU_DEP_1) | instskip(NEXT) | instid1(VALU_DEP_1)
	v_lshrrev_b32_e32 v2, s6, v2
	v_mul_lo_u32 v3, v2, s4
	s_delay_alu instid0(VALU_DEP_1) | instskip(NEXT) | instid1(VALU_DEP_1)
	v_sub_nc_u32_e32 v3, v0, v3
	v_mul_lo_u32 v4, v3, s8
	v_mul_lo_u32 v5, v3, s10
	;; [unrolled: 1-line block ×3, first 2 shown]
	s_cbranch_vccnz .LBB293_308
; %bb.307:
	v_mov_b32_e32 v3, v1
	s_delay_alu instid0(VALU_DEP_1) | instskip(NEXT) | instid1(VALU_DEP_1)
	v_mul_u64_e32 v[8:9], s[24:25], v[2:3]
	v_add_nc_u32_e32 v1, v2, v9
	s_delay_alu instid0(VALU_DEP_1) | instskip(NEXT) | instid1(VALU_DEP_1)
	v_lshrrev_b32_e32 v1, s19, v1
	v_mul_lo_u32 v1, v1, s7
	s_delay_alu instid0(VALU_DEP_1) | instskip(NEXT) | instid1(VALU_DEP_1)
	v_sub_nc_u32_e32 v1, v2, v1
	v_mad_u32 v4, v1, s11, v4
	v_mad_u32 v6, v1, s22, v6
	;; [unrolled: 1-line block ×3, first 2 shown]
.LBB293_308:
	global_load_u8 v2, v6, s[2:3]
	global_load_u8 v1, v5, s[12:13]
	s_and_not1_b32 vcc_lo, exec_lo, s5
	s_wait_loadcnt 0x1
	v_and_b32_e32 v3, 0xff, v2
	s_cbranch_vccnz .LBB293_318
; %bb.309:
	s_mov_b32 s14, 0
	s_mov_b32 s15, exec_lo
	s_wait_xcnt 0x0
	v_cmpx_lt_i16_e32 0x7f, v3
	s_xor_b32 s15, exec_lo, s15
	s_cbranch_execnz .LBB293_336
; %bb.310:
	s_or_saveexec_b32 s15, s15
	v_mov_b32_e32 v5, 0x7f800001
	s_xor_b32 exec_lo, exec_lo, s15
	s_cbranch_execnz .LBB293_339
.LBB293_311:
	s_or_b32 exec_lo, exec_lo, s15
	s_and_saveexec_b32 s15, s14
	s_cbranch_execz .LBB293_313
.LBB293_312:
	v_and_b32_e32 v5, 7, v2
	v_lshrrev_b16 v7, 3, v2
	v_lshlrev_b32_e32 v9, 24, v2
	s_delay_alu instid0(VALU_DEP_3) | instskip(NEXT) | instid1(VALU_DEP_1)
	v_clz_i32_u32_e32 v6, v5
	v_min_u32_e32 v6, 32, v6
	s_delay_alu instid0(VALU_DEP_4) | instskip(NEXT) | instid1(VALU_DEP_2)
	v_and_b32_e32 v7, 15, v7
	v_subrev_nc_u32_e32 v8, 28, v6
	v_sub_nc_u32_e32 v6, 29, v6
	s_delay_alu instid0(VALU_DEP_3) | instskip(NEXT) | instid1(VALU_DEP_3)
	v_cmp_eq_u32_e32 vcc_lo, 0, v7
	v_lshlrev_b32_e32 v8, v8, v2
	s_delay_alu instid0(VALU_DEP_1) | instskip(SKIP_1) | instid1(VALU_DEP_2)
	v_dual_cndmask_b32 v6, v7, v6, vcc_lo :: v_dual_bitop2_b32 v8, 7, v8 bitop3:0x40
	v_and_b32_e32 v7, 0x80000000, v9
	v_cndmask_b32_e32 v5, v5, v8, vcc_lo
	s_delay_alu instid0(VALU_DEP_3) | instskip(NEXT) | instid1(VALU_DEP_2)
	v_lshl_add_u32 v6, v6, 23, 0x3b800000
	v_lshlrev_b32_e32 v5, 20, v5
	s_delay_alu instid0(VALU_DEP_1)
	v_or3_b32 v5, v7, v6, v5
.LBB293_313:
	s_or_b32 exec_lo, exec_lo, s15
	s_wait_loadcnt 0x0
	v_and_b32_e32 v7, 0xff, v1
	s_mov_b32 s14, 0
	s_mov_b32 s15, exec_lo
	s_delay_alu instid0(VALU_DEP_1)
	v_cmpx_lt_i16_e32 0x7f, v7
	s_xor_b32 s15, exec_lo, s15
	s_cbranch_execnz .LBB293_340
; %bb.314:
	s_or_saveexec_b32 s15, s15
	v_mov_b32_e32 v6, 0x7f800001
	s_xor_b32 exec_lo, exec_lo, s15
	s_cbranch_execnz .LBB293_343
.LBB293_315:
	s_or_b32 exec_lo, exec_lo, s15
	s_and_saveexec_b32 s15, s14
	s_cbranch_execz .LBB293_317
.LBB293_316:
	v_and_b32_e32 v6, 7, v1
	v_lshrrev_b16 v8, 3, v1
	s_delay_alu instid0(VALU_DEP_2) | instskip(NEXT) | instid1(VALU_DEP_1)
	v_clz_i32_u32_e32 v7, v6
	v_min_u32_e32 v7, 32, v7
	s_delay_alu instid0(VALU_DEP_3) | instskip(NEXT) | instid1(VALU_DEP_2)
	v_and_b32_e32 v8, 15, v8
	v_subrev_nc_u32_e32 v9, 28, v7
	v_sub_nc_u32_e32 v7, 29, v7
	s_delay_alu instid0(VALU_DEP_3) | instskip(NEXT) | instid1(VALU_DEP_2)
	v_cmp_eq_u32_e32 vcc_lo, 0, v8
	v_dual_lshlrev_b32 v9, v9, v1 :: v_dual_cndmask_b32 v7, v8, v7, vcc_lo
	s_delay_alu instid0(VALU_DEP_1) | instskip(NEXT) | instid1(VALU_DEP_2)
	v_and_b32_e32 v9, 7, v9
	v_lshl_add_u32 v7, v7, 23, 0x3b800000
	s_delay_alu instid0(VALU_DEP_2) | instskip(NEXT) | instid1(VALU_DEP_1)
	v_cndmask_b32_e32 v6, v6, v9, vcc_lo
	v_dual_lshlrev_b32 v10, 24, v1 :: v_dual_lshlrev_b32 v6, 20, v6
	s_delay_alu instid0(VALU_DEP_1) | instskip(NEXT) | instid1(VALU_DEP_1)
	v_and_b32_e32 v8, 0x80000000, v10
	v_or3_b32 v6, v8, v7, v6
.LBB293_317:
	s_or_b32 exec_lo, exec_lo, s15
	s_delay_alu instid0(VALU_DEP_1)
	v_cmp_neq_f32_e64 s14, v5, v6
	s_branch .LBB293_328
.LBB293_318:
                                        ; implicit-def: $sgpr14
	s_cbranch_execz .LBB293_328
; %bb.319:
	s_mov_b32 s14, 0
	s_mov_b32 s15, exec_lo
	s_wait_xcnt 0x0
	v_cmpx_lt_i16_e32 0x7f, v3
	s_xor_b32 s15, exec_lo, s15
	s_cbranch_execnz .LBB293_344
; %bb.320:
	s_or_saveexec_b32 s15, s15
	v_mov_b32_e32 v5, 0x7f800001
	s_xor_b32 exec_lo, exec_lo, s15
	s_cbranch_execnz .LBB293_347
.LBB293_321:
	s_or_b32 exec_lo, exec_lo, s15
	s_and_saveexec_b32 s15, s14
	s_cbranch_execz .LBB293_323
.LBB293_322:
	v_and_b32_e32 v3, 7, v2
	v_lshrrev_b16 v6, 3, v2
	s_delay_alu instid0(VALU_DEP_2) | instskip(NEXT) | instid1(VALU_DEP_1)
	v_clz_i32_u32_e32 v5, v3
	v_min_u32_e32 v5, 32, v5
	s_delay_alu instid0(VALU_DEP_3) | instskip(NEXT) | instid1(VALU_DEP_2)
	v_and_b32_e32 v6, 15, v6
	v_subrev_nc_u32_e32 v7, 28, v5
	v_sub_nc_u32_e32 v5, 29, v5
	s_delay_alu instid0(VALU_DEP_3) | instskip(NEXT) | instid1(VALU_DEP_3)
	v_cmp_eq_u32_e32 vcc_lo, 0, v6
	v_dual_lshlrev_b32 v7, v7, v2 :: v_dual_lshlrev_b32 v2, 24, v2
	s_delay_alu instid0(VALU_DEP_1) | instskip(NEXT) | instid1(VALU_DEP_2)
	v_dual_cndmask_b32 v5, v6, v5, vcc_lo :: v_dual_bitop2_b32 v7, 7, v7 bitop3:0x40
	v_and_b32_e32 v2, 0x80000000, v2
	s_delay_alu instid0(VALU_DEP_2) | instskip(NEXT) | instid1(VALU_DEP_3)
	v_cndmask_b32_e32 v3, v3, v7, vcc_lo
	v_lshl_add_u32 v5, v5, 23, 0x3b800000
	s_delay_alu instid0(VALU_DEP_2) | instskip(NEXT) | instid1(VALU_DEP_1)
	v_lshlrev_b32_e32 v3, 20, v3
	v_or3_b32 v5, v2, v5, v3
.LBB293_323:
	s_or_b32 exec_lo, exec_lo, s15
	s_wait_loadcnt 0x0
	v_and_b32_e32 v3, 0xff, v1
	s_mov_b32 s14, 0
	s_mov_b32 s15, exec_lo
	s_delay_alu instid0(VALU_DEP_1)
	v_cmpx_lt_i16_e32 0x7f, v3
	s_xor_b32 s15, exec_lo, s15
	s_cbranch_execnz .LBB293_348
; %bb.324:
	s_or_saveexec_b32 s15, s15
	v_mov_b32_e32 v2, 0x7f800001
	s_xor_b32 exec_lo, exec_lo, s15
	s_cbranch_execnz .LBB293_351
.LBB293_325:
	s_or_b32 exec_lo, exec_lo, s15
	s_and_saveexec_b32 s15, s14
	s_cbranch_execz .LBB293_327
.LBB293_326:
	v_and_b32_e32 v2, 7, v1
	v_lshrrev_b16 v6, 3, v1
	s_delay_alu instid0(VALU_DEP_2) | instskip(NEXT) | instid1(VALU_DEP_1)
	v_clz_i32_u32_e32 v3, v2
	v_min_u32_e32 v3, 32, v3
	s_delay_alu instid0(VALU_DEP_3) | instskip(NEXT) | instid1(VALU_DEP_2)
	v_and_b32_e32 v6, 15, v6
	v_subrev_nc_u32_e32 v7, 28, v3
	v_sub_nc_u32_e32 v3, 29, v3
	s_delay_alu instid0(VALU_DEP_3) | instskip(NEXT) | instid1(VALU_DEP_3)
	v_cmp_eq_u32_e32 vcc_lo, 0, v6
	v_dual_lshlrev_b32 v7, v7, v1 :: v_dual_lshlrev_b32 v1, 24, v1
	s_delay_alu instid0(VALU_DEP_1) | instskip(NEXT) | instid1(VALU_DEP_2)
	v_and_b32_e32 v7, 7, v7
	v_and_b32_e32 v1, 0x80000000, v1
	s_delay_alu instid0(VALU_DEP_2) | instskip(NEXT) | instid1(VALU_DEP_1)
	v_cndmask_b32_e32 v2, v2, v7, vcc_lo
	v_dual_cndmask_b32 v3, v6, v3 :: v_dual_lshlrev_b32 v2, 20, v2
	s_delay_alu instid0(VALU_DEP_1) | instskip(NEXT) | instid1(VALU_DEP_1)
	v_lshl_add_u32 v3, v3, 23, 0x3b800000
	v_or3_b32 v2, v1, v3, v2
.LBB293_327:
	s_or_b32 exec_lo, exec_lo, s15
	s_delay_alu instid0(VALU_DEP_1)
	v_cmp_eq_f32_e64 s14, v5, v2
.LBB293_328:
	s_wait_loadcnt 0x0
	s_delay_alu instid0(VALU_DEP_1) | instskip(SKIP_4) | instid1(SALU_CYCLE_1)
	v_cndmask_b32_e64 v1, 0, 1, s14
	v_add_nc_u32_e32 v0, 0x80, v0
	global_store_b8 v4, v1, s[0:1]
	s_wait_xcnt 0x0
	s_or_b32 exec_lo, exec_lo, s18
	s_mov_b32 s18, exec_lo
	v_cmpx_gt_i32_e64 s33, v0
	s_cbranch_execz .LBB293_377
.LBB293_329:
	s_and_not1_b32 vcc_lo, exec_lo, s28
	s_cbranch_vccnz .LBB293_335
; %bb.330:
	s_and_not1_b32 vcc_lo, exec_lo, s34
	s_cbranch_vccnz .LBB293_352
; %bb.331:
	v_dual_mov_b32 v4, 0 :: v_dual_mov_b32 v1, v0
	v_dual_mov_b32 v6, 0 :: v_dual_mov_b32 v5, 0
	s_add_co_i32 s33, s31, 1
	s_mov_b64 s[14:15], 0xffffffffffffffe8
	s_and_b32 s33, s33, 30
	s_add_nc_u64 s[14:15], s[16:17], s[14:15]
.LBB293_332:                            ; =>This Inner Loop Header: Depth=1
	s_clause 0x1
	s_load_b128 s[36:39], s[14:15], 0x1c
	s_load_b64 s[34:35], s[14:15], 0x2c
	s_add_co_i32 s33, s33, -2
	s_delay_alu instid0(SALU_CYCLE_1) | instskip(SKIP_2) | instid1(VALU_DEP_1)
	s_cmp_eq_u32 s33, 0
	s_wait_kmcnt 0x0
	v_mul_hi_u32 v2, s37, v1
	v_add_nc_u32_e32 v2, v1, v2
	s_delay_alu instid0(VALU_DEP_1) | instskip(NEXT) | instid1(VALU_DEP_1)
	v_lshrrev_b32_e32 v2, s38, v2
	v_mul_hi_u32 v3, s34, v2
	v_mul_lo_u32 v7, v2, s36
	s_clause 0x1
	s_load_b128 s[40:43], s[14:15], 0xdc
	s_load_b64 s[36:37], s[14:15], 0xec
	s_wait_xcnt 0x0
	s_add_nc_u64 s[14:15], s[14:15], 24
	s_delay_alu instid0(VALU_DEP_2) | instskip(NEXT) | instid1(VALU_DEP_2)
	v_add_nc_u32_e32 v3, v2, v3
	v_sub_nc_u32_e32 v7, v1, v7
	s_delay_alu instid0(VALU_DEP_2) | instskip(SKIP_1) | instid1(VALU_DEP_2)
	v_lshrrev_b32_e32 v1, s35, v3
	s_wait_kmcnt 0x0
	v_mad_u32 v4, v7, s40, v4
	s_delay_alu instid0(VALU_DEP_2) | instskip(SKIP_2) | instid1(VALU_DEP_3)
	v_mul_lo_u32 v3, v1, s39
	v_mad_u32 v5, v7, s42, v5
	v_mad_u32 v6, v7, s41, v6
	v_sub_nc_u32_e32 v2, v2, v3
	s_delay_alu instid0(VALU_DEP_1) | instskip(NEXT) | instid1(VALU_DEP_4)
	v_mad_u32 v4, v2, s43, v4
	v_mad_u32 v5, v2, s37, v5
	s_delay_alu instid0(VALU_DEP_4)
	v_mad_u32 v6, v2, s36, v6
	s_cbranch_scc0 .LBB293_332
; %bb.333:
	s_bitcmp1_b32 s31, 0
	s_cselect_b32 s31, -1, 0
	s_delay_alu instid0(SALU_CYCLE_1)
	s_and_b32 vcc_lo, exec_lo, s31
	s_cbranch_vccnz .LBB293_353
; %bb.334:
	s_clause 0x1
	s_load_b96 s[36:38], s[14:15], 0x1c
	s_load_b96 s[40:42], s[14:15], 0xdc
	s_wait_kmcnt 0x0
	v_mul_hi_u32 v2, s37, v1
	s_delay_alu instid0(VALU_DEP_1) | instskip(NEXT) | instid1(VALU_DEP_1)
	v_add_nc_u32_e32 v2, v1, v2
	v_lshrrev_b32_e32 v2, s38, v2
	s_delay_alu instid0(VALU_DEP_1) | instskip(NEXT) | instid1(VALU_DEP_1)
	v_mul_lo_u32 v2, v2, s36
	v_sub_nc_u32_e32 v1, v1, v2
	s_delay_alu instid0(VALU_DEP_1)
	v_mad_u32 v4, v1, s40, v4
	v_mad_u32 v6, v1, s41, v6
	;; [unrolled: 1-line block ×3, first 2 shown]
	s_branch .LBB293_353
.LBB293_335:
                                        ; implicit-def: $vgpr5
                                        ; implicit-def: $vgpr6
                                        ; implicit-def: $vgpr4
	s_branch .LBB293_354
.LBB293_336:
	s_mov_b32 s14, -1
	s_mov_b32 s35, exec_lo
	v_cmpx_eq_u16_e32 0x80, v3
; %bb.337:
	s_xor_b32 s14, exec_lo, -1
; %bb.338:
	s_or_b32 exec_lo, exec_lo, s35
	s_delay_alu instid0(SALU_CYCLE_1)
	s_and_b32 s14, s14, exec_lo
	s_or_saveexec_b32 s15, s15
	v_mov_b32_e32 v5, 0x7f800001
	s_xor_b32 exec_lo, exec_lo, s15
	s_cbranch_execz .LBB293_311
.LBB293_339:
	v_cmp_ne_u16_e32 vcc_lo, 0, v3
	v_mov_b32_e32 v5, 0
	s_and_not1_b32 s14, s14, exec_lo
	s_and_b32 s35, vcc_lo, exec_lo
	s_delay_alu instid0(SALU_CYCLE_1)
	s_or_b32 s14, s14, s35
	s_or_b32 exec_lo, exec_lo, s15
	s_and_saveexec_b32 s15, s14
	s_cbranch_execnz .LBB293_312
	s_branch .LBB293_313
.LBB293_340:
	s_mov_b32 s14, -1
	s_mov_b32 s35, exec_lo
	v_cmpx_eq_u16_e32 0x80, v7
; %bb.341:
	s_xor_b32 s14, exec_lo, -1
; %bb.342:
	s_or_b32 exec_lo, exec_lo, s35
	s_delay_alu instid0(SALU_CYCLE_1)
	s_and_b32 s14, s14, exec_lo
                                        ; implicit-def: $vgpr7
	s_or_saveexec_b32 s15, s15
	v_mov_b32_e32 v6, 0x7f800001
	s_xor_b32 exec_lo, exec_lo, s15
	s_cbranch_execz .LBB293_315
.LBB293_343:
	v_cmp_ne_u16_e32 vcc_lo, 0, v7
	v_mov_b32_e32 v6, 0
	s_and_not1_b32 s14, s14, exec_lo
	s_and_b32 s35, vcc_lo, exec_lo
	s_delay_alu instid0(SALU_CYCLE_1)
	s_or_b32 s14, s14, s35
	s_or_b32 exec_lo, exec_lo, s15
	s_and_saveexec_b32 s15, s14
	s_cbranch_execnz .LBB293_316
	s_branch .LBB293_317
.LBB293_344:
	s_mov_b32 s14, -1
	s_mov_b32 s35, exec_lo
	v_cmpx_eq_u16_e32 0x80, v3
; %bb.345:
	s_xor_b32 s14, exec_lo, -1
; %bb.346:
	s_or_b32 exec_lo, exec_lo, s35
	s_delay_alu instid0(SALU_CYCLE_1)
	s_and_b32 s14, s14, exec_lo
                                        ; implicit-def: $vgpr3
	s_or_saveexec_b32 s15, s15
	v_mov_b32_e32 v5, 0x7f800001
	s_xor_b32 exec_lo, exec_lo, s15
	s_cbranch_execz .LBB293_321
.LBB293_347:
	v_cmp_ne_u16_e32 vcc_lo, 0, v3
	v_mov_b32_e32 v5, 0
	s_and_not1_b32 s14, s14, exec_lo
	s_and_b32 s35, vcc_lo, exec_lo
	s_delay_alu instid0(SALU_CYCLE_1)
	s_or_b32 s14, s14, s35
	s_or_b32 exec_lo, exec_lo, s15
	s_and_saveexec_b32 s15, s14
	s_cbranch_execnz .LBB293_322
	s_branch .LBB293_323
.LBB293_348:
	s_mov_b32 s14, -1
	s_mov_b32 s35, exec_lo
	v_cmpx_eq_u16_e32 0x80, v3
; %bb.349:
	s_xor_b32 s14, exec_lo, -1
; %bb.350:
	s_or_b32 exec_lo, exec_lo, s35
	s_delay_alu instid0(SALU_CYCLE_1)
	s_and_b32 s14, s14, exec_lo
                                        ; implicit-def: $vgpr3
	s_or_saveexec_b32 s15, s15
	v_mov_b32_e32 v2, 0x7f800001
	s_xor_b32 exec_lo, exec_lo, s15
	s_cbranch_execz .LBB293_325
.LBB293_351:
	v_cmp_ne_u16_e32 vcc_lo, 0, v3
	v_mov_b32_e32 v2, 0
	s_and_not1_b32 s14, s14, exec_lo
	s_and_b32 s35, vcc_lo, exec_lo
	s_delay_alu instid0(SALU_CYCLE_1)
	s_or_b32 s14, s14, s35
	s_or_b32 exec_lo, exec_lo, s15
	s_and_saveexec_b32 s15, s14
	s_cbranch_execnz .LBB293_326
	s_branch .LBB293_327
.LBB293_352:
	v_dual_mov_b32 v5, 0 :: v_dual_mov_b32 v6, 0
	v_mov_b32_e32 v4, 0
.LBB293_353:
	s_cbranch_execnz .LBB293_356
.LBB293_354:
	v_mov_b32_e32 v1, 0
	s_and_not1_b32 vcc_lo, exec_lo, s30
	s_delay_alu instid0(VALU_DEP_1) | instskip(NEXT) | instid1(VALU_DEP_1)
	v_mul_u64_e32 v[2:3], s[20:21], v[0:1]
	v_add_nc_u32_e32 v2, v0, v3
	s_delay_alu instid0(VALU_DEP_1) | instskip(NEXT) | instid1(VALU_DEP_1)
	v_lshrrev_b32_e32 v2, s6, v2
	v_mul_lo_u32 v3, v2, s4
	s_delay_alu instid0(VALU_DEP_1) | instskip(NEXT) | instid1(VALU_DEP_1)
	v_sub_nc_u32_e32 v0, v0, v3
	v_mul_lo_u32 v4, v0, s8
	v_mul_lo_u32 v5, v0, s10
	;; [unrolled: 1-line block ×3, first 2 shown]
	s_cbranch_vccnz .LBB293_356
; %bb.355:
	v_mov_b32_e32 v3, v1
	s_delay_alu instid0(VALU_DEP_1) | instskip(NEXT) | instid1(VALU_DEP_1)
	v_mul_u64_e32 v[0:1], s[24:25], v[2:3]
	v_add_nc_u32_e32 v0, v2, v1
	s_delay_alu instid0(VALU_DEP_1) | instskip(NEXT) | instid1(VALU_DEP_1)
	v_lshrrev_b32_e32 v0, s19, v0
	v_mul_lo_u32 v0, v0, s7
	s_delay_alu instid0(VALU_DEP_1) | instskip(NEXT) | instid1(VALU_DEP_1)
	v_sub_nc_u32_e32 v0, v2, v0
	v_mad_u32 v4, v0, s11, v4
	v_mad_u32 v6, v0, s22, v6
	;; [unrolled: 1-line block ×3, first 2 shown]
.LBB293_356:
	global_load_u8 v1, v6, s[2:3]
	global_load_u8 v0, v5, s[12:13]
	s_and_not1_b32 vcc_lo, exec_lo, s5
	s_wait_loadcnt 0x1
	v_and_b32_e32 v2, 0xff, v1
	s_cbranch_vccnz .LBB293_366
; %bb.357:
	s_wait_xcnt 0x1
	s_mov_b32 s2, 0
	s_mov_b32 s3, exec_lo
	s_wait_xcnt 0x0
	v_cmpx_lt_i16_e32 0x7f, v2
	s_xor_b32 s3, exec_lo, s3
	s_cbranch_execnz .LBB293_757
; %bb.358:
	s_or_saveexec_b32 s3, s3
	v_mov_b32_e32 v3, 0x7f800001
	s_xor_b32 exec_lo, exec_lo, s3
	s_cbranch_execnz .LBB293_760
.LBB293_359:
	s_or_b32 exec_lo, exec_lo, s3
	s_and_saveexec_b32 s3, s2
	s_cbranch_execz .LBB293_361
.LBB293_360:
	v_and_b32_e32 v3, 7, v1
	v_lshrrev_b16 v6, 3, v1
	v_lshlrev_b32_e32 v8, 24, v1
	s_delay_alu instid0(VALU_DEP_3) | instskip(NEXT) | instid1(VALU_DEP_1)
	v_clz_i32_u32_e32 v5, v3
	v_min_u32_e32 v5, 32, v5
	s_delay_alu instid0(VALU_DEP_4) | instskip(NEXT) | instid1(VALU_DEP_2)
	v_and_b32_e32 v6, 15, v6
	v_subrev_nc_u32_e32 v7, 28, v5
	v_sub_nc_u32_e32 v5, 29, v5
	s_delay_alu instid0(VALU_DEP_3) | instskip(NEXT) | instid1(VALU_DEP_3)
	v_cmp_eq_u32_e32 vcc_lo, 0, v6
	v_lshlrev_b32_e32 v7, v7, v1
	s_delay_alu instid0(VALU_DEP_1) | instskip(SKIP_1) | instid1(VALU_DEP_2)
	v_dual_cndmask_b32 v5, v6, v5, vcc_lo :: v_dual_bitop2_b32 v7, 7, v7 bitop3:0x40
	v_and_b32_e32 v6, 0x80000000, v8
	v_cndmask_b32_e32 v3, v3, v7, vcc_lo
	s_delay_alu instid0(VALU_DEP_3) | instskip(NEXT) | instid1(VALU_DEP_2)
	v_lshl_add_u32 v5, v5, 23, 0x3b800000
	v_lshlrev_b32_e32 v3, 20, v3
	s_delay_alu instid0(VALU_DEP_1)
	v_or3_b32 v3, v6, v5, v3
.LBB293_361:
	s_or_b32 exec_lo, exec_lo, s3
	s_wait_loadcnt 0x0
	v_and_b32_e32 v6, 0xff, v0
	s_mov_b32 s2, 0
	s_mov_b32 s3, exec_lo
	s_delay_alu instid0(VALU_DEP_1)
	v_cmpx_lt_i16_e32 0x7f, v6
	s_xor_b32 s3, exec_lo, s3
	s_cbranch_execnz .LBB293_761
; %bb.362:
	s_or_saveexec_b32 s3, s3
	v_mov_b32_e32 v5, 0x7f800001
	s_xor_b32 exec_lo, exec_lo, s3
	s_cbranch_execnz .LBB293_764
.LBB293_363:
	s_or_b32 exec_lo, exec_lo, s3
	s_and_saveexec_b32 s3, s2
	s_cbranch_execz .LBB293_365
.LBB293_364:
	v_and_b32_e32 v5, 7, v0
	v_lshrrev_b16 v7, 3, v0
	s_delay_alu instid0(VALU_DEP_2) | instskip(NEXT) | instid1(VALU_DEP_1)
	v_clz_i32_u32_e32 v6, v5
	v_min_u32_e32 v6, 32, v6
	s_delay_alu instid0(VALU_DEP_3) | instskip(NEXT) | instid1(VALU_DEP_2)
	v_and_b32_e32 v7, 15, v7
	v_subrev_nc_u32_e32 v8, 28, v6
	v_sub_nc_u32_e32 v6, 29, v6
	s_delay_alu instid0(VALU_DEP_3) | instskip(NEXT) | instid1(VALU_DEP_2)
	v_cmp_eq_u32_e32 vcc_lo, 0, v7
	v_dual_lshlrev_b32 v8, v8, v0 :: v_dual_cndmask_b32 v6, v7, v6, vcc_lo
	s_delay_alu instid0(VALU_DEP_1) | instskip(NEXT) | instid1(VALU_DEP_2)
	v_and_b32_e32 v8, 7, v8
	v_lshl_add_u32 v6, v6, 23, 0x3b800000
	s_delay_alu instid0(VALU_DEP_2) | instskip(NEXT) | instid1(VALU_DEP_1)
	v_cndmask_b32_e32 v5, v5, v8, vcc_lo
	v_dual_lshlrev_b32 v9, 24, v0 :: v_dual_lshlrev_b32 v5, 20, v5
	s_delay_alu instid0(VALU_DEP_1) | instskip(NEXT) | instid1(VALU_DEP_1)
	v_and_b32_e32 v7, 0x80000000, v9
	v_or3_b32 v5, v7, v6, v5
.LBB293_365:
	s_or_b32 exec_lo, exec_lo, s3
	s_delay_alu instid0(VALU_DEP_1)
	v_cmp_neq_f32_e64 s2, v3, v5
	s_branch .LBB293_376
.LBB293_366:
	s_wait_xcnt 0x1
                                        ; implicit-def: $sgpr2
	s_cbranch_execz .LBB293_376
; %bb.367:
	s_mov_b32 s2, 0
	s_mov_b32 s3, exec_lo
	s_wait_xcnt 0x0
	v_cmpx_lt_i16_e32 0x7f, v2
	s_xor_b32 s3, exec_lo, s3
	s_cbranch_execnz .LBB293_765
; %bb.368:
	s_or_saveexec_b32 s3, s3
	v_mov_b32_e32 v3, 0x7f800001
	s_xor_b32 exec_lo, exec_lo, s3
	s_cbranch_execnz .LBB293_768
.LBB293_369:
	s_or_b32 exec_lo, exec_lo, s3
	s_and_saveexec_b32 s3, s2
	s_cbranch_execz .LBB293_371
.LBB293_370:
	v_and_b32_e32 v2, 7, v1
	v_lshrrev_b16 v5, 3, v1
	s_delay_alu instid0(VALU_DEP_2) | instskip(NEXT) | instid1(VALU_DEP_1)
	v_clz_i32_u32_e32 v3, v2
	v_min_u32_e32 v3, 32, v3
	s_delay_alu instid0(VALU_DEP_3) | instskip(NEXT) | instid1(VALU_DEP_2)
	v_and_b32_e32 v5, 15, v5
	v_subrev_nc_u32_e32 v6, 28, v3
	v_sub_nc_u32_e32 v3, 29, v3
	s_delay_alu instid0(VALU_DEP_3) | instskip(NEXT) | instid1(VALU_DEP_3)
	v_cmp_eq_u32_e32 vcc_lo, 0, v5
	v_dual_lshlrev_b32 v6, v6, v1 :: v_dual_lshlrev_b32 v1, 24, v1
	s_delay_alu instid0(VALU_DEP_1) | instskip(NEXT) | instid1(VALU_DEP_2)
	v_dual_cndmask_b32 v3, v5, v3, vcc_lo :: v_dual_bitop2_b32 v6, 7, v6 bitop3:0x40
	v_and_b32_e32 v1, 0x80000000, v1
	s_delay_alu instid0(VALU_DEP_2) | instskip(NEXT) | instid1(VALU_DEP_3)
	v_cndmask_b32_e32 v2, v2, v6, vcc_lo
	v_lshl_add_u32 v3, v3, 23, 0x3b800000
	s_delay_alu instid0(VALU_DEP_2) | instskip(NEXT) | instid1(VALU_DEP_1)
	v_lshlrev_b32_e32 v2, 20, v2
	v_or3_b32 v3, v1, v3, v2
.LBB293_371:
	s_or_b32 exec_lo, exec_lo, s3
	s_wait_loadcnt 0x0
	v_and_b32_e32 v2, 0xff, v0
	s_mov_b32 s2, 0
	s_mov_b32 s3, exec_lo
	s_delay_alu instid0(VALU_DEP_1)
	v_cmpx_lt_i16_e32 0x7f, v2
	s_xor_b32 s3, exec_lo, s3
	s_cbranch_execnz .LBB293_769
; %bb.372:
	s_or_saveexec_b32 s3, s3
	v_mov_b32_e32 v1, 0x7f800001
	s_xor_b32 exec_lo, exec_lo, s3
	s_cbranch_execnz .LBB293_772
.LBB293_373:
	s_or_b32 exec_lo, exec_lo, s3
	s_and_saveexec_b32 s3, s2
	s_cbranch_execz .LBB293_375
.LBB293_374:
	v_and_b32_e32 v1, 7, v0
	v_lshrrev_b16 v5, 3, v0
	s_delay_alu instid0(VALU_DEP_2) | instskip(NEXT) | instid1(VALU_DEP_1)
	v_clz_i32_u32_e32 v2, v1
	v_min_u32_e32 v2, 32, v2
	s_delay_alu instid0(VALU_DEP_3) | instskip(NEXT) | instid1(VALU_DEP_2)
	v_and_b32_e32 v5, 15, v5
	v_subrev_nc_u32_e32 v6, 28, v2
	v_sub_nc_u32_e32 v2, 29, v2
	s_delay_alu instid0(VALU_DEP_3) | instskip(NEXT) | instid1(VALU_DEP_3)
	v_cmp_eq_u32_e32 vcc_lo, 0, v5
	v_dual_lshlrev_b32 v6, v6, v0 :: v_dual_lshlrev_b32 v0, 24, v0
	s_delay_alu instid0(VALU_DEP_1) | instskip(NEXT) | instid1(VALU_DEP_2)
	v_and_b32_e32 v6, 7, v6
	v_and_b32_e32 v0, 0x80000000, v0
	s_delay_alu instid0(VALU_DEP_2) | instskip(NEXT) | instid1(VALU_DEP_1)
	v_cndmask_b32_e32 v1, v1, v6, vcc_lo
	v_dual_cndmask_b32 v2, v5, v2 :: v_dual_lshlrev_b32 v1, 20, v1
	s_delay_alu instid0(VALU_DEP_1) | instskip(NEXT) | instid1(VALU_DEP_1)
	v_lshl_add_u32 v2, v2, 23, 0x3b800000
	v_or3_b32 v1, v0, v2, v1
.LBB293_375:
	s_or_b32 exec_lo, exec_lo, s3
	s_delay_alu instid0(VALU_DEP_1)
	v_cmp_eq_f32_e64 s2, v3, v1
.LBB293_376:
	s_wait_loadcnt 0x0
	s_delay_alu instid0(VALU_DEP_1)
	v_cndmask_b32_e64 v0, 0, 1, s2
	global_store_b8 v4, v0, s[0:1]
.LBB293_377:
	s_wait_xcnt 0x0
	s_or_b32 exec_lo, exec_lo, s18
                                        ; implicit-def: $vgpr22
                                        ; implicit-def: $vgpr0
.LBB293_378:
	s_and_not1_saveexec_b32 s0, s29
	s_cbranch_execz .LBB293_385
; %bb.379:
	v_cndmask_b32_e64 v7, 0, 1, s28
	s_and_not1_b32 vcc_lo, exec_lo, s28
	s_cbranch_vccnz .LBB293_386
; %bb.380:
	s_cmp_lg_u32 s26, 0
	s_mov_b32 s2, 0
	s_cbranch_scc0 .LBB293_390
; %bb.381:
	s_min_u32 s3, s27, 15
	v_dual_mov_b32 v1, 0 :: v_dual_mov_b32 v2, v0
	v_dual_mov_b32 v24, 0 :: v_dual_mov_b32 v23, 0
	s_add_co_i32 s4, s3, 1
	s_mov_b64 s[0:1], 0xffffffffffffffe8
	s_and_b32 s4, s4, 30
	s_add_nc_u64 s[0:1], s[16:17], s[0:1]
.LBB293_382:                            ; =>This Inner Loop Header: Depth=1
	s_clause 0x1
	s_load_b128 s[8:11], s[0:1], 0x1c
	s_load_b64 s[6:7], s[0:1], 0x2c
	s_add_co_i32 s4, s4, -2
	s_delay_alu instid0(SALU_CYCLE_1) | instskip(SKIP_2) | instid1(VALU_DEP_1)
	s_cmp_lg_u32 s4, 0
	s_wait_kmcnt 0x0
	v_mul_hi_u32 v3, s9, v2
	v_add_nc_u32_e32 v3, v2, v3
	s_delay_alu instid0(VALU_DEP_1) | instskip(NEXT) | instid1(VALU_DEP_1)
	v_lshrrev_b32_e32 v3, s10, v3
	v_mul_hi_u32 v4, s6, v3
	v_mul_lo_u32 v5, v3, s8
	s_clause 0x1
	s_load_b128 s[12:15], s[0:1], 0xdc
	s_load_b64 s[8:9], s[0:1], 0xec
	s_wait_xcnt 0x0
	s_add_nc_u64 s[0:1], s[0:1], 24
	s_delay_alu instid0(VALU_DEP_1) | instskip(NEXT) | instid1(VALU_DEP_1)
	v_dual_add_nc_u32 v4, v3, v4 :: v_dual_sub_nc_u32 v5, v2, v5
	v_lshrrev_b32_e32 v2, s7, v4
	s_wait_kmcnt 0x0
	s_delay_alu instid0(VALU_DEP_2) | instskip(NEXT) | instid1(VALU_DEP_2)
	v_mad_u32 v1, v5, s12, v1
	v_mul_lo_u32 v4, v2, s11
	v_mad_u32 v6, v5, s14, v23
	v_mad_u32 v5, v5, s13, v24
	s_delay_alu instid0(VALU_DEP_3) | instskip(NEXT) | instid1(VALU_DEP_1)
	v_sub_nc_u32_e32 v3, v3, v4
	v_mad_u32 v1, v3, s15, v1
	s_delay_alu instid0(VALU_DEP_4) | instskip(NEXT) | instid1(VALU_DEP_4)
	v_mad_u32 v23, v3, s9, v6
	v_mad_u32 v24, v3, s8, v5
	s_cbranch_scc1 .LBB293_382
; %bb.383:
	s_bitcmp1_b32 s3, 0
	s_cselect_b32 s3, -1, 0
	s_delay_alu instid0(SALU_CYCLE_1)
	s_and_b32 vcc_lo, exec_lo, s3
	s_cbranch_vccnz .LBB293_387
; %bb.384:
	s_clause 0x1
	s_load_b96 s[4:6], s[0:1], 0x1c
	s_load_b96 s[8:10], s[0:1], 0xdc
	s_wait_kmcnt 0x0
	v_mul_hi_u32 v3, s5, v2
	s_delay_alu instid0(VALU_DEP_1) | instskip(NEXT) | instid1(VALU_DEP_1)
	v_add_nc_u32_e32 v3, v2, v3
	v_lshrrev_b32_e32 v3, s6, v3
	s_delay_alu instid0(VALU_DEP_1) | instskip(NEXT) | instid1(VALU_DEP_1)
	v_mul_lo_u32 v3, v3, s4
	v_sub_nc_u32_e32 v2, v2, v3
	s_delay_alu instid0(VALU_DEP_1)
	v_mad_u32 v1, v2, s8, v1
	v_mad_u32 v24, v2, s9, v24
	;; [unrolled: 1-line block ×3, first 2 shown]
	s_and_not1_b32 vcc_lo, exec_lo, s2
	s_cbranch_vccz .LBB293_388
	s_branch .LBB293_391
.LBB293_385:
	s_endpgm
.LBB293_386:
	s_mov_b32 s2, -1
                                        ; implicit-def: $vgpr23
                                        ; implicit-def: $vgpr24
                                        ; implicit-def: $vgpr1
.LBB293_387:
	s_delay_alu instid0(SALU_CYCLE_1)
	s_and_not1_b32 vcc_lo, exec_lo, s2
	s_cbranch_vccnz .LBB293_391
.LBB293_388:
	s_clause 0x1
	s_load_b96 s[0:2], s[16:17], 0x4
	s_load_b96 s[4:6], s[16:17], 0xc4
	s_cmp_lt_u32 s26, 2
	s_wait_kmcnt 0x0
	v_mul_hi_u32 v1, s1, v0
	s_delay_alu instid0(VALU_DEP_1) | instskip(NEXT) | instid1(VALU_DEP_1)
	v_add_nc_u32_e32 v1, v0, v1
	v_lshrrev_b32_e32 v2, s2, v1
	s_delay_alu instid0(VALU_DEP_1) | instskip(NEXT) | instid1(VALU_DEP_1)
	v_mul_lo_u32 v1, v2, s0
	v_sub_nc_u32_e32 v3, v0, v1
	s_delay_alu instid0(VALU_DEP_1)
	v_mul_lo_u32 v1, v3, s4
	v_mul_lo_u32 v23, v3, s6
	;; [unrolled: 1-line block ×3, first 2 shown]
	s_cbranch_scc1 .LBB293_391
; %bb.389:
	s_clause 0x1
	s_load_b96 s[0:2], s[16:17], 0x10
	s_load_b96 s[4:6], s[16:17], 0xd0
	s_wait_kmcnt 0x0
	v_mul_hi_u32 v3, s1, v2
	s_delay_alu instid0(VALU_DEP_1) | instskip(NEXT) | instid1(VALU_DEP_1)
	v_add_nc_u32_e32 v3, v2, v3
	v_lshrrev_b32_e32 v3, s2, v3
	s_delay_alu instid0(VALU_DEP_1) | instskip(NEXT) | instid1(VALU_DEP_1)
	v_mul_lo_u32 v3, v3, s0
	v_sub_nc_u32_e32 v2, v2, v3
	s_delay_alu instid0(VALU_DEP_1)
	v_mad_u32 v1, v2, s4, v1
	v_mad_u32 v24, v2, s5, v24
	;; [unrolled: 1-line block ×3, first 2 shown]
	s_branch .LBB293_391
.LBB293_390:
	v_dual_mov_b32 v23, 0 :: v_dual_mov_b32 v24, 0
	v_mov_b32_e32 v1, 0
	s_and_not1_b32 vcc_lo, exec_lo, s2
	s_cbranch_vccz .LBB293_388
.LBB293_391:
	v_cmp_ne_u32_e32 vcc_lo, 1, v7
	v_add_nc_u32_e32 v3, 0x80, v0
	s_cbranch_vccnz .LBB293_397
; %bb.392:
	s_cmp_lg_u32 s26, 0
	s_mov_b32 s2, 0
	s_cbranch_scc0 .LBB293_401
; %bb.393:
	s_min_u32 s3, s27, 15
	v_dual_mov_b32 v2, 0 :: v_dual_mov_b32 v4, v3
	v_dual_mov_b32 v21, 0 :: v_dual_mov_b32 v20, 0
	s_add_co_i32 s4, s3, 1
	s_mov_b64 s[0:1], 0xffffffffffffffe8
	s_and_b32 s4, s4, 30
	s_add_nc_u64 s[0:1], s[16:17], s[0:1]
.LBB293_394:                            ; =>This Inner Loop Header: Depth=1
	s_clause 0x1
	s_load_b128 s[8:11], s[0:1], 0x1c
	s_load_b64 s[6:7], s[0:1], 0x2c
	s_add_co_i32 s4, s4, -2
	s_delay_alu instid0(SALU_CYCLE_1) | instskip(SKIP_2) | instid1(VALU_DEP_1)
	s_cmp_lg_u32 s4, 0
	s_wait_kmcnt 0x0
	v_mul_hi_u32 v5, s9, v4
	v_add_nc_u32_e32 v5, v4, v5
	s_delay_alu instid0(VALU_DEP_1) | instskip(NEXT) | instid1(VALU_DEP_1)
	v_lshrrev_b32_e32 v5, s10, v5
	v_mul_hi_u32 v6, s6, v5
	v_mul_lo_u32 v8, v5, s8
	s_clause 0x1
	s_load_b128 s[12:15], s[0:1], 0xdc
	s_load_b64 s[8:9], s[0:1], 0xec
	s_wait_xcnt 0x0
	s_add_nc_u64 s[0:1], s[0:1], 24
	s_delay_alu instid0(VALU_DEP_1) | instskip(NEXT) | instid1(VALU_DEP_1)
	v_dual_add_nc_u32 v6, v5, v6 :: v_dual_sub_nc_u32 v8, v4, v8
	v_lshrrev_b32_e32 v4, s7, v6
	s_wait_kmcnt 0x0
	s_delay_alu instid0(VALU_DEP_2) | instskip(NEXT) | instid1(VALU_DEP_2)
	v_mad_u32 v2, v8, s12, v2
	v_mul_lo_u32 v6, v4, s11
	v_mad_u32 v9, v8, s14, v20
	v_mad_u32 v8, v8, s13, v21
	s_delay_alu instid0(VALU_DEP_3) | instskip(NEXT) | instid1(VALU_DEP_1)
	v_sub_nc_u32_e32 v5, v5, v6
	v_mad_u32 v2, v5, s15, v2
	s_delay_alu instid0(VALU_DEP_4) | instskip(NEXT) | instid1(VALU_DEP_4)
	v_mad_u32 v20, v5, s9, v9
	v_mad_u32 v21, v5, s8, v8
	s_cbranch_scc1 .LBB293_394
; %bb.395:
	s_bitcmp1_b32 s3, 0
	s_cselect_b32 s3, -1, 0
	s_delay_alu instid0(SALU_CYCLE_1)
	s_and_b32 vcc_lo, exec_lo, s3
	s_cbranch_vccnz .LBB293_398
; %bb.396:
	s_clause 0x1
	s_load_b96 s[4:6], s[0:1], 0x1c
	s_load_b96 s[8:10], s[0:1], 0xdc
	s_wait_kmcnt 0x0
	v_mul_hi_u32 v5, s5, v4
	s_delay_alu instid0(VALU_DEP_1) | instskip(NEXT) | instid1(VALU_DEP_1)
	v_add_nc_u32_e32 v5, v4, v5
	v_lshrrev_b32_e32 v5, s6, v5
	s_delay_alu instid0(VALU_DEP_1) | instskip(NEXT) | instid1(VALU_DEP_1)
	v_mul_lo_u32 v5, v5, s4
	v_sub_nc_u32_e32 v4, v4, v5
	s_delay_alu instid0(VALU_DEP_1)
	v_mad_u32 v2, v4, s8, v2
	v_mad_u32 v21, v4, s9, v21
	;; [unrolled: 1-line block ×3, first 2 shown]
	s_and_not1_b32 vcc_lo, exec_lo, s2
	s_cbranch_vccz .LBB293_399
	s_branch .LBB293_402
.LBB293_397:
	s_mov_b32 s2, -1
                                        ; implicit-def: $vgpr20
                                        ; implicit-def: $vgpr21
                                        ; implicit-def: $vgpr2
.LBB293_398:
	s_delay_alu instid0(SALU_CYCLE_1)
	s_and_not1_b32 vcc_lo, exec_lo, s2
	s_cbranch_vccnz .LBB293_402
.LBB293_399:
	s_clause 0x1
	s_load_b96 s[0:2], s[16:17], 0x4
	s_load_b96 s[4:6], s[16:17], 0xc4
	s_cmp_lt_u32 s26, 2
	s_wait_kmcnt 0x0
	v_mul_hi_u32 v2, s1, v3
	s_delay_alu instid0(VALU_DEP_1) | instskip(NEXT) | instid1(VALU_DEP_1)
	v_add_nc_u32_e32 v2, v3, v2
	v_lshrrev_b32_e32 v4, s2, v2
	s_delay_alu instid0(VALU_DEP_1) | instskip(NEXT) | instid1(VALU_DEP_1)
	v_mul_lo_u32 v2, v4, s0
	v_sub_nc_u32_e32 v3, v3, v2
	s_delay_alu instid0(VALU_DEP_1)
	v_mul_lo_u32 v2, v3, s4
	v_mul_lo_u32 v20, v3, s6
	;; [unrolled: 1-line block ×3, first 2 shown]
	s_cbranch_scc1 .LBB293_402
; %bb.400:
	s_clause 0x1
	s_load_b96 s[0:2], s[16:17], 0x10
	s_load_b96 s[4:6], s[16:17], 0xd0
	s_wait_kmcnt 0x0
	v_mul_hi_u32 v3, s1, v4
	s_delay_alu instid0(VALU_DEP_1) | instskip(NEXT) | instid1(VALU_DEP_1)
	v_add_nc_u32_e32 v3, v4, v3
	v_lshrrev_b32_e32 v3, s2, v3
	s_delay_alu instid0(VALU_DEP_1) | instskip(NEXT) | instid1(VALU_DEP_1)
	v_mul_lo_u32 v3, v3, s0
	v_sub_nc_u32_e32 v3, v4, v3
	s_delay_alu instid0(VALU_DEP_1)
	v_mad_u32 v2, v3, s4, v2
	v_mad_u32 v21, v3, s5, v21
	;; [unrolled: 1-line block ×3, first 2 shown]
	s_branch .LBB293_402
.LBB293_401:
	v_dual_mov_b32 v20, 0 :: v_dual_mov_b32 v21, 0
	v_mov_b32_e32 v2, 0
	s_and_not1_b32 vcc_lo, exec_lo, s2
	s_cbranch_vccz .LBB293_399
.LBB293_402:
	v_cmp_ne_u32_e32 vcc_lo, 1, v7
	v_add_nc_u32_e32 v4, 0x100, v0
	s_cbranch_vccnz .LBB293_408
; %bb.403:
	s_cmp_lg_u32 s26, 0
	s_mov_b32 s2, 0
	s_cbranch_scc0 .LBB293_412
; %bb.404:
	s_min_u32 s3, s27, 15
	v_dual_mov_b32 v3, 0 :: v_dual_mov_b32 v5, v4
	v_dual_mov_b32 v19, 0 :: v_dual_mov_b32 v18, 0
	s_add_co_i32 s4, s3, 1
	s_mov_b64 s[0:1], 0xffffffffffffffe8
	s_and_b32 s4, s4, 30
	s_add_nc_u64 s[0:1], s[16:17], s[0:1]
.LBB293_405:                            ; =>This Inner Loop Header: Depth=1
	s_clause 0x1
	s_load_b128 s[8:11], s[0:1], 0x1c
	s_load_b64 s[6:7], s[0:1], 0x2c
	s_add_co_i32 s4, s4, -2
	s_delay_alu instid0(SALU_CYCLE_1) | instskip(SKIP_2) | instid1(VALU_DEP_1)
	s_cmp_lg_u32 s4, 0
	s_wait_kmcnt 0x0
	v_mul_hi_u32 v6, s9, v5
	v_add_nc_u32_e32 v6, v5, v6
	s_delay_alu instid0(VALU_DEP_1) | instskip(NEXT) | instid1(VALU_DEP_1)
	v_lshrrev_b32_e32 v6, s10, v6
	v_mul_hi_u32 v8, s6, v6
	v_mul_lo_u32 v9, v6, s8
	s_clause 0x1
	s_load_b128 s[12:15], s[0:1], 0xdc
	s_load_b64 s[8:9], s[0:1], 0xec
	s_wait_xcnt 0x0
	s_add_nc_u64 s[0:1], s[0:1], 24
	s_delay_alu instid0(VALU_DEP_1) | instskip(NEXT) | instid1(VALU_DEP_1)
	v_dual_add_nc_u32 v8, v6, v8 :: v_dual_sub_nc_u32 v9, v5, v9
	v_lshrrev_b32_e32 v5, s7, v8
	s_wait_kmcnt 0x0
	s_delay_alu instid0(VALU_DEP_2) | instskip(NEXT) | instid1(VALU_DEP_2)
	v_mad_u32 v3, v9, s12, v3
	v_mul_lo_u32 v8, v5, s11
	v_mad_u32 v10, v9, s14, v18
	v_mad_u32 v9, v9, s13, v19
	s_delay_alu instid0(VALU_DEP_3) | instskip(NEXT) | instid1(VALU_DEP_1)
	v_sub_nc_u32_e32 v6, v6, v8
	v_mad_u32 v3, v6, s15, v3
	s_delay_alu instid0(VALU_DEP_4) | instskip(NEXT) | instid1(VALU_DEP_4)
	v_mad_u32 v18, v6, s9, v10
	v_mad_u32 v19, v6, s8, v9
	s_cbranch_scc1 .LBB293_405
; %bb.406:
	s_bitcmp1_b32 s3, 0
	s_cselect_b32 s3, -1, 0
	s_delay_alu instid0(SALU_CYCLE_1)
	s_and_b32 vcc_lo, exec_lo, s3
	s_cbranch_vccnz .LBB293_409
; %bb.407:
	s_clause 0x1
	s_load_b96 s[4:6], s[0:1], 0x1c
	s_load_b96 s[8:10], s[0:1], 0xdc
	s_wait_kmcnt 0x0
	v_mul_hi_u32 v6, s5, v5
	s_delay_alu instid0(VALU_DEP_1) | instskip(NEXT) | instid1(VALU_DEP_1)
	v_add_nc_u32_e32 v6, v5, v6
	v_lshrrev_b32_e32 v6, s6, v6
	s_delay_alu instid0(VALU_DEP_1) | instskip(NEXT) | instid1(VALU_DEP_1)
	v_mul_lo_u32 v6, v6, s4
	v_sub_nc_u32_e32 v5, v5, v6
	s_delay_alu instid0(VALU_DEP_1)
	v_mad_u32 v3, v5, s8, v3
	v_mad_u32 v19, v5, s9, v19
	;; [unrolled: 1-line block ×3, first 2 shown]
	s_and_not1_b32 vcc_lo, exec_lo, s2
	s_cbranch_vccz .LBB293_410
	s_branch .LBB293_413
.LBB293_408:
	s_mov_b32 s2, -1
                                        ; implicit-def: $vgpr18
                                        ; implicit-def: $vgpr19
                                        ; implicit-def: $vgpr3
.LBB293_409:
	s_delay_alu instid0(SALU_CYCLE_1)
	s_and_not1_b32 vcc_lo, exec_lo, s2
	s_cbranch_vccnz .LBB293_413
.LBB293_410:
	s_clause 0x1
	s_load_b96 s[0:2], s[16:17], 0x4
	s_load_b96 s[4:6], s[16:17], 0xc4
	s_cmp_lt_u32 s26, 2
	s_wait_kmcnt 0x0
	v_mul_hi_u32 v3, s1, v4
	s_delay_alu instid0(VALU_DEP_1) | instskip(NEXT) | instid1(VALU_DEP_1)
	v_add_nc_u32_e32 v3, v4, v3
	v_lshrrev_b32_e32 v5, s2, v3
	s_delay_alu instid0(VALU_DEP_1) | instskip(NEXT) | instid1(VALU_DEP_1)
	v_mul_lo_u32 v3, v5, s0
	v_sub_nc_u32_e32 v4, v4, v3
	s_delay_alu instid0(VALU_DEP_1)
	v_mul_lo_u32 v3, v4, s4
	v_mul_lo_u32 v18, v4, s6
	;; [unrolled: 1-line block ×3, first 2 shown]
	s_cbranch_scc1 .LBB293_413
; %bb.411:
	s_clause 0x1
	s_load_b96 s[0:2], s[16:17], 0x10
	s_load_b96 s[4:6], s[16:17], 0xd0
	s_wait_kmcnt 0x0
	v_mul_hi_u32 v4, s1, v5
	s_delay_alu instid0(VALU_DEP_1) | instskip(NEXT) | instid1(VALU_DEP_1)
	v_add_nc_u32_e32 v4, v5, v4
	v_lshrrev_b32_e32 v4, s2, v4
	s_delay_alu instid0(VALU_DEP_1) | instskip(NEXT) | instid1(VALU_DEP_1)
	v_mul_lo_u32 v4, v4, s0
	v_sub_nc_u32_e32 v4, v5, v4
	s_delay_alu instid0(VALU_DEP_1)
	v_mad_u32 v3, v4, s4, v3
	v_mad_u32 v19, v4, s5, v19
	;; [unrolled: 1-line block ×3, first 2 shown]
	s_branch .LBB293_413
.LBB293_412:
	v_dual_mov_b32 v18, 0 :: v_dual_mov_b32 v19, 0
	v_mov_b32_e32 v3, 0
	s_and_not1_b32 vcc_lo, exec_lo, s2
	s_cbranch_vccz .LBB293_410
.LBB293_413:
	v_cmp_ne_u32_e32 vcc_lo, 1, v7
	v_add_nc_u32_e32 v5, 0x180, v0
	s_cbranch_vccnz .LBB293_419
; %bb.414:
	s_cmp_lg_u32 s26, 0
	s_mov_b32 s2, 0
	s_cbranch_scc0 .LBB293_423
; %bb.415:
	s_min_u32 s3, s27, 15
	v_dual_mov_b32 v4, 0 :: v_dual_mov_b32 v6, v5
	v_dual_mov_b32 v17, 0 :: v_dual_mov_b32 v16, 0
	s_add_co_i32 s4, s3, 1
	s_mov_b64 s[0:1], 0xffffffffffffffe8
	s_and_b32 s4, s4, 30
	s_add_nc_u64 s[0:1], s[16:17], s[0:1]
.LBB293_416:                            ; =>This Inner Loop Header: Depth=1
	s_clause 0x1
	s_load_b128 s[8:11], s[0:1], 0x1c
	s_load_b64 s[6:7], s[0:1], 0x2c
	s_add_co_i32 s4, s4, -2
	s_delay_alu instid0(SALU_CYCLE_1) | instskip(SKIP_2) | instid1(VALU_DEP_1)
	s_cmp_lg_u32 s4, 0
	s_wait_kmcnt 0x0
	v_mul_hi_u32 v8, s9, v6
	v_add_nc_u32_e32 v8, v6, v8
	s_delay_alu instid0(VALU_DEP_1) | instskip(NEXT) | instid1(VALU_DEP_1)
	v_lshrrev_b32_e32 v8, s10, v8
	v_mul_hi_u32 v9, s6, v8
	v_mul_lo_u32 v10, v8, s8
	s_clause 0x1
	s_load_b128 s[12:15], s[0:1], 0xdc
	s_load_b64 s[8:9], s[0:1], 0xec
	s_wait_xcnt 0x0
	s_add_nc_u64 s[0:1], s[0:1], 24
	s_delay_alu instid0(VALU_DEP_1) | instskip(NEXT) | instid1(VALU_DEP_1)
	v_dual_add_nc_u32 v9, v8, v9 :: v_dual_sub_nc_u32 v10, v6, v10
	v_lshrrev_b32_e32 v6, s7, v9
	s_wait_kmcnt 0x0
	s_delay_alu instid0(VALU_DEP_2) | instskip(NEXT) | instid1(VALU_DEP_2)
	v_mad_u32 v4, v10, s12, v4
	v_mul_lo_u32 v9, v6, s11
	v_mad_u32 v11, v10, s14, v16
	v_mad_u32 v10, v10, s13, v17
	s_delay_alu instid0(VALU_DEP_3) | instskip(NEXT) | instid1(VALU_DEP_1)
	v_sub_nc_u32_e32 v8, v8, v9
	v_mad_u32 v4, v8, s15, v4
	s_delay_alu instid0(VALU_DEP_4) | instskip(NEXT) | instid1(VALU_DEP_4)
	v_mad_u32 v16, v8, s9, v11
	v_mad_u32 v17, v8, s8, v10
	s_cbranch_scc1 .LBB293_416
; %bb.417:
	s_bitcmp1_b32 s3, 0
	s_cselect_b32 s3, -1, 0
	s_delay_alu instid0(SALU_CYCLE_1)
	s_and_b32 vcc_lo, exec_lo, s3
	s_cbranch_vccnz .LBB293_420
; %bb.418:
	s_clause 0x1
	s_load_b96 s[4:6], s[0:1], 0x1c
	s_load_b96 s[8:10], s[0:1], 0xdc
	s_wait_kmcnt 0x0
	v_mul_hi_u32 v8, s5, v6
	s_delay_alu instid0(VALU_DEP_1) | instskip(NEXT) | instid1(VALU_DEP_1)
	v_add_nc_u32_e32 v8, v6, v8
	v_lshrrev_b32_e32 v8, s6, v8
	s_delay_alu instid0(VALU_DEP_1) | instskip(NEXT) | instid1(VALU_DEP_1)
	v_mul_lo_u32 v8, v8, s4
	v_sub_nc_u32_e32 v6, v6, v8
	s_delay_alu instid0(VALU_DEP_1)
	v_mad_u32 v4, v6, s8, v4
	v_mad_u32 v17, v6, s9, v17
	;; [unrolled: 1-line block ×3, first 2 shown]
	s_and_not1_b32 vcc_lo, exec_lo, s2
	s_cbranch_vccz .LBB293_421
	s_branch .LBB293_424
.LBB293_419:
	s_mov_b32 s2, -1
                                        ; implicit-def: $vgpr16
                                        ; implicit-def: $vgpr17
                                        ; implicit-def: $vgpr4
.LBB293_420:
	s_delay_alu instid0(SALU_CYCLE_1)
	s_and_not1_b32 vcc_lo, exec_lo, s2
	s_cbranch_vccnz .LBB293_424
.LBB293_421:
	s_clause 0x1
	s_load_b96 s[0:2], s[16:17], 0x4
	s_load_b96 s[4:6], s[16:17], 0xc4
	s_cmp_lt_u32 s26, 2
	s_wait_kmcnt 0x0
	v_mul_hi_u32 v4, s1, v5
	s_delay_alu instid0(VALU_DEP_1) | instskip(NEXT) | instid1(VALU_DEP_1)
	v_add_nc_u32_e32 v4, v5, v4
	v_lshrrev_b32_e32 v6, s2, v4
	s_delay_alu instid0(VALU_DEP_1) | instskip(NEXT) | instid1(VALU_DEP_1)
	v_mul_lo_u32 v4, v6, s0
	v_sub_nc_u32_e32 v5, v5, v4
	s_delay_alu instid0(VALU_DEP_1)
	v_mul_lo_u32 v4, v5, s4
	v_mul_lo_u32 v16, v5, s6
	;; [unrolled: 1-line block ×3, first 2 shown]
	s_cbranch_scc1 .LBB293_424
; %bb.422:
	s_clause 0x1
	s_load_b96 s[0:2], s[16:17], 0x10
	s_load_b96 s[4:6], s[16:17], 0xd0
	s_wait_kmcnt 0x0
	v_mul_hi_u32 v5, s1, v6
	s_delay_alu instid0(VALU_DEP_1) | instskip(NEXT) | instid1(VALU_DEP_1)
	v_add_nc_u32_e32 v5, v6, v5
	v_lshrrev_b32_e32 v5, s2, v5
	s_delay_alu instid0(VALU_DEP_1) | instskip(NEXT) | instid1(VALU_DEP_1)
	v_mul_lo_u32 v5, v5, s0
	v_sub_nc_u32_e32 v5, v6, v5
	s_delay_alu instid0(VALU_DEP_1)
	v_mad_u32 v4, v5, s4, v4
	v_mad_u32 v17, v5, s5, v17
	;; [unrolled: 1-line block ×3, first 2 shown]
	s_branch .LBB293_424
.LBB293_423:
	v_dual_mov_b32 v16, 0 :: v_dual_mov_b32 v17, 0
	v_mov_b32_e32 v4, 0
	s_and_not1_b32 vcc_lo, exec_lo, s2
	s_cbranch_vccz .LBB293_421
.LBB293_424:
	v_cmp_ne_u32_e32 vcc_lo, 1, v7
	v_add_nc_u32_e32 v6, 0x200, v0
	s_cbranch_vccnz .LBB293_430
; %bb.425:
	s_cmp_lg_u32 s26, 0
	s_mov_b32 s2, 0
	s_cbranch_scc0 .LBB293_434
; %bb.426:
	s_min_u32 s3, s27, 15
	v_dual_mov_b32 v5, 0 :: v_dual_mov_b32 v8, v6
	v_dual_mov_b32 v15, 0 :: v_dual_mov_b32 v14, 0
	s_add_co_i32 s4, s3, 1
	s_mov_b64 s[0:1], 0xffffffffffffffe8
	s_and_b32 s4, s4, 30
	s_add_nc_u64 s[0:1], s[16:17], s[0:1]
.LBB293_427:                            ; =>This Inner Loop Header: Depth=1
	s_clause 0x1
	s_load_b128 s[8:11], s[0:1], 0x1c
	s_load_b64 s[6:7], s[0:1], 0x2c
	s_add_co_i32 s4, s4, -2
	s_delay_alu instid0(SALU_CYCLE_1) | instskip(SKIP_2) | instid1(VALU_DEP_1)
	s_cmp_lg_u32 s4, 0
	s_wait_kmcnt 0x0
	v_mul_hi_u32 v9, s9, v8
	v_add_nc_u32_e32 v9, v8, v9
	s_delay_alu instid0(VALU_DEP_1) | instskip(NEXT) | instid1(VALU_DEP_1)
	v_lshrrev_b32_e32 v9, s10, v9
	v_mul_hi_u32 v10, s6, v9
	v_mul_lo_u32 v11, v9, s8
	s_clause 0x1
	s_load_b128 s[12:15], s[0:1], 0xdc
	s_load_b64 s[8:9], s[0:1], 0xec
	s_wait_xcnt 0x0
	s_add_nc_u64 s[0:1], s[0:1], 24
	s_delay_alu instid0(VALU_DEP_1) | instskip(NEXT) | instid1(VALU_DEP_1)
	v_dual_add_nc_u32 v10, v9, v10 :: v_dual_sub_nc_u32 v11, v8, v11
	v_lshrrev_b32_e32 v8, s7, v10
	s_wait_kmcnt 0x0
	s_delay_alu instid0(VALU_DEP_2) | instskip(NEXT) | instid1(VALU_DEP_2)
	v_mad_u32 v5, v11, s12, v5
	v_mul_lo_u32 v10, v8, s11
	v_mad_u32 v12, v11, s14, v14
	v_mad_u32 v11, v11, s13, v15
	s_delay_alu instid0(VALU_DEP_3) | instskip(NEXT) | instid1(VALU_DEP_1)
	v_sub_nc_u32_e32 v9, v9, v10
	v_mad_u32 v5, v9, s15, v5
	s_delay_alu instid0(VALU_DEP_4) | instskip(NEXT) | instid1(VALU_DEP_4)
	v_mad_u32 v14, v9, s9, v12
	v_mad_u32 v15, v9, s8, v11
	s_cbranch_scc1 .LBB293_427
; %bb.428:
	s_bitcmp1_b32 s3, 0
	s_cselect_b32 s3, -1, 0
	s_delay_alu instid0(SALU_CYCLE_1)
	s_and_b32 vcc_lo, exec_lo, s3
	s_cbranch_vccnz .LBB293_431
; %bb.429:
	s_clause 0x1
	s_load_b96 s[4:6], s[0:1], 0x1c
	s_load_b96 s[8:10], s[0:1], 0xdc
	s_wait_kmcnt 0x0
	v_mul_hi_u32 v9, s5, v8
	s_delay_alu instid0(VALU_DEP_1) | instskip(NEXT) | instid1(VALU_DEP_1)
	v_add_nc_u32_e32 v9, v8, v9
	v_lshrrev_b32_e32 v9, s6, v9
	s_delay_alu instid0(VALU_DEP_1) | instskip(NEXT) | instid1(VALU_DEP_1)
	v_mul_lo_u32 v9, v9, s4
	v_sub_nc_u32_e32 v8, v8, v9
	s_delay_alu instid0(VALU_DEP_1)
	v_mad_u32 v5, v8, s8, v5
	v_mad_u32 v15, v8, s9, v15
	;; [unrolled: 1-line block ×3, first 2 shown]
	s_and_not1_b32 vcc_lo, exec_lo, s2
	s_cbranch_vccz .LBB293_432
	s_branch .LBB293_435
.LBB293_430:
	s_mov_b32 s2, -1
                                        ; implicit-def: $vgpr14
                                        ; implicit-def: $vgpr15
                                        ; implicit-def: $vgpr5
.LBB293_431:
	s_delay_alu instid0(SALU_CYCLE_1)
	s_and_not1_b32 vcc_lo, exec_lo, s2
	s_cbranch_vccnz .LBB293_435
.LBB293_432:
	s_clause 0x1
	s_load_b96 s[0:2], s[16:17], 0x4
	s_load_b96 s[4:6], s[16:17], 0xc4
	s_cmp_lt_u32 s26, 2
	s_wait_kmcnt 0x0
	v_mul_hi_u32 v5, s1, v6
	s_delay_alu instid0(VALU_DEP_1) | instskip(NEXT) | instid1(VALU_DEP_1)
	v_add_nc_u32_e32 v5, v6, v5
	v_lshrrev_b32_e32 v8, s2, v5
	s_delay_alu instid0(VALU_DEP_1) | instskip(NEXT) | instid1(VALU_DEP_1)
	v_mul_lo_u32 v5, v8, s0
	v_sub_nc_u32_e32 v6, v6, v5
	s_delay_alu instid0(VALU_DEP_1)
	v_mul_lo_u32 v5, v6, s4
	v_mul_lo_u32 v14, v6, s6
	;; [unrolled: 1-line block ×3, first 2 shown]
	s_cbranch_scc1 .LBB293_435
; %bb.433:
	s_clause 0x1
	s_load_b96 s[0:2], s[16:17], 0x10
	s_load_b96 s[4:6], s[16:17], 0xd0
	s_wait_kmcnt 0x0
	v_mul_hi_u32 v6, s1, v8
	s_delay_alu instid0(VALU_DEP_1) | instskip(NEXT) | instid1(VALU_DEP_1)
	v_add_nc_u32_e32 v6, v8, v6
	v_lshrrev_b32_e32 v6, s2, v6
	s_delay_alu instid0(VALU_DEP_1) | instskip(NEXT) | instid1(VALU_DEP_1)
	v_mul_lo_u32 v6, v6, s0
	v_sub_nc_u32_e32 v6, v8, v6
	s_delay_alu instid0(VALU_DEP_1)
	v_mad_u32 v5, v6, s4, v5
	v_mad_u32 v15, v6, s5, v15
	v_mad_u32 v14, v6, s6, v14
	s_branch .LBB293_435
.LBB293_434:
	v_dual_mov_b32 v14, 0 :: v_dual_mov_b32 v15, 0
	v_mov_b32_e32 v5, 0
	s_and_not1_b32 vcc_lo, exec_lo, s2
	s_cbranch_vccz .LBB293_432
.LBB293_435:
	v_cmp_ne_u32_e32 vcc_lo, 1, v7
	v_add_nc_u32_e32 v8, 0x280, v0
	s_cbranch_vccnz .LBB293_441
; %bb.436:
	s_cmp_lg_u32 s26, 0
	s_mov_b32 s2, 0
	s_cbranch_scc0 .LBB293_445
; %bb.437:
	s_min_u32 s3, s27, 15
	v_dual_mov_b32 v6, 0 :: v_dual_mov_b32 v9, v8
	v_dual_mov_b32 v13, 0 :: v_dual_mov_b32 v12, 0
	s_add_co_i32 s4, s3, 1
	s_mov_b64 s[0:1], 0xffffffffffffffe8
	s_and_b32 s4, s4, 30
	s_add_nc_u64 s[0:1], s[16:17], s[0:1]
.LBB293_438:                            ; =>This Inner Loop Header: Depth=1
	s_clause 0x1
	s_load_b128 s[8:11], s[0:1], 0x1c
	s_load_b64 s[6:7], s[0:1], 0x2c
	s_add_co_i32 s4, s4, -2
	s_delay_alu instid0(SALU_CYCLE_1) | instskip(SKIP_2) | instid1(VALU_DEP_1)
	s_cmp_lg_u32 s4, 0
	s_wait_kmcnt 0x0
	v_mul_hi_u32 v10, s9, v9
	v_add_nc_u32_e32 v10, v9, v10
	s_delay_alu instid0(VALU_DEP_1) | instskip(NEXT) | instid1(VALU_DEP_1)
	v_lshrrev_b32_e32 v10, s10, v10
	v_mul_hi_u32 v11, s6, v10
	v_mul_lo_u32 v25, v10, s8
	s_clause 0x1
	s_load_b128 s[12:15], s[0:1], 0xdc
	s_load_b64 s[8:9], s[0:1], 0xec
	s_wait_xcnt 0x0
	s_add_nc_u64 s[0:1], s[0:1], 24
	s_delay_alu instid0(VALU_DEP_1) | instskip(NEXT) | instid1(VALU_DEP_1)
	v_dual_add_nc_u32 v11, v10, v11 :: v_dual_sub_nc_u32 v25, v9, v25
	v_lshrrev_b32_e32 v9, s7, v11
	s_wait_kmcnt 0x0
	s_delay_alu instid0(VALU_DEP_2) | instskip(NEXT) | instid1(VALU_DEP_2)
	v_mad_u32 v6, v25, s12, v6
	v_mul_lo_u32 v11, v9, s11
	v_mad_u32 v12, v25, s14, v12
	v_mad_u32 v13, v25, s13, v13
	s_delay_alu instid0(VALU_DEP_3) | instskip(NEXT) | instid1(VALU_DEP_1)
	v_sub_nc_u32_e32 v10, v10, v11
	v_mad_u32 v6, v10, s15, v6
	s_delay_alu instid0(VALU_DEP_4) | instskip(NEXT) | instid1(VALU_DEP_4)
	v_mad_u32 v12, v10, s9, v12
	v_mad_u32 v13, v10, s8, v13
	s_cbranch_scc1 .LBB293_438
; %bb.439:
	s_bitcmp1_b32 s3, 0
	s_cselect_b32 s3, -1, 0
	s_delay_alu instid0(SALU_CYCLE_1)
	s_and_b32 vcc_lo, exec_lo, s3
	s_cbranch_vccnz .LBB293_442
; %bb.440:
	s_clause 0x1
	s_load_b96 s[4:6], s[0:1], 0x1c
	s_load_b96 s[8:10], s[0:1], 0xdc
	s_wait_kmcnt 0x0
	v_mul_hi_u32 v10, s5, v9
	s_delay_alu instid0(VALU_DEP_1) | instskip(NEXT) | instid1(VALU_DEP_1)
	v_add_nc_u32_e32 v10, v9, v10
	v_lshrrev_b32_e32 v10, s6, v10
	s_delay_alu instid0(VALU_DEP_1) | instskip(NEXT) | instid1(VALU_DEP_1)
	v_mul_lo_u32 v10, v10, s4
	v_sub_nc_u32_e32 v9, v9, v10
	s_delay_alu instid0(VALU_DEP_1)
	v_mad_u32 v6, v9, s8, v6
	v_mad_u32 v13, v9, s9, v13
	;; [unrolled: 1-line block ×3, first 2 shown]
	s_and_not1_b32 vcc_lo, exec_lo, s2
	s_cbranch_vccz .LBB293_443
	s_branch .LBB293_446
.LBB293_441:
	s_mov_b32 s2, -1
                                        ; implicit-def: $vgpr12
                                        ; implicit-def: $vgpr13
                                        ; implicit-def: $vgpr6
.LBB293_442:
	s_delay_alu instid0(SALU_CYCLE_1)
	s_and_not1_b32 vcc_lo, exec_lo, s2
	s_cbranch_vccnz .LBB293_446
.LBB293_443:
	s_clause 0x1
	s_load_b96 s[0:2], s[16:17], 0x4
	s_load_b96 s[4:6], s[16:17], 0xc4
	s_cmp_lt_u32 s26, 2
	s_wait_kmcnt 0x0
	v_mul_hi_u32 v6, s1, v8
	s_delay_alu instid0(VALU_DEP_1) | instskip(NEXT) | instid1(VALU_DEP_1)
	v_add_nc_u32_e32 v6, v8, v6
	v_lshrrev_b32_e32 v9, s2, v6
	s_delay_alu instid0(VALU_DEP_1) | instskip(NEXT) | instid1(VALU_DEP_1)
	v_mul_lo_u32 v6, v9, s0
	v_sub_nc_u32_e32 v8, v8, v6
	s_delay_alu instid0(VALU_DEP_1)
	v_mul_lo_u32 v6, v8, s4
	v_mul_lo_u32 v12, v8, s6
	v_mul_lo_u32 v13, v8, s5
	s_cbranch_scc1 .LBB293_446
; %bb.444:
	s_clause 0x1
	s_load_b96 s[0:2], s[16:17], 0x10
	s_load_b96 s[4:6], s[16:17], 0xd0
	s_wait_kmcnt 0x0
	v_mul_hi_u32 v8, s1, v9
	s_delay_alu instid0(VALU_DEP_1) | instskip(NEXT) | instid1(VALU_DEP_1)
	v_add_nc_u32_e32 v8, v9, v8
	v_lshrrev_b32_e32 v8, s2, v8
	s_delay_alu instid0(VALU_DEP_1) | instskip(NEXT) | instid1(VALU_DEP_1)
	v_mul_lo_u32 v8, v8, s0
	v_sub_nc_u32_e32 v8, v9, v8
	s_delay_alu instid0(VALU_DEP_1)
	v_mad_u32 v6, v8, s4, v6
	v_mad_u32 v13, v8, s5, v13
	;; [unrolled: 1-line block ×3, first 2 shown]
	s_branch .LBB293_446
.LBB293_445:
	v_dual_mov_b32 v12, 0 :: v_dual_mov_b32 v13, 0
	v_mov_b32_e32 v6, 0
	s_and_not1_b32 vcc_lo, exec_lo, s2
	s_cbranch_vccz .LBB293_443
.LBB293_446:
	v_cmp_ne_u32_e32 vcc_lo, 1, v7
	v_add_nc_u32_e32 v8, 0x300, v0
	s_cbranch_vccnz .LBB293_452
; %bb.447:
	s_cmp_lg_u32 s26, 0
	s_mov_b32 s2, 0
	s_cbranch_scc0 .LBB293_456
; %bb.448:
	s_min_u32 s3, s27, 15
	v_dual_mov_b32 v0, 0 :: v_dual_mov_b32 v9, v8
	v_dual_mov_b32 v11, 0 :: v_dual_mov_b32 v10, 0
	s_add_co_i32 s4, s3, 1
	s_mov_b64 s[0:1], 0xffffffffffffffe8
	s_and_b32 s4, s4, 30
	s_add_nc_u64 s[0:1], s[16:17], s[0:1]
.LBB293_449:                            ; =>This Inner Loop Header: Depth=1
	s_clause 0x1
	s_load_b128 s[8:11], s[0:1], 0x1c
	s_load_b64 s[6:7], s[0:1], 0x2c
	s_add_co_i32 s4, s4, -2
	s_delay_alu instid0(SALU_CYCLE_1) | instskip(SKIP_2) | instid1(VALU_DEP_1)
	s_cmp_lg_u32 s4, 0
	s_wait_kmcnt 0x0
	v_mul_hi_u32 v25, s9, v9
	v_add_nc_u32_e32 v25, v9, v25
	s_delay_alu instid0(VALU_DEP_1) | instskip(NEXT) | instid1(VALU_DEP_1)
	v_lshrrev_b32_e32 v25, s10, v25
	v_mul_hi_u32 v26, s6, v25
	v_mul_lo_u32 v27, v25, s8
	s_clause 0x1
	s_load_b128 s[12:15], s[0:1], 0xdc
	s_load_b64 s[8:9], s[0:1], 0xec
	s_wait_xcnt 0x0
	s_add_nc_u64 s[0:1], s[0:1], 24
	s_delay_alu instid0(VALU_DEP_2) | instskip(NEXT) | instid1(VALU_DEP_1)
	v_add_nc_u32_e32 v26, v25, v26
	v_dual_sub_nc_u32 v27, v9, v27 :: v_dual_lshrrev_b32 v9, s7, v26
	s_wait_kmcnt 0x0
	s_delay_alu instid0(VALU_DEP_1) | instskip(NEXT) | instid1(VALU_DEP_2)
	v_mad_u32 v0, v27, s12, v0
	v_mul_lo_u32 v26, v9, s11
	v_mad_u32 v10, v27, s14, v10
	v_mad_u32 v11, v27, s13, v11
	s_delay_alu instid0(VALU_DEP_3) | instskip(NEXT) | instid1(VALU_DEP_1)
	v_sub_nc_u32_e32 v25, v25, v26
	v_mad_u32 v0, v25, s15, v0
	s_delay_alu instid0(VALU_DEP_4) | instskip(NEXT) | instid1(VALU_DEP_4)
	v_mad_u32 v10, v25, s9, v10
	v_mad_u32 v11, v25, s8, v11
	s_cbranch_scc1 .LBB293_449
; %bb.450:
	s_bitcmp1_b32 s3, 0
	s_cselect_b32 s3, -1, 0
	s_delay_alu instid0(SALU_CYCLE_1)
	s_and_b32 vcc_lo, exec_lo, s3
	s_cbranch_vccnz .LBB293_453
; %bb.451:
	s_clause 0x1
	s_load_b96 s[4:6], s[0:1], 0x1c
	s_load_b96 s[8:10], s[0:1], 0xdc
	s_wait_kmcnt 0x0
	v_mul_hi_u32 v25, s5, v9
	s_delay_alu instid0(VALU_DEP_1) | instskip(NEXT) | instid1(VALU_DEP_1)
	v_add_nc_u32_e32 v25, v9, v25
	v_lshrrev_b32_e32 v25, s6, v25
	s_delay_alu instid0(VALU_DEP_1) | instskip(NEXT) | instid1(VALU_DEP_1)
	v_mul_lo_u32 v25, v25, s4
	v_sub_nc_u32_e32 v9, v9, v25
	s_delay_alu instid0(VALU_DEP_1)
	v_mad_u32 v0, v9, s8, v0
	v_mad_u32 v11, v9, s9, v11
	;; [unrolled: 1-line block ×3, first 2 shown]
	s_and_not1_b32 vcc_lo, exec_lo, s2
	s_cbranch_vccz .LBB293_454
	s_branch .LBB293_457
.LBB293_452:
	s_mov_b32 s2, -1
                                        ; implicit-def: $vgpr10
                                        ; implicit-def: $vgpr11
                                        ; implicit-def: $vgpr0
.LBB293_453:
	s_delay_alu instid0(SALU_CYCLE_1)
	s_and_not1_b32 vcc_lo, exec_lo, s2
	s_cbranch_vccnz .LBB293_457
.LBB293_454:
	s_clause 0x1
	s_load_b96 s[0:2], s[16:17], 0x4
	s_load_b96 s[4:6], s[16:17], 0xc4
	s_cmp_lt_u32 s26, 2
	s_wait_kmcnt 0x0
	v_mul_hi_u32 v0, s1, v8
	s_delay_alu instid0(VALU_DEP_1) | instskip(NEXT) | instid1(VALU_DEP_1)
	v_add_nc_u32_e32 v0, v8, v0
	v_lshrrev_b32_e32 v9, s2, v0
	s_delay_alu instid0(VALU_DEP_1) | instskip(NEXT) | instid1(VALU_DEP_1)
	v_mul_lo_u32 v0, v9, s0
	v_sub_nc_u32_e32 v8, v8, v0
	s_delay_alu instid0(VALU_DEP_1)
	v_mul_lo_u32 v0, v8, s4
	v_mul_lo_u32 v10, v8, s6
	;; [unrolled: 1-line block ×3, first 2 shown]
	s_cbranch_scc1 .LBB293_457
; %bb.455:
	s_clause 0x1
	s_load_b96 s[0:2], s[16:17], 0x10
	s_load_b96 s[4:6], s[16:17], 0xd0
	s_wait_kmcnt 0x0
	v_mul_hi_u32 v8, s1, v9
	s_delay_alu instid0(VALU_DEP_1) | instskip(NEXT) | instid1(VALU_DEP_1)
	v_add_nc_u32_e32 v8, v9, v8
	v_lshrrev_b32_e32 v8, s2, v8
	s_delay_alu instid0(VALU_DEP_1) | instskip(NEXT) | instid1(VALU_DEP_1)
	v_mul_lo_u32 v8, v8, s0
	v_sub_nc_u32_e32 v8, v9, v8
	s_delay_alu instid0(VALU_DEP_1)
	v_mad_u32 v0, v8, s4, v0
	v_mad_u32 v11, v8, s5, v11
	;; [unrolled: 1-line block ×3, first 2 shown]
	s_branch .LBB293_457
.LBB293_456:
	v_dual_mov_b32 v10, 0 :: v_dual_mov_b32 v11, 0
	v_mov_b32_e32 v0, 0
	s_and_not1_b32 vcc_lo, exec_lo, s2
	s_cbranch_vccz .LBB293_454
.LBB293_457:
	v_cmp_ne_u32_e32 vcc_lo, 1, v7
	s_cbranch_vccnz .LBB293_463
; %bb.458:
	s_cmp_lg_u32 s26, 0
	s_mov_b32 s2, 0
	s_cbranch_scc0 .LBB293_467
; %bb.459:
	s_min_u32 s3, s27, 15
	v_dual_mov_b32 v7, 0 :: v_dual_mov_b32 v25, v22
	v_dual_mov_b32 v9, 0 :: v_dual_mov_b32 v8, 0
	s_add_co_i32 s4, s3, 1
	s_mov_b64 s[0:1], 0xffffffffffffffe8
	s_and_b32 s4, s4, 30
	s_add_nc_u64 s[0:1], s[16:17], s[0:1]
.LBB293_460:                            ; =>This Inner Loop Header: Depth=1
	s_clause 0x1
	s_load_b128 s[8:11], s[0:1], 0x1c
	s_load_b64 s[6:7], s[0:1], 0x2c
	s_add_co_i32 s4, s4, -2
	s_delay_alu instid0(SALU_CYCLE_1) | instskip(SKIP_2) | instid1(VALU_DEP_1)
	s_cmp_lg_u32 s4, 0
	s_wait_kmcnt 0x0
	v_mul_hi_u32 v26, s9, v25
	v_add_nc_u32_e32 v26, v25, v26
	s_delay_alu instid0(VALU_DEP_1) | instskip(NEXT) | instid1(VALU_DEP_1)
	v_lshrrev_b32_e32 v26, s10, v26
	v_mul_hi_u32 v27, s6, v26
	v_mul_lo_u32 v28, v26, s8
	s_clause 0x1
	s_load_b128 s[12:15], s[0:1], 0xdc
	s_load_b64 s[8:9], s[0:1], 0xec
	s_wait_xcnt 0x0
	s_add_nc_u64 s[0:1], s[0:1], 24
	s_delay_alu instid0(VALU_DEP_1) | instskip(NEXT) | instid1(VALU_DEP_1)
	v_dual_add_nc_u32 v27, v26, v27 :: v_dual_sub_nc_u32 v28, v25, v28
	v_lshrrev_b32_e32 v25, s7, v27
	s_wait_kmcnt 0x0
	s_delay_alu instid0(VALU_DEP_2) | instskip(NEXT) | instid1(VALU_DEP_2)
	v_mad_u32 v7, v28, s12, v7
	v_mul_lo_u32 v27, v25, s11
	v_mad_u32 v8, v28, s14, v8
	v_mad_u32 v9, v28, s13, v9
	s_delay_alu instid0(VALU_DEP_3) | instskip(NEXT) | instid1(VALU_DEP_1)
	v_sub_nc_u32_e32 v26, v26, v27
	v_mad_u32 v7, v26, s15, v7
	s_delay_alu instid0(VALU_DEP_4) | instskip(NEXT) | instid1(VALU_DEP_4)
	v_mad_u32 v8, v26, s9, v8
	v_mad_u32 v9, v26, s8, v9
	s_cbranch_scc1 .LBB293_460
; %bb.461:
	s_bitcmp1_b32 s3, 0
	s_cselect_b32 s3, -1, 0
	s_delay_alu instid0(SALU_CYCLE_1)
	s_and_b32 vcc_lo, exec_lo, s3
	s_cbranch_vccnz .LBB293_464
; %bb.462:
	s_clause 0x1
	s_load_b96 s[4:6], s[0:1], 0x1c
	s_load_b96 s[8:10], s[0:1], 0xdc
	s_wait_kmcnt 0x0
	v_mul_hi_u32 v26, s5, v25
	s_delay_alu instid0(VALU_DEP_1) | instskip(NEXT) | instid1(VALU_DEP_1)
	v_add_nc_u32_e32 v26, v25, v26
	v_lshrrev_b32_e32 v26, s6, v26
	s_delay_alu instid0(VALU_DEP_1) | instskip(NEXT) | instid1(VALU_DEP_1)
	v_mul_lo_u32 v26, v26, s4
	v_sub_nc_u32_e32 v25, v25, v26
	s_delay_alu instid0(VALU_DEP_1)
	v_mad_u32 v7, v25, s8, v7
	v_mad_u32 v9, v25, s9, v9
	;; [unrolled: 1-line block ×3, first 2 shown]
	s_and_not1_b32 vcc_lo, exec_lo, s2
	s_cbranch_vccz .LBB293_465
	s_branch .LBB293_468
.LBB293_463:
	s_mov_b32 s2, -1
                                        ; implicit-def: $vgpr8
                                        ; implicit-def: $vgpr9
                                        ; implicit-def: $vgpr7
.LBB293_464:
	s_delay_alu instid0(SALU_CYCLE_1)
	s_and_not1_b32 vcc_lo, exec_lo, s2
	s_cbranch_vccnz .LBB293_468
.LBB293_465:
	s_clause 0x1
	s_load_b96 s[0:2], s[16:17], 0x4
	s_load_b96 s[4:6], s[16:17], 0xc4
	s_cmp_lt_u32 s26, 2
	s_wait_kmcnt 0x0
	v_mul_hi_u32 v7, s1, v22
	s_delay_alu instid0(VALU_DEP_1) | instskip(NEXT) | instid1(VALU_DEP_1)
	v_add_nc_u32_e32 v7, v22, v7
	v_lshrrev_b32_e32 v25, s2, v7
	s_delay_alu instid0(VALU_DEP_1) | instskip(NEXT) | instid1(VALU_DEP_1)
	v_mul_lo_u32 v7, v25, s0
	v_sub_nc_u32_e32 v9, v22, v7
	s_delay_alu instid0(VALU_DEP_1)
	v_mul_lo_u32 v7, v9, s4
	v_mul_lo_u32 v8, v9, s6
	;; [unrolled: 1-line block ×3, first 2 shown]
	s_cbranch_scc1 .LBB293_468
; %bb.466:
	s_clause 0x1
	s_load_b96 s[0:2], s[16:17], 0x10
	s_load_b96 s[4:6], s[16:17], 0xd0
	s_wait_kmcnt 0x0
	v_mul_hi_u32 v22, s1, v25
	s_delay_alu instid0(VALU_DEP_1) | instskip(NEXT) | instid1(VALU_DEP_1)
	v_add_nc_u32_e32 v22, v25, v22
	v_lshrrev_b32_e32 v22, s2, v22
	s_delay_alu instid0(VALU_DEP_1) | instskip(NEXT) | instid1(VALU_DEP_1)
	v_mul_lo_u32 v22, v22, s0
	v_sub_nc_u32_e32 v22, v25, v22
	s_delay_alu instid0(VALU_DEP_1)
	v_mad_u32 v7, v22, s4, v7
	v_mad_u32 v9, v22, s5, v9
	;; [unrolled: 1-line block ×3, first 2 shown]
	s_branch .LBB293_468
.LBB293_467:
	v_dual_mov_b32 v8, 0 :: v_dual_mov_b32 v9, 0
	v_mov_b32_e32 v7, 0
	s_and_not1_b32 vcc_lo, exec_lo, s2
	s_cbranch_vccz .LBB293_465
.LBB293_468:
	s_clause 0x1
	s_load_b128 s[0:3], s[16:17], 0x188
	s_load_b96 s[4:6], s[16:17], 0x198
	s_wait_kmcnt 0x0
	global_load_u8 v25, v24, s[2:3]
	global_load_u8 v22, v23, s[4:5]
	s_cmp_lg_u32 s6, 0
	s_mov_b32 s6, 0
	s_cselect_b32 s7, -1, 0
	s_delay_alu instid0(SALU_CYCLE_1)
	s_and_b32 vcc_lo, exec_lo, s7
	s_wait_loadcnt 0x1
	s_wait_xcnt 0x0
	v_and_b32_e32 v23, 0xff, v25
	s_cbranch_vccz .LBB293_478
; %bb.469:
	s_mov_b32 s8, exec_lo
	s_delay_alu instid0(VALU_DEP_1)
	v_cmpx_lt_i16_e32 0x7f, v23
	s_xor_b32 s8, exec_lo, s8
	s_cbranch_execnz .LBB293_629
; %bb.470:
	s_or_saveexec_b32 s8, s8
	v_mov_b32_e32 v24, 0x7f800001
	s_xor_b32 exec_lo, exec_lo, s8
	s_cbranch_execnz .LBB293_632
.LBB293_471:
	s_or_b32 exec_lo, exec_lo, s8
	s_and_saveexec_b32 s8, s6
	s_cbranch_execz .LBB293_473
.LBB293_472:
	v_and_b32_e32 v24, 7, v25
	v_lshrrev_b16 v27, 3, v25
	v_lshlrev_b32_e32 v29, 24, v25
	s_delay_alu instid0(VALU_DEP_3) | instskip(NEXT) | instid1(VALU_DEP_1)
	v_clz_i32_u32_e32 v26, v24
	v_min_u32_e32 v26, 32, v26
	s_delay_alu instid0(VALU_DEP_4) | instskip(NEXT) | instid1(VALU_DEP_2)
	v_and_b32_e32 v27, 15, v27
	v_subrev_nc_u32_e32 v28, 28, v26
	v_sub_nc_u32_e32 v26, 29, v26
	s_delay_alu instid0(VALU_DEP_3) | instskip(NEXT) | instid1(VALU_DEP_3)
	v_cmp_eq_u32_e32 vcc_lo, 0, v27
	v_lshlrev_b32_e32 v28, v28, v25
	s_delay_alu instid0(VALU_DEP_1) | instskip(SKIP_1) | instid1(VALU_DEP_2)
	v_dual_cndmask_b32 v26, v27, v26, vcc_lo :: v_dual_bitop2_b32 v28, 7, v28 bitop3:0x40
	v_and_b32_e32 v27, 0x80000000, v29
	v_cndmask_b32_e32 v24, v24, v28, vcc_lo
	s_delay_alu instid0(VALU_DEP_3) | instskip(NEXT) | instid1(VALU_DEP_2)
	v_lshl_add_u32 v26, v26, 23, 0x3b800000
	v_lshlrev_b32_e32 v24, 20, v24
	s_delay_alu instid0(VALU_DEP_1)
	v_or3_b32 v24, v27, v26, v24
.LBB293_473:
	s_or_b32 exec_lo, exec_lo, s8
	s_wait_loadcnt 0x0
	v_and_b32_e32 v27, 0xff, v22
	s_mov_b32 s6, 0
	s_mov_b32 s8, exec_lo
	s_delay_alu instid0(VALU_DEP_1)
	v_cmpx_lt_i16_e32 0x7f, v27
	s_xor_b32 s8, exec_lo, s8
	s_cbranch_execnz .LBB293_633
; %bb.474:
	s_or_saveexec_b32 s8, s8
	v_mov_b32_e32 v26, 0x7f800001
	s_xor_b32 exec_lo, exec_lo, s8
	s_cbranch_execnz .LBB293_636
.LBB293_475:
	s_or_b32 exec_lo, exec_lo, s8
	s_and_saveexec_b32 s8, s6
	s_cbranch_execz .LBB293_477
.LBB293_476:
	v_and_b32_e32 v26, 7, v22
	v_lshrrev_b16 v28, 3, v22
	v_lshlrev_b32_e32 v30, 24, v22
	s_delay_alu instid0(VALU_DEP_3) | instskip(NEXT) | instid1(VALU_DEP_1)
	v_clz_i32_u32_e32 v27, v26
	v_min_u32_e32 v27, 32, v27
	s_delay_alu instid0(VALU_DEP_4) | instskip(NEXT) | instid1(VALU_DEP_2)
	v_and_b32_e32 v28, 15, v28
	v_subrev_nc_u32_e32 v29, 28, v27
	v_sub_nc_u32_e32 v27, 29, v27
	s_delay_alu instid0(VALU_DEP_3) | instskip(NEXT) | instid1(VALU_DEP_3)
	v_cmp_eq_u32_e32 vcc_lo, 0, v28
	v_lshlrev_b32_e32 v29, v29, v22
	s_delay_alu instid0(VALU_DEP_1) | instskip(SKIP_1) | instid1(VALU_DEP_2)
	v_dual_cndmask_b32 v27, v28, v27, vcc_lo :: v_dual_bitop2_b32 v29, 7, v29 bitop3:0x40
	v_and_b32_e32 v28, 0x80000000, v30
	v_cndmask_b32_e32 v26, v26, v29, vcc_lo
	s_delay_alu instid0(VALU_DEP_3) | instskip(NEXT) | instid1(VALU_DEP_2)
	v_lshl_add_u32 v27, v27, 23, 0x3b800000
	v_lshlrev_b32_e32 v26, 20, v26
	s_delay_alu instid0(VALU_DEP_1)
	v_or3_b32 v26, v28, v27, v26
.LBB293_477:
	s_or_b32 exec_lo, exec_lo, s8
	s_delay_alu instid0(VALU_DEP_1)
	v_cmp_neq_f32_e64 s6, v24, v26
	s_branch .LBB293_488
.LBB293_478:
                                        ; implicit-def: $sgpr6
	s_cbranch_execz .LBB293_488
; %bb.479:
	s_mov_b32 s6, 0
	s_mov_b32 s8, exec_lo
	v_cmpx_lt_i16_e32 0x7f, v23
	s_xor_b32 s8, exec_lo, s8
	s_cbranch_execnz .LBB293_693
; %bb.480:
	s_or_saveexec_b32 s8, s8
	v_mov_b32_e32 v24, 0x7f800001
	s_xor_b32 exec_lo, exec_lo, s8
	s_cbranch_execnz .LBB293_696
.LBB293_481:
	s_or_b32 exec_lo, exec_lo, s8
	s_and_saveexec_b32 s8, s6
	s_cbranch_execz .LBB293_483
.LBB293_482:
	v_and_b32_e32 v23, 7, v25
	v_lshrrev_b16 v26, 3, v25
	s_delay_alu instid0(VALU_DEP_2) | instskip(NEXT) | instid1(VALU_DEP_1)
	v_clz_i32_u32_e32 v24, v23
	v_min_u32_e32 v24, 32, v24
	s_delay_alu instid0(VALU_DEP_3) | instskip(NEXT) | instid1(VALU_DEP_2)
	v_and_b32_e32 v26, 15, v26
	v_subrev_nc_u32_e32 v27, 28, v24
	v_sub_nc_u32_e32 v24, 29, v24
	s_delay_alu instid0(VALU_DEP_3) | instskip(NEXT) | instid1(VALU_DEP_3)
	v_cmp_eq_u32_e32 vcc_lo, 0, v26
	v_dual_lshlrev_b32 v27, v27, v25 :: v_dual_lshlrev_b32 v25, 24, v25
	s_delay_alu instid0(VALU_DEP_1) | instskip(NEXT) | instid1(VALU_DEP_2)
	v_dual_cndmask_b32 v24, v26, v24, vcc_lo :: v_dual_bitop2_b32 v27, 7, v27 bitop3:0x40
	v_and_b32_e32 v25, 0x80000000, v25
	s_delay_alu instid0(VALU_DEP_2) | instskip(NEXT) | instid1(VALU_DEP_3)
	v_cndmask_b32_e32 v23, v23, v27, vcc_lo
	v_lshl_add_u32 v24, v24, 23, 0x3b800000
	s_delay_alu instid0(VALU_DEP_2) | instskip(NEXT) | instid1(VALU_DEP_1)
	v_lshlrev_b32_e32 v23, 20, v23
	v_or3_b32 v24, v25, v24, v23
.LBB293_483:
	s_or_b32 exec_lo, exec_lo, s8
	s_wait_loadcnt 0x0
	v_and_b32_e32 v25, 0xff, v22
	s_mov_b32 s6, 0
	s_mov_b32 s8, exec_lo
	s_delay_alu instid0(VALU_DEP_1)
	v_cmpx_lt_i16_e32 0x7f, v25
	s_xor_b32 s8, exec_lo, s8
	s_cbranch_execnz .LBB293_697
; %bb.484:
	s_or_saveexec_b32 s8, s8
	v_mov_b32_e32 v23, 0x7f800001
	s_xor_b32 exec_lo, exec_lo, s8
	s_cbranch_execnz .LBB293_700
.LBB293_485:
	s_or_b32 exec_lo, exec_lo, s8
	s_and_saveexec_b32 s8, s6
	s_cbranch_execz .LBB293_487
.LBB293_486:
	v_and_b32_e32 v23, 7, v22
	v_lshrrev_b16 v26, 3, v22
	s_delay_alu instid0(VALU_DEP_2) | instskip(NEXT) | instid1(VALU_DEP_1)
	v_clz_i32_u32_e32 v25, v23
	v_min_u32_e32 v25, 32, v25
	s_delay_alu instid0(VALU_DEP_3) | instskip(NEXT) | instid1(VALU_DEP_2)
	v_and_b32_e32 v26, 15, v26
	v_subrev_nc_u32_e32 v27, 28, v25
	v_sub_nc_u32_e32 v25, 29, v25
	s_delay_alu instid0(VALU_DEP_3) | instskip(NEXT) | instid1(VALU_DEP_3)
	v_cmp_eq_u32_e32 vcc_lo, 0, v26
	v_dual_lshlrev_b32 v27, v27, v22 :: v_dual_lshlrev_b32 v22, 24, v22
	s_delay_alu instid0(VALU_DEP_1) | instskip(NEXT) | instid1(VALU_DEP_2)
	v_dual_cndmask_b32 v25, v26, v25, vcc_lo :: v_dual_bitop2_b32 v27, 7, v27 bitop3:0x40
	v_and_b32_e32 v22, 0x80000000, v22
	s_delay_alu instid0(VALU_DEP_2) | instskip(NEXT) | instid1(VALU_DEP_3)
	v_cndmask_b32_e32 v23, v23, v27, vcc_lo
	v_lshl_add_u32 v25, v25, 23, 0x3b800000
	s_delay_alu instid0(VALU_DEP_2) | instskip(NEXT) | instid1(VALU_DEP_1)
	v_lshlrev_b32_e32 v23, 20, v23
	v_or3_b32 v23, v22, v25, v23
.LBB293_487:
	s_or_b32 exec_lo, exec_lo, s8
	s_delay_alu instid0(VALU_DEP_1)
	v_cmp_eq_f32_e64 s6, v24, v23
.LBB293_488:
	global_load_u8 v23, v21, s[2:3]
	s_wait_loadcnt 0x1
	global_load_u8 v22, v20, s[4:5]
	s_and_b32 vcc_lo, exec_lo, s7
	s_wait_loadcnt 0x1
	s_wait_xcnt 0x0
	v_and_b32_e32 v20, 0xff, v23
	s_cbranch_vccz .LBB293_498
; %bb.489:
	s_mov_b32 s8, 0
	s_mov_b32 s9, exec_lo
	s_delay_alu instid0(VALU_DEP_1)
	v_cmpx_lt_i16_e32 0x7f, v20
	s_xor_b32 s9, exec_lo, s9
	s_cbranch_execnz .LBB293_637
; %bb.490:
	s_or_saveexec_b32 s9, s9
	v_mov_b32_e32 v21, 0x7f800001
	s_xor_b32 exec_lo, exec_lo, s9
	s_cbranch_execnz .LBB293_640
.LBB293_491:
	s_or_b32 exec_lo, exec_lo, s9
	s_and_saveexec_b32 s9, s8
	s_cbranch_execz .LBB293_493
.LBB293_492:
	v_and_b32_e32 v21, 7, v23
	v_lshrrev_b16 v25, 3, v23
	v_lshlrev_b32_e32 v27, 24, v23
	s_delay_alu instid0(VALU_DEP_3) | instskip(NEXT) | instid1(VALU_DEP_1)
	v_clz_i32_u32_e32 v24, v21
	v_min_u32_e32 v24, 32, v24
	s_delay_alu instid0(VALU_DEP_4) | instskip(NEXT) | instid1(VALU_DEP_2)
	v_and_b32_e32 v25, 15, v25
	v_subrev_nc_u32_e32 v26, 28, v24
	v_sub_nc_u32_e32 v24, 29, v24
	s_delay_alu instid0(VALU_DEP_3) | instskip(NEXT) | instid1(VALU_DEP_3)
	v_cmp_eq_u32_e32 vcc_lo, 0, v25
	v_lshlrev_b32_e32 v26, v26, v23
	s_delay_alu instid0(VALU_DEP_1) | instskip(NEXT) | instid1(VALU_DEP_1)
	v_and_b32_e32 v26, 7, v26
	v_cndmask_b32_e32 v21, v21, v26, vcc_lo
	v_cndmask_b32_e32 v24, v25, v24, vcc_lo
	v_and_b32_e32 v25, 0x80000000, v27
	s_delay_alu instid0(VALU_DEP_3) | instskip(NEXT) | instid1(VALU_DEP_3)
	v_lshlrev_b32_e32 v21, 20, v21
	v_lshl_add_u32 v24, v24, 23, 0x3b800000
	s_delay_alu instid0(VALU_DEP_1)
	v_or3_b32 v21, v25, v24, v21
.LBB293_493:
	s_or_b32 exec_lo, exec_lo, s9
	s_wait_loadcnt 0x0
	v_and_b32_e32 v25, 0xff, v22
	s_mov_b32 s8, 0
	s_mov_b32 s9, exec_lo
	s_delay_alu instid0(VALU_DEP_1)
	v_cmpx_lt_i16_e32 0x7f, v25
	s_xor_b32 s9, exec_lo, s9
	s_cbranch_execnz .LBB293_641
; %bb.494:
	s_or_saveexec_b32 s9, s9
	v_mov_b32_e32 v24, 0x7f800001
	s_xor_b32 exec_lo, exec_lo, s9
	s_cbranch_execnz .LBB293_644
.LBB293_495:
	s_or_b32 exec_lo, exec_lo, s9
	s_and_saveexec_b32 s9, s8
	s_cbranch_execz .LBB293_497
.LBB293_496:
	v_and_b32_e32 v24, 7, v22
	v_lshrrev_b16 v26, 3, v22
	v_lshlrev_b32_e32 v28, 24, v22
	s_delay_alu instid0(VALU_DEP_3) | instskip(NEXT) | instid1(VALU_DEP_1)
	v_clz_i32_u32_e32 v25, v24
	v_min_u32_e32 v25, 32, v25
	s_delay_alu instid0(VALU_DEP_4) | instskip(NEXT) | instid1(VALU_DEP_2)
	v_and_b32_e32 v26, 15, v26
	v_subrev_nc_u32_e32 v27, 28, v25
	v_sub_nc_u32_e32 v25, 29, v25
	s_delay_alu instid0(VALU_DEP_3) | instskip(NEXT) | instid1(VALU_DEP_3)
	v_cmp_eq_u32_e32 vcc_lo, 0, v26
	v_lshlrev_b32_e32 v27, v27, v22
	s_delay_alu instid0(VALU_DEP_1) | instskip(SKIP_1) | instid1(VALU_DEP_2)
	v_dual_cndmask_b32 v25, v26, v25, vcc_lo :: v_dual_bitop2_b32 v27, 7, v27 bitop3:0x40
	v_and_b32_e32 v26, 0x80000000, v28
	v_cndmask_b32_e32 v24, v24, v27, vcc_lo
	s_delay_alu instid0(VALU_DEP_3) | instskip(NEXT) | instid1(VALU_DEP_2)
	v_lshl_add_u32 v25, v25, 23, 0x3b800000
	v_lshlrev_b32_e32 v24, 20, v24
	s_delay_alu instid0(VALU_DEP_1)
	v_or3_b32 v24, v26, v25, v24
.LBB293_497:
	s_or_b32 exec_lo, exec_lo, s9
	s_delay_alu instid0(VALU_DEP_1)
	v_cmp_neq_f32_e64 s8, v21, v24
	s_branch .LBB293_508
.LBB293_498:
                                        ; implicit-def: $sgpr8
	s_cbranch_execz .LBB293_508
; %bb.499:
	s_mov_b32 s8, 0
	s_mov_b32 s9, exec_lo
	v_cmpx_lt_i16_e32 0x7f, v20
	s_xor_b32 s9, exec_lo, s9
	s_cbranch_execnz .LBB293_701
; %bb.500:
	s_or_saveexec_b32 s9, s9
	v_mov_b32_e32 v21, 0x7f800001
	s_xor_b32 exec_lo, exec_lo, s9
	s_cbranch_execnz .LBB293_704
.LBB293_501:
	s_or_b32 exec_lo, exec_lo, s9
	s_and_saveexec_b32 s9, s8
	s_cbranch_execz .LBB293_503
.LBB293_502:
	v_and_b32_e32 v20, 7, v23
	v_lshrrev_b16 v24, 3, v23
	s_delay_alu instid0(VALU_DEP_2) | instskip(NEXT) | instid1(VALU_DEP_1)
	v_clz_i32_u32_e32 v21, v20
	v_min_u32_e32 v21, 32, v21
	s_delay_alu instid0(VALU_DEP_3) | instskip(NEXT) | instid1(VALU_DEP_2)
	v_and_b32_e32 v24, 15, v24
	v_subrev_nc_u32_e32 v25, 28, v21
	v_sub_nc_u32_e32 v21, 29, v21
	s_delay_alu instid0(VALU_DEP_3) | instskip(NEXT) | instid1(VALU_DEP_3)
	v_cmp_eq_u32_e32 vcc_lo, 0, v24
	v_dual_lshlrev_b32 v25, v25, v23 :: v_dual_lshlrev_b32 v23, 24, v23
	s_delay_alu instid0(VALU_DEP_1) | instskip(NEXT) | instid1(VALU_DEP_2)
	v_and_b32_e32 v25, 7, v25
	v_and_b32_e32 v23, 0x80000000, v23
	s_delay_alu instid0(VALU_DEP_2) | instskip(NEXT) | instid1(VALU_DEP_1)
	v_cndmask_b32_e32 v20, v20, v25, vcc_lo
	v_dual_cndmask_b32 v21, v24, v21 :: v_dual_lshlrev_b32 v20, 20, v20
	s_delay_alu instid0(VALU_DEP_1) | instskip(NEXT) | instid1(VALU_DEP_1)
	v_lshl_add_u32 v21, v21, 23, 0x3b800000
	v_or3_b32 v21, v23, v21, v20
.LBB293_503:
	s_or_b32 exec_lo, exec_lo, s9
	s_wait_loadcnt 0x0
	v_and_b32_e32 v23, 0xff, v22
	s_mov_b32 s8, 0
	s_mov_b32 s9, exec_lo
	s_delay_alu instid0(VALU_DEP_1)
	v_cmpx_lt_i16_e32 0x7f, v23
	s_xor_b32 s9, exec_lo, s9
	s_cbranch_execnz .LBB293_705
; %bb.504:
	s_or_saveexec_b32 s9, s9
	v_mov_b32_e32 v20, 0x7f800001
	s_xor_b32 exec_lo, exec_lo, s9
	s_cbranch_execnz .LBB293_708
.LBB293_505:
	s_or_b32 exec_lo, exec_lo, s9
	s_and_saveexec_b32 s9, s8
	s_cbranch_execz .LBB293_507
.LBB293_506:
	v_and_b32_e32 v20, 7, v22
	v_lshrrev_b16 v24, 3, v22
	s_delay_alu instid0(VALU_DEP_2) | instskip(NEXT) | instid1(VALU_DEP_1)
	v_clz_i32_u32_e32 v23, v20
	v_min_u32_e32 v23, 32, v23
	s_delay_alu instid0(VALU_DEP_3) | instskip(NEXT) | instid1(VALU_DEP_2)
	v_and_b32_e32 v24, 15, v24
	v_subrev_nc_u32_e32 v25, 28, v23
	v_sub_nc_u32_e32 v23, 29, v23
	s_delay_alu instid0(VALU_DEP_3) | instskip(NEXT) | instid1(VALU_DEP_3)
	v_cmp_eq_u32_e32 vcc_lo, 0, v24
	v_dual_lshlrev_b32 v25, v25, v22 :: v_dual_lshlrev_b32 v22, 24, v22
	s_delay_alu instid0(VALU_DEP_1) | instskip(NEXT) | instid1(VALU_DEP_2)
	v_and_b32_e32 v25, 7, v25
	v_and_b32_e32 v22, 0x80000000, v22
	s_delay_alu instid0(VALU_DEP_2) | instskip(NEXT) | instid1(VALU_DEP_1)
	v_cndmask_b32_e32 v20, v20, v25, vcc_lo
	v_dual_cndmask_b32 v23, v24, v23 :: v_dual_lshlrev_b32 v20, 20, v20
	s_delay_alu instid0(VALU_DEP_1) | instskip(NEXT) | instid1(VALU_DEP_1)
	v_lshl_add_u32 v23, v23, 23, 0x3b800000
	v_or3_b32 v20, v22, v23, v20
.LBB293_507:
	s_or_b32 exec_lo, exec_lo, s9
	s_delay_alu instid0(VALU_DEP_1)
	v_cmp_eq_f32_e64 s8, v21, v20
.LBB293_508:
	global_load_u8 v21, v19, s[2:3]
	global_load_u8 v20, v18, s[4:5]
	s_and_b32 vcc_lo, exec_lo, s7
	s_wait_loadcnt 0x1
	s_wait_xcnt 0x0
	v_and_b32_e32 v18, 0xff, v21
	s_cbranch_vccz .LBB293_518
; %bb.509:
	s_mov_b32 s9, 0
	s_mov_b32 s10, exec_lo
	s_delay_alu instid0(VALU_DEP_1)
	v_cmpx_lt_i16_e32 0x7f, v18
	s_xor_b32 s10, exec_lo, s10
	s_cbranch_execnz .LBB293_645
; %bb.510:
	s_or_saveexec_b32 s10, s10
	v_mov_b32_e32 v19, 0x7f800001
	s_xor_b32 exec_lo, exec_lo, s10
	s_cbranch_execnz .LBB293_648
.LBB293_511:
	s_or_b32 exec_lo, exec_lo, s10
	s_and_saveexec_b32 s10, s9
	s_cbranch_execz .LBB293_513
.LBB293_512:
	v_and_b32_e32 v19, 7, v21
	v_lshrrev_b16 v23, 3, v21
	v_lshlrev_b32_e32 v25, 24, v21
	s_delay_alu instid0(VALU_DEP_3) | instskip(NEXT) | instid1(VALU_DEP_1)
	v_clz_i32_u32_e32 v22, v19
	v_min_u32_e32 v22, 32, v22
	s_delay_alu instid0(VALU_DEP_4) | instskip(NEXT) | instid1(VALU_DEP_2)
	v_and_b32_e32 v23, 15, v23
	v_subrev_nc_u32_e32 v24, 28, v22
	v_sub_nc_u32_e32 v22, 29, v22
	s_delay_alu instid0(VALU_DEP_3) | instskip(NEXT) | instid1(VALU_DEP_3)
	v_cmp_eq_u32_e32 vcc_lo, 0, v23
	v_lshlrev_b32_e32 v24, v24, v21
	s_delay_alu instid0(VALU_DEP_1) | instskip(NEXT) | instid1(VALU_DEP_1)
	v_and_b32_e32 v24, 7, v24
	v_cndmask_b32_e32 v19, v19, v24, vcc_lo
	v_cndmask_b32_e32 v22, v23, v22, vcc_lo
	v_and_b32_e32 v23, 0x80000000, v25
	s_delay_alu instid0(VALU_DEP_3) | instskip(NEXT) | instid1(VALU_DEP_3)
	v_lshlrev_b32_e32 v19, 20, v19
	v_lshl_add_u32 v22, v22, 23, 0x3b800000
	s_delay_alu instid0(VALU_DEP_1)
	v_or3_b32 v19, v23, v22, v19
.LBB293_513:
	s_or_b32 exec_lo, exec_lo, s10
	s_wait_loadcnt 0x0
	v_and_b32_e32 v23, 0xff, v20
	s_mov_b32 s9, 0
	s_mov_b32 s10, exec_lo
	s_delay_alu instid0(VALU_DEP_1)
	v_cmpx_lt_i16_e32 0x7f, v23
	s_xor_b32 s10, exec_lo, s10
	s_cbranch_execnz .LBB293_649
; %bb.514:
	s_or_saveexec_b32 s10, s10
	v_mov_b32_e32 v22, 0x7f800001
	s_xor_b32 exec_lo, exec_lo, s10
	s_cbranch_execnz .LBB293_652
.LBB293_515:
	s_or_b32 exec_lo, exec_lo, s10
	s_and_saveexec_b32 s10, s9
	s_cbranch_execz .LBB293_517
.LBB293_516:
	v_and_b32_e32 v22, 7, v20
	v_lshrrev_b16 v24, 3, v20
	v_lshlrev_b32_e32 v26, 24, v20
	s_delay_alu instid0(VALU_DEP_3) | instskip(NEXT) | instid1(VALU_DEP_1)
	v_clz_i32_u32_e32 v23, v22
	v_min_u32_e32 v23, 32, v23
	s_delay_alu instid0(VALU_DEP_4) | instskip(NEXT) | instid1(VALU_DEP_2)
	v_and_b32_e32 v24, 15, v24
	v_subrev_nc_u32_e32 v25, 28, v23
	v_sub_nc_u32_e32 v23, 29, v23
	s_delay_alu instid0(VALU_DEP_3) | instskip(NEXT) | instid1(VALU_DEP_3)
	v_cmp_eq_u32_e32 vcc_lo, 0, v24
	v_lshlrev_b32_e32 v25, v25, v20
	s_delay_alu instid0(VALU_DEP_1) | instskip(SKIP_1) | instid1(VALU_DEP_2)
	v_dual_cndmask_b32 v23, v24, v23, vcc_lo :: v_dual_bitop2_b32 v25, 7, v25 bitop3:0x40
	v_and_b32_e32 v24, 0x80000000, v26
	v_cndmask_b32_e32 v22, v22, v25, vcc_lo
	s_delay_alu instid0(VALU_DEP_3) | instskip(NEXT) | instid1(VALU_DEP_2)
	v_lshl_add_u32 v23, v23, 23, 0x3b800000
	v_lshlrev_b32_e32 v22, 20, v22
	s_delay_alu instid0(VALU_DEP_1)
	v_or3_b32 v22, v24, v23, v22
.LBB293_517:
	s_or_b32 exec_lo, exec_lo, s10
	s_delay_alu instid0(VALU_DEP_1)
	v_cmp_neq_f32_e64 s9, v19, v22
	s_branch .LBB293_528
.LBB293_518:
                                        ; implicit-def: $sgpr9
	s_cbranch_execz .LBB293_528
; %bb.519:
	s_mov_b32 s9, 0
	s_mov_b32 s10, exec_lo
	v_cmpx_lt_i16_e32 0x7f, v18
	s_xor_b32 s10, exec_lo, s10
	s_cbranch_execnz .LBB293_709
; %bb.520:
	s_or_saveexec_b32 s10, s10
	v_mov_b32_e32 v19, 0x7f800001
	s_xor_b32 exec_lo, exec_lo, s10
	s_cbranch_execnz .LBB293_712
.LBB293_521:
	s_or_b32 exec_lo, exec_lo, s10
	s_and_saveexec_b32 s10, s9
	s_cbranch_execz .LBB293_523
.LBB293_522:
	v_and_b32_e32 v18, 7, v21
	v_lshrrev_b16 v22, 3, v21
	s_delay_alu instid0(VALU_DEP_2) | instskip(NEXT) | instid1(VALU_DEP_1)
	v_clz_i32_u32_e32 v19, v18
	v_min_u32_e32 v19, 32, v19
	s_delay_alu instid0(VALU_DEP_3) | instskip(NEXT) | instid1(VALU_DEP_2)
	v_and_b32_e32 v22, 15, v22
	v_subrev_nc_u32_e32 v23, 28, v19
	v_sub_nc_u32_e32 v19, 29, v19
	s_delay_alu instid0(VALU_DEP_3) | instskip(NEXT) | instid1(VALU_DEP_3)
	v_cmp_eq_u32_e32 vcc_lo, 0, v22
	v_dual_lshlrev_b32 v23, v23, v21 :: v_dual_lshlrev_b32 v21, 24, v21
	s_delay_alu instid0(VALU_DEP_1) | instskip(NEXT) | instid1(VALU_DEP_2)
	v_and_b32_e32 v23, 7, v23
	v_and_b32_e32 v21, 0x80000000, v21
	s_delay_alu instid0(VALU_DEP_2) | instskip(NEXT) | instid1(VALU_DEP_1)
	v_cndmask_b32_e32 v18, v18, v23, vcc_lo
	v_dual_cndmask_b32 v19, v22, v19 :: v_dual_lshlrev_b32 v18, 20, v18
	s_delay_alu instid0(VALU_DEP_1) | instskip(NEXT) | instid1(VALU_DEP_1)
	v_lshl_add_u32 v19, v19, 23, 0x3b800000
	v_or3_b32 v19, v21, v19, v18
.LBB293_523:
	s_or_b32 exec_lo, exec_lo, s10
	s_wait_loadcnt 0x0
	v_and_b32_e32 v21, 0xff, v20
	s_mov_b32 s9, 0
	s_mov_b32 s10, exec_lo
	s_delay_alu instid0(VALU_DEP_1)
	v_cmpx_lt_i16_e32 0x7f, v21
	s_xor_b32 s10, exec_lo, s10
	s_cbranch_execnz .LBB293_713
; %bb.524:
	s_or_saveexec_b32 s10, s10
	v_mov_b32_e32 v18, 0x7f800001
	s_xor_b32 exec_lo, exec_lo, s10
	s_cbranch_execnz .LBB293_716
.LBB293_525:
	s_or_b32 exec_lo, exec_lo, s10
	s_and_saveexec_b32 s10, s9
	s_cbranch_execz .LBB293_527
.LBB293_526:
	v_and_b32_e32 v18, 7, v20
	v_lshrrev_b16 v22, 3, v20
	s_delay_alu instid0(VALU_DEP_2) | instskip(NEXT) | instid1(VALU_DEP_1)
	v_clz_i32_u32_e32 v21, v18
	v_min_u32_e32 v21, 32, v21
	s_delay_alu instid0(VALU_DEP_3) | instskip(NEXT) | instid1(VALU_DEP_2)
	v_and_b32_e32 v22, 15, v22
	v_subrev_nc_u32_e32 v23, 28, v21
	v_sub_nc_u32_e32 v21, 29, v21
	s_delay_alu instid0(VALU_DEP_3) | instskip(NEXT) | instid1(VALU_DEP_3)
	v_cmp_eq_u32_e32 vcc_lo, 0, v22
	v_dual_lshlrev_b32 v23, v23, v20 :: v_dual_lshlrev_b32 v20, 24, v20
	s_delay_alu instid0(VALU_DEP_1) | instskip(NEXT) | instid1(VALU_DEP_2)
	v_and_b32_e32 v23, 7, v23
	v_and_b32_e32 v20, 0x80000000, v20
	s_delay_alu instid0(VALU_DEP_2) | instskip(NEXT) | instid1(VALU_DEP_1)
	v_cndmask_b32_e32 v18, v18, v23, vcc_lo
	v_dual_cndmask_b32 v21, v22, v21 :: v_dual_lshlrev_b32 v18, 20, v18
	s_delay_alu instid0(VALU_DEP_1) | instskip(NEXT) | instid1(VALU_DEP_1)
	v_lshl_add_u32 v21, v21, 23, 0x3b800000
	v_or3_b32 v18, v20, v21, v18
.LBB293_527:
	s_or_b32 exec_lo, exec_lo, s10
	s_delay_alu instid0(VALU_DEP_1)
	v_cmp_eq_f32_e64 s9, v19, v18
.LBB293_528:
	global_load_u8 v19, v17, s[2:3]
	global_load_u8 v18, v16, s[4:5]
	s_and_b32 vcc_lo, exec_lo, s7
	s_wait_loadcnt 0x1
	s_wait_xcnt 0x0
	v_and_b32_e32 v16, 0xff, v19
	s_cbranch_vccz .LBB293_538
; %bb.529:
	s_mov_b32 s10, 0
	s_mov_b32 s11, exec_lo
	s_delay_alu instid0(VALU_DEP_1)
	v_cmpx_lt_i16_e32 0x7f, v16
	s_xor_b32 s11, exec_lo, s11
	s_cbranch_execnz .LBB293_653
; %bb.530:
	s_or_saveexec_b32 s11, s11
	v_mov_b32_e32 v17, 0x7f800001
	s_xor_b32 exec_lo, exec_lo, s11
	s_cbranch_execnz .LBB293_656
.LBB293_531:
	s_or_b32 exec_lo, exec_lo, s11
	s_and_saveexec_b32 s11, s10
	s_cbranch_execz .LBB293_533
.LBB293_532:
	v_and_b32_e32 v17, 7, v19
	v_lshrrev_b16 v21, 3, v19
	v_lshlrev_b32_e32 v23, 24, v19
	s_delay_alu instid0(VALU_DEP_3) | instskip(NEXT) | instid1(VALU_DEP_1)
	v_clz_i32_u32_e32 v20, v17
	v_min_u32_e32 v20, 32, v20
	s_delay_alu instid0(VALU_DEP_4) | instskip(NEXT) | instid1(VALU_DEP_2)
	v_and_b32_e32 v21, 15, v21
	v_subrev_nc_u32_e32 v22, 28, v20
	v_sub_nc_u32_e32 v20, 29, v20
	s_delay_alu instid0(VALU_DEP_3) | instskip(NEXT) | instid1(VALU_DEP_3)
	v_cmp_eq_u32_e32 vcc_lo, 0, v21
	v_lshlrev_b32_e32 v22, v22, v19
	s_delay_alu instid0(VALU_DEP_1) | instskip(NEXT) | instid1(VALU_DEP_1)
	v_and_b32_e32 v22, 7, v22
	v_cndmask_b32_e32 v17, v17, v22, vcc_lo
	v_cndmask_b32_e32 v20, v21, v20, vcc_lo
	v_and_b32_e32 v21, 0x80000000, v23
	s_delay_alu instid0(VALU_DEP_3) | instskip(NEXT) | instid1(VALU_DEP_3)
	v_lshlrev_b32_e32 v17, 20, v17
	v_lshl_add_u32 v20, v20, 23, 0x3b800000
	s_delay_alu instid0(VALU_DEP_1)
	v_or3_b32 v17, v21, v20, v17
.LBB293_533:
	s_or_b32 exec_lo, exec_lo, s11
	s_wait_loadcnt 0x0
	v_and_b32_e32 v21, 0xff, v18
	s_mov_b32 s10, 0
	s_mov_b32 s11, exec_lo
	s_delay_alu instid0(VALU_DEP_1)
	v_cmpx_lt_i16_e32 0x7f, v21
	s_xor_b32 s11, exec_lo, s11
	s_cbranch_execnz .LBB293_657
; %bb.534:
	s_or_saveexec_b32 s11, s11
	v_mov_b32_e32 v20, 0x7f800001
	s_xor_b32 exec_lo, exec_lo, s11
	s_cbranch_execnz .LBB293_660
.LBB293_535:
	s_or_b32 exec_lo, exec_lo, s11
	s_and_saveexec_b32 s11, s10
	s_cbranch_execz .LBB293_537
.LBB293_536:
	v_and_b32_e32 v20, 7, v18
	v_lshrrev_b16 v22, 3, v18
	v_lshlrev_b32_e32 v24, 24, v18
	s_delay_alu instid0(VALU_DEP_3) | instskip(NEXT) | instid1(VALU_DEP_1)
	v_clz_i32_u32_e32 v21, v20
	v_min_u32_e32 v21, 32, v21
	s_delay_alu instid0(VALU_DEP_4) | instskip(NEXT) | instid1(VALU_DEP_2)
	v_and_b32_e32 v22, 15, v22
	v_subrev_nc_u32_e32 v23, 28, v21
	v_sub_nc_u32_e32 v21, 29, v21
	s_delay_alu instid0(VALU_DEP_3) | instskip(NEXT) | instid1(VALU_DEP_3)
	v_cmp_eq_u32_e32 vcc_lo, 0, v22
	v_lshlrev_b32_e32 v23, v23, v18
	s_delay_alu instid0(VALU_DEP_1) | instskip(SKIP_1) | instid1(VALU_DEP_2)
	v_dual_cndmask_b32 v21, v22, v21, vcc_lo :: v_dual_bitop2_b32 v23, 7, v23 bitop3:0x40
	v_and_b32_e32 v22, 0x80000000, v24
	v_cndmask_b32_e32 v20, v20, v23, vcc_lo
	s_delay_alu instid0(VALU_DEP_3) | instskip(NEXT) | instid1(VALU_DEP_2)
	v_lshl_add_u32 v21, v21, 23, 0x3b800000
	v_lshlrev_b32_e32 v20, 20, v20
	s_delay_alu instid0(VALU_DEP_1)
	v_or3_b32 v20, v22, v21, v20
.LBB293_537:
	s_or_b32 exec_lo, exec_lo, s11
	s_delay_alu instid0(VALU_DEP_1)
	v_cmp_neq_f32_e64 s10, v17, v20
	s_branch .LBB293_548
.LBB293_538:
                                        ; implicit-def: $sgpr10
	s_cbranch_execz .LBB293_548
; %bb.539:
	s_mov_b32 s10, 0
	s_mov_b32 s11, exec_lo
	v_cmpx_lt_i16_e32 0x7f, v16
	s_xor_b32 s11, exec_lo, s11
	s_cbranch_execnz .LBB293_717
; %bb.540:
	s_or_saveexec_b32 s11, s11
	v_mov_b32_e32 v17, 0x7f800001
	s_xor_b32 exec_lo, exec_lo, s11
	s_cbranch_execnz .LBB293_720
.LBB293_541:
	s_or_b32 exec_lo, exec_lo, s11
	s_and_saveexec_b32 s11, s10
	s_cbranch_execz .LBB293_543
.LBB293_542:
	v_and_b32_e32 v16, 7, v19
	v_lshrrev_b16 v20, 3, v19
	s_delay_alu instid0(VALU_DEP_2) | instskip(NEXT) | instid1(VALU_DEP_1)
	v_clz_i32_u32_e32 v17, v16
	v_min_u32_e32 v17, 32, v17
	s_delay_alu instid0(VALU_DEP_3) | instskip(NEXT) | instid1(VALU_DEP_2)
	v_and_b32_e32 v20, 15, v20
	v_subrev_nc_u32_e32 v21, 28, v17
	v_sub_nc_u32_e32 v17, 29, v17
	s_delay_alu instid0(VALU_DEP_3) | instskip(NEXT) | instid1(VALU_DEP_3)
	v_cmp_eq_u32_e32 vcc_lo, 0, v20
	v_dual_lshlrev_b32 v21, v21, v19 :: v_dual_lshlrev_b32 v19, 24, v19
	s_delay_alu instid0(VALU_DEP_1) | instskip(NEXT) | instid1(VALU_DEP_2)
	v_and_b32_e32 v21, 7, v21
	v_and_b32_e32 v19, 0x80000000, v19
	s_delay_alu instid0(VALU_DEP_2) | instskip(NEXT) | instid1(VALU_DEP_1)
	v_cndmask_b32_e32 v16, v16, v21, vcc_lo
	v_dual_cndmask_b32 v17, v20, v17 :: v_dual_lshlrev_b32 v16, 20, v16
	s_delay_alu instid0(VALU_DEP_1) | instskip(NEXT) | instid1(VALU_DEP_1)
	v_lshl_add_u32 v17, v17, 23, 0x3b800000
	v_or3_b32 v17, v19, v17, v16
.LBB293_543:
	s_or_b32 exec_lo, exec_lo, s11
	s_wait_loadcnt 0x0
	v_and_b32_e32 v19, 0xff, v18
	s_mov_b32 s10, 0
	s_mov_b32 s11, exec_lo
	s_delay_alu instid0(VALU_DEP_1)
	v_cmpx_lt_i16_e32 0x7f, v19
	s_xor_b32 s11, exec_lo, s11
	s_cbranch_execnz .LBB293_721
; %bb.544:
	s_or_saveexec_b32 s11, s11
	v_mov_b32_e32 v16, 0x7f800001
	s_xor_b32 exec_lo, exec_lo, s11
	s_cbranch_execnz .LBB293_724
.LBB293_545:
	s_or_b32 exec_lo, exec_lo, s11
	s_and_saveexec_b32 s11, s10
	s_cbranch_execz .LBB293_547
.LBB293_546:
	v_and_b32_e32 v16, 7, v18
	v_lshrrev_b16 v20, 3, v18
	s_delay_alu instid0(VALU_DEP_2) | instskip(NEXT) | instid1(VALU_DEP_1)
	v_clz_i32_u32_e32 v19, v16
	v_min_u32_e32 v19, 32, v19
	s_delay_alu instid0(VALU_DEP_3) | instskip(NEXT) | instid1(VALU_DEP_2)
	v_and_b32_e32 v20, 15, v20
	v_subrev_nc_u32_e32 v21, 28, v19
	v_sub_nc_u32_e32 v19, 29, v19
	s_delay_alu instid0(VALU_DEP_3) | instskip(NEXT) | instid1(VALU_DEP_3)
	v_cmp_eq_u32_e32 vcc_lo, 0, v20
	v_dual_lshlrev_b32 v21, v21, v18 :: v_dual_lshlrev_b32 v18, 24, v18
	s_delay_alu instid0(VALU_DEP_1) | instskip(NEXT) | instid1(VALU_DEP_2)
	v_and_b32_e32 v21, 7, v21
	v_and_b32_e32 v18, 0x80000000, v18
	s_delay_alu instid0(VALU_DEP_2) | instskip(NEXT) | instid1(VALU_DEP_1)
	v_cndmask_b32_e32 v16, v16, v21, vcc_lo
	v_dual_cndmask_b32 v19, v20, v19 :: v_dual_lshlrev_b32 v16, 20, v16
	s_delay_alu instid0(VALU_DEP_1) | instskip(NEXT) | instid1(VALU_DEP_1)
	v_lshl_add_u32 v19, v19, 23, 0x3b800000
	v_or3_b32 v16, v18, v19, v16
.LBB293_547:
	s_or_b32 exec_lo, exec_lo, s11
	s_delay_alu instid0(VALU_DEP_1)
	v_cmp_eq_f32_e64 s10, v17, v16
.LBB293_548:
	global_load_u8 v17, v15, s[2:3]
	global_load_u8 v16, v14, s[4:5]
	s_and_b32 vcc_lo, exec_lo, s7
	s_wait_loadcnt 0x1
	s_wait_xcnt 0x0
	v_and_b32_e32 v14, 0xff, v17
	s_cbranch_vccz .LBB293_558
; %bb.549:
	s_mov_b32 s11, 0
	s_mov_b32 s12, exec_lo
	s_delay_alu instid0(VALU_DEP_1)
	v_cmpx_lt_i16_e32 0x7f, v14
	s_xor_b32 s12, exec_lo, s12
	s_cbranch_execnz .LBB293_661
; %bb.550:
	s_or_saveexec_b32 s12, s12
	v_mov_b32_e32 v15, 0x7f800001
	s_xor_b32 exec_lo, exec_lo, s12
	s_cbranch_execnz .LBB293_664
.LBB293_551:
	s_or_b32 exec_lo, exec_lo, s12
	s_and_saveexec_b32 s12, s11
	s_cbranch_execz .LBB293_553
.LBB293_552:
	v_and_b32_e32 v15, 7, v17
	v_lshrrev_b16 v19, 3, v17
	v_lshlrev_b32_e32 v21, 24, v17
	s_delay_alu instid0(VALU_DEP_3) | instskip(NEXT) | instid1(VALU_DEP_1)
	v_clz_i32_u32_e32 v18, v15
	v_min_u32_e32 v18, 32, v18
	s_delay_alu instid0(VALU_DEP_4) | instskip(NEXT) | instid1(VALU_DEP_2)
	v_and_b32_e32 v19, 15, v19
	v_subrev_nc_u32_e32 v20, 28, v18
	v_sub_nc_u32_e32 v18, 29, v18
	s_delay_alu instid0(VALU_DEP_3) | instskip(NEXT) | instid1(VALU_DEP_3)
	v_cmp_eq_u32_e32 vcc_lo, 0, v19
	v_lshlrev_b32_e32 v20, v20, v17
	s_delay_alu instid0(VALU_DEP_1) | instskip(NEXT) | instid1(VALU_DEP_1)
	v_and_b32_e32 v20, 7, v20
	v_cndmask_b32_e32 v15, v15, v20, vcc_lo
	v_cndmask_b32_e32 v18, v19, v18, vcc_lo
	v_and_b32_e32 v19, 0x80000000, v21
	s_delay_alu instid0(VALU_DEP_3) | instskip(NEXT) | instid1(VALU_DEP_3)
	v_lshlrev_b32_e32 v15, 20, v15
	v_lshl_add_u32 v18, v18, 23, 0x3b800000
	s_delay_alu instid0(VALU_DEP_1)
	v_or3_b32 v15, v19, v18, v15
.LBB293_553:
	s_or_b32 exec_lo, exec_lo, s12
	s_wait_loadcnt 0x0
	v_and_b32_e32 v19, 0xff, v16
	s_mov_b32 s11, 0
	s_mov_b32 s12, exec_lo
	s_delay_alu instid0(VALU_DEP_1)
	v_cmpx_lt_i16_e32 0x7f, v19
	s_xor_b32 s12, exec_lo, s12
	s_cbranch_execnz .LBB293_665
; %bb.554:
	s_or_saveexec_b32 s12, s12
	v_mov_b32_e32 v18, 0x7f800001
	s_xor_b32 exec_lo, exec_lo, s12
	s_cbranch_execnz .LBB293_668
.LBB293_555:
	s_or_b32 exec_lo, exec_lo, s12
	s_and_saveexec_b32 s12, s11
	s_cbranch_execz .LBB293_557
.LBB293_556:
	v_and_b32_e32 v18, 7, v16
	v_lshrrev_b16 v20, 3, v16
	v_lshlrev_b32_e32 v22, 24, v16
	s_delay_alu instid0(VALU_DEP_3) | instskip(NEXT) | instid1(VALU_DEP_1)
	v_clz_i32_u32_e32 v19, v18
	v_min_u32_e32 v19, 32, v19
	s_delay_alu instid0(VALU_DEP_4) | instskip(NEXT) | instid1(VALU_DEP_2)
	v_and_b32_e32 v20, 15, v20
	v_subrev_nc_u32_e32 v21, 28, v19
	v_sub_nc_u32_e32 v19, 29, v19
	s_delay_alu instid0(VALU_DEP_3) | instskip(NEXT) | instid1(VALU_DEP_3)
	v_cmp_eq_u32_e32 vcc_lo, 0, v20
	v_lshlrev_b32_e32 v21, v21, v16
	s_delay_alu instid0(VALU_DEP_1) | instskip(SKIP_1) | instid1(VALU_DEP_2)
	v_dual_cndmask_b32 v19, v20, v19, vcc_lo :: v_dual_bitop2_b32 v21, 7, v21 bitop3:0x40
	v_and_b32_e32 v20, 0x80000000, v22
	v_cndmask_b32_e32 v18, v18, v21, vcc_lo
	s_delay_alu instid0(VALU_DEP_3) | instskip(NEXT) | instid1(VALU_DEP_2)
	v_lshl_add_u32 v19, v19, 23, 0x3b800000
	v_lshlrev_b32_e32 v18, 20, v18
	s_delay_alu instid0(VALU_DEP_1)
	v_or3_b32 v18, v20, v19, v18
.LBB293_557:
	s_or_b32 exec_lo, exec_lo, s12
	s_delay_alu instid0(VALU_DEP_1)
	v_cmp_neq_f32_e64 s11, v15, v18
	s_branch .LBB293_568
.LBB293_558:
                                        ; implicit-def: $sgpr11
	s_cbranch_execz .LBB293_568
; %bb.559:
	s_mov_b32 s11, 0
	s_mov_b32 s12, exec_lo
	v_cmpx_lt_i16_e32 0x7f, v14
	s_xor_b32 s12, exec_lo, s12
	s_cbranch_execnz .LBB293_725
; %bb.560:
	s_or_saveexec_b32 s12, s12
	v_mov_b32_e32 v15, 0x7f800001
	s_xor_b32 exec_lo, exec_lo, s12
	s_cbranch_execnz .LBB293_728
.LBB293_561:
	s_or_b32 exec_lo, exec_lo, s12
	s_and_saveexec_b32 s12, s11
	s_cbranch_execz .LBB293_563
.LBB293_562:
	v_and_b32_e32 v14, 7, v17
	v_lshrrev_b16 v18, 3, v17
	s_delay_alu instid0(VALU_DEP_2) | instskip(NEXT) | instid1(VALU_DEP_1)
	v_clz_i32_u32_e32 v15, v14
	v_min_u32_e32 v15, 32, v15
	s_delay_alu instid0(VALU_DEP_3) | instskip(NEXT) | instid1(VALU_DEP_2)
	v_and_b32_e32 v18, 15, v18
	v_subrev_nc_u32_e32 v19, 28, v15
	v_sub_nc_u32_e32 v15, 29, v15
	s_delay_alu instid0(VALU_DEP_3) | instskip(NEXT) | instid1(VALU_DEP_3)
	v_cmp_eq_u32_e32 vcc_lo, 0, v18
	v_dual_lshlrev_b32 v19, v19, v17 :: v_dual_lshlrev_b32 v17, 24, v17
	s_delay_alu instid0(VALU_DEP_1) | instskip(NEXT) | instid1(VALU_DEP_2)
	v_and_b32_e32 v19, 7, v19
	v_and_b32_e32 v17, 0x80000000, v17
	s_delay_alu instid0(VALU_DEP_2) | instskip(NEXT) | instid1(VALU_DEP_1)
	v_cndmask_b32_e32 v14, v14, v19, vcc_lo
	v_dual_cndmask_b32 v15, v18, v15 :: v_dual_lshlrev_b32 v14, 20, v14
	s_delay_alu instid0(VALU_DEP_1) | instskip(NEXT) | instid1(VALU_DEP_1)
	v_lshl_add_u32 v15, v15, 23, 0x3b800000
	v_or3_b32 v15, v17, v15, v14
.LBB293_563:
	s_or_b32 exec_lo, exec_lo, s12
	s_wait_loadcnt 0x0
	v_and_b32_e32 v17, 0xff, v16
	s_mov_b32 s11, 0
	s_mov_b32 s12, exec_lo
	s_delay_alu instid0(VALU_DEP_1)
	v_cmpx_lt_i16_e32 0x7f, v17
	s_xor_b32 s12, exec_lo, s12
	s_cbranch_execnz .LBB293_729
; %bb.564:
	s_or_saveexec_b32 s12, s12
	v_mov_b32_e32 v14, 0x7f800001
	s_xor_b32 exec_lo, exec_lo, s12
	s_cbranch_execnz .LBB293_732
.LBB293_565:
	s_or_b32 exec_lo, exec_lo, s12
	s_and_saveexec_b32 s12, s11
	s_cbranch_execz .LBB293_567
.LBB293_566:
	v_and_b32_e32 v14, 7, v16
	v_lshrrev_b16 v18, 3, v16
	s_delay_alu instid0(VALU_DEP_2) | instskip(NEXT) | instid1(VALU_DEP_1)
	v_clz_i32_u32_e32 v17, v14
	v_min_u32_e32 v17, 32, v17
	s_delay_alu instid0(VALU_DEP_3) | instskip(NEXT) | instid1(VALU_DEP_2)
	v_and_b32_e32 v18, 15, v18
	v_subrev_nc_u32_e32 v19, 28, v17
	v_sub_nc_u32_e32 v17, 29, v17
	s_delay_alu instid0(VALU_DEP_3) | instskip(NEXT) | instid1(VALU_DEP_3)
	v_cmp_eq_u32_e32 vcc_lo, 0, v18
	v_dual_lshlrev_b32 v19, v19, v16 :: v_dual_lshlrev_b32 v16, 24, v16
	s_delay_alu instid0(VALU_DEP_1) | instskip(NEXT) | instid1(VALU_DEP_2)
	v_and_b32_e32 v19, 7, v19
	v_and_b32_e32 v16, 0x80000000, v16
	s_delay_alu instid0(VALU_DEP_2) | instskip(NEXT) | instid1(VALU_DEP_1)
	v_cndmask_b32_e32 v14, v14, v19, vcc_lo
	v_dual_cndmask_b32 v17, v18, v17 :: v_dual_lshlrev_b32 v14, 20, v14
	s_delay_alu instid0(VALU_DEP_1) | instskip(NEXT) | instid1(VALU_DEP_1)
	v_lshl_add_u32 v17, v17, 23, 0x3b800000
	v_or3_b32 v14, v16, v17, v14
.LBB293_567:
	s_or_b32 exec_lo, exec_lo, s12
	s_delay_alu instid0(VALU_DEP_1)
	v_cmp_eq_f32_e64 s11, v15, v14
.LBB293_568:
	global_load_u8 v15, v13, s[2:3]
	global_load_u8 v14, v12, s[4:5]
	s_and_b32 vcc_lo, exec_lo, s7
	s_wait_loadcnt 0x1
	s_wait_xcnt 0x0
	v_and_b32_e32 v12, 0xff, v15
	s_cbranch_vccz .LBB293_578
; %bb.569:
	s_mov_b32 s12, 0
	s_mov_b32 s13, exec_lo
	s_delay_alu instid0(VALU_DEP_1)
	v_cmpx_lt_i16_e32 0x7f, v12
	s_xor_b32 s13, exec_lo, s13
	s_cbranch_execnz .LBB293_669
; %bb.570:
	s_or_saveexec_b32 s13, s13
	v_mov_b32_e32 v13, 0x7f800001
	s_xor_b32 exec_lo, exec_lo, s13
	s_cbranch_execnz .LBB293_672
.LBB293_571:
	s_or_b32 exec_lo, exec_lo, s13
	s_and_saveexec_b32 s13, s12
	s_cbranch_execz .LBB293_573
.LBB293_572:
	v_and_b32_e32 v13, 7, v15
	v_lshrrev_b16 v17, 3, v15
	v_lshlrev_b32_e32 v19, 24, v15
	s_delay_alu instid0(VALU_DEP_3) | instskip(NEXT) | instid1(VALU_DEP_1)
	v_clz_i32_u32_e32 v16, v13
	v_min_u32_e32 v16, 32, v16
	s_delay_alu instid0(VALU_DEP_4) | instskip(NEXT) | instid1(VALU_DEP_2)
	v_and_b32_e32 v17, 15, v17
	v_subrev_nc_u32_e32 v18, 28, v16
	v_sub_nc_u32_e32 v16, 29, v16
	s_delay_alu instid0(VALU_DEP_3) | instskip(NEXT) | instid1(VALU_DEP_3)
	v_cmp_eq_u32_e32 vcc_lo, 0, v17
	v_lshlrev_b32_e32 v18, v18, v15
	s_delay_alu instid0(VALU_DEP_1) | instskip(NEXT) | instid1(VALU_DEP_1)
	v_and_b32_e32 v18, 7, v18
	v_cndmask_b32_e32 v13, v13, v18, vcc_lo
	v_cndmask_b32_e32 v16, v17, v16, vcc_lo
	v_and_b32_e32 v17, 0x80000000, v19
	s_delay_alu instid0(VALU_DEP_3) | instskip(NEXT) | instid1(VALU_DEP_3)
	v_lshlrev_b32_e32 v13, 20, v13
	v_lshl_add_u32 v16, v16, 23, 0x3b800000
	s_delay_alu instid0(VALU_DEP_1)
	v_or3_b32 v13, v17, v16, v13
.LBB293_573:
	s_or_b32 exec_lo, exec_lo, s13
	s_wait_loadcnt 0x0
	v_and_b32_e32 v17, 0xff, v14
	s_mov_b32 s12, 0
	s_mov_b32 s13, exec_lo
	s_delay_alu instid0(VALU_DEP_1)
	v_cmpx_lt_i16_e32 0x7f, v17
	s_xor_b32 s13, exec_lo, s13
	s_cbranch_execnz .LBB293_673
; %bb.574:
	s_or_saveexec_b32 s13, s13
	v_mov_b32_e32 v16, 0x7f800001
	s_xor_b32 exec_lo, exec_lo, s13
	s_cbranch_execnz .LBB293_676
.LBB293_575:
	s_or_b32 exec_lo, exec_lo, s13
	s_and_saveexec_b32 s13, s12
	s_cbranch_execz .LBB293_577
.LBB293_576:
	v_and_b32_e32 v16, 7, v14
	v_lshrrev_b16 v18, 3, v14
	v_lshlrev_b32_e32 v20, 24, v14
	s_delay_alu instid0(VALU_DEP_3) | instskip(NEXT) | instid1(VALU_DEP_1)
	v_clz_i32_u32_e32 v17, v16
	v_min_u32_e32 v17, 32, v17
	s_delay_alu instid0(VALU_DEP_4) | instskip(NEXT) | instid1(VALU_DEP_2)
	v_and_b32_e32 v18, 15, v18
	v_subrev_nc_u32_e32 v19, 28, v17
	v_sub_nc_u32_e32 v17, 29, v17
	s_delay_alu instid0(VALU_DEP_3) | instskip(NEXT) | instid1(VALU_DEP_3)
	v_cmp_eq_u32_e32 vcc_lo, 0, v18
	v_lshlrev_b32_e32 v19, v19, v14
	s_delay_alu instid0(VALU_DEP_1) | instskip(SKIP_1) | instid1(VALU_DEP_2)
	v_dual_cndmask_b32 v17, v18, v17, vcc_lo :: v_dual_bitop2_b32 v19, 7, v19 bitop3:0x40
	v_and_b32_e32 v18, 0x80000000, v20
	v_cndmask_b32_e32 v16, v16, v19, vcc_lo
	s_delay_alu instid0(VALU_DEP_3) | instskip(NEXT) | instid1(VALU_DEP_2)
	v_lshl_add_u32 v17, v17, 23, 0x3b800000
	v_lshlrev_b32_e32 v16, 20, v16
	s_delay_alu instid0(VALU_DEP_1)
	v_or3_b32 v16, v18, v17, v16
.LBB293_577:
	s_or_b32 exec_lo, exec_lo, s13
	s_delay_alu instid0(VALU_DEP_1)
	v_cmp_neq_f32_e64 s12, v13, v16
	s_branch .LBB293_588
.LBB293_578:
                                        ; implicit-def: $sgpr12
	s_cbranch_execz .LBB293_588
; %bb.579:
	s_mov_b32 s12, 0
	s_mov_b32 s13, exec_lo
	v_cmpx_lt_i16_e32 0x7f, v12
	s_xor_b32 s13, exec_lo, s13
	s_cbranch_execnz .LBB293_733
; %bb.580:
	s_or_saveexec_b32 s13, s13
	v_mov_b32_e32 v13, 0x7f800001
	s_xor_b32 exec_lo, exec_lo, s13
	s_cbranch_execnz .LBB293_736
.LBB293_581:
	s_or_b32 exec_lo, exec_lo, s13
	s_and_saveexec_b32 s13, s12
	s_cbranch_execz .LBB293_583
.LBB293_582:
	v_and_b32_e32 v12, 7, v15
	v_lshrrev_b16 v16, 3, v15
	s_delay_alu instid0(VALU_DEP_2) | instskip(NEXT) | instid1(VALU_DEP_1)
	v_clz_i32_u32_e32 v13, v12
	v_min_u32_e32 v13, 32, v13
	s_delay_alu instid0(VALU_DEP_3) | instskip(NEXT) | instid1(VALU_DEP_2)
	v_and_b32_e32 v16, 15, v16
	v_subrev_nc_u32_e32 v17, 28, v13
	v_sub_nc_u32_e32 v13, 29, v13
	s_delay_alu instid0(VALU_DEP_3) | instskip(NEXT) | instid1(VALU_DEP_3)
	v_cmp_eq_u32_e32 vcc_lo, 0, v16
	v_dual_lshlrev_b32 v17, v17, v15 :: v_dual_lshlrev_b32 v15, 24, v15
	s_delay_alu instid0(VALU_DEP_1) | instskip(NEXT) | instid1(VALU_DEP_2)
	v_and_b32_e32 v17, 7, v17
	v_and_b32_e32 v15, 0x80000000, v15
	s_delay_alu instid0(VALU_DEP_2) | instskip(NEXT) | instid1(VALU_DEP_1)
	v_cndmask_b32_e32 v12, v12, v17, vcc_lo
	v_dual_cndmask_b32 v13, v16, v13 :: v_dual_lshlrev_b32 v12, 20, v12
	s_delay_alu instid0(VALU_DEP_1) | instskip(NEXT) | instid1(VALU_DEP_1)
	v_lshl_add_u32 v13, v13, 23, 0x3b800000
	v_or3_b32 v13, v15, v13, v12
.LBB293_583:
	s_or_b32 exec_lo, exec_lo, s13
	s_wait_loadcnt 0x0
	v_and_b32_e32 v15, 0xff, v14
	s_mov_b32 s12, 0
	s_mov_b32 s13, exec_lo
	s_delay_alu instid0(VALU_DEP_1)
	v_cmpx_lt_i16_e32 0x7f, v15
	s_xor_b32 s13, exec_lo, s13
	s_cbranch_execnz .LBB293_737
; %bb.584:
	s_or_saveexec_b32 s13, s13
	v_mov_b32_e32 v12, 0x7f800001
	s_xor_b32 exec_lo, exec_lo, s13
	s_cbranch_execnz .LBB293_740
.LBB293_585:
	s_or_b32 exec_lo, exec_lo, s13
	s_and_saveexec_b32 s13, s12
	s_cbranch_execz .LBB293_587
.LBB293_586:
	v_and_b32_e32 v12, 7, v14
	v_lshrrev_b16 v16, 3, v14
	s_delay_alu instid0(VALU_DEP_2) | instskip(NEXT) | instid1(VALU_DEP_1)
	v_clz_i32_u32_e32 v15, v12
	v_min_u32_e32 v15, 32, v15
	s_delay_alu instid0(VALU_DEP_3) | instskip(NEXT) | instid1(VALU_DEP_2)
	v_and_b32_e32 v16, 15, v16
	v_subrev_nc_u32_e32 v17, 28, v15
	v_sub_nc_u32_e32 v15, 29, v15
	s_delay_alu instid0(VALU_DEP_3) | instskip(NEXT) | instid1(VALU_DEP_3)
	v_cmp_eq_u32_e32 vcc_lo, 0, v16
	v_dual_lshlrev_b32 v17, v17, v14 :: v_dual_lshlrev_b32 v14, 24, v14
	s_delay_alu instid0(VALU_DEP_1) | instskip(NEXT) | instid1(VALU_DEP_2)
	v_and_b32_e32 v17, 7, v17
	v_and_b32_e32 v14, 0x80000000, v14
	s_delay_alu instid0(VALU_DEP_2) | instskip(NEXT) | instid1(VALU_DEP_1)
	v_cndmask_b32_e32 v12, v12, v17, vcc_lo
	v_dual_cndmask_b32 v15, v16, v15 :: v_dual_lshlrev_b32 v12, 20, v12
	s_delay_alu instid0(VALU_DEP_1) | instskip(NEXT) | instid1(VALU_DEP_1)
	v_lshl_add_u32 v15, v15, 23, 0x3b800000
	v_or3_b32 v12, v14, v15, v12
.LBB293_587:
	s_or_b32 exec_lo, exec_lo, s13
	s_delay_alu instid0(VALU_DEP_1)
	v_cmp_eq_f32_e64 s12, v13, v12
.LBB293_588:
	global_load_u8 v13, v11, s[2:3]
	global_load_u8 v12, v10, s[4:5]
	s_and_b32 vcc_lo, exec_lo, s7
	s_wait_loadcnt 0x1
	s_wait_xcnt 0x0
	v_and_b32_e32 v10, 0xff, v13
	s_cbranch_vccz .LBB293_598
; %bb.589:
	s_mov_b32 s13, 0
	s_mov_b32 s14, exec_lo
	s_delay_alu instid0(VALU_DEP_1)
	v_cmpx_lt_i16_e32 0x7f, v10
	s_xor_b32 s14, exec_lo, s14
	s_cbranch_execnz .LBB293_677
; %bb.590:
	s_or_saveexec_b32 s14, s14
	v_mov_b32_e32 v11, 0x7f800001
	s_xor_b32 exec_lo, exec_lo, s14
	s_cbranch_execnz .LBB293_680
.LBB293_591:
	s_or_b32 exec_lo, exec_lo, s14
	s_and_saveexec_b32 s14, s13
	s_cbranch_execz .LBB293_593
.LBB293_592:
	v_and_b32_e32 v11, 7, v13
	v_lshrrev_b16 v15, 3, v13
	v_lshlrev_b32_e32 v17, 24, v13
	s_delay_alu instid0(VALU_DEP_3) | instskip(NEXT) | instid1(VALU_DEP_1)
	v_clz_i32_u32_e32 v14, v11
	v_min_u32_e32 v14, 32, v14
	s_delay_alu instid0(VALU_DEP_4) | instskip(NEXT) | instid1(VALU_DEP_2)
	v_and_b32_e32 v15, 15, v15
	v_subrev_nc_u32_e32 v16, 28, v14
	v_sub_nc_u32_e32 v14, 29, v14
	s_delay_alu instid0(VALU_DEP_3) | instskip(NEXT) | instid1(VALU_DEP_3)
	v_cmp_eq_u32_e32 vcc_lo, 0, v15
	v_lshlrev_b32_e32 v16, v16, v13
	s_delay_alu instid0(VALU_DEP_1) | instskip(NEXT) | instid1(VALU_DEP_1)
	v_and_b32_e32 v16, 7, v16
	v_cndmask_b32_e32 v11, v11, v16, vcc_lo
	v_cndmask_b32_e32 v14, v15, v14, vcc_lo
	v_and_b32_e32 v15, 0x80000000, v17
	s_delay_alu instid0(VALU_DEP_3) | instskip(NEXT) | instid1(VALU_DEP_3)
	v_lshlrev_b32_e32 v11, 20, v11
	v_lshl_add_u32 v14, v14, 23, 0x3b800000
	s_delay_alu instid0(VALU_DEP_1)
	v_or3_b32 v11, v15, v14, v11
.LBB293_593:
	s_or_b32 exec_lo, exec_lo, s14
	s_wait_loadcnt 0x0
	v_and_b32_e32 v15, 0xff, v12
	s_mov_b32 s13, 0
	s_mov_b32 s14, exec_lo
	s_delay_alu instid0(VALU_DEP_1)
	v_cmpx_lt_i16_e32 0x7f, v15
	s_xor_b32 s14, exec_lo, s14
	s_cbranch_execnz .LBB293_681
; %bb.594:
	s_or_saveexec_b32 s14, s14
	v_mov_b32_e32 v14, 0x7f800001
	s_xor_b32 exec_lo, exec_lo, s14
	s_cbranch_execnz .LBB293_684
.LBB293_595:
	s_or_b32 exec_lo, exec_lo, s14
	s_and_saveexec_b32 s14, s13
	s_cbranch_execz .LBB293_597
.LBB293_596:
	v_and_b32_e32 v14, 7, v12
	v_lshrrev_b16 v16, 3, v12
	v_lshlrev_b32_e32 v18, 24, v12
	s_delay_alu instid0(VALU_DEP_3) | instskip(NEXT) | instid1(VALU_DEP_1)
	v_clz_i32_u32_e32 v15, v14
	v_min_u32_e32 v15, 32, v15
	s_delay_alu instid0(VALU_DEP_4) | instskip(NEXT) | instid1(VALU_DEP_2)
	v_and_b32_e32 v16, 15, v16
	v_subrev_nc_u32_e32 v17, 28, v15
	v_sub_nc_u32_e32 v15, 29, v15
	s_delay_alu instid0(VALU_DEP_3) | instskip(NEXT) | instid1(VALU_DEP_3)
	v_cmp_eq_u32_e32 vcc_lo, 0, v16
	v_lshlrev_b32_e32 v17, v17, v12
	s_delay_alu instid0(VALU_DEP_1) | instskip(SKIP_1) | instid1(VALU_DEP_2)
	v_dual_cndmask_b32 v15, v16, v15, vcc_lo :: v_dual_bitop2_b32 v17, 7, v17 bitop3:0x40
	v_and_b32_e32 v16, 0x80000000, v18
	v_cndmask_b32_e32 v14, v14, v17, vcc_lo
	s_delay_alu instid0(VALU_DEP_3) | instskip(NEXT) | instid1(VALU_DEP_2)
	v_lshl_add_u32 v15, v15, 23, 0x3b800000
	v_lshlrev_b32_e32 v14, 20, v14
	s_delay_alu instid0(VALU_DEP_1)
	v_or3_b32 v14, v16, v15, v14
.LBB293_597:
	s_or_b32 exec_lo, exec_lo, s14
	s_delay_alu instid0(VALU_DEP_1)
	v_cmp_neq_f32_e64 s13, v11, v14
	s_branch .LBB293_608
.LBB293_598:
                                        ; implicit-def: $sgpr13
	s_cbranch_execz .LBB293_608
; %bb.599:
	s_mov_b32 s13, 0
	s_mov_b32 s14, exec_lo
	v_cmpx_lt_i16_e32 0x7f, v10
	s_xor_b32 s14, exec_lo, s14
	s_cbranch_execnz .LBB293_741
; %bb.600:
	s_or_saveexec_b32 s14, s14
	v_mov_b32_e32 v11, 0x7f800001
	s_xor_b32 exec_lo, exec_lo, s14
	s_cbranch_execnz .LBB293_744
.LBB293_601:
	s_or_b32 exec_lo, exec_lo, s14
	s_and_saveexec_b32 s14, s13
	s_cbranch_execz .LBB293_603
.LBB293_602:
	v_and_b32_e32 v10, 7, v13
	v_lshrrev_b16 v14, 3, v13
	s_delay_alu instid0(VALU_DEP_2) | instskip(NEXT) | instid1(VALU_DEP_1)
	v_clz_i32_u32_e32 v11, v10
	v_min_u32_e32 v11, 32, v11
	s_delay_alu instid0(VALU_DEP_3) | instskip(NEXT) | instid1(VALU_DEP_2)
	v_and_b32_e32 v14, 15, v14
	v_subrev_nc_u32_e32 v15, 28, v11
	v_sub_nc_u32_e32 v11, 29, v11
	s_delay_alu instid0(VALU_DEP_3) | instskip(NEXT) | instid1(VALU_DEP_3)
	v_cmp_eq_u32_e32 vcc_lo, 0, v14
	v_dual_lshlrev_b32 v15, v15, v13 :: v_dual_lshlrev_b32 v13, 24, v13
	s_delay_alu instid0(VALU_DEP_1) | instskip(NEXT) | instid1(VALU_DEP_2)
	v_and_b32_e32 v15, 7, v15
	v_and_b32_e32 v13, 0x80000000, v13
	s_delay_alu instid0(VALU_DEP_2) | instskip(NEXT) | instid1(VALU_DEP_1)
	v_cndmask_b32_e32 v10, v10, v15, vcc_lo
	v_dual_cndmask_b32 v11, v14, v11 :: v_dual_lshlrev_b32 v10, 20, v10
	s_delay_alu instid0(VALU_DEP_1) | instskip(NEXT) | instid1(VALU_DEP_1)
	v_lshl_add_u32 v11, v11, 23, 0x3b800000
	v_or3_b32 v11, v13, v11, v10
.LBB293_603:
	s_or_b32 exec_lo, exec_lo, s14
	s_wait_loadcnt 0x0
	v_and_b32_e32 v13, 0xff, v12
	s_mov_b32 s13, 0
	s_mov_b32 s14, exec_lo
	s_delay_alu instid0(VALU_DEP_1)
	v_cmpx_lt_i16_e32 0x7f, v13
	s_xor_b32 s14, exec_lo, s14
	s_cbranch_execnz .LBB293_745
; %bb.604:
	s_or_saveexec_b32 s14, s14
	v_mov_b32_e32 v10, 0x7f800001
	s_xor_b32 exec_lo, exec_lo, s14
	s_cbranch_execnz .LBB293_748
.LBB293_605:
	s_or_b32 exec_lo, exec_lo, s14
	s_and_saveexec_b32 s14, s13
	s_cbranch_execz .LBB293_607
.LBB293_606:
	v_and_b32_e32 v10, 7, v12
	v_lshrrev_b16 v14, 3, v12
	s_delay_alu instid0(VALU_DEP_2) | instskip(NEXT) | instid1(VALU_DEP_1)
	v_clz_i32_u32_e32 v13, v10
	v_min_u32_e32 v13, 32, v13
	s_delay_alu instid0(VALU_DEP_3) | instskip(NEXT) | instid1(VALU_DEP_2)
	v_and_b32_e32 v14, 15, v14
	v_subrev_nc_u32_e32 v15, 28, v13
	v_sub_nc_u32_e32 v13, 29, v13
	s_delay_alu instid0(VALU_DEP_3) | instskip(NEXT) | instid1(VALU_DEP_3)
	v_cmp_eq_u32_e32 vcc_lo, 0, v14
	v_dual_lshlrev_b32 v15, v15, v12 :: v_dual_lshlrev_b32 v12, 24, v12
	s_delay_alu instid0(VALU_DEP_1) | instskip(NEXT) | instid1(VALU_DEP_2)
	v_and_b32_e32 v15, 7, v15
	v_and_b32_e32 v12, 0x80000000, v12
	s_delay_alu instid0(VALU_DEP_2) | instskip(NEXT) | instid1(VALU_DEP_1)
	v_cndmask_b32_e32 v10, v10, v15, vcc_lo
	v_dual_cndmask_b32 v13, v14, v13 :: v_dual_lshlrev_b32 v10, 20, v10
	s_delay_alu instid0(VALU_DEP_1) | instskip(NEXT) | instid1(VALU_DEP_1)
	v_lshl_add_u32 v13, v13, 23, 0x3b800000
	v_or3_b32 v10, v12, v13, v10
.LBB293_607:
	s_or_b32 exec_lo, exec_lo, s14
	s_delay_alu instid0(VALU_DEP_1)
	v_cmp_eq_f32_e64 s13, v11, v10
.LBB293_608:
	global_load_u8 v11, v9, s[2:3]
	global_load_u8 v10, v8, s[4:5]
	s_and_b32 vcc_lo, exec_lo, s7
	s_wait_loadcnt 0x1
	s_wait_xcnt 0x0
	v_and_b32_e32 v8, 0xff, v11
	s_cbranch_vccz .LBB293_618
; %bb.609:
	s_mov_b32 s2, 0
	s_mov_b32 s3, exec_lo
	s_delay_alu instid0(VALU_DEP_1)
	v_cmpx_lt_i16_e32 0x7f, v8
	s_xor_b32 s3, exec_lo, s3
	s_cbranch_execnz .LBB293_685
; %bb.610:
	s_or_saveexec_b32 s3, s3
	v_mov_b32_e32 v9, 0x7f800001
	s_xor_b32 exec_lo, exec_lo, s3
	s_cbranch_execnz .LBB293_688
.LBB293_611:
	s_or_b32 exec_lo, exec_lo, s3
	s_and_saveexec_b32 s3, s2
	s_cbranch_execz .LBB293_613
.LBB293_612:
	v_and_b32_e32 v9, 7, v11
	v_lshrrev_b16 v13, 3, v11
	v_lshlrev_b32_e32 v15, 24, v11
	s_delay_alu instid0(VALU_DEP_3) | instskip(NEXT) | instid1(VALU_DEP_1)
	v_clz_i32_u32_e32 v12, v9
	v_min_u32_e32 v12, 32, v12
	s_delay_alu instid0(VALU_DEP_4) | instskip(NEXT) | instid1(VALU_DEP_2)
	v_and_b32_e32 v13, 15, v13
	v_subrev_nc_u32_e32 v14, 28, v12
	v_sub_nc_u32_e32 v12, 29, v12
	s_delay_alu instid0(VALU_DEP_3) | instskip(NEXT) | instid1(VALU_DEP_3)
	v_cmp_eq_u32_e32 vcc_lo, 0, v13
	v_lshlrev_b32_e32 v14, v14, v11
	s_delay_alu instid0(VALU_DEP_1) | instskip(NEXT) | instid1(VALU_DEP_1)
	v_and_b32_e32 v14, 7, v14
	v_cndmask_b32_e32 v9, v9, v14, vcc_lo
	v_cndmask_b32_e32 v12, v13, v12, vcc_lo
	v_and_b32_e32 v13, 0x80000000, v15
	s_delay_alu instid0(VALU_DEP_3) | instskip(NEXT) | instid1(VALU_DEP_3)
	v_lshlrev_b32_e32 v9, 20, v9
	v_lshl_add_u32 v12, v12, 23, 0x3b800000
	s_delay_alu instid0(VALU_DEP_1)
	v_or3_b32 v9, v13, v12, v9
.LBB293_613:
	s_or_b32 exec_lo, exec_lo, s3
	s_wait_loadcnt 0x0
	v_and_b32_e32 v13, 0xff, v10
	s_mov_b32 s2, 0
	s_mov_b32 s3, exec_lo
	s_delay_alu instid0(VALU_DEP_1)
	v_cmpx_lt_i16_e32 0x7f, v13
	s_xor_b32 s3, exec_lo, s3
	s_cbranch_execnz .LBB293_689
; %bb.614:
	s_or_saveexec_b32 s3, s3
	v_mov_b32_e32 v12, 0x7f800001
	s_xor_b32 exec_lo, exec_lo, s3
	s_cbranch_execnz .LBB293_692
.LBB293_615:
	s_or_b32 exec_lo, exec_lo, s3
	s_and_saveexec_b32 s3, s2
	s_cbranch_execz .LBB293_617
.LBB293_616:
	v_and_b32_e32 v12, 7, v10
	v_lshrrev_b16 v14, 3, v10
	v_lshlrev_b32_e32 v16, 24, v10
	s_delay_alu instid0(VALU_DEP_3) | instskip(NEXT) | instid1(VALU_DEP_1)
	v_clz_i32_u32_e32 v13, v12
	v_min_u32_e32 v13, 32, v13
	s_delay_alu instid0(VALU_DEP_4) | instskip(NEXT) | instid1(VALU_DEP_2)
	v_and_b32_e32 v14, 15, v14
	v_subrev_nc_u32_e32 v15, 28, v13
	v_sub_nc_u32_e32 v13, 29, v13
	s_delay_alu instid0(VALU_DEP_3) | instskip(NEXT) | instid1(VALU_DEP_3)
	v_cmp_eq_u32_e32 vcc_lo, 0, v14
	v_lshlrev_b32_e32 v15, v15, v10
	s_delay_alu instid0(VALU_DEP_1) | instskip(SKIP_1) | instid1(VALU_DEP_2)
	v_dual_cndmask_b32 v13, v14, v13, vcc_lo :: v_dual_bitop2_b32 v15, 7, v15 bitop3:0x40
	v_and_b32_e32 v14, 0x80000000, v16
	v_cndmask_b32_e32 v12, v12, v15, vcc_lo
	s_delay_alu instid0(VALU_DEP_3) | instskip(NEXT) | instid1(VALU_DEP_2)
	v_lshl_add_u32 v13, v13, 23, 0x3b800000
	v_lshlrev_b32_e32 v12, 20, v12
	s_delay_alu instid0(VALU_DEP_1)
	v_or3_b32 v12, v14, v13, v12
.LBB293_617:
	s_or_b32 exec_lo, exec_lo, s3
	s_delay_alu instid0(VALU_DEP_1)
	v_cmp_neq_f32_e64 s2, v9, v12
	s_branch .LBB293_628
.LBB293_618:
                                        ; implicit-def: $sgpr2
	s_cbranch_execz .LBB293_628
; %bb.619:
	s_mov_b32 s2, 0
	s_mov_b32 s3, exec_lo
	v_cmpx_lt_i16_e32 0x7f, v8
	s_xor_b32 s3, exec_lo, s3
	s_cbranch_execnz .LBB293_749
; %bb.620:
	s_or_saveexec_b32 s3, s3
	v_mov_b32_e32 v9, 0x7f800001
	s_xor_b32 exec_lo, exec_lo, s3
	s_cbranch_execnz .LBB293_752
.LBB293_621:
	s_or_b32 exec_lo, exec_lo, s3
	s_and_saveexec_b32 s3, s2
	s_cbranch_execz .LBB293_623
.LBB293_622:
	v_and_b32_e32 v8, 7, v11
	v_lshrrev_b16 v12, 3, v11
	s_delay_alu instid0(VALU_DEP_2) | instskip(NEXT) | instid1(VALU_DEP_1)
	v_clz_i32_u32_e32 v9, v8
	v_min_u32_e32 v9, 32, v9
	s_delay_alu instid0(VALU_DEP_3) | instskip(NEXT) | instid1(VALU_DEP_2)
	v_and_b32_e32 v12, 15, v12
	v_subrev_nc_u32_e32 v13, 28, v9
	v_sub_nc_u32_e32 v9, 29, v9
	s_delay_alu instid0(VALU_DEP_3) | instskip(NEXT) | instid1(VALU_DEP_3)
	v_cmp_eq_u32_e32 vcc_lo, 0, v12
	v_dual_lshlrev_b32 v13, v13, v11 :: v_dual_lshlrev_b32 v11, 24, v11
	s_delay_alu instid0(VALU_DEP_1) | instskip(NEXT) | instid1(VALU_DEP_2)
	v_and_b32_e32 v13, 7, v13
	v_and_b32_e32 v11, 0x80000000, v11
	s_delay_alu instid0(VALU_DEP_2) | instskip(NEXT) | instid1(VALU_DEP_1)
	v_cndmask_b32_e32 v8, v8, v13, vcc_lo
	v_dual_cndmask_b32 v9, v12, v9 :: v_dual_lshlrev_b32 v8, 20, v8
	s_delay_alu instid0(VALU_DEP_1) | instskip(NEXT) | instid1(VALU_DEP_1)
	v_lshl_add_u32 v9, v9, 23, 0x3b800000
	v_or3_b32 v9, v11, v9, v8
.LBB293_623:
	s_or_b32 exec_lo, exec_lo, s3
	s_wait_loadcnt 0x0
	v_and_b32_e32 v11, 0xff, v10
	s_mov_b32 s2, 0
	s_mov_b32 s3, exec_lo
	s_delay_alu instid0(VALU_DEP_1)
	v_cmpx_lt_i16_e32 0x7f, v11
	s_xor_b32 s3, exec_lo, s3
	s_cbranch_execnz .LBB293_753
; %bb.624:
	s_or_saveexec_b32 s3, s3
	v_mov_b32_e32 v8, 0x7f800001
	s_xor_b32 exec_lo, exec_lo, s3
	s_cbranch_execnz .LBB293_756
.LBB293_625:
	s_or_b32 exec_lo, exec_lo, s3
	s_and_saveexec_b32 s3, s2
	s_cbranch_execz .LBB293_627
.LBB293_626:
	v_and_b32_e32 v8, 7, v10
	v_lshrrev_b16 v12, 3, v10
	s_delay_alu instid0(VALU_DEP_2) | instskip(NEXT) | instid1(VALU_DEP_1)
	v_clz_i32_u32_e32 v11, v8
	v_min_u32_e32 v11, 32, v11
	s_delay_alu instid0(VALU_DEP_3) | instskip(NEXT) | instid1(VALU_DEP_2)
	v_and_b32_e32 v12, 15, v12
	v_subrev_nc_u32_e32 v13, 28, v11
	v_sub_nc_u32_e32 v11, 29, v11
	s_delay_alu instid0(VALU_DEP_3) | instskip(NEXT) | instid1(VALU_DEP_3)
	v_cmp_eq_u32_e32 vcc_lo, 0, v12
	v_dual_lshlrev_b32 v13, v13, v10 :: v_dual_lshlrev_b32 v10, 24, v10
	s_delay_alu instid0(VALU_DEP_1) | instskip(NEXT) | instid1(VALU_DEP_2)
	v_and_b32_e32 v13, 7, v13
	v_and_b32_e32 v10, 0x80000000, v10
	s_delay_alu instid0(VALU_DEP_2) | instskip(NEXT) | instid1(VALU_DEP_1)
	v_cndmask_b32_e32 v8, v8, v13, vcc_lo
	v_dual_cndmask_b32 v11, v12, v11 :: v_dual_lshlrev_b32 v8, 20, v8
	s_delay_alu instid0(VALU_DEP_1) | instskip(NEXT) | instid1(VALU_DEP_1)
	v_lshl_add_u32 v11, v11, 23, 0x3b800000
	v_or3_b32 v8, v10, v11, v8
.LBB293_627:
	s_or_b32 exec_lo, exec_lo, s3
	s_delay_alu instid0(VALU_DEP_1)
	v_cmp_eq_f32_e64 s2, v9, v8
.LBB293_628:
	v_cndmask_b32_e64 v11, 0, 1, s6
	v_cndmask_b32_e64 v12, 0, 1, s8
	;; [unrolled: 1-line block ×4, first 2 shown]
	s_wait_loadcnt 0x0
	v_cndmask_b32_e64 v10, 0, 1, s11
	v_cndmask_b32_e64 v8, 0, 1, s13
	;; [unrolled: 1-line block ×4, first 2 shown]
	s_clause 0x7
	global_store_b8 v1, v11, s[0:1]
	global_store_b8 v2, v12, s[0:1]
	;; [unrolled: 1-line block ×8, first 2 shown]
	s_endpgm
.LBB293_629:
	s_mov_b32 s6, -1
	s_mov_b32 s9, exec_lo
	v_cmpx_eq_u16_e32 0x80, v23
; %bb.630:
	s_xor_b32 s6, exec_lo, -1
; %bb.631:
	s_or_b32 exec_lo, exec_lo, s9
	s_delay_alu instid0(SALU_CYCLE_1)
	s_and_b32 s6, s6, exec_lo
	s_or_saveexec_b32 s8, s8
	v_mov_b32_e32 v24, 0x7f800001
	s_xor_b32 exec_lo, exec_lo, s8
	s_cbranch_execz .LBB293_471
.LBB293_632:
	v_cmp_ne_u16_e32 vcc_lo, 0, v23
	v_mov_b32_e32 v24, 0
	s_and_not1_b32 s6, s6, exec_lo
	s_and_b32 s9, vcc_lo, exec_lo
	s_delay_alu instid0(SALU_CYCLE_1)
	s_or_b32 s6, s6, s9
	s_or_b32 exec_lo, exec_lo, s8
	s_and_saveexec_b32 s8, s6
	s_cbranch_execnz .LBB293_472
	s_branch .LBB293_473
.LBB293_633:
	s_mov_b32 s6, -1
	s_mov_b32 s9, exec_lo
	v_cmpx_eq_u16_e32 0x80, v27
; %bb.634:
	s_xor_b32 s6, exec_lo, -1
; %bb.635:
	s_or_b32 exec_lo, exec_lo, s9
	s_delay_alu instid0(SALU_CYCLE_1)
	s_and_b32 s6, s6, exec_lo
                                        ; implicit-def: $vgpr27
	s_or_saveexec_b32 s8, s8
	v_mov_b32_e32 v26, 0x7f800001
	s_xor_b32 exec_lo, exec_lo, s8
	s_cbranch_execz .LBB293_475
.LBB293_636:
	v_cmp_ne_u16_e32 vcc_lo, 0, v27
	v_mov_b32_e32 v26, 0
	s_and_not1_b32 s6, s6, exec_lo
	s_and_b32 s9, vcc_lo, exec_lo
	s_delay_alu instid0(SALU_CYCLE_1)
	s_or_b32 s6, s6, s9
	s_or_b32 exec_lo, exec_lo, s8
	s_and_saveexec_b32 s8, s6
	s_cbranch_execnz .LBB293_476
	s_branch .LBB293_477
.LBB293_637:
	s_mov_b32 s8, -1
	s_mov_b32 s10, exec_lo
	v_cmpx_eq_u16_e32 0x80, v20
; %bb.638:
	s_xor_b32 s8, exec_lo, -1
; %bb.639:
	s_or_b32 exec_lo, exec_lo, s10
	s_delay_alu instid0(SALU_CYCLE_1)
	s_and_b32 s8, s8, exec_lo
	s_or_saveexec_b32 s9, s9
	v_mov_b32_e32 v21, 0x7f800001
	s_xor_b32 exec_lo, exec_lo, s9
	s_cbranch_execz .LBB293_491
.LBB293_640:
	v_cmp_ne_u16_e32 vcc_lo, 0, v20
	v_mov_b32_e32 v21, 0
	s_and_not1_b32 s8, s8, exec_lo
	s_and_b32 s10, vcc_lo, exec_lo
	s_delay_alu instid0(SALU_CYCLE_1)
	s_or_b32 s8, s8, s10
	s_or_b32 exec_lo, exec_lo, s9
	s_and_saveexec_b32 s9, s8
	s_cbranch_execnz .LBB293_492
	s_branch .LBB293_493
.LBB293_641:
	s_mov_b32 s8, -1
	s_mov_b32 s10, exec_lo
	v_cmpx_eq_u16_e32 0x80, v25
; %bb.642:
	s_xor_b32 s8, exec_lo, -1
; %bb.643:
	s_or_b32 exec_lo, exec_lo, s10
	s_delay_alu instid0(SALU_CYCLE_1)
	s_and_b32 s8, s8, exec_lo
                                        ; implicit-def: $vgpr25
	s_or_saveexec_b32 s9, s9
	v_mov_b32_e32 v24, 0x7f800001
	s_xor_b32 exec_lo, exec_lo, s9
	s_cbranch_execz .LBB293_495
.LBB293_644:
	v_cmp_ne_u16_e32 vcc_lo, 0, v25
	v_mov_b32_e32 v24, 0
	s_and_not1_b32 s8, s8, exec_lo
	s_and_b32 s10, vcc_lo, exec_lo
	s_delay_alu instid0(SALU_CYCLE_1)
	s_or_b32 s8, s8, s10
	s_or_b32 exec_lo, exec_lo, s9
	s_and_saveexec_b32 s9, s8
	s_cbranch_execnz .LBB293_496
	s_branch .LBB293_497
.LBB293_645:
	s_mov_b32 s9, -1
	s_mov_b32 s11, exec_lo
	v_cmpx_eq_u16_e32 0x80, v18
; %bb.646:
	s_xor_b32 s9, exec_lo, -1
; %bb.647:
	s_or_b32 exec_lo, exec_lo, s11
	s_delay_alu instid0(SALU_CYCLE_1)
	s_and_b32 s9, s9, exec_lo
	s_or_saveexec_b32 s10, s10
	v_mov_b32_e32 v19, 0x7f800001
	s_xor_b32 exec_lo, exec_lo, s10
	s_cbranch_execz .LBB293_511
.LBB293_648:
	v_cmp_ne_u16_e32 vcc_lo, 0, v18
	v_mov_b32_e32 v19, 0
	s_and_not1_b32 s9, s9, exec_lo
	s_and_b32 s11, vcc_lo, exec_lo
	s_delay_alu instid0(SALU_CYCLE_1)
	s_or_b32 s9, s9, s11
	s_or_b32 exec_lo, exec_lo, s10
	s_and_saveexec_b32 s10, s9
	s_cbranch_execnz .LBB293_512
	s_branch .LBB293_513
.LBB293_649:
	s_mov_b32 s9, -1
	s_mov_b32 s11, exec_lo
	v_cmpx_eq_u16_e32 0x80, v23
; %bb.650:
	s_xor_b32 s9, exec_lo, -1
; %bb.651:
	s_or_b32 exec_lo, exec_lo, s11
	s_delay_alu instid0(SALU_CYCLE_1)
	s_and_b32 s9, s9, exec_lo
                                        ; implicit-def: $vgpr23
	s_or_saveexec_b32 s10, s10
	v_mov_b32_e32 v22, 0x7f800001
	s_xor_b32 exec_lo, exec_lo, s10
	s_cbranch_execz .LBB293_515
.LBB293_652:
	v_cmp_ne_u16_e32 vcc_lo, 0, v23
	v_mov_b32_e32 v22, 0
	s_and_not1_b32 s9, s9, exec_lo
	s_and_b32 s11, vcc_lo, exec_lo
	s_delay_alu instid0(SALU_CYCLE_1)
	s_or_b32 s9, s9, s11
	s_or_b32 exec_lo, exec_lo, s10
	s_and_saveexec_b32 s10, s9
	s_cbranch_execnz .LBB293_516
	s_branch .LBB293_517
.LBB293_653:
	s_mov_b32 s10, -1
	s_mov_b32 s12, exec_lo
	v_cmpx_eq_u16_e32 0x80, v16
; %bb.654:
	s_xor_b32 s10, exec_lo, -1
; %bb.655:
	s_or_b32 exec_lo, exec_lo, s12
	s_delay_alu instid0(SALU_CYCLE_1)
	s_and_b32 s10, s10, exec_lo
	s_or_saveexec_b32 s11, s11
	v_mov_b32_e32 v17, 0x7f800001
	s_xor_b32 exec_lo, exec_lo, s11
	s_cbranch_execz .LBB293_531
.LBB293_656:
	v_cmp_ne_u16_e32 vcc_lo, 0, v16
	v_mov_b32_e32 v17, 0
	s_and_not1_b32 s10, s10, exec_lo
	s_and_b32 s12, vcc_lo, exec_lo
	s_delay_alu instid0(SALU_CYCLE_1)
	s_or_b32 s10, s10, s12
	s_or_b32 exec_lo, exec_lo, s11
	s_and_saveexec_b32 s11, s10
	s_cbranch_execnz .LBB293_532
	s_branch .LBB293_533
.LBB293_657:
	s_mov_b32 s10, -1
	s_mov_b32 s12, exec_lo
	v_cmpx_eq_u16_e32 0x80, v21
; %bb.658:
	s_xor_b32 s10, exec_lo, -1
; %bb.659:
	s_or_b32 exec_lo, exec_lo, s12
	s_delay_alu instid0(SALU_CYCLE_1)
	s_and_b32 s10, s10, exec_lo
                                        ; implicit-def: $vgpr21
	s_or_saveexec_b32 s11, s11
	v_mov_b32_e32 v20, 0x7f800001
	s_xor_b32 exec_lo, exec_lo, s11
	s_cbranch_execz .LBB293_535
.LBB293_660:
	v_cmp_ne_u16_e32 vcc_lo, 0, v21
	v_mov_b32_e32 v20, 0
	s_and_not1_b32 s10, s10, exec_lo
	s_and_b32 s12, vcc_lo, exec_lo
	s_delay_alu instid0(SALU_CYCLE_1)
	s_or_b32 s10, s10, s12
	s_or_b32 exec_lo, exec_lo, s11
	s_and_saveexec_b32 s11, s10
	s_cbranch_execnz .LBB293_536
	s_branch .LBB293_537
.LBB293_661:
	s_mov_b32 s11, -1
	s_mov_b32 s13, exec_lo
	v_cmpx_eq_u16_e32 0x80, v14
; %bb.662:
	s_xor_b32 s11, exec_lo, -1
; %bb.663:
	s_or_b32 exec_lo, exec_lo, s13
	s_delay_alu instid0(SALU_CYCLE_1)
	s_and_b32 s11, s11, exec_lo
	s_or_saveexec_b32 s12, s12
	v_mov_b32_e32 v15, 0x7f800001
	s_xor_b32 exec_lo, exec_lo, s12
	s_cbranch_execz .LBB293_551
.LBB293_664:
	v_cmp_ne_u16_e32 vcc_lo, 0, v14
	v_mov_b32_e32 v15, 0
	s_and_not1_b32 s11, s11, exec_lo
	s_and_b32 s13, vcc_lo, exec_lo
	s_delay_alu instid0(SALU_CYCLE_1)
	s_or_b32 s11, s11, s13
	s_or_b32 exec_lo, exec_lo, s12
	s_and_saveexec_b32 s12, s11
	s_cbranch_execnz .LBB293_552
	s_branch .LBB293_553
.LBB293_665:
	s_mov_b32 s11, -1
	s_mov_b32 s13, exec_lo
	v_cmpx_eq_u16_e32 0x80, v19
; %bb.666:
	s_xor_b32 s11, exec_lo, -1
; %bb.667:
	s_or_b32 exec_lo, exec_lo, s13
	s_delay_alu instid0(SALU_CYCLE_1)
	s_and_b32 s11, s11, exec_lo
                                        ; implicit-def: $vgpr19
	s_or_saveexec_b32 s12, s12
	v_mov_b32_e32 v18, 0x7f800001
	s_xor_b32 exec_lo, exec_lo, s12
	s_cbranch_execz .LBB293_555
.LBB293_668:
	v_cmp_ne_u16_e32 vcc_lo, 0, v19
	v_mov_b32_e32 v18, 0
	s_and_not1_b32 s11, s11, exec_lo
	s_and_b32 s13, vcc_lo, exec_lo
	s_delay_alu instid0(SALU_CYCLE_1)
	s_or_b32 s11, s11, s13
	s_or_b32 exec_lo, exec_lo, s12
	s_and_saveexec_b32 s12, s11
	s_cbranch_execnz .LBB293_556
	s_branch .LBB293_557
.LBB293_669:
	s_mov_b32 s12, -1
	s_mov_b32 s14, exec_lo
	v_cmpx_eq_u16_e32 0x80, v12
; %bb.670:
	s_xor_b32 s12, exec_lo, -1
; %bb.671:
	s_or_b32 exec_lo, exec_lo, s14
	s_delay_alu instid0(SALU_CYCLE_1)
	s_and_b32 s12, s12, exec_lo
	s_or_saveexec_b32 s13, s13
	v_mov_b32_e32 v13, 0x7f800001
	s_xor_b32 exec_lo, exec_lo, s13
	s_cbranch_execz .LBB293_571
.LBB293_672:
	v_cmp_ne_u16_e32 vcc_lo, 0, v12
	v_mov_b32_e32 v13, 0
	s_and_not1_b32 s12, s12, exec_lo
	s_and_b32 s14, vcc_lo, exec_lo
	s_delay_alu instid0(SALU_CYCLE_1)
	s_or_b32 s12, s12, s14
	s_or_b32 exec_lo, exec_lo, s13
	s_and_saveexec_b32 s13, s12
	s_cbranch_execnz .LBB293_572
	s_branch .LBB293_573
.LBB293_673:
	s_mov_b32 s12, -1
	s_mov_b32 s14, exec_lo
	v_cmpx_eq_u16_e32 0x80, v17
; %bb.674:
	s_xor_b32 s12, exec_lo, -1
; %bb.675:
	s_or_b32 exec_lo, exec_lo, s14
	s_delay_alu instid0(SALU_CYCLE_1)
	s_and_b32 s12, s12, exec_lo
                                        ; implicit-def: $vgpr17
	s_or_saveexec_b32 s13, s13
	v_mov_b32_e32 v16, 0x7f800001
	s_xor_b32 exec_lo, exec_lo, s13
	s_cbranch_execz .LBB293_575
.LBB293_676:
	v_cmp_ne_u16_e32 vcc_lo, 0, v17
	v_mov_b32_e32 v16, 0
	s_and_not1_b32 s12, s12, exec_lo
	s_and_b32 s14, vcc_lo, exec_lo
	s_delay_alu instid0(SALU_CYCLE_1)
	s_or_b32 s12, s12, s14
	s_or_b32 exec_lo, exec_lo, s13
	s_and_saveexec_b32 s13, s12
	s_cbranch_execnz .LBB293_576
	s_branch .LBB293_577
.LBB293_677:
	s_mov_b32 s13, -1
	s_mov_b32 s15, exec_lo
	v_cmpx_eq_u16_e32 0x80, v10
; %bb.678:
	s_xor_b32 s13, exec_lo, -1
; %bb.679:
	s_or_b32 exec_lo, exec_lo, s15
	s_delay_alu instid0(SALU_CYCLE_1)
	s_and_b32 s13, s13, exec_lo
	s_or_saveexec_b32 s14, s14
	v_mov_b32_e32 v11, 0x7f800001
	s_xor_b32 exec_lo, exec_lo, s14
	s_cbranch_execz .LBB293_591
.LBB293_680:
	v_cmp_ne_u16_e32 vcc_lo, 0, v10
	v_mov_b32_e32 v11, 0
	s_and_not1_b32 s13, s13, exec_lo
	s_and_b32 s15, vcc_lo, exec_lo
	s_delay_alu instid0(SALU_CYCLE_1)
	s_or_b32 s13, s13, s15
	s_or_b32 exec_lo, exec_lo, s14
	s_and_saveexec_b32 s14, s13
	s_cbranch_execnz .LBB293_592
	s_branch .LBB293_593
.LBB293_681:
	s_mov_b32 s13, -1
	s_mov_b32 s15, exec_lo
	v_cmpx_eq_u16_e32 0x80, v15
; %bb.682:
	s_xor_b32 s13, exec_lo, -1
; %bb.683:
	s_or_b32 exec_lo, exec_lo, s15
	s_delay_alu instid0(SALU_CYCLE_1)
	s_and_b32 s13, s13, exec_lo
                                        ; implicit-def: $vgpr15
	s_or_saveexec_b32 s14, s14
	v_mov_b32_e32 v14, 0x7f800001
	s_xor_b32 exec_lo, exec_lo, s14
	s_cbranch_execz .LBB293_595
.LBB293_684:
	v_cmp_ne_u16_e32 vcc_lo, 0, v15
	v_mov_b32_e32 v14, 0
	s_and_not1_b32 s13, s13, exec_lo
	s_and_b32 s15, vcc_lo, exec_lo
	s_delay_alu instid0(SALU_CYCLE_1)
	s_or_b32 s13, s13, s15
	s_or_b32 exec_lo, exec_lo, s14
	s_and_saveexec_b32 s14, s13
	s_cbranch_execnz .LBB293_596
	s_branch .LBB293_597
.LBB293_685:
	s_mov_b32 s2, -1
	s_mov_b32 s4, exec_lo
	v_cmpx_eq_u16_e32 0x80, v8
; %bb.686:
	s_xor_b32 s2, exec_lo, -1
; %bb.687:
	s_or_b32 exec_lo, exec_lo, s4
	s_delay_alu instid0(SALU_CYCLE_1)
	s_and_b32 s2, s2, exec_lo
	s_or_saveexec_b32 s3, s3
	v_mov_b32_e32 v9, 0x7f800001
	s_xor_b32 exec_lo, exec_lo, s3
	s_cbranch_execz .LBB293_611
.LBB293_688:
	v_cmp_ne_u16_e32 vcc_lo, 0, v8
	v_mov_b32_e32 v9, 0
	s_and_not1_b32 s2, s2, exec_lo
	s_and_b32 s4, vcc_lo, exec_lo
	s_delay_alu instid0(SALU_CYCLE_1)
	s_or_b32 s2, s2, s4
	s_or_b32 exec_lo, exec_lo, s3
	s_and_saveexec_b32 s3, s2
	s_cbranch_execnz .LBB293_612
	s_branch .LBB293_613
.LBB293_689:
	s_mov_b32 s2, -1
	s_mov_b32 s4, exec_lo
	v_cmpx_eq_u16_e32 0x80, v13
; %bb.690:
	s_xor_b32 s2, exec_lo, -1
; %bb.691:
	s_or_b32 exec_lo, exec_lo, s4
	s_delay_alu instid0(SALU_CYCLE_1)
	s_and_b32 s2, s2, exec_lo
                                        ; implicit-def: $vgpr13
	s_or_saveexec_b32 s3, s3
	v_mov_b32_e32 v12, 0x7f800001
	s_xor_b32 exec_lo, exec_lo, s3
	s_cbranch_execz .LBB293_615
.LBB293_692:
	v_cmp_ne_u16_e32 vcc_lo, 0, v13
	v_mov_b32_e32 v12, 0
	s_and_not1_b32 s2, s2, exec_lo
	s_and_b32 s4, vcc_lo, exec_lo
	s_delay_alu instid0(SALU_CYCLE_1)
	s_or_b32 s2, s2, s4
	s_or_b32 exec_lo, exec_lo, s3
	s_and_saveexec_b32 s3, s2
	s_cbranch_execnz .LBB293_616
	s_branch .LBB293_617
.LBB293_693:
	s_mov_b32 s6, -1
	s_mov_b32 s9, exec_lo
	v_cmpx_eq_u16_e32 0x80, v23
; %bb.694:
	s_xor_b32 s6, exec_lo, -1
; %bb.695:
	s_or_b32 exec_lo, exec_lo, s9
	s_delay_alu instid0(SALU_CYCLE_1)
	s_and_b32 s6, s6, exec_lo
                                        ; implicit-def: $vgpr23
	s_or_saveexec_b32 s8, s8
	v_mov_b32_e32 v24, 0x7f800001
	s_xor_b32 exec_lo, exec_lo, s8
	s_cbranch_execz .LBB293_481
.LBB293_696:
	v_cmp_ne_u16_e32 vcc_lo, 0, v23
	v_mov_b32_e32 v24, 0
	s_and_not1_b32 s6, s6, exec_lo
	s_and_b32 s9, vcc_lo, exec_lo
	s_delay_alu instid0(SALU_CYCLE_1)
	s_or_b32 s6, s6, s9
	s_or_b32 exec_lo, exec_lo, s8
	s_and_saveexec_b32 s8, s6
	s_cbranch_execnz .LBB293_482
	s_branch .LBB293_483
.LBB293_697:
	s_mov_b32 s6, -1
	s_mov_b32 s9, exec_lo
	v_cmpx_eq_u16_e32 0x80, v25
; %bb.698:
	s_xor_b32 s6, exec_lo, -1
; %bb.699:
	s_or_b32 exec_lo, exec_lo, s9
	s_delay_alu instid0(SALU_CYCLE_1)
	s_and_b32 s6, s6, exec_lo
                                        ; implicit-def: $vgpr25
	s_or_saveexec_b32 s8, s8
	v_mov_b32_e32 v23, 0x7f800001
	s_xor_b32 exec_lo, exec_lo, s8
	s_cbranch_execz .LBB293_485
.LBB293_700:
	v_cmp_ne_u16_e32 vcc_lo, 0, v25
	v_mov_b32_e32 v23, 0
	s_and_not1_b32 s6, s6, exec_lo
	s_and_b32 s9, vcc_lo, exec_lo
	s_delay_alu instid0(SALU_CYCLE_1)
	s_or_b32 s6, s6, s9
	s_or_b32 exec_lo, exec_lo, s8
	s_and_saveexec_b32 s8, s6
	s_cbranch_execnz .LBB293_486
	s_branch .LBB293_487
.LBB293_701:
	s_mov_b32 s8, -1
	s_mov_b32 s10, exec_lo
	v_cmpx_eq_u16_e32 0x80, v20
; %bb.702:
	s_xor_b32 s8, exec_lo, -1
; %bb.703:
	s_or_b32 exec_lo, exec_lo, s10
	s_delay_alu instid0(SALU_CYCLE_1)
	s_and_b32 s8, s8, exec_lo
                                        ; implicit-def: $vgpr20
	s_or_saveexec_b32 s9, s9
	v_mov_b32_e32 v21, 0x7f800001
	s_xor_b32 exec_lo, exec_lo, s9
	s_cbranch_execz .LBB293_501
.LBB293_704:
	v_cmp_ne_u16_e32 vcc_lo, 0, v20
	v_mov_b32_e32 v21, 0
	s_and_not1_b32 s8, s8, exec_lo
	s_and_b32 s10, vcc_lo, exec_lo
	s_delay_alu instid0(SALU_CYCLE_1)
	s_or_b32 s8, s8, s10
	s_or_b32 exec_lo, exec_lo, s9
	s_and_saveexec_b32 s9, s8
	s_cbranch_execnz .LBB293_502
	s_branch .LBB293_503
.LBB293_705:
	s_mov_b32 s8, -1
	s_mov_b32 s10, exec_lo
	v_cmpx_eq_u16_e32 0x80, v23
; %bb.706:
	s_xor_b32 s8, exec_lo, -1
; %bb.707:
	s_or_b32 exec_lo, exec_lo, s10
	s_delay_alu instid0(SALU_CYCLE_1)
	s_and_b32 s8, s8, exec_lo
                                        ; implicit-def: $vgpr23
	s_or_saveexec_b32 s9, s9
	v_mov_b32_e32 v20, 0x7f800001
	s_xor_b32 exec_lo, exec_lo, s9
	s_cbranch_execz .LBB293_505
.LBB293_708:
	v_cmp_ne_u16_e32 vcc_lo, 0, v23
	v_mov_b32_e32 v20, 0
	s_and_not1_b32 s8, s8, exec_lo
	s_and_b32 s10, vcc_lo, exec_lo
	s_delay_alu instid0(SALU_CYCLE_1)
	s_or_b32 s8, s8, s10
	s_or_b32 exec_lo, exec_lo, s9
	s_and_saveexec_b32 s9, s8
	s_cbranch_execnz .LBB293_506
	s_branch .LBB293_507
.LBB293_709:
	s_mov_b32 s9, -1
	s_mov_b32 s11, exec_lo
	v_cmpx_eq_u16_e32 0x80, v18
; %bb.710:
	s_xor_b32 s9, exec_lo, -1
; %bb.711:
	s_or_b32 exec_lo, exec_lo, s11
	s_delay_alu instid0(SALU_CYCLE_1)
	s_and_b32 s9, s9, exec_lo
                                        ; implicit-def: $vgpr18
	s_or_saveexec_b32 s10, s10
	v_mov_b32_e32 v19, 0x7f800001
	s_xor_b32 exec_lo, exec_lo, s10
	s_cbranch_execz .LBB293_521
.LBB293_712:
	v_cmp_ne_u16_e32 vcc_lo, 0, v18
	v_mov_b32_e32 v19, 0
	s_and_not1_b32 s9, s9, exec_lo
	s_and_b32 s11, vcc_lo, exec_lo
	s_delay_alu instid0(SALU_CYCLE_1)
	s_or_b32 s9, s9, s11
	s_or_b32 exec_lo, exec_lo, s10
	s_and_saveexec_b32 s10, s9
	s_cbranch_execnz .LBB293_522
	s_branch .LBB293_523
.LBB293_713:
	s_mov_b32 s9, -1
	s_mov_b32 s11, exec_lo
	v_cmpx_eq_u16_e32 0x80, v21
; %bb.714:
	s_xor_b32 s9, exec_lo, -1
; %bb.715:
	s_or_b32 exec_lo, exec_lo, s11
	s_delay_alu instid0(SALU_CYCLE_1)
	s_and_b32 s9, s9, exec_lo
                                        ; implicit-def: $vgpr21
	s_or_saveexec_b32 s10, s10
	v_mov_b32_e32 v18, 0x7f800001
	s_xor_b32 exec_lo, exec_lo, s10
	s_cbranch_execz .LBB293_525
.LBB293_716:
	v_cmp_ne_u16_e32 vcc_lo, 0, v21
	v_mov_b32_e32 v18, 0
	s_and_not1_b32 s9, s9, exec_lo
	s_and_b32 s11, vcc_lo, exec_lo
	s_delay_alu instid0(SALU_CYCLE_1)
	s_or_b32 s9, s9, s11
	s_or_b32 exec_lo, exec_lo, s10
	s_and_saveexec_b32 s10, s9
	s_cbranch_execnz .LBB293_526
	s_branch .LBB293_527
.LBB293_717:
	s_mov_b32 s10, -1
	s_mov_b32 s12, exec_lo
	v_cmpx_eq_u16_e32 0x80, v16
; %bb.718:
	s_xor_b32 s10, exec_lo, -1
; %bb.719:
	s_or_b32 exec_lo, exec_lo, s12
	s_delay_alu instid0(SALU_CYCLE_1)
	s_and_b32 s10, s10, exec_lo
                                        ; implicit-def: $vgpr16
	s_or_saveexec_b32 s11, s11
	v_mov_b32_e32 v17, 0x7f800001
	s_xor_b32 exec_lo, exec_lo, s11
	s_cbranch_execz .LBB293_541
.LBB293_720:
	v_cmp_ne_u16_e32 vcc_lo, 0, v16
	v_mov_b32_e32 v17, 0
	s_and_not1_b32 s10, s10, exec_lo
	s_and_b32 s12, vcc_lo, exec_lo
	s_delay_alu instid0(SALU_CYCLE_1)
	s_or_b32 s10, s10, s12
	s_or_b32 exec_lo, exec_lo, s11
	s_and_saveexec_b32 s11, s10
	s_cbranch_execnz .LBB293_542
	s_branch .LBB293_543
.LBB293_721:
	s_mov_b32 s10, -1
	s_mov_b32 s12, exec_lo
	v_cmpx_eq_u16_e32 0x80, v19
; %bb.722:
	s_xor_b32 s10, exec_lo, -1
; %bb.723:
	s_or_b32 exec_lo, exec_lo, s12
	s_delay_alu instid0(SALU_CYCLE_1)
	s_and_b32 s10, s10, exec_lo
                                        ; implicit-def: $vgpr19
	s_or_saveexec_b32 s11, s11
	v_mov_b32_e32 v16, 0x7f800001
	s_xor_b32 exec_lo, exec_lo, s11
	s_cbranch_execz .LBB293_545
.LBB293_724:
	v_cmp_ne_u16_e32 vcc_lo, 0, v19
	v_mov_b32_e32 v16, 0
	s_and_not1_b32 s10, s10, exec_lo
	s_and_b32 s12, vcc_lo, exec_lo
	s_delay_alu instid0(SALU_CYCLE_1)
	s_or_b32 s10, s10, s12
	s_or_b32 exec_lo, exec_lo, s11
	s_and_saveexec_b32 s11, s10
	s_cbranch_execnz .LBB293_546
	s_branch .LBB293_547
.LBB293_725:
	s_mov_b32 s11, -1
	s_mov_b32 s13, exec_lo
	v_cmpx_eq_u16_e32 0x80, v14
; %bb.726:
	s_xor_b32 s11, exec_lo, -1
; %bb.727:
	s_or_b32 exec_lo, exec_lo, s13
	s_delay_alu instid0(SALU_CYCLE_1)
	s_and_b32 s11, s11, exec_lo
                                        ; implicit-def: $vgpr14
	s_or_saveexec_b32 s12, s12
	v_mov_b32_e32 v15, 0x7f800001
	s_xor_b32 exec_lo, exec_lo, s12
	s_cbranch_execz .LBB293_561
.LBB293_728:
	v_cmp_ne_u16_e32 vcc_lo, 0, v14
	v_mov_b32_e32 v15, 0
	s_and_not1_b32 s11, s11, exec_lo
	s_and_b32 s13, vcc_lo, exec_lo
	s_delay_alu instid0(SALU_CYCLE_1)
	s_or_b32 s11, s11, s13
	s_or_b32 exec_lo, exec_lo, s12
	s_and_saveexec_b32 s12, s11
	s_cbranch_execnz .LBB293_562
	s_branch .LBB293_563
.LBB293_729:
	s_mov_b32 s11, -1
	s_mov_b32 s13, exec_lo
	v_cmpx_eq_u16_e32 0x80, v17
; %bb.730:
	s_xor_b32 s11, exec_lo, -1
; %bb.731:
	s_or_b32 exec_lo, exec_lo, s13
	s_delay_alu instid0(SALU_CYCLE_1)
	s_and_b32 s11, s11, exec_lo
                                        ; implicit-def: $vgpr17
	s_or_saveexec_b32 s12, s12
	v_mov_b32_e32 v14, 0x7f800001
	s_xor_b32 exec_lo, exec_lo, s12
	s_cbranch_execz .LBB293_565
.LBB293_732:
	v_cmp_ne_u16_e32 vcc_lo, 0, v17
	v_mov_b32_e32 v14, 0
	s_and_not1_b32 s11, s11, exec_lo
	s_and_b32 s13, vcc_lo, exec_lo
	s_delay_alu instid0(SALU_CYCLE_1)
	s_or_b32 s11, s11, s13
	s_or_b32 exec_lo, exec_lo, s12
	s_and_saveexec_b32 s12, s11
	s_cbranch_execnz .LBB293_566
	s_branch .LBB293_567
.LBB293_733:
	s_mov_b32 s12, -1
	s_mov_b32 s14, exec_lo
	v_cmpx_eq_u16_e32 0x80, v12
; %bb.734:
	s_xor_b32 s12, exec_lo, -1
; %bb.735:
	s_or_b32 exec_lo, exec_lo, s14
	s_delay_alu instid0(SALU_CYCLE_1)
	s_and_b32 s12, s12, exec_lo
                                        ; implicit-def: $vgpr12
	s_or_saveexec_b32 s13, s13
	v_mov_b32_e32 v13, 0x7f800001
	s_xor_b32 exec_lo, exec_lo, s13
	s_cbranch_execz .LBB293_581
.LBB293_736:
	v_cmp_ne_u16_e32 vcc_lo, 0, v12
	v_mov_b32_e32 v13, 0
	s_and_not1_b32 s12, s12, exec_lo
	s_and_b32 s14, vcc_lo, exec_lo
	s_delay_alu instid0(SALU_CYCLE_1)
	s_or_b32 s12, s12, s14
	s_or_b32 exec_lo, exec_lo, s13
	s_and_saveexec_b32 s13, s12
	s_cbranch_execnz .LBB293_582
	s_branch .LBB293_583
.LBB293_737:
	s_mov_b32 s12, -1
	s_mov_b32 s14, exec_lo
	v_cmpx_eq_u16_e32 0x80, v15
; %bb.738:
	s_xor_b32 s12, exec_lo, -1
; %bb.739:
	s_or_b32 exec_lo, exec_lo, s14
	s_delay_alu instid0(SALU_CYCLE_1)
	s_and_b32 s12, s12, exec_lo
                                        ; implicit-def: $vgpr15
	s_or_saveexec_b32 s13, s13
	v_mov_b32_e32 v12, 0x7f800001
	s_xor_b32 exec_lo, exec_lo, s13
	s_cbranch_execz .LBB293_585
.LBB293_740:
	v_cmp_ne_u16_e32 vcc_lo, 0, v15
	v_mov_b32_e32 v12, 0
	s_and_not1_b32 s12, s12, exec_lo
	s_and_b32 s14, vcc_lo, exec_lo
	s_delay_alu instid0(SALU_CYCLE_1)
	s_or_b32 s12, s12, s14
	s_or_b32 exec_lo, exec_lo, s13
	s_and_saveexec_b32 s13, s12
	s_cbranch_execnz .LBB293_586
	s_branch .LBB293_587
.LBB293_741:
	s_mov_b32 s13, -1
	s_mov_b32 s15, exec_lo
	v_cmpx_eq_u16_e32 0x80, v10
; %bb.742:
	s_xor_b32 s13, exec_lo, -1
; %bb.743:
	s_or_b32 exec_lo, exec_lo, s15
	s_delay_alu instid0(SALU_CYCLE_1)
	s_and_b32 s13, s13, exec_lo
                                        ; implicit-def: $vgpr10
	s_or_saveexec_b32 s14, s14
	v_mov_b32_e32 v11, 0x7f800001
	s_xor_b32 exec_lo, exec_lo, s14
	s_cbranch_execz .LBB293_601
.LBB293_744:
	v_cmp_ne_u16_e32 vcc_lo, 0, v10
	v_mov_b32_e32 v11, 0
	s_and_not1_b32 s13, s13, exec_lo
	s_and_b32 s15, vcc_lo, exec_lo
	s_delay_alu instid0(SALU_CYCLE_1)
	s_or_b32 s13, s13, s15
	s_or_b32 exec_lo, exec_lo, s14
	s_and_saveexec_b32 s14, s13
	s_cbranch_execnz .LBB293_602
	s_branch .LBB293_603
.LBB293_745:
	s_mov_b32 s13, -1
	s_mov_b32 s15, exec_lo
	v_cmpx_eq_u16_e32 0x80, v13
; %bb.746:
	s_xor_b32 s13, exec_lo, -1
; %bb.747:
	s_or_b32 exec_lo, exec_lo, s15
	s_delay_alu instid0(SALU_CYCLE_1)
	s_and_b32 s13, s13, exec_lo
                                        ; implicit-def: $vgpr13
	s_or_saveexec_b32 s14, s14
	v_mov_b32_e32 v10, 0x7f800001
	s_xor_b32 exec_lo, exec_lo, s14
	s_cbranch_execz .LBB293_605
.LBB293_748:
	v_cmp_ne_u16_e32 vcc_lo, 0, v13
	v_mov_b32_e32 v10, 0
	s_and_not1_b32 s13, s13, exec_lo
	s_and_b32 s15, vcc_lo, exec_lo
	s_delay_alu instid0(SALU_CYCLE_1)
	s_or_b32 s13, s13, s15
	s_or_b32 exec_lo, exec_lo, s14
	s_and_saveexec_b32 s14, s13
	s_cbranch_execnz .LBB293_606
	s_branch .LBB293_607
.LBB293_749:
	s_mov_b32 s2, -1
	s_mov_b32 s4, exec_lo
	v_cmpx_eq_u16_e32 0x80, v8
; %bb.750:
	s_xor_b32 s2, exec_lo, -1
; %bb.751:
	s_or_b32 exec_lo, exec_lo, s4
	s_delay_alu instid0(SALU_CYCLE_1)
	s_and_b32 s2, s2, exec_lo
                                        ; implicit-def: $vgpr8
	s_or_saveexec_b32 s3, s3
	v_mov_b32_e32 v9, 0x7f800001
	s_xor_b32 exec_lo, exec_lo, s3
	s_cbranch_execz .LBB293_621
.LBB293_752:
	v_cmp_ne_u16_e32 vcc_lo, 0, v8
	v_mov_b32_e32 v9, 0
	s_and_not1_b32 s2, s2, exec_lo
	s_and_b32 s4, vcc_lo, exec_lo
	s_delay_alu instid0(SALU_CYCLE_1)
	s_or_b32 s2, s2, s4
	s_or_b32 exec_lo, exec_lo, s3
	s_and_saveexec_b32 s3, s2
	s_cbranch_execnz .LBB293_622
	s_branch .LBB293_623
.LBB293_753:
	s_mov_b32 s2, -1
	s_mov_b32 s4, exec_lo
	v_cmpx_eq_u16_e32 0x80, v11
; %bb.754:
	s_xor_b32 s2, exec_lo, -1
; %bb.755:
	s_or_b32 exec_lo, exec_lo, s4
	s_delay_alu instid0(SALU_CYCLE_1)
	s_and_b32 s2, s2, exec_lo
                                        ; implicit-def: $vgpr11
	s_or_saveexec_b32 s3, s3
	v_mov_b32_e32 v8, 0x7f800001
	s_xor_b32 exec_lo, exec_lo, s3
	s_cbranch_execz .LBB293_625
.LBB293_756:
	v_cmp_ne_u16_e32 vcc_lo, 0, v11
	v_mov_b32_e32 v8, 0
	s_and_not1_b32 s2, s2, exec_lo
	s_and_b32 s4, vcc_lo, exec_lo
	s_delay_alu instid0(SALU_CYCLE_1)
	s_or_b32 s2, s2, s4
	s_or_b32 exec_lo, exec_lo, s3
	s_and_saveexec_b32 s3, s2
	s_cbranch_execnz .LBB293_626
	s_branch .LBB293_627
.LBB293_757:
	s_mov_b32 s2, -1
	s_mov_b32 s4, exec_lo
	v_cmpx_eq_u16_e32 0x80, v2
; %bb.758:
	s_xor_b32 s2, exec_lo, -1
; %bb.759:
	s_or_b32 exec_lo, exec_lo, s4
	s_delay_alu instid0(SALU_CYCLE_1)
	s_and_b32 s2, s2, exec_lo
	s_or_saveexec_b32 s3, s3
	v_mov_b32_e32 v3, 0x7f800001
	s_xor_b32 exec_lo, exec_lo, s3
	s_cbranch_execz .LBB293_359
.LBB293_760:
	v_cmp_ne_u16_e32 vcc_lo, 0, v2
	v_mov_b32_e32 v3, 0
	s_and_not1_b32 s2, s2, exec_lo
	s_and_b32 s4, vcc_lo, exec_lo
	s_delay_alu instid0(SALU_CYCLE_1)
	s_or_b32 s2, s2, s4
	s_or_b32 exec_lo, exec_lo, s3
	s_and_saveexec_b32 s3, s2
	s_cbranch_execnz .LBB293_360
	s_branch .LBB293_361
.LBB293_761:
	s_mov_b32 s2, -1
	s_mov_b32 s4, exec_lo
	v_cmpx_eq_u16_e32 0x80, v6
; %bb.762:
	s_xor_b32 s2, exec_lo, -1
; %bb.763:
	s_or_b32 exec_lo, exec_lo, s4
	s_delay_alu instid0(SALU_CYCLE_1)
	s_and_b32 s2, s2, exec_lo
                                        ; implicit-def: $vgpr6
	s_or_saveexec_b32 s3, s3
	v_mov_b32_e32 v5, 0x7f800001
	s_xor_b32 exec_lo, exec_lo, s3
	s_cbranch_execz .LBB293_363
.LBB293_764:
	v_cmp_ne_u16_e32 vcc_lo, 0, v6
	v_mov_b32_e32 v5, 0
	s_and_not1_b32 s2, s2, exec_lo
	s_and_b32 s4, vcc_lo, exec_lo
	s_delay_alu instid0(SALU_CYCLE_1)
	s_or_b32 s2, s2, s4
	s_or_b32 exec_lo, exec_lo, s3
	s_and_saveexec_b32 s3, s2
	s_cbranch_execnz .LBB293_364
	s_branch .LBB293_365
.LBB293_765:
	s_mov_b32 s2, -1
	s_mov_b32 s4, exec_lo
	v_cmpx_eq_u16_e32 0x80, v2
; %bb.766:
	s_xor_b32 s2, exec_lo, -1
; %bb.767:
	s_or_b32 exec_lo, exec_lo, s4
	s_delay_alu instid0(SALU_CYCLE_1)
	s_and_b32 s2, s2, exec_lo
                                        ; implicit-def: $vgpr2
	s_or_saveexec_b32 s3, s3
	v_mov_b32_e32 v3, 0x7f800001
	s_xor_b32 exec_lo, exec_lo, s3
	s_cbranch_execz .LBB293_369
.LBB293_768:
	v_cmp_ne_u16_e32 vcc_lo, 0, v2
	v_mov_b32_e32 v3, 0
	s_and_not1_b32 s2, s2, exec_lo
	s_and_b32 s4, vcc_lo, exec_lo
	s_delay_alu instid0(SALU_CYCLE_1)
	s_or_b32 s2, s2, s4
	s_or_b32 exec_lo, exec_lo, s3
	s_and_saveexec_b32 s3, s2
	s_cbranch_execnz .LBB293_370
	s_branch .LBB293_371
.LBB293_769:
	s_mov_b32 s2, -1
	s_mov_b32 s4, exec_lo
	v_cmpx_eq_u16_e32 0x80, v2
; %bb.770:
	s_xor_b32 s2, exec_lo, -1
; %bb.771:
	s_or_b32 exec_lo, exec_lo, s4
	s_delay_alu instid0(SALU_CYCLE_1)
	s_and_b32 s2, s2, exec_lo
                                        ; implicit-def: $vgpr2
	s_or_saveexec_b32 s3, s3
	v_mov_b32_e32 v1, 0x7f800001
	s_xor_b32 exec_lo, exec_lo, s3
	s_cbranch_execz .LBB293_373
.LBB293_772:
	v_cmp_ne_u16_e32 vcc_lo, 0, v2
	v_mov_b32_e32 v1, 0
	s_and_not1_b32 s2, s2, exec_lo
	s_and_b32 s4, vcc_lo, exec_lo
	s_delay_alu instid0(SALU_CYCLE_1)
	s_or_b32 s2, s2, s4
	s_or_b32 exec_lo, exec_lo, s3
	s_and_saveexec_b32 s3, s2
	s_cbranch_execnz .LBB293_374
	s_branch .LBB293_375
	.section	.rodata,"a",@progbits
	.p2align	6, 0x0
	.amdhsa_kernel _ZN2at6native32elementwise_kernel_manual_unrollILi128ELi8EZNS0_22gpu_kernel_impl_nocastINS0_13BinaryFunctorIN3c1015Float8_e4m3fnuzES5_bNS0_12_GLOBAL__N_116CompareEqFunctorIS5_EEEEEEvRNS_18TensorIteratorBaseERKT_EUlibE_EEviT1_
		.amdhsa_group_segment_fixed_size 0
		.amdhsa_private_segment_fixed_size 0
		.amdhsa_kernarg_size 432
		.amdhsa_user_sgpr_count 2
		.amdhsa_user_sgpr_dispatch_ptr 0
		.amdhsa_user_sgpr_queue_ptr 0
		.amdhsa_user_sgpr_kernarg_segment_ptr 1
		.amdhsa_user_sgpr_dispatch_id 0
		.amdhsa_user_sgpr_kernarg_preload_length 0
		.amdhsa_user_sgpr_kernarg_preload_offset 0
		.amdhsa_user_sgpr_private_segment_size 0
		.amdhsa_wavefront_size32 1
		.amdhsa_uses_dynamic_stack 0
		.amdhsa_enable_private_segment 0
		.amdhsa_system_sgpr_workgroup_id_x 1
		.amdhsa_system_sgpr_workgroup_id_y 0
		.amdhsa_system_sgpr_workgroup_id_z 0
		.amdhsa_system_sgpr_workgroup_info 0
		.amdhsa_system_vgpr_workitem_id 0
		.amdhsa_next_free_vgpr 31
		.amdhsa_next_free_sgpr 46
		.amdhsa_named_barrier_count 0
		.amdhsa_reserve_vcc 1
		.amdhsa_float_round_mode_32 0
		.amdhsa_float_round_mode_16_64 0
		.amdhsa_float_denorm_mode_32 3
		.amdhsa_float_denorm_mode_16_64 3
		.amdhsa_fp16_overflow 0
		.amdhsa_memory_ordered 1
		.amdhsa_forward_progress 1
		.amdhsa_inst_pref_size 229
		.amdhsa_round_robin_scheduling 0
		.amdhsa_exception_fp_ieee_invalid_op 0
		.amdhsa_exception_fp_denorm_src 0
		.amdhsa_exception_fp_ieee_div_zero 0
		.amdhsa_exception_fp_ieee_overflow 0
		.amdhsa_exception_fp_ieee_underflow 0
		.amdhsa_exception_fp_ieee_inexact 0
		.amdhsa_exception_int_div_zero 0
	.end_amdhsa_kernel
	.section	.text._ZN2at6native32elementwise_kernel_manual_unrollILi128ELi8EZNS0_22gpu_kernel_impl_nocastINS0_13BinaryFunctorIN3c1015Float8_e4m3fnuzES5_bNS0_12_GLOBAL__N_116CompareEqFunctorIS5_EEEEEEvRNS_18TensorIteratorBaseERKT_EUlibE_EEviT1_,"axG",@progbits,_ZN2at6native32elementwise_kernel_manual_unrollILi128ELi8EZNS0_22gpu_kernel_impl_nocastINS0_13BinaryFunctorIN3c1015Float8_e4m3fnuzES5_bNS0_12_GLOBAL__N_116CompareEqFunctorIS5_EEEEEEvRNS_18TensorIteratorBaseERKT_EUlibE_EEviT1_,comdat
.Lfunc_end293:
	.size	_ZN2at6native32elementwise_kernel_manual_unrollILi128ELi8EZNS0_22gpu_kernel_impl_nocastINS0_13BinaryFunctorIN3c1015Float8_e4m3fnuzES5_bNS0_12_GLOBAL__N_116CompareEqFunctorIS5_EEEEEEvRNS_18TensorIteratorBaseERKT_EUlibE_EEviT1_, .Lfunc_end293-_ZN2at6native32elementwise_kernel_manual_unrollILi128ELi8EZNS0_22gpu_kernel_impl_nocastINS0_13BinaryFunctorIN3c1015Float8_e4m3fnuzES5_bNS0_12_GLOBAL__N_116CompareEqFunctorIS5_EEEEEEvRNS_18TensorIteratorBaseERKT_EUlibE_EEviT1_
                                        ; -- End function
	.set _ZN2at6native32elementwise_kernel_manual_unrollILi128ELi8EZNS0_22gpu_kernel_impl_nocastINS0_13BinaryFunctorIN3c1015Float8_e4m3fnuzES5_bNS0_12_GLOBAL__N_116CompareEqFunctorIS5_EEEEEEvRNS_18TensorIteratorBaseERKT_EUlibE_EEviT1_.num_vgpr, 31
	.set _ZN2at6native32elementwise_kernel_manual_unrollILi128ELi8EZNS0_22gpu_kernel_impl_nocastINS0_13BinaryFunctorIN3c1015Float8_e4m3fnuzES5_bNS0_12_GLOBAL__N_116CompareEqFunctorIS5_EEEEEEvRNS_18TensorIteratorBaseERKT_EUlibE_EEviT1_.num_agpr, 0
	.set _ZN2at6native32elementwise_kernel_manual_unrollILi128ELi8EZNS0_22gpu_kernel_impl_nocastINS0_13BinaryFunctorIN3c1015Float8_e4m3fnuzES5_bNS0_12_GLOBAL__N_116CompareEqFunctorIS5_EEEEEEvRNS_18TensorIteratorBaseERKT_EUlibE_EEviT1_.numbered_sgpr, 46
	.set _ZN2at6native32elementwise_kernel_manual_unrollILi128ELi8EZNS0_22gpu_kernel_impl_nocastINS0_13BinaryFunctorIN3c1015Float8_e4m3fnuzES5_bNS0_12_GLOBAL__N_116CompareEqFunctorIS5_EEEEEEvRNS_18TensorIteratorBaseERKT_EUlibE_EEviT1_.num_named_barrier, 0
	.set _ZN2at6native32elementwise_kernel_manual_unrollILi128ELi8EZNS0_22gpu_kernel_impl_nocastINS0_13BinaryFunctorIN3c1015Float8_e4m3fnuzES5_bNS0_12_GLOBAL__N_116CompareEqFunctorIS5_EEEEEEvRNS_18TensorIteratorBaseERKT_EUlibE_EEviT1_.private_seg_size, 0
	.set _ZN2at6native32elementwise_kernel_manual_unrollILi128ELi8EZNS0_22gpu_kernel_impl_nocastINS0_13BinaryFunctorIN3c1015Float8_e4m3fnuzES5_bNS0_12_GLOBAL__N_116CompareEqFunctorIS5_EEEEEEvRNS_18TensorIteratorBaseERKT_EUlibE_EEviT1_.uses_vcc, 1
	.set _ZN2at6native32elementwise_kernel_manual_unrollILi128ELi8EZNS0_22gpu_kernel_impl_nocastINS0_13BinaryFunctorIN3c1015Float8_e4m3fnuzES5_bNS0_12_GLOBAL__N_116CompareEqFunctorIS5_EEEEEEvRNS_18TensorIteratorBaseERKT_EUlibE_EEviT1_.uses_flat_scratch, 0
	.set _ZN2at6native32elementwise_kernel_manual_unrollILi128ELi8EZNS0_22gpu_kernel_impl_nocastINS0_13BinaryFunctorIN3c1015Float8_e4m3fnuzES5_bNS0_12_GLOBAL__N_116CompareEqFunctorIS5_EEEEEEvRNS_18TensorIteratorBaseERKT_EUlibE_EEviT1_.has_dyn_sized_stack, 0
	.set _ZN2at6native32elementwise_kernel_manual_unrollILi128ELi8EZNS0_22gpu_kernel_impl_nocastINS0_13BinaryFunctorIN3c1015Float8_e4m3fnuzES5_bNS0_12_GLOBAL__N_116CompareEqFunctorIS5_EEEEEEvRNS_18TensorIteratorBaseERKT_EUlibE_EEviT1_.has_recursion, 0
	.set _ZN2at6native32elementwise_kernel_manual_unrollILi128ELi8EZNS0_22gpu_kernel_impl_nocastINS0_13BinaryFunctorIN3c1015Float8_e4m3fnuzES5_bNS0_12_GLOBAL__N_116CompareEqFunctorIS5_EEEEEEvRNS_18TensorIteratorBaseERKT_EUlibE_EEviT1_.has_indirect_call, 0
	.section	.AMDGPU.csdata,"",@progbits
; Kernel info:
; codeLenInByte = 29220
; TotalNumSgprs: 48
; NumVgprs: 31
; ScratchSize: 0
; MemoryBound: 0
; FloatMode: 240
; IeeeMode: 1
; LDSByteSize: 0 bytes/workgroup (compile time only)
; SGPRBlocks: 0
; VGPRBlocks: 1
; NumSGPRsForWavesPerEU: 48
; NumVGPRsForWavesPerEU: 31
; NamedBarCnt: 0
; Occupancy: 16
; WaveLimiterHint : 1
; COMPUTE_PGM_RSRC2:SCRATCH_EN: 0
; COMPUTE_PGM_RSRC2:USER_SGPR: 2
; COMPUTE_PGM_RSRC2:TRAP_HANDLER: 0
; COMPUTE_PGM_RSRC2:TGID_X_EN: 1
; COMPUTE_PGM_RSRC2:TGID_Y_EN: 0
; COMPUTE_PGM_RSRC2:TGID_Z_EN: 0
; COMPUTE_PGM_RSRC2:TIDIG_COMP_CNT: 0
	.text
	.p2align	2                               ; -- Begin function _ZN2at6native6invokeINS0_13BinaryFunctorIN3c1015Float8_e4m3fnuzES4_bNS0_12_GLOBAL__N_116CompareEqFunctorIS4_EEEEi15function_traitsIS8_EEENT1_11result_typeERKT_PrKPcPKT0_PKNS3_10ScalarTypeEi
	.type	_ZN2at6native6invokeINS0_13BinaryFunctorIN3c1015Float8_e4m3fnuzES4_bNS0_12_GLOBAL__N_116CompareEqFunctorIS4_EEEEi15function_traitsIS8_EEENT1_11result_typeERKT_PrKPcPKT0_PKNS3_10ScalarTypeEi,@function
_ZN2at6native6invokeINS0_13BinaryFunctorIN3c1015Float8_e4m3fnuzES4_bNS0_12_GLOBAL__N_116CompareEqFunctorIS4_EEEEi15function_traitsIS8_EEENT1_11result_typeERKT_PrKPcPKT0_PKNS3_10ScalarTypeEi: ; @_ZN2at6native6invokeINS0_13BinaryFunctorIN3c1015Float8_e4m3fnuzES4_bNS0_12_GLOBAL__N_116CompareEqFunctorIS4_EEEEi15function_traitsIS8_EEENT1_11result_typeERKT_PrKPcPKT0_PKNS3_10ScalarTypeEi
; %bb.0:
	s_wait_loadcnt_dscnt 0x0
	s_wait_kmcnt 0x0
	v_dual_mov_b32 v9, v6 :: v_dual_mov_b32 v8, v5
	v_dual_mov_b32 v5, v4 :: v_dual_mov_b32 v4, v3
	;; [unrolled: 1-line block ×3, first 2 shown]
	flat_load_b32 v1, v[4:5]
	flat_load_b64 v[10:11], v[2:3]
	flat_load_u8 v6, v[8:9]
	s_mov_b32 s3, 0
	s_mov_b32 s0, 0
	s_mov_b32 s1, exec_lo
	s_wait_loadcnt_dscnt 0x202
	v_mul_lo_u32 v12, v1, v7
                                        ; implicit-def: $vgpr1
	s_delay_alu instid0(VALU_DEP_1) | instskip(SKIP_1) | instid1(VALU_DEP_1)
	v_ashrrev_i32_e32 v13, 31, v12
	s_wait_loadcnt_dscnt 0x101
	v_add_nc_u64_e32 v[10:11], v[10:11], v[12:13]
	s_wait_loadcnt_dscnt 0x0
	v_cmpx_lt_i16_e32 10, v6
	s_xor_b32 s1, exec_lo, s1
	s_cbranch_execz .LBB294_13
; %bb.1:
	s_mov_b32 s4, 0
	s_mov_b32 s2, 0
	s_mov_b32 s3, exec_lo
                                        ; implicit-def: $vgpr1
	v_cmpx_lt_i16_e32 25, v6
	s_xor_b32 s3, exec_lo, s3
	s_cbranch_execnz .LBB294_268
; %bb.2:
	s_and_not1_saveexec_b32 s3, s3
	s_cbranch_execnz .LBB294_325
.LBB294_3:
	s_or_b32 exec_lo, exec_lo, s3
	s_mov_b32 s3, 0
	s_and_saveexec_b32 s5, s4
	s_cbranch_execnz .LBB294_372
.LBB294_4:
	s_or_b32 exec_lo, exec_lo, s5
	s_and_saveexec_b32 s4, s0
	s_delay_alu instid0(SALU_CYCLE_1)
	s_xor_b32 s0, exec_lo, s4
	s_cbranch_execz .LBB294_12
.LBB294_5:
	s_wait_loadcnt_dscnt 0x0
	flat_load_u8 v1, v[10:11]
	s_mov_b32 s5, 0
	s_mov_b32 s4, exec_lo
	s_wait_loadcnt_dscnt 0x0
	v_cmp_ne_u16_e32 vcc_lo, 0, v1
	v_mov_b32_e32 v1, 0x80
	s_wait_xcnt 0x0
	v_cndmask_b32_e64 v10, 0, 1.0, vcc_lo
	s_delay_alu instid0(VALU_DEP_1)
	v_cmpx_gt_u32_e32 0x43800000, v10
	s_cbranch_execz .LBB294_11
; %bb.6:
	s_mov_b32 s6, exec_lo
                                        ; implicit-def: $vgpr6
	v_cmpx_lt_u32_e32 0x3bffffff, v10
	s_xor_b32 s6, exec_lo, s6
	s_cbranch_execnz .LBB294_496
; %bb.7:
	s_and_not1_saveexec_b32 s6, s6
	s_cbranch_execnz .LBB294_497
.LBB294_8:
	s_or_b32 exec_lo, exec_lo, s6
	v_mov_b32_e32 v1, 0
	s_and_saveexec_b32 s6, s5
.LBB294_9:
	v_mov_b32_e32 v1, v6
.LBB294_10:
	s_or_b32 exec_lo, exec_lo, s6
.LBB294_11:
	s_delay_alu instid0(SALU_CYCLE_1) | instskip(NEXT) | instid1(SALU_CYCLE_1)
	s_or_b32 exec_lo, exec_lo, s4
	s_or_b32 s2, s2, exec_lo
.LBB294_12:
	s_or_b32 exec_lo, exec_lo, s0
	s_delay_alu instid0(SALU_CYCLE_1)
	s_and_b32 s0, s3, exec_lo
	s_and_b32 s3, s2, exec_lo
                                        ; implicit-def: $vgpr6
                                        ; implicit-def: $vgpr10_vgpr11
.LBB294_13:
	s_and_not1_saveexec_b32 s1, s1
	s_cbranch_execz .LBB294_121
; %bb.14:
	s_mov_b32 s2, exec_lo
                                        ; implicit-def: $vgpr1
	v_cmpx_lt_i16_e32 4, v6
	s_xor_b32 s2, exec_lo, s2
	s_cbranch_execz .LBB294_72
; %bb.15:
	s_mov_b32 s4, exec_lo
                                        ; implicit-def: $vgpr1
	v_cmpx_lt_i16_e32 7, v6
	s_xor_b32 s4, exec_lo, s4
	;; [unrolled: 6-line block ×4, first 2 shown]
	s_cbranch_execz .LBB294_25
; %bb.18:
	flat_load_b64 v[10:11], v[10:11]
	s_wait_loadcnt_dscnt 0x101
	v_mov_b32_e32 v1, 0x80
	s_mov_b32 s7, exec_lo
	s_wait_loadcnt_dscnt 0x0
	v_cvt_f32_f64_e32 v6, v[10:11]
	s_wait_xcnt 0x0
	s_delay_alu instid0(VALU_DEP_1) | instskip(NEXT) | instid1(VALU_DEP_1)
	v_and_b32_e32 v10, 0x7fffffff, v6
	v_cmpx_gt_u32_e32 0x43800000, v10
	s_cbranch_execz .LBB294_24
; %bb.19:
	v_cmp_lt_u32_e32 vcc_lo, 0x3bffffff, v10
	s_mov_b32 s8, 0
                                        ; implicit-def: $vgpr10
	s_and_saveexec_b32 s9, vcc_lo
	s_delay_alu instid0(SALU_CYCLE_1)
	s_xor_b32 s9, exec_lo, s9
	s_cbranch_execnz .LBB294_524
; %bb.20:
	s_and_not1_saveexec_b32 s9, s9
	s_cbranch_execnz .LBB294_525
.LBB294_21:
	s_or_b32 exec_lo, exec_lo, s9
	v_mov_b32_e32 v1, 0
	s_and_saveexec_b32 s9, s8
.LBB294_22:
	v_lshrrev_b32_e32 v1, 24, v6
	s_delay_alu instid0(VALU_DEP_1)
	v_and_or_b32 v1, 0x80, v1, v10
.LBB294_23:
	s_or_b32 exec_lo, exec_lo, s9
.LBB294_24:
	s_delay_alu instid0(SALU_CYCLE_1)
	s_or_b32 exec_lo, exec_lo, s7
                                        ; implicit-def: $vgpr10_vgpr11
.LBB294_25:
	s_and_not1_saveexec_b32 s6, s6
	s_cbranch_execz .LBB294_33
; %bb.26:
	flat_load_b32 v6, v[10:11]
	s_wait_loadcnt_dscnt 0x101
	v_mov_b32_e32 v1, 0x80
	s_mov_b32 s7, exec_lo
	s_wait_loadcnt_dscnt 0x0
	v_and_b32_e32 v10, 0x7fffffff, v6
	s_delay_alu instid0(VALU_DEP_1)
	v_cmpx_gt_u32_e32 0x43800000, v10
	s_cbranch_execz .LBB294_32
; %bb.27:
	v_cmp_lt_u32_e32 vcc_lo, 0x3bffffff, v10
	s_mov_b32 s8, 0
                                        ; implicit-def: $vgpr10
	s_and_saveexec_b32 s9, vcc_lo
	s_delay_alu instid0(SALU_CYCLE_1)
	s_xor_b32 s9, exec_lo, s9
	s_cbranch_execnz .LBB294_526
; %bb.28:
	s_and_not1_saveexec_b32 s9, s9
	s_cbranch_execnz .LBB294_527
.LBB294_29:
	s_or_b32 exec_lo, exec_lo, s9
	v_mov_b32_e32 v1, 0
	s_and_saveexec_b32 s9, s8
.LBB294_30:
	v_lshrrev_b32_e32 v1, 24, v6
	s_delay_alu instid0(VALU_DEP_1)
	v_and_or_b32 v1, 0x80, v1, v10
.LBB294_31:
	s_or_b32 exec_lo, exec_lo, s9
.LBB294_32:
	s_delay_alu instid0(SALU_CYCLE_1)
	s_or_b32 exec_lo, exec_lo, s7
.LBB294_33:
	s_delay_alu instid0(SALU_CYCLE_1)
	s_or_b32 exec_lo, exec_lo, s6
                                        ; implicit-def: $vgpr10_vgpr11
.LBB294_34:
	s_and_not1_saveexec_b32 s5, s5
	s_cbranch_execz .LBB294_42
; %bb.35:
	s_wait_loadcnt_dscnt 0x0
	flat_load_b32 v1, v[10:11]
	s_mov_b32 s6, exec_lo
	s_wait_loadcnt_dscnt 0x0
	v_cvt_f32_f16_e32 v6, v1
	v_mov_b32_e32 v1, 0x80
	s_wait_xcnt 0x0
	s_delay_alu instid0(VALU_DEP_2) | instskip(NEXT) | instid1(VALU_DEP_1)
	v_and_b32_e32 v10, 0x7fffffff, v6
	v_cmpx_gt_u32_e32 0x43800000, v10
	s_cbranch_execz .LBB294_41
; %bb.36:
	v_cmp_lt_u32_e32 vcc_lo, 0x3bffffff, v10
	s_mov_b32 s7, 0
                                        ; implicit-def: $vgpr10
	s_and_saveexec_b32 s8, vcc_lo
	s_delay_alu instid0(SALU_CYCLE_1)
	s_xor_b32 s8, exec_lo, s8
	s_cbranch_execnz .LBB294_498
; %bb.37:
	s_and_not1_saveexec_b32 s8, s8
	s_cbranch_execnz .LBB294_499
.LBB294_38:
	s_or_b32 exec_lo, exec_lo, s8
	v_mov_b32_e32 v1, 0
	s_and_saveexec_b32 s8, s7
.LBB294_39:
	v_lshrrev_b32_e32 v1, 24, v6
	s_delay_alu instid0(VALU_DEP_1)
	v_and_or_b32 v1, 0x80, v1, v10
.LBB294_40:
	s_or_b32 exec_lo, exec_lo, s8
.LBB294_41:
	s_delay_alu instid0(SALU_CYCLE_1)
	s_or_b32 exec_lo, exec_lo, s6
.LBB294_42:
	s_delay_alu instid0(SALU_CYCLE_1)
	s_or_b32 exec_lo, exec_lo, s5
                                        ; implicit-def: $vgpr6
                                        ; implicit-def: $vgpr10_vgpr11
.LBB294_43:
	s_and_not1_saveexec_b32 s4, s4
	s_cbranch_execz .LBB294_71
; %bb.44:
	s_mov_b32 s5, exec_lo
                                        ; implicit-def: $vgpr1
	v_cmpx_lt_i16_e32 5, v6
	s_xor_b32 s5, exec_lo, s5
	s_cbranch_execz .LBB294_62
; %bb.45:
	s_mov_b32 s6, exec_lo
                                        ; implicit-def: $vgpr1
	v_cmpx_lt_i16_e32 6, v6
	s_xor_b32 s6, exec_lo, s6
	s_cbranch_execz .LBB294_53
; %bb.46:
	flat_load_b64 v[10:11], v[10:11]
	s_wait_loadcnt_dscnt 0x101
	v_mov_b32_e32 v1, 0x80
	s_mov_b32 s7, exec_lo
	s_wait_loadcnt_dscnt 0x0
	v_cvt_f32_f64_e32 v6, v[10:11]
	s_wait_xcnt 0x0
	s_delay_alu instid0(VALU_DEP_1) | instskip(NEXT) | instid1(VALU_DEP_1)
	v_and_b32_e32 v10, 0x7fffffff, v6
	v_cmpx_gt_u32_e32 0x43800000, v10
	s_cbranch_execz .LBB294_52
; %bb.47:
	v_cmp_lt_u32_e32 vcc_lo, 0x3bffffff, v10
	s_mov_b32 s8, 0
                                        ; implicit-def: $vgpr10
	s_and_saveexec_b32 s9, vcc_lo
	s_delay_alu instid0(SALU_CYCLE_1)
	s_xor_b32 s9, exec_lo, s9
	s_cbranch_execnz .LBB294_528
; %bb.48:
	s_and_not1_saveexec_b32 s9, s9
	s_cbranch_execnz .LBB294_529
.LBB294_49:
	s_or_b32 exec_lo, exec_lo, s9
	v_mov_b32_e32 v1, 0
	s_and_saveexec_b32 s9, s8
.LBB294_50:
	v_lshrrev_b32_e32 v1, 24, v6
	s_delay_alu instid0(VALU_DEP_1)
	v_and_or_b32 v1, 0x80, v1, v10
.LBB294_51:
	s_or_b32 exec_lo, exec_lo, s9
.LBB294_52:
	s_delay_alu instid0(SALU_CYCLE_1)
	s_or_b32 exec_lo, exec_lo, s7
                                        ; implicit-def: $vgpr10_vgpr11
.LBB294_53:
	s_and_not1_saveexec_b32 s6, s6
	s_cbranch_execz .LBB294_61
; %bb.54:
	flat_load_b32 v6, v[10:11]
	s_wait_loadcnt_dscnt 0x101
	v_mov_b32_e32 v1, 0x80
	s_mov_b32 s7, exec_lo
	s_wait_loadcnt_dscnt 0x0
	v_and_b32_e32 v10, 0x7fffffff, v6
	s_delay_alu instid0(VALU_DEP_1)
	v_cmpx_gt_u32_e32 0x43800000, v10
	s_cbranch_execz .LBB294_60
; %bb.55:
	v_cmp_lt_u32_e32 vcc_lo, 0x3bffffff, v10
	s_mov_b32 s8, 0
                                        ; implicit-def: $vgpr10
	s_and_saveexec_b32 s9, vcc_lo
	s_delay_alu instid0(SALU_CYCLE_1)
	s_xor_b32 s9, exec_lo, s9
	s_cbranch_execnz .LBB294_530
; %bb.56:
	s_and_not1_saveexec_b32 s9, s9
	s_cbranch_execnz .LBB294_531
.LBB294_57:
	s_or_b32 exec_lo, exec_lo, s9
	v_mov_b32_e32 v1, 0
	s_and_saveexec_b32 s9, s8
.LBB294_58:
	v_lshrrev_b32_e32 v1, 24, v6
	s_delay_alu instid0(VALU_DEP_1)
	v_and_or_b32 v1, 0x80, v1, v10
.LBB294_59:
	s_or_b32 exec_lo, exec_lo, s9
.LBB294_60:
	s_delay_alu instid0(SALU_CYCLE_1)
	s_or_b32 exec_lo, exec_lo, s7
.LBB294_61:
	s_delay_alu instid0(SALU_CYCLE_1)
	s_or_b32 exec_lo, exec_lo, s6
                                        ; implicit-def: $vgpr10_vgpr11
.LBB294_62:
	s_and_not1_saveexec_b32 s5, s5
	s_cbranch_execz .LBB294_70
; %bb.63:
	s_wait_loadcnt_dscnt 0x0
	flat_load_u16 v1, v[10:11]
	s_mov_b32 s6, exec_lo
	s_wait_loadcnt_dscnt 0x0
	v_cvt_f32_f16_e32 v6, v1
	v_mov_b32_e32 v1, 0x80
	s_wait_xcnt 0x0
	s_delay_alu instid0(VALU_DEP_2) | instskip(NEXT) | instid1(VALU_DEP_1)
	v_and_b32_e32 v10, 0x7fffffff, v6
	v_cmpx_gt_u32_e32 0x43800000, v10
	s_cbranch_execz .LBB294_69
; %bb.64:
	v_cmp_lt_u32_e32 vcc_lo, 0x3bffffff, v10
	s_mov_b32 s7, 0
                                        ; implicit-def: $vgpr10
	s_and_saveexec_b32 s8, vcc_lo
	s_delay_alu instid0(SALU_CYCLE_1)
	s_xor_b32 s8, exec_lo, s8
	s_cbranch_execnz .LBB294_500
; %bb.65:
	s_and_not1_saveexec_b32 s8, s8
	s_cbranch_execnz .LBB294_501
.LBB294_66:
	s_or_b32 exec_lo, exec_lo, s8
	v_mov_b32_e32 v1, 0
	s_and_saveexec_b32 s8, s7
.LBB294_67:
	v_lshrrev_b32_e32 v1, 24, v6
	s_delay_alu instid0(VALU_DEP_1)
	v_and_or_b32 v1, 0x80, v1, v10
.LBB294_68:
	s_or_b32 exec_lo, exec_lo, s8
.LBB294_69:
	s_delay_alu instid0(SALU_CYCLE_1)
	s_or_b32 exec_lo, exec_lo, s6
.LBB294_70:
	s_delay_alu instid0(SALU_CYCLE_1)
	s_or_b32 exec_lo, exec_lo, s5
.LBB294_71:
	s_delay_alu instid0(SALU_CYCLE_1)
	s_or_b32 exec_lo, exec_lo, s4
                                        ; implicit-def: $vgpr6
                                        ; implicit-def: $vgpr10_vgpr11
.LBB294_72:
	s_and_not1_saveexec_b32 s2, s2
	s_cbranch_execz .LBB294_120
; %bb.73:
	s_mov_b32 s4, exec_lo
                                        ; implicit-def: $vgpr1
	v_cmpx_lt_i16_e32 1, v6
	s_xor_b32 s4, exec_lo, s4
	s_cbranch_execz .LBB294_101
; %bb.74:
	s_mov_b32 s5, exec_lo
                                        ; implicit-def: $vgpr1
	v_cmpx_lt_i16_e32 2, v6
	s_xor_b32 s5, exec_lo, s5
	;; [unrolled: 6-line block ×3, first 2 shown]
	s_cbranch_execz .LBB294_83
; %bb.76:
	flat_load_b64 v[10:11], v[10:11]
	s_mov_b32 s7, exec_lo
	s_wait_loadcnt_dscnt 0x0
	v_xor_b32_e32 v1, v10, v11
	v_cls_i32_e32 v6, v11
	s_delay_alu instid0(VALU_DEP_2) | instskip(NEXT) | instid1(VALU_DEP_1)
	v_ashrrev_i32_e32 v1, 31, v1
	v_add_nc_u32_e32 v1, 32, v1
	s_delay_alu instid0(VALU_DEP_1) | instskip(SKIP_1) | instid1(VALU_DEP_1)
	v_add_min_u32_e64 v1, v6, -1, v1
	s_wait_xcnt 0x0
	v_lshlrev_b64_e32 v[10:11], v1, v[10:11]
	v_sub_nc_u32_e32 v1, 32, v1
	s_delay_alu instid0(VALU_DEP_2) | instskip(NEXT) | instid1(VALU_DEP_1)
	v_min_u32_e32 v6, 1, v10
	v_or_b32_e32 v6, v11, v6
	s_delay_alu instid0(VALU_DEP_1) | instskip(NEXT) | instid1(VALU_DEP_1)
	v_cvt_f32_i32_e32 v6, v6
	v_ldexp_f32 v6, v6, v1
	v_mov_b32_e32 v1, 0x80
	s_delay_alu instid0(VALU_DEP_2) | instskip(NEXT) | instid1(VALU_DEP_1)
	v_and_b32_e32 v10, 0x7fffffff, v6
	v_cmpx_gt_u32_e32 0x43800000, v10
	s_cbranch_execz .LBB294_82
; %bb.77:
	v_cmp_lt_u32_e32 vcc_lo, 0x3bffffff, v10
	s_mov_b32 s8, 0
                                        ; implicit-def: $vgpr10
	s_and_saveexec_b32 s9, vcc_lo
	s_delay_alu instid0(SALU_CYCLE_1)
	s_xor_b32 s9, exec_lo, s9
	s_cbranch_execnz .LBB294_532
; %bb.78:
	s_and_not1_saveexec_b32 s9, s9
	s_cbranch_execnz .LBB294_533
.LBB294_79:
	s_or_b32 exec_lo, exec_lo, s9
	v_mov_b32_e32 v1, 0
	s_and_saveexec_b32 s9, s8
.LBB294_80:
	v_lshrrev_b32_e32 v1, 24, v6
	s_delay_alu instid0(VALU_DEP_1)
	v_and_or_b32 v1, 0x80, v1, v10
.LBB294_81:
	s_or_b32 exec_lo, exec_lo, s9
.LBB294_82:
	s_delay_alu instid0(SALU_CYCLE_1)
	s_or_b32 exec_lo, exec_lo, s7
                                        ; implicit-def: $vgpr10_vgpr11
.LBB294_83:
	s_and_not1_saveexec_b32 s6, s6
	s_cbranch_execz .LBB294_91
; %bb.84:
	s_wait_loadcnt_dscnt 0x0
	flat_load_b32 v1, v[10:11]
	s_mov_b32 s7, exec_lo
	s_wait_loadcnt_dscnt 0x0
	v_cvt_f32_i32_e32 v6, v1
	v_mov_b32_e32 v1, 0x80
	s_wait_xcnt 0x0
	s_delay_alu instid0(VALU_DEP_2) | instskip(NEXT) | instid1(VALU_DEP_1)
	v_and_b32_e32 v10, 0x7fffffff, v6
	v_cmpx_gt_u32_e32 0x43800000, v10
	s_cbranch_execz .LBB294_90
; %bb.85:
	v_cmp_lt_u32_e32 vcc_lo, 0x3bffffff, v10
	s_mov_b32 s8, 0
                                        ; implicit-def: $vgpr10
	s_and_saveexec_b32 s9, vcc_lo
	s_delay_alu instid0(SALU_CYCLE_1)
	s_xor_b32 s9, exec_lo, s9
	s_cbranch_execnz .LBB294_534
; %bb.86:
	s_and_not1_saveexec_b32 s9, s9
	s_cbranch_execnz .LBB294_535
.LBB294_87:
	s_or_b32 exec_lo, exec_lo, s9
	v_mov_b32_e32 v1, 0
	s_and_saveexec_b32 s9, s8
.LBB294_88:
	v_lshrrev_b32_e32 v1, 24, v6
	s_delay_alu instid0(VALU_DEP_1)
	v_and_or_b32 v1, 0x80, v1, v10
.LBB294_89:
	s_or_b32 exec_lo, exec_lo, s9
.LBB294_90:
	s_delay_alu instid0(SALU_CYCLE_1)
	s_or_b32 exec_lo, exec_lo, s7
.LBB294_91:
	s_delay_alu instid0(SALU_CYCLE_1)
	s_or_b32 exec_lo, exec_lo, s6
                                        ; implicit-def: $vgpr10_vgpr11
.LBB294_92:
	s_and_not1_saveexec_b32 s5, s5
	s_cbranch_execz .LBB294_100
; %bb.93:
	s_wait_loadcnt_dscnt 0x0
	flat_load_i16 v1, v[10:11]
	s_mov_b32 s6, exec_lo
	s_wait_loadcnt_dscnt 0x0
	v_cvt_f32_i32_e32 v6, v1
	v_mov_b32_e32 v1, 0x80
	s_wait_xcnt 0x0
	s_delay_alu instid0(VALU_DEP_2) | instskip(NEXT) | instid1(VALU_DEP_1)
	v_and_b32_e32 v10, 0x7fffffff, v6
	v_cmpx_gt_u32_e32 0x43800000, v10
	s_cbranch_execz .LBB294_99
; %bb.94:
	v_cmp_lt_u32_e32 vcc_lo, 0x3bffffff, v10
	s_mov_b32 s7, 0
                                        ; implicit-def: $vgpr10
	s_and_saveexec_b32 s8, vcc_lo
	s_delay_alu instid0(SALU_CYCLE_1)
	s_xor_b32 s8, exec_lo, s8
	s_cbranch_execnz .LBB294_502
; %bb.95:
	s_and_not1_saveexec_b32 s8, s8
	s_cbranch_execnz .LBB294_503
.LBB294_96:
	s_or_b32 exec_lo, exec_lo, s8
	v_mov_b32_e32 v1, 0
	s_and_saveexec_b32 s8, s7
.LBB294_97:
	v_lshrrev_b32_e32 v1, 24, v6
	s_delay_alu instid0(VALU_DEP_1)
	v_and_or_b32 v1, 0x80, v1, v10
.LBB294_98:
	s_or_b32 exec_lo, exec_lo, s8
.LBB294_99:
	s_delay_alu instid0(SALU_CYCLE_1)
	s_or_b32 exec_lo, exec_lo, s6
.LBB294_100:
	s_delay_alu instid0(SALU_CYCLE_1)
	s_or_b32 exec_lo, exec_lo, s5
                                        ; implicit-def: $vgpr6
                                        ; implicit-def: $vgpr10_vgpr11
.LBB294_101:
	s_and_not1_saveexec_b32 s4, s4
	s_cbranch_execz .LBB294_119
; %bb.102:
	s_mov_b32 s5, exec_lo
                                        ; implicit-def: $vgpr1
	v_cmpx_lt_i16_e32 0, v6
	s_xor_b32 s5, exec_lo, s5
	s_cbranch_execz .LBB294_110
; %bb.103:
	s_wait_loadcnt_dscnt 0x0
	flat_load_i8 v1, v[10:11]
	s_mov_b32 s6, exec_lo
	s_wait_loadcnt_dscnt 0x0
	v_cvt_f32_i32_e32 v6, v1
	v_mov_b32_e32 v1, 0x80
	s_wait_xcnt 0x0
	s_delay_alu instid0(VALU_DEP_2) | instskip(NEXT) | instid1(VALU_DEP_1)
	v_and_b32_e32 v10, 0x7fffffff, v6
	v_cmpx_gt_u32_e32 0x43800000, v10
	s_cbranch_execz .LBB294_109
; %bb.104:
	v_cmp_lt_u32_e32 vcc_lo, 0x3bffffff, v10
	s_mov_b32 s7, 0
                                        ; implicit-def: $vgpr10
	s_and_saveexec_b32 s8, vcc_lo
	s_delay_alu instid0(SALU_CYCLE_1)
	s_xor_b32 s8, exec_lo, s8
	s_cbranch_execnz .LBB294_504
; %bb.105:
	s_and_not1_saveexec_b32 s8, s8
	s_cbranch_execnz .LBB294_505
.LBB294_106:
	s_or_b32 exec_lo, exec_lo, s8
	v_mov_b32_e32 v1, 0
	s_and_saveexec_b32 s8, s7
.LBB294_107:
	v_lshrrev_b32_e32 v1, 24, v6
	s_delay_alu instid0(VALU_DEP_1)
	v_and_or_b32 v1, 0x80, v1, v10
.LBB294_108:
	s_or_b32 exec_lo, exec_lo, s8
.LBB294_109:
	s_delay_alu instid0(SALU_CYCLE_1)
	s_or_b32 exec_lo, exec_lo, s6
                                        ; implicit-def: $vgpr10_vgpr11
.LBB294_110:
	s_and_not1_saveexec_b32 s5, s5
	s_cbranch_execz .LBB294_118
; %bb.111:
	s_wait_loadcnt_dscnt 0x0
	flat_load_u8 v1, v[10:11]
	s_mov_b32 s6, exec_lo
	s_wait_loadcnt_dscnt 0x0
	v_cvt_f32_ubyte0_e32 v10, v1
	v_mov_b32_e32 v1, 0x80
	s_delay_alu instid0(VALU_DEP_2)
	v_cmpx_gt_u32_e32 0x43800000, v10
	s_cbranch_execz .LBB294_117
; %bb.112:
	s_mov_b32 s7, 0
	s_mov_b32 s8, exec_lo
                                        ; implicit-def: $vgpr6
	v_cmpx_lt_u32_e32 0x3bffffff, v10
	s_xor_b32 s8, exec_lo, s8
	s_cbranch_execnz .LBB294_506
; %bb.113:
	s_and_not1_saveexec_b32 s8, s8
	s_cbranch_execnz .LBB294_507
.LBB294_114:
	s_or_b32 exec_lo, exec_lo, s8
	v_mov_b32_e32 v1, 0
	s_and_saveexec_b32 s8, s7
.LBB294_115:
	v_mov_b32_e32 v1, v6
.LBB294_116:
	s_or_b32 exec_lo, exec_lo, s8
.LBB294_117:
	s_delay_alu instid0(SALU_CYCLE_1)
	s_or_b32 exec_lo, exec_lo, s6
.LBB294_118:
	s_delay_alu instid0(SALU_CYCLE_1)
	s_or_b32 exec_lo, exec_lo, s5
.LBB294_119:
	s_delay_alu instid0(SALU_CYCLE_1)
	s_or_b32 exec_lo, exec_lo, s4
.LBB294_120:
	s_delay_alu instid0(SALU_CYCLE_1) | instskip(NEXT) | instid1(SALU_CYCLE_1)
	s_or_b32 exec_lo, exec_lo, s2
	s_or_b32 s3, s3, exec_lo
.LBB294_121:
	s_or_b32 exec_lo, exec_lo, s1
	s_mov_b32 s5, 0
	s_mov_b32 s4, 0
	;; [unrolled: 1-line block ×3, first 2 shown]
                                        ; implicit-def: $vgpr6
                                        ; implicit-def: $vgpr10_vgpr11
                                        ; implicit-def: $vgpr12
	s_and_saveexec_b32 s1, s3
	s_cbranch_execnz .LBB294_127
; %bb.122:
	s_or_b32 exec_lo, exec_lo, s1
	s_and_saveexec_b32 s1, s0
	s_cbranch_execnz .LBB294_133
.LBB294_123:
	s_or_b32 exec_lo, exec_lo, s1
	s_and_saveexec_b32 s0, s5
	s_delay_alu instid0(SALU_CYCLE_1)
	s_xor_b32 s0, exec_lo, s0
	s_cbranch_execnz .LBB294_134
.LBB294_124:
	s_or_b32 exec_lo, exec_lo, s0
	s_and_saveexec_b32 s0, s4
	s_cbranch_execnz .LBB294_141
.LBB294_125:
	s_or_b32 exec_lo, exec_lo, s0
                                        ; implicit-def: $sgpr1
	s_and_saveexec_b32 s0, s2
	s_cbranch_execnz .LBB294_248
.LBB294_126:
	s_or_b32 exec_lo, exec_lo, s0
	s_delay_alu instid0(VALU_DEP_1)
	v_cndmask_b32_e64 v0, 0, 1, s1
	s_wait_loadcnt_dscnt 0x0
	s_set_pc_i64 s[30:31]
.LBB294_127:
	flat_load_b32 v12, v[4:5] offset:4
	flat_load_b64 v[10:11], v[2:3] offset:8
	flat_load_u8 v6, v[8:9] offset:1
	s_mov_b32 s4, -1
	s_mov_b32 s3, 0
	s_mov_b32 s5, s0
	;; [unrolled: 1-line block ×3, first 2 shown]
	s_mov_b32 s2, exec_lo
	s_wait_loadcnt_dscnt 0x202
	s_wait_xcnt 0x1
	v_mul_lo_u32 v2, v12, v7
                                        ; implicit-def: $vgpr12
	s_delay_alu instid0(VALU_DEP_1) | instskip(SKIP_1) | instid1(VALU_DEP_1)
	v_ashrrev_i32_e32 v3, 31, v2
	s_wait_loadcnt_dscnt 0x101
	v_add_nc_u64_e32 v[10:11], v[10:11], v[2:3]
	s_wait_loadcnt_dscnt 0x0
	v_cmpx_lt_i16_e32 10, v6
	s_cbranch_execz .LBB294_132
; %bb.128:
	s_mov_b32 s5, 0
	s_mov_b32 s4, exec_lo
                                        ; implicit-def: $vgpr12
	v_cmpx_lt_i16_e32 25, v6
	s_xor_b32 s4, exec_lo, s4
	s_cbranch_execnz .LBB294_373
; %bb.129:
	s_and_not1_saveexec_b32 s4, s4
	s_cbranch_execnz .LBB294_430
.LBB294_130:
	s_or_b32 exec_lo, exec_lo, s4
	s_mov_b32 s7, s0
	s_and_saveexec_b32 s4, s6
	s_cbranch_execnz .LBB294_477
.LBB294_131:
	s_or_b32 exec_lo, exec_lo, s4
	s_delay_alu instid0(SALU_CYCLE_1)
	s_and_b32 s6, s5, exec_lo
	s_and_not1_b32 s5, s0, exec_lo
	s_and_b32 s7, s7, exec_lo
	s_xor_b32 s4, exec_lo, -1
	s_and_b32 s3, s3, exec_lo
	s_or_b32 s5, s5, s7
.LBB294_132:
	s_or_b32 exec_lo, exec_lo, s2
	s_delay_alu instid0(SALU_CYCLE_1)
	s_and_b32 s2, s6, exec_lo
	s_and_not1_b32 s0, s0, exec_lo
	s_and_b32 s6, s5, exec_lo
	s_and_b32 s4, s4, exec_lo
	;; [unrolled: 1-line block ×3, first 2 shown]
	s_or_b32 s0, s0, s6
	s_or_b32 exec_lo, exec_lo, s1
	s_and_saveexec_b32 s1, s0
	s_cbranch_execz .LBB294_123
.LBB294_133:
	; divergent unreachable
	s_or_b32 exec_lo, exec_lo, s1
	s_and_saveexec_b32 s0, s5
	s_delay_alu instid0(SALU_CYCLE_1)
	s_xor_b32 s0, exec_lo, s0
	s_cbranch_execz .LBB294_124
.LBB294_134:
	flat_load_u8 v2, v[10:11]
	s_wait_loadcnt_dscnt 0x101
	v_mov_b32_e32 v12, 0x80
	s_mov_b32 s3, 0
	s_mov_b32 s1, exec_lo
	s_wait_loadcnt_dscnt 0x0
	v_cmp_ne_u16_e32 vcc_lo, 0, v2
	v_cndmask_b32_e64 v3, 0, 1.0, vcc_lo
	s_wait_xcnt 0x0
	s_delay_alu instid0(VALU_DEP_1)
	v_cmpx_gt_u32_e32 0x43800000, v3
	s_cbranch_execz .LBB294_140
; %bb.135:
	s_mov_b32 s5, exec_lo
                                        ; implicit-def: $vgpr2
	v_cmpx_lt_u32_e32 0x3bffffff, v3
	s_xor_b32 s5, exec_lo, s5
	s_cbranch_execnz .LBB294_478
; %bb.136:
	s_and_not1_saveexec_b32 s5, s5
	s_cbranch_execnz .LBB294_479
.LBB294_137:
	s_or_b32 exec_lo, exec_lo, s5
	v_mov_b32_e32 v12, 0
	s_and_saveexec_b32 s5, s3
.LBB294_138:
	v_mov_b32_e32 v12, v2
.LBB294_139:
	s_or_b32 exec_lo, exec_lo, s5
.LBB294_140:
	s_delay_alu instid0(SALU_CYCLE_1) | instskip(NEXT) | instid1(SALU_CYCLE_1)
	s_or_b32 exec_lo, exec_lo, s1
	s_or_b32 s2, s2, exec_lo
	s_or_b32 exec_lo, exec_lo, s0
	s_and_saveexec_b32 s0, s4
	s_cbranch_execz .LBB294_125
.LBB294_141:
	s_mov_b32 s1, exec_lo
                                        ; implicit-def: $vgpr12
	v_cmpx_lt_i16_e32 4, v6
	s_xor_b32 s1, exec_lo, s1
	s_cbranch_execz .LBB294_199
; %bb.142:
	s_mov_b32 s3, exec_lo
                                        ; implicit-def: $vgpr12
	v_cmpx_lt_i16_e32 7, v6
	s_xor_b32 s3, exec_lo, s3
	s_cbranch_execz .LBB294_170
; %bb.143:
	;; [unrolled: 6-line block ×4, first 2 shown]
	flat_load_b64 v[2:3], v[10:11]
	s_wait_loadcnt_dscnt 0x101
	v_mov_b32_e32 v12, 0x80
	s_mov_b32 s6, exec_lo
	s_wait_loadcnt_dscnt 0x0
	v_cvt_f32_f64_e32 v2, v[2:3]
	s_delay_alu instid0(VALU_DEP_1) | instskip(SKIP_1) | instid1(VALU_DEP_1)
	v_and_b32_e32 v3, 0x7fffffff, v2
	s_wait_xcnt 0x0
	v_cmpx_gt_u32_e32 0x43800000, v3
	s_cbranch_execz .LBB294_151
; %bb.146:
	v_cmp_lt_u32_e32 vcc_lo, 0x3bffffff, v3
	s_mov_b32 s7, 0
                                        ; implicit-def: $vgpr3
	s_and_saveexec_b32 s8, vcc_lo
	s_delay_alu instid0(SALU_CYCLE_1)
	s_xor_b32 s8, exec_lo, s8
	s_cbranch_execnz .LBB294_536
; %bb.147:
	s_and_not1_saveexec_b32 s8, s8
	s_cbranch_execnz .LBB294_537
.LBB294_148:
	s_or_b32 exec_lo, exec_lo, s8
	v_mov_b32_e32 v12, 0
	s_and_saveexec_b32 s8, s7
.LBB294_149:
	v_lshrrev_b32_e32 v2, 24, v2
	s_delay_alu instid0(VALU_DEP_1)
	v_and_or_b32 v12, 0x80, v2, v3
.LBB294_150:
	s_or_b32 exec_lo, exec_lo, s8
.LBB294_151:
	s_delay_alu instid0(SALU_CYCLE_1)
	s_or_b32 exec_lo, exec_lo, s6
                                        ; implicit-def: $vgpr10_vgpr11
.LBB294_152:
	s_and_not1_saveexec_b32 s5, s5
	s_cbranch_execz .LBB294_160
; %bb.153:
	flat_load_b32 v2, v[10:11]
	s_wait_loadcnt_dscnt 0x101
	v_mov_b32_e32 v12, 0x80
	s_mov_b32 s6, exec_lo
	s_wait_loadcnt_dscnt 0x0
	v_and_b32_e32 v3, 0x7fffffff, v2
	s_wait_xcnt 0x0
	s_delay_alu instid0(VALU_DEP_1)
	v_cmpx_gt_u32_e32 0x43800000, v3
	s_cbranch_execz .LBB294_159
; %bb.154:
	v_cmp_lt_u32_e32 vcc_lo, 0x3bffffff, v3
	s_mov_b32 s7, 0
                                        ; implicit-def: $vgpr3
	s_and_saveexec_b32 s8, vcc_lo
	s_delay_alu instid0(SALU_CYCLE_1)
	s_xor_b32 s8, exec_lo, s8
	s_cbranch_execnz .LBB294_538
; %bb.155:
	s_and_not1_saveexec_b32 s8, s8
	s_cbranch_execnz .LBB294_539
.LBB294_156:
	s_or_b32 exec_lo, exec_lo, s8
	v_mov_b32_e32 v12, 0
	s_and_saveexec_b32 s8, s7
.LBB294_157:
	v_lshrrev_b32_e32 v2, 24, v2
	s_delay_alu instid0(VALU_DEP_1)
	v_and_or_b32 v12, 0x80, v2, v3
.LBB294_158:
	s_or_b32 exec_lo, exec_lo, s8
.LBB294_159:
	s_delay_alu instid0(SALU_CYCLE_1)
	s_or_b32 exec_lo, exec_lo, s6
.LBB294_160:
	s_delay_alu instid0(SALU_CYCLE_1)
	s_or_b32 exec_lo, exec_lo, s5
                                        ; implicit-def: $vgpr10_vgpr11
.LBB294_161:
	s_and_not1_saveexec_b32 s4, s4
	s_cbranch_execz .LBB294_169
; %bb.162:
	flat_load_b32 v2, v[10:11]
	s_wait_loadcnt_dscnt 0x101
	v_mov_b32_e32 v12, 0x80
	s_mov_b32 s5, exec_lo
	s_wait_loadcnt_dscnt 0x0
	v_cvt_f32_f16_e32 v2, v2
	s_delay_alu instid0(VALU_DEP_1) | instskip(SKIP_1) | instid1(VALU_DEP_1)
	v_and_b32_e32 v3, 0x7fffffff, v2
	s_wait_xcnt 0x0
	v_cmpx_gt_u32_e32 0x43800000, v3
	s_cbranch_execz .LBB294_168
; %bb.163:
	v_cmp_lt_u32_e32 vcc_lo, 0x3bffffff, v3
	s_mov_b32 s6, 0
                                        ; implicit-def: $vgpr3
	s_and_saveexec_b32 s7, vcc_lo
	s_delay_alu instid0(SALU_CYCLE_1)
	s_xor_b32 s7, exec_lo, s7
	s_cbranch_execnz .LBB294_508
; %bb.164:
	s_and_not1_saveexec_b32 s7, s7
	s_cbranch_execnz .LBB294_509
.LBB294_165:
	s_or_b32 exec_lo, exec_lo, s7
	v_mov_b32_e32 v12, 0
	s_and_saveexec_b32 s7, s6
.LBB294_166:
	v_lshrrev_b32_e32 v2, 24, v2
	s_delay_alu instid0(VALU_DEP_1)
	v_and_or_b32 v12, 0x80, v2, v3
.LBB294_167:
	s_or_b32 exec_lo, exec_lo, s7
.LBB294_168:
	s_delay_alu instid0(SALU_CYCLE_1)
	s_or_b32 exec_lo, exec_lo, s5
.LBB294_169:
	s_delay_alu instid0(SALU_CYCLE_1)
	s_or_b32 exec_lo, exec_lo, s4
                                        ; implicit-def: $vgpr10_vgpr11
.LBB294_170:
	s_and_not1_saveexec_b32 s3, s3
	s_cbranch_execz .LBB294_198
; %bb.171:
	s_mov_b32 s4, exec_lo
                                        ; implicit-def: $vgpr12
	v_cmpx_lt_i16_e32 5, v6
	s_xor_b32 s4, exec_lo, s4
	s_cbranch_execz .LBB294_189
; %bb.172:
	s_mov_b32 s5, exec_lo
                                        ; implicit-def: $vgpr12
	v_cmpx_lt_i16_e32 6, v6
	s_xor_b32 s5, exec_lo, s5
	s_cbranch_execz .LBB294_180
; %bb.173:
	flat_load_b64 v[2:3], v[10:11]
	s_wait_loadcnt_dscnt 0x101
	v_mov_b32_e32 v12, 0x80
	s_mov_b32 s6, exec_lo
	s_wait_loadcnt_dscnt 0x0
	v_cvt_f32_f64_e32 v2, v[2:3]
	s_delay_alu instid0(VALU_DEP_1) | instskip(SKIP_1) | instid1(VALU_DEP_1)
	v_and_b32_e32 v3, 0x7fffffff, v2
	s_wait_xcnt 0x0
	v_cmpx_gt_u32_e32 0x43800000, v3
	s_cbranch_execz .LBB294_179
; %bb.174:
	v_cmp_lt_u32_e32 vcc_lo, 0x3bffffff, v3
	s_mov_b32 s7, 0
                                        ; implicit-def: $vgpr3
	s_and_saveexec_b32 s8, vcc_lo
	s_delay_alu instid0(SALU_CYCLE_1)
	s_xor_b32 s8, exec_lo, s8
	s_cbranch_execnz .LBB294_540
; %bb.175:
	s_and_not1_saveexec_b32 s8, s8
	s_cbranch_execnz .LBB294_541
.LBB294_176:
	s_or_b32 exec_lo, exec_lo, s8
	v_mov_b32_e32 v12, 0
	s_and_saveexec_b32 s8, s7
.LBB294_177:
	v_lshrrev_b32_e32 v2, 24, v2
	s_delay_alu instid0(VALU_DEP_1)
	v_and_or_b32 v12, 0x80, v2, v3
.LBB294_178:
	s_or_b32 exec_lo, exec_lo, s8
.LBB294_179:
	s_delay_alu instid0(SALU_CYCLE_1)
	s_or_b32 exec_lo, exec_lo, s6
                                        ; implicit-def: $vgpr10_vgpr11
.LBB294_180:
	s_and_not1_saveexec_b32 s5, s5
	s_cbranch_execz .LBB294_188
; %bb.181:
	flat_load_b32 v2, v[10:11]
	s_wait_loadcnt_dscnt 0x101
	v_mov_b32_e32 v12, 0x80
	s_mov_b32 s6, exec_lo
	s_wait_loadcnt_dscnt 0x0
	v_and_b32_e32 v3, 0x7fffffff, v2
	s_wait_xcnt 0x0
	s_delay_alu instid0(VALU_DEP_1)
	v_cmpx_gt_u32_e32 0x43800000, v3
	s_cbranch_execz .LBB294_187
; %bb.182:
	v_cmp_lt_u32_e32 vcc_lo, 0x3bffffff, v3
	s_mov_b32 s7, 0
                                        ; implicit-def: $vgpr3
	s_and_saveexec_b32 s8, vcc_lo
	s_delay_alu instid0(SALU_CYCLE_1)
	s_xor_b32 s8, exec_lo, s8
	s_cbranch_execnz .LBB294_542
; %bb.183:
	s_and_not1_saveexec_b32 s8, s8
	s_cbranch_execnz .LBB294_543
.LBB294_184:
	s_or_b32 exec_lo, exec_lo, s8
	v_mov_b32_e32 v12, 0
	s_and_saveexec_b32 s8, s7
.LBB294_185:
	v_lshrrev_b32_e32 v2, 24, v2
	s_delay_alu instid0(VALU_DEP_1)
	v_and_or_b32 v12, 0x80, v2, v3
.LBB294_186:
	s_or_b32 exec_lo, exec_lo, s8
.LBB294_187:
	s_delay_alu instid0(SALU_CYCLE_1)
	s_or_b32 exec_lo, exec_lo, s6
.LBB294_188:
	s_delay_alu instid0(SALU_CYCLE_1)
	s_or_b32 exec_lo, exec_lo, s5
                                        ; implicit-def: $vgpr10_vgpr11
.LBB294_189:
	s_and_not1_saveexec_b32 s4, s4
	s_cbranch_execz .LBB294_197
; %bb.190:
	flat_load_u16 v2, v[10:11]
	s_wait_loadcnt_dscnt 0x101
	v_mov_b32_e32 v12, 0x80
	s_mov_b32 s5, exec_lo
	s_wait_loadcnt_dscnt 0x0
	v_cvt_f32_f16_e32 v2, v2
	s_delay_alu instid0(VALU_DEP_1) | instskip(SKIP_1) | instid1(VALU_DEP_1)
	v_and_b32_e32 v3, 0x7fffffff, v2
	s_wait_xcnt 0x0
	v_cmpx_gt_u32_e32 0x43800000, v3
	s_cbranch_execz .LBB294_196
; %bb.191:
	v_cmp_lt_u32_e32 vcc_lo, 0x3bffffff, v3
	s_mov_b32 s6, 0
                                        ; implicit-def: $vgpr3
	s_and_saveexec_b32 s7, vcc_lo
	s_delay_alu instid0(SALU_CYCLE_1)
	s_xor_b32 s7, exec_lo, s7
	s_cbranch_execnz .LBB294_510
; %bb.192:
	s_and_not1_saveexec_b32 s7, s7
	s_cbranch_execnz .LBB294_511
.LBB294_193:
	s_or_b32 exec_lo, exec_lo, s7
	v_mov_b32_e32 v12, 0
	s_and_saveexec_b32 s7, s6
.LBB294_194:
	v_lshrrev_b32_e32 v2, 24, v2
	s_delay_alu instid0(VALU_DEP_1)
	v_and_or_b32 v12, 0x80, v2, v3
.LBB294_195:
	s_or_b32 exec_lo, exec_lo, s7
.LBB294_196:
	s_delay_alu instid0(SALU_CYCLE_1)
	s_or_b32 exec_lo, exec_lo, s5
.LBB294_197:
	s_delay_alu instid0(SALU_CYCLE_1)
	s_or_b32 exec_lo, exec_lo, s4
.LBB294_198:
	s_delay_alu instid0(SALU_CYCLE_1)
	s_or_b32 exec_lo, exec_lo, s3
                                        ; implicit-def: $vgpr10_vgpr11
.LBB294_199:
	s_and_not1_saveexec_b32 s1, s1
	s_cbranch_execz .LBB294_247
; %bb.200:
	s_mov_b32 s3, exec_lo
                                        ; implicit-def: $vgpr12
	v_cmpx_lt_i16_e32 1, v6
	s_xor_b32 s3, exec_lo, s3
	s_cbranch_execz .LBB294_228
; %bb.201:
	s_mov_b32 s4, exec_lo
                                        ; implicit-def: $vgpr12
	v_cmpx_lt_i16_e32 2, v6
	s_xor_b32 s4, exec_lo, s4
	;; [unrolled: 6-line block ×3, first 2 shown]
	s_cbranch_execz .LBB294_210
; %bb.203:
	flat_load_b64 v[2:3], v[10:11]
	s_mov_b32 s6, exec_lo
	s_wait_loadcnt_dscnt 0x101
	v_mov_b32_e32 v12, 0x80
	s_wait_loadcnt_dscnt 0x0
	v_xor_b32_e32 v4, v2, v3
	v_cls_i32_e32 v5, v3
	s_delay_alu instid0(VALU_DEP_2) | instskip(NEXT) | instid1(VALU_DEP_1)
	v_ashrrev_i32_e32 v4, 31, v4
	v_add_nc_u32_e32 v4, 32, v4
	s_delay_alu instid0(VALU_DEP_1) | instskip(NEXT) | instid1(VALU_DEP_1)
	v_add_min_u32_e64 v4, v5, -1, v4
	v_lshlrev_b64_e32 v[2:3], v4, v[2:3]
	s_delay_alu instid0(VALU_DEP_1) | instskip(NEXT) | instid1(VALU_DEP_1)
	v_min_u32_e32 v2, 1, v2
	v_dual_sub_nc_u32 v3, 32, v4 :: v_dual_bitop2_b32 v2, v3, v2 bitop3:0x54
	s_delay_alu instid0(VALU_DEP_1) | instskip(NEXT) | instid1(VALU_DEP_1)
	v_cvt_f32_i32_e32 v2, v2
	v_ldexp_f32 v2, v2, v3
	s_delay_alu instid0(VALU_DEP_1) | instskip(SKIP_1) | instid1(VALU_DEP_1)
	v_and_b32_e32 v3, 0x7fffffff, v2
	s_wait_xcnt 0x0
	v_cmpx_gt_u32_e32 0x43800000, v3
	s_cbranch_execz .LBB294_209
; %bb.204:
	v_cmp_lt_u32_e32 vcc_lo, 0x3bffffff, v3
	s_mov_b32 s7, 0
                                        ; implicit-def: $vgpr3
	s_and_saveexec_b32 s8, vcc_lo
	s_delay_alu instid0(SALU_CYCLE_1)
	s_xor_b32 s8, exec_lo, s8
	s_cbranch_execnz .LBB294_544
; %bb.205:
	s_and_not1_saveexec_b32 s8, s8
	s_cbranch_execnz .LBB294_545
.LBB294_206:
	s_or_b32 exec_lo, exec_lo, s8
	v_mov_b32_e32 v12, 0
	s_and_saveexec_b32 s8, s7
.LBB294_207:
	v_lshrrev_b32_e32 v2, 24, v2
	s_delay_alu instid0(VALU_DEP_1)
	v_and_or_b32 v12, 0x80, v2, v3
.LBB294_208:
	s_or_b32 exec_lo, exec_lo, s8
.LBB294_209:
	s_delay_alu instid0(SALU_CYCLE_1)
	s_or_b32 exec_lo, exec_lo, s6
                                        ; implicit-def: $vgpr10_vgpr11
.LBB294_210:
	s_and_not1_saveexec_b32 s5, s5
	s_cbranch_execz .LBB294_218
; %bb.211:
	flat_load_b32 v2, v[10:11]
	s_wait_loadcnt_dscnt 0x101
	v_mov_b32_e32 v12, 0x80
	s_mov_b32 s6, exec_lo
	s_wait_loadcnt_dscnt 0x0
	v_cvt_f32_i32_e32 v2, v2
	s_delay_alu instid0(VALU_DEP_1) | instskip(SKIP_1) | instid1(VALU_DEP_1)
	v_and_b32_e32 v3, 0x7fffffff, v2
	s_wait_xcnt 0x0
	v_cmpx_gt_u32_e32 0x43800000, v3
	s_cbranch_execz .LBB294_217
; %bb.212:
	v_cmp_lt_u32_e32 vcc_lo, 0x3bffffff, v3
	s_mov_b32 s7, 0
                                        ; implicit-def: $vgpr3
	s_and_saveexec_b32 s8, vcc_lo
	s_delay_alu instid0(SALU_CYCLE_1)
	s_xor_b32 s8, exec_lo, s8
	s_cbranch_execnz .LBB294_546
; %bb.213:
	s_and_not1_saveexec_b32 s8, s8
	s_cbranch_execnz .LBB294_547
.LBB294_214:
	s_or_b32 exec_lo, exec_lo, s8
	v_mov_b32_e32 v12, 0
	s_and_saveexec_b32 s8, s7
.LBB294_215:
	v_lshrrev_b32_e32 v2, 24, v2
	s_delay_alu instid0(VALU_DEP_1)
	v_and_or_b32 v12, 0x80, v2, v3
.LBB294_216:
	s_or_b32 exec_lo, exec_lo, s8
.LBB294_217:
	s_delay_alu instid0(SALU_CYCLE_1)
	s_or_b32 exec_lo, exec_lo, s6
.LBB294_218:
	s_delay_alu instid0(SALU_CYCLE_1)
	s_or_b32 exec_lo, exec_lo, s5
                                        ; implicit-def: $vgpr10_vgpr11
.LBB294_219:
	s_and_not1_saveexec_b32 s4, s4
	s_cbranch_execz .LBB294_227
; %bb.220:
	flat_load_i16 v2, v[10:11]
	s_wait_loadcnt_dscnt 0x101
	v_mov_b32_e32 v12, 0x80
	s_mov_b32 s5, exec_lo
	s_wait_loadcnt_dscnt 0x0
	v_cvt_f32_i32_e32 v2, v2
	s_delay_alu instid0(VALU_DEP_1) | instskip(SKIP_1) | instid1(VALU_DEP_1)
	v_and_b32_e32 v3, 0x7fffffff, v2
	s_wait_xcnt 0x0
	v_cmpx_gt_u32_e32 0x43800000, v3
	s_cbranch_execz .LBB294_226
; %bb.221:
	v_cmp_lt_u32_e32 vcc_lo, 0x3bffffff, v3
	s_mov_b32 s6, 0
                                        ; implicit-def: $vgpr3
	s_and_saveexec_b32 s7, vcc_lo
	s_delay_alu instid0(SALU_CYCLE_1)
	s_xor_b32 s7, exec_lo, s7
	s_cbranch_execnz .LBB294_512
; %bb.222:
	s_and_not1_saveexec_b32 s7, s7
	s_cbranch_execnz .LBB294_513
.LBB294_223:
	s_or_b32 exec_lo, exec_lo, s7
	v_mov_b32_e32 v12, 0
	s_and_saveexec_b32 s7, s6
.LBB294_224:
	v_lshrrev_b32_e32 v2, 24, v2
	s_delay_alu instid0(VALU_DEP_1)
	v_and_or_b32 v12, 0x80, v2, v3
.LBB294_225:
	s_or_b32 exec_lo, exec_lo, s7
.LBB294_226:
	s_delay_alu instid0(SALU_CYCLE_1)
	s_or_b32 exec_lo, exec_lo, s5
.LBB294_227:
	s_delay_alu instid0(SALU_CYCLE_1)
	s_or_b32 exec_lo, exec_lo, s4
                                        ; implicit-def: $vgpr10_vgpr11
.LBB294_228:
	s_and_not1_saveexec_b32 s3, s3
	s_cbranch_execz .LBB294_246
; %bb.229:
	s_mov_b32 s4, exec_lo
                                        ; implicit-def: $vgpr12
	v_cmpx_lt_i16_e32 0, v6
	s_xor_b32 s4, exec_lo, s4
	s_cbranch_execz .LBB294_237
; %bb.230:
	flat_load_i8 v2, v[10:11]
	s_wait_loadcnt_dscnt 0x101
	v_mov_b32_e32 v12, 0x80
	s_mov_b32 s5, exec_lo
	s_wait_loadcnt_dscnt 0x0
	v_cvt_f32_i32_e32 v2, v2
	s_delay_alu instid0(VALU_DEP_1) | instskip(SKIP_1) | instid1(VALU_DEP_1)
	v_and_b32_e32 v3, 0x7fffffff, v2
	s_wait_xcnt 0x0
	v_cmpx_gt_u32_e32 0x43800000, v3
	s_cbranch_execz .LBB294_236
; %bb.231:
	v_cmp_lt_u32_e32 vcc_lo, 0x3bffffff, v3
	s_mov_b32 s6, 0
                                        ; implicit-def: $vgpr3
	s_and_saveexec_b32 s7, vcc_lo
	s_delay_alu instid0(SALU_CYCLE_1)
	s_xor_b32 s7, exec_lo, s7
	s_cbranch_execnz .LBB294_514
; %bb.232:
	s_and_not1_saveexec_b32 s7, s7
	s_cbranch_execnz .LBB294_515
.LBB294_233:
	s_or_b32 exec_lo, exec_lo, s7
	v_mov_b32_e32 v12, 0
	s_and_saveexec_b32 s7, s6
.LBB294_234:
	v_lshrrev_b32_e32 v2, 24, v2
	s_delay_alu instid0(VALU_DEP_1)
	v_and_or_b32 v12, 0x80, v2, v3
.LBB294_235:
	s_or_b32 exec_lo, exec_lo, s7
.LBB294_236:
	s_delay_alu instid0(SALU_CYCLE_1)
	s_or_b32 exec_lo, exec_lo, s5
                                        ; implicit-def: $vgpr10_vgpr11
.LBB294_237:
	s_and_not1_saveexec_b32 s4, s4
	s_cbranch_execz .LBB294_245
; %bb.238:
	flat_load_u8 v2, v[10:11]
	s_wait_loadcnt_dscnt 0x101
	v_mov_b32_e32 v12, 0x80
	s_mov_b32 s5, exec_lo
	s_wait_loadcnt_dscnt 0x0
	v_cvt_f32_ubyte0_e32 v3, v2
	s_wait_xcnt 0x0
	s_delay_alu instid0(VALU_DEP_1)
	v_cmpx_gt_u32_e32 0x43800000, v3
	s_cbranch_execz .LBB294_244
; %bb.239:
	s_mov_b32 s6, 0
	s_mov_b32 s7, exec_lo
                                        ; implicit-def: $vgpr2
	v_cmpx_lt_u32_e32 0x3bffffff, v3
	s_xor_b32 s7, exec_lo, s7
	s_cbranch_execnz .LBB294_516
; %bb.240:
	s_and_not1_saveexec_b32 s7, s7
	s_cbranch_execnz .LBB294_517
.LBB294_241:
	s_or_b32 exec_lo, exec_lo, s7
	v_mov_b32_e32 v12, 0
	s_and_saveexec_b32 s7, s6
.LBB294_242:
	v_mov_b32_e32 v12, v2
.LBB294_243:
	s_or_b32 exec_lo, exec_lo, s7
.LBB294_244:
	s_delay_alu instid0(SALU_CYCLE_1)
	s_or_b32 exec_lo, exec_lo, s5
.LBB294_245:
	s_delay_alu instid0(SALU_CYCLE_1)
	s_or_b32 exec_lo, exec_lo, s4
.LBB294_246:
	s_delay_alu instid0(SALU_CYCLE_1)
	s_or_b32 exec_lo, exec_lo, s3
.LBB294_247:
	s_delay_alu instid0(SALU_CYCLE_1) | instskip(NEXT) | instid1(SALU_CYCLE_1)
	s_or_b32 exec_lo, exec_lo, s1
	s_or_b32 s2, s2, exec_lo
	s_or_b32 exec_lo, exec_lo, s0
                                        ; implicit-def: $sgpr1
	s_and_saveexec_b32 s0, s2
	s_cbranch_execz .LBB294_126
.LBB294_248:
	s_mov_b32 s2, exec_lo
                                        ; implicit-def: $sgpr1
	v_cmpx_ne_u32_e32 0, v0
	s_xor_b32 s2, exec_lo, s2
	s_cbranch_execz .LBB294_258
; %bb.249:
	s_wait_loadcnt_dscnt 0x0
	v_and_b32_e32 v2, 0xff, v1
	s_mov_b32 s1, 0
	s_mov_b32 s3, exec_lo
	s_delay_alu instid0(VALU_DEP_1)
	v_cmpx_lt_i16_e32 0x7f, v2
	s_xor_b32 s3, exec_lo, s3
	s_cbranch_execnz .LBB294_480
; %bb.250:
	s_or_saveexec_b32 s3, s3
	v_mov_b32_e32 v0, 0x7f800001
	s_xor_b32 exec_lo, exec_lo, s3
	s_cbranch_execnz .LBB294_483
.LBB294_251:
	s_or_b32 exec_lo, exec_lo, s3
	s_and_saveexec_b32 s3, s1
	s_cbranch_execz .LBB294_253
.LBB294_252:
	v_and_b32_e32 v0, 7, v1
	v_lshrrev_b16 v3, 3, v1
	s_delay_alu instid0(VALU_DEP_2) | instskip(NEXT) | instid1(VALU_DEP_1)
	v_clz_i32_u32_e32 v2, v0
	v_min_u32_e32 v2, 32, v2
	s_delay_alu instid0(VALU_DEP_3) | instskip(NEXT) | instid1(VALU_DEP_2)
	v_and_b32_e32 v3, 15, v3
	v_subrev_nc_u32_e32 v4, 28, v2
	v_sub_nc_u32_e32 v2, 29, v2
	s_delay_alu instid0(VALU_DEP_3) | instskip(NEXT) | instid1(VALU_DEP_3)
	v_cmp_eq_u32_e32 vcc_lo, 0, v3
	v_dual_lshlrev_b32 v4, v4, v1 :: v_dual_lshlrev_b32 v1, 24, v1
	s_delay_alu instid0(VALU_DEP_1) | instskip(NEXT) | instid1(VALU_DEP_2)
	v_dual_cndmask_b32 v2, v3, v2, vcc_lo :: v_dual_bitop2_b32 v4, 7, v4 bitop3:0x40
	v_and_b32_e32 v1, 0x80000000, v1
	s_delay_alu instid0(VALU_DEP_2) | instskip(NEXT) | instid1(VALU_DEP_3)
	v_cndmask_b32_e32 v0, v0, v4, vcc_lo
	v_lshl_add_u32 v2, v2, 23, 0x3b800000
	s_delay_alu instid0(VALU_DEP_2) | instskip(NEXT) | instid1(VALU_DEP_1)
	v_lshlrev_b32_e32 v0, 20, v0
	v_or3_b32 v0, v1, v2, v0
.LBB294_253:
	s_or_b32 exec_lo, exec_lo, s3
	v_and_b32_e32 v2, 0xff, v12
	s_mov_b32 s1, 0
	s_mov_b32 s3, exec_lo
	s_delay_alu instid0(VALU_DEP_1)
	v_cmpx_lt_i16_e32 0x7f, v2
	s_xor_b32 s3, exec_lo, s3
	s_cbranch_execnz .LBB294_484
; %bb.254:
	s_or_saveexec_b32 s3, s3
	v_mov_b32_e32 v1, 0x7f800001
	s_xor_b32 exec_lo, exec_lo, s3
	s_cbranch_execnz .LBB294_487
.LBB294_255:
	s_or_b32 exec_lo, exec_lo, s3
	s_and_saveexec_b32 s3, s1
	s_cbranch_execz .LBB294_257
.LBB294_256:
	v_and_b32_e32 v1, 7, v12
	v_lshrrev_b16 v3, 3, v12
	s_delay_alu instid0(VALU_DEP_2) | instskip(NEXT) | instid1(VALU_DEP_1)
	v_clz_i32_u32_e32 v2, v1
	v_min_u32_e32 v2, 32, v2
	s_delay_alu instid0(VALU_DEP_3) | instskip(NEXT) | instid1(VALU_DEP_2)
	v_and_b32_e32 v3, 15, v3
	v_subrev_nc_u32_e32 v4, 28, v2
	v_sub_nc_u32_e32 v2, 29, v2
	s_delay_alu instid0(VALU_DEP_3) | instskip(NEXT) | instid1(VALU_DEP_2)
	v_cmp_eq_u32_e32 vcc_lo, 0, v3
	v_dual_lshlrev_b32 v4, v4, v12 :: v_dual_cndmask_b32 v2, v3, v2, vcc_lo
	s_delay_alu instid0(VALU_DEP_1) | instskip(NEXT) | instid1(VALU_DEP_2)
	v_and_b32_e32 v4, 7, v4
	v_lshl_add_u32 v2, v2, 23, 0x3b800000
	s_delay_alu instid0(VALU_DEP_2) | instskip(NEXT) | instid1(VALU_DEP_1)
	v_cndmask_b32_e32 v1, v1, v4, vcc_lo
	v_dual_lshlrev_b32 v5, 24, v12 :: v_dual_lshlrev_b32 v1, 20, v1
	s_delay_alu instid0(VALU_DEP_1) | instskip(NEXT) | instid1(VALU_DEP_1)
	v_and_b32_e32 v3, 0x80000000, v5
	v_or3_b32 v1, v3, v2, v1
.LBB294_257:
	s_or_b32 exec_lo, exec_lo, s3
	s_delay_alu instid0(VALU_DEP_1)
	v_cmp_neq_f32_e64 s1, v0, v1
                                        ; implicit-def: $vgpr12
                                        ; implicit-def: $vgpr1
.LBB294_258:
	s_and_not1_saveexec_b32 s2, s2
	s_cbranch_execz .LBB294_126
; %bb.259:
	s_wait_loadcnt_dscnt 0x0
	v_and_b32_e32 v2, 0xff, v1
	s_mov_b32 s2, 0
	s_mov_b32 s3, exec_lo
	s_delay_alu instid0(VALU_DEP_1)
	v_cmpx_lt_i16_e32 0x7f, v2
	s_xor_b32 s3, exec_lo, s3
	s_cbranch_execnz .LBB294_488
; %bb.260:
	s_or_saveexec_b32 s3, s3
	v_mov_b32_e32 v0, 0x7f800001
	s_xor_b32 exec_lo, exec_lo, s3
	s_cbranch_execnz .LBB294_491
.LBB294_261:
	s_or_b32 exec_lo, exec_lo, s3
	s_and_saveexec_b32 s3, s2
	s_cbranch_execz .LBB294_263
.LBB294_262:
	v_and_b32_e32 v0, 7, v1
	v_lshrrev_b16 v3, 3, v1
	s_delay_alu instid0(VALU_DEP_2) | instskip(NEXT) | instid1(VALU_DEP_1)
	v_clz_i32_u32_e32 v2, v0
	v_min_u32_e32 v2, 32, v2
	s_delay_alu instid0(VALU_DEP_3) | instskip(NEXT) | instid1(VALU_DEP_2)
	v_and_b32_e32 v3, 15, v3
	v_subrev_nc_u32_e32 v4, 28, v2
	v_sub_nc_u32_e32 v2, 29, v2
	s_delay_alu instid0(VALU_DEP_3) | instskip(NEXT) | instid1(VALU_DEP_3)
	v_cmp_eq_u32_e32 vcc_lo, 0, v3
	v_dual_lshlrev_b32 v4, v4, v1 :: v_dual_lshlrev_b32 v1, 24, v1
	s_delay_alu instid0(VALU_DEP_1) | instskip(NEXT) | instid1(VALU_DEP_2)
	v_dual_cndmask_b32 v2, v3, v2, vcc_lo :: v_dual_bitop2_b32 v4, 7, v4 bitop3:0x40
	v_and_b32_e32 v1, 0x80000000, v1
	s_delay_alu instid0(VALU_DEP_2) | instskip(NEXT) | instid1(VALU_DEP_3)
	v_cndmask_b32_e32 v0, v0, v4, vcc_lo
	v_lshl_add_u32 v2, v2, 23, 0x3b800000
	s_delay_alu instid0(VALU_DEP_2) | instskip(NEXT) | instid1(VALU_DEP_1)
	v_lshlrev_b32_e32 v0, 20, v0
	v_or3_b32 v0, v1, v2, v0
.LBB294_263:
	s_or_b32 exec_lo, exec_lo, s3
	v_and_b32_e32 v2, 0xff, v12
	s_mov_b32 s2, 0
	s_mov_b32 s3, exec_lo
	s_delay_alu instid0(VALU_DEP_1)
	v_cmpx_lt_i16_e32 0x7f, v2
	s_xor_b32 s3, exec_lo, s3
	s_cbranch_execnz .LBB294_492
; %bb.264:
	s_or_saveexec_b32 s3, s3
	v_mov_b32_e32 v1, 0x7f800001
	s_xor_b32 exec_lo, exec_lo, s3
	s_cbranch_execnz .LBB294_495
.LBB294_265:
	s_or_b32 exec_lo, exec_lo, s3
	s_and_saveexec_b32 s3, s2
	s_cbranch_execz .LBB294_267
.LBB294_266:
	v_and_b32_e32 v1, 7, v12
	v_lshrrev_b16 v3, 3, v12
	s_delay_alu instid0(VALU_DEP_2) | instskip(NEXT) | instid1(VALU_DEP_1)
	v_clz_i32_u32_e32 v2, v1
	v_min_u32_e32 v2, 32, v2
	s_delay_alu instid0(VALU_DEP_3) | instskip(NEXT) | instid1(VALU_DEP_2)
	v_and_b32_e32 v3, 15, v3
	v_subrev_nc_u32_e32 v4, 28, v2
	v_sub_nc_u32_e32 v2, 29, v2
	s_delay_alu instid0(VALU_DEP_3) | instskip(NEXT) | instid1(VALU_DEP_2)
	v_cmp_eq_u32_e32 vcc_lo, 0, v3
	v_dual_lshlrev_b32 v4, v4, v12 :: v_dual_cndmask_b32 v2, v3, v2, vcc_lo
	s_delay_alu instid0(VALU_DEP_1) | instskip(NEXT) | instid1(VALU_DEP_2)
	v_and_b32_e32 v4, 7, v4
	v_lshl_add_u32 v2, v2, 23, 0x3b800000
	s_delay_alu instid0(VALU_DEP_2) | instskip(NEXT) | instid1(VALU_DEP_1)
	v_cndmask_b32_e32 v1, v1, v4, vcc_lo
	v_dual_lshlrev_b32 v5, 24, v12 :: v_dual_lshlrev_b32 v1, 20, v1
	s_delay_alu instid0(VALU_DEP_1) | instskip(NEXT) | instid1(VALU_DEP_1)
	v_and_b32_e32 v3, 0x80000000, v5
	v_or3_b32 v1, v3, v2, v1
.LBB294_267:
	s_or_b32 exec_lo, exec_lo, s3
	s_delay_alu instid0(VALU_DEP_1) | instskip(SKIP_2) | instid1(SALU_CYCLE_1)
	v_cmp_eq_f32_e32 vcc_lo, v0, v1
	s_and_not1_b32 s1, s1, exec_lo
	s_and_b32 s2, vcc_lo, exec_lo
	s_or_b32 s1, s1, s2
	s_or_b32 exec_lo, exec_lo, s0
	v_cndmask_b32_e64 v0, 0, 1, s1
	s_set_pc_i64 s[30:31]
.LBB294_268:
	s_mov_b32 s5, 0
	s_mov_b32 s2, exec_lo
                                        ; implicit-def: $vgpr1
	v_cmpx_lt_i16_e32 28, v6
	s_xor_b32 s2, exec_lo, s2
	s_cbranch_execz .LBB294_302
; %bb.269:
	s_mov_b32 s6, 0
	s_mov_b32 s7, 0
	s_mov_b32 s4, exec_lo
                                        ; implicit-def: $vgpr1
	v_cmpx_lt_i16_e32 43, v6
	s_xor_b32 s4, exec_lo, s4
	s_cbranch_execz .LBB294_291
; %bb.270:
	s_mov_b32 s7, exec_lo
                                        ; implicit-def: $vgpr1
	v_cmpx_lt_i16_e32 45, v6
	s_xor_b32 s7, exec_lo, s7
	s_cbranch_execz .LBB294_280
; %bb.271:
	s_mov_b32 s8, -1
	s_mov_b32 s5, exec_lo
                                        ; implicit-def: $vgpr1
	v_cmpx_eq_u16_e32 46, v6
	s_cbranch_execz .LBB294_279
; %bb.272:
	flat_load_b32 v1, v[10:11]
	s_mov_b32 s6, exec_lo
	s_wait_loadcnt_dscnt 0x0
	v_dual_mov_b32 v1, 0x80 :: v_dual_lshlrev_b32 v6, 16, v1
	s_delay_alu instid0(VALU_DEP_1) | instskip(SKIP_1) | instid1(VALU_DEP_1)
	v_and_b32_e32 v12, 0x7fffffff, v6
	s_wait_xcnt 0x0
	v_cmpx_gt_u32_e32 0x43800000, v12
	s_cbranch_execz .LBB294_278
; %bb.273:
	v_cmp_lt_u32_e32 vcc_lo, 0x3bffffff, v12
	s_mov_b32 s8, 0
                                        ; implicit-def: $vgpr12
	s_and_saveexec_b32 s9, vcc_lo
	s_delay_alu instid0(SALU_CYCLE_1)
	s_xor_b32 s9, exec_lo, s9
	s_cbranch_execnz .LBB294_566
; %bb.274:
	s_and_not1_saveexec_b32 s9, s9
	s_cbranch_execnz .LBB294_567
.LBB294_275:
	s_or_b32 exec_lo, exec_lo, s9
	v_mov_b32_e32 v1, 0
	s_and_saveexec_b32 s9, s8
.LBB294_276:
	v_lshrrev_b32_e32 v1, 24, v6
	s_delay_alu instid0(VALU_DEP_1)
	v_and_or_b32 v1, 0x80, v1, v12
.LBB294_277:
	s_or_b32 exec_lo, exec_lo, s9
.LBB294_278:
	s_delay_alu instid0(SALU_CYCLE_1) | instskip(NEXT) | instid1(SALU_CYCLE_1)
	s_or_b32 exec_lo, exec_lo, s6
	s_mov_b32 s6, exec_lo
	s_xor_b32 s8, exec_lo, -1
.LBB294_279:
	s_or_b32 exec_lo, exec_lo, s5
	s_delay_alu instid0(SALU_CYCLE_1)
	s_and_b32 s6, s6, exec_lo
	s_and_b32 s5, s8, exec_lo
                                        ; implicit-def: $vgpr6
.LBB294_280:
	s_and_not1_saveexec_b32 s7, s7
	s_cbranch_execz .LBB294_290
; %bb.281:
	s_mov_b32 s9, -1
	s_mov_b32 s10, s6
	s_mov_b32 s8, exec_lo
                                        ; implicit-def: $vgpr1
	v_cmpx_eq_u16_e32 44, v6
	s_cbranch_execz .LBB294_289
; %bb.282:
	flat_load_u8 v1, v[10:11]
	s_mov_b32 s10, 0
	s_mov_b32 s9, exec_lo
	s_wait_loadcnt_dscnt 0x0
	v_lshlrev_b32_e32 v6, 23, v1
	v_cmp_ne_u32_e32 vcc_lo, 0xff, v1
	s_delay_alu instid0(VALU_DEP_2) | instskip(SKIP_2) | instid1(VALU_DEP_3)
	v_cndmask_b32_e32 v6, 0x7f800001, v6, vcc_lo
	v_cmp_ne_u32_e32 vcc_lo, 0, v1
	v_mov_b32_e32 v1, 0x80
	v_cndmask_b32_e32 v12, 0x400000, v6, vcc_lo
	s_wait_xcnt 0x0
	s_delay_alu instid0(VALU_DEP_1)
	v_cmpx_gt_u32_e32 0x43800000, v12
	s_cbranch_execz .LBB294_288
; %bb.283:
	s_mov_b32 s11, exec_lo
                                        ; implicit-def: $vgpr6
	v_cmpx_lt_u32_e32 0x3bffffff, v12
	s_xor_b32 s11, exec_lo, s11
	s_cbranch_execnz .LBB294_568
; %bb.284:
	s_and_not1_saveexec_b32 s11, s11
	s_cbranch_execnz .LBB294_569
.LBB294_285:
	s_or_b32 exec_lo, exec_lo, s11
	v_mov_b32_e32 v1, 0
	s_and_saveexec_b32 s11, s10
.LBB294_286:
	v_mov_b32_e32 v1, v6
.LBB294_287:
	s_or_b32 exec_lo, exec_lo, s11
.LBB294_288:
	s_delay_alu instid0(SALU_CYCLE_1) | instskip(NEXT) | instid1(SALU_CYCLE_1)
	s_or_b32 exec_lo, exec_lo, s9
	s_or_b32 s10, s6, exec_lo
	s_xor_b32 s9, exec_lo, -1
.LBB294_289:
	s_or_b32 exec_lo, exec_lo, s8
	s_delay_alu instid0(SALU_CYCLE_1)
	s_and_not1_b32 s6, s6, exec_lo
	s_and_b32 s8, s10, exec_lo
	s_and_not1_b32 s5, s5, exec_lo
	s_and_b32 s9, s9, exec_lo
	s_or_b32 s6, s6, s8
	s_or_b32 s5, s5, s9
.LBB294_290:
	s_or_b32 exec_lo, exec_lo, s7
	s_delay_alu instid0(SALU_CYCLE_1)
	s_and_b32 s7, s6, exec_lo
	s_and_b32 s6, s5, exec_lo
                                        ; implicit-def: $vgpr6
.LBB294_291:
	s_and_not1_saveexec_b32 s4, s4
	s_cbranch_execz .LBB294_301
; %bb.292:
	s_mov_b32 s8, -1
	s_mov_b32 s9, s7
	s_mov_b32 s5, exec_lo
                                        ; implicit-def: $vgpr1
	v_cmpx_eq_u16_e32 29, v6
	s_cbranch_execz .LBB294_300
; %bb.293:
	flat_load_b64 v[12:13], v[10:11]
	s_mov_b32 s8, exec_lo
	s_wait_loadcnt_dscnt 0x0
	v_clz_i32_u32_e32 v1, v13
	s_delay_alu instid0(VALU_DEP_1) | instskip(NEXT) | instid1(VALU_DEP_1)
	v_min_u32_e32 v1, 32, v1
	v_lshlrev_b64_e32 v[12:13], v1, v[12:13]
	v_sub_nc_u32_e32 v1, 32, v1
	s_delay_alu instid0(VALU_DEP_2) | instskip(NEXT) | instid1(VALU_DEP_1)
	v_min_u32_e32 v6, 1, v12
	v_or_b32_e32 v6, v13, v6
	s_delay_alu instid0(VALU_DEP_1) | instskip(NEXT) | instid1(VALU_DEP_1)
	v_cvt_f32_u32_e32 v6, v6
	v_ldexp_f32 v12, v6, v1
	v_mov_b32_e32 v1, 0x80
	s_wait_xcnt 0x0
	s_delay_alu instid0(VALU_DEP_2)
	v_cmpx_gt_u32_e32 0x43800000, v12
	s_cbranch_execz .LBB294_299
; %bb.294:
	s_mov_b32 s9, 0
	s_mov_b32 s10, exec_lo
                                        ; implicit-def: $vgpr6
	v_cmpx_lt_u32_e32 0x3bffffff, v12
	s_xor_b32 s10, exec_lo, s10
	s_cbranch_execnz .LBB294_548
; %bb.295:
	s_and_not1_saveexec_b32 s10, s10
	s_cbranch_execnz .LBB294_549
.LBB294_296:
	s_or_b32 exec_lo, exec_lo, s10
	v_mov_b32_e32 v1, 0
	s_and_saveexec_b32 s10, s9
.LBB294_297:
	v_mov_b32_e32 v1, v6
.LBB294_298:
	s_or_b32 exec_lo, exec_lo, s10
.LBB294_299:
	s_delay_alu instid0(SALU_CYCLE_1) | instskip(NEXT) | instid1(SALU_CYCLE_1)
	s_or_b32 exec_lo, exec_lo, s8
	s_or_b32 s9, s7, exec_lo
	s_xor_b32 s8, exec_lo, -1
.LBB294_300:
	s_or_b32 exec_lo, exec_lo, s5
	s_delay_alu instid0(SALU_CYCLE_1)
	s_and_not1_b32 s5, s7, exec_lo
	s_and_b32 s7, s9, exec_lo
	s_and_not1_b32 s6, s6, exec_lo
	s_and_b32 s8, s8, exec_lo
	s_or_b32 s7, s5, s7
	s_or_b32 s6, s6, s8
.LBB294_301:
	s_or_b32 exec_lo, exec_lo, s4
	s_delay_alu instid0(SALU_CYCLE_1)
	s_and_b32 s5, s7, exec_lo
	s_and_b32 s4, s6, exec_lo
                                        ; implicit-def: $vgpr6
.LBB294_302:
	s_and_not1_saveexec_b32 s2, s2
	s_cbranch_execz .LBB294_324
; %bb.303:
	s_mov_b32 s6, exec_lo
                                        ; implicit-def: $vgpr1
	v_cmpx_lt_i16_e32 26, v6
	s_xor_b32 s6, exec_lo, s6
	s_cbranch_execz .LBB294_321
; %bb.304:
	s_mov_b32 s7, exec_lo
                                        ; implicit-def: $vgpr1
	v_cmpx_lt_i16_e32 27, v6
	s_xor_b32 s7, exec_lo, s7
	s_cbranch_execz .LBB294_312
; %bb.305:
	flat_load_b32 v1, v[10:11]
	s_mov_b32 s8, exec_lo
	s_wait_loadcnt_dscnt 0x0
	v_cvt_f32_u32_e32 v12, v1
	v_mov_b32_e32 v1, 0x80
	s_wait_xcnt 0x0
	s_delay_alu instid0(VALU_DEP_2)
	v_cmpx_gt_u32_e32 0x43800000, v12
	s_cbranch_execz .LBB294_311
; %bb.306:
	s_mov_b32 s9, 0
	s_mov_b32 s10, exec_lo
                                        ; implicit-def: $vgpr6
	v_cmpx_lt_u32_e32 0x3bffffff, v12
	s_xor_b32 s10, exec_lo, s10
	s_cbranch_execnz .LBB294_550
; %bb.307:
	s_and_not1_saveexec_b32 s10, s10
	s_cbranch_execnz .LBB294_551
.LBB294_308:
	s_or_b32 exec_lo, exec_lo, s10
	v_mov_b32_e32 v1, 0
	s_and_saveexec_b32 s10, s9
.LBB294_309:
	v_mov_b32_e32 v1, v6
.LBB294_310:
	s_or_b32 exec_lo, exec_lo, s10
.LBB294_311:
	s_delay_alu instid0(SALU_CYCLE_1)
	s_or_b32 exec_lo, exec_lo, s8
.LBB294_312:
	s_and_not1_saveexec_b32 s7, s7
	s_cbranch_execz .LBB294_320
; %bb.313:
	flat_load_u16 v1, v[10:11]
	s_mov_b32 s8, exec_lo
	s_wait_loadcnt_dscnt 0x0
	v_cvt_f32_u32_e32 v12, v1
	v_mov_b32_e32 v1, 0x80
	s_wait_xcnt 0x0
	s_delay_alu instid0(VALU_DEP_2)
	v_cmpx_gt_u32_e32 0x43800000, v12
	s_cbranch_execz .LBB294_319
; %bb.314:
	s_mov_b32 s9, 0
	s_mov_b32 s10, exec_lo
                                        ; implicit-def: $vgpr6
	v_cmpx_lt_u32_e32 0x3bffffff, v12
	s_xor_b32 s10, exec_lo, s10
	s_cbranch_execnz .LBB294_552
; %bb.315:
	s_and_not1_saveexec_b32 s10, s10
	s_cbranch_execnz .LBB294_553
.LBB294_316:
	s_or_b32 exec_lo, exec_lo, s10
	v_mov_b32_e32 v1, 0
	s_and_saveexec_b32 s10, s9
.LBB294_317:
	v_mov_b32_e32 v1, v6
.LBB294_318:
	s_or_b32 exec_lo, exec_lo, s10
.LBB294_319:
	s_delay_alu instid0(SALU_CYCLE_1)
	s_or_b32 exec_lo, exec_lo, s8
.LBB294_320:
	s_delay_alu instid0(SALU_CYCLE_1)
	s_or_b32 exec_lo, exec_lo, s7
.LBB294_321:
	s_and_not1_saveexec_b32 s6, s6
	s_cbranch_execz .LBB294_323
; %bb.322:
	flat_load_u8 v1, v[10:11]
.LBB294_323:
	s_wait_xcnt 0x0
	s_or_b32 exec_lo, exec_lo, s6
	s_delay_alu instid0(SALU_CYCLE_1)
	s_or_b32 s5, s5, exec_lo
.LBB294_324:
	s_or_b32 exec_lo, exec_lo, s2
	s_delay_alu instid0(SALU_CYCLE_1)
	s_and_b32 s2, s5, exec_lo
	s_and_b32 s4, s4, exec_lo
                                        ; implicit-def: $vgpr6
	s_and_not1_saveexec_b32 s3, s3
	s_cbranch_execz .LBB294_3
.LBB294_325:
	s_mov_b32 s5, s2
	s_mov_b32 s0, exec_lo
                                        ; implicit-def: $vgpr1
	v_cmpx_lt_i16_e32 22, v6
	s_xor_b32 s0, exec_lo, s0
	s_cbranch_execz .LBB294_357
; %bb.326:
	s_mov_b32 s5, exec_lo
                                        ; implicit-def: $vgpr1
	v_cmpx_lt_i16_e32 23, v6
	s_xor_b32 s5, exec_lo, s5
	s_cbranch_execz .LBB294_348
; %bb.327:
	;; [unrolled: 6-line block ×3, first 2 shown]
	s_wait_loadcnt_dscnt 0x0
	flat_load_u8 v1, v[10:11]
	s_mov_b32 s7, 0
	s_mov_b32 s8, exec_lo
	s_wait_loadcnt_dscnt 0x0
	v_cmpx_lt_i16_e32 0x7f, v1
	s_xor_b32 s8, exec_lo, s8
	s_cbranch_execnz .LBB294_518
; %bb.329:
	s_or_saveexec_b32 s8, s8
	v_mov_b32_e32 v6, 0x7f800001
	s_xor_b32 exec_lo, exec_lo, s8
	s_cbranch_execnz .LBB294_521
.LBB294_330:
	s_or_b32 exec_lo, exec_lo, s8
	s_and_saveexec_b32 s8, s7
	s_cbranch_execz .LBB294_332
.LBB294_331:
	v_and_b32_e32 v6, 0xffff, v1
	s_delay_alu instid0(VALU_DEP_1) | instskip(SKIP_1) | instid1(VALU_DEP_2)
	v_and_b32_e32 v12, 3, v6
	v_bfe_u32 v15, v6, 2, 5
	v_clz_i32_u32_e32 v13, v12
	s_delay_alu instid0(VALU_DEP_2) | instskip(NEXT) | instid1(VALU_DEP_2)
	v_cmp_eq_u32_e32 vcc_lo, 0, v15
	v_min_u32_e32 v13, 32, v13
	s_delay_alu instid0(VALU_DEP_1) | instskip(NEXT) | instid1(VALU_DEP_1)
	v_subrev_nc_u32_e32 v14, 29, v13
	v_dual_lshlrev_b32 v6, v14, v6 :: v_dual_sub_nc_u32 v13, 30, v13
	s_delay_alu instid0(VALU_DEP_1) | instskip(NEXT) | instid1(VALU_DEP_1)
	v_dual_lshlrev_b32 v1, 24, v1 :: v_dual_bitop2_b32 v6, 3, v6 bitop3:0x40
	v_dual_cndmask_b32 v6, v12, v6 :: v_dual_cndmask_b32 v13, v15, v13
	s_delay_alu instid0(VALU_DEP_2) | instskip(NEXT) | instid1(VALU_DEP_2)
	v_and_b32_e32 v1, 0x80000000, v1
	v_lshlrev_b32_e32 v6, 21, v6
	s_delay_alu instid0(VALU_DEP_3) | instskip(NEXT) | instid1(VALU_DEP_1)
	v_lshl_add_u32 v12, v13, 23, 0x37800000
	v_or3_b32 v6, v1, v12, v6
.LBB294_332:
	s_or_b32 exec_lo, exec_lo, s8
	s_delay_alu instid0(VALU_DEP_1) | instskip(SKIP_2) | instid1(VALU_DEP_2)
	v_and_b32_e32 v12, 0x7fffffff, v6
	v_mov_b32_e32 v1, 0x80
	s_mov_b32 s7, exec_lo
	v_cmpx_gt_u32_e32 0x43800000, v12
	s_cbranch_execz .LBB294_338
; %bb.333:
	v_cmp_lt_u32_e32 vcc_lo, 0x3bffffff, v12
	s_mov_b32 s8, 0
                                        ; implicit-def: $vgpr12
	s_and_saveexec_b32 s9, vcc_lo
	s_delay_alu instid0(SALU_CYCLE_1)
	s_xor_b32 s9, exec_lo, s9
	s_cbranch_execnz .LBB294_554
; %bb.334:
	s_and_not1_saveexec_b32 s9, s9
	s_cbranch_execnz .LBB294_555
.LBB294_335:
	s_or_b32 exec_lo, exec_lo, s9
	v_mov_b32_e32 v1, 0
	s_and_saveexec_b32 s9, s8
.LBB294_336:
	v_lshrrev_b32_e32 v1, 24, v6
	s_delay_alu instid0(VALU_DEP_1)
	v_and_or_b32 v1, 0x80, v1, v12
.LBB294_337:
	s_or_b32 exec_lo, exec_lo, s9
.LBB294_338:
	s_delay_alu instid0(SALU_CYCLE_1)
	s_or_b32 exec_lo, exec_lo, s7
.LBB294_339:
	s_and_not1_saveexec_b32 s6, s6
	s_cbranch_execz .LBB294_347
; %bb.340:
	s_wait_loadcnt_dscnt 0x0
	flat_load_u8 v1, v[10:11]
	s_mov_b32 s8, 0
	s_mov_b32 s7, exec_lo
	s_wait_loadcnt_dscnt 0x0
	v_lshlrev_b32_e32 v1, 24, v1
	s_delay_alu instid0(VALU_DEP_1) | instskip(NEXT) | instid1(VALU_DEP_1)
	v_and_b32_e32 v6, 0x7f000000, v1
	v_clz_i32_u32_e32 v12, v6
	v_cmp_ne_u32_e32 vcc_lo, 0, v6
	v_add_nc_u32_e32 v14, 0x1000000, v6
	s_delay_alu instid0(VALU_DEP_3) | instskip(NEXT) | instid1(VALU_DEP_1)
	v_min_u32_e32 v12, 32, v12
	v_sub_nc_u32_e64 v12, v12, 4 clamp
	s_delay_alu instid0(VALU_DEP_1) | instskip(NEXT) | instid1(VALU_DEP_1)
	v_dual_lshlrev_b32 v13, v12, v6 :: v_dual_lshlrev_b32 v12, 23, v12
	v_lshrrev_b32_e32 v13, 4, v13
	s_delay_alu instid0(VALU_DEP_1) | instskip(NEXT) | instid1(VALU_DEP_1)
	v_dual_sub_nc_u32 v12, v13, v12 :: v_dual_ashrrev_i32 v13, 8, v14
	v_add_nc_u32_e32 v12, 0x3c000000, v12
	s_delay_alu instid0(VALU_DEP_1) | instskip(NEXT) | instid1(VALU_DEP_1)
	v_and_or_b32 v12, 0x7f800000, v13, v12
	v_cndmask_b32_e32 v13, 0, v12, vcc_lo
	s_delay_alu instid0(VALU_DEP_1) | instskip(SKIP_1) | instid1(VALU_DEP_2)
	v_and_or_b32 v6, 0x80000000, v1, v13
	v_mov_b32_e32 v1, 0x80
	v_and_b32_e32 v12, 0x7fffffff, v6
	s_wait_xcnt 0x0
	s_delay_alu instid0(VALU_DEP_1)
	v_cmpx_gt_u32_e32 0x43800000, v12
	s_cbranch_execz .LBB294_346
; %bb.341:
	v_cmp_lt_u32_e32 vcc_lo, 0x3bffffff, v12
                                        ; implicit-def: $vgpr12
	s_and_saveexec_b32 s9, vcc_lo
	s_delay_alu instid0(SALU_CYCLE_1)
	s_xor_b32 s9, exec_lo, s9
	s_cbranch_execnz .LBB294_556
; %bb.342:
	s_and_not1_saveexec_b32 s9, s9
	s_cbranch_execnz .LBB294_557
.LBB294_343:
	s_or_b32 exec_lo, exec_lo, s9
	v_mov_b32_e32 v1, 0
	s_and_saveexec_b32 s9, s8
.LBB294_344:
	v_lshrrev_b32_e32 v1, 24, v6
	s_delay_alu instid0(VALU_DEP_1)
	v_and_or_b32 v1, 0x80, v1, v12
.LBB294_345:
	s_or_b32 exec_lo, exec_lo, s9
.LBB294_346:
	s_delay_alu instid0(SALU_CYCLE_1)
	s_or_b32 exec_lo, exec_lo, s7
.LBB294_347:
	s_delay_alu instid0(SALU_CYCLE_1)
	s_or_b32 exec_lo, exec_lo, s6
.LBB294_348:
	s_and_not1_saveexec_b32 s5, s5
	s_cbranch_execz .LBB294_356
; %bb.349:
	s_wait_loadcnt_dscnt 0x0
	flat_load_u8 v1, v[10:11]
	s_mov_b32 s6, exec_lo
	s_wait_loadcnt_dscnt 0x0
	v_lshlrev_b32_e32 v6, 25, v1
	v_lshlrev_b16 v1, 8, v1
	s_delay_alu instid0(VALU_DEP_2) | instskip(NEXT) | instid1(VALU_DEP_2)
	v_cmp_gt_u32_e32 vcc_lo, 0x8000000, v6
	v_and_or_b32 v13, 0x7f00, v1, 0.5
	v_lshrrev_b32_e32 v12, 4, v6
	v_bfe_i32 v1, v1, 0, 16
	s_delay_alu instid0(VALU_DEP_3) | instskip(NEXT) | instid1(VALU_DEP_3)
	v_add_f32_e32 v13, -0.5, v13
	v_or_b32_e32 v12, 0x70000000, v12
	s_delay_alu instid0(VALU_DEP_1) | instskip(NEXT) | instid1(VALU_DEP_1)
	v_mul_f32_e32 v12, 0x7800000, v12
	v_cndmask_b32_e32 v13, v12, v13, vcc_lo
	s_delay_alu instid0(VALU_DEP_1) | instskip(SKIP_1) | instid1(VALU_DEP_2)
	v_and_or_b32 v6, 0x80000000, v1, v13
	v_mov_b32_e32 v1, 0x80
	v_and_b32_e32 v12, 0x7fffffff, v6
	s_wait_xcnt 0x0
	s_delay_alu instid0(VALU_DEP_1)
	v_cmpx_gt_u32_e32 0x43800000, v12
	s_cbranch_execz .LBB294_355
; %bb.350:
	v_cmp_lt_u32_e32 vcc_lo, 0x3bffffff, v12
	s_mov_b32 s7, 0
                                        ; implicit-def: $vgpr12
	s_and_saveexec_b32 s8, vcc_lo
	s_delay_alu instid0(SALU_CYCLE_1)
	s_xor_b32 s8, exec_lo, s8
	s_cbranch_execnz .LBB294_522
; %bb.351:
	s_and_not1_saveexec_b32 s8, s8
	s_cbranch_execnz .LBB294_523
.LBB294_352:
	s_or_b32 exec_lo, exec_lo, s8
	v_mov_b32_e32 v1, 0
	s_and_saveexec_b32 s8, s7
.LBB294_353:
	v_lshrrev_b32_e32 v1, 24, v6
	s_delay_alu instid0(VALU_DEP_1)
	v_and_or_b32 v1, 0x80, v1, v12
.LBB294_354:
	s_or_b32 exec_lo, exec_lo, s8
.LBB294_355:
	s_delay_alu instid0(SALU_CYCLE_1)
	s_or_b32 exec_lo, exec_lo, s6
.LBB294_356:
	s_delay_alu instid0(SALU_CYCLE_1) | instskip(NEXT) | instid1(SALU_CYCLE_1)
	s_or_b32 exec_lo, exec_lo, s5
	s_or_b32 s5, s2, exec_lo
                                        ; implicit-def: $vgpr6
.LBB294_357:
	s_or_saveexec_b32 s0, s0
	s_mov_b32 s6, 0
	s_mov_b32 s7, s4
	s_xor_b32 exec_lo, exec_lo, s0
	s_cbranch_execz .LBB294_371
; %bb.358:
	s_mov_b32 s7, s4
	s_mov_b32 s8, s5
	s_mov_b32 s6, exec_lo
                                        ; implicit-def: $vgpr1
	v_cmpx_lt_i16_e32 14, v6
	s_xor_b32 s6, exec_lo, s6
	s_cbranch_execz .LBB294_368
; %bb.359:
	s_mov_b32 s8, -1
	s_mov_b32 s9, s5
	s_mov_b32 s7, exec_lo
                                        ; implicit-def: $vgpr1
	v_cmpx_eq_u16_e32 15, v6
	s_cbranch_execz .LBB294_367
; %bb.360:
	flat_load_u16 v6, v[10:11]
	s_wait_loadcnt_dscnt 0x101
	v_mov_b32_e32 v1, 0x80
	s_mov_b32 s8, exec_lo
	s_wait_loadcnt_dscnt 0x0
	v_lshlrev_b32_e32 v13, 16, v6
	s_delay_alu instid0(VALU_DEP_1) | instskip(SKIP_1) | instid1(VALU_DEP_1)
	v_and_b32_e32 v12, 0x7fffffff, v13
	s_wait_xcnt 0x0
	v_cmpx_gt_u32_e32 0x43800000, v12
	s_cbranch_execz .LBB294_366
; %bb.361:
	v_cmp_lt_u32_e32 vcc_lo, 0x3bffffff, v12
	s_mov_b32 s9, 0
                                        ; implicit-def: $vgpr12
	s_and_saveexec_b32 s10, vcc_lo
	s_delay_alu instid0(SALU_CYCLE_1)
	s_xor_b32 s10, exec_lo, s10
	s_cbranch_execnz .LBB294_558
; %bb.362:
	s_and_not1_saveexec_b32 s10, s10
	s_cbranch_execnz .LBB294_559
.LBB294_363:
	s_or_b32 exec_lo, exec_lo, s10
	v_mov_b32_e32 v1, 0
	s_and_saveexec_b32 s10, s9
.LBB294_364:
	v_lshrrev_b32_e32 v1, 8, v6
	s_delay_alu instid0(VALU_DEP_1)
	v_and_or_b32 v1, 0x80, v1, v12
.LBB294_365:
	s_or_b32 exec_lo, exec_lo, s10
.LBB294_366:
	s_delay_alu instid0(SALU_CYCLE_1) | instskip(NEXT) | instid1(SALU_CYCLE_1)
	s_or_b32 exec_lo, exec_lo, s8
	s_or_b32 s9, s5, exec_lo
	s_xor_b32 s8, exec_lo, -1
.LBB294_367:
	s_or_b32 exec_lo, exec_lo, s7
	s_delay_alu instid0(SALU_CYCLE_1)
	s_and_not1_b32 s7, s5, exec_lo
	s_and_b32 s9, s9, exec_lo
	s_and_not1_b32 s10, s4, exec_lo
	s_and_b32 s11, s8, exec_lo
	s_or_b32 s8, s7, s9
	s_or_b32 s7, s10, s11
                                        ; implicit-def: $vgpr6
.LBB294_368:
	s_or_saveexec_b32 s6, s6
	s_mov_b32 s9, 0
	s_xor_b32 exec_lo, exec_lo, s6
; %bb.369:
	v_cmp_ne_u16_e32 vcc_lo, 11, v6
	s_and_not1_b32 s7, s7, exec_lo
	s_mov_b32 s9, exec_lo
	s_and_b32 s10, vcc_lo, exec_lo
	s_delay_alu instid0(SALU_CYCLE_1)
	s_or_b32 s7, s7, s10
; %bb.370:
	s_or_b32 exec_lo, exec_lo, s6
	s_delay_alu instid0(SALU_CYCLE_1)
	s_and_not1_b32 s5, s5, exec_lo
	s_and_b32 s6, s8, exec_lo
	s_and_not1_b32 s8, s4, exec_lo
	s_and_b32 s7, s7, exec_lo
	s_or_b32 s5, s5, s6
	s_and_b32 s6, s9, exec_lo
	s_or_b32 s7, s8, s7
.LBB294_371:
	s_or_b32 exec_lo, exec_lo, s0
	s_delay_alu instid0(SALU_CYCLE_1)
	s_and_not1_b32 s0, s2, exec_lo
	s_and_b32 s2, s5, exec_lo
	s_and_not1_b32 s4, s4, exec_lo
	s_and_b32 s5, s7, exec_lo
	s_or_b32 s2, s0, s2
	s_and_b32 s0, s6, exec_lo
	s_or_b32 s4, s4, s5
	s_or_b32 exec_lo, exec_lo, s3
	s_mov_b32 s3, 0
	s_and_saveexec_b32 s5, s4
	s_cbranch_execz .LBB294_4
.LBB294_372:
	s_mov_b32 s3, exec_lo
	s_and_not1_b32 s0, s0, exec_lo
	s_trap 2
	s_or_b32 exec_lo, exec_lo, s5
	s_and_saveexec_b32 s4, s0
	s_delay_alu instid0(SALU_CYCLE_1)
	s_xor_b32 s0, exec_lo, s4
	s_cbranch_execnz .LBB294_5
	s_branch .LBB294_12
.LBB294_373:
	s_mov_b32 s7, 0
	s_mov_b32 s5, exec_lo
                                        ; implicit-def: $vgpr12
	v_cmpx_lt_i16_e32 28, v6
	s_xor_b32 s5, exec_lo, s5
	s_cbranch_execz .LBB294_407
; %bb.374:
	s_mov_b32 s8, 0
	s_mov_b32 s9, 0
	s_mov_b32 s6, exec_lo
                                        ; implicit-def: $vgpr12
	v_cmpx_lt_i16_e32 43, v6
	s_xor_b32 s6, exec_lo, s6
	s_cbranch_execz .LBB294_396
; %bb.375:
	s_mov_b32 s9, exec_lo
                                        ; implicit-def: $vgpr12
	v_cmpx_lt_i16_e32 45, v6
	s_xor_b32 s9, exec_lo, s9
	s_cbranch_execz .LBB294_385
; %bb.376:
	s_mov_b32 s10, -1
	s_mov_b32 s7, exec_lo
                                        ; implicit-def: $vgpr12
	v_cmpx_eq_u16_e32 46, v6
	s_cbranch_execz .LBB294_384
; %bb.377:
	flat_load_b32 v2, v[10:11]
	v_mov_b32_e32 v12, 0x80
	s_mov_b32 s8, exec_lo
	s_wait_loadcnt_dscnt 0x0
	v_lshlrev_b32_e32 v2, 16, v2
	s_delay_alu instid0(VALU_DEP_1) | instskip(SKIP_1) | instid1(VALU_DEP_1)
	v_and_b32_e32 v3, 0x7fffffff, v2
	s_wait_xcnt 0x0
	v_cmpx_gt_u32_e32 0x43800000, v3
	s_cbranch_execz .LBB294_383
; %bb.378:
	v_cmp_lt_u32_e32 vcc_lo, 0x3bffffff, v3
	s_mov_b32 s10, 0
                                        ; implicit-def: $vgpr3
	s_and_saveexec_b32 s11, vcc_lo
	s_delay_alu instid0(SALU_CYCLE_1)
	s_xor_b32 s11, exec_lo, s11
	s_cbranch_execnz .LBB294_582
; %bb.379:
	s_and_not1_saveexec_b32 s11, s11
	s_cbranch_execnz .LBB294_583
.LBB294_380:
	s_or_b32 exec_lo, exec_lo, s11
	v_mov_b32_e32 v12, 0
	s_and_saveexec_b32 s11, s10
.LBB294_381:
	v_lshrrev_b32_e32 v2, 24, v2
	s_delay_alu instid0(VALU_DEP_1)
	v_and_or_b32 v12, 0x80, v2, v3
.LBB294_382:
	s_or_b32 exec_lo, exec_lo, s11
.LBB294_383:
	s_delay_alu instid0(SALU_CYCLE_1) | instskip(NEXT) | instid1(SALU_CYCLE_1)
	s_or_b32 exec_lo, exec_lo, s8
	s_mov_b32 s8, exec_lo
	s_xor_b32 s10, exec_lo, -1
.LBB294_384:
	s_or_b32 exec_lo, exec_lo, s7
	s_delay_alu instid0(SALU_CYCLE_1)
	s_and_b32 s8, s8, exec_lo
	s_and_b32 s7, s10, exec_lo
.LBB294_385:
	s_and_not1_saveexec_b32 s9, s9
	s_cbranch_execz .LBB294_395
; %bb.386:
	s_mov_b32 s11, -1
	s_mov_b32 s12, s8
	s_mov_b32 s10, exec_lo
                                        ; implicit-def: $vgpr12
	v_cmpx_eq_u16_e32 44, v6
	s_cbranch_execz .LBB294_394
; %bb.387:
	flat_load_u8 v2, v[10:11]
	s_mov_b32 s12, 0
	s_mov_b32 s11, exec_lo
	s_wait_loadcnt_dscnt 0x0
	v_dual_mov_b32 v12, 0x80 :: v_dual_lshlrev_b32 v3, 23, v2
	v_cmp_ne_u32_e32 vcc_lo, 0xff, v2
	s_delay_alu instid0(VALU_DEP_2) | instskip(SKIP_1) | instid1(VALU_DEP_2)
	v_cndmask_b32_e32 v3, 0x7f800001, v3, vcc_lo
	v_cmp_ne_u32_e32 vcc_lo, 0, v2
	v_cndmask_b32_e32 v3, 0x400000, v3, vcc_lo
	s_wait_xcnt 0x0
	s_delay_alu instid0(VALU_DEP_1)
	v_cmpx_gt_u32_e32 0x43800000, v3
	s_cbranch_execz .LBB294_393
; %bb.388:
	s_mov_b32 s13, exec_lo
                                        ; implicit-def: $vgpr2
	v_cmpx_lt_u32_e32 0x3bffffff, v3
	s_xor_b32 s13, exec_lo, s13
	s_cbranch_execnz .LBB294_584
; %bb.389:
	s_and_not1_saveexec_b32 s13, s13
	s_cbranch_execnz .LBB294_585
.LBB294_390:
	s_or_b32 exec_lo, exec_lo, s13
	v_mov_b32_e32 v12, 0
	s_and_saveexec_b32 s13, s12
.LBB294_391:
	v_mov_b32_e32 v12, v2
.LBB294_392:
	s_or_b32 exec_lo, exec_lo, s13
.LBB294_393:
	s_delay_alu instid0(SALU_CYCLE_1) | instskip(NEXT) | instid1(SALU_CYCLE_1)
	s_or_b32 exec_lo, exec_lo, s11
	s_or_b32 s12, s8, exec_lo
	s_xor_b32 s11, exec_lo, -1
.LBB294_394:
	s_or_b32 exec_lo, exec_lo, s10
	s_delay_alu instid0(SALU_CYCLE_1)
	s_and_not1_b32 s8, s8, exec_lo
	s_and_b32 s10, s12, exec_lo
	s_and_not1_b32 s7, s7, exec_lo
	s_and_b32 s11, s11, exec_lo
	s_or_b32 s8, s8, s10
	s_or_b32 s7, s7, s11
.LBB294_395:
	s_or_b32 exec_lo, exec_lo, s9
	s_delay_alu instid0(SALU_CYCLE_1)
	s_and_b32 s9, s8, exec_lo
	s_and_b32 s8, s7, exec_lo
.LBB294_396:
	s_and_not1_saveexec_b32 s6, s6
	s_cbranch_execz .LBB294_406
; %bb.397:
	s_mov_b32 s10, -1
	s_mov_b32 s11, s9
	s_mov_b32 s7, exec_lo
                                        ; implicit-def: $vgpr12
	v_cmpx_eq_u16_e32 29, v6
	s_cbranch_execz .LBB294_405
; %bb.398:
	flat_load_b64 v[2:3], v[10:11]
	v_mov_b32_e32 v12, 0x80
	s_mov_b32 s10, exec_lo
	s_wait_loadcnt_dscnt 0x0
	v_clz_i32_u32_e32 v4, v3
	s_delay_alu instid0(VALU_DEP_1) | instskip(NEXT) | instid1(VALU_DEP_1)
	v_min_u32_e32 v4, 32, v4
	v_lshlrev_b64_e32 v[2:3], v4, v[2:3]
	s_delay_alu instid0(VALU_DEP_1) | instskip(NEXT) | instid1(VALU_DEP_1)
	v_min_u32_e32 v2, 1, v2
	v_dual_sub_nc_u32 v3, 32, v4 :: v_dual_bitop2_b32 v2, v3, v2 bitop3:0x54
	s_delay_alu instid0(VALU_DEP_1) | instskip(NEXT) | instid1(VALU_DEP_1)
	v_cvt_f32_u32_e32 v2, v2
	v_ldexp_f32 v3, v2, v3
	s_wait_xcnt 0x0
	s_delay_alu instid0(VALU_DEP_1)
	v_cmpx_gt_u32_e32 0x43800000, v3
	s_cbranch_execz .LBB294_404
; %bb.399:
	s_mov_b32 s11, 0
	s_mov_b32 s12, exec_lo
                                        ; implicit-def: $vgpr2
	v_cmpx_lt_u32_e32 0x3bffffff, v3
	s_xor_b32 s12, exec_lo, s12
	s_cbranch_execnz .LBB294_570
; %bb.400:
	s_and_not1_saveexec_b32 s12, s12
	s_cbranch_execnz .LBB294_571
.LBB294_401:
	s_or_b32 exec_lo, exec_lo, s12
	v_mov_b32_e32 v12, 0
	s_and_saveexec_b32 s12, s11
.LBB294_402:
	v_mov_b32_e32 v12, v2
.LBB294_403:
	s_or_b32 exec_lo, exec_lo, s12
.LBB294_404:
	s_delay_alu instid0(SALU_CYCLE_1) | instskip(NEXT) | instid1(SALU_CYCLE_1)
	s_or_b32 exec_lo, exec_lo, s10
	s_or_b32 s11, s9, exec_lo
	s_xor_b32 s10, exec_lo, -1
.LBB294_405:
	s_or_b32 exec_lo, exec_lo, s7
	s_delay_alu instid0(SALU_CYCLE_1)
	s_and_not1_b32 s7, s9, exec_lo
	s_and_b32 s9, s11, exec_lo
	s_and_not1_b32 s8, s8, exec_lo
	s_and_b32 s10, s10, exec_lo
	s_or_b32 s9, s7, s9
	s_or_b32 s8, s8, s10
.LBB294_406:
	s_or_b32 exec_lo, exec_lo, s6
	s_delay_alu instid0(SALU_CYCLE_1)
	s_and_b32 s7, s9, exec_lo
	s_and_b32 s6, s8, exec_lo
.LBB294_407:
	s_and_not1_saveexec_b32 s5, s5
	s_cbranch_execz .LBB294_429
; %bb.408:
	s_mov_b32 s8, exec_lo
                                        ; implicit-def: $vgpr12
	v_cmpx_lt_i16_e32 26, v6
	s_xor_b32 s8, exec_lo, s8
	s_cbranch_execz .LBB294_426
; %bb.409:
	s_mov_b32 s9, exec_lo
                                        ; implicit-def: $vgpr12
	v_cmpx_lt_i16_e32 27, v6
	s_xor_b32 s9, exec_lo, s9
	s_cbranch_execz .LBB294_417
; %bb.410:
	flat_load_b32 v2, v[10:11]
	v_mov_b32_e32 v12, 0x80
	s_mov_b32 s10, exec_lo
	s_wait_loadcnt_dscnt 0x0
	v_cvt_f32_u32_e32 v3, v2
	s_wait_xcnt 0x0
	s_delay_alu instid0(VALU_DEP_1)
	v_cmpx_gt_u32_e32 0x43800000, v3
	s_cbranch_execz .LBB294_416
; %bb.411:
	s_mov_b32 s11, 0
	s_mov_b32 s12, exec_lo
                                        ; implicit-def: $vgpr2
	v_cmpx_lt_u32_e32 0x3bffffff, v3
	s_xor_b32 s12, exec_lo, s12
	s_cbranch_execnz .LBB294_572
; %bb.412:
	s_and_not1_saveexec_b32 s12, s12
	s_cbranch_execnz .LBB294_573
.LBB294_413:
	s_or_b32 exec_lo, exec_lo, s12
	v_mov_b32_e32 v12, 0
	s_and_saveexec_b32 s12, s11
.LBB294_414:
	v_mov_b32_e32 v12, v2
.LBB294_415:
	s_or_b32 exec_lo, exec_lo, s12
.LBB294_416:
	s_delay_alu instid0(SALU_CYCLE_1)
	s_or_b32 exec_lo, exec_lo, s10
.LBB294_417:
	s_and_not1_saveexec_b32 s9, s9
	s_cbranch_execz .LBB294_425
; %bb.418:
	flat_load_u16 v2, v[10:11]
	v_mov_b32_e32 v12, 0x80
	s_mov_b32 s10, exec_lo
	s_wait_loadcnt_dscnt 0x0
	v_cvt_f32_u32_e32 v3, v2
	s_wait_xcnt 0x0
	s_delay_alu instid0(VALU_DEP_1)
	v_cmpx_gt_u32_e32 0x43800000, v3
	s_cbranch_execz .LBB294_424
; %bb.419:
	s_mov_b32 s11, 0
	s_mov_b32 s12, exec_lo
                                        ; implicit-def: $vgpr2
	v_cmpx_lt_u32_e32 0x3bffffff, v3
	s_xor_b32 s12, exec_lo, s12
	s_cbranch_execnz .LBB294_574
; %bb.420:
	s_and_not1_saveexec_b32 s12, s12
	s_cbranch_execnz .LBB294_575
.LBB294_421:
	s_or_b32 exec_lo, exec_lo, s12
	v_mov_b32_e32 v12, 0
	s_and_saveexec_b32 s12, s11
.LBB294_422:
	v_mov_b32_e32 v12, v2
.LBB294_423:
	s_or_b32 exec_lo, exec_lo, s12
.LBB294_424:
	s_delay_alu instid0(SALU_CYCLE_1)
	s_or_b32 exec_lo, exec_lo, s10
.LBB294_425:
	s_delay_alu instid0(SALU_CYCLE_1)
	s_or_b32 exec_lo, exec_lo, s9
.LBB294_426:
	s_and_not1_saveexec_b32 s8, s8
	s_cbranch_execz .LBB294_428
; %bb.427:
	flat_load_u8 v12, v[10:11]
.LBB294_428:
	s_wait_xcnt 0x0
	s_or_b32 exec_lo, exec_lo, s8
	s_delay_alu instid0(SALU_CYCLE_1)
	s_or_b32 s7, s7, exec_lo
.LBB294_429:
	s_or_b32 exec_lo, exec_lo, s5
	s_delay_alu instid0(SALU_CYCLE_1)
	s_and_b32 s5, s7, exec_lo
	s_and_b32 s6, s6, exec_lo
	s_and_not1_saveexec_b32 s4, s4
	s_cbranch_execz .LBB294_130
.LBB294_430:
	s_mov_b32 s7, s5
	s_mov_b32 s3, exec_lo
                                        ; implicit-def: $vgpr12
	v_cmpx_lt_i16_e32 22, v6
	s_xor_b32 s3, exec_lo, s3
	s_cbranch_execz .LBB294_462
; %bb.431:
	s_mov_b32 s7, exec_lo
                                        ; implicit-def: $vgpr12
	v_cmpx_lt_i16_e32 23, v6
	s_xor_b32 s7, exec_lo, s7
	s_cbranch_execz .LBB294_453
; %bb.432:
	;; [unrolled: 6-line block ×3, first 2 shown]
	flat_load_u8 v3, v[10:11]
	s_mov_b32 s9, 0
	s_mov_b32 s10, exec_lo
	s_wait_loadcnt_dscnt 0x0
	v_cmpx_lt_i16_e32 0x7f, v3
	s_xor_b32 s10, exec_lo, s10
	s_cbranch_execnz .LBB294_560
; %bb.434:
	s_or_saveexec_b32 s10, s10
	v_mov_b32_e32 v2, 0x7f800001
	s_xor_b32 exec_lo, exec_lo, s10
	s_cbranch_execnz .LBB294_563
.LBB294_435:
	s_or_b32 exec_lo, exec_lo, s10
	s_and_saveexec_b32 s10, s9
	s_cbranch_execz .LBB294_437
.LBB294_436:
	v_and_b32_e32 v2, 0xffff, v3
	s_delay_alu instid0(VALU_DEP_1) | instskip(SKIP_1) | instid1(VALU_DEP_2)
	v_and_b32_e32 v4, 3, v2
	v_bfe_u32 v8, v2, 2, 5
	v_clz_i32_u32_e32 v5, v4
	s_delay_alu instid0(VALU_DEP_2) | instskip(NEXT) | instid1(VALU_DEP_2)
	v_cmp_eq_u32_e32 vcc_lo, 0, v8
	v_min_u32_e32 v5, 32, v5
	s_delay_alu instid0(VALU_DEP_1) | instskip(NEXT) | instid1(VALU_DEP_1)
	v_subrev_nc_u32_e32 v7, 29, v5
	v_dual_lshlrev_b32 v2, v7, v2 :: v_dual_sub_nc_u32 v5, 30, v5
	s_delay_alu instid0(VALU_DEP_1) | instskip(NEXT) | instid1(VALU_DEP_2)
	v_dual_lshlrev_b32 v3, 24, v3 :: v_dual_bitop2_b32 v2, 3, v2 bitop3:0x40
	v_cndmask_b32_e32 v5, v8, v5, vcc_lo
	s_delay_alu instid0(VALU_DEP_2) | instskip(NEXT) | instid1(VALU_DEP_3)
	v_cndmask_b32_e32 v2, v4, v2, vcc_lo
	v_and_b32_e32 v3, 0x80000000, v3
	s_delay_alu instid0(VALU_DEP_3) | instskip(NEXT) | instid1(VALU_DEP_3)
	v_lshl_add_u32 v4, v5, 23, 0x37800000
	v_lshlrev_b32_e32 v2, 21, v2
	s_delay_alu instid0(VALU_DEP_1)
	v_or3_b32 v2, v3, v4, v2
.LBB294_437:
	s_or_b32 exec_lo, exec_lo, s10
	s_delay_alu instid0(VALU_DEP_1) | instskip(SKIP_2) | instid1(VALU_DEP_2)
	v_and_b32_e32 v3, 0x7fffffff, v2
	v_mov_b32_e32 v12, 0x80
	s_mov_b32 s9, exec_lo
	v_cmpx_gt_u32_e32 0x43800000, v3
	s_cbranch_execz .LBB294_443
; %bb.438:
	v_cmp_lt_u32_e32 vcc_lo, 0x3bffffff, v3
	s_mov_b32 s10, 0
                                        ; implicit-def: $vgpr3
	s_and_saveexec_b32 s11, vcc_lo
	s_delay_alu instid0(SALU_CYCLE_1)
	s_xor_b32 s11, exec_lo, s11
	s_cbranch_execnz .LBB294_576
; %bb.439:
	s_and_not1_saveexec_b32 s11, s11
	s_cbranch_execnz .LBB294_577
.LBB294_440:
	s_or_b32 exec_lo, exec_lo, s11
	v_mov_b32_e32 v12, 0
	s_and_saveexec_b32 s11, s10
.LBB294_441:
	v_lshrrev_b32_e32 v2, 24, v2
	s_delay_alu instid0(VALU_DEP_1)
	v_and_or_b32 v12, 0x80, v2, v3
.LBB294_442:
	s_or_b32 exec_lo, exec_lo, s11
.LBB294_443:
	s_delay_alu instid0(SALU_CYCLE_1)
	s_or_b32 exec_lo, exec_lo, s9
.LBB294_444:
	s_and_not1_saveexec_b32 s8, s8
	s_cbranch_execz .LBB294_452
; %bb.445:
	flat_load_u8 v2, v[10:11]
	s_wait_loadcnt_dscnt 0x101
	v_mov_b32_e32 v12, 0x80
	s_mov_b32 s10, 0
	s_mov_b32 s9, exec_lo
	s_wait_loadcnt_dscnt 0x0
	v_lshlrev_b32_e32 v2, 24, v2
	s_delay_alu instid0(VALU_DEP_1) | instskip(NEXT) | instid1(VALU_DEP_1)
	v_and_b32_e32 v3, 0x7f000000, v2
	v_clz_i32_u32_e32 v4, v3
	v_cmp_ne_u32_e32 vcc_lo, 0, v3
	v_add_nc_u32_e32 v7, 0x1000000, v3
	s_delay_alu instid0(VALU_DEP_3) | instskip(NEXT) | instid1(VALU_DEP_1)
	v_min_u32_e32 v4, 32, v4
	v_sub_nc_u32_e64 v4, v4, 4 clamp
	s_delay_alu instid0(VALU_DEP_1) | instskip(NEXT) | instid1(VALU_DEP_1)
	v_dual_lshlrev_b32 v5, v4, v3 :: v_dual_lshlrev_b32 v4, 23, v4
	v_lshrrev_b32_e32 v5, 4, v5
	s_delay_alu instid0(VALU_DEP_1) | instskip(NEXT) | instid1(VALU_DEP_1)
	v_dual_sub_nc_u32 v4, v5, v4 :: v_dual_ashrrev_i32 v5, 8, v7
	v_add_nc_u32_e32 v4, 0x3c000000, v4
	s_delay_alu instid0(VALU_DEP_1) | instskip(NEXT) | instid1(VALU_DEP_1)
	v_and_or_b32 v4, 0x7f800000, v5, v4
	v_cndmask_b32_e32 v4, 0, v4, vcc_lo
	s_delay_alu instid0(VALU_DEP_1) | instskip(NEXT) | instid1(VALU_DEP_1)
	v_and_or_b32 v2, 0x80000000, v2, v4
	v_and_b32_e32 v3, 0x7fffffff, v2
	s_wait_xcnt 0x0
	s_delay_alu instid0(VALU_DEP_1)
	v_cmpx_gt_u32_e32 0x43800000, v3
	s_cbranch_execz .LBB294_451
; %bb.446:
	v_cmp_lt_u32_e32 vcc_lo, 0x3bffffff, v3
                                        ; implicit-def: $vgpr3
	s_and_saveexec_b32 s11, vcc_lo
	s_delay_alu instid0(SALU_CYCLE_1)
	s_xor_b32 s11, exec_lo, s11
	s_cbranch_execnz .LBB294_578
; %bb.447:
	s_and_not1_saveexec_b32 s11, s11
	s_cbranch_execnz .LBB294_579
.LBB294_448:
	s_or_b32 exec_lo, exec_lo, s11
	v_mov_b32_e32 v12, 0
	s_and_saveexec_b32 s11, s10
.LBB294_449:
	v_lshrrev_b32_e32 v2, 24, v2
	s_delay_alu instid0(VALU_DEP_1)
	v_and_or_b32 v12, 0x80, v2, v3
.LBB294_450:
	s_or_b32 exec_lo, exec_lo, s11
.LBB294_451:
	s_delay_alu instid0(SALU_CYCLE_1)
	s_or_b32 exec_lo, exec_lo, s9
.LBB294_452:
	s_delay_alu instid0(SALU_CYCLE_1)
	s_or_b32 exec_lo, exec_lo, s8
.LBB294_453:
	s_and_not1_saveexec_b32 s7, s7
	s_cbranch_execz .LBB294_461
; %bb.454:
	flat_load_u8 v2, v[10:11]
	s_wait_loadcnt_dscnt 0x101
	v_mov_b32_e32 v12, 0x80
	s_mov_b32 s8, exec_lo
	s_wait_loadcnt_dscnt 0x0
	v_lshlrev_b32_e32 v3, 25, v2
	v_lshlrev_b16 v2, 8, v2
	s_delay_alu instid0(VALU_DEP_1) | instskip(SKIP_1) | instid1(VALU_DEP_2)
	v_and_or_b32 v5, 0x7f00, v2, 0.5
	v_bfe_i32 v2, v2, 0, 16
	v_dual_add_f32 v5, -0.5, v5 :: v_dual_lshrrev_b32 v4, 4, v3
	v_cmp_gt_u32_e32 vcc_lo, 0x8000000, v3
	s_delay_alu instid0(VALU_DEP_2) | instskip(NEXT) | instid1(VALU_DEP_1)
	v_or_b32_e32 v4, 0x70000000, v4
	v_mul_f32_e32 v4, 0x7800000, v4
	s_delay_alu instid0(VALU_DEP_1) | instskip(NEXT) | instid1(VALU_DEP_1)
	v_cndmask_b32_e32 v4, v4, v5, vcc_lo
	v_and_or_b32 v2, 0x80000000, v2, v4
	s_delay_alu instid0(VALU_DEP_1) | instskip(SKIP_1) | instid1(VALU_DEP_1)
	v_and_b32_e32 v3, 0x7fffffff, v2
	s_wait_xcnt 0x0
	v_cmpx_gt_u32_e32 0x43800000, v3
	s_cbranch_execz .LBB294_460
; %bb.455:
	v_cmp_lt_u32_e32 vcc_lo, 0x3bffffff, v3
	s_mov_b32 s9, 0
                                        ; implicit-def: $vgpr3
	s_and_saveexec_b32 s10, vcc_lo
	s_delay_alu instid0(SALU_CYCLE_1)
	s_xor_b32 s10, exec_lo, s10
	s_cbranch_execnz .LBB294_564
; %bb.456:
	s_and_not1_saveexec_b32 s10, s10
	s_cbranch_execnz .LBB294_565
.LBB294_457:
	s_or_b32 exec_lo, exec_lo, s10
	v_mov_b32_e32 v12, 0
	s_and_saveexec_b32 s10, s9
.LBB294_458:
	v_lshrrev_b32_e32 v2, 24, v2
	s_delay_alu instid0(VALU_DEP_1)
	v_and_or_b32 v12, 0x80, v2, v3
.LBB294_459:
	s_or_b32 exec_lo, exec_lo, s10
.LBB294_460:
	s_delay_alu instid0(SALU_CYCLE_1)
	s_or_b32 exec_lo, exec_lo, s8
.LBB294_461:
	s_delay_alu instid0(SALU_CYCLE_1) | instskip(NEXT) | instid1(SALU_CYCLE_1)
	s_or_b32 exec_lo, exec_lo, s7
	s_or_b32 s7, s5, exec_lo
.LBB294_462:
	s_or_saveexec_b32 s3, s3
	s_mov_b32 s8, 0
	s_mov_b32 s9, s6
	s_xor_b32 exec_lo, exec_lo, s3
	s_cbranch_execz .LBB294_476
; %bb.463:
	s_mov_b32 s9, s6
	s_mov_b32 s10, s7
	s_mov_b32 s8, exec_lo
                                        ; implicit-def: $vgpr12
	v_cmpx_lt_i16_e32 14, v6
	s_xor_b32 s8, exec_lo, s8
	s_cbranch_execz .LBB294_473
; %bb.464:
	s_mov_b32 s10, -1
	s_mov_b32 s11, s7
	s_mov_b32 s9, exec_lo
                                        ; implicit-def: $vgpr12
	v_cmpx_eq_u16_e32 15, v6
	s_cbranch_execz .LBB294_472
; %bb.465:
	flat_load_u16 v2, v[10:11]
	s_wait_loadcnt_dscnt 0x101
	v_mov_b32_e32 v12, 0x80
	s_mov_b32 s10, exec_lo
	s_wait_loadcnt_dscnt 0x0
	v_lshlrev_b32_e32 v4, 16, v2
	s_delay_alu instid0(VALU_DEP_1) | instskip(SKIP_1) | instid1(VALU_DEP_1)
	v_and_b32_e32 v3, 0x7fffffff, v4
	s_wait_xcnt 0x0
	v_cmpx_gt_u32_e32 0x43800000, v3
	s_cbranch_execz .LBB294_471
; %bb.466:
	v_cmp_lt_u32_e32 vcc_lo, 0x3bffffff, v3
	s_mov_b32 s11, 0
                                        ; implicit-def: $vgpr3
	s_and_saveexec_b32 s12, vcc_lo
	s_delay_alu instid0(SALU_CYCLE_1)
	s_xor_b32 s12, exec_lo, s12
	s_cbranch_execnz .LBB294_580
; %bb.467:
	s_and_not1_saveexec_b32 s12, s12
	s_cbranch_execnz .LBB294_581
.LBB294_468:
	s_or_b32 exec_lo, exec_lo, s12
	v_mov_b32_e32 v12, 0
	s_and_saveexec_b32 s12, s11
.LBB294_469:
	v_lshrrev_b32_e32 v2, 8, v2
	s_delay_alu instid0(VALU_DEP_1)
	v_and_or_b32 v12, 0x80, v2, v3
.LBB294_470:
	s_or_b32 exec_lo, exec_lo, s12
.LBB294_471:
	s_delay_alu instid0(SALU_CYCLE_1) | instskip(NEXT) | instid1(SALU_CYCLE_1)
	s_or_b32 exec_lo, exec_lo, s10
	s_or_b32 s11, s7, exec_lo
	s_xor_b32 s10, exec_lo, -1
.LBB294_472:
	s_or_b32 exec_lo, exec_lo, s9
	s_delay_alu instid0(SALU_CYCLE_1)
	s_and_not1_b32 s9, s7, exec_lo
	s_and_b32 s11, s11, exec_lo
	s_and_not1_b32 s12, s6, exec_lo
	s_and_b32 s13, s10, exec_lo
	s_or_b32 s10, s9, s11
	s_or_b32 s9, s12, s13
.LBB294_473:
	s_or_saveexec_b32 s11, s8
	s_mov_b32 s8, 0
	s_xor_b32 exec_lo, exec_lo, s11
; %bb.474:
	v_cmp_ne_u16_e32 vcc_lo, 11, v6
	s_and_not1_b32 s9, s9, exec_lo
	s_mov_b32 s8, exec_lo
	s_and_b32 s12, vcc_lo, exec_lo
	s_delay_alu instid0(SALU_CYCLE_1)
	s_or_b32 s9, s9, s12
; %bb.475:
	s_or_b32 exec_lo, exec_lo, s11
	s_delay_alu instid0(SALU_CYCLE_1)
	s_and_not1_b32 s7, s7, exec_lo
	s_and_b32 s10, s10, exec_lo
	s_and_b32 s9, s9, exec_lo
	s_or_b32 s7, s7, s10
	s_and_not1_b32 s10, s6, exec_lo
	s_and_b32 s8, s8, exec_lo
	s_or_b32 s9, s10, s9
.LBB294_476:
	s_or_b32 exec_lo, exec_lo, s3
	s_delay_alu instid0(SALU_CYCLE_1)
	s_and_not1_b32 s3, s5, exec_lo
	s_and_b32 s5, s7, exec_lo
	s_and_not1_b32 s6, s6, exec_lo
	s_and_b32 s7, s9, exec_lo
	s_or_b32 s5, s3, s5
	s_and_b32 s3, s8, exec_lo
	s_or_b32 s6, s6, s7
	s_or_b32 exec_lo, exec_lo, s4
	s_mov_b32 s7, s0
	s_and_saveexec_b32 s4, s6
	s_cbranch_execz .LBB294_131
.LBB294_477:
	s_and_not1_b32 s3, s3, exec_lo
	s_or_b32 s7, s0, exec_lo
	s_trap 2
	s_branch .LBB294_131
.LBB294_478:
	v_bfe_u32 v2, v3, 20, 1
	s_mov_b32 s3, exec_lo
	s_delay_alu instid0(VALU_DEP_1) | instskip(NEXT) | instid1(VALU_DEP_1)
	v_add3_u32 v2, v3, v2, 0x487ffff
                                        ; implicit-def: $vgpr3
	v_lshrrev_b32_e32 v2, 20, v2
	s_and_not1_saveexec_b32 s5, s5
	s_cbranch_execz .LBB294_137
.LBB294_479:
	v_add_f32_e32 v2, 0x46000000, v3
	s_and_not1_b32 s3, s3, exec_lo
	s_delay_alu instid0(VALU_DEP_1) | instskip(NEXT) | instid1(VALU_DEP_1)
	v_and_b32_e32 v2, 0xff, v2
	v_cmp_ne_u32_e32 vcc_lo, 0, v2
	s_and_b32 s6, vcc_lo, exec_lo
	s_delay_alu instid0(SALU_CYCLE_1)
	s_or_b32 s3, s3, s6
	s_or_b32 exec_lo, exec_lo, s5
	v_mov_b32_e32 v12, 0
	s_and_saveexec_b32 s5, s3
	s_cbranch_execnz .LBB294_138
	s_branch .LBB294_139
.LBB294_480:
	s_mov_b32 s1, -1
	s_mov_b32 s4, exec_lo
	v_cmpx_eq_u16_e32 0x80, v2
; %bb.481:
	s_xor_b32 s1, exec_lo, -1
; %bb.482:
	s_or_b32 exec_lo, exec_lo, s4
	s_delay_alu instid0(SALU_CYCLE_1)
	s_and_b32 s1, s1, exec_lo
                                        ; implicit-def: $vgpr2
	s_or_saveexec_b32 s3, s3
	v_mov_b32_e32 v0, 0x7f800001
	s_xor_b32 exec_lo, exec_lo, s3
	s_cbranch_execz .LBB294_251
.LBB294_483:
	v_cmp_ne_u16_e32 vcc_lo, 0, v2
	v_mov_b32_e32 v0, 0
	s_and_not1_b32 s1, s1, exec_lo
	s_and_b32 s4, vcc_lo, exec_lo
	s_delay_alu instid0(SALU_CYCLE_1)
	s_or_b32 s1, s1, s4
	s_or_b32 exec_lo, exec_lo, s3
	s_and_saveexec_b32 s3, s1
	s_cbranch_execnz .LBB294_252
	s_branch .LBB294_253
.LBB294_484:
	s_mov_b32 s1, -1
	s_mov_b32 s4, exec_lo
	v_cmpx_eq_u16_e32 0x80, v2
; %bb.485:
	s_xor_b32 s1, exec_lo, -1
; %bb.486:
	s_or_b32 exec_lo, exec_lo, s4
	s_delay_alu instid0(SALU_CYCLE_1)
	s_and_b32 s1, s1, exec_lo
                                        ; implicit-def: $vgpr2
	s_or_saveexec_b32 s3, s3
	v_mov_b32_e32 v1, 0x7f800001
	s_xor_b32 exec_lo, exec_lo, s3
	s_cbranch_execz .LBB294_255
.LBB294_487:
	v_cmp_ne_u16_e32 vcc_lo, 0, v2
	v_mov_b32_e32 v1, 0
	s_and_not1_b32 s1, s1, exec_lo
	s_and_b32 s4, vcc_lo, exec_lo
	s_delay_alu instid0(SALU_CYCLE_1)
	s_or_b32 s1, s1, s4
	s_or_b32 exec_lo, exec_lo, s3
	s_and_saveexec_b32 s3, s1
	s_cbranch_execnz .LBB294_256
	s_branch .LBB294_257
.LBB294_488:
	s_mov_b32 s2, -1
	s_mov_b32 s4, exec_lo
	v_cmpx_eq_u16_e32 0x80, v2
; %bb.489:
	s_xor_b32 s2, exec_lo, -1
; %bb.490:
	s_or_b32 exec_lo, exec_lo, s4
	s_delay_alu instid0(SALU_CYCLE_1)
	s_and_b32 s2, s2, exec_lo
                                        ; implicit-def: $vgpr2
	s_or_saveexec_b32 s3, s3
	v_mov_b32_e32 v0, 0x7f800001
	s_xor_b32 exec_lo, exec_lo, s3
	s_cbranch_execz .LBB294_261
.LBB294_491:
	v_cmp_ne_u16_e32 vcc_lo, 0, v2
	v_mov_b32_e32 v0, 0
	s_and_not1_b32 s2, s2, exec_lo
	s_and_b32 s4, vcc_lo, exec_lo
	s_delay_alu instid0(SALU_CYCLE_1)
	s_or_b32 s2, s2, s4
	s_or_b32 exec_lo, exec_lo, s3
	s_and_saveexec_b32 s3, s2
	s_cbranch_execnz .LBB294_262
	s_branch .LBB294_263
.LBB294_492:
	s_mov_b32 s2, -1
	s_mov_b32 s4, exec_lo
	v_cmpx_eq_u16_e32 0x80, v2
; %bb.493:
	s_xor_b32 s2, exec_lo, -1
; %bb.494:
	s_or_b32 exec_lo, exec_lo, s4
	s_delay_alu instid0(SALU_CYCLE_1)
	s_and_b32 s2, s2, exec_lo
                                        ; implicit-def: $vgpr2
	s_or_saveexec_b32 s3, s3
	v_mov_b32_e32 v1, 0x7f800001
	s_xor_b32 exec_lo, exec_lo, s3
	s_cbranch_execz .LBB294_265
.LBB294_495:
	v_cmp_ne_u16_e32 vcc_lo, 0, v2
	v_mov_b32_e32 v1, 0
	s_and_not1_b32 s2, s2, exec_lo
	s_and_b32 s4, vcc_lo, exec_lo
	s_delay_alu instid0(SALU_CYCLE_1)
	s_or_b32 s2, s2, s4
	s_or_b32 exec_lo, exec_lo, s3
	s_and_saveexec_b32 s3, s2
	s_cbranch_execnz .LBB294_266
	s_branch .LBB294_267
.LBB294_496:
	v_bfe_u32 v1, v10, 20, 1
	s_mov_b32 s5, exec_lo
	s_delay_alu instid0(VALU_DEP_1) | instskip(NEXT) | instid1(VALU_DEP_1)
	v_add3_u32 v1, v10, v1, 0x487ffff
                                        ; implicit-def: $vgpr10
	v_lshrrev_b32_e32 v6, 20, v1
	s_and_not1_saveexec_b32 s6, s6
	s_cbranch_execz .LBB294_8
.LBB294_497:
	v_add_f32_e32 v1, 0x46000000, v10
	s_and_not1_b32 s5, s5, exec_lo
	s_delay_alu instid0(VALU_DEP_1) | instskip(NEXT) | instid1(VALU_DEP_1)
	v_and_b32_e32 v6, 0xff, v1
	v_cmp_ne_u32_e32 vcc_lo, 0, v6
	s_and_b32 s7, vcc_lo, exec_lo
	s_delay_alu instid0(SALU_CYCLE_1)
	s_or_b32 s5, s5, s7
	s_or_b32 exec_lo, exec_lo, s6
	v_mov_b32_e32 v1, 0
	s_and_saveexec_b32 s6, s5
	s_cbranch_execnz .LBB294_9
	s_branch .LBB294_10
.LBB294_498:
	v_bfe_u32 v1, v6, 20, 1
	s_mov_b32 s7, exec_lo
	s_delay_alu instid0(VALU_DEP_1) | instskip(NEXT) | instid1(VALU_DEP_1)
	v_add3_u32 v1, v6, v1, 0x487ffff
	v_lshrrev_b32_e32 v10, 20, v1
	s_and_not1_saveexec_b32 s8, s8
	s_cbranch_execz .LBB294_38
.LBB294_499:
	v_add_f32_e64 v1, 0x46000000, |v6|
	s_and_not1_b32 s7, s7, exec_lo
	s_delay_alu instid0(VALU_DEP_1) | instskip(NEXT) | instid1(VALU_DEP_1)
	v_and_b32_e32 v10, 0xff, v1
	v_cmp_ne_u32_e32 vcc_lo, 0, v10
	s_and_b32 s9, vcc_lo, exec_lo
	s_delay_alu instid0(SALU_CYCLE_1)
	s_or_b32 s7, s7, s9
	s_or_b32 exec_lo, exec_lo, s8
	v_mov_b32_e32 v1, 0
	s_and_saveexec_b32 s8, s7
	s_cbranch_execnz .LBB294_39
	s_branch .LBB294_40
.LBB294_500:
	v_bfe_u32 v1, v6, 20, 1
	s_mov_b32 s7, exec_lo
	s_delay_alu instid0(VALU_DEP_1) | instskip(NEXT) | instid1(VALU_DEP_1)
	v_add3_u32 v1, v6, v1, 0x487ffff
	v_lshrrev_b32_e32 v10, 20, v1
	s_and_not1_saveexec_b32 s8, s8
	s_cbranch_execz .LBB294_66
.LBB294_501:
	v_add_f32_e64 v1, 0x46000000, |v6|
	s_and_not1_b32 s7, s7, exec_lo
	s_delay_alu instid0(VALU_DEP_1) | instskip(NEXT) | instid1(VALU_DEP_1)
	v_and_b32_e32 v10, 0xff, v1
	v_cmp_ne_u32_e32 vcc_lo, 0, v10
	s_and_b32 s9, vcc_lo, exec_lo
	s_delay_alu instid0(SALU_CYCLE_1)
	s_or_b32 s7, s7, s9
	s_or_b32 exec_lo, exec_lo, s8
	v_mov_b32_e32 v1, 0
	s_and_saveexec_b32 s8, s7
	s_cbranch_execnz .LBB294_67
	s_branch .LBB294_68
.LBB294_502:
	v_bfe_u32 v1, v6, 20, 1
	s_mov_b32 s7, exec_lo
	s_delay_alu instid0(VALU_DEP_1) | instskip(NEXT) | instid1(VALU_DEP_1)
	v_add3_u32 v1, v6, v1, 0x487ffff
	v_lshrrev_b32_e32 v10, 20, v1
	s_and_not1_saveexec_b32 s8, s8
	s_cbranch_execz .LBB294_96
.LBB294_503:
	v_add_f32_e64 v1, 0x46000000, |v6|
	s_and_not1_b32 s7, s7, exec_lo
	s_delay_alu instid0(VALU_DEP_1) | instskip(NEXT) | instid1(VALU_DEP_1)
	v_and_b32_e32 v10, 0xff, v1
	v_cmp_ne_u32_e32 vcc_lo, 0, v10
	s_and_b32 s9, vcc_lo, exec_lo
	s_delay_alu instid0(SALU_CYCLE_1)
	s_or_b32 s7, s7, s9
	s_or_b32 exec_lo, exec_lo, s8
	v_mov_b32_e32 v1, 0
	s_and_saveexec_b32 s8, s7
	s_cbranch_execnz .LBB294_97
	s_branch .LBB294_98
.LBB294_504:
	v_bfe_u32 v1, v6, 20, 1
	s_mov_b32 s7, exec_lo
	s_delay_alu instid0(VALU_DEP_1) | instskip(NEXT) | instid1(VALU_DEP_1)
	v_add3_u32 v1, v6, v1, 0x487ffff
	v_lshrrev_b32_e32 v10, 20, v1
	s_and_not1_saveexec_b32 s8, s8
	s_cbranch_execz .LBB294_106
.LBB294_505:
	v_add_f32_e64 v1, 0x46000000, |v6|
	s_and_not1_b32 s7, s7, exec_lo
	s_delay_alu instid0(VALU_DEP_1) | instskip(NEXT) | instid1(VALU_DEP_1)
	v_and_b32_e32 v10, 0xff, v1
	v_cmp_ne_u32_e32 vcc_lo, 0, v10
	s_and_b32 s9, vcc_lo, exec_lo
	s_delay_alu instid0(SALU_CYCLE_1)
	s_or_b32 s7, s7, s9
	s_or_b32 exec_lo, exec_lo, s8
	v_mov_b32_e32 v1, 0
	s_and_saveexec_b32 s8, s7
	s_cbranch_execnz .LBB294_107
	s_branch .LBB294_108
.LBB294_506:
	v_bfe_u32 v1, v10, 20, 1
	s_mov_b32 s7, exec_lo
	s_delay_alu instid0(VALU_DEP_1) | instskip(NEXT) | instid1(VALU_DEP_1)
	v_add3_u32 v1, v10, v1, 0x487ffff
                                        ; implicit-def: $vgpr10
	v_lshrrev_b32_e32 v6, 20, v1
	s_and_not1_saveexec_b32 s8, s8
	s_cbranch_execz .LBB294_114
.LBB294_507:
	v_add_f32_e32 v1, 0x46000000, v10
	s_and_not1_b32 s7, s7, exec_lo
	s_delay_alu instid0(VALU_DEP_1) | instskip(NEXT) | instid1(VALU_DEP_1)
	v_and_b32_e32 v6, 0xff, v1
	v_cmp_ne_u32_e32 vcc_lo, 0, v6
	s_and_b32 s9, vcc_lo, exec_lo
	s_delay_alu instid0(SALU_CYCLE_1)
	s_or_b32 s7, s7, s9
	s_or_b32 exec_lo, exec_lo, s8
	v_mov_b32_e32 v1, 0
	s_and_saveexec_b32 s8, s7
	s_cbranch_execnz .LBB294_115
	s_branch .LBB294_116
.LBB294_508:
	v_bfe_u32 v3, v2, 20, 1
	s_mov_b32 s6, exec_lo
	s_delay_alu instid0(VALU_DEP_1) | instskip(NEXT) | instid1(VALU_DEP_1)
	v_add3_u32 v3, v2, v3, 0x487ffff
	v_lshrrev_b32_e32 v3, 20, v3
	s_and_not1_saveexec_b32 s7, s7
	s_cbranch_execz .LBB294_165
.LBB294_509:
	v_add_f32_e64 v3, 0x46000000, |v2|
	s_and_not1_b32 s6, s6, exec_lo
	s_delay_alu instid0(VALU_DEP_1) | instskip(NEXT) | instid1(VALU_DEP_1)
	v_and_b32_e32 v3, 0xff, v3
	v_cmp_ne_u32_e32 vcc_lo, 0, v3
	s_and_b32 s8, vcc_lo, exec_lo
	s_delay_alu instid0(SALU_CYCLE_1)
	s_or_b32 s6, s6, s8
	s_or_b32 exec_lo, exec_lo, s7
	v_mov_b32_e32 v12, 0
	s_and_saveexec_b32 s7, s6
	s_cbranch_execnz .LBB294_166
	s_branch .LBB294_167
.LBB294_510:
	v_bfe_u32 v3, v2, 20, 1
	s_mov_b32 s6, exec_lo
	s_delay_alu instid0(VALU_DEP_1) | instskip(NEXT) | instid1(VALU_DEP_1)
	v_add3_u32 v3, v2, v3, 0x487ffff
	v_lshrrev_b32_e32 v3, 20, v3
	s_and_not1_saveexec_b32 s7, s7
	s_cbranch_execz .LBB294_193
.LBB294_511:
	v_add_f32_e64 v3, 0x46000000, |v2|
	s_and_not1_b32 s6, s6, exec_lo
	s_delay_alu instid0(VALU_DEP_1) | instskip(NEXT) | instid1(VALU_DEP_1)
	v_and_b32_e32 v3, 0xff, v3
	v_cmp_ne_u32_e32 vcc_lo, 0, v3
	s_and_b32 s8, vcc_lo, exec_lo
	s_delay_alu instid0(SALU_CYCLE_1)
	s_or_b32 s6, s6, s8
	s_or_b32 exec_lo, exec_lo, s7
	v_mov_b32_e32 v12, 0
	s_and_saveexec_b32 s7, s6
	s_cbranch_execnz .LBB294_194
	s_branch .LBB294_195
.LBB294_512:
	v_bfe_u32 v3, v2, 20, 1
	s_mov_b32 s6, exec_lo
	s_delay_alu instid0(VALU_DEP_1) | instskip(NEXT) | instid1(VALU_DEP_1)
	v_add3_u32 v3, v2, v3, 0x487ffff
	v_lshrrev_b32_e32 v3, 20, v3
	s_and_not1_saveexec_b32 s7, s7
	s_cbranch_execz .LBB294_223
.LBB294_513:
	v_add_f32_e64 v3, 0x46000000, |v2|
	s_and_not1_b32 s6, s6, exec_lo
	s_delay_alu instid0(VALU_DEP_1) | instskip(NEXT) | instid1(VALU_DEP_1)
	v_and_b32_e32 v3, 0xff, v3
	v_cmp_ne_u32_e32 vcc_lo, 0, v3
	s_and_b32 s8, vcc_lo, exec_lo
	s_delay_alu instid0(SALU_CYCLE_1)
	s_or_b32 s6, s6, s8
	s_or_b32 exec_lo, exec_lo, s7
	v_mov_b32_e32 v12, 0
	s_and_saveexec_b32 s7, s6
	s_cbranch_execnz .LBB294_224
	s_branch .LBB294_225
.LBB294_514:
	v_bfe_u32 v3, v2, 20, 1
	s_mov_b32 s6, exec_lo
	s_delay_alu instid0(VALU_DEP_1) | instskip(NEXT) | instid1(VALU_DEP_1)
	v_add3_u32 v3, v2, v3, 0x487ffff
	v_lshrrev_b32_e32 v3, 20, v3
	s_and_not1_saveexec_b32 s7, s7
	s_cbranch_execz .LBB294_233
.LBB294_515:
	v_add_f32_e64 v3, 0x46000000, |v2|
	s_and_not1_b32 s6, s6, exec_lo
	s_delay_alu instid0(VALU_DEP_1) | instskip(NEXT) | instid1(VALU_DEP_1)
	v_and_b32_e32 v3, 0xff, v3
	v_cmp_ne_u32_e32 vcc_lo, 0, v3
	s_and_b32 s8, vcc_lo, exec_lo
	s_delay_alu instid0(SALU_CYCLE_1)
	s_or_b32 s6, s6, s8
	s_or_b32 exec_lo, exec_lo, s7
	v_mov_b32_e32 v12, 0
	s_and_saveexec_b32 s7, s6
	s_cbranch_execnz .LBB294_234
	s_branch .LBB294_235
.LBB294_516:
	v_bfe_u32 v2, v3, 20, 1
	s_mov_b32 s6, exec_lo
	s_delay_alu instid0(VALU_DEP_1) | instskip(NEXT) | instid1(VALU_DEP_1)
	v_add3_u32 v2, v3, v2, 0x487ffff
                                        ; implicit-def: $vgpr3
	v_lshrrev_b32_e32 v2, 20, v2
	s_and_not1_saveexec_b32 s7, s7
	s_cbranch_execz .LBB294_241
.LBB294_517:
	v_add_f32_e32 v2, 0x46000000, v3
	s_and_not1_b32 s6, s6, exec_lo
	s_delay_alu instid0(VALU_DEP_1) | instskip(NEXT) | instid1(VALU_DEP_1)
	v_and_b32_e32 v2, 0xff, v2
	v_cmp_ne_u32_e32 vcc_lo, 0, v2
	s_and_b32 s8, vcc_lo, exec_lo
	s_delay_alu instid0(SALU_CYCLE_1)
	s_or_b32 s6, s6, s8
	s_or_b32 exec_lo, exec_lo, s7
	v_mov_b32_e32 v12, 0
	s_and_saveexec_b32 s7, s6
	s_cbranch_execnz .LBB294_242
	s_branch .LBB294_243
.LBB294_518:
	s_mov_b32 s7, -1
	s_mov_b32 s9, exec_lo
	v_cmpx_eq_u16_e32 0x80, v1
; %bb.519:
	s_xor_b32 s7, exec_lo, -1
; %bb.520:
	s_or_b32 exec_lo, exec_lo, s9
	s_delay_alu instid0(SALU_CYCLE_1)
	s_and_b32 s7, s7, exec_lo
	s_or_saveexec_b32 s8, s8
	v_mov_b32_e32 v6, 0x7f800001
	s_xor_b32 exec_lo, exec_lo, s8
	s_cbranch_execz .LBB294_330
.LBB294_521:
	v_cmp_ne_u16_e32 vcc_lo, 0, v1
	v_mov_b32_e32 v6, 0
	s_and_not1_b32 s7, s7, exec_lo
	s_and_b32 s9, vcc_lo, exec_lo
	s_delay_alu instid0(SALU_CYCLE_1)
	s_or_b32 s7, s7, s9
	s_or_b32 exec_lo, exec_lo, s8
	s_and_saveexec_b32 s8, s7
	s_cbranch_execnz .LBB294_331
	s_branch .LBB294_332
.LBB294_522:
	v_bfe_u32 v1, v13, 20, 1
	s_mov_b32 s7, exec_lo
	s_delay_alu instid0(VALU_DEP_1) | instskip(NEXT) | instid1(VALU_DEP_1)
	v_add3_u32 v1, v6, v1, 0x487ffff
	v_lshrrev_b32_e32 v12, 20, v1
	s_and_not1_saveexec_b32 s8, s8
	s_cbranch_execz .LBB294_352
.LBB294_523:
	v_add_f32_e64 v1, 0x46000000, |v6|
	s_and_not1_b32 s7, s7, exec_lo
	s_delay_alu instid0(VALU_DEP_1) | instskip(NEXT) | instid1(VALU_DEP_1)
	v_and_b32_e32 v12, 0xff, v1
	v_cmp_ne_u32_e32 vcc_lo, 0, v12
	s_and_b32 s9, vcc_lo, exec_lo
	s_delay_alu instid0(SALU_CYCLE_1)
	s_or_b32 s7, s7, s9
	s_or_b32 exec_lo, exec_lo, s8
	v_mov_b32_e32 v1, 0
	s_and_saveexec_b32 s8, s7
	s_cbranch_execnz .LBB294_353
	s_branch .LBB294_354
.LBB294_524:
	v_bfe_u32 v1, v6, 20, 1
	s_mov_b32 s8, exec_lo
	s_delay_alu instid0(VALU_DEP_1) | instskip(NEXT) | instid1(VALU_DEP_1)
	v_add3_u32 v1, v6, v1, 0x487ffff
	v_lshrrev_b32_e32 v10, 20, v1
	s_and_not1_saveexec_b32 s9, s9
	s_cbranch_execz .LBB294_21
.LBB294_525:
	v_add_f32_e64 v1, 0x46000000, |v6|
	s_and_not1_b32 s8, s8, exec_lo
	s_delay_alu instid0(VALU_DEP_1) | instskip(NEXT) | instid1(VALU_DEP_1)
	v_and_b32_e32 v10, 0xff, v1
	v_cmp_ne_u32_e32 vcc_lo, 0, v10
	s_and_b32 s10, vcc_lo, exec_lo
	s_delay_alu instid0(SALU_CYCLE_1)
	s_or_b32 s8, s8, s10
	s_or_b32 exec_lo, exec_lo, s9
	v_mov_b32_e32 v1, 0
	s_and_saveexec_b32 s9, s8
	s_cbranch_execnz .LBB294_22
	s_branch .LBB294_23
.LBB294_526:
	v_bfe_u32 v1, v6, 20, 1
	s_mov_b32 s8, exec_lo
	s_delay_alu instid0(VALU_DEP_1) | instskip(NEXT) | instid1(VALU_DEP_1)
	v_add3_u32 v1, v6, v1, 0x487ffff
	v_lshrrev_b32_e32 v10, 20, v1
	s_and_not1_saveexec_b32 s9, s9
	s_cbranch_execz .LBB294_29
.LBB294_527:
	v_add_f32_e64 v1, 0x46000000, |v6|
	s_and_not1_b32 s8, s8, exec_lo
	s_delay_alu instid0(VALU_DEP_1) | instskip(NEXT) | instid1(VALU_DEP_1)
	v_and_b32_e32 v10, 0xff, v1
	v_cmp_ne_u32_e32 vcc_lo, 0, v10
	s_and_b32 s10, vcc_lo, exec_lo
	s_delay_alu instid0(SALU_CYCLE_1)
	s_or_b32 s8, s8, s10
	s_or_b32 exec_lo, exec_lo, s9
	v_mov_b32_e32 v1, 0
	s_and_saveexec_b32 s9, s8
	s_cbranch_execnz .LBB294_30
	s_branch .LBB294_31
.LBB294_528:
	v_bfe_u32 v1, v6, 20, 1
	s_mov_b32 s8, exec_lo
	s_delay_alu instid0(VALU_DEP_1) | instskip(NEXT) | instid1(VALU_DEP_1)
	v_add3_u32 v1, v6, v1, 0x487ffff
	v_lshrrev_b32_e32 v10, 20, v1
	s_and_not1_saveexec_b32 s9, s9
	s_cbranch_execz .LBB294_49
.LBB294_529:
	v_add_f32_e64 v1, 0x46000000, |v6|
	s_and_not1_b32 s8, s8, exec_lo
	s_delay_alu instid0(VALU_DEP_1) | instskip(NEXT) | instid1(VALU_DEP_1)
	v_and_b32_e32 v10, 0xff, v1
	v_cmp_ne_u32_e32 vcc_lo, 0, v10
	s_and_b32 s10, vcc_lo, exec_lo
	s_delay_alu instid0(SALU_CYCLE_1)
	s_or_b32 s8, s8, s10
	s_or_b32 exec_lo, exec_lo, s9
	v_mov_b32_e32 v1, 0
	s_and_saveexec_b32 s9, s8
	s_cbranch_execnz .LBB294_50
	s_branch .LBB294_51
.LBB294_530:
	v_bfe_u32 v1, v6, 20, 1
	s_mov_b32 s8, exec_lo
	s_delay_alu instid0(VALU_DEP_1) | instskip(NEXT) | instid1(VALU_DEP_1)
	v_add3_u32 v1, v6, v1, 0x487ffff
	v_lshrrev_b32_e32 v10, 20, v1
	s_and_not1_saveexec_b32 s9, s9
	s_cbranch_execz .LBB294_57
.LBB294_531:
	v_add_f32_e64 v1, 0x46000000, |v6|
	s_and_not1_b32 s8, s8, exec_lo
	s_delay_alu instid0(VALU_DEP_1) | instskip(NEXT) | instid1(VALU_DEP_1)
	v_and_b32_e32 v10, 0xff, v1
	v_cmp_ne_u32_e32 vcc_lo, 0, v10
	s_and_b32 s10, vcc_lo, exec_lo
	s_delay_alu instid0(SALU_CYCLE_1)
	s_or_b32 s8, s8, s10
	s_or_b32 exec_lo, exec_lo, s9
	v_mov_b32_e32 v1, 0
	s_and_saveexec_b32 s9, s8
	s_cbranch_execnz .LBB294_58
	s_branch .LBB294_59
.LBB294_532:
	v_bfe_u32 v1, v6, 20, 1
	s_mov_b32 s8, exec_lo
	s_delay_alu instid0(VALU_DEP_1) | instskip(NEXT) | instid1(VALU_DEP_1)
	v_add3_u32 v1, v6, v1, 0x487ffff
	v_lshrrev_b32_e32 v10, 20, v1
	s_and_not1_saveexec_b32 s9, s9
	s_cbranch_execz .LBB294_79
.LBB294_533:
	v_add_f32_e64 v1, 0x46000000, |v6|
	s_and_not1_b32 s8, s8, exec_lo
	s_delay_alu instid0(VALU_DEP_1) | instskip(NEXT) | instid1(VALU_DEP_1)
	v_and_b32_e32 v10, 0xff, v1
	v_cmp_ne_u32_e32 vcc_lo, 0, v10
	s_and_b32 s10, vcc_lo, exec_lo
	s_delay_alu instid0(SALU_CYCLE_1)
	s_or_b32 s8, s8, s10
	s_or_b32 exec_lo, exec_lo, s9
	v_mov_b32_e32 v1, 0
	s_and_saveexec_b32 s9, s8
	s_cbranch_execnz .LBB294_80
	s_branch .LBB294_81
.LBB294_534:
	v_bfe_u32 v1, v6, 20, 1
	s_mov_b32 s8, exec_lo
	s_delay_alu instid0(VALU_DEP_1) | instskip(NEXT) | instid1(VALU_DEP_1)
	v_add3_u32 v1, v6, v1, 0x487ffff
	v_lshrrev_b32_e32 v10, 20, v1
	s_and_not1_saveexec_b32 s9, s9
	s_cbranch_execz .LBB294_87
.LBB294_535:
	v_add_f32_e64 v1, 0x46000000, |v6|
	s_and_not1_b32 s8, s8, exec_lo
	s_delay_alu instid0(VALU_DEP_1) | instskip(NEXT) | instid1(VALU_DEP_1)
	v_and_b32_e32 v10, 0xff, v1
	v_cmp_ne_u32_e32 vcc_lo, 0, v10
	s_and_b32 s10, vcc_lo, exec_lo
	s_delay_alu instid0(SALU_CYCLE_1)
	s_or_b32 s8, s8, s10
	s_or_b32 exec_lo, exec_lo, s9
	v_mov_b32_e32 v1, 0
	s_and_saveexec_b32 s9, s8
	s_cbranch_execnz .LBB294_88
	s_branch .LBB294_89
.LBB294_536:
	v_bfe_u32 v3, v2, 20, 1
	s_mov_b32 s7, exec_lo
	s_delay_alu instid0(VALU_DEP_1) | instskip(NEXT) | instid1(VALU_DEP_1)
	v_add3_u32 v3, v2, v3, 0x487ffff
	v_lshrrev_b32_e32 v3, 20, v3
	s_and_not1_saveexec_b32 s8, s8
	s_cbranch_execz .LBB294_148
.LBB294_537:
	v_add_f32_e64 v3, 0x46000000, |v2|
	s_and_not1_b32 s7, s7, exec_lo
	s_delay_alu instid0(VALU_DEP_1) | instskip(NEXT) | instid1(VALU_DEP_1)
	v_and_b32_e32 v3, 0xff, v3
	v_cmp_ne_u32_e32 vcc_lo, 0, v3
	s_and_b32 s9, vcc_lo, exec_lo
	s_delay_alu instid0(SALU_CYCLE_1)
	s_or_b32 s7, s7, s9
	s_or_b32 exec_lo, exec_lo, s8
	v_mov_b32_e32 v12, 0
	s_and_saveexec_b32 s8, s7
	s_cbranch_execnz .LBB294_149
	s_branch .LBB294_150
.LBB294_538:
	v_bfe_u32 v3, v2, 20, 1
	s_mov_b32 s7, exec_lo
	s_delay_alu instid0(VALU_DEP_1) | instskip(NEXT) | instid1(VALU_DEP_1)
	v_add3_u32 v3, v2, v3, 0x487ffff
	v_lshrrev_b32_e32 v3, 20, v3
	s_and_not1_saveexec_b32 s8, s8
	s_cbranch_execz .LBB294_156
.LBB294_539:
	v_add_f32_e64 v3, 0x46000000, |v2|
	s_and_not1_b32 s7, s7, exec_lo
	s_delay_alu instid0(VALU_DEP_1) | instskip(NEXT) | instid1(VALU_DEP_1)
	v_and_b32_e32 v3, 0xff, v3
	v_cmp_ne_u32_e32 vcc_lo, 0, v3
	s_and_b32 s9, vcc_lo, exec_lo
	s_delay_alu instid0(SALU_CYCLE_1)
	s_or_b32 s7, s7, s9
	s_or_b32 exec_lo, exec_lo, s8
	v_mov_b32_e32 v12, 0
	s_and_saveexec_b32 s8, s7
	s_cbranch_execnz .LBB294_157
	s_branch .LBB294_158
.LBB294_540:
	v_bfe_u32 v3, v2, 20, 1
	s_mov_b32 s7, exec_lo
	s_delay_alu instid0(VALU_DEP_1) | instskip(NEXT) | instid1(VALU_DEP_1)
	v_add3_u32 v3, v2, v3, 0x487ffff
	v_lshrrev_b32_e32 v3, 20, v3
	s_and_not1_saveexec_b32 s8, s8
	s_cbranch_execz .LBB294_176
.LBB294_541:
	v_add_f32_e64 v3, 0x46000000, |v2|
	s_and_not1_b32 s7, s7, exec_lo
	s_delay_alu instid0(VALU_DEP_1) | instskip(NEXT) | instid1(VALU_DEP_1)
	v_and_b32_e32 v3, 0xff, v3
	v_cmp_ne_u32_e32 vcc_lo, 0, v3
	s_and_b32 s9, vcc_lo, exec_lo
	s_delay_alu instid0(SALU_CYCLE_1)
	s_or_b32 s7, s7, s9
	s_or_b32 exec_lo, exec_lo, s8
	v_mov_b32_e32 v12, 0
	s_and_saveexec_b32 s8, s7
	s_cbranch_execnz .LBB294_177
	s_branch .LBB294_178
.LBB294_542:
	v_bfe_u32 v3, v2, 20, 1
	s_mov_b32 s7, exec_lo
	s_delay_alu instid0(VALU_DEP_1) | instskip(NEXT) | instid1(VALU_DEP_1)
	v_add3_u32 v3, v2, v3, 0x487ffff
	v_lshrrev_b32_e32 v3, 20, v3
	s_and_not1_saveexec_b32 s8, s8
	s_cbranch_execz .LBB294_184
.LBB294_543:
	v_add_f32_e64 v3, 0x46000000, |v2|
	s_and_not1_b32 s7, s7, exec_lo
	s_delay_alu instid0(VALU_DEP_1) | instskip(NEXT) | instid1(VALU_DEP_1)
	v_and_b32_e32 v3, 0xff, v3
	v_cmp_ne_u32_e32 vcc_lo, 0, v3
	s_and_b32 s9, vcc_lo, exec_lo
	s_delay_alu instid0(SALU_CYCLE_1)
	s_or_b32 s7, s7, s9
	s_or_b32 exec_lo, exec_lo, s8
	v_mov_b32_e32 v12, 0
	s_and_saveexec_b32 s8, s7
	s_cbranch_execnz .LBB294_185
	s_branch .LBB294_186
.LBB294_544:
	v_bfe_u32 v3, v2, 20, 1
	s_mov_b32 s7, exec_lo
	s_delay_alu instid0(VALU_DEP_1) | instskip(NEXT) | instid1(VALU_DEP_1)
	v_add3_u32 v3, v2, v3, 0x487ffff
	v_lshrrev_b32_e32 v3, 20, v3
	s_and_not1_saveexec_b32 s8, s8
	s_cbranch_execz .LBB294_206
.LBB294_545:
	v_add_f32_e64 v3, 0x46000000, |v2|
	s_and_not1_b32 s7, s7, exec_lo
	s_delay_alu instid0(VALU_DEP_1) | instskip(NEXT) | instid1(VALU_DEP_1)
	v_and_b32_e32 v3, 0xff, v3
	v_cmp_ne_u32_e32 vcc_lo, 0, v3
	s_and_b32 s9, vcc_lo, exec_lo
	s_delay_alu instid0(SALU_CYCLE_1)
	s_or_b32 s7, s7, s9
	s_or_b32 exec_lo, exec_lo, s8
	v_mov_b32_e32 v12, 0
	s_and_saveexec_b32 s8, s7
	s_cbranch_execnz .LBB294_207
	s_branch .LBB294_208
.LBB294_546:
	v_bfe_u32 v3, v2, 20, 1
	s_mov_b32 s7, exec_lo
	s_delay_alu instid0(VALU_DEP_1) | instskip(NEXT) | instid1(VALU_DEP_1)
	v_add3_u32 v3, v2, v3, 0x487ffff
	v_lshrrev_b32_e32 v3, 20, v3
	s_and_not1_saveexec_b32 s8, s8
	s_cbranch_execz .LBB294_214
.LBB294_547:
	v_add_f32_e64 v3, 0x46000000, |v2|
	s_and_not1_b32 s7, s7, exec_lo
	s_delay_alu instid0(VALU_DEP_1) | instskip(NEXT) | instid1(VALU_DEP_1)
	v_and_b32_e32 v3, 0xff, v3
	v_cmp_ne_u32_e32 vcc_lo, 0, v3
	s_and_b32 s9, vcc_lo, exec_lo
	s_delay_alu instid0(SALU_CYCLE_1)
	s_or_b32 s7, s7, s9
	s_or_b32 exec_lo, exec_lo, s8
	v_mov_b32_e32 v12, 0
	s_and_saveexec_b32 s8, s7
	s_cbranch_execnz .LBB294_215
	s_branch .LBB294_216
.LBB294_548:
	v_bfe_u32 v1, v12, 20, 1
	s_mov_b32 s9, exec_lo
	s_delay_alu instid0(VALU_DEP_1) | instskip(NEXT) | instid1(VALU_DEP_1)
	v_add3_u32 v1, v12, v1, 0x487ffff
                                        ; implicit-def: $vgpr12
	v_lshrrev_b32_e32 v6, 20, v1
	s_and_not1_saveexec_b32 s10, s10
	s_cbranch_execz .LBB294_296
.LBB294_549:
	v_add_f32_e32 v1, 0x46000000, v12
	s_and_not1_b32 s9, s9, exec_lo
	s_delay_alu instid0(VALU_DEP_1) | instskip(NEXT) | instid1(VALU_DEP_1)
	v_and_b32_e32 v6, 0xff, v1
	v_cmp_ne_u32_e32 vcc_lo, 0, v6
	s_and_b32 s11, vcc_lo, exec_lo
	s_delay_alu instid0(SALU_CYCLE_1)
	s_or_b32 s9, s9, s11
	s_or_b32 exec_lo, exec_lo, s10
	v_mov_b32_e32 v1, 0
	s_and_saveexec_b32 s10, s9
	s_cbranch_execnz .LBB294_297
	s_branch .LBB294_298
.LBB294_550:
	v_bfe_u32 v1, v12, 20, 1
	s_mov_b32 s9, exec_lo
	s_delay_alu instid0(VALU_DEP_1) | instskip(NEXT) | instid1(VALU_DEP_1)
	v_add3_u32 v1, v12, v1, 0x487ffff
                                        ; implicit-def: $vgpr12
	v_lshrrev_b32_e32 v6, 20, v1
	s_and_not1_saveexec_b32 s10, s10
	s_cbranch_execz .LBB294_308
.LBB294_551:
	v_add_f32_e32 v1, 0x46000000, v12
	s_and_not1_b32 s9, s9, exec_lo
	s_delay_alu instid0(VALU_DEP_1) | instskip(NEXT) | instid1(VALU_DEP_1)
	v_and_b32_e32 v6, 0xff, v1
	v_cmp_ne_u32_e32 vcc_lo, 0, v6
	s_and_b32 s11, vcc_lo, exec_lo
	s_delay_alu instid0(SALU_CYCLE_1)
	s_or_b32 s9, s9, s11
	s_or_b32 exec_lo, exec_lo, s10
	v_mov_b32_e32 v1, 0
	s_and_saveexec_b32 s10, s9
	s_cbranch_execnz .LBB294_309
	s_branch .LBB294_310
.LBB294_552:
	v_bfe_u32 v1, v12, 20, 1
	s_mov_b32 s9, exec_lo
	s_delay_alu instid0(VALU_DEP_1) | instskip(NEXT) | instid1(VALU_DEP_1)
	v_add3_u32 v1, v12, v1, 0x487ffff
                                        ; implicit-def: $vgpr12
	v_lshrrev_b32_e32 v6, 20, v1
	s_and_not1_saveexec_b32 s10, s10
	s_cbranch_execz .LBB294_316
.LBB294_553:
	v_add_f32_e32 v1, 0x46000000, v12
	s_and_not1_b32 s9, s9, exec_lo
	s_delay_alu instid0(VALU_DEP_1) | instskip(NEXT) | instid1(VALU_DEP_1)
	v_and_b32_e32 v6, 0xff, v1
	v_cmp_ne_u32_e32 vcc_lo, 0, v6
	s_and_b32 s11, vcc_lo, exec_lo
	s_delay_alu instid0(SALU_CYCLE_1)
	s_or_b32 s9, s9, s11
	s_or_b32 exec_lo, exec_lo, s10
	v_mov_b32_e32 v1, 0
	s_and_saveexec_b32 s10, s9
	s_cbranch_execnz .LBB294_317
	s_branch .LBB294_318
.LBB294_554:
	v_bfe_u32 v1, v6, 20, 1
	s_mov_b32 s8, exec_lo
	s_delay_alu instid0(VALU_DEP_1) | instskip(NEXT) | instid1(VALU_DEP_1)
	v_add3_u32 v1, v6, v1, 0x487ffff
	v_lshrrev_b32_e32 v12, 20, v1
	s_and_not1_saveexec_b32 s9, s9
	s_cbranch_execz .LBB294_335
.LBB294_555:
	v_add_f32_e64 v1, 0x46000000, |v6|
	s_and_not1_b32 s8, s8, exec_lo
	s_delay_alu instid0(VALU_DEP_1) | instskip(NEXT) | instid1(VALU_DEP_1)
	v_and_b32_e32 v12, 0xff, v1
	v_cmp_ne_u32_e32 vcc_lo, 0, v12
	s_and_b32 s10, vcc_lo, exec_lo
	s_delay_alu instid0(SALU_CYCLE_1)
	s_or_b32 s8, s8, s10
	s_or_b32 exec_lo, exec_lo, s9
	v_mov_b32_e32 v1, 0
	s_and_saveexec_b32 s9, s8
	s_cbranch_execnz .LBB294_336
	s_branch .LBB294_337
.LBB294_556:
	v_bfe_u32 v1, v13, 20, 1
	s_mov_b32 s8, exec_lo
	s_delay_alu instid0(VALU_DEP_1) | instskip(NEXT) | instid1(VALU_DEP_1)
	v_add3_u32 v1, v6, v1, 0x487ffff
	v_lshrrev_b32_e32 v12, 20, v1
	s_and_not1_saveexec_b32 s9, s9
	s_cbranch_execz .LBB294_343
.LBB294_557:
	v_add_f32_e64 v1, 0x46000000, |v6|
	s_and_not1_b32 s8, s8, exec_lo
	s_delay_alu instid0(VALU_DEP_1) | instskip(NEXT) | instid1(VALU_DEP_1)
	v_and_b32_e32 v12, 0xff, v1
	v_cmp_ne_u32_e32 vcc_lo, 0, v12
	s_and_b32 s10, vcc_lo, exec_lo
	s_delay_alu instid0(SALU_CYCLE_1)
	s_or_b32 s8, s8, s10
	s_or_b32 exec_lo, exec_lo, s9
	v_mov_b32_e32 v1, 0
	s_and_saveexec_b32 s9, s8
	s_cbranch_execnz .LBB294_344
	s_branch .LBB294_345
.LBB294_558:
	v_bfe_u32 v1, v6, 4, 1
	s_mov_b32 s9, exec_lo
	s_delay_alu instid0(VALU_DEP_1) | instskip(NEXT) | instid1(VALU_DEP_1)
	v_add3_u32 v1, v13, v1, 0x487ffff
                                        ; implicit-def: $vgpr13
	v_lshrrev_b32_e32 v12, 20, v1
	s_and_not1_saveexec_b32 s10, s10
	s_cbranch_execz .LBB294_363
.LBB294_559:
	v_add_f32_e64 v1, 0x46000000, |v13|
	s_and_not1_b32 s9, s9, exec_lo
	s_delay_alu instid0(VALU_DEP_1) | instskip(NEXT) | instid1(VALU_DEP_1)
	v_and_b32_e32 v12, 0xff, v1
	v_cmp_ne_u32_e32 vcc_lo, 0, v12
	s_and_b32 s11, vcc_lo, exec_lo
	s_delay_alu instid0(SALU_CYCLE_1)
	s_or_b32 s9, s9, s11
	s_or_b32 exec_lo, exec_lo, s10
	v_mov_b32_e32 v1, 0
	s_and_saveexec_b32 s10, s9
	s_cbranch_execnz .LBB294_364
	s_branch .LBB294_365
.LBB294_560:
	s_mov_b32 s9, -1
	s_mov_b32 s11, exec_lo
	v_cmpx_eq_u16_e32 0x80, v3
; %bb.561:
	s_xor_b32 s9, exec_lo, -1
; %bb.562:
	s_or_b32 exec_lo, exec_lo, s11
	s_delay_alu instid0(SALU_CYCLE_1)
	s_and_b32 s9, s9, exec_lo
	s_or_saveexec_b32 s10, s10
	v_mov_b32_e32 v2, 0x7f800001
	s_xor_b32 exec_lo, exec_lo, s10
	s_cbranch_execz .LBB294_435
.LBB294_563:
	v_cmp_ne_u16_e32 vcc_lo, 0, v3
	v_mov_b32_e32 v2, 0
	s_and_not1_b32 s9, s9, exec_lo
	s_and_b32 s11, vcc_lo, exec_lo
	s_delay_alu instid0(SALU_CYCLE_1)
	s_or_b32 s9, s9, s11
	s_or_b32 exec_lo, exec_lo, s10
	s_and_saveexec_b32 s10, s9
	s_cbranch_execnz .LBB294_436
	s_branch .LBB294_437
.LBB294_564:
	v_bfe_u32 v3, v4, 20, 1
	s_mov_b32 s9, exec_lo
	s_delay_alu instid0(VALU_DEP_1) | instskip(NEXT) | instid1(VALU_DEP_1)
	v_add3_u32 v3, v2, v3, 0x487ffff
	v_lshrrev_b32_e32 v3, 20, v3
	s_and_not1_saveexec_b32 s10, s10
	s_cbranch_execz .LBB294_457
.LBB294_565:
	v_add_f32_e64 v3, 0x46000000, |v2|
	s_and_not1_b32 s9, s9, exec_lo
	s_delay_alu instid0(VALU_DEP_1) | instskip(NEXT) | instid1(VALU_DEP_1)
	v_and_b32_e32 v3, 0xff, v3
	v_cmp_ne_u32_e32 vcc_lo, 0, v3
	s_and_b32 s11, vcc_lo, exec_lo
	s_delay_alu instid0(SALU_CYCLE_1)
	s_or_b32 s9, s9, s11
	s_or_b32 exec_lo, exec_lo, s10
	v_mov_b32_e32 v12, 0
	s_and_saveexec_b32 s10, s9
	s_cbranch_execnz .LBB294_458
	s_branch .LBB294_459
.LBB294_566:
	v_bfe_u32 v1, v6, 20, 1
	s_mov_b32 s8, exec_lo
	s_delay_alu instid0(VALU_DEP_1) | instskip(NEXT) | instid1(VALU_DEP_1)
	v_add3_u32 v1, v6, v1, 0x487ffff
	v_lshrrev_b32_e32 v12, 20, v1
	s_and_not1_saveexec_b32 s9, s9
	s_cbranch_execz .LBB294_275
.LBB294_567:
	v_add_f32_e64 v1, 0x46000000, |v6|
	s_and_not1_b32 s8, s8, exec_lo
	s_delay_alu instid0(VALU_DEP_1) | instskip(NEXT) | instid1(VALU_DEP_1)
	v_and_b32_e32 v12, 0xff, v1
	v_cmp_ne_u32_e32 vcc_lo, 0, v12
	s_and_b32 s10, vcc_lo, exec_lo
	s_delay_alu instid0(SALU_CYCLE_1)
	s_or_b32 s8, s8, s10
	s_or_b32 exec_lo, exec_lo, s9
	v_mov_b32_e32 v1, 0
	s_and_saveexec_b32 s9, s8
	s_cbranch_execnz .LBB294_276
	s_branch .LBB294_277
.LBB294_568:
	v_bfe_u32 v1, v12, 20, 1
	s_mov_b32 s10, exec_lo
	s_delay_alu instid0(VALU_DEP_1) | instskip(NEXT) | instid1(VALU_DEP_1)
	v_add3_u32 v1, v12, v1, 0x487ffff
                                        ; implicit-def: $vgpr12
	v_lshrrev_b32_e32 v6, 20, v1
	s_and_not1_saveexec_b32 s11, s11
	s_cbranch_execz .LBB294_285
.LBB294_569:
	v_add_f32_e32 v1, 0x46000000, v12
	s_and_not1_b32 s10, s10, exec_lo
	s_delay_alu instid0(VALU_DEP_1) | instskip(NEXT) | instid1(VALU_DEP_1)
	v_and_b32_e32 v6, 0xff, v1
	v_cmp_ne_u32_e32 vcc_lo, 0, v6
	s_and_b32 s12, vcc_lo, exec_lo
	s_delay_alu instid0(SALU_CYCLE_1)
	s_or_b32 s10, s10, s12
	s_or_b32 exec_lo, exec_lo, s11
	v_mov_b32_e32 v1, 0
	s_and_saveexec_b32 s11, s10
	s_cbranch_execnz .LBB294_286
	s_branch .LBB294_287
.LBB294_570:
	v_bfe_u32 v2, v3, 20, 1
	s_mov_b32 s11, exec_lo
	s_delay_alu instid0(VALU_DEP_1) | instskip(NEXT) | instid1(VALU_DEP_1)
	v_add3_u32 v2, v3, v2, 0x487ffff
                                        ; implicit-def: $vgpr3
	v_lshrrev_b32_e32 v2, 20, v2
	s_and_not1_saveexec_b32 s12, s12
	s_cbranch_execz .LBB294_401
.LBB294_571:
	v_add_f32_e32 v2, 0x46000000, v3
	s_and_not1_b32 s11, s11, exec_lo
	s_delay_alu instid0(VALU_DEP_1) | instskip(NEXT) | instid1(VALU_DEP_1)
	v_and_b32_e32 v2, 0xff, v2
	v_cmp_ne_u32_e32 vcc_lo, 0, v2
	s_and_b32 s13, vcc_lo, exec_lo
	s_delay_alu instid0(SALU_CYCLE_1)
	s_or_b32 s11, s11, s13
	s_or_b32 exec_lo, exec_lo, s12
	v_mov_b32_e32 v12, 0
	s_and_saveexec_b32 s12, s11
	s_cbranch_execnz .LBB294_402
	s_branch .LBB294_403
.LBB294_572:
	v_bfe_u32 v2, v3, 20, 1
	s_mov_b32 s11, exec_lo
	s_delay_alu instid0(VALU_DEP_1) | instskip(NEXT) | instid1(VALU_DEP_1)
	v_add3_u32 v2, v3, v2, 0x487ffff
                                        ; implicit-def: $vgpr3
	v_lshrrev_b32_e32 v2, 20, v2
	s_and_not1_saveexec_b32 s12, s12
	s_cbranch_execz .LBB294_413
.LBB294_573:
	v_add_f32_e32 v2, 0x46000000, v3
	s_and_not1_b32 s11, s11, exec_lo
	s_delay_alu instid0(VALU_DEP_1) | instskip(NEXT) | instid1(VALU_DEP_1)
	v_and_b32_e32 v2, 0xff, v2
	v_cmp_ne_u32_e32 vcc_lo, 0, v2
	s_and_b32 s13, vcc_lo, exec_lo
	s_delay_alu instid0(SALU_CYCLE_1)
	s_or_b32 s11, s11, s13
	s_or_b32 exec_lo, exec_lo, s12
	v_mov_b32_e32 v12, 0
	s_and_saveexec_b32 s12, s11
	s_cbranch_execnz .LBB294_414
	s_branch .LBB294_415
.LBB294_574:
	v_bfe_u32 v2, v3, 20, 1
	s_mov_b32 s11, exec_lo
	s_delay_alu instid0(VALU_DEP_1) | instskip(NEXT) | instid1(VALU_DEP_1)
	v_add3_u32 v2, v3, v2, 0x487ffff
                                        ; implicit-def: $vgpr3
	v_lshrrev_b32_e32 v2, 20, v2
	s_and_not1_saveexec_b32 s12, s12
	s_cbranch_execz .LBB294_421
.LBB294_575:
	v_add_f32_e32 v2, 0x46000000, v3
	s_and_not1_b32 s11, s11, exec_lo
	s_delay_alu instid0(VALU_DEP_1) | instskip(NEXT) | instid1(VALU_DEP_1)
	v_and_b32_e32 v2, 0xff, v2
	v_cmp_ne_u32_e32 vcc_lo, 0, v2
	s_and_b32 s13, vcc_lo, exec_lo
	s_delay_alu instid0(SALU_CYCLE_1)
	s_or_b32 s11, s11, s13
	s_or_b32 exec_lo, exec_lo, s12
	v_mov_b32_e32 v12, 0
	s_and_saveexec_b32 s12, s11
	s_cbranch_execnz .LBB294_422
	s_branch .LBB294_423
.LBB294_576:
	v_bfe_u32 v3, v2, 20, 1
	s_mov_b32 s10, exec_lo
	s_delay_alu instid0(VALU_DEP_1) | instskip(NEXT) | instid1(VALU_DEP_1)
	v_add3_u32 v3, v2, v3, 0x487ffff
	v_lshrrev_b32_e32 v3, 20, v3
	s_and_not1_saveexec_b32 s11, s11
	s_cbranch_execz .LBB294_440
.LBB294_577:
	v_add_f32_e64 v3, 0x46000000, |v2|
	s_and_not1_b32 s10, s10, exec_lo
	s_delay_alu instid0(VALU_DEP_1) | instskip(NEXT) | instid1(VALU_DEP_1)
	v_and_b32_e32 v3, 0xff, v3
	v_cmp_ne_u32_e32 vcc_lo, 0, v3
	s_and_b32 s12, vcc_lo, exec_lo
	s_delay_alu instid0(SALU_CYCLE_1)
	s_or_b32 s10, s10, s12
	s_or_b32 exec_lo, exec_lo, s11
	v_mov_b32_e32 v12, 0
	s_and_saveexec_b32 s11, s10
	s_cbranch_execnz .LBB294_441
	s_branch .LBB294_442
.LBB294_578:
	v_bfe_u32 v3, v4, 20, 1
	s_mov_b32 s10, exec_lo
	s_delay_alu instid0(VALU_DEP_1) | instskip(NEXT) | instid1(VALU_DEP_1)
	v_add3_u32 v3, v2, v3, 0x487ffff
	v_lshrrev_b32_e32 v3, 20, v3
	s_and_not1_saveexec_b32 s11, s11
	s_cbranch_execz .LBB294_448
.LBB294_579:
	v_add_f32_e64 v3, 0x46000000, |v2|
	s_and_not1_b32 s10, s10, exec_lo
	s_delay_alu instid0(VALU_DEP_1) | instskip(NEXT) | instid1(VALU_DEP_1)
	v_and_b32_e32 v3, 0xff, v3
	v_cmp_ne_u32_e32 vcc_lo, 0, v3
	s_and_b32 s12, vcc_lo, exec_lo
	s_delay_alu instid0(SALU_CYCLE_1)
	s_or_b32 s10, s10, s12
	s_or_b32 exec_lo, exec_lo, s11
	v_mov_b32_e32 v12, 0
	s_and_saveexec_b32 s11, s10
	s_cbranch_execnz .LBB294_449
	s_branch .LBB294_450
.LBB294_580:
	v_bfe_u32 v3, v2, 4, 1
	s_mov_b32 s11, exec_lo
	s_delay_alu instid0(VALU_DEP_1) | instskip(NEXT) | instid1(VALU_DEP_1)
	v_add3_u32 v3, v4, v3, 0x487ffff
                                        ; implicit-def: $vgpr4
	v_lshrrev_b32_e32 v3, 20, v3
	s_and_not1_saveexec_b32 s12, s12
	s_cbranch_execz .LBB294_468
.LBB294_581:
	v_add_f32_e64 v3, 0x46000000, |v4|
	s_and_not1_b32 s11, s11, exec_lo
	s_delay_alu instid0(VALU_DEP_1) | instskip(NEXT) | instid1(VALU_DEP_1)
	v_and_b32_e32 v3, 0xff, v3
	v_cmp_ne_u32_e32 vcc_lo, 0, v3
	s_and_b32 s13, vcc_lo, exec_lo
	s_delay_alu instid0(SALU_CYCLE_1)
	s_or_b32 s11, s11, s13
	s_or_b32 exec_lo, exec_lo, s12
	v_mov_b32_e32 v12, 0
	s_and_saveexec_b32 s12, s11
	s_cbranch_execnz .LBB294_469
	s_branch .LBB294_470
.LBB294_582:
	v_bfe_u32 v3, v2, 20, 1
	s_mov_b32 s10, exec_lo
	s_delay_alu instid0(VALU_DEP_1) | instskip(NEXT) | instid1(VALU_DEP_1)
	v_add3_u32 v3, v2, v3, 0x487ffff
	v_lshrrev_b32_e32 v3, 20, v3
	s_and_not1_saveexec_b32 s11, s11
	s_cbranch_execz .LBB294_380
.LBB294_583:
	v_add_f32_e64 v3, 0x46000000, |v2|
	s_and_not1_b32 s10, s10, exec_lo
	s_delay_alu instid0(VALU_DEP_1) | instskip(NEXT) | instid1(VALU_DEP_1)
	v_and_b32_e32 v3, 0xff, v3
	v_cmp_ne_u32_e32 vcc_lo, 0, v3
	s_and_b32 s12, vcc_lo, exec_lo
	s_delay_alu instid0(SALU_CYCLE_1)
	s_or_b32 s10, s10, s12
	s_or_b32 exec_lo, exec_lo, s11
	v_mov_b32_e32 v12, 0
	s_and_saveexec_b32 s11, s10
	s_cbranch_execnz .LBB294_381
	s_branch .LBB294_382
.LBB294_584:
	v_bfe_u32 v2, v3, 20, 1
	s_mov_b32 s12, exec_lo
	s_delay_alu instid0(VALU_DEP_1) | instskip(NEXT) | instid1(VALU_DEP_1)
	v_add3_u32 v2, v3, v2, 0x487ffff
                                        ; implicit-def: $vgpr3
	v_lshrrev_b32_e32 v2, 20, v2
	s_and_not1_saveexec_b32 s13, s13
	s_cbranch_execz .LBB294_390
.LBB294_585:
	v_add_f32_e32 v2, 0x46000000, v3
	s_and_not1_b32 s12, s12, exec_lo
	s_delay_alu instid0(VALU_DEP_1) | instskip(NEXT) | instid1(VALU_DEP_1)
	v_and_b32_e32 v2, 0xff, v2
	v_cmp_ne_u32_e32 vcc_lo, 0, v2
	s_and_b32 s14, vcc_lo, exec_lo
	s_delay_alu instid0(SALU_CYCLE_1)
	s_or_b32 s12, s12, s14
	s_or_b32 exec_lo, exec_lo, s13
	v_mov_b32_e32 v12, 0
	s_and_saveexec_b32 s13, s12
	s_cbranch_execnz .LBB294_391
	s_branch .LBB294_392
.Lfunc_end294:
	.size	_ZN2at6native6invokeINS0_13BinaryFunctorIN3c1015Float8_e4m3fnuzES4_bNS0_12_GLOBAL__N_116CompareEqFunctorIS4_EEEEi15function_traitsIS8_EEENT1_11result_typeERKT_PrKPcPKT0_PKNS3_10ScalarTypeEi, .Lfunc_end294-_ZN2at6native6invokeINS0_13BinaryFunctorIN3c1015Float8_e4m3fnuzES4_bNS0_12_GLOBAL__N_116CompareEqFunctorIS4_EEEEi15function_traitsIS8_EEENT1_11result_typeERKT_PrKPcPKT0_PKNS3_10ScalarTypeEi
                                        ; -- End function
	.set .L_ZN2at6native6invokeINS0_13BinaryFunctorIN3c1015Float8_e4m3fnuzES4_bNS0_12_GLOBAL__N_116CompareEqFunctorIS4_EEEEi15function_traitsIS8_EEENT1_11result_typeERKT_PrKPcPKT0_PKNS3_10ScalarTypeEi.num_vgpr, 16
	.set .L_ZN2at6native6invokeINS0_13BinaryFunctorIN3c1015Float8_e4m3fnuzES4_bNS0_12_GLOBAL__N_116CompareEqFunctorIS4_EEEEi15function_traitsIS8_EEENT1_11result_typeERKT_PrKPcPKT0_PKNS3_10ScalarTypeEi.num_agpr, 0
	.set .L_ZN2at6native6invokeINS0_13BinaryFunctorIN3c1015Float8_e4m3fnuzES4_bNS0_12_GLOBAL__N_116CompareEqFunctorIS4_EEEEi15function_traitsIS8_EEENT1_11result_typeERKT_PrKPcPKT0_PKNS3_10ScalarTypeEi.numbered_sgpr, 32
	.set .L_ZN2at6native6invokeINS0_13BinaryFunctorIN3c1015Float8_e4m3fnuzES4_bNS0_12_GLOBAL__N_116CompareEqFunctorIS4_EEEEi15function_traitsIS8_EEENT1_11result_typeERKT_PrKPcPKT0_PKNS3_10ScalarTypeEi.num_named_barrier, 0
	.set .L_ZN2at6native6invokeINS0_13BinaryFunctorIN3c1015Float8_e4m3fnuzES4_bNS0_12_GLOBAL__N_116CompareEqFunctorIS4_EEEEi15function_traitsIS8_EEENT1_11result_typeERKT_PrKPcPKT0_PKNS3_10ScalarTypeEi.private_seg_size, 0
	.set .L_ZN2at6native6invokeINS0_13BinaryFunctorIN3c1015Float8_e4m3fnuzES4_bNS0_12_GLOBAL__N_116CompareEqFunctorIS4_EEEEi15function_traitsIS8_EEENT1_11result_typeERKT_PrKPcPKT0_PKNS3_10ScalarTypeEi.uses_vcc, 1
	.set .L_ZN2at6native6invokeINS0_13BinaryFunctorIN3c1015Float8_e4m3fnuzES4_bNS0_12_GLOBAL__N_116CompareEqFunctorIS4_EEEEi15function_traitsIS8_EEENT1_11result_typeERKT_PrKPcPKT0_PKNS3_10ScalarTypeEi.uses_flat_scratch, 0
	.set .L_ZN2at6native6invokeINS0_13BinaryFunctorIN3c1015Float8_e4m3fnuzES4_bNS0_12_GLOBAL__N_116CompareEqFunctorIS4_EEEEi15function_traitsIS8_EEENT1_11result_typeERKT_PrKPcPKT0_PKNS3_10ScalarTypeEi.has_dyn_sized_stack, 0
	.set .L_ZN2at6native6invokeINS0_13BinaryFunctorIN3c1015Float8_e4m3fnuzES4_bNS0_12_GLOBAL__N_116CompareEqFunctorIS4_EEEEi15function_traitsIS8_EEENT1_11result_typeERKT_PrKPcPKT0_PKNS3_10ScalarTypeEi.has_recursion, 0
	.set .L_ZN2at6native6invokeINS0_13BinaryFunctorIN3c1015Float8_e4m3fnuzES4_bNS0_12_GLOBAL__N_116CompareEqFunctorIS4_EEEEi15function_traitsIS8_EEENT1_11result_typeERKT_PrKPcPKT0_PKNS3_10ScalarTypeEi.has_indirect_call, 0
	.section	.AMDGPU.csdata,"",@progbits
; Function info:
; codeLenInByte = 15136
; TotalNumSgprs: 34
; NumVgprs: 16
; ScratchSize: 0
; MemoryBound: 0
	.section	.text._ZN2at6native32elementwise_kernel_manual_unrollILi128ELi4EZNS0_15gpu_kernel_implINS0_13BinaryFunctorIN3c1015Float8_e4m3fnuzES5_bNS0_12_GLOBAL__N_116CompareEqFunctorIS5_EEEEEEvRNS_18TensorIteratorBaseERKT_EUlibE_EEviT1_,"axG",@progbits,_ZN2at6native32elementwise_kernel_manual_unrollILi128ELi4EZNS0_15gpu_kernel_implINS0_13BinaryFunctorIN3c1015Float8_e4m3fnuzES5_bNS0_12_GLOBAL__N_116CompareEqFunctorIS5_EEEEEEvRNS_18TensorIteratorBaseERKT_EUlibE_EEviT1_,comdat
	.globl	_ZN2at6native32elementwise_kernel_manual_unrollILi128ELi4EZNS0_15gpu_kernel_implINS0_13BinaryFunctorIN3c1015Float8_e4m3fnuzES5_bNS0_12_GLOBAL__N_116CompareEqFunctorIS5_EEEEEEvRNS_18TensorIteratorBaseERKT_EUlibE_EEviT1_ ; -- Begin function _ZN2at6native32elementwise_kernel_manual_unrollILi128ELi4EZNS0_15gpu_kernel_implINS0_13BinaryFunctorIN3c1015Float8_e4m3fnuzES5_bNS0_12_GLOBAL__N_116CompareEqFunctorIS5_EEEEEEvRNS_18TensorIteratorBaseERKT_EUlibE_EEviT1_
	.p2align	8
	.type	_ZN2at6native32elementwise_kernel_manual_unrollILi128ELi4EZNS0_15gpu_kernel_implINS0_13BinaryFunctorIN3c1015Float8_e4m3fnuzES5_bNS0_12_GLOBAL__N_116CompareEqFunctorIS5_EEEEEEvRNS_18TensorIteratorBaseERKT_EUlibE_EEviT1_,@function
_ZN2at6native32elementwise_kernel_manual_unrollILi128ELi4EZNS0_15gpu_kernel_implINS0_13BinaryFunctorIN3c1015Float8_e4m3fnuzES5_bNS0_12_GLOBAL__N_116CompareEqFunctorIS5_EEEEEEvRNS_18TensorIteratorBaseERKT_EUlibE_EEviT1_: ; @_ZN2at6native32elementwise_kernel_manual_unrollILi128ELi4EZNS0_15gpu_kernel_implINS0_13BinaryFunctorIN3c1015Float8_e4m3fnuzES5_bNS0_12_GLOBAL__N_116CompareEqFunctorIS5_EEEEEEvRNS_18TensorIteratorBaseERKT_EUlibE_EEviT1_
; %bb.0:
	s_clause 0x2
	s_load_b256 s[4:11], s[0:1], 0x8
	s_load_b128 s[12:15], s[0:1], 0x28
	s_load_b32 s18, s[0:1], 0x0
	s_bfe_u32 s2, ttmp6, 0x4000c
	s_wait_xcnt 0x0
	s_and_b32 s0, ttmp6, 15
	s_add_co_i32 s2, s2, 1
	s_mov_b32 s17, 0
	s_mul_i32 s1, ttmp9, s2
	s_getreg_b32 s2, hwreg(HW_REG_IB_STS2, 6, 4)
	s_add_co_i32 s0, s0, s1
	s_cmp_eq_u32 s2, 0
	s_mov_b32 s32, 64
	s_cselect_b32 s0, ttmp9, s0
	s_delay_alu instid0(SALU_CYCLE_1) | instskip(SKIP_2) | instid1(VALU_DEP_2)
	v_lshl_or_b32 v16, s0, 9, v0
	v_mbcnt_lo_u32_b32 v0, -1, 0
	s_mov_b32 s0, exec_lo
	v_or_b32_e32 v1, 0x180, v16
	s_wait_kmcnt 0x0
	v_mov_b64_e32 v[10:11], s[12:13]
	v_mov_b64_e32 v[2:3], s[4:5]
	;; [unrolled: 1-line block ×6, first 2 shown]
	s_mov_b32 s15, 0
	s_clause 0x2
	scratch_store_b128 off, v[2:5], off
	scratch_store_b128 off, v[6:9], off offset:16
	scratch_store_b128 off, v[10:13], off offset:32
	s_wait_xcnt 0x0
	v_cmpx_le_i32_e64 s18, v1
	s_xor_b32 s16, exec_lo, s0
	s_cbranch_execz .LBB295_394
; %bb.1:
	s_clause 0x3
	scratch_load_b64 v[18:19], off, off
	scratch_load_b32 v26, off, off offset:24
	scratch_load_b32 v17, off, off offset:36
	scratch_load_u8 v27, off, off offset:40
	v_dual_mov_b32 v0, 0 :: v_dual_lshlrev_b32 v1, 20, v0
	s_mov_b32 s20, 0
	s_mov_b32 s0, -1
	s_mov_b32 s19, exec_lo
	s_delay_alu instid0(VALU_DEP_1) | instskip(NEXT) | instid1(VALU_DEP_1)
	v_add_nc_u64_e32 v[0:1], src_flat_scratch_base_lo, v[0:1]
	v_add_nc_u64_e32 v[24:25], 8, v[0:1]
	v_add_nc_u64_e32 v[22:23], 28, v[0:1]
	v_add_nc_u64_e32 v[20:21], 41, v[0:1]
	s_wait_xcnt 0x0
	v_cmpx_gt_i32_e64 s18, v16
	s_cbranch_execz .LBB295_87
; %bb.2:
	s_wait_loadcnt 0x1
	v_dual_mov_b32 v0, v17 :: v_dual_mov_b32 v1, v24
	v_dual_mov_b32 v2, v25 :: v_dual_mov_b32 v3, v22
	;; [unrolled: 1-line block ×4, first 2 shown]
	s_get_pc_i64 s[0:1]
	s_add_nc_u64 s[0:1], s[0:1], _ZN2at6native6invokeINS0_13BinaryFunctorIN3c1015Float8_e4m3fnuzES4_bNS0_12_GLOBAL__N_116CompareEqFunctorIS4_EEEEi15function_traitsIS8_EEENT1_11result_typeERKT_PrKPcPKT0_PKNS3_10ScalarTypeEi@rel64+4
	s_delay_alu instid0(SALU_CYCLE_1)
	s_swap_pc_i64 s[30:31], s[0:1]
	v_and_b32_e32 v0, 1, v0
	v_and_b32_e32 v2, 0xff, v27
	s_mov_b32 s1, 0
	s_mov_b32 s3, 0
	s_mov_b32 s2, exec_lo
	v_cmp_eq_u32_e32 vcc_lo, 1, v0
	v_mul_lo_u32 v0, v26, v16
	s_delay_alu instid0(VALU_DEP_1) | instskip(NEXT) | instid1(VALU_DEP_1)
	v_ashrrev_i32_e32 v1, 31, v0
	v_add_nc_u64_e32 v[0:1], v[18:19], v[0:1]
	v_cmpx_lt_i16_e32 10, v2
	s_xor_b32 s2, exec_lo, s2
	s_cbranch_execz .LBB295_1892
; %bb.3:
	s_mov_b32 s4, exec_lo
	v_cmpx_lt_i16_e32 25, v2
	s_xor_b32 s4, exec_lo, s4
	s_cbranch_execz .LBB295_39
; %bb.4:
	s_mov_b32 s5, 0
	s_mov_b32 s3, exec_lo
	v_cmpx_lt_i16_e32 28, v2
	s_xor_b32 s3, exec_lo, s3
	s_cbranch_execz .LBB295_22
; %bb.5:
	s_mov_b32 s7, 0
	;; [unrolled: 6-line block ×3, first 2 shown]
	s_mov_b32 s1, exec_lo
	v_cmpx_lt_i16_e32 45, v2
	s_xor_b32 s1, exec_lo, s1
	s_cbranch_execz .LBB295_10
; %bb.7:
	s_mov_b32 s8, -1
	s_mov_b32 s7, exec_lo
	v_cmpx_eq_u16_e32 46, v2
	s_cbranch_execz .LBB295_9
; %bb.8:
	v_cndmask_b32_e64 v2, 0, 1.0, vcc_lo
	s_mov_b32 s6, exec_lo
	s_xor_b32 s8, exec_lo, -1
	s_delay_alu instid0(VALU_DEP_1) | instskip(NEXT) | instid1(VALU_DEP_1)
	v_bfe_u32 v3, v2, 16, 1
	v_add3_u32 v2, v2, v3, 0x7fff
	s_delay_alu instid0(VALU_DEP_1)
	v_lshrrev_b32_e32 v2, 16, v2
	flat_store_b32 v[0:1], v2
.LBB295_9:
	s_wait_xcnt 0x0
	s_or_b32 exec_lo, exec_lo, s7
	s_delay_alu instid0(SALU_CYCLE_1)
	s_and_b32 s7, s8, exec_lo
	s_and_b32 s6, s6, exec_lo
                                        ; implicit-def: $vgpr2
                                        ; implicit-def: $vgpr0_vgpr1
.LBB295_10:
	s_and_not1_saveexec_b32 s8, s1
	s_cbranch_execz .LBB295_16
; %bb.11:
	s_mov_b32 s10, -1
	s_mov_b32 s1, s6
	s_mov_b32 s9, exec_lo
	v_cmpx_eq_u16_e32 44, v2
	s_cbranch_execz .LBB295_15
; %bb.12:
	v_cndmask_b32_e64 v4, 0, 1.0, vcc_lo
	s_mov_b32 s10, exec_lo
	s_delay_alu instid0(VALU_DEP_1) | instskip(NEXT) | instid1(VALU_DEP_1)
	v_dual_mov_b32 v3, 0xff :: v_dual_lshrrev_b32 v2, 23, v4
	v_cmpx_ne_u32_e32 0xff, v2
; %bb.13:
	v_and_b32_e32 v3, 0x400000, v4
	v_and_or_b32 v4, 0x3fffff, v4, v2
	s_delay_alu instid0(VALU_DEP_2) | instskip(NEXT) | instid1(VALU_DEP_2)
	v_cmp_ne_u32_e64 s0, 0, v3
	v_cmp_ne_u32_e64 s1, 0, v4
	s_and_b32 s0, s0, s1
	s_delay_alu instid0(SALU_CYCLE_1) | instskip(NEXT) | instid1(VALU_DEP_1)
	v_cndmask_b32_e64 v3, 0, 1, s0
	v_add_nc_u32_e32 v3, v2, v3
; %bb.14:
	s_or_b32 exec_lo, exec_lo, s10
	s_delay_alu instid0(SALU_CYCLE_1)
	s_xor_b32 s10, exec_lo, -1
	s_or_b32 s1, s6, exec_lo
	flat_store_b8 v[0:1], v3
.LBB295_15:
	s_wait_xcnt 0x0
	s_or_b32 exec_lo, exec_lo, s9
	s_delay_alu instid0(SALU_CYCLE_1)
	s_and_not1_b32 s0, s7, exec_lo
	s_and_b32 s7, s10, exec_lo
	s_and_not1_b32 s6, s6, exec_lo
	s_and_b32 s1, s1, exec_lo
	s_or_b32 s7, s0, s7
	s_or_b32 s6, s6, s1
.LBB295_16:
	s_or_b32 exec_lo, exec_lo, s8
	s_delay_alu instid0(SALU_CYCLE_1)
	s_and_b32 s7, s7, exec_lo
	s_and_b32 s1, s6, exec_lo
                                        ; implicit-def: $vgpr2
                                        ; implicit-def: $vgpr0_vgpr1
.LBB295_17:
	s_and_not1_saveexec_b32 s5, s5
	s_cbranch_execz .LBB295_21
; %bb.18:
	s_mov_b32 s9, -1
	s_mov_b32 s6, s1
	s_mov_b32 s8, exec_lo
	v_cmpx_eq_u16_e32 29, v2
	s_cbranch_execz .LBB295_20
; %bb.19:
	s_mov_b32 s0, 0
	v_cndmask_b32_e64 v2, 0, 1, vcc_lo
	v_mov_b32_e32 v3, s0
	s_xor_b32 s9, exec_lo, -1
	s_or_b32 s6, s1, exec_lo
	flat_store_b64 v[0:1], v[2:3]
.LBB295_20:
	s_wait_xcnt 0x0
	s_or_b32 exec_lo, exec_lo, s8
	s_delay_alu instid0(SALU_CYCLE_1)
	s_and_not1_b32 s0, s7, exec_lo
	s_and_b32 s7, s9, exec_lo
	s_and_not1_b32 s1, s1, exec_lo
	s_and_b32 s6, s6, exec_lo
	s_or_b32 s7, s0, s7
	s_or_b32 s1, s1, s6
.LBB295_21:
	s_or_b32 exec_lo, exec_lo, s5
	s_delay_alu instid0(SALU_CYCLE_1)
	s_and_b32 s5, s7, exec_lo
	s_and_b32 s1, s1, exec_lo
                                        ; implicit-def: $vgpr0_vgpr1
                                        ; implicit-def: $vgpr2
.LBB295_22:
	s_and_not1_saveexec_b32 s3, s3
	s_cbranch_execz .LBB295_38
; %bb.23:
	s_mov_b32 s6, exec_lo
	v_cmpx_lt_i16_e32 26, v2
	s_xor_b32 s6, exec_lo, s6
	s_cbranch_execz .LBB295_29
; %bb.24:
	v_cmp_lt_i16_e64 s0, 27, v2
	s_and_saveexec_b32 s7, s0
	s_delay_alu instid0(SALU_CYCLE_1)
	s_xor_b32 s0, exec_lo, s7
	s_cbranch_execz .LBB295_26
; %bb.25:
	v_cndmask_b32_e64 v2, 0, 1, vcc_lo
	flat_store_b32 v[0:1], v2
                                        ; implicit-def: $vgpr0_vgpr1
.LBB295_26:
	s_wait_xcnt 0x0
	s_and_not1_saveexec_b32 s0, s0
	s_cbranch_execz .LBB295_28
; %bb.27:
	v_cndmask_b32_e64 v2, 0, 1, vcc_lo
	flat_store_b16 v[0:1], v2
.LBB295_28:
	s_wait_xcnt 0x0
	s_or_b32 exec_lo, exec_lo, s0
                                        ; implicit-def: $vgpr0_vgpr1
.LBB295_29:
	s_and_not1_saveexec_b32 s6, s6
	s_cbranch_execz .LBB295_37
; %bb.30:
	v_cndmask_b32_e64 v3, 0, 1.0, vcc_lo
	v_mov_b32_e32 v4, 0x80
	s_mov_b32 s7, exec_lo
	s_delay_alu instid0(VALU_DEP_2)
	v_cmpx_gt_u32_e32 0x43800000, v3
	s_cbranch_execz .LBB295_36
; %bb.31:
	v_cmp_lt_u32_e64 s0, 0x3bffffff, v3
	s_mov_b32 s8, 0
                                        ; implicit-def: $vgpr2
	s_and_saveexec_b32 s9, s0
	s_delay_alu instid0(SALU_CYCLE_1)
	s_xor_b32 s0, exec_lo, s9
	s_cbranch_execz .LBB295_2309
; %bb.32:
	v_bfe_u32 v2, v3, 20, 1
	s_mov_b32 s8, exec_lo
	s_delay_alu instid0(VALU_DEP_1) | instskip(NEXT) | instid1(VALU_DEP_1)
	v_add3_u32 v2, v3, v2, 0x487ffff
                                        ; implicit-def: $vgpr3
	v_lshrrev_b32_e32 v2, 20, v2
	s_and_not1_saveexec_b32 s9, s0
	s_cbranch_execnz .LBB295_2310
.LBB295_33:
	s_or_b32 exec_lo, exec_lo, s9
	v_mov_b32_e32 v4, 0
	s_and_saveexec_b32 s0, s8
.LBB295_34:
	v_mov_b32_e32 v4, v2
.LBB295_35:
	s_or_b32 exec_lo, exec_lo, s0
.LBB295_36:
	s_delay_alu instid0(SALU_CYCLE_1)
	s_or_b32 exec_lo, exec_lo, s7
	flat_store_b8 v[0:1], v4
.LBB295_37:
	s_wait_xcnt 0x0
	s_or_b32 exec_lo, exec_lo, s6
	s_delay_alu instid0(SALU_CYCLE_1)
	s_or_b32 s1, s1, exec_lo
.LBB295_38:
	s_or_b32 exec_lo, exec_lo, s3
	s_delay_alu instid0(SALU_CYCLE_1)
	s_and_b32 s3, s5, exec_lo
	s_and_b32 s1, s1, exec_lo
                                        ; implicit-def: $vgpr2
                                        ; implicit-def: $vgpr0_vgpr1
.LBB295_39:
	s_and_not1_saveexec_b32 s4, s4
	s_cbranch_execz .LBB295_83
; %bb.40:
	s_mov_b32 s6, s1
	s_mov_b32 s5, exec_lo
	v_cmpx_lt_i16_e32 22, v2
	s_xor_b32 s5, exec_lo, s5
	s_cbranch_execz .LBB295_72
; %bb.41:
	s_mov_b32 s6, exec_lo
	v_cmpx_lt_i16_e32 23, v2
	s_xor_b32 s6, exec_lo, s6
	s_cbranch_execz .LBB295_61
; %bb.42:
	;; [unrolled: 5-line block ×3, first 2 shown]
	v_cndmask_b32_e64 v3, 0, 1.0, vcc_lo
	v_mov_b32_e32 v4, 0x80
	s_mov_b32 s8, exec_lo
	s_delay_alu instid0(VALU_DEP_2)
	v_cmpx_gt_u32_e32 0x47800000, v3
	s_cbranch_execz .LBB295_49
; %bb.44:
	v_cmp_lt_u32_e64 s0, 0x37ffffff, v3
	s_mov_b32 s9, 0
                                        ; implicit-def: $vgpr2
	s_and_saveexec_b32 s10, s0
	s_delay_alu instid0(SALU_CYCLE_1)
	s_xor_b32 s0, exec_lo, s10
	s_cbranch_execz .LBB295_2402
; %bb.45:
	v_bfe_u32 v2, v3, 21, 1
	s_mov_b32 s9, exec_lo
	s_delay_alu instid0(VALU_DEP_1) | instskip(NEXT) | instid1(VALU_DEP_1)
	v_add3_u32 v2, v3, v2, 0x88fffff
                                        ; implicit-def: $vgpr3
	v_lshrrev_b32_e32 v2, 21, v2
	s_and_not1_saveexec_b32 s10, s0
	s_cbranch_execnz .LBB295_2403
.LBB295_46:
	s_or_b32 exec_lo, exec_lo, s10
	v_mov_b32_e32 v4, 0
	s_and_saveexec_b32 s0, s9
.LBB295_47:
	v_mov_b32_e32 v4, v2
.LBB295_48:
	s_or_b32 exec_lo, exec_lo, s0
.LBB295_49:
	s_delay_alu instid0(SALU_CYCLE_1)
	s_or_b32 exec_lo, exec_lo, s8
	flat_store_b8 v[0:1], v4
                                        ; implicit-def: $vgpr0_vgpr1
.LBB295_50:
	s_wait_xcnt 0x0
	s_and_not1_saveexec_b32 s7, s7
	s_cbranch_execz .LBB295_60
; %bb.51:
	v_cndmask_b32_e64 v3, 0, 1.0, vcc_lo
	s_mov_b32 s8, exec_lo
                                        ; implicit-def: $vgpr2
	s_delay_alu instid0(VALU_DEP_1)
	v_cmpx_gt_u32_e32 0x43f00000, v3
	s_xor_b32 s8, exec_lo, s8
	s_cbranch_execz .LBB295_57
; %bb.52:
	s_mov_b32 s9, exec_lo
                                        ; implicit-def: $vgpr2
	v_cmpx_lt_u32_e32 0x3c7fffff, v3
	s_xor_b32 s9, exec_lo, s9
; %bb.53:
	v_bfe_u32 v2, v3, 20, 1
	s_delay_alu instid0(VALU_DEP_1) | instskip(NEXT) | instid1(VALU_DEP_1)
	v_add3_u32 v2, v3, v2, 0x407ffff
	v_and_b32_e32 v3, 0xff00000, v2
	v_lshrrev_b32_e32 v2, 20, v2
	s_delay_alu instid0(VALU_DEP_2) | instskip(NEXT) | instid1(VALU_DEP_1)
	v_cmp_ne_u32_e64 s0, 0x7f00000, v3
                                        ; implicit-def: $vgpr3
	v_cndmask_b32_e64 v2, 0x7e, v2, s0
; %bb.54:
	s_and_not1_saveexec_b32 s0, s9
; %bb.55:
	v_add_f32_e32 v2, 0x46800000, v3
; %bb.56:
	s_or_b32 exec_lo, exec_lo, s0
                                        ; implicit-def: $vgpr3
.LBB295_57:
	s_and_not1_saveexec_b32 s8, s8
; %bb.58:
	v_mov_b32_e32 v2, 0x7f
	v_cmp_lt_u32_e64 s0, 0x7f800000, v3
	s_delay_alu instid0(VALU_DEP_1)
	v_cndmask_b32_e64 v2, 0x7e, v2, s0
; %bb.59:
	s_or_b32 exec_lo, exec_lo, s8
	flat_store_b8 v[0:1], v2
.LBB295_60:
	s_wait_xcnt 0x0
	s_or_b32 exec_lo, exec_lo, s7
                                        ; implicit-def: $vgpr0_vgpr1
.LBB295_61:
	s_and_not1_saveexec_b32 s6, s6
	s_cbranch_execz .LBB295_71
; %bb.62:
	v_cndmask_b32_e64 v3, 0, 1.0, vcc_lo
	s_mov_b32 s7, exec_lo
                                        ; implicit-def: $vgpr2
	s_delay_alu instid0(VALU_DEP_1)
	v_cmpx_gt_u32_e32 0x47800000, v3
	s_xor_b32 s7, exec_lo, s7
	s_cbranch_execz .LBB295_68
; %bb.63:
	v_cmp_lt_u32_e64 s0, 0x387fffff, v3
                                        ; implicit-def: $vgpr2
	s_and_saveexec_b32 s8, s0
	s_delay_alu instid0(SALU_CYCLE_1)
	s_xor_b32 s0, exec_lo, s8
; %bb.64:
	v_bfe_u32 v2, v3, 21, 1
	s_delay_alu instid0(VALU_DEP_1) | instskip(NEXT) | instid1(VALU_DEP_1)
	v_add3_u32 v2, v3, v2, 0x80fffff
                                        ; implicit-def: $vgpr3
	v_lshrrev_b32_e32 v2, 21, v2
; %bb.65:
	s_and_not1_saveexec_b32 s0, s0
; %bb.66:
	v_add_f32_e32 v2, 0x43000000, v3
; %bb.67:
	s_or_b32 exec_lo, exec_lo, s0
                                        ; implicit-def: $vgpr3
.LBB295_68:
	s_and_not1_saveexec_b32 s7, s7
; %bb.69:
	v_mov_b32_e32 v2, 0x7f
	v_cmp_lt_u32_e64 s0, 0x7f800000, v3
	s_delay_alu instid0(VALU_DEP_1)
	v_cndmask_b32_e64 v2, 0x7c, v2, s0
; %bb.70:
	s_or_b32 exec_lo, exec_lo, s7
	flat_store_b8 v[0:1], v2
.LBB295_71:
	s_wait_xcnt 0x0
	s_or_b32 exec_lo, exec_lo, s6
	s_delay_alu instid0(SALU_CYCLE_1)
	s_or_b32 s6, s1, exec_lo
                                        ; implicit-def: $vgpr2
                                        ; implicit-def: $vgpr0_vgpr1
.LBB295_72:
	s_or_saveexec_b32 s5, s5
	s_mov_b32 s0, s3
	s_xor_b32 exec_lo, exec_lo, s5
	s_cbranch_execz .LBB295_82
; %bb.73:
	s_mov_b32 s7, s6
	s_mov_b32 s8, s3
	s_mov_b32 s9, exec_lo
	v_cmpx_lt_i16_e32 14, v2
	s_xor_b32 s9, exec_lo, s9
	s_cbranch_execz .LBB295_77
; %bb.74:
	s_mov_b32 s8, -1
	s_mov_b32 s7, s6
	s_mov_b32 s10, exec_lo
	v_cmpx_eq_u16_e32 15, v2
	s_cbranch_execz .LBB295_76
; %bb.75:
	v_cndmask_b32_e64 v2, 0, 1.0, vcc_lo
	s_xor_b32 s8, exec_lo, -1
	s_or_b32 s7, s6, exec_lo
	s_delay_alu instid0(VALU_DEP_1) | instskip(NEXT) | instid1(VALU_DEP_1)
	v_bfe_u32 v3, v2, 16, 1
	v_add3_u32 v2, v2, v3, 0x7fff
	flat_store_d16_hi_b16 v[0:1], v2
.LBB295_76:
	s_wait_xcnt 0x0
	s_or_b32 exec_lo, exec_lo, s10
	s_delay_alu instid0(SALU_CYCLE_1)
	s_and_not1_b32 s0, s3, exec_lo
	s_and_b32 s8, s8, exec_lo
	s_and_not1_b32 s10, s6, exec_lo
	s_and_b32 s7, s7, exec_lo
	s_or_b32 s8, s0, s8
	s_or_b32 s7, s10, s7
                                        ; implicit-def: $vgpr2
                                        ; implicit-def: $vgpr0_vgpr1
.LBB295_77:
	s_and_not1_saveexec_b32 s9, s9
	s_cbranch_execz .LBB295_81
; %bb.78:
	s_mov_b32 s11, -1
	s_mov_b32 s10, s7
	s_mov_b32 s12, exec_lo
	v_cmpx_eq_u16_e32 11, v2
	s_cbranch_execz .LBB295_80
; %bb.79:
	v_cndmask_b32_e64 v2, 0, 1, vcc_lo
	s_xor_b32 s11, exec_lo, -1
	s_or_b32 s10, s7, exec_lo
	flat_store_b8 v[0:1], v2
.LBB295_80:
	s_wait_xcnt 0x0
	s_or_b32 exec_lo, exec_lo, s12
	s_delay_alu instid0(SALU_CYCLE_1)
	s_and_not1_b32 s0, s8, exec_lo
	s_and_b32 s8, s11, exec_lo
	s_and_not1_b32 s7, s7, exec_lo
	s_and_b32 s10, s10, exec_lo
	s_or_b32 s8, s0, s8
	s_or_b32 s7, s7, s10
.LBB295_81:
	s_or_b32 exec_lo, exec_lo, s9
	s_delay_alu instid0(SALU_CYCLE_1)
	s_and_not1_b32 s0, s3, exec_lo
	s_and_b32 s8, s8, exec_lo
	s_and_not1_b32 s6, s6, exec_lo
	s_and_b32 s7, s7, exec_lo
	s_or_b32 s0, s0, s8
	s_or_b32 s6, s6, s7
.LBB295_82:
	s_or_b32 exec_lo, exec_lo, s5
	s_delay_alu instid0(SALU_CYCLE_1)
	s_and_not1_b32 s3, s3, exec_lo
	s_and_b32 s0, s0, exec_lo
	s_and_not1_b32 s1, s1, exec_lo
	s_and_b32 s5, s6, exec_lo
	s_or_b32 s3, s3, s0
	s_or_b32 s1, s1, s5
.LBB295_83:
	s_or_b32 exec_lo, exec_lo, s4
	s_delay_alu instid0(SALU_CYCLE_1)
	s_and_b32 s3, s3, exec_lo
	s_and_b32 s1, s1, exec_lo
                                        ; implicit-def: $vgpr2
                                        ; implicit-def: $vgpr0_vgpr1
	s_and_not1_saveexec_b32 s2, s2
	s_cbranch_execnz .LBB295_1893
.LBB295_84:
	s_or_b32 exec_lo, exec_lo, s2
	s_mov_b32 s0, 0
	s_and_saveexec_b32 s2, s1
.LBB295_85:
	v_add_nc_u32_e32 v16, 0x80, v16
	s_mov_b32 s0, exec_lo
.LBB295_86:
	s_or_b32 exec_lo, exec_lo, s2
	s_delay_alu instid0(SALU_CYCLE_1)
	s_and_b32 s15, s3, exec_lo
	s_or_not1_b32 s0, s0, exec_lo
.LBB295_87:
	s_or_b32 exec_lo, exec_lo, s19
	s_mov_b32 s2, 0
                                        ; implicit-def: $sgpr1
                                        ; implicit-def: $vgpr2
                                        ; implicit-def: $vgpr0_vgpr1
	s_and_saveexec_b32 s19, s0
	s_cbranch_execz .LBB295_349
; %bb.88:
	s_mov_b32 s3, -1
	s_mov_b32 s20, s15
	s_mov_b32 s21, exec_lo
	v_cmpx_gt_i32_e64 s18, v16
	s_cbranch_execz .LBB295_174
; %bb.89:
	s_wait_loadcnt 0x1
	v_dual_mov_b32 v0, v17 :: v_dual_mov_b32 v1, v24
	v_dual_mov_b32 v2, v25 :: v_dual_mov_b32 v3, v22
	;; [unrolled: 1-line block ×4, first 2 shown]
	s_get_pc_i64 s[0:1]
	s_add_nc_u64 s[0:1], s[0:1], _ZN2at6native6invokeINS0_13BinaryFunctorIN3c1015Float8_e4m3fnuzES4_bNS0_12_GLOBAL__N_116CompareEqFunctorIS4_EEEEi15function_traitsIS8_EEENT1_11result_typeERKT_PrKPcPKT0_PKNS3_10ScalarTypeEi@rel64+4
	s_delay_alu instid0(SALU_CYCLE_1)
	s_swap_pc_i64 s[30:31], s[0:1]
	v_and_b32_e32 v0, 1, v0
	v_and_b32_e32 v2, 0xff, v27
	s_mov_b32 s1, 0
	s_mov_b32 s3, s15
	s_mov_b32 s2, exec_lo
	v_cmp_eq_u32_e32 vcc_lo, 1, v0
	v_mul_lo_u32 v0, v26, v16
	s_delay_alu instid0(VALU_DEP_1) | instskip(NEXT) | instid1(VALU_DEP_1)
	v_ashrrev_i32_e32 v1, 31, v0
	v_add_nc_u64_e32 v[0:1], v[18:19], v[0:1]
	v_cmpx_lt_i16_e32 10, v2
	s_xor_b32 s2, exec_lo, s2
	s_cbranch_execz .LBB295_1985
; %bb.90:
	s_mov_b32 s3, s15
	s_mov_b32 s4, exec_lo
	v_cmpx_lt_i16_e32 25, v2
	s_xor_b32 s4, exec_lo, s4
	s_cbranch_execz .LBB295_126
; %bb.91:
	s_mov_b32 s5, s15
	s_mov_b32 s3, exec_lo
	;; [unrolled: 6-line block ×3, first 2 shown]
	v_cmpx_lt_i16_e32 43, v2
	s_xor_b32 s5, exec_lo, s5
	s_cbranch_execz .LBB295_104
; %bb.93:
	s_mov_b32 s6, 0
	s_mov_b32 s7, s15
	s_mov_b32 s1, exec_lo
	v_cmpx_lt_i16_e32 45, v2
	s_xor_b32 s1, exec_lo, s1
	s_cbranch_execz .LBB295_97
; %bb.94:
	s_mov_b32 s8, -1
	s_mov_b32 s7, exec_lo
	v_cmpx_eq_u16_e32 46, v2
	s_cbranch_execz .LBB295_96
; %bb.95:
	v_cndmask_b32_e64 v2, 0, 1.0, vcc_lo
	s_mov_b32 s6, exec_lo
	s_xor_b32 s8, exec_lo, -1
	s_delay_alu instid0(VALU_DEP_1) | instskip(NEXT) | instid1(VALU_DEP_1)
	v_bfe_u32 v3, v2, 16, 1
	v_add3_u32 v2, v2, v3, 0x7fff
	s_delay_alu instid0(VALU_DEP_1)
	v_lshrrev_b32_e32 v2, 16, v2
	flat_store_b32 v[0:1], v2
.LBB295_96:
	s_wait_xcnt 0x0
	s_or_b32 exec_lo, exec_lo, s7
	s_delay_alu instid0(SALU_CYCLE_1)
	s_and_not1_b32 s0, s15, exec_lo
	s_and_b32 s7, s8, exec_lo
	s_and_b32 s6, s6, exec_lo
	s_or_b32 s7, s0, s7
                                        ; implicit-def: $vgpr2
                                        ; implicit-def: $vgpr0_vgpr1
.LBB295_97:
	s_and_not1_saveexec_b32 s8, s1
	s_cbranch_execz .LBB295_103
; %bb.98:
	s_mov_b32 s10, -1
	s_mov_b32 s1, s6
	s_mov_b32 s9, exec_lo
	v_cmpx_eq_u16_e32 44, v2
	s_cbranch_execz .LBB295_102
; %bb.99:
	v_cndmask_b32_e64 v4, 0, 1.0, vcc_lo
	s_mov_b32 s10, exec_lo
	s_delay_alu instid0(VALU_DEP_1) | instskip(NEXT) | instid1(VALU_DEP_1)
	v_dual_mov_b32 v3, 0xff :: v_dual_lshrrev_b32 v2, 23, v4
	v_cmpx_ne_u32_e32 0xff, v2
; %bb.100:
	v_and_b32_e32 v3, 0x400000, v4
	v_and_or_b32 v4, 0x3fffff, v4, v2
	s_delay_alu instid0(VALU_DEP_2) | instskip(NEXT) | instid1(VALU_DEP_2)
	v_cmp_ne_u32_e64 s0, 0, v3
	v_cmp_ne_u32_e64 s1, 0, v4
	s_and_b32 s0, s0, s1
	s_delay_alu instid0(SALU_CYCLE_1) | instskip(NEXT) | instid1(VALU_DEP_1)
	v_cndmask_b32_e64 v3, 0, 1, s0
	v_add_nc_u32_e32 v3, v2, v3
; %bb.101:
	s_or_b32 exec_lo, exec_lo, s10
	s_delay_alu instid0(SALU_CYCLE_1)
	s_xor_b32 s10, exec_lo, -1
	s_or_b32 s1, s6, exec_lo
	flat_store_b8 v[0:1], v3
.LBB295_102:
	s_wait_xcnt 0x0
	s_or_b32 exec_lo, exec_lo, s9
	s_delay_alu instid0(SALU_CYCLE_1)
	s_and_not1_b32 s0, s7, exec_lo
	s_and_b32 s7, s10, exec_lo
	s_and_not1_b32 s6, s6, exec_lo
	s_and_b32 s1, s1, exec_lo
	s_or_b32 s7, s0, s7
	s_or_b32 s6, s6, s1
.LBB295_103:
	s_or_b32 exec_lo, exec_lo, s8
	s_delay_alu instid0(SALU_CYCLE_1) | instskip(SKIP_1) | instid1(SALU_CYCLE_1)
	s_and_not1_b32 s0, s15, exec_lo
	s_and_b32 s1, s7, exec_lo
                                        ; implicit-def: $vgpr2
                                        ; implicit-def: $vgpr0_vgpr1
	s_or_b32 s7, s0, s1
	s_and_b32 s1, s6, exec_lo
.LBB295_104:
	s_and_not1_saveexec_b32 s5, s5
	s_cbranch_execz .LBB295_108
; %bb.105:
	s_mov_b32 s9, -1
	s_mov_b32 s6, s1
	s_mov_b32 s8, exec_lo
	v_cmpx_eq_u16_e32 29, v2
	s_cbranch_execz .LBB295_107
; %bb.106:
	s_mov_b32 s0, 0
	v_cndmask_b32_e64 v2, 0, 1, vcc_lo
	v_mov_b32_e32 v3, s0
	s_xor_b32 s9, exec_lo, -1
	s_or_b32 s6, s1, exec_lo
	flat_store_b64 v[0:1], v[2:3]
.LBB295_107:
	s_wait_xcnt 0x0
	s_or_b32 exec_lo, exec_lo, s8
	s_delay_alu instid0(SALU_CYCLE_1)
	s_and_not1_b32 s0, s7, exec_lo
	s_and_b32 s7, s9, exec_lo
	s_and_not1_b32 s1, s1, exec_lo
	s_and_b32 s6, s6, exec_lo
	s_or_b32 s7, s0, s7
	s_or_b32 s1, s1, s6
.LBB295_108:
	s_or_b32 exec_lo, exec_lo, s5
	s_delay_alu instid0(SALU_CYCLE_1)
	s_and_not1_b32 s0, s15, exec_lo
	s_and_b32 s5, s7, exec_lo
	s_and_b32 s1, s1, exec_lo
	s_or_b32 s5, s0, s5
                                        ; implicit-def: $vgpr0_vgpr1
                                        ; implicit-def: $vgpr2
.LBB295_109:
	s_and_not1_saveexec_b32 s3, s3
	s_cbranch_execz .LBB295_125
; %bb.110:
	s_mov_b32 s6, exec_lo
	v_cmpx_lt_i16_e32 26, v2
	s_xor_b32 s6, exec_lo, s6
	s_cbranch_execz .LBB295_116
; %bb.111:
	v_cmp_lt_i16_e64 s0, 27, v2
	s_and_saveexec_b32 s7, s0
	s_delay_alu instid0(SALU_CYCLE_1)
	s_xor_b32 s0, exec_lo, s7
	s_cbranch_execz .LBB295_113
; %bb.112:
	v_cndmask_b32_e64 v2, 0, 1, vcc_lo
	flat_store_b32 v[0:1], v2
                                        ; implicit-def: $vgpr0_vgpr1
.LBB295_113:
	s_wait_xcnt 0x0
	s_and_not1_saveexec_b32 s0, s0
	s_cbranch_execz .LBB295_115
; %bb.114:
	v_cndmask_b32_e64 v2, 0, 1, vcc_lo
	flat_store_b16 v[0:1], v2
.LBB295_115:
	s_wait_xcnt 0x0
	s_or_b32 exec_lo, exec_lo, s0
                                        ; implicit-def: $vgpr0_vgpr1
.LBB295_116:
	s_and_not1_saveexec_b32 s6, s6
	s_cbranch_execz .LBB295_124
; %bb.117:
	v_cndmask_b32_e64 v3, 0, 1.0, vcc_lo
	v_mov_b32_e32 v4, 0x80
	s_mov_b32 s7, exec_lo
	s_delay_alu instid0(VALU_DEP_2)
	v_cmpx_gt_u32_e32 0x43800000, v3
	s_cbranch_execz .LBB295_123
; %bb.118:
	v_cmp_lt_u32_e64 s0, 0x3bffffff, v3
	s_mov_b32 s8, 0
                                        ; implicit-def: $vgpr2
	s_and_saveexec_b32 s9, s0
	s_delay_alu instid0(SALU_CYCLE_1)
	s_xor_b32 s0, exec_lo, s9
	s_cbranch_execz .LBB295_2404
; %bb.119:
	v_bfe_u32 v2, v3, 20, 1
	s_mov_b32 s8, exec_lo
	s_delay_alu instid0(VALU_DEP_1) | instskip(NEXT) | instid1(VALU_DEP_1)
	v_add3_u32 v2, v3, v2, 0x487ffff
                                        ; implicit-def: $vgpr3
	v_lshrrev_b32_e32 v2, 20, v2
	s_and_not1_saveexec_b32 s9, s0
	s_cbranch_execnz .LBB295_2405
.LBB295_120:
	s_or_b32 exec_lo, exec_lo, s9
	v_mov_b32_e32 v4, 0
	s_and_saveexec_b32 s0, s8
.LBB295_121:
	v_mov_b32_e32 v4, v2
.LBB295_122:
	s_or_b32 exec_lo, exec_lo, s0
.LBB295_123:
	s_delay_alu instid0(SALU_CYCLE_1)
	s_or_b32 exec_lo, exec_lo, s7
	flat_store_b8 v[0:1], v4
.LBB295_124:
	s_wait_xcnt 0x0
	s_or_b32 exec_lo, exec_lo, s6
	s_delay_alu instid0(SALU_CYCLE_1)
	s_or_b32 s1, s1, exec_lo
.LBB295_125:
	s_or_b32 exec_lo, exec_lo, s3
	s_delay_alu instid0(SALU_CYCLE_1)
	s_and_not1_b32 s0, s15, exec_lo
	s_and_b32 s3, s5, exec_lo
	s_and_b32 s1, s1, exec_lo
	s_or_b32 s3, s0, s3
                                        ; implicit-def: $vgpr2
                                        ; implicit-def: $vgpr0_vgpr1
.LBB295_126:
	s_and_not1_saveexec_b32 s4, s4
	s_cbranch_execz .LBB295_170
; %bb.127:
	s_mov_b32 s6, s1
	s_mov_b32 s5, exec_lo
	v_cmpx_lt_i16_e32 22, v2
	s_xor_b32 s5, exec_lo, s5
	s_cbranch_execz .LBB295_159
; %bb.128:
	s_mov_b32 s6, exec_lo
	v_cmpx_lt_i16_e32 23, v2
	s_xor_b32 s6, exec_lo, s6
	s_cbranch_execz .LBB295_148
; %bb.129:
	;; [unrolled: 5-line block ×3, first 2 shown]
	v_cndmask_b32_e64 v3, 0, 1.0, vcc_lo
	v_mov_b32_e32 v4, 0x80
	s_mov_b32 s8, exec_lo
	s_delay_alu instid0(VALU_DEP_2)
	v_cmpx_gt_u32_e32 0x47800000, v3
	s_cbranch_execz .LBB295_136
; %bb.131:
	v_cmp_lt_u32_e64 s0, 0x37ffffff, v3
	s_mov_b32 s9, 0
                                        ; implicit-def: $vgpr2
	s_and_saveexec_b32 s10, s0
	s_delay_alu instid0(SALU_CYCLE_1)
	s_xor_b32 s0, exec_lo, s10
	s_cbranch_execz .LBB295_2501
; %bb.132:
	v_bfe_u32 v2, v3, 21, 1
	s_mov_b32 s9, exec_lo
	s_delay_alu instid0(VALU_DEP_1) | instskip(NEXT) | instid1(VALU_DEP_1)
	v_add3_u32 v2, v3, v2, 0x88fffff
                                        ; implicit-def: $vgpr3
	v_lshrrev_b32_e32 v2, 21, v2
	s_and_not1_saveexec_b32 s10, s0
	s_cbranch_execnz .LBB295_2502
.LBB295_133:
	s_or_b32 exec_lo, exec_lo, s10
	v_mov_b32_e32 v4, 0
	s_and_saveexec_b32 s0, s9
.LBB295_134:
	v_mov_b32_e32 v4, v2
.LBB295_135:
	s_or_b32 exec_lo, exec_lo, s0
.LBB295_136:
	s_delay_alu instid0(SALU_CYCLE_1)
	s_or_b32 exec_lo, exec_lo, s8
	flat_store_b8 v[0:1], v4
                                        ; implicit-def: $vgpr0_vgpr1
.LBB295_137:
	s_wait_xcnt 0x0
	s_and_not1_saveexec_b32 s7, s7
	s_cbranch_execz .LBB295_147
; %bb.138:
	v_cndmask_b32_e64 v3, 0, 1.0, vcc_lo
	s_mov_b32 s8, exec_lo
                                        ; implicit-def: $vgpr2
	s_delay_alu instid0(VALU_DEP_1)
	v_cmpx_gt_u32_e32 0x43f00000, v3
	s_xor_b32 s8, exec_lo, s8
	s_cbranch_execz .LBB295_144
; %bb.139:
	s_mov_b32 s9, exec_lo
                                        ; implicit-def: $vgpr2
	v_cmpx_lt_u32_e32 0x3c7fffff, v3
	s_xor_b32 s9, exec_lo, s9
; %bb.140:
	v_bfe_u32 v2, v3, 20, 1
	s_delay_alu instid0(VALU_DEP_1) | instskip(NEXT) | instid1(VALU_DEP_1)
	v_add3_u32 v2, v3, v2, 0x407ffff
	v_and_b32_e32 v3, 0xff00000, v2
	v_lshrrev_b32_e32 v2, 20, v2
	s_delay_alu instid0(VALU_DEP_2) | instskip(NEXT) | instid1(VALU_DEP_1)
	v_cmp_ne_u32_e64 s0, 0x7f00000, v3
                                        ; implicit-def: $vgpr3
	v_cndmask_b32_e64 v2, 0x7e, v2, s0
; %bb.141:
	s_and_not1_saveexec_b32 s0, s9
; %bb.142:
	v_add_f32_e32 v2, 0x46800000, v3
; %bb.143:
	s_or_b32 exec_lo, exec_lo, s0
                                        ; implicit-def: $vgpr3
.LBB295_144:
	s_and_not1_saveexec_b32 s8, s8
; %bb.145:
	v_mov_b32_e32 v2, 0x7f
	v_cmp_lt_u32_e64 s0, 0x7f800000, v3
	s_delay_alu instid0(VALU_DEP_1)
	v_cndmask_b32_e64 v2, 0x7e, v2, s0
; %bb.146:
	s_or_b32 exec_lo, exec_lo, s8
	flat_store_b8 v[0:1], v2
.LBB295_147:
	s_wait_xcnt 0x0
	s_or_b32 exec_lo, exec_lo, s7
                                        ; implicit-def: $vgpr0_vgpr1
.LBB295_148:
	s_and_not1_saveexec_b32 s6, s6
	s_cbranch_execz .LBB295_158
; %bb.149:
	v_cndmask_b32_e64 v3, 0, 1.0, vcc_lo
	s_mov_b32 s7, exec_lo
                                        ; implicit-def: $vgpr2
	s_delay_alu instid0(VALU_DEP_1)
	v_cmpx_gt_u32_e32 0x47800000, v3
	s_xor_b32 s7, exec_lo, s7
	s_cbranch_execz .LBB295_155
; %bb.150:
	v_cmp_lt_u32_e64 s0, 0x387fffff, v3
                                        ; implicit-def: $vgpr2
	s_and_saveexec_b32 s8, s0
	s_delay_alu instid0(SALU_CYCLE_1)
	s_xor_b32 s0, exec_lo, s8
; %bb.151:
	v_bfe_u32 v2, v3, 21, 1
	s_delay_alu instid0(VALU_DEP_1) | instskip(NEXT) | instid1(VALU_DEP_1)
	v_add3_u32 v2, v3, v2, 0x80fffff
                                        ; implicit-def: $vgpr3
	v_lshrrev_b32_e32 v2, 21, v2
; %bb.152:
	s_and_not1_saveexec_b32 s0, s0
; %bb.153:
	v_add_f32_e32 v2, 0x43000000, v3
; %bb.154:
	s_or_b32 exec_lo, exec_lo, s0
                                        ; implicit-def: $vgpr3
.LBB295_155:
	s_and_not1_saveexec_b32 s7, s7
; %bb.156:
	v_mov_b32_e32 v2, 0x7f
	v_cmp_lt_u32_e64 s0, 0x7f800000, v3
	s_delay_alu instid0(VALU_DEP_1)
	v_cndmask_b32_e64 v2, 0x7c, v2, s0
; %bb.157:
	s_or_b32 exec_lo, exec_lo, s7
	flat_store_b8 v[0:1], v2
.LBB295_158:
	s_wait_xcnt 0x0
	s_or_b32 exec_lo, exec_lo, s6
	s_delay_alu instid0(SALU_CYCLE_1)
	s_or_b32 s6, s1, exec_lo
                                        ; implicit-def: $vgpr2
                                        ; implicit-def: $vgpr0_vgpr1
.LBB295_159:
	s_or_saveexec_b32 s5, s5
	s_mov_b32 s0, s3
	s_xor_b32 exec_lo, exec_lo, s5
	s_cbranch_execz .LBB295_169
; %bb.160:
	s_mov_b32 s7, s6
	s_mov_b32 s8, s3
	s_mov_b32 s9, exec_lo
	v_cmpx_lt_i16_e32 14, v2
	s_xor_b32 s9, exec_lo, s9
	s_cbranch_execz .LBB295_164
; %bb.161:
	s_mov_b32 s8, -1
	s_mov_b32 s7, s6
	s_mov_b32 s10, exec_lo
	v_cmpx_eq_u16_e32 15, v2
	s_cbranch_execz .LBB295_163
; %bb.162:
	v_cndmask_b32_e64 v2, 0, 1.0, vcc_lo
	s_xor_b32 s8, exec_lo, -1
	s_or_b32 s7, s6, exec_lo
	s_delay_alu instid0(VALU_DEP_1) | instskip(NEXT) | instid1(VALU_DEP_1)
	v_bfe_u32 v3, v2, 16, 1
	v_add3_u32 v2, v2, v3, 0x7fff
	flat_store_d16_hi_b16 v[0:1], v2
.LBB295_163:
	s_wait_xcnt 0x0
	s_or_b32 exec_lo, exec_lo, s10
	s_delay_alu instid0(SALU_CYCLE_1)
	s_and_not1_b32 s0, s3, exec_lo
	s_and_b32 s8, s8, exec_lo
	s_and_not1_b32 s10, s6, exec_lo
	s_and_b32 s7, s7, exec_lo
	s_or_b32 s8, s0, s8
	s_or_b32 s7, s10, s7
                                        ; implicit-def: $vgpr2
                                        ; implicit-def: $vgpr0_vgpr1
.LBB295_164:
	s_and_not1_saveexec_b32 s9, s9
	s_cbranch_execz .LBB295_168
; %bb.165:
	s_mov_b32 s11, -1
	s_mov_b32 s10, s7
	s_mov_b32 s12, exec_lo
	v_cmpx_eq_u16_e32 11, v2
	s_cbranch_execz .LBB295_167
; %bb.166:
	v_cndmask_b32_e64 v2, 0, 1, vcc_lo
	s_xor_b32 s11, exec_lo, -1
	s_or_b32 s10, s7, exec_lo
	flat_store_b8 v[0:1], v2
.LBB295_167:
	s_wait_xcnt 0x0
	s_or_b32 exec_lo, exec_lo, s12
	s_delay_alu instid0(SALU_CYCLE_1)
	s_and_not1_b32 s0, s8, exec_lo
	s_and_b32 s8, s11, exec_lo
	s_and_not1_b32 s7, s7, exec_lo
	s_and_b32 s10, s10, exec_lo
	s_or_b32 s8, s0, s8
	s_or_b32 s7, s7, s10
.LBB295_168:
	s_or_b32 exec_lo, exec_lo, s9
	s_delay_alu instid0(SALU_CYCLE_1)
	s_and_not1_b32 s0, s3, exec_lo
	s_and_b32 s8, s8, exec_lo
	s_and_not1_b32 s6, s6, exec_lo
	s_and_b32 s7, s7, exec_lo
	s_or_b32 s0, s0, s8
	s_or_b32 s6, s6, s7
.LBB295_169:
	s_or_b32 exec_lo, exec_lo, s5
	s_delay_alu instid0(SALU_CYCLE_1)
	s_and_not1_b32 s3, s3, exec_lo
	s_and_b32 s0, s0, exec_lo
	s_and_not1_b32 s1, s1, exec_lo
	s_and_b32 s5, s6, exec_lo
	s_or_b32 s3, s3, s0
	s_or_b32 s1, s1, s5
.LBB295_170:
	s_or_b32 exec_lo, exec_lo, s4
	s_delay_alu instid0(SALU_CYCLE_1)
	s_and_not1_b32 s0, s15, exec_lo
	s_and_b32 s3, s3, exec_lo
	s_and_b32 s1, s1, exec_lo
	s_or_b32 s3, s0, s3
                                        ; implicit-def: $vgpr2
                                        ; implicit-def: $vgpr0_vgpr1
	s_and_not1_saveexec_b32 s2, s2
	s_cbranch_execnz .LBB295_1986
.LBB295_171:
	s_or_b32 exec_lo, exec_lo, s2
	s_mov_b32 s0, 0
	s_and_saveexec_b32 s2, s1
.LBB295_172:
	v_add_nc_u32_e32 v16, 0x80, v16
	s_mov_b32 s0, exec_lo
.LBB295_173:
	s_or_b32 exec_lo, exec_lo, s2
	s_delay_alu instid0(SALU_CYCLE_1)
	s_and_not1_b32 s1, s15, exec_lo
	s_and_b32 s2, s3, exec_lo
	s_or_not1_b32 s3, s0, exec_lo
	s_or_b32 s20, s1, s2
.LBB295_174:
	s_or_b32 exec_lo, exec_lo, s21
	s_mov_b32 s0, 0
	s_mov_b32 s2, 0
                                        ; implicit-def: $sgpr1
                                        ; implicit-def: $vgpr2
                                        ; implicit-def: $vgpr0_vgpr1
	s_and_saveexec_b32 s21, s3
	s_cbranch_execz .LBB295_346
; %bb.175:
	s_mov_b32 s3, -1
	s_mov_b32 s23, s20
	s_mov_b32 s22, exec_lo
	v_cmpx_gt_i32_e64 s18, v16
	s_cbranch_execz .LBB295_261
; %bb.176:
	s_wait_loadcnt 0x1
	v_dual_mov_b32 v0, v17 :: v_dual_mov_b32 v1, v24
	v_dual_mov_b32 v2, v25 :: v_dual_mov_b32 v3, v22
	;; [unrolled: 1-line block ×4, first 2 shown]
	s_get_pc_i64 s[0:1]
	s_add_nc_u64 s[0:1], s[0:1], _ZN2at6native6invokeINS0_13BinaryFunctorIN3c1015Float8_e4m3fnuzES4_bNS0_12_GLOBAL__N_116CompareEqFunctorIS4_EEEEi15function_traitsIS8_EEENT1_11result_typeERKT_PrKPcPKT0_PKNS3_10ScalarTypeEi@rel64+4
	s_delay_alu instid0(SALU_CYCLE_1)
	s_swap_pc_i64 s[30:31], s[0:1]
	v_and_b32_e32 v0, 1, v0
	v_and_b32_e32 v2, 0xff, v27
	s_mov_b32 s1, 0
	s_mov_b32 s3, s20
	s_mov_b32 s2, exec_lo
	v_cmp_eq_u32_e32 vcc_lo, 1, v0
	v_mul_lo_u32 v0, v26, v16
	s_delay_alu instid0(VALU_DEP_1) | instskip(NEXT) | instid1(VALU_DEP_1)
	v_ashrrev_i32_e32 v1, 31, v0
	v_add_nc_u64_e32 v[0:1], v[18:19], v[0:1]
	v_cmpx_lt_i16_e32 10, v2
	s_xor_b32 s2, exec_lo, s2
	s_cbranch_execz .LBB295_2078
; %bb.177:
	s_mov_b32 s3, s20
	s_mov_b32 s4, exec_lo
	v_cmpx_lt_i16_e32 25, v2
	s_xor_b32 s4, exec_lo, s4
	s_cbranch_execz .LBB295_213
; %bb.178:
	s_mov_b32 s5, s20
	s_mov_b32 s3, exec_lo
	;; [unrolled: 6-line block ×3, first 2 shown]
	v_cmpx_lt_i16_e32 43, v2
	s_xor_b32 s5, exec_lo, s5
	s_cbranch_execz .LBB295_191
; %bb.180:
	s_mov_b32 s6, 0
	s_mov_b32 s7, s20
	s_mov_b32 s1, exec_lo
	v_cmpx_lt_i16_e32 45, v2
	s_xor_b32 s1, exec_lo, s1
	s_cbranch_execz .LBB295_184
; %bb.181:
	s_mov_b32 s8, -1
	s_mov_b32 s7, exec_lo
	v_cmpx_eq_u16_e32 46, v2
	s_cbranch_execz .LBB295_183
; %bb.182:
	v_cndmask_b32_e64 v2, 0, 1.0, vcc_lo
	s_mov_b32 s6, exec_lo
	s_xor_b32 s8, exec_lo, -1
	s_delay_alu instid0(VALU_DEP_1) | instskip(NEXT) | instid1(VALU_DEP_1)
	v_bfe_u32 v3, v2, 16, 1
	v_add3_u32 v2, v2, v3, 0x7fff
	s_delay_alu instid0(VALU_DEP_1)
	v_lshrrev_b32_e32 v2, 16, v2
	flat_store_b32 v[0:1], v2
.LBB295_183:
	s_wait_xcnt 0x0
	s_or_b32 exec_lo, exec_lo, s7
	s_delay_alu instid0(SALU_CYCLE_1)
	s_and_not1_b32 s0, s20, exec_lo
	s_and_b32 s7, s8, exec_lo
	s_and_b32 s6, s6, exec_lo
	s_or_b32 s7, s0, s7
                                        ; implicit-def: $vgpr2
                                        ; implicit-def: $vgpr0_vgpr1
.LBB295_184:
	s_and_not1_saveexec_b32 s8, s1
	s_cbranch_execz .LBB295_190
; %bb.185:
	s_mov_b32 s10, -1
	s_mov_b32 s1, s6
	s_mov_b32 s9, exec_lo
	v_cmpx_eq_u16_e32 44, v2
	s_cbranch_execz .LBB295_189
; %bb.186:
	v_cndmask_b32_e64 v4, 0, 1.0, vcc_lo
	s_mov_b32 s10, exec_lo
	s_delay_alu instid0(VALU_DEP_1) | instskip(NEXT) | instid1(VALU_DEP_1)
	v_dual_mov_b32 v3, 0xff :: v_dual_lshrrev_b32 v2, 23, v4
	v_cmpx_ne_u32_e32 0xff, v2
; %bb.187:
	v_and_b32_e32 v3, 0x400000, v4
	v_and_or_b32 v4, 0x3fffff, v4, v2
	s_delay_alu instid0(VALU_DEP_2) | instskip(NEXT) | instid1(VALU_DEP_2)
	v_cmp_ne_u32_e64 s0, 0, v3
	v_cmp_ne_u32_e64 s1, 0, v4
	s_and_b32 s0, s0, s1
	s_delay_alu instid0(SALU_CYCLE_1) | instskip(NEXT) | instid1(VALU_DEP_1)
	v_cndmask_b32_e64 v3, 0, 1, s0
	v_add_nc_u32_e32 v3, v2, v3
; %bb.188:
	s_or_b32 exec_lo, exec_lo, s10
	s_delay_alu instid0(SALU_CYCLE_1)
	s_xor_b32 s10, exec_lo, -1
	s_or_b32 s1, s6, exec_lo
	flat_store_b8 v[0:1], v3
.LBB295_189:
	s_wait_xcnt 0x0
	s_or_b32 exec_lo, exec_lo, s9
	s_delay_alu instid0(SALU_CYCLE_1)
	s_and_not1_b32 s0, s7, exec_lo
	s_and_b32 s7, s10, exec_lo
	s_and_not1_b32 s6, s6, exec_lo
	s_and_b32 s1, s1, exec_lo
	s_or_b32 s7, s0, s7
	s_or_b32 s6, s6, s1
.LBB295_190:
	s_or_b32 exec_lo, exec_lo, s8
	s_delay_alu instid0(SALU_CYCLE_1) | instskip(SKIP_1) | instid1(SALU_CYCLE_1)
	s_and_not1_b32 s0, s20, exec_lo
	s_and_b32 s1, s7, exec_lo
                                        ; implicit-def: $vgpr2
                                        ; implicit-def: $vgpr0_vgpr1
	s_or_b32 s7, s0, s1
	s_and_b32 s1, s6, exec_lo
.LBB295_191:
	s_and_not1_saveexec_b32 s5, s5
	s_cbranch_execz .LBB295_195
; %bb.192:
	s_mov_b32 s9, -1
	s_mov_b32 s6, s1
	s_mov_b32 s8, exec_lo
	v_cmpx_eq_u16_e32 29, v2
	s_cbranch_execz .LBB295_194
; %bb.193:
	s_mov_b32 s0, 0
	v_cndmask_b32_e64 v2, 0, 1, vcc_lo
	v_mov_b32_e32 v3, s0
	s_xor_b32 s9, exec_lo, -1
	s_or_b32 s6, s1, exec_lo
	flat_store_b64 v[0:1], v[2:3]
.LBB295_194:
	s_wait_xcnt 0x0
	s_or_b32 exec_lo, exec_lo, s8
	s_delay_alu instid0(SALU_CYCLE_1)
	s_and_not1_b32 s0, s7, exec_lo
	s_and_b32 s7, s9, exec_lo
	s_and_not1_b32 s1, s1, exec_lo
	s_and_b32 s6, s6, exec_lo
	s_or_b32 s7, s0, s7
	s_or_b32 s1, s1, s6
.LBB295_195:
	s_or_b32 exec_lo, exec_lo, s5
	s_delay_alu instid0(SALU_CYCLE_1)
	s_and_not1_b32 s0, s20, exec_lo
	s_and_b32 s5, s7, exec_lo
	s_and_b32 s1, s1, exec_lo
	s_or_b32 s5, s0, s5
                                        ; implicit-def: $vgpr0_vgpr1
                                        ; implicit-def: $vgpr2
.LBB295_196:
	s_and_not1_saveexec_b32 s3, s3
	s_cbranch_execz .LBB295_212
; %bb.197:
	s_mov_b32 s6, exec_lo
	v_cmpx_lt_i16_e32 26, v2
	s_xor_b32 s6, exec_lo, s6
	s_cbranch_execz .LBB295_203
; %bb.198:
	v_cmp_lt_i16_e64 s0, 27, v2
	s_and_saveexec_b32 s7, s0
	s_delay_alu instid0(SALU_CYCLE_1)
	s_xor_b32 s0, exec_lo, s7
	s_cbranch_execz .LBB295_200
; %bb.199:
	v_cndmask_b32_e64 v2, 0, 1, vcc_lo
	flat_store_b32 v[0:1], v2
                                        ; implicit-def: $vgpr0_vgpr1
.LBB295_200:
	s_wait_xcnt 0x0
	s_and_not1_saveexec_b32 s0, s0
	s_cbranch_execz .LBB295_202
; %bb.201:
	v_cndmask_b32_e64 v2, 0, 1, vcc_lo
	flat_store_b16 v[0:1], v2
.LBB295_202:
	s_wait_xcnt 0x0
	s_or_b32 exec_lo, exec_lo, s0
                                        ; implicit-def: $vgpr0_vgpr1
.LBB295_203:
	s_and_not1_saveexec_b32 s6, s6
	s_cbranch_execz .LBB295_211
; %bb.204:
	v_cndmask_b32_e64 v3, 0, 1.0, vcc_lo
	v_mov_b32_e32 v4, 0x80
	s_mov_b32 s7, exec_lo
	s_delay_alu instid0(VALU_DEP_2)
	v_cmpx_gt_u32_e32 0x43800000, v3
	s_cbranch_execz .LBB295_210
; %bb.205:
	v_cmp_lt_u32_e64 s0, 0x3bffffff, v3
	s_mov_b32 s8, 0
                                        ; implicit-def: $vgpr2
	s_and_saveexec_b32 s9, s0
	s_delay_alu instid0(SALU_CYCLE_1)
	s_xor_b32 s0, exec_lo, s9
	s_cbranch_execz .LBB295_2503
; %bb.206:
	v_bfe_u32 v2, v3, 20, 1
	s_mov_b32 s8, exec_lo
	s_delay_alu instid0(VALU_DEP_1) | instskip(NEXT) | instid1(VALU_DEP_1)
	v_add3_u32 v2, v3, v2, 0x487ffff
                                        ; implicit-def: $vgpr3
	v_lshrrev_b32_e32 v2, 20, v2
	s_and_not1_saveexec_b32 s9, s0
	s_cbranch_execnz .LBB295_2504
.LBB295_207:
	s_or_b32 exec_lo, exec_lo, s9
	v_mov_b32_e32 v4, 0
	s_and_saveexec_b32 s0, s8
.LBB295_208:
	v_mov_b32_e32 v4, v2
.LBB295_209:
	s_or_b32 exec_lo, exec_lo, s0
.LBB295_210:
	s_delay_alu instid0(SALU_CYCLE_1)
	s_or_b32 exec_lo, exec_lo, s7
	flat_store_b8 v[0:1], v4
.LBB295_211:
	s_wait_xcnt 0x0
	s_or_b32 exec_lo, exec_lo, s6
	s_delay_alu instid0(SALU_CYCLE_1)
	s_or_b32 s1, s1, exec_lo
.LBB295_212:
	s_or_b32 exec_lo, exec_lo, s3
	s_delay_alu instid0(SALU_CYCLE_1)
	s_and_not1_b32 s0, s20, exec_lo
	s_and_b32 s3, s5, exec_lo
	s_and_b32 s1, s1, exec_lo
	s_or_b32 s3, s0, s3
                                        ; implicit-def: $vgpr2
                                        ; implicit-def: $vgpr0_vgpr1
.LBB295_213:
	s_and_not1_saveexec_b32 s4, s4
	s_cbranch_execz .LBB295_257
; %bb.214:
	s_mov_b32 s6, s1
	s_mov_b32 s5, exec_lo
	v_cmpx_lt_i16_e32 22, v2
	s_xor_b32 s5, exec_lo, s5
	s_cbranch_execz .LBB295_246
; %bb.215:
	s_mov_b32 s6, exec_lo
	v_cmpx_lt_i16_e32 23, v2
	s_xor_b32 s6, exec_lo, s6
	s_cbranch_execz .LBB295_235
; %bb.216:
	;; [unrolled: 5-line block ×3, first 2 shown]
	v_cndmask_b32_e64 v3, 0, 1.0, vcc_lo
	v_mov_b32_e32 v4, 0x80
	s_mov_b32 s8, exec_lo
	s_delay_alu instid0(VALU_DEP_2)
	v_cmpx_gt_u32_e32 0x47800000, v3
	s_cbranch_execz .LBB295_223
; %bb.218:
	v_cmp_lt_u32_e64 s0, 0x37ffffff, v3
	s_mov_b32 s9, 0
                                        ; implicit-def: $vgpr2
	s_and_saveexec_b32 s10, s0
	s_delay_alu instid0(SALU_CYCLE_1)
	s_xor_b32 s0, exec_lo, s10
	s_cbranch_execz .LBB295_2592
; %bb.219:
	v_bfe_u32 v2, v3, 21, 1
	s_mov_b32 s9, exec_lo
	s_delay_alu instid0(VALU_DEP_1) | instskip(NEXT) | instid1(VALU_DEP_1)
	v_add3_u32 v2, v3, v2, 0x88fffff
                                        ; implicit-def: $vgpr3
	v_lshrrev_b32_e32 v2, 21, v2
	s_and_not1_saveexec_b32 s10, s0
	s_cbranch_execnz .LBB295_2593
.LBB295_220:
	s_or_b32 exec_lo, exec_lo, s10
	v_mov_b32_e32 v4, 0
	s_and_saveexec_b32 s0, s9
.LBB295_221:
	v_mov_b32_e32 v4, v2
.LBB295_222:
	s_or_b32 exec_lo, exec_lo, s0
.LBB295_223:
	s_delay_alu instid0(SALU_CYCLE_1)
	s_or_b32 exec_lo, exec_lo, s8
	flat_store_b8 v[0:1], v4
                                        ; implicit-def: $vgpr0_vgpr1
.LBB295_224:
	s_wait_xcnt 0x0
	s_and_not1_saveexec_b32 s7, s7
	s_cbranch_execz .LBB295_234
; %bb.225:
	v_cndmask_b32_e64 v3, 0, 1.0, vcc_lo
	s_mov_b32 s8, exec_lo
                                        ; implicit-def: $vgpr2
	s_delay_alu instid0(VALU_DEP_1)
	v_cmpx_gt_u32_e32 0x43f00000, v3
	s_xor_b32 s8, exec_lo, s8
	s_cbranch_execz .LBB295_231
; %bb.226:
	s_mov_b32 s9, exec_lo
                                        ; implicit-def: $vgpr2
	v_cmpx_lt_u32_e32 0x3c7fffff, v3
	s_xor_b32 s9, exec_lo, s9
; %bb.227:
	v_bfe_u32 v2, v3, 20, 1
	s_delay_alu instid0(VALU_DEP_1) | instskip(NEXT) | instid1(VALU_DEP_1)
	v_add3_u32 v2, v3, v2, 0x407ffff
	v_and_b32_e32 v3, 0xff00000, v2
	v_lshrrev_b32_e32 v2, 20, v2
	s_delay_alu instid0(VALU_DEP_2) | instskip(NEXT) | instid1(VALU_DEP_1)
	v_cmp_ne_u32_e64 s0, 0x7f00000, v3
                                        ; implicit-def: $vgpr3
	v_cndmask_b32_e64 v2, 0x7e, v2, s0
; %bb.228:
	s_and_not1_saveexec_b32 s0, s9
; %bb.229:
	v_add_f32_e32 v2, 0x46800000, v3
; %bb.230:
	s_or_b32 exec_lo, exec_lo, s0
                                        ; implicit-def: $vgpr3
.LBB295_231:
	s_and_not1_saveexec_b32 s8, s8
; %bb.232:
	v_mov_b32_e32 v2, 0x7f
	v_cmp_lt_u32_e64 s0, 0x7f800000, v3
	s_delay_alu instid0(VALU_DEP_1)
	v_cndmask_b32_e64 v2, 0x7e, v2, s0
; %bb.233:
	s_or_b32 exec_lo, exec_lo, s8
	flat_store_b8 v[0:1], v2
.LBB295_234:
	s_wait_xcnt 0x0
	s_or_b32 exec_lo, exec_lo, s7
                                        ; implicit-def: $vgpr0_vgpr1
.LBB295_235:
	s_and_not1_saveexec_b32 s6, s6
	s_cbranch_execz .LBB295_245
; %bb.236:
	v_cndmask_b32_e64 v3, 0, 1.0, vcc_lo
	s_mov_b32 s7, exec_lo
                                        ; implicit-def: $vgpr2
	s_delay_alu instid0(VALU_DEP_1)
	v_cmpx_gt_u32_e32 0x47800000, v3
	s_xor_b32 s7, exec_lo, s7
	s_cbranch_execz .LBB295_242
; %bb.237:
	v_cmp_lt_u32_e64 s0, 0x387fffff, v3
                                        ; implicit-def: $vgpr2
	s_and_saveexec_b32 s8, s0
	s_delay_alu instid0(SALU_CYCLE_1)
	s_xor_b32 s0, exec_lo, s8
; %bb.238:
	v_bfe_u32 v2, v3, 21, 1
	s_delay_alu instid0(VALU_DEP_1) | instskip(NEXT) | instid1(VALU_DEP_1)
	v_add3_u32 v2, v3, v2, 0x80fffff
                                        ; implicit-def: $vgpr3
	v_lshrrev_b32_e32 v2, 21, v2
; %bb.239:
	s_and_not1_saveexec_b32 s0, s0
; %bb.240:
	v_add_f32_e32 v2, 0x43000000, v3
; %bb.241:
	s_or_b32 exec_lo, exec_lo, s0
                                        ; implicit-def: $vgpr3
.LBB295_242:
	s_and_not1_saveexec_b32 s7, s7
; %bb.243:
	v_mov_b32_e32 v2, 0x7f
	v_cmp_lt_u32_e64 s0, 0x7f800000, v3
	s_delay_alu instid0(VALU_DEP_1)
	v_cndmask_b32_e64 v2, 0x7c, v2, s0
; %bb.244:
	s_or_b32 exec_lo, exec_lo, s7
	flat_store_b8 v[0:1], v2
.LBB295_245:
	s_wait_xcnt 0x0
	s_or_b32 exec_lo, exec_lo, s6
	s_delay_alu instid0(SALU_CYCLE_1)
	s_or_b32 s6, s1, exec_lo
                                        ; implicit-def: $vgpr2
                                        ; implicit-def: $vgpr0_vgpr1
.LBB295_246:
	s_or_saveexec_b32 s5, s5
	s_mov_b32 s0, s3
	s_xor_b32 exec_lo, exec_lo, s5
	s_cbranch_execz .LBB295_256
; %bb.247:
	s_mov_b32 s7, s6
	s_mov_b32 s8, s3
	s_mov_b32 s9, exec_lo
	v_cmpx_lt_i16_e32 14, v2
	s_xor_b32 s9, exec_lo, s9
	s_cbranch_execz .LBB295_251
; %bb.248:
	s_mov_b32 s8, -1
	s_mov_b32 s7, s6
	s_mov_b32 s10, exec_lo
	v_cmpx_eq_u16_e32 15, v2
	s_cbranch_execz .LBB295_250
; %bb.249:
	v_cndmask_b32_e64 v2, 0, 1.0, vcc_lo
	s_xor_b32 s8, exec_lo, -1
	s_or_b32 s7, s6, exec_lo
	s_delay_alu instid0(VALU_DEP_1) | instskip(NEXT) | instid1(VALU_DEP_1)
	v_bfe_u32 v3, v2, 16, 1
	v_add3_u32 v2, v2, v3, 0x7fff
	flat_store_d16_hi_b16 v[0:1], v2
.LBB295_250:
	s_wait_xcnt 0x0
	s_or_b32 exec_lo, exec_lo, s10
	s_delay_alu instid0(SALU_CYCLE_1)
	s_and_not1_b32 s0, s3, exec_lo
	s_and_b32 s8, s8, exec_lo
	s_and_not1_b32 s10, s6, exec_lo
	s_and_b32 s7, s7, exec_lo
	s_or_b32 s8, s0, s8
	s_or_b32 s7, s10, s7
                                        ; implicit-def: $vgpr2
                                        ; implicit-def: $vgpr0_vgpr1
.LBB295_251:
	s_and_not1_saveexec_b32 s9, s9
	s_cbranch_execz .LBB295_255
; %bb.252:
	s_mov_b32 s11, -1
	s_mov_b32 s10, s7
	s_mov_b32 s12, exec_lo
	v_cmpx_eq_u16_e32 11, v2
	s_cbranch_execz .LBB295_254
; %bb.253:
	v_cndmask_b32_e64 v2, 0, 1, vcc_lo
	s_xor_b32 s11, exec_lo, -1
	s_or_b32 s10, s7, exec_lo
	flat_store_b8 v[0:1], v2
.LBB295_254:
	s_wait_xcnt 0x0
	s_or_b32 exec_lo, exec_lo, s12
	s_delay_alu instid0(SALU_CYCLE_1)
	s_and_not1_b32 s0, s8, exec_lo
	s_and_b32 s8, s11, exec_lo
	s_and_not1_b32 s7, s7, exec_lo
	s_and_b32 s10, s10, exec_lo
	s_or_b32 s8, s0, s8
	s_or_b32 s7, s7, s10
.LBB295_255:
	s_or_b32 exec_lo, exec_lo, s9
	s_delay_alu instid0(SALU_CYCLE_1)
	s_and_not1_b32 s0, s3, exec_lo
	s_and_b32 s8, s8, exec_lo
	s_and_not1_b32 s6, s6, exec_lo
	s_and_b32 s7, s7, exec_lo
	s_or_b32 s0, s0, s8
	s_or_b32 s6, s6, s7
.LBB295_256:
	s_or_b32 exec_lo, exec_lo, s5
	s_delay_alu instid0(SALU_CYCLE_1)
	s_and_not1_b32 s3, s3, exec_lo
	s_and_b32 s0, s0, exec_lo
	s_and_not1_b32 s1, s1, exec_lo
	s_and_b32 s5, s6, exec_lo
	s_or_b32 s3, s3, s0
	s_or_b32 s1, s1, s5
.LBB295_257:
	s_or_b32 exec_lo, exec_lo, s4
	s_delay_alu instid0(SALU_CYCLE_1)
	s_and_not1_b32 s0, s20, exec_lo
	s_and_b32 s3, s3, exec_lo
	s_and_b32 s1, s1, exec_lo
	s_or_b32 s3, s0, s3
                                        ; implicit-def: $vgpr2
                                        ; implicit-def: $vgpr0_vgpr1
	s_and_not1_saveexec_b32 s2, s2
	s_cbranch_execnz .LBB295_2079
.LBB295_258:
	s_or_b32 exec_lo, exec_lo, s2
	s_mov_b32 s0, 0
	s_and_saveexec_b32 s2, s1
.LBB295_259:
	v_add_nc_u32_e32 v16, 0x80, v16
	s_mov_b32 s0, exec_lo
.LBB295_260:
	s_or_b32 exec_lo, exec_lo, s2
	s_delay_alu instid0(SALU_CYCLE_1)
	s_and_not1_b32 s1, s20, exec_lo
	s_and_b32 s2, s3, exec_lo
	s_or_not1_b32 s3, s0, exec_lo
	s_or_b32 s23, s1, s2
.LBB295_261:
	s_or_b32 exec_lo, exec_lo, s22
	s_mov_b32 s0, 0
	s_mov_b32 s2, 0
                                        ; implicit-def: $sgpr1
                                        ; implicit-def: $vgpr2
                                        ; implicit-def: $vgpr0_vgpr1
	s_and_saveexec_b32 s22, s3
	s_cbranch_execz .LBB295_345
; %bb.262:
	v_cmp_gt_i32_e32 vcc_lo, s18, v16
	s_mov_b32 s3, s23
                                        ; implicit-def: $sgpr1
                                        ; implicit-def: $vgpr2
                                        ; implicit-def: $vgpr0_vgpr1
	s_and_saveexec_b32 s18, vcc_lo
	s_cbranch_execz .LBB295_344
; %bb.263:
	s_wait_loadcnt 0x1
	v_dual_mov_b32 v0, v17 :: v_dual_mov_b32 v1, v24
	v_dual_mov_b32 v2, v25 :: v_dual_mov_b32 v3, v22
	;; [unrolled: 1-line block ×4, first 2 shown]
	s_get_pc_i64 s[0:1]
	s_add_nc_u64 s[0:1], s[0:1], _ZN2at6native6invokeINS0_13BinaryFunctorIN3c1015Float8_e4m3fnuzES4_bNS0_12_GLOBAL__N_116CompareEqFunctorIS4_EEEEi15function_traitsIS8_EEENT1_11result_typeERKT_PrKPcPKT0_PKNS3_10ScalarTypeEi@rel64+4
	s_delay_alu instid0(SALU_CYCLE_1)
	s_swap_pc_i64 s[30:31], s[0:1]
	v_and_b32_e32 v0, 1, v0
	v_and_b32_e32 v2, 0xff, v27
	s_mov_b32 s0, 0
	s_mov_b32 s3, -1
	s_mov_b32 s4, s23
	v_cmp_eq_u32_e64 s1, 1, v0
	v_mul_lo_u32 v0, v26, v16
	s_mov_b32 s2, exec_lo
	s_delay_alu instid0(VALU_DEP_1) | instskip(NEXT) | instid1(VALU_DEP_1)
	v_ashrrev_i32_e32 v1, 31, v0
	v_add_nc_u64_e32 v[0:1], v[18:19], v[0:1]
	v_cmpx_lt_i16_e32 10, v2
	s_cbranch_execz .LBB295_343
; %bb.264:
	s_mov_b32 s0, s23
	s_mov_b32 s3, exec_lo
	v_cmpx_lt_i16_e32 25, v2
	s_xor_b32 s3, exec_lo, s3
	s_cbranch_execz .LBB295_300
; %bb.265:
	s_mov_b32 s0, s23
	s_mov_b32 s4, exec_lo
	v_cmpx_lt_i16_e32 28, v2
	s_xor_b32 s4, exec_lo, s4
	;; [unrolled: 6-line block ×4, first 2 shown]
	s_cbranch_execz .LBB295_271
; %bb.268:
	s_mov_b32 s7, -1
	s_mov_b32 s6, exec_lo
	v_cmpx_eq_u16_e32 46, v2
	s_cbranch_execz .LBB295_270
; %bb.269:
	v_cndmask_b32_e64 v3, 0, 1.0, s1
	s_xor_b32 s7, exec_lo, -1
	s_delay_alu instid0(VALU_DEP_1) | instskip(NEXT) | instid1(VALU_DEP_1)
	v_bfe_u32 v4, v3, 16, 1
	v_add3_u32 v3, v3, v4, 0x7fff
	s_delay_alu instid0(VALU_DEP_1)
	v_lshrrev_b32_e32 v3, 16, v3
	flat_store_b32 v[0:1], v3
.LBB295_270:
	s_wait_xcnt 0x0
	s_or_b32 exec_lo, exec_lo, s6
	s_delay_alu instid0(SALU_CYCLE_1) | instskip(SKIP_1) | instid1(SALU_CYCLE_1)
	s_and_not1_b32 s6, s23, exec_lo
	s_and_b32 s7, s7, exec_lo
	s_or_b32 s6, s6, s7
.LBB295_271:
	s_and_not1_saveexec_b32 s7, s0
	s_cbranch_execz .LBB295_277
; %bb.272:
	s_mov_b32 s0, -1
	s_mov_b32 s8, exec_lo
	v_cmpx_eq_u16_e32 44, v2
	s_cbranch_execz .LBB295_276
; %bb.273:
	v_cndmask_b32_e64 v5, 0, 1.0, s1
	s_mov_b32 s9, exec_lo
	s_delay_alu instid0(VALU_DEP_1) | instskip(NEXT) | instid1(VALU_DEP_1)
	v_dual_mov_b32 v4, 0xff :: v_dual_lshrrev_b32 v3, 23, v5
	v_cmpx_ne_u32_e32 0xff, v3
; %bb.274:
	v_and_b32_e32 v4, 0x400000, v5
	v_and_or_b32 v5, 0x3fffff, v5, v3
	s_delay_alu instid0(VALU_DEP_2) | instskip(NEXT) | instid1(VALU_DEP_2)
	v_cmp_ne_u32_e32 vcc_lo, 0, v4
	v_cmp_ne_u32_e64 s0, 0, v5
	s_and_b32 s0, vcc_lo, s0
	s_delay_alu instid0(SALU_CYCLE_1) | instskip(NEXT) | instid1(VALU_DEP_1)
	v_cndmask_b32_e64 v4, 0, 1, s0
	v_add_nc_u32_e32 v4, v3, v4
; %bb.275:
	s_or_b32 exec_lo, exec_lo, s9
	s_delay_alu instid0(SALU_CYCLE_1)
	s_xor_b32 s0, exec_lo, -1
	flat_store_b8 v[0:1], v4
.LBB295_276:
	s_wait_xcnt 0x0
	s_or_b32 exec_lo, exec_lo, s8
	s_delay_alu instid0(SALU_CYCLE_1) | instskip(SKIP_1) | instid1(SALU_CYCLE_1)
	s_and_not1_b32 s6, s6, exec_lo
	s_and_b32 s0, s0, exec_lo
	s_or_b32 s6, s6, s0
.LBB295_277:
	s_or_b32 exec_lo, exec_lo, s7
	s_delay_alu instid0(SALU_CYCLE_1) | instskip(SKIP_1) | instid1(SALU_CYCLE_1)
	s_and_not1_b32 s0, s23, exec_lo
	s_and_b32 s6, s6, exec_lo
	s_or_b32 s0, s0, s6
.LBB295_278:
	s_and_not1_saveexec_b32 s5, s5
	s_cbranch_execz .LBB295_282
; %bb.279:
	s_mov_b32 s7, -1
	s_mov_b32 s6, exec_lo
	v_cmpx_eq_u16_e32 29, v2
	s_cbranch_execz .LBB295_281
; %bb.280:
	s_mov_b32 s7, 0
	v_cndmask_b32_e64 v4, 0, 1, s1
	v_mov_b32_e32 v5, s7
	s_xor_b32 s7, exec_lo, -1
	flat_store_b64 v[0:1], v[4:5]
.LBB295_281:
	s_wait_xcnt 0x0
	s_or_b32 exec_lo, exec_lo, s6
	s_delay_alu instid0(SALU_CYCLE_1) | instskip(SKIP_1) | instid1(SALU_CYCLE_1)
	s_and_not1_b32 s0, s0, exec_lo
	s_and_b32 s6, s7, exec_lo
	s_or_b32 s0, s0, s6
.LBB295_282:
	s_or_b32 exec_lo, exec_lo, s5
	s_delay_alu instid0(SALU_CYCLE_1) | instskip(SKIP_1) | instid1(SALU_CYCLE_1)
	s_and_not1_b32 s5, s23, exec_lo
	s_and_b32 s0, s0, exec_lo
	s_or_b32 s0, s5, s0
.LBB295_283:
	s_and_not1_saveexec_b32 s4, s4
	s_cbranch_execz .LBB295_299
; %bb.284:
	s_mov_b32 s5, exec_lo
	v_cmpx_lt_i16_e32 26, v2
	s_xor_b32 s5, exec_lo, s5
	s_cbranch_execz .LBB295_290
; %bb.285:
	v_cndmask_b32_e64 v3, 0, 1, s1
	s_mov_b32 s6, exec_lo
	v_cmpx_lt_i16_e32 27, v2
	s_xor_b32 s6, exec_lo, s6
	s_cbranch_execz .LBB295_287
; %bb.286:
	flat_store_b32 v[0:1], v3
                                        ; implicit-def: $vgpr3
.LBB295_287:
	s_wait_xcnt 0x0
	s_and_not1_saveexec_b32 s6, s6
	s_cbranch_execz .LBB295_289
; %bb.288:
	flat_store_b16 v[0:1], v3
.LBB295_289:
	s_wait_xcnt 0x0
	s_or_b32 exec_lo, exec_lo, s6
.LBB295_290:
	s_and_not1_saveexec_b32 s5, s5
	s_cbranch_execz .LBB295_298
; %bb.291:
	v_cndmask_b32_e64 v4, 0, 1.0, s1
	v_mov_b32_e32 v5, 0x80
	s_mov_b32 s6, exec_lo
	s_delay_alu instid0(VALU_DEP_2)
	v_cmpx_gt_u32_e32 0x43800000, v4
	s_cbranch_execz .LBB295_297
; %bb.292:
	s_mov_b32 s7, 0
	s_mov_b32 s8, exec_lo
                                        ; implicit-def: $vgpr3
	v_cmpx_lt_u32_e32 0x3bffffff, v4
	s_xor_b32 s8, exec_lo, s8
	s_cbranch_execz .LBB295_2594
; %bb.293:
	v_bfe_u32 v3, v4, 20, 1
	s_mov_b32 s7, exec_lo
	s_delay_alu instid0(VALU_DEP_1) | instskip(NEXT) | instid1(VALU_DEP_1)
	v_add3_u32 v3, v4, v3, 0x487ffff
                                        ; implicit-def: $vgpr4
	v_lshrrev_b32_e32 v3, 20, v3
	s_and_not1_saveexec_b32 s8, s8
	s_cbranch_execnz .LBB295_2595
.LBB295_294:
	s_or_b32 exec_lo, exec_lo, s8
	v_mov_b32_e32 v5, 0
	s_and_saveexec_b32 s8, s7
.LBB295_295:
	v_mov_b32_e32 v5, v3
.LBB295_296:
	s_or_b32 exec_lo, exec_lo, s8
.LBB295_297:
	s_delay_alu instid0(SALU_CYCLE_1)
	s_or_b32 exec_lo, exec_lo, s6
	flat_store_b8 v[0:1], v5
.LBB295_298:
	s_wait_xcnt 0x0
	s_or_b32 exec_lo, exec_lo, s5
.LBB295_299:
	s_delay_alu instid0(SALU_CYCLE_1) | instskip(NEXT) | instid1(SALU_CYCLE_1)
	s_or_b32 exec_lo, exec_lo, s4
	s_and_not1_b32 s4, s23, exec_lo
	s_and_b32 s0, s0, exec_lo
	s_delay_alu instid0(SALU_CYCLE_1)
	s_or_b32 s0, s4, s0
.LBB295_300:
	s_or_saveexec_b32 s3, s3
	s_mov_b32 s4, 0
	s_xor_b32 exec_lo, exec_lo, s3
	s_cbranch_execz .LBB295_342
; %bb.301:
	s_mov_b32 s4, exec_lo
	v_cmpx_lt_i16_e32 22, v2
	s_xor_b32 s4, exec_lo, s4
	s_cbranch_execz .LBB295_333
; %bb.302:
	s_mov_b32 s5, exec_lo
	v_cmpx_lt_i16_e32 23, v2
	s_xor_b32 s5, exec_lo, s5
	;; [unrolled: 5-line block ×3, first 2 shown]
	s_cbranch_execz .LBB295_311
; %bb.304:
	v_cndmask_b32_e64 v4, 0, 1.0, s1
	v_mov_b32_e32 v5, 0x80
	s_mov_b32 s7, exec_lo
	s_delay_alu instid0(VALU_DEP_2)
	v_cmpx_gt_u32_e32 0x47800000, v4
	s_cbranch_execz .LBB295_310
; %bb.305:
	s_mov_b32 s8, 0
	s_mov_b32 s9, exec_lo
                                        ; implicit-def: $vgpr3
	v_cmpx_lt_u32_e32 0x37ffffff, v4
	s_xor_b32 s9, exec_lo, s9
	s_cbranch_execz .LBB295_2681
; %bb.306:
	v_bfe_u32 v3, v4, 21, 1
	s_mov_b32 s8, exec_lo
	s_delay_alu instid0(VALU_DEP_1) | instskip(NEXT) | instid1(VALU_DEP_1)
	v_add3_u32 v3, v4, v3, 0x88fffff
                                        ; implicit-def: $vgpr4
	v_lshrrev_b32_e32 v3, 21, v3
	s_and_not1_saveexec_b32 s9, s9
	s_cbranch_execnz .LBB295_2682
.LBB295_307:
	s_or_b32 exec_lo, exec_lo, s9
	v_mov_b32_e32 v5, 0
	s_and_saveexec_b32 s9, s8
.LBB295_308:
	v_mov_b32_e32 v5, v3
.LBB295_309:
	s_or_b32 exec_lo, exec_lo, s9
.LBB295_310:
	s_delay_alu instid0(SALU_CYCLE_1)
	s_or_b32 exec_lo, exec_lo, s7
	flat_store_b8 v[0:1], v5
.LBB295_311:
	s_wait_xcnt 0x0
	s_and_not1_saveexec_b32 s6, s6
	s_cbranch_execz .LBB295_321
; %bb.312:
	v_cndmask_b32_e64 v4, 0, 1.0, s1
	s_mov_b32 s7, exec_lo
                                        ; implicit-def: $vgpr3
	s_delay_alu instid0(VALU_DEP_1)
	v_cmpx_gt_u32_e32 0x43f00000, v4
	s_xor_b32 s7, exec_lo, s7
	s_cbranch_execz .LBB295_318
; %bb.313:
	s_mov_b32 s8, exec_lo
                                        ; implicit-def: $vgpr3
	v_cmpx_lt_u32_e32 0x3c7fffff, v4
	s_xor_b32 s8, exec_lo, s8
; %bb.314:
	v_bfe_u32 v3, v4, 20, 1
	s_delay_alu instid0(VALU_DEP_1) | instskip(NEXT) | instid1(VALU_DEP_1)
	v_add3_u32 v3, v4, v3, 0x407ffff
	v_and_b32_e32 v4, 0xff00000, v3
	v_lshrrev_b32_e32 v3, 20, v3
	s_delay_alu instid0(VALU_DEP_2) | instskip(NEXT) | instid1(VALU_DEP_2)
	v_cmp_ne_u32_e32 vcc_lo, 0x7f00000, v4
                                        ; implicit-def: $vgpr4
	v_cndmask_b32_e32 v3, 0x7e, v3, vcc_lo
; %bb.315:
	s_and_not1_saveexec_b32 s8, s8
; %bb.316:
	v_add_f32_e32 v3, 0x46800000, v4
; %bb.317:
	s_or_b32 exec_lo, exec_lo, s8
                                        ; implicit-def: $vgpr4
.LBB295_318:
	s_and_not1_saveexec_b32 s7, s7
; %bb.319:
	v_mov_b32_e32 v3, 0x7f
	v_cmp_lt_u32_e32 vcc_lo, 0x7f800000, v4
	s_delay_alu instid0(VALU_DEP_2)
	v_cndmask_b32_e32 v3, 0x7e, v3, vcc_lo
; %bb.320:
	s_or_b32 exec_lo, exec_lo, s7
	flat_store_b8 v[0:1], v3
.LBB295_321:
	s_wait_xcnt 0x0
	s_or_b32 exec_lo, exec_lo, s6
.LBB295_322:
	s_and_not1_saveexec_b32 s5, s5
	s_cbranch_execz .LBB295_332
; %bb.323:
	v_cndmask_b32_e64 v4, 0, 1.0, s1
	s_mov_b32 s6, exec_lo
                                        ; implicit-def: $vgpr3
	s_delay_alu instid0(VALU_DEP_1)
	v_cmpx_gt_u32_e32 0x47800000, v4
	s_xor_b32 s6, exec_lo, s6
	s_cbranch_execz .LBB295_329
; %bb.324:
	s_mov_b32 s7, exec_lo
                                        ; implicit-def: $vgpr3
	v_cmpx_lt_u32_e32 0x387fffff, v4
	s_xor_b32 s7, exec_lo, s7
; %bb.325:
	v_bfe_u32 v3, v4, 21, 1
	s_delay_alu instid0(VALU_DEP_1) | instskip(NEXT) | instid1(VALU_DEP_1)
	v_add3_u32 v3, v4, v3, 0x80fffff
                                        ; implicit-def: $vgpr4
	v_lshrrev_b32_e32 v3, 21, v3
; %bb.326:
	s_and_not1_saveexec_b32 s7, s7
; %bb.327:
	v_add_f32_e32 v3, 0x43000000, v4
; %bb.328:
	s_or_b32 exec_lo, exec_lo, s7
                                        ; implicit-def: $vgpr4
.LBB295_329:
	s_and_not1_saveexec_b32 s6, s6
; %bb.330:
	v_mov_b32_e32 v3, 0x7f
	v_cmp_lt_u32_e32 vcc_lo, 0x7f800000, v4
	s_delay_alu instid0(VALU_DEP_2)
	v_cndmask_b32_e32 v3, 0x7c, v3, vcc_lo
; %bb.331:
	s_or_b32 exec_lo, exec_lo, s6
	flat_store_b8 v[0:1], v3
.LBB295_332:
	s_wait_xcnt 0x0
	s_or_b32 exec_lo, exec_lo, s5
.LBB295_333:
	s_or_saveexec_b32 s4, s4
	s_mov_b32 s5, 0
	s_mov_b32 s6, s0
	s_xor_b32 exec_lo, exec_lo, s4
	s_cbranch_execz .LBB295_341
; %bb.334:
	s_mov_b32 s5, s0
	s_mov_b32 s6, exec_lo
	v_cmpx_lt_i16_e32 14, v2
	s_xor_b32 s6, exec_lo, s6
	s_cbranch_execz .LBB295_338
; %bb.335:
	s_mov_b32 s7, -1
	s_mov_b32 s5, exec_lo
	v_cmpx_eq_u16_e32 15, v2
	s_cbranch_execz .LBB295_337
; %bb.336:
	v_cndmask_b32_e64 v3, 0, 1.0, s1
	s_xor_b32 s7, exec_lo, -1
	s_delay_alu instid0(VALU_DEP_1) | instskip(NEXT) | instid1(VALU_DEP_1)
	v_bfe_u32 v4, v3, 16, 1
	v_add3_u32 v3, v3, v4, 0x7fff
	flat_store_d16_hi_b16 v[0:1], v3
.LBB295_337:
	s_wait_xcnt 0x0
	s_or_b32 exec_lo, exec_lo, s5
	s_delay_alu instid0(SALU_CYCLE_1) | instskip(SKIP_1) | instid1(SALU_CYCLE_1)
	s_and_not1_b32 s5, s0, exec_lo
	s_and_b32 s7, s7, exec_lo
	s_or_b32 s5, s5, s7
.LBB295_338:
	s_or_saveexec_b32 s6, s6
	s_mov_b32 s7, 0
	s_xor_b32 exec_lo, exec_lo, s6
; %bb.339:
	v_cmp_ne_u16_e32 vcc_lo, 11, v2
	s_and_not1_b32 s5, s5, exec_lo
	s_mov_b32 s7, exec_lo
	s_and_b32 s8, vcc_lo, exec_lo
	s_delay_alu instid0(SALU_CYCLE_1)
	s_or_b32 s5, s5, s8
; %bb.340:
	s_or_b32 exec_lo, exec_lo, s6
	s_delay_alu instid0(SALU_CYCLE_1)
	s_and_not1_b32 s6, s0, exec_lo
	s_and_b32 s8, s5, exec_lo
	s_and_b32 s5, s7, exec_lo
	s_or_b32 s6, s6, s8
.LBB295_341:
	s_or_b32 exec_lo, exec_lo, s4
	s_delay_alu instid0(SALU_CYCLE_1)
	s_and_not1_b32 s0, s0, exec_lo
	s_and_b32 s6, s6, exec_lo
	s_and_b32 s4, s5, exec_lo
	s_or_b32 s0, s0, s6
.LBB295_342:
	s_or_b32 exec_lo, exec_lo, s3
	s_delay_alu instid0(SALU_CYCLE_1)
	s_and_not1_b32 s5, s23, exec_lo
	s_and_b32 s6, s0, exec_lo
	s_xor_b32 s3, exec_lo, -1
	s_and_b32 s0, s4, exec_lo
	s_or_b32 s4, s5, s6
.LBB295_343:
	s_or_b32 exec_lo, exec_lo, s2
	s_delay_alu instid0(SALU_CYCLE_1)
	s_and_b32 s2, s3, exec_lo
	s_and_not1_b32 s3, s23, exec_lo
	s_and_b32 s4, s4, exec_lo
	s_and_b32 s0, s0, exec_lo
	s_or_b32 s3, s3, s4
.LBB295_344:
	s_or_b32 exec_lo, exec_lo, s18
	s_delay_alu instid0(SALU_CYCLE_1)
	s_and_not1_b32 s4, s23, exec_lo
	s_and_b32 s3, s3, exec_lo
	s_and_b32 s2, s2, exec_lo
	;; [unrolled: 1-line block ×3, first 2 shown]
	s_or_b32 s23, s4, s3
.LBB295_345:
	s_or_b32 exec_lo, exec_lo, s22
	s_delay_alu instid0(SALU_CYCLE_1)
	s_and_not1_b32 s3, s20, exec_lo
	s_and_b32 s4, s23, exec_lo
	s_and_b32 s2, s2, exec_lo
	;; [unrolled: 1-line block ×3, first 2 shown]
	s_or_b32 s20, s3, s4
.LBB295_346:
	s_or_b32 exec_lo, exec_lo, s21
	s_delay_alu instid0(SALU_CYCLE_1)
	s_and_not1_b32 s3, s15, exec_lo
	s_and_b32 s4, s20, exec_lo
	s_and_b32 s2, s2, exec_lo
	;; [unrolled: 1-line block ×3, first 2 shown]
	s_or_b32 s15, s3, s4
	s_or_b32 exec_lo, exec_lo, s19
	s_mov_b32 s0, 0
	s_and_saveexec_b32 s3, s15
	s_cbranch_execz .LBB295_350
.LBB295_347:
	s_mov_b32 s0, exec_lo
	s_and_not1_b32 s20, s20, exec_lo
	s_trap 2
	s_or_b32 exec_lo, exec_lo, s3
	s_and_saveexec_b32 s3, s20
	s_delay_alu instid0(SALU_CYCLE_1)
	s_xor_b32 s3, exec_lo, s3
	s_cbranch_execnz .LBB295_351
.LBB295_348:
	s_or_b32 exec_lo, exec_lo, s3
	s_and_saveexec_b32 s3, s2
	s_delay_alu instid0(SALU_CYCLE_1)
	s_xor_b32 s2, exec_lo, s3
	s_cbranch_execnz .LBB295_352
	s_branch .LBB295_393
.LBB295_349:
	s_or_b32 exec_lo, exec_lo, s19
	s_mov_b32 s0, 0
	s_and_saveexec_b32 s3, s15
	s_cbranch_execnz .LBB295_347
.LBB295_350:
	s_or_b32 exec_lo, exec_lo, s3
	s_and_saveexec_b32 s3, s20
	s_delay_alu instid0(SALU_CYCLE_1)
	s_xor_b32 s3, exec_lo, s3
	s_cbranch_execz .LBB295_348
.LBB295_351:
	v_cndmask_b32_e64 v3, 0, 1, s1
	flat_store_b8 v[0:1], v3
	s_wait_xcnt 0x0
	s_or_b32 exec_lo, exec_lo, s3
	s_and_saveexec_b32 s3, s2
	s_delay_alu instid0(SALU_CYCLE_1)
	s_xor_b32 s2, exec_lo, s3
	s_cbranch_execz .LBB295_393
.LBB295_352:
	s_mov_b32 s3, exec_lo
	v_cmpx_lt_i16_e32 4, v2
	s_xor_b32 s3, exec_lo, s3
	s_cbranch_execz .LBB295_374
; %bb.353:
	s_mov_b32 s4, exec_lo
	v_cmpx_lt_i16_e32 7, v2
	s_xor_b32 s4, exec_lo, s4
	s_cbranch_execz .LBB295_363
; %bb.354:
	;; [unrolled: 5-line block ×4, first 2 shown]
	v_cndmask_b32_e64 v3, 0, 1, s1
	v_mov_b32_e32 v6, 0
	s_delay_alu instid0(VALU_DEP_2) | instskip(NEXT) | instid1(VALU_DEP_2)
	v_cvt_f64_u32_e32 v[4:5], v3
	v_mov_b32_e32 v7, v6
	flat_store_b128 v[0:1], v[4:7]
.LBB295_357:
	s_wait_xcnt 0x0
	s_and_not1_saveexec_b32 s6, s6
	s_cbranch_execz .LBB295_359
; %bb.358:
	v_cndmask_b32_e64 v4, 0, 1.0, s1
	v_mov_b32_e32 v5, 0
	flat_store_b64 v[0:1], v[4:5]
.LBB295_359:
	s_wait_xcnt 0x0
	s_or_b32 exec_lo, exec_lo, s6
.LBB295_360:
	s_and_not1_saveexec_b32 s5, s5
	s_cbranch_execz .LBB295_362
; %bb.361:
	v_cndmask_b32_e64 v3, 0, 1.0, s1
	s_delay_alu instid0(VALU_DEP_1) | instskip(NEXT) | instid1(VALU_DEP_1)
	v_cvt_f16_f32_e32 v3, v3
	v_and_b32_e32 v3, 0xffff, v3
	flat_store_b32 v[0:1], v3
.LBB295_362:
	s_wait_xcnt 0x0
	s_or_b32 exec_lo, exec_lo, s5
.LBB295_363:
	s_and_not1_saveexec_b32 s4, s4
	s_cbranch_execz .LBB295_373
; %bb.364:
	s_mov_b32 s5, exec_lo
	v_cmpx_lt_i16_e32 5, v2
	s_xor_b32 s5, exec_lo, s5
	s_cbranch_execz .LBB295_370
; %bb.365:
	s_mov_b32 s6, exec_lo
	v_cmpx_lt_i16_e32 6, v2
	s_xor_b32 s6, exec_lo, s6
	s_cbranch_execz .LBB295_367
; %bb.366:
	v_cndmask_b32_e64 v3, 0, 1, s1
	s_delay_alu instid0(VALU_DEP_1)
	v_cvt_f64_u32_e32 v[4:5], v3
	flat_store_b64 v[0:1], v[4:5]
.LBB295_367:
	s_wait_xcnt 0x0
	s_and_not1_saveexec_b32 s6, s6
	s_cbranch_execz .LBB295_369
; %bb.368:
	v_cndmask_b32_e64 v3, 0, 1.0, s1
	flat_store_b32 v[0:1], v3
.LBB295_369:
	s_wait_xcnt 0x0
	s_or_b32 exec_lo, exec_lo, s6
.LBB295_370:
	s_and_not1_saveexec_b32 s5, s5
	s_cbranch_execz .LBB295_372
; %bb.371:
	v_cndmask_b32_e64 v3, 0, 1.0, s1
	s_delay_alu instid0(VALU_DEP_1)
	v_cvt_f16_f32_e32 v3, v3
	flat_store_b16 v[0:1], v3
.LBB295_372:
	s_wait_xcnt 0x0
	s_or_b32 exec_lo, exec_lo, s5
.LBB295_373:
	s_delay_alu instid0(SALU_CYCLE_1)
	s_or_b32 exec_lo, exec_lo, s4
.LBB295_374:
	s_and_not1_saveexec_b32 s3, s3
	s_cbranch_execz .LBB295_392
; %bb.375:
	s_mov_b32 s4, exec_lo
	v_cmpx_lt_i16_e32 1, v2
	s_xor_b32 s4, exec_lo, s4
	s_cbranch_execz .LBB295_385
; %bb.376:
	s_mov_b32 s5, exec_lo
	v_cmpx_lt_i16_e32 2, v2
	s_xor_b32 s5, exec_lo, s5
	;; [unrolled: 5-line block ×3, first 2 shown]
	s_cbranch_execz .LBB295_379
; %bb.378:
	s_mov_b32 s7, 0
	v_cndmask_b32_e64 v4, 0, 1, s1
	v_mov_b32_e32 v5, s7
	flat_store_b64 v[0:1], v[4:5]
                                        ; implicit-def: $vgpr0_vgpr1
.LBB295_379:
	s_wait_xcnt 0x0
	s_and_not1_saveexec_b32 s6, s6
	s_cbranch_execz .LBB295_381
; %bb.380:
	v_cndmask_b32_e64 v3, 0, 1, s1
	flat_store_b32 v[0:1], v3
.LBB295_381:
	s_wait_xcnt 0x0
	s_or_b32 exec_lo, exec_lo, s6
                                        ; implicit-def: $vgpr0_vgpr1
.LBB295_382:
	s_and_not1_saveexec_b32 s5, s5
	s_cbranch_execz .LBB295_384
; %bb.383:
	v_cndmask_b32_e64 v3, 0, 1, s1
	flat_store_b16 v[0:1], v3
.LBB295_384:
	s_wait_xcnt 0x0
	s_or_b32 exec_lo, exec_lo, s5
                                        ; implicit-def: $vgpr0_vgpr1
.LBB295_385:
	s_and_not1_saveexec_b32 s4, s4
	s_cbranch_execz .LBB295_391
; %bb.386:
	v_cmp_lt_i16_e32 vcc_lo, 0, v2
	v_cndmask_b32_e64 v2, 0, 1, s1
	s_and_saveexec_b32 s1, vcc_lo
	s_delay_alu instid0(SALU_CYCLE_1)
	s_xor_b32 s1, exec_lo, s1
	s_cbranch_execz .LBB295_388
; %bb.387:
	flat_store_b8 v[0:1], v2
                                        ; implicit-def: $vgpr0_vgpr1
                                        ; implicit-def: $vgpr2
.LBB295_388:
	s_wait_xcnt 0x0
	s_and_not1_saveexec_b32 s1, s1
	s_cbranch_execz .LBB295_390
; %bb.389:
	flat_store_b8 v[0:1], v2
.LBB295_390:
	s_wait_xcnt 0x0
	s_or_b32 exec_lo, exec_lo, s1
.LBB295_391:
	s_delay_alu instid0(SALU_CYCLE_1)
	s_or_b32 exec_lo, exec_lo, s4
.LBB295_392:
	s_delay_alu instid0(SALU_CYCLE_1)
	s_or_b32 exec_lo, exec_lo, s3
.LBB295_393:
	s_delay_alu instid0(SALU_CYCLE_1) | instskip(NEXT) | instid1(SALU_CYCLE_1)
	s_or_b32 exec_lo, exec_lo, s2
	s_and_b32 s15, s0, exec_lo
                                        ; implicit-def: $vgpr16
                                        ; implicit-def: $vgpr0
.LBB295_394:
	s_or_saveexec_b32 s16, s16
	s_mov_b32 s0, 0
                                        ; implicit-def: $sgpr18
                                        ; implicit-def: $vgpr12_vgpr13
                                        ; implicit-def: $vgpr7
	s_xor_b32 exec_lo, exec_lo, s16
	s_cbranch_execz .LBB295_1850
; %bb.395:
	s_wait_loadcnt 0x1
	scratch_load_b32 v17, off, off offset:36
	s_mov_b32 s18, 8
	s_delay_alu instid0(SALU_CYCLE_1)
	v_dual_mov_b32 v0, s18 :: v_dual_lshlrev_b32 v1, 20, v0
	s_mov_b32 s19, 28
	s_mov_b32 s20, 41
	s_get_pc_i64 s[0:1]
	s_add_nc_u64 s[0:1], s[0:1], _ZN2at6native6invokeINS0_13BinaryFunctorIN3c1015Float8_e4m3fnuzES4_bNS0_12_GLOBAL__N_116CompareEqFunctorIS4_EEEEi15function_traitsIS8_EEENT1_11result_typeERKT_PrKPcPKT0_PKNS3_10ScalarTypeEi@rel64+4
	v_add_nc_u64_e32 v[2:3], src_flat_scratch_base_lo, v[0:1]
	v_mov_b32_e32 v0, s19
	s_delay_alu instid0(VALU_DEP_1) | instskip(SKIP_1) | instid1(VALU_DEP_1)
	v_add_nc_u64_e32 v[4:5], src_flat_scratch_base_lo, v[0:1]
	v_mov_b32_e32 v0, s20
	v_add_nc_u64_e32 v[6:7], src_flat_scratch_base_lo, v[0:1]
	v_dual_mov_b32 v1, v2 :: v_dual_mov_b32 v2, v3
	s_delay_alu instid0(VALU_DEP_4) | instskip(NEXT) | instid1(VALU_DEP_3)
	v_dual_mov_b32 v3, v4 :: v_dual_mov_b32 v4, v5
	v_dual_mov_b32 v5, v6 :: v_dual_mov_b32 v6, v7
	s_wait_loadcnt 0x0
	v_dual_mov_b32 v7, v16 :: v_dual_mov_b32 v0, v17
	s_swap_pc_i64 s[30:31], s[0:1]
	s_delay_alu instid0(VALU_DEP_1) | instskip(SKIP_3) | instid1(VALU_DEP_2)
	v_and_b32_e32 v0, 1, v0
	v_add_nc_u32_e32 v8, 0x80, v16
	s_mov_b32 s2, s15
	s_mov_b32 s1, exec_lo
                                        ; implicit-def: $vgpr21
	v_cmp_eq_u32_e32 vcc_lo, 1, v0
	s_clause 0x2
	scratch_load_b32 v19, off, s19
	scratch_load_b64 v[4:5], off, s18
	scratch_load_u8 v18, off, s20
                                        ; kill: killed $sgpr19
                                        ; kill: killed $sgpr20
                                        ; kill: killed $sgpr18
	s_clause 0x1
	scratch_load_b64 v[0:1], off, off
	scratch_load_b32 v14, off, off offset:24
	s_wait_loadcnt 0x4
	v_mul_lo_u32 v6, v19, v8
	s_delay_alu instid0(VALU_DEP_1) | instskip(SKIP_1) | instid1(VALU_DEP_1)
	v_ashrrev_i32_e32 v7, 31, v6
	s_wait_loadcnt 0x3
	v_add_nc_u64_e32 v[2:3], v[4:5], v[6:7]
	s_wait_loadcnt 0x2
	s_wait_xcnt 0x0
	v_cmpx_lt_i16_e32 10, v18
	s_xor_b32 s1, exec_lo, s1
	s_cbranch_execz .LBB295_464
; %bb.396:
	s_mov_b32 s2, 0
	s_mov_b32 s5, 0
	;; [unrolled: 1-line block ×3, first 2 shown]
	s_mov_b32 s4, exec_lo
                                        ; implicit-def: $vgpr21
	v_cmpx_lt_i16_e32 25, v18
	s_xor_b32 s4, exec_lo, s4
	s_cbranch_execz .LBB295_1934
; %bb.397:
	s_mov_b32 s6, 0
	s_mov_b32 s3, exec_lo
                                        ; implicit-def: $vgpr21
	v_cmpx_lt_i16_e32 28, v18
	s_xor_b32 s3, exec_lo, s3
	s_cbranch_execz .LBB295_431
; %bb.398:
	s_mov_b32 s7, 0
	s_mov_b32 s8, 0
	s_mov_b32 s5, exec_lo
                                        ; implicit-def: $vgpr21
	v_cmpx_lt_i16_e32 43, v18
	s_xor_b32 s5, exec_lo, s5
	s_cbranch_execz .LBB295_420
; %bb.399:
	s_mov_b32 s8, exec_lo
                                        ; implicit-def: $vgpr21
	v_cmpx_lt_i16_e32 45, v18
	s_xor_b32 s8, exec_lo, s8
	s_cbranch_execz .LBB295_409
; %bb.400:
	s_mov_b32 s9, -1
	s_mov_b32 s6, exec_lo
                                        ; implicit-def: $vgpr21
	v_cmpx_eq_u16_e32 46, v18
	s_cbranch_execz .LBB295_408
; %bb.401:
	flat_load_b32 v7, v[2:3]
	v_mov_b32_e32 v21, 0x80
	s_mov_b32 s7, exec_lo
	s_wait_loadcnt_dscnt 0x0
	v_lshlrev_b32_e32 v7, 16, v7
	s_delay_alu instid0(VALU_DEP_1) | instskip(SKIP_1) | instid1(VALU_DEP_1)
	v_and_b32_e32 v9, 0x7fffffff, v7
	s_wait_xcnt 0x0
	v_cmpx_gt_u32_e32 0x43800000, v9
	s_cbranch_execz .LBB295_407
; %bb.402:
	v_cmp_lt_u32_e64 s0, 0x3bffffff, v9
	s_mov_b32 s9, 0
                                        ; implicit-def: $vgpr9
	s_and_saveexec_b32 s10, s0
	s_delay_alu instid0(SALU_CYCLE_1)
	s_xor_b32 s0, exec_lo, s10
	s_cbranch_execz .LBB295_2406
; %bb.403:
	v_bfe_u32 v9, v7, 20, 1
	s_mov_b32 s9, exec_lo
	s_delay_alu instid0(VALU_DEP_1) | instskip(NEXT) | instid1(VALU_DEP_1)
	v_add3_u32 v9, v7, v9, 0x487ffff
	v_lshrrev_b32_e32 v9, 20, v9
	s_and_not1_saveexec_b32 s10, s0
	s_cbranch_execnz .LBB295_2407
.LBB295_404:
	s_or_b32 exec_lo, exec_lo, s10
	v_mov_b32_e32 v21, 0
	s_and_saveexec_b32 s0, s9
.LBB295_405:
	v_lshrrev_b32_e32 v7, 24, v7
	s_delay_alu instid0(VALU_DEP_1)
	v_and_or_b32 v21, 0x80, v7, v9
.LBB295_406:
	s_or_b32 exec_lo, exec_lo, s0
.LBB295_407:
	s_delay_alu instid0(SALU_CYCLE_1) | instskip(NEXT) | instid1(SALU_CYCLE_1)
	s_or_b32 exec_lo, exec_lo, s7
	s_mov_b32 s7, exec_lo
	s_xor_b32 s9, exec_lo, -1
.LBB295_408:
	s_or_b32 exec_lo, exec_lo, s6
	s_delay_alu instid0(SALU_CYCLE_1)
	s_and_b32 s7, s7, exec_lo
	s_and_b32 s6, s9, exec_lo
.LBB295_409:
	s_and_not1_saveexec_b32 s8, s8
	s_cbranch_execz .LBB295_419
; %bb.410:
	s_mov_b32 s10, -1
	s_mov_b32 s11, s7
	s_mov_b32 s9, exec_lo
                                        ; implicit-def: $vgpr21
	v_cmpx_eq_u16_e32 44, v18
	s_cbranch_execz .LBB295_418
; %bb.411:
	flat_load_u8 v7, v[2:3]
	v_mov_b32_e32 v21, 0x80
	s_mov_b32 s11, 0
	s_mov_b32 s10, exec_lo
	s_wait_loadcnt_dscnt 0x0
	v_lshlrev_b32_e32 v9, 23, v7
	v_cmp_ne_u32_e64 s0, 0xff, v7
	s_delay_alu instid0(VALU_DEP_1) | instskip(SKIP_1) | instid1(VALU_DEP_1)
	v_cndmask_b32_e64 v9, 0x7f800001, v9, s0
	v_cmp_ne_u32_e64 s0, 0, v7
	v_cndmask_b32_e64 v9, 0x400000, v9, s0
	s_wait_xcnt 0x0
	s_delay_alu instid0(VALU_DEP_1)
	v_cmpx_gt_u32_e32 0x43800000, v9
	s_cbranch_execz .LBB295_417
; %bb.412:
	v_cmp_lt_u32_e64 s0, 0x3bffffff, v9
                                        ; implicit-def: $vgpr7
	s_and_saveexec_b32 s12, s0
	s_delay_alu instid0(SALU_CYCLE_1)
	s_xor_b32 s0, exec_lo, s12
	s_cbranch_execz .LBB295_2408
; %bb.413:
	v_bfe_u32 v7, v9, 20, 1
	s_mov_b32 s11, exec_lo
	s_delay_alu instid0(VALU_DEP_1) | instskip(NEXT) | instid1(VALU_DEP_1)
	v_add3_u32 v7, v9, v7, 0x487ffff
                                        ; implicit-def: $vgpr9
	v_lshrrev_b32_e32 v7, 20, v7
	s_and_not1_saveexec_b32 s12, s0
	s_cbranch_execnz .LBB295_2409
.LBB295_414:
	s_or_b32 exec_lo, exec_lo, s12
	v_mov_b32_e32 v21, 0
	s_and_saveexec_b32 s0, s11
.LBB295_415:
	v_mov_b32_e32 v21, v7
.LBB295_416:
	s_or_b32 exec_lo, exec_lo, s0
.LBB295_417:
	s_delay_alu instid0(SALU_CYCLE_1) | instskip(NEXT) | instid1(SALU_CYCLE_1)
	s_or_b32 exec_lo, exec_lo, s10
	s_or_b32 s11, s7, exec_lo
	s_xor_b32 s10, exec_lo, -1
.LBB295_418:
	s_or_b32 exec_lo, exec_lo, s9
	s_delay_alu instid0(SALU_CYCLE_1)
	s_and_not1_b32 s0, s7, exec_lo
	s_and_b32 s7, s11, exec_lo
	s_and_not1_b32 s6, s6, exec_lo
	s_and_b32 s9, s10, exec_lo
	s_or_b32 s7, s0, s7
	s_or_b32 s6, s6, s9
.LBB295_419:
	s_or_b32 exec_lo, exec_lo, s8
	s_delay_alu instid0(SALU_CYCLE_1)
	s_and_b32 s8, s7, exec_lo
	s_and_b32 s7, s6, exec_lo
.LBB295_420:
	s_and_not1_saveexec_b32 s5, s5
	s_cbranch_execz .LBB295_430
; %bb.421:
	s_mov_b32 s9, -1
	s_mov_b32 s10, s8
	s_mov_b32 s6, exec_lo
                                        ; implicit-def: $vgpr21
	v_cmpx_eq_u16_e32 29, v18
	s_cbranch_execz .LBB295_429
; %bb.422:
	flat_load_b64 v[10:11], v[2:3]
	v_mov_b32_e32 v21, 0x80
	s_mov_b32 s9, exec_lo
	s_wait_loadcnt_dscnt 0x0
	v_clz_i32_u32_e32 v7, v11
	s_delay_alu instid0(VALU_DEP_1) | instskip(NEXT) | instid1(VALU_DEP_1)
	v_min_u32_e32 v7, 32, v7
	v_lshlrev_b64_e32 v[10:11], v7, v[10:11]
	v_sub_nc_u32_e32 v7, 32, v7
	s_delay_alu instid0(VALU_DEP_2) | instskip(NEXT) | instid1(VALU_DEP_1)
	v_min_u32_e32 v9, 1, v10
	v_or_b32_e32 v9, v11, v9
	s_delay_alu instid0(VALU_DEP_1) | instskip(NEXT) | instid1(VALU_DEP_1)
	v_cvt_f32_u32_e32 v9, v9
	v_ldexp_f32 v9, v9, v7
	s_wait_xcnt 0x0
	s_delay_alu instid0(VALU_DEP_1)
	v_cmpx_gt_u32_e32 0x43800000, v9
	s_cbranch_execz .LBB295_428
; %bb.423:
	v_cmp_lt_u32_e64 s0, 0x3bffffff, v9
	s_mov_b32 s10, 0
                                        ; implicit-def: $vgpr7
	s_and_saveexec_b32 s11, s0
	s_delay_alu instid0(SALU_CYCLE_1)
	s_xor_b32 s0, exec_lo, s11
	s_cbranch_execz .LBB295_2311
; %bb.424:
	v_bfe_u32 v7, v9, 20, 1
	s_mov_b32 s10, exec_lo
	s_delay_alu instid0(VALU_DEP_1) | instskip(NEXT) | instid1(VALU_DEP_1)
	v_add3_u32 v7, v9, v7, 0x487ffff
                                        ; implicit-def: $vgpr9
	v_lshrrev_b32_e32 v7, 20, v7
	s_and_not1_saveexec_b32 s11, s0
	s_cbranch_execnz .LBB295_2312
.LBB295_425:
	s_or_b32 exec_lo, exec_lo, s11
	v_mov_b32_e32 v21, 0
	s_and_saveexec_b32 s0, s10
.LBB295_426:
	v_mov_b32_e32 v21, v7
.LBB295_427:
	s_or_b32 exec_lo, exec_lo, s0
.LBB295_428:
	s_delay_alu instid0(SALU_CYCLE_1) | instskip(NEXT) | instid1(SALU_CYCLE_1)
	s_or_b32 exec_lo, exec_lo, s9
	s_or_b32 s10, s8, exec_lo
	s_xor_b32 s9, exec_lo, -1
.LBB295_429:
	s_or_b32 exec_lo, exec_lo, s6
	s_delay_alu instid0(SALU_CYCLE_1)
	s_and_not1_b32 s0, s8, exec_lo
	s_and_b32 s6, s10, exec_lo
	s_and_not1_b32 s7, s7, exec_lo
	s_and_b32 s9, s9, exec_lo
	s_or_b32 s8, s0, s6
	s_or_b32 s7, s7, s9
.LBB295_430:
	s_or_b32 exec_lo, exec_lo, s5
	s_delay_alu instid0(SALU_CYCLE_1)
	s_and_b32 s6, s8, exec_lo
	s_and_b32 s5, s7, exec_lo
.LBB295_431:
	s_and_not1_saveexec_b32 s3, s3
	s_cbranch_execz .LBB295_453
; %bb.432:
	s_mov_b32 s7, exec_lo
                                        ; implicit-def: $vgpr21
	v_cmpx_lt_i16_e32 26, v18
	s_xor_b32 s7, exec_lo, s7
	s_cbranch_execz .LBB295_450
; %bb.433:
	s_mov_b32 s8, exec_lo
                                        ; implicit-def: $vgpr21
	v_cmpx_lt_i16_e32 27, v18
	s_xor_b32 s8, exec_lo, s8
	s_cbranch_execz .LBB295_441
; %bb.434:
	flat_load_b32 v7, v[2:3]
	v_mov_b32_e32 v21, 0x80
	s_mov_b32 s9, exec_lo
	s_wait_loadcnt_dscnt 0x0
	v_cvt_f32_u32_e32 v9, v7
	s_wait_xcnt 0x0
	s_delay_alu instid0(VALU_DEP_1)
	v_cmpx_gt_u32_e32 0x43800000, v9
	s_cbranch_execz .LBB295_440
; %bb.435:
	v_cmp_lt_u32_e64 s0, 0x3bffffff, v9
	s_mov_b32 s10, 0
                                        ; implicit-def: $vgpr7
	s_and_saveexec_b32 s11, s0
	s_delay_alu instid0(SALU_CYCLE_1)
	s_xor_b32 s0, exec_lo, s11
	s_cbranch_execz .LBB295_2313
; %bb.436:
	v_bfe_u32 v7, v9, 20, 1
	s_mov_b32 s10, exec_lo
	s_delay_alu instid0(VALU_DEP_1) | instskip(NEXT) | instid1(VALU_DEP_1)
	v_add3_u32 v7, v9, v7, 0x487ffff
                                        ; implicit-def: $vgpr9
	v_lshrrev_b32_e32 v7, 20, v7
	s_and_not1_saveexec_b32 s11, s0
	s_cbranch_execnz .LBB295_2314
.LBB295_437:
	s_or_b32 exec_lo, exec_lo, s11
	v_mov_b32_e32 v21, 0
	s_and_saveexec_b32 s0, s10
.LBB295_438:
	v_mov_b32_e32 v21, v7
.LBB295_439:
	s_or_b32 exec_lo, exec_lo, s0
.LBB295_440:
	s_delay_alu instid0(SALU_CYCLE_1)
	s_or_b32 exec_lo, exec_lo, s9
.LBB295_441:
	s_and_not1_saveexec_b32 s8, s8
	s_cbranch_execz .LBB295_449
; %bb.442:
	flat_load_u16 v7, v[2:3]
	v_mov_b32_e32 v21, 0x80
	s_mov_b32 s9, exec_lo
	s_wait_loadcnt_dscnt 0x0
	v_cvt_f32_u32_e32 v9, v7
	s_wait_xcnt 0x0
	s_delay_alu instid0(VALU_DEP_1)
	v_cmpx_gt_u32_e32 0x43800000, v9
	s_cbranch_execz .LBB295_448
; %bb.443:
	v_cmp_lt_u32_e64 s0, 0x3bffffff, v9
	s_mov_b32 s10, 0
                                        ; implicit-def: $vgpr7
	s_and_saveexec_b32 s11, s0
	s_delay_alu instid0(SALU_CYCLE_1)
	s_xor_b32 s0, exec_lo, s11
	s_cbranch_execz .LBB295_2315
; %bb.444:
	v_bfe_u32 v7, v9, 20, 1
	s_mov_b32 s10, exec_lo
	s_delay_alu instid0(VALU_DEP_1) | instskip(NEXT) | instid1(VALU_DEP_1)
	v_add3_u32 v7, v9, v7, 0x487ffff
                                        ; implicit-def: $vgpr9
	v_lshrrev_b32_e32 v7, 20, v7
	s_and_not1_saveexec_b32 s11, s0
	s_cbranch_execnz .LBB295_2316
.LBB295_445:
	s_or_b32 exec_lo, exec_lo, s11
	v_mov_b32_e32 v21, 0
	s_and_saveexec_b32 s0, s10
.LBB295_446:
	v_mov_b32_e32 v21, v7
.LBB295_447:
	s_or_b32 exec_lo, exec_lo, s0
.LBB295_448:
	s_delay_alu instid0(SALU_CYCLE_1)
	s_or_b32 exec_lo, exec_lo, s9
.LBB295_449:
	s_delay_alu instid0(SALU_CYCLE_1)
	s_or_b32 exec_lo, exec_lo, s8
.LBB295_450:
	s_and_not1_saveexec_b32 s0, s7
	s_cbranch_execz .LBB295_452
; %bb.451:
	flat_load_u8 v21, v[2:3]
.LBB295_452:
	s_wait_xcnt 0x0
	s_or_b32 exec_lo, exec_lo, s0
	s_delay_alu instid0(SALU_CYCLE_1)
	s_or_b32 s6, s6, exec_lo
.LBB295_453:
	s_or_b32 exec_lo, exec_lo, s3
	s_delay_alu instid0(SALU_CYCLE_1)
	s_and_b32 s3, s6, exec_lo
	s_and_b32 s5, s5, exec_lo
	s_and_not1_saveexec_b32 s4, s4
	s_cbranch_execnz .LBB295_1935
.LBB295_454:
	s_or_b32 exec_lo, exec_lo, s4
	s_mov_b32 s4, s15
	s_and_saveexec_b32 s0, s5
	s_cbranch_execnz .LBB295_1984
.LBB295_455:
	s_or_b32 exec_lo, exec_lo, s0
	s_and_saveexec_b32 s0, s2
	s_delay_alu instid0(SALU_CYCLE_1)
	s_xor_b32 s2, exec_lo, s0
	s_cbranch_execz .LBB295_463
.LBB295_456:
	flat_load_u8 v2, v[2:3]
	s_wait_loadcnt_dscnt 0x101
	v_mov_b32_e32 v21, 0x80
	s_mov_b32 s6, 0
	s_mov_b32 s5, exec_lo
	s_wait_loadcnt_dscnt 0x0
	v_cmp_ne_u16_e64 s0, 0, v2
	s_wait_xcnt 0x0
	s_delay_alu instid0(VALU_DEP_1) | instskip(NEXT) | instid1(VALU_DEP_1)
	v_cndmask_b32_e64 v3, 0, 1.0, s0
	v_cmpx_gt_u32_e32 0x43800000, v3
	s_cbranch_execz .LBB295_462
; %bb.457:
	v_cmp_lt_u32_e64 s0, 0x3bffffff, v3
                                        ; implicit-def: $vgpr2
	s_and_saveexec_b32 s7, s0
	s_delay_alu instid0(SALU_CYCLE_1)
	s_xor_b32 s0, exec_lo, s7
	s_cbranch_execz .LBB295_2120
; %bb.458:
	v_bfe_u32 v2, v3, 20, 1
	s_mov_b32 s6, exec_lo
	s_delay_alu instid0(VALU_DEP_1) | instskip(NEXT) | instid1(VALU_DEP_1)
	v_add3_u32 v2, v3, v2, 0x487ffff
                                        ; implicit-def: $vgpr3
	v_lshrrev_b32_e32 v2, 20, v2
	s_and_not1_saveexec_b32 s7, s0
	s_cbranch_execnz .LBB295_2121
.LBB295_459:
	s_or_b32 exec_lo, exec_lo, s7
	v_mov_b32_e32 v21, 0
	s_and_saveexec_b32 s0, s6
.LBB295_460:
	v_mov_b32_e32 v21, v2
.LBB295_461:
	s_or_b32 exec_lo, exec_lo, s0
.LBB295_462:
	s_delay_alu instid0(SALU_CYCLE_1) | instskip(NEXT) | instid1(SALU_CYCLE_1)
	s_or_b32 exec_lo, exec_lo, s5
	s_or_b32 s3, s3, exec_lo
.LBB295_463:
	s_or_b32 exec_lo, exec_lo, s2
	s_delay_alu instid0(SALU_CYCLE_1)
	s_and_not1_b32 s0, s15, exec_lo
	s_and_b32 s2, s4, exec_lo
	s_and_b32 s17, s3, exec_lo
	s_or_b32 s2, s0, s2
                                        ; implicit-def: $vgpr2_vgpr3
.LBB295_464:
	s_and_not1_saveexec_b32 s1, s1
	s_cbranch_execz .LBB295_572
; %bb.465:
	s_mov_b32 s3, exec_lo
                                        ; implicit-def: $vgpr21
	v_cmpx_lt_i16_e32 4, v18
	s_xor_b32 s3, exec_lo, s3
	s_cbranch_execz .LBB295_523
; %bb.466:
	s_mov_b32 s4, exec_lo
                                        ; implicit-def: $vgpr21
	v_cmpx_lt_i16_e32 7, v18
	s_xor_b32 s4, exec_lo, s4
	;; [unrolled: 6-line block ×4, first 2 shown]
	s_cbranch_execz .LBB295_476
; %bb.469:
	flat_load_b64 v[2:3], v[2:3]
	s_wait_loadcnt_dscnt 0x101
	v_mov_b32_e32 v21, 0x80
	s_mov_b32 s7, exec_lo
	s_wait_loadcnt_dscnt 0x0
	v_cvt_f32_f64_e32 v2, v[2:3]
	s_delay_alu instid0(VALU_DEP_1) | instskip(NEXT) | instid1(VALU_DEP_1)
	v_and_b32_e32 v3, 0x7fffffff, v2
	v_cmpx_gt_u32_e32 0x43800000, v3
	s_cbranch_execz .LBB295_475
; %bb.470:
	v_cmp_lt_u32_e64 s0, 0x3bffffff, v3
	s_mov_b32 s8, 0
                                        ; implicit-def: $vgpr3
	s_and_saveexec_b32 s9, s0
	s_delay_alu instid0(SALU_CYCLE_1)
	s_xor_b32 s0, exec_lo, s9
	s_cbranch_execz .LBB295_2317
; %bb.471:
	v_bfe_u32 v3, v2, 20, 1
	s_mov_b32 s8, exec_lo
	s_delay_alu instid0(VALU_DEP_1) | instskip(NEXT) | instid1(VALU_DEP_1)
	v_add3_u32 v3, v2, v3, 0x487ffff
	v_lshrrev_b32_e32 v3, 20, v3
	s_and_not1_saveexec_b32 s9, s0
	s_cbranch_execnz .LBB295_2318
.LBB295_472:
	s_or_b32 exec_lo, exec_lo, s9
	v_mov_b32_e32 v21, 0
	s_and_saveexec_b32 s0, s8
.LBB295_473:
	v_lshrrev_b32_e32 v2, 24, v2
	s_delay_alu instid0(VALU_DEP_1)
	v_and_or_b32 v21, 0x80, v2, v3
.LBB295_474:
	s_or_b32 exec_lo, exec_lo, s0
.LBB295_475:
	s_delay_alu instid0(SALU_CYCLE_1)
	s_or_b32 exec_lo, exec_lo, s7
                                        ; implicit-def: $vgpr2_vgpr3
.LBB295_476:
	s_and_not1_saveexec_b32 s6, s6
	s_cbranch_execz .LBB295_484
; %bb.477:
	flat_load_b32 v2, v[2:3]
	s_wait_loadcnt_dscnt 0x101
	v_mov_b32_e32 v21, 0x80
	s_mov_b32 s7, exec_lo
	s_wait_loadcnt_dscnt 0x0
	v_and_b32_e32 v3, 0x7fffffff, v2
	s_delay_alu instid0(VALU_DEP_1)
	v_cmpx_gt_u32_e32 0x43800000, v3
	s_cbranch_execz .LBB295_483
; %bb.478:
	v_cmp_lt_u32_e64 s0, 0x3bffffff, v3
	s_mov_b32 s8, 0
                                        ; implicit-def: $vgpr3
	s_and_saveexec_b32 s9, s0
	s_delay_alu instid0(SALU_CYCLE_1)
	s_xor_b32 s0, exec_lo, s9
	s_cbranch_execz .LBB295_2319
; %bb.479:
	v_bfe_u32 v3, v2, 20, 1
	s_mov_b32 s8, exec_lo
	s_delay_alu instid0(VALU_DEP_1) | instskip(NEXT) | instid1(VALU_DEP_1)
	v_add3_u32 v3, v2, v3, 0x487ffff
	v_lshrrev_b32_e32 v3, 20, v3
	s_and_not1_saveexec_b32 s9, s0
	s_cbranch_execnz .LBB295_2320
.LBB295_480:
	s_or_b32 exec_lo, exec_lo, s9
	v_mov_b32_e32 v21, 0
	s_and_saveexec_b32 s0, s8
.LBB295_481:
	v_lshrrev_b32_e32 v2, 24, v2
	s_delay_alu instid0(VALU_DEP_1)
	v_and_or_b32 v21, 0x80, v2, v3
.LBB295_482:
	s_or_b32 exec_lo, exec_lo, s0
.LBB295_483:
	s_delay_alu instid0(SALU_CYCLE_1)
	s_or_b32 exec_lo, exec_lo, s7
.LBB295_484:
	s_delay_alu instid0(SALU_CYCLE_1)
	s_or_b32 exec_lo, exec_lo, s6
                                        ; implicit-def: $vgpr2_vgpr3
.LBB295_485:
	s_and_not1_saveexec_b32 s5, s5
	s_cbranch_execz .LBB295_493
; %bb.486:
	flat_load_b32 v2, v[2:3]
	s_wait_loadcnt_dscnt 0x101
	v_mov_b32_e32 v21, 0x80
	s_mov_b32 s6, exec_lo
	s_wait_loadcnt_dscnt 0x0
	v_cvt_f32_f16_e32 v2, v2
	s_delay_alu instid0(VALU_DEP_1) | instskip(NEXT) | instid1(VALU_DEP_1)
	v_and_b32_e32 v3, 0x7fffffff, v2
	v_cmpx_gt_u32_e32 0x43800000, v3
	s_cbranch_execz .LBB295_492
; %bb.487:
	v_cmp_lt_u32_e64 s0, 0x3bffffff, v3
	s_mov_b32 s7, 0
                                        ; implicit-def: $vgpr3
	s_and_saveexec_b32 s8, s0
	s_delay_alu instid0(SALU_CYCLE_1)
	s_xor_b32 s0, exec_lo, s8
	s_cbranch_execz .LBB295_2234
; %bb.488:
	v_bfe_u32 v3, v2, 20, 1
	s_mov_b32 s7, exec_lo
	s_delay_alu instid0(VALU_DEP_1) | instskip(NEXT) | instid1(VALU_DEP_1)
	v_add3_u32 v3, v2, v3, 0x487ffff
	v_lshrrev_b32_e32 v3, 20, v3
	s_and_not1_saveexec_b32 s8, s0
	s_cbranch_execnz .LBB295_2235
.LBB295_489:
	s_or_b32 exec_lo, exec_lo, s8
	v_mov_b32_e32 v21, 0
	s_and_saveexec_b32 s0, s7
.LBB295_490:
	v_lshrrev_b32_e32 v2, 24, v2
	s_delay_alu instid0(VALU_DEP_1)
	v_and_or_b32 v21, 0x80, v2, v3
.LBB295_491:
	s_or_b32 exec_lo, exec_lo, s0
.LBB295_492:
	s_delay_alu instid0(SALU_CYCLE_1)
	s_or_b32 exec_lo, exec_lo, s6
.LBB295_493:
	s_delay_alu instid0(SALU_CYCLE_1)
	s_or_b32 exec_lo, exec_lo, s5
                                        ; implicit-def: $vgpr2_vgpr3
.LBB295_494:
	s_and_not1_saveexec_b32 s4, s4
	s_cbranch_execz .LBB295_522
; %bb.495:
	s_mov_b32 s5, exec_lo
                                        ; implicit-def: $vgpr21
	v_cmpx_lt_i16_e32 5, v18
	s_xor_b32 s5, exec_lo, s5
	s_cbranch_execz .LBB295_513
; %bb.496:
	s_mov_b32 s6, exec_lo
                                        ; implicit-def: $vgpr21
	v_cmpx_lt_i16_e32 6, v18
	s_xor_b32 s6, exec_lo, s6
	s_cbranch_execz .LBB295_504
; %bb.497:
	flat_load_b64 v[2:3], v[2:3]
	s_wait_loadcnt_dscnt 0x101
	v_mov_b32_e32 v21, 0x80
	s_mov_b32 s7, exec_lo
	s_wait_loadcnt_dscnt 0x0
	v_cvt_f32_f64_e32 v2, v[2:3]
	s_delay_alu instid0(VALU_DEP_1) | instskip(NEXT) | instid1(VALU_DEP_1)
	v_and_b32_e32 v3, 0x7fffffff, v2
	v_cmpx_gt_u32_e32 0x43800000, v3
	s_cbranch_execz .LBB295_503
; %bb.498:
	v_cmp_lt_u32_e64 s0, 0x3bffffff, v3
	s_mov_b32 s8, 0
                                        ; implicit-def: $vgpr3
	s_and_saveexec_b32 s9, s0
	s_delay_alu instid0(SALU_CYCLE_1)
	s_xor_b32 s0, exec_lo, s9
	s_cbranch_execz .LBB295_2321
; %bb.499:
	v_bfe_u32 v3, v2, 20, 1
	s_mov_b32 s8, exec_lo
	s_delay_alu instid0(VALU_DEP_1) | instskip(NEXT) | instid1(VALU_DEP_1)
	v_add3_u32 v3, v2, v3, 0x487ffff
	v_lshrrev_b32_e32 v3, 20, v3
	s_and_not1_saveexec_b32 s9, s0
	s_cbranch_execnz .LBB295_2322
.LBB295_500:
	s_or_b32 exec_lo, exec_lo, s9
	v_mov_b32_e32 v21, 0
	s_and_saveexec_b32 s0, s8
.LBB295_501:
	v_lshrrev_b32_e32 v2, 24, v2
	s_delay_alu instid0(VALU_DEP_1)
	v_and_or_b32 v21, 0x80, v2, v3
.LBB295_502:
	s_or_b32 exec_lo, exec_lo, s0
.LBB295_503:
	s_delay_alu instid0(SALU_CYCLE_1)
	s_or_b32 exec_lo, exec_lo, s7
                                        ; implicit-def: $vgpr2_vgpr3
.LBB295_504:
	s_and_not1_saveexec_b32 s6, s6
	s_cbranch_execz .LBB295_512
; %bb.505:
	flat_load_b32 v2, v[2:3]
	s_wait_loadcnt_dscnt 0x101
	v_mov_b32_e32 v21, 0x80
	s_mov_b32 s7, exec_lo
	s_wait_loadcnt_dscnt 0x0
	v_and_b32_e32 v3, 0x7fffffff, v2
	s_delay_alu instid0(VALU_DEP_1)
	v_cmpx_gt_u32_e32 0x43800000, v3
	s_cbranch_execz .LBB295_511
; %bb.506:
	v_cmp_lt_u32_e64 s0, 0x3bffffff, v3
	s_mov_b32 s8, 0
                                        ; implicit-def: $vgpr3
	s_and_saveexec_b32 s9, s0
	s_delay_alu instid0(SALU_CYCLE_1)
	s_xor_b32 s0, exec_lo, s9
	s_cbranch_execz .LBB295_2323
; %bb.507:
	v_bfe_u32 v3, v2, 20, 1
	s_mov_b32 s8, exec_lo
	s_delay_alu instid0(VALU_DEP_1) | instskip(NEXT) | instid1(VALU_DEP_1)
	v_add3_u32 v3, v2, v3, 0x487ffff
	v_lshrrev_b32_e32 v3, 20, v3
	s_and_not1_saveexec_b32 s9, s0
	s_cbranch_execnz .LBB295_2324
.LBB295_508:
	s_or_b32 exec_lo, exec_lo, s9
	v_mov_b32_e32 v21, 0
	s_and_saveexec_b32 s0, s8
.LBB295_509:
	v_lshrrev_b32_e32 v2, 24, v2
	s_delay_alu instid0(VALU_DEP_1)
	v_and_or_b32 v21, 0x80, v2, v3
.LBB295_510:
	s_or_b32 exec_lo, exec_lo, s0
.LBB295_511:
	s_delay_alu instid0(SALU_CYCLE_1)
	s_or_b32 exec_lo, exec_lo, s7
.LBB295_512:
	s_delay_alu instid0(SALU_CYCLE_1)
	s_or_b32 exec_lo, exec_lo, s6
                                        ; implicit-def: $vgpr2_vgpr3
.LBB295_513:
	s_and_not1_saveexec_b32 s5, s5
	s_cbranch_execz .LBB295_521
; %bb.514:
	flat_load_u16 v2, v[2:3]
	s_wait_loadcnt_dscnt 0x101
	v_mov_b32_e32 v21, 0x80
	s_mov_b32 s6, exec_lo
	s_wait_loadcnt_dscnt 0x0
	v_cvt_f32_f16_e32 v2, v2
	s_delay_alu instid0(VALU_DEP_1) | instskip(NEXT) | instid1(VALU_DEP_1)
	v_and_b32_e32 v3, 0x7fffffff, v2
	v_cmpx_gt_u32_e32 0x43800000, v3
	s_cbranch_execz .LBB295_520
; %bb.515:
	v_cmp_lt_u32_e64 s0, 0x3bffffff, v3
	s_mov_b32 s7, 0
                                        ; implicit-def: $vgpr3
	s_and_saveexec_b32 s8, s0
	s_delay_alu instid0(SALU_CYCLE_1)
	s_xor_b32 s0, exec_lo, s8
	s_cbranch_execz .LBB295_2236
; %bb.516:
	v_bfe_u32 v3, v2, 20, 1
	s_mov_b32 s7, exec_lo
	s_delay_alu instid0(VALU_DEP_1) | instskip(NEXT) | instid1(VALU_DEP_1)
	v_add3_u32 v3, v2, v3, 0x487ffff
	v_lshrrev_b32_e32 v3, 20, v3
	s_and_not1_saveexec_b32 s8, s0
	s_cbranch_execnz .LBB295_2237
.LBB295_517:
	s_or_b32 exec_lo, exec_lo, s8
	v_mov_b32_e32 v21, 0
	s_and_saveexec_b32 s0, s7
.LBB295_518:
	v_lshrrev_b32_e32 v2, 24, v2
	s_delay_alu instid0(VALU_DEP_1)
	v_and_or_b32 v21, 0x80, v2, v3
.LBB295_519:
	s_or_b32 exec_lo, exec_lo, s0
.LBB295_520:
	s_delay_alu instid0(SALU_CYCLE_1)
	s_or_b32 exec_lo, exec_lo, s6
.LBB295_521:
	s_delay_alu instid0(SALU_CYCLE_1)
	s_or_b32 exec_lo, exec_lo, s5
.LBB295_522:
	s_delay_alu instid0(SALU_CYCLE_1)
	s_or_b32 exec_lo, exec_lo, s4
                                        ; implicit-def: $vgpr2_vgpr3
.LBB295_523:
	s_and_not1_saveexec_b32 s3, s3
	s_cbranch_execz .LBB295_571
; %bb.524:
	s_mov_b32 s4, exec_lo
                                        ; implicit-def: $vgpr21
	v_cmpx_lt_i16_e32 1, v18
	s_xor_b32 s4, exec_lo, s4
	s_cbranch_execz .LBB295_552
; %bb.525:
	s_mov_b32 s5, exec_lo
                                        ; implicit-def: $vgpr21
	v_cmpx_lt_i16_e32 2, v18
	s_xor_b32 s5, exec_lo, s5
	;; [unrolled: 6-line block ×3, first 2 shown]
	s_cbranch_execz .LBB295_534
; %bb.527:
	flat_load_b64 v[2:3], v[2:3]
	s_wait_loadcnt_dscnt 0x101
	v_mov_b32_e32 v21, 0x80
	s_mov_b32 s7, exec_lo
	s_wait_loadcnt_dscnt 0x0
	v_xor_b32_e32 v7, v2, v3
	v_cls_i32_e32 v9, v3
	s_delay_alu instid0(VALU_DEP_2) | instskip(NEXT) | instid1(VALU_DEP_1)
	v_ashrrev_i32_e32 v7, 31, v7
	v_add_nc_u32_e32 v7, 32, v7
	s_delay_alu instid0(VALU_DEP_1) | instskip(SKIP_1) | instid1(VALU_DEP_1)
	v_add_min_u32_e64 v7, v9, -1, v7
	s_wait_xcnt 0x0
	v_lshlrev_b64_e32 v[2:3], v7, v[2:3]
	s_delay_alu instid0(VALU_DEP_1) | instskip(NEXT) | instid1(VALU_DEP_1)
	v_min_u32_e32 v2, 1, v2
	v_dual_sub_nc_u32 v3, 32, v7 :: v_dual_bitop2_b32 v2, v3, v2 bitop3:0x54
	s_delay_alu instid0(VALU_DEP_1) | instskip(NEXT) | instid1(VALU_DEP_1)
	v_cvt_f32_i32_e32 v2, v2
	v_ldexp_f32 v2, v2, v3
	s_delay_alu instid0(VALU_DEP_1) | instskip(NEXT) | instid1(VALU_DEP_1)
	v_and_b32_e32 v3, 0x7fffffff, v2
	v_cmpx_gt_u32_e32 0x43800000, v3
	s_cbranch_execz .LBB295_533
; %bb.528:
	v_cmp_lt_u32_e64 s0, 0x3bffffff, v3
	s_mov_b32 s8, 0
                                        ; implicit-def: $vgpr3
	s_and_saveexec_b32 s9, s0
	s_delay_alu instid0(SALU_CYCLE_1)
	s_xor_b32 s0, exec_lo, s9
	s_cbranch_execz .LBB295_2325
; %bb.529:
	v_bfe_u32 v3, v2, 20, 1
	s_mov_b32 s8, exec_lo
	s_delay_alu instid0(VALU_DEP_1) | instskip(NEXT) | instid1(VALU_DEP_1)
	v_add3_u32 v3, v2, v3, 0x487ffff
	v_lshrrev_b32_e32 v3, 20, v3
	s_and_not1_saveexec_b32 s9, s0
	s_cbranch_execnz .LBB295_2326
.LBB295_530:
	s_or_b32 exec_lo, exec_lo, s9
	v_mov_b32_e32 v21, 0
	s_and_saveexec_b32 s0, s8
.LBB295_531:
	v_lshrrev_b32_e32 v2, 24, v2
	s_delay_alu instid0(VALU_DEP_1)
	v_and_or_b32 v21, 0x80, v2, v3
.LBB295_532:
	s_or_b32 exec_lo, exec_lo, s0
.LBB295_533:
	s_delay_alu instid0(SALU_CYCLE_1)
	s_or_b32 exec_lo, exec_lo, s7
                                        ; implicit-def: $vgpr2_vgpr3
.LBB295_534:
	s_and_not1_saveexec_b32 s6, s6
	s_cbranch_execz .LBB295_542
; %bb.535:
	flat_load_b32 v2, v[2:3]
	s_wait_loadcnt_dscnt 0x101
	v_mov_b32_e32 v21, 0x80
	s_mov_b32 s7, exec_lo
	s_wait_loadcnt_dscnt 0x0
	v_cvt_f32_i32_e32 v2, v2
	s_delay_alu instid0(VALU_DEP_1) | instskip(NEXT) | instid1(VALU_DEP_1)
	v_and_b32_e32 v3, 0x7fffffff, v2
	v_cmpx_gt_u32_e32 0x43800000, v3
	s_cbranch_execz .LBB295_541
; %bb.536:
	v_cmp_lt_u32_e64 s0, 0x3bffffff, v3
	s_mov_b32 s8, 0
                                        ; implicit-def: $vgpr3
	s_and_saveexec_b32 s9, s0
	s_delay_alu instid0(SALU_CYCLE_1)
	s_xor_b32 s0, exec_lo, s9
	s_cbranch_execz .LBB295_2327
; %bb.537:
	v_bfe_u32 v3, v2, 20, 1
	s_mov_b32 s8, exec_lo
	s_delay_alu instid0(VALU_DEP_1) | instskip(NEXT) | instid1(VALU_DEP_1)
	v_add3_u32 v3, v2, v3, 0x487ffff
	v_lshrrev_b32_e32 v3, 20, v3
	s_and_not1_saveexec_b32 s9, s0
	s_cbranch_execnz .LBB295_2328
.LBB295_538:
	s_or_b32 exec_lo, exec_lo, s9
	v_mov_b32_e32 v21, 0
	s_and_saveexec_b32 s0, s8
.LBB295_539:
	v_lshrrev_b32_e32 v2, 24, v2
	s_delay_alu instid0(VALU_DEP_1)
	v_and_or_b32 v21, 0x80, v2, v3
.LBB295_540:
	s_or_b32 exec_lo, exec_lo, s0
.LBB295_541:
	s_delay_alu instid0(SALU_CYCLE_1)
	s_or_b32 exec_lo, exec_lo, s7
.LBB295_542:
	s_delay_alu instid0(SALU_CYCLE_1)
	s_or_b32 exec_lo, exec_lo, s6
                                        ; implicit-def: $vgpr2_vgpr3
.LBB295_543:
	s_and_not1_saveexec_b32 s5, s5
	s_cbranch_execz .LBB295_551
; %bb.544:
	flat_load_i16 v2, v[2:3]
	s_wait_loadcnt_dscnt 0x101
	v_mov_b32_e32 v21, 0x80
	s_mov_b32 s6, exec_lo
	s_wait_loadcnt_dscnt 0x0
	v_cvt_f32_i32_e32 v2, v2
	s_delay_alu instid0(VALU_DEP_1) | instskip(NEXT) | instid1(VALU_DEP_1)
	v_and_b32_e32 v3, 0x7fffffff, v2
	v_cmpx_gt_u32_e32 0x43800000, v3
	s_cbranch_execz .LBB295_550
; %bb.545:
	v_cmp_lt_u32_e64 s0, 0x3bffffff, v3
	s_mov_b32 s7, 0
                                        ; implicit-def: $vgpr3
	s_and_saveexec_b32 s8, s0
	s_delay_alu instid0(SALU_CYCLE_1)
	s_xor_b32 s0, exec_lo, s8
	s_cbranch_execz .LBB295_2238
; %bb.546:
	v_bfe_u32 v3, v2, 20, 1
	s_mov_b32 s7, exec_lo
	s_delay_alu instid0(VALU_DEP_1) | instskip(NEXT) | instid1(VALU_DEP_1)
	v_add3_u32 v3, v2, v3, 0x487ffff
	v_lshrrev_b32_e32 v3, 20, v3
	s_and_not1_saveexec_b32 s8, s0
	s_cbranch_execnz .LBB295_2239
.LBB295_547:
	s_or_b32 exec_lo, exec_lo, s8
	v_mov_b32_e32 v21, 0
	s_and_saveexec_b32 s0, s7
.LBB295_548:
	v_lshrrev_b32_e32 v2, 24, v2
	s_delay_alu instid0(VALU_DEP_1)
	v_and_or_b32 v21, 0x80, v2, v3
.LBB295_549:
	s_or_b32 exec_lo, exec_lo, s0
.LBB295_550:
	s_delay_alu instid0(SALU_CYCLE_1)
	s_or_b32 exec_lo, exec_lo, s6
.LBB295_551:
	s_delay_alu instid0(SALU_CYCLE_1)
	s_or_b32 exec_lo, exec_lo, s5
                                        ; implicit-def: $vgpr2_vgpr3
.LBB295_552:
	s_and_not1_saveexec_b32 s4, s4
	s_cbranch_execz .LBB295_570
; %bb.553:
	s_mov_b32 s5, exec_lo
                                        ; implicit-def: $vgpr21
	v_cmpx_lt_i16_e32 0, v18
	s_xor_b32 s5, exec_lo, s5
	s_cbranch_execz .LBB295_561
; %bb.554:
	flat_load_i8 v2, v[2:3]
	s_wait_loadcnt_dscnt 0x101
	v_mov_b32_e32 v21, 0x80
	s_mov_b32 s6, exec_lo
	s_wait_loadcnt_dscnt 0x0
	v_cvt_f32_i32_e32 v2, v2
	s_delay_alu instid0(VALU_DEP_1) | instskip(NEXT) | instid1(VALU_DEP_1)
	v_and_b32_e32 v3, 0x7fffffff, v2
	v_cmpx_gt_u32_e32 0x43800000, v3
	s_cbranch_execz .LBB295_560
; %bb.555:
	v_cmp_lt_u32_e64 s0, 0x3bffffff, v3
	s_mov_b32 s7, 0
                                        ; implicit-def: $vgpr3
	s_and_saveexec_b32 s8, s0
	s_delay_alu instid0(SALU_CYCLE_1)
	s_xor_b32 s0, exec_lo, s8
	s_cbranch_execz .LBB295_2240
; %bb.556:
	v_bfe_u32 v3, v2, 20, 1
	s_mov_b32 s7, exec_lo
	s_delay_alu instid0(VALU_DEP_1) | instskip(NEXT) | instid1(VALU_DEP_1)
	v_add3_u32 v3, v2, v3, 0x487ffff
	v_lshrrev_b32_e32 v3, 20, v3
	s_and_not1_saveexec_b32 s8, s0
	s_cbranch_execnz .LBB295_2241
.LBB295_557:
	s_or_b32 exec_lo, exec_lo, s8
	v_mov_b32_e32 v21, 0
	s_and_saveexec_b32 s0, s7
.LBB295_558:
	v_lshrrev_b32_e32 v2, 24, v2
	s_delay_alu instid0(VALU_DEP_1)
	v_and_or_b32 v21, 0x80, v2, v3
.LBB295_559:
	s_or_b32 exec_lo, exec_lo, s0
.LBB295_560:
	s_delay_alu instid0(SALU_CYCLE_1)
	s_or_b32 exec_lo, exec_lo, s6
                                        ; implicit-def: $vgpr2_vgpr3
.LBB295_561:
	s_and_not1_saveexec_b32 s5, s5
	s_cbranch_execz .LBB295_569
; %bb.562:
	flat_load_u8 v2, v[2:3]
	s_wait_loadcnt_dscnt 0x101
	v_mov_b32_e32 v21, 0x80
	s_mov_b32 s6, exec_lo
	s_wait_loadcnt_dscnt 0x0
	v_cvt_f32_ubyte0_e32 v3, v2
	s_delay_alu instid0(VALU_DEP_1)
	v_cmpx_gt_u32_e32 0x43800000, v3
	s_cbranch_execz .LBB295_568
; %bb.563:
	v_cmp_lt_u32_e64 s0, 0x3bffffff, v3
	s_mov_b32 s7, 0
                                        ; implicit-def: $vgpr2
	s_and_saveexec_b32 s8, s0
	s_delay_alu instid0(SALU_CYCLE_1)
	s_xor_b32 s0, exec_lo, s8
	s_cbranch_execz .LBB295_2242
; %bb.564:
	v_bfe_u32 v2, v3, 20, 1
	s_mov_b32 s7, exec_lo
	s_delay_alu instid0(VALU_DEP_1) | instskip(NEXT) | instid1(VALU_DEP_1)
	v_add3_u32 v2, v3, v2, 0x487ffff
                                        ; implicit-def: $vgpr3
	v_lshrrev_b32_e32 v2, 20, v2
	s_and_not1_saveexec_b32 s8, s0
	s_cbranch_execnz .LBB295_2243
.LBB295_565:
	s_or_b32 exec_lo, exec_lo, s8
	v_mov_b32_e32 v21, 0
	s_and_saveexec_b32 s0, s7
.LBB295_566:
	v_mov_b32_e32 v21, v2
.LBB295_567:
	s_or_b32 exec_lo, exec_lo, s0
.LBB295_568:
	s_delay_alu instid0(SALU_CYCLE_1)
	s_or_b32 exec_lo, exec_lo, s6
.LBB295_569:
	s_delay_alu instid0(SALU_CYCLE_1)
	s_or_b32 exec_lo, exec_lo, s5
.LBB295_570:
	s_delay_alu instid0(SALU_CYCLE_1)
	s_or_b32 exec_lo, exec_lo, s4
.LBB295_571:
	s_delay_alu instid0(SALU_CYCLE_1) | instskip(NEXT) | instid1(SALU_CYCLE_1)
	s_or_b32 exec_lo, exec_lo, s3
	s_or_b32 s17, s17, exec_lo
.LBB295_572:
	s_or_b32 exec_lo, exec_lo, s1
	s_mov_b32 s1, 0
	s_mov_b32 s5, 0
                                        ; implicit-def: $sgpr18
                                        ; implicit-def: $vgpr12_vgpr13
                                        ; implicit-def: $vgpr7
	s_and_saveexec_b32 s3, s17
	s_cbranch_execz .LBB295_1847
; %bb.573:
	s_clause 0x2
	scratch_load_b32 v20, off, off offset:32
	scratch_load_b64 v[2:3], off, off offset:16
	scratch_load_u8 v15, off, off offset:42
	s_mov_b32 s6, 0
	s_mov_b32 s4, s2
	s_mov_b32 s1, exec_lo
	s_wait_loadcnt 0x2
	v_mul_lo_u32 v8, v20, v8
	s_delay_alu instid0(VALU_DEP_1) | instskip(SKIP_1) | instid1(VALU_DEP_1)
	v_ashrrev_i32_e32 v9, 31, v8
	s_wait_loadcnt 0x1
	v_add_nc_u64_e32 v[10:11], v[2:3], v[8:9]
                                        ; implicit-def: $vgpr9
	s_wait_loadcnt 0x0
	v_cmpx_lt_i16_e32 10, v15
	s_xor_b32 s1, exec_lo, s1
	s_cbranch_execz .LBB295_642
; %bb.574:
	s_mov_b32 s4, 0
	s_mov_b32 s7, 0
	s_mov_b32 s6, exec_lo
                                        ; implicit-def: $vgpr9
	v_cmpx_lt_i16_e32 25, v15
	s_xor_b32 s6, exec_lo, s6
	s_cbranch_execz .LBB295_2027
; %bb.575:
	s_mov_b32 s8, 0
	s_mov_b32 s5, exec_lo
                                        ; implicit-def: $vgpr9
	v_cmpx_lt_i16_e32 28, v15
	s_xor_b32 s5, exec_lo, s5
	s_cbranch_execz .LBB295_609
; %bb.576:
	s_mov_b32 s9, 0
	s_mov_b32 s10, 0
	s_mov_b32 s7, exec_lo
                                        ; implicit-def: $vgpr9
	v_cmpx_lt_i16_e32 43, v15
	s_xor_b32 s7, exec_lo, s7
	s_cbranch_execz .LBB295_598
; %bb.577:
	s_mov_b32 s10, exec_lo
                                        ; implicit-def: $vgpr9
	v_cmpx_lt_i16_e32 45, v15
	s_xor_b32 s10, exec_lo, s10
	s_cbranch_execz .LBB295_587
; %bb.578:
	s_mov_b32 s11, -1
	s_mov_b32 s8, exec_lo
                                        ; implicit-def: $vgpr9
	v_cmpx_eq_u16_e32 46, v15
	s_cbranch_execz .LBB295_586
; %bb.579:
	flat_load_b32 v7, v[10:11]
	v_mov_b32_e32 v9, 0x80
	s_mov_b32 s9, exec_lo
	s_wait_loadcnt_dscnt 0x0
	v_lshlrev_b32_e32 v7, 16, v7
	s_delay_alu instid0(VALU_DEP_1) | instskip(SKIP_1) | instid1(VALU_DEP_1)
	v_and_b32_e32 v12, 0x7fffffff, v7
	s_wait_xcnt 0x0
	v_cmpx_gt_u32_e32 0x43800000, v12
	s_cbranch_execz .LBB295_585
; %bb.580:
	v_cmp_lt_u32_e64 s0, 0x3bffffff, v12
	s_mov_b32 s11, 0
                                        ; implicit-def: $vgpr12
	s_and_saveexec_b32 s12, s0
	s_delay_alu instid0(SALU_CYCLE_1)
	s_xor_b32 s0, exec_lo, s12
	s_cbranch_execz .LBB295_2505
; %bb.581:
	v_bfe_u32 v9, v7, 20, 1
	s_mov_b32 s11, exec_lo
	s_delay_alu instid0(VALU_DEP_1) | instskip(NEXT) | instid1(VALU_DEP_1)
	v_add3_u32 v9, v7, v9, 0x487ffff
	v_lshrrev_b32_e32 v12, 20, v9
	s_and_not1_saveexec_b32 s12, s0
	s_cbranch_execnz .LBB295_2506
.LBB295_582:
	s_or_b32 exec_lo, exec_lo, s12
	v_mov_b32_e32 v9, 0
	s_and_saveexec_b32 s0, s11
.LBB295_583:
	v_lshrrev_b32_e32 v7, 24, v7
	s_delay_alu instid0(VALU_DEP_1)
	v_and_or_b32 v9, 0x80, v7, v12
.LBB295_584:
	s_or_b32 exec_lo, exec_lo, s0
.LBB295_585:
	s_delay_alu instid0(SALU_CYCLE_1) | instskip(NEXT) | instid1(SALU_CYCLE_1)
	s_or_b32 exec_lo, exec_lo, s9
	s_mov_b32 s9, exec_lo
	s_xor_b32 s11, exec_lo, -1
.LBB295_586:
	s_or_b32 exec_lo, exec_lo, s8
	s_delay_alu instid0(SALU_CYCLE_1)
	s_and_b32 s9, s9, exec_lo
	s_and_b32 s8, s11, exec_lo
.LBB295_587:
	s_and_not1_saveexec_b32 s10, s10
	s_cbranch_execz .LBB295_597
; %bb.588:
	s_mov_b32 s12, -1
	s_mov_b32 s13, s9
	s_mov_b32 s11, exec_lo
                                        ; implicit-def: $vgpr9
	v_cmpx_eq_u16_e32 44, v15
	s_cbranch_execz .LBB295_596
; %bb.589:
	flat_load_u8 v7, v[10:11]
	s_mov_b32 s13, 0
	s_mov_b32 s12, exec_lo
	s_wait_loadcnt_dscnt 0x0
	v_lshlrev_b32_e32 v9, 23, v7
	v_cmp_ne_u32_e64 s0, 0xff, v7
	s_delay_alu instid0(VALU_DEP_1) | instskip(SKIP_1) | instid1(VALU_DEP_1)
	v_cndmask_b32_e64 v9, 0x7f800001, v9, s0
	v_cmp_ne_u32_e64 s0, 0, v7
	v_cndmask_b32_e64 v12, 0x400000, v9, s0
	v_mov_b32_e32 v9, 0x80
	s_wait_xcnt 0x0
	s_delay_alu instid0(VALU_DEP_2)
	v_cmpx_gt_u32_e32 0x43800000, v12
	s_cbranch_execz .LBB295_595
; %bb.590:
	v_cmp_lt_u32_e64 s0, 0x3bffffff, v12
                                        ; implicit-def: $vgpr7
	s_and_saveexec_b32 s14, s0
	s_delay_alu instid0(SALU_CYCLE_1)
	s_xor_b32 s0, exec_lo, s14
	s_cbranch_execz .LBB295_2507
; %bb.591:
	v_bfe_u32 v7, v12, 20, 1
	s_mov_b32 s13, exec_lo
	s_delay_alu instid0(VALU_DEP_1) | instskip(NEXT) | instid1(VALU_DEP_1)
	v_add3_u32 v7, v12, v7, 0x487ffff
                                        ; implicit-def: $vgpr12
	v_lshrrev_b32_e32 v7, 20, v7
	s_and_not1_saveexec_b32 s14, s0
	s_cbranch_execnz .LBB295_2508
.LBB295_592:
	s_or_b32 exec_lo, exec_lo, s14
	v_mov_b32_e32 v9, 0
	s_and_saveexec_b32 s0, s13
.LBB295_593:
	v_mov_b32_e32 v9, v7
.LBB295_594:
	s_or_b32 exec_lo, exec_lo, s0
.LBB295_595:
	s_delay_alu instid0(SALU_CYCLE_1) | instskip(NEXT) | instid1(SALU_CYCLE_1)
	s_or_b32 exec_lo, exec_lo, s12
	s_or_b32 s13, s9, exec_lo
	s_xor_b32 s12, exec_lo, -1
.LBB295_596:
	s_or_b32 exec_lo, exec_lo, s11
	s_delay_alu instid0(SALU_CYCLE_1)
	s_and_not1_b32 s0, s9, exec_lo
	s_and_b32 s9, s13, exec_lo
	s_and_not1_b32 s8, s8, exec_lo
	s_and_b32 s11, s12, exec_lo
	s_or_b32 s9, s0, s9
	s_or_b32 s8, s8, s11
.LBB295_597:
	s_or_b32 exec_lo, exec_lo, s10
	s_delay_alu instid0(SALU_CYCLE_1)
	s_and_b32 s10, s9, exec_lo
	s_and_b32 s9, s8, exec_lo
.LBB295_598:
	s_and_not1_saveexec_b32 s7, s7
	s_cbranch_execz .LBB295_608
; %bb.599:
	s_mov_b32 s11, -1
	s_mov_b32 s12, s10
	s_mov_b32 s8, exec_lo
                                        ; implicit-def: $vgpr9
	v_cmpx_eq_u16_e32 29, v15
	s_cbranch_execz .LBB295_607
; %bb.600:
	flat_load_b64 v[12:13], v[10:11]
	s_mov_b32 s11, exec_lo
	s_wait_loadcnt_dscnt 0x0
	v_clz_i32_u32_e32 v7, v13
	s_delay_alu instid0(VALU_DEP_1) | instskip(NEXT) | instid1(VALU_DEP_1)
	v_min_u32_e32 v7, 32, v7
	v_lshlrev_b64_e32 v[12:13], v7, v[12:13]
	v_sub_nc_u32_e32 v7, 32, v7
	s_delay_alu instid0(VALU_DEP_2) | instskip(NEXT) | instid1(VALU_DEP_1)
	v_min_u32_e32 v9, 1, v12
	v_or_b32_e32 v9, v13, v9
	s_delay_alu instid0(VALU_DEP_1) | instskip(NEXT) | instid1(VALU_DEP_1)
	v_cvt_f32_u32_e32 v9, v9
	v_ldexp_f32 v12, v9, v7
	v_mov_b32_e32 v9, 0x80
	s_wait_xcnt 0x0
	s_delay_alu instid0(VALU_DEP_2)
	v_cmpx_gt_u32_e32 0x43800000, v12
	s_cbranch_execz .LBB295_606
; %bb.601:
	v_cmp_lt_u32_e64 s0, 0x3bffffff, v12
	s_mov_b32 s12, 0
                                        ; implicit-def: $vgpr7
	s_and_saveexec_b32 s13, s0
	s_delay_alu instid0(SALU_CYCLE_1)
	s_xor_b32 s0, exec_lo, s13
	s_cbranch_execz .LBB295_2410
; %bb.602:
	v_bfe_u32 v7, v12, 20, 1
	s_mov_b32 s12, exec_lo
	s_delay_alu instid0(VALU_DEP_1) | instskip(NEXT) | instid1(VALU_DEP_1)
	v_add3_u32 v7, v12, v7, 0x487ffff
                                        ; implicit-def: $vgpr12
	v_lshrrev_b32_e32 v7, 20, v7
	s_and_not1_saveexec_b32 s13, s0
	s_cbranch_execnz .LBB295_2411
.LBB295_603:
	s_or_b32 exec_lo, exec_lo, s13
	v_mov_b32_e32 v9, 0
	s_and_saveexec_b32 s0, s12
.LBB295_604:
	v_mov_b32_e32 v9, v7
.LBB295_605:
	s_or_b32 exec_lo, exec_lo, s0
.LBB295_606:
	s_delay_alu instid0(SALU_CYCLE_1) | instskip(NEXT) | instid1(SALU_CYCLE_1)
	s_or_b32 exec_lo, exec_lo, s11
	s_or_b32 s12, s10, exec_lo
	s_xor_b32 s11, exec_lo, -1
.LBB295_607:
	s_or_b32 exec_lo, exec_lo, s8
	s_delay_alu instid0(SALU_CYCLE_1)
	s_and_not1_b32 s0, s10, exec_lo
	s_and_b32 s8, s12, exec_lo
	s_and_not1_b32 s9, s9, exec_lo
	s_and_b32 s11, s11, exec_lo
	s_or_b32 s10, s0, s8
	s_or_b32 s9, s9, s11
.LBB295_608:
	s_or_b32 exec_lo, exec_lo, s7
	s_delay_alu instid0(SALU_CYCLE_1)
	s_and_b32 s8, s10, exec_lo
	s_and_b32 s7, s9, exec_lo
.LBB295_609:
	s_and_not1_saveexec_b32 s5, s5
	s_cbranch_execz .LBB295_631
; %bb.610:
	s_mov_b32 s9, exec_lo
                                        ; implicit-def: $vgpr9
	v_cmpx_lt_i16_e32 26, v15
	s_xor_b32 s9, exec_lo, s9
	s_cbranch_execz .LBB295_628
; %bb.611:
	s_mov_b32 s10, exec_lo
                                        ; implicit-def: $vgpr9
	v_cmpx_lt_i16_e32 27, v15
	s_xor_b32 s10, exec_lo, s10
	s_cbranch_execz .LBB295_619
; %bb.612:
	flat_load_b32 v7, v[10:11]
	v_mov_b32_e32 v9, 0x80
	s_mov_b32 s11, exec_lo
	s_wait_loadcnt_dscnt 0x0
	v_cvt_f32_u32_e32 v12, v7
	s_wait_xcnt 0x0
	s_delay_alu instid0(VALU_DEP_1)
	v_cmpx_gt_u32_e32 0x43800000, v12
	s_cbranch_execz .LBB295_618
; %bb.613:
	v_cmp_lt_u32_e64 s0, 0x3bffffff, v12
	s_mov_b32 s12, 0
                                        ; implicit-def: $vgpr7
	s_and_saveexec_b32 s13, s0
	s_delay_alu instid0(SALU_CYCLE_1)
	s_xor_b32 s0, exec_lo, s13
	s_cbranch_execz .LBB295_2412
; %bb.614:
	v_bfe_u32 v7, v12, 20, 1
	s_mov_b32 s12, exec_lo
	s_delay_alu instid0(VALU_DEP_1) | instskip(NEXT) | instid1(VALU_DEP_1)
	v_add3_u32 v7, v12, v7, 0x487ffff
                                        ; implicit-def: $vgpr12
	v_lshrrev_b32_e32 v7, 20, v7
	s_and_not1_saveexec_b32 s13, s0
	s_cbranch_execnz .LBB295_2413
.LBB295_615:
	s_or_b32 exec_lo, exec_lo, s13
	v_mov_b32_e32 v9, 0
	s_and_saveexec_b32 s0, s12
.LBB295_616:
	v_mov_b32_e32 v9, v7
.LBB295_617:
	s_or_b32 exec_lo, exec_lo, s0
.LBB295_618:
	s_delay_alu instid0(SALU_CYCLE_1)
	s_or_b32 exec_lo, exec_lo, s11
.LBB295_619:
	s_and_not1_saveexec_b32 s10, s10
	s_cbranch_execz .LBB295_627
; %bb.620:
	flat_load_u16 v7, v[10:11]
	v_mov_b32_e32 v9, 0x80
	s_mov_b32 s11, exec_lo
	s_wait_loadcnt_dscnt 0x0
	v_cvt_f32_u32_e32 v12, v7
	s_wait_xcnt 0x0
	s_delay_alu instid0(VALU_DEP_1)
	v_cmpx_gt_u32_e32 0x43800000, v12
	s_cbranch_execz .LBB295_626
; %bb.621:
	v_cmp_lt_u32_e64 s0, 0x3bffffff, v12
	s_mov_b32 s12, 0
                                        ; implicit-def: $vgpr7
	s_and_saveexec_b32 s13, s0
	s_delay_alu instid0(SALU_CYCLE_1)
	s_xor_b32 s0, exec_lo, s13
	s_cbranch_execz .LBB295_2414
; %bb.622:
	v_bfe_u32 v7, v12, 20, 1
	s_mov_b32 s12, exec_lo
	s_delay_alu instid0(VALU_DEP_1) | instskip(NEXT) | instid1(VALU_DEP_1)
	v_add3_u32 v7, v12, v7, 0x487ffff
                                        ; implicit-def: $vgpr12
	v_lshrrev_b32_e32 v7, 20, v7
	s_and_not1_saveexec_b32 s13, s0
	s_cbranch_execnz .LBB295_2415
.LBB295_623:
	s_or_b32 exec_lo, exec_lo, s13
	v_mov_b32_e32 v9, 0
	s_and_saveexec_b32 s0, s12
.LBB295_624:
	v_mov_b32_e32 v9, v7
.LBB295_625:
	s_or_b32 exec_lo, exec_lo, s0
.LBB295_626:
	s_delay_alu instid0(SALU_CYCLE_1)
	s_or_b32 exec_lo, exec_lo, s11
.LBB295_627:
	s_delay_alu instid0(SALU_CYCLE_1)
	s_or_b32 exec_lo, exec_lo, s10
.LBB295_628:
	s_and_not1_saveexec_b32 s0, s9
	s_cbranch_execz .LBB295_630
; %bb.629:
	flat_load_u8 v9, v[10:11]
.LBB295_630:
	s_wait_xcnt 0x0
	s_or_b32 exec_lo, exec_lo, s0
	s_delay_alu instid0(SALU_CYCLE_1)
	s_or_b32 s8, s8, exec_lo
.LBB295_631:
	s_or_b32 exec_lo, exec_lo, s5
	s_delay_alu instid0(SALU_CYCLE_1)
	s_and_b32 s5, s8, exec_lo
	s_and_b32 s7, s7, exec_lo
	s_and_not1_saveexec_b32 s6, s6
	s_cbranch_execnz .LBB295_2028
.LBB295_632:
	s_or_b32 exec_lo, exec_lo, s6
	s_mov_b32 s6, s2
	s_and_saveexec_b32 s0, s7
	s_cbranch_execnz .LBB295_2077
.LBB295_633:
	s_or_b32 exec_lo, exec_lo, s0
	s_and_saveexec_b32 s0, s4
	s_delay_alu instid0(SALU_CYCLE_1)
	s_xor_b32 s4, exec_lo, s0
	s_cbranch_execz .LBB295_641
.LBB295_634:
	flat_load_u8 v7, v[10:11]
	s_wait_loadcnt_dscnt 0x101
	v_mov_b32_e32 v9, 0x80
	s_mov_b32 s8, 0
	s_mov_b32 s7, exec_lo
	s_wait_loadcnt_dscnt 0x0
	v_cmp_ne_u16_e64 s0, 0, v7
	s_wait_xcnt 0x0
	s_delay_alu instid0(VALU_DEP_1) | instskip(NEXT) | instid1(VALU_DEP_1)
	v_cndmask_b32_e64 v10, 0, 1.0, s0
	v_cmpx_gt_u32_e32 0x43800000, v10
	s_cbranch_execz .LBB295_640
; %bb.635:
	v_cmp_lt_u32_e64 s0, 0x3bffffff, v10
                                        ; implicit-def: $vgpr7
	s_and_saveexec_b32 s9, s0
	s_delay_alu instid0(SALU_CYCLE_1)
	s_xor_b32 s0, exec_lo, s9
	s_cbranch_execz .LBB295_2181
; %bb.636:
	v_bfe_u32 v7, v10, 20, 1
	s_mov_b32 s8, exec_lo
	s_delay_alu instid0(VALU_DEP_1) | instskip(NEXT) | instid1(VALU_DEP_1)
	v_add3_u32 v7, v10, v7, 0x487ffff
                                        ; implicit-def: $vgpr10
	v_lshrrev_b32_e32 v7, 20, v7
	s_and_not1_saveexec_b32 s9, s0
	s_cbranch_execnz .LBB295_2182
.LBB295_637:
	s_or_b32 exec_lo, exec_lo, s9
	v_mov_b32_e32 v9, 0
	s_and_saveexec_b32 s0, s8
.LBB295_638:
	v_mov_b32_e32 v9, v7
.LBB295_639:
	s_or_b32 exec_lo, exec_lo, s0
.LBB295_640:
	s_delay_alu instid0(SALU_CYCLE_1) | instskip(NEXT) | instid1(SALU_CYCLE_1)
	s_or_b32 exec_lo, exec_lo, s7
	s_or_b32 s5, s5, exec_lo
.LBB295_641:
	s_or_b32 exec_lo, exec_lo, s4
	s_delay_alu instid0(SALU_CYCLE_1)
	s_and_not1_b32 s0, s2, exec_lo
	s_and_b32 s4, s6, exec_lo
	s_and_b32 s6, s5, exec_lo
	s_or_b32 s4, s0, s4
                                        ; implicit-def: $vgpr10_vgpr11
.LBB295_642:
	s_and_not1_saveexec_b32 s1, s1
	s_cbranch_execz .LBB295_750
; %bb.643:
	s_mov_b32 s5, exec_lo
                                        ; implicit-def: $vgpr9
	v_cmpx_lt_i16_e32 4, v15
	s_xor_b32 s5, exec_lo, s5
	s_cbranch_execz .LBB295_701
; %bb.644:
	s_mov_b32 s7, exec_lo
                                        ; implicit-def: $vgpr9
	v_cmpx_lt_i16_e32 7, v15
	s_xor_b32 s7, exec_lo, s7
	;; [unrolled: 6-line block ×4, first 2 shown]
	s_cbranch_execz .LBB295_654
; %bb.647:
	flat_load_b64 v[10:11], v[10:11]
	s_wait_loadcnt_dscnt 0x101
	v_mov_b32_e32 v9, 0x80
	s_mov_b32 s10, exec_lo
	s_wait_loadcnt_dscnt 0x0
	v_cvt_f32_f64_e32 v7, v[10:11]
	s_wait_xcnt 0x0
	s_delay_alu instid0(VALU_DEP_1) | instskip(NEXT) | instid1(VALU_DEP_1)
	v_and_b32_e32 v10, 0x7fffffff, v7
	v_cmpx_gt_u32_e32 0x43800000, v10
	s_cbranch_execz .LBB295_653
; %bb.648:
	v_cmp_lt_u32_e64 s0, 0x3bffffff, v10
	s_mov_b32 s11, 0
                                        ; implicit-def: $vgpr10
	s_and_saveexec_b32 s12, s0
	s_delay_alu instid0(SALU_CYCLE_1)
	s_xor_b32 s0, exec_lo, s12
	s_cbranch_execz .LBB295_2416
; %bb.649:
	v_bfe_u32 v9, v7, 20, 1
	s_mov_b32 s11, exec_lo
	s_delay_alu instid0(VALU_DEP_1) | instskip(NEXT) | instid1(VALU_DEP_1)
	v_add3_u32 v9, v7, v9, 0x487ffff
	v_lshrrev_b32_e32 v10, 20, v9
	s_and_not1_saveexec_b32 s12, s0
	s_cbranch_execnz .LBB295_2417
.LBB295_650:
	s_or_b32 exec_lo, exec_lo, s12
	v_mov_b32_e32 v9, 0
	s_and_saveexec_b32 s0, s11
.LBB295_651:
	v_lshrrev_b32_e32 v7, 24, v7
	s_delay_alu instid0(VALU_DEP_1)
	v_and_or_b32 v9, 0x80, v7, v10
.LBB295_652:
	s_or_b32 exec_lo, exec_lo, s0
.LBB295_653:
	s_delay_alu instid0(SALU_CYCLE_1)
	s_or_b32 exec_lo, exec_lo, s10
                                        ; implicit-def: $vgpr10_vgpr11
.LBB295_654:
	s_and_not1_saveexec_b32 s9, s9
	s_cbranch_execz .LBB295_662
; %bb.655:
	flat_load_b32 v7, v[10:11]
	s_wait_loadcnt_dscnt 0x101
	v_mov_b32_e32 v9, 0x80
	s_mov_b32 s10, exec_lo
	s_wait_loadcnt_dscnt 0x0
	v_and_b32_e32 v10, 0x7fffffff, v7
	s_delay_alu instid0(VALU_DEP_1)
	v_cmpx_gt_u32_e32 0x43800000, v10
	s_cbranch_execz .LBB295_661
; %bb.656:
	v_cmp_lt_u32_e64 s0, 0x3bffffff, v10
	s_mov_b32 s11, 0
                                        ; implicit-def: $vgpr10
	s_and_saveexec_b32 s12, s0
	s_delay_alu instid0(SALU_CYCLE_1)
	s_xor_b32 s0, exec_lo, s12
	s_cbranch_execz .LBB295_2418
; %bb.657:
	v_bfe_u32 v9, v7, 20, 1
	s_mov_b32 s11, exec_lo
	s_delay_alu instid0(VALU_DEP_1) | instskip(NEXT) | instid1(VALU_DEP_1)
	v_add3_u32 v9, v7, v9, 0x487ffff
	v_lshrrev_b32_e32 v10, 20, v9
	s_and_not1_saveexec_b32 s12, s0
	s_cbranch_execnz .LBB295_2419
.LBB295_658:
	s_or_b32 exec_lo, exec_lo, s12
	v_mov_b32_e32 v9, 0
	s_and_saveexec_b32 s0, s11
.LBB295_659:
	v_lshrrev_b32_e32 v7, 24, v7
	s_delay_alu instid0(VALU_DEP_1)
	v_and_or_b32 v9, 0x80, v7, v10
.LBB295_660:
	s_or_b32 exec_lo, exec_lo, s0
.LBB295_661:
	s_delay_alu instid0(SALU_CYCLE_1)
	s_or_b32 exec_lo, exec_lo, s10
.LBB295_662:
	s_delay_alu instid0(SALU_CYCLE_1)
	s_or_b32 exec_lo, exec_lo, s9
                                        ; implicit-def: $vgpr10_vgpr11
.LBB295_663:
	s_and_not1_saveexec_b32 s8, s8
	s_cbranch_execz .LBB295_671
; %bb.664:
	flat_load_b32 v7, v[10:11]
	s_wait_loadcnt_dscnt 0x101
	v_mov_b32_e32 v9, 0x80
	s_mov_b32 s9, exec_lo
	s_wait_loadcnt_dscnt 0x0
	v_cvt_f32_f16_e32 v7, v7
	s_wait_xcnt 0x0
	s_delay_alu instid0(VALU_DEP_1) | instskip(NEXT) | instid1(VALU_DEP_1)
	v_and_b32_e32 v10, 0x7fffffff, v7
	v_cmpx_gt_u32_e32 0x43800000, v10
	s_cbranch_execz .LBB295_670
; %bb.665:
	v_cmp_lt_u32_e64 s0, 0x3bffffff, v10
	s_mov_b32 s10, 0
                                        ; implicit-def: $vgpr10
	s_and_saveexec_b32 s11, s0
	s_delay_alu instid0(SALU_CYCLE_1)
	s_xor_b32 s0, exec_lo, s11
	s_cbranch_execz .LBB295_2329
; %bb.666:
	v_bfe_u32 v9, v7, 20, 1
	s_mov_b32 s10, exec_lo
	s_delay_alu instid0(VALU_DEP_1) | instskip(NEXT) | instid1(VALU_DEP_1)
	v_add3_u32 v9, v7, v9, 0x487ffff
	v_lshrrev_b32_e32 v10, 20, v9
	s_and_not1_saveexec_b32 s11, s0
	s_cbranch_execnz .LBB295_2330
.LBB295_667:
	s_or_b32 exec_lo, exec_lo, s11
	v_mov_b32_e32 v9, 0
	s_and_saveexec_b32 s0, s10
.LBB295_668:
	v_lshrrev_b32_e32 v7, 24, v7
	s_delay_alu instid0(VALU_DEP_1)
	v_and_or_b32 v9, 0x80, v7, v10
.LBB295_669:
	s_or_b32 exec_lo, exec_lo, s0
.LBB295_670:
	s_delay_alu instid0(SALU_CYCLE_1)
	s_or_b32 exec_lo, exec_lo, s9
.LBB295_671:
	s_delay_alu instid0(SALU_CYCLE_1)
	s_or_b32 exec_lo, exec_lo, s8
                                        ; implicit-def: $vgpr10_vgpr11
.LBB295_672:
	s_and_not1_saveexec_b32 s7, s7
	s_cbranch_execz .LBB295_700
; %bb.673:
	s_mov_b32 s8, exec_lo
                                        ; implicit-def: $vgpr9
	v_cmpx_lt_i16_e32 5, v15
	s_xor_b32 s8, exec_lo, s8
	s_cbranch_execz .LBB295_691
; %bb.674:
	s_mov_b32 s9, exec_lo
                                        ; implicit-def: $vgpr9
	v_cmpx_lt_i16_e32 6, v15
	s_xor_b32 s9, exec_lo, s9
	s_cbranch_execz .LBB295_682
; %bb.675:
	flat_load_b64 v[10:11], v[10:11]
	s_wait_loadcnt_dscnt 0x101
	v_mov_b32_e32 v9, 0x80
	s_mov_b32 s10, exec_lo
	s_wait_loadcnt_dscnt 0x0
	v_cvt_f32_f64_e32 v7, v[10:11]
	s_wait_xcnt 0x0
	s_delay_alu instid0(VALU_DEP_1) | instskip(NEXT) | instid1(VALU_DEP_1)
	v_and_b32_e32 v10, 0x7fffffff, v7
	v_cmpx_gt_u32_e32 0x43800000, v10
	s_cbranch_execz .LBB295_681
; %bb.676:
	v_cmp_lt_u32_e64 s0, 0x3bffffff, v10
	s_mov_b32 s11, 0
                                        ; implicit-def: $vgpr10
	s_and_saveexec_b32 s12, s0
	s_delay_alu instid0(SALU_CYCLE_1)
	s_xor_b32 s0, exec_lo, s12
	s_cbranch_execz .LBB295_2420
; %bb.677:
	v_bfe_u32 v9, v7, 20, 1
	s_mov_b32 s11, exec_lo
	s_delay_alu instid0(VALU_DEP_1) | instskip(NEXT) | instid1(VALU_DEP_1)
	v_add3_u32 v9, v7, v9, 0x487ffff
	v_lshrrev_b32_e32 v10, 20, v9
	s_and_not1_saveexec_b32 s12, s0
	s_cbranch_execnz .LBB295_2421
.LBB295_678:
	s_or_b32 exec_lo, exec_lo, s12
	v_mov_b32_e32 v9, 0
	s_and_saveexec_b32 s0, s11
.LBB295_679:
	v_lshrrev_b32_e32 v7, 24, v7
	s_delay_alu instid0(VALU_DEP_1)
	v_and_or_b32 v9, 0x80, v7, v10
.LBB295_680:
	s_or_b32 exec_lo, exec_lo, s0
.LBB295_681:
	s_delay_alu instid0(SALU_CYCLE_1)
	s_or_b32 exec_lo, exec_lo, s10
                                        ; implicit-def: $vgpr10_vgpr11
.LBB295_682:
	s_and_not1_saveexec_b32 s9, s9
	s_cbranch_execz .LBB295_690
; %bb.683:
	flat_load_b32 v7, v[10:11]
	s_wait_loadcnt_dscnt 0x101
	v_mov_b32_e32 v9, 0x80
	s_mov_b32 s10, exec_lo
	s_wait_loadcnt_dscnt 0x0
	v_and_b32_e32 v10, 0x7fffffff, v7
	s_delay_alu instid0(VALU_DEP_1)
	v_cmpx_gt_u32_e32 0x43800000, v10
	s_cbranch_execz .LBB295_689
; %bb.684:
	v_cmp_lt_u32_e64 s0, 0x3bffffff, v10
	s_mov_b32 s11, 0
                                        ; implicit-def: $vgpr10
	s_and_saveexec_b32 s12, s0
	s_delay_alu instid0(SALU_CYCLE_1)
	s_xor_b32 s0, exec_lo, s12
	s_cbranch_execz .LBB295_2422
; %bb.685:
	v_bfe_u32 v9, v7, 20, 1
	s_mov_b32 s11, exec_lo
	s_delay_alu instid0(VALU_DEP_1) | instskip(NEXT) | instid1(VALU_DEP_1)
	v_add3_u32 v9, v7, v9, 0x487ffff
	v_lshrrev_b32_e32 v10, 20, v9
	s_and_not1_saveexec_b32 s12, s0
	s_cbranch_execnz .LBB295_2423
.LBB295_686:
	s_or_b32 exec_lo, exec_lo, s12
	v_mov_b32_e32 v9, 0
	s_and_saveexec_b32 s0, s11
.LBB295_687:
	v_lshrrev_b32_e32 v7, 24, v7
	s_delay_alu instid0(VALU_DEP_1)
	v_and_or_b32 v9, 0x80, v7, v10
.LBB295_688:
	s_or_b32 exec_lo, exec_lo, s0
.LBB295_689:
	s_delay_alu instid0(SALU_CYCLE_1)
	s_or_b32 exec_lo, exec_lo, s10
.LBB295_690:
	s_delay_alu instid0(SALU_CYCLE_1)
	s_or_b32 exec_lo, exec_lo, s9
                                        ; implicit-def: $vgpr10_vgpr11
.LBB295_691:
	s_and_not1_saveexec_b32 s8, s8
	s_cbranch_execz .LBB295_699
; %bb.692:
	flat_load_u16 v7, v[10:11]
	s_wait_loadcnt_dscnt 0x101
	v_mov_b32_e32 v9, 0x80
	s_mov_b32 s9, exec_lo
	s_wait_loadcnt_dscnt 0x0
	v_cvt_f32_f16_e32 v7, v7
	s_wait_xcnt 0x0
	s_delay_alu instid0(VALU_DEP_1) | instskip(NEXT) | instid1(VALU_DEP_1)
	v_and_b32_e32 v10, 0x7fffffff, v7
	v_cmpx_gt_u32_e32 0x43800000, v10
	s_cbranch_execz .LBB295_698
; %bb.693:
	v_cmp_lt_u32_e64 s0, 0x3bffffff, v10
	s_mov_b32 s10, 0
                                        ; implicit-def: $vgpr10
	s_and_saveexec_b32 s11, s0
	s_delay_alu instid0(SALU_CYCLE_1)
	s_xor_b32 s0, exec_lo, s11
	s_cbranch_execz .LBB295_2331
; %bb.694:
	v_bfe_u32 v9, v7, 20, 1
	s_mov_b32 s10, exec_lo
	s_delay_alu instid0(VALU_DEP_1) | instskip(NEXT) | instid1(VALU_DEP_1)
	v_add3_u32 v9, v7, v9, 0x487ffff
	v_lshrrev_b32_e32 v10, 20, v9
	s_and_not1_saveexec_b32 s11, s0
	s_cbranch_execnz .LBB295_2332
.LBB295_695:
	s_or_b32 exec_lo, exec_lo, s11
	v_mov_b32_e32 v9, 0
	s_and_saveexec_b32 s0, s10
.LBB295_696:
	v_lshrrev_b32_e32 v7, 24, v7
	s_delay_alu instid0(VALU_DEP_1)
	v_and_or_b32 v9, 0x80, v7, v10
.LBB295_697:
	s_or_b32 exec_lo, exec_lo, s0
.LBB295_698:
	s_delay_alu instid0(SALU_CYCLE_1)
	s_or_b32 exec_lo, exec_lo, s9
.LBB295_699:
	s_delay_alu instid0(SALU_CYCLE_1)
	s_or_b32 exec_lo, exec_lo, s8
.LBB295_700:
	s_delay_alu instid0(SALU_CYCLE_1)
	s_or_b32 exec_lo, exec_lo, s7
                                        ; implicit-def: $vgpr10_vgpr11
.LBB295_701:
	s_and_not1_saveexec_b32 s5, s5
	s_cbranch_execz .LBB295_749
; %bb.702:
	s_mov_b32 s7, exec_lo
                                        ; implicit-def: $vgpr9
	v_cmpx_lt_i16_e32 1, v15
	s_xor_b32 s7, exec_lo, s7
	s_cbranch_execz .LBB295_730
; %bb.703:
	s_mov_b32 s8, exec_lo
                                        ; implicit-def: $vgpr9
	v_cmpx_lt_i16_e32 2, v15
	s_xor_b32 s8, exec_lo, s8
	;; [unrolled: 6-line block ×3, first 2 shown]
	s_cbranch_execz .LBB295_712
; %bb.705:
	flat_load_b64 v[10:11], v[10:11]
	s_mov_b32 s10, exec_lo
	s_wait_loadcnt_dscnt 0x0
	v_xor_b32_e32 v7, v10, v11
	v_cls_i32_e32 v9, v11
	s_delay_alu instid0(VALU_DEP_2) | instskip(NEXT) | instid1(VALU_DEP_1)
	v_ashrrev_i32_e32 v7, 31, v7
	v_add_nc_u32_e32 v7, 32, v7
	s_delay_alu instid0(VALU_DEP_1) | instskip(SKIP_1) | instid1(VALU_DEP_1)
	v_add_min_u32_e64 v7, v9, -1, v7
	s_wait_xcnt 0x0
	v_lshlrev_b64_e32 v[10:11], v7, v[10:11]
	v_sub_nc_u32_e32 v7, 32, v7
	s_delay_alu instid0(VALU_DEP_2) | instskip(NEXT) | instid1(VALU_DEP_1)
	v_min_u32_e32 v9, 1, v10
	v_or_b32_e32 v9, v11, v9
	s_delay_alu instid0(VALU_DEP_1) | instskip(NEXT) | instid1(VALU_DEP_1)
	v_cvt_f32_i32_e32 v9, v9
	v_ldexp_f32 v7, v9, v7
	v_mov_b32_e32 v9, 0x80
	s_delay_alu instid0(VALU_DEP_2) | instskip(NEXT) | instid1(VALU_DEP_1)
	v_and_b32_e32 v10, 0x7fffffff, v7
	v_cmpx_gt_u32_e32 0x43800000, v10
	s_cbranch_execz .LBB295_711
; %bb.706:
	v_cmp_lt_u32_e64 s0, 0x3bffffff, v10
	s_mov_b32 s11, 0
                                        ; implicit-def: $vgpr10
	s_and_saveexec_b32 s12, s0
	s_delay_alu instid0(SALU_CYCLE_1)
	s_xor_b32 s0, exec_lo, s12
	s_cbranch_execz .LBB295_2424
; %bb.707:
	v_bfe_u32 v9, v7, 20, 1
	s_mov_b32 s11, exec_lo
	s_delay_alu instid0(VALU_DEP_1) | instskip(NEXT) | instid1(VALU_DEP_1)
	v_add3_u32 v9, v7, v9, 0x487ffff
	v_lshrrev_b32_e32 v10, 20, v9
	s_and_not1_saveexec_b32 s12, s0
	s_cbranch_execnz .LBB295_2425
.LBB295_708:
	s_or_b32 exec_lo, exec_lo, s12
	v_mov_b32_e32 v9, 0
	s_and_saveexec_b32 s0, s11
.LBB295_709:
	v_lshrrev_b32_e32 v7, 24, v7
	s_delay_alu instid0(VALU_DEP_1)
	v_and_or_b32 v9, 0x80, v7, v10
.LBB295_710:
	s_or_b32 exec_lo, exec_lo, s0
.LBB295_711:
	s_delay_alu instid0(SALU_CYCLE_1)
	s_or_b32 exec_lo, exec_lo, s10
                                        ; implicit-def: $vgpr10_vgpr11
.LBB295_712:
	s_and_not1_saveexec_b32 s9, s9
	s_cbranch_execz .LBB295_720
; %bb.713:
	flat_load_b32 v7, v[10:11]
	s_wait_loadcnt_dscnt 0x101
	v_mov_b32_e32 v9, 0x80
	s_mov_b32 s10, exec_lo
	s_wait_loadcnt_dscnt 0x0
	v_cvt_f32_i32_e32 v7, v7
	s_wait_xcnt 0x0
	s_delay_alu instid0(VALU_DEP_1) | instskip(NEXT) | instid1(VALU_DEP_1)
	v_and_b32_e32 v10, 0x7fffffff, v7
	v_cmpx_gt_u32_e32 0x43800000, v10
	s_cbranch_execz .LBB295_719
; %bb.714:
	v_cmp_lt_u32_e64 s0, 0x3bffffff, v10
	s_mov_b32 s11, 0
                                        ; implicit-def: $vgpr10
	s_and_saveexec_b32 s12, s0
	s_delay_alu instid0(SALU_CYCLE_1)
	s_xor_b32 s0, exec_lo, s12
	s_cbranch_execz .LBB295_2426
; %bb.715:
	v_bfe_u32 v9, v7, 20, 1
	s_mov_b32 s11, exec_lo
	s_delay_alu instid0(VALU_DEP_1) | instskip(NEXT) | instid1(VALU_DEP_1)
	v_add3_u32 v9, v7, v9, 0x487ffff
	v_lshrrev_b32_e32 v10, 20, v9
	s_and_not1_saveexec_b32 s12, s0
	s_cbranch_execnz .LBB295_2427
.LBB295_716:
	s_or_b32 exec_lo, exec_lo, s12
	v_mov_b32_e32 v9, 0
	s_and_saveexec_b32 s0, s11
.LBB295_717:
	v_lshrrev_b32_e32 v7, 24, v7
	s_delay_alu instid0(VALU_DEP_1)
	v_and_or_b32 v9, 0x80, v7, v10
.LBB295_718:
	s_or_b32 exec_lo, exec_lo, s0
.LBB295_719:
	s_delay_alu instid0(SALU_CYCLE_1)
	s_or_b32 exec_lo, exec_lo, s10
.LBB295_720:
	s_delay_alu instid0(SALU_CYCLE_1)
	s_or_b32 exec_lo, exec_lo, s9
                                        ; implicit-def: $vgpr10_vgpr11
.LBB295_721:
	s_and_not1_saveexec_b32 s8, s8
	s_cbranch_execz .LBB295_729
; %bb.722:
	flat_load_i16 v7, v[10:11]
	s_wait_loadcnt_dscnt 0x101
	v_mov_b32_e32 v9, 0x80
	s_mov_b32 s9, exec_lo
	s_wait_loadcnt_dscnt 0x0
	v_cvt_f32_i32_e32 v7, v7
	s_wait_xcnt 0x0
	s_delay_alu instid0(VALU_DEP_1) | instskip(NEXT) | instid1(VALU_DEP_1)
	v_and_b32_e32 v10, 0x7fffffff, v7
	v_cmpx_gt_u32_e32 0x43800000, v10
	s_cbranch_execz .LBB295_728
; %bb.723:
	v_cmp_lt_u32_e64 s0, 0x3bffffff, v10
	s_mov_b32 s10, 0
                                        ; implicit-def: $vgpr10
	s_and_saveexec_b32 s11, s0
	s_delay_alu instid0(SALU_CYCLE_1)
	s_xor_b32 s0, exec_lo, s11
	s_cbranch_execz .LBB295_2333
; %bb.724:
	v_bfe_u32 v9, v7, 20, 1
	s_mov_b32 s10, exec_lo
	s_delay_alu instid0(VALU_DEP_1) | instskip(NEXT) | instid1(VALU_DEP_1)
	v_add3_u32 v9, v7, v9, 0x487ffff
	v_lshrrev_b32_e32 v10, 20, v9
	s_and_not1_saveexec_b32 s11, s0
	s_cbranch_execnz .LBB295_2334
.LBB295_725:
	s_or_b32 exec_lo, exec_lo, s11
	v_mov_b32_e32 v9, 0
	s_and_saveexec_b32 s0, s10
.LBB295_726:
	v_lshrrev_b32_e32 v7, 24, v7
	s_delay_alu instid0(VALU_DEP_1)
	v_and_or_b32 v9, 0x80, v7, v10
.LBB295_727:
	s_or_b32 exec_lo, exec_lo, s0
.LBB295_728:
	s_delay_alu instid0(SALU_CYCLE_1)
	s_or_b32 exec_lo, exec_lo, s9
.LBB295_729:
	s_delay_alu instid0(SALU_CYCLE_1)
	s_or_b32 exec_lo, exec_lo, s8
                                        ; implicit-def: $vgpr10_vgpr11
.LBB295_730:
	s_and_not1_saveexec_b32 s7, s7
	s_cbranch_execz .LBB295_748
; %bb.731:
	s_mov_b32 s8, exec_lo
                                        ; implicit-def: $vgpr9
	v_cmpx_lt_i16_e32 0, v15
	s_xor_b32 s8, exec_lo, s8
	s_cbranch_execz .LBB295_739
; %bb.732:
	flat_load_i8 v7, v[10:11]
	s_wait_loadcnt_dscnt 0x101
	v_mov_b32_e32 v9, 0x80
	s_mov_b32 s9, exec_lo
	s_wait_loadcnt_dscnt 0x0
	v_cvt_f32_i32_e32 v7, v7
	s_wait_xcnt 0x0
	s_delay_alu instid0(VALU_DEP_1) | instskip(NEXT) | instid1(VALU_DEP_1)
	v_and_b32_e32 v10, 0x7fffffff, v7
	v_cmpx_gt_u32_e32 0x43800000, v10
	s_cbranch_execz .LBB295_738
; %bb.733:
	v_cmp_lt_u32_e64 s0, 0x3bffffff, v10
	s_mov_b32 s10, 0
                                        ; implicit-def: $vgpr10
	s_and_saveexec_b32 s11, s0
	s_delay_alu instid0(SALU_CYCLE_1)
	s_xor_b32 s0, exec_lo, s11
	s_cbranch_execz .LBB295_2335
; %bb.734:
	v_bfe_u32 v9, v7, 20, 1
	s_mov_b32 s10, exec_lo
	s_delay_alu instid0(VALU_DEP_1) | instskip(NEXT) | instid1(VALU_DEP_1)
	v_add3_u32 v9, v7, v9, 0x487ffff
	v_lshrrev_b32_e32 v10, 20, v9
	s_and_not1_saveexec_b32 s11, s0
	s_cbranch_execnz .LBB295_2336
.LBB295_735:
	s_or_b32 exec_lo, exec_lo, s11
	v_mov_b32_e32 v9, 0
	s_and_saveexec_b32 s0, s10
.LBB295_736:
	v_lshrrev_b32_e32 v7, 24, v7
	s_delay_alu instid0(VALU_DEP_1)
	v_and_or_b32 v9, 0x80, v7, v10
.LBB295_737:
	s_or_b32 exec_lo, exec_lo, s0
.LBB295_738:
	s_delay_alu instid0(SALU_CYCLE_1)
	s_or_b32 exec_lo, exec_lo, s9
                                        ; implicit-def: $vgpr10_vgpr11
.LBB295_739:
	s_and_not1_saveexec_b32 s8, s8
	s_cbranch_execz .LBB295_747
; %bb.740:
	flat_load_u8 v7, v[10:11]
	s_wait_loadcnt_dscnt 0x101
	v_mov_b32_e32 v9, 0x80
	s_mov_b32 s9, exec_lo
	s_wait_loadcnt_dscnt 0x0
	v_cvt_f32_ubyte0_e32 v10, v7
	s_delay_alu instid0(VALU_DEP_1)
	v_cmpx_gt_u32_e32 0x43800000, v10
	s_cbranch_execz .LBB295_746
; %bb.741:
	v_cmp_lt_u32_e64 s0, 0x3bffffff, v10
	s_mov_b32 s10, 0
                                        ; implicit-def: $vgpr7
	s_and_saveexec_b32 s11, s0
	s_delay_alu instid0(SALU_CYCLE_1)
	s_xor_b32 s0, exec_lo, s11
	s_cbranch_execz .LBB295_2337
; %bb.742:
	v_bfe_u32 v7, v10, 20, 1
	s_mov_b32 s10, exec_lo
	s_delay_alu instid0(VALU_DEP_1) | instskip(NEXT) | instid1(VALU_DEP_1)
	v_add3_u32 v7, v10, v7, 0x487ffff
                                        ; implicit-def: $vgpr10
	v_lshrrev_b32_e32 v7, 20, v7
	s_and_not1_saveexec_b32 s11, s0
	s_cbranch_execnz .LBB295_2338
.LBB295_743:
	s_or_b32 exec_lo, exec_lo, s11
	v_mov_b32_e32 v9, 0
	s_and_saveexec_b32 s0, s10
.LBB295_744:
	v_mov_b32_e32 v9, v7
.LBB295_745:
	s_or_b32 exec_lo, exec_lo, s0
.LBB295_746:
	s_delay_alu instid0(SALU_CYCLE_1)
	s_or_b32 exec_lo, exec_lo, s9
.LBB295_747:
	s_delay_alu instid0(SALU_CYCLE_1)
	s_or_b32 exec_lo, exec_lo, s8
.LBB295_748:
	s_delay_alu instid0(SALU_CYCLE_1)
	s_or_b32 exec_lo, exec_lo, s7
.LBB295_749:
	s_delay_alu instid0(SALU_CYCLE_1) | instskip(NEXT) | instid1(SALU_CYCLE_1)
	s_or_b32 exec_lo, exec_lo, s5
	s_or_b32 s6, s6, exec_lo
.LBB295_750:
	s_or_b32 exec_lo, exec_lo, s1
	s_mov_b32 s0, 0
	s_mov_b32 s7, 0
                                        ; implicit-def: $sgpr18
                                        ; implicit-def: $vgpr12_vgpr13
                                        ; implicit-def: $vgpr7
	s_and_saveexec_b32 s5, s6
	s_cbranch_execz .LBB295_1846
; %bb.751:
	v_cmp_ne_u32_e64 s0, 0, v17
                                        ; implicit-def: $sgpr7
	s_and_saveexec_b32 s1, s0
	s_delay_alu instid0(SALU_CYCLE_1)
	s_xor_b32 s6, exec_lo, s1
	s_cbranch_execz .LBB295_765
; %bb.752:
	s_wait_dscnt 0x0
	v_and_b32_e32 v10, 0xff, v21
	s_mov_b32 s7, 0
	s_mov_b32 s8, exec_lo
	s_delay_alu instid0(VALU_DEP_1)
	v_cmpx_lt_i16_e32 0x7f, v10
	s_xor_b32 s8, exec_lo, s8
	s_cbranch_execz .LBB295_2122
; %bb.753:
	s_mov_b32 s7, -1
	s_mov_b32 s9, exec_lo
	v_cmpx_eq_u16_e32 0x80, v10
; %bb.754:
	s_xor_b32 s7, exec_lo, -1
; %bb.755:
	s_or_b32 exec_lo, exec_lo, s9
	s_delay_alu instid0(SALU_CYCLE_1)
	s_and_b32 s7, s7, exec_lo
                                        ; implicit-def: $vgpr10
	s_or_saveexec_b32 s8, s8
	v_mov_b32_e32 v7, 0x7f800001
	s_xor_b32 exec_lo, exec_lo, s8
	s_cbranch_execnz .LBB295_2123
.LBB295_756:
	s_or_b32 exec_lo, exec_lo, s8
	s_and_saveexec_b32 s8, s7
	s_cbranch_execz .LBB295_758
.LBB295_757:
	v_and_b32_e32 v7, 7, v21
	v_lshrrev_b16 v11, 3, v21
	v_lshlrev_b32_e32 v13, 24, v21
	s_delay_alu instid0(VALU_DEP_3) | instskip(NEXT) | instid1(VALU_DEP_1)
	v_clz_i32_u32_e32 v10, v7
	v_min_u32_e32 v10, 32, v10
	s_delay_alu instid0(VALU_DEP_4) | instskip(NEXT) | instid1(VALU_DEP_2)
	v_and_b32_e32 v11, 15, v11
	v_subrev_nc_u32_e32 v12, 28, v10
	v_sub_nc_u32_e32 v10, 29, v10
	s_delay_alu instid0(VALU_DEP_3) | instskip(NEXT) | instid1(VALU_DEP_3)
	v_cmp_eq_u32_e64 s1, 0, v11
	v_lshlrev_b32_e32 v12, v12, v21
	s_delay_alu instid0(VALU_DEP_1) | instskip(NEXT) | instid1(VALU_DEP_1)
	v_and_b32_e32 v12, 7, v12
	v_cndmask_b32_e64 v7, v7, v12, s1
	v_cndmask_b32_e64 v10, v11, v10, s1
	v_and_b32_e32 v11, 0x80000000, v13
	s_delay_alu instid0(VALU_DEP_3) | instskip(NEXT) | instid1(VALU_DEP_3)
	v_lshlrev_b32_e32 v7, 20, v7
	v_lshl_add_u32 v10, v10, 23, 0x3b800000
	s_delay_alu instid0(VALU_DEP_1)
	v_or3_b32 v7, v11, v10, v7
.LBB295_758:
	s_or_b32 exec_lo, exec_lo, s8
	s_wait_loadcnt 0x0
	v_and_b32_e32 v11, 0xff, v9
	s_mov_b32 s7, 0
	s_mov_b32 s8, exec_lo
	s_delay_alu instid0(VALU_DEP_1)
	v_cmpx_lt_i16_e32 0x7f, v11
	s_xor_b32 s8, exec_lo, s8
	s_cbranch_execz .LBB295_2124
; %bb.759:
	s_mov_b32 s7, -1
	s_mov_b32 s9, exec_lo
	v_cmpx_eq_u16_e32 0x80, v11
; %bb.760:
	s_xor_b32 s7, exec_lo, -1
; %bb.761:
	s_or_b32 exec_lo, exec_lo, s9
	s_delay_alu instid0(SALU_CYCLE_1)
	s_and_b32 s7, s7, exec_lo
                                        ; implicit-def: $vgpr11
	s_or_saveexec_b32 s8, s8
	v_mov_b32_e32 v10, 0x7f800001
	s_xor_b32 exec_lo, exec_lo, s8
	s_cbranch_execnz .LBB295_2125
.LBB295_762:
	s_or_b32 exec_lo, exec_lo, s8
	s_and_saveexec_b32 s8, s7
	s_cbranch_execz .LBB295_764
.LBB295_763:
	v_and_b32_e32 v10, 7, v9
	v_lshrrev_b16 v12, 3, v9
	s_delay_alu instid0(VALU_DEP_2) | instskip(NEXT) | instid1(VALU_DEP_1)
	v_clz_i32_u32_e32 v11, v10
	v_min_u32_e32 v11, 32, v11
	s_delay_alu instid0(VALU_DEP_3) | instskip(NEXT) | instid1(VALU_DEP_2)
	v_and_b32_e32 v12, 15, v12
	v_subrev_nc_u32_e32 v13, 28, v11
	v_sub_nc_u32_e32 v11, 29, v11
	s_delay_alu instid0(VALU_DEP_3) | instskip(NEXT) | instid1(VALU_DEP_1)
	v_cmp_eq_u32_e64 s1, 0, v12
	v_dual_lshlrev_b32 v13, v13, v9 :: v_dual_cndmask_b32 v11, v12, v11, s1
	s_delay_alu instid0(VALU_DEP_1) | instskip(NEXT) | instid1(VALU_DEP_2)
	v_and_b32_e32 v13, 7, v13
	v_lshl_add_u32 v11, v11, 23, 0x3b800000
	s_delay_alu instid0(VALU_DEP_2) | instskip(NEXT) | instid1(VALU_DEP_1)
	v_cndmask_b32_e64 v10, v10, v13, s1
	v_dual_lshlrev_b32 v9, 24, v9 :: v_dual_lshlrev_b32 v10, 20, v10
	s_delay_alu instid0(VALU_DEP_1) | instskip(NEXT) | instid1(VALU_DEP_1)
	v_and_b32_e32 v9, 0x80000000, v9
	v_or3_b32 v10, v9, v11, v10
.LBB295_764:
	s_or_b32 exec_lo, exec_lo, s8
	s_delay_alu instid0(VALU_DEP_1)
	v_cmp_neq_f32_e64 s7, v7, v10
                                        ; implicit-def: $vgpr9
                                        ; implicit-def: $vgpr21
.LBB295_765:
	s_and_not1_saveexec_b32 s6, s6
	s_cbranch_execz .LBB295_779
; %bb.766:
	s_wait_dscnt 0x0
	v_and_b32_e32 v10, 0xff, v21
	s_mov_b32 s8, 0
	s_mov_b32 s9, exec_lo
	s_delay_alu instid0(VALU_DEP_1)
	v_cmpx_lt_i16_e32 0x7f, v10
	s_xor_b32 s9, exec_lo, s9
	s_cbranch_execz .LBB295_2126
; %bb.767:
	s_mov_b32 s8, -1
	s_mov_b32 s10, exec_lo
	v_cmpx_eq_u16_e32 0x80, v10
; %bb.768:
	s_xor_b32 s8, exec_lo, -1
; %bb.769:
	s_or_b32 exec_lo, exec_lo, s10
	s_delay_alu instid0(SALU_CYCLE_1)
	s_and_b32 s8, s8, exec_lo
                                        ; implicit-def: $vgpr10
	s_or_saveexec_b32 s9, s9
	v_mov_b32_e32 v7, 0x7f800001
	s_xor_b32 exec_lo, exec_lo, s9
	s_cbranch_execnz .LBB295_2127
.LBB295_770:
	s_or_b32 exec_lo, exec_lo, s9
	s_and_saveexec_b32 s9, s8
	s_cbranch_execz .LBB295_772
.LBB295_771:
	v_and_b32_e32 v7, 7, v21
	v_lshrrev_b16 v11, 3, v21
	v_lshlrev_b32_e32 v13, 24, v21
	s_delay_alu instid0(VALU_DEP_3) | instskip(NEXT) | instid1(VALU_DEP_1)
	v_clz_i32_u32_e32 v10, v7
	v_min_u32_e32 v10, 32, v10
	s_delay_alu instid0(VALU_DEP_4) | instskip(NEXT) | instid1(VALU_DEP_2)
	v_and_b32_e32 v11, 15, v11
	v_subrev_nc_u32_e32 v12, 28, v10
	v_sub_nc_u32_e32 v10, 29, v10
	s_delay_alu instid0(VALU_DEP_3) | instskip(NEXT) | instid1(VALU_DEP_3)
	v_cmp_eq_u32_e64 s1, 0, v11
	v_lshlrev_b32_e32 v12, v12, v21
	s_delay_alu instid0(VALU_DEP_1) | instskip(NEXT) | instid1(VALU_DEP_1)
	v_and_b32_e32 v12, 7, v12
	v_cndmask_b32_e64 v7, v7, v12, s1
	v_cndmask_b32_e64 v10, v11, v10, s1
	v_and_b32_e32 v11, 0x80000000, v13
	s_delay_alu instid0(VALU_DEP_3) | instskip(NEXT) | instid1(VALU_DEP_3)
	v_lshlrev_b32_e32 v7, 20, v7
	v_lshl_add_u32 v10, v10, 23, 0x3b800000
	s_delay_alu instid0(VALU_DEP_1)
	v_or3_b32 v7, v11, v10, v7
.LBB295_772:
	s_or_b32 exec_lo, exec_lo, s9
	s_wait_loadcnt 0x0
	v_and_b32_e32 v11, 0xff, v9
	s_mov_b32 s8, 0
	s_mov_b32 s9, exec_lo
	s_delay_alu instid0(VALU_DEP_1)
	v_cmpx_lt_i16_e32 0x7f, v11
	s_xor_b32 s9, exec_lo, s9
	s_cbranch_execz .LBB295_2128
; %bb.773:
	s_mov_b32 s8, -1
	s_mov_b32 s10, exec_lo
	v_cmpx_eq_u16_e32 0x80, v11
; %bb.774:
	s_xor_b32 s8, exec_lo, -1
; %bb.775:
	s_or_b32 exec_lo, exec_lo, s10
	s_delay_alu instid0(SALU_CYCLE_1)
	s_and_b32 s8, s8, exec_lo
                                        ; implicit-def: $vgpr11
	s_or_saveexec_b32 s9, s9
	v_mov_b32_e32 v10, 0x7f800001
	s_xor_b32 exec_lo, exec_lo, s9
	s_cbranch_execnz .LBB295_2129
.LBB295_776:
	s_or_b32 exec_lo, exec_lo, s9
	s_and_saveexec_b32 s9, s8
	s_cbranch_execz .LBB295_778
.LBB295_777:
	v_and_b32_e32 v10, 7, v9
	v_lshrrev_b16 v12, 3, v9
	s_delay_alu instid0(VALU_DEP_2) | instskip(NEXT) | instid1(VALU_DEP_1)
	v_clz_i32_u32_e32 v11, v10
	v_min_u32_e32 v11, 32, v11
	s_delay_alu instid0(VALU_DEP_3) | instskip(NEXT) | instid1(VALU_DEP_2)
	v_and_b32_e32 v12, 15, v12
	v_subrev_nc_u32_e32 v13, 28, v11
	v_sub_nc_u32_e32 v11, 29, v11
	s_delay_alu instid0(VALU_DEP_3) | instskip(NEXT) | instid1(VALU_DEP_1)
	v_cmp_eq_u32_e64 s1, 0, v12
	v_dual_lshlrev_b32 v13, v13, v9 :: v_dual_cndmask_b32 v11, v12, v11, s1
	s_delay_alu instid0(VALU_DEP_1) | instskip(NEXT) | instid1(VALU_DEP_2)
	v_and_b32_e32 v13, 7, v13
	v_lshl_add_u32 v11, v11, 23, 0x3b800000
	s_delay_alu instid0(VALU_DEP_2) | instskip(NEXT) | instid1(VALU_DEP_1)
	v_cndmask_b32_e64 v10, v10, v13, s1
	v_dual_lshlrev_b32 v9, 24, v9 :: v_dual_lshlrev_b32 v10, 20, v10
	s_delay_alu instid0(VALU_DEP_1) | instskip(NEXT) | instid1(VALU_DEP_1)
	v_and_b32_e32 v9, 0x80000000, v9
	v_or3_b32 v10, v9, v11, v10
.LBB295_778:
	s_or_b32 exec_lo, exec_lo, s9
	s_delay_alu instid0(VALU_DEP_1) | instskip(SKIP_2) | instid1(SALU_CYCLE_1)
	v_cmp_eq_f32_e64 s1, v7, v10
	s_and_not1_b32 s7, s7, exec_lo
	s_and_b32 s1, s1, exec_lo
	s_or_b32 s7, s7, s1
.LBB295_779:
	s_or_b32 exec_lo, exec_lo, s6
	v_lshlrev_b32_e32 v17, 7, v19
	s_mov_b32 s9, 0
	s_mov_b32 s6, s4
	s_mov_b32 s8, exec_lo
                                        ; implicit-def: $vgpr19
	s_delay_alu instid0(VALU_DEP_1) | instskip(NEXT) | instid1(VALU_DEP_1)
	v_add_nc_u32_e32 v10, v6, v17
	v_ashrrev_i32_e32 v11, 31, v10
	s_delay_alu instid0(VALU_DEP_1)
	v_add_nc_u64_e32 v[6:7], v[4:5], v[10:11]
	v_cmpx_lt_i16_e32 10, v18
	s_xor_b32 s8, exec_lo, s8
	s_cbranch_execz .LBB295_848
; %bb.780:
	s_mov_b32 s6, 0
	s_mov_b32 s11, 0
	s_mov_b32 s10, exec_lo
                                        ; implicit-def: $vgpr19
	v_cmpx_lt_i16_e32 25, v18
	s_xor_b32 s10, exec_lo, s10
	s_cbranch_execz .LBB295_2130
; %bb.781:
	s_mov_b32 s12, 0
	s_mov_b32 s9, exec_lo
                                        ; implicit-def: $vgpr19
	v_cmpx_lt_i16_e32 28, v18
	s_xor_b32 s9, exec_lo, s9
	s_cbranch_execz .LBB295_815
; %bb.782:
	s_mov_b32 s13, 0
	s_mov_b32 s14, 0
	s_mov_b32 s11, exec_lo
                                        ; implicit-def: $vgpr19
	v_cmpx_lt_i16_e32 43, v18
	s_xor_b32 s11, exec_lo, s11
	s_cbranch_execz .LBB295_804
; %bb.783:
	s_mov_b32 s14, exec_lo
                                        ; implicit-def: $vgpr19
	v_cmpx_lt_i16_e32 45, v18
	s_xor_b32 s14, exec_lo, s14
	s_cbranch_execz .LBB295_793
; %bb.784:
	s_mov_b32 s17, -1
	s_mov_b32 s12, exec_lo
                                        ; implicit-def: $vgpr19
	v_cmpx_eq_u16_e32 46, v18
	s_cbranch_execz .LBB295_792
; %bb.785:
	s_wait_loadcnt_dscnt 0x0
	flat_load_b32 v9, v[6:7]
	v_mov_b32_e32 v19, 0x80
	s_mov_b32 s13, exec_lo
	s_wait_loadcnt_dscnt 0x0
	v_lshlrev_b32_e32 v9, 16, v9
	s_delay_alu instid0(VALU_DEP_1) | instskip(SKIP_1) | instid1(VALU_DEP_1)
	v_and_b32_e32 v11, 0x7fffffff, v9
	s_wait_xcnt 0x0
	v_cmpx_gt_u32_e32 0x43800000, v11
	s_cbranch_execz .LBB295_791
; %bb.786:
	v_cmp_lt_u32_e64 s1, 0x3bffffff, v11
	s_mov_b32 s17, 0
                                        ; implicit-def: $vgpr11
	s_and_saveexec_b32 s18, s1
	s_delay_alu instid0(SALU_CYCLE_1)
	s_xor_b32 s1, exec_lo, s18
	s_cbranch_execz .LBB295_2596
; %bb.787:
	v_bfe_u32 v11, v9, 20, 1
	s_mov_b32 s17, exec_lo
	s_delay_alu instid0(VALU_DEP_1) | instskip(NEXT) | instid1(VALU_DEP_1)
	v_add3_u32 v11, v9, v11, 0x487ffff
	v_lshrrev_b32_e32 v11, 20, v11
	s_and_not1_saveexec_b32 s18, s1
	s_cbranch_execnz .LBB295_2597
.LBB295_788:
	s_or_b32 exec_lo, exec_lo, s18
	v_mov_b32_e32 v19, 0
	s_and_saveexec_b32 s1, s17
.LBB295_789:
	v_lshrrev_b32_e32 v9, 24, v9
	s_delay_alu instid0(VALU_DEP_1)
	v_and_or_b32 v19, 0x80, v9, v11
.LBB295_790:
	s_or_b32 exec_lo, exec_lo, s1
.LBB295_791:
	s_delay_alu instid0(SALU_CYCLE_1) | instskip(NEXT) | instid1(SALU_CYCLE_1)
	s_or_b32 exec_lo, exec_lo, s13
	s_mov_b32 s13, exec_lo
	s_xor_b32 s17, exec_lo, -1
.LBB295_792:
	s_or_b32 exec_lo, exec_lo, s12
	s_delay_alu instid0(SALU_CYCLE_1)
	s_and_b32 s13, s13, exec_lo
	s_and_b32 s12, s17, exec_lo
.LBB295_793:
	s_and_not1_saveexec_b32 s14, s14
	s_cbranch_execz .LBB295_803
; %bb.794:
	s_mov_b32 s18, -1
	s_mov_b32 s19, s13
	s_mov_b32 s17, exec_lo
                                        ; implicit-def: $vgpr19
	v_cmpx_eq_u16_e32 44, v18
	s_cbranch_execz .LBB295_802
; %bb.795:
	s_wait_loadcnt_dscnt 0x0
	flat_load_u8 v9, v[6:7]
	v_mov_b32_e32 v19, 0x80
	s_mov_b32 s19, 0
	s_mov_b32 s18, exec_lo
	s_wait_loadcnt_dscnt 0x0
	v_lshlrev_b32_e32 v11, 23, v9
	v_cmp_ne_u32_e64 s1, 0xff, v9
	s_delay_alu instid0(VALU_DEP_1) | instskip(SKIP_1) | instid1(VALU_DEP_1)
	v_cndmask_b32_e64 v11, 0x7f800001, v11, s1
	v_cmp_ne_u32_e64 s1, 0, v9
	v_cndmask_b32_e64 v11, 0x400000, v11, s1
	s_wait_xcnt 0x0
	s_delay_alu instid0(VALU_DEP_1)
	v_cmpx_gt_u32_e32 0x43800000, v11
	s_cbranch_execz .LBB295_801
; %bb.796:
	v_cmp_lt_u32_e64 s1, 0x3bffffff, v11
                                        ; implicit-def: $vgpr9
	s_and_saveexec_b32 s20, s1
	s_delay_alu instid0(SALU_CYCLE_1)
	s_xor_b32 s1, exec_lo, s20
	s_cbranch_execz .LBB295_2598
; %bb.797:
	v_bfe_u32 v9, v11, 20, 1
	s_mov_b32 s19, exec_lo
	s_delay_alu instid0(VALU_DEP_1) | instskip(NEXT) | instid1(VALU_DEP_1)
	v_add3_u32 v9, v11, v9, 0x487ffff
                                        ; implicit-def: $vgpr11
	v_lshrrev_b32_e32 v9, 20, v9
	s_and_not1_saveexec_b32 s20, s1
	s_cbranch_execnz .LBB295_2599
.LBB295_798:
	s_or_b32 exec_lo, exec_lo, s20
	v_mov_b32_e32 v19, 0
	s_and_saveexec_b32 s1, s19
.LBB295_799:
	v_mov_b32_e32 v19, v9
.LBB295_800:
	s_or_b32 exec_lo, exec_lo, s1
.LBB295_801:
	s_delay_alu instid0(SALU_CYCLE_1) | instskip(NEXT) | instid1(SALU_CYCLE_1)
	s_or_b32 exec_lo, exec_lo, s18
	s_or_b32 s19, s13, exec_lo
	s_xor_b32 s18, exec_lo, -1
.LBB295_802:
	s_or_b32 exec_lo, exec_lo, s17
	s_delay_alu instid0(SALU_CYCLE_1)
	s_and_not1_b32 s1, s13, exec_lo
	s_and_b32 s13, s19, exec_lo
	s_and_not1_b32 s12, s12, exec_lo
	s_and_b32 s17, s18, exec_lo
	s_or_b32 s13, s1, s13
	s_or_b32 s12, s12, s17
.LBB295_803:
	s_or_b32 exec_lo, exec_lo, s14
	s_delay_alu instid0(SALU_CYCLE_1)
	s_and_b32 s14, s13, exec_lo
	s_and_b32 s13, s12, exec_lo
.LBB295_804:
	s_and_not1_saveexec_b32 s11, s11
	s_cbranch_execz .LBB295_814
; %bb.805:
	s_mov_b32 s17, -1
	s_mov_b32 s18, s14
	s_mov_b32 s12, exec_lo
                                        ; implicit-def: $vgpr19
	v_cmpx_eq_u16_e32 29, v18
	s_cbranch_execz .LBB295_813
; %bb.806:
	flat_load_b64 v[12:13], v[6:7]
	v_mov_b32_e32 v19, 0x80
	s_mov_b32 s17, exec_lo
	s_wait_loadcnt_dscnt 0x0
	v_clz_i32_u32_e32 v9, v13
	s_delay_alu instid0(VALU_DEP_1) | instskip(NEXT) | instid1(VALU_DEP_1)
	v_min_u32_e32 v9, 32, v9
	v_lshlrev_b64_e32 v[12:13], v9, v[12:13]
	v_sub_nc_u32_e32 v9, 32, v9
	s_delay_alu instid0(VALU_DEP_2) | instskip(NEXT) | instid1(VALU_DEP_1)
	v_min_u32_e32 v11, 1, v12
	v_or_b32_e32 v11, v13, v11
	s_delay_alu instid0(VALU_DEP_1) | instskip(NEXT) | instid1(VALU_DEP_1)
	v_cvt_f32_u32_e32 v11, v11
	v_ldexp_f32 v11, v11, v9
	s_wait_xcnt 0x0
	s_delay_alu instid0(VALU_DEP_1)
	v_cmpx_gt_u32_e32 0x43800000, v11
	s_cbranch_execz .LBB295_812
; %bb.807:
	v_cmp_lt_u32_e64 s1, 0x3bffffff, v11
	s_mov_b32 s18, 0
                                        ; implicit-def: $vgpr9
	s_and_saveexec_b32 s19, s1
	s_delay_alu instid0(SALU_CYCLE_1)
	s_xor_b32 s1, exec_lo, s19
	s_cbranch_execz .LBB295_2509
; %bb.808:
	v_bfe_u32 v9, v11, 20, 1
	s_mov_b32 s18, exec_lo
	s_delay_alu instid0(VALU_DEP_1) | instskip(NEXT) | instid1(VALU_DEP_1)
	v_add3_u32 v9, v11, v9, 0x487ffff
                                        ; implicit-def: $vgpr11
	v_lshrrev_b32_e32 v9, 20, v9
	s_and_not1_saveexec_b32 s19, s1
	s_cbranch_execnz .LBB295_2510
.LBB295_809:
	s_or_b32 exec_lo, exec_lo, s19
	v_mov_b32_e32 v19, 0
	s_and_saveexec_b32 s1, s18
.LBB295_810:
	v_mov_b32_e32 v19, v9
.LBB295_811:
	s_or_b32 exec_lo, exec_lo, s1
.LBB295_812:
	s_delay_alu instid0(SALU_CYCLE_1) | instskip(NEXT) | instid1(SALU_CYCLE_1)
	s_or_b32 exec_lo, exec_lo, s17
	s_or_b32 s18, s14, exec_lo
	s_xor_b32 s17, exec_lo, -1
.LBB295_813:
	s_or_b32 exec_lo, exec_lo, s12
	s_delay_alu instid0(SALU_CYCLE_1)
	s_and_not1_b32 s1, s14, exec_lo
	s_and_b32 s12, s18, exec_lo
	s_and_not1_b32 s13, s13, exec_lo
	s_and_b32 s17, s17, exec_lo
	s_or_b32 s14, s1, s12
	s_or_b32 s13, s13, s17
.LBB295_814:
	s_or_b32 exec_lo, exec_lo, s11
	s_delay_alu instid0(SALU_CYCLE_1)
	s_and_b32 s12, s14, exec_lo
	s_and_b32 s11, s13, exec_lo
.LBB295_815:
	s_and_not1_saveexec_b32 s9, s9
	s_cbranch_execz .LBB295_837
; %bb.816:
	s_mov_b32 s13, exec_lo
                                        ; implicit-def: $vgpr19
	v_cmpx_lt_i16_e32 26, v18
	s_xor_b32 s13, exec_lo, s13
	s_cbranch_execz .LBB295_834
; %bb.817:
	s_mov_b32 s14, exec_lo
                                        ; implicit-def: $vgpr19
	v_cmpx_lt_i16_e32 27, v18
	s_xor_b32 s14, exec_lo, s14
	s_cbranch_execz .LBB295_825
; %bb.818:
	s_wait_loadcnt_dscnt 0x0
	flat_load_b32 v9, v[6:7]
	v_mov_b32_e32 v19, 0x80
	s_mov_b32 s17, exec_lo
	s_wait_loadcnt_dscnt 0x0
	v_cvt_f32_u32_e32 v11, v9
	s_wait_xcnt 0x0
	s_delay_alu instid0(VALU_DEP_1)
	v_cmpx_gt_u32_e32 0x43800000, v11
	s_cbranch_execz .LBB295_824
; %bb.819:
	v_cmp_lt_u32_e64 s1, 0x3bffffff, v11
	s_mov_b32 s18, 0
                                        ; implicit-def: $vgpr9
	s_and_saveexec_b32 s19, s1
	s_delay_alu instid0(SALU_CYCLE_1)
	s_xor_b32 s1, exec_lo, s19
	s_cbranch_execz .LBB295_2511
; %bb.820:
	v_bfe_u32 v9, v11, 20, 1
	s_mov_b32 s18, exec_lo
	s_delay_alu instid0(VALU_DEP_1) | instskip(NEXT) | instid1(VALU_DEP_1)
	v_add3_u32 v9, v11, v9, 0x487ffff
                                        ; implicit-def: $vgpr11
	v_lshrrev_b32_e32 v9, 20, v9
	s_and_not1_saveexec_b32 s19, s1
	s_cbranch_execnz .LBB295_2512
.LBB295_821:
	s_or_b32 exec_lo, exec_lo, s19
	v_mov_b32_e32 v19, 0
	s_and_saveexec_b32 s1, s18
.LBB295_822:
	v_mov_b32_e32 v19, v9
.LBB295_823:
	s_or_b32 exec_lo, exec_lo, s1
.LBB295_824:
	s_delay_alu instid0(SALU_CYCLE_1)
	s_or_b32 exec_lo, exec_lo, s17
.LBB295_825:
	s_and_not1_saveexec_b32 s14, s14
	s_cbranch_execz .LBB295_833
; %bb.826:
	s_wait_loadcnt_dscnt 0x0
	flat_load_u16 v9, v[6:7]
	v_mov_b32_e32 v19, 0x80
	s_mov_b32 s17, exec_lo
	s_wait_loadcnt_dscnt 0x0
	v_cvt_f32_u32_e32 v11, v9
	s_wait_xcnt 0x0
	s_delay_alu instid0(VALU_DEP_1)
	v_cmpx_gt_u32_e32 0x43800000, v11
	s_cbranch_execz .LBB295_832
; %bb.827:
	v_cmp_lt_u32_e64 s1, 0x3bffffff, v11
	s_mov_b32 s18, 0
                                        ; implicit-def: $vgpr9
	s_and_saveexec_b32 s19, s1
	s_delay_alu instid0(SALU_CYCLE_1)
	s_xor_b32 s1, exec_lo, s19
	s_cbranch_execz .LBB295_2513
; %bb.828:
	v_bfe_u32 v9, v11, 20, 1
	s_mov_b32 s18, exec_lo
	s_delay_alu instid0(VALU_DEP_1) | instskip(NEXT) | instid1(VALU_DEP_1)
	v_add3_u32 v9, v11, v9, 0x487ffff
                                        ; implicit-def: $vgpr11
	v_lshrrev_b32_e32 v9, 20, v9
	s_and_not1_saveexec_b32 s19, s1
	s_cbranch_execnz .LBB295_2514
.LBB295_829:
	s_or_b32 exec_lo, exec_lo, s19
	v_mov_b32_e32 v19, 0
	s_and_saveexec_b32 s1, s18
.LBB295_830:
	v_mov_b32_e32 v19, v9
.LBB295_831:
	s_or_b32 exec_lo, exec_lo, s1
.LBB295_832:
	s_delay_alu instid0(SALU_CYCLE_1)
	s_or_b32 exec_lo, exec_lo, s17
.LBB295_833:
	s_delay_alu instid0(SALU_CYCLE_1)
	s_or_b32 exec_lo, exec_lo, s14
.LBB295_834:
	s_and_not1_saveexec_b32 s1, s13
	s_cbranch_execz .LBB295_836
; %bb.835:
	flat_load_u8 v19, v[6:7]
.LBB295_836:
	s_wait_xcnt 0x0
	s_or_b32 exec_lo, exec_lo, s1
	s_delay_alu instid0(SALU_CYCLE_1)
	s_or_b32 s12, s12, exec_lo
.LBB295_837:
	s_or_b32 exec_lo, exec_lo, s9
	s_delay_alu instid0(SALU_CYCLE_1)
	s_and_b32 s9, s12, exec_lo
	s_and_b32 s11, s11, exec_lo
	s_and_not1_saveexec_b32 s10, s10
	s_cbranch_execnz .LBB295_2131
.LBB295_838:
	s_or_b32 exec_lo, exec_lo, s10
	s_mov_b32 s10, s4
	s_and_saveexec_b32 s1, s11
	s_cbranch_execnz .LBB295_2180
.LBB295_839:
	s_or_b32 exec_lo, exec_lo, s1
	s_and_saveexec_b32 s1, s6
	s_delay_alu instid0(SALU_CYCLE_1)
	s_xor_b32 s6, exec_lo, s1
	s_cbranch_execz .LBB295_847
.LBB295_840:
	flat_load_u8 v6, v[6:7]
	s_wait_loadcnt_dscnt 0x101
	v_mov_b32_e32 v19, 0x80
	s_mov_b32 s12, 0
	s_mov_b32 s11, exec_lo
	s_wait_loadcnt_dscnt 0x0
	v_cmp_ne_u16_e64 s1, 0, v6
	s_wait_xcnt 0x0
	s_delay_alu instid0(VALU_DEP_1) | instskip(NEXT) | instid1(VALU_DEP_1)
	v_cndmask_b32_e64 v7, 0, 1.0, s1
	v_cmpx_gt_u32_e32 0x43800000, v7
	s_cbranch_execz .LBB295_846
; %bb.841:
	v_cmp_lt_u32_e64 s1, 0x3bffffff, v7
                                        ; implicit-def: $vgpr6
	s_and_saveexec_b32 s13, s1
	s_delay_alu instid0(SALU_CYCLE_1)
	s_xor_b32 s1, exec_lo, s13
	s_cbranch_execz .LBB295_2244
; %bb.842:
	v_bfe_u32 v6, v7, 20, 1
	s_mov_b32 s12, exec_lo
	s_delay_alu instid0(VALU_DEP_1) | instskip(NEXT) | instid1(VALU_DEP_1)
	v_add3_u32 v6, v7, v6, 0x487ffff
                                        ; implicit-def: $vgpr7
	v_lshrrev_b32_e32 v6, 20, v6
	s_and_not1_saveexec_b32 s13, s1
	s_cbranch_execnz .LBB295_2245
.LBB295_843:
	s_or_b32 exec_lo, exec_lo, s13
	v_mov_b32_e32 v19, 0
	s_and_saveexec_b32 s1, s12
.LBB295_844:
	v_mov_b32_e32 v19, v6
.LBB295_845:
	s_or_b32 exec_lo, exec_lo, s1
.LBB295_846:
	s_delay_alu instid0(SALU_CYCLE_1) | instskip(NEXT) | instid1(SALU_CYCLE_1)
	s_or_b32 exec_lo, exec_lo, s11
	s_or_b32 s9, s9, exec_lo
.LBB295_847:
	s_or_b32 exec_lo, exec_lo, s6
	s_delay_alu instid0(SALU_CYCLE_1)
	s_and_not1_b32 s1, s4, exec_lo
	s_and_b32 s6, s10, exec_lo
	s_and_b32 s9, s9, exec_lo
	s_or_b32 s6, s1, s6
                                        ; implicit-def: $vgpr6_vgpr7
.LBB295_848:
	s_and_not1_saveexec_b32 s8, s8
	s_cbranch_execz .LBB295_956
; %bb.849:
	s_mov_b32 s10, exec_lo
                                        ; implicit-def: $vgpr19
	v_cmpx_lt_i16_e32 4, v18
	s_xor_b32 s10, exec_lo, s10
	s_cbranch_execz .LBB295_907
; %bb.850:
	s_mov_b32 s11, exec_lo
                                        ; implicit-def: $vgpr19
	v_cmpx_lt_i16_e32 7, v18
	s_xor_b32 s11, exec_lo, s11
	s_cbranch_execz .LBB295_878
; %bb.851:
	s_mov_b32 s12, exec_lo
                                        ; implicit-def: $vgpr19
	v_cmpx_lt_i16_e32 8, v18
	s_xor_b32 s12, exec_lo, s12
	s_cbranch_execz .LBB295_869
; %bb.852:
	s_mov_b32 s13, exec_lo
                                        ; implicit-def: $vgpr19
	v_cmpx_lt_i16_e32 9, v18
	s_xor_b32 s13, exec_lo, s13
	s_cbranch_execz .LBB295_860
; %bb.853:
	flat_load_b64 v[6:7], v[6:7]
	s_wait_loadcnt_dscnt 0x101
	v_mov_b32_e32 v19, 0x80
	s_mov_b32 s14, exec_lo
	s_wait_loadcnt_dscnt 0x0
	v_cvt_f32_f64_e32 v6, v[6:7]
	s_delay_alu instid0(VALU_DEP_1) | instskip(NEXT) | instid1(VALU_DEP_1)
	v_and_b32_e32 v7, 0x7fffffff, v6
	v_cmpx_gt_u32_e32 0x43800000, v7
	s_cbranch_execz .LBB295_859
; %bb.854:
	v_cmp_lt_u32_e64 s1, 0x3bffffff, v7
	s_mov_b32 s17, 0
                                        ; implicit-def: $vgpr7
	s_and_saveexec_b32 s18, s1
	s_delay_alu instid0(SALU_CYCLE_1)
	s_xor_b32 s1, exec_lo, s18
	s_cbranch_execz .LBB295_2515
; %bb.855:
	v_bfe_u32 v7, v6, 20, 1
	s_mov_b32 s17, exec_lo
	s_delay_alu instid0(VALU_DEP_1) | instskip(NEXT) | instid1(VALU_DEP_1)
	v_add3_u32 v7, v6, v7, 0x487ffff
	v_lshrrev_b32_e32 v7, 20, v7
	s_and_not1_saveexec_b32 s18, s1
	s_cbranch_execnz .LBB295_2516
.LBB295_856:
	s_or_b32 exec_lo, exec_lo, s18
	v_mov_b32_e32 v19, 0
	s_and_saveexec_b32 s1, s17
.LBB295_857:
	v_lshrrev_b32_e32 v6, 24, v6
	s_delay_alu instid0(VALU_DEP_1)
	v_and_or_b32 v19, 0x80, v6, v7
.LBB295_858:
	s_or_b32 exec_lo, exec_lo, s1
.LBB295_859:
	s_delay_alu instid0(SALU_CYCLE_1)
	s_or_b32 exec_lo, exec_lo, s14
                                        ; implicit-def: $vgpr6_vgpr7
.LBB295_860:
	s_and_not1_saveexec_b32 s13, s13
	s_cbranch_execz .LBB295_868
; %bb.861:
	flat_load_b32 v6, v[6:7]
	s_wait_loadcnt_dscnt 0x101
	v_mov_b32_e32 v19, 0x80
	s_mov_b32 s14, exec_lo
	s_wait_loadcnt_dscnt 0x0
	v_and_b32_e32 v7, 0x7fffffff, v6
	s_delay_alu instid0(VALU_DEP_1)
	v_cmpx_gt_u32_e32 0x43800000, v7
	s_cbranch_execz .LBB295_867
; %bb.862:
	v_cmp_lt_u32_e64 s1, 0x3bffffff, v7
	s_mov_b32 s17, 0
                                        ; implicit-def: $vgpr7
	s_and_saveexec_b32 s18, s1
	s_delay_alu instid0(SALU_CYCLE_1)
	s_xor_b32 s1, exec_lo, s18
	s_cbranch_execz .LBB295_2517
; %bb.863:
	v_bfe_u32 v7, v6, 20, 1
	s_mov_b32 s17, exec_lo
	s_delay_alu instid0(VALU_DEP_1) | instskip(NEXT) | instid1(VALU_DEP_1)
	v_add3_u32 v7, v6, v7, 0x487ffff
	v_lshrrev_b32_e32 v7, 20, v7
	s_and_not1_saveexec_b32 s18, s1
	s_cbranch_execnz .LBB295_2518
.LBB295_864:
	s_or_b32 exec_lo, exec_lo, s18
	v_mov_b32_e32 v19, 0
	s_and_saveexec_b32 s1, s17
.LBB295_865:
	v_lshrrev_b32_e32 v6, 24, v6
	s_delay_alu instid0(VALU_DEP_1)
	v_and_or_b32 v19, 0x80, v6, v7
.LBB295_866:
	s_or_b32 exec_lo, exec_lo, s1
.LBB295_867:
	s_delay_alu instid0(SALU_CYCLE_1)
	s_or_b32 exec_lo, exec_lo, s14
.LBB295_868:
	s_delay_alu instid0(SALU_CYCLE_1)
	s_or_b32 exec_lo, exec_lo, s13
                                        ; implicit-def: $vgpr6_vgpr7
.LBB295_869:
	s_and_not1_saveexec_b32 s12, s12
	s_cbranch_execz .LBB295_877
; %bb.870:
	flat_load_b32 v6, v[6:7]
	s_wait_loadcnt_dscnt 0x101
	v_mov_b32_e32 v19, 0x80
	s_mov_b32 s13, exec_lo
	s_wait_loadcnt_dscnt 0x0
	v_cvt_f32_f16_e32 v6, v6
	s_delay_alu instid0(VALU_DEP_1) | instskip(NEXT) | instid1(VALU_DEP_1)
	v_and_b32_e32 v7, 0x7fffffff, v6
	v_cmpx_gt_u32_e32 0x43800000, v7
	s_cbranch_execz .LBB295_876
; %bb.871:
	v_cmp_lt_u32_e64 s1, 0x3bffffff, v7
	s_mov_b32 s14, 0
                                        ; implicit-def: $vgpr7
	s_and_saveexec_b32 s17, s1
	s_delay_alu instid0(SALU_CYCLE_1)
	s_xor_b32 s1, exec_lo, s17
	s_cbranch_execz .LBB295_2428
; %bb.872:
	v_bfe_u32 v7, v6, 20, 1
	s_mov_b32 s14, exec_lo
	s_delay_alu instid0(VALU_DEP_1) | instskip(NEXT) | instid1(VALU_DEP_1)
	v_add3_u32 v7, v6, v7, 0x487ffff
	v_lshrrev_b32_e32 v7, 20, v7
	s_and_not1_saveexec_b32 s17, s1
	s_cbranch_execnz .LBB295_2429
.LBB295_873:
	s_or_b32 exec_lo, exec_lo, s17
	v_mov_b32_e32 v19, 0
	s_and_saveexec_b32 s1, s14
.LBB295_874:
	v_lshrrev_b32_e32 v6, 24, v6
	s_delay_alu instid0(VALU_DEP_1)
	v_and_or_b32 v19, 0x80, v6, v7
.LBB295_875:
	s_or_b32 exec_lo, exec_lo, s1
.LBB295_876:
	s_delay_alu instid0(SALU_CYCLE_1)
	s_or_b32 exec_lo, exec_lo, s13
.LBB295_877:
	s_delay_alu instid0(SALU_CYCLE_1)
	s_or_b32 exec_lo, exec_lo, s12
                                        ; implicit-def: $vgpr6_vgpr7
.LBB295_878:
	s_and_not1_saveexec_b32 s11, s11
	s_cbranch_execz .LBB295_906
; %bb.879:
	s_mov_b32 s12, exec_lo
                                        ; implicit-def: $vgpr19
	v_cmpx_lt_i16_e32 5, v18
	s_xor_b32 s12, exec_lo, s12
	s_cbranch_execz .LBB295_897
; %bb.880:
	s_mov_b32 s13, exec_lo
                                        ; implicit-def: $vgpr19
	v_cmpx_lt_i16_e32 6, v18
	s_xor_b32 s13, exec_lo, s13
	s_cbranch_execz .LBB295_888
; %bb.881:
	flat_load_b64 v[6:7], v[6:7]
	s_wait_loadcnt_dscnt 0x101
	v_mov_b32_e32 v19, 0x80
	s_mov_b32 s14, exec_lo
	s_wait_loadcnt_dscnt 0x0
	v_cvt_f32_f64_e32 v6, v[6:7]
	s_delay_alu instid0(VALU_DEP_1) | instskip(NEXT) | instid1(VALU_DEP_1)
	v_and_b32_e32 v7, 0x7fffffff, v6
	v_cmpx_gt_u32_e32 0x43800000, v7
	s_cbranch_execz .LBB295_887
; %bb.882:
	v_cmp_lt_u32_e64 s1, 0x3bffffff, v7
	s_mov_b32 s17, 0
                                        ; implicit-def: $vgpr7
	s_and_saveexec_b32 s18, s1
	s_delay_alu instid0(SALU_CYCLE_1)
	s_xor_b32 s1, exec_lo, s18
	s_cbranch_execz .LBB295_2519
; %bb.883:
	v_bfe_u32 v7, v6, 20, 1
	s_mov_b32 s17, exec_lo
	s_delay_alu instid0(VALU_DEP_1) | instskip(NEXT) | instid1(VALU_DEP_1)
	v_add3_u32 v7, v6, v7, 0x487ffff
	v_lshrrev_b32_e32 v7, 20, v7
	s_and_not1_saveexec_b32 s18, s1
	s_cbranch_execnz .LBB295_2520
.LBB295_884:
	s_or_b32 exec_lo, exec_lo, s18
	v_mov_b32_e32 v19, 0
	s_and_saveexec_b32 s1, s17
.LBB295_885:
	v_lshrrev_b32_e32 v6, 24, v6
	s_delay_alu instid0(VALU_DEP_1)
	v_and_or_b32 v19, 0x80, v6, v7
.LBB295_886:
	s_or_b32 exec_lo, exec_lo, s1
.LBB295_887:
	s_delay_alu instid0(SALU_CYCLE_1)
	s_or_b32 exec_lo, exec_lo, s14
                                        ; implicit-def: $vgpr6_vgpr7
.LBB295_888:
	s_and_not1_saveexec_b32 s13, s13
	s_cbranch_execz .LBB295_896
; %bb.889:
	flat_load_b32 v6, v[6:7]
	s_wait_loadcnt_dscnt 0x101
	v_mov_b32_e32 v19, 0x80
	s_mov_b32 s14, exec_lo
	s_wait_loadcnt_dscnt 0x0
	v_and_b32_e32 v7, 0x7fffffff, v6
	s_delay_alu instid0(VALU_DEP_1)
	v_cmpx_gt_u32_e32 0x43800000, v7
	s_cbranch_execz .LBB295_895
; %bb.890:
	v_cmp_lt_u32_e64 s1, 0x3bffffff, v7
	s_mov_b32 s17, 0
                                        ; implicit-def: $vgpr7
	s_and_saveexec_b32 s18, s1
	s_delay_alu instid0(SALU_CYCLE_1)
	s_xor_b32 s1, exec_lo, s18
	s_cbranch_execz .LBB295_2521
; %bb.891:
	v_bfe_u32 v7, v6, 20, 1
	s_mov_b32 s17, exec_lo
	s_delay_alu instid0(VALU_DEP_1) | instskip(NEXT) | instid1(VALU_DEP_1)
	v_add3_u32 v7, v6, v7, 0x487ffff
	v_lshrrev_b32_e32 v7, 20, v7
	s_and_not1_saveexec_b32 s18, s1
	s_cbranch_execnz .LBB295_2522
.LBB295_892:
	s_or_b32 exec_lo, exec_lo, s18
	v_mov_b32_e32 v19, 0
	s_and_saveexec_b32 s1, s17
.LBB295_893:
	v_lshrrev_b32_e32 v6, 24, v6
	s_delay_alu instid0(VALU_DEP_1)
	v_and_or_b32 v19, 0x80, v6, v7
.LBB295_894:
	s_or_b32 exec_lo, exec_lo, s1
.LBB295_895:
	s_delay_alu instid0(SALU_CYCLE_1)
	s_or_b32 exec_lo, exec_lo, s14
.LBB295_896:
	s_delay_alu instid0(SALU_CYCLE_1)
	s_or_b32 exec_lo, exec_lo, s13
                                        ; implicit-def: $vgpr6_vgpr7
.LBB295_897:
	s_and_not1_saveexec_b32 s12, s12
	s_cbranch_execz .LBB295_905
; %bb.898:
	flat_load_u16 v6, v[6:7]
	s_wait_loadcnt_dscnt 0x101
	v_mov_b32_e32 v19, 0x80
	s_mov_b32 s13, exec_lo
	s_wait_loadcnt_dscnt 0x0
	v_cvt_f32_f16_e32 v6, v6
	s_delay_alu instid0(VALU_DEP_1) | instskip(NEXT) | instid1(VALU_DEP_1)
	v_and_b32_e32 v7, 0x7fffffff, v6
	v_cmpx_gt_u32_e32 0x43800000, v7
	s_cbranch_execz .LBB295_904
; %bb.899:
	v_cmp_lt_u32_e64 s1, 0x3bffffff, v7
	s_mov_b32 s14, 0
                                        ; implicit-def: $vgpr7
	s_and_saveexec_b32 s17, s1
	s_delay_alu instid0(SALU_CYCLE_1)
	s_xor_b32 s1, exec_lo, s17
	s_cbranch_execz .LBB295_2430
; %bb.900:
	v_bfe_u32 v7, v6, 20, 1
	s_mov_b32 s14, exec_lo
	s_delay_alu instid0(VALU_DEP_1) | instskip(NEXT) | instid1(VALU_DEP_1)
	v_add3_u32 v7, v6, v7, 0x487ffff
	v_lshrrev_b32_e32 v7, 20, v7
	s_and_not1_saveexec_b32 s17, s1
	s_cbranch_execnz .LBB295_2431
.LBB295_901:
	s_or_b32 exec_lo, exec_lo, s17
	v_mov_b32_e32 v19, 0
	s_and_saveexec_b32 s1, s14
.LBB295_902:
	v_lshrrev_b32_e32 v6, 24, v6
	s_delay_alu instid0(VALU_DEP_1)
	v_and_or_b32 v19, 0x80, v6, v7
.LBB295_903:
	s_or_b32 exec_lo, exec_lo, s1
.LBB295_904:
	s_delay_alu instid0(SALU_CYCLE_1)
	s_or_b32 exec_lo, exec_lo, s13
.LBB295_905:
	s_delay_alu instid0(SALU_CYCLE_1)
	s_or_b32 exec_lo, exec_lo, s12
.LBB295_906:
	s_delay_alu instid0(SALU_CYCLE_1)
	s_or_b32 exec_lo, exec_lo, s11
                                        ; implicit-def: $vgpr6_vgpr7
.LBB295_907:
	s_and_not1_saveexec_b32 s10, s10
	s_cbranch_execz .LBB295_955
; %bb.908:
	s_mov_b32 s11, exec_lo
                                        ; implicit-def: $vgpr19
	v_cmpx_lt_i16_e32 1, v18
	s_xor_b32 s11, exec_lo, s11
	s_cbranch_execz .LBB295_936
; %bb.909:
	s_mov_b32 s12, exec_lo
                                        ; implicit-def: $vgpr19
	v_cmpx_lt_i16_e32 2, v18
	s_xor_b32 s12, exec_lo, s12
	;; [unrolled: 6-line block ×3, first 2 shown]
	s_cbranch_execz .LBB295_918
; %bb.911:
	flat_load_b64 v[6:7], v[6:7]
	s_wait_loadcnt_dscnt 0x101
	v_mov_b32_e32 v19, 0x80
	s_mov_b32 s14, exec_lo
	s_wait_loadcnt_dscnt 0x0
	v_xor_b32_e32 v9, v6, v7
	v_cls_i32_e32 v11, v7
	s_delay_alu instid0(VALU_DEP_2) | instskip(NEXT) | instid1(VALU_DEP_1)
	v_ashrrev_i32_e32 v9, 31, v9
	v_add_nc_u32_e32 v9, 32, v9
	s_delay_alu instid0(VALU_DEP_1) | instskip(SKIP_1) | instid1(VALU_DEP_1)
	v_add_min_u32_e64 v9, v11, -1, v9
	s_wait_xcnt 0x0
	v_lshlrev_b64_e32 v[6:7], v9, v[6:7]
	s_delay_alu instid0(VALU_DEP_1) | instskip(NEXT) | instid1(VALU_DEP_1)
	v_min_u32_e32 v6, 1, v6
	v_dual_sub_nc_u32 v7, 32, v9 :: v_dual_bitop2_b32 v6, v7, v6 bitop3:0x54
	s_delay_alu instid0(VALU_DEP_1) | instskip(NEXT) | instid1(VALU_DEP_1)
	v_cvt_f32_i32_e32 v6, v6
	v_ldexp_f32 v6, v6, v7
	s_delay_alu instid0(VALU_DEP_1) | instskip(NEXT) | instid1(VALU_DEP_1)
	v_and_b32_e32 v7, 0x7fffffff, v6
	v_cmpx_gt_u32_e32 0x43800000, v7
	s_cbranch_execz .LBB295_917
; %bb.912:
	v_cmp_lt_u32_e64 s1, 0x3bffffff, v7
	s_mov_b32 s17, 0
                                        ; implicit-def: $vgpr7
	s_and_saveexec_b32 s18, s1
	s_delay_alu instid0(SALU_CYCLE_1)
	s_xor_b32 s1, exec_lo, s18
	s_cbranch_execz .LBB295_2523
; %bb.913:
	v_bfe_u32 v7, v6, 20, 1
	s_mov_b32 s17, exec_lo
	s_delay_alu instid0(VALU_DEP_1) | instskip(NEXT) | instid1(VALU_DEP_1)
	v_add3_u32 v7, v6, v7, 0x487ffff
	v_lshrrev_b32_e32 v7, 20, v7
	s_and_not1_saveexec_b32 s18, s1
	s_cbranch_execnz .LBB295_2524
.LBB295_914:
	s_or_b32 exec_lo, exec_lo, s18
	v_mov_b32_e32 v19, 0
	s_and_saveexec_b32 s1, s17
.LBB295_915:
	v_lshrrev_b32_e32 v6, 24, v6
	s_delay_alu instid0(VALU_DEP_1)
	v_and_or_b32 v19, 0x80, v6, v7
.LBB295_916:
	s_or_b32 exec_lo, exec_lo, s1
.LBB295_917:
	s_delay_alu instid0(SALU_CYCLE_1)
	s_or_b32 exec_lo, exec_lo, s14
                                        ; implicit-def: $vgpr6_vgpr7
.LBB295_918:
	s_and_not1_saveexec_b32 s13, s13
	s_cbranch_execz .LBB295_926
; %bb.919:
	flat_load_b32 v6, v[6:7]
	s_wait_loadcnt_dscnt 0x101
	v_mov_b32_e32 v19, 0x80
	s_mov_b32 s14, exec_lo
	s_wait_loadcnt_dscnt 0x0
	v_cvt_f32_i32_e32 v6, v6
	s_delay_alu instid0(VALU_DEP_1) | instskip(NEXT) | instid1(VALU_DEP_1)
	v_and_b32_e32 v7, 0x7fffffff, v6
	v_cmpx_gt_u32_e32 0x43800000, v7
	s_cbranch_execz .LBB295_925
; %bb.920:
	v_cmp_lt_u32_e64 s1, 0x3bffffff, v7
	s_mov_b32 s17, 0
                                        ; implicit-def: $vgpr7
	s_and_saveexec_b32 s18, s1
	s_delay_alu instid0(SALU_CYCLE_1)
	s_xor_b32 s1, exec_lo, s18
	s_cbranch_execz .LBB295_2525
; %bb.921:
	v_bfe_u32 v7, v6, 20, 1
	s_mov_b32 s17, exec_lo
	s_delay_alu instid0(VALU_DEP_1) | instskip(NEXT) | instid1(VALU_DEP_1)
	v_add3_u32 v7, v6, v7, 0x487ffff
	v_lshrrev_b32_e32 v7, 20, v7
	s_and_not1_saveexec_b32 s18, s1
	s_cbranch_execnz .LBB295_2526
.LBB295_922:
	s_or_b32 exec_lo, exec_lo, s18
	v_mov_b32_e32 v19, 0
	s_and_saveexec_b32 s1, s17
.LBB295_923:
	v_lshrrev_b32_e32 v6, 24, v6
	s_delay_alu instid0(VALU_DEP_1)
	v_and_or_b32 v19, 0x80, v6, v7
.LBB295_924:
	s_or_b32 exec_lo, exec_lo, s1
.LBB295_925:
	s_delay_alu instid0(SALU_CYCLE_1)
	s_or_b32 exec_lo, exec_lo, s14
.LBB295_926:
	s_delay_alu instid0(SALU_CYCLE_1)
	s_or_b32 exec_lo, exec_lo, s13
                                        ; implicit-def: $vgpr6_vgpr7
.LBB295_927:
	s_and_not1_saveexec_b32 s12, s12
	s_cbranch_execz .LBB295_935
; %bb.928:
	flat_load_i16 v6, v[6:7]
	s_wait_loadcnt_dscnt 0x101
	v_mov_b32_e32 v19, 0x80
	s_mov_b32 s13, exec_lo
	s_wait_loadcnt_dscnt 0x0
	v_cvt_f32_i32_e32 v6, v6
	s_delay_alu instid0(VALU_DEP_1) | instskip(NEXT) | instid1(VALU_DEP_1)
	v_and_b32_e32 v7, 0x7fffffff, v6
	v_cmpx_gt_u32_e32 0x43800000, v7
	s_cbranch_execz .LBB295_934
; %bb.929:
	v_cmp_lt_u32_e64 s1, 0x3bffffff, v7
	s_mov_b32 s14, 0
                                        ; implicit-def: $vgpr7
	s_and_saveexec_b32 s17, s1
	s_delay_alu instid0(SALU_CYCLE_1)
	s_xor_b32 s1, exec_lo, s17
	s_cbranch_execz .LBB295_2432
; %bb.930:
	v_bfe_u32 v7, v6, 20, 1
	s_mov_b32 s14, exec_lo
	s_delay_alu instid0(VALU_DEP_1) | instskip(NEXT) | instid1(VALU_DEP_1)
	v_add3_u32 v7, v6, v7, 0x487ffff
	v_lshrrev_b32_e32 v7, 20, v7
	s_and_not1_saveexec_b32 s17, s1
	s_cbranch_execnz .LBB295_2433
.LBB295_931:
	s_or_b32 exec_lo, exec_lo, s17
	v_mov_b32_e32 v19, 0
	s_and_saveexec_b32 s1, s14
.LBB295_932:
	v_lshrrev_b32_e32 v6, 24, v6
	s_delay_alu instid0(VALU_DEP_1)
	v_and_or_b32 v19, 0x80, v6, v7
.LBB295_933:
	s_or_b32 exec_lo, exec_lo, s1
.LBB295_934:
	s_delay_alu instid0(SALU_CYCLE_1)
	s_or_b32 exec_lo, exec_lo, s13
.LBB295_935:
	s_delay_alu instid0(SALU_CYCLE_1)
	s_or_b32 exec_lo, exec_lo, s12
                                        ; implicit-def: $vgpr6_vgpr7
.LBB295_936:
	s_and_not1_saveexec_b32 s11, s11
	s_cbranch_execz .LBB295_954
; %bb.937:
	s_mov_b32 s12, exec_lo
                                        ; implicit-def: $vgpr19
	v_cmpx_lt_i16_e32 0, v18
	s_xor_b32 s12, exec_lo, s12
	s_cbranch_execz .LBB295_945
; %bb.938:
	flat_load_i8 v6, v[6:7]
	s_wait_loadcnt_dscnt 0x101
	v_mov_b32_e32 v19, 0x80
	s_mov_b32 s13, exec_lo
	s_wait_loadcnt_dscnt 0x0
	v_cvt_f32_i32_e32 v6, v6
	s_delay_alu instid0(VALU_DEP_1) | instskip(NEXT) | instid1(VALU_DEP_1)
	v_and_b32_e32 v7, 0x7fffffff, v6
	v_cmpx_gt_u32_e32 0x43800000, v7
	s_cbranch_execz .LBB295_944
; %bb.939:
	v_cmp_lt_u32_e64 s1, 0x3bffffff, v7
	s_mov_b32 s14, 0
                                        ; implicit-def: $vgpr7
	s_and_saveexec_b32 s17, s1
	s_delay_alu instid0(SALU_CYCLE_1)
	s_xor_b32 s1, exec_lo, s17
	s_cbranch_execz .LBB295_2434
; %bb.940:
	v_bfe_u32 v7, v6, 20, 1
	s_mov_b32 s14, exec_lo
	s_delay_alu instid0(VALU_DEP_1) | instskip(NEXT) | instid1(VALU_DEP_1)
	v_add3_u32 v7, v6, v7, 0x487ffff
	v_lshrrev_b32_e32 v7, 20, v7
	s_and_not1_saveexec_b32 s17, s1
	s_cbranch_execnz .LBB295_2435
.LBB295_941:
	s_or_b32 exec_lo, exec_lo, s17
	v_mov_b32_e32 v19, 0
	s_and_saveexec_b32 s1, s14
.LBB295_942:
	v_lshrrev_b32_e32 v6, 24, v6
	s_delay_alu instid0(VALU_DEP_1)
	v_and_or_b32 v19, 0x80, v6, v7
.LBB295_943:
	s_or_b32 exec_lo, exec_lo, s1
.LBB295_944:
	s_delay_alu instid0(SALU_CYCLE_1)
	s_or_b32 exec_lo, exec_lo, s13
                                        ; implicit-def: $vgpr6_vgpr7
.LBB295_945:
	s_and_not1_saveexec_b32 s12, s12
	s_cbranch_execz .LBB295_953
; %bb.946:
	flat_load_u8 v6, v[6:7]
	s_wait_loadcnt_dscnt 0x101
	v_mov_b32_e32 v19, 0x80
	s_mov_b32 s13, exec_lo
	s_wait_loadcnt_dscnt 0x0
	v_cvt_f32_ubyte0_e32 v7, v6
	s_delay_alu instid0(VALU_DEP_1)
	v_cmpx_gt_u32_e32 0x43800000, v7
	s_cbranch_execz .LBB295_952
; %bb.947:
	v_cmp_lt_u32_e64 s1, 0x3bffffff, v7
	s_mov_b32 s14, 0
                                        ; implicit-def: $vgpr6
	s_and_saveexec_b32 s17, s1
	s_delay_alu instid0(SALU_CYCLE_1)
	s_xor_b32 s1, exec_lo, s17
	s_cbranch_execz .LBB295_2436
; %bb.948:
	v_bfe_u32 v6, v7, 20, 1
	s_mov_b32 s14, exec_lo
	s_delay_alu instid0(VALU_DEP_1) | instskip(NEXT) | instid1(VALU_DEP_1)
	v_add3_u32 v6, v7, v6, 0x487ffff
                                        ; implicit-def: $vgpr7
	v_lshrrev_b32_e32 v6, 20, v6
	s_and_not1_saveexec_b32 s17, s1
	s_cbranch_execnz .LBB295_2437
.LBB295_949:
	s_or_b32 exec_lo, exec_lo, s17
	v_mov_b32_e32 v19, 0
	s_and_saveexec_b32 s1, s14
.LBB295_950:
	v_mov_b32_e32 v19, v6
.LBB295_951:
	s_or_b32 exec_lo, exec_lo, s1
.LBB295_952:
	s_delay_alu instid0(SALU_CYCLE_1)
	s_or_b32 exec_lo, exec_lo, s13
.LBB295_953:
	s_delay_alu instid0(SALU_CYCLE_1)
	s_or_b32 exec_lo, exec_lo, s12
.LBB295_954:
	s_delay_alu instid0(SALU_CYCLE_1)
	s_or_b32 exec_lo, exec_lo, s11
.LBB295_955:
	s_delay_alu instid0(SALU_CYCLE_1) | instskip(NEXT) | instid1(SALU_CYCLE_1)
	s_or_b32 exec_lo, exec_lo, s10
	s_or_b32 s9, s9, exec_lo
.LBB295_956:
	s_or_b32 exec_lo, exec_lo, s8
	s_mov_b32 s1, 0
	s_mov_b32 s10, 0
                                        ; implicit-def: $sgpr18
                                        ; implicit-def: $vgpr12_vgpr13
                                        ; implicit-def: $vgpr7
	s_and_saveexec_b32 s8, s9
	s_cbranch_execz .LBB295_1845
; %bb.957:
	v_lshlrev_b32_e32 v11, 7, v20
	s_mov_b32 s11, 0
	s_mov_b32 s9, s6
	s_mov_b32 s10, exec_lo
                                        ; implicit-def: $vgpr20
	s_delay_alu instid0(VALU_DEP_1) | instskip(NEXT) | instid1(VALU_DEP_1)
	v_add_nc_u32_e32 v6, v8, v11
	v_ashrrev_i32_e32 v7, 31, v6
	s_wait_loadcnt_dscnt 0x0
	s_delay_alu instid0(VALU_DEP_1)
	v_add_nc_u64_e32 v[8:9], v[2:3], v[6:7]
	v_cmpx_lt_i16_e32 10, v15
	s_xor_b32 s10, exec_lo, s10
	s_cbranch_execz .LBB295_1026
; %bb.958:
	s_mov_b32 s9, 0
	s_mov_b32 s13, 0
	s_mov_b32 s12, exec_lo
                                        ; implicit-def: $vgpr20
	v_cmpx_lt_i16_e32 25, v15
	s_xor_b32 s12, exec_lo, s12
	s_cbranch_execz .LBB295_2183
; %bb.959:
	s_mov_b32 s14, 0
	s_mov_b32 s11, exec_lo
                                        ; implicit-def: $vgpr20
	v_cmpx_lt_i16_e32 28, v15
	s_xor_b32 s11, exec_lo, s11
	s_cbranch_execz .LBB295_993
; %bb.960:
	s_mov_b32 s17, 0
	s_mov_b32 s18, 0
	s_mov_b32 s13, exec_lo
                                        ; implicit-def: $vgpr20
	v_cmpx_lt_i16_e32 43, v15
	s_xor_b32 s13, exec_lo, s13
	s_cbranch_execz .LBB295_982
; %bb.961:
	s_mov_b32 s18, exec_lo
                                        ; implicit-def: $vgpr20
	v_cmpx_lt_i16_e32 45, v15
	s_xor_b32 s18, exec_lo, s18
	s_cbranch_execz .LBB295_971
; %bb.962:
	s_mov_b32 s19, -1
	s_mov_b32 s14, exec_lo
                                        ; implicit-def: $vgpr20
	v_cmpx_eq_u16_e32 46, v15
	s_cbranch_execz .LBB295_970
; %bb.963:
	flat_load_b32 v7, v[8:9]
	s_mov_b32 s17, exec_lo
	s_wait_loadcnt_dscnt 0x0
	v_dual_mov_b32 v20, 0x80 :: v_dual_lshlrev_b32 v7, 16, v7
	s_delay_alu instid0(VALU_DEP_1) | instskip(SKIP_1) | instid1(VALU_DEP_1)
	v_and_b32_e32 v12, 0x7fffffff, v7
	s_wait_xcnt 0x0
	v_cmpx_gt_u32_e32 0x43800000, v12
	s_cbranch_execz .LBB295_969
; %bb.964:
	v_cmp_lt_u32_e64 s1, 0x3bffffff, v12
	s_mov_b32 s19, 0
                                        ; implicit-def: $vgpr12
	s_and_saveexec_b32 s20, s1
	s_delay_alu instid0(SALU_CYCLE_1)
	s_xor_b32 s1, exec_lo, s20
	s_cbranch_execz .LBB295_2683
; %bb.965:
	v_bfe_u32 v12, v7, 20, 1
	s_mov_b32 s19, exec_lo
	s_delay_alu instid0(VALU_DEP_1) | instskip(NEXT) | instid1(VALU_DEP_1)
	v_add3_u32 v12, v7, v12, 0x487ffff
	v_lshrrev_b32_e32 v12, 20, v12
	s_and_not1_saveexec_b32 s20, s1
	s_cbranch_execnz .LBB295_2684
.LBB295_966:
	s_or_b32 exec_lo, exec_lo, s20
	v_mov_b32_e32 v20, 0
	s_and_saveexec_b32 s1, s19
.LBB295_967:
	v_lshrrev_b32_e32 v7, 24, v7
	s_delay_alu instid0(VALU_DEP_1)
	v_and_or_b32 v20, 0x80, v7, v12
.LBB295_968:
	s_or_b32 exec_lo, exec_lo, s1
.LBB295_969:
	s_delay_alu instid0(SALU_CYCLE_1) | instskip(NEXT) | instid1(SALU_CYCLE_1)
	s_or_b32 exec_lo, exec_lo, s17
	s_mov_b32 s17, exec_lo
	s_xor_b32 s19, exec_lo, -1
.LBB295_970:
	s_or_b32 exec_lo, exec_lo, s14
	s_delay_alu instid0(SALU_CYCLE_1)
	s_and_b32 s17, s17, exec_lo
	s_and_b32 s14, s19, exec_lo
.LBB295_971:
	s_and_not1_saveexec_b32 s18, s18
	s_cbranch_execz .LBB295_981
; %bb.972:
	s_mov_b32 s20, -1
	s_mov_b32 s21, s17
	s_mov_b32 s19, exec_lo
                                        ; implicit-def: $vgpr20
	v_cmpx_eq_u16_e32 44, v15
	s_cbranch_execz .LBB295_980
; %bb.973:
	flat_load_u8 v7, v[8:9]
	v_mov_b32_e32 v20, 0x80
	s_mov_b32 s21, 0
	s_mov_b32 s20, exec_lo
	s_wait_loadcnt_dscnt 0x0
	v_lshlrev_b32_e32 v12, 23, v7
	v_cmp_ne_u32_e64 s1, 0xff, v7
	s_delay_alu instid0(VALU_DEP_1) | instskip(SKIP_1) | instid1(VALU_DEP_1)
	v_cndmask_b32_e64 v12, 0x7f800001, v12, s1
	v_cmp_ne_u32_e64 s1, 0, v7
	v_cndmask_b32_e64 v12, 0x400000, v12, s1
	s_wait_xcnt 0x0
	s_delay_alu instid0(VALU_DEP_1)
	v_cmpx_gt_u32_e32 0x43800000, v12
	s_cbranch_execz .LBB295_979
; %bb.974:
	v_cmp_lt_u32_e64 s1, 0x3bffffff, v12
                                        ; implicit-def: $vgpr7
	s_and_saveexec_b32 s22, s1
	s_delay_alu instid0(SALU_CYCLE_1)
	s_xor_b32 s1, exec_lo, s22
	s_cbranch_execz .LBB295_2685
; %bb.975:
	v_bfe_u32 v7, v12, 20, 1
	s_mov_b32 s21, exec_lo
	s_delay_alu instid0(VALU_DEP_1) | instskip(NEXT) | instid1(VALU_DEP_1)
	v_add3_u32 v7, v12, v7, 0x487ffff
                                        ; implicit-def: $vgpr12
	v_lshrrev_b32_e32 v7, 20, v7
	s_and_not1_saveexec_b32 s22, s1
	s_cbranch_execnz .LBB295_2686
.LBB295_976:
	s_or_b32 exec_lo, exec_lo, s22
	v_mov_b32_e32 v20, 0
	s_and_saveexec_b32 s1, s21
.LBB295_977:
	v_mov_b32_e32 v20, v7
.LBB295_978:
	s_or_b32 exec_lo, exec_lo, s1
.LBB295_979:
	s_delay_alu instid0(SALU_CYCLE_1) | instskip(NEXT) | instid1(SALU_CYCLE_1)
	s_or_b32 exec_lo, exec_lo, s20
	s_or_b32 s21, s17, exec_lo
	s_xor_b32 s20, exec_lo, -1
.LBB295_980:
	s_or_b32 exec_lo, exec_lo, s19
	s_delay_alu instid0(SALU_CYCLE_1)
	s_and_not1_b32 s1, s17, exec_lo
	s_and_b32 s17, s21, exec_lo
	s_and_not1_b32 s14, s14, exec_lo
	s_and_b32 s19, s20, exec_lo
	s_or_b32 s17, s1, s17
	s_or_b32 s14, s14, s19
.LBB295_981:
	s_or_b32 exec_lo, exec_lo, s18
	s_delay_alu instid0(SALU_CYCLE_1)
	s_and_b32 s18, s17, exec_lo
	s_and_b32 s17, s14, exec_lo
.LBB295_982:
	s_and_not1_saveexec_b32 s13, s13
	s_cbranch_execz .LBB295_992
; %bb.983:
	s_mov_b32 s19, -1
	s_mov_b32 s20, s18
	s_mov_b32 s14, exec_lo
                                        ; implicit-def: $vgpr20
	v_cmpx_eq_u16_e32 29, v15
	s_cbranch_execz .LBB295_991
; %bb.984:
	flat_load_b64 v[12:13], v[8:9]
	v_mov_b32_e32 v20, 0x80
	s_mov_b32 s19, exec_lo
	s_wait_loadcnt_dscnt 0x0
	v_clz_i32_u32_e32 v7, v13
	s_delay_alu instid0(VALU_DEP_1) | instskip(NEXT) | instid1(VALU_DEP_1)
	v_min_u32_e32 v7, 32, v7
	v_lshlrev_b64_e32 v[12:13], v7, v[12:13]
	v_sub_nc_u32_e32 v7, 32, v7
	s_delay_alu instid0(VALU_DEP_2) | instskip(NEXT) | instid1(VALU_DEP_1)
	v_min_u32_e32 v12, 1, v12
	v_or_b32_e32 v12, v13, v12
	s_delay_alu instid0(VALU_DEP_1) | instskip(NEXT) | instid1(VALU_DEP_1)
	v_cvt_f32_u32_e32 v12, v12
	v_ldexp_f32 v12, v12, v7
	s_wait_xcnt 0x0
	s_delay_alu instid0(VALU_DEP_1)
	v_cmpx_gt_u32_e32 0x43800000, v12
	s_cbranch_execz .LBB295_990
; %bb.985:
	v_cmp_lt_u32_e64 s1, 0x3bffffff, v12
	s_mov_b32 s20, 0
                                        ; implicit-def: $vgpr7
	s_and_saveexec_b32 s21, s1
	s_delay_alu instid0(SALU_CYCLE_1)
	s_xor_b32 s1, exec_lo, s21
	s_cbranch_execz .LBB295_2600
; %bb.986:
	v_bfe_u32 v7, v12, 20, 1
	s_mov_b32 s20, exec_lo
	s_delay_alu instid0(VALU_DEP_1) | instskip(NEXT) | instid1(VALU_DEP_1)
	v_add3_u32 v7, v12, v7, 0x487ffff
                                        ; implicit-def: $vgpr12
	v_lshrrev_b32_e32 v7, 20, v7
	s_and_not1_saveexec_b32 s21, s1
	s_cbranch_execnz .LBB295_2601
.LBB295_987:
	s_or_b32 exec_lo, exec_lo, s21
	v_mov_b32_e32 v20, 0
	s_and_saveexec_b32 s1, s20
.LBB295_988:
	v_mov_b32_e32 v20, v7
.LBB295_989:
	s_or_b32 exec_lo, exec_lo, s1
.LBB295_990:
	s_delay_alu instid0(SALU_CYCLE_1) | instskip(NEXT) | instid1(SALU_CYCLE_1)
	s_or_b32 exec_lo, exec_lo, s19
	s_or_b32 s20, s18, exec_lo
	s_xor_b32 s19, exec_lo, -1
.LBB295_991:
	s_or_b32 exec_lo, exec_lo, s14
	s_delay_alu instid0(SALU_CYCLE_1)
	s_and_not1_b32 s1, s18, exec_lo
	s_and_b32 s14, s20, exec_lo
	s_and_not1_b32 s17, s17, exec_lo
	s_and_b32 s19, s19, exec_lo
	s_or_b32 s18, s1, s14
	s_or_b32 s17, s17, s19
.LBB295_992:
	s_or_b32 exec_lo, exec_lo, s13
	s_delay_alu instid0(SALU_CYCLE_1)
	s_and_b32 s14, s18, exec_lo
	s_and_b32 s13, s17, exec_lo
.LBB295_993:
	s_and_not1_saveexec_b32 s11, s11
	s_cbranch_execz .LBB295_1015
; %bb.994:
	s_mov_b32 s17, exec_lo
                                        ; implicit-def: $vgpr20
	v_cmpx_lt_i16_e32 26, v15
	s_xor_b32 s17, exec_lo, s17
	s_cbranch_execz .LBB295_1012
; %bb.995:
	s_mov_b32 s18, exec_lo
                                        ; implicit-def: $vgpr20
	v_cmpx_lt_i16_e32 27, v15
	s_xor_b32 s18, exec_lo, s18
	s_cbranch_execz .LBB295_1003
; %bb.996:
	flat_load_b32 v7, v[8:9]
	v_mov_b32_e32 v20, 0x80
	s_mov_b32 s19, exec_lo
	s_wait_loadcnt_dscnt 0x0
	v_cvt_f32_u32_e32 v12, v7
	s_wait_xcnt 0x0
	s_delay_alu instid0(VALU_DEP_1)
	v_cmpx_gt_u32_e32 0x43800000, v12
	s_cbranch_execz .LBB295_1002
; %bb.997:
	v_cmp_lt_u32_e64 s1, 0x3bffffff, v12
	s_mov_b32 s20, 0
                                        ; implicit-def: $vgpr7
	s_and_saveexec_b32 s21, s1
	s_delay_alu instid0(SALU_CYCLE_1)
	s_xor_b32 s1, exec_lo, s21
	s_cbranch_execz .LBB295_2602
; %bb.998:
	v_bfe_u32 v7, v12, 20, 1
	s_mov_b32 s20, exec_lo
	s_delay_alu instid0(VALU_DEP_1) | instskip(NEXT) | instid1(VALU_DEP_1)
	v_add3_u32 v7, v12, v7, 0x487ffff
                                        ; implicit-def: $vgpr12
	v_lshrrev_b32_e32 v7, 20, v7
	s_and_not1_saveexec_b32 s21, s1
	s_cbranch_execnz .LBB295_2603
.LBB295_999:
	s_or_b32 exec_lo, exec_lo, s21
	v_mov_b32_e32 v20, 0
	s_and_saveexec_b32 s1, s20
.LBB295_1000:
	v_mov_b32_e32 v20, v7
.LBB295_1001:
	s_or_b32 exec_lo, exec_lo, s1
.LBB295_1002:
	s_delay_alu instid0(SALU_CYCLE_1)
	s_or_b32 exec_lo, exec_lo, s19
.LBB295_1003:
	s_and_not1_saveexec_b32 s18, s18
	s_cbranch_execz .LBB295_1011
; %bb.1004:
	flat_load_u16 v7, v[8:9]
	v_mov_b32_e32 v20, 0x80
	s_mov_b32 s19, exec_lo
	s_wait_loadcnt_dscnt 0x0
	v_cvt_f32_u32_e32 v12, v7
	s_wait_xcnt 0x0
	s_delay_alu instid0(VALU_DEP_1)
	v_cmpx_gt_u32_e32 0x43800000, v12
	s_cbranch_execz .LBB295_1010
; %bb.1005:
	v_cmp_lt_u32_e64 s1, 0x3bffffff, v12
	s_mov_b32 s20, 0
                                        ; implicit-def: $vgpr7
	s_and_saveexec_b32 s21, s1
	s_delay_alu instid0(SALU_CYCLE_1)
	s_xor_b32 s1, exec_lo, s21
	s_cbranch_execz .LBB295_2604
; %bb.1006:
	v_bfe_u32 v7, v12, 20, 1
	s_mov_b32 s20, exec_lo
	s_delay_alu instid0(VALU_DEP_1) | instskip(NEXT) | instid1(VALU_DEP_1)
	v_add3_u32 v7, v12, v7, 0x487ffff
                                        ; implicit-def: $vgpr12
	v_lshrrev_b32_e32 v7, 20, v7
	s_and_not1_saveexec_b32 s21, s1
	s_cbranch_execnz .LBB295_2605
.LBB295_1007:
	s_or_b32 exec_lo, exec_lo, s21
	v_mov_b32_e32 v20, 0
	s_and_saveexec_b32 s1, s20
.LBB295_1008:
	v_mov_b32_e32 v20, v7
.LBB295_1009:
	s_or_b32 exec_lo, exec_lo, s1
.LBB295_1010:
	s_delay_alu instid0(SALU_CYCLE_1)
	s_or_b32 exec_lo, exec_lo, s19
.LBB295_1011:
	s_delay_alu instid0(SALU_CYCLE_1)
	s_or_b32 exec_lo, exec_lo, s18
.LBB295_1012:
	s_and_not1_saveexec_b32 s1, s17
	s_cbranch_execz .LBB295_1014
; %bb.1013:
	flat_load_u8 v20, v[8:9]
.LBB295_1014:
	s_wait_xcnt 0x0
	s_or_b32 exec_lo, exec_lo, s1
	s_delay_alu instid0(SALU_CYCLE_1)
	s_or_b32 s14, s14, exec_lo
.LBB295_1015:
	s_or_b32 exec_lo, exec_lo, s11
	s_delay_alu instid0(SALU_CYCLE_1)
	s_and_b32 s11, s14, exec_lo
	s_and_b32 s13, s13, exec_lo
	s_and_not1_saveexec_b32 s12, s12
	s_cbranch_execnz .LBB295_2184
.LBB295_1016:
	s_or_b32 exec_lo, exec_lo, s12
	s_mov_b32 s12, s6
	s_and_saveexec_b32 s1, s13
	s_cbranch_execnz .LBB295_2233
.LBB295_1017:
	s_or_b32 exec_lo, exec_lo, s1
	s_and_saveexec_b32 s1, s9
	s_delay_alu instid0(SALU_CYCLE_1)
	s_xor_b32 s9, exec_lo, s1
	s_cbranch_execz .LBB295_1025
.LBB295_1018:
	flat_load_u8 v7, v[8:9]
	s_wait_loadcnt_dscnt 0x101
	v_mov_b32_e32 v20, 0x80
	s_mov_b32 s14, 0
	s_mov_b32 s13, exec_lo
	s_wait_loadcnt_dscnt 0x0
	v_cmp_ne_u16_e64 s1, 0, v7
	s_wait_xcnt 0x0
	s_delay_alu instid0(VALU_DEP_1) | instskip(NEXT) | instid1(VALU_DEP_1)
	v_cndmask_b32_e64 v8, 0, 1.0, s1
	v_cmpx_gt_u32_e32 0x43800000, v8
	s_cbranch_execz .LBB295_1024
; %bb.1019:
	v_cmp_lt_u32_e64 s1, 0x3bffffff, v8
                                        ; implicit-def: $vgpr7
	s_and_saveexec_b32 s17, s1
	s_delay_alu instid0(SALU_CYCLE_1)
	s_xor_b32 s1, exec_lo, s17
	s_cbranch_execz .LBB295_2339
; %bb.1020:
	v_bfe_u32 v7, v8, 20, 1
	s_mov_b32 s14, exec_lo
	s_delay_alu instid0(VALU_DEP_1) | instskip(NEXT) | instid1(VALU_DEP_1)
	v_add3_u32 v7, v8, v7, 0x487ffff
                                        ; implicit-def: $vgpr8
	v_lshrrev_b32_e32 v7, 20, v7
	s_and_not1_saveexec_b32 s17, s1
	s_cbranch_execnz .LBB295_2340
.LBB295_1021:
	s_or_b32 exec_lo, exec_lo, s17
	v_mov_b32_e32 v20, 0
	s_and_saveexec_b32 s1, s14
.LBB295_1022:
	v_mov_b32_e32 v20, v7
.LBB295_1023:
	s_or_b32 exec_lo, exec_lo, s1
.LBB295_1024:
	s_delay_alu instid0(SALU_CYCLE_1) | instskip(NEXT) | instid1(SALU_CYCLE_1)
	s_or_b32 exec_lo, exec_lo, s13
	s_or_b32 s11, s11, exec_lo
.LBB295_1025:
	s_or_b32 exec_lo, exec_lo, s9
	s_delay_alu instid0(SALU_CYCLE_1)
	s_and_not1_b32 s1, s6, exec_lo
	s_and_b32 s9, s12, exec_lo
	s_and_b32 s11, s11, exec_lo
	s_or_b32 s9, s1, s9
                                        ; implicit-def: $vgpr8_vgpr9
.LBB295_1026:
	s_and_not1_saveexec_b32 s10, s10
	s_cbranch_execz .LBB295_1134
; %bb.1027:
	s_mov_b32 s12, exec_lo
                                        ; implicit-def: $vgpr20
	v_cmpx_lt_i16_e32 4, v15
	s_xor_b32 s12, exec_lo, s12
	s_cbranch_execz .LBB295_1085
; %bb.1028:
	s_mov_b32 s13, exec_lo
                                        ; implicit-def: $vgpr20
	v_cmpx_lt_i16_e32 7, v15
	s_xor_b32 s13, exec_lo, s13
	s_cbranch_execz .LBB295_1056
; %bb.1029:
	s_mov_b32 s14, exec_lo
                                        ; implicit-def: $vgpr20
	v_cmpx_lt_i16_e32 8, v15
	s_xor_b32 s14, exec_lo, s14
	s_cbranch_execz .LBB295_1047
; %bb.1030:
	s_mov_b32 s17, exec_lo
                                        ; implicit-def: $vgpr20
	v_cmpx_lt_i16_e32 9, v15
	s_xor_b32 s17, exec_lo, s17
	s_cbranch_execz .LBB295_1038
; %bb.1031:
	flat_load_b64 v[8:9], v[8:9]
	s_wait_loadcnt_dscnt 0x101
	v_mov_b32_e32 v20, 0x80
	s_mov_b32 s18, exec_lo
	s_wait_loadcnt_dscnt 0x0
	v_cvt_f32_f64_e32 v7, v[8:9]
	s_wait_xcnt 0x0
	s_delay_alu instid0(VALU_DEP_1) | instskip(NEXT) | instid1(VALU_DEP_1)
	v_and_b32_e32 v8, 0x7fffffff, v7
	v_cmpx_gt_u32_e32 0x43800000, v8
	s_cbranch_execz .LBB295_1037
; %bb.1032:
	v_cmp_lt_u32_e64 s1, 0x3bffffff, v8
	s_mov_b32 s19, 0
                                        ; implicit-def: $vgpr8
	s_and_saveexec_b32 s20, s1
	s_delay_alu instid0(SALU_CYCLE_1)
	s_xor_b32 s1, exec_lo, s20
	s_cbranch_execz .LBB295_2606
; %bb.1033:
	v_bfe_u32 v8, v7, 20, 1
	s_mov_b32 s19, exec_lo
	s_delay_alu instid0(VALU_DEP_1) | instskip(NEXT) | instid1(VALU_DEP_1)
	v_add3_u32 v8, v7, v8, 0x487ffff
	v_lshrrev_b32_e32 v8, 20, v8
	s_and_not1_saveexec_b32 s20, s1
	s_cbranch_execnz .LBB295_2607
.LBB295_1034:
	s_or_b32 exec_lo, exec_lo, s20
	v_mov_b32_e32 v20, 0
	s_and_saveexec_b32 s1, s19
.LBB295_1035:
	v_lshrrev_b32_e32 v7, 24, v7
	s_delay_alu instid0(VALU_DEP_1)
	v_and_or_b32 v20, 0x80, v7, v8
.LBB295_1036:
	s_or_b32 exec_lo, exec_lo, s1
.LBB295_1037:
	s_delay_alu instid0(SALU_CYCLE_1)
	s_or_b32 exec_lo, exec_lo, s18
                                        ; implicit-def: $vgpr8_vgpr9
.LBB295_1038:
	s_and_not1_saveexec_b32 s17, s17
	s_cbranch_execz .LBB295_1046
; %bb.1039:
	flat_load_b32 v7, v[8:9]
	s_wait_loadcnt_dscnt 0x101
	v_mov_b32_e32 v20, 0x80
	s_mov_b32 s18, exec_lo
	s_wait_loadcnt_dscnt 0x0
	v_and_b32_e32 v8, 0x7fffffff, v7
	s_delay_alu instid0(VALU_DEP_1)
	v_cmpx_gt_u32_e32 0x43800000, v8
	s_cbranch_execz .LBB295_1045
; %bb.1040:
	v_cmp_lt_u32_e64 s1, 0x3bffffff, v8
	s_mov_b32 s19, 0
                                        ; implicit-def: $vgpr8
	s_and_saveexec_b32 s20, s1
	s_delay_alu instid0(SALU_CYCLE_1)
	s_xor_b32 s1, exec_lo, s20
	s_cbranch_execz .LBB295_2608
; %bb.1041:
	v_bfe_u32 v8, v7, 20, 1
	s_mov_b32 s19, exec_lo
	s_delay_alu instid0(VALU_DEP_1) | instskip(NEXT) | instid1(VALU_DEP_1)
	v_add3_u32 v8, v7, v8, 0x487ffff
	v_lshrrev_b32_e32 v8, 20, v8
	s_and_not1_saveexec_b32 s20, s1
	s_cbranch_execnz .LBB295_2609
.LBB295_1042:
	s_or_b32 exec_lo, exec_lo, s20
	v_mov_b32_e32 v20, 0
	s_and_saveexec_b32 s1, s19
.LBB295_1043:
	v_lshrrev_b32_e32 v7, 24, v7
	s_delay_alu instid0(VALU_DEP_1)
	v_and_or_b32 v20, 0x80, v7, v8
.LBB295_1044:
	s_or_b32 exec_lo, exec_lo, s1
.LBB295_1045:
	s_delay_alu instid0(SALU_CYCLE_1)
	s_or_b32 exec_lo, exec_lo, s18
.LBB295_1046:
	s_delay_alu instid0(SALU_CYCLE_1)
	s_or_b32 exec_lo, exec_lo, s17
                                        ; implicit-def: $vgpr8_vgpr9
.LBB295_1047:
	s_and_not1_saveexec_b32 s14, s14
	s_cbranch_execz .LBB295_1055
; %bb.1048:
	flat_load_b32 v7, v[8:9]
	s_wait_loadcnt_dscnt 0x101
	v_mov_b32_e32 v20, 0x80
	s_mov_b32 s17, exec_lo
	s_wait_loadcnt_dscnt 0x0
	v_cvt_f32_f16_e32 v7, v7
	s_wait_xcnt 0x0
	s_delay_alu instid0(VALU_DEP_1) | instskip(NEXT) | instid1(VALU_DEP_1)
	v_and_b32_e32 v8, 0x7fffffff, v7
	v_cmpx_gt_u32_e32 0x43800000, v8
	s_cbranch_execz .LBB295_1054
; %bb.1049:
	v_cmp_lt_u32_e64 s1, 0x3bffffff, v8
	s_mov_b32 s18, 0
                                        ; implicit-def: $vgpr8
	s_and_saveexec_b32 s19, s1
	s_delay_alu instid0(SALU_CYCLE_1)
	s_xor_b32 s1, exec_lo, s19
	s_cbranch_execz .LBB295_2527
; %bb.1050:
	v_bfe_u32 v8, v7, 20, 1
	s_mov_b32 s18, exec_lo
	s_delay_alu instid0(VALU_DEP_1) | instskip(NEXT) | instid1(VALU_DEP_1)
	v_add3_u32 v8, v7, v8, 0x487ffff
	v_lshrrev_b32_e32 v8, 20, v8
	s_and_not1_saveexec_b32 s19, s1
	s_cbranch_execnz .LBB295_2528
.LBB295_1051:
	s_or_b32 exec_lo, exec_lo, s19
	v_mov_b32_e32 v20, 0
	s_and_saveexec_b32 s1, s18
.LBB295_1052:
	v_lshrrev_b32_e32 v7, 24, v7
	s_delay_alu instid0(VALU_DEP_1)
	v_and_or_b32 v20, 0x80, v7, v8
.LBB295_1053:
	s_or_b32 exec_lo, exec_lo, s1
.LBB295_1054:
	s_delay_alu instid0(SALU_CYCLE_1)
	s_or_b32 exec_lo, exec_lo, s17
.LBB295_1055:
	s_delay_alu instid0(SALU_CYCLE_1)
	s_or_b32 exec_lo, exec_lo, s14
                                        ; implicit-def: $vgpr8_vgpr9
.LBB295_1056:
	s_and_not1_saveexec_b32 s13, s13
	s_cbranch_execz .LBB295_1084
; %bb.1057:
	s_mov_b32 s14, exec_lo
                                        ; implicit-def: $vgpr20
	v_cmpx_lt_i16_e32 5, v15
	s_xor_b32 s14, exec_lo, s14
	s_cbranch_execz .LBB295_1075
; %bb.1058:
	s_mov_b32 s17, exec_lo
                                        ; implicit-def: $vgpr20
	v_cmpx_lt_i16_e32 6, v15
	s_xor_b32 s17, exec_lo, s17
	s_cbranch_execz .LBB295_1066
; %bb.1059:
	flat_load_b64 v[8:9], v[8:9]
	s_wait_loadcnt_dscnt 0x101
	v_mov_b32_e32 v20, 0x80
	s_mov_b32 s18, exec_lo
	s_wait_loadcnt_dscnt 0x0
	v_cvt_f32_f64_e32 v7, v[8:9]
	s_wait_xcnt 0x0
	s_delay_alu instid0(VALU_DEP_1) | instskip(NEXT) | instid1(VALU_DEP_1)
	v_and_b32_e32 v8, 0x7fffffff, v7
	v_cmpx_gt_u32_e32 0x43800000, v8
	s_cbranch_execz .LBB295_1065
; %bb.1060:
	v_cmp_lt_u32_e64 s1, 0x3bffffff, v8
	s_mov_b32 s19, 0
                                        ; implicit-def: $vgpr8
	s_and_saveexec_b32 s20, s1
	s_delay_alu instid0(SALU_CYCLE_1)
	s_xor_b32 s1, exec_lo, s20
	s_cbranch_execz .LBB295_2610
; %bb.1061:
	v_bfe_u32 v8, v7, 20, 1
	s_mov_b32 s19, exec_lo
	s_delay_alu instid0(VALU_DEP_1) | instskip(NEXT) | instid1(VALU_DEP_1)
	v_add3_u32 v8, v7, v8, 0x487ffff
	v_lshrrev_b32_e32 v8, 20, v8
	s_and_not1_saveexec_b32 s20, s1
	s_cbranch_execnz .LBB295_2611
.LBB295_1062:
	s_or_b32 exec_lo, exec_lo, s20
	v_mov_b32_e32 v20, 0
	s_and_saveexec_b32 s1, s19
.LBB295_1063:
	v_lshrrev_b32_e32 v7, 24, v7
	s_delay_alu instid0(VALU_DEP_1)
	v_and_or_b32 v20, 0x80, v7, v8
.LBB295_1064:
	s_or_b32 exec_lo, exec_lo, s1
.LBB295_1065:
	s_delay_alu instid0(SALU_CYCLE_1)
	s_or_b32 exec_lo, exec_lo, s18
                                        ; implicit-def: $vgpr8_vgpr9
.LBB295_1066:
	s_and_not1_saveexec_b32 s17, s17
	s_cbranch_execz .LBB295_1074
; %bb.1067:
	flat_load_b32 v7, v[8:9]
	s_wait_loadcnt_dscnt 0x101
	v_mov_b32_e32 v20, 0x80
	s_mov_b32 s18, exec_lo
	s_wait_loadcnt_dscnt 0x0
	v_and_b32_e32 v8, 0x7fffffff, v7
	s_delay_alu instid0(VALU_DEP_1)
	v_cmpx_gt_u32_e32 0x43800000, v8
	s_cbranch_execz .LBB295_1073
; %bb.1068:
	v_cmp_lt_u32_e64 s1, 0x3bffffff, v8
	s_mov_b32 s19, 0
                                        ; implicit-def: $vgpr8
	s_and_saveexec_b32 s20, s1
	s_delay_alu instid0(SALU_CYCLE_1)
	s_xor_b32 s1, exec_lo, s20
	s_cbranch_execz .LBB295_2612
; %bb.1069:
	v_bfe_u32 v8, v7, 20, 1
	s_mov_b32 s19, exec_lo
	s_delay_alu instid0(VALU_DEP_1) | instskip(NEXT) | instid1(VALU_DEP_1)
	v_add3_u32 v8, v7, v8, 0x487ffff
	v_lshrrev_b32_e32 v8, 20, v8
	s_and_not1_saveexec_b32 s20, s1
	s_cbranch_execnz .LBB295_2613
.LBB295_1070:
	s_or_b32 exec_lo, exec_lo, s20
	v_mov_b32_e32 v20, 0
	s_and_saveexec_b32 s1, s19
.LBB295_1071:
	v_lshrrev_b32_e32 v7, 24, v7
	s_delay_alu instid0(VALU_DEP_1)
	v_and_or_b32 v20, 0x80, v7, v8
.LBB295_1072:
	s_or_b32 exec_lo, exec_lo, s1
.LBB295_1073:
	s_delay_alu instid0(SALU_CYCLE_1)
	s_or_b32 exec_lo, exec_lo, s18
.LBB295_1074:
	s_delay_alu instid0(SALU_CYCLE_1)
	s_or_b32 exec_lo, exec_lo, s17
                                        ; implicit-def: $vgpr8_vgpr9
.LBB295_1075:
	s_and_not1_saveexec_b32 s14, s14
	s_cbranch_execz .LBB295_1083
; %bb.1076:
	flat_load_u16 v7, v[8:9]
	s_wait_loadcnt_dscnt 0x101
	v_mov_b32_e32 v20, 0x80
	s_mov_b32 s17, exec_lo
	s_wait_loadcnt_dscnt 0x0
	v_cvt_f32_f16_e32 v7, v7
	s_wait_xcnt 0x0
	s_delay_alu instid0(VALU_DEP_1) | instskip(NEXT) | instid1(VALU_DEP_1)
	v_and_b32_e32 v8, 0x7fffffff, v7
	v_cmpx_gt_u32_e32 0x43800000, v8
	s_cbranch_execz .LBB295_1082
; %bb.1077:
	v_cmp_lt_u32_e64 s1, 0x3bffffff, v8
	s_mov_b32 s18, 0
                                        ; implicit-def: $vgpr8
	s_and_saveexec_b32 s19, s1
	s_delay_alu instid0(SALU_CYCLE_1)
	s_xor_b32 s1, exec_lo, s19
	s_cbranch_execz .LBB295_2529
; %bb.1078:
	v_bfe_u32 v8, v7, 20, 1
	s_mov_b32 s18, exec_lo
	s_delay_alu instid0(VALU_DEP_1) | instskip(NEXT) | instid1(VALU_DEP_1)
	v_add3_u32 v8, v7, v8, 0x487ffff
	v_lshrrev_b32_e32 v8, 20, v8
	s_and_not1_saveexec_b32 s19, s1
	s_cbranch_execnz .LBB295_2530
.LBB295_1079:
	s_or_b32 exec_lo, exec_lo, s19
	v_mov_b32_e32 v20, 0
	s_and_saveexec_b32 s1, s18
.LBB295_1080:
	v_lshrrev_b32_e32 v7, 24, v7
	s_delay_alu instid0(VALU_DEP_1)
	v_and_or_b32 v20, 0x80, v7, v8
.LBB295_1081:
	s_or_b32 exec_lo, exec_lo, s1
.LBB295_1082:
	s_delay_alu instid0(SALU_CYCLE_1)
	s_or_b32 exec_lo, exec_lo, s17
.LBB295_1083:
	s_delay_alu instid0(SALU_CYCLE_1)
	s_or_b32 exec_lo, exec_lo, s14
.LBB295_1084:
	s_delay_alu instid0(SALU_CYCLE_1)
	s_or_b32 exec_lo, exec_lo, s13
                                        ; implicit-def: $vgpr8_vgpr9
.LBB295_1085:
	s_and_not1_saveexec_b32 s12, s12
	s_cbranch_execz .LBB295_1133
; %bb.1086:
	s_mov_b32 s13, exec_lo
                                        ; implicit-def: $vgpr20
	v_cmpx_lt_i16_e32 1, v15
	s_xor_b32 s13, exec_lo, s13
	s_cbranch_execz .LBB295_1114
; %bb.1087:
	s_mov_b32 s14, exec_lo
                                        ; implicit-def: $vgpr20
	v_cmpx_lt_i16_e32 2, v15
	s_xor_b32 s14, exec_lo, s14
	;; [unrolled: 6-line block ×3, first 2 shown]
	s_cbranch_execz .LBB295_1096
; %bb.1089:
	flat_load_b64 v[8:9], v[8:9]
	s_mov_b32 s18, exec_lo
	s_wait_loadcnt_dscnt 0x101
	v_mov_b32_e32 v20, 0x80
	s_wait_loadcnt_dscnt 0x0
	v_xor_b32_e32 v7, v8, v9
	v_cls_i32_e32 v12, v9
	s_delay_alu instid0(VALU_DEP_2) | instskip(NEXT) | instid1(VALU_DEP_1)
	v_ashrrev_i32_e32 v7, 31, v7
	v_add_nc_u32_e32 v7, 32, v7
	s_delay_alu instid0(VALU_DEP_1) | instskip(SKIP_1) | instid1(VALU_DEP_1)
	v_add_min_u32_e64 v7, v12, -1, v7
	s_wait_xcnt 0x0
	v_lshlrev_b64_e32 v[8:9], v7, v[8:9]
	v_sub_nc_u32_e32 v7, 32, v7
	s_delay_alu instid0(VALU_DEP_2) | instskip(NEXT) | instid1(VALU_DEP_1)
	v_min_u32_e32 v8, 1, v8
	v_or_b32_e32 v8, v9, v8
	s_delay_alu instid0(VALU_DEP_1) | instskip(NEXT) | instid1(VALU_DEP_1)
	v_cvt_f32_i32_e32 v8, v8
	v_ldexp_f32 v7, v8, v7
	s_delay_alu instid0(VALU_DEP_1) | instskip(NEXT) | instid1(VALU_DEP_1)
	v_and_b32_e32 v8, 0x7fffffff, v7
	v_cmpx_gt_u32_e32 0x43800000, v8
	s_cbranch_execz .LBB295_1095
; %bb.1090:
	v_cmp_lt_u32_e64 s1, 0x3bffffff, v8
	s_mov_b32 s19, 0
                                        ; implicit-def: $vgpr8
	s_and_saveexec_b32 s20, s1
	s_delay_alu instid0(SALU_CYCLE_1)
	s_xor_b32 s1, exec_lo, s20
	s_cbranch_execz .LBB295_2614
; %bb.1091:
	v_bfe_u32 v8, v7, 20, 1
	s_mov_b32 s19, exec_lo
	s_delay_alu instid0(VALU_DEP_1) | instskip(NEXT) | instid1(VALU_DEP_1)
	v_add3_u32 v8, v7, v8, 0x487ffff
	v_lshrrev_b32_e32 v8, 20, v8
	s_and_not1_saveexec_b32 s20, s1
	s_cbranch_execnz .LBB295_2615
.LBB295_1092:
	s_or_b32 exec_lo, exec_lo, s20
	v_mov_b32_e32 v20, 0
	s_and_saveexec_b32 s1, s19
.LBB295_1093:
	v_lshrrev_b32_e32 v7, 24, v7
	s_delay_alu instid0(VALU_DEP_1)
	v_and_or_b32 v20, 0x80, v7, v8
.LBB295_1094:
	s_or_b32 exec_lo, exec_lo, s1
.LBB295_1095:
	s_delay_alu instid0(SALU_CYCLE_1)
	s_or_b32 exec_lo, exec_lo, s18
                                        ; implicit-def: $vgpr8_vgpr9
.LBB295_1096:
	s_and_not1_saveexec_b32 s17, s17
	s_cbranch_execz .LBB295_1104
; %bb.1097:
	flat_load_b32 v7, v[8:9]
	s_wait_loadcnt_dscnt 0x101
	v_mov_b32_e32 v20, 0x80
	s_mov_b32 s18, exec_lo
	s_wait_loadcnt_dscnt 0x0
	v_cvt_f32_i32_e32 v7, v7
	s_wait_xcnt 0x0
	s_delay_alu instid0(VALU_DEP_1) | instskip(NEXT) | instid1(VALU_DEP_1)
	v_and_b32_e32 v8, 0x7fffffff, v7
	v_cmpx_gt_u32_e32 0x43800000, v8
	s_cbranch_execz .LBB295_1103
; %bb.1098:
	v_cmp_lt_u32_e64 s1, 0x3bffffff, v8
	s_mov_b32 s19, 0
                                        ; implicit-def: $vgpr8
	s_and_saveexec_b32 s20, s1
	s_delay_alu instid0(SALU_CYCLE_1)
	s_xor_b32 s1, exec_lo, s20
	s_cbranch_execz .LBB295_2616
; %bb.1099:
	v_bfe_u32 v8, v7, 20, 1
	s_mov_b32 s19, exec_lo
	s_delay_alu instid0(VALU_DEP_1) | instskip(NEXT) | instid1(VALU_DEP_1)
	v_add3_u32 v8, v7, v8, 0x487ffff
	v_lshrrev_b32_e32 v8, 20, v8
	s_and_not1_saveexec_b32 s20, s1
	s_cbranch_execnz .LBB295_2617
.LBB295_1100:
	s_or_b32 exec_lo, exec_lo, s20
	v_mov_b32_e32 v20, 0
	s_and_saveexec_b32 s1, s19
.LBB295_1101:
	v_lshrrev_b32_e32 v7, 24, v7
	s_delay_alu instid0(VALU_DEP_1)
	v_and_or_b32 v20, 0x80, v7, v8
.LBB295_1102:
	s_or_b32 exec_lo, exec_lo, s1
.LBB295_1103:
	s_delay_alu instid0(SALU_CYCLE_1)
	s_or_b32 exec_lo, exec_lo, s18
.LBB295_1104:
	s_delay_alu instid0(SALU_CYCLE_1)
	s_or_b32 exec_lo, exec_lo, s17
                                        ; implicit-def: $vgpr8_vgpr9
.LBB295_1105:
	s_and_not1_saveexec_b32 s14, s14
	s_cbranch_execz .LBB295_1113
; %bb.1106:
	flat_load_i16 v7, v[8:9]
	s_wait_loadcnt_dscnt 0x101
	v_mov_b32_e32 v20, 0x80
	s_mov_b32 s17, exec_lo
	s_wait_loadcnt_dscnt 0x0
	v_cvt_f32_i32_e32 v7, v7
	s_wait_xcnt 0x0
	s_delay_alu instid0(VALU_DEP_1) | instskip(NEXT) | instid1(VALU_DEP_1)
	v_and_b32_e32 v8, 0x7fffffff, v7
	v_cmpx_gt_u32_e32 0x43800000, v8
	s_cbranch_execz .LBB295_1112
; %bb.1107:
	v_cmp_lt_u32_e64 s1, 0x3bffffff, v8
	s_mov_b32 s18, 0
                                        ; implicit-def: $vgpr8
	s_and_saveexec_b32 s19, s1
	s_delay_alu instid0(SALU_CYCLE_1)
	s_xor_b32 s1, exec_lo, s19
	s_cbranch_execz .LBB295_2531
; %bb.1108:
	v_bfe_u32 v8, v7, 20, 1
	s_mov_b32 s18, exec_lo
	s_delay_alu instid0(VALU_DEP_1) | instskip(NEXT) | instid1(VALU_DEP_1)
	v_add3_u32 v8, v7, v8, 0x487ffff
	v_lshrrev_b32_e32 v8, 20, v8
	s_and_not1_saveexec_b32 s19, s1
	s_cbranch_execnz .LBB295_2532
.LBB295_1109:
	s_or_b32 exec_lo, exec_lo, s19
	v_mov_b32_e32 v20, 0
	s_and_saveexec_b32 s1, s18
.LBB295_1110:
	v_lshrrev_b32_e32 v7, 24, v7
	s_delay_alu instid0(VALU_DEP_1)
	v_and_or_b32 v20, 0x80, v7, v8
.LBB295_1111:
	s_or_b32 exec_lo, exec_lo, s1
.LBB295_1112:
	s_delay_alu instid0(SALU_CYCLE_1)
	s_or_b32 exec_lo, exec_lo, s17
.LBB295_1113:
	s_delay_alu instid0(SALU_CYCLE_1)
	s_or_b32 exec_lo, exec_lo, s14
                                        ; implicit-def: $vgpr8_vgpr9
.LBB295_1114:
	s_and_not1_saveexec_b32 s13, s13
	s_cbranch_execz .LBB295_1132
; %bb.1115:
	s_mov_b32 s14, exec_lo
                                        ; implicit-def: $vgpr20
	v_cmpx_lt_i16_e32 0, v15
	s_xor_b32 s14, exec_lo, s14
	s_cbranch_execz .LBB295_1123
; %bb.1116:
	flat_load_i8 v7, v[8:9]
	s_wait_loadcnt_dscnt 0x101
	v_mov_b32_e32 v20, 0x80
	s_mov_b32 s17, exec_lo
	s_wait_loadcnt_dscnt 0x0
	v_cvt_f32_i32_e32 v7, v7
	s_wait_xcnt 0x0
	s_delay_alu instid0(VALU_DEP_1) | instskip(NEXT) | instid1(VALU_DEP_1)
	v_and_b32_e32 v8, 0x7fffffff, v7
	v_cmpx_gt_u32_e32 0x43800000, v8
	s_cbranch_execz .LBB295_1122
; %bb.1117:
	v_cmp_lt_u32_e64 s1, 0x3bffffff, v8
	s_mov_b32 s18, 0
                                        ; implicit-def: $vgpr8
	s_and_saveexec_b32 s19, s1
	s_delay_alu instid0(SALU_CYCLE_1)
	s_xor_b32 s1, exec_lo, s19
	s_cbranch_execz .LBB295_2533
; %bb.1118:
	v_bfe_u32 v8, v7, 20, 1
	s_mov_b32 s18, exec_lo
	s_delay_alu instid0(VALU_DEP_1) | instskip(NEXT) | instid1(VALU_DEP_1)
	v_add3_u32 v8, v7, v8, 0x487ffff
	v_lshrrev_b32_e32 v8, 20, v8
	s_and_not1_saveexec_b32 s19, s1
	s_cbranch_execnz .LBB295_2534
.LBB295_1119:
	s_or_b32 exec_lo, exec_lo, s19
	v_mov_b32_e32 v20, 0
	s_and_saveexec_b32 s1, s18
.LBB295_1120:
	v_lshrrev_b32_e32 v7, 24, v7
	s_delay_alu instid0(VALU_DEP_1)
	v_and_or_b32 v20, 0x80, v7, v8
.LBB295_1121:
	s_or_b32 exec_lo, exec_lo, s1
.LBB295_1122:
	s_delay_alu instid0(SALU_CYCLE_1)
	s_or_b32 exec_lo, exec_lo, s17
                                        ; implicit-def: $vgpr8_vgpr9
.LBB295_1123:
	s_and_not1_saveexec_b32 s14, s14
	s_cbranch_execz .LBB295_1131
; %bb.1124:
	flat_load_u8 v7, v[8:9]
	s_wait_loadcnt_dscnt 0x101
	v_mov_b32_e32 v20, 0x80
	s_mov_b32 s17, exec_lo
	s_wait_loadcnt_dscnt 0x0
	v_cvt_f32_ubyte0_e32 v8, v7
	s_delay_alu instid0(VALU_DEP_1)
	v_cmpx_gt_u32_e32 0x43800000, v8
	s_cbranch_execz .LBB295_1130
; %bb.1125:
	v_cmp_lt_u32_e64 s1, 0x3bffffff, v8
	s_mov_b32 s18, 0
                                        ; implicit-def: $vgpr7
	s_and_saveexec_b32 s19, s1
	s_delay_alu instid0(SALU_CYCLE_1)
	s_xor_b32 s1, exec_lo, s19
	s_cbranch_execz .LBB295_2535
; %bb.1126:
	v_bfe_u32 v7, v8, 20, 1
	s_mov_b32 s18, exec_lo
	s_delay_alu instid0(VALU_DEP_1) | instskip(NEXT) | instid1(VALU_DEP_1)
	v_add3_u32 v7, v8, v7, 0x487ffff
                                        ; implicit-def: $vgpr8
	v_lshrrev_b32_e32 v7, 20, v7
	s_and_not1_saveexec_b32 s19, s1
	s_cbranch_execnz .LBB295_2536
.LBB295_1127:
	s_or_b32 exec_lo, exec_lo, s19
	v_mov_b32_e32 v20, 0
	s_and_saveexec_b32 s1, s18
.LBB295_1128:
	v_mov_b32_e32 v20, v7
.LBB295_1129:
	s_or_b32 exec_lo, exec_lo, s1
.LBB295_1130:
	s_delay_alu instid0(SALU_CYCLE_1)
	s_or_b32 exec_lo, exec_lo, s17
.LBB295_1131:
	s_delay_alu instid0(SALU_CYCLE_1)
	s_or_b32 exec_lo, exec_lo, s14
.LBB295_1132:
	s_delay_alu instid0(SALU_CYCLE_1)
	s_or_b32 exec_lo, exec_lo, s13
.LBB295_1133:
	s_delay_alu instid0(SALU_CYCLE_1) | instskip(NEXT) | instid1(SALU_CYCLE_1)
	s_or_b32 exec_lo, exec_lo, s12
	s_or_b32 s11, s11, exec_lo
.LBB295_1134:
	s_or_b32 exec_lo, exec_lo, s10
	s_mov_b32 s1, 0
	s_mov_b32 s13, 0
                                        ; implicit-def: $sgpr18
                                        ; implicit-def: $vgpr12_vgpr13
                                        ; implicit-def: $vgpr7
	s_and_saveexec_b32 s10, s11
	s_cbranch_execz .LBB295_1844
; %bb.1135:
                                        ; implicit-def: $sgpr11
	s_and_saveexec_b32 s1, s0
	s_delay_alu instid0(SALU_CYCLE_1)
	s_xor_b32 s12, exec_lo, s1
	s_cbranch_execz .LBB295_1149
; %bb.1136:
	v_and_b32_e32 v8, 0xff, v19
	s_mov_b32 s11, 0
	s_mov_b32 s13, exec_lo
	s_delay_alu instid0(VALU_DEP_1)
	v_cmpx_lt_i16_e32 0x7f, v8
	s_xor_b32 s13, exec_lo, s13
	s_cbranch_execz .LBB295_2246
; %bb.1137:
	s_mov_b32 s11, -1
	s_mov_b32 s14, exec_lo
	v_cmpx_eq_u16_e32 0x80, v8
; %bb.1138:
	s_xor_b32 s11, exec_lo, -1
; %bb.1139:
	s_or_b32 exec_lo, exec_lo, s14
	s_delay_alu instid0(SALU_CYCLE_1)
	s_and_b32 s11, s11, exec_lo
                                        ; implicit-def: $vgpr8
	s_or_saveexec_b32 s13, s13
	v_mov_b32_e32 v7, 0x7f800001
	s_xor_b32 exec_lo, exec_lo, s13
	s_cbranch_execnz .LBB295_2247
.LBB295_1140:
	s_or_b32 exec_lo, exec_lo, s13
	s_and_saveexec_b32 s13, s11
	s_cbranch_execz .LBB295_1142
.LBB295_1141:
	v_and_b32_e32 v7, 7, v19
	v_lshrrev_b16 v9, 3, v19
	v_lshlrev_b32_e32 v13, 24, v19
	s_delay_alu instid0(VALU_DEP_3) | instskip(NEXT) | instid1(VALU_DEP_1)
	v_clz_i32_u32_e32 v8, v7
	v_min_u32_e32 v8, 32, v8
	s_delay_alu instid0(VALU_DEP_4) | instskip(NEXT) | instid1(VALU_DEP_2)
	v_and_b32_e32 v9, 15, v9
	v_subrev_nc_u32_e32 v12, 28, v8
	v_sub_nc_u32_e32 v8, 29, v8
	s_delay_alu instid0(VALU_DEP_3) | instskip(NEXT) | instid1(VALU_DEP_3)
	v_cmp_eq_u32_e64 s1, 0, v9
	v_lshlrev_b32_e32 v12, v12, v19
	s_delay_alu instid0(VALU_DEP_1) | instskip(NEXT) | instid1(VALU_DEP_1)
	v_and_b32_e32 v12, 7, v12
	v_cndmask_b32_e64 v7, v7, v12, s1
	v_cndmask_b32_e64 v8, v9, v8, s1
	v_and_b32_e32 v9, 0x80000000, v13
	s_delay_alu instid0(VALU_DEP_3) | instskip(NEXT) | instid1(VALU_DEP_3)
	v_lshlrev_b32_e32 v7, 20, v7
	v_lshl_add_u32 v8, v8, 23, 0x3b800000
	s_delay_alu instid0(VALU_DEP_1)
	v_or3_b32 v7, v9, v8, v7
.LBB295_1142:
	s_or_b32 exec_lo, exec_lo, s13
	s_wait_loadcnt_dscnt 0x0
	v_and_b32_e32 v9, 0xff, v20
	s_mov_b32 s11, 0
	s_mov_b32 s13, exec_lo
	s_delay_alu instid0(VALU_DEP_1)
	v_cmpx_lt_i16_e32 0x7f, v9
	s_xor_b32 s13, exec_lo, s13
	s_cbranch_execz .LBB295_2248
; %bb.1143:
	s_mov_b32 s11, -1
	s_mov_b32 s14, exec_lo
	v_cmpx_eq_u16_e32 0x80, v9
; %bb.1144:
	s_xor_b32 s11, exec_lo, -1
; %bb.1145:
	s_or_b32 exec_lo, exec_lo, s14
	s_delay_alu instid0(SALU_CYCLE_1)
	s_and_b32 s11, s11, exec_lo
                                        ; implicit-def: $vgpr9
	s_or_saveexec_b32 s13, s13
	v_mov_b32_e32 v8, 0x7f800001
	s_xor_b32 exec_lo, exec_lo, s13
	s_cbranch_execnz .LBB295_2249
.LBB295_1146:
	s_or_b32 exec_lo, exec_lo, s13
	s_and_saveexec_b32 s13, s11
	s_cbranch_execz .LBB295_1148
.LBB295_1147:
	v_and_b32_e32 v8, 7, v20
	v_lshrrev_b16 v12, 3, v20
	v_lshlrev_b32_e32 v19, 24, v20
	s_delay_alu instid0(VALU_DEP_3) | instskip(NEXT) | instid1(VALU_DEP_1)
	v_clz_i32_u32_e32 v9, v8
	v_min_u32_e32 v9, 32, v9
	s_delay_alu instid0(VALU_DEP_4) | instskip(NEXT) | instid1(VALU_DEP_2)
	v_and_b32_e32 v12, 15, v12
	v_subrev_nc_u32_e32 v13, 28, v9
	v_sub_nc_u32_e32 v9, 29, v9
	s_delay_alu instid0(VALU_DEP_3) | instskip(NEXT) | instid1(VALU_DEP_3)
	v_cmp_eq_u32_e64 s1, 0, v12
	v_lshlrev_b32_e32 v13, v13, v20
	s_delay_alu instid0(VALU_DEP_1) | instskip(NEXT) | instid1(VALU_DEP_1)
	v_and_b32_e32 v13, 7, v13
	v_cndmask_b32_e64 v8, v8, v13, s1
	v_cndmask_b32_e64 v9, v12, v9, s1
	v_and_b32_e32 v12, 0x80000000, v19
	s_delay_alu instid0(VALU_DEP_3) | instskip(NEXT) | instid1(VALU_DEP_3)
	v_lshlrev_b32_e32 v8, 20, v8
	v_lshl_add_u32 v9, v9, 23, 0x3b800000
	s_delay_alu instid0(VALU_DEP_1)
	v_or3_b32 v8, v12, v9, v8
.LBB295_1148:
	s_or_b32 exec_lo, exec_lo, s13
	s_delay_alu instid0(VALU_DEP_1)
	v_cmp_neq_f32_e64 s11, v7, v8
                                        ; implicit-def: $vgpr20
                                        ; implicit-def: $vgpr19
.LBB295_1149:
	s_and_not1_saveexec_b32 s12, s12
	s_cbranch_execz .LBB295_1163
; %bb.1150:
	v_and_b32_e32 v8, 0xff, v19
	s_mov_b32 s13, 0
	s_mov_b32 s14, exec_lo
	s_delay_alu instid0(VALU_DEP_1)
	v_cmpx_lt_i16_e32 0x7f, v8
	s_xor_b32 s14, exec_lo, s14
	s_cbranch_execz .LBB295_2250
; %bb.1151:
	s_mov_b32 s13, -1
	s_mov_b32 s17, exec_lo
	v_cmpx_eq_u16_e32 0x80, v8
; %bb.1152:
	s_xor_b32 s13, exec_lo, -1
; %bb.1153:
	s_or_b32 exec_lo, exec_lo, s17
	s_delay_alu instid0(SALU_CYCLE_1)
	s_and_b32 s13, s13, exec_lo
                                        ; implicit-def: $vgpr8
	s_or_saveexec_b32 s14, s14
	v_mov_b32_e32 v7, 0x7f800001
	s_xor_b32 exec_lo, exec_lo, s14
	s_cbranch_execnz .LBB295_2251
.LBB295_1154:
	s_or_b32 exec_lo, exec_lo, s14
	s_and_saveexec_b32 s14, s13
	s_cbranch_execz .LBB295_1156
.LBB295_1155:
	v_and_b32_e32 v7, 7, v19
	v_lshrrev_b16 v9, 3, v19
	v_lshlrev_b32_e32 v13, 24, v19
	s_delay_alu instid0(VALU_DEP_3) | instskip(NEXT) | instid1(VALU_DEP_1)
	v_clz_i32_u32_e32 v8, v7
	v_min_u32_e32 v8, 32, v8
	s_delay_alu instid0(VALU_DEP_4) | instskip(NEXT) | instid1(VALU_DEP_2)
	v_and_b32_e32 v9, 15, v9
	v_subrev_nc_u32_e32 v12, 28, v8
	v_sub_nc_u32_e32 v8, 29, v8
	s_delay_alu instid0(VALU_DEP_3) | instskip(NEXT) | instid1(VALU_DEP_3)
	v_cmp_eq_u32_e64 s1, 0, v9
	v_lshlrev_b32_e32 v12, v12, v19
	s_delay_alu instid0(VALU_DEP_1) | instskip(NEXT) | instid1(VALU_DEP_1)
	v_and_b32_e32 v12, 7, v12
	v_cndmask_b32_e64 v7, v7, v12, s1
	v_cndmask_b32_e64 v8, v9, v8, s1
	v_and_b32_e32 v9, 0x80000000, v13
	s_delay_alu instid0(VALU_DEP_3) | instskip(NEXT) | instid1(VALU_DEP_3)
	v_lshlrev_b32_e32 v7, 20, v7
	v_lshl_add_u32 v8, v8, 23, 0x3b800000
	s_delay_alu instid0(VALU_DEP_1)
	v_or3_b32 v7, v9, v8, v7
.LBB295_1156:
	s_or_b32 exec_lo, exec_lo, s14
	s_wait_loadcnt_dscnt 0x0
	v_and_b32_e32 v9, 0xff, v20
	s_mov_b32 s13, 0
	s_mov_b32 s14, exec_lo
	s_delay_alu instid0(VALU_DEP_1)
	v_cmpx_lt_i16_e32 0x7f, v9
	s_xor_b32 s14, exec_lo, s14
	s_cbranch_execz .LBB295_2252
; %bb.1157:
	s_mov_b32 s13, -1
	s_mov_b32 s17, exec_lo
	v_cmpx_eq_u16_e32 0x80, v9
; %bb.1158:
	s_xor_b32 s13, exec_lo, -1
; %bb.1159:
	s_or_b32 exec_lo, exec_lo, s17
	s_delay_alu instid0(SALU_CYCLE_1)
	s_and_b32 s13, s13, exec_lo
                                        ; implicit-def: $vgpr9
	s_or_saveexec_b32 s14, s14
	v_mov_b32_e32 v8, 0x7f800001
	s_xor_b32 exec_lo, exec_lo, s14
	s_cbranch_execnz .LBB295_2253
.LBB295_1160:
	s_or_b32 exec_lo, exec_lo, s14
	s_and_saveexec_b32 s14, s13
	s_cbranch_execz .LBB295_1162
.LBB295_1161:
	v_and_b32_e32 v8, 7, v20
	v_lshrrev_b16 v12, 3, v20
	v_lshlrev_b32_e32 v19, 24, v20
	s_delay_alu instid0(VALU_DEP_3) | instskip(NEXT) | instid1(VALU_DEP_1)
	v_clz_i32_u32_e32 v9, v8
	v_min_u32_e32 v9, 32, v9
	s_delay_alu instid0(VALU_DEP_4) | instskip(NEXT) | instid1(VALU_DEP_2)
	v_and_b32_e32 v12, 15, v12
	v_subrev_nc_u32_e32 v13, 28, v9
	v_sub_nc_u32_e32 v9, 29, v9
	s_delay_alu instid0(VALU_DEP_3) | instskip(NEXT) | instid1(VALU_DEP_3)
	v_cmp_eq_u32_e64 s1, 0, v12
	v_lshlrev_b32_e32 v13, v13, v20
	s_delay_alu instid0(VALU_DEP_1) | instskip(NEXT) | instid1(VALU_DEP_1)
	v_and_b32_e32 v13, 7, v13
	v_cndmask_b32_e64 v8, v8, v13, s1
	v_cndmask_b32_e64 v9, v12, v9, s1
	v_and_b32_e32 v12, 0x80000000, v19
	s_delay_alu instid0(VALU_DEP_3) | instskip(NEXT) | instid1(VALU_DEP_3)
	v_lshlrev_b32_e32 v8, 20, v8
	v_lshl_add_u32 v9, v9, 23, 0x3b800000
	s_delay_alu instid0(VALU_DEP_1)
	v_or3_b32 v8, v12, v9, v8
.LBB295_1162:
	s_or_b32 exec_lo, exec_lo, s14
	s_delay_alu instid0(VALU_DEP_1) | instskip(SKIP_2) | instid1(SALU_CYCLE_1)
	v_cmp_eq_f32_e64 s1, v7, v8
	s_and_not1_b32 s11, s11, exec_lo
	s_and_b32 s1, s1, exec_lo
	s_or_b32 s11, s11, s1
.LBB295_1163:
	s_or_b32 exec_lo, exec_lo, s12
	v_add_nc_u32_e32 v8, v10, v17
	s_mov_b32 s14, 0
	s_mov_b32 s12, s9
	s_mov_b32 s13, exec_lo
	s_delay_alu instid0(VALU_DEP_1) | instskip(NEXT) | instid1(VALU_DEP_1)
	v_ashrrev_i32_e32 v9, 31, v8
	v_add_nc_u64_e32 v[4:5], v[4:5], v[8:9]
                                        ; implicit-def: $vgpr8
	v_cmpx_lt_i16_e32 10, v18
	s_xor_b32 s13, exec_lo, s13
	s_cbranch_execz .LBB295_1232
; %bb.1164:
	s_mov_b32 s12, 0
	s_mov_b32 s18, 0
	s_mov_b32 s17, exec_lo
                                        ; implicit-def: $vgpr8
	v_cmpx_lt_i16_e32 25, v18
	s_xor_b32 s17, exec_lo, s17
	s_cbranch_execz .LBB295_2254
; %bb.1165:
	s_mov_b32 s19, 0
	s_mov_b32 s14, exec_lo
                                        ; implicit-def: $vgpr8
	v_cmpx_lt_i16_e32 28, v18
	s_xor_b32 s14, exec_lo, s14
	s_cbranch_execz .LBB295_1199
; %bb.1166:
	s_mov_b32 s20, 0
	s_mov_b32 s21, 0
	s_mov_b32 s18, exec_lo
                                        ; implicit-def: $vgpr8
	v_cmpx_lt_i16_e32 43, v18
	s_xor_b32 s18, exec_lo, s18
	s_cbranch_execz .LBB295_1188
; %bb.1167:
	s_mov_b32 s21, exec_lo
                                        ; implicit-def: $vgpr8
	v_cmpx_lt_i16_e32 45, v18
	s_xor_b32 s21, exec_lo, s21
	s_cbranch_execz .LBB295_1177
; %bb.1168:
	s_mov_b32 s22, -1
	s_mov_b32 s19, exec_lo
                                        ; implicit-def: $vgpr8
	v_cmpx_eq_u16_e32 46, v18
	s_cbranch_execz .LBB295_1176
; %bb.1169:
	flat_load_b32 v7, v[4:5]
	s_mov_b32 s20, exec_lo
	s_wait_loadcnt_dscnt 0x0
	v_dual_mov_b32 v8, 0x80 :: v_dual_lshlrev_b32 v7, 16, v7
	s_delay_alu instid0(VALU_DEP_1) | instskip(SKIP_1) | instid1(VALU_DEP_1)
	v_and_b32_e32 v9, 0x7fffffff, v7
	s_wait_xcnt 0x0
	v_cmpx_gt_u32_e32 0x43800000, v9
	s_cbranch_execz .LBB295_1175
; %bb.1170:
	v_cmp_lt_u32_e64 s1, 0x3bffffff, v9
	s_mov_b32 s22, 0
                                        ; implicit-def: $vgpr9
	s_and_saveexec_b32 s23, s1
	s_delay_alu instid0(SALU_CYCLE_1)
	s_xor_b32 s1, exec_lo, s23
	s_cbranch_execz .LBB295_2768
; %bb.1171:
	v_bfe_u32 v8, v7, 20, 1
	s_mov_b32 s22, exec_lo
	s_delay_alu instid0(VALU_DEP_1) | instskip(NEXT) | instid1(VALU_DEP_1)
	v_add3_u32 v8, v7, v8, 0x487ffff
	v_lshrrev_b32_e32 v9, 20, v8
	s_and_not1_saveexec_b32 s23, s1
	s_cbranch_execnz .LBB295_2769
.LBB295_1172:
	s_or_b32 exec_lo, exec_lo, s23
	v_mov_b32_e32 v8, 0
	s_and_saveexec_b32 s1, s22
.LBB295_1173:
	v_lshrrev_b32_e32 v7, 24, v7
	s_delay_alu instid0(VALU_DEP_1)
	v_and_or_b32 v8, 0x80, v7, v9
.LBB295_1174:
	s_or_b32 exec_lo, exec_lo, s1
.LBB295_1175:
	s_delay_alu instid0(SALU_CYCLE_1) | instskip(NEXT) | instid1(SALU_CYCLE_1)
	s_or_b32 exec_lo, exec_lo, s20
	s_mov_b32 s20, exec_lo
	s_xor_b32 s22, exec_lo, -1
.LBB295_1176:
	s_or_b32 exec_lo, exec_lo, s19
	s_delay_alu instid0(SALU_CYCLE_1)
	s_and_b32 s20, s20, exec_lo
	s_and_b32 s19, s22, exec_lo
                                        ; implicit-def: $vgpr18
.LBB295_1177:
	s_and_not1_saveexec_b32 s21, s21
	s_cbranch_execz .LBB295_1187
; %bb.1178:
	s_mov_b32 s23, -1
	s_mov_b32 s24, s20
	s_mov_b32 s22, exec_lo
                                        ; implicit-def: $vgpr8
	v_cmpx_eq_u16_e32 44, v18
	s_cbranch_execz .LBB295_1186
; %bb.1179:
	flat_load_u8 v7, v[4:5]
	s_mov_b32 s24, 0
	s_mov_b32 s23, exec_lo
	s_wait_loadcnt_dscnt 0x0
	v_lshlrev_b32_e32 v8, 23, v7
	v_cmp_ne_u32_e64 s1, 0xff, v7
	s_delay_alu instid0(VALU_DEP_1) | instskip(SKIP_1) | instid1(VALU_DEP_1)
	v_cndmask_b32_e64 v8, 0x7f800001, v8, s1
	v_cmp_ne_u32_e64 s1, 0, v7
	v_cndmask_b32_e64 v9, 0x400000, v8, s1
	v_mov_b32_e32 v8, 0x80
	s_wait_xcnt 0x0
	s_delay_alu instid0(VALU_DEP_2)
	v_cmpx_gt_u32_e32 0x43800000, v9
	s_cbranch_execz .LBB295_1185
; %bb.1180:
	v_cmp_lt_u32_e64 s1, 0x3bffffff, v9
                                        ; implicit-def: $vgpr7
	s_and_saveexec_b32 s25, s1
	s_delay_alu instid0(SALU_CYCLE_1)
	s_xor_b32 s1, exec_lo, s25
	s_cbranch_execz .LBB295_2770
; %bb.1181:
	v_bfe_u32 v7, v9, 20, 1
	s_mov_b32 s24, exec_lo
	s_delay_alu instid0(VALU_DEP_1) | instskip(NEXT) | instid1(VALU_DEP_1)
	v_add3_u32 v7, v9, v7, 0x487ffff
                                        ; implicit-def: $vgpr9
	v_lshrrev_b32_e32 v7, 20, v7
	s_and_not1_saveexec_b32 s25, s1
	s_cbranch_execnz .LBB295_2771
.LBB295_1182:
	s_or_b32 exec_lo, exec_lo, s25
	v_mov_b32_e32 v8, 0
	s_and_saveexec_b32 s1, s24
.LBB295_1183:
	v_mov_b32_e32 v8, v7
.LBB295_1184:
	s_or_b32 exec_lo, exec_lo, s1
.LBB295_1185:
	s_delay_alu instid0(SALU_CYCLE_1) | instskip(NEXT) | instid1(SALU_CYCLE_1)
	s_or_b32 exec_lo, exec_lo, s23
	s_or_b32 s24, s20, exec_lo
	s_xor_b32 s23, exec_lo, -1
.LBB295_1186:
	s_or_b32 exec_lo, exec_lo, s22
	s_delay_alu instid0(SALU_CYCLE_1)
	s_and_not1_b32 s1, s20, exec_lo
	s_and_b32 s20, s24, exec_lo
	s_and_not1_b32 s19, s19, exec_lo
	s_and_b32 s22, s23, exec_lo
	s_or_b32 s20, s1, s20
	s_or_b32 s19, s19, s22
.LBB295_1187:
	s_or_b32 exec_lo, exec_lo, s21
	s_delay_alu instid0(SALU_CYCLE_1)
	s_and_b32 s21, s20, exec_lo
	s_and_b32 s20, s19, exec_lo
                                        ; implicit-def: $vgpr18
.LBB295_1188:
	s_and_not1_saveexec_b32 s18, s18
	s_cbranch_execz .LBB295_1198
; %bb.1189:
	s_mov_b32 s22, -1
	s_mov_b32 s23, s21
	s_mov_b32 s19, exec_lo
                                        ; implicit-def: $vgpr8
	v_cmpx_eq_u16_e32 29, v18
	s_cbranch_execz .LBB295_1197
; %bb.1190:
	flat_load_b64 v[8:9], v[4:5]
	s_mov_b32 s22, exec_lo
	s_wait_loadcnt_dscnt 0x0
	v_clz_i32_u32_e32 v7, v9
	s_delay_alu instid0(VALU_DEP_1) | instskip(NEXT) | instid1(VALU_DEP_1)
	v_min_u32_e32 v7, 32, v7
	v_lshlrev_b64_e32 v[8:9], v7, v[8:9]
	v_sub_nc_u32_e32 v7, 32, v7
	s_delay_alu instid0(VALU_DEP_2) | instskip(NEXT) | instid1(VALU_DEP_1)
	v_min_u32_e32 v8, 1, v8
	v_or_b32_e32 v8, v9, v8
	s_delay_alu instid0(VALU_DEP_1) | instskip(NEXT) | instid1(VALU_DEP_1)
	v_cvt_f32_u32_e32 v8, v8
	v_ldexp_f32 v9, v8, v7
	v_mov_b32_e32 v8, 0x80
	s_wait_xcnt 0x0
	s_delay_alu instid0(VALU_DEP_2)
	v_cmpx_gt_u32_e32 0x43800000, v9
	s_cbranch_execz .LBB295_1196
; %bb.1191:
	v_cmp_lt_u32_e64 s1, 0x3bffffff, v9
	s_mov_b32 s23, 0
                                        ; implicit-def: $vgpr7
	s_and_saveexec_b32 s24, s1
	s_delay_alu instid0(SALU_CYCLE_1)
	s_xor_b32 s1, exec_lo, s24
	s_cbranch_execz .LBB295_2687
; %bb.1192:
	v_bfe_u32 v7, v9, 20, 1
	s_mov_b32 s23, exec_lo
	s_delay_alu instid0(VALU_DEP_1) | instskip(NEXT) | instid1(VALU_DEP_1)
	v_add3_u32 v7, v9, v7, 0x487ffff
                                        ; implicit-def: $vgpr9
	v_lshrrev_b32_e32 v7, 20, v7
	s_and_not1_saveexec_b32 s24, s1
	s_cbranch_execnz .LBB295_2688
.LBB295_1193:
	s_or_b32 exec_lo, exec_lo, s24
	v_mov_b32_e32 v8, 0
	s_and_saveexec_b32 s1, s23
.LBB295_1194:
	v_mov_b32_e32 v8, v7
.LBB295_1195:
	s_or_b32 exec_lo, exec_lo, s1
.LBB295_1196:
	s_delay_alu instid0(SALU_CYCLE_1) | instskip(NEXT) | instid1(SALU_CYCLE_1)
	s_or_b32 exec_lo, exec_lo, s22
	s_or_b32 s23, s21, exec_lo
	s_xor_b32 s22, exec_lo, -1
.LBB295_1197:
	s_or_b32 exec_lo, exec_lo, s19
	s_delay_alu instid0(SALU_CYCLE_1)
	s_and_not1_b32 s1, s21, exec_lo
	s_and_b32 s19, s23, exec_lo
	s_and_not1_b32 s20, s20, exec_lo
	s_and_b32 s22, s22, exec_lo
	s_or_b32 s21, s1, s19
	s_or_b32 s20, s20, s22
.LBB295_1198:
	s_or_b32 exec_lo, exec_lo, s18
	s_delay_alu instid0(SALU_CYCLE_1)
	s_and_b32 s19, s21, exec_lo
	s_and_b32 s18, s20, exec_lo
                                        ; implicit-def: $vgpr18
.LBB295_1199:
	s_and_not1_saveexec_b32 s14, s14
	s_cbranch_execz .LBB295_1221
; %bb.1200:
	s_mov_b32 s20, exec_lo
                                        ; implicit-def: $vgpr8
	v_cmpx_lt_i16_e32 26, v18
	s_xor_b32 s20, exec_lo, s20
	s_cbranch_execz .LBB295_1218
; %bb.1201:
	s_mov_b32 s21, exec_lo
                                        ; implicit-def: $vgpr8
	v_cmpx_lt_i16_e32 27, v18
	s_xor_b32 s21, exec_lo, s21
	s_cbranch_execz .LBB295_1209
; %bb.1202:
	flat_load_b32 v7, v[4:5]
	v_mov_b32_e32 v8, 0x80
	s_mov_b32 s22, exec_lo
	s_wait_loadcnt_dscnt 0x0
	v_cvt_f32_u32_e32 v9, v7
	s_wait_xcnt 0x0
	s_delay_alu instid0(VALU_DEP_1)
	v_cmpx_gt_u32_e32 0x43800000, v9
	s_cbranch_execz .LBB295_1208
; %bb.1203:
	v_cmp_lt_u32_e64 s1, 0x3bffffff, v9
	s_mov_b32 s23, 0
                                        ; implicit-def: $vgpr7
	s_and_saveexec_b32 s24, s1
	s_delay_alu instid0(SALU_CYCLE_1)
	s_xor_b32 s1, exec_lo, s24
	s_cbranch_execz .LBB295_2689
; %bb.1204:
	v_bfe_u32 v7, v9, 20, 1
	s_mov_b32 s23, exec_lo
	s_delay_alu instid0(VALU_DEP_1) | instskip(NEXT) | instid1(VALU_DEP_1)
	v_add3_u32 v7, v9, v7, 0x487ffff
                                        ; implicit-def: $vgpr9
	v_lshrrev_b32_e32 v7, 20, v7
	s_and_not1_saveexec_b32 s24, s1
	s_cbranch_execnz .LBB295_2690
.LBB295_1205:
	s_or_b32 exec_lo, exec_lo, s24
	v_mov_b32_e32 v8, 0
	s_and_saveexec_b32 s1, s23
.LBB295_1206:
	v_mov_b32_e32 v8, v7
.LBB295_1207:
	s_or_b32 exec_lo, exec_lo, s1
.LBB295_1208:
	s_delay_alu instid0(SALU_CYCLE_1)
	s_or_b32 exec_lo, exec_lo, s22
.LBB295_1209:
	s_and_not1_saveexec_b32 s21, s21
	s_cbranch_execz .LBB295_1217
; %bb.1210:
	flat_load_u16 v7, v[4:5]
	v_mov_b32_e32 v8, 0x80
	s_mov_b32 s22, exec_lo
	s_wait_loadcnt_dscnt 0x0
	v_cvt_f32_u32_e32 v9, v7
	s_wait_xcnt 0x0
	s_delay_alu instid0(VALU_DEP_1)
	v_cmpx_gt_u32_e32 0x43800000, v9
	s_cbranch_execz .LBB295_1216
; %bb.1211:
	v_cmp_lt_u32_e64 s1, 0x3bffffff, v9
	s_mov_b32 s23, 0
                                        ; implicit-def: $vgpr7
	s_and_saveexec_b32 s24, s1
	s_delay_alu instid0(SALU_CYCLE_1)
	s_xor_b32 s1, exec_lo, s24
	s_cbranch_execz .LBB295_2691
; %bb.1212:
	v_bfe_u32 v7, v9, 20, 1
	s_mov_b32 s23, exec_lo
	s_delay_alu instid0(VALU_DEP_1) | instskip(NEXT) | instid1(VALU_DEP_1)
	v_add3_u32 v7, v9, v7, 0x487ffff
                                        ; implicit-def: $vgpr9
	v_lshrrev_b32_e32 v7, 20, v7
	s_and_not1_saveexec_b32 s24, s1
	s_cbranch_execnz .LBB295_2692
.LBB295_1213:
	s_or_b32 exec_lo, exec_lo, s24
	v_mov_b32_e32 v8, 0
	s_and_saveexec_b32 s1, s23
.LBB295_1214:
	v_mov_b32_e32 v8, v7
.LBB295_1215:
	s_or_b32 exec_lo, exec_lo, s1
.LBB295_1216:
	s_delay_alu instid0(SALU_CYCLE_1)
	s_or_b32 exec_lo, exec_lo, s22
.LBB295_1217:
	s_delay_alu instid0(SALU_CYCLE_1)
	s_or_b32 exec_lo, exec_lo, s21
.LBB295_1218:
	s_and_not1_saveexec_b32 s1, s20
	s_cbranch_execz .LBB295_1220
; %bb.1219:
	flat_load_u8 v8, v[4:5]
.LBB295_1220:
	s_wait_xcnt 0x0
	s_or_b32 exec_lo, exec_lo, s1
	s_delay_alu instid0(SALU_CYCLE_1)
	s_or_b32 s19, s19, exec_lo
.LBB295_1221:
	s_or_b32 exec_lo, exec_lo, s14
	s_delay_alu instid0(SALU_CYCLE_1)
	s_and_b32 s14, s19, exec_lo
	s_and_b32 s18, s18, exec_lo
                                        ; implicit-def: $vgpr18
	s_and_not1_saveexec_b32 s17, s17
	s_cbranch_execnz .LBB295_2255
.LBB295_1222:
	s_or_b32 exec_lo, exec_lo, s17
	s_mov_b32 s17, s9
	s_and_saveexec_b32 s1, s18
	s_cbranch_execnz .LBB295_2304
.LBB295_1223:
	s_or_b32 exec_lo, exec_lo, s1
	s_and_saveexec_b32 s1, s12
	s_delay_alu instid0(SALU_CYCLE_1)
	s_xor_b32 s12, exec_lo, s1
	s_cbranch_execz .LBB295_1231
.LBB295_1224:
	flat_load_u8 v4, v[4:5]
	s_wait_loadcnt_dscnt 0x101
	v_mov_b32_e32 v8, 0x80
	s_mov_b32 s19, 0
	s_mov_b32 s18, exec_lo
	s_wait_loadcnt_dscnt 0x0
	v_cmp_ne_u16_e64 s1, 0, v4
	s_wait_xcnt 0x0
	s_delay_alu instid0(VALU_DEP_1) | instskip(NEXT) | instid1(VALU_DEP_1)
	v_cndmask_b32_e64 v5, 0, 1.0, s1
	v_cmpx_gt_u32_e32 0x43800000, v5
	s_cbranch_execz .LBB295_1230
; %bb.1225:
	v_cmp_lt_u32_e64 s1, 0x3bffffff, v5
                                        ; implicit-def: $vgpr4
	s_and_saveexec_b32 s20, s1
	s_delay_alu instid0(SALU_CYCLE_1)
	s_xor_b32 s1, exec_lo, s20
	s_cbranch_execz .LBB295_2438
; %bb.1226:
	v_bfe_u32 v4, v5, 20, 1
	s_mov_b32 s19, exec_lo
	s_delay_alu instid0(VALU_DEP_1) | instskip(NEXT) | instid1(VALU_DEP_1)
	v_add3_u32 v4, v5, v4, 0x487ffff
                                        ; implicit-def: $vgpr5
	v_lshrrev_b32_e32 v4, 20, v4
	s_and_not1_saveexec_b32 s20, s1
	s_cbranch_execnz .LBB295_2439
.LBB295_1227:
	s_or_b32 exec_lo, exec_lo, s20
	v_mov_b32_e32 v8, 0
	s_and_saveexec_b32 s1, s19
.LBB295_1228:
	v_mov_b32_e32 v8, v4
.LBB295_1229:
	s_or_b32 exec_lo, exec_lo, s1
.LBB295_1230:
	s_delay_alu instid0(SALU_CYCLE_1) | instskip(NEXT) | instid1(SALU_CYCLE_1)
	s_or_b32 exec_lo, exec_lo, s18
	s_or_b32 s14, s14, exec_lo
.LBB295_1231:
	s_or_b32 exec_lo, exec_lo, s12
	s_delay_alu instid0(SALU_CYCLE_1)
	s_and_not1_b32 s1, s9, exec_lo
	s_and_b32 s12, s17, exec_lo
	s_and_b32 s14, s14, exec_lo
	s_or_b32 s12, s1, s12
                                        ; implicit-def: $vgpr18
                                        ; implicit-def: $vgpr4_vgpr5
.LBB295_1232:
	s_and_not1_saveexec_b32 s13, s13
	s_cbranch_execz .LBB295_1340
; %bb.1233:
	s_mov_b32 s17, exec_lo
                                        ; implicit-def: $vgpr8
	v_cmpx_lt_i16_e32 4, v18
	s_xor_b32 s17, exec_lo, s17
	s_cbranch_execz .LBB295_1291
; %bb.1234:
	s_mov_b32 s18, exec_lo
                                        ; implicit-def: $vgpr8
	v_cmpx_lt_i16_e32 7, v18
	s_xor_b32 s18, exec_lo, s18
	;; [unrolled: 6-line block ×4, first 2 shown]
	s_cbranch_execz .LBB295_1244
; %bb.1237:
	flat_load_b64 v[4:5], v[4:5]
	s_wait_loadcnt_dscnt 0x101
	v_mov_b32_e32 v8, 0x80
	s_mov_b32 s21, exec_lo
	s_wait_loadcnt_dscnt 0x0
	v_cvt_f32_f64_e32 v4, v[4:5]
	s_delay_alu instid0(VALU_DEP_1) | instskip(NEXT) | instid1(VALU_DEP_1)
	v_and_b32_e32 v5, 0x7fffffff, v4
	v_cmpx_gt_u32_e32 0x43800000, v5
	s_cbranch_execz .LBB295_1243
; %bb.1238:
	v_cmp_lt_u32_e64 s1, 0x3bffffff, v5
	s_mov_b32 s22, 0
                                        ; implicit-def: $vgpr5
	s_and_saveexec_b32 s23, s1
	s_delay_alu instid0(SALU_CYCLE_1)
	s_xor_b32 s1, exec_lo, s23
	s_cbranch_execz .LBB295_2693
; %bb.1239:
	v_bfe_u32 v5, v4, 20, 1
	s_mov_b32 s22, exec_lo
	s_delay_alu instid0(VALU_DEP_1) | instskip(NEXT) | instid1(VALU_DEP_1)
	v_add3_u32 v5, v4, v5, 0x487ffff
	v_lshrrev_b32_e32 v5, 20, v5
	s_and_not1_saveexec_b32 s23, s1
	s_cbranch_execnz .LBB295_2694
.LBB295_1240:
	s_or_b32 exec_lo, exec_lo, s23
	v_mov_b32_e32 v8, 0
	s_and_saveexec_b32 s1, s22
.LBB295_1241:
	v_lshrrev_b32_e32 v4, 24, v4
	s_delay_alu instid0(VALU_DEP_1)
	v_and_or_b32 v8, 0x80, v4, v5
.LBB295_1242:
	s_or_b32 exec_lo, exec_lo, s1
.LBB295_1243:
	s_delay_alu instid0(SALU_CYCLE_1)
	s_or_b32 exec_lo, exec_lo, s21
                                        ; implicit-def: $vgpr4_vgpr5
.LBB295_1244:
	s_and_not1_saveexec_b32 s20, s20
	s_cbranch_execz .LBB295_1252
; %bb.1245:
	flat_load_b32 v4, v[4:5]
	s_wait_loadcnt_dscnt 0x101
	v_mov_b32_e32 v8, 0x80
	s_mov_b32 s21, exec_lo
	s_wait_loadcnt_dscnt 0x0
	v_and_b32_e32 v5, 0x7fffffff, v4
	s_delay_alu instid0(VALU_DEP_1)
	v_cmpx_gt_u32_e32 0x43800000, v5
	s_cbranch_execz .LBB295_1251
; %bb.1246:
	v_cmp_lt_u32_e64 s1, 0x3bffffff, v5
	s_mov_b32 s22, 0
                                        ; implicit-def: $vgpr5
	s_and_saveexec_b32 s23, s1
	s_delay_alu instid0(SALU_CYCLE_1)
	s_xor_b32 s1, exec_lo, s23
	s_cbranch_execz .LBB295_2695
; %bb.1247:
	v_bfe_u32 v5, v4, 20, 1
	s_mov_b32 s22, exec_lo
	s_delay_alu instid0(VALU_DEP_1) | instskip(NEXT) | instid1(VALU_DEP_1)
	v_add3_u32 v5, v4, v5, 0x487ffff
	v_lshrrev_b32_e32 v5, 20, v5
	s_and_not1_saveexec_b32 s23, s1
	s_cbranch_execnz .LBB295_2696
.LBB295_1248:
	s_or_b32 exec_lo, exec_lo, s23
	v_mov_b32_e32 v8, 0
	s_and_saveexec_b32 s1, s22
.LBB295_1249:
	v_lshrrev_b32_e32 v4, 24, v4
	s_delay_alu instid0(VALU_DEP_1)
	v_and_or_b32 v8, 0x80, v4, v5
.LBB295_1250:
	s_or_b32 exec_lo, exec_lo, s1
.LBB295_1251:
	s_delay_alu instid0(SALU_CYCLE_1)
	s_or_b32 exec_lo, exec_lo, s21
.LBB295_1252:
	s_delay_alu instid0(SALU_CYCLE_1)
	s_or_b32 exec_lo, exec_lo, s20
                                        ; implicit-def: $vgpr4_vgpr5
.LBB295_1253:
	s_and_not1_saveexec_b32 s19, s19
	s_cbranch_execz .LBB295_1261
; %bb.1254:
	flat_load_b32 v4, v[4:5]
	s_wait_loadcnt_dscnt 0x101
	v_mov_b32_e32 v8, 0x80
	s_mov_b32 s20, exec_lo
	s_wait_loadcnt_dscnt 0x0
	v_cvt_f32_f16_e32 v4, v4
	s_delay_alu instid0(VALU_DEP_1) | instskip(NEXT) | instid1(VALU_DEP_1)
	v_and_b32_e32 v5, 0x7fffffff, v4
	v_cmpx_gt_u32_e32 0x43800000, v5
	s_cbranch_execz .LBB295_1260
; %bb.1255:
	v_cmp_lt_u32_e64 s1, 0x3bffffff, v5
	s_mov_b32 s21, 0
                                        ; implicit-def: $vgpr5
	s_and_saveexec_b32 s22, s1
	s_delay_alu instid0(SALU_CYCLE_1)
	s_xor_b32 s1, exec_lo, s22
	s_cbranch_execz .LBB295_2618
; %bb.1256:
	v_bfe_u32 v5, v4, 20, 1
	s_mov_b32 s21, exec_lo
	s_delay_alu instid0(VALU_DEP_1) | instskip(NEXT) | instid1(VALU_DEP_1)
	v_add3_u32 v5, v4, v5, 0x487ffff
	v_lshrrev_b32_e32 v5, 20, v5
	s_and_not1_saveexec_b32 s22, s1
	s_cbranch_execnz .LBB295_2619
.LBB295_1257:
	s_or_b32 exec_lo, exec_lo, s22
	v_mov_b32_e32 v8, 0
	s_and_saveexec_b32 s1, s21
.LBB295_1258:
	v_lshrrev_b32_e32 v4, 24, v4
	s_delay_alu instid0(VALU_DEP_1)
	v_and_or_b32 v8, 0x80, v4, v5
.LBB295_1259:
	s_or_b32 exec_lo, exec_lo, s1
.LBB295_1260:
	s_delay_alu instid0(SALU_CYCLE_1)
	s_or_b32 exec_lo, exec_lo, s20
.LBB295_1261:
	s_delay_alu instid0(SALU_CYCLE_1)
	s_or_b32 exec_lo, exec_lo, s19
                                        ; implicit-def: $vgpr18
                                        ; implicit-def: $vgpr4_vgpr5
.LBB295_1262:
	s_and_not1_saveexec_b32 s18, s18
	s_cbranch_execz .LBB295_1290
; %bb.1263:
	s_mov_b32 s19, exec_lo
                                        ; implicit-def: $vgpr8
	v_cmpx_lt_i16_e32 5, v18
	s_xor_b32 s19, exec_lo, s19
	s_cbranch_execz .LBB295_1281
; %bb.1264:
	s_mov_b32 s20, exec_lo
                                        ; implicit-def: $vgpr8
	v_cmpx_lt_i16_e32 6, v18
	s_xor_b32 s20, exec_lo, s20
	s_cbranch_execz .LBB295_1272
; %bb.1265:
	flat_load_b64 v[4:5], v[4:5]
	s_wait_loadcnt_dscnt 0x101
	v_mov_b32_e32 v8, 0x80
	s_mov_b32 s21, exec_lo
	s_wait_loadcnt_dscnt 0x0
	v_cvt_f32_f64_e32 v4, v[4:5]
	s_delay_alu instid0(VALU_DEP_1) | instskip(NEXT) | instid1(VALU_DEP_1)
	v_and_b32_e32 v5, 0x7fffffff, v4
	v_cmpx_gt_u32_e32 0x43800000, v5
	s_cbranch_execz .LBB295_1271
; %bb.1266:
	v_cmp_lt_u32_e64 s1, 0x3bffffff, v5
	s_mov_b32 s22, 0
                                        ; implicit-def: $vgpr5
	s_and_saveexec_b32 s23, s1
	s_delay_alu instid0(SALU_CYCLE_1)
	s_xor_b32 s1, exec_lo, s23
	s_cbranch_execz .LBB295_2697
; %bb.1267:
	v_bfe_u32 v5, v4, 20, 1
	s_mov_b32 s22, exec_lo
	s_delay_alu instid0(VALU_DEP_1) | instskip(NEXT) | instid1(VALU_DEP_1)
	v_add3_u32 v5, v4, v5, 0x487ffff
	v_lshrrev_b32_e32 v5, 20, v5
	s_and_not1_saveexec_b32 s23, s1
	s_cbranch_execnz .LBB295_2698
.LBB295_1268:
	s_or_b32 exec_lo, exec_lo, s23
	v_mov_b32_e32 v8, 0
	s_and_saveexec_b32 s1, s22
.LBB295_1269:
	v_lshrrev_b32_e32 v4, 24, v4
	s_delay_alu instid0(VALU_DEP_1)
	v_and_or_b32 v8, 0x80, v4, v5
.LBB295_1270:
	s_or_b32 exec_lo, exec_lo, s1
.LBB295_1271:
	s_delay_alu instid0(SALU_CYCLE_1)
	s_or_b32 exec_lo, exec_lo, s21
                                        ; implicit-def: $vgpr4_vgpr5
.LBB295_1272:
	s_and_not1_saveexec_b32 s20, s20
	s_cbranch_execz .LBB295_1280
; %bb.1273:
	flat_load_b32 v4, v[4:5]
	s_wait_loadcnt_dscnt 0x101
	v_mov_b32_e32 v8, 0x80
	s_mov_b32 s21, exec_lo
	s_wait_loadcnt_dscnt 0x0
	v_and_b32_e32 v5, 0x7fffffff, v4
	s_delay_alu instid0(VALU_DEP_1)
	v_cmpx_gt_u32_e32 0x43800000, v5
	s_cbranch_execz .LBB295_1279
; %bb.1274:
	v_cmp_lt_u32_e64 s1, 0x3bffffff, v5
	s_mov_b32 s22, 0
                                        ; implicit-def: $vgpr5
	s_and_saveexec_b32 s23, s1
	s_delay_alu instid0(SALU_CYCLE_1)
	s_xor_b32 s1, exec_lo, s23
	s_cbranch_execz .LBB295_2699
; %bb.1275:
	v_bfe_u32 v5, v4, 20, 1
	s_mov_b32 s22, exec_lo
	s_delay_alu instid0(VALU_DEP_1) | instskip(NEXT) | instid1(VALU_DEP_1)
	v_add3_u32 v5, v4, v5, 0x487ffff
	v_lshrrev_b32_e32 v5, 20, v5
	s_and_not1_saveexec_b32 s23, s1
	s_cbranch_execnz .LBB295_2700
.LBB295_1276:
	s_or_b32 exec_lo, exec_lo, s23
	v_mov_b32_e32 v8, 0
	s_and_saveexec_b32 s1, s22
.LBB295_1277:
	v_lshrrev_b32_e32 v4, 24, v4
	s_delay_alu instid0(VALU_DEP_1)
	v_and_or_b32 v8, 0x80, v4, v5
.LBB295_1278:
	s_or_b32 exec_lo, exec_lo, s1
.LBB295_1279:
	s_delay_alu instid0(SALU_CYCLE_1)
	s_or_b32 exec_lo, exec_lo, s21
.LBB295_1280:
	s_delay_alu instid0(SALU_CYCLE_1)
	s_or_b32 exec_lo, exec_lo, s20
                                        ; implicit-def: $vgpr4_vgpr5
.LBB295_1281:
	s_and_not1_saveexec_b32 s19, s19
	s_cbranch_execz .LBB295_1289
; %bb.1282:
	flat_load_u16 v4, v[4:5]
	s_wait_loadcnt_dscnt 0x101
	v_mov_b32_e32 v8, 0x80
	s_mov_b32 s20, exec_lo
	s_wait_loadcnt_dscnt 0x0
	v_cvt_f32_f16_e32 v4, v4
	s_delay_alu instid0(VALU_DEP_1) | instskip(NEXT) | instid1(VALU_DEP_1)
	v_and_b32_e32 v5, 0x7fffffff, v4
	v_cmpx_gt_u32_e32 0x43800000, v5
	s_cbranch_execz .LBB295_1288
; %bb.1283:
	v_cmp_lt_u32_e64 s1, 0x3bffffff, v5
	s_mov_b32 s21, 0
                                        ; implicit-def: $vgpr5
	s_and_saveexec_b32 s22, s1
	s_delay_alu instid0(SALU_CYCLE_1)
	s_xor_b32 s1, exec_lo, s22
	s_cbranch_execz .LBB295_2620
; %bb.1284:
	v_bfe_u32 v5, v4, 20, 1
	s_mov_b32 s21, exec_lo
	s_delay_alu instid0(VALU_DEP_1) | instskip(NEXT) | instid1(VALU_DEP_1)
	v_add3_u32 v5, v4, v5, 0x487ffff
	v_lshrrev_b32_e32 v5, 20, v5
	s_and_not1_saveexec_b32 s22, s1
	s_cbranch_execnz .LBB295_2621
.LBB295_1285:
	s_or_b32 exec_lo, exec_lo, s22
	v_mov_b32_e32 v8, 0
	s_and_saveexec_b32 s1, s21
.LBB295_1286:
	v_lshrrev_b32_e32 v4, 24, v4
	s_delay_alu instid0(VALU_DEP_1)
	v_and_or_b32 v8, 0x80, v4, v5
.LBB295_1287:
	s_or_b32 exec_lo, exec_lo, s1
.LBB295_1288:
	s_delay_alu instid0(SALU_CYCLE_1)
	s_or_b32 exec_lo, exec_lo, s20
.LBB295_1289:
	s_delay_alu instid0(SALU_CYCLE_1)
	s_or_b32 exec_lo, exec_lo, s19
.LBB295_1290:
	s_delay_alu instid0(SALU_CYCLE_1)
	s_or_b32 exec_lo, exec_lo, s18
                                        ; implicit-def: $vgpr18
                                        ; implicit-def: $vgpr4_vgpr5
.LBB295_1291:
	s_and_not1_saveexec_b32 s17, s17
	s_cbranch_execz .LBB295_1339
; %bb.1292:
	s_mov_b32 s18, exec_lo
                                        ; implicit-def: $vgpr8
	v_cmpx_lt_i16_e32 1, v18
	s_xor_b32 s18, exec_lo, s18
	s_cbranch_execz .LBB295_1320
; %bb.1293:
	s_mov_b32 s19, exec_lo
                                        ; implicit-def: $vgpr8
	v_cmpx_lt_i16_e32 2, v18
	s_xor_b32 s19, exec_lo, s19
	;; [unrolled: 6-line block ×3, first 2 shown]
	s_cbranch_execz .LBB295_1302
; %bb.1295:
	flat_load_b64 v[4:5], v[4:5]
	s_mov_b32 s21, exec_lo
	s_wait_loadcnt_dscnt 0x0
	v_xor_b32_e32 v7, v4, v5
	v_cls_i32_e32 v8, v5
	s_delay_alu instid0(VALU_DEP_2) | instskip(NEXT) | instid1(VALU_DEP_1)
	v_ashrrev_i32_e32 v7, 31, v7
	v_add_nc_u32_e32 v7, 32, v7
	s_delay_alu instid0(VALU_DEP_1) | instskip(SKIP_2) | instid1(VALU_DEP_2)
	v_add_min_u32_e64 v7, v8, -1, v7
	v_mov_b32_e32 v8, 0x80
	s_wait_xcnt 0x0
	v_lshlrev_b64_e32 v[4:5], v7, v[4:5]
	s_delay_alu instid0(VALU_DEP_1) | instskip(NEXT) | instid1(VALU_DEP_1)
	v_min_u32_e32 v4, 1, v4
	v_dual_sub_nc_u32 v5, 32, v7 :: v_dual_bitop2_b32 v4, v5, v4 bitop3:0x54
	s_delay_alu instid0(VALU_DEP_1) | instskip(NEXT) | instid1(VALU_DEP_1)
	v_cvt_f32_i32_e32 v4, v4
	v_ldexp_f32 v4, v4, v5
	s_delay_alu instid0(VALU_DEP_1) | instskip(NEXT) | instid1(VALU_DEP_1)
	v_and_b32_e32 v5, 0x7fffffff, v4
	v_cmpx_gt_u32_e32 0x43800000, v5
	s_cbranch_execz .LBB295_1301
; %bb.1296:
	v_cmp_lt_u32_e64 s1, 0x3bffffff, v5
	s_mov_b32 s22, 0
                                        ; implicit-def: $vgpr5
	s_and_saveexec_b32 s23, s1
	s_delay_alu instid0(SALU_CYCLE_1)
	s_xor_b32 s1, exec_lo, s23
	s_cbranch_execz .LBB295_2701
; %bb.1297:
	v_bfe_u32 v5, v4, 20, 1
	s_mov_b32 s22, exec_lo
	s_delay_alu instid0(VALU_DEP_1) | instskip(NEXT) | instid1(VALU_DEP_1)
	v_add3_u32 v5, v4, v5, 0x487ffff
	v_lshrrev_b32_e32 v5, 20, v5
	s_and_not1_saveexec_b32 s23, s1
	s_cbranch_execnz .LBB295_2702
.LBB295_1298:
	s_or_b32 exec_lo, exec_lo, s23
	v_mov_b32_e32 v8, 0
	s_and_saveexec_b32 s1, s22
.LBB295_1299:
	v_lshrrev_b32_e32 v4, 24, v4
	s_delay_alu instid0(VALU_DEP_1)
	v_and_or_b32 v8, 0x80, v4, v5
.LBB295_1300:
	s_or_b32 exec_lo, exec_lo, s1
.LBB295_1301:
	s_delay_alu instid0(SALU_CYCLE_1)
	s_or_b32 exec_lo, exec_lo, s21
                                        ; implicit-def: $vgpr4_vgpr5
.LBB295_1302:
	s_and_not1_saveexec_b32 s20, s20
	s_cbranch_execz .LBB295_1310
; %bb.1303:
	flat_load_b32 v4, v[4:5]
	s_wait_loadcnt_dscnt 0x101
	v_mov_b32_e32 v8, 0x80
	s_mov_b32 s21, exec_lo
	s_wait_loadcnt_dscnt 0x0
	v_cvt_f32_i32_e32 v4, v4
	s_delay_alu instid0(VALU_DEP_1) | instskip(NEXT) | instid1(VALU_DEP_1)
	v_and_b32_e32 v5, 0x7fffffff, v4
	v_cmpx_gt_u32_e32 0x43800000, v5
	s_cbranch_execz .LBB295_1309
; %bb.1304:
	v_cmp_lt_u32_e64 s1, 0x3bffffff, v5
	s_mov_b32 s22, 0
                                        ; implicit-def: $vgpr5
	s_and_saveexec_b32 s23, s1
	s_delay_alu instid0(SALU_CYCLE_1)
	s_xor_b32 s1, exec_lo, s23
	s_cbranch_execz .LBB295_2703
; %bb.1305:
	v_bfe_u32 v5, v4, 20, 1
	s_mov_b32 s22, exec_lo
	s_delay_alu instid0(VALU_DEP_1) | instskip(NEXT) | instid1(VALU_DEP_1)
	v_add3_u32 v5, v4, v5, 0x487ffff
	v_lshrrev_b32_e32 v5, 20, v5
	s_and_not1_saveexec_b32 s23, s1
	s_cbranch_execnz .LBB295_2704
.LBB295_1306:
	s_or_b32 exec_lo, exec_lo, s23
	v_mov_b32_e32 v8, 0
	s_and_saveexec_b32 s1, s22
.LBB295_1307:
	v_lshrrev_b32_e32 v4, 24, v4
	s_delay_alu instid0(VALU_DEP_1)
	v_and_or_b32 v8, 0x80, v4, v5
.LBB295_1308:
	s_or_b32 exec_lo, exec_lo, s1
.LBB295_1309:
	s_delay_alu instid0(SALU_CYCLE_1)
	s_or_b32 exec_lo, exec_lo, s21
.LBB295_1310:
	s_delay_alu instid0(SALU_CYCLE_1)
	s_or_b32 exec_lo, exec_lo, s20
                                        ; implicit-def: $vgpr4_vgpr5
.LBB295_1311:
	s_and_not1_saveexec_b32 s19, s19
	s_cbranch_execz .LBB295_1319
; %bb.1312:
	flat_load_i16 v4, v[4:5]
	s_wait_loadcnt_dscnt 0x101
	v_mov_b32_e32 v8, 0x80
	s_mov_b32 s20, exec_lo
	s_wait_loadcnt_dscnt 0x0
	v_cvt_f32_i32_e32 v4, v4
	s_delay_alu instid0(VALU_DEP_1) | instskip(NEXT) | instid1(VALU_DEP_1)
	v_and_b32_e32 v5, 0x7fffffff, v4
	v_cmpx_gt_u32_e32 0x43800000, v5
	s_cbranch_execz .LBB295_1318
; %bb.1313:
	v_cmp_lt_u32_e64 s1, 0x3bffffff, v5
	s_mov_b32 s21, 0
                                        ; implicit-def: $vgpr5
	s_and_saveexec_b32 s22, s1
	s_delay_alu instid0(SALU_CYCLE_1)
	s_xor_b32 s1, exec_lo, s22
	s_cbranch_execz .LBB295_2622
; %bb.1314:
	v_bfe_u32 v5, v4, 20, 1
	s_mov_b32 s21, exec_lo
	s_delay_alu instid0(VALU_DEP_1) | instskip(NEXT) | instid1(VALU_DEP_1)
	v_add3_u32 v5, v4, v5, 0x487ffff
	v_lshrrev_b32_e32 v5, 20, v5
	s_and_not1_saveexec_b32 s22, s1
	s_cbranch_execnz .LBB295_2623
.LBB295_1315:
	s_or_b32 exec_lo, exec_lo, s22
	v_mov_b32_e32 v8, 0
	s_and_saveexec_b32 s1, s21
.LBB295_1316:
	v_lshrrev_b32_e32 v4, 24, v4
	s_delay_alu instid0(VALU_DEP_1)
	v_and_or_b32 v8, 0x80, v4, v5
.LBB295_1317:
	s_or_b32 exec_lo, exec_lo, s1
.LBB295_1318:
	s_delay_alu instid0(SALU_CYCLE_1)
	s_or_b32 exec_lo, exec_lo, s20
.LBB295_1319:
	s_delay_alu instid0(SALU_CYCLE_1)
	s_or_b32 exec_lo, exec_lo, s19
                                        ; implicit-def: $vgpr18
                                        ; implicit-def: $vgpr4_vgpr5
.LBB295_1320:
	s_and_not1_saveexec_b32 s18, s18
	s_cbranch_execz .LBB295_1338
; %bb.1321:
	s_mov_b32 s19, exec_lo
                                        ; implicit-def: $vgpr8
	v_cmpx_lt_i16_e32 0, v18
	s_xor_b32 s19, exec_lo, s19
	s_cbranch_execz .LBB295_1329
; %bb.1322:
	flat_load_i8 v4, v[4:5]
	s_wait_loadcnt_dscnt 0x101
	v_mov_b32_e32 v8, 0x80
	s_mov_b32 s20, exec_lo
	s_wait_loadcnt_dscnt 0x0
	v_cvt_f32_i32_e32 v4, v4
	s_delay_alu instid0(VALU_DEP_1) | instskip(NEXT) | instid1(VALU_DEP_1)
	v_and_b32_e32 v5, 0x7fffffff, v4
	v_cmpx_gt_u32_e32 0x43800000, v5
	s_cbranch_execz .LBB295_1328
; %bb.1323:
	v_cmp_lt_u32_e64 s1, 0x3bffffff, v5
	s_mov_b32 s21, 0
                                        ; implicit-def: $vgpr5
	s_and_saveexec_b32 s22, s1
	s_delay_alu instid0(SALU_CYCLE_1)
	s_xor_b32 s1, exec_lo, s22
	s_cbranch_execz .LBB295_2624
; %bb.1324:
	v_bfe_u32 v5, v4, 20, 1
	s_mov_b32 s21, exec_lo
	s_delay_alu instid0(VALU_DEP_1) | instskip(NEXT) | instid1(VALU_DEP_1)
	v_add3_u32 v5, v4, v5, 0x487ffff
	v_lshrrev_b32_e32 v5, 20, v5
	s_and_not1_saveexec_b32 s22, s1
	s_cbranch_execnz .LBB295_2625
.LBB295_1325:
	s_or_b32 exec_lo, exec_lo, s22
	v_mov_b32_e32 v8, 0
	s_and_saveexec_b32 s1, s21
.LBB295_1326:
	v_lshrrev_b32_e32 v4, 24, v4
	s_delay_alu instid0(VALU_DEP_1)
	v_and_or_b32 v8, 0x80, v4, v5
.LBB295_1327:
	s_or_b32 exec_lo, exec_lo, s1
.LBB295_1328:
	s_delay_alu instid0(SALU_CYCLE_1)
	s_or_b32 exec_lo, exec_lo, s20
                                        ; implicit-def: $vgpr4_vgpr5
.LBB295_1329:
	s_and_not1_saveexec_b32 s19, s19
	s_cbranch_execz .LBB295_1337
; %bb.1330:
	flat_load_u8 v4, v[4:5]
	s_wait_loadcnt_dscnt 0x101
	v_mov_b32_e32 v8, 0x80
	s_mov_b32 s20, exec_lo
	s_wait_loadcnt_dscnt 0x0
	v_cvt_f32_ubyte0_e32 v5, v4
	s_delay_alu instid0(VALU_DEP_1)
	v_cmpx_gt_u32_e32 0x43800000, v5
	s_cbranch_execz .LBB295_1336
; %bb.1331:
	v_cmp_lt_u32_e64 s1, 0x3bffffff, v5
	s_mov_b32 s21, 0
                                        ; implicit-def: $vgpr4
	s_and_saveexec_b32 s22, s1
	s_delay_alu instid0(SALU_CYCLE_1)
	s_xor_b32 s1, exec_lo, s22
	s_cbranch_execz .LBB295_2626
; %bb.1332:
	v_bfe_u32 v4, v5, 20, 1
	s_mov_b32 s21, exec_lo
	s_delay_alu instid0(VALU_DEP_1) | instskip(NEXT) | instid1(VALU_DEP_1)
	v_add3_u32 v4, v5, v4, 0x487ffff
                                        ; implicit-def: $vgpr5
	v_lshrrev_b32_e32 v4, 20, v4
	s_and_not1_saveexec_b32 s22, s1
	s_cbranch_execnz .LBB295_2627
.LBB295_1333:
	s_or_b32 exec_lo, exec_lo, s22
	v_mov_b32_e32 v8, 0
	s_and_saveexec_b32 s1, s21
.LBB295_1334:
	v_mov_b32_e32 v8, v4
.LBB295_1335:
	s_or_b32 exec_lo, exec_lo, s1
.LBB295_1336:
	s_delay_alu instid0(SALU_CYCLE_1)
	s_or_b32 exec_lo, exec_lo, s20
.LBB295_1337:
	s_delay_alu instid0(SALU_CYCLE_1)
	s_or_b32 exec_lo, exec_lo, s19
.LBB295_1338:
	s_delay_alu instid0(SALU_CYCLE_1)
	s_or_b32 exec_lo, exec_lo, s18
.LBB295_1339:
	s_delay_alu instid0(SALU_CYCLE_1) | instskip(NEXT) | instid1(SALU_CYCLE_1)
	s_or_b32 exec_lo, exec_lo, s17
	s_or_b32 s14, s14, exec_lo
.LBB295_1340:
	s_or_b32 exec_lo, exec_lo, s13
	s_mov_b32 s1, 0
	s_mov_b32 s17, 0
                                        ; implicit-def: $sgpr18
                                        ; implicit-def: $vgpr12_vgpr13
                                        ; implicit-def: $vgpr7
	s_and_saveexec_b32 s13, s14
	s_cbranch_execz .LBB295_1843
; %bb.1341:
	v_add_nc_u32_e32 v4, v6, v11
	s_mov_b32 s19, 0
	s_mov_b32 s14, s12
	s_mov_b32 s17, exec_lo
	s_delay_alu instid0(VALU_DEP_1) | instskip(NEXT) | instid1(VALU_DEP_1)
	v_ashrrev_i32_e32 v5, 31, v4
	v_add_nc_u64_e32 v[2:3], v[2:3], v[4:5]
                                        ; implicit-def: $vgpr4
	v_cmpx_lt_i16_e32 10, v15
	s_xor_b32 s17, exec_lo, s17
	s_cbranch_execz .LBB295_1410
; %bb.1342:
	s_mov_b32 s14, 0
	s_mov_b32 s20, 0
	;; [unrolled: 1-line block ×3, first 2 shown]
	s_mov_b32 s19, exec_lo
                                        ; implicit-def: $vgpr4
	v_cmpx_lt_i16_e32 25, v15
	s_xor_b32 s19, exec_lo, s19
	s_cbranch_execz .LBB295_2341
; %bb.1343:
	s_mov_b32 s21, 0
	s_mov_b32 s18, exec_lo
                                        ; implicit-def: $vgpr4
	v_cmpx_lt_i16_e32 28, v15
	s_xor_b32 s18, exec_lo, s18
	s_cbranch_execz .LBB295_1377
; %bb.1344:
	s_mov_b32 s22, 0
	s_mov_b32 s23, 0
	s_mov_b32 s20, exec_lo
                                        ; implicit-def: $vgpr4
	v_cmpx_lt_i16_e32 43, v15
	s_xor_b32 s20, exec_lo, s20
	s_cbranch_execz .LBB295_1366
; %bb.1345:
	s_mov_b32 s23, exec_lo
                                        ; implicit-def: $vgpr4
	v_cmpx_lt_i16_e32 45, v15
	s_xor_b32 s23, exec_lo, s23
	s_cbranch_execz .LBB295_1355
; %bb.1346:
	s_mov_b32 s24, -1
	s_mov_b32 s21, exec_lo
                                        ; implicit-def: $vgpr4
	v_cmpx_eq_u16_e32 46, v15
	s_cbranch_execz .LBB295_1354
; %bb.1347:
	flat_load_b32 v4, v[2:3]
	s_mov_b32 s22, exec_lo
	s_wait_loadcnt_dscnt 0x0
	v_dual_mov_b32 v4, 0x80 :: v_dual_lshlrev_b32 v5, 16, v4
	s_delay_alu instid0(VALU_DEP_1) | instskip(SKIP_1) | instid1(VALU_DEP_1)
	v_and_b32_e32 v6, 0x7fffffff, v5
	s_wait_xcnt 0x0
	v_cmpx_gt_u32_e32 0x43800000, v6
	s_cbranch_execz .LBB295_1353
; %bb.1348:
	v_cmp_lt_u32_e64 s1, 0x3bffffff, v6
	s_mov_b32 s24, 0
                                        ; implicit-def: $vgpr6
	s_and_saveexec_b32 s25, s1
	s_delay_alu instid0(SALU_CYCLE_1)
	s_xor_b32 s1, exec_lo, s25
	s_cbranch_execz .LBB295_2798
; %bb.1349:
	v_bfe_u32 v4, v5, 20, 1
	s_mov_b32 s24, exec_lo
	s_delay_alu instid0(VALU_DEP_1) | instskip(NEXT) | instid1(VALU_DEP_1)
	v_add3_u32 v4, v5, v4, 0x487ffff
	v_lshrrev_b32_e32 v6, 20, v4
	s_and_not1_saveexec_b32 s25, s1
	s_cbranch_execnz .LBB295_2799
.LBB295_1350:
	s_or_b32 exec_lo, exec_lo, s25
	v_mov_b32_e32 v4, 0
	s_and_saveexec_b32 s1, s24
.LBB295_1351:
	v_lshrrev_b32_e32 v4, 24, v5
	s_delay_alu instid0(VALU_DEP_1)
	v_and_or_b32 v4, 0x80, v4, v6
.LBB295_1352:
	s_or_b32 exec_lo, exec_lo, s1
.LBB295_1353:
	s_delay_alu instid0(SALU_CYCLE_1) | instskip(NEXT) | instid1(SALU_CYCLE_1)
	s_or_b32 exec_lo, exec_lo, s22
	s_mov_b32 s22, exec_lo
	s_xor_b32 s24, exec_lo, -1
.LBB295_1354:
	s_or_b32 exec_lo, exec_lo, s21
	s_delay_alu instid0(SALU_CYCLE_1)
	s_and_b32 s22, s22, exec_lo
	s_and_b32 s21, s24, exec_lo
                                        ; implicit-def: $vgpr15
.LBB295_1355:
	s_and_not1_saveexec_b32 s23, s23
	s_cbranch_execz .LBB295_1365
; %bb.1356:
	s_mov_b32 s25, -1
	s_mov_b32 s26, s22
	s_mov_b32 s24, exec_lo
                                        ; implicit-def: $vgpr4
	v_cmpx_eq_u16_e32 44, v15
	s_cbranch_execz .LBB295_1364
; %bb.1357:
	flat_load_u8 v4, v[2:3]
	s_mov_b32 s26, 0
	s_mov_b32 s25, exec_lo
	s_wait_loadcnt_dscnt 0x0
	v_lshlrev_b32_e32 v5, 23, v4
	v_cmp_ne_u32_e64 s1, 0xff, v4
	s_delay_alu instid0(VALU_DEP_1) | instskip(SKIP_2) | instid1(VALU_DEP_2)
	v_cndmask_b32_e64 v5, 0x7f800001, v5, s1
	v_cmp_ne_u32_e64 s1, 0, v4
	v_mov_b32_e32 v4, 0x80
	v_cndmask_b32_e64 v6, 0x400000, v5, s1
	s_wait_xcnt 0x0
	s_delay_alu instid0(VALU_DEP_1)
	v_cmpx_gt_u32_e32 0x43800000, v6
	s_cbranch_execz .LBB295_1363
; %bb.1358:
	v_cmp_lt_u32_e64 s1, 0x3bffffff, v6
                                        ; implicit-def: $vgpr5
	s_and_saveexec_b32 s27, s1
	s_delay_alu instid0(SALU_CYCLE_1)
	s_xor_b32 s1, exec_lo, s27
	s_cbranch_execz .LBB295_2800
; %bb.1359:
	v_bfe_u32 v4, v6, 20, 1
	s_mov_b32 s26, exec_lo
	s_delay_alu instid0(VALU_DEP_1) | instskip(NEXT) | instid1(VALU_DEP_1)
	v_add3_u32 v4, v6, v4, 0x487ffff
                                        ; implicit-def: $vgpr6
	v_lshrrev_b32_e32 v5, 20, v4
	s_and_not1_saveexec_b32 s27, s1
	s_cbranch_execnz .LBB295_2801
.LBB295_1360:
	s_or_b32 exec_lo, exec_lo, s27
	v_mov_b32_e32 v4, 0
	s_and_saveexec_b32 s1, s26
.LBB295_1361:
	v_mov_b32_e32 v4, v5
.LBB295_1362:
	s_or_b32 exec_lo, exec_lo, s1
.LBB295_1363:
	s_delay_alu instid0(SALU_CYCLE_1) | instskip(NEXT) | instid1(SALU_CYCLE_1)
	s_or_b32 exec_lo, exec_lo, s25
	s_or_b32 s26, s22, exec_lo
	s_xor_b32 s25, exec_lo, -1
.LBB295_1364:
	s_or_b32 exec_lo, exec_lo, s24
	s_delay_alu instid0(SALU_CYCLE_1)
	s_and_not1_b32 s1, s22, exec_lo
	s_and_b32 s22, s26, exec_lo
	s_and_not1_b32 s21, s21, exec_lo
	s_and_b32 s24, s25, exec_lo
	s_or_b32 s22, s1, s22
	s_or_b32 s21, s21, s24
.LBB295_1365:
	s_or_b32 exec_lo, exec_lo, s23
	s_delay_alu instid0(SALU_CYCLE_1)
	s_and_b32 s23, s22, exec_lo
	s_and_b32 s22, s21, exec_lo
                                        ; implicit-def: $vgpr15
.LBB295_1366:
	s_and_not1_saveexec_b32 s20, s20
	s_cbranch_execz .LBB295_1376
; %bb.1367:
	s_mov_b32 s24, -1
	s_mov_b32 s25, s23
	s_mov_b32 s21, exec_lo
                                        ; implicit-def: $vgpr4
	v_cmpx_eq_u16_e32 29, v15
	s_cbranch_execz .LBB295_1375
; %bb.1368:
	flat_load_b64 v[4:5], v[2:3]
	s_mov_b32 s24, exec_lo
	s_wait_loadcnt_dscnt 0x0
	v_clz_i32_u32_e32 v6, v5
	s_delay_alu instid0(VALU_DEP_1) | instskip(NEXT) | instid1(VALU_DEP_1)
	v_min_u32_e32 v6, 32, v6
	v_lshlrev_b64_e32 v[4:5], v6, v[4:5]
	s_delay_alu instid0(VALU_DEP_1) | instskip(NEXT) | instid1(VALU_DEP_1)
	v_min_u32_e32 v4, 1, v4
	v_dual_sub_nc_u32 v5, 32, v6 :: v_dual_bitop2_b32 v4, v5, v4 bitop3:0x54
	s_delay_alu instid0(VALU_DEP_1) | instskip(NEXT) | instid1(VALU_DEP_1)
	v_cvt_f32_u32_e32 v4, v4
	v_ldexp_f32 v6, v4, v5
	v_mov_b32_e32 v4, 0x80
	s_wait_xcnt 0x0
	s_delay_alu instid0(VALU_DEP_2)
	v_cmpx_gt_u32_e32 0x43800000, v6
	s_cbranch_execz .LBB295_1374
; %bb.1369:
	v_cmp_lt_u32_e64 s1, 0x3bffffff, v6
	s_mov_b32 s25, 0
                                        ; implicit-def: $vgpr5
	s_and_saveexec_b32 s26, s1
	s_delay_alu instid0(SALU_CYCLE_1)
	s_xor_b32 s1, exec_lo, s26
	s_cbranch_execz .LBB295_2772
; %bb.1370:
	v_bfe_u32 v4, v6, 20, 1
	s_mov_b32 s25, exec_lo
	s_delay_alu instid0(VALU_DEP_1) | instskip(NEXT) | instid1(VALU_DEP_1)
	v_add3_u32 v4, v6, v4, 0x487ffff
                                        ; implicit-def: $vgpr6
	v_lshrrev_b32_e32 v5, 20, v4
	s_and_not1_saveexec_b32 s26, s1
	s_cbranch_execnz .LBB295_2773
.LBB295_1371:
	s_or_b32 exec_lo, exec_lo, s26
	v_mov_b32_e32 v4, 0
	s_and_saveexec_b32 s1, s25
.LBB295_1372:
	v_mov_b32_e32 v4, v5
.LBB295_1373:
	s_or_b32 exec_lo, exec_lo, s1
.LBB295_1374:
	s_delay_alu instid0(SALU_CYCLE_1) | instskip(NEXT) | instid1(SALU_CYCLE_1)
	s_or_b32 exec_lo, exec_lo, s24
	s_or_b32 s25, s23, exec_lo
	s_xor_b32 s24, exec_lo, -1
.LBB295_1375:
	s_or_b32 exec_lo, exec_lo, s21
	s_delay_alu instid0(SALU_CYCLE_1)
	s_and_not1_b32 s1, s23, exec_lo
	s_and_b32 s21, s25, exec_lo
	s_and_not1_b32 s22, s22, exec_lo
	s_and_b32 s24, s24, exec_lo
	s_or_b32 s23, s1, s21
	s_or_b32 s22, s22, s24
.LBB295_1376:
	s_or_b32 exec_lo, exec_lo, s20
	s_delay_alu instid0(SALU_CYCLE_1)
	s_and_b32 s21, s23, exec_lo
	s_and_b32 s20, s22, exec_lo
                                        ; implicit-def: $vgpr15
.LBB295_1377:
	s_and_not1_saveexec_b32 s18, s18
	s_cbranch_execz .LBB295_1399
; %bb.1378:
	s_mov_b32 s22, exec_lo
                                        ; implicit-def: $vgpr4
	v_cmpx_lt_i16_e32 26, v15
	s_xor_b32 s22, exec_lo, s22
	s_cbranch_execz .LBB295_1396
; %bb.1379:
	s_mov_b32 s23, exec_lo
                                        ; implicit-def: $vgpr4
	v_cmpx_lt_i16_e32 27, v15
	s_xor_b32 s23, exec_lo, s23
	s_cbranch_execz .LBB295_1387
; %bb.1380:
	flat_load_b32 v4, v[2:3]
	s_mov_b32 s24, exec_lo
	s_wait_loadcnt_dscnt 0x0
	v_cvt_f32_u32_e32 v6, v4
	v_mov_b32_e32 v4, 0x80
	s_wait_xcnt 0x0
	s_delay_alu instid0(VALU_DEP_2)
	v_cmpx_gt_u32_e32 0x43800000, v6
	s_cbranch_execz .LBB295_1386
; %bb.1381:
	v_cmp_lt_u32_e64 s1, 0x3bffffff, v6
	s_mov_b32 s25, 0
                                        ; implicit-def: $vgpr5
	s_and_saveexec_b32 s26, s1
	s_delay_alu instid0(SALU_CYCLE_1)
	s_xor_b32 s1, exec_lo, s26
	s_cbranch_execz .LBB295_2774
; %bb.1382:
	v_bfe_u32 v4, v6, 20, 1
	s_mov_b32 s25, exec_lo
	s_delay_alu instid0(VALU_DEP_1) | instskip(NEXT) | instid1(VALU_DEP_1)
	v_add3_u32 v4, v6, v4, 0x487ffff
                                        ; implicit-def: $vgpr6
	v_lshrrev_b32_e32 v5, 20, v4
	s_and_not1_saveexec_b32 s26, s1
	s_cbranch_execnz .LBB295_2775
.LBB295_1383:
	s_or_b32 exec_lo, exec_lo, s26
	v_mov_b32_e32 v4, 0
	s_and_saveexec_b32 s1, s25
.LBB295_1384:
	v_mov_b32_e32 v4, v5
.LBB295_1385:
	s_or_b32 exec_lo, exec_lo, s1
.LBB295_1386:
	s_delay_alu instid0(SALU_CYCLE_1)
	s_or_b32 exec_lo, exec_lo, s24
.LBB295_1387:
	s_and_not1_saveexec_b32 s23, s23
	s_cbranch_execz .LBB295_1395
; %bb.1388:
	flat_load_u16 v4, v[2:3]
	s_mov_b32 s24, exec_lo
	s_wait_loadcnt_dscnt 0x0
	v_cvt_f32_u32_e32 v6, v4
	v_mov_b32_e32 v4, 0x80
	s_wait_xcnt 0x0
	s_delay_alu instid0(VALU_DEP_2)
	v_cmpx_gt_u32_e32 0x43800000, v6
	s_cbranch_execz .LBB295_1394
; %bb.1389:
	v_cmp_lt_u32_e64 s1, 0x3bffffff, v6
	s_mov_b32 s25, 0
                                        ; implicit-def: $vgpr5
	s_and_saveexec_b32 s26, s1
	s_delay_alu instid0(SALU_CYCLE_1)
	s_xor_b32 s1, exec_lo, s26
	s_cbranch_execz .LBB295_2776
; %bb.1390:
	v_bfe_u32 v4, v6, 20, 1
	s_mov_b32 s25, exec_lo
	s_delay_alu instid0(VALU_DEP_1) | instskip(NEXT) | instid1(VALU_DEP_1)
	v_add3_u32 v4, v6, v4, 0x487ffff
                                        ; implicit-def: $vgpr6
	v_lshrrev_b32_e32 v5, 20, v4
	s_and_not1_saveexec_b32 s26, s1
	s_cbranch_execnz .LBB295_2777
.LBB295_1391:
	s_or_b32 exec_lo, exec_lo, s26
	v_mov_b32_e32 v4, 0
	s_and_saveexec_b32 s1, s25
.LBB295_1392:
	v_mov_b32_e32 v4, v5
.LBB295_1393:
	s_or_b32 exec_lo, exec_lo, s1
.LBB295_1394:
	s_delay_alu instid0(SALU_CYCLE_1)
	s_or_b32 exec_lo, exec_lo, s24
.LBB295_1395:
	s_delay_alu instid0(SALU_CYCLE_1)
	s_or_b32 exec_lo, exec_lo, s23
.LBB295_1396:
	s_and_not1_saveexec_b32 s1, s22
	s_cbranch_execz .LBB295_1398
; %bb.1397:
	flat_load_u8 v4, v[2:3]
.LBB295_1398:
	s_wait_xcnt 0x0
	s_or_b32 exec_lo, exec_lo, s1
	s_delay_alu instid0(SALU_CYCLE_1)
	s_or_b32 s21, s21, exec_lo
.LBB295_1399:
	s_or_b32 exec_lo, exec_lo, s18
	s_delay_alu instid0(SALU_CYCLE_1)
	s_and_b32 s18, s21, exec_lo
	s_and_b32 s20, s20, exec_lo
                                        ; implicit-def: $vgpr15
	s_and_not1_saveexec_b32 s19, s19
	s_cbranch_execnz .LBB295_2342
.LBB295_1400:
	s_or_b32 exec_lo, exec_lo, s19
	s_mov_b32 s19, s12
	s_and_saveexec_b32 s1, s20
	s_cbranch_execnz .LBB295_2391
.LBB295_1401:
	s_or_b32 exec_lo, exec_lo, s1
	s_and_saveexec_b32 s1, s14
	s_delay_alu instid0(SALU_CYCLE_1)
	s_xor_b32 s14, exec_lo, s1
	s_cbranch_execz .LBB295_1409
.LBB295_1402:
	flat_load_u8 v2, v[2:3]
	s_wait_loadcnt_dscnt 0x101
	v_mov_b32_e32 v4, 0x80
	s_mov_b32 s21, 0
	s_mov_b32 s20, exec_lo
	s_wait_loadcnt_dscnt 0x0
	v_cmp_ne_u16_e64 s1, 0, v2
	s_wait_xcnt 0x0
	s_delay_alu instid0(VALU_DEP_1) | instskip(NEXT) | instid1(VALU_DEP_1)
	v_cndmask_b32_e64 v3, 0, 1.0, s1
	v_cmpx_gt_u32_e32 0x43800000, v3
	s_cbranch_execz .LBB295_1408
; %bb.1403:
	v_cmp_lt_u32_e64 s1, 0x3bffffff, v3
                                        ; implicit-def: $vgpr2
	s_and_saveexec_b32 s22, s1
	s_delay_alu instid0(SALU_CYCLE_1)
	s_xor_b32 s1, exec_lo, s22
	s_cbranch_execz .LBB295_2537
; %bb.1404:
	v_bfe_u32 v2, v3, 20, 1
	s_mov_b32 s21, exec_lo
	s_delay_alu instid0(VALU_DEP_1) | instskip(NEXT) | instid1(VALU_DEP_1)
	v_add3_u32 v2, v3, v2, 0x487ffff
                                        ; implicit-def: $vgpr3
	v_lshrrev_b32_e32 v2, 20, v2
	s_and_not1_saveexec_b32 s22, s1
	s_cbranch_execnz .LBB295_2538
.LBB295_1405:
	s_or_b32 exec_lo, exec_lo, s22
	v_mov_b32_e32 v4, 0
	s_and_saveexec_b32 s1, s21
.LBB295_1406:
	v_mov_b32_e32 v4, v2
.LBB295_1407:
	s_or_b32 exec_lo, exec_lo, s1
.LBB295_1408:
	s_delay_alu instid0(SALU_CYCLE_1) | instskip(NEXT) | instid1(SALU_CYCLE_1)
	s_or_b32 exec_lo, exec_lo, s20
	s_or_b32 s18, s18, exec_lo
.LBB295_1409:
	s_or_b32 exec_lo, exec_lo, s14
	s_delay_alu instid0(SALU_CYCLE_1)
	s_and_not1_b32 s1, s12, exec_lo
	s_and_b32 s14, s19, exec_lo
	s_and_b32 s19, s18, exec_lo
	s_or_b32 s14, s1, s14
                                        ; implicit-def: $vgpr15
                                        ; implicit-def: $vgpr2_vgpr3
.LBB295_1410:
	s_and_not1_saveexec_b32 s17, s17
	s_cbranch_execz .LBB295_1518
; %bb.1411:
	s_mov_b32 s18, exec_lo
                                        ; implicit-def: $vgpr4
	v_cmpx_lt_i16_e32 4, v15
	s_xor_b32 s18, exec_lo, s18
	s_cbranch_execz .LBB295_1469
; %bb.1412:
	s_mov_b32 s20, exec_lo
                                        ; implicit-def: $vgpr4
	v_cmpx_lt_i16_e32 7, v15
	s_xor_b32 s20, exec_lo, s20
	;; [unrolled: 6-line block ×4, first 2 shown]
	s_cbranch_execz .LBB295_1422
; %bb.1415:
	flat_load_b64 v[2:3], v[2:3]
	s_wait_loadcnt_dscnt 0x101
	v_mov_b32_e32 v4, 0x80
	s_mov_b32 s23, exec_lo
	s_wait_loadcnt_dscnt 0x0
	v_cvt_f32_f64_e32 v2, v[2:3]
	s_delay_alu instid0(VALU_DEP_1) | instskip(NEXT) | instid1(VALU_DEP_1)
	v_and_b32_e32 v3, 0x7fffffff, v2
	v_cmpx_gt_u32_e32 0x43800000, v3
	s_cbranch_execz .LBB295_1421
; %bb.1416:
	v_cmp_lt_u32_e64 s1, 0x3bffffff, v3
	s_mov_b32 s24, 0
                                        ; implicit-def: $vgpr3
	s_and_saveexec_b32 s25, s1
	s_delay_alu instid0(SALU_CYCLE_1)
	s_xor_b32 s1, exec_lo, s25
	s_cbranch_execz .LBB295_2778
; %bb.1417:
	v_bfe_u32 v3, v2, 20, 1
	s_mov_b32 s24, exec_lo
	s_delay_alu instid0(VALU_DEP_1) | instskip(NEXT) | instid1(VALU_DEP_1)
	v_add3_u32 v3, v2, v3, 0x487ffff
	v_lshrrev_b32_e32 v3, 20, v3
	s_and_not1_saveexec_b32 s25, s1
	s_cbranch_execnz .LBB295_2779
.LBB295_1418:
	s_or_b32 exec_lo, exec_lo, s25
	v_mov_b32_e32 v4, 0
	s_and_saveexec_b32 s1, s24
.LBB295_1419:
	v_lshrrev_b32_e32 v2, 24, v2
	s_delay_alu instid0(VALU_DEP_1)
	v_and_or_b32 v4, 0x80, v2, v3
.LBB295_1420:
	s_or_b32 exec_lo, exec_lo, s1
.LBB295_1421:
	s_delay_alu instid0(SALU_CYCLE_1)
	s_or_b32 exec_lo, exec_lo, s23
                                        ; implicit-def: $vgpr2_vgpr3
.LBB295_1422:
	s_and_not1_saveexec_b32 s22, s22
	s_cbranch_execz .LBB295_1430
; %bb.1423:
	flat_load_b32 v2, v[2:3]
	s_wait_loadcnt_dscnt 0x101
	v_mov_b32_e32 v4, 0x80
	s_mov_b32 s23, exec_lo
	s_wait_loadcnt_dscnt 0x0
	v_and_b32_e32 v3, 0x7fffffff, v2
	s_delay_alu instid0(VALU_DEP_1)
	v_cmpx_gt_u32_e32 0x43800000, v3
	s_cbranch_execz .LBB295_1429
; %bb.1424:
	v_cmp_lt_u32_e64 s1, 0x3bffffff, v3
	s_mov_b32 s24, 0
                                        ; implicit-def: $vgpr3
	s_and_saveexec_b32 s25, s1
	s_delay_alu instid0(SALU_CYCLE_1)
	s_xor_b32 s1, exec_lo, s25
	s_cbranch_execz .LBB295_2780
; %bb.1425:
	v_bfe_u32 v3, v2, 20, 1
	s_mov_b32 s24, exec_lo
	s_delay_alu instid0(VALU_DEP_1) | instskip(NEXT) | instid1(VALU_DEP_1)
	v_add3_u32 v3, v2, v3, 0x487ffff
	v_lshrrev_b32_e32 v3, 20, v3
	s_and_not1_saveexec_b32 s25, s1
	s_cbranch_execnz .LBB295_2781
.LBB295_1426:
	s_or_b32 exec_lo, exec_lo, s25
	v_mov_b32_e32 v4, 0
	s_and_saveexec_b32 s1, s24
.LBB295_1427:
	v_lshrrev_b32_e32 v2, 24, v2
	s_delay_alu instid0(VALU_DEP_1)
	v_and_or_b32 v4, 0x80, v2, v3
.LBB295_1428:
	s_or_b32 exec_lo, exec_lo, s1
.LBB295_1429:
	s_delay_alu instid0(SALU_CYCLE_1)
	s_or_b32 exec_lo, exec_lo, s23
.LBB295_1430:
	s_delay_alu instid0(SALU_CYCLE_1)
	s_or_b32 exec_lo, exec_lo, s22
                                        ; implicit-def: $vgpr2_vgpr3
.LBB295_1431:
	s_and_not1_saveexec_b32 s21, s21
	s_cbranch_execz .LBB295_1439
; %bb.1432:
	flat_load_b32 v2, v[2:3]
	s_wait_loadcnt_dscnt 0x101
	v_mov_b32_e32 v4, 0x80
	s_mov_b32 s22, exec_lo
	s_wait_loadcnt_dscnt 0x0
	v_cvt_f32_f16_e32 v2, v2
	s_delay_alu instid0(VALU_DEP_1) | instskip(NEXT) | instid1(VALU_DEP_1)
	v_and_b32_e32 v3, 0x7fffffff, v2
	v_cmpx_gt_u32_e32 0x43800000, v3
	s_cbranch_execz .LBB295_1438
; %bb.1433:
	v_cmp_lt_u32_e64 s1, 0x3bffffff, v3
	s_mov_b32 s23, 0
                                        ; implicit-def: $vgpr3
	s_and_saveexec_b32 s24, s1
	s_delay_alu instid0(SALU_CYCLE_1)
	s_xor_b32 s1, exec_lo, s24
	s_cbranch_execz .LBB295_2705
; %bb.1434:
	v_bfe_u32 v3, v2, 20, 1
	s_mov_b32 s23, exec_lo
	s_delay_alu instid0(VALU_DEP_1) | instskip(NEXT) | instid1(VALU_DEP_1)
	v_add3_u32 v3, v2, v3, 0x487ffff
	v_lshrrev_b32_e32 v3, 20, v3
	s_and_not1_saveexec_b32 s24, s1
	s_cbranch_execnz .LBB295_2706
.LBB295_1435:
	s_or_b32 exec_lo, exec_lo, s24
	v_mov_b32_e32 v4, 0
	s_and_saveexec_b32 s1, s23
.LBB295_1436:
	v_lshrrev_b32_e32 v2, 24, v2
	s_delay_alu instid0(VALU_DEP_1)
	v_and_or_b32 v4, 0x80, v2, v3
.LBB295_1437:
	s_or_b32 exec_lo, exec_lo, s1
.LBB295_1438:
	s_delay_alu instid0(SALU_CYCLE_1)
	s_or_b32 exec_lo, exec_lo, s22
.LBB295_1439:
	s_delay_alu instid0(SALU_CYCLE_1)
	s_or_b32 exec_lo, exec_lo, s21
                                        ; implicit-def: $vgpr15
                                        ; implicit-def: $vgpr2_vgpr3
.LBB295_1440:
	s_and_not1_saveexec_b32 s20, s20
	s_cbranch_execz .LBB295_1468
; %bb.1441:
	s_mov_b32 s21, exec_lo
                                        ; implicit-def: $vgpr4
	v_cmpx_lt_i16_e32 5, v15
	s_xor_b32 s21, exec_lo, s21
	s_cbranch_execz .LBB295_1459
; %bb.1442:
	s_mov_b32 s22, exec_lo
                                        ; implicit-def: $vgpr4
	v_cmpx_lt_i16_e32 6, v15
	s_xor_b32 s22, exec_lo, s22
	s_cbranch_execz .LBB295_1450
; %bb.1443:
	flat_load_b64 v[2:3], v[2:3]
	s_wait_loadcnt_dscnt 0x101
	v_mov_b32_e32 v4, 0x80
	s_mov_b32 s23, exec_lo
	s_wait_loadcnt_dscnt 0x0
	v_cvt_f32_f64_e32 v2, v[2:3]
	s_delay_alu instid0(VALU_DEP_1) | instskip(NEXT) | instid1(VALU_DEP_1)
	v_and_b32_e32 v3, 0x7fffffff, v2
	v_cmpx_gt_u32_e32 0x43800000, v3
	s_cbranch_execz .LBB295_1449
; %bb.1444:
	v_cmp_lt_u32_e64 s1, 0x3bffffff, v3
	s_mov_b32 s24, 0
                                        ; implicit-def: $vgpr3
	s_and_saveexec_b32 s25, s1
	s_delay_alu instid0(SALU_CYCLE_1)
	s_xor_b32 s1, exec_lo, s25
	s_cbranch_execz .LBB295_2782
; %bb.1445:
	v_bfe_u32 v3, v2, 20, 1
	s_mov_b32 s24, exec_lo
	s_delay_alu instid0(VALU_DEP_1) | instskip(NEXT) | instid1(VALU_DEP_1)
	v_add3_u32 v3, v2, v3, 0x487ffff
	v_lshrrev_b32_e32 v3, 20, v3
	s_and_not1_saveexec_b32 s25, s1
	s_cbranch_execnz .LBB295_2783
.LBB295_1446:
	s_or_b32 exec_lo, exec_lo, s25
	v_mov_b32_e32 v4, 0
	s_and_saveexec_b32 s1, s24
.LBB295_1447:
	v_lshrrev_b32_e32 v2, 24, v2
	s_delay_alu instid0(VALU_DEP_1)
	v_and_or_b32 v4, 0x80, v2, v3
.LBB295_1448:
	s_or_b32 exec_lo, exec_lo, s1
.LBB295_1449:
	s_delay_alu instid0(SALU_CYCLE_1)
	s_or_b32 exec_lo, exec_lo, s23
                                        ; implicit-def: $vgpr2_vgpr3
.LBB295_1450:
	s_and_not1_saveexec_b32 s22, s22
	s_cbranch_execz .LBB295_1458
; %bb.1451:
	flat_load_b32 v2, v[2:3]
	s_wait_loadcnt_dscnt 0x101
	v_mov_b32_e32 v4, 0x80
	s_mov_b32 s23, exec_lo
	s_wait_loadcnt_dscnt 0x0
	v_and_b32_e32 v3, 0x7fffffff, v2
	s_delay_alu instid0(VALU_DEP_1)
	v_cmpx_gt_u32_e32 0x43800000, v3
	s_cbranch_execz .LBB295_1457
; %bb.1452:
	v_cmp_lt_u32_e64 s1, 0x3bffffff, v3
	s_mov_b32 s24, 0
                                        ; implicit-def: $vgpr3
	s_and_saveexec_b32 s25, s1
	s_delay_alu instid0(SALU_CYCLE_1)
	s_xor_b32 s1, exec_lo, s25
	s_cbranch_execz .LBB295_2784
; %bb.1453:
	v_bfe_u32 v3, v2, 20, 1
	s_mov_b32 s24, exec_lo
	s_delay_alu instid0(VALU_DEP_1) | instskip(NEXT) | instid1(VALU_DEP_1)
	v_add3_u32 v3, v2, v3, 0x487ffff
	v_lshrrev_b32_e32 v3, 20, v3
	s_and_not1_saveexec_b32 s25, s1
	s_cbranch_execnz .LBB295_2785
.LBB295_1454:
	s_or_b32 exec_lo, exec_lo, s25
	v_mov_b32_e32 v4, 0
	s_and_saveexec_b32 s1, s24
.LBB295_1455:
	v_lshrrev_b32_e32 v2, 24, v2
	s_delay_alu instid0(VALU_DEP_1)
	v_and_or_b32 v4, 0x80, v2, v3
.LBB295_1456:
	s_or_b32 exec_lo, exec_lo, s1
.LBB295_1457:
	s_delay_alu instid0(SALU_CYCLE_1)
	s_or_b32 exec_lo, exec_lo, s23
.LBB295_1458:
	s_delay_alu instid0(SALU_CYCLE_1)
	s_or_b32 exec_lo, exec_lo, s22
                                        ; implicit-def: $vgpr2_vgpr3
.LBB295_1459:
	s_and_not1_saveexec_b32 s21, s21
	s_cbranch_execz .LBB295_1467
; %bb.1460:
	flat_load_u16 v2, v[2:3]
	s_wait_loadcnt_dscnt 0x101
	v_mov_b32_e32 v4, 0x80
	s_mov_b32 s22, exec_lo
	s_wait_loadcnt_dscnt 0x0
	v_cvt_f32_f16_e32 v2, v2
	s_delay_alu instid0(VALU_DEP_1) | instskip(NEXT) | instid1(VALU_DEP_1)
	v_and_b32_e32 v3, 0x7fffffff, v2
	v_cmpx_gt_u32_e32 0x43800000, v3
	s_cbranch_execz .LBB295_1466
; %bb.1461:
	v_cmp_lt_u32_e64 s1, 0x3bffffff, v3
	s_mov_b32 s23, 0
                                        ; implicit-def: $vgpr3
	s_and_saveexec_b32 s24, s1
	s_delay_alu instid0(SALU_CYCLE_1)
	s_xor_b32 s1, exec_lo, s24
	s_cbranch_execz .LBB295_2707
; %bb.1462:
	v_bfe_u32 v3, v2, 20, 1
	s_mov_b32 s23, exec_lo
	s_delay_alu instid0(VALU_DEP_1) | instskip(NEXT) | instid1(VALU_DEP_1)
	v_add3_u32 v3, v2, v3, 0x487ffff
	v_lshrrev_b32_e32 v3, 20, v3
	s_and_not1_saveexec_b32 s24, s1
	s_cbranch_execnz .LBB295_2708
.LBB295_1463:
	s_or_b32 exec_lo, exec_lo, s24
	v_mov_b32_e32 v4, 0
	s_and_saveexec_b32 s1, s23
.LBB295_1464:
	v_lshrrev_b32_e32 v2, 24, v2
	s_delay_alu instid0(VALU_DEP_1)
	v_and_or_b32 v4, 0x80, v2, v3
.LBB295_1465:
	s_or_b32 exec_lo, exec_lo, s1
.LBB295_1466:
	s_delay_alu instid0(SALU_CYCLE_1)
	s_or_b32 exec_lo, exec_lo, s22
.LBB295_1467:
	s_delay_alu instid0(SALU_CYCLE_1)
	s_or_b32 exec_lo, exec_lo, s21
.LBB295_1468:
	s_delay_alu instid0(SALU_CYCLE_1)
	s_or_b32 exec_lo, exec_lo, s20
                                        ; implicit-def: $vgpr15
                                        ; implicit-def: $vgpr2_vgpr3
.LBB295_1469:
	s_and_not1_saveexec_b32 s18, s18
	s_cbranch_execz .LBB295_1517
; %bb.1470:
	s_mov_b32 s20, exec_lo
                                        ; implicit-def: $vgpr4
	v_cmpx_lt_i16_e32 1, v15
	s_xor_b32 s20, exec_lo, s20
	s_cbranch_execz .LBB295_1498
; %bb.1471:
	s_mov_b32 s21, exec_lo
                                        ; implicit-def: $vgpr4
	v_cmpx_lt_i16_e32 2, v15
	s_xor_b32 s21, exec_lo, s21
	;; [unrolled: 6-line block ×3, first 2 shown]
	s_cbranch_execz .LBB295_1480
; %bb.1473:
	flat_load_b64 v[2:3], v[2:3]
	s_mov_b32 s23, exec_lo
	s_wait_loadcnt_dscnt 0x0
	v_xor_b32_e32 v4, v2, v3
	v_cls_i32_e32 v5, v3
	s_delay_alu instid0(VALU_DEP_2) | instskip(NEXT) | instid1(VALU_DEP_1)
	v_ashrrev_i32_e32 v4, 31, v4
	v_add_nc_u32_e32 v4, 32, v4
	s_delay_alu instid0(VALU_DEP_1) | instskip(SKIP_1) | instid1(VALU_DEP_1)
	v_add_min_u32_e64 v4, v5, -1, v4
	s_wait_xcnt 0x0
	v_lshlrev_b64_e32 v[2:3], v4, v[2:3]
	s_delay_alu instid0(VALU_DEP_1) | instskip(NEXT) | instid1(VALU_DEP_1)
	v_min_u32_e32 v2, 1, v2
	v_dual_sub_nc_u32 v3, 32, v4 :: v_dual_bitop2_b32 v2, v3, v2 bitop3:0x54
	v_mov_b32_e32 v4, 0x80
	s_delay_alu instid0(VALU_DEP_2) | instskip(NEXT) | instid1(VALU_DEP_1)
	v_cvt_f32_i32_e32 v2, v2
	v_ldexp_f32 v2, v2, v3
	s_delay_alu instid0(VALU_DEP_1) | instskip(NEXT) | instid1(VALU_DEP_1)
	v_and_b32_e32 v3, 0x7fffffff, v2
	v_cmpx_gt_u32_e32 0x43800000, v3
	s_cbranch_execz .LBB295_1479
; %bb.1474:
	v_cmp_lt_u32_e64 s1, 0x3bffffff, v3
	s_mov_b32 s24, 0
                                        ; implicit-def: $vgpr3
	s_and_saveexec_b32 s25, s1
	s_delay_alu instid0(SALU_CYCLE_1)
	s_xor_b32 s1, exec_lo, s25
	s_cbranch_execz .LBB295_2786
; %bb.1475:
	v_bfe_u32 v3, v2, 20, 1
	s_mov_b32 s24, exec_lo
	s_delay_alu instid0(VALU_DEP_1) | instskip(NEXT) | instid1(VALU_DEP_1)
	v_add3_u32 v3, v2, v3, 0x487ffff
	v_lshrrev_b32_e32 v3, 20, v3
	s_and_not1_saveexec_b32 s25, s1
	s_cbranch_execnz .LBB295_2787
.LBB295_1476:
	s_or_b32 exec_lo, exec_lo, s25
	v_mov_b32_e32 v4, 0
	s_and_saveexec_b32 s1, s24
.LBB295_1477:
	v_lshrrev_b32_e32 v2, 24, v2
	s_delay_alu instid0(VALU_DEP_1)
	v_and_or_b32 v4, 0x80, v2, v3
.LBB295_1478:
	s_or_b32 exec_lo, exec_lo, s1
.LBB295_1479:
	s_delay_alu instid0(SALU_CYCLE_1)
	s_or_b32 exec_lo, exec_lo, s23
                                        ; implicit-def: $vgpr2_vgpr3
.LBB295_1480:
	s_and_not1_saveexec_b32 s22, s22
	s_cbranch_execz .LBB295_1488
; %bb.1481:
	flat_load_b32 v2, v[2:3]
	s_wait_loadcnt_dscnt 0x101
	v_mov_b32_e32 v4, 0x80
	s_mov_b32 s23, exec_lo
	s_wait_loadcnt_dscnt 0x0
	v_cvt_f32_i32_e32 v2, v2
	s_delay_alu instid0(VALU_DEP_1) | instskip(NEXT) | instid1(VALU_DEP_1)
	v_and_b32_e32 v3, 0x7fffffff, v2
	v_cmpx_gt_u32_e32 0x43800000, v3
	s_cbranch_execz .LBB295_1487
; %bb.1482:
	v_cmp_lt_u32_e64 s1, 0x3bffffff, v3
	s_mov_b32 s24, 0
                                        ; implicit-def: $vgpr3
	s_and_saveexec_b32 s25, s1
	s_delay_alu instid0(SALU_CYCLE_1)
	s_xor_b32 s1, exec_lo, s25
	s_cbranch_execz .LBB295_2788
; %bb.1483:
	v_bfe_u32 v3, v2, 20, 1
	s_mov_b32 s24, exec_lo
	s_delay_alu instid0(VALU_DEP_1) | instskip(NEXT) | instid1(VALU_DEP_1)
	v_add3_u32 v3, v2, v3, 0x487ffff
	v_lshrrev_b32_e32 v3, 20, v3
	s_and_not1_saveexec_b32 s25, s1
	s_cbranch_execnz .LBB295_2789
.LBB295_1484:
	s_or_b32 exec_lo, exec_lo, s25
	v_mov_b32_e32 v4, 0
	s_and_saveexec_b32 s1, s24
.LBB295_1485:
	v_lshrrev_b32_e32 v2, 24, v2
	s_delay_alu instid0(VALU_DEP_1)
	v_and_or_b32 v4, 0x80, v2, v3
.LBB295_1486:
	s_or_b32 exec_lo, exec_lo, s1
.LBB295_1487:
	s_delay_alu instid0(SALU_CYCLE_1)
	s_or_b32 exec_lo, exec_lo, s23
.LBB295_1488:
	s_delay_alu instid0(SALU_CYCLE_1)
	s_or_b32 exec_lo, exec_lo, s22
                                        ; implicit-def: $vgpr2_vgpr3
.LBB295_1489:
	s_and_not1_saveexec_b32 s21, s21
	s_cbranch_execz .LBB295_1497
; %bb.1490:
	flat_load_i16 v2, v[2:3]
	s_wait_loadcnt_dscnt 0x101
	v_mov_b32_e32 v4, 0x80
	s_mov_b32 s22, exec_lo
	s_wait_loadcnt_dscnt 0x0
	v_cvt_f32_i32_e32 v2, v2
	s_delay_alu instid0(VALU_DEP_1) | instskip(NEXT) | instid1(VALU_DEP_1)
	v_and_b32_e32 v3, 0x7fffffff, v2
	v_cmpx_gt_u32_e32 0x43800000, v3
	s_cbranch_execz .LBB295_1496
; %bb.1491:
	v_cmp_lt_u32_e64 s1, 0x3bffffff, v3
	s_mov_b32 s23, 0
                                        ; implicit-def: $vgpr3
	s_and_saveexec_b32 s24, s1
	s_delay_alu instid0(SALU_CYCLE_1)
	s_xor_b32 s1, exec_lo, s24
	s_cbranch_execz .LBB295_2709
; %bb.1492:
	v_bfe_u32 v3, v2, 20, 1
	s_mov_b32 s23, exec_lo
	s_delay_alu instid0(VALU_DEP_1) | instskip(NEXT) | instid1(VALU_DEP_1)
	v_add3_u32 v3, v2, v3, 0x487ffff
	v_lshrrev_b32_e32 v3, 20, v3
	s_and_not1_saveexec_b32 s24, s1
	s_cbranch_execnz .LBB295_2710
.LBB295_1493:
	s_or_b32 exec_lo, exec_lo, s24
	v_mov_b32_e32 v4, 0
	s_and_saveexec_b32 s1, s23
.LBB295_1494:
	v_lshrrev_b32_e32 v2, 24, v2
	s_delay_alu instid0(VALU_DEP_1)
	v_and_or_b32 v4, 0x80, v2, v3
.LBB295_1495:
	s_or_b32 exec_lo, exec_lo, s1
.LBB295_1496:
	s_delay_alu instid0(SALU_CYCLE_1)
	s_or_b32 exec_lo, exec_lo, s22
.LBB295_1497:
	s_delay_alu instid0(SALU_CYCLE_1)
	s_or_b32 exec_lo, exec_lo, s21
                                        ; implicit-def: $vgpr15
                                        ; implicit-def: $vgpr2_vgpr3
.LBB295_1498:
	s_and_not1_saveexec_b32 s20, s20
	s_cbranch_execz .LBB295_1516
; %bb.1499:
	s_mov_b32 s21, exec_lo
                                        ; implicit-def: $vgpr4
	v_cmpx_lt_i16_e32 0, v15
	s_xor_b32 s21, exec_lo, s21
	s_cbranch_execz .LBB295_1507
; %bb.1500:
	flat_load_i8 v2, v[2:3]
	s_wait_loadcnt_dscnt 0x101
	v_mov_b32_e32 v4, 0x80
	s_mov_b32 s22, exec_lo
	s_wait_loadcnt_dscnt 0x0
	v_cvt_f32_i32_e32 v2, v2
	s_delay_alu instid0(VALU_DEP_1) | instskip(NEXT) | instid1(VALU_DEP_1)
	v_and_b32_e32 v3, 0x7fffffff, v2
	v_cmpx_gt_u32_e32 0x43800000, v3
	s_cbranch_execz .LBB295_1506
; %bb.1501:
	v_cmp_lt_u32_e64 s1, 0x3bffffff, v3
	s_mov_b32 s23, 0
                                        ; implicit-def: $vgpr3
	s_and_saveexec_b32 s24, s1
	s_delay_alu instid0(SALU_CYCLE_1)
	s_xor_b32 s1, exec_lo, s24
	s_cbranch_execz .LBB295_2711
; %bb.1502:
	v_bfe_u32 v3, v2, 20, 1
	s_mov_b32 s23, exec_lo
	s_delay_alu instid0(VALU_DEP_1) | instskip(NEXT) | instid1(VALU_DEP_1)
	v_add3_u32 v3, v2, v3, 0x487ffff
	v_lshrrev_b32_e32 v3, 20, v3
	s_and_not1_saveexec_b32 s24, s1
	s_cbranch_execnz .LBB295_2712
.LBB295_1503:
	s_or_b32 exec_lo, exec_lo, s24
	v_mov_b32_e32 v4, 0
	s_and_saveexec_b32 s1, s23
.LBB295_1504:
	v_lshrrev_b32_e32 v2, 24, v2
	s_delay_alu instid0(VALU_DEP_1)
	v_and_or_b32 v4, 0x80, v2, v3
.LBB295_1505:
	s_or_b32 exec_lo, exec_lo, s1
.LBB295_1506:
	s_delay_alu instid0(SALU_CYCLE_1)
	s_or_b32 exec_lo, exec_lo, s22
                                        ; implicit-def: $vgpr2_vgpr3
.LBB295_1507:
	s_and_not1_saveexec_b32 s21, s21
	s_cbranch_execz .LBB295_1515
; %bb.1508:
	flat_load_u8 v2, v[2:3]
	s_wait_loadcnt_dscnt 0x101
	v_mov_b32_e32 v4, 0x80
	s_mov_b32 s22, exec_lo
	s_wait_loadcnt_dscnt 0x0
	v_cvt_f32_ubyte0_e32 v3, v2
	s_delay_alu instid0(VALU_DEP_1)
	v_cmpx_gt_u32_e32 0x43800000, v3
	s_cbranch_execz .LBB295_1514
; %bb.1509:
	v_cmp_lt_u32_e64 s1, 0x3bffffff, v3
	s_mov_b32 s23, 0
                                        ; implicit-def: $vgpr2
	s_and_saveexec_b32 s24, s1
	s_delay_alu instid0(SALU_CYCLE_1)
	s_xor_b32 s1, exec_lo, s24
	s_cbranch_execz .LBB295_2713
; %bb.1510:
	v_bfe_u32 v2, v3, 20, 1
	s_mov_b32 s23, exec_lo
	s_delay_alu instid0(VALU_DEP_1) | instskip(NEXT) | instid1(VALU_DEP_1)
	v_add3_u32 v2, v3, v2, 0x487ffff
                                        ; implicit-def: $vgpr3
	v_lshrrev_b32_e32 v2, 20, v2
	s_and_not1_saveexec_b32 s24, s1
	s_cbranch_execnz .LBB295_2714
.LBB295_1511:
	s_or_b32 exec_lo, exec_lo, s24
	v_mov_b32_e32 v4, 0
	s_and_saveexec_b32 s1, s23
.LBB295_1512:
	v_mov_b32_e32 v4, v2
.LBB295_1513:
	s_or_b32 exec_lo, exec_lo, s1
.LBB295_1514:
	s_delay_alu instid0(SALU_CYCLE_1)
	s_or_b32 exec_lo, exec_lo, s22
.LBB295_1515:
	s_delay_alu instid0(SALU_CYCLE_1)
	s_or_b32 exec_lo, exec_lo, s21
.LBB295_1516:
	s_delay_alu instid0(SALU_CYCLE_1)
	s_or_b32 exec_lo, exec_lo, s20
.LBB295_1517:
	s_delay_alu instid0(SALU_CYCLE_1) | instskip(NEXT) | instid1(SALU_CYCLE_1)
	s_or_b32 exec_lo, exec_lo, s18
	s_or_b32 s19, s19, exec_lo
.LBB295_1518:
	s_or_b32 exec_lo, exec_lo, s17
	s_mov_b32 s1, 0
	s_mov_b32 s20, 0
                                        ; implicit-def: $sgpr18
                                        ; implicit-def: $vgpr12_vgpr13
                                        ; implicit-def: $vgpr7
	s_and_saveexec_b32 s17, s19
	s_cbranch_execz .LBB295_1842
; %bb.1519:
                                        ; implicit-def: $sgpr18
	s_and_saveexec_b32 s1, s0
	s_delay_alu instid0(SALU_CYCLE_1)
	s_xor_b32 s1, exec_lo, s1
	s_cbranch_execz .LBB295_1533
; %bb.1520:
	s_wait_loadcnt_dscnt 0x0
	v_and_b32_e32 v3, 0xff, v8
	s_mov_b32 s18, 0
	s_mov_b32 s19, exec_lo
	s_delay_alu instid0(VALU_DEP_1)
	v_cmpx_lt_i16_e32 0x7f, v3
	s_xor_b32 s19, exec_lo, s19
	s_cbranch_execz .LBB295_2440
; %bb.1521:
	s_mov_b32 s18, -1
	s_mov_b32 s20, exec_lo
	v_cmpx_eq_u16_e32 0x80, v3
; %bb.1522:
	s_xor_b32 s18, exec_lo, -1
; %bb.1523:
	s_or_b32 exec_lo, exec_lo, s20
	s_delay_alu instid0(SALU_CYCLE_1)
	s_and_b32 s18, s18, exec_lo
                                        ; implicit-def: $vgpr3
	s_or_saveexec_b32 s19, s19
	v_mov_b32_e32 v2, 0x7f800001
	s_xor_b32 exec_lo, exec_lo, s19
	s_cbranch_execnz .LBB295_2441
.LBB295_1524:
	s_or_b32 exec_lo, exec_lo, s19
	s_and_saveexec_b32 s19, s18
	s_cbranch_execz .LBB295_1526
.LBB295_1525:
	v_and_b32_e32 v2, 7, v8
	v_lshrrev_b16 v5, 3, v8
	v_lshlrev_b32_e32 v7, 24, v8
	s_delay_alu instid0(VALU_DEP_3) | instskip(NEXT) | instid1(VALU_DEP_1)
	v_clz_i32_u32_e32 v3, v2
	v_min_u32_e32 v3, 32, v3
	s_delay_alu instid0(VALU_DEP_4) | instskip(NEXT) | instid1(VALU_DEP_2)
	v_and_b32_e32 v5, 15, v5
	v_subrev_nc_u32_e32 v6, 28, v3
	v_sub_nc_u32_e32 v3, 29, v3
	s_delay_alu instid0(VALU_DEP_3) | instskip(NEXT) | instid1(VALU_DEP_3)
	v_cmp_eq_u32_e64 s0, 0, v5
	v_lshlrev_b32_e32 v6, v6, v8
	s_delay_alu instid0(VALU_DEP_1) | instskip(SKIP_1) | instid1(VALU_DEP_2)
	v_dual_cndmask_b32 v3, v5, v3, s0 :: v_dual_bitop2_b32 v6, 7, v6 bitop3:0x40
	v_and_b32_e32 v5, 0x80000000, v7
	v_cndmask_b32_e64 v2, v2, v6, s0
	s_delay_alu instid0(VALU_DEP_3) | instskip(NEXT) | instid1(VALU_DEP_2)
	v_lshl_add_u32 v3, v3, 23, 0x3b800000
	v_lshlrev_b32_e32 v2, 20, v2
	s_delay_alu instid0(VALU_DEP_1)
	v_or3_b32 v2, v5, v3, v2
.LBB295_1526:
	s_or_b32 exec_lo, exec_lo, s19
	v_and_b32_e32 v5, 0xff, v4
	s_mov_b32 s18, 0
	s_mov_b32 s19, exec_lo
	s_delay_alu instid0(VALU_DEP_1)
	v_cmpx_lt_i16_e32 0x7f, v5
	s_xor_b32 s19, exec_lo, s19
	s_cbranch_execz .LBB295_2442
; %bb.1527:
	s_mov_b32 s18, -1
	s_mov_b32 s20, exec_lo
	v_cmpx_eq_u16_e32 0x80, v5
; %bb.1528:
	s_xor_b32 s18, exec_lo, -1
; %bb.1529:
	s_or_b32 exec_lo, exec_lo, s20
	s_delay_alu instid0(SALU_CYCLE_1)
	s_and_b32 s18, s18, exec_lo
                                        ; implicit-def: $vgpr5
	s_or_saveexec_b32 s19, s19
	v_mov_b32_e32 v3, 0x7f800001
	s_xor_b32 exec_lo, exec_lo, s19
	s_cbranch_execnz .LBB295_2443
.LBB295_1530:
	s_or_b32 exec_lo, exec_lo, s19
	s_and_saveexec_b32 s19, s18
	s_cbranch_execz .LBB295_1532
.LBB295_1531:
	v_and_b32_e32 v3, 7, v4
	v_lshrrev_b16 v6, 3, v4
	s_delay_alu instid0(VALU_DEP_2) | instskip(NEXT) | instid1(VALU_DEP_1)
	v_clz_i32_u32_e32 v5, v3
	v_min_u32_e32 v5, 32, v5
	s_delay_alu instid0(VALU_DEP_3) | instskip(NEXT) | instid1(VALU_DEP_2)
	v_and_b32_e32 v6, 15, v6
	v_subrev_nc_u32_e32 v7, 28, v5
	v_sub_nc_u32_e32 v5, 29, v5
	s_delay_alu instid0(VALU_DEP_3) | instskip(NEXT) | instid1(VALU_DEP_3)
	v_cmp_eq_u32_e64 s0, 0, v6
	v_dual_lshlrev_b32 v7, v7, v4 :: v_dual_lshlrev_b32 v4, 24, v4
	s_delay_alu instid0(VALU_DEP_1) | instskip(NEXT) | instid1(VALU_DEP_2)
	v_dual_cndmask_b32 v5, v6, v5, s0 :: v_dual_bitop2_b32 v7, 7, v7 bitop3:0x40
	v_and_b32_e32 v4, 0x80000000, v4
	s_delay_alu instid0(VALU_DEP_2) | instskip(NEXT) | instid1(VALU_DEP_3)
	v_cndmask_b32_e64 v3, v3, v7, s0
	v_lshl_add_u32 v5, v5, 23, 0x3b800000
	s_delay_alu instid0(VALU_DEP_2) | instskip(NEXT) | instid1(VALU_DEP_1)
	v_lshlrev_b32_e32 v3, 20, v3
	v_or3_b32 v3, v4, v5, v3
.LBB295_1532:
	s_or_b32 exec_lo, exec_lo, s19
	s_delay_alu instid0(VALU_DEP_1)
	v_cmp_neq_f32_e64 s18, v2, v3
                                        ; implicit-def: $vgpr4
                                        ; implicit-def: $vgpr8
.LBB295_1533:
	s_and_not1_saveexec_b32 s1, s1
	s_cbranch_execz .LBB295_1547
; %bb.1534:
	s_wait_loadcnt_dscnt 0x0
	v_and_b32_e32 v3, 0xff, v8
	s_mov_b32 s19, 0
	s_mov_b32 s20, exec_lo
	s_delay_alu instid0(VALU_DEP_1)
	v_cmpx_lt_i16_e32 0x7f, v3
	s_xor_b32 s20, exec_lo, s20
	s_cbranch_execz .LBB295_2444
; %bb.1535:
	s_mov_b32 s19, -1
	s_mov_b32 s21, exec_lo
	v_cmpx_eq_u16_e32 0x80, v3
; %bb.1536:
	s_xor_b32 s19, exec_lo, -1
; %bb.1537:
	s_or_b32 exec_lo, exec_lo, s21
	s_delay_alu instid0(SALU_CYCLE_1)
	s_and_b32 s19, s19, exec_lo
                                        ; implicit-def: $vgpr3
	s_or_saveexec_b32 s20, s20
	v_mov_b32_e32 v2, 0x7f800001
	s_xor_b32 exec_lo, exec_lo, s20
	s_cbranch_execnz .LBB295_2445
.LBB295_1538:
	s_or_b32 exec_lo, exec_lo, s20
	s_and_saveexec_b32 s20, s19
	s_cbranch_execz .LBB295_1540
.LBB295_1539:
	v_and_b32_e32 v2, 7, v8
	v_lshrrev_b16 v5, 3, v8
	v_lshlrev_b32_e32 v7, 24, v8
	s_delay_alu instid0(VALU_DEP_3) | instskip(NEXT) | instid1(VALU_DEP_1)
	v_clz_i32_u32_e32 v3, v2
	v_min_u32_e32 v3, 32, v3
	s_delay_alu instid0(VALU_DEP_4) | instskip(NEXT) | instid1(VALU_DEP_2)
	v_and_b32_e32 v5, 15, v5
	v_subrev_nc_u32_e32 v6, 28, v3
	v_sub_nc_u32_e32 v3, 29, v3
	s_delay_alu instid0(VALU_DEP_3) | instskip(NEXT) | instid1(VALU_DEP_3)
	v_cmp_eq_u32_e64 s0, 0, v5
	v_lshlrev_b32_e32 v6, v6, v8
	s_delay_alu instid0(VALU_DEP_1) | instskip(SKIP_1) | instid1(VALU_DEP_2)
	v_dual_cndmask_b32 v3, v5, v3, s0 :: v_dual_bitop2_b32 v6, 7, v6 bitop3:0x40
	v_and_b32_e32 v5, 0x80000000, v7
	v_cndmask_b32_e64 v2, v2, v6, s0
	s_delay_alu instid0(VALU_DEP_3) | instskip(NEXT) | instid1(VALU_DEP_2)
	v_lshl_add_u32 v3, v3, 23, 0x3b800000
	v_lshlrev_b32_e32 v2, 20, v2
	s_delay_alu instid0(VALU_DEP_1)
	v_or3_b32 v2, v5, v3, v2
.LBB295_1540:
	s_or_b32 exec_lo, exec_lo, s20
	v_and_b32_e32 v5, 0xff, v4
	s_mov_b32 s19, 0
	s_mov_b32 s20, exec_lo
	s_delay_alu instid0(VALU_DEP_1)
	v_cmpx_lt_i16_e32 0x7f, v5
	s_xor_b32 s20, exec_lo, s20
	s_cbranch_execz .LBB295_2446
; %bb.1541:
	s_mov_b32 s19, -1
	s_mov_b32 s21, exec_lo
	v_cmpx_eq_u16_e32 0x80, v5
; %bb.1542:
	s_xor_b32 s19, exec_lo, -1
; %bb.1543:
	s_or_b32 exec_lo, exec_lo, s21
	s_delay_alu instid0(SALU_CYCLE_1)
	s_and_b32 s19, s19, exec_lo
                                        ; implicit-def: $vgpr5
	s_or_saveexec_b32 s20, s20
	v_mov_b32_e32 v3, 0x7f800001
	s_xor_b32 exec_lo, exec_lo, s20
	s_cbranch_execnz .LBB295_2447
.LBB295_1544:
	s_or_b32 exec_lo, exec_lo, s20
	s_and_saveexec_b32 s20, s19
	s_cbranch_execz .LBB295_1546
.LBB295_1545:
	v_and_b32_e32 v3, 7, v4
	v_lshrrev_b16 v6, 3, v4
	s_delay_alu instid0(VALU_DEP_2) | instskip(NEXT) | instid1(VALU_DEP_1)
	v_clz_i32_u32_e32 v5, v3
	v_min_u32_e32 v5, 32, v5
	s_delay_alu instid0(VALU_DEP_3) | instskip(NEXT) | instid1(VALU_DEP_2)
	v_and_b32_e32 v6, 15, v6
	v_subrev_nc_u32_e32 v7, 28, v5
	v_sub_nc_u32_e32 v5, 29, v5
	s_delay_alu instid0(VALU_DEP_3) | instskip(NEXT) | instid1(VALU_DEP_3)
	v_cmp_eq_u32_e64 s0, 0, v6
	v_dual_lshlrev_b32 v7, v7, v4 :: v_dual_lshlrev_b32 v4, 24, v4
	s_delay_alu instid0(VALU_DEP_1) | instskip(NEXT) | instid1(VALU_DEP_2)
	v_dual_cndmask_b32 v5, v6, v5, s0 :: v_dual_bitop2_b32 v7, 7, v7 bitop3:0x40
	v_and_b32_e32 v4, 0x80000000, v4
	s_delay_alu instid0(VALU_DEP_2) | instskip(NEXT) | instid1(VALU_DEP_3)
	v_cndmask_b32_e64 v3, v3, v7, s0
	v_lshl_add_u32 v5, v5, 23, 0x3b800000
	s_delay_alu instid0(VALU_DEP_2) | instskip(NEXT) | instid1(VALU_DEP_1)
	v_lshlrev_b32_e32 v3, 20, v3
	v_or3_b32 v3, v4, v5, v3
.LBB295_1546:
	s_or_b32 exec_lo, exec_lo, s20
	s_delay_alu instid0(VALU_DEP_1) | instskip(SKIP_2) | instid1(SALU_CYCLE_1)
	v_cmp_eq_f32_e64 s0, v2, v3
	s_and_not1_b32 s18, s18, exec_lo
	s_and_b32 s0, s0, exec_lo
	s_or_b32 s18, s18, s0
.LBB295_1547:
	s_or_b32 exec_lo, exec_lo, s1
	scratch_load_u8 v7, off, off offset:40
	v_mul_lo_u32 v2, v14, v16
	s_mov_b32 s20, 0
	s_mov_b32 s1, s14
	s_mov_b32 s19, exec_lo
	s_delay_alu instid0(VALU_DEP_1) | instskip(SKIP_1) | instid1(VALU_DEP_1)
	v_ashrrev_i32_e32 v3, 31, v2
	s_wait_loadcnt_dscnt 0x100
	v_add_nc_u64_e32 v[4:5], v[0:1], v[2:3]
	s_wait_loadcnt 0x0
	v_cmpx_lt_i16_e32 10, v7
	s_xor_b32 s19, exec_lo, s19
	s_cbranch_execz .LBB295_1588
; %bb.1548:
	s_mov_b32 s21, 0
	s_mov_b32 s1, 0
	s_mov_b32 s22, exec_lo
	v_cmpx_lt_i16_e32 25, v7
	s_xor_b32 s22, exec_lo, s22
	s_cbranch_execz .LBB295_2448
; %bb.1549:
	s_mov_b32 s23, 0
	s_mov_b32 s20, exec_lo
	v_cmpx_lt_i16_e32 28, v7
	s_xor_b32 s20, exec_lo, s20
	s_cbranch_execz .LBB295_1567
; %bb.1550:
	;; [unrolled: 6-line block ×4, first 2 shown]
	s_mov_b32 s26, -1
	s_mov_b32 s25, exec_lo
	v_cmpx_eq_u16_e32 46, v7
	s_cbranch_execz .LBB295_1554
; %bb.1553:
	v_cndmask_b32_e64 v3, 0, 1.0, vcc_lo
	s_mov_b32 s24, exec_lo
	s_xor_b32 s26, exec_lo, -1
	s_delay_alu instid0(VALU_DEP_1) | instskip(NEXT) | instid1(VALU_DEP_1)
	v_bfe_u32 v6, v3, 16, 1
	v_add3_u32 v3, v3, v6, 0x7fff
	s_delay_alu instid0(VALU_DEP_1)
	v_lshrrev_b32_e32 v3, 16, v3
	flat_store_b32 v[4:5], v3
.LBB295_1554:
	s_wait_xcnt 0x0
	s_or_b32 exec_lo, exec_lo, s25
	s_delay_alu instid0(SALU_CYCLE_1)
	s_and_b32 s25, s24, exec_lo
	s_and_b32 s24, s26, exec_lo
.LBB295_1555:
	s_and_not1_saveexec_b32 s26, s1
	s_cbranch_execz .LBB295_1561
; %bb.1556:
	s_mov_b32 s1, -1
	s_mov_b32 s28, s25
	s_mov_b32 s27, exec_lo
	v_cmpx_eq_u16_e32 44, v7
	s_cbranch_execz .LBB295_1560
; %bb.1557:
	v_cndmask_b32_e64 v8, 0, 1.0, vcc_lo
	s_mov_b32 s28, exec_lo
	s_delay_alu instid0(VALU_DEP_1) | instskip(NEXT) | instid1(VALU_DEP_1)
	v_dual_mov_b32 v6, 0xff :: v_dual_lshrrev_b32 v3, 23, v8
	v_cmpx_ne_u32_e32 0xff, v3
; %bb.1558:
	v_and_b32_e32 v6, 0x400000, v8
	v_and_or_b32 v8, 0x3fffff, v8, v3
	s_delay_alu instid0(VALU_DEP_2) | instskip(NEXT) | instid1(VALU_DEP_2)
	v_cmp_ne_u32_e64 s0, 0, v6
	v_cmp_ne_u32_e64 s1, 0, v8
	s_and_b32 s0, s0, s1
	s_delay_alu instid0(SALU_CYCLE_1) | instskip(NEXT) | instid1(VALU_DEP_1)
	v_cndmask_b32_e64 v6, 0, 1, s0
	v_add_nc_u32_e32 v6, v3, v6
; %bb.1559:
	s_or_b32 exec_lo, exec_lo, s28
	s_delay_alu instid0(SALU_CYCLE_1)
	s_or_b32 s28, s25, exec_lo
	s_xor_b32 s1, exec_lo, -1
	flat_store_b8 v[4:5], v6
.LBB295_1560:
	s_wait_xcnt 0x0
	s_or_b32 exec_lo, exec_lo, s27
	s_delay_alu instid0(SALU_CYCLE_1)
	s_and_not1_b32 s0, s25, exec_lo
	s_and_b32 s25, s28, exec_lo
	s_and_not1_b32 s24, s24, exec_lo
	s_and_b32 s1, s1, exec_lo
	s_or_b32 s25, s0, s25
	s_or_b32 s24, s24, s1
.LBB295_1561:
	s_or_b32 exec_lo, exec_lo, s26
	s_delay_alu instid0(SALU_CYCLE_1)
	s_and_b32 s25, s25, exec_lo
	s_and_b32 s1, s24, exec_lo
.LBB295_1562:
	s_and_not1_saveexec_b32 s23, s23
	s_cbranch_execz .LBB295_1566
; %bb.1563:
	s_mov_b32 s24, -1
	s_mov_b32 s27, s25
	s_mov_b32 s26, exec_lo
	v_cmpx_eq_u16_e32 29, v7
	s_cbranch_execz .LBB295_1565
; %bb.1564:
	s_mov_b32 s0, 0
	v_cndmask_b32_e64 v8, 0, 1, vcc_lo
	v_mov_b32_e32 v9, s0
	s_or_b32 s27, s25, exec_lo
	s_xor_b32 s24, exec_lo, -1
	flat_store_b64 v[4:5], v[8:9]
.LBB295_1565:
	s_wait_xcnt 0x0
	s_or_b32 exec_lo, exec_lo, s26
	s_delay_alu instid0(SALU_CYCLE_1)
	s_and_not1_b32 s0, s25, exec_lo
	s_and_b32 s25, s27, exec_lo
	s_and_not1_b32 s1, s1, exec_lo
	s_and_b32 s24, s24, exec_lo
	s_or_b32 s25, s0, s25
	s_or_b32 s1, s1, s24
.LBB295_1566:
	s_or_b32 exec_lo, exec_lo, s23
	s_delay_alu instid0(SALU_CYCLE_1)
	s_and_b32 s23, s25, exec_lo
	s_and_b32 s1, s1, exec_lo
.LBB295_1567:
	s_and_not1_saveexec_b32 s20, s20
	s_cbranch_execz .LBB295_1583
; %bb.1568:
	s_mov_b32 s24, exec_lo
	v_cmpx_lt_i16_e32 26, v7
	s_xor_b32 s24, exec_lo, s24
	s_cbranch_execz .LBB295_1574
; %bb.1569:
	v_cmp_lt_i16_e64 s0, 27, v7
	s_and_saveexec_b32 s25, s0
	s_delay_alu instid0(SALU_CYCLE_1)
	s_xor_b32 s0, exec_lo, s25
	s_cbranch_execz .LBB295_1571
; %bb.1570:
	v_cndmask_b32_e64 v3, 0, 1, vcc_lo
	flat_store_b32 v[4:5], v3
.LBB295_1571:
	s_wait_xcnt 0x0
	s_and_not1_saveexec_b32 s0, s0
	s_cbranch_execz .LBB295_1573
; %bb.1572:
	v_cndmask_b32_e64 v3, 0, 1, vcc_lo
	flat_store_b16 v[4:5], v3
.LBB295_1573:
	s_wait_xcnt 0x0
	s_or_b32 exec_lo, exec_lo, s0
.LBB295_1574:
	s_and_not1_saveexec_b32 s24, s24
	s_cbranch_execz .LBB295_1582
; %bb.1575:
	v_cndmask_b32_e64 v6, 0, 1.0, vcc_lo
	v_mov_b32_e32 v8, 0x80
	s_mov_b32 s25, exec_lo
	s_delay_alu instid0(VALU_DEP_2)
	v_cmpx_gt_u32_e32 0x43800000, v6
	s_cbranch_execz .LBB295_1581
; %bb.1576:
	v_cmp_lt_u32_e64 s0, 0x3bffffff, v6
	s_mov_b32 s26, 0
                                        ; implicit-def: $vgpr3
	s_and_saveexec_b32 s27, s0
	s_delay_alu instid0(SALU_CYCLE_1)
	s_xor_b32 s0, exec_lo, s27
	s_cbranch_execz .LBB295_2790
; %bb.1577:
	v_bfe_u32 v3, v6, 20, 1
	s_mov_b32 s26, exec_lo
	s_delay_alu instid0(VALU_DEP_1) | instskip(NEXT) | instid1(VALU_DEP_1)
	v_add3_u32 v3, v6, v3, 0x487ffff
                                        ; implicit-def: $vgpr6
	v_lshrrev_b32_e32 v3, 20, v3
	s_and_not1_saveexec_b32 s27, s0
	s_cbranch_execnz .LBB295_2791
.LBB295_1578:
	s_or_b32 exec_lo, exec_lo, s27
	v_mov_b32_e32 v8, 0
	s_and_saveexec_b32 s0, s26
.LBB295_1579:
	v_mov_b32_e32 v8, v3
.LBB295_1580:
	s_or_b32 exec_lo, exec_lo, s0
.LBB295_1581:
	s_delay_alu instid0(SALU_CYCLE_1)
	s_or_b32 exec_lo, exec_lo, s25
	flat_store_b8 v[4:5], v8
.LBB295_1582:
	s_wait_xcnt 0x0
	s_or_b32 exec_lo, exec_lo, s24
	s_delay_alu instid0(SALU_CYCLE_1)
	s_or_b32 s23, s23, exec_lo
.LBB295_1583:
	s_or_b32 exec_lo, exec_lo, s20
	s_delay_alu instid0(SALU_CYCLE_1)
	s_and_b32 s20, s23, exec_lo
	s_and_b32 s1, s1, exec_lo
	s_and_not1_saveexec_b32 s22, s22
	s_cbranch_execnz .LBB295_2449
.LBB295_1584:
	s_or_b32 exec_lo, exec_lo, s22
	s_mov_b32 s0, s14
	s_and_saveexec_b32 s22, s1
	s_cbranch_execnz .LBB295_2490
.LBB295_1585:
	s_or_b32 exec_lo, exec_lo, s22
	s_and_saveexec_b32 s1, s21
	s_delay_alu instid0(SALU_CYCLE_1)
	s_xor_b32 s1, exec_lo, s1
	s_cbranch_execz .LBB295_1587
.LBB295_1586:
	v_cndmask_b32_e64 v3, 0, 1, vcc_lo
	s_or_b32 s20, s20, exec_lo
	flat_store_b8 v[4:5], v3
.LBB295_1587:
	s_wait_xcnt 0x0
	s_or_b32 exec_lo, exec_lo, s1
	s_delay_alu instid0(SALU_CYCLE_1)
	s_and_not1_b32 s1, s14, exec_lo
	s_and_b32 s0, s0, exec_lo
	s_and_b32 s20, s20, exec_lo
	s_or_b32 s1, s1, s0
                                        ; implicit-def: $vgpr4_vgpr5
.LBB295_1588:
	s_and_not1_saveexec_b32 s19, s19
	s_cbranch_execz .LBB295_1630
; %bb.1589:
	s_mov_b32 s21, exec_lo
	v_cmpx_lt_i16_e32 4, v7
	s_xor_b32 s21, exec_lo, s21
	s_cbranch_execz .LBB295_1611
; %bb.1590:
	s_mov_b32 s22, exec_lo
	v_cmpx_lt_i16_e32 7, v7
	s_xor_b32 s22, exec_lo, s22
	;; [unrolled: 5-line block ×3, first 2 shown]
	s_cbranch_execz .LBB295_1597
; %bb.1592:
	v_cmp_lt_i16_e64 s0, 9, v7
	s_and_saveexec_b32 s24, s0
	s_delay_alu instid0(SALU_CYCLE_1)
	s_xor_b32 s0, exec_lo, s24
	s_cbranch_execz .LBB295_1594
; %bb.1593:
	v_cndmask_b32_e64 v3, 0, 1, vcc_lo
	v_mov_b32_e32 v10, 0
	s_delay_alu instid0(VALU_DEP_2) | instskip(NEXT) | instid1(VALU_DEP_2)
	v_cvt_f64_u32_e32 v[8:9], v3
	v_mov_b32_e32 v11, v10
	flat_store_b128 v[4:5], v[8:11]
                                        ; implicit-def: $vgpr4_vgpr5
.LBB295_1594:
	s_wait_xcnt 0x0
	s_and_not1_saveexec_b32 s0, s0
	s_cbranch_execz .LBB295_1596
; %bb.1595:
	v_cndmask_b32_e64 v8, 0, 1.0, vcc_lo
	v_mov_b32_e32 v9, 0
	flat_store_b64 v[4:5], v[8:9]
.LBB295_1596:
	s_wait_xcnt 0x0
	s_or_b32 exec_lo, exec_lo, s0
                                        ; implicit-def: $vgpr4_vgpr5
.LBB295_1597:
	s_and_not1_saveexec_b32 s0, s23
	s_cbranch_execz .LBB295_1599
; %bb.1598:
	v_cndmask_b32_e64 v3, 0, 1.0, vcc_lo
	s_delay_alu instid0(VALU_DEP_1) | instskip(NEXT) | instid1(VALU_DEP_1)
	v_cvt_f16_f32_e32 v3, v3
	v_and_b32_e32 v3, 0xffff, v3
	flat_store_b32 v[4:5], v3
.LBB295_1599:
	s_wait_xcnt 0x0
	s_or_b32 exec_lo, exec_lo, s0
                                        ; implicit-def: $vgpr4_vgpr5
.LBB295_1600:
	s_and_not1_saveexec_b32 s22, s22
	s_cbranch_execz .LBB295_1610
; %bb.1601:
	s_mov_b32 s23, exec_lo
	v_cmpx_lt_i16_e32 5, v7
	s_xor_b32 s23, exec_lo, s23
	s_cbranch_execz .LBB295_1607
; %bb.1602:
	v_cmp_lt_i16_e64 s0, 6, v7
	s_and_saveexec_b32 s24, s0
	s_delay_alu instid0(SALU_CYCLE_1)
	s_xor_b32 s0, exec_lo, s24
	s_cbranch_execz .LBB295_1604
; %bb.1603:
	v_cndmask_b32_e64 v3, 0, 1, vcc_lo
	s_delay_alu instid0(VALU_DEP_1)
	v_cvt_f64_u32_e32 v[8:9], v3
	flat_store_b64 v[4:5], v[8:9]
                                        ; implicit-def: $vgpr4_vgpr5
.LBB295_1604:
	s_wait_xcnt 0x0
	s_and_not1_saveexec_b32 s0, s0
	s_cbranch_execz .LBB295_1606
; %bb.1605:
	v_cndmask_b32_e64 v3, 0, 1.0, vcc_lo
	flat_store_b32 v[4:5], v3
.LBB295_1606:
	s_wait_xcnt 0x0
	s_or_b32 exec_lo, exec_lo, s0
                                        ; implicit-def: $vgpr4_vgpr5
.LBB295_1607:
	s_and_not1_saveexec_b32 s0, s23
	s_cbranch_execz .LBB295_1609
; %bb.1608:
	v_cndmask_b32_e64 v3, 0, 1.0, vcc_lo
	s_delay_alu instid0(VALU_DEP_1)
	v_cvt_f16_f32_e32 v3, v3
	flat_store_b16 v[4:5], v3
.LBB295_1609:
	s_wait_xcnt 0x0
	s_or_b32 exec_lo, exec_lo, s0
.LBB295_1610:
	s_delay_alu instid0(SALU_CYCLE_1)
	s_or_b32 exec_lo, exec_lo, s22
                                        ; implicit-def: $vgpr4_vgpr5
.LBB295_1611:
	s_and_not1_saveexec_b32 s21, s21
	s_cbranch_execz .LBB295_1629
; %bb.1612:
	s_mov_b32 s22, exec_lo
	v_cmpx_lt_i16_e32 1, v7
	s_xor_b32 s22, exec_lo, s22
	s_cbranch_execz .LBB295_1622
; %bb.1613:
	s_mov_b32 s23, exec_lo
	v_cmpx_lt_i16_e32 2, v7
	s_xor_b32 s23, exec_lo, s23
	s_cbranch_execz .LBB295_1619
; %bb.1614:
	v_cmp_lt_i16_e64 s0, 3, v7
	s_and_saveexec_b32 s24, s0
	s_delay_alu instid0(SALU_CYCLE_1)
	s_xor_b32 s0, exec_lo, s24
	s_cbranch_execz .LBB295_1616
; %bb.1615:
	s_mov_b32 s24, 0
	v_cndmask_b32_e64 v8, 0, 1, vcc_lo
	v_mov_b32_e32 v9, s24
	flat_store_b64 v[4:5], v[8:9]
                                        ; implicit-def: $vgpr4_vgpr5
.LBB295_1616:
	s_wait_xcnt 0x0
	s_and_not1_saveexec_b32 s0, s0
	s_cbranch_execz .LBB295_1618
; %bb.1617:
	v_cndmask_b32_e64 v3, 0, 1, vcc_lo
	flat_store_b32 v[4:5], v3
.LBB295_1618:
	s_wait_xcnt 0x0
	s_or_b32 exec_lo, exec_lo, s0
                                        ; implicit-def: $vgpr4_vgpr5
.LBB295_1619:
	s_and_not1_saveexec_b32 s0, s23
	s_cbranch_execz .LBB295_1621
; %bb.1620:
	v_cndmask_b32_e64 v3, 0, 1, vcc_lo
	flat_store_b16 v[4:5], v3
.LBB295_1621:
	s_wait_xcnt 0x0
	s_or_b32 exec_lo, exec_lo, s0
                                        ; implicit-def: $vgpr4_vgpr5
.LBB295_1622:
	s_and_not1_saveexec_b32 s22, s22
	s_cbranch_execz .LBB295_1628
; %bb.1623:
	v_cmp_lt_i16_e64 s0, 0, v7
	v_cndmask_b32_e64 v3, 0, 1, vcc_lo
	s_and_saveexec_b32 s23, s0
	s_delay_alu instid0(SALU_CYCLE_1)
	s_xor_b32 s0, exec_lo, s23
	s_cbranch_execz .LBB295_1625
; %bb.1624:
	flat_store_b8 v[4:5], v3
                                        ; implicit-def: $vgpr4_vgpr5
                                        ; implicit-def: $vgpr3
.LBB295_1625:
	s_wait_xcnt 0x0
	s_and_not1_saveexec_b32 s0, s0
	s_cbranch_execz .LBB295_1627
; %bb.1626:
	flat_store_b8 v[4:5], v3
.LBB295_1627:
	s_wait_xcnt 0x0
	s_or_b32 exec_lo, exec_lo, s0
.LBB295_1628:
	s_delay_alu instid0(SALU_CYCLE_1)
	s_or_b32 exec_lo, exec_lo, s22
.LBB295_1629:
	s_delay_alu instid0(SALU_CYCLE_1) | instskip(NEXT) | instid1(SALU_CYCLE_1)
	s_or_b32 exec_lo, exec_lo, s21
	s_or_b32 s20, s20, exec_lo
.LBB295_1630:
	s_or_b32 exec_lo, exec_lo, s19
	s_mov_b32 s0, 0
	s_mov_b32 s22, 0
                                        ; implicit-def: $vgpr12_vgpr13
	s_and_saveexec_b32 s19, s20
	s_cbranch_execz .LBB295_1841
; %bb.1631:
	v_lshlrev_b32_e32 v6, 7, v14
	s_mov_b32 s20, s1
	s_mov_b32 s21, exec_lo
	s_delay_alu instid0(VALU_DEP_1) | instskip(NEXT) | instid1(VALU_DEP_1)
	v_add_nc_u32_e32 v2, v2, v6
	v_ashrrev_i32_e32 v3, 31, v2
	s_delay_alu instid0(VALU_DEP_1)
	v_add_nc_u64_e32 v[4:5], v[0:1], v[2:3]
	v_cmpx_lt_i16_e32 10, v7
	s_xor_b32 s21, exec_lo, s21
	s_cbranch_execz .LBB295_1672
; %bb.1632:
	s_mov_b32 s20, 0
	s_mov_b32 s23, exec_lo
	v_cmpx_lt_i16_e32 25, v7
	s_xor_b32 s23, exec_lo, s23
	s_cbranch_execz .LBB295_2539
; %bb.1633:
	s_mov_b32 s24, 0
	s_mov_b32 s20, exec_lo
	;; [unrolled: 6-line block ×4, first 2 shown]
	v_cmpx_lt_i16_e32 45, v7
	s_xor_b32 s0, exec_lo, s0
	s_cbranch_execz .LBB295_1639
; %bb.1636:
	s_mov_b32 s27, -1
	s_mov_b32 s26, exec_lo
	v_cmpx_eq_u16_e32 46, v7
	s_cbranch_execz .LBB295_1638
; %bb.1637:
	v_cndmask_b32_e64 v3, 0, 1.0, s7
	s_mov_b32 s25, exec_lo
	s_xor_b32 s27, exec_lo, -1
	s_delay_alu instid0(VALU_DEP_1) | instskip(NEXT) | instid1(VALU_DEP_1)
	v_bfe_u32 v8, v3, 16, 1
	v_add3_u32 v3, v3, v8, 0x7fff
	s_delay_alu instid0(VALU_DEP_1)
	v_lshrrev_b32_e32 v3, 16, v3
	flat_store_b32 v[4:5], v3
.LBB295_1638:
	s_wait_xcnt 0x0
	s_or_b32 exec_lo, exec_lo, s26
	s_delay_alu instid0(SALU_CYCLE_1)
	s_and_b32 s26, s25, exec_lo
	s_and_b32 s25, s27, exec_lo
.LBB295_1639:
	s_and_not1_saveexec_b32 s27, s0
	s_cbranch_execz .LBB295_1645
; %bb.1640:
	s_mov_b32 s0, -1
	s_mov_b32 s29, s26
	s_mov_b32 s28, exec_lo
	v_cmpx_eq_u16_e32 44, v7
	s_cbranch_execz .LBB295_1644
; %bb.1641:
	v_cndmask_b32_e64 v9, 0, 1.0, s7
	s_mov_b32 s29, exec_lo
	s_delay_alu instid0(VALU_DEP_1) | instskip(NEXT) | instid1(VALU_DEP_1)
	v_dual_mov_b32 v8, 0xff :: v_dual_lshrrev_b32 v3, 23, v9
	v_cmpx_ne_u32_e32 0xff, v3
; %bb.1642:
	v_and_b32_e32 v8, 0x400000, v9
	v_and_or_b32 v9, 0x3fffff, v9, v3
	s_delay_alu instid0(VALU_DEP_2) | instskip(NEXT) | instid1(VALU_DEP_2)
	v_cmp_ne_u32_e32 vcc_lo, 0, v8
	v_cmp_ne_u32_e64 s0, 0, v9
	s_and_b32 s0, vcc_lo, s0
	s_delay_alu instid0(SALU_CYCLE_1) | instskip(NEXT) | instid1(VALU_DEP_1)
	v_cndmask_b32_e64 v8, 0, 1, s0
	v_add_nc_u32_e32 v8, v3, v8
; %bb.1643:
	s_or_b32 exec_lo, exec_lo, s29
	s_delay_alu instid0(SALU_CYCLE_1)
	s_or_b32 s29, s26, exec_lo
	s_xor_b32 s0, exec_lo, -1
	flat_store_b8 v[4:5], v8
.LBB295_1644:
	s_wait_xcnt 0x0
	s_or_b32 exec_lo, exec_lo, s28
	s_delay_alu instid0(SALU_CYCLE_1)
	s_and_not1_b32 s26, s26, exec_lo
	s_and_b32 s28, s29, exec_lo
	s_and_not1_b32 s25, s25, exec_lo
	s_and_b32 s0, s0, exec_lo
	s_or_b32 s26, s26, s28
	s_or_b32 s25, s25, s0
.LBB295_1645:
	s_or_b32 exec_lo, exec_lo, s27
	s_delay_alu instid0(SALU_CYCLE_1)
	s_and_b32 s0, s26, exec_lo
	s_and_b32 s25, s25, exec_lo
.LBB295_1646:
	s_and_not1_saveexec_b32 s24, s24
	s_cbranch_execz .LBB295_1650
; %bb.1647:
	s_mov_b32 s26, -1
	s_mov_b32 s28, s0
	s_mov_b32 s27, exec_lo
	v_cmpx_eq_u16_e32 29, v7
	s_cbranch_execz .LBB295_1649
; %bb.1648:
	s_mov_b32 s26, 0
	v_cndmask_b32_e64 v8, 0, 1, s7
	v_mov_b32_e32 v9, s26
	s_or_b32 s28, s0, exec_lo
	s_xor_b32 s26, exec_lo, -1
	flat_store_b64 v[4:5], v[8:9]
.LBB295_1649:
	s_wait_xcnt 0x0
	s_or_b32 exec_lo, exec_lo, s27
	s_delay_alu instid0(SALU_CYCLE_1)
	s_and_not1_b32 s0, s0, exec_lo
	s_and_b32 s27, s28, exec_lo
	s_and_not1_b32 s25, s25, exec_lo
	s_and_b32 s26, s26, exec_lo
	s_or_b32 s0, s0, s27
	s_or_b32 s25, s25, s26
.LBB295_1650:
	s_or_b32 exec_lo, exec_lo, s24
	s_delay_alu instid0(SALU_CYCLE_1)
	s_and_b32 s0, s0, exec_lo
	s_and_b32 s24, s25, exec_lo
.LBB295_1651:
	s_and_not1_saveexec_b32 s20, s20
	s_cbranch_execz .LBB295_1667
; %bb.1652:
	s_mov_b32 s25, exec_lo
	v_cmpx_lt_i16_e32 26, v7
	s_xor_b32 s25, exec_lo, s25
	s_cbranch_execz .LBB295_1658
; %bb.1653:
	s_mov_b32 s26, exec_lo
	v_cmpx_lt_i16_e32 27, v7
	s_xor_b32 s26, exec_lo, s26
	s_cbranch_execz .LBB295_1655
; %bb.1654:
	v_cndmask_b32_e64 v3, 0, 1, s7
	flat_store_b32 v[4:5], v3
.LBB295_1655:
	s_wait_xcnt 0x0
	s_and_not1_saveexec_b32 s26, s26
	s_cbranch_execz .LBB295_1657
; %bb.1656:
	v_cndmask_b32_e64 v3, 0, 1, s7
	flat_store_b16 v[4:5], v3
.LBB295_1657:
	s_wait_xcnt 0x0
	s_or_b32 exec_lo, exec_lo, s26
.LBB295_1658:
	s_and_not1_saveexec_b32 s25, s25
	s_cbranch_execz .LBB295_1666
; %bb.1659:
	v_cndmask_b32_e64 v8, 0, 1.0, s7
	v_mov_b32_e32 v9, 0x80
	s_mov_b32 s26, exec_lo
	s_delay_alu instid0(VALU_DEP_2)
	v_cmpx_gt_u32_e32 0x43800000, v8
	s_cbranch_execz .LBB295_1665
; %bb.1660:
	s_mov_b32 s27, 0
	s_mov_b32 s28, exec_lo
                                        ; implicit-def: $vgpr3
	v_cmpx_lt_u32_e32 0x3bffffff, v8
	s_xor_b32 s28, exec_lo, s28
	s_cbranch_execz .LBB295_2802
; %bb.1661:
	v_bfe_u32 v3, v8, 20, 1
	s_mov_b32 s27, exec_lo
	s_delay_alu instid0(VALU_DEP_1) | instskip(NEXT) | instid1(VALU_DEP_1)
	v_add3_u32 v3, v8, v3, 0x487ffff
                                        ; implicit-def: $vgpr8
	v_lshrrev_b32_e32 v3, 20, v3
	s_and_not1_saveexec_b32 s28, s28
	s_cbranch_execnz .LBB295_2803
.LBB295_1662:
	s_or_b32 exec_lo, exec_lo, s28
	v_mov_b32_e32 v9, 0
	s_and_saveexec_b32 s28, s27
.LBB295_1663:
	v_mov_b32_e32 v9, v3
.LBB295_1664:
	s_or_b32 exec_lo, exec_lo, s28
.LBB295_1665:
	s_delay_alu instid0(SALU_CYCLE_1)
	s_or_b32 exec_lo, exec_lo, s26
	flat_store_b8 v[4:5], v9
.LBB295_1666:
	s_wait_xcnt 0x0
	s_or_b32 exec_lo, exec_lo, s25
	s_delay_alu instid0(SALU_CYCLE_1)
	s_or_b32 s0, s0, exec_lo
.LBB295_1667:
	s_or_b32 exec_lo, exec_lo, s20
	s_delay_alu instid0(SALU_CYCLE_1)
	s_and_b32 s0, s0, exec_lo
	s_and_b32 s20, s24, exec_lo
	s_and_not1_saveexec_b32 s23, s23
	s_cbranch_execnz .LBB295_2540
.LBB295_1668:
	s_or_b32 exec_lo, exec_lo, s23
	s_mov_b32 s23, s1
	s_and_saveexec_b32 s24, s20
	s_cbranch_execnz .LBB295_2581
.LBB295_1669:
	s_or_b32 exec_lo, exec_lo, s24
	s_and_saveexec_b32 s20, s22
	s_delay_alu instid0(SALU_CYCLE_1)
	s_xor_b32 s20, exec_lo, s20
	s_cbranch_execz .LBB295_1671
.LBB295_1670:
	v_cndmask_b32_e64 v3, 0, 1, s7
	s_or_b32 s0, s0, exec_lo
	flat_store_b8 v[4:5], v3
.LBB295_1671:
	s_wait_xcnt 0x0
	s_or_b32 exec_lo, exec_lo, s20
	s_delay_alu instid0(SALU_CYCLE_1)
	s_and_not1_b32 s20, s1, exec_lo
	s_and_b32 s22, s23, exec_lo
	s_and_b32 s0, s0, exec_lo
	s_or_b32 s20, s20, s22
                                        ; implicit-def: $vgpr4_vgpr5
.LBB295_1672:
	s_and_not1_saveexec_b32 s21, s21
	s_cbranch_execz .LBB295_1714
; %bb.1673:
	s_mov_b32 s22, exec_lo
	v_cmpx_lt_i16_e32 4, v7
	s_xor_b32 s22, exec_lo, s22
	s_cbranch_execz .LBB295_1695
; %bb.1674:
	s_mov_b32 s23, exec_lo
	v_cmpx_lt_i16_e32 7, v7
	s_xor_b32 s23, exec_lo, s23
	;; [unrolled: 5-line block ×4, first 2 shown]
	s_cbranch_execz .LBB295_1678
; %bb.1677:
	v_cndmask_b32_e64 v3, 0, 1, s7
	v_mov_b32_e32 v10, 0
	s_delay_alu instid0(VALU_DEP_2) | instskip(NEXT) | instid1(VALU_DEP_2)
	v_cvt_f64_u32_e32 v[8:9], v3
	v_mov_b32_e32 v11, v10
	flat_store_b128 v[4:5], v[8:11]
                                        ; implicit-def: $vgpr4_vgpr5
.LBB295_1678:
	s_wait_xcnt 0x0
	s_and_not1_saveexec_b32 s25, s25
	s_cbranch_execz .LBB295_1680
; %bb.1679:
	v_cndmask_b32_e64 v8, 0, 1.0, s7
	v_mov_b32_e32 v9, 0
	flat_store_b64 v[4:5], v[8:9]
.LBB295_1680:
	s_wait_xcnt 0x0
	s_or_b32 exec_lo, exec_lo, s25
                                        ; implicit-def: $vgpr4_vgpr5
.LBB295_1681:
	s_and_not1_saveexec_b32 s24, s24
	s_cbranch_execz .LBB295_1683
; %bb.1682:
	v_cndmask_b32_e64 v3, 0, 1.0, s7
	s_delay_alu instid0(VALU_DEP_1) | instskip(NEXT) | instid1(VALU_DEP_1)
	v_cvt_f16_f32_e32 v3, v3
	v_and_b32_e32 v3, 0xffff, v3
	flat_store_b32 v[4:5], v3
.LBB295_1683:
	s_wait_xcnt 0x0
	s_or_b32 exec_lo, exec_lo, s24
                                        ; implicit-def: $vgpr4_vgpr5
.LBB295_1684:
	s_and_not1_saveexec_b32 s23, s23
	s_cbranch_execz .LBB295_1694
; %bb.1685:
	s_mov_b32 s24, exec_lo
	v_cmpx_lt_i16_e32 5, v7
	s_xor_b32 s24, exec_lo, s24
	s_cbranch_execz .LBB295_1691
; %bb.1686:
	s_mov_b32 s25, exec_lo
	v_cmpx_lt_i16_e32 6, v7
	s_xor_b32 s25, exec_lo, s25
	s_cbranch_execz .LBB295_1688
; %bb.1687:
	v_cndmask_b32_e64 v3, 0, 1, s7
	s_delay_alu instid0(VALU_DEP_1)
	v_cvt_f64_u32_e32 v[8:9], v3
	flat_store_b64 v[4:5], v[8:9]
                                        ; implicit-def: $vgpr4_vgpr5
.LBB295_1688:
	s_wait_xcnt 0x0
	s_and_not1_saveexec_b32 s25, s25
	s_cbranch_execz .LBB295_1690
; %bb.1689:
	v_cndmask_b32_e64 v3, 0, 1.0, s7
	flat_store_b32 v[4:5], v3
.LBB295_1690:
	s_wait_xcnt 0x0
	s_or_b32 exec_lo, exec_lo, s25
                                        ; implicit-def: $vgpr4_vgpr5
.LBB295_1691:
	s_and_not1_saveexec_b32 s24, s24
	s_cbranch_execz .LBB295_1693
; %bb.1692:
	v_cndmask_b32_e64 v3, 0, 1.0, s7
	s_delay_alu instid0(VALU_DEP_1)
	v_cvt_f16_f32_e32 v3, v3
	flat_store_b16 v[4:5], v3
.LBB295_1693:
	s_wait_xcnt 0x0
	s_or_b32 exec_lo, exec_lo, s24
.LBB295_1694:
	s_delay_alu instid0(SALU_CYCLE_1)
	s_or_b32 exec_lo, exec_lo, s23
                                        ; implicit-def: $vgpr4_vgpr5
.LBB295_1695:
	s_and_not1_saveexec_b32 s22, s22
	s_cbranch_execz .LBB295_1713
; %bb.1696:
	s_mov_b32 s23, exec_lo
	v_cmpx_lt_i16_e32 1, v7
	s_xor_b32 s23, exec_lo, s23
	s_cbranch_execz .LBB295_1706
; %bb.1697:
	s_mov_b32 s24, exec_lo
	v_cmpx_lt_i16_e32 2, v7
	s_xor_b32 s24, exec_lo, s24
	;; [unrolled: 5-line block ×3, first 2 shown]
	s_cbranch_execz .LBB295_1700
; %bb.1699:
	s_mov_b32 s26, 0
	v_cndmask_b32_e64 v8, 0, 1, s7
	v_mov_b32_e32 v9, s26
	flat_store_b64 v[4:5], v[8:9]
                                        ; implicit-def: $vgpr4_vgpr5
.LBB295_1700:
	s_wait_xcnt 0x0
	s_and_not1_saveexec_b32 s25, s25
	s_cbranch_execz .LBB295_1702
; %bb.1701:
	v_cndmask_b32_e64 v3, 0, 1, s7
	flat_store_b32 v[4:5], v3
.LBB295_1702:
	s_wait_xcnt 0x0
	s_or_b32 exec_lo, exec_lo, s25
                                        ; implicit-def: $vgpr4_vgpr5
.LBB295_1703:
	s_and_not1_saveexec_b32 s24, s24
	s_cbranch_execz .LBB295_1705
; %bb.1704:
	v_cndmask_b32_e64 v3, 0, 1, s7
	flat_store_b16 v[4:5], v3
.LBB295_1705:
	s_wait_xcnt 0x0
	s_or_b32 exec_lo, exec_lo, s24
                                        ; implicit-def: $vgpr4_vgpr5
.LBB295_1706:
	s_and_not1_saveexec_b32 s23, s23
	s_cbranch_execz .LBB295_1712
; %bb.1707:
	v_cndmask_b32_e64 v3, 0, 1, s7
	s_mov_b32 s7, exec_lo
	v_cmpx_lt_i16_e32 0, v7
	s_xor_b32 s7, exec_lo, s7
	s_cbranch_execz .LBB295_1709
; %bb.1708:
	flat_store_b8 v[4:5], v3
                                        ; implicit-def: $vgpr4_vgpr5
                                        ; implicit-def: $vgpr3
.LBB295_1709:
	s_wait_xcnt 0x0
	s_and_not1_saveexec_b32 s7, s7
	s_cbranch_execz .LBB295_1711
; %bb.1710:
	flat_store_b8 v[4:5], v3
.LBB295_1711:
	s_wait_xcnt 0x0
	s_or_b32 exec_lo, exec_lo, s7
.LBB295_1712:
	s_delay_alu instid0(SALU_CYCLE_1)
	s_or_b32 exec_lo, exec_lo, s23
.LBB295_1713:
	s_delay_alu instid0(SALU_CYCLE_1) | instskip(NEXT) | instid1(SALU_CYCLE_1)
	s_or_b32 exec_lo, exec_lo, s22
	s_or_b32 s0, s0, exec_lo
.LBB295_1714:
	s_or_b32 exec_lo, exec_lo, s21
	s_mov_b32 s21, 0
	s_mov_b32 s23, 0
                                        ; implicit-def: $vgpr12_vgpr13
	s_and_saveexec_b32 s7, s0
	s_cbranch_execz .LBB295_1840
; %bb.1715:
	v_add_nc_u32_e32 v2, v2, v6
	s_mov_b32 s0, 0
	s_mov_b32 s21, s20
	s_mov_b32 s22, exec_lo
	s_delay_alu instid0(VALU_DEP_1) | instskip(NEXT) | instid1(VALU_DEP_1)
	v_ashrrev_i32_e32 v3, 31, v2
	v_add_nc_u64_e32 v[4:5], v[0:1], v[2:3]
	v_cmpx_lt_i16_e32 10, v7
	s_xor_b32 s22, exec_lo, s22
	s_cbranch_execz .LBB295_1756
; %bb.1716:
	s_mov_b32 s21, 0
	s_mov_b32 s24, exec_lo
	v_cmpx_lt_i16_e32 25, v7
	s_xor_b32 s24, exec_lo, s24
	s_cbranch_execz .LBB295_2628
; %bb.1717:
	s_mov_b32 s25, 0
	s_mov_b32 s21, exec_lo
	;; [unrolled: 6-line block ×4, first 2 shown]
	v_cmpx_lt_i16_e32 45, v7
	s_xor_b32 s0, exec_lo, s0
	s_cbranch_execz .LBB295_1723
; %bb.1720:
	s_mov_b32 s28, -1
	s_mov_b32 s27, exec_lo
	v_cmpx_eq_u16_e32 46, v7
	s_cbranch_execz .LBB295_1722
; %bb.1721:
	v_cndmask_b32_e64 v3, 0, 1.0, s11
	s_mov_b32 s26, exec_lo
	s_xor_b32 s28, exec_lo, -1
	s_delay_alu instid0(VALU_DEP_1) | instskip(NEXT) | instid1(VALU_DEP_1)
	v_bfe_u32 v8, v3, 16, 1
	v_add3_u32 v3, v3, v8, 0x7fff
	s_delay_alu instid0(VALU_DEP_1)
	v_lshrrev_b32_e32 v3, 16, v3
	flat_store_b32 v[4:5], v3
.LBB295_1722:
	s_wait_xcnt 0x0
	s_or_b32 exec_lo, exec_lo, s27
	s_delay_alu instid0(SALU_CYCLE_1)
	s_and_b32 s27, s26, exec_lo
	s_and_b32 s26, s28, exec_lo
.LBB295_1723:
	s_and_not1_saveexec_b32 s28, s0
	s_cbranch_execz .LBB295_1729
; %bb.1724:
	s_mov_b32 s0, -1
	s_mov_b32 s30, s27
	s_mov_b32 s29, exec_lo
	v_cmpx_eq_u16_e32 44, v7
	s_cbranch_execz .LBB295_1728
; %bb.1725:
	v_cndmask_b32_e64 v9, 0, 1.0, s11
	s_mov_b32 s30, exec_lo
	s_delay_alu instid0(VALU_DEP_1) | instskip(NEXT) | instid1(VALU_DEP_1)
	v_dual_mov_b32 v8, 0xff :: v_dual_lshrrev_b32 v3, 23, v9
	v_cmpx_ne_u32_e32 0xff, v3
; %bb.1726:
	v_and_b32_e32 v8, 0x400000, v9
	v_and_or_b32 v9, 0x3fffff, v9, v3
	s_delay_alu instid0(VALU_DEP_2) | instskip(NEXT) | instid1(VALU_DEP_2)
	v_cmp_ne_u32_e32 vcc_lo, 0, v8
	v_cmp_ne_u32_e64 s0, 0, v9
	s_and_b32 s0, vcc_lo, s0
	s_delay_alu instid0(SALU_CYCLE_1) | instskip(NEXT) | instid1(VALU_DEP_1)
	v_cndmask_b32_e64 v8, 0, 1, s0
	v_add_nc_u32_e32 v8, v3, v8
; %bb.1727:
	s_or_b32 exec_lo, exec_lo, s30
	s_delay_alu instid0(SALU_CYCLE_1)
	s_or_b32 s30, s27, exec_lo
	s_xor_b32 s0, exec_lo, -1
	flat_store_b8 v[4:5], v8
.LBB295_1728:
	s_wait_xcnt 0x0
	s_or_b32 exec_lo, exec_lo, s29
	s_delay_alu instid0(SALU_CYCLE_1)
	s_and_not1_b32 s27, s27, exec_lo
	s_and_b32 s29, s30, exec_lo
	s_and_not1_b32 s26, s26, exec_lo
	s_and_b32 s0, s0, exec_lo
	s_or_b32 s27, s27, s29
	s_or_b32 s26, s26, s0
.LBB295_1729:
	s_or_b32 exec_lo, exec_lo, s28
	s_delay_alu instid0(SALU_CYCLE_1)
	s_and_b32 s0, s27, exec_lo
	s_and_b32 s26, s26, exec_lo
.LBB295_1730:
	s_and_not1_saveexec_b32 s25, s25
	s_cbranch_execz .LBB295_1734
; %bb.1731:
	s_mov_b32 s27, -1
	s_mov_b32 s29, s0
	s_mov_b32 s28, exec_lo
	v_cmpx_eq_u16_e32 29, v7
	s_cbranch_execz .LBB295_1733
; %bb.1732:
	s_mov_b32 s27, 0
	v_cndmask_b32_e64 v8, 0, 1, s11
	v_mov_b32_e32 v9, s27
	s_or_b32 s29, s0, exec_lo
	s_xor_b32 s27, exec_lo, -1
	flat_store_b64 v[4:5], v[8:9]
.LBB295_1733:
	s_wait_xcnt 0x0
	s_or_b32 exec_lo, exec_lo, s28
	s_delay_alu instid0(SALU_CYCLE_1)
	s_and_not1_b32 s0, s0, exec_lo
	s_and_b32 s28, s29, exec_lo
	s_and_not1_b32 s26, s26, exec_lo
	s_and_b32 s27, s27, exec_lo
	s_or_b32 s0, s0, s28
	s_or_b32 s26, s26, s27
.LBB295_1734:
	s_or_b32 exec_lo, exec_lo, s25
	s_delay_alu instid0(SALU_CYCLE_1)
	s_and_b32 s0, s0, exec_lo
	s_and_b32 s25, s26, exec_lo
.LBB295_1735:
	s_and_not1_saveexec_b32 s21, s21
	s_cbranch_execz .LBB295_1751
; %bb.1736:
	s_mov_b32 s26, exec_lo
	v_cmpx_lt_i16_e32 26, v7
	s_xor_b32 s26, exec_lo, s26
	s_cbranch_execz .LBB295_1742
; %bb.1737:
	s_mov_b32 s27, exec_lo
	v_cmpx_lt_i16_e32 27, v7
	s_xor_b32 s27, exec_lo, s27
	s_cbranch_execz .LBB295_1739
; %bb.1738:
	v_cndmask_b32_e64 v3, 0, 1, s11
	flat_store_b32 v[4:5], v3
.LBB295_1739:
	s_wait_xcnt 0x0
	s_and_not1_saveexec_b32 s27, s27
	s_cbranch_execz .LBB295_1741
; %bb.1740:
	v_cndmask_b32_e64 v3, 0, 1, s11
	flat_store_b16 v[4:5], v3
.LBB295_1741:
	s_wait_xcnt 0x0
	s_or_b32 exec_lo, exec_lo, s27
.LBB295_1742:
	s_and_not1_saveexec_b32 s26, s26
	s_cbranch_execz .LBB295_1750
; %bb.1743:
	v_cndmask_b32_e64 v8, 0, 1.0, s11
	v_mov_b32_e32 v9, 0x80
	s_mov_b32 s27, exec_lo
	s_delay_alu instid0(VALU_DEP_2)
	v_cmpx_gt_u32_e32 0x43800000, v8
	s_cbranch_execz .LBB295_1749
; %bb.1744:
	s_mov_b32 s28, 0
	s_mov_b32 s29, exec_lo
                                        ; implicit-def: $vgpr3
	v_cmpx_lt_u32_e32 0x3bffffff, v8
	s_xor_b32 s29, exec_lo, s29
	s_cbranch_execz .LBB295_2806
; %bb.1745:
	v_bfe_u32 v3, v8, 20, 1
	s_mov_b32 s28, exec_lo
	s_delay_alu instid0(VALU_DEP_1) | instskip(NEXT) | instid1(VALU_DEP_1)
	v_add3_u32 v3, v8, v3, 0x487ffff
                                        ; implicit-def: $vgpr8
	v_lshrrev_b32_e32 v3, 20, v3
	s_and_not1_saveexec_b32 s29, s29
	s_cbranch_execnz .LBB295_2807
.LBB295_1746:
	s_or_b32 exec_lo, exec_lo, s29
	v_mov_b32_e32 v9, 0
	s_and_saveexec_b32 s29, s28
.LBB295_1747:
	v_mov_b32_e32 v9, v3
.LBB295_1748:
	s_or_b32 exec_lo, exec_lo, s29
.LBB295_1749:
	s_delay_alu instid0(SALU_CYCLE_1)
	s_or_b32 exec_lo, exec_lo, s27
	flat_store_b8 v[4:5], v9
.LBB295_1750:
	s_wait_xcnt 0x0
	s_or_b32 exec_lo, exec_lo, s26
	s_delay_alu instid0(SALU_CYCLE_1)
	s_or_b32 s0, s0, exec_lo
.LBB295_1751:
	s_or_b32 exec_lo, exec_lo, s21
	s_delay_alu instid0(SALU_CYCLE_1)
	s_and_b32 s0, s0, exec_lo
	s_and_b32 s21, s25, exec_lo
	s_and_not1_saveexec_b32 s24, s24
	s_cbranch_execnz .LBB295_2629
.LBB295_1752:
	s_or_b32 exec_lo, exec_lo, s24
	s_mov_b32 s24, s20
	s_and_saveexec_b32 s25, s21
	s_cbranch_execnz .LBB295_2670
.LBB295_1753:
	s_or_b32 exec_lo, exec_lo, s25
	s_and_saveexec_b32 s21, s23
	s_delay_alu instid0(SALU_CYCLE_1)
	s_xor_b32 s21, exec_lo, s21
	s_cbranch_execz .LBB295_1755
.LBB295_1754:
	v_cndmask_b32_e64 v3, 0, 1, s11
	s_or_b32 s0, s0, exec_lo
	flat_store_b8 v[4:5], v3
.LBB295_1755:
	s_wait_xcnt 0x0
	s_or_b32 exec_lo, exec_lo, s21
	s_delay_alu instid0(SALU_CYCLE_1)
	s_and_not1_b32 s21, s20, exec_lo
	s_and_b32 s23, s24, exec_lo
	s_and_b32 s0, s0, exec_lo
	s_or_b32 s21, s21, s23
                                        ; implicit-def: $vgpr4_vgpr5
.LBB295_1756:
	s_and_not1_saveexec_b32 s22, s22
	s_cbranch_execz .LBB295_1798
; %bb.1757:
	s_mov_b32 s23, exec_lo
	v_cmpx_lt_i16_e32 4, v7
	s_xor_b32 s23, exec_lo, s23
	s_cbranch_execz .LBB295_1779
; %bb.1758:
	s_mov_b32 s24, exec_lo
	v_cmpx_lt_i16_e32 7, v7
	s_xor_b32 s24, exec_lo, s24
	;; [unrolled: 5-line block ×4, first 2 shown]
	s_cbranch_execz .LBB295_1762
; %bb.1761:
	v_cndmask_b32_e64 v3, 0, 1, s11
	v_mov_b32_e32 v10, 0
	s_delay_alu instid0(VALU_DEP_2) | instskip(NEXT) | instid1(VALU_DEP_2)
	v_cvt_f64_u32_e32 v[8:9], v3
	v_mov_b32_e32 v11, v10
	flat_store_b128 v[4:5], v[8:11]
                                        ; implicit-def: $vgpr4_vgpr5
.LBB295_1762:
	s_wait_xcnt 0x0
	s_and_not1_saveexec_b32 s26, s26
	s_cbranch_execz .LBB295_1764
; %bb.1763:
	v_cndmask_b32_e64 v8, 0, 1.0, s11
	v_mov_b32_e32 v9, 0
	flat_store_b64 v[4:5], v[8:9]
.LBB295_1764:
	s_wait_xcnt 0x0
	s_or_b32 exec_lo, exec_lo, s26
                                        ; implicit-def: $vgpr4_vgpr5
.LBB295_1765:
	s_and_not1_saveexec_b32 s25, s25
	s_cbranch_execz .LBB295_1767
; %bb.1766:
	v_cndmask_b32_e64 v3, 0, 1.0, s11
	s_delay_alu instid0(VALU_DEP_1) | instskip(NEXT) | instid1(VALU_DEP_1)
	v_cvt_f16_f32_e32 v3, v3
	v_and_b32_e32 v3, 0xffff, v3
	flat_store_b32 v[4:5], v3
.LBB295_1767:
	s_wait_xcnt 0x0
	s_or_b32 exec_lo, exec_lo, s25
                                        ; implicit-def: $vgpr4_vgpr5
.LBB295_1768:
	s_and_not1_saveexec_b32 s24, s24
	s_cbranch_execz .LBB295_1778
; %bb.1769:
	s_mov_b32 s25, exec_lo
	v_cmpx_lt_i16_e32 5, v7
	s_xor_b32 s25, exec_lo, s25
	s_cbranch_execz .LBB295_1775
; %bb.1770:
	s_mov_b32 s26, exec_lo
	v_cmpx_lt_i16_e32 6, v7
	s_xor_b32 s26, exec_lo, s26
	s_cbranch_execz .LBB295_1772
; %bb.1771:
	v_cndmask_b32_e64 v3, 0, 1, s11
	s_delay_alu instid0(VALU_DEP_1)
	v_cvt_f64_u32_e32 v[8:9], v3
	flat_store_b64 v[4:5], v[8:9]
                                        ; implicit-def: $vgpr4_vgpr5
.LBB295_1772:
	s_wait_xcnt 0x0
	s_and_not1_saveexec_b32 s26, s26
	s_cbranch_execz .LBB295_1774
; %bb.1773:
	v_cndmask_b32_e64 v3, 0, 1.0, s11
	flat_store_b32 v[4:5], v3
.LBB295_1774:
	s_wait_xcnt 0x0
	s_or_b32 exec_lo, exec_lo, s26
                                        ; implicit-def: $vgpr4_vgpr5
.LBB295_1775:
	s_and_not1_saveexec_b32 s25, s25
	s_cbranch_execz .LBB295_1777
; %bb.1776:
	v_cndmask_b32_e64 v3, 0, 1.0, s11
	s_delay_alu instid0(VALU_DEP_1)
	v_cvt_f16_f32_e32 v3, v3
	flat_store_b16 v[4:5], v3
.LBB295_1777:
	s_wait_xcnt 0x0
	s_or_b32 exec_lo, exec_lo, s25
.LBB295_1778:
	s_delay_alu instid0(SALU_CYCLE_1)
	s_or_b32 exec_lo, exec_lo, s24
                                        ; implicit-def: $vgpr4_vgpr5
.LBB295_1779:
	s_and_not1_saveexec_b32 s23, s23
	s_cbranch_execz .LBB295_1797
; %bb.1780:
	s_mov_b32 s24, exec_lo
	v_cmpx_lt_i16_e32 1, v7
	s_xor_b32 s24, exec_lo, s24
	s_cbranch_execz .LBB295_1790
; %bb.1781:
	s_mov_b32 s25, exec_lo
	v_cmpx_lt_i16_e32 2, v7
	s_xor_b32 s25, exec_lo, s25
	;; [unrolled: 5-line block ×3, first 2 shown]
	s_cbranch_execz .LBB295_1784
; %bb.1783:
	s_mov_b32 s27, 0
	v_cndmask_b32_e64 v8, 0, 1, s11
	v_mov_b32_e32 v9, s27
	flat_store_b64 v[4:5], v[8:9]
                                        ; implicit-def: $vgpr4_vgpr5
.LBB295_1784:
	s_wait_xcnt 0x0
	s_and_not1_saveexec_b32 s26, s26
	s_cbranch_execz .LBB295_1786
; %bb.1785:
	v_cndmask_b32_e64 v3, 0, 1, s11
	flat_store_b32 v[4:5], v3
.LBB295_1786:
	s_wait_xcnt 0x0
	s_or_b32 exec_lo, exec_lo, s26
                                        ; implicit-def: $vgpr4_vgpr5
.LBB295_1787:
	s_and_not1_saveexec_b32 s25, s25
	s_cbranch_execz .LBB295_1789
; %bb.1788:
	v_cndmask_b32_e64 v3, 0, 1, s11
	flat_store_b16 v[4:5], v3
.LBB295_1789:
	s_wait_xcnt 0x0
	s_or_b32 exec_lo, exec_lo, s25
                                        ; implicit-def: $vgpr4_vgpr5
.LBB295_1790:
	s_and_not1_saveexec_b32 s24, s24
	s_cbranch_execz .LBB295_1796
; %bb.1791:
	v_cndmask_b32_e64 v3, 0, 1, s11
	s_mov_b32 s11, exec_lo
	v_cmpx_lt_i16_e32 0, v7
	s_xor_b32 s11, exec_lo, s11
	s_cbranch_execz .LBB295_1793
; %bb.1792:
	flat_store_b8 v[4:5], v3
                                        ; implicit-def: $vgpr4_vgpr5
                                        ; implicit-def: $vgpr3
.LBB295_1793:
	s_wait_xcnt 0x0
	s_and_not1_saveexec_b32 s11, s11
	s_cbranch_execz .LBB295_1795
; %bb.1794:
	flat_store_b8 v[4:5], v3
.LBB295_1795:
	s_wait_xcnt 0x0
	s_or_b32 exec_lo, exec_lo, s11
.LBB295_1796:
	s_delay_alu instid0(SALU_CYCLE_1)
	s_or_b32 exec_lo, exec_lo, s24
.LBB295_1797:
	s_delay_alu instid0(SALU_CYCLE_1) | instskip(NEXT) | instid1(SALU_CYCLE_1)
	s_or_b32 exec_lo, exec_lo, s23
	s_or_b32 s0, s0, exec_lo
.LBB295_1798:
	s_or_b32 exec_lo, exec_lo, s22
	s_mov_b32 s22, 0
	s_mov_b32 s23, 0
                                        ; implicit-def: $vgpr12_vgpr13
	s_and_saveexec_b32 s11, s0
	s_cbranch_execz .LBB295_1839
; %bb.1799:
	v_add_nc_u32_e32 v2, v2, v6
	s_mov_b32 s0, 0
	s_mov_b32 s23, -1
	s_mov_b32 s24, s21
	s_mov_b32 s22, exec_lo
	v_ashrrev_i32_e32 v3, 31, v2
	s_delay_alu instid0(VALU_DEP_1)
	v_add_nc_u64_e32 v[12:13], v[0:1], v[2:3]
	v_cmpx_lt_i16_e32 10, v7
	s_cbranch_execz .LBB295_1838
; %bb.1800:
	s_mov_b32 s24, 0
	s_mov_b32 s23, exec_lo
	v_cmpx_lt_i16_e32 25, v7
	s_xor_b32 s23, exec_lo, s23
	s_cbranch_execz .LBB295_2715
; %bb.1801:
	s_mov_b32 s25, exec_lo
	v_cmpx_lt_i16_e32 28, v7
	s_xor_b32 s25, exec_lo, s25
	s_cbranch_execz .LBB295_1819
; %bb.1802:
	;; [unrolled: 5-line block ×3, first 2 shown]
	s_mov_b32 s27, 0
	s_mov_b32 s0, exec_lo
	v_cmpx_lt_i16_e32 45, v7
	s_xor_b32 s0, exec_lo, s0
	s_cbranch_execz .LBB295_1807
; %bb.1804:
	s_mov_b32 s28, -1
	s_mov_b32 s27, exec_lo
	v_cmpx_eq_u16_e32 46, v7
	s_cbranch_execz .LBB295_1806
; %bb.1805:
	v_cndmask_b32_e64 v0, 0, 1.0, s18
	s_xor_b32 s28, exec_lo, -1
	s_delay_alu instid0(VALU_DEP_1) | instskip(NEXT) | instid1(VALU_DEP_1)
	v_bfe_u32 v1, v0, 16, 1
	v_add3_u32 v0, v0, v1, 0x7fff
	s_delay_alu instid0(VALU_DEP_1)
	v_lshrrev_b32_e32 v0, 16, v0
	flat_store_b32 v[12:13], v0
.LBB295_1806:
	s_wait_xcnt 0x0
	s_or_b32 exec_lo, exec_lo, s27
	s_delay_alu instid0(SALU_CYCLE_1)
	s_and_b32 s27, s28, exec_lo
.LBB295_1807:
	s_and_not1_saveexec_b32 s28, s0
	s_cbranch_execz .LBB295_1813
; %bb.1808:
	s_mov_b32 s0, -1
	s_mov_b32 s29, exec_lo
	v_cmpx_eq_u16_e32 44, v7
	s_cbranch_execz .LBB295_1812
; %bb.1809:
	v_cndmask_b32_e64 v2, 0, 1.0, s18
	s_mov_b32 s30, exec_lo
	s_delay_alu instid0(VALU_DEP_1) | instskip(NEXT) | instid1(VALU_DEP_1)
	v_dual_mov_b32 v1, 0xff :: v_dual_lshrrev_b32 v0, 23, v2
	v_cmpx_ne_u32_e32 0xff, v0
; %bb.1810:
	v_and_b32_e32 v1, 0x400000, v2
	v_and_or_b32 v2, 0x3fffff, v2, v0
	s_delay_alu instid0(VALU_DEP_2) | instskip(NEXT) | instid1(VALU_DEP_2)
	v_cmp_ne_u32_e32 vcc_lo, 0, v1
	v_cmp_ne_u32_e64 s0, 0, v2
	s_and_b32 s0, vcc_lo, s0
	s_delay_alu instid0(SALU_CYCLE_1) | instskip(NEXT) | instid1(VALU_DEP_1)
	v_cndmask_b32_e64 v1, 0, 1, s0
	v_add_nc_u32_e32 v1, v0, v1
; %bb.1811:
	s_or_b32 exec_lo, exec_lo, s30
	s_delay_alu instid0(SALU_CYCLE_1)
	s_xor_b32 s0, exec_lo, -1
	flat_store_b8 v[12:13], v1
.LBB295_1812:
	s_wait_xcnt 0x0
	s_or_b32 exec_lo, exec_lo, s29
	s_delay_alu instid0(SALU_CYCLE_1) | instskip(SKIP_1) | instid1(SALU_CYCLE_1)
	s_and_not1_b32 s27, s27, exec_lo
	s_and_b32 s0, s0, exec_lo
	s_or_b32 s27, s27, s0
.LBB295_1813:
	s_or_b32 exec_lo, exec_lo, s28
	s_delay_alu instid0(SALU_CYCLE_1)
	s_and_b32 s0, s27, exec_lo
.LBB295_1814:
	s_and_not1_saveexec_b32 s26, s26
	s_cbranch_execz .LBB295_1818
; %bb.1815:
	s_mov_b32 s28, -1
	s_mov_b32 s27, exec_lo
	v_cmpx_eq_u16_e32 29, v7
	s_cbranch_execz .LBB295_1817
; %bb.1816:
	s_mov_b32 s28, 0
	v_cndmask_b32_e64 v0, 0, 1, s18
	v_mov_b32_e32 v1, s28
	s_xor_b32 s28, exec_lo, -1
	flat_store_b64 v[12:13], v[0:1]
.LBB295_1817:
	s_wait_xcnt 0x0
	s_or_b32 exec_lo, exec_lo, s27
	s_delay_alu instid0(SALU_CYCLE_1) | instskip(SKIP_1) | instid1(SALU_CYCLE_1)
	s_and_not1_b32 s0, s0, exec_lo
	s_and_b32 s27, s28, exec_lo
	s_or_b32 s0, s0, s27
.LBB295_1818:
	s_or_b32 exec_lo, exec_lo, s26
	s_delay_alu instid0(SALU_CYCLE_1)
	s_and_b32 s0, s0, exec_lo
.LBB295_1819:
	s_and_not1_saveexec_b32 s25, s25
	s_cbranch_execz .LBB295_1835
; %bb.1820:
	s_mov_b32 s26, exec_lo
	v_cmpx_lt_i16_e32 26, v7
	s_xor_b32 s26, exec_lo, s26
	s_cbranch_execz .LBB295_1826
; %bb.1821:
	v_cndmask_b32_e64 v0, 0, 1, s18
	s_mov_b32 s27, exec_lo
	v_cmpx_lt_i16_e32 27, v7
	s_xor_b32 s27, exec_lo, s27
	s_cbranch_execz .LBB295_1823
; %bb.1822:
	flat_store_b32 v[12:13], v0
                                        ; implicit-def: $vgpr0
.LBB295_1823:
	s_wait_xcnt 0x0
	s_and_not1_saveexec_b32 s27, s27
	s_cbranch_execz .LBB295_1825
; %bb.1824:
	flat_store_b16 v[12:13], v0
.LBB295_1825:
	s_wait_xcnt 0x0
	s_or_b32 exec_lo, exec_lo, s27
.LBB295_1826:
	s_and_not1_saveexec_b32 s26, s26
	s_cbranch_execz .LBB295_1834
; %bb.1827:
	v_cndmask_b32_e64 v1, 0, 1.0, s18
	v_mov_b32_e32 v2, 0x80
	s_mov_b32 s27, exec_lo
	s_delay_alu instid0(VALU_DEP_2)
	v_cmpx_gt_u32_e32 0x43800000, v1
	s_cbranch_execz .LBB295_1833
; %bb.1828:
	s_mov_b32 s28, 0
	s_mov_b32 s29, exec_lo
                                        ; implicit-def: $vgpr0
	v_cmpx_lt_u32_e32 0x3bffffff, v1
	s_xor_b32 s29, exec_lo, s29
	s_cbranch_execz .LBB295_2810
; %bb.1829:
	v_bfe_u32 v0, v1, 20, 1
	s_mov_b32 s28, exec_lo
	s_delay_alu instid0(VALU_DEP_1) | instskip(NEXT) | instid1(VALU_DEP_1)
	v_add3_u32 v0, v1, v0, 0x487ffff
                                        ; implicit-def: $vgpr1
	v_lshrrev_b32_e32 v0, 20, v0
	s_and_not1_saveexec_b32 s29, s29
	s_cbranch_execnz .LBB295_2811
.LBB295_1830:
	s_or_b32 exec_lo, exec_lo, s29
	v_mov_b32_e32 v2, 0
	s_and_saveexec_b32 s29, s28
.LBB295_1831:
	v_mov_b32_e32 v2, v0
.LBB295_1832:
	s_or_b32 exec_lo, exec_lo, s29
.LBB295_1833:
	s_delay_alu instid0(SALU_CYCLE_1)
	s_or_b32 exec_lo, exec_lo, s27
	flat_store_b8 v[12:13], v2
.LBB295_1834:
	s_wait_xcnt 0x0
	s_or_b32 exec_lo, exec_lo, s26
.LBB295_1835:
	s_delay_alu instid0(SALU_CYCLE_1) | instskip(NEXT) | instid1(SALU_CYCLE_1)
	s_or_b32 exec_lo, exec_lo, s25
	s_and_b32 s0, s0, exec_lo
	s_and_not1_saveexec_b32 s23, s23
	s_cbranch_execnz .LBB295_2716
.LBB295_1836:
	s_or_b32 exec_lo, exec_lo, s23
	s_mov_b32 s25, s21
	s_and_saveexec_b32 s23, s0
	s_cbranch_execnz .LBB295_2757
.LBB295_1837:
	s_or_b32 exec_lo, exec_lo, s23
	s_delay_alu instid0(SALU_CYCLE_1)
	s_and_not1_b32 s26, s21, exec_lo
	s_and_b32 s25, s25, exec_lo
	s_xor_b32 s23, exec_lo, -1
	s_and_b32 s0, s24, exec_lo
	s_or_b32 s24, s26, s25
.LBB295_1838:
	s_or_b32 exec_lo, exec_lo, s22
	s_delay_alu instid0(SALU_CYCLE_1)
	s_and_not1_b32 s21, s21, exec_lo
	s_and_b32 s24, s24, exec_lo
	s_and_b32 s23, s23, exec_lo
	;; [unrolled: 1-line block ×3, first 2 shown]
	s_or_b32 s21, s21, s24
.LBB295_1839:
	s_or_b32 exec_lo, exec_lo, s11
	s_delay_alu instid0(SALU_CYCLE_1)
	s_and_not1_b32 s0, s20, exec_lo
	s_and_b32 s11, s21, exec_lo
	s_and_b32 s23, s23, exec_lo
	;; [unrolled: 1-line block ×3, first 2 shown]
	s_or_b32 s20, s0, s11
.LBB295_1840:
	s_or_b32 exec_lo, exec_lo, s7
	s_delay_alu instid0(SALU_CYCLE_1)
	s_and_not1_b32 s1, s1, exec_lo
	s_and_b32 s7, s20, exec_lo
	s_and_b32 s22, s23, exec_lo
	;; [unrolled: 1-line block ×3, first 2 shown]
	s_or_b32 s1, s1, s7
.LBB295_1841:
	s_or_b32 exec_lo, exec_lo, s19
	s_delay_alu instid0(SALU_CYCLE_1)
	s_and_not1_b32 s7, s14, exec_lo
	s_and_b32 s11, s1, exec_lo
	s_and_b32 s20, s22, exec_lo
	s_and_b32 s1, s0, exec_lo
	s_or_b32 s14, s7, s11
.LBB295_1842:
	s_or_b32 exec_lo, exec_lo, s17
	s_delay_alu instid0(SALU_CYCLE_1)
	s_and_not1_b32 s0, s12, exec_lo
	s_and_b32 s7, s14, exec_lo
	s_and_b32 s17, s20, exec_lo
	;; [unrolled: 1-line block ×3, first 2 shown]
	s_or_b32 s12, s0, s7
.LBB295_1843:
	s_or_b32 exec_lo, exec_lo, s13
	s_delay_alu instid0(SALU_CYCLE_1)
	s_and_not1_b32 s0, s9, exec_lo
	s_and_b32 s7, s12, exec_lo
	s_and_b32 s13, s17, exec_lo
	;; [unrolled: 1-line block ×3, first 2 shown]
	s_or_b32 s9, s0, s7
.LBB295_1844:
	s_or_b32 exec_lo, exec_lo, s10
	s_delay_alu instid0(SALU_CYCLE_1)
	s_and_not1_b32 s0, s6, exec_lo
	s_and_b32 s6, s9, exec_lo
	s_and_b32 s10, s13, exec_lo
	;; [unrolled: 1-line block ×3, first 2 shown]
	s_or_b32 s6, s0, s6
.LBB295_1845:
	s_or_b32 exec_lo, exec_lo, s8
	s_delay_alu instid0(SALU_CYCLE_1)
	s_and_not1_b32 s4, s4, exec_lo
	s_and_b32 s6, s6, exec_lo
	s_and_b32 s7, s10, exec_lo
	;; [unrolled: 1-line block ×3, first 2 shown]
	s_or_b32 s4, s4, s6
.LBB295_1846:
	s_or_b32 exec_lo, exec_lo, s5
	s_delay_alu instid0(SALU_CYCLE_1)
	s_and_not1_b32 s2, s2, exec_lo
	s_and_b32 s4, s4, exec_lo
	s_and_b32 s5, s7, exec_lo
	;; [unrolled: 1-line block ×3, first 2 shown]
	s_or_b32 s2, s2, s4
.LBB295_1847:
	s_or_b32 exec_lo, exec_lo, s3
	s_delay_alu instid0(SALU_CYCLE_1)
	s_and_not1_b32 s3, s15, exec_lo
	s_and_b32 s2, s2, exec_lo
	s_and_b32 s0, s5, exec_lo
	;; [unrolled: 1-line block ×3, first 2 shown]
	s_or_b32 s15, s3, s2
	s_or_b32 exec_lo, exec_lo, s16
	s_and_saveexec_b32 s1, s15
	s_cbranch_execnz .LBB295_1851
.LBB295_1848:
	s_or_b32 exec_lo, exec_lo, s1
	s_and_saveexec_b32 s1, s17
	s_delay_alu instid0(SALU_CYCLE_1)
	s_xor_b32 s1, exec_lo, s1
	s_cbranch_execz .LBB295_1852
.LBB295_1849:
	s_wait_loadcnt 0x1
	v_cndmask_b32_e64 v0, 0, 1, s18
	flat_store_b8 v[12:13], v0
	s_wait_xcnt 0x0
	s_or_b32 exec_lo, exec_lo, s1
	s_and_saveexec_b32 s1, s0
	s_cbranch_execz .LBB295_1891
	s_branch .LBB295_1853
.LBB295_1850:
	s_or_b32 exec_lo, exec_lo, s16
	s_and_saveexec_b32 s1, s15
	s_cbranch_execz .LBB295_1848
.LBB295_1851:
	; divergent unreachable
	s_or_b32 exec_lo, exec_lo, s1
	s_and_saveexec_b32 s1, s17
	s_delay_alu instid0(SALU_CYCLE_1)
	s_xor_b32 s1, exec_lo, s1
	s_cbranch_execnz .LBB295_1849
.LBB295_1852:
	s_or_b32 exec_lo, exec_lo, s1
	s_and_saveexec_b32 s1, s0
	s_cbranch_execz .LBB295_1891
.LBB295_1853:
	s_mov_b32 s0, exec_lo
	v_cmpx_lt_i16_e32 4, v7
	s_xor_b32 s0, exec_lo, s0
	s_cbranch_execz .LBB295_1875
; %bb.1854:
	s_mov_b32 s1, exec_lo
	v_cmpx_lt_i16_e32 7, v7
	s_xor_b32 s1, exec_lo, s1
	s_cbranch_execz .LBB295_1864
; %bb.1855:
	;; [unrolled: 5-line block ×4, first 2 shown]
	s_wait_loadcnt 0x1
	v_cndmask_b32_e64 v0, 0, 1, s18
	v_mov_b32_e32 v2, 0
	s_delay_alu instid0(VALU_DEP_2) | instskip(NEXT) | instid1(VALU_DEP_2)
	v_cvt_f64_u32_e32 v[0:1], v0
	v_mov_b32_e32 v3, v2
	flat_store_b128 v[12:13], v[0:3]
.LBB295_1858:
	s_wait_xcnt 0x0
	s_and_not1_saveexec_b32 s3, s3
	s_cbranch_execz .LBB295_1860
; %bb.1859:
	s_wait_loadcnt 0x1
	v_cndmask_b32_e64 v0, 0, 1.0, s18
	v_mov_b32_e32 v1, 0
	flat_store_b64 v[12:13], v[0:1]
.LBB295_1860:
	s_wait_xcnt 0x0
	s_or_b32 exec_lo, exec_lo, s3
.LBB295_1861:
	s_and_not1_saveexec_b32 s2, s2
	s_cbranch_execz .LBB295_1863
; %bb.1862:
	s_wait_loadcnt 0x1
	v_cndmask_b32_e64 v0, 0, 1.0, s18
	s_delay_alu instid0(VALU_DEP_1) | instskip(NEXT) | instid1(VALU_DEP_1)
	v_cvt_f16_f32_e32 v0, v0
	v_and_b32_e32 v0, 0xffff, v0
	flat_store_b32 v[12:13], v0
.LBB295_1863:
	s_wait_xcnt 0x0
	s_or_b32 exec_lo, exec_lo, s2
.LBB295_1864:
	s_and_not1_saveexec_b32 s1, s1
	s_cbranch_execz .LBB295_1874
; %bb.1865:
	s_mov_b32 s2, exec_lo
	v_cmpx_lt_i16_e32 5, v7
	s_xor_b32 s2, exec_lo, s2
	s_cbranch_execz .LBB295_1871
; %bb.1866:
	s_mov_b32 s3, exec_lo
	v_cmpx_lt_i16_e32 6, v7
	s_xor_b32 s3, exec_lo, s3
	s_cbranch_execz .LBB295_1868
; %bb.1867:
	s_wait_loadcnt 0x1
	v_cndmask_b32_e64 v0, 0, 1, s18
	s_delay_alu instid0(VALU_DEP_1)
	v_cvt_f64_u32_e32 v[0:1], v0
	flat_store_b64 v[12:13], v[0:1]
.LBB295_1868:
	s_wait_xcnt 0x0
	s_and_not1_saveexec_b32 s3, s3
	s_cbranch_execz .LBB295_1870
; %bb.1869:
	s_wait_loadcnt 0x1
	v_cndmask_b32_e64 v0, 0, 1.0, s18
	flat_store_b32 v[12:13], v0
.LBB295_1870:
	s_wait_xcnt 0x0
	s_or_b32 exec_lo, exec_lo, s3
.LBB295_1871:
	s_and_not1_saveexec_b32 s2, s2
	s_cbranch_execz .LBB295_1873
; %bb.1872:
	s_wait_loadcnt 0x1
	v_cndmask_b32_e64 v0, 0, 1.0, s18
	s_delay_alu instid0(VALU_DEP_1)
	v_cvt_f16_f32_e32 v0, v0
	flat_store_b16 v[12:13], v0
.LBB295_1873:
	s_wait_xcnt 0x0
	s_or_b32 exec_lo, exec_lo, s2
.LBB295_1874:
	s_delay_alu instid0(SALU_CYCLE_1)
	s_or_b32 exec_lo, exec_lo, s1
.LBB295_1875:
	s_and_not1_saveexec_b32 s0, s0
	s_cbranch_execz .LBB295_1891
; %bb.1876:
	s_mov_b32 s0, exec_lo
	v_cmpx_lt_i16_e32 1, v7
	s_xor_b32 s0, exec_lo, s0
	s_cbranch_execz .LBB295_1886
; %bb.1877:
	s_mov_b32 s1, exec_lo
	v_cmpx_lt_i16_e32 2, v7
	s_xor_b32 s1, exec_lo, s1
	;; [unrolled: 5-line block ×3, first 2 shown]
	s_cbranch_execz .LBB295_1880
; %bb.1879:
	s_mov_b32 s3, 0
	s_wait_loadcnt 0x1
	v_cndmask_b32_e64 v0, 0, 1, s18
	v_mov_b32_e32 v1, s3
	flat_store_b64 v[12:13], v[0:1]
                                        ; implicit-def: $vgpr12_vgpr13
.LBB295_1880:
	s_wait_xcnt 0x0
	s_and_not1_saveexec_b32 s2, s2
	s_cbranch_execz .LBB295_1882
; %bb.1881:
	s_wait_loadcnt 0x1
	v_cndmask_b32_e64 v0, 0, 1, s18
	flat_store_b32 v[12:13], v0
.LBB295_1882:
	s_wait_xcnt 0x0
	s_or_b32 exec_lo, exec_lo, s2
                                        ; implicit-def: $vgpr12_vgpr13
.LBB295_1883:
	s_and_not1_saveexec_b32 s1, s1
	s_cbranch_execz .LBB295_1885
; %bb.1884:
	s_wait_loadcnt 0x1
	v_cndmask_b32_e64 v0, 0, 1, s18
	flat_store_b16 v[12:13], v0
.LBB295_1885:
	s_wait_xcnt 0x0
	s_or_b32 exec_lo, exec_lo, s1
                                        ; implicit-def: $vgpr12_vgpr13
.LBB295_1886:
	s_and_not1_saveexec_b32 s0, s0
	s_cbranch_execz .LBB295_1891
; %bb.1887:
	s_wait_loadcnt 0x1
	v_cndmask_b32_e64 v0, 0, 1, s18
	s_mov_b32 s0, exec_lo
	v_cmpx_lt_i16_e32 0, v7
	s_xor_b32 s0, exec_lo, s0
	s_cbranch_execz .LBB295_1889
; %bb.1888:
	flat_store_b8 v[12:13], v0
                                        ; implicit-def: $vgpr12_vgpr13
                                        ; implicit-def: $vgpr0
.LBB295_1889:
	s_wait_xcnt 0x0
	s_and_not1_saveexec_b32 s0, s0
	s_cbranch_execz .LBB295_1891
; %bb.1890:
	flat_store_b8 v[12:13], v0
	s_endpgm
.LBB295_1891:
	s_endpgm
.LBB295_1892:
	s_and_not1_saveexec_b32 s2, s2
	s_cbranch_execz .LBB295_84
.LBB295_1893:
	s_mov_b32 s4, exec_lo
	v_cmpx_lt_i16_e32 4, v2
	s_xor_b32 s4, exec_lo, s4
	s_cbranch_execz .LBB295_1915
; %bb.1894:
	s_mov_b32 s5, exec_lo
	v_cmpx_lt_i16_e32 7, v2
	s_xor_b32 s5, exec_lo, s5
	s_cbranch_execz .LBB295_1904
; %bb.1895:
	;; [unrolled: 5-line block ×3, first 2 shown]
	v_cmp_lt_i16_e64 s0, 9, v2
	s_and_saveexec_b32 s7, s0
	s_delay_alu instid0(SALU_CYCLE_1)
	s_xor_b32 s0, exec_lo, s7
	s_cbranch_execz .LBB295_1898
; %bb.1897:
	v_cndmask_b32_e64 v2, 0, 1, vcc_lo
	v_mov_b32_e32 v4, 0
	s_delay_alu instid0(VALU_DEP_2) | instskip(NEXT) | instid1(VALU_DEP_2)
	v_cvt_f64_u32_e32 v[2:3], v2
	v_mov_b32_e32 v5, v4
	flat_store_b128 v[0:1], v[2:5]
                                        ; implicit-def: $vgpr0_vgpr1
.LBB295_1898:
	s_wait_xcnt 0x0
	s_and_not1_saveexec_b32 s0, s0
	s_cbranch_execz .LBB295_1900
; %bb.1899:
	v_cndmask_b32_e64 v2, 0, 1.0, vcc_lo
	v_mov_b32_e32 v3, 0
	flat_store_b64 v[0:1], v[2:3]
.LBB295_1900:
	s_wait_xcnt 0x0
	s_or_b32 exec_lo, exec_lo, s0
                                        ; implicit-def: $vgpr0_vgpr1
.LBB295_1901:
	s_and_not1_saveexec_b32 s0, s6
	s_cbranch_execz .LBB295_1903
; %bb.1902:
	v_cndmask_b32_e64 v2, 0, 1.0, vcc_lo
	s_delay_alu instid0(VALU_DEP_1) | instskip(NEXT) | instid1(VALU_DEP_1)
	v_cvt_f16_f32_e32 v2, v2
	v_and_b32_e32 v2, 0xffff, v2
	flat_store_b32 v[0:1], v2
.LBB295_1903:
	s_wait_xcnt 0x0
	s_or_b32 exec_lo, exec_lo, s0
                                        ; implicit-def: $vgpr0_vgpr1
                                        ; implicit-def: $vgpr2
.LBB295_1904:
	s_and_not1_saveexec_b32 s5, s5
	s_cbranch_execz .LBB295_1914
; %bb.1905:
	s_mov_b32 s6, exec_lo
	v_cmpx_lt_i16_e32 5, v2
	s_xor_b32 s6, exec_lo, s6
	s_cbranch_execz .LBB295_1911
; %bb.1906:
	v_cmp_lt_i16_e64 s0, 6, v2
	s_and_saveexec_b32 s7, s0
	s_delay_alu instid0(SALU_CYCLE_1)
	s_xor_b32 s0, exec_lo, s7
	s_cbranch_execz .LBB295_1908
; %bb.1907:
	v_cndmask_b32_e64 v2, 0, 1, vcc_lo
	s_delay_alu instid0(VALU_DEP_1)
	v_cvt_f64_u32_e32 v[2:3], v2
	flat_store_b64 v[0:1], v[2:3]
                                        ; implicit-def: $vgpr0_vgpr1
.LBB295_1908:
	s_wait_xcnt 0x0
	s_and_not1_saveexec_b32 s0, s0
	s_cbranch_execz .LBB295_1910
; %bb.1909:
	v_cndmask_b32_e64 v2, 0, 1.0, vcc_lo
	flat_store_b32 v[0:1], v2
.LBB295_1910:
	s_wait_xcnt 0x0
	s_or_b32 exec_lo, exec_lo, s0
                                        ; implicit-def: $vgpr0_vgpr1
.LBB295_1911:
	s_and_not1_saveexec_b32 s0, s6
	s_cbranch_execz .LBB295_1913
; %bb.1912:
	v_cndmask_b32_e64 v2, 0, 1.0, vcc_lo
	s_delay_alu instid0(VALU_DEP_1)
	v_cvt_f16_f32_e32 v2, v2
	flat_store_b16 v[0:1], v2
.LBB295_1913:
	s_wait_xcnt 0x0
	s_or_b32 exec_lo, exec_lo, s0
.LBB295_1914:
	s_delay_alu instid0(SALU_CYCLE_1)
	s_or_b32 exec_lo, exec_lo, s5
                                        ; implicit-def: $vgpr2
                                        ; implicit-def: $vgpr0_vgpr1
.LBB295_1915:
	s_and_not1_saveexec_b32 s4, s4
	s_cbranch_execz .LBB295_1933
; %bb.1916:
	s_mov_b32 s5, exec_lo
	v_cmpx_lt_i16_e32 1, v2
	s_xor_b32 s5, exec_lo, s5
	s_cbranch_execz .LBB295_1926
; %bb.1917:
	s_mov_b32 s6, exec_lo
	v_cmpx_lt_i16_e32 2, v2
	s_xor_b32 s6, exec_lo, s6
	s_cbranch_execz .LBB295_1923
; %bb.1918:
	v_cmp_lt_i16_e64 s0, 3, v2
	s_and_saveexec_b32 s7, s0
	s_delay_alu instid0(SALU_CYCLE_1)
	s_xor_b32 s0, exec_lo, s7
	s_cbranch_execz .LBB295_1920
; %bb.1919:
	s_mov_b32 s7, 0
	v_cndmask_b32_e64 v2, 0, 1, vcc_lo
	v_mov_b32_e32 v3, s7
	flat_store_b64 v[0:1], v[2:3]
                                        ; implicit-def: $vgpr0_vgpr1
.LBB295_1920:
	s_wait_xcnt 0x0
	s_and_not1_saveexec_b32 s0, s0
	s_cbranch_execz .LBB295_1922
; %bb.1921:
	v_cndmask_b32_e64 v2, 0, 1, vcc_lo
	flat_store_b32 v[0:1], v2
.LBB295_1922:
	s_wait_xcnt 0x0
	s_or_b32 exec_lo, exec_lo, s0
                                        ; implicit-def: $vgpr0_vgpr1
.LBB295_1923:
	s_and_not1_saveexec_b32 s0, s6
	s_cbranch_execz .LBB295_1925
; %bb.1924:
	v_cndmask_b32_e64 v2, 0, 1, vcc_lo
	flat_store_b16 v[0:1], v2
.LBB295_1925:
	s_wait_xcnt 0x0
	s_or_b32 exec_lo, exec_lo, s0
                                        ; implicit-def: $vgpr0_vgpr1
                                        ; implicit-def: $vgpr2
.LBB295_1926:
	s_and_not1_saveexec_b32 s5, s5
	s_cbranch_execz .LBB295_1932
; %bb.1927:
	v_cmp_lt_i16_e64 s0, 0, v2
	v_cndmask_b32_e64 v2, 0, 1, vcc_lo
	s_and_saveexec_b32 s6, s0
	s_delay_alu instid0(SALU_CYCLE_1)
	s_xor_b32 s0, exec_lo, s6
	s_cbranch_execz .LBB295_1929
; %bb.1928:
	flat_store_b8 v[0:1], v2
                                        ; implicit-def: $vgpr0_vgpr1
                                        ; implicit-def: $vgpr2
.LBB295_1929:
	s_wait_xcnt 0x0
	s_and_not1_saveexec_b32 s0, s0
	s_cbranch_execz .LBB295_1931
; %bb.1930:
	flat_store_b8 v[0:1], v2
.LBB295_1931:
	s_wait_xcnt 0x0
	s_or_b32 exec_lo, exec_lo, s0
.LBB295_1932:
	s_delay_alu instid0(SALU_CYCLE_1)
	s_or_b32 exec_lo, exec_lo, s5
.LBB295_1933:
	s_delay_alu instid0(SALU_CYCLE_1) | instskip(NEXT) | instid1(SALU_CYCLE_1)
	s_or_b32 exec_lo, exec_lo, s4
	s_or_b32 s1, s1, exec_lo
	s_or_b32 exec_lo, exec_lo, s2
	s_mov_b32 s0, 0
	s_and_saveexec_b32 s2, s1
	s_cbranch_execnz .LBB295_85
	s_branch .LBB295_86
.LBB295_1934:
	s_and_not1_saveexec_b32 s4, s4
	s_cbranch_execz .LBB295_454
.LBB295_1935:
	s_mov_b32 s6, s3
	s_mov_b32 s2, exec_lo
                                        ; implicit-def: $vgpr21
	v_cmpx_lt_i16_e32 22, v18
	s_xor_b32 s2, exec_lo, s2
	s_cbranch_execz .LBB295_1969
; %bb.1936:
	s_mov_b32 s6, exec_lo
                                        ; implicit-def: $vgpr21
	v_cmpx_lt_i16_e32 23, v18
	s_xor_b32 s6, exec_lo, s6
	s_cbranch_execz .LBB295_1960
; %bb.1937:
	;; [unrolled: 6-line block ×3, first 2 shown]
	flat_load_u8 v9, v[2:3]
	s_mov_b32 s8, 0
	s_mov_b32 s9, exec_lo
	s_wait_loadcnt_dscnt 0x0
	v_cmpx_lt_i16_e32 0x7f, v9
	s_xor_b32 s9, exec_lo, s9
	s_cbranch_execz .LBB295_2305
; %bb.1939:
	s_mov_b32 s8, -1
	s_mov_b32 s10, exec_lo
	v_cmpx_eq_u16_e32 0x80, v9
; %bb.1940:
	s_xor_b32 s8, exec_lo, -1
; %bb.1941:
	s_or_b32 exec_lo, exec_lo, s10
	s_delay_alu instid0(SALU_CYCLE_1)
	s_and_b32 s8, s8, exec_lo
	s_or_saveexec_b32 s9, s9
	v_mov_b32_e32 v7, 0x7f800001
	s_xor_b32 exec_lo, exec_lo, s9
	s_cbranch_execnz .LBB295_2306
.LBB295_1942:
	s_or_b32 exec_lo, exec_lo, s9
	s_and_saveexec_b32 s9, s8
	s_cbranch_execz .LBB295_1944
.LBB295_1943:
	v_and_b32_e32 v7, 0xffff, v9
	s_delay_alu instid0(VALU_DEP_1) | instskip(SKIP_1) | instid1(VALU_DEP_2)
	v_dual_lshlrev_b32 v9, 24, v9 :: v_dual_bitop2_b32 v10, 3, v7 bitop3:0x40
	v_bfe_u32 v13, v7, 2, 5
	v_and_b32_e32 v9, 0x80000000, v9
	s_delay_alu instid0(VALU_DEP_3) | instskip(NEXT) | instid1(VALU_DEP_3)
	v_clz_i32_u32_e32 v11, v10
	v_cmp_eq_u32_e64 s0, 0, v13
	s_delay_alu instid0(VALU_DEP_2) | instskip(NEXT) | instid1(VALU_DEP_1)
	v_min_u32_e32 v11, 32, v11
	v_subrev_nc_u32_e32 v12, 29, v11
	v_sub_nc_u32_e32 v11, 30, v11
	s_delay_alu instid0(VALU_DEP_2) | instskip(NEXT) | instid1(VALU_DEP_2)
	v_lshlrev_b32_e32 v7, v12, v7
	v_cndmask_b32_e64 v11, v13, v11, s0
	s_delay_alu instid0(VALU_DEP_2) | instskip(NEXT) | instid1(VALU_DEP_1)
	v_and_b32_e32 v7, 3, v7
	v_cndmask_b32_e64 v7, v10, v7, s0
	s_delay_alu instid0(VALU_DEP_3) | instskip(NEXT) | instid1(VALU_DEP_2)
	v_lshl_add_u32 v10, v11, 23, 0x37800000
	v_lshlrev_b32_e32 v7, 21, v7
	s_delay_alu instid0(VALU_DEP_1)
	v_or3_b32 v7, v9, v10, v7
.LBB295_1944:
	s_or_b32 exec_lo, exec_lo, s9
	s_delay_alu instid0(VALU_DEP_1) | instskip(SKIP_2) | instid1(VALU_DEP_2)
	v_and_b32_e32 v9, 0x7fffffff, v7
	v_mov_b32_e32 v21, 0x80
	s_mov_b32 s8, exec_lo
	v_cmpx_gt_u32_e32 0x43800000, v9
	s_cbranch_execz .LBB295_1950
; %bb.1945:
	v_cmp_lt_u32_e64 s0, 0x3bffffff, v9
	s_mov_b32 s9, 0
                                        ; implicit-def: $vgpr9
	s_and_saveexec_b32 s10, s0
	s_delay_alu instid0(SALU_CYCLE_1)
	s_xor_b32 s0, exec_lo, s10
	s_cbranch_execz .LBB295_2392
; %bb.1946:
	v_bfe_u32 v9, v7, 20, 1
	s_mov_b32 s9, exec_lo
	s_delay_alu instid0(VALU_DEP_1) | instskip(NEXT) | instid1(VALU_DEP_1)
	v_add3_u32 v9, v7, v9, 0x487ffff
	v_lshrrev_b32_e32 v9, 20, v9
	s_and_not1_saveexec_b32 s10, s0
	s_cbranch_execnz .LBB295_2393
.LBB295_1947:
	s_or_b32 exec_lo, exec_lo, s10
	v_mov_b32_e32 v21, 0
	s_and_saveexec_b32 s0, s9
.LBB295_1948:
	v_lshrrev_b32_e32 v7, 24, v7
	s_delay_alu instid0(VALU_DEP_1)
	v_and_or_b32 v21, 0x80, v7, v9
.LBB295_1949:
	s_or_b32 exec_lo, exec_lo, s0
.LBB295_1950:
	s_delay_alu instid0(SALU_CYCLE_1)
	s_or_b32 exec_lo, exec_lo, s8
.LBB295_1951:
	s_and_not1_saveexec_b32 s7, s7
	s_cbranch_execz .LBB295_1959
; %bb.1952:
	flat_load_u8 v7, v[2:3]
	s_wait_loadcnt_dscnt 0x101
	v_mov_b32_e32 v21, 0x80
	s_mov_b32 s9, 0
	s_mov_b32 s8, exec_lo
	s_wait_loadcnt_dscnt 0x0
	v_lshlrev_b32_e32 v7, 24, v7
	s_delay_alu instid0(VALU_DEP_1) | instskip(NEXT) | instid1(VALU_DEP_1)
	v_and_b32_e32 v9, 0x7f000000, v7
	v_clz_i32_u32_e32 v10, v9
	v_add_nc_u32_e32 v12, 0x1000000, v9
	v_cmp_ne_u32_e64 s0, 0, v9
	s_delay_alu instid0(VALU_DEP_3) | instskip(NEXT) | instid1(VALU_DEP_1)
	v_min_u32_e32 v10, 32, v10
	v_sub_nc_u32_e64 v10, v10, 4 clamp
	s_delay_alu instid0(VALU_DEP_1) | instskip(NEXT) | instid1(VALU_DEP_1)
	v_dual_lshlrev_b32 v11, v10, v9 :: v_dual_lshlrev_b32 v10, 23, v10
	v_lshrrev_b32_e32 v11, 4, v11
	s_delay_alu instid0(VALU_DEP_1) | instskip(NEXT) | instid1(VALU_DEP_1)
	v_dual_sub_nc_u32 v10, v11, v10 :: v_dual_ashrrev_i32 v11, 8, v12
	v_add_nc_u32_e32 v10, 0x3c000000, v10
	s_delay_alu instid0(VALU_DEP_1) | instskip(NEXT) | instid1(VALU_DEP_1)
	v_and_or_b32 v10, 0x7f800000, v11, v10
	v_cndmask_b32_e64 v10, 0, v10, s0
	s_delay_alu instid0(VALU_DEP_1) | instskip(NEXT) | instid1(VALU_DEP_1)
	v_and_or_b32 v7, 0x80000000, v7, v10
	v_and_b32_e32 v9, 0x7fffffff, v7
	s_wait_xcnt 0x0
	s_delay_alu instid0(VALU_DEP_1)
	v_cmpx_gt_u32_e32 0x43800000, v9
	s_cbranch_execz .LBB295_1958
; %bb.1953:
	v_cmp_lt_u32_e64 s0, 0x3bffffff, v9
                                        ; implicit-def: $vgpr9
	s_and_saveexec_b32 s10, s0
	s_delay_alu instid0(SALU_CYCLE_1)
	s_xor_b32 s0, exec_lo, s10
	s_cbranch_execz .LBB295_2394
; %bb.1954:
	v_bfe_u32 v9, v10, 20, 1
	s_mov_b32 s9, exec_lo
	s_delay_alu instid0(VALU_DEP_1) | instskip(NEXT) | instid1(VALU_DEP_1)
	v_add3_u32 v9, v7, v9, 0x487ffff
	v_lshrrev_b32_e32 v9, 20, v9
	s_and_not1_saveexec_b32 s10, s0
	s_cbranch_execnz .LBB295_2395
.LBB295_1955:
	s_or_b32 exec_lo, exec_lo, s10
	v_mov_b32_e32 v21, 0
	s_and_saveexec_b32 s0, s9
.LBB295_1956:
	v_lshrrev_b32_e32 v7, 24, v7
	s_delay_alu instid0(VALU_DEP_1)
	v_and_or_b32 v21, 0x80, v7, v9
.LBB295_1957:
	s_or_b32 exec_lo, exec_lo, s0
.LBB295_1958:
	s_delay_alu instid0(SALU_CYCLE_1)
	s_or_b32 exec_lo, exec_lo, s8
.LBB295_1959:
	s_delay_alu instid0(SALU_CYCLE_1)
	s_or_b32 exec_lo, exec_lo, s7
.LBB295_1960:
	s_and_not1_saveexec_b32 s6, s6
	s_cbranch_execz .LBB295_1968
; %bb.1961:
	flat_load_u8 v7, v[2:3]
	s_wait_loadcnt_dscnt 0x101
	v_mov_b32_e32 v21, 0x80
	s_mov_b32 s7, exec_lo
	s_wait_loadcnt_dscnt 0x0
	v_lshlrev_b32_e32 v9, 25, v7
	v_lshlrev_b16 v7, 8, v7
	s_delay_alu instid0(VALU_DEP_1) | instskip(NEXT) | instid1(VALU_DEP_3)
	v_and_or_b32 v11, 0x7f00, v7, 0.5
	v_lshrrev_b32_e32 v10, 4, v9
	v_bfe_i32 v7, v7, 0, 16
	s_delay_alu instid0(VALU_DEP_3) | instskip(NEXT) | instid1(VALU_DEP_3)
	v_add_f32_e32 v11, -0.5, v11
	v_or_b32_e32 v10, 0x70000000, v10
	s_delay_alu instid0(VALU_DEP_1) | instskip(SKIP_1) | instid1(VALU_DEP_1)
	v_mul_f32_e32 v10, 0x7800000, v10
	v_cmp_gt_u32_e64 s0, 0x8000000, v9
	v_cndmask_b32_e64 v10, v10, v11, s0
	s_delay_alu instid0(VALU_DEP_1) | instskip(NEXT) | instid1(VALU_DEP_1)
	v_and_or_b32 v7, 0x80000000, v7, v10
	v_and_b32_e32 v9, 0x7fffffff, v7
	s_wait_xcnt 0x0
	s_delay_alu instid0(VALU_DEP_1)
	v_cmpx_gt_u32_e32 0x43800000, v9
	s_cbranch_execz .LBB295_1967
; %bb.1962:
	v_cmp_lt_u32_e64 s0, 0x3bffffff, v9
	s_mov_b32 s8, 0
                                        ; implicit-def: $vgpr9
	s_and_saveexec_b32 s9, s0
	s_delay_alu instid0(SALU_CYCLE_1)
	s_xor_b32 s0, exec_lo, s9
	s_cbranch_execz .LBB295_2307
; %bb.1963:
	v_bfe_u32 v9, v10, 20, 1
	s_mov_b32 s8, exec_lo
	s_delay_alu instid0(VALU_DEP_1) | instskip(NEXT) | instid1(VALU_DEP_1)
	v_add3_u32 v9, v7, v9, 0x487ffff
	v_lshrrev_b32_e32 v9, 20, v9
	s_and_not1_saveexec_b32 s9, s0
	s_cbranch_execnz .LBB295_2308
.LBB295_1964:
	s_or_b32 exec_lo, exec_lo, s9
	v_mov_b32_e32 v21, 0
	s_and_saveexec_b32 s0, s8
.LBB295_1965:
	v_lshrrev_b32_e32 v7, 24, v7
	s_delay_alu instid0(VALU_DEP_1)
	v_and_or_b32 v21, 0x80, v7, v9
.LBB295_1966:
	s_or_b32 exec_lo, exec_lo, s0
.LBB295_1967:
	s_delay_alu instid0(SALU_CYCLE_1)
	s_or_b32 exec_lo, exec_lo, s7
.LBB295_1968:
	s_delay_alu instid0(SALU_CYCLE_1) | instskip(NEXT) | instid1(SALU_CYCLE_1)
	s_or_b32 exec_lo, exec_lo, s6
	s_or_b32 s6, s3, exec_lo
.LBB295_1969:
	s_or_saveexec_b32 s2, s2
	s_mov_b32 s0, 0
	s_mov_b32 s7, s5
	s_xor_b32 exec_lo, exec_lo, s2
	s_cbranch_execz .LBB295_1983
; %bb.1970:
	s_mov_b32 s8, s5
	s_mov_b32 s9, s6
	s_mov_b32 s7, exec_lo
                                        ; implicit-def: $vgpr21
	v_cmpx_lt_i16_e32 14, v18
	s_xor_b32 s7, exec_lo, s7
	s_cbranch_execz .LBB295_1980
; %bb.1971:
	s_mov_b32 s9, -1
	s_mov_b32 s10, s6
	s_mov_b32 s8, exec_lo
                                        ; implicit-def: $vgpr21
	v_cmpx_eq_u16_e32 15, v18
	s_cbranch_execz .LBB295_1979
; %bb.1972:
	flat_load_u16 v7, v[2:3]
	s_mov_b32 s9, exec_lo
	s_wait_loadcnt_dscnt 0x0
	v_dual_mov_b32 v21, 0x80 :: v_dual_lshlrev_b32 v10, 16, v7
	s_delay_alu instid0(VALU_DEP_1) | instskip(SKIP_1) | instid1(VALU_DEP_1)
	v_and_b32_e32 v9, 0x7fffffff, v10
	s_wait_xcnt 0x0
	v_cmpx_gt_u32_e32 0x43800000, v9
	s_cbranch_execz .LBB295_1978
; %bb.1973:
	v_cmp_lt_u32_e64 s0, 0x3bffffff, v9
	s_mov_b32 s10, 0
                                        ; implicit-def: $vgpr9
	s_and_saveexec_b32 s11, s0
	s_delay_alu instid0(SALU_CYCLE_1)
	s_xor_b32 s0, exec_lo, s11
	s_cbranch_execz .LBB295_2396
; %bb.1974:
	v_bfe_u32 v9, v7, 4, 1
	s_mov_b32 s10, exec_lo
	s_delay_alu instid0(VALU_DEP_1) | instskip(NEXT) | instid1(VALU_DEP_1)
	v_add3_u32 v9, v10, v9, 0x487ffff
                                        ; implicit-def: $vgpr10
	v_lshrrev_b32_e32 v9, 20, v9
	s_and_not1_saveexec_b32 s11, s0
	s_cbranch_execnz .LBB295_2397
.LBB295_1975:
	s_or_b32 exec_lo, exec_lo, s11
	v_mov_b32_e32 v21, 0
	s_and_saveexec_b32 s0, s10
.LBB295_1976:
	v_lshrrev_b32_e32 v7, 8, v7
	s_delay_alu instid0(VALU_DEP_1)
	v_and_or_b32 v21, 0x80, v7, v9
.LBB295_1977:
	s_or_b32 exec_lo, exec_lo, s0
.LBB295_1978:
	s_delay_alu instid0(SALU_CYCLE_1) | instskip(NEXT) | instid1(SALU_CYCLE_1)
	s_or_b32 exec_lo, exec_lo, s9
	s_or_b32 s10, s6, exec_lo
	s_xor_b32 s9, exec_lo, -1
.LBB295_1979:
	s_or_b32 exec_lo, exec_lo, s8
	s_delay_alu instid0(SALU_CYCLE_1)
	s_and_not1_b32 s0, s6, exec_lo
	s_and_b32 s8, s10, exec_lo
	s_and_not1_b32 s10, s5, exec_lo
	s_and_b32 s11, s9, exec_lo
	s_or_b32 s9, s0, s8
	s_or_b32 s8, s10, s11
.LBB295_1980:
	s_or_saveexec_b32 s10, s7
	s_mov_b32 s7, 0
	s_xor_b32 exec_lo, exec_lo, s10
; %bb.1981:
	v_cmp_ne_u16_e64 s0, 11, v18
	s_and_not1_b32 s8, s8, exec_lo
	s_mov_b32 s7, exec_lo
	s_and_b32 s0, s0, exec_lo
	s_delay_alu instid0(SALU_CYCLE_1)
	s_or_b32 s8, s8, s0
; %bb.1982:
	s_or_b32 exec_lo, exec_lo, s10
	s_delay_alu instid0(SALU_CYCLE_1)
	s_and_not1_b32 s0, s6, exec_lo
	s_and_b32 s6, s9, exec_lo
	s_and_not1_b32 s9, s5, exec_lo
	s_and_b32 s8, s8, exec_lo
	s_or_b32 s6, s0, s6
	s_and_b32 s0, s7, exec_lo
	s_or_b32 s7, s9, s8
.LBB295_1983:
	s_or_b32 exec_lo, exec_lo, s2
	s_delay_alu instid0(SALU_CYCLE_1)
	s_and_not1_b32 s2, s3, exec_lo
	s_and_b32 s3, s6, exec_lo
	s_and_not1_b32 s5, s5, exec_lo
	s_and_b32 s6, s7, exec_lo
	s_or_b32 s3, s2, s3
	s_and_b32 s2, s0, exec_lo
	s_or_b32 s5, s5, s6
	s_or_b32 exec_lo, exec_lo, s4
	s_mov_b32 s4, s15
	s_and_saveexec_b32 s0, s5
	s_cbranch_execz .LBB295_455
.LBB295_1984:
	s_or_b32 s4, s15, exec_lo
	s_and_not1_b32 s2, s2, exec_lo
	s_trap 2
	s_or_b32 exec_lo, exec_lo, s0
	s_and_saveexec_b32 s0, s2
	s_delay_alu instid0(SALU_CYCLE_1)
	s_xor_b32 s2, exec_lo, s0
	s_cbranch_execnz .LBB295_456
	s_branch .LBB295_463
.LBB295_1985:
	s_and_not1_saveexec_b32 s2, s2
	s_cbranch_execz .LBB295_171
.LBB295_1986:
	s_mov_b32 s4, exec_lo
	v_cmpx_lt_i16_e32 4, v2
	s_xor_b32 s4, exec_lo, s4
	s_cbranch_execz .LBB295_2008
; %bb.1987:
	s_mov_b32 s5, exec_lo
	v_cmpx_lt_i16_e32 7, v2
	s_xor_b32 s5, exec_lo, s5
	s_cbranch_execz .LBB295_1997
; %bb.1988:
	;; [unrolled: 5-line block ×3, first 2 shown]
	v_cmp_lt_i16_e64 s0, 9, v2
	s_and_saveexec_b32 s7, s0
	s_delay_alu instid0(SALU_CYCLE_1)
	s_xor_b32 s0, exec_lo, s7
	s_cbranch_execz .LBB295_1991
; %bb.1990:
	v_cndmask_b32_e64 v2, 0, 1, vcc_lo
	v_mov_b32_e32 v4, 0
	s_delay_alu instid0(VALU_DEP_2) | instskip(NEXT) | instid1(VALU_DEP_2)
	v_cvt_f64_u32_e32 v[2:3], v2
	v_mov_b32_e32 v5, v4
	flat_store_b128 v[0:1], v[2:5]
                                        ; implicit-def: $vgpr0_vgpr1
.LBB295_1991:
	s_wait_xcnt 0x0
	s_and_not1_saveexec_b32 s0, s0
	s_cbranch_execz .LBB295_1993
; %bb.1992:
	v_cndmask_b32_e64 v2, 0, 1.0, vcc_lo
	v_mov_b32_e32 v3, 0
	flat_store_b64 v[0:1], v[2:3]
.LBB295_1993:
	s_wait_xcnt 0x0
	s_or_b32 exec_lo, exec_lo, s0
                                        ; implicit-def: $vgpr0_vgpr1
.LBB295_1994:
	s_and_not1_saveexec_b32 s0, s6
	s_cbranch_execz .LBB295_1996
; %bb.1995:
	v_cndmask_b32_e64 v2, 0, 1.0, vcc_lo
	s_delay_alu instid0(VALU_DEP_1) | instskip(NEXT) | instid1(VALU_DEP_1)
	v_cvt_f16_f32_e32 v2, v2
	v_and_b32_e32 v2, 0xffff, v2
	flat_store_b32 v[0:1], v2
.LBB295_1996:
	s_wait_xcnt 0x0
	s_or_b32 exec_lo, exec_lo, s0
                                        ; implicit-def: $vgpr0_vgpr1
                                        ; implicit-def: $vgpr2
.LBB295_1997:
	s_and_not1_saveexec_b32 s5, s5
	s_cbranch_execz .LBB295_2007
; %bb.1998:
	s_mov_b32 s6, exec_lo
	v_cmpx_lt_i16_e32 5, v2
	s_xor_b32 s6, exec_lo, s6
	s_cbranch_execz .LBB295_2004
; %bb.1999:
	v_cmp_lt_i16_e64 s0, 6, v2
	s_and_saveexec_b32 s7, s0
	s_delay_alu instid0(SALU_CYCLE_1)
	s_xor_b32 s0, exec_lo, s7
	s_cbranch_execz .LBB295_2001
; %bb.2000:
	v_cndmask_b32_e64 v2, 0, 1, vcc_lo
	s_delay_alu instid0(VALU_DEP_1)
	v_cvt_f64_u32_e32 v[2:3], v2
	flat_store_b64 v[0:1], v[2:3]
                                        ; implicit-def: $vgpr0_vgpr1
.LBB295_2001:
	s_wait_xcnt 0x0
	s_and_not1_saveexec_b32 s0, s0
	s_cbranch_execz .LBB295_2003
; %bb.2002:
	v_cndmask_b32_e64 v2, 0, 1.0, vcc_lo
	flat_store_b32 v[0:1], v2
.LBB295_2003:
	s_wait_xcnt 0x0
	s_or_b32 exec_lo, exec_lo, s0
                                        ; implicit-def: $vgpr0_vgpr1
.LBB295_2004:
	s_and_not1_saveexec_b32 s0, s6
	s_cbranch_execz .LBB295_2006
; %bb.2005:
	v_cndmask_b32_e64 v2, 0, 1.0, vcc_lo
	s_delay_alu instid0(VALU_DEP_1)
	v_cvt_f16_f32_e32 v2, v2
	flat_store_b16 v[0:1], v2
.LBB295_2006:
	s_wait_xcnt 0x0
	s_or_b32 exec_lo, exec_lo, s0
.LBB295_2007:
	s_delay_alu instid0(SALU_CYCLE_1)
	s_or_b32 exec_lo, exec_lo, s5
                                        ; implicit-def: $vgpr2
                                        ; implicit-def: $vgpr0_vgpr1
.LBB295_2008:
	s_and_not1_saveexec_b32 s4, s4
	s_cbranch_execz .LBB295_2026
; %bb.2009:
	s_mov_b32 s5, exec_lo
	v_cmpx_lt_i16_e32 1, v2
	s_xor_b32 s5, exec_lo, s5
	s_cbranch_execz .LBB295_2019
; %bb.2010:
	s_mov_b32 s6, exec_lo
	v_cmpx_lt_i16_e32 2, v2
	s_xor_b32 s6, exec_lo, s6
	s_cbranch_execz .LBB295_2016
; %bb.2011:
	v_cmp_lt_i16_e64 s0, 3, v2
	s_and_saveexec_b32 s7, s0
	s_delay_alu instid0(SALU_CYCLE_1)
	s_xor_b32 s0, exec_lo, s7
	s_cbranch_execz .LBB295_2013
; %bb.2012:
	s_mov_b32 s7, 0
	v_cndmask_b32_e64 v2, 0, 1, vcc_lo
	v_mov_b32_e32 v3, s7
	flat_store_b64 v[0:1], v[2:3]
                                        ; implicit-def: $vgpr0_vgpr1
.LBB295_2013:
	s_wait_xcnt 0x0
	s_and_not1_saveexec_b32 s0, s0
	s_cbranch_execz .LBB295_2015
; %bb.2014:
	v_cndmask_b32_e64 v2, 0, 1, vcc_lo
	flat_store_b32 v[0:1], v2
.LBB295_2015:
	s_wait_xcnt 0x0
	s_or_b32 exec_lo, exec_lo, s0
                                        ; implicit-def: $vgpr0_vgpr1
.LBB295_2016:
	s_and_not1_saveexec_b32 s0, s6
	s_cbranch_execz .LBB295_2018
; %bb.2017:
	v_cndmask_b32_e64 v2, 0, 1, vcc_lo
	flat_store_b16 v[0:1], v2
.LBB295_2018:
	s_wait_xcnt 0x0
	s_or_b32 exec_lo, exec_lo, s0
                                        ; implicit-def: $vgpr0_vgpr1
                                        ; implicit-def: $vgpr2
.LBB295_2019:
	s_and_not1_saveexec_b32 s5, s5
	s_cbranch_execz .LBB295_2025
; %bb.2020:
	v_cmp_lt_i16_e64 s0, 0, v2
	v_cndmask_b32_e64 v2, 0, 1, vcc_lo
	s_and_saveexec_b32 s6, s0
	s_delay_alu instid0(SALU_CYCLE_1)
	s_xor_b32 s0, exec_lo, s6
	s_cbranch_execz .LBB295_2022
; %bb.2021:
	flat_store_b8 v[0:1], v2
                                        ; implicit-def: $vgpr0_vgpr1
                                        ; implicit-def: $vgpr2
.LBB295_2022:
	s_wait_xcnt 0x0
	s_and_not1_saveexec_b32 s0, s0
	s_cbranch_execz .LBB295_2024
; %bb.2023:
	flat_store_b8 v[0:1], v2
.LBB295_2024:
	s_wait_xcnt 0x0
	s_or_b32 exec_lo, exec_lo, s0
.LBB295_2025:
	s_delay_alu instid0(SALU_CYCLE_1)
	s_or_b32 exec_lo, exec_lo, s5
.LBB295_2026:
	s_delay_alu instid0(SALU_CYCLE_1) | instskip(NEXT) | instid1(SALU_CYCLE_1)
	s_or_b32 exec_lo, exec_lo, s4
	s_or_b32 s1, s1, exec_lo
	s_or_b32 exec_lo, exec_lo, s2
	s_mov_b32 s0, 0
	s_and_saveexec_b32 s2, s1
	s_cbranch_execnz .LBB295_172
	s_branch .LBB295_173
.LBB295_2027:
	s_and_not1_saveexec_b32 s6, s6
	s_cbranch_execz .LBB295_632
.LBB295_2028:
	s_mov_b32 s8, s5
	s_mov_b32 s4, exec_lo
                                        ; implicit-def: $vgpr9
	v_cmpx_lt_i16_e32 22, v15
	s_xor_b32 s4, exec_lo, s4
	s_cbranch_execz .LBB295_2062
; %bb.2029:
	s_mov_b32 s8, exec_lo
                                        ; implicit-def: $vgpr9
	v_cmpx_lt_i16_e32 23, v15
	s_xor_b32 s8, exec_lo, s8
	s_cbranch_execz .LBB295_2053
; %bb.2030:
	s_mov_b32 s9, exec_lo
                                        ; implicit-def: $vgpr9
	v_cmpx_lt_i16_e32 24, v15
	s_xor_b32 s9, exec_lo, s9
	s_cbranch_execz .LBB295_2044
; %bb.2031:
	s_wait_loadcnt_dscnt 0x0
	flat_load_u8 v9, v[10:11]
	s_mov_b32 s10, 0
	s_mov_b32 s11, exec_lo
	s_wait_loadcnt_dscnt 0x0
	v_cmpx_lt_i16_e32 0x7f, v9
	s_xor_b32 s11, exec_lo, s11
	s_cbranch_execz .LBB295_2398
; %bb.2032:
	s_mov_b32 s10, -1
	s_mov_b32 s12, exec_lo
	v_cmpx_eq_u16_e32 0x80, v9
; %bb.2033:
	s_xor_b32 s10, exec_lo, -1
; %bb.2034:
	s_or_b32 exec_lo, exec_lo, s12
	s_delay_alu instid0(SALU_CYCLE_1)
	s_and_b32 s10, s10, exec_lo
	s_or_saveexec_b32 s11, s11
	v_mov_b32_e32 v7, 0x7f800001
	s_xor_b32 exec_lo, exec_lo, s11
	s_cbranch_execnz .LBB295_2399
.LBB295_2035:
	s_or_b32 exec_lo, exec_lo, s11
	s_and_saveexec_b32 s11, s10
	s_cbranch_execz .LBB295_2037
.LBB295_2036:
	v_and_b32_e32 v7, 0xffff, v9
	s_delay_alu instid0(VALU_DEP_1) | instskip(SKIP_1) | instid1(VALU_DEP_2)
	v_and_b32_e32 v12, 3, v7
	v_bfe_u32 v23, v7, 2, 5
	v_clz_i32_u32_e32 v13, v12
	s_delay_alu instid0(VALU_DEP_2) | instskip(NEXT) | instid1(VALU_DEP_2)
	v_cmp_eq_u32_e64 s0, 0, v23
	v_min_u32_e32 v13, 32, v13
	s_delay_alu instid0(VALU_DEP_1) | instskip(NEXT) | instid1(VALU_DEP_1)
	v_subrev_nc_u32_e32 v22, 29, v13
	v_dual_lshlrev_b32 v7, v22, v7 :: v_dual_sub_nc_u32 v13, 30, v13
	s_delay_alu instid0(VALU_DEP_1) | instskip(NEXT) | instid1(VALU_DEP_1)
	v_dual_lshlrev_b32 v9, 24, v9 :: v_dual_bitop2_b32 v7, 3, v7 bitop3:0x40
	v_dual_cndmask_b32 v7, v12, v7, s0 :: v_dual_cndmask_b32 v13, v23, v13, s0
	s_delay_alu instid0(VALU_DEP_2) | instskip(NEXT) | instid1(VALU_DEP_2)
	v_and_b32_e32 v9, 0x80000000, v9
	v_lshlrev_b32_e32 v7, 21, v7
	s_delay_alu instid0(VALU_DEP_3) | instskip(NEXT) | instid1(VALU_DEP_1)
	v_lshl_add_u32 v12, v13, 23, 0x37800000
	v_or3_b32 v7, v9, v12, v7
.LBB295_2037:
	s_or_b32 exec_lo, exec_lo, s11
	s_delay_alu instid0(VALU_DEP_1) | instskip(SKIP_2) | instid1(VALU_DEP_2)
	v_and_b32_e32 v12, 0x7fffffff, v7
	v_mov_b32_e32 v9, 0x80
	s_mov_b32 s10, exec_lo
	v_cmpx_gt_u32_e32 0x43800000, v12
	s_cbranch_execz .LBB295_2043
; %bb.2038:
	v_cmp_lt_u32_e64 s0, 0x3bffffff, v12
	s_mov_b32 s11, 0
                                        ; implicit-def: $vgpr12
	s_and_saveexec_b32 s12, s0
	s_delay_alu instid0(SALU_CYCLE_1)
	s_xor_b32 s0, exec_lo, s12
	s_cbranch_execz .LBB295_2491
; %bb.2039:
	v_bfe_u32 v9, v7, 20, 1
	s_mov_b32 s11, exec_lo
	s_delay_alu instid0(VALU_DEP_1) | instskip(NEXT) | instid1(VALU_DEP_1)
	v_add3_u32 v9, v7, v9, 0x487ffff
	v_lshrrev_b32_e32 v12, 20, v9
	s_and_not1_saveexec_b32 s12, s0
	s_cbranch_execnz .LBB295_2492
.LBB295_2040:
	s_or_b32 exec_lo, exec_lo, s12
	v_mov_b32_e32 v9, 0
	s_and_saveexec_b32 s0, s11
.LBB295_2041:
	v_lshrrev_b32_e32 v7, 24, v7
	s_delay_alu instid0(VALU_DEP_1)
	v_and_or_b32 v9, 0x80, v7, v12
.LBB295_2042:
	s_or_b32 exec_lo, exec_lo, s0
.LBB295_2043:
	s_delay_alu instid0(SALU_CYCLE_1)
	s_or_b32 exec_lo, exec_lo, s10
.LBB295_2044:
	s_and_not1_saveexec_b32 s9, s9
	s_cbranch_execz .LBB295_2052
; %bb.2045:
	flat_load_u8 v7, v[10:11]
	s_mov_b32 s11, 0
	s_mov_b32 s10, exec_lo
	s_wait_loadcnt_dscnt 0x0
	v_lshlrev_b32_e32 v7, 24, v7
	s_delay_alu instid0(VALU_DEP_1) | instskip(NEXT) | instid1(VALU_DEP_1)
	v_and_b32_e32 v9, 0x7f000000, v7
	v_clz_i32_u32_e32 v12, v9
	v_add_nc_u32_e32 v22, 0x1000000, v9
	v_cmp_ne_u32_e64 s0, 0, v9
	s_delay_alu instid0(VALU_DEP_3) | instskip(NEXT) | instid1(VALU_DEP_1)
	v_min_u32_e32 v12, 32, v12
	v_sub_nc_u32_e64 v12, v12, 4 clamp
	s_delay_alu instid0(VALU_DEP_1) | instskip(SKIP_1) | instid1(VALU_DEP_2)
	v_dual_lshlrev_b32 v13, v12, v9 :: v_dual_lshlrev_b32 v12, 23, v12
	v_mov_b32_e32 v9, 0x80
	v_lshrrev_b32_e32 v13, 4, v13
	s_delay_alu instid0(VALU_DEP_1) | instskip(NEXT) | instid1(VALU_DEP_1)
	v_dual_sub_nc_u32 v12, v13, v12 :: v_dual_ashrrev_i32 v13, 8, v22
	v_add_nc_u32_e32 v12, 0x3c000000, v12
	s_delay_alu instid0(VALU_DEP_1) | instskip(NEXT) | instid1(VALU_DEP_1)
	v_and_or_b32 v12, 0x7f800000, v13, v12
	v_cndmask_b32_e64 v13, 0, v12, s0
	s_delay_alu instid0(VALU_DEP_1) | instskip(NEXT) | instid1(VALU_DEP_1)
	v_and_or_b32 v7, 0x80000000, v7, v13
	v_and_b32_e32 v12, 0x7fffffff, v7
	s_wait_xcnt 0x0
	s_delay_alu instid0(VALU_DEP_1)
	v_cmpx_gt_u32_e32 0x43800000, v12
	s_cbranch_execz .LBB295_2051
; %bb.2046:
	v_cmp_lt_u32_e64 s0, 0x3bffffff, v12
                                        ; implicit-def: $vgpr12
	s_and_saveexec_b32 s12, s0
	s_delay_alu instid0(SALU_CYCLE_1)
	s_xor_b32 s0, exec_lo, s12
	s_cbranch_execz .LBB295_2493
; %bb.2047:
	v_bfe_u32 v9, v13, 20, 1
	s_mov_b32 s11, exec_lo
	s_delay_alu instid0(VALU_DEP_1) | instskip(NEXT) | instid1(VALU_DEP_1)
	v_add3_u32 v9, v7, v9, 0x487ffff
	v_lshrrev_b32_e32 v12, 20, v9
	s_and_not1_saveexec_b32 s12, s0
	s_cbranch_execnz .LBB295_2494
.LBB295_2048:
	s_or_b32 exec_lo, exec_lo, s12
	v_mov_b32_e32 v9, 0
	s_and_saveexec_b32 s0, s11
.LBB295_2049:
	v_lshrrev_b32_e32 v7, 24, v7
	s_delay_alu instid0(VALU_DEP_1)
	v_and_or_b32 v9, 0x80, v7, v12
.LBB295_2050:
	s_or_b32 exec_lo, exec_lo, s0
.LBB295_2051:
	s_delay_alu instid0(SALU_CYCLE_1)
	s_or_b32 exec_lo, exec_lo, s10
.LBB295_2052:
	s_delay_alu instid0(SALU_CYCLE_1)
	s_or_b32 exec_lo, exec_lo, s9
.LBB295_2053:
	s_and_not1_saveexec_b32 s8, s8
	s_cbranch_execz .LBB295_2061
; %bb.2054:
	flat_load_u8 v7, v[10:11]
	s_mov_b32 s9, exec_lo
	s_wait_loadcnt_dscnt 0x0
	v_lshlrev_b32_e32 v9, 25, v7
	v_lshlrev_b16 v7, 8, v7
	s_delay_alu instid0(VALU_DEP_1) | instskip(SKIP_1) | instid1(VALU_DEP_2)
	v_and_or_b32 v13, 0x7f00, v7, 0.5
	v_bfe_i32 v7, v7, 0, 16
	v_add_f32_e32 v13, -0.5, v13
	v_lshrrev_b32_e32 v12, 4, v9
	v_cmp_gt_u32_e64 s0, 0x8000000, v9
	v_mov_b32_e32 v9, 0x80
	s_delay_alu instid0(VALU_DEP_3) | instskip(NEXT) | instid1(VALU_DEP_1)
	v_or_b32_e32 v12, 0x70000000, v12
	v_mul_f32_e32 v12, 0x7800000, v12
	s_delay_alu instid0(VALU_DEP_1) | instskip(NEXT) | instid1(VALU_DEP_1)
	v_cndmask_b32_e64 v13, v12, v13, s0
	v_and_or_b32 v7, 0x80000000, v7, v13
	s_delay_alu instid0(VALU_DEP_1) | instskip(SKIP_1) | instid1(VALU_DEP_1)
	v_and_b32_e32 v12, 0x7fffffff, v7
	s_wait_xcnt 0x0
	v_cmpx_gt_u32_e32 0x43800000, v12
	s_cbranch_execz .LBB295_2060
; %bb.2055:
	v_cmp_lt_u32_e64 s0, 0x3bffffff, v12
	s_mov_b32 s10, 0
                                        ; implicit-def: $vgpr12
	s_and_saveexec_b32 s11, s0
	s_delay_alu instid0(SALU_CYCLE_1)
	s_xor_b32 s0, exec_lo, s11
	s_cbranch_execz .LBB295_2400
; %bb.2056:
	v_bfe_u32 v9, v13, 20, 1
	s_mov_b32 s10, exec_lo
	s_delay_alu instid0(VALU_DEP_1) | instskip(NEXT) | instid1(VALU_DEP_1)
	v_add3_u32 v9, v7, v9, 0x487ffff
	v_lshrrev_b32_e32 v12, 20, v9
	s_and_not1_saveexec_b32 s11, s0
	s_cbranch_execnz .LBB295_2401
.LBB295_2057:
	s_or_b32 exec_lo, exec_lo, s11
	v_mov_b32_e32 v9, 0
	s_and_saveexec_b32 s0, s10
.LBB295_2058:
	v_lshrrev_b32_e32 v7, 24, v7
	s_delay_alu instid0(VALU_DEP_1)
	v_and_or_b32 v9, 0x80, v7, v12
.LBB295_2059:
	s_or_b32 exec_lo, exec_lo, s0
.LBB295_2060:
	s_delay_alu instid0(SALU_CYCLE_1)
	s_or_b32 exec_lo, exec_lo, s9
.LBB295_2061:
	s_delay_alu instid0(SALU_CYCLE_1) | instskip(NEXT) | instid1(SALU_CYCLE_1)
	s_or_b32 exec_lo, exec_lo, s8
	s_or_b32 s8, s5, exec_lo
.LBB295_2062:
	s_or_saveexec_b32 s4, s4
	s_mov_b32 s0, 0
	s_mov_b32 s9, s7
	s_xor_b32 exec_lo, exec_lo, s4
	s_cbranch_execz .LBB295_2076
; %bb.2063:
	s_mov_b32 s10, s7
	s_mov_b32 s11, s8
	s_mov_b32 s9, exec_lo
                                        ; implicit-def: $vgpr9
	v_cmpx_lt_i16_e32 14, v15
	s_xor_b32 s9, exec_lo, s9
	s_cbranch_execz .LBB295_2073
; %bb.2064:
	s_mov_b32 s11, -1
	s_mov_b32 s12, s8
	s_mov_b32 s10, exec_lo
                                        ; implicit-def: $vgpr9
	v_cmpx_eq_u16_e32 15, v15
	s_cbranch_execz .LBB295_2072
; %bb.2065:
	flat_load_u16 v7, v[10:11]
	s_wait_loadcnt_dscnt 0x101
	v_mov_b32_e32 v9, 0x80
	s_mov_b32 s11, exec_lo
	s_wait_loadcnt_dscnt 0x0
	v_lshlrev_b32_e32 v13, 16, v7
	s_delay_alu instid0(VALU_DEP_1) | instskip(SKIP_1) | instid1(VALU_DEP_1)
	v_and_b32_e32 v12, 0x7fffffff, v13
	s_wait_xcnt 0x0
	v_cmpx_gt_u32_e32 0x43800000, v12
	s_cbranch_execz .LBB295_2071
; %bb.2066:
	v_cmp_lt_u32_e64 s0, 0x3bffffff, v12
	s_mov_b32 s12, 0
                                        ; implicit-def: $vgpr12
	s_and_saveexec_b32 s13, s0
	s_delay_alu instid0(SALU_CYCLE_1)
	s_xor_b32 s0, exec_lo, s13
	s_cbranch_execz .LBB295_2495
; %bb.2067:
	v_bfe_u32 v9, v7, 4, 1
	s_mov_b32 s12, exec_lo
	s_delay_alu instid0(VALU_DEP_1) | instskip(NEXT) | instid1(VALU_DEP_1)
	v_add3_u32 v9, v13, v9, 0x487ffff
                                        ; implicit-def: $vgpr13
	v_lshrrev_b32_e32 v12, 20, v9
	s_and_not1_saveexec_b32 s13, s0
	s_cbranch_execnz .LBB295_2496
.LBB295_2068:
	s_or_b32 exec_lo, exec_lo, s13
	v_mov_b32_e32 v9, 0
	s_and_saveexec_b32 s0, s12
.LBB295_2069:
	v_lshrrev_b32_e32 v7, 8, v7
	s_delay_alu instid0(VALU_DEP_1)
	v_and_or_b32 v9, 0x80, v7, v12
.LBB295_2070:
	s_or_b32 exec_lo, exec_lo, s0
.LBB295_2071:
	s_delay_alu instid0(SALU_CYCLE_1) | instskip(NEXT) | instid1(SALU_CYCLE_1)
	s_or_b32 exec_lo, exec_lo, s11
	s_or_b32 s12, s8, exec_lo
	s_xor_b32 s11, exec_lo, -1
.LBB295_2072:
	s_or_b32 exec_lo, exec_lo, s10
	s_delay_alu instid0(SALU_CYCLE_1)
	s_and_not1_b32 s0, s8, exec_lo
	s_and_b32 s10, s12, exec_lo
	s_and_not1_b32 s12, s7, exec_lo
	s_and_b32 s13, s11, exec_lo
	s_or_b32 s11, s0, s10
	s_or_b32 s10, s12, s13
.LBB295_2073:
	s_or_saveexec_b32 s12, s9
	s_mov_b32 s9, 0
	s_xor_b32 exec_lo, exec_lo, s12
; %bb.2074:
	v_cmp_ne_u16_e64 s0, 11, v15
	s_and_not1_b32 s10, s10, exec_lo
	s_mov_b32 s9, exec_lo
	s_and_b32 s0, s0, exec_lo
	s_delay_alu instid0(SALU_CYCLE_1)
	s_or_b32 s10, s10, s0
; %bb.2075:
	s_or_b32 exec_lo, exec_lo, s12
	s_delay_alu instid0(SALU_CYCLE_1)
	s_and_not1_b32 s0, s8, exec_lo
	s_and_b32 s8, s11, exec_lo
	s_and_not1_b32 s11, s7, exec_lo
	s_and_b32 s10, s10, exec_lo
	s_or_b32 s8, s0, s8
	s_and_b32 s0, s9, exec_lo
	s_or_b32 s9, s11, s10
.LBB295_2076:
	s_or_b32 exec_lo, exec_lo, s4
	s_delay_alu instid0(SALU_CYCLE_1)
	s_and_not1_b32 s4, s5, exec_lo
	s_and_b32 s5, s8, exec_lo
	s_and_not1_b32 s7, s7, exec_lo
	s_and_b32 s8, s9, exec_lo
	s_or_b32 s5, s4, s5
	s_and_b32 s4, s0, exec_lo
	s_or_b32 s7, s7, s8
	s_or_b32 exec_lo, exec_lo, s6
	s_mov_b32 s6, s2
	s_and_saveexec_b32 s0, s7
	s_cbranch_execz .LBB295_633
.LBB295_2077:
	s_or_b32 s6, s2, exec_lo
	s_and_not1_b32 s4, s4, exec_lo
	s_trap 2
	s_or_b32 exec_lo, exec_lo, s0
	s_and_saveexec_b32 s0, s4
	s_delay_alu instid0(SALU_CYCLE_1)
	s_xor_b32 s4, exec_lo, s0
	s_cbranch_execnz .LBB295_634
	s_branch .LBB295_641
.LBB295_2078:
	s_and_not1_saveexec_b32 s2, s2
	s_cbranch_execz .LBB295_258
.LBB295_2079:
	s_mov_b32 s4, exec_lo
	v_cmpx_lt_i16_e32 4, v2
	s_xor_b32 s4, exec_lo, s4
	s_cbranch_execz .LBB295_2101
; %bb.2080:
	s_mov_b32 s5, exec_lo
	v_cmpx_lt_i16_e32 7, v2
	s_xor_b32 s5, exec_lo, s5
	s_cbranch_execz .LBB295_2090
; %bb.2081:
	;; [unrolled: 5-line block ×3, first 2 shown]
	v_cmp_lt_i16_e64 s0, 9, v2
	s_and_saveexec_b32 s7, s0
	s_delay_alu instid0(SALU_CYCLE_1)
	s_xor_b32 s0, exec_lo, s7
	s_cbranch_execz .LBB295_2084
; %bb.2083:
	v_cndmask_b32_e64 v2, 0, 1, vcc_lo
	v_mov_b32_e32 v4, 0
	s_delay_alu instid0(VALU_DEP_2) | instskip(NEXT) | instid1(VALU_DEP_2)
	v_cvt_f64_u32_e32 v[2:3], v2
	v_mov_b32_e32 v5, v4
	flat_store_b128 v[0:1], v[2:5]
                                        ; implicit-def: $vgpr0_vgpr1
.LBB295_2084:
	s_wait_xcnt 0x0
	s_and_not1_saveexec_b32 s0, s0
	s_cbranch_execz .LBB295_2086
; %bb.2085:
	v_cndmask_b32_e64 v2, 0, 1.0, vcc_lo
	v_mov_b32_e32 v3, 0
	flat_store_b64 v[0:1], v[2:3]
.LBB295_2086:
	s_wait_xcnt 0x0
	s_or_b32 exec_lo, exec_lo, s0
                                        ; implicit-def: $vgpr0_vgpr1
.LBB295_2087:
	s_and_not1_saveexec_b32 s0, s6
	s_cbranch_execz .LBB295_2089
; %bb.2088:
	v_cndmask_b32_e64 v2, 0, 1.0, vcc_lo
	s_delay_alu instid0(VALU_DEP_1) | instskip(NEXT) | instid1(VALU_DEP_1)
	v_cvt_f16_f32_e32 v2, v2
	v_and_b32_e32 v2, 0xffff, v2
	flat_store_b32 v[0:1], v2
.LBB295_2089:
	s_wait_xcnt 0x0
	s_or_b32 exec_lo, exec_lo, s0
                                        ; implicit-def: $vgpr0_vgpr1
                                        ; implicit-def: $vgpr2
.LBB295_2090:
	s_and_not1_saveexec_b32 s5, s5
	s_cbranch_execz .LBB295_2100
; %bb.2091:
	s_mov_b32 s6, exec_lo
	v_cmpx_lt_i16_e32 5, v2
	s_xor_b32 s6, exec_lo, s6
	s_cbranch_execz .LBB295_2097
; %bb.2092:
	v_cmp_lt_i16_e64 s0, 6, v2
	s_and_saveexec_b32 s7, s0
	s_delay_alu instid0(SALU_CYCLE_1)
	s_xor_b32 s0, exec_lo, s7
	s_cbranch_execz .LBB295_2094
; %bb.2093:
	v_cndmask_b32_e64 v2, 0, 1, vcc_lo
	s_delay_alu instid0(VALU_DEP_1)
	v_cvt_f64_u32_e32 v[2:3], v2
	flat_store_b64 v[0:1], v[2:3]
                                        ; implicit-def: $vgpr0_vgpr1
.LBB295_2094:
	s_wait_xcnt 0x0
	s_and_not1_saveexec_b32 s0, s0
	s_cbranch_execz .LBB295_2096
; %bb.2095:
	v_cndmask_b32_e64 v2, 0, 1.0, vcc_lo
	flat_store_b32 v[0:1], v2
.LBB295_2096:
	s_wait_xcnt 0x0
	s_or_b32 exec_lo, exec_lo, s0
                                        ; implicit-def: $vgpr0_vgpr1
.LBB295_2097:
	s_and_not1_saveexec_b32 s0, s6
	s_cbranch_execz .LBB295_2099
; %bb.2098:
	v_cndmask_b32_e64 v2, 0, 1.0, vcc_lo
	s_delay_alu instid0(VALU_DEP_1)
	v_cvt_f16_f32_e32 v2, v2
	flat_store_b16 v[0:1], v2
.LBB295_2099:
	s_wait_xcnt 0x0
	s_or_b32 exec_lo, exec_lo, s0
.LBB295_2100:
	s_delay_alu instid0(SALU_CYCLE_1)
	s_or_b32 exec_lo, exec_lo, s5
                                        ; implicit-def: $vgpr2
                                        ; implicit-def: $vgpr0_vgpr1
.LBB295_2101:
	s_and_not1_saveexec_b32 s4, s4
	s_cbranch_execz .LBB295_2119
; %bb.2102:
	s_mov_b32 s5, exec_lo
	v_cmpx_lt_i16_e32 1, v2
	s_xor_b32 s5, exec_lo, s5
	s_cbranch_execz .LBB295_2112
; %bb.2103:
	s_mov_b32 s6, exec_lo
	v_cmpx_lt_i16_e32 2, v2
	s_xor_b32 s6, exec_lo, s6
	s_cbranch_execz .LBB295_2109
; %bb.2104:
	v_cmp_lt_i16_e64 s0, 3, v2
	s_and_saveexec_b32 s7, s0
	s_delay_alu instid0(SALU_CYCLE_1)
	s_xor_b32 s0, exec_lo, s7
	s_cbranch_execz .LBB295_2106
; %bb.2105:
	s_mov_b32 s7, 0
	v_cndmask_b32_e64 v2, 0, 1, vcc_lo
	v_mov_b32_e32 v3, s7
	flat_store_b64 v[0:1], v[2:3]
                                        ; implicit-def: $vgpr0_vgpr1
.LBB295_2106:
	s_wait_xcnt 0x0
	s_and_not1_saveexec_b32 s0, s0
	s_cbranch_execz .LBB295_2108
; %bb.2107:
	v_cndmask_b32_e64 v2, 0, 1, vcc_lo
	flat_store_b32 v[0:1], v2
.LBB295_2108:
	s_wait_xcnt 0x0
	s_or_b32 exec_lo, exec_lo, s0
                                        ; implicit-def: $vgpr0_vgpr1
.LBB295_2109:
	s_and_not1_saveexec_b32 s0, s6
	s_cbranch_execz .LBB295_2111
; %bb.2110:
	v_cndmask_b32_e64 v2, 0, 1, vcc_lo
	flat_store_b16 v[0:1], v2
.LBB295_2111:
	s_wait_xcnt 0x0
	s_or_b32 exec_lo, exec_lo, s0
                                        ; implicit-def: $vgpr0_vgpr1
                                        ; implicit-def: $vgpr2
.LBB295_2112:
	s_and_not1_saveexec_b32 s5, s5
	s_cbranch_execz .LBB295_2118
; %bb.2113:
	v_cmp_lt_i16_e64 s0, 0, v2
	v_cndmask_b32_e64 v2, 0, 1, vcc_lo
	s_and_saveexec_b32 s6, s0
	s_delay_alu instid0(SALU_CYCLE_1)
	s_xor_b32 s0, exec_lo, s6
	s_cbranch_execz .LBB295_2115
; %bb.2114:
	flat_store_b8 v[0:1], v2
                                        ; implicit-def: $vgpr0_vgpr1
                                        ; implicit-def: $vgpr2
.LBB295_2115:
	s_wait_xcnt 0x0
	s_and_not1_saveexec_b32 s0, s0
	s_cbranch_execz .LBB295_2117
; %bb.2116:
	flat_store_b8 v[0:1], v2
.LBB295_2117:
	s_wait_xcnt 0x0
	s_or_b32 exec_lo, exec_lo, s0
.LBB295_2118:
	s_delay_alu instid0(SALU_CYCLE_1)
	s_or_b32 exec_lo, exec_lo, s5
.LBB295_2119:
	s_delay_alu instid0(SALU_CYCLE_1) | instskip(NEXT) | instid1(SALU_CYCLE_1)
	s_or_b32 exec_lo, exec_lo, s4
	s_or_b32 s1, s1, exec_lo
	s_or_b32 exec_lo, exec_lo, s2
	s_mov_b32 s0, 0
	s_and_saveexec_b32 s2, s1
	s_cbranch_execnz .LBB295_259
	s_branch .LBB295_260
.LBB295_2120:
	s_and_not1_saveexec_b32 s7, s0
	s_cbranch_execz .LBB295_459
.LBB295_2121:
	v_add_f32_e32 v2, 0x46000000, v3
	s_and_not1_b32 s6, s6, exec_lo
	s_delay_alu instid0(VALU_DEP_1) | instskip(NEXT) | instid1(VALU_DEP_1)
	v_and_b32_e32 v2, 0xff, v2
	v_cmp_ne_u32_e64 s0, 0, v2
	s_and_b32 s0, s0, exec_lo
	s_delay_alu instid0(SALU_CYCLE_1)
	s_or_b32 s6, s6, s0
	s_or_b32 exec_lo, exec_lo, s7
	v_mov_b32_e32 v21, 0
	s_and_saveexec_b32 s0, s6
	s_cbranch_execnz .LBB295_460
	s_branch .LBB295_461
.LBB295_2122:
	s_or_saveexec_b32 s8, s8
	v_mov_b32_e32 v7, 0x7f800001
	s_xor_b32 exec_lo, exec_lo, s8
	s_cbranch_execz .LBB295_756
.LBB295_2123:
	v_cmp_ne_u16_e64 s1, 0, v10
	v_mov_b32_e32 v7, 0
	s_and_not1_b32 s7, s7, exec_lo
	s_and_b32 s1, s1, exec_lo
	s_delay_alu instid0(SALU_CYCLE_1)
	s_or_b32 s7, s7, s1
	s_or_b32 exec_lo, exec_lo, s8
	s_and_saveexec_b32 s8, s7
	s_cbranch_execnz .LBB295_757
	s_branch .LBB295_758
.LBB295_2124:
	s_or_saveexec_b32 s8, s8
	v_mov_b32_e32 v10, 0x7f800001
	s_xor_b32 exec_lo, exec_lo, s8
	s_cbranch_execz .LBB295_762
.LBB295_2125:
	v_cmp_ne_u16_e64 s1, 0, v11
	v_mov_b32_e32 v10, 0
	s_and_not1_b32 s7, s7, exec_lo
	s_and_b32 s1, s1, exec_lo
	s_delay_alu instid0(SALU_CYCLE_1)
	s_or_b32 s7, s7, s1
	s_or_b32 exec_lo, exec_lo, s8
	s_and_saveexec_b32 s8, s7
	s_cbranch_execnz .LBB295_763
	s_branch .LBB295_764
.LBB295_2126:
	s_or_saveexec_b32 s9, s9
	v_mov_b32_e32 v7, 0x7f800001
	s_xor_b32 exec_lo, exec_lo, s9
	s_cbranch_execz .LBB295_770
.LBB295_2127:
	v_cmp_ne_u16_e64 s1, 0, v10
	v_mov_b32_e32 v7, 0
	s_and_not1_b32 s8, s8, exec_lo
	s_and_b32 s1, s1, exec_lo
	s_delay_alu instid0(SALU_CYCLE_1)
	s_or_b32 s8, s8, s1
	s_or_b32 exec_lo, exec_lo, s9
	s_and_saveexec_b32 s9, s8
	s_cbranch_execnz .LBB295_771
	s_branch .LBB295_772
.LBB295_2128:
	s_or_saveexec_b32 s9, s9
	v_mov_b32_e32 v10, 0x7f800001
	s_xor_b32 exec_lo, exec_lo, s9
	s_cbranch_execz .LBB295_776
.LBB295_2129:
	v_cmp_ne_u16_e64 s1, 0, v11
	v_mov_b32_e32 v10, 0
	s_and_not1_b32 s8, s8, exec_lo
	s_and_b32 s1, s1, exec_lo
	s_delay_alu instid0(SALU_CYCLE_1)
	s_or_b32 s8, s8, s1
	s_or_b32 exec_lo, exec_lo, s9
	s_and_saveexec_b32 s9, s8
	s_cbranch_execnz .LBB295_777
	s_branch .LBB295_778
.LBB295_2130:
	s_and_not1_saveexec_b32 s10, s10
	s_cbranch_execz .LBB295_838
.LBB295_2131:
	s_mov_b32 s12, s9
	s_mov_b32 s6, exec_lo
                                        ; implicit-def: $vgpr19
	v_cmpx_lt_i16_e32 22, v18
	s_xor_b32 s6, exec_lo, s6
	s_cbranch_execz .LBB295_2165
; %bb.2132:
	s_mov_b32 s12, exec_lo
                                        ; implicit-def: $vgpr19
	v_cmpx_lt_i16_e32 23, v18
	s_xor_b32 s12, exec_lo, s12
	s_cbranch_execz .LBB295_2156
; %bb.2133:
	;; [unrolled: 6-line block ×3, first 2 shown]
	flat_load_u8 v11, v[6:7]
	s_mov_b32 s14, 0
	s_mov_b32 s17, exec_lo
	s_wait_loadcnt_dscnt 0x0
	v_cmpx_lt_i16_e32 0x7f, v11
	s_xor_b32 s17, exec_lo, s17
	s_cbranch_execz .LBB295_2497
; %bb.2135:
	s_mov_b32 s14, -1
	s_mov_b32 s18, exec_lo
	v_cmpx_eq_u16_e32 0x80, v11
; %bb.2136:
	s_xor_b32 s14, exec_lo, -1
; %bb.2137:
	s_or_b32 exec_lo, exec_lo, s18
	s_delay_alu instid0(SALU_CYCLE_1)
	s_and_b32 s14, s14, exec_lo
	s_or_saveexec_b32 s17, s17
	v_mov_b32_e32 v9, 0x7f800001
	s_xor_b32 exec_lo, exec_lo, s17
	s_cbranch_execnz .LBB295_2498
.LBB295_2138:
	s_or_b32 exec_lo, exec_lo, s17
	s_and_saveexec_b32 s17, s14
	s_cbranch_execz .LBB295_2140
.LBB295_2139:
	v_and_b32_e32 v9, 0xffff, v11
	s_delay_alu instid0(VALU_DEP_1) | instskip(SKIP_1) | instid1(VALU_DEP_2)
	v_dual_lshlrev_b32 v11, 24, v11 :: v_dual_bitop2_b32 v12, 3, v9 bitop3:0x40
	v_bfe_u32 v21, v9, 2, 5
	v_and_b32_e32 v11, 0x80000000, v11
	s_delay_alu instid0(VALU_DEP_3) | instskip(NEXT) | instid1(VALU_DEP_3)
	v_clz_i32_u32_e32 v13, v12
	v_cmp_eq_u32_e64 s1, 0, v21
	s_delay_alu instid0(VALU_DEP_2) | instskip(NEXT) | instid1(VALU_DEP_1)
	v_min_u32_e32 v13, 32, v13
	v_subrev_nc_u32_e32 v19, 29, v13
	v_sub_nc_u32_e32 v13, 30, v13
	s_delay_alu instid0(VALU_DEP_2) | instskip(NEXT) | instid1(VALU_DEP_2)
	v_lshlrev_b32_e32 v9, v19, v9
	v_cndmask_b32_e64 v13, v21, v13, s1
	s_delay_alu instid0(VALU_DEP_2) | instskip(NEXT) | instid1(VALU_DEP_1)
	v_and_b32_e32 v9, 3, v9
	v_cndmask_b32_e64 v9, v12, v9, s1
	s_delay_alu instid0(VALU_DEP_3) | instskip(NEXT) | instid1(VALU_DEP_2)
	v_lshl_add_u32 v12, v13, 23, 0x37800000
	v_lshlrev_b32_e32 v9, 21, v9
	s_delay_alu instid0(VALU_DEP_1)
	v_or3_b32 v9, v11, v12, v9
.LBB295_2140:
	s_or_b32 exec_lo, exec_lo, s17
	s_delay_alu instid0(VALU_DEP_1) | instskip(SKIP_2) | instid1(VALU_DEP_2)
	v_and_b32_e32 v11, 0x7fffffff, v9
	v_mov_b32_e32 v19, 0x80
	s_mov_b32 s14, exec_lo
	v_cmpx_gt_u32_e32 0x43800000, v11
	s_cbranch_execz .LBB295_2146
; %bb.2141:
	v_cmp_lt_u32_e64 s1, 0x3bffffff, v11
	s_mov_b32 s17, 0
                                        ; implicit-def: $vgpr11
	s_and_saveexec_b32 s18, s1
	s_delay_alu instid0(SALU_CYCLE_1)
	s_xor_b32 s1, exec_lo, s18
	s_cbranch_execz .LBB295_2582
; %bb.2142:
	v_bfe_u32 v11, v9, 20, 1
	s_mov_b32 s17, exec_lo
	s_delay_alu instid0(VALU_DEP_1) | instskip(NEXT) | instid1(VALU_DEP_1)
	v_add3_u32 v11, v9, v11, 0x487ffff
	v_lshrrev_b32_e32 v11, 20, v11
	s_and_not1_saveexec_b32 s18, s1
	s_cbranch_execnz .LBB295_2583
.LBB295_2143:
	s_or_b32 exec_lo, exec_lo, s18
	v_mov_b32_e32 v19, 0
	s_and_saveexec_b32 s1, s17
.LBB295_2144:
	v_lshrrev_b32_e32 v9, 24, v9
	s_delay_alu instid0(VALU_DEP_1)
	v_and_or_b32 v19, 0x80, v9, v11
.LBB295_2145:
	s_or_b32 exec_lo, exec_lo, s1
.LBB295_2146:
	s_delay_alu instid0(SALU_CYCLE_1)
	s_or_b32 exec_lo, exec_lo, s14
.LBB295_2147:
	s_and_not1_saveexec_b32 s13, s13
	s_cbranch_execz .LBB295_2155
; %bb.2148:
	s_wait_loadcnt_dscnt 0x0
	flat_load_u8 v9, v[6:7]
	s_mov_b32 s17, 0
	s_mov_b32 s14, exec_lo
	s_wait_loadcnt_dscnt 0x0
	v_lshlrev_b32_e32 v9, 24, v9
	s_delay_alu instid0(VALU_DEP_1) | instskip(NEXT) | instid1(VALU_DEP_1)
	v_and_b32_e32 v11, 0x7f000000, v9
	v_clz_i32_u32_e32 v12, v11
	v_add_nc_u32_e32 v19, 0x1000000, v11
	v_cmp_ne_u32_e64 s1, 0, v11
	s_delay_alu instid0(VALU_DEP_3) | instskip(NEXT) | instid1(VALU_DEP_1)
	v_min_u32_e32 v12, 32, v12
	v_sub_nc_u32_e64 v12, v12, 4 clamp
	s_delay_alu instid0(VALU_DEP_1) | instskip(NEXT) | instid1(VALU_DEP_1)
	v_dual_lshlrev_b32 v13, v12, v11 :: v_dual_lshlrev_b32 v12, 23, v12
	v_lshrrev_b32_e32 v13, 4, v13
	s_delay_alu instid0(VALU_DEP_1) | instskip(SKIP_1) | instid1(VALU_DEP_2)
	v_dual_sub_nc_u32 v12, v13, v12 :: v_dual_ashrrev_i32 v13, 8, v19
	v_mov_b32_e32 v19, 0x80
	v_add_nc_u32_e32 v12, 0x3c000000, v12
	s_delay_alu instid0(VALU_DEP_1) | instskip(NEXT) | instid1(VALU_DEP_1)
	v_and_or_b32 v12, 0x7f800000, v13, v12
	v_cndmask_b32_e64 v12, 0, v12, s1
	s_delay_alu instid0(VALU_DEP_1) | instskip(NEXT) | instid1(VALU_DEP_1)
	v_and_or_b32 v9, 0x80000000, v9, v12
	v_and_b32_e32 v11, 0x7fffffff, v9
	s_wait_xcnt 0x0
	s_delay_alu instid0(VALU_DEP_1)
	v_cmpx_gt_u32_e32 0x43800000, v11
	s_cbranch_execz .LBB295_2154
; %bb.2149:
	v_cmp_lt_u32_e64 s1, 0x3bffffff, v11
                                        ; implicit-def: $vgpr11
	s_and_saveexec_b32 s18, s1
	s_delay_alu instid0(SALU_CYCLE_1)
	s_xor_b32 s1, exec_lo, s18
	s_cbranch_execz .LBB295_2584
; %bb.2150:
	v_bfe_u32 v11, v12, 20, 1
	s_mov_b32 s17, exec_lo
	s_delay_alu instid0(VALU_DEP_1) | instskip(NEXT) | instid1(VALU_DEP_1)
	v_add3_u32 v11, v9, v11, 0x487ffff
	v_lshrrev_b32_e32 v11, 20, v11
	s_and_not1_saveexec_b32 s18, s1
	s_cbranch_execnz .LBB295_2585
.LBB295_2151:
	s_or_b32 exec_lo, exec_lo, s18
	v_mov_b32_e32 v19, 0
	s_and_saveexec_b32 s1, s17
.LBB295_2152:
	v_lshrrev_b32_e32 v9, 24, v9
	s_delay_alu instid0(VALU_DEP_1)
	v_and_or_b32 v19, 0x80, v9, v11
.LBB295_2153:
	s_or_b32 exec_lo, exec_lo, s1
.LBB295_2154:
	s_delay_alu instid0(SALU_CYCLE_1)
	s_or_b32 exec_lo, exec_lo, s14
.LBB295_2155:
	s_delay_alu instid0(SALU_CYCLE_1)
	s_or_b32 exec_lo, exec_lo, s13
.LBB295_2156:
	s_and_not1_saveexec_b32 s12, s12
	s_cbranch_execz .LBB295_2164
; %bb.2157:
	s_wait_loadcnt_dscnt 0x0
	flat_load_u8 v9, v[6:7]
	v_mov_b32_e32 v19, 0x80
	s_mov_b32 s13, exec_lo
	s_wait_loadcnt_dscnt 0x0
	v_lshlrev_b32_e32 v11, 25, v9
	v_lshlrev_b16 v9, 8, v9
	s_delay_alu instid0(VALU_DEP_1) | instskip(NEXT) | instid1(VALU_DEP_3)
	v_and_or_b32 v13, 0x7f00, v9, 0.5
	v_lshrrev_b32_e32 v12, 4, v11
	v_bfe_i32 v9, v9, 0, 16
	s_delay_alu instid0(VALU_DEP_3) | instskip(NEXT) | instid1(VALU_DEP_3)
	v_add_f32_e32 v13, -0.5, v13
	v_or_b32_e32 v12, 0x70000000, v12
	s_delay_alu instid0(VALU_DEP_1) | instskip(SKIP_1) | instid1(VALU_DEP_1)
	v_mul_f32_e32 v12, 0x7800000, v12
	v_cmp_gt_u32_e64 s1, 0x8000000, v11
	v_cndmask_b32_e64 v12, v12, v13, s1
	s_delay_alu instid0(VALU_DEP_1) | instskip(NEXT) | instid1(VALU_DEP_1)
	v_and_or_b32 v9, 0x80000000, v9, v12
	v_and_b32_e32 v11, 0x7fffffff, v9
	s_wait_xcnt 0x0
	s_delay_alu instid0(VALU_DEP_1)
	v_cmpx_gt_u32_e32 0x43800000, v11
	s_cbranch_execz .LBB295_2163
; %bb.2158:
	v_cmp_lt_u32_e64 s1, 0x3bffffff, v11
	s_mov_b32 s14, 0
                                        ; implicit-def: $vgpr11
	s_and_saveexec_b32 s17, s1
	s_delay_alu instid0(SALU_CYCLE_1)
	s_xor_b32 s1, exec_lo, s17
	s_cbranch_execz .LBB295_2499
; %bb.2159:
	v_bfe_u32 v11, v12, 20, 1
	s_mov_b32 s14, exec_lo
	s_delay_alu instid0(VALU_DEP_1) | instskip(NEXT) | instid1(VALU_DEP_1)
	v_add3_u32 v11, v9, v11, 0x487ffff
	v_lshrrev_b32_e32 v11, 20, v11
	s_and_not1_saveexec_b32 s17, s1
	s_cbranch_execnz .LBB295_2500
.LBB295_2160:
	s_or_b32 exec_lo, exec_lo, s17
	v_mov_b32_e32 v19, 0
	s_and_saveexec_b32 s1, s14
.LBB295_2161:
	v_lshrrev_b32_e32 v9, 24, v9
	s_delay_alu instid0(VALU_DEP_1)
	v_and_or_b32 v19, 0x80, v9, v11
.LBB295_2162:
	s_or_b32 exec_lo, exec_lo, s1
.LBB295_2163:
	s_delay_alu instid0(SALU_CYCLE_1)
	s_or_b32 exec_lo, exec_lo, s13
.LBB295_2164:
	s_delay_alu instid0(SALU_CYCLE_1) | instskip(NEXT) | instid1(SALU_CYCLE_1)
	s_or_b32 exec_lo, exec_lo, s12
	s_or_b32 s12, s9, exec_lo
.LBB295_2165:
	s_or_saveexec_b32 s6, s6
	s_mov_b32 s1, 0
	s_mov_b32 s13, s11
	s_xor_b32 exec_lo, exec_lo, s6
	s_cbranch_execz .LBB295_2179
; %bb.2166:
	s_mov_b32 s14, s11
	s_mov_b32 s17, s12
	s_mov_b32 s13, exec_lo
                                        ; implicit-def: $vgpr19
	v_cmpx_lt_i16_e32 14, v18
	s_xor_b32 s13, exec_lo, s13
	s_cbranch_execz .LBB295_2176
; %bb.2167:
	s_mov_b32 s17, -1
	s_mov_b32 s18, s12
	s_mov_b32 s14, exec_lo
                                        ; implicit-def: $vgpr19
	v_cmpx_eq_u16_e32 15, v18
	s_cbranch_execz .LBB295_2175
; %bb.2168:
	s_wait_loadcnt_dscnt 0x0
	flat_load_u16 v9, v[6:7]
	s_mov_b32 s17, exec_lo
	s_wait_loadcnt_dscnt 0x0
	v_dual_mov_b32 v19, 0x80 :: v_dual_lshlrev_b32 v12, 16, v9
	s_delay_alu instid0(VALU_DEP_1) | instskip(SKIP_1) | instid1(VALU_DEP_1)
	v_and_b32_e32 v11, 0x7fffffff, v12
	s_wait_xcnt 0x0
	v_cmpx_gt_u32_e32 0x43800000, v11
	s_cbranch_execz .LBB295_2174
; %bb.2169:
	v_cmp_lt_u32_e64 s1, 0x3bffffff, v11
	s_mov_b32 s18, 0
                                        ; implicit-def: $vgpr11
	s_and_saveexec_b32 s19, s1
	s_delay_alu instid0(SALU_CYCLE_1)
	s_xor_b32 s1, exec_lo, s19
	s_cbranch_execz .LBB295_2586
; %bb.2170:
	v_bfe_u32 v11, v9, 4, 1
	s_mov_b32 s18, exec_lo
	s_delay_alu instid0(VALU_DEP_1) | instskip(NEXT) | instid1(VALU_DEP_1)
	v_add3_u32 v11, v12, v11, 0x487ffff
                                        ; implicit-def: $vgpr12
	v_lshrrev_b32_e32 v11, 20, v11
	s_and_not1_saveexec_b32 s19, s1
	s_cbranch_execnz .LBB295_2587
.LBB295_2171:
	s_or_b32 exec_lo, exec_lo, s19
	v_mov_b32_e32 v19, 0
	s_and_saveexec_b32 s1, s18
.LBB295_2172:
	v_lshrrev_b32_e32 v9, 8, v9
	s_delay_alu instid0(VALU_DEP_1)
	v_and_or_b32 v19, 0x80, v9, v11
.LBB295_2173:
	s_or_b32 exec_lo, exec_lo, s1
.LBB295_2174:
	s_delay_alu instid0(SALU_CYCLE_1) | instskip(NEXT) | instid1(SALU_CYCLE_1)
	s_or_b32 exec_lo, exec_lo, s17
	s_or_b32 s18, s12, exec_lo
	s_xor_b32 s17, exec_lo, -1
.LBB295_2175:
	s_or_b32 exec_lo, exec_lo, s14
	s_delay_alu instid0(SALU_CYCLE_1)
	s_and_not1_b32 s1, s12, exec_lo
	s_and_b32 s14, s18, exec_lo
	s_and_not1_b32 s18, s11, exec_lo
	s_and_b32 s19, s17, exec_lo
	s_or_b32 s17, s1, s14
	s_or_b32 s14, s18, s19
.LBB295_2176:
	s_or_saveexec_b32 s18, s13
	s_mov_b32 s13, 0
	s_xor_b32 exec_lo, exec_lo, s18
; %bb.2177:
	v_cmp_ne_u16_e64 s1, 11, v18
	s_and_not1_b32 s14, s14, exec_lo
	s_mov_b32 s13, exec_lo
	s_and_b32 s1, s1, exec_lo
	s_delay_alu instid0(SALU_CYCLE_1)
	s_or_b32 s14, s14, s1
; %bb.2178:
	s_or_b32 exec_lo, exec_lo, s18
	s_delay_alu instid0(SALU_CYCLE_1)
	s_and_not1_b32 s1, s12, exec_lo
	s_and_b32 s12, s17, exec_lo
	s_and_not1_b32 s17, s11, exec_lo
	s_and_b32 s14, s14, exec_lo
	s_or_b32 s12, s1, s12
	s_and_b32 s1, s13, exec_lo
	s_or_b32 s13, s17, s14
.LBB295_2179:
	s_or_b32 exec_lo, exec_lo, s6
	s_delay_alu instid0(SALU_CYCLE_1)
	s_and_not1_b32 s6, s9, exec_lo
	s_and_b32 s9, s12, exec_lo
	s_and_not1_b32 s11, s11, exec_lo
	s_and_b32 s12, s13, exec_lo
	s_or_b32 s9, s6, s9
	s_and_b32 s6, s1, exec_lo
	s_or_b32 s11, s11, s12
	s_or_b32 exec_lo, exec_lo, s10
	s_mov_b32 s10, s4
	s_and_saveexec_b32 s1, s11
	s_cbranch_execz .LBB295_839
.LBB295_2180:
	s_or_b32 s10, s4, exec_lo
	s_and_not1_b32 s6, s6, exec_lo
	s_trap 2
	s_or_b32 exec_lo, exec_lo, s1
	s_and_saveexec_b32 s1, s6
	s_delay_alu instid0(SALU_CYCLE_1)
	s_xor_b32 s6, exec_lo, s1
	s_cbranch_execnz .LBB295_840
	s_branch .LBB295_847
.LBB295_2181:
	s_and_not1_saveexec_b32 s9, s0
	s_cbranch_execz .LBB295_637
.LBB295_2182:
	v_add_f32_e32 v7, 0x46000000, v10
	s_and_not1_b32 s8, s8, exec_lo
	s_delay_alu instid0(VALU_DEP_1) | instskip(NEXT) | instid1(VALU_DEP_1)
	v_and_b32_e32 v7, 0xff, v7
	v_cmp_ne_u32_e64 s0, 0, v7
	s_and_b32 s0, s0, exec_lo
	s_delay_alu instid0(SALU_CYCLE_1)
	s_or_b32 s8, s8, s0
	s_or_b32 exec_lo, exec_lo, s9
	v_mov_b32_e32 v9, 0
	s_and_saveexec_b32 s0, s8
	s_cbranch_execnz .LBB295_638
	s_branch .LBB295_639
.LBB295_2183:
	s_and_not1_saveexec_b32 s12, s12
	s_cbranch_execz .LBB295_1016
.LBB295_2184:
	s_mov_b32 s14, s11
	s_mov_b32 s9, exec_lo
                                        ; implicit-def: $vgpr20
	v_cmpx_lt_i16_e32 22, v15
	s_xor_b32 s9, exec_lo, s9
	s_cbranch_execz .LBB295_2218
; %bb.2185:
	s_mov_b32 s14, exec_lo
                                        ; implicit-def: $vgpr20
	v_cmpx_lt_i16_e32 23, v15
	s_xor_b32 s14, exec_lo, s14
	s_cbranch_execz .LBB295_2209
; %bb.2186:
	;; [unrolled: 6-line block ×3, first 2 shown]
	flat_load_u8 v12, v[8:9]
	s_mov_b32 s18, 0
	s_mov_b32 s19, exec_lo
	s_wait_loadcnt_dscnt 0x0
	v_cmpx_lt_i16_e32 0x7f, v12
	s_xor_b32 s19, exec_lo, s19
	s_cbranch_execz .LBB295_2588
; %bb.2188:
	s_mov_b32 s18, -1
	s_mov_b32 s20, exec_lo
	v_cmpx_eq_u16_e32 0x80, v12
; %bb.2189:
	s_xor_b32 s18, exec_lo, -1
; %bb.2190:
	s_or_b32 exec_lo, exec_lo, s20
	s_delay_alu instid0(SALU_CYCLE_1)
	s_and_b32 s18, s18, exec_lo
	s_or_saveexec_b32 s19, s19
	v_mov_b32_e32 v7, 0x7f800001
	s_xor_b32 exec_lo, exec_lo, s19
	s_cbranch_execnz .LBB295_2589
.LBB295_2191:
	s_or_b32 exec_lo, exec_lo, s19
	s_and_saveexec_b32 s19, s18
	s_cbranch_execz .LBB295_2193
.LBB295_2192:
	v_and_b32_e32 v7, 0xffff, v12
	s_delay_alu instid0(VALU_DEP_1) | instskip(SKIP_1) | instid1(VALU_DEP_2)
	v_and_b32_e32 v13, 3, v7
	v_bfe_u32 v22, v7, 2, 5
	v_clz_i32_u32_e32 v20, v13
	s_delay_alu instid0(VALU_DEP_2) | instskip(NEXT) | instid1(VALU_DEP_2)
	v_cmp_eq_u32_e64 s1, 0, v22
	v_min_u32_e32 v20, 32, v20
	s_delay_alu instid0(VALU_DEP_1) | instskip(NEXT) | instid1(VALU_DEP_1)
	v_subrev_nc_u32_e32 v21, 29, v20
	v_dual_lshlrev_b32 v7, v21, v7 :: v_dual_sub_nc_u32 v20, 30, v20
	s_delay_alu instid0(VALU_DEP_1) | instskip(NEXT) | instid1(VALU_DEP_1)
	v_dual_lshlrev_b32 v12, 24, v12 :: v_dual_bitop2_b32 v7, 3, v7 bitop3:0x40
	v_dual_cndmask_b32 v7, v13, v7, s1 :: v_dual_cndmask_b32 v20, v22, v20, s1
	s_delay_alu instid0(VALU_DEP_2) | instskip(NEXT) | instid1(VALU_DEP_2)
	v_and_b32_e32 v12, 0x80000000, v12
	v_lshlrev_b32_e32 v7, 21, v7
	s_delay_alu instid0(VALU_DEP_3) | instskip(NEXT) | instid1(VALU_DEP_1)
	v_lshl_add_u32 v13, v20, 23, 0x37800000
	v_or3_b32 v7, v12, v13, v7
.LBB295_2193:
	s_or_b32 exec_lo, exec_lo, s19
	s_delay_alu instid0(VALU_DEP_1) | instskip(SKIP_2) | instid1(VALU_DEP_2)
	v_and_b32_e32 v12, 0x7fffffff, v7
	v_mov_b32_e32 v20, 0x80
	s_mov_b32 s18, exec_lo
	v_cmpx_gt_u32_e32 0x43800000, v12
	s_cbranch_execz .LBB295_2199
; %bb.2194:
	v_cmp_lt_u32_e64 s1, 0x3bffffff, v12
	s_mov_b32 s19, 0
                                        ; implicit-def: $vgpr12
	s_and_saveexec_b32 s20, s1
	s_delay_alu instid0(SALU_CYCLE_1)
	s_xor_b32 s1, exec_lo, s20
	s_cbranch_execz .LBB295_2671
; %bb.2195:
	v_bfe_u32 v12, v7, 20, 1
	s_mov_b32 s19, exec_lo
	s_delay_alu instid0(VALU_DEP_1) | instskip(NEXT) | instid1(VALU_DEP_1)
	v_add3_u32 v12, v7, v12, 0x487ffff
	v_lshrrev_b32_e32 v12, 20, v12
	s_and_not1_saveexec_b32 s20, s1
	s_cbranch_execnz .LBB295_2672
.LBB295_2196:
	s_or_b32 exec_lo, exec_lo, s20
	v_mov_b32_e32 v20, 0
	s_and_saveexec_b32 s1, s19
.LBB295_2197:
	v_lshrrev_b32_e32 v7, 24, v7
	s_delay_alu instid0(VALU_DEP_1)
	v_and_or_b32 v20, 0x80, v7, v12
.LBB295_2198:
	s_or_b32 exec_lo, exec_lo, s1
.LBB295_2199:
	s_delay_alu instid0(SALU_CYCLE_1)
	s_or_b32 exec_lo, exec_lo, s18
.LBB295_2200:
	s_and_not1_saveexec_b32 s17, s17
	s_cbranch_execz .LBB295_2208
; %bb.2201:
	flat_load_u8 v7, v[8:9]
	s_mov_b32 s19, 0
	s_mov_b32 s18, exec_lo
	s_wait_loadcnt_dscnt 0x0
	v_lshlrev_b32_e32 v7, 24, v7
	s_delay_alu instid0(VALU_DEP_1) | instskip(NEXT) | instid1(VALU_DEP_1)
	v_and_b32_e32 v12, 0x7f000000, v7
	v_clz_i32_u32_e32 v13, v12
	v_add_nc_u32_e32 v21, 0x1000000, v12
	v_cmp_ne_u32_e64 s1, 0, v12
	s_delay_alu instid0(VALU_DEP_3) | instskip(NEXT) | instid1(VALU_DEP_1)
	v_min_u32_e32 v13, 32, v13
	v_sub_nc_u32_e64 v13, v13, 4 clamp
	s_delay_alu instid0(VALU_DEP_1) | instskip(NEXT) | instid1(VALU_DEP_1)
	v_dual_lshlrev_b32 v20, v13, v12 :: v_dual_lshlrev_b32 v13, 23, v13
	v_lshrrev_b32_e32 v20, 4, v20
	s_delay_alu instid0(VALU_DEP_1) | instskip(SKIP_1) | instid1(VALU_DEP_2)
	v_sub_nc_u32_e32 v13, v20, v13
	v_ashrrev_i32_e32 v20, 8, v21
	v_add_nc_u32_e32 v13, 0x3c000000, v13
	s_delay_alu instid0(VALU_DEP_1) | instskip(SKIP_1) | instid1(VALU_DEP_2)
	v_and_or_b32 v13, 0x7f800000, v20, v13
	v_mov_b32_e32 v20, 0x80
	v_cndmask_b32_e64 v13, 0, v13, s1
	s_delay_alu instid0(VALU_DEP_1) | instskip(NEXT) | instid1(VALU_DEP_1)
	v_and_or_b32 v7, 0x80000000, v7, v13
	v_and_b32_e32 v12, 0x7fffffff, v7
	s_wait_xcnt 0x0
	s_delay_alu instid0(VALU_DEP_1)
	v_cmpx_gt_u32_e32 0x43800000, v12
	s_cbranch_execz .LBB295_2207
; %bb.2202:
	v_cmp_lt_u32_e64 s1, 0x3bffffff, v12
                                        ; implicit-def: $vgpr12
	s_and_saveexec_b32 s20, s1
	s_delay_alu instid0(SALU_CYCLE_1)
	s_xor_b32 s1, exec_lo, s20
	s_cbranch_execz .LBB295_2673
; %bb.2203:
	v_bfe_u32 v12, v13, 20, 1
	s_mov_b32 s19, exec_lo
	s_delay_alu instid0(VALU_DEP_1) | instskip(NEXT) | instid1(VALU_DEP_1)
	v_add3_u32 v12, v7, v12, 0x487ffff
	v_lshrrev_b32_e32 v12, 20, v12
	s_and_not1_saveexec_b32 s20, s1
	s_cbranch_execnz .LBB295_2674
.LBB295_2204:
	s_or_b32 exec_lo, exec_lo, s20
	v_mov_b32_e32 v20, 0
	s_and_saveexec_b32 s1, s19
.LBB295_2205:
	v_lshrrev_b32_e32 v7, 24, v7
	s_delay_alu instid0(VALU_DEP_1)
	v_and_or_b32 v20, 0x80, v7, v12
.LBB295_2206:
	s_or_b32 exec_lo, exec_lo, s1
.LBB295_2207:
	s_delay_alu instid0(SALU_CYCLE_1)
	s_or_b32 exec_lo, exec_lo, s18
.LBB295_2208:
	s_delay_alu instid0(SALU_CYCLE_1)
	s_or_b32 exec_lo, exec_lo, s17
.LBB295_2209:
	s_and_not1_saveexec_b32 s14, s14
	s_cbranch_execz .LBB295_2217
; %bb.2210:
	flat_load_u8 v7, v[8:9]
	s_mov_b32 s17, exec_lo
	s_wait_loadcnt_dscnt 0x0
	v_lshlrev_b32_e32 v12, 25, v7
	v_lshlrev_b16 v7, 8, v7
	s_delay_alu instid0(VALU_DEP_1) | instskip(SKIP_1) | instid1(VALU_DEP_2)
	v_and_or_b32 v20, 0x7f00, v7, 0.5
	v_bfe_i32 v7, v7, 0, 16
	v_add_f32_e32 v20, -0.5, v20
	v_lshrrev_b32_e32 v13, 4, v12
	v_cmp_gt_u32_e64 s1, 0x8000000, v12
	s_delay_alu instid0(VALU_DEP_2) | instskip(NEXT) | instid1(VALU_DEP_1)
	v_or_b32_e32 v13, 0x70000000, v13
	v_mul_f32_e32 v13, 0x7800000, v13
	s_delay_alu instid0(VALU_DEP_1) | instskip(SKIP_1) | instid1(VALU_DEP_2)
	v_cndmask_b32_e64 v13, v13, v20, s1
	v_mov_b32_e32 v20, 0x80
	v_and_or_b32 v7, 0x80000000, v7, v13
	s_delay_alu instid0(VALU_DEP_1) | instskip(SKIP_1) | instid1(VALU_DEP_1)
	v_and_b32_e32 v12, 0x7fffffff, v7
	s_wait_xcnt 0x0
	v_cmpx_gt_u32_e32 0x43800000, v12
	s_cbranch_execz .LBB295_2216
; %bb.2211:
	v_cmp_lt_u32_e64 s1, 0x3bffffff, v12
	s_mov_b32 s18, 0
                                        ; implicit-def: $vgpr12
	s_and_saveexec_b32 s19, s1
	s_delay_alu instid0(SALU_CYCLE_1)
	s_xor_b32 s1, exec_lo, s19
	s_cbranch_execz .LBB295_2590
; %bb.2212:
	v_bfe_u32 v12, v13, 20, 1
	s_mov_b32 s18, exec_lo
	s_delay_alu instid0(VALU_DEP_1) | instskip(NEXT) | instid1(VALU_DEP_1)
	v_add3_u32 v12, v7, v12, 0x487ffff
	v_lshrrev_b32_e32 v12, 20, v12
	s_and_not1_saveexec_b32 s19, s1
	s_cbranch_execnz .LBB295_2591
.LBB295_2213:
	s_or_b32 exec_lo, exec_lo, s19
	v_mov_b32_e32 v20, 0
	s_and_saveexec_b32 s1, s18
.LBB295_2214:
	v_lshrrev_b32_e32 v7, 24, v7
	s_delay_alu instid0(VALU_DEP_1)
	v_and_or_b32 v20, 0x80, v7, v12
.LBB295_2215:
	s_or_b32 exec_lo, exec_lo, s1
.LBB295_2216:
	s_delay_alu instid0(SALU_CYCLE_1)
	s_or_b32 exec_lo, exec_lo, s17
.LBB295_2217:
	s_delay_alu instid0(SALU_CYCLE_1) | instskip(NEXT) | instid1(SALU_CYCLE_1)
	s_or_b32 exec_lo, exec_lo, s14
	s_or_b32 s14, s11, exec_lo
.LBB295_2218:
	s_or_saveexec_b32 s9, s9
	s_mov_b32 s1, 0
	s_mov_b32 s17, s13
	s_xor_b32 exec_lo, exec_lo, s9
	s_cbranch_execz .LBB295_2232
; %bb.2219:
	s_mov_b32 s18, s13
	s_mov_b32 s19, s14
	s_mov_b32 s17, exec_lo
                                        ; implicit-def: $vgpr20
	v_cmpx_lt_i16_e32 14, v15
	s_xor_b32 s17, exec_lo, s17
	s_cbranch_execz .LBB295_2229
; %bb.2220:
	s_mov_b32 s19, -1
	s_mov_b32 s20, s14
	s_mov_b32 s18, exec_lo
                                        ; implicit-def: $vgpr20
	v_cmpx_eq_u16_e32 15, v15
	s_cbranch_execz .LBB295_2228
; %bb.2221:
	flat_load_u16 v7, v[8:9]
	s_mov_b32 s19, exec_lo
	s_wait_loadcnt_dscnt 0x0
	v_dual_mov_b32 v20, 0x80 :: v_dual_lshlrev_b32 v13, 16, v7
	s_delay_alu instid0(VALU_DEP_1) | instskip(SKIP_1) | instid1(VALU_DEP_1)
	v_and_b32_e32 v12, 0x7fffffff, v13
	s_wait_xcnt 0x0
	v_cmpx_gt_u32_e32 0x43800000, v12
	s_cbranch_execz .LBB295_2227
; %bb.2222:
	v_cmp_lt_u32_e64 s1, 0x3bffffff, v12
	s_mov_b32 s20, 0
                                        ; implicit-def: $vgpr12
	s_and_saveexec_b32 s21, s1
	s_delay_alu instid0(SALU_CYCLE_1)
	s_xor_b32 s1, exec_lo, s21
	s_cbranch_execz .LBB295_2675
; %bb.2223:
	v_bfe_u32 v12, v7, 4, 1
	s_mov_b32 s20, exec_lo
	s_delay_alu instid0(VALU_DEP_1) | instskip(NEXT) | instid1(VALU_DEP_1)
	v_add3_u32 v12, v13, v12, 0x487ffff
                                        ; implicit-def: $vgpr13
	v_lshrrev_b32_e32 v12, 20, v12
	s_and_not1_saveexec_b32 s21, s1
	s_cbranch_execnz .LBB295_2676
.LBB295_2224:
	s_or_b32 exec_lo, exec_lo, s21
	v_mov_b32_e32 v20, 0
	s_and_saveexec_b32 s1, s20
.LBB295_2225:
	v_lshrrev_b32_e32 v7, 8, v7
	s_delay_alu instid0(VALU_DEP_1)
	v_and_or_b32 v20, 0x80, v7, v12
.LBB295_2226:
	s_or_b32 exec_lo, exec_lo, s1
.LBB295_2227:
	s_delay_alu instid0(SALU_CYCLE_1) | instskip(NEXT) | instid1(SALU_CYCLE_1)
	s_or_b32 exec_lo, exec_lo, s19
	s_or_b32 s20, s14, exec_lo
	s_xor_b32 s19, exec_lo, -1
.LBB295_2228:
	s_or_b32 exec_lo, exec_lo, s18
	s_delay_alu instid0(SALU_CYCLE_1)
	s_and_not1_b32 s1, s14, exec_lo
	s_and_b32 s18, s20, exec_lo
	s_and_not1_b32 s20, s13, exec_lo
	s_and_b32 s21, s19, exec_lo
	s_or_b32 s19, s1, s18
	s_or_b32 s18, s20, s21
.LBB295_2229:
	s_or_saveexec_b32 s20, s17
	s_mov_b32 s17, 0
	s_xor_b32 exec_lo, exec_lo, s20
; %bb.2230:
	v_cmp_ne_u16_e64 s1, 11, v15
	s_and_not1_b32 s18, s18, exec_lo
	s_mov_b32 s17, exec_lo
	s_and_b32 s1, s1, exec_lo
	s_delay_alu instid0(SALU_CYCLE_1)
	s_or_b32 s18, s18, s1
; %bb.2231:
	s_or_b32 exec_lo, exec_lo, s20
	s_delay_alu instid0(SALU_CYCLE_1)
	s_and_not1_b32 s1, s14, exec_lo
	s_and_b32 s14, s19, exec_lo
	s_and_not1_b32 s19, s13, exec_lo
	s_and_b32 s18, s18, exec_lo
	s_or_b32 s14, s1, s14
	s_and_b32 s1, s17, exec_lo
	s_or_b32 s17, s19, s18
.LBB295_2232:
	s_or_b32 exec_lo, exec_lo, s9
	s_delay_alu instid0(SALU_CYCLE_1)
	s_and_not1_b32 s9, s11, exec_lo
	s_and_b32 s11, s14, exec_lo
	s_and_not1_b32 s13, s13, exec_lo
	s_and_b32 s14, s17, exec_lo
	s_or_b32 s11, s9, s11
	s_and_b32 s9, s1, exec_lo
	s_or_b32 s13, s13, s14
	s_or_b32 exec_lo, exec_lo, s12
	s_mov_b32 s12, s6
	s_and_saveexec_b32 s1, s13
	s_cbranch_execz .LBB295_1017
.LBB295_2233:
	s_or_b32 s12, s6, exec_lo
	s_and_not1_b32 s9, s9, exec_lo
	s_trap 2
	s_or_b32 exec_lo, exec_lo, s1
	s_and_saveexec_b32 s1, s9
	s_delay_alu instid0(SALU_CYCLE_1)
	s_xor_b32 s9, exec_lo, s1
	s_cbranch_execnz .LBB295_1018
	s_branch .LBB295_1025
.LBB295_2234:
	s_and_not1_saveexec_b32 s8, s0
	s_cbranch_execz .LBB295_489
.LBB295_2235:
	v_add_f32_e64 v3, 0x46000000, |v2|
	s_and_not1_b32 s7, s7, exec_lo
	s_delay_alu instid0(VALU_DEP_1) | instskip(NEXT) | instid1(VALU_DEP_1)
	v_and_b32_e32 v3, 0xff, v3
	v_cmp_ne_u32_e64 s0, 0, v3
	s_and_b32 s0, s0, exec_lo
	s_delay_alu instid0(SALU_CYCLE_1)
	s_or_b32 s7, s7, s0
	s_or_b32 exec_lo, exec_lo, s8
	v_mov_b32_e32 v21, 0
	s_and_saveexec_b32 s0, s7
	s_cbranch_execnz .LBB295_490
	s_branch .LBB295_491
.LBB295_2236:
	s_and_not1_saveexec_b32 s8, s0
	s_cbranch_execz .LBB295_517
.LBB295_2237:
	v_add_f32_e64 v3, 0x46000000, |v2|
	s_and_not1_b32 s7, s7, exec_lo
	s_delay_alu instid0(VALU_DEP_1) | instskip(NEXT) | instid1(VALU_DEP_1)
	v_and_b32_e32 v3, 0xff, v3
	v_cmp_ne_u32_e64 s0, 0, v3
	s_and_b32 s0, s0, exec_lo
	s_delay_alu instid0(SALU_CYCLE_1)
	s_or_b32 s7, s7, s0
	s_or_b32 exec_lo, exec_lo, s8
	v_mov_b32_e32 v21, 0
	s_and_saveexec_b32 s0, s7
	s_cbranch_execnz .LBB295_518
	s_branch .LBB295_519
.LBB295_2238:
	s_and_not1_saveexec_b32 s8, s0
	s_cbranch_execz .LBB295_547
.LBB295_2239:
	v_add_f32_e64 v3, 0x46000000, |v2|
	s_and_not1_b32 s7, s7, exec_lo
	s_delay_alu instid0(VALU_DEP_1) | instskip(NEXT) | instid1(VALU_DEP_1)
	v_and_b32_e32 v3, 0xff, v3
	v_cmp_ne_u32_e64 s0, 0, v3
	s_and_b32 s0, s0, exec_lo
	s_delay_alu instid0(SALU_CYCLE_1)
	s_or_b32 s7, s7, s0
	s_or_b32 exec_lo, exec_lo, s8
	v_mov_b32_e32 v21, 0
	s_and_saveexec_b32 s0, s7
	s_cbranch_execnz .LBB295_548
	s_branch .LBB295_549
.LBB295_2240:
	s_and_not1_saveexec_b32 s8, s0
	s_cbranch_execz .LBB295_557
.LBB295_2241:
	v_add_f32_e64 v3, 0x46000000, |v2|
	s_and_not1_b32 s7, s7, exec_lo
	s_delay_alu instid0(VALU_DEP_1) | instskip(NEXT) | instid1(VALU_DEP_1)
	v_and_b32_e32 v3, 0xff, v3
	v_cmp_ne_u32_e64 s0, 0, v3
	s_and_b32 s0, s0, exec_lo
	s_delay_alu instid0(SALU_CYCLE_1)
	s_or_b32 s7, s7, s0
	s_or_b32 exec_lo, exec_lo, s8
	v_mov_b32_e32 v21, 0
	s_and_saveexec_b32 s0, s7
	s_cbranch_execnz .LBB295_558
	s_branch .LBB295_559
.LBB295_2242:
	s_and_not1_saveexec_b32 s8, s0
	s_cbranch_execz .LBB295_565
.LBB295_2243:
	v_add_f32_e32 v2, 0x46000000, v3
	s_and_not1_b32 s7, s7, exec_lo
	s_delay_alu instid0(VALU_DEP_1) | instskip(NEXT) | instid1(VALU_DEP_1)
	v_and_b32_e32 v2, 0xff, v2
	v_cmp_ne_u32_e64 s0, 0, v2
	s_and_b32 s0, s0, exec_lo
	s_delay_alu instid0(SALU_CYCLE_1)
	s_or_b32 s7, s7, s0
	s_or_b32 exec_lo, exec_lo, s8
	v_mov_b32_e32 v21, 0
	s_and_saveexec_b32 s0, s7
	s_cbranch_execnz .LBB295_566
	s_branch .LBB295_567
.LBB295_2244:
	s_and_not1_saveexec_b32 s13, s1
	s_cbranch_execz .LBB295_843
.LBB295_2245:
	v_add_f32_e32 v6, 0x46000000, v7
	s_and_not1_b32 s12, s12, exec_lo
	s_delay_alu instid0(VALU_DEP_1) | instskip(NEXT) | instid1(VALU_DEP_1)
	v_and_b32_e32 v6, 0xff, v6
	v_cmp_ne_u32_e64 s1, 0, v6
	s_and_b32 s1, s1, exec_lo
	s_delay_alu instid0(SALU_CYCLE_1)
	s_or_b32 s12, s12, s1
	s_or_b32 exec_lo, exec_lo, s13
	v_mov_b32_e32 v19, 0
	s_and_saveexec_b32 s1, s12
	s_cbranch_execnz .LBB295_844
	s_branch .LBB295_845
.LBB295_2246:
	s_or_saveexec_b32 s13, s13
	v_mov_b32_e32 v7, 0x7f800001
	s_xor_b32 exec_lo, exec_lo, s13
	s_cbranch_execz .LBB295_1140
.LBB295_2247:
	v_cmp_ne_u16_e64 s1, 0, v8
	v_mov_b32_e32 v7, 0
	s_and_not1_b32 s11, s11, exec_lo
	s_and_b32 s1, s1, exec_lo
	s_delay_alu instid0(SALU_CYCLE_1)
	s_or_b32 s11, s11, s1
	s_or_b32 exec_lo, exec_lo, s13
	s_and_saveexec_b32 s13, s11
	s_cbranch_execnz .LBB295_1141
	s_branch .LBB295_1142
.LBB295_2248:
	s_or_saveexec_b32 s13, s13
	v_mov_b32_e32 v8, 0x7f800001
	s_xor_b32 exec_lo, exec_lo, s13
	s_cbranch_execz .LBB295_1146
.LBB295_2249:
	v_cmp_ne_u16_e64 s1, 0, v9
	v_mov_b32_e32 v8, 0
	s_and_not1_b32 s11, s11, exec_lo
	s_and_b32 s1, s1, exec_lo
	s_delay_alu instid0(SALU_CYCLE_1)
	s_or_b32 s11, s11, s1
	s_or_b32 exec_lo, exec_lo, s13
	s_and_saveexec_b32 s13, s11
	s_cbranch_execnz .LBB295_1147
	s_branch .LBB295_1148
.LBB295_2250:
	s_or_saveexec_b32 s14, s14
	v_mov_b32_e32 v7, 0x7f800001
	s_xor_b32 exec_lo, exec_lo, s14
	s_cbranch_execz .LBB295_1154
.LBB295_2251:
	v_cmp_ne_u16_e64 s1, 0, v8
	v_mov_b32_e32 v7, 0
	s_and_not1_b32 s13, s13, exec_lo
	s_and_b32 s1, s1, exec_lo
	s_delay_alu instid0(SALU_CYCLE_1)
	s_or_b32 s13, s13, s1
	s_or_b32 exec_lo, exec_lo, s14
	s_and_saveexec_b32 s14, s13
	s_cbranch_execnz .LBB295_1155
	s_branch .LBB295_1156
.LBB295_2252:
	s_or_saveexec_b32 s14, s14
	v_mov_b32_e32 v8, 0x7f800001
	s_xor_b32 exec_lo, exec_lo, s14
	s_cbranch_execz .LBB295_1160
.LBB295_2253:
	v_cmp_ne_u16_e64 s1, 0, v9
	v_mov_b32_e32 v8, 0
	s_and_not1_b32 s13, s13, exec_lo
	s_and_b32 s1, s1, exec_lo
	s_delay_alu instid0(SALU_CYCLE_1)
	s_or_b32 s13, s13, s1
	s_or_b32 exec_lo, exec_lo, s14
	s_and_saveexec_b32 s14, s13
	s_cbranch_execnz .LBB295_1161
	s_branch .LBB295_1162
.LBB295_2254:
	s_and_not1_saveexec_b32 s17, s17
	s_cbranch_execz .LBB295_1222
.LBB295_2255:
	s_mov_b32 s19, s14
	s_mov_b32 s12, exec_lo
                                        ; implicit-def: $vgpr8
	v_cmpx_lt_i16_e32 22, v18
	s_xor_b32 s12, exec_lo, s12
	s_cbranch_execz .LBB295_2289
; %bb.2256:
	s_mov_b32 s19, exec_lo
                                        ; implicit-def: $vgpr8
	v_cmpx_lt_i16_e32 23, v18
	s_xor_b32 s19, exec_lo, s19
	s_cbranch_execz .LBB295_2280
; %bb.2257:
	;; [unrolled: 6-line block ×3, first 2 shown]
	s_wait_loadcnt_dscnt 0x0
	flat_load_u8 v8, v[4:5]
	s_mov_b32 s21, 0
	s_mov_b32 s22, exec_lo
	s_wait_loadcnt_dscnt 0x0
	v_cmpx_lt_i16_e32 0x7f, v8
	s_xor_b32 s22, exec_lo, s22
	s_cbranch_execz .LBB295_2677
; %bb.2259:
	s_mov_b32 s21, -1
	s_mov_b32 s23, exec_lo
	v_cmpx_eq_u16_e32 0x80, v8
; %bb.2260:
	s_xor_b32 s21, exec_lo, -1
; %bb.2261:
	s_or_b32 exec_lo, exec_lo, s23
	s_delay_alu instid0(SALU_CYCLE_1)
	s_and_b32 s21, s21, exec_lo
	s_or_saveexec_b32 s22, s22
	v_mov_b32_e32 v7, 0x7f800001
	s_xor_b32 exec_lo, exec_lo, s22
	s_cbranch_execnz .LBB295_2678
.LBB295_2262:
	s_or_b32 exec_lo, exec_lo, s22
	s_and_saveexec_b32 s22, s21
	s_cbranch_execz .LBB295_2264
.LBB295_2263:
	v_and_b32_e32 v7, 0xffff, v8
	s_delay_alu instid0(VALU_DEP_1) | instskip(SKIP_1) | instid1(VALU_DEP_2)
	v_and_b32_e32 v9, 3, v7
	v_bfe_u32 v13, v7, 2, 5
	v_clz_i32_u32_e32 v10, v9
	s_delay_alu instid0(VALU_DEP_2) | instskip(NEXT) | instid1(VALU_DEP_2)
	v_cmp_eq_u32_e64 s1, 0, v13
	v_min_u32_e32 v10, 32, v10
	s_delay_alu instid0(VALU_DEP_1) | instskip(NEXT) | instid1(VALU_DEP_1)
	v_subrev_nc_u32_e32 v12, 29, v10
	v_dual_lshlrev_b32 v7, v12, v7 :: v_dual_sub_nc_u32 v10, 30, v10
	s_delay_alu instid0(VALU_DEP_1) | instskip(NEXT) | instid1(VALU_DEP_2)
	v_dual_lshlrev_b32 v8, 24, v8 :: v_dual_bitop2_b32 v7, 3, v7 bitop3:0x40
	v_cndmask_b32_e64 v10, v13, v10, s1
	s_delay_alu instid0(VALU_DEP_2) | instskip(NEXT) | instid1(VALU_DEP_3)
	v_cndmask_b32_e64 v7, v9, v7, s1
	v_and_b32_e32 v8, 0x80000000, v8
	s_delay_alu instid0(VALU_DEP_3) | instskip(NEXT) | instid1(VALU_DEP_3)
	v_lshl_add_u32 v9, v10, 23, 0x37800000
	v_lshlrev_b32_e32 v7, 21, v7
	s_delay_alu instid0(VALU_DEP_1)
	v_or3_b32 v7, v8, v9, v7
.LBB295_2264:
	s_or_b32 exec_lo, exec_lo, s22
	s_delay_alu instid0(VALU_DEP_1) | instskip(SKIP_2) | instid1(VALU_DEP_2)
	v_and_b32_e32 v9, 0x7fffffff, v7
	v_mov_b32_e32 v8, 0x80
	s_mov_b32 s21, exec_lo
	v_cmpx_gt_u32_e32 0x43800000, v9
	s_cbranch_execz .LBB295_2270
; %bb.2265:
	v_cmp_lt_u32_e64 s1, 0x3bffffff, v9
	s_mov_b32 s22, 0
                                        ; implicit-def: $vgpr9
	s_and_saveexec_b32 s23, s1
	s_delay_alu instid0(SALU_CYCLE_1)
	s_xor_b32 s1, exec_lo, s23
	s_cbranch_execz .LBB295_2758
; %bb.2266:
	v_bfe_u32 v8, v7, 20, 1
	s_mov_b32 s22, exec_lo
	s_delay_alu instid0(VALU_DEP_1) | instskip(NEXT) | instid1(VALU_DEP_1)
	v_add3_u32 v8, v7, v8, 0x487ffff
	v_lshrrev_b32_e32 v9, 20, v8
	s_and_not1_saveexec_b32 s23, s1
	s_cbranch_execnz .LBB295_2759
.LBB295_2267:
	s_or_b32 exec_lo, exec_lo, s23
	v_mov_b32_e32 v8, 0
	s_and_saveexec_b32 s1, s22
.LBB295_2268:
	v_lshrrev_b32_e32 v7, 24, v7
	s_delay_alu instid0(VALU_DEP_1)
	v_and_or_b32 v8, 0x80, v7, v9
.LBB295_2269:
	s_or_b32 exec_lo, exec_lo, s1
.LBB295_2270:
	s_delay_alu instid0(SALU_CYCLE_1)
	s_or_b32 exec_lo, exec_lo, s21
.LBB295_2271:
	s_and_not1_saveexec_b32 s20, s20
	s_cbranch_execz .LBB295_2279
; %bb.2272:
	flat_load_u8 v7, v[4:5]
	s_mov_b32 s22, 0
	s_mov_b32 s21, exec_lo
	s_wait_loadcnt_dscnt 0x0
	v_lshlrev_b32_e32 v7, 24, v7
	s_delay_alu instid0(VALU_DEP_1) | instskip(NEXT) | instid1(VALU_DEP_1)
	v_and_b32_e32 v8, 0x7f000000, v7
	v_clz_i32_u32_e32 v9, v8
	v_add_nc_u32_e32 v12, 0x1000000, v8
	v_cmp_ne_u32_e64 s1, 0, v8
	s_delay_alu instid0(VALU_DEP_3) | instskip(NEXT) | instid1(VALU_DEP_1)
	v_min_u32_e32 v9, 32, v9
	v_sub_nc_u32_e64 v9, v9, 4 clamp
	s_delay_alu instid0(VALU_DEP_1) | instskip(SKIP_1) | instid1(VALU_DEP_2)
	v_dual_lshlrev_b32 v10, v9, v8 :: v_dual_lshlrev_b32 v9, 23, v9
	v_mov_b32_e32 v8, 0x80
	v_lshrrev_b32_e32 v10, 4, v10
	s_delay_alu instid0(VALU_DEP_1) | instskip(NEXT) | instid1(VALU_DEP_1)
	v_dual_sub_nc_u32 v9, v10, v9 :: v_dual_ashrrev_i32 v10, 8, v12
	v_add_nc_u32_e32 v9, 0x3c000000, v9
	s_delay_alu instid0(VALU_DEP_1) | instskip(NEXT) | instid1(VALU_DEP_1)
	v_and_or_b32 v9, 0x7f800000, v10, v9
	v_cndmask_b32_e64 v10, 0, v9, s1
	s_delay_alu instid0(VALU_DEP_1) | instskip(NEXT) | instid1(VALU_DEP_1)
	v_and_or_b32 v7, 0x80000000, v7, v10
	v_and_b32_e32 v9, 0x7fffffff, v7
	s_wait_xcnt 0x0
	s_delay_alu instid0(VALU_DEP_1)
	v_cmpx_gt_u32_e32 0x43800000, v9
	s_cbranch_execz .LBB295_2278
; %bb.2273:
	v_cmp_lt_u32_e64 s1, 0x3bffffff, v9
                                        ; implicit-def: $vgpr9
	s_and_saveexec_b32 s23, s1
	s_delay_alu instid0(SALU_CYCLE_1)
	s_xor_b32 s1, exec_lo, s23
	s_cbranch_execz .LBB295_2760
; %bb.2274:
	v_bfe_u32 v8, v10, 20, 1
	s_mov_b32 s22, exec_lo
	s_delay_alu instid0(VALU_DEP_1) | instskip(NEXT) | instid1(VALU_DEP_1)
	v_add3_u32 v8, v7, v8, 0x487ffff
	v_lshrrev_b32_e32 v9, 20, v8
	s_and_not1_saveexec_b32 s23, s1
	s_cbranch_execnz .LBB295_2761
.LBB295_2275:
	s_or_b32 exec_lo, exec_lo, s23
	v_mov_b32_e32 v8, 0
	s_and_saveexec_b32 s1, s22
.LBB295_2276:
	v_lshrrev_b32_e32 v7, 24, v7
	s_delay_alu instid0(VALU_DEP_1)
	v_and_or_b32 v8, 0x80, v7, v9
.LBB295_2277:
	s_or_b32 exec_lo, exec_lo, s1
.LBB295_2278:
	s_delay_alu instid0(SALU_CYCLE_1)
	s_or_b32 exec_lo, exec_lo, s21
.LBB295_2279:
	s_delay_alu instid0(SALU_CYCLE_1)
	s_or_b32 exec_lo, exec_lo, s20
.LBB295_2280:
	s_and_not1_saveexec_b32 s19, s19
	s_cbranch_execz .LBB295_2288
; %bb.2281:
	flat_load_u8 v7, v[4:5]
	s_mov_b32 s20, exec_lo
	s_wait_loadcnt_dscnt 0x0
	v_lshlrev_b32_e32 v8, 25, v7
	v_lshlrev_b16 v7, 8, v7
	s_delay_alu instid0(VALU_DEP_1) | instskip(SKIP_1) | instid1(VALU_DEP_2)
	v_and_or_b32 v10, 0x7f00, v7, 0.5
	v_bfe_i32 v7, v7, 0, 16
	v_dual_add_f32 v10, -0.5, v10 :: v_dual_lshrrev_b32 v9, 4, v8
	v_cmp_gt_u32_e64 s1, 0x8000000, v8
	v_mov_b32_e32 v8, 0x80
	s_delay_alu instid0(VALU_DEP_3) | instskip(NEXT) | instid1(VALU_DEP_1)
	v_or_b32_e32 v9, 0x70000000, v9
	v_mul_f32_e32 v9, 0x7800000, v9
	s_delay_alu instid0(VALU_DEP_1) | instskip(NEXT) | instid1(VALU_DEP_1)
	v_cndmask_b32_e64 v10, v9, v10, s1
	v_and_or_b32 v7, 0x80000000, v7, v10
	s_delay_alu instid0(VALU_DEP_1) | instskip(SKIP_1) | instid1(VALU_DEP_1)
	v_and_b32_e32 v9, 0x7fffffff, v7
	s_wait_xcnt 0x0
	v_cmpx_gt_u32_e32 0x43800000, v9
	s_cbranch_execz .LBB295_2287
; %bb.2282:
	v_cmp_lt_u32_e64 s1, 0x3bffffff, v9
	s_mov_b32 s21, 0
                                        ; implicit-def: $vgpr9
	s_and_saveexec_b32 s22, s1
	s_delay_alu instid0(SALU_CYCLE_1)
	s_xor_b32 s1, exec_lo, s22
	s_cbranch_execz .LBB295_2679
; %bb.2283:
	v_bfe_u32 v8, v10, 20, 1
	s_mov_b32 s21, exec_lo
	s_delay_alu instid0(VALU_DEP_1) | instskip(NEXT) | instid1(VALU_DEP_1)
	v_add3_u32 v8, v7, v8, 0x487ffff
	v_lshrrev_b32_e32 v9, 20, v8
	s_and_not1_saveexec_b32 s22, s1
	s_cbranch_execnz .LBB295_2680
.LBB295_2284:
	s_or_b32 exec_lo, exec_lo, s22
	v_mov_b32_e32 v8, 0
	s_and_saveexec_b32 s1, s21
.LBB295_2285:
	v_lshrrev_b32_e32 v7, 24, v7
	s_delay_alu instid0(VALU_DEP_1)
	v_and_or_b32 v8, 0x80, v7, v9
.LBB295_2286:
	s_or_b32 exec_lo, exec_lo, s1
.LBB295_2287:
	s_delay_alu instid0(SALU_CYCLE_1)
	s_or_b32 exec_lo, exec_lo, s20
.LBB295_2288:
	s_delay_alu instid0(SALU_CYCLE_1) | instskip(NEXT) | instid1(SALU_CYCLE_1)
	s_or_b32 exec_lo, exec_lo, s19
	s_or_b32 s19, s14, exec_lo
                                        ; implicit-def: $vgpr18
.LBB295_2289:
	s_or_saveexec_b32 s12, s12
	s_mov_b32 s1, 0
	s_mov_b32 s20, s18
	s_xor_b32 exec_lo, exec_lo, s12
	s_cbranch_execz .LBB295_2303
; %bb.2290:
	s_mov_b32 s21, s18
	s_mov_b32 s22, s19
	s_mov_b32 s20, exec_lo
                                        ; implicit-def: $vgpr8
	v_cmpx_lt_i16_e32 14, v18
	s_xor_b32 s20, exec_lo, s20
	s_cbranch_execz .LBB295_2300
; %bb.2291:
	s_mov_b32 s22, -1
	s_mov_b32 s23, s19
	s_mov_b32 s21, exec_lo
                                        ; implicit-def: $vgpr8
	v_cmpx_eq_u16_e32 15, v18
	s_cbranch_execz .LBB295_2299
; %bb.2292:
	flat_load_u16 v7, v[4:5]
	s_wait_loadcnt_dscnt 0x101
	v_mov_b32_e32 v8, 0x80
	s_mov_b32 s22, exec_lo
	s_wait_loadcnt_dscnt 0x0
	v_lshlrev_b32_e32 v10, 16, v7
	s_delay_alu instid0(VALU_DEP_1) | instskip(SKIP_1) | instid1(VALU_DEP_1)
	v_and_b32_e32 v9, 0x7fffffff, v10
	s_wait_xcnt 0x0
	v_cmpx_gt_u32_e32 0x43800000, v9
	s_cbranch_execz .LBB295_2298
; %bb.2293:
	v_cmp_lt_u32_e64 s1, 0x3bffffff, v9
	s_mov_b32 s23, 0
                                        ; implicit-def: $vgpr9
	s_and_saveexec_b32 s24, s1
	s_delay_alu instid0(SALU_CYCLE_1)
	s_xor_b32 s1, exec_lo, s24
	s_cbranch_execz .LBB295_2762
; %bb.2294:
	v_bfe_u32 v8, v7, 4, 1
	s_mov_b32 s23, exec_lo
	s_delay_alu instid0(VALU_DEP_1) | instskip(NEXT) | instid1(VALU_DEP_1)
	v_add3_u32 v8, v10, v8, 0x487ffff
                                        ; implicit-def: $vgpr10
	v_lshrrev_b32_e32 v9, 20, v8
	s_and_not1_saveexec_b32 s24, s1
	s_cbranch_execnz .LBB295_2763
.LBB295_2295:
	s_or_b32 exec_lo, exec_lo, s24
	v_mov_b32_e32 v8, 0
	s_and_saveexec_b32 s1, s23
.LBB295_2296:
	v_lshrrev_b32_e32 v7, 8, v7
	s_delay_alu instid0(VALU_DEP_1)
	v_and_or_b32 v8, 0x80, v7, v9
.LBB295_2297:
	s_or_b32 exec_lo, exec_lo, s1
.LBB295_2298:
	s_delay_alu instid0(SALU_CYCLE_1) | instskip(NEXT) | instid1(SALU_CYCLE_1)
	s_or_b32 exec_lo, exec_lo, s22
	s_or_b32 s23, s19, exec_lo
	s_xor_b32 s22, exec_lo, -1
.LBB295_2299:
	s_or_b32 exec_lo, exec_lo, s21
	s_delay_alu instid0(SALU_CYCLE_1)
	s_and_not1_b32 s1, s19, exec_lo
	s_and_b32 s21, s23, exec_lo
	s_and_not1_b32 s23, s18, exec_lo
	s_and_b32 s24, s22, exec_lo
	s_or_b32 s22, s1, s21
	s_or_b32 s21, s23, s24
                                        ; implicit-def: $vgpr18
.LBB295_2300:
	s_or_saveexec_b32 s20, s20
	s_mov_b32 s23, 0
	s_xor_b32 exec_lo, exec_lo, s20
; %bb.2301:
	v_cmp_ne_u16_e64 s1, 11, v18
	s_and_not1_b32 s21, s21, exec_lo
	s_mov_b32 s23, exec_lo
	s_and_b32 s1, s1, exec_lo
	s_delay_alu instid0(SALU_CYCLE_1)
	s_or_b32 s21, s21, s1
; %bb.2302:
	s_or_b32 exec_lo, exec_lo, s20
	s_delay_alu instid0(SALU_CYCLE_1)
	s_and_not1_b32 s1, s19, exec_lo
	s_and_b32 s19, s22, exec_lo
	s_and_not1_b32 s20, s18, exec_lo
	s_and_b32 s21, s21, exec_lo
	s_or_b32 s19, s1, s19
	s_and_b32 s1, s23, exec_lo
	s_or_b32 s20, s20, s21
.LBB295_2303:
	s_or_b32 exec_lo, exec_lo, s12
	s_delay_alu instid0(SALU_CYCLE_1)
	s_and_not1_b32 s12, s14, exec_lo
	s_and_b32 s14, s19, exec_lo
	s_and_not1_b32 s18, s18, exec_lo
	s_and_b32 s19, s20, exec_lo
	s_or_b32 s14, s12, s14
	s_and_b32 s12, s1, exec_lo
	s_or_b32 s18, s18, s19
	s_or_b32 exec_lo, exec_lo, s17
	s_mov_b32 s17, s9
	s_and_saveexec_b32 s1, s18
	s_cbranch_execz .LBB295_1223
.LBB295_2304:
	s_or_b32 s17, s9, exec_lo
	s_and_not1_b32 s12, s12, exec_lo
	s_trap 2
	s_or_b32 exec_lo, exec_lo, s1
	s_and_saveexec_b32 s1, s12
	s_delay_alu instid0(SALU_CYCLE_1)
	s_xor_b32 s12, exec_lo, s1
	s_cbranch_execnz .LBB295_1224
	s_branch .LBB295_1231
.LBB295_2305:
	s_or_saveexec_b32 s9, s9
	v_mov_b32_e32 v7, 0x7f800001
	s_xor_b32 exec_lo, exec_lo, s9
	s_cbranch_execz .LBB295_1942
.LBB295_2306:
	v_cmp_ne_u16_e64 s0, 0, v9
	v_mov_b32_e32 v7, 0
	s_and_not1_b32 s8, s8, exec_lo
	s_and_b32 s0, s0, exec_lo
	s_delay_alu instid0(SALU_CYCLE_1)
	s_or_b32 s8, s8, s0
	s_or_b32 exec_lo, exec_lo, s9
	s_and_saveexec_b32 s9, s8
	s_cbranch_execnz .LBB295_1943
	s_branch .LBB295_1944
.LBB295_2307:
	s_and_not1_saveexec_b32 s9, s0
	s_cbranch_execz .LBB295_1964
.LBB295_2308:
	v_add_f32_e64 v9, 0x46000000, |v7|
	s_and_not1_b32 s8, s8, exec_lo
	s_delay_alu instid0(VALU_DEP_1) | instskip(NEXT) | instid1(VALU_DEP_1)
	v_and_b32_e32 v9, 0xff, v9
	v_cmp_ne_u32_e64 s0, 0, v9
	s_and_b32 s0, s0, exec_lo
	s_delay_alu instid0(SALU_CYCLE_1)
	s_or_b32 s8, s8, s0
	s_or_b32 exec_lo, exec_lo, s9
	v_mov_b32_e32 v21, 0
	s_and_saveexec_b32 s0, s8
	s_cbranch_execnz .LBB295_1965
	s_branch .LBB295_1966
.LBB295_2309:
	s_and_not1_saveexec_b32 s9, s0
	s_cbranch_execz .LBB295_33
.LBB295_2310:
	v_add_f32_e32 v2, 0x46000000, v3
	s_and_not1_b32 s8, s8, exec_lo
	s_delay_alu instid0(VALU_DEP_1) | instskip(NEXT) | instid1(VALU_DEP_1)
	v_and_b32_e32 v2, 0xff, v2
	v_cmp_ne_u32_e64 s0, 0, v2
	s_and_b32 s0, s0, exec_lo
	s_delay_alu instid0(SALU_CYCLE_1)
	s_or_b32 s8, s8, s0
	s_or_b32 exec_lo, exec_lo, s9
	v_mov_b32_e32 v4, 0
	s_and_saveexec_b32 s0, s8
	s_cbranch_execnz .LBB295_34
	s_branch .LBB295_35
.LBB295_2311:
	s_and_not1_saveexec_b32 s11, s0
	s_cbranch_execz .LBB295_425
.LBB295_2312:
	v_add_f32_e32 v7, 0x46000000, v9
	s_and_not1_b32 s10, s10, exec_lo
	s_delay_alu instid0(VALU_DEP_1) | instskip(NEXT) | instid1(VALU_DEP_1)
	v_and_b32_e32 v7, 0xff, v7
	v_cmp_ne_u32_e64 s0, 0, v7
	s_and_b32 s0, s0, exec_lo
	s_delay_alu instid0(SALU_CYCLE_1)
	s_or_b32 s10, s10, s0
	s_or_b32 exec_lo, exec_lo, s11
	v_mov_b32_e32 v21, 0
	s_and_saveexec_b32 s0, s10
	s_cbranch_execnz .LBB295_426
	s_branch .LBB295_427
.LBB295_2313:
	s_and_not1_saveexec_b32 s11, s0
	s_cbranch_execz .LBB295_437
.LBB295_2314:
	v_add_f32_e32 v7, 0x46000000, v9
	s_and_not1_b32 s10, s10, exec_lo
	s_delay_alu instid0(VALU_DEP_1) | instskip(NEXT) | instid1(VALU_DEP_1)
	v_and_b32_e32 v7, 0xff, v7
	v_cmp_ne_u32_e64 s0, 0, v7
	s_and_b32 s0, s0, exec_lo
	s_delay_alu instid0(SALU_CYCLE_1)
	s_or_b32 s10, s10, s0
	s_or_b32 exec_lo, exec_lo, s11
	v_mov_b32_e32 v21, 0
	s_and_saveexec_b32 s0, s10
	s_cbranch_execnz .LBB295_438
	s_branch .LBB295_439
.LBB295_2315:
	s_and_not1_saveexec_b32 s11, s0
	s_cbranch_execz .LBB295_445
.LBB295_2316:
	v_add_f32_e32 v7, 0x46000000, v9
	s_and_not1_b32 s10, s10, exec_lo
	s_delay_alu instid0(VALU_DEP_1) | instskip(NEXT) | instid1(VALU_DEP_1)
	v_and_b32_e32 v7, 0xff, v7
	v_cmp_ne_u32_e64 s0, 0, v7
	s_and_b32 s0, s0, exec_lo
	s_delay_alu instid0(SALU_CYCLE_1)
	s_or_b32 s10, s10, s0
	s_or_b32 exec_lo, exec_lo, s11
	v_mov_b32_e32 v21, 0
	s_and_saveexec_b32 s0, s10
	s_cbranch_execnz .LBB295_446
	s_branch .LBB295_447
.LBB295_2317:
	s_and_not1_saveexec_b32 s9, s0
	s_cbranch_execz .LBB295_472
.LBB295_2318:
	v_add_f32_e64 v3, 0x46000000, |v2|
	s_and_not1_b32 s8, s8, exec_lo
	s_delay_alu instid0(VALU_DEP_1) | instskip(NEXT) | instid1(VALU_DEP_1)
	v_and_b32_e32 v3, 0xff, v3
	v_cmp_ne_u32_e64 s0, 0, v3
	s_and_b32 s0, s0, exec_lo
	s_delay_alu instid0(SALU_CYCLE_1)
	s_or_b32 s8, s8, s0
	s_or_b32 exec_lo, exec_lo, s9
	v_mov_b32_e32 v21, 0
	s_and_saveexec_b32 s0, s8
	s_cbranch_execnz .LBB295_473
	s_branch .LBB295_474
.LBB295_2319:
	s_and_not1_saveexec_b32 s9, s0
	s_cbranch_execz .LBB295_480
.LBB295_2320:
	v_add_f32_e64 v3, 0x46000000, |v2|
	s_and_not1_b32 s8, s8, exec_lo
	s_delay_alu instid0(VALU_DEP_1) | instskip(NEXT) | instid1(VALU_DEP_1)
	v_and_b32_e32 v3, 0xff, v3
	v_cmp_ne_u32_e64 s0, 0, v3
	s_and_b32 s0, s0, exec_lo
	s_delay_alu instid0(SALU_CYCLE_1)
	s_or_b32 s8, s8, s0
	s_or_b32 exec_lo, exec_lo, s9
	v_mov_b32_e32 v21, 0
	s_and_saveexec_b32 s0, s8
	s_cbranch_execnz .LBB295_481
	s_branch .LBB295_482
.LBB295_2321:
	s_and_not1_saveexec_b32 s9, s0
	s_cbranch_execz .LBB295_500
.LBB295_2322:
	v_add_f32_e64 v3, 0x46000000, |v2|
	s_and_not1_b32 s8, s8, exec_lo
	s_delay_alu instid0(VALU_DEP_1) | instskip(NEXT) | instid1(VALU_DEP_1)
	v_and_b32_e32 v3, 0xff, v3
	v_cmp_ne_u32_e64 s0, 0, v3
	s_and_b32 s0, s0, exec_lo
	s_delay_alu instid0(SALU_CYCLE_1)
	s_or_b32 s8, s8, s0
	s_or_b32 exec_lo, exec_lo, s9
	v_mov_b32_e32 v21, 0
	s_and_saveexec_b32 s0, s8
	s_cbranch_execnz .LBB295_501
	s_branch .LBB295_502
.LBB295_2323:
	s_and_not1_saveexec_b32 s9, s0
	s_cbranch_execz .LBB295_508
.LBB295_2324:
	v_add_f32_e64 v3, 0x46000000, |v2|
	s_and_not1_b32 s8, s8, exec_lo
	s_delay_alu instid0(VALU_DEP_1) | instskip(NEXT) | instid1(VALU_DEP_1)
	v_and_b32_e32 v3, 0xff, v3
	v_cmp_ne_u32_e64 s0, 0, v3
	s_and_b32 s0, s0, exec_lo
	s_delay_alu instid0(SALU_CYCLE_1)
	s_or_b32 s8, s8, s0
	s_or_b32 exec_lo, exec_lo, s9
	v_mov_b32_e32 v21, 0
	s_and_saveexec_b32 s0, s8
	s_cbranch_execnz .LBB295_509
	s_branch .LBB295_510
.LBB295_2325:
	s_and_not1_saveexec_b32 s9, s0
	s_cbranch_execz .LBB295_530
.LBB295_2326:
	v_add_f32_e64 v3, 0x46000000, |v2|
	s_and_not1_b32 s8, s8, exec_lo
	s_delay_alu instid0(VALU_DEP_1) | instskip(NEXT) | instid1(VALU_DEP_1)
	v_and_b32_e32 v3, 0xff, v3
	v_cmp_ne_u32_e64 s0, 0, v3
	s_and_b32 s0, s0, exec_lo
	s_delay_alu instid0(SALU_CYCLE_1)
	s_or_b32 s8, s8, s0
	s_or_b32 exec_lo, exec_lo, s9
	v_mov_b32_e32 v21, 0
	s_and_saveexec_b32 s0, s8
	s_cbranch_execnz .LBB295_531
	s_branch .LBB295_532
.LBB295_2327:
	s_and_not1_saveexec_b32 s9, s0
	s_cbranch_execz .LBB295_538
.LBB295_2328:
	v_add_f32_e64 v3, 0x46000000, |v2|
	s_and_not1_b32 s8, s8, exec_lo
	s_delay_alu instid0(VALU_DEP_1) | instskip(NEXT) | instid1(VALU_DEP_1)
	v_and_b32_e32 v3, 0xff, v3
	v_cmp_ne_u32_e64 s0, 0, v3
	s_and_b32 s0, s0, exec_lo
	s_delay_alu instid0(SALU_CYCLE_1)
	s_or_b32 s8, s8, s0
	s_or_b32 exec_lo, exec_lo, s9
	v_mov_b32_e32 v21, 0
	s_and_saveexec_b32 s0, s8
	s_cbranch_execnz .LBB295_539
	s_branch .LBB295_540
.LBB295_2329:
	s_and_not1_saveexec_b32 s11, s0
	s_cbranch_execz .LBB295_667
.LBB295_2330:
	v_add_f32_e64 v9, 0x46000000, |v7|
	s_and_not1_b32 s10, s10, exec_lo
	s_delay_alu instid0(VALU_DEP_1) | instskip(NEXT) | instid1(VALU_DEP_1)
	v_and_b32_e32 v10, 0xff, v9
	v_cmp_ne_u32_e64 s0, 0, v10
	s_and_b32 s0, s0, exec_lo
	s_delay_alu instid0(SALU_CYCLE_1)
	s_or_b32 s10, s10, s0
	s_or_b32 exec_lo, exec_lo, s11
	v_mov_b32_e32 v9, 0
	s_and_saveexec_b32 s0, s10
	s_cbranch_execnz .LBB295_668
	s_branch .LBB295_669
.LBB295_2331:
	s_and_not1_saveexec_b32 s11, s0
	s_cbranch_execz .LBB295_695
.LBB295_2332:
	v_add_f32_e64 v9, 0x46000000, |v7|
	s_and_not1_b32 s10, s10, exec_lo
	s_delay_alu instid0(VALU_DEP_1) | instskip(NEXT) | instid1(VALU_DEP_1)
	v_and_b32_e32 v10, 0xff, v9
	v_cmp_ne_u32_e64 s0, 0, v10
	s_and_b32 s0, s0, exec_lo
	s_delay_alu instid0(SALU_CYCLE_1)
	s_or_b32 s10, s10, s0
	s_or_b32 exec_lo, exec_lo, s11
	v_mov_b32_e32 v9, 0
	s_and_saveexec_b32 s0, s10
	s_cbranch_execnz .LBB295_696
	s_branch .LBB295_697
.LBB295_2333:
	s_and_not1_saveexec_b32 s11, s0
	s_cbranch_execz .LBB295_725
.LBB295_2334:
	v_add_f32_e64 v9, 0x46000000, |v7|
	s_and_not1_b32 s10, s10, exec_lo
	s_delay_alu instid0(VALU_DEP_1) | instskip(NEXT) | instid1(VALU_DEP_1)
	v_and_b32_e32 v10, 0xff, v9
	v_cmp_ne_u32_e64 s0, 0, v10
	s_and_b32 s0, s0, exec_lo
	s_delay_alu instid0(SALU_CYCLE_1)
	s_or_b32 s10, s10, s0
	s_or_b32 exec_lo, exec_lo, s11
	v_mov_b32_e32 v9, 0
	s_and_saveexec_b32 s0, s10
	s_cbranch_execnz .LBB295_726
	s_branch .LBB295_727
.LBB295_2335:
	s_and_not1_saveexec_b32 s11, s0
	s_cbranch_execz .LBB295_735
.LBB295_2336:
	v_add_f32_e64 v9, 0x46000000, |v7|
	s_and_not1_b32 s10, s10, exec_lo
	s_delay_alu instid0(VALU_DEP_1) | instskip(NEXT) | instid1(VALU_DEP_1)
	v_and_b32_e32 v10, 0xff, v9
	v_cmp_ne_u32_e64 s0, 0, v10
	s_and_b32 s0, s0, exec_lo
	s_delay_alu instid0(SALU_CYCLE_1)
	s_or_b32 s10, s10, s0
	s_or_b32 exec_lo, exec_lo, s11
	v_mov_b32_e32 v9, 0
	s_and_saveexec_b32 s0, s10
	s_cbranch_execnz .LBB295_736
	s_branch .LBB295_737
.LBB295_2337:
	s_and_not1_saveexec_b32 s11, s0
	s_cbranch_execz .LBB295_743
.LBB295_2338:
	v_add_f32_e32 v7, 0x46000000, v10
	s_and_not1_b32 s10, s10, exec_lo
	s_delay_alu instid0(VALU_DEP_1) | instskip(NEXT) | instid1(VALU_DEP_1)
	v_and_b32_e32 v7, 0xff, v7
	v_cmp_ne_u32_e64 s0, 0, v7
	s_and_b32 s0, s0, exec_lo
	s_delay_alu instid0(SALU_CYCLE_1)
	s_or_b32 s10, s10, s0
	s_or_b32 exec_lo, exec_lo, s11
	v_mov_b32_e32 v9, 0
	s_and_saveexec_b32 s0, s10
	s_cbranch_execnz .LBB295_744
	s_branch .LBB295_745
.LBB295_2339:
	s_and_not1_saveexec_b32 s17, s1
	s_cbranch_execz .LBB295_1021
.LBB295_2340:
	v_add_f32_e32 v7, 0x46000000, v8
	s_and_not1_b32 s14, s14, exec_lo
	s_delay_alu instid0(VALU_DEP_1) | instskip(NEXT) | instid1(VALU_DEP_1)
	v_and_b32_e32 v7, 0xff, v7
	v_cmp_ne_u32_e64 s1, 0, v7
	s_and_b32 s1, s1, exec_lo
	s_delay_alu instid0(SALU_CYCLE_1)
	s_or_b32 s14, s14, s1
	s_or_b32 exec_lo, exec_lo, s17
	v_mov_b32_e32 v20, 0
	s_and_saveexec_b32 s1, s14
	s_cbranch_execnz .LBB295_1022
	s_branch .LBB295_1023
.LBB295_2341:
	s_and_not1_saveexec_b32 s19, s19
	s_cbranch_execz .LBB295_1400
.LBB295_2342:
	s_mov_b32 s21, s18
	s_mov_b32 s14, exec_lo
                                        ; implicit-def: $vgpr4
	v_cmpx_lt_i16_e32 22, v15
	s_xor_b32 s14, exec_lo, s14
	s_cbranch_execz .LBB295_2376
; %bb.2343:
	s_mov_b32 s21, exec_lo
                                        ; implicit-def: $vgpr4
	v_cmpx_lt_i16_e32 23, v15
	s_xor_b32 s21, exec_lo, s21
	s_cbranch_execz .LBB295_2367
; %bb.2344:
	;; [unrolled: 6-line block ×3, first 2 shown]
	s_wait_loadcnt_dscnt 0x0
	flat_load_u8 v4, v[2:3]
	s_mov_b32 s23, 0
	s_mov_b32 s24, exec_lo
	s_wait_loadcnt_dscnt 0x0
	v_cmpx_lt_i16_e32 0x7f, v4
	s_xor_b32 s24, exec_lo, s24
	s_cbranch_execz .LBB295_2764
; %bb.2346:
	s_mov_b32 s23, -1
	s_mov_b32 s25, exec_lo
	v_cmpx_eq_u16_e32 0x80, v4
; %bb.2347:
	s_xor_b32 s23, exec_lo, -1
; %bb.2348:
	s_or_b32 exec_lo, exec_lo, s25
	s_delay_alu instid0(SALU_CYCLE_1)
	s_and_b32 s23, s23, exec_lo
	s_or_saveexec_b32 s24, s24
	v_mov_b32_e32 v5, 0x7f800001
	s_xor_b32 exec_lo, exec_lo, s24
	s_cbranch_execnz .LBB295_2765
.LBB295_2349:
	s_or_b32 exec_lo, exec_lo, s24
	s_and_saveexec_b32 s24, s23
	s_cbranch_execz .LBB295_2351
.LBB295_2350:
	v_and_b32_e32 v5, 0xffff, v4
	s_delay_alu instid0(VALU_DEP_1) | instskip(SKIP_1) | instid1(VALU_DEP_2)
	v_and_b32_e32 v6, 3, v5
	v_bfe_u32 v10, v5, 2, 5
	v_clz_i32_u32_e32 v7, v6
	s_delay_alu instid0(VALU_DEP_2) | instskip(NEXT) | instid1(VALU_DEP_2)
	v_cmp_eq_u32_e64 s1, 0, v10
	v_min_u32_e32 v7, 32, v7
	s_delay_alu instid0(VALU_DEP_1) | instskip(NEXT) | instid1(VALU_DEP_1)
	v_subrev_nc_u32_e32 v9, 29, v7
	v_dual_lshlrev_b32 v5, v9, v5 :: v_dual_sub_nc_u32 v7, 30, v7
	s_delay_alu instid0(VALU_DEP_1) | instskip(NEXT) | instid1(VALU_DEP_2)
	v_dual_lshlrev_b32 v4, 24, v4 :: v_dual_bitop2_b32 v5, 3, v5 bitop3:0x40
	v_cndmask_b32_e64 v7, v10, v7, s1
	s_delay_alu instid0(VALU_DEP_2) | instskip(NEXT) | instid1(VALU_DEP_3)
	v_cndmask_b32_e64 v5, v6, v5, s1
	v_and_b32_e32 v4, 0x80000000, v4
	s_delay_alu instid0(VALU_DEP_3) | instskip(NEXT) | instid1(VALU_DEP_3)
	v_lshl_add_u32 v6, v7, 23, 0x37800000
	v_lshlrev_b32_e32 v5, 21, v5
	s_delay_alu instid0(VALU_DEP_1)
	v_or3_b32 v5, v4, v6, v5
.LBB295_2351:
	s_or_b32 exec_lo, exec_lo, s24
	s_delay_alu instid0(VALU_DEP_1) | instskip(SKIP_2) | instid1(VALU_DEP_2)
	v_and_b32_e32 v6, 0x7fffffff, v5
	v_mov_b32_e32 v4, 0x80
	s_mov_b32 s23, exec_lo
	v_cmpx_gt_u32_e32 0x43800000, v6
	s_cbranch_execz .LBB295_2357
; %bb.2352:
	v_cmp_lt_u32_e64 s1, 0x3bffffff, v6
	s_mov_b32 s24, 0
                                        ; implicit-def: $vgpr6
	s_and_saveexec_b32 s25, s1
	s_delay_alu instid0(SALU_CYCLE_1)
	s_xor_b32 s1, exec_lo, s25
	s_cbranch_execz .LBB295_2792
; %bb.2353:
	v_bfe_u32 v4, v5, 20, 1
	s_mov_b32 s24, exec_lo
	s_delay_alu instid0(VALU_DEP_1) | instskip(NEXT) | instid1(VALU_DEP_1)
	v_add3_u32 v4, v5, v4, 0x487ffff
	v_lshrrev_b32_e32 v6, 20, v4
	s_and_not1_saveexec_b32 s25, s1
	s_cbranch_execnz .LBB295_2793
.LBB295_2354:
	s_or_b32 exec_lo, exec_lo, s25
	v_mov_b32_e32 v4, 0
	s_and_saveexec_b32 s1, s24
.LBB295_2355:
	v_lshrrev_b32_e32 v4, 24, v5
	s_delay_alu instid0(VALU_DEP_1)
	v_and_or_b32 v4, 0x80, v4, v6
.LBB295_2356:
	s_or_b32 exec_lo, exec_lo, s1
.LBB295_2357:
	s_delay_alu instid0(SALU_CYCLE_1)
	s_or_b32 exec_lo, exec_lo, s23
.LBB295_2358:
	s_and_not1_saveexec_b32 s22, s22
	s_cbranch_execz .LBB295_2366
; %bb.2359:
	s_wait_loadcnt_dscnt 0x0
	flat_load_u8 v4, v[2:3]
	s_mov_b32 s24, 0
	s_mov_b32 s23, exec_lo
	s_wait_loadcnt_dscnt 0x0
	v_lshlrev_b32_e32 v4, 24, v4
	s_delay_alu instid0(VALU_DEP_1) | instskip(NEXT) | instid1(VALU_DEP_1)
	v_and_b32_e32 v5, 0x7f000000, v4
	v_clz_i32_u32_e32 v6, v5
	v_add_nc_u32_e32 v9, 0x1000000, v5
	v_cmp_ne_u32_e64 s1, 0, v5
	s_delay_alu instid0(VALU_DEP_3) | instskip(NEXT) | instid1(VALU_DEP_1)
	v_min_u32_e32 v6, 32, v6
	v_sub_nc_u32_e64 v6, v6, 4 clamp
	s_delay_alu instid0(VALU_DEP_1) | instskip(NEXT) | instid1(VALU_DEP_1)
	v_dual_lshlrev_b32 v7, v6, v5 :: v_dual_lshlrev_b32 v6, 23, v6
	v_lshrrev_b32_e32 v7, 4, v7
	s_delay_alu instid0(VALU_DEP_1) | instskip(NEXT) | instid1(VALU_DEP_1)
	v_dual_sub_nc_u32 v6, v7, v6 :: v_dual_ashrrev_i32 v7, 8, v9
	v_add_nc_u32_e32 v6, 0x3c000000, v6
	s_delay_alu instid0(VALU_DEP_1) | instskip(NEXT) | instid1(VALU_DEP_1)
	v_and_or_b32 v6, 0x7f800000, v7, v6
	v_cndmask_b32_e64 v7, 0, v6, s1
	s_delay_alu instid0(VALU_DEP_1) | instskip(SKIP_1) | instid1(VALU_DEP_2)
	v_and_or_b32 v5, 0x80000000, v4, v7
	v_mov_b32_e32 v4, 0x80
	v_and_b32_e32 v6, 0x7fffffff, v5
	s_wait_xcnt 0x0
	s_delay_alu instid0(VALU_DEP_1)
	v_cmpx_gt_u32_e32 0x43800000, v6
	s_cbranch_execz .LBB295_2365
; %bb.2360:
	v_cmp_lt_u32_e64 s1, 0x3bffffff, v6
                                        ; implicit-def: $vgpr6
	s_and_saveexec_b32 s25, s1
	s_delay_alu instid0(SALU_CYCLE_1)
	s_xor_b32 s1, exec_lo, s25
	s_cbranch_execz .LBB295_2794
; %bb.2361:
	v_bfe_u32 v4, v7, 20, 1
	s_mov_b32 s24, exec_lo
	s_delay_alu instid0(VALU_DEP_1) | instskip(NEXT) | instid1(VALU_DEP_1)
	v_add3_u32 v4, v5, v4, 0x487ffff
	v_lshrrev_b32_e32 v6, 20, v4
	s_and_not1_saveexec_b32 s25, s1
	s_cbranch_execnz .LBB295_2795
.LBB295_2362:
	s_or_b32 exec_lo, exec_lo, s25
	v_mov_b32_e32 v4, 0
	s_and_saveexec_b32 s1, s24
.LBB295_2363:
	v_lshrrev_b32_e32 v4, 24, v5
	s_delay_alu instid0(VALU_DEP_1)
	v_and_or_b32 v4, 0x80, v4, v6
.LBB295_2364:
	s_or_b32 exec_lo, exec_lo, s1
.LBB295_2365:
	s_delay_alu instid0(SALU_CYCLE_1)
	s_or_b32 exec_lo, exec_lo, s23
.LBB295_2366:
	s_delay_alu instid0(SALU_CYCLE_1)
	s_or_b32 exec_lo, exec_lo, s22
.LBB295_2367:
	s_and_not1_saveexec_b32 s21, s21
	s_cbranch_execz .LBB295_2375
; %bb.2368:
	s_wait_loadcnt_dscnt 0x0
	flat_load_u8 v4, v[2:3]
	s_mov_b32 s22, exec_lo
	s_wait_loadcnt_dscnt 0x0
	v_lshlrev_b32_e32 v5, 25, v4
	v_lshlrev_b16 v4, 8, v4
	s_delay_alu instid0(VALU_DEP_1) | instskip(SKIP_1) | instid1(VALU_DEP_2)
	v_and_or_b32 v7, 0x7f00, v4, 0.5
	v_bfe_i32 v4, v4, 0, 16
	v_dual_add_f32 v7, -0.5, v7 :: v_dual_lshrrev_b32 v6, 4, v5
	v_cmp_gt_u32_e64 s1, 0x8000000, v5
	s_delay_alu instid0(VALU_DEP_2) | instskip(NEXT) | instid1(VALU_DEP_1)
	v_or_b32_e32 v6, 0x70000000, v6
	v_mul_f32_e32 v6, 0x7800000, v6
	s_delay_alu instid0(VALU_DEP_1) | instskip(NEXT) | instid1(VALU_DEP_1)
	v_cndmask_b32_e64 v7, v6, v7, s1
	v_and_or_b32 v5, 0x80000000, v4, v7
	v_mov_b32_e32 v4, 0x80
	s_delay_alu instid0(VALU_DEP_2) | instskip(SKIP_1) | instid1(VALU_DEP_1)
	v_and_b32_e32 v6, 0x7fffffff, v5
	s_wait_xcnt 0x0
	v_cmpx_gt_u32_e32 0x43800000, v6
	s_cbranch_execz .LBB295_2374
; %bb.2369:
	v_cmp_lt_u32_e64 s1, 0x3bffffff, v6
	s_mov_b32 s23, 0
                                        ; implicit-def: $vgpr6
	s_and_saveexec_b32 s24, s1
	s_delay_alu instid0(SALU_CYCLE_1)
	s_xor_b32 s1, exec_lo, s24
	s_cbranch_execz .LBB295_2766
; %bb.2370:
	v_bfe_u32 v4, v7, 20, 1
	s_mov_b32 s23, exec_lo
	s_delay_alu instid0(VALU_DEP_1) | instskip(NEXT) | instid1(VALU_DEP_1)
	v_add3_u32 v4, v5, v4, 0x487ffff
	v_lshrrev_b32_e32 v6, 20, v4
	s_and_not1_saveexec_b32 s24, s1
	s_cbranch_execnz .LBB295_2767
.LBB295_2371:
	s_or_b32 exec_lo, exec_lo, s24
	v_mov_b32_e32 v4, 0
	s_and_saveexec_b32 s1, s23
.LBB295_2372:
	v_lshrrev_b32_e32 v4, 24, v5
	s_delay_alu instid0(VALU_DEP_1)
	v_and_or_b32 v4, 0x80, v4, v6
.LBB295_2373:
	s_or_b32 exec_lo, exec_lo, s1
.LBB295_2374:
	s_delay_alu instid0(SALU_CYCLE_1)
	s_or_b32 exec_lo, exec_lo, s22
.LBB295_2375:
	s_delay_alu instid0(SALU_CYCLE_1) | instskip(NEXT) | instid1(SALU_CYCLE_1)
	s_or_b32 exec_lo, exec_lo, s21
	s_or_b32 s21, s18, exec_lo
                                        ; implicit-def: $vgpr15
.LBB295_2376:
	s_or_saveexec_b32 s14, s14
	s_mov_b32 s1, 0
	s_mov_b32 s22, s20
	s_xor_b32 exec_lo, exec_lo, s14
	s_cbranch_execz .LBB295_2390
; %bb.2377:
	s_mov_b32 s23, s20
	s_mov_b32 s24, s21
	s_mov_b32 s22, exec_lo
                                        ; implicit-def: $vgpr4
	v_cmpx_lt_i16_e32 14, v15
	s_xor_b32 s22, exec_lo, s22
	s_cbranch_execz .LBB295_2387
; %bb.2378:
	s_mov_b32 s24, -1
	s_mov_b32 s25, s21
	s_mov_b32 s23, exec_lo
                                        ; implicit-def: $vgpr4
	v_cmpx_eq_u16_e32 15, v15
	s_cbranch_execz .LBB295_2386
; %bb.2379:
	flat_load_u16 v5, v[2:3]
	s_mov_b32 s24, exec_lo
	s_wait_loadcnt_dscnt 0x0
	v_dual_mov_b32 v4, 0x80 :: v_dual_lshlrev_b32 v7, 16, v5
	s_delay_alu instid0(VALU_DEP_1) | instskip(SKIP_1) | instid1(VALU_DEP_1)
	v_and_b32_e32 v6, 0x7fffffff, v7
	s_wait_xcnt 0x0
	v_cmpx_gt_u32_e32 0x43800000, v6
	s_cbranch_execz .LBB295_2385
; %bb.2380:
	v_cmp_lt_u32_e64 s1, 0x3bffffff, v6
	s_mov_b32 s25, 0
                                        ; implicit-def: $vgpr6
	s_and_saveexec_b32 s26, s1
	s_delay_alu instid0(SALU_CYCLE_1)
	s_xor_b32 s1, exec_lo, s26
	s_cbranch_execz .LBB295_2796
; %bb.2381:
	v_bfe_u32 v4, v5, 4, 1
	s_mov_b32 s25, exec_lo
	s_delay_alu instid0(VALU_DEP_1) | instskip(NEXT) | instid1(VALU_DEP_1)
	v_add3_u32 v4, v7, v4, 0x487ffff
                                        ; implicit-def: $vgpr7
	v_lshrrev_b32_e32 v6, 20, v4
	s_and_not1_saveexec_b32 s26, s1
	s_cbranch_execnz .LBB295_2797
.LBB295_2382:
	s_or_b32 exec_lo, exec_lo, s26
	v_mov_b32_e32 v4, 0
	s_and_saveexec_b32 s1, s25
.LBB295_2383:
	v_lshrrev_b32_e32 v4, 8, v5
	s_delay_alu instid0(VALU_DEP_1)
	v_and_or_b32 v4, 0x80, v4, v6
.LBB295_2384:
	s_or_b32 exec_lo, exec_lo, s1
.LBB295_2385:
	s_delay_alu instid0(SALU_CYCLE_1) | instskip(NEXT) | instid1(SALU_CYCLE_1)
	s_or_b32 exec_lo, exec_lo, s24
	s_or_b32 s25, s21, exec_lo
	s_xor_b32 s24, exec_lo, -1
.LBB295_2386:
	s_or_b32 exec_lo, exec_lo, s23
	s_delay_alu instid0(SALU_CYCLE_1)
	s_and_not1_b32 s1, s21, exec_lo
	s_and_b32 s23, s25, exec_lo
	s_and_not1_b32 s25, s20, exec_lo
	s_and_b32 s26, s24, exec_lo
	s_or_b32 s24, s1, s23
	s_or_b32 s23, s25, s26
                                        ; implicit-def: $vgpr15
.LBB295_2387:
	s_or_saveexec_b32 s22, s22
	s_mov_b32 s25, 0
	s_xor_b32 exec_lo, exec_lo, s22
; %bb.2388:
	v_cmp_ne_u16_e64 s1, 11, v15
	s_and_not1_b32 s23, s23, exec_lo
	s_mov_b32 s25, exec_lo
	s_and_b32 s1, s1, exec_lo
	s_delay_alu instid0(SALU_CYCLE_1)
	s_or_b32 s23, s23, s1
; %bb.2389:
	s_or_b32 exec_lo, exec_lo, s22
	s_delay_alu instid0(SALU_CYCLE_1)
	s_and_not1_b32 s1, s21, exec_lo
	s_and_b32 s21, s24, exec_lo
	s_and_not1_b32 s22, s20, exec_lo
	s_and_b32 s23, s23, exec_lo
	s_or_b32 s21, s1, s21
	s_and_b32 s1, s25, exec_lo
	s_or_b32 s22, s22, s23
.LBB295_2390:
	s_or_b32 exec_lo, exec_lo, s14
	s_delay_alu instid0(SALU_CYCLE_1)
	s_and_not1_b32 s14, s18, exec_lo
	s_and_b32 s18, s21, exec_lo
	s_and_not1_b32 s20, s20, exec_lo
	s_and_b32 s21, s22, exec_lo
	s_or_b32 s18, s14, s18
	s_and_b32 s14, s1, exec_lo
	s_or_b32 s20, s20, s21
	s_or_b32 exec_lo, exec_lo, s19
	s_mov_b32 s19, s12
	s_and_saveexec_b32 s1, s20
	s_cbranch_execz .LBB295_1401
.LBB295_2391:
	s_or_b32 s19, s12, exec_lo
	s_and_not1_b32 s14, s14, exec_lo
	s_trap 2
	s_or_b32 exec_lo, exec_lo, s1
	s_and_saveexec_b32 s1, s14
	s_delay_alu instid0(SALU_CYCLE_1)
	s_xor_b32 s14, exec_lo, s1
	s_cbranch_execnz .LBB295_1402
	s_branch .LBB295_1409
.LBB295_2392:
	s_and_not1_saveexec_b32 s10, s0
	s_cbranch_execz .LBB295_1947
.LBB295_2393:
	v_add_f32_e64 v9, 0x46000000, |v7|
	s_and_not1_b32 s9, s9, exec_lo
	s_delay_alu instid0(VALU_DEP_1) | instskip(NEXT) | instid1(VALU_DEP_1)
	v_and_b32_e32 v9, 0xff, v9
	v_cmp_ne_u32_e64 s0, 0, v9
	s_and_b32 s0, s0, exec_lo
	s_delay_alu instid0(SALU_CYCLE_1)
	s_or_b32 s9, s9, s0
	s_or_b32 exec_lo, exec_lo, s10
	v_mov_b32_e32 v21, 0
	s_and_saveexec_b32 s0, s9
	s_cbranch_execnz .LBB295_1948
	s_branch .LBB295_1949
.LBB295_2394:
	s_and_not1_saveexec_b32 s10, s0
	s_cbranch_execz .LBB295_1955
.LBB295_2395:
	v_add_f32_e64 v9, 0x46000000, |v7|
	s_and_not1_b32 s9, s9, exec_lo
	s_delay_alu instid0(VALU_DEP_1) | instskip(NEXT) | instid1(VALU_DEP_1)
	v_and_b32_e32 v9, 0xff, v9
	v_cmp_ne_u32_e64 s0, 0, v9
	s_and_b32 s0, s0, exec_lo
	s_delay_alu instid0(SALU_CYCLE_1)
	s_or_b32 s9, s9, s0
	s_or_b32 exec_lo, exec_lo, s10
	v_mov_b32_e32 v21, 0
	s_and_saveexec_b32 s0, s9
	s_cbranch_execnz .LBB295_1956
	s_branch .LBB295_1957
.LBB295_2396:
	s_and_not1_saveexec_b32 s11, s0
	s_cbranch_execz .LBB295_1975
.LBB295_2397:
	v_add_f32_e64 v9, 0x46000000, |v10|
	s_and_not1_b32 s10, s10, exec_lo
	s_delay_alu instid0(VALU_DEP_1) | instskip(NEXT) | instid1(VALU_DEP_1)
	v_and_b32_e32 v9, 0xff, v9
	v_cmp_ne_u32_e64 s0, 0, v9
	s_and_b32 s0, s0, exec_lo
	s_delay_alu instid0(SALU_CYCLE_1)
	s_or_b32 s10, s10, s0
	s_or_b32 exec_lo, exec_lo, s11
	v_mov_b32_e32 v21, 0
	s_and_saveexec_b32 s0, s10
	s_cbranch_execnz .LBB295_1976
	s_branch .LBB295_1977
.LBB295_2398:
	s_or_saveexec_b32 s11, s11
	v_mov_b32_e32 v7, 0x7f800001
	s_xor_b32 exec_lo, exec_lo, s11
	s_cbranch_execz .LBB295_2035
.LBB295_2399:
	v_cmp_ne_u16_e64 s0, 0, v9
	v_mov_b32_e32 v7, 0
	s_and_not1_b32 s10, s10, exec_lo
	s_and_b32 s0, s0, exec_lo
	s_delay_alu instid0(SALU_CYCLE_1)
	s_or_b32 s10, s10, s0
	s_or_b32 exec_lo, exec_lo, s11
	s_and_saveexec_b32 s11, s10
	s_cbranch_execnz .LBB295_2036
	s_branch .LBB295_2037
.LBB295_2400:
	s_and_not1_saveexec_b32 s11, s0
	s_cbranch_execz .LBB295_2057
.LBB295_2401:
	v_add_f32_e64 v9, 0x46000000, |v7|
	s_and_not1_b32 s10, s10, exec_lo
	s_delay_alu instid0(VALU_DEP_1) | instskip(NEXT) | instid1(VALU_DEP_1)
	v_and_b32_e32 v12, 0xff, v9
	v_cmp_ne_u32_e64 s0, 0, v12
	s_and_b32 s0, s0, exec_lo
	s_delay_alu instid0(SALU_CYCLE_1)
	s_or_b32 s10, s10, s0
	s_or_b32 exec_lo, exec_lo, s11
	v_mov_b32_e32 v9, 0
	s_and_saveexec_b32 s0, s10
	s_cbranch_execnz .LBB295_2058
	s_branch .LBB295_2059
.LBB295_2402:
	s_and_not1_saveexec_b32 s10, s0
	s_cbranch_execz .LBB295_46
.LBB295_2403:
	v_add_f32_e32 v2, 0x42800000, v3
	s_and_not1_b32 s9, s9, exec_lo
	s_delay_alu instid0(VALU_DEP_1) | instskip(NEXT) | instid1(VALU_DEP_1)
	v_and_b32_e32 v2, 0xff, v2
	v_cmp_ne_u32_e64 s0, 0, v2
	s_and_b32 s0, s0, exec_lo
	s_delay_alu instid0(SALU_CYCLE_1)
	s_or_b32 s9, s9, s0
	s_or_b32 exec_lo, exec_lo, s10
	v_mov_b32_e32 v4, 0
	s_and_saveexec_b32 s0, s9
	s_cbranch_execnz .LBB295_47
	s_branch .LBB295_48
.LBB295_2404:
	s_and_not1_saveexec_b32 s9, s0
	s_cbranch_execz .LBB295_120
.LBB295_2405:
	v_add_f32_e32 v2, 0x46000000, v3
	s_and_not1_b32 s8, s8, exec_lo
	s_delay_alu instid0(VALU_DEP_1) | instskip(NEXT) | instid1(VALU_DEP_1)
	v_and_b32_e32 v2, 0xff, v2
	v_cmp_ne_u32_e64 s0, 0, v2
	s_and_b32 s0, s0, exec_lo
	s_delay_alu instid0(SALU_CYCLE_1)
	s_or_b32 s8, s8, s0
	s_or_b32 exec_lo, exec_lo, s9
	v_mov_b32_e32 v4, 0
	s_and_saveexec_b32 s0, s8
	s_cbranch_execnz .LBB295_121
	s_branch .LBB295_122
.LBB295_2406:
	s_and_not1_saveexec_b32 s10, s0
	s_cbranch_execz .LBB295_404
.LBB295_2407:
	v_add_f32_e64 v9, 0x46000000, |v7|
	s_and_not1_b32 s9, s9, exec_lo
	s_delay_alu instid0(VALU_DEP_1) | instskip(NEXT) | instid1(VALU_DEP_1)
	v_and_b32_e32 v9, 0xff, v9
	v_cmp_ne_u32_e64 s0, 0, v9
	s_and_b32 s0, s0, exec_lo
	s_delay_alu instid0(SALU_CYCLE_1)
	s_or_b32 s9, s9, s0
	s_or_b32 exec_lo, exec_lo, s10
	v_mov_b32_e32 v21, 0
	s_and_saveexec_b32 s0, s9
	s_cbranch_execnz .LBB295_405
	s_branch .LBB295_406
.LBB295_2408:
	s_and_not1_saveexec_b32 s12, s0
	s_cbranch_execz .LBB295_414
.LBB295_2409:
	v_add_f32_e32 v7, 0x46000000, v9
	s_and_not1_b32 s11, s11, exec_lo
	s_delay_alu instid0(VALU_DEP_1) | instskip(NEXT) | instid1(VALU_DEP_1)
	v_and_b32_e32 v7, 0xff, v7
	v_cmp_ne_u32_e64 s0, 0, v7
	s_and_b32 s0, s0, exec_lo
	s_delay_alu instid0(SALU_CYCLE_1)
	s_or_b32 s11, s11, s0
	s_or_b32 exec_lo, exec_lo, s12
	v_mov_b32_e32 v21, 0
	s_and_saveexec_b32 s0, s11
	s_cbranch_execnz .LBB295_415
	s_branch .LBB295_416
.LBB295_2410:
	s_and_not1_saveexec_b32 s13, s0
	s_cbranch_execz .LBB295_603
.LBB295_2411:
	v_add_f32_e32 v7, 0x46000000, v12
	s_and_not1_b32 s12, s12, exec_lo
	s_delay_alu instid0(VALU_DEP_1) | instskip(NEXT) | instid1(VALU_DEP_1)
	v_and_b32_e32 v7, 0xff, v7
	v_cmp_ne_u32_e64 s0, 0, v7
	s_and_b32 s0, s0, exec_lo
	s_delay_alu instid0(SALU_CYCLE_1)
	s_or_b32 s12, s12, s0
	s_or_b32 exec_lo, exec_lo, s13
	v_mov_b32_e32 v9, 0
	s_and_saveexec_b32 s0, s12
	s_cbranch_execnz .LBB295_604
	s_branch .LBB295_605
.LBB295_2412:
	s_and_not1_saveexec_b32 s13, s0
	s_cbranch_execz .LBB295_615
.LBB295_2413:
	v_add_f32_e32 v7, 0x46000000, v12
	s_and_not1_b32 s12, s12, exec_lo
	s_delay_alu instid0(VALU_DEP_1) | instskip(NEXT) | instid1(VALU_DEP_1)
	v_and_b32_e32 v7, 0xff, v7
	v_cmp_ne_u32_e64 s0, 0, v7
	s_and_b32 s0, s0, exec_lo
	s_delay_alu instid0(SALU_CYCLE_1)
	s_or_b32 s12, s12, s0
	s_or_b32 exec_lo, exec_lo, s13
	v_mov_b32_e32 v9, 0
	s_and_saveexec_b32 s0, s12
	s_cbranch_execnz .LBB295_616
	s_branch .LBB295_617
.LBB295_2414:
	s_and_not1_saveexec_b32 s13, s0
	s_cbranch_execz .LBB295_623
.LBB295_2415:
	v_add_f32_e32 v7, 0x46000000, v12
	s_and_not1_b32 s12, s12, exec_lo
	s_delay_alu instid0(VALU_DEP_1) | instskip(NEXT) | instid1(VALU_DEP_1)
	v_and_b32_e32 v7, 0xff, v7
	v_cmp_ne_u32_e64 s0, 0, v7
	s_and_b32 s0, s0, exec_lo
	s_delay_alu instid0(SALU_CYCLE_1)
	s_or_b32 s12, s12, s0
	s_or_b32 exec_lo, exec_lo, s13
	v_mov_b32_e32 v9, 0
	s_and_saveexec_b32 s0, s12
	s_cbranch_execnz .LBB295_624
	s_branch .LBB295_625
.LBB295_2416:
	s_and_not1_saveexec_b32 s12, s0
	s_cbranch_execz .LBB295_650
.LBB295_2417:
	v_add_f32_e64 v9, 0x46000000, |v7|
	s_and_not1_b32 s11, s11, exec_lo
	s_delay_alu instid0(VALU_DEP_1) | instskip(NEXT) | instid1(VALU_DEP_1)
	v_and_b32_e32 v10, 0xff, v9
	v_cmp_ne_u32_e64 s0, 0, v10
	s_and_b32 s0, s0, exec_lo
	s_delay_alu instid0(SALU_CYCLE_1)
	s_or_b32 s11, s11, s0
	s_or_b32 exec_lo, exec_lo, s12
	v_mov_b32_e32 v9, 0
	s_and_saveexec_b32 s0, s11
	s_cbranch_execnz .LBB295_651
	s_branch .LBB295_652
.LBB295_2418:
	s_and_not1_saveexec_b32 s12, s0
	s_cbranch_execz .LBB295_658
.LBB295_2419:
	v_add_f32_e64 v9, 0x46000000, |v7|
	s_and_not1_b32 s11, s11, exec_lo
	s_delay_alu instid0(VALU_DEP_1) | instskip(NEXT) | instid1(VALU_DEP_1)
	v_and_b32_e32 v10, 0xff, v9
	v_cmp_ne_u32_e64 s0, 0, v10
	s_and_b32 s0, s0, exec_lo
	s_delay_alu instid0(SALU_CYCLE_1)
	s_or_b32 s11, s11, s0
	s_or_b32 exec_lo, exec_lo, s12
	v_mov_b32_e32 v9, 0
	s_and_saveexec_b32 s0, s11
	s_cbranch_execnz .LBB295_659
	s_branch .LBB295_660
.LBB295_2420:
	s_and_not1_saveexec_b32 s12, s0
	s_cbranch_execz .LBB295_678
.LBB295_2421:
	v_add_f32_e64 v9, 0x46000000, |v7|
	s_and_not1_b32 s11, s11, exec_lo
	s_delay_alu instid0(VALU_DEP_1) | instskip(NEXT) | instid1(VALU_DEP_1)
	v_and_b32_e32 v10, 0xff, v9
	v_cmp_ne_u32_e64 s0, 0, v10
	s_and_b32 s0, s0, exec_lo
	s_delay_alu instid0(SALU_CYCLE_1)
	s_or_b32 s11, s11, s0
	s_or_b32 exec_lo, exec_lo, s12
	v_mov_b32_e32 v9, 0
	s_and_saveexec_b32 s0, s11
	s_cbranch_execnz .LBB295_679
	s_branch .LBB295_680
.LBB295_2422:
	s_and_not1_saveexec_b32 s12, s0
	s_cbranch_execz .LBB295_686
.LBB295_2423:
	v_add_f32_e64 v9, 0x46000000, |v7|
	s_and_not1_b32 s11, s11, exec_lo
	s_delay_alu instid0(VALU_DEP_1) | instskip(NEXT) | instid1(VALU_DEP_1)
	v_and_b32_e32 v10, 0xff, v9
	v_cmp_ne_u32_e64 s0, 0, v10
	s_and_b32 s0, s0, exec_lo
	s_delay_alu instid0(SALU_CYCLE_1)
	s_or_b32 s11, s11, s0
	s_or_b32 exec_lo, exec_lo, s12
	v_mov_b32_e32 v9, 0
	s_and_saveexec_b32 s0, s11
	s_cbranch_execnz .LBB295_687
	s_branch .LBB295_688
.LBB295_2424:
	s_and_not1_saveexec_b32 s12, s0
	s_cbranch_execz .LBB295_708
.LBB295_2425:
	v_add_f32_e64 v9, 0x46000000, |v7|
	s_and_not1_b32 s11, s11, exec_lo
	s_delay_alu instid0(VALU_DEP_1) | instskip(NEXT) | instid1(VALU_DEP_1)
	v_and_b32_e32 v10, 0xff, v9
	v_cmp_ne_u32_e64 s0, 0, v10
	s_and_b32 s0, s0, exec_lo
	s_delay_alu instid0(SALU_CYCLE_1)
	s_or_b32 s11, s11, s0
	s_or_b32 exec_lo, exec_lo, s12
	v_mov_b32_e32 v9, 0
	s_and_saveexec_b32 s0, s11
	s_cbranch_execnz .LBB295_709
	s_branch .LBB295_710
.LBB295_2426:
	s_and_not1_saveexec_b32 s12, s0
	s_cbranch_execz .LBB295_716
.LBB295_2427:
	v_add_f32_e64 v9, 0x46000000, |v7|
	s_and_not1_b32 s11, s11, exec_lo
	s_delay_alu instid0(VALU_DEP_1) | instskip(NEXT) | instid1(VALU_DEP_1)
	v_and_b32_e32 v10, 0xff, v9
	v_cmp_ne_u32_e64 s0, 0, v10
	s_and_b32 s0, s0, exec_lo
	s_delay_alu instid0(SALU_CYCLE_1)
	s_or_b32 s11, s11, s0
	s_or_b32 exec_lo, exec_lo, s12
	v_mov_b32_e32 v9, 0
	s_and_saveexec_b32 s0, s11
	s_cbranch_execnz .LBB295_717
	s_branch .LBB295_718
.LBB295_2428:
	s_and_not1_saveexec_b32 s17, s1
	s_cbranch_execz .LBB295_873
.LBB295_2429:
	v_add_f32_e64 v7, 0x46000000, |v6|
	s_and_not1_b32 s14, s14, exec_lo
	s_delay_alu instid0(VALU_DEP_1) | instskip(NEXT) | instid1(VALU_DEP_1)
	v_and_b32_e32 v7, 0xff, v7
	v_cmp_ne_u32_e64 s1, 0, v7
	s_and_b32 s1, s1, exec_lo
	s_delay_alu instid0(SALU_CYCLE_1)
	s_or_b32 s14, s14, s1
	s_or_b32 exec_lo, exec_lo, s17
	v_mov_b32_e32 v19, 0
	s_and_saveexec_b32 s1, s14
	s_cbranch_execnz .LBB295_874
	s_branch .LBB295_875
.LBB295_2430:
	s_and_not1_saveexec_b32 s17, s1
	s_cbranch_execz .LBB295_901
.LBB295_2431:
	v_add_f32_e64 v7, 0x46000000, |v6|
	s_and_not1_b32 s14, s14, exec_lo
	s_delay_alu instid0(VALU_DEP_1) | instskip(NEXT) | instid1(VALU_DEP_1)
	v_and_b32_e32 v7, 0xff, v7
	v_cmp_ne_u32_e64 s1, 0, v7
	s_and_b32 s1, s1, exec_lo
	s_delay_alu instid0(SALU_CYCLE_1)
	s_or_b32 s14, s14, s1
	s_or_b32 exec_lo, exec_lo, s17
	v_mov_b32_e32 v19, 0
	s_and_saveexec_b32 s1, s14
	s_cbranch_execnz .LBB295_902
	s_branch .LBB295_903
.LBB295_2432:
	s_and_not1_saveexec_b32 s17, s1
	s_cbranch_execz .LBB295_931
.LBB295_2433:
	v_add_f32_e64 v7, 0x46000000, |v6|
	s_and_not1_b32 s14, s14, exec_lo
	s_delay_alu instid0(VALU_DEP_1) | instskip(NEXT) | instid1(VALU_DEP_1)
	v_and_b32_e32 v7, 0xff, v7
	v_cmp_ne_u32_e64 s1, 0, v7
	s_and_b32 s1, s1, exec_lo
	s_delay_alu instid0(SALU_CYCLE_1)
	s_or_b32 s14, s14, s1
	s_or_b32 exec_lo, exec_lo, s17
	v_mov_b32_e32 v19, 0
	s_and_saveexec_b32 s1, s14
	s_cbranch_execnz .LBB295_932
	s_branch .LBB295_933
.LBB295_2434:
	s_and_not1_saveexec_b32 s17, s1
	s_cbranch_execz .LBB295_941
.LBB295_2435:
	v_add_f32_e64 v7, 0x46000000, |v6|
	s_and_not1_b32 s14, s14, exec_lo
	s_delay_alu instid0(VALU_DEP_1) | instskip(NEXT) | instid1(VALU_DEP_1)
	v_and_b32_e32 v7, 0xff, v7
	v_cmp_ne_u32_e64 s1, 0, v7
	s_and_b32 s1, s1, exec_lo
	s_delay_alu instid0(SALU_CYCLE_1)
	s_or_b32 s14, s14, s1
	s_or_b32 exec_lo, exec_lo, s17
	v_mov_b32_e32 v19, 0
	s_and_saveexec_b32 s1, s14
	s_cbranch_execnz .LBB295_942
	s_branch .LBB295_943
.LBB295_2436:
	s_and_not1_saveexec_b32 s17, s1
	s_cbranch_execz .LBB295_949
.LBB295_2437:
	v_add_f32_e32 v6, 0x46000000, v7
	s_and_not1_b32 s14, s14, exec_lo
	s_delay_alu instid0(VALU_DEP_1) | instskip(NEXT) | instid1(VALU_DEP_1)
	v_and_b32_e32 v6, 0xff, v6
	v_cmp_ne_u32_e64 s1, 0, v6
	s_and_b32 s1, s1, exec_lo
	s_delay_alu instid0(SALU_CYCLE_1)
	s_or_b32 s14, s14, s1
	s_or_b32 exec_lo, exec_lo, s17
	v_mov_b32_e32 v19, 0
	s_and_saveexec_b32 s1, s14
	s_cbranch_execnz .LBB295_950
	s_branch .LBB295_951
.LBB295_2438:
	s_and_not1_saveexec_b32 s20, s1
	s_cbranch_execz .LBB295_1227
.LBB295_2439:
	v_add_f32_e32 v4, 0x46000000, v5
	s_and_not1_b32 s19, s19, exec_lo
	s_delay_alu instid0(VALU_DEP_1) | instskip(NEXT) | instid1(VALU_DEP_1)
	v_and_b32_e32 v4, 0xff, v4
	v_cmp_ne_u32_e64 s1, 0, v4
	s_and_b32 s1, s1, exec_lo
	s_delay_alu instid0(SALU_CYCLE_1)
	s_or_b32 s19, s19, s1
	s_or_b32 exec_lo, exec_lo, s20
	v_mov_b32_e32 v8, 0
	s_and_saveexec_b32 s1, s19
	s_cbranch_execnz .LBB295_1228
	s_branch .LBB295_1229
.LBB295_2440:
	s_or_saveexec_b32 s19, s19
	v_mov_b32_e32 v2, 0x7f800001
	s_xor_b32 exec_lo, exec_lo, s19
	s_cbranch_execz .LBB295_1524
.LBB295_2441:
	v_cmp_ne_u16_e64 s0, 0, v3
	v_mov_b32_e32 v2, 0
	s_and_not1_b32 s18, s18, exec_lo
	s_and_b32 s0, s0, exec_lo
	s_delay_alu instid0(SALU_CYCLE_1)
	s_or_b32 s18, s18, s0
	s_or_b32 exec_lo, exec_lo, s19
	s_and_saveexec_b32 s19, s18
	s_cbranch_execnz .LBB295_1525
	s_branch .LBB295_1526
.LBB295_2442:
	s_or_saveexec_b32 s19, s19
	v_mov_b32_e32 v3, 0x7f800001
	s_xor_b32 exec_lo, exec_lo, s19
	s_cbranch_execz .LBB295_1530
.LBB295_2443:
	v_cmp_ne_u16_e64 s0, 0, v5
	v_mov_b32_e32 v3, 0
	s_and_not1_b32 s18, s18, exec_lo
	s_and_b32 s0, s0, exec_lo
	s_delay_alu instid0(SALU_CYCLE_1)
	s_or_b32 s18, s18, s0
	s_or_b32 exec_lo, exec_lo, s19
	s_and_saveexec_b32 s19, s18
	s_cbranch_execnz .LBB295_1531
	s_branch .LBB295_1532
.LBB295_2444:
	s_or_saveexec_b32 s20, s20
	v_mov_b32_e32 v2, 0x7f800001
	s_xor_b32 exec_lo, exec_lo, s20
	s_cbranch_execz .LBB295_1538
.LBB295_2445:
	v_cmp_ne_u16_e64 s0, 0, v3
	v_mov_b32_e32 v2, 0
	s_and_not1_b32 s19, s19, exec_lo
	s_and_b32 s0, s0, exec_lo
	s_delay_alu instid0(SALU_CYCLE_1)
	s_or_b32 s19, s19, s0
	s_or_b32 exec_lo, exec_lo, s20
	s_and_saveexec_b32 s20, s19
	s_cbranch_execnz .LBB295_1539
	s_branch .LBB295_1540
.LBB295_2446:
	s_or_saveexec_b32 s20, s20
	v_mov_b32_e32 v3, 0x7f800001
	s_xor_b32 exec_lo, exec_lo, s20
	s_cbranch_execz .LBB295_1544
.LBB295_2447:
	v_cmp_ne_u16_e64 s0, 0, v5
	v_mov_b32_e32 v3, 0
	s_and_not1_b32 s19, s19, exec_lo
	s_and_b32 s0, s0, exec_lo
	s_delay_alu instid0(SALU_CYCLE_1)
	s_or_b32 s19, s19, s0
	s_or_b32 exec_lo, exec_lo, s20
	s_and_saveexec_b32 s20, s19
	s_cbranch_execnz .LBB295_1545
	s_branch .LBB295_1546
.LBB295_2448:
	s_and_not1_saveexec_b32 s22, s22
	s_cbranch_execz .LBB295_1584
.LBB295_2449:
	s_mov_b32 s23, s20
	s_mov_b32 s21, exec_lo
	v_cmpx_lt_i16_e32 22, v7
	s_xor_b32 s21, exec_lo, s21
	s_cbranch_execz .LBB295_2481
; %bb.2450:
	s_mov_b32 s23, exec_lo
	v_cmpx_lt_i16_e32 23, v7
	s_xor_b32 s23, exec_lo, s23
	s_cbranch_execz .LBB295_2470
; %bb.2451:
	;; [unrolled: 5-line block ×3, first 2 shown]
	v_cndmask_b32_e64 v6, 0, 1.0, vcc_lo
	v_mov_b32_e32 v8, 0x80
	s_mov_b32 s25, exec_lo
	s_delay_alu instid0(VALU_DEP_2)
	v_cmpx_gt_u32_e32 0x47800000, v6
	s_cbranch_execz .LBB295_2458
; %bb.2453:
	v_cmp_lt_u32_e64 s0, 0x37ffffff, v6
	s_mov_b32 s26, 0
                                        ; implicit-def: $vgpr3
	s_and_saveexec_b32 s27, s0
	s_delay_alu instid0(SALU_CYCLE_1)
	s_xor_b32 s0, exec_lo, s27
	s_cbranch_execz .LBB295_2804
; %bb.2454:
	v_bfe_u32 v3, v6, 21, 1
	s_mov_b32 s26, exec_lo
	s_delay_alu instid0(VALU_DEP_1) | instskip(NEXT) | instid1(VALU_DEP_1)
	v_add3_u32 v3, v6, v3, 0x88fffff
                                        ; implicit-def: $vgpr6
	v_lshrrev_b32_e32 v3, 21, v3
	s_and_not1_saveexec_b32 s27, s0
	s_cbranch_execnz .LBB295_2805
.LBB295_2455:
	s_or_b32 exec_lo, exec_lo, s27
	v_mov_b32_e32 v8, 0
	s_and_saveexec_b32 s0, s26
.LBB295_2456:
	v_mov_b32_e32 v8, v3
.LBB295_2457:
	s_or_b32 exec_lo, exec_lo, s0
.LBB295_2458:
	s_delay_alu instid0(SALU_CYCLE_1)
	s_or_b32 exec_lo, exec_lo, s25
	flat_store_b8 v[4:5], v8
.LBB295_2459:
	s_wait_xcnt 0x0
	s_and_not1_saveexec_b32 s24, s24
	s_cbranch_execz .LBB295_2469
; %bb.2460:
	v_cndmask_b32_e64 v6, 0, 1.0, vcc_lo
	s_mov_b32 s25, exec_lo
                                        ; implicit-def: $vgpr3
	s_delay_alu instid0(VALU_DEP_1)
	v_cmpx_gt_u32_e32 0x43f00000, v6
	s_xor_b32 s25, exec_lo, s25
	s_cbranch_execz .LBB295_2466
; %bb.2461:
	s_mov_b32 s26, exec_lo
                                        ; implicit-def: $vgpr3
	v_cmpx_lt_u32_e32 0x3c7fffff, v6
	s_xor_b32 s26, exec_lo, s26
; %bb.2462:
	v_bfe_u32 v3, v6, 20, 1
	s_delay_alu instid0(VALU_DEP_1) | instskip(NEXT) | instid1(VALU_DEP_1)
	v_add3_u32 v3, v6, v3, 0x407ffff
	v_and_b32_e32 v6, 0xff00000, v3
	v_lshrrev_b32_e32 v3, 20, v3
	s_delay_alu instid0(VALU_DEP_2) | instskip(NEXT) | instid1(VALU_DEP_1)
	v_cmp_ne_u32_e64 s0, 0x7f00000, v6
                                        ; implicit-def: $vgpr6
	v_cndmask_b32_e64 v3, 0x7e, v3, s0
; %bb.2463:
	s_and_not1_saveexec_b32 s0, s26
; %bb.2464:
	v_add_f32_e32 v3, 0x46800000, v6
; %bb.2465:
	s_or_b32 exec_lo, exec_lo, s0
                                        ; implicit-def: $vgpr6
.LBB295_2466:
	s_and_not1_saveexec_b32 s25, s25
; %bb.2467:
	v_mov_b32_e32 v3, 0x7f
	v_cmp_lt_u32_e64 s0, 0x7f800000, v6
	s_delay_alu instid0(VALU_DEP_1)
	v_cndmask_b32_e64 v3, 0x7e, v3, s0
; %bb.2468:
	s_or_b32 exec_lo, exec_lo, s25
	flat_store_b8 v[4:5], v3
.LBB295_2469:
	s_wait_xcnt 0x0
	s_or_b32 exec_lo, exec_lo, s24
.LBB295_2470:
	s_and_not1_saveexec_b32 s23, s23
	s_cbranch_execz .LBB295_2480
; %bb.2471:
	v_cndmask_b32_e64 v6, 0, 1.0, vcc_lo
	s_mov_b32 s24, exec_lo
                                        ; implicit-def: $vgpr3
	s_delay_alu instid0(VALU_DEP_1)
	v_cmpx_gt_u32_e32 0x47800000, v6
	s_xor_b32 s24, exec_lo, s24
	s_cbranch_execz .LBB295_2477
; %bb.2472:
	v_cmp_lt_u32_e64 s0, 0x387fffff, v6
                                        ; implicit-def: $vgpr3
	s_and_saveexec_b32 s25, s0
	s_delay_alu instid0(SALU_CYCLE_1)
	s_xor_b32 s0, exec_lo, s25
; %bb.2473:
	v_bfe_u32 v3, v6, 21, 1
	s_delay_alu instid0(VALU_DEP_1) | instskip(NEXT) | instid1(VALU_DEP_1)
	v_add3_u32 v3, v6, v3, 0x80fffff
                                        ; implicit-def: $vgpr6
	v_lshrrev_b32_e32 v3, 21, v3
; %bb.2474:
	s_and_not1_saveexec_b32 s0, s0
; %bb.2475:
	v_add_f32_e32 v3, 0x43000000, v6
; %bb.2476:
	s_or_b32 exec_lo, exec_lo, s0
                                        ; implicit-def: $vgpr6
.LBB295_2477:
	s_and_not1_saveexec_b32 s24, s24
; %bb.2478:
	v_mov_b32_e32 v3, 0x7f
	v_cmp_lt_u32_e64 s0, 0x7f800000, v6
	s_delay_alu instid0(VALU_DEP_1)
	v_cndmask_b32_e64 v3, 0x7c, v3, s0
; %bb.2479:
	s_or_b32 exec_lo, exec_lo, s24
	flat_store_b8 v[4:5], v3
.LBB295_2480:
	s_wait_xcnt 0x0
	s_or_b32 exec_lo, exec_lo, s23
	s_delay_alu instid0(SALU_CYCLE_1)
	s_or_b32 s23, s20, exec_lo
.LBB295_2481:
	s_or_saveexec_b32 s21, s21
	s_mov_b32 s0, 0
	s_mov_b32 s24, s1
	s_xor_b32 exec_lo, exec_lo, s21
	s_cbranch_execz .LBB295_2489
; %bb.2482:
	s_mov_b32 s24, s1
	s_mov_b32 s26, s23
	s_mov_b32 s25, exec_lo
	v_cmpx_lt_i16_e32 14, v7
	s_xor_b32 s25, exec_lo, s25
	s_cbranch_execz .LBB295_2486
; %bb.2483:
	s_mov_b32 s24, -1
	s_mov_b32 s27, s23
	s_mov_b32 s26, exec_lo
	v_cmpx_eq_u16_e32 15, v7
	s_cbranch_execz .LBB295_2485
; %bb.2484:
	v_cndmask_b32_e64 v3, 0, 1.0, vcc_lo
	s_or_b32 s27, s23, exec_lo
	s_xor_b32 s24, exec_lo, -1
	s_delay_alu instid0(VALU_DEP_1) | instskip(NEXT) | instid1(VALU_DEP_1)
	v_bfe_u32 v6, v3, 16, 1
	v_add3_u32 v3, v3, v6, 0x7fff
	flat_store_d16_hi_b16 v[4:5], v3
.LBB295_2485:
	s_wait_xcnt 0x0
	s_or_b32 exec_lo, exec_lo, s26
	s_delay_alu instid0(SALU_CYCLE_1)
	s_and_not1_b32 s0, s23, exec_lo
	s_and_b32 s26, s27, exec_lo
	s_and_not1_b32 s27, s1, exec_lo
	s_and_b32 s24, s24, exec_lo
	s_or_b32 s26, s0, s26
	s_or_b32 s24, s27, s24
.LBB295_2486:
	s_or_saveexec_b32 s27, s25
	s_mov_b32 s25, 0
	s_xor_b32 exec_lo, exec_lo, s27
; %bb.2487:
	v_cmp_ne_u16_e64 s0, 11, v7
	s_and_not1_b32 s24, s24, exec_lo
	s_mov_b32 s25, exec_lo
	s_and_b32 s0, s0, exec_lo
	s_delay_alu instid0(SALU_CYCLE_1)
	s_or_b32 s24, s24, s0
; %bb.2488:
	s_or_b32 exec_lo, exec_lo, s27
	s_delay_alu instid0(SALU_CYCLE_1)
	s_and_not1_b32 s0, s23, exec_lo
	s_and_b32 s23, s26, exec_lo
	s_and_not1_b32 s26, s1, exec_lo
	s_and_b32 s24, s24, exec_lo
	s_or_b32 s23, s0, s23
	s_and_b32 s0, s25, exec_lo
	s_or_b32 s24, s26, s24
.LBB295_2489:
	s_or_b32 exec_lo, exec_lo, s21
	s_delay_alu instid0(SALU_CYCLE_1)
	s_and_not1_b32 s20, s20, exec_lo
	s_and_b32 s21, s23, exec_lo
	s_and_not1_b32 s1, s1, exec_lo
	s_and_b32 s23, s24, exec_lo
	s_or_b32 s20, s20, s21
	s_and_b32 s21, s0, exec_lo
	s_or_b32 s1, s1, s23
	s_or_b32 exec_lo, exec_lo, s22
	s_mov_b32 s0, s14
	s_and_saveexec_b32 s22, s1
	s_cbranch_execz .LBB295_1585
.LBB295_2490:
	s_or_b32 s0, s14, exec_lo
	s_and_not1_b32 s21, s21, exec_lo
	s_trap 2
	s_or_b32 exec_lo, exec_lo, s22
	s_and_saveexec_b32 s1, s21
	s_delay_alu instid0(SALU_CYCLE_1)
	s_xor_b32 s1, exec_lo, s1
	s_cbranch_execnz .LBB295_1586
	s_branch .LBB295_1587
.LBB295_2491:
	s_and_not1_saveexec_b32 s12, s0
	s_cbranch_execz .LBB295_2040
.LBB295_2492:
	v_add_f32_e64 v9, 0x46000000, |v7|
	s_and_not1_b32 s11, s11, exec_lo
	s_delay_alu instid0(VALU_DEP_1) | instskip(NEXT) | instid1(VALU_DEP_1)
	v_and_b32_e32 v12, 0xff, v9
	v_cmp_ne_u32_e64 s0, 0, v12
	s_and_b32 s0, s0, exec_lo
	s_delay_alu instid0(SALU_CYCLE_1)
	s_or_b32 s11, s11, s0
	s_or_b32 exec_lo, exec_lo, s12
	v_mov_b32_e32 v9, 0
	s_and_saveexec_b32 s0, s11
	s_cbranch_execnz .LBB295_2041
	s_branch .LBB295_2042
.LBB295_2493:
	s_and_not1_saveexec_b32 s12, s0
	s_cbranch_execz .LBB295_2048
.LBB295_2494:
	v_add_f32_e64 v9, 0x46000000, |v7|
	s_and_not1_b32 s11, s11, exec_lo
	s_delay_alu instid0(VALU_DEP_1) | instskip(NEXT) | instid1(VALU_DEP_1)
	v_and_b32_e32 v12, 0xff, v9
	v_cmp_ne_u32_e64 s0, 0, v12
	s_and_b32 s0, s0, exec_lo
	s_delay_alu instid0(SALU_CYCLE_1)
	s_or_b32 s11, s11, s0
	s_or_b32 exec_lo, exec_lo, s12
	v_mov_b32_e32 v9, 0
	s_and_saveexec_b32 s0, s11
	s_cbranch_execnz .LBB295_2049
	s_branch .LBB295_2050
.LBB295_2495:
	s_and_not1_saveexec_b32 s13, s0
	s_cbranch_execz .LBB295_2068
.LBB295_2496:
	v_add_f32_e64 v9, 0x46000000, |v13|
	s_and_not1_b32 s12, s12, exec_lo
	s_delay_alu instid0(VALU_DEP_1) | instskip(NEXT) | instid1(VALU_DEP_1)
	v_and_b32_e32 v12, 0xff, v9
	v_cmp_ne_u32_e64 s0, 0, v12
	s_and_b32 s0, s0, exec_lo
	s_delay_alu instid0(SALU_CYCLE_1)
	s_or_b32 s12, s12, s0
	s_or_b32 exec_lo, exec_lo, s13
	v_mov_b32_e32 v9, 0
	s_and_saveexec_b32 s0, s12
	s_cbranch_execnz .LBB295_2069
	s_branch .LBB295_2070
.LBB295_2497:
	s_or_saveexec_b32 s17, s17
	v_mov_b32_e32 v9, 0x7f800001
	s_xor_b32 exec_lo, exec_lo, s17
	s_cbranch_execz .LBB295_2138
.LBB295_2498:
	v_cmp_ne_u16_e64 s1, 0, v11
	v_mov_b32_e32 v9, 0
	s_and_not1_b32 s14, s14, exec_lo
	s_and_b32 s1, s1, exec_lo
	s_delay_alu instid0(SALU_CYCLE_1)
	s_or_b32 s14, s14, s1
	s_or_b32 exec_lo, exec_lo, s17
	s_and_saveexec_b32 s17, s14
	s_cbranch_execnz .LBB295_2139
	s_branch .LBB295_2140
.LBB295_2499:
	s_and_not1_saveexec_b32 s17, s1
	s_cbranch_execz .LBB295_2160
.LBB295_2500:
	v_add_f32_e64 v11, 0x46000000, |v9|
	s_and_not1_b32 s14, s14, exec_lo
	s_delay_alu instid0(VALU_DEP_1) | instskip(NEXT) | instid1(VALU_DEP_1)
	v_and_b32_e32 v11, 0xff, v11
	v_cmp_ne_u32_e64 s1, 0, v11
	s_and_b32 s1, s1, exec_lo
	s_delay_alu instid0(SALU_CYCLE_1)
	s_or_b32 s14, s14, s1
	s_or_b32 exec_lo, exec_lo, s17
	v_mov_b32_e32 v19, 0
	s_and_saveexec_b32 s1, s14
	s_cbranch_execnz .LBB295_2161
	s_branch .LBB295_2162
.LBB295_2501:
	s_and_not1_saveexec_b32 s10, s0
	s_cbranch_execz .LBB295_133
.LBB295_2502:
	v_add_f32_e32 v2, 0x42800000, v3
	s_and_not1_b32 s9, s9, exec_lo
	s_delay_alu instid0(VALU_DEP_1) | instskip(NEXT) | instid1(VALU_DEP_1)
	v_and_b32_e32 v2, 0xff, v2
	v_cmp_ne_u32_e64 s0, 0, v2
	s_and_b32 s0, s0, exec_lo
	s_delay_alu instid0(SALU_CYCLE_1)
	s_or_b32 s9, s9, s0
	s_or_b32 exec_lo, exec_lo, s10
	v_mov_b32_e32 v4, 0
	s_and_saveexec_b32 s0, s9
	s_cbranch_execnz .LBB295_134
	s_branch .LBB295_135
.LBB295_2503:
	s_and_not1_saveexec_b32 s9, s0
	s_cbranch_execz .LBB295_207
.LBB295_2504:
	v_add_f32_e32 v2, 0x46000000, v3
	s_and_not1_b32 s8, s8, exec_lo
	s_delay_alu instid0(VALU_DEP_1) | instskip(NEXT) | instid1(VALU_DEP_1)
	v_and_b32_e32 v2, 0xff, v2
	v_cmp_ne_u32_e64 s0, 0, v2
	s_and_b32 s0, s0, exec_lo
	s_delay_alu instid0(SALU_CYCLE_1)
	s_or_b32 s8, s8, s0
	s_or_b32 exec_lo, exec_lo, s9
	v_mov_b32_e32 v4, 0
	s_and_saveexec_b32 s0, s8
	s_cbranch_execnz .LBB295_208
	s_branch .LBB295_209
.LBB295_2505:
	s_and_not1_saveexec_b32 s12, s0
	s_cbranch_execz .LBB295_582
.LBB295_2506:
	v_add_f32_e64 v9, 0x46000000, |v7|
	s_and_not1_b32 s11, s11, exec_lo
	s_delay_alu instid0(VALU_DEP_1) | instskip(NEXT) | instid1(VALU_DEP_1)
	v_and_b32_e32 v12, 0xff, v9
	v_cmp_ne_u32_e64 s0, 0, v12
	s_and_b32 s0, s0, exec_lo
	s_delay_alu instid0(SALU_CYCLE_1)
	s_or_b32 s11, s11, s0
	s_or_b32 exec_lo, exec_lo, s12
	v_mov_b32_e32 v9, 0
	s_and_saveexec_b32 s0, s11
	s_cbranch_execnz .LBB295_583
	s_branch .LBB295_584
.LBB295_2507:
	s_and_not1_saveexec_b32 s14, s0
	s_cbranch_execz .LBB295_592
.LBB295_2508:
	v_add_f32_e32 v7, 0x46000000, v12
	s_and_not1_b32 s13, s13, exec_lo
	s_delay_alu instid0(VALU_DEP_1) | instskip(NEXT) | instid1(VALU_DEP_1)
	v_and_b32_e32 v7, 0xff, v7
	v_cmp_ne_u32_e64 s0, 0, v7
	s_and_b32 s0, s0, exec_lo
	s_delay_alu instid0(SALU_CYCLE_1)
	s_or_b32 s13, s13, s0
	s_or_b32 exec_lo, exec_lo, s14
	v_mov_b32_e32 v9, 0
	s_and_saveexec_b32 s0, s13
	s_cbranch_execnz .LBB295_593
	s_branch .LBB295_594
.LBB295_2509:
	s_and_not1_saveexec_b32 s19, s1
	s_cbranch_execz .LBB295_809
.LBB295_2510:
	v_add_f32_e32 v9, 0x46000000, v11
	s_and_not1_b32 s18, s18, exec_lo
	s_delay_alu instid0(VALU_DEP_1) | instskip(NEXT) | instid1(VALU_DEP_1)
	v_and_b32_e32 v9, 0xff, v9
	v_cmp_ne_u32_e64 s1, 0, v9
	s_and_b32 s1, s1, exec_lo
	s_delay_alu instid0(SALU_CYCLE_1)
	s_or_b32 s18, s18, s1
	s_or_b32 exec_lo, exec_lo, s19
	v_mov_b32_e32 v19, 0
	s_and_saveexec_b32 s1, s18
	s_cbranch_execnz .LBB295_810
	s_branch .LBB295_811
.LBB295_2511:
	s_and_not1_saveexec_b32 s19, s1
	s_cbranch_execz .LBB295_821
.LBB295_2512:
	v_add_f32_e32 v9, 0x46000000, v11
	s_and_not1_b32 s18, s18, exec_lo
	s_delay_alu instid0(VALU_DEP_1) | instskip(NEXT) | instid1(VALU_DEP_1)
	v_and_b32_e32 v9, 0xff, v9
	v_cmp_ne_u32_e64 s1, 0, v9
	s_and_b32 s1, s1, exec_lo
	s_delay_alu instid0(SALU_CYCLE_1)
	s_or_b32 s18, s18, s1
	s_or_b32 exec_lo, exec_lo, s19
	v_mov_b32_e32 v19, 0
	s_and_saveexec_b32 s1, s18
	s_cbranch_execnz .LBB295_822
	s_branch .LBB295_823
.LBB295_2513:
	s_and_not1_saveexec_b32 s19, s1
	s_cbranch_execz .LBB295_829
.LBB295_2514:
	v_add_f32_e32 v9, 0x46000000, v11
	s_and_not1_b32 s18, s18, exec_lo
	s_delay_alu instid0(VALU_DEP_1) | instskip(NEXT) | instid1(VALU_DEP_1)
	v_and_b32_e32 v9, 0xff, v9
	v_cmp_ne_u32_e64 s1, 0, v9
	s_and_b32 s1, s1, exec_lo
	s_delay_alu instid0(SALU_CYCLE_1)
	s_or_b32 s18, s18, s1
	s_or_b32 exec_lo, exec_lo, s19
	v_mov_b32_e32 v19, 0
	s_and_saveexec_b32 s1, s18
	s_cbranch_execnz .LBB295_830
	s_branch .LBB295_831
.LBB295_2515:
	s_and_not1_saveexec_b32 s18, s1
	s_cbranch_execz .LBB295_856
.LBB295_2516:
	v_add_f32_e64 v7, 0x46000000, |v6|
	s_and_not1_b32 s17, s17, exec_lo
	s_delay_alu instid0(VALU_DEP_1) | instskip(NEXT) | instid1(VALU_DEP_1)
	v_and_b32_e32 v7, 0xff, v7
	v_cmp_ne_u32_e64 s1, 0, v7
	s_and_b32 s1, s1, exec_lo
	s_delay_alu instid0(SALU_CYCLE_1)
	s_or_b32 s17, s17, s1
	s_or_b32 exec_lo, exec_lo, s18
	v_mov_b32_e32 v19, 0
	s_and_saveexec_b32 s1, s17
	s_cbranch_execnz .LBB295_857
	s_branch .LBB295_858
.LBB295_2517:
	s_and_not1_saveexec_b32 s18, s1
	s_cbranch_execz .LBB295_864
.LBB295_2518:
	v_add_f32_e64 v7, 0x46000000, |v6|
	s_and_not1_b32 s17, s17, exec_lo
	s_delay_alu instid0(VALU_DEP_1) | instskip(NEXT) | instid1(VALU_DEP_1)
	v_and_b32_e32 v7, 0xff, v7
	v_cmp_ne_u32_e64 s1, 0, v7
	s_and_b32 s1, s1, exec_lo
	s_delay_alu instid0(SALU_CYCLE_1)
	s_or_b32 s17, s17, s1
	s_or_b32 exec_lo, exec_lo, s18
	v_mov_b32_e32 v19, 0
	s_and_saveexec_b32 s1, s17
	s_cbranch_execnz .LBB295_865
	s_branch .LBB295_866
.LBB295_2519:
	s_and_not1_saveexec_b32 s18, s1
	s_cbranch_execz .LBB295_884
.LBB295_2520:
	v_add_f32_e64 v7, 0x46000000, |v6|
	s_and_not1_b32 s17, s17, exec_lo
	s_delay_alu instid0(VALU_DEP_1) | instskip(NEXT) | instid1(VALU_DEP_1)
	v_and_b32_e32 v7, 0xff, v7
	v_cmp_ne_u32_e64 s1, 0, v7
	s_and_b32 s1, s1, exec_lo
	s_delay_alu instid0(SALU_CYCLE_1)
	s_or_b32 s17, s17, s1
	s_or_b32 exec_lo, exec_lo, s18
	v_mov_b32_e32 v19, 0
	s_and_saveexec_b32 s1, s17
	s_cbranch_execnz .LBB295_885
	s_branch .LBB295_886
.LBB295_2521:
	s_and_not1_saveexec_b32 s18, s1
	s_cbranch_execz .LBB295_892
.LBB295_2522:
	v_add_f32_e64 v7, 0x46000000, |v6|
	s_and_not1_b32 s17, s17, exec_lo
	s_delay_alu instid0(VALU_DEP_1) | instskip(NEXT) | instid1(VALU_DEP_1)
	v_and_b32_e32 v7, 0xff, v7
	v_cmp_ne_u32_e64 s1, 0, v7
	s_and_b32 s1, s1, exec_lo
	s_delay_alu instid0(SALU_CYCLE_1)
	s_or_b32 s17, s17, s1
	s_or_b32 exec_lo, exec_lo, s18
	v_mov_b32_e32 v19, 0
	s_and_saveexec_b32 s1, s17
	s_cbranch_execnz .LBB295_893
	s_branch .LBB295_894
.LBB295_2523:
	s_and_not1_saveexec_b32 s18, s1
	s_cbranch_execz .LBB295_914
.LBB295_2524:
	v_add_f32_e64 v7, 0x46000000, |v6|
	s_and_not1_b32 s17, s17, exec_lo
	s_delay_alu instid0(VALU_DEP_1) | instskip(NEXT) | instid1(VALU_DEP_1)
	v_and_b32_e32 v7, 0xff, v7
	v_cmp_ne_u32_e64 s1, 0, v7
	s_and_b32 s1, s1, exec_lo
	s_delay_alu instid0(SALU_CYCLE_1)
	s_or_b32 s17, s17, s1
	s_or_b32 exec_lo, exec_lo, s18
	v_mov_b32_e32 v19, 0
	s_and_saveexec_b32 s1, s17
	s_cbranch_execnz .LBB295_915
	s_branch .LBB295_916
.LBB295_2525:
	s_and_not1_saveexec_b32 s18, s1
	s_cbranch_execz .LBB295_922
.LBB295_2526:
	v_add_f32_e64 v7, 0x46000000, |v6|
	s_and_not1_b32 s17, s17, exec_lo
	s_delay_alu instid0(VALU_DEP_1) | instskip(NEXT) | instid1(VALU_DEP_1)
	v_and_b32_e32 v7, 0xff, v7
	v_cmp_ne_u32_e64 s1, 0, v7
	s_and_b32 s1, s1, exec_lo
	s_delay_alu instid0(SALU_CYCLE_1)
	s_or_b32 s17, s17, s1
	s_or_b32 exec_lo, exec_lo, s18
	v_mov_b32_e32 v19, 0
	s_and_saveexec_b32 s1, s17
	s_cbranch_execnz .LBB295_923
	s_branch .LBB295_924
.LBB295_2527:
	s_and_not1_saveexec_b32 s19, s1
	s_cbranch_execz .LBB295_1051
.LBB295_2528:
	v_add_f32_e64 v8, 0x46000000, |v7|
	s_and_not1_b32 s18, s18, exec_lo
	s_delay_alu instid0(VALU_DEP_1) | instskip(NEXT) | instid1(VALU_DEP_1)
	v_and_b32_e32 v8, 0xff, v8
	v_cmp_ne_u32_e64 s1, 0, v8
	s_and_b32 s1, s1, exec_lo
	s_delay_alu instid0(SALU_CYCLE_1)
	s_or_b32 s18, s18, s1
	s_or_b32 exec_lo, exec_lo, s19
	v_mov_b32_e32 v20, 0
	s_and_saveexec_b32 s1, s18
	s_cbranch_execnz .LBB295_1052
	s_branch .LBB295_1053
.LBB295_2529:
	s_and_not1_saveexec_b32 s19, s1
	s_cbranch_execz .LBB295_1079
.LBB295_2530:
	v_add_f32_e64 v8, 0x46000000, |v7|
	s_and_not1_b32 s18, s18, exec_lo
	s_delay_alu instid0(VALU_DEP_1) | instskip(NEXT) | instid1(VALU_DEP_1)
	v_and_b32_e32 v8, 0xff, v8
	v_cmp_ne_u32_e64 s1, 0, v8
	s_and_b32 s1, s1, exec_lo
	s_delay_alu instid0(SALU_CYCLE_1)
	s_or_b32 s18, s18, s1
	s_or_b32 exec_lo, exec_lo, s19
	v_mov_b32_e32 v20, 0
	s_and_saveexec_b32 s1, s18
	s_cbranch_execnz .LBB295_1080
	s_branch .LBB295_1081
.LBB295_2531:
	s_and_not1_saveexec_b32 s19, s1
	s_cbranch_execz .LBB295_1109
.LBB295_2532:
	v_add_f32_e64 v8, 0x46000000, |v7|
	s_and_not1_b32 s18, s18, exec_lo
	s_delay_alu instid0(VALU_DEP_1) | instskip(NEXT) | instid1(VALU_DEP_1)
	v_and_b32_e32 v8, 0xff, v8
	v_cmp_ne_u32_e64 s1, 0, v8
	s_and_b32 s1, s1, exec_lo
	s_delay_alu instid0(SALU_CYCLE_1)
	s_or_b32 s18, s18, s1
	s_or_b32 exec_lo, exec_lo, s19
	v_mov_b32_e32 v20, 0
	s_and_saveexec_b32 s1, s18
	s_cbranch_execnz .LBB295_1110
	s_branch .LBB295_1111
.LBB295_2533:
	s_and_not1_saveexec_b32 s19, s1
	s_cbranch_execz .LBB295_1119
.LBB295_2534:
	v_add_f32_e64 v8, 0x46000000, |v7|
	s_and_not1_b32 s18, s18, exec_lo
	s_delay_alu instid0(VALU_DEP_1) | instskip(NEXT) | instid1(VALU_DEP_1)
	v_and_b32_e32 v8, 0xff, v8
	v_cmp_ne_u32_e64 s1, 0, v8
	s_and_b32 s1, s1, exec_lo
	s_delay_alu instid0(SALU_CYCLE_1)
	s_or_b32 s18, s18, s1
	s_or_b32 exec_lo, exec_lo, s19
	v_mov_b32_e32 v20, 0
	s_and_saveexec_b32 s1, s18
	s_cbranch_execnz .LBB295_1120
	s_branch .LBB295_1121
.LBB295_2535:
	s_and_not1_saveexec_b32 s19, s1
	s_cbranch_execz .LBB295_1127
.LBB295_2536:
	v_add_f32_e32 v7, 0x46000000, v8
	s_and_not1_b32 s18, s18, exec_lo
	s_delay_alu instid0(VALU_DEP_1) | instskip(NEXT) | instid1(VALU_DEP_1)
	v_and_b32_e32 v7, 0xff, v7
	v_cmp_ne_u32_e64 s1, 0, v7
	s_and_b32 s1, s1, exec_lo
	s_delay_alu instid0(SALU_CYCLE_1)
	s_or_b32 s18, s18, s1
	s_or_b32 exec_lo, exec_lo, s19
	v_mov_b32_e32 v20, 0
	s_and_saveexec_b32 s1, s18
	s_cbranch_execnz .LBB295_1128
	s_branch .LBB295_1129
.LBB295_2537:
	s_and_not1_saveexec_b32 s22, s1
	s_cbranch_execz .LBB295_1405
.LBB295_2538:
	v_add_f32_e32 v2, 0x46000000, v3
	s_and_not1_b32 s21, s21, exec_lo
	s_delay_alu instid0(VALU_DEP_1) | instskip(NEXT) | instid1(VALU_DEP_1)
	v_and_b32_e32 v2, 0xff, v2
	v_cmp_ne_u32_e64 s1, 0, v2
	s_and_b32 s1, s1, exec_lo
	s_delay_alu instid0(SALU_CYCLE_1)
	s_or_b32 s21, s21, s1
	s_or_b32 exec_lo, exec_lo, s22
	v_mov_b32_e32 v4, 0
	s_and_saveexec_b32 s1, s21
	s_cbranch_execnz .LBB295_1406
	s_branch .LBB295_1407
.LBB295_2539:
	s_and_not1_saveexec_b32 s23, s23
	s_cbranch_execz .LBB295_1668
.LBB295_2540:
	s_mov_b32 s24, s0
	s_mov_b32 s22, exec_lo
	v_cmpx_lt_i16_e32 22, v7
	s_xor_b32 s22, exec_lo, s22
	s_cbranch_execz .LBB295_2572
; %bb.2541:
	s_mov_b32 s24, exec_lo
	v_cmpx_lt_i16_e32 23, v7
	s_xor_b32 s24, exec_lo, s24
	s_cbranch_execz .LBB295_2561
; %bb.2542:
	;; [unrolled: 5-line block ×3, first 2 shown]
	v_cndmask_b32_e64 v8, 0, 1.0, s7
	v_mov_b32_e32 v9, 0x80
	s_mov_b32 s26, exec_lo
	s_delay_alu instid0(VALU_DEP_2)
	v_cmpx_gt_u32_e32 0x47800000, v8
	s_cbranch_execz .LBB295_2549
; %bb.2544:
	s_mov_b32 s27, 0
	s_mov_b32 s28, exec_lo
                                        ; implicit-def: $vgpr3
	v_cmpx_lt_u32_e32 0x37ffffff, v8
	s_xor_b32 s28, exec_lo, s28
	s_cbranch_execz .LBB295_2808
; %bb.2545:
	v_bfe_u32 v3, v8, 21, 1
	s_mov_b32 s27, exec_lo
	s_delay_alu instid0(VALU_DEP_1) | instskip(NEXT) | instid1(VALU_DEP_1)
	v_add3_u32 v3, v8, v3, 0x88fffff
                                        ; implicit-def: $vgpr8
	v_lshrrev_b32_e32 v3, 21, v3
	s_and_not1_saveexec_b32 s28, s28
	s_cbranch_execnz .LBB295_2809
.LBB295_2546:
	s_or_b32 exec_lo, exec_lo, s28
	v_mov_b32_e32 v9, 0
	s_and_saveexec_b32 s28, s27
.LBB295_2547:
	v_mov_b32_e32 v9, v3
.LBB295_2548:
	s_or_b32 exec_lo, exec_lo, s28
.LBB295_2549:
	s_delay_alu instid0(SALU_CYCLE_1)
	s_or_b32 exec_lo, exec_lo, s26
	flat_store_b8 v[4:5], v9
.LBB295_2550:
	s_wait_xcnt 0x0
	s_and_not1_saveexec_b32 s25, s25
	s_cbranch_execz .LBB295_2560
; %bb.2551:
	v_cndmask_b32_e64 v8, 0, 1.0, s7
	s_mov_b32 s26, exec_lo
                                        ; implicit-def: $vgpr3
	s_delay_alu instid0(VALU_DEP_1)
	v_cmpx_gt_u32_e32 0x43f00000, v8
	s_xor_b32 s26, exec_lo, s26
	s_cbranch_execz .LBB295_2557
; %bb.2552:
	s_mov_b32 s27, exec_lo
                                        ; implicit-def: $vgpr3
	v_cmpx_lt_u32_e32 0x3c7fffff, v8
	s_xor_b32 s27, exec_lo, s27
; %bb.2553:
	v_bfe_u32 v3, v8, 20, 1
	s_delay_alu instid0(VALU_DEP_1) | instskip(NEXT) | instid1(VALU_DEP_1)
	v_add3_u32 v3, v8, v3, 0x407ffff
	v_and_b32_e32 v8, 0xff00000, v3
	v_lshrrev_b32_e32 v3, 20, v3
	s_delay_alu instid0(VALU_DEP_2) | instskip(NEXT) | instid1(VALU_DEP_2)
	v_cmp_ne_u32_e32 vcc_lo, 0x7f00000, v8
                                        ; implicit-def: $vgpr8
	v_cndmask_b32_e32 v3, 0x7e, v3, vcc_lo
; %bb.2554:
	s_and_not1_saveexec_b32 s27, s27
; %bb.2555:
	v_add_f32_e32 v3, 0x46800000, v8
; %bb.2556:
	s_or_b32 exec_lo, exec_lo, s27
                                        ; implicit-def: $vgpr8
.LBB295_2557:
	s_and_not1_saveexec_b32 s26, s26
; %bb.2558:
	v_mov_b32_e32 v3, 0x7f
	v_cmp_lt_u32_e32 vcc_lo, 0x7f800000, v8
	s_delay_alu instid0(VALU_DEP_2)
	v_cndmask_b32_e32 v3, 0x7e, v3, vcc_lo
; %bb.2559:
	s_or_b32 exec_lo, exec_lo, s26
	flat_store_b8 v[4:5], v3
.LBB295_2560:
	s_wait_xcnt 0x0
	s_or_b32 exec_lo, exec_lo, s25
.LBB295_2561:
	s_and_not1_saveexec_b32 s24, s24
	s_cbranch_execz .LBB295_2571
; %bb.2562:
	v_cndmask_b32_e64 v8, 0, 1.0, s7
	s_mov_b32 s25, exec_lo
                                        ; implicit-def: $vgpr3
	s_delay_alu instid0(VALU_DEP_1)
	v_cmpx_gt_u32_e32 0x47800000, v8
	s_xor_b32 s25, exec_lo, s25
	s_cbranch_execz .LBB295_2568
; %bb.2563:
	s_mov_b32 s26, exec_lo
                                        ; implicit-def: $vgpr3
	v_cmpx_lt_u32_e32 0x387fffff, v8
	s_xor_b32 s26, exec_lo, s26
; %bb.2564:
	v_bfe_u32 v3, v8, 21, 1
	s_delay_alu instid0(VALU_DEP_1) | instskip(NEXT) | instid1(VALU_DEP_1)
	v_add3_u32 v3, v8, v3, 0x80fffff
                                        ; implicit-def: $vgpr8
	v_lshrrev_b32_e32 v3, 21, v3
; %bb.2565:
	s_and_not1_saveexec_b32 s26, s26
; %bb.2566:
	v_add_f32_e32 v3, 0x43000000, v8
; %bb.2567:
	s_or_b32 exec_lo, exec_lo, s26
                                        ; implicit-def: $vgpr8
.LBB295_2568:
	s_and_not1_saveexec_b32 s25, s25
; %bb.2569:
	v_mov_b32_e32 v3, 0x7f
	v_cmp_lt_u32_e32 vcc_lo, 0x7f800000, v8
	s_delay_alu instid0(VALU_DEP_2)
	v_cndmask_b32_e32 v3, 0x7c, v3, vcc_lo
; %bb.2570:
	s_or_b32 exec_lo, exec_lo, s25
	flat_store_b8 v[4:5], v3
.LBB295_2571:
	s_wait_xcnt 0x0
	s_or_b32 exec_lo, exec_lo, s24
	s_delay_alu instid0(SALU_CYCLE_1)
	s_or_b32 s24, s0, exec_lo
.LBB295_2572:
	s_or_saveexec_b32 s22, s22
	s_mov_b32 s25, 0
	s_mov_b32 s26, s20
	s_xor_b32 exec_lo, exec_lo, s22
	s_cbranch_execz .LBB295_2580
; %bb.2573:
	s_mov_b32 s25, s20
	s_mov_b32 s27, s24
	s_mov_b32 s26, exec_lo
	v_cmpx_lt_i16_e32 14, v7
	s_xor_b32 s26, exec_lo, s26
	s_cbranch_execz .LBB295_2577
; %bb.2574:
	s_mov_b32 s25, -1
	s_mov_b32 s28, s24
	s_mov_b32 s27, exec_lo
	v_cmpx_eq_u16_e32 15, v7
	s_cbranch_execz .LBB295_2576
; %bb.2575:
	v_cndmask_b32_e64 v3, 0, 1.0, s7
	s_or_b32 s28, s24, exec_lo
	s_xor_b32 s25, exec_lo, -1
	s_delay_alu instid0(VALU_DEP_1) | instskip(NEXT) | instid1(VALU_DEP_1)
	v_bfe_u32 v8, v3, 16, 1
	v_add3_u32 v3, v3, v8, 0x7fff
	flat_store_d16_hi_b16 v[4:5], v3
.LBB295_2576:
	s_wait_xcnt 0x0
	s_or_b32 exec_lo, exec_lo, s27
	s_delay_alu instid0(SALU_CYCLE_1)
	s_and_not1_b32 s27, s24, exec_lo
	s_and_b32 s28, s28, exec_lo
	s_and_not1_b32 s29, s20, exec_lo
	s_and_b32 s25, s25, exec_lo
	s_or_b32 s27, s27, s28
	s_or_b32 s25, s29, s25
.LBB295_2577:
	s_or_saveexec_b32 s28, s26
	s_mov_b32 s26, 0
	s_xor_b32 exec_lo, exec_lo, s28
; %bb.2578:
	v_cmp_ne_u16_e32 vcc_lo, 11, v7
	s_and_not1_b32 s25, s25, exec_lo
	s_mov_b32 s26, exec_lo
	s_and_b32 s29, vcc_lo, exec_lo
	s_delay_alu instid0(SALU_CYCLE_1)
	s_or_b32 s25, s25, s29
; %bb.2579:
	s_or_b32 exec_lo, exec_lo, s28
	s_delay_alu instid0(SALU_CYCLE_1)
	s_and_not1_b32 s24, s24, exec_lo
	s_and_b32 s27, s27, exec_lo
	s_and_b32 s28, s25, exec_lo
	s_or_b32 s24, s24, s27
	s_and_not1_b32 s27, s20, exec_lo
	s_and_b32 s25, s26, exec_lo
	s_or_b32 s26, s27, s28
.LBB295_2580:
	s_or_b32 exec_lo, exec_lo, s22
	s_delay_alu instid0(SALU_CYCLE_1)
	s_and_not1_b32 s0, s0, exec_lo
	s_and_b32 s22, s24, exec_lo
	s_and_not1_b32 s20, s20, exec_lo
	s_and_b32 s24, s26, exec_lo
	s_or_b32 s0, s0, s22
	s_and_b32 s22, s25, exec_lo
	s_or_b32 s20, s20, s24
	s_or_b32 exec_lo, exec_lo, s23
	s_mov_b32 s23, s1
	s_and_saveexec_b32 s24, s20
	s_cbranch_execz .LBB295_1669
.LBB295_2581:
	s_or_b32 s23, s1, exec_lo
	s_and_not1_b32 s22, s22, exec_lo
	s_trap 2
	s_or_b32 exec_lo, exec_lo, s24
	s_and_saveexec_b32 s20, s22
	s_delay_alu instid0(SALU_CYCLE_1)
	s_xor_b32 s20, exec_lo, s20
	s_cbranch_execnz .LBB295_1670
	s_branch .LBB295_1671
.LBB295_2582:
	s_and_not1_saveexec_b32 s18, s1
	s_cbranch_execz .LBB295_2143
.LBB295_2583:
	v_add_f32_e64 v11, 0x46000000, |v9|
	s_and_not1_b32 s17, s17, exec_lo
	s_delay_alu instid0(VALU_DEP_1) | instskip(NEXT) | instid1(VALU_DEP_1)
	v_and_b32_e32 v11, 0xff, v11
	v_cmp_ne_u32_e64 s1, 0, v11
	s_and_b32 s1, s1, exec_lo
	s_delay_alu instid0(SALU_CYCLE_1)
	s_or_b32 s17, s17, s1
	s_or_b32 exec_lo, exec_lo, s18
	v_mov_b32_e32 v19, 0
	s_and_saveexec_b32 s1, s17
	s_cbranch_execnz .LBB295_2144
	s_branch .LBB295_2145
.LBB295_2584:
	s_and_not1_saveexec_b32 s18, s1
	s_cbranch_execz .LBB295_2151
.LBB295_2585:
	v_add_f32_e64 v11, 0x46000000, |v9|
	s_and_not1_b32 s17, s17, exec_lo
	s_delay_alu instid0(VALU_DEP_1) | instskip(NEXT) | instid1(VALU_DEP_1)
	v_and_b32_e32 v11, 0xff, v11
	v_cmp_ne_u32_e64 s1, 0, v11
	s_and_b32 s1, s1, exec_lo
	s_delay_alu instid0(SALU_CYCLE_1)
	s_or_b32 s17, s17, s1
	s_or_b32 exec_lo, exec_lo, s18
	v_mov_b32_e32 v19, 0
	s_and_saveexec_b32 s1, s17
	s_cbranch_execnz .LBB295_2152
	s_branch .LBB295_2153
.LBB295_2586:
	s_and_not1_saveexec_b32 s19, s1
	s_cbranch_execz .LBB295_2171
.LBB295_2587:
	v_add_f32_e64 v11, 0x46000000, |v12|
	s_and_not1_b32 s18, s18, exec_lo
	s_delay_alu instid0(VALU_DEP_1) | instskip(NEXT) | instid1(VALU_DEP_1)
	v_and_b32_e32 v11, 0xff, v11
	v_cmp_ne_u32_e64 s1, 0, v11
	s_and_b32 s1, s1, exec_lo
	s_delay_alu instid0(SALU_CYCLE_1)
	s_or_b32 s18, s18, s1
	s_or_b32 exec_lo, exec_lo, s19
	v_mov_b32_e32 v19, 0
	s_and_saveexec_b32 s1, s18
	s_cbranch_execnz .LBB295_2172
	s_branch .LBB295_2173
.LBB295_2588:
	s_or_saveexec_b32 s19, s19
	v_mov_b32_e32 v7, 0x7f800001
	s_xor_b32 exec_lo, exec_lo, s19
	s_cbranch_execz .LBB295_2191
.LBB295_2589:
	v_cmp_ne_u16_e64 s1, 0, v12
	v_mov_b32_e32 v7, 0
	s_and_not1_b32 s18, s18, exec_lo
	s_and_b32 s1, s1, exec_lo
	s_delay_alu instid0(SALU_CYCLE_1)
	s_or_b32 s18, s18, s1
	s_or_b32 exec_lo, exec_lo, s19
	s_and_saveexec_b32 s19, s18
	s_cbranch_execnz .LBB295_2192
	s_branch .LBB295_2193
.LBB295_2590:
	s_and_not1_saveexec_b32 s19, s1
	s_cbranch_execz .LBB295_2213
.LBB295_2591:
	v_add_f32_e64 v12, 0x46000000, |v7|
	s_and_not1_b32 s18, s18, exec_lo
	s_delay_alu instid0(VALU_DEP_1) | instskip(NEXT) | instid1(VALU_DEP_1)
	v_and_b32_e32 v12, 0xff, v12
	v_cmp_ne_u32_e64 s1, 0, v12
	s_and_b32 s1, s1, exec_lo
	s_delay_alu instid0(SALU_CYCLE_1)
	s_or_b32 s18, s18, s1
	s_or_b32 exec_lo, exec_lo, s19
	v_mov_b32_e32 v20, 0
	s_and_saveexec_b32 s1, s18
	s_cbranch_execnz .LBB295_2214
	s_branch .LBB295_2215
.LBB295_2592:
	s_and_not1_saveexec_b32 s10, s0
	s_cbranch_execz .LBB295_220
.LBB295_2593:
	v_add_f32_e32 v2, 0x42800000, v3
	s_and_not1_b32 s9, s9, exec_lo
	s_delay_alu instid0(VALU_DEP_1) | instskip(NEXT) | instid1(VALU_DEP_1)
	v_and_b32_e32 v2, 0xff, v2
	v_cmp_ne_u32_e64 s0, 0, v2
	s_and_b32 s0, s0, exec_lo
	s_delay_alu instid0(SALU_CYCLE_1)
	s_or_b32 s9, s9, s0
	s_or_b32 exec_lo, exec_lo, s10
	v_mov_b32_e32 v4, 0
	s_and_saveexec_b32 s0, s9
	s_cbranch_execnz .LBB295_221
	s_branch .LBB295_222
.LBB295_2594:
	s_and_not1_saveexec_b32 s8, s8
	s_cbranch_execz .LBB295_294
.LBB295_2595:
	v_add_f32_e32 v3, 0x46000000, v4
	s_and_not1_b32 s7, s7, exec_lo
	s_delay_alu instid0(VALU_DEP_1) | instskip(NEXT) | instid1(VALU_DEP_1)
	v_and_b32_e32 v3, 0xff, v3
	v_cmp_ne_u32_e32 vcc_lo, 0, v3
	s_and_b32 s9, vcc_lo, exec_lo
	s_delay_alu instid0(SALU_CYCLE_1)
	s_or_b32 s7, s7, s9
	s_or_b32 exec_lo, exec_lo, s8
	v_mov_b32_e32 v5, 0
	s_and_saveexec_b32 s8, s7
	s_cbranch_execnz .LBB295_295
	s_branch .LBB295_296
.LBB295_2596:
	s_and_not1_saveexec_b32 s18, s1
	s_cbranch_execz .LBB295_788
.LBB295_2597:
	v_add_f32_e64 v11, 0x46000000, |v9|
	s_and_not1_b32 s17, s17, exec_lo
	s_delay_alu instid0(VALU_DEP_1) | instskip(NEXT) | instid1(VALU_DEP_1)
	v_and_b32_e32 v11, 0xff, v11
	v_cmp_ne_u32_e64 s1, 0, v11
	s_and_b32 s1, s1, exec_lo
	s_delay_alu instid0(SALU_CYCLE_1)
	s_or_b32 s17, s17, s1
	s_or_b32 exec_lo, exec_lo, s18
	v_mov_b32_e32 v19, 0
	s_and_saveexec_b32 s1, s17
	s_cbranch_execnz .LBB295_789
	s_branch .LBB295_790
.LBB295_2598:
	s_and_not1_saveexec_b32 s20, s1
	s_cbranch_execz .LBB295_798
.LBB295_2599:
	v_add_f32_e32 v9, 0x46000000, v11
	s_and_not1_b32 s19, s19, exec_lo
	s_delay_alu instid0(VALU_DEP_1) | instskip(NEXT) | instid1(VALU_DEP_1)
	v_and_b32_e32 v9, 0xff, v9
	v_cmp_ne_u32_e64 s1, 0, v9
	s_and_b32 s1, s1, exec_lo
	s_delay_alu instid0(SALU_CYCLE_1)
	s_or_b32 s19, s19, s1
	s_or_b32 exec_lo, exec_lo, s20
	v_mov_b32_e32 v19, 0
	s_and_saveexec_b32 s1, s19
	s_cbranch_execnz .LBB295_799
	s_branch .LBB295_800
.LBB295_2600:
	s_and_not1_saveexec_b32 s21, s1
	s_cbranch_execz .LBB295_987
.LBB295_2601:
	v_add_f32_e32 v7, 0x46000000, v12
	s_and_not1_b32 s20, s20, exec_lo
	s_delay_alu instid0(VALU_DEP_1) | instskip(NEXT) | instid1(VALU_DEP_1)
	v_and_b32_e32 v7, 0xff, v7
	v_cmp_ne_u32_e64 s1, 0, v7
	s_and_b32 s1, s1, exec_lo
	s_delay_alu instid0(SALU_CYCLE_1)
	s_or_b32 s20, s20, s1
	s_or_b32 exec_lo, exec_lo, s21
	v_mov_b32_e32 v20, 0
	s_and_saveexec_b32 s1, s20
	s_cbranch_execnz .LBB295_988
	s_branch .LBB295_989
.LBB295_2602:
	s_and_not1_saveexec_b32 s21, s1
	s_cbranch_execz .LBB295_999
.LBB295_2603:
	v_add_f32_e32 v7, 0x46000000, v12
	s_and_not1_b32 s20, s20, exec_lo
	s_delay_alu instid0(VALU_DEP_1) | instskip(NEXT) | instid1(VALU_DEP_1)
	v_and_b32_e32 v7, 0xff, v7
	v_cmp_ne_u32_e64 s1, 0, v7
	s_and_b32 s1, s1, exec_lo
	s_delay_alu instid0(SALU_CYCLE_1)
	s_or_b32 s20, s20, s1
	s_or_b32 exec_lo, exec_lo, s21
	v_mov_b32_e32 v20, 0
	s_and_saveexec_b32 s1, s20
	s_cbranch_execnz .LBB295_1000
	s_branch .LBB295_1001
.LBB295_2604:
	s_and_not1_saveexec_b32 s21, s1
	s_cbranch_execz .LBB295_1007
.LBB295_2605:
	v_add_f32_e32 v7, 0x46000000, v12
	s_and_not1_b32 s20, s20, exec_lo
	s_delay_alu instid0(VALU_DEP_1) | instskip(NEXT) | instid1(VALU_DEP_1)
	v_and_b32_e32 v7, 0xff, v7
	v_cmp_ne_u32_e64 s1, 0, v7
	s_and_b32 s1, s1, exec_lo
	s_delay_alu instid0(SALU_CYCLE_1)
	s_or_b32 s20, s20, s1
	s_or_b32 exec_lo, exec_lo, s21
	v_mov_b32_e32 v20, 0
	s_and_saveexec_b32 s1, s20
	s_cbranch_execnz .LBB295_1008
	s_branch .LBB295_1009
.LBB295_2606:
	s_and_not1_saveexec_b32 s20, s1
	s_cbranch_execz .LBB295_1034
.LBB295_2607:
	v_add_f32_e64 v8, 0x46000000, |v7|
	s_and_not1_b32 s19, s19, exec_lo
	s_delay_alu instid0(VALU_DEP_1) | instskip(NEXT) | instid1(VALU_DEP_1)
	v_and_b32_e32 v8, 0xff, v8
	v_cmp_ne_u32_e64 s1, 0, v8
	s_and_b32 s1, s1, exec_lo
	s_delay_alu instid0(SALU_CYCLE_1)
	s_or_b32 s19, s19, s1
	s_or_b32 exec_lo, exec_lo, s20
	v_mov_b32_e32 v20, 0
	s_and_saveexec_b32 s1, s19
	s_cbranch_execnz .LBB295_1035
	s_branch .LBB295_1036
.LBB295_2608:
	s_and_not1_saveexec_b32 s20, s1
	s_cbranch_execz .LBB295_1042
.LBB295_2609:
	v_add_f32_e64 v8, 0x46000000, |v7|
	s_and_not1_b32 s19, s19, exec_lo
	s_delay_alu instid0(VALU_DEP_1) | instskip(NEXT) | instid1(VALU_DEP_1)
	v_and_b32_e32 v8, 0xff, v8
	v_cmp_ne_u32_e64 s1, 0, v8
	s_and_b32 s1, s1, exec_lo
	s_delay_alu instid0(SALU_CYCLE_1)
	s_or_b32 s19, s19, s1
	s_or_b32 exec_lo, exec_lo, s20
	v_mov_b32_e32 v20, 0
	s_and_saveexec_b32 s1, s19
	s_cbranch_execnz .LBB295_1043
	s_branch .LBB295_1044
.LBB295_2610:
	s_and_not1_saveexec_b32 s20, s1
	s_cbranch_execz .LBB295_1062
.LBB295_2611:
	v_add_f32_e64 v8, 0x46000000, |v7|
	s_and_not1_b32 s19, s19, exec_lo
	s_delay_alu instid0(VALU_DEP_1) | instskip(NEXT) | instid1(VALU_DEP_1)
	v_and_b32_e32 v8, 0xff, v8
	v_cmp_ne_u32_e64 s1, 0, v8
	s_and_b32 s1, s1, exec_lo
	s_delay_alu instid0(SALU_CYCLE_1)
	s_or_b32 s19, s19, s1
	s_or_b32 exec_lo, exec_lo, s20
	v_mov_b32_e32 v20, 0
	s_and_saveexec_b32 s1, s19
	s_cbranch_execnz .LBB295_1063
	s_branch .LBB295_1064
.LBB295_2612:
	s_and_not1_saveexec_b32 s20, s1
	s_cbranch_execz .LBB295_1070
.LBB295_2613:
	v_add_f32_e64 v8, 0x46000000, |v7|
	s_and_not1_b32 s19, s19, exec_lo
	s_delay_alu instid0(VALU_DEP_1) | instskip(NEXT) | instid1(VALU_DEP_1)
	v_and_b32_e32 v8, 0xff, v8
	v_cmp_ne_u32_e64 s1, 0, v8
	s_and_b32 s1, s1, exec_lo
	s_delay_alu instid0(SALU_CYCLE_1)
	s_or_b32 s19, s19, s1
	s_or_b32 exec_lo, exec_lo, s20
	v_mov_b32_e32 v20, 0
	s_and_saveexec_b32 s1, s19
	s_cbranch_execnz .LBB295_1071
	s_branch .LBB295_1072
.LBB295_2614:
	s_and_not1_saveexec_b32 s20, s1
	s_cbranch_execz .LBB295_1092
.LBB295_2615:
	v_add_f32_e64 v8, 0x46000000, |v7|
	s_and_not1_b32 s19, s19, exec_lo
	s_delay_alu instid0(VALU_DEP_1) | instskip(NEXT) | instid1(VALU_DEP_1)
	v_and_b32_e32 v8, 0xff, v8
	v_cmp_ne_u32_e64 s1, 0, v8
	s_and_b32 s1, s1, exec_lo
	s_delay_alu instid0(SALU_CYCLE_1)
	s_or_b32 s19, s19, s1
	s_or_b32 exec_lo, exec_lo, s20
	v_mov_b32_e32 v20, 0
	s_and_saveexec_b32 s1, s19
	s_cbranch_execnz .LBB295_1093
	s_branch .LBB295_1094
.LBB295_2616:
	s_and_not1_saveexec_b32 s20, s1
	s_cbranch_execz .LBB295_1100
.LBB295_2617:
	v_add_f32_e64 v8, 0x46000000, |v7|
	s_and_not1_b32 s19, s19, exec_lo
	s_delay_alu instid0(VALU_DEP_1) | instskip(NEXT) | instid1(VALU_DEP_1)
	v_and_b32_e32 v8, 0xff, v8
	v_cmp_ne_u32_e64 s1, 0, v8
	s_and_b32 s1, s1, exec_lo
	s_delay_alu instid0(SALU_CYCLE_1)
	s_or_b32 s19, s19, s1
	s_or_b32 exec_lo, exec_lo, s20
	v_mov_b32_e32 v20, 0
	s_and_saveexec_b32 s1, s19
	s_cbranch_execnz .LBB295_1101
	s_branch .LBB295_1102
.LBB295_2618:
	s_and_not1_saveexec_b32 s22, s1
	s_cbranch_execz .LBB295_1257
.LBB295_2619:
	v_add_f32_e64 v5, 0x46000000, |v4|
	s_and_not1_b32 s21, s21, exec_lo
	s_delay_alu instid0(VALU_DEP_1) | instskip(NEXT) | instid1(VALU_DEP_1)
	v_and_b32_e32 v5, 0xff, v5
	v_cmp_ne_u32_e64 s1, 0, v5
	s_and_b32 s1, s1, exec_lo
	s_delay_alu instid0(SALU_CYCLE_1)
	s_or_b32 s21, s21, s1
	s_or_b32 exec_lo, exec_lo, s22
	v_mov_b32_e32 v8, 0
	s_and_saveexec_b32 s1, s21
	s_cbranch_execnz .LBB295_1258
	s_branch .LBB295_1259
.LBB295_2620:
	s_and_not1_saveexec_b32 s22, s1
	s_cbranch_execz .LBB295_1285
.LBB295_2621:
	v_add_f32_e64 v5, 0x46000000, |v4|
	s_and_not1_b32 s21, s21, exec_lo
	s_delay_alu instid0(VALU_DEP_1) | instskip(NEXT) | instid1(VALU_DEP_1)
	v_and_b32_e32 v5, 0xff, v5
	v_cmp_ne_u32_e64 s1, 0, v5
	s_and_b32 s1, s1, exec_lo
	s_delay_alu instid0(SALU_CYCLE_1)
	s_or_b32 s21, s21, s1
	s_or_b32 exec_lo, exec_lo, s22
	v_mov_b32_e32 v8, 0
	s_and_saveexec_b32 s1, s21
	s_cbranch_execnz .LBB295_1286
	s_branch .LBB295_1287
.LBB295_2622:
	s_and_not1_saveexec_b32 s22, s1
	s_cbranch_execz .LBB295_1315
.LBB295_2623:
	v_add_f32_e64 v5, 0x46000000, |v4|
	s_and_not1_b32 s21, s21, exec_lo
	s_delay_alu instid0(VALU_DEP_1) | instskip(NEXT) | instid1(VALU_DEP_1)
	v_and_b32_e32 v5, 0xff, v5
	v_cmp_ne_u32_e64 s1, 0, v5
	s_and_b32 s1, s1, exec_lo
	s_delay_alu instid0(SALU_CYCLE_1)
	s_or_b32 s21, s21, s1
	s_or_b32 exec_lo, exec_lo, s22
	v_mov_b32_e32 v8, 0
	s_and_saveexec_b32 s1, s21
	s_cbranch_execnz .LBB295_1316
	s_branch .LBB295_1317
.LBB295_2624:
	s_and_not1_saveexec_b32 s22, s1
	s_cbranch_execz .LBB295_1325
.LBB295_2625:
	v_add_f32_e64 v5, 0x46000000, |v4|
	s_and_not1_b32 s21, s21, exec_lo
	s_delay_alu instid0(VALU_DEP_1) | instskip(NEXT) | instid1(VALU_DEP_1)
	v_and_b32_e32 v5, 0xff, v5
	v_cmp_ne_u32_e64 s1, 0, v5
	s_and_b32 s1, s1, exec_lo
	s_delay_alu instid0(SALU_CYCLE_1)
	s_or_b32 s21, s21, s1
	s_or_b32 exec_lo, exec_lo, s22
	v_mov_b32_e32 v8, 0
	s_and_saveexec_b32 s1, s21
	s_cbranch_execnz .LBB295_1326
	s_branch .LBB295_1327
.LBB295_2626:
	s_and_not1_saveexec_b32 s22, s1
	s_cbranch_execz .LBB295_1333
.LBB295_2627:
	v_add_f32_e32 v4, 0x46000000, v5
	s_and_not1_b32 s21, s21, exec_lo
	s_delay_alu instid0(VALU_DEP_1) | instskip(NEXT) | instid1(VALU_DEP_1)
	v_and_b32_e32 v4, 0xff, v4
	v_cmp_ne_u32_e64 s1, 0, v4
	s_and_b32 s1, s1, exec_lo
	s_delay_alu instid0(SALU_CYCLE_1)
	s_or_b32 s21, s21, s1
	s_or_b32 exec_lo, exec_lo, s22
	v_mov_b32_e32 v8, 0
	s_and_saveexec_b32 s1, s21
	s_cbranch_execnz .LBB295_1334
	s_branch .LBB295_1335
.LBB295_2628:
	s_and_not1_saveexec_b32 s24, s24
	s_cbranch_execz .LBB295_1752
.LBB295_2629:
	s_mov_b32 s25, s0
	s_mov_b32 s23, exec_lo
	v_cmpx_lt_i16_e32 22, v7
	s_xor_b32 s23, exec_lo, s23
	s_cbranch_execz .LBB295_2661
; %bb.2630:
	s_mov_b32 s25, exec_lo
	v_cmpx_lt_i16_e32 23, v7
	s_xor_b32 s25, exec_lo, s25
	s_cbranch_execz .LBB295_2650
; %bb.2631:
	;; [unrolled: 5-line block ×3, first 2 shown]
	v_cndmask_b32_e64 v8, 0, 1.0, s11
	v_mov_b32_e32 v9, 0x80
	s_mov_b32 s27, exec_lo
	s_delay_alu instid0(VALU_DEP_2)
	v_cmpx_gt_u32_e32 0x47800000, v8
	s_cbranch_execz .LBB295_2638
; %bb.2633:
	s_mov_b32 s28, 0
	s_mov_b32 s29, exec_lo
                                        ; implicit-def: $vgpr3
	v_cmpx_lt_u32_e32 0x37ffffff, v8
	s_xor_b32 s29, exec_lo, s29
	s_cbranch_execz .LBB295_2812
; %bb.2634:
	v_bfe_u32 v3, v8, 21, 1
	s_mov_b32 s28, exec_lo
	s_delay_alu instid0(VALU_DEP_1) | instskip(NEXT) | instid1(VALU_DEP_1)
	v_add3_u32 v3, v8, v3, 0x88fffff
                                        ; implicit-def: $vgpr8
	v_lshrrev_b32_e32 v3, 21, v3
	s_and_not1_saveexec_b32 s29, s29
	s_cbranch_execnz .LBB295_2813
.LBB295_2635:
	s_or_b32 exec_lo, exec_lo, s29
	v_mov_b32_e32 v9, 0
	s_and_saveexec_b32 s29, s28
.LBB295_2636:
	v_mov_b32_e32 v9, v3
.LBB295_2637:
	s_or_b32 exec_lo, exec_lo, s29
.LBB295_2638:
	s_delay_alu instid0(SALU_CYCLE_1)
	s_or_b32 exec_lo, exec_lo, s27
	flat_store_b8 v[4:5], v9
.LBB295_2639:
	s_wait_xcnt 0x0
	s_and_not1_saveexec_b32 s26, s26
	s_cbranch_execz .LBB295_2649
; %bb.2640:
	v_cndmask_b32_e64 v8, 0, 1.0, s11
	s_mov_b32 s27, exec_lo
                                        ; implicit-def: $vgpr3
	s_delay_alu instid0(VALU_DEP_1)
	v_cmpx_gt_u32_e32 0x43f00000, v8
	s_xor_b32 s27, exec_lo, s27
	s_cbranch_execz .LBB295_2646
; %bb.2641:
	s_mov_b32 s28, exec_lo
                                        ; implicit-def: $vgpr3
	v_cmpx_lt_u32_e32 0x3c7fffff, v8
	s_xor_b32 s28, exec_lo, s28
; %bb.2642:
	v_bfe_u32 v3, v8, 20, 1
	s_delay_alu instid0(VALU_DEP_1) | instskip(NEXT) | instid1(VALU_DEP_1)
	v_add3_u32 v3, v8, v3, 0x407ffff
	v_and_b32_e32 v8, 0xff00000, v3
	v_lshrrev_b32_e32 v3, 20, v3
	s_delay_alu instid0(VALU_DEP_2) | instskip(NEXT) | instid1(VALU_DEP_2)
	v_cmp_ne_u32_e32 vcc_lo, 0x7f00000, v8
                                        ; implicit-def: $vgpr8
	v_cndmask_b32_e32 v3, 0x7e, v3, vcc_lo
; %bb.2643:
	s_and_not1_saveexec_b32 s28, s28
; %bb.2644:
	v_add_f32_e32 v3, 0x46800000, v8
; %bb.2645:
	s_or_b32 exec_lo, exec_lo, s28
                                        ; implicit-def: $vgpr8
.LBB295_2646:
	s_and_not1_saveexec_b32 s27, s27
; %bb.2647:
	v_mov_b32_e32 v3, 0x7f
	v_cmp_lt_u32_e32 vcc_lo, 0x7f800000, v8
	s_delay_alu instid0(VALU_DEP_2)
	v_cndmask_b32_e32 v3, 0x7e, v3, vcc_lo
; %bb.2648:
	s_or_b32 exec_lo, exec_lo, s27
	flat_store_b8 v[4:5], v3
.LBB295_2649:
	s_wait_xcnt 0x0
	s_or_b32 exec_lo, exec_lo, s26
.LBB295_2650:
	s_and_not1_saveexec_b32 s25, s25
	s_cbranch_execz .LBB295_2660
; %bb.2651:
	v_cndmask_b32_e64 v8, 0, 1.0, s11
	s_mov_b32 s26, exec_lo
                                        ; implicit-def: $vgpr3
	s_delay_alu instid0(VALU_DEP_1)
	v_cmpx_gt_u32_e32 0x47800000, v8
	s_xor_b32 s26, exec_lo, s26
	s_cbranch_execz .LBB295_2657
; %bb.2652:
	s_mov_b32 s27, exec_lo
                                        ; implicit-def: $vgpr3
	v_cmpx_lt_u32_e32 0x387fffff, v8
	s_xor_b32 s27, exec_lo, s27
; %bb.2653:
	v_bfe_u32 v3, v8, 21, 1
	s_delay_alu instid0(VALU_DEP_1) | instskip(NEXT) | instid1(VALU_DEP_1)
	v_add3_u32 v3, v8, v3, 0x80fffff
                                        ; implicit-def: $vgpr8
	v_lshrrev_b32_e32 v3, 21, v3
; %bb.2654:
	s_and_not1_saveexec_b32 s27, s27
; %bb.2655:
	v_add_f32_e32 v3, 0x43000000, v8
; %bb.2656:
	s_or_b32 exec_lo, exec_lo, s27
                                        ; implicit-def: $vgpr8
.LBB295_2657:
	s_and_not1_saveexec_b32 s26, s26
; %bb.2658:
	v_mov_b32_e32 v3, 0x7f
	v_cmp_lt_u32_e32 vcc_lo, 0x7f800000, v8
	s_delay_alu instid0(VALU_DEP_2)
	v_cndmask_b32_e32 v3, 0x7c, v3, vcc_lo
; %bb.2659:
	s_or_b32 exec_lo, exec_lo, s26
	flat_store_b8 v[4:5], v3
.LBB295_2660:
	s_wait_xcnt 0x0
	s_or_b32 exec_lo, exec_lo, s25
	s_delay_alu instid0(SALU_CYCLE_1)
	s_or_b32 s25, s0, exec_lo
.LBB295_2661:
	s_or_saveexec_b32 s23, s23
	s_mov_b32 s26, 0
	s_mov_b32 s27, s21
	s_xor_b32 exec_lo, exec_lo, s23
	s_cbranch_execz .LBB295_2669
; %bb.2662:
	s_mov_b32 s26, s21
	s_mov_b32 s28, s25
	s_mov_b32 s27, exec_lo
	v_cmpx_lt_i16_e32 14, v7
	s_xor_b32 s27, exec_lo, s27
	s_cbranch_execz .LBB295_2666
; %bb.2663:
	s_mov_b32 s26, -1
	s_mov_b32 s29, s25
	s_mov_b32 s28, exec_lo
	v_cmpx_eq_u16_e32 15, v7
	s_cbranch_execz .LBB295_2665
; %bb.2664:
	v_cndmask_b32_e64 v3, 0, 1.0, s11
	s_or_b32 s29, s25, exec_lo
	s_xor_b32 s26, exec_lo, -1
	s_delay_alu instid0(VALU_DEP_1) | instskip(NEXT) | instid1(VALU_DEP_1)
	v_bfe_u32 v8, v3, 16, 1
	v_add3_u32 v3, v3, v8, 0x7fff
	flat_store_d16_hi_b16 v[4:5], v3
.LBB295_2665:
	s_wait_xcnt 0x0
	s_or_b32 exec_lo, exec_lo, s28
	s_delay_alu instid0(SALU_CYCLE_1)
	s_and_not1_b32 s28, s25, exec_lo
	s_and_b32 s29, s29, exec_lo
	s_and_not1_b32 s30, s21, exec_lo
	s_and_b32 s26, s26, exec_lo
	s_or_b32 s28, s28, s29
	s_or_b32 s26, s30, s26
.LBB295_2666:
	s_or_saveexec_b32 s29, s27
	s_mov_b32 s27, 0
	s_xor_b32 exec_lo, exec_lo, s29
; %bb.2667:
	v_cmp_ne_u16_e32 vcc_lo, 11, v7
	s_and_not1_b32 s26, s26, exec_lo
	s_mov_b32 s27, exec_lo
	s_and_b32 s30, vcc_lo, exec_lo
	s_delay_alu instid0(SALU_CYCLE_1)
	s_or_b32 s26, s26, s30
; %bb.2668:
	s_or_b32 exec_lo, exec_lo, s29
	s_delay_alu instid0(SALU_CYCLE_1)
	s_and_not1_b32 s25, s25, exec_lo
	s_and_b32 s28, s28, exec_lo
	s_and_b32 s29, s26, exec_lo
	s_or_b32 s25, s25, s28
	s_and_not1_b32 s28, s21, exec_lo
	s_and_b32 s26, s27, exec_lo
	s_or_b32 s27, s28, s29
.LBB295_2669:
	s_or_b32 exec_lo, exec_lo, s23
	s_delay_alu instid0(SALU_CYCLE_1)
	s_and_not1_b32 s0, s0, exec_lo
	s_and_b32 s23, s25, exec_lo
	s_and_not1_b32 s21, s21, exec_lo
	s_and_b32 s25, s27, exec_lo
	s_or_b32 s0, s0, s23
	s_and_b32 s23, s26, exec_lo
	s_or_b32 s21, s21, s25
	s_or_b32 exec_lo, exec_lo, s24
	s_mov_b32 s24, s20
	s_and_saveexec_b32 s25, s21
	s_cbranch_execz .LBB295_1753
.LBB295_2670:
	s_or_b32 s24, s20, exec_lo
	s_and_not1_b32 s23, s23, exec_lo
	s_trap 2
	s_or_b32 exec_lo, exec_lo, s25
	s_and_saveexec_b32 s21, s23
	s_delay_alu instid0(SALU_CYCLE_1)
	s_xor_b32 s21, exec_lo, s21
	s_cbranch_execnz .LBB295_1754
	s_branch .LBB295_1755
.LBB295_2671:
	s_and_not1_saveexec_b32 s20, s1
	s_cbranch_execz .LBB295_2196
.LBB295_2672:
	v_add_f32_e64 v12, 0x46000000, |v7|
	s_and_not1_b32 s19, s19, exec_lo
	s_delay_alu instid0(VALU_DEP_1) | instskip(NEXT) | instid1(VALU_DEP_1)
	v_and_b32_e32 v12, 0xff, v12
	v_cmp_ne_u32_e64 s1, 0, v12
	s_and_b32 s1, s1, exec_lo
	s_delay_alu instid0(SALU_CYCLE_1)
	s_or_b32 s19, s19, s1
	s_or_b32 exec_lo, exec_lo, s20
	v_mov_b32_e32 v20, 0
	s_and_saveexec_b32 s1, s19
	s_cbranch_execnz .LBB295_2197
	s_branch .LBB295_2198
.LBB295_2673:
	s_and_not1_saveexec_b32 s20, s1
	s_cbranch_execz .LBB295_2204
.LBB295_2674:
	v_add_f32_e64 v12, 0x46000000, |v7|
	s_and_not1_b32 s19, s19, exec_lo
	s_delay_alu instid0(VALU_DEP_1) | instskip(NEXT) | instid1(VALU_DEP_1)
	v_and_b32_e32 v12, 0xff, v12
	v_cmp_ne_u32_e64 s1, 0, v12
	s_and_b32 s1, s1, exec_lo
	s_delay_alu instid0(SALU_CYCLE_1)
	s_or_b32 s19, s19, s1
	s_or_b32 exec_lo, exec_lo, s20
	v_mov_b32_e32 v20, 0
	s_and_saveexec_b32 s1, s19
	s_cbranch_execnz .LBB295_2205
	s_branch .LBB295_2206
.LBB295_2675:
	s_and_not1_saveexec_b32 s21, s1
	s_cbranch_execz .LBB295_2224
.LBB295_2676:
	v_add_f32_e64 v12, 0x46000000, |v13|
	s_and_not1_b32 s20, s20, exec_lo
	s_delay_alu instid0(VALU_DEP_1) | instskip(NEXT) | instid1(VALU_DEP_1)
	v_and_b32_e32 v12, 0xff, v12
	v_cmp_ne_u32_e64 s1, 0, v12
	s_and_b32 s1, s1, exec_lo
	s_delay_alu instid0(SALU_CYCLE_1)
	s_or_b32 s20, s20, s1
	s_or_b32 exec_lo, exec_lo, s21
	v_mov_b32_e32 v20, 0
	s_and_saveexec_b32 s1, s20
	s_cbranch_execnz .LBB295_2225
	s_branch .LBB295_2226
.LBB295_2677:
	s_or_saveexec_b32 s22, s22
	v_mov_b32_e32 v7, 0x7f800001
	s_xor_b32 exec_lo, exec_lo, s22
	s_cbranch_execz .LBB295_2262
.LBB295_2678:
	v_cmp_ne_u16_e64 s1, 0, v8
	v_mov_b32_e32 v7, 0
	s_and_not1_b32 s21, s21, exec_lo
	s_and_b32 s1, s1, exec_lo
	s_delay_alu instid0(SALU_CYCLE_1)
	s_or_b32 s21, s21, s1
	s_or_b32 exec_lo, exec_lo, s22
	s_and_saveexec_b32 s22, s21
	s_cbranch_execnz .LBB295_2263
	s_branch .LBB295_2264
.LBB295_2679:
	s_and_not1_saveexec_b32 s22, s1
	s_cbranch_execz .LBB295_2284
.LBB295_2680:
	v_add_f32_e64 v8, 0x46000000, |v7|
	s_and_not1_b32 s21, s21, exec_lo
	s_delay_alu instid0(VALU_DEP_1) | instskip(NEXT) | instid1(VALU_DEP_1)
	v_and_b32_e32 v9, 0xff, v8
	v_cmp_ne_u32_e64 s1, 0, v9
	s_and_b32 s1, s1, exec_lo
	s_delay_alu instid0(SALU_CYCLE_1)
	s_or_b32 s21, s21, s1
	s_or_b32 exec_lo, exec_lo, s22
	v_mov_b32_e32 v8, 0
	s_and_saveexec_b32 s1, s21
	s_cbranch_execnz .LBB295_2285
	s_branch .LBB295_2286
.LBB295_2681:
	s_and_not1_saveexec_b32 s9, s9
	s_cbranch_execz .LBB295_307
.LBB295_2682:
	v_add_f32_e32 v3, 0x42800000, v4
	s_and_not1_b32 s8, s8, exec_lo
	s_delay_alu instid0(VALU_DEP_1) | instskip(NEXT) | instid1(VALU_DEP_1)
	v_and_b32_e32 v3, 0xff, v3
	v_cmp_ne_u32_e32 vcc_lo, 0, v3
	s_and_b32 s10, vcc_lo, exec_lo
	s_delay_alu instid0(SALU_CYCLE_1)
	s_or_b32 s8, s8, s10
	s_or_b32 exec_lo, exec_lo, s9
	v_mov_b32_e32 v5, 0
	s_and_saveexec_b32 s9, s8
	s_cbranch_execnz .LBB295_308
	s_branch .LBB295_309
.LBB295_2683:
	s_and_not1_saveexec_b32 s20, s1
	s_cbranch_execz .LBB295_966
.LBB295_2684:
	v_add_f32_e64 v12, 0x46000000, |v7|
	s_and_not1_b32 s19, s19, exec_lo
	s_delay_alu instid0(VALU_DEP_1) | instskip(NEXT) | instid1(VALU_DEP_1)
	v_and_b32_e32 v12, 0xff, v12
	v_cmp_ne_u32_e64 s1, 0, v12
	s_and_b32 s1, s1, exec_lo
	s_delay_alu instid0(SALU_CYCLE_1)
	s_or_b32 s19, s19, s1
	s_or_b32 exec_lo, exec_lo, s20
	v_mov_b32_e32 v20, 0
	s_and_saveexec_b32 s1, s19
	s_cbranch_execnz .LBB295_967
	s_branch .LBB295_968
.LBB295_2685:
	s_and_not1_saveexec_b32 s22, s1
	s_cbranch_execz .LBB295_976
.LBB295_2686:
	v_add_f32_e32 v7, 0x46000000, v12
	s_and_not1_b32 s21, s21, exec_lo
	s_delay_alu instid0(VALU_DEP_1) | instskip(NEXT) | instid1(VALU_DEP_1)
	v_and_b32_e32 v7, 0xff, v7
	v_cmp_ne_u32_e64 s1, 0, v7
	s_and_b32 s1, s1, exec_lo
	s_delay_alu instid0(SALU_CYCLE_1)
	s_or_b32 s21, s21, s1
	s_or_b32 exec_lo, exec_lo, s22
	v_mov_b32_e32 v20, 0
	s_and_saveexec_b32 s1, s21
	s_cbranch_execnz .LBB295_977
	s_branch .LBB295_978
.LBB295_2687:
	s_and_not1_saveexec_b32 s24, s1
	s_cbranch_execz .LBB295_1193
.LBB295_2688:
	v_add_f32_e32 v7, 0x46000000, v9
	s_and_not1_b32 s23, s23, exec_lo
	s_delay_alu instid0(VALU_DEP_1) | instskip(NEXT) | instid1(VALU_DEP_1)
	v_and_b32_e32 v7, 0xff, v7
	v_cmp_ne_u32_e64 s1, 0, v7
	s_and_b32 s1, s1, exec_lo
	s_delay_alu instid0(SALU_CYCLE_1)
	s_or_b32 s23, s23, s1
	s_or_b32 exec_lo, exec_lo, s24
	v_mov_b32_e32 v8, 0
	s_and_saveexec_b32 s1, s23
	s_cbranch_execnz .LBB295_1194
	s_branch .LBB295_1195
.LBB295_2689:
	s_and_not1_saveexec_b32 s24, s1
	s_cbranch_execz .LBB295_1205
.LBB295_2690:
	v_add_f32_e32 v7, 0x46000000, v9
	s_and_not1_b32 s23, s23, exec_lo
	s_delay_alu instid0(VALU_DEP_1) | instskip(NEXT) | instid1(VALU_DEP_1)
	v_and_b32_e32 v7, 0xff, v7
	v_cmp_ne_u32_e64 s1, 0, v7
	s_and_b32 s1, s1, exec_lo
	s_delay_alu instid0(SALU_CYCLE_1)
	s_or_b32 s23, s23, s1
	s_or_b32 exec_lo, exec_lo, s24
	v_mov_b32_e32 v8, 0
	s_and_saveexec_b32 s1, s23
	s_cbranch_execnz .LBB295_1206
	s_branch .LBB295_1207
.LBB295_2691:
	s_and_not1_saveexec_b32 s24, s1
	s_cbranch_execz .LBB295_1213
.LBB295_2692:
	v_add_f32_e32 v7, 0x46000000, v9
	s_and_not1_b32 s23, s23, exec_lo
	s_delay_alu instid0(VALU_DEP_1) | instskip(NEXT) | instid1(VALU_DEP_1)
	v_and_b32_e32 v7, 0xff, v7
	v_cmp_ne_u32_e64 s1, 0, v7
	s_and_b32 s1, s1, exec_lo
	s_delay_alu instid0(SALU_CYCLE_1)
	s_or_b32 s23, s23, s1
	s_or_b32 exec_lo, exec_lo, s24
	v_mov_b32_e32 v8, 0
	s_and_saveexec_b32 s1, s23
	s_cbranch_execnz .LBB295_1214
	s_branch .LBB295_1215
.LBB295_2693:
	s_and_not1_saveexec_b32 s23, s1
	s_cbranch_execz .LBB295_1240
.LBB295_2694:
	v_add_f32_e64 v5, 0x46000000, |v4|
	s_and_not1_b32 s22, s22, exec_lo
	s_delay_alu instid0(VALU_DEP_1) | instskip(NEXT) | instid1(VALU_DEP_1)
	v_and_b32_e32 v5, 0xff, v5
	v_cmp_ne_u32_e64 s1, 0, v5
	s_and_b32 s1, s1, exec_lo
	s_delay_alu instid0(SALU_CYCLE_1)
	s_or_b32 s22, s22, s1
	s_or_b32 exec_lo, exec_lo, s23
	v_mov_b32_e32 v8, 0
	s_and_saveexec_b32 s1, s22
	s_cbranch_execnz .LBB295_1241
	s_branch .LBB295_1242
.LBB295_2695:
	s_and_not1_saveexec_b32 s23, s1
	s_cbranch_execz .LBB295_1248
.LBB295_2696:
	v_add_f32_e64 v5, 0x46000000, |v4|
	s_and_not1_b32 s22, s22, exec_lo
	s_delay_alu instid0(VALU_DEP_1) | instskip(NEXT) | instid1(VALU_DEP_1)
	v_and_b32_e32 v5, 0xff, v5
	v_cmp_ne_u32_e64 s1, 0, v5
	s_and_b32 s1, s1, exec_lo
	s_delay_alu instid0(SALU_CYCLE_1)
	s_or_b32 s22, s22, s1
	s_or_b32 exec_lo, exec_lo, s23
	v_mov_b32_e32 v8, 0
	s_and_saveexec_b32 s1, s22
	s_cbranch_execnz .LBB295_1249
	s_branch .LBB295_1250
.LBB295_2697:
	s_and_not1_saveexec_b32 s23, s1
	s_cbranch_execz .LBB295_1268
.LBB295_2698:
	v_add_f32_e64 v5, 0x46000000, |v4|
	s_and_not1_b32 s22, s22, exec_lo
	s_delay_alu instid0(VALU_DEP_1) | instskip(NEXT) | instid1(VALU_DEP_1)
	v_and_b32_e32 v5, 0xff, v5
	v_cmp_ne_u32_e64 s1, 0, v5
	s_and_b32 s1, s1, exec_lo
	s_delay_alu instid0(SALU_CYCLE_1)
	s_or_b32 s22, s22, s1
	s_or_b32 exec_lo, exec_lo, s23
	v_mov_b32_e32 v8, 0
	s_and_saveexec_b32 s1, s22
	s_cbranch_execnz .LBB295_1269
	s_branch .LBB295_1270
.LBB295_2699:
	s_and_not1_saveexec_b32 s23, s1
	s_cbranch_execz .LBB295_1276
.LBB295_2700:
	v_add_f32_e64 v5, 0x46000000, |v4|
	s_and_not1_b32 s22, s22, exec_lo
	s_delay_alu instid0(VALU_DEP_1) | instskip(NEXT) | instid1(VALU_DEP_1)
	v_and_b32_e32 v5, 0xff, v5
	v_cmp_ne_u32_e64 s1, 0, v5
	s_and_b32 s1, s1, exec_lo
	s_delay_alu instid0(SALU_CYCLE_1)
	s_or_b32 s22, s22, s1
	s_or_b32 exec_lo, exec_lo, s23
	v_mov_b32_e32 v8, 0
	s_and_saveexec_b32 s1, s22
	s_cbranch_execnz .LBB295_1277
	s_branch .LBB295_1278
.LBB295_2701:
	s_and_not1_saveexec_b32 s23, s1
	s_cbranch_execz .LBB295_1298
.LBB295_2702:
	v_add_f32_e64 v5, 0x46000000, |v4|
	s_and_not1_b32 s22, s22, exec_lo
	s_delay_alu instid0(VALU_DEP_1) | instskip(NEXT) | instid1(VALU_DEP_1)
	v_and_b32_e32 v5, 0xff, v5
	v_cmp_ne_u32_e64 s1, 0, v5
	s_and_b32 s1, s1, exec_lo
	s_delay_alu instid0(SALU_CYCLE_1)
	s_or_b32 s22, s22, s1
	s_or_b32 exec_lo, exec_lo, s23
	v_mov_b32_e32 v8, 0
	s_and_saveexec_b32 s1, s22
	s_cbranch_execnz .LBB295_1299
	s_branch .LBB295_1300
.LBB295_2703:
	s_and_not1_saveexec_b32 s23, s1
	s_cbranch_execz .LBB295_1306
.LBB295_2704:
	v_add_f32_e64 v5, 0x46000000, |v4|
	s_and_not1_b32 s22, s22, exec_lo
	s_delay_alu instid0(VALU_DEP_1) | instskip(NEXT) | instid1(VALU_DEP_1)
	v_and_b32_e32 v5, 0xff, v5
	v_cmp_ne_u32_e64 s1, 0, v5
	s_and_b32 s1, s1, exec_lo
	s_delay_alu instid0(SALU_CYCLE_1)
	s_or_b32 s22, s22, s1
	s_or_b32 exec_lo, exec_lo, s23
	v_mov_b32_e32 v8, 0
	s_and_saveexec_b32 s1, s22
	s_cbranch_execnz .LBB295_1307
	s_branch .LBB295_1308
.LBB295_2705:
	s_and_not1_saveexec_b32 s24, s1
	s_cbranch_execz .LBB295_1435
.LBB295_2706:
	v_add_f32_e64 v3, 0x46000000, |v2|
	s_and_not1_b32 s23, s23, exec_lo
	s_delay_alu instid0(VALU_DEP_1) | instskip(NEXT) | instid1(VALU_DEP_1)
	v_and_b32_e32 v3, 0xff, v3
	v_cmp_ne_u32_e64 s1, 0, v3
	s_and_b32 s1, s1, exec_lo
	s_delay_alu instid0(SALU_CYCLE_1)
	s_or_b32 s23, s23, s1
	s_or_b32 exec_lo, exec_lo, s24
	v_mov_b32_e32 v4, 0
	s_and_saveexec_b32 s1, s23
	s_cbranch_execnz .LBB295_1436
	s_branch .LBB295_1437
.LBB295_2707:
	s_and_not1_saveexec_b32 s24, s1
	s_cbranch_execz .LBB295_1463
.LBB295_2708:
	v_add_f32_e64 v3, 0x46000000, |v2|
	s_and_not1_b32 s23, s23, exec_lo
	s_delay_alu instid0(VALU_DEP_1) | instskip(NEXT) | instid1(VALU_DEP_1)
	v_and_b32_e32 v3, 0xff, v3
	v_cmp_ne_u32_e64 s1, 0, v3
	s_and_b32 s1, s1, exec_lo
	s_delay_alu instid0(SALU_CYCLE_1)
	s_or_b32 s23, s23, s1
	s_or_b32 exec_lo, exec_lo, s24
	v_mov_b32_e32 v4, 0
	s_and_saveexec_b32 s1, s23
	s_cbranch_execnz .LBB295_1464
	s_branch .LBB295_1465
.LBB295_2709:
	s_and_not1_saveexec_b32 s24, s1
	s_cbranch_execz .LBB295_1493
.LBB295_2710:
	v_add_f32_e64 v3, 0x46000000, |v2|
	s_and_not1_b32 s23, s23, exec_lo
	s_delay_alu instid0(VALU_DEP_1) | instskip(NEXT) | instid1(VALU_DEP_1)
	v_and_b32_e32 v3, 0xff, v3
	v_cmp_ne_u32_e64 s1, 0, v3
	s_and_b32 s1, s1, exec_lo
	s_delay_alu instid0(SALU_CYCLE_1)
	s_or_b32 s23, s23, s1
	s_or_b32 exec_lo, exec_lo, s24
	v_mov_b32_e32 v4, 0
	s_and_saveexec_b32 s1, s23
	s_cbranch_execnz .LBB295_1494
	s_branch .LBB295_1495
.LBB295_2711:
	s_and_not1_saveexec_b32 s24, s1
	s_cbranch_execz .LBB295_1503
.LBB295_2712:
	v_add_f32_e64 v3, 0x46000000, |v2|
	s_and_not1_b32 s23, s23, exec_lo
	s_delay_alu instid0(VALU_DEP_1) | instskip(NEXT) | instid1(VALU_DEP_1)
	v_and_b32_e32 v3, 0xff, v3
	v_cmp_ne_u32_e64 s1, 0, v3
	s_and_b32 s1, s1, exec_lo
	s_delay_alu instid0(SALU_CYCLE_1)
	s_or_b32 s23, s23, s1
	s_or_b32 exec_lo, exec_lo, s24
	v_mov_b32_e32 v4, 0
	s_and_saveexec_b32 s1, s23
	s_cbranch_execnz .LBB295_1504
	s_branch .LBB295_1505
.LBB295_2713:
	s_and_not1_saveexec_b32 s24, s1
	s_cbranch_execz .LBB295_1511
.LBB295_2714:
	v_add_f32_e32 v2, 0x46000000, v3
	s_and_not1_b32 s23, s23, exec_lo
	s_delay_alu instid0(VALU_DEP_1) | instskip(NEXT) | instid1(VALU_DEP_1)
	v_and_b32_e32 v2, 0xff, v2
	v_cmp_ne_u32_e64 s1, 0, v2
	s_and_b32 s1, s1, exec_lo
	s_delay_alu instid0(SALU_CYCLE_1)
	s_or_b32 s23, s23, s1
	s_or_b32 exec_lo, exec_lo, s24
	v_mov_b32_e32 v4, 0
	s_and_saveexec_b32 s1, s23
	s_cbranch_execnz .LBB295_1512
	s_branch .LBB295_1513
.LBB295_2715:
	s_and_not1_saveexec_b32 s23, s23
	s_cbranch_execz .LBB295_1836
.LBB295_2716:
	s_mov_b32 s24, exec_lo
	v_cmpx_lt_i16_e32 22, v7
	s_xor_b32 s24, exec_lo, s24
	s_cbranch_execz .LBB295_2748
; %bb.2717:
	s_mov_b32 s25, exec_lo
	v_cmpx_lt_i16_e32 23, v7
	s_xor_b32 s25, exec_lo, s25
	s_cbranch_execz .LBB295_2737
; %bb.2718:
	;; [unrolled: 5-line block ×3, first 2 shown]
	v_cndmask_b32_e64 v1, 0, 1.0, s18
	v_mov_b32_e32 v2, 0x80
	s_mov_b32 s27, exec_lo
	s_delay_alu instid0(VALU_DEP_2)
	v_cmpx_gt_u32_e32 0x47800000, v1
	s_cbranch_execz .LBB295_2725
; %bb.2720:
	s_mov_b32 s28, 0
	s_mov_b32 s29, exec_lo
                                        ; implicit-def: $vgpr0
	v_cmpx_lt_u32_e32 0x37ffffff, v1
	s_xor_b32 s29, exec_lo, s29
	s_cbranch_execz .LBB295_2814
; %bb.2721:
	v_bfe_u32 v0, v1, 21, 1
	s_mov_b32 s28, exec_lo
	s_delay_alu instid0(VALU_DEP_1) | instskip(NEXT) | instid1(VALU_DEP_1)
	v_add3_u32 v0, v1, v0, 0x88fffff
                                        ; implicit-def: $vgpr1
	v_lshrrev_b32_e32 v0, 21, v0
	s_and_not1_saveexec_b32 s29, s29
	s_cbranch_execnz .LBB295_2815
.LBB295_2722:
	s_or_b32 exec_lo, exec_lo, s29
	v_mov_b32_e32 v2, 0
	s_and_saveexec_b32 s29, s28
.LBB295_2723:
	v_mov_b32_e32 v2, v0
.LBB295_2724:
	s_or_b32 exec_lo, exec_lo, s29
.LBB295_2725:
	s_delay_alu instid0(SALU_CYCLE_1)
	s_or_b32 exec_lo, exec_lo, s27
	flat_store_b8 v[12:13], v2
.LBB295_2726:
	s_wait_xcnt 0x0
	s_and_not1_saveexec_b32 s26, s26
	s_cbranch_execz .LBB295_2736
; %bb.2727:
	v_cndmask_b32_e64 v1, 0, 1.0, s18
	s_mov_b32 s27, exec_lo
                                        ; implicit-def: $vgpr0
	s_delay_alu instid0(VALU_DEP_1)
	v_cmpx_gt_u32_e32 0x43f00000, v1
	s_xor_b32 s27, exec_lo, s27
	s_cbranch_execz .LBB295_2733
; %bb.2728:
	s_mov_b32 s28, exec_lo
                                        ; implicit-def: $vgpr0
	v_cmpx_lt_u32_e32 0x3c7fffff, v1
	s_xor_b32 s28, exec_lo, s28
; %bb.2729:
	v_bfe_u32 v0, v1, 20, 1
	s_delay_alu instid0(VALU_DEP_1) | instskip(NEXT) | instid1(VALU_DEP_1)
	v_add3_u32 v0, v1, v0, 0x407ffff
	v_and_b32_e32 v1, 0xff00000, v0
	v_lshrrev_b32_e32 v0, 20, v0
	s_delay_alu instid0(VALU_DEP_2) | instskip(NEXT) | instid1(VALU_DEP_2)
	v_cmp_ne_u32_e32 vcc_lo, 0x7f00000, v1
                                        ; implicit-def: $vgpr1
	v_cndmask_b32_e32 v0, 0x7e, v0, vcc_lo
; %bb.2730:
	s_and_not1_saveexec_b32 s28, s28
; %bb.2731:
	v_add_f32_e32 v0, 0x46800000, v1
; %bb.2732:
	s_or_b32 exec_lo, exec_lo, s28
                                        ; implicit-def: $vgpr1
.LBB295_2733:
	s_and_not1_saveexec_b32 s27, s27
; %bb.2734:
	v_mov_b32_e32 v0, 0x7f
	v_cmp_lt_u32_e32 vcc_lo, 0x7f800000, v1
	s_delay_alu instid0(VALU_DEP_2)
	v_cndmask_b32_e32 v0, 0x7e, v0, vcc_lo
; %bb.2735:
	s_or_b32 exec_lo, exec_lo, s27
	flat_store_b8 v[12:13], v0
.LBB295_2736:
	s_wait_xcnt 0x0
	s_or_b32 exec_lo, exec_lo, s26
.LBB295_2737:
	s_and_not1_saveexec_b32 s25, s25
	s_cbranch_execz .LBB295_2747
; %bb.2738:
	v_cndmask_b32_e64 v1, 0, 1.0, s18
	s_mov_b32 s26, exec_lo
                                        ; implicit-def: $vgpr0
	s_delay_alu instid0(VALU_DEP_1)
	v_cmpx_gt_u32_e32 0x47800000, v1
	s_xor_b32 s26, exec_lo, s26
	s_cbranch_execz .LBB295_2744
; %bb.2739:
	s_mov_b32 s27, exec_lo
                                        ; implicit-def: $vgpr0
	v_cmpx_lt_u32_e32 0x387fffff, v1
	s_xor_b32 s27, exec_lo, s27
; %bb.2740:
	v_bfe_u32 v0, v1, 21, 1
	s_delay_alu instid0(VALU_DEP_1) | instskip(NEXT) | instid1(VALU_DEP_1)
	v_add3_u32 v0, v1, v0, 0x80fffff
                                        ; implicit-def: $vgpr1
	v_lshrrev_b32_e32 v0, 21, v0
; %bb.2741:
	s_and_not1_saveexec_b32 s27, s27
; %bb.2742:
	v_add_f32_e32 v0, 0x43000000, v1
; %bb.2743:
	s_or_b32 exec_lo, exec_lo, s27
                                        ; implicit-def: $vgpr1
.LBB295_2744:
	s_and_not1_saveexec_b32 s26, s26
; %bb.2745:
	v_mov_b32_e32 v0, 0x7f
	v_cmp_lt_u32_e32 vcc_lo, 0x7f800000, v1
	s_delay_alu instid0(VALU_DEP_2)
	v_cndmask_b32_e32 v0, 0x7c, v0, vcc_lo
; %bb.2746:
	s_or_b32 exec_lo, exec_lo, s26
	flat_store_b8 v[12:13], v0
.LBB295_2747:
	s_wait_xcnt 0x0
	s_or_b32 exec_lo, exec_lo, s25
.LBB295_2748:
	s_or_saveexec_b32 s24, s24
	s_mov_b32 s25, 0
	s_mov_b32 s26, s0
	s_xor_b32 exec_lo, exec_lo, s24
	s_cbranch_execz .LBB295_2756
; %bb.2749:
	s_mov_b32 s25, s0
	s_mov_b32 s26, exec_lo
	v_cmpx_lt_i16_e32 14, v7
	s_xor_b32 s26, exec_lo, s26
	s_cbranch_execz .LBB295_2753
; %bb.2750:
	s_mov_b32 s27, -1
	s_mov_b32 s25, exec_lo
	v_cmpx_eq_u16_e32 15, v7
	s_cbranch_execz .LBB295_2752
; %bb.2751:
	v_cndmask_b32_e64 v0, 0, 1.0, s18
	s_xor_b32 s27, exec_lo, -1
	s_delay_alu instid0(VALU_DEP_1) | instskip(NEXT) | instid1(VALU_DEP_1)
	v_bfe_u32 v1, v0, 16, 1
	v_add3_u32 v0, v0, v1, 0x7fff
	flat_store_d16_hi_b16 v[12:13], v0
.LBB295_2752:
	s_wait_xcnt 0x0
	s_or_b32 exec_lo, exec_lo, s25
	s_delay_alu instid0(SALU_CYCLE_1) | instskip(SKIP_1) | instid1(SALU_CYCLE_1)
	s_and_not1_b32 s25, s0, exec_lo
	s_and_b32 s27, s27, exec_lo
	s_or_b32 s25, s25, s27
.LBB295_2753:
	s_or_saveexec_b32 s26, s26
	s_mov_b32 s27, 0
	s_xor_b32 exec_lo, exec_lo, s26
; %bb.2754:
	v_cmp_ne_u16_e32 vcc_lo, 11, v7
	s_and_not1_b32 s25, s25, exec_lo
	s_mov_b32 s27, exec_lo
	s_and_b32 s28, vcc_lo, exec_lo
	s_delay_alu instid0(SALU_CYCLE_1)
	s_or_b32 s25, s25, s28
; %bb.2755:
	s_or_b32 exec_lo, exec_lo, s26
	s_delay_alu instid0(SALU_CYCLE_1)
	s_and_not1_b32 s26, s0, exec_lo
	s_and_b32 s28, s25, exec_lo
	s_and_b32 s25, s27, exec_lo
	s_or_b32 s26, s26, s28
.LBB295_2756:
	s_or_b32 exec_lo, exec_lo, s24
	s_delay_alu instid0(SALU_CYCLE_1)
	s_and_not1_b32 s0, s0, exec_lo
	s_and_b32 s26, s26, exec_lo
	s_and_b32 s24, s25, exec_lo
	s_or_b32 s0, s0, s26
	s_or_b32 exec_lo, exec_lo, s23
	s_mov_b32 s25, s21
	s_and_saveexec_b32 s23, s0
	s_cbranch_execz .LBB295_1837
.LBB295_2757:
	s_and_not1_b32 s24, s24, exec_lo
	s_or_b32 s25, s21, exec_lo
	s_trap 2
	s_branch .LBB295_1837
.LBB295_2758:
	s_and_not1_saveexec_b32 s23, s1
	s_cbranch_execz .LBB295_2267
.LBB295_2759:
	v_add_f32_e64 v8, 0x46000000, |v7|
	s_and_not1_b32 s22, s22, exec_lo
	s_delay_alu instid0(VALU_DEP_1) | instskip(NEXT) | instid1(VALU_DEP_1)
	v_and_b32_e32 v9, 0xff, v8
	v_cmp_ne_u32_e64 s1, 0, v9
	s_and_b32 s1, s1, exec_lo
	s_delay_alu instid0(SALU_CYCLE_1)
	s_or_b32 s22, s22, s1
	s_or_b32 exec_lo, exec_lo, s23
	v_mov_b32_e32 v8, 0
	s_and_saveexec_b32 s1, s22
	s_cbranch_execnz .LBB295_2268
	s_branch .LBB295_2269
.LBB295_2760:
	s_and_not1_saveexec_b32 s23, s1
	s_cbranch_execz .LBB295_2275
.LBB295_2761:
	v_add_f32_e64 v8, 0x46000000, |v7|
	s_and_not1_b32 s22, s22, exec_lo
	s_delay_alu instid0(VALU_DEP_1) | instskip(NEXT) | instid1(VALU_DEP_1)
	v_and_b32_e32 v9, 0xff, v8
	v_cmp_ne_u32_e64 s1, 0, v9
	s_and_b32 s1, s1, exec_lo
	s_delay_alu instid0(SALU_CYCLE_1)
	s_or_b32 s22, s22, s1
	s_or_b32 exec_lo, exec_lo, s23
	v_mov_b32_e32 v8, 0
	s_and_saveexec_b32 s1, s22
	s_cbranch_execnz .LBB295_2276
	s_branch .LBB295_2277
.LBB295_2762:
	s_and_not1_saveexec_b32 s24, s1
	s_cbranch_execz .LBB295_2295
.LBB295_2763:
	v_add_f32_e64 v8, 0x46000000, |v10|
	s_and_not1_b32 s23, s23, exec_lo
	s_delay_alu instid0(VALU_DEP_1) | instskip(NEXT) | instid1(VALU_DEP_1)
	v_and_b32_e32 v9, 0xff, v8
	v_cmp_ne_u32_e64 s1, 0, v9
	s_and_b32 s1, s1, exec_lo
	s_delay_alu instid0(SALU_CYCLE_1)
	s_or_b32 s23, s23, s1
	s_or_b32 exec_lo, exec_lo, s24
	v_mov_b32_e32 v8, 0
	s_and_saveexec_b32 s1, s23
	s_cbranch_execnz .LBB295_2296
	s_branch .LBB295_2297
.LBB295_2764:
	s_or_saveexec_b32 s24, s24
	v_mov_b32_e32 v5, 0x7f800001
	s_xor_b32 exec_lo, exec_lo, s24
	s_cbranch_execz .LBB295_2349
.LBB295_2765:
	v_cmp_ne_u16_e64 s1, 0, v4
	v_mov_b32_e32 v5, 0
	s_and_not1_b32 s23, s23, exec_lo
	s_and_b32 s1, s1, exec_lo
	s_delay_alu instid0(SALU_CYCLE_1)
	s_or_b32 s23, s23, s1
	s_or_b32 exec_lo, exec_lo, s24
	s_and_saveexec_b32 s24, s23
	s_cbranch_execnz .LBB295_2350
	s_branch .LBB295_2351
.LBB295_2766:
	s_and_not1_saveexec_b32 s24, s1
	s_cbranch_execz .LBB295_2371
.LBB295_2767:
	v_add_f32_e64 v4, 0x46000000, |v5|
	s_and_not1_b32 s23, s23, exec_lo
	s_delay_alu instid0(VALU_DEP_1) | instskip(NEXT) | instid1(VALU_DEP_1)
	v_and_b32_e32 v6, 0xff, v4
	v_cmp_ne_u32_e64 s1, 0, v6
	s_and_b32 s1, s1, exec_lo
	s_delay_alu instid0(SALU_CYCLE_1)
	s_or_b32 s23, s23, s1
	s_or_b32 exec_lo, exec_lo, s24
	v_mov_b32_e32 v4, 0
	s_and_saveexec_b32 s1, s23
	s_cbranch_execnz .LBB295_2372
	s_branch .LBB295_2373
.LBB295_2768:
	s_and_not1_saveexec_b32 s23, s1
	s_cbranch_execz .LBB295_1172
.LBB295_2769:
	v_add_f32_e64 v8, 0x46000000, |v7|
	s_and_not1_b32 s22, s22, exec_lo
	s_delay_alu instid0(VALU_DEP_1) | instskip(NEXT) | instid1(VALU_DEP_1)
	v_and_b32_e32 v9, 0xff, v8
	v_cmp_ne_u32_e64 s1, 0, v9
	s_and_b32 s1, s1, exec_lo
	s_delay_alu instid0(SALU_CYCLE_1)
	s_or_b32 s22, s22, s1
	s_or_b32 exec_lo, exec_lo, s23
	v_mov_b32_e32 v8, 0
	s_and_saveexec_b32 s1, s22
	s_cbranch_execnz .LBB295_1173
	s_branch .LBB295_1174
.LBB295_2770:
	s_and_not1_saveexec_b32 s25, s1
	s_cbranch_execz .LBB295_1182
.LBB295_2771:
	v_add_f32_e32 v7, 0x46000000, v9
	s_and_not1_b32 s24, s24, exec_lo
	s_delay_alu instid0(VALU_DEP_1) | instskip(NEXT) | instid1(VALU_DEP_1)
	v_and_b32_e32 v7, 0xff, v7
	v_cmp_ne_u32_e64 s1, 0, v7
	s_and_b32 s1, s1, exec_lo
	s_delay_alu instid0(SALU_CYCLE_1)
	s_or_b32 s24, s24, s1
	s_or_b32 exec_lo, exec_lo, s25
	v_mov_b32_e32 v8, 0
	s_and_saveexec_b32 s1, s24
	s_cbranch_execnz .LBB295_1183
	s_branch .LBB295_1184
.LBB295_2772:
	s_and_not1_saveexec_b32 s26, s1
	s_cbranch_execz .LBB295_1371
.LBB295_2773:
	v_add_f32_e32 v4, 0x46000000, v6
	s_and_not1_b32 s25, s25, exec_lo
	s_delay_alu instid0(VALU_DEP_1) | instskip(NEXT) | instid1(VALU_DEP_1)
	v_and_b32_e32 v5, 0xff, v4
	v_cmp_ne_u32_e64 s1, 0, v5
	s_and_b32 s1, s1, exec_lo
	s_delay_alu instid0(SALU_CYCLE_1)
	s_or_b32 s25, s25, s1
	s_or_b32 exec_lo, exec_lo, s26
	v_mov_b32_e32 v4, 0
	s_and_saveexec_b32 s1, s25
	s_cbranch_execnz .LBB295_1372
	s_branch .LBB295_1373
.LBB295_2774:
	s_and_not1_saveexec_b32 s26, s1
	s_cbranch_execz .LBB295_1383
.LBB295_2775:
	v_add_f32_e32 v4, 0x46000000, v6
	s_and_not1_b32 s25, s25, exec_lo
	s_delay_alu instid0(VALU_DEP_1) | instskip(NEXT) | instid1(VALU_DEP_1)
	v_and_b32_e32 v5, 0xff, v4
	v_cmp_ne_u32_e64 s1, 0, v5
	s_and_b32 s1, s1, exec_lo
	s_delay_alu instid0(SALU_CYCLE_1)
	s_or_b32 s25, s25, s1
	s_or_b32 exec_lo, exec_lo, s26
	v_mov_b32_e32 v4, 0
	s_and_saveexec_b32 s1, s25
	s_cbranch_execnz .LBB295_1384
	s_branch .LBB295_1385
.LBB295_2776:
	s_and_not1_saveexec_b32 s26, s1
	s_cbranch_execz .LBB295_1391
.LBB295_2777:
	v_add_f32_e32 v4, 0x46000000, v6
	s_and_not1_b32 s25, s25, exec_lo
	s_delay_alu instid0(VALU_DEP_1) | instskip(NEXT) | instid1(VALU_DEP_1)
	v_and_b32_e32 v5, 0xff, v4
	v_cmp_ne_u32_e64 s1, 0, v5
	s_and_b32 s1, s1, exec_lo
	s_delay_alu instid0(SALU_CYCLE_1)
	s_or_b32 s25, s25, s1
	s_or_b32 exec_lo, exec_lo, s26
	v_mov_b32_e32 v4, 0
	s_and_saveexec_b32 s1, s25
	s_cbranch_execnz .LBB295_1392
	s_branch .LBB295_1393
.LBB295_2778:
	s_and_not1_saveexec_b32 s25, s1
	s_cbranch_execz .LBB295_1418
.LBB295_2779:
	v_add_f32_e64 v3, 0x46000000, |v2|
	s_and_not1_b32 s24, s24, exec_lo
	s_delay_alu instid0(VALU_DEP_1) | instskip(NEXT) | instid1(VALU_DEP_1)
	v_and_b32_e32 v3, 0xff, v3
	v_cmp_ne_u32_e64 s1, 0, v3
	s_and_b32 s1, s1, exec_lo
	s_delay_alu instid0(SALU_CYCLE_1)
	s_or_b32 s24, s24, s1
	s_or_b32 exec_lo, exec_lo, s25
	v_mov_b32_e32 v4, 0
	s_and_saveexec_b32 s1, s24
	s_cbranch_execnz .LBB295_1419
	s_branch .LBB295_1420
.LBB295_2780:
	s_and_not1_saveexec_b32 s25, s1
	s_cbranch_execz .LBB295_1426
.LBB295_2781:
	v_add_f32_e64 v3, 0x46000000, |v2|
	s_and_not1_b32 s24, s24, exec_lo
	s_delay_alu instid0(VALU_DEP_1) | instskip(NEXT) | instid1(VALU_DEP_1)
	v_and_b32_e32 v3, 0xff, v3
	v_cmp_ne_u32_e64 s1, 0, v3
	s_and_b32 s1, s1, exec_lo
	s_delay_alu instid0(SALU_CYCLE_1)
	s_or_b32 s24, s24, s1
	s_or_b32 exec_lo, exec_lo, s25
	v_mov_b32_e32 v4, 0
	s_and_saveexec_b32 s1, s24
	s_cbranch_execnz .LBB295_1427
	s_branch .LBB295_1428
.LBB295_2782:
	s_and_not1_saveexec_b32 s25, s1
	s_cbranch_execz .LBB295_1446
.LBB295_2783:
	v_add_f32_e64 v3, 0x46000000, |v2|
	s_and_not1_b32 s24, s24, exec_lo
	s_delay_alu instid0(VALU_DEP_1) | instskip(NEXT) | instid1(VALU_DEP_1)
	v_and_b32_e32 v3, 0xff, v3
	v_cmp_ne_u32_e64 s1, 0, v3
	s_and_b32 s1, s1, exec_lo
	s_delay_alu instid0(SALU_CYCLE_1)
	s_or_b32 s24, s24, s1
	s_or_b32 exec_lo, exec_lo, s25
	v_mov_b32_e32 v4, 0
	s_and_saveexec_b32 s1, s24
	s_cbranch_execnz .LBB295_1447
	s_branch .LBB295_1448
.LBB295_2784:
	s_and_not1_saveexec_b32 s25, s1
	s_cbranch_execz .LBB295_1454
.LBB295_2785:
	v_add_f32_e64 v3, 0x46000000, |v2|
	s_and_not1_b32 s24, s24, exec_lo
	s_delay_alu instid0(VALU_DEP_1) | instskip(NEXT) | instid1(VALU_DEP_1)
	v_and_b32_e32 v3, 0xff, v3
	v_cmp_ne_u32_e64 s1, 0, v3
	s_and_b32 s1, s1, exec_lo
	s_delay_alu instid0(SALU_CYCLE_1)
	s_or_b32 s24, s24, s1
	s_or_b32 exec_lo, exec_lo, s25
	v_mov_b32_e32 v4, 0
	s_and_saveexec_b32 s1, s24
	s_cbranch_execnz .LBB295_1455
	s_branch .LBB295_1456
.LBB295_2786:
	s_and_not1_saveexec_b32 s25, s1
	s_cbranch_execz .LBB295_1476
.LBB295_2787:
	v_add_f32_e64 v3, 0x46000000, |v2|
	s_and_not1_b32 s24, s24, exec_lo
	s_delay_alu instid0(VALU_DEP_1) | instskip(NEXT) | instid1(VALU_DEP_1)
	v_and_b32_e32 v3, 0xff, v3
	v_cmp_ne_u32_e64 s1, 0, v3
	s_and_b32 s1, s1, exec_lo
	s_delay_alu instid0(SALU_CYCLE_1)
	s_or_b32 s24, s24, s1
	s_or_b32 exec_lo, exec_lo, s25
	v_mov_b32_e32 v4, 0
	s_and_saveexec_b32 s1, s24
	s_cbranch_execnz .LBB295_1477
	s_branch .LBB295_1478
.LBB295_2788:
	s_and_not1_saveexec_b32 s25, s1
	s_cbranch_execz .LBB295_1484
.LBB295_2789:
	v_add_f32_e64 v3, 0x46000000, |v2|
	s_and_not1_b32 s24, s24, exec_lo
	s_delay_alu instid0(VALU_DEP_1) | instskip(NEXT) | instid1(VALU_DEP_1)
	v_and_b32_e32 v3, 0xff, v3
	v_cmp_ne_u32_e64 s1, 0, v3
	s_and_b32 s1, s1, exec_lo
	s_delay_alu instid0(SALU_CYCLE_1)
	s_or_b32 s24, s24, s1
	s_or_b32 exec_lo, exec_lo, s25
	v_mov_b32_e32 v4, 0
	s_and_saveexec_b32 s1, s24
	s_cbranch_execnz .LBB295_1485
	s_branch .LBB295_1486
.LBB295_2790:
	s_and_not1_saveexec_b32 s27, s0
	s_cbranch_execz .LBB295_1578
.LBB295_2791:
	v_add_f32_e32 v3, 0x46000000, v6
	s_and_not1_b32 s26, s26, exec_lo
	s_delay_alu instid0(VALU_DEP_1) | instskip(NEXT) | instid1(VALU_DEP_1)
	v_and_b32_e32 v3, 0xff, v3
	v_cmp_ne_u32_e64 s0, 0, v3
	s_and_b32 s0, s0, exec_lo
	s_delay_alu instid0(SALU_CYCLE_1)
	s_or_b32 s26, s26, s0
	s_or_b32 exec_lo, exec_lo, s27
	v_mov_b32_e32 v8, 0
	s_and_saveexec_b32 s0, s26
	s_cbranch_execnz .LBB295_1579
	s_branch .LBB295_1580
.LBB295_2792:
	s_and_not1_saveexec_b32 s25, s1
	s_cbranch_execz .LBB295_2354
.LBB295_2793:
	v_add_f32_e64 v4, 0x46000000, |v5|
	s_and_not1_b32 s24, s24, exec_lo
	s_delay_alu instid0(VALU_DEP_1) | instskip(NEXT) | instid1(VALU_DEP_1)
	v_and_b32_e32 v6, 0xff, v4
	v_cmp_ne_u32_e64 s1, 0, v6
	s_and_b32 s1, s1, exec_lo
	s_delay_alu instid0(SALU_CYCLE_1)
	s_or_b32 s24, s24, s1
	s_or_b32 exec_lo, exec_lo, s25
	v_mov_b32_e32 v4, 0
	s_and_saveexec_b32 s1, s24
	s_cbranch_execnz .LBB295_2355
	s_branch .LBB295_2356
.LBB295_2794:
	s_and_not1_saveexec_b32 s25, s1
	s_cbranch_execz .LBB295_2362
.LBB295_2795:
	v_add_f32_e64 v4, 0x46000000, |v5|
	s_and_not1_b32 s24, s24, exec_lo
	s_delay_alu instid0(VALU_DEP_1) | instskip(NEXT) | instid1(VALU_DEP_1)
	v_and_b32_e32 v6, 0xff, v4
	v_cmp_ne_u32_e64 s1, 0, v6
	s_and_b32 s1, s1, exec_lo
	s_delay_alu instid0(SALU_CYCLE_1)
	s_or_b32 s24, s24, s1
	s_or_b32 exec_lo, exec_lo, s25
	v_mov_b32_e32 v4, 0
	s_and_saveexec_b32 s1, s24
	s_cbranch_execnz .LBB295_2363
	s_branch .LBB295_2364
.LBB295_2796:
	s_and_not1_saveexec_b32 s26, s1
	s_cbranch_execz .LBB295_2382
.LBB295_2797:
	v_add_f32_e64 v4, 0x46000000, |v7|
	s_and_not1_b32 s25, s25, exec_lo
	s_delay_alu instid0(VALU_DEP_1) | instskip(NEXT) | instid1(VALU_DEP_1)
	v_and_b32_e32 v6, 0xff, v4
	v_cmp_ne_u32_e64 s1, 0, v6
	s_and_b32 s1, s1, exec_lo
	s_delay_alu instid0(SALU_CYCLE_1)
	s_or_b32 s25, s25, s1
	s_or_b32 exec_lo, exec_lo, s26
	v_mov_b32_e32 v4, 0
	s_and_saveexec_b32 s1, s25
	s_cbranch_execnz .LBB295_2383
	s_branch .LBB295_2384
.LBB295_2798:
	s_and_not1_saveexec_b32 s25, s1
	s_cbranch_execz .LBB295_1350
.LBB295_2799:
	v_add_f32_e64 v4, 0x46000000, |v5|
	s_and_not1_b32 s24, s24, exec_lo
	s_delay_alu instid0(VALU_DEP_1) | instskip(NEXT) | instid1(VALU_DEP_1)
	v_and_b32_e32 v6, 0xff, v4
	v_cmp_ne_u32_e64 s1, 0, v6
	s_and_b32 s1, s1, exec_lo
	s_delay_alu instid0(SALU_CYCLE_1)
	s_or_b32 s24, s24, s1
	s_or_b32 exec_lo, exec_lo, s25
	v_mov_b32_e32 v4, 0
	s_and_saveexec_b32 s1, s24
	s_cbranch_execnz .LBB295_1351
	s_branch .LBB295_1352
.LBB295_2800:
	s_and_not1_saveexec_b32 s27, s1
	s_cbranch_execz .LBB295_1360
.LBB295_2801:
	v_add_f32_e32 v4, 0x46000000, v6
	s_and_not1_b32 s26, s26, exec_lo
	s_delay_alu instid0(VALU_DEP_1) | instskip(NEXT) | instid1(VALU_DEP_1)
	v_and_b32_e32 v5, 0xff, v4
	v_cmp_ne_u32_e64 s1, 0, v5
	s_and_b32 s1, s1, exec_lo
	s_delay_alu instid0(SALU_CYCLE_1)
	s_or_b32 s26, s26, s1
	s_or_b32 exec_lo, exec_lo, s27
	v_mov_b32_e32 v4, 0
	s_and_saveexec_b32 s1, s26
	s_cbranch_execnz .LBB295_1361
	s_branch .LBB295_1362
.LBB295_2802:
	s_and_not1_saveexec_b32 s28, s28
	s_cbranch_execz .LBB295_1662
.LBB295_2803:
	v_add_f32_e32 v3, 0x46000000, v8
	s_and_not1_b32 s27, s27, exec_lo
	s_delay_alu instid0(VALU_DEP_1) | instskip(NEXT) | instid1(VALU_DEP_1)
	v_and_b32_e32 v3, 0xff, v3
	v_cmp_ne_u32_e32 vcc_lo, 0, v3
	s_and_b32 s29, vcc_lo, exec_lo
	s_delay_alu instid0(SALU_CYCLE_1)
	s_or_b32 s27, s27, s29
	s_or_b32 exec_lo, exec_lo, s28
	v_mov_b32_e32 v9, 0
	s_and_saveexec_b32 s28, s27
	s_cbranch_execnz .LBB295_1663
	s_branch .LBB295_1664
.LBB295_2804:
	s_and_not1_saveexec_b32 s27, s0
	s_cbranch_execz .LBB295_2455
.LBB295_2805:
	v_add_f32_e32 v3, 0x42800000, v6
	s_and_not1_b32 s26, s26, exec_lo
	s_delay_alu instid0(VALU_DEP_1) | instskip(NEXT) | instid1(VALU_DEP_1)
	v_and_b32_e32 v3, 0xff, v3
	v_cmp_ne_u32_e64 s0, 0, v3
	s_and_b32 s0, s0, exec_lo
	s_delay_alu instid0(SALU_CYCLE_1)
	s_or_b32 s26, s26, s0
	s_or_b32 exec_lo, exec_lo, s27
	v_mov_b32_e32 v8, 0
	s_and_saveexec_b32 s0, s26
	s_cbranch_execnz .LBB295_2456
	s_branch .LBB295_2457
.LBB295_2806:
	s_and_not1_saveexec_b32 s29, s29
	s_cbranch_execz .LBB295_1746
.LBB295_2807:
	v_add_f32_e32 v3, 0x46000000, v8
	s_and_not1_b32 s28, s28, exec_lo
	s_delay_alu instid0(VALU_DEP_1) | instskip(NEXT) | instid1(VALU_DEP_1)
	v_and_b32_e32 v3, 0xff, v3
	v_cmp_ne_u32_e32 vcc_lo, 0, v3
	s_and_b32 s30, vcc_lo, exec_lo
	s_delay_alu instid0(SALU_CYCLE_1)
	s_or_b32 s28, s28, s30
	s_or_b32 exec_lo, exec_lo, s29
	v_mov_b32_e32 v9, 0
	s_and_saveexec_b32 s29, s28
	s_cbranch_execnz .LBB295_1747
	s_branch .LBB295_1748
.LBB295_2808:
	s_and_not1_saveexec_b32 s28, s28
	s_cbranch_execz .LBB295_2546
.LBB295_2809:
	v_add_f32_e32 v3, 0x42800000, v8
	s_and_not1_b32 s27, s27, exec_lo
	s_delay_alu instid0(VALU_DEP_1) | instskip(NEXT) | instid1(VALU_DEP_1)
	v_and_b32_e32 v3, 0xff, v3
	v_cmp_ne_u32_e32 vcc_lo, 0, v3
	s_and_b32 s29, vcc_lo, exec_lo
	s_delay_alu instid0(SALU_CYCLE_1)
	s_or_b32 s27, s27, s29
	s_or_b32 exec_lo, exec_lo, s28
	v_mov_b32_e32 v9, 0
	s_and_saveexec_b32 s28, s27
	s_cbranch_execnz .LBB295_2547
	s_branch .LBB295_2548
.LBB295_2810:
	s_and_not1_saveexec_b32 s29, s29
	s_cbranch_execz .LBB295_1830
.LBB295_2811:
	v_add_f32_e32 v0, 0x46000000, v1
	s_and_not1_b32 s28, s28, exec_lo
	s_delay_alu instid0(VALU_DEP_1) | instskip(NEXT) | instid1(VALU_DEP_1)
	v_and_b32_e32 v0, 0xff, v0
	v_cmp_ne_u32_e32 vcc_lo, 0, v0
	s_and_b32 s30, vcc_lo, exec_lo
	s_delay_alu instid0(SALU_CYCLE_1)
	s_or_b32 s28, s28, s30
	s_or_b32 exec_lo, exec_lo, s29
	v_mov_b32_e32 v2, 0
	s_and_saveexec_b32 s29, s28
	s_cbranch_execnz .LBB295_1831
	s_branch .LBB295_1832
.LBB295_2812:
	s_and_not1_saveexec_b32 s29, s29
	s_cbranch_execz .LBB295_2635
.LBB295_2813:
	v_add_f32_e32 v3, 0x42800000, v8
	s_and_not1_b32 s28, s28, exec_lo
	s_delay_alu instid0(VALU_DEP_1) | instskip(NEXT) | instid1(VALU_DEP_1)
	v_and_b32_e32 v3, 0xff, v3
	v_cmp_ne_u32_e32 vcc_lo, 0, v3
	s_and_b32 s30, vcc_lo, exec_lo
	s_delay_alu instid0(SALU_CYCLE_1)
	s_or_b32 s28, s28, s30
	s_or_b32 exec_lo, exec_lo, s29
	v_mov_b32_e32 v9, 0
	s_and_saveexec_b32 s29, s28
	s_cbranch_execnz .LBB295_2636
	s_branch .LBB295_2637
.LBB295_2814:
	s_and_not1_saveexec_b32 s29, s29
	s_cbranch_execz .LBB295_2722
.LBB295_2815:
	v_add_f32_e32 v0, 0x42800000, v1
	s_and_not1_b32 s28, s28, exec_lo
	s_delay_alu instid0(VALU_DEP_1) | instskip(NEXT) | instid1(VALU_DEP_1)
	v_and_b32_e32 v0, 0xff, v0
	v_cmp_ne_u32_e32 vcc_lo, 0, v0
	s_and_b32 s30, vcc_lo, exec_lo
	s_delay_alu instid0(SALU_CYCLE_1)
	s_or_b32 s28, s28, s30
	s_or_b32 exec_lo, exec_lo, s29
	v_mov_b32_e32 v2, 0
	s_and_saveexec_b32 s29, s28
	s_cbranch_execnz .LBB295_2723
	s_branch .LBB295_2724
	.section	.rodata,"a",@progbits
	.p2align	6, 0x0
	.amdhsa_kernel _ZN2at6native32elementwise_kernel_manual_unrollILi128ELi4EZNS0_15gpu_kernel_implINS0_13BinaryFunctorIN3c1015Float8_e4m3fnuzES5_bNS0_12_GLOBAL__N_116CompareEqFunctorIS5_EEEEEEvRNS_18TensorIteratorBaseERKT_EUlibE_EEviT1_
		.amdhsa_group_segment_fixed_size 0
		.amdhsa_private_segment_fixed_size 64
		.amdhsa_kernarg_size 56
		.amdhsa_user_sgpr_count 2
		.amdhsa_user_sgpr_dispatch_ptr 0
		.amdhsa_user_sgpr_queue_ptr 0
		.amdhsa_user_sgpr_kernarg_segment_ptr 1
		.amdhsa_user_sgpr_dispatch_id 0
		.amdhsa_user_sgpr_kernarg_preload_length 0
		.amdhsa_user_sgpr_kernarg_preload_offset 0
		.amdhsa_user_sgpr_private_segment_size 0
		.amdhsa_wavefront_size32 1
		.amdhsa_uses_dynamic_stack 0
		.amdhsa_enable_private_segment 1
		.amdhsa_system_sgpr_workgroup_id_x 1
		.amdhsa_system_sgpr_workgroup_id_y 0
		.amdhsa_system_sgpr_workgroup_id_z 0
		.amdhsa_system_sgpr_workgroup_info 0
		.amdhsa_system_vgpr_workitem_id 0
		.amdhsa_next_free_vgpr 28
		.amdhsa_next_free_sgpr 33
		.amdhsa_named_barrier_count 0
		.amdhsa_reserve_vcc 1
		.amdhsa_float_round_mode_32 0
		.amdhsa_float_round_mode_16_64 0
		.amdhsa_float_denorm_mode_32 3
		.amdhsa_float_denorm_mode_16_64 3
		.amdhsa_fp16_overflow 0
		.amdhsa_memory_ordered 1
		.amdhsa_forward_progress 1
		.amdhsa_inst_pref_size 255
		.amdhsa_round_robin_scheduling 0
		.amdhsa_exception_fp_ieee_invalid_op 0
		.amdhsa_exception_fp_denorm_src 0
		.amdhsa_exception_fp_ieee_div_zero 0
		.amdhsa_exception_fp_ieee_overflow 0
		.amdhsa_exception_fp_ieee_underflow 0
		.amdhsa_exception_fp_ieee_inexact 0
		.amdhsa_exception_int_div_zero 0
	.end_amdhsa_kernel
	.section	.text._ZN2at6native32elementwise_kernel_manual_unrollILi128ELi4EZNS0_15gpu_kernel_implINS0_13BinaryFunctorIN3c1015Float8_e4m3fnuzES5_bNS0_12_GLOBAL__N_116CompareEqFunctorIS5_EEEEEEvRNS_18TensorIteratorBaseERKT_EUlibE_EEviT1_,"axG",@progbits,_ZN2at6native32elementwise_kernel_manual_unrollILi128ELi4EZNS0_15gpu_kernel_implINS0_13BinaryFunctorIN3c1015Float8_e4m3fnuzES5_bNS0_12_GLOBAL__N_116CompareEqFunctorIS5_EEEEEEvRNS_18TensorIteratorBaseERKT_EUlibE_EEviT1_,comdat
.Lfunc_end295:
	.size	_ZN2at6native32elementwise_kernel_manual_unrollILi128ELi4EZNS0_15gpu_kernel_implINS0_13BinaryFunctorIN3c1015Float8_e4m3fnuzES5_bNS0_12_GLOBAL__N_116CompareEqFunctorIS5_EEEEEEvRNS_18TensorIteratorBaseERKT_EUlibE_EEviT1_, .Lfunc_end295-_ZN2at6native32elementwise_kernel_manual_unrollILi128ELi4EZNS0_15gpu_kernel_implINS0_13BinaryFunctorIN3c1015Float8_e4m3fnuzES5_bNS0_12_GLOBAL__N_116CompareEqFunctorIS5_EEEEEEvRNS_18TensorIteratorBaseERKT_EUlibE_EEviT1_
                                        ; -- End function
	.set _ZN2at6native32elementwise_kernel_manual_unrollILi128ELi4EZNS0_15gpu_kernel_implINS0_13BinaryFunctorIN3c1015Float8_e4m3fnuzES5_bNS0_12_GLOBAL__N_116CompareEqFunctorIS5_EEEEEEvRNS_18TensorIteratorBaseERKT_EUlibE_EEviT1_.num_vgpr, max(28, .L_ZN2at6native6invokeINS0_13BinaryFunctorIN3c1015Float8_e4m3fnuzES4_bNS0_12_GLOBAL__N_116CompareEqFunctorIS4_EEEEi15function_traitsIS8_EEENT1_11result_typeERKT_PrKPcPKT0_PKNS3_10ScalarTypeEi.num_vgpr)
	.set _ZN2at6native32elementwise_kernel_manual_unrollILi128ELi4EZNS0_15gpu_kernel_implINS0_13BinaryFunctorIN3c1015Float8_e4m3fnuzES5_bNS0_12_GLOBAL__N_116CompareEqFunctorIS5_EEEEEEvRNS_18TensorIteratorBaseERKT_EUlibE_EEviT1_.num_agpr, max(0, .L_ZN2at6native6invokeINS0_13BinaryFunctorIN3c1015Float8_e4m3fnuzES4_bNS0_12_GLOBAL__N_116CompareEqFunctorIS4_EEEEi15function_traitsIS8_EEENT1_11result_typeERKT_PrKPcPKT0_PKNS3_10ScalarTypeEi.num_agpr)
	.set _ZN2at6native32elementwise_kernel_manual_unrollILi128ELi4EZNS0_15gpu_kernel_implINS0_13BinaryFunctorIN3c1015Float8_e4m3fnuzES5_bNS0_12_GLOBAL__N_116CompareEqFunctorIS5_EEEEEEvRNS_18TensorIteratorBaseERKT_EUlibE_EEviT1_.numbered_sgpr, max(33, .L_ZN2at6native6invokeINS0_13BinaryFunctorIN3c1015Float8_e4m3fnuzES4_bNS0_12_GLOBAL__N_116CompareEqFunctorIS4_EEEEi15function_traitsIS8_EEENT1_11result_typeERKT_PrKPcPKT0_PKNS3_10ScalarTypeEi.numbered_sgpr)
	.set _ZN2at6native32elementwise_kernel_manual_unrollILi128ELi4EZNS0_15gpu_kernel_implINS0_13BinaryFunctorIN3c1015Float8_e4m3fnuzES5_bNS0_12_GLOBAL__N_116CompareEqFunctorIS5_EEEEEEvRNS_18TensorIteratorBaseERKT_EUlibE_EEviT1_.num_named_barrier, max(0, .L_ZN2at6native6invokeINS0_13BinaryFunctorIN3c1015Float8_e4m3fnuzES4_bNS0_12_GLOBAL__N_116CompareEqFunctorIS4_EEEEi15function_traitsIS8_EEENT1_11result_typeERKT_PrKPcPKT0_PKNS3_10ScalarTypeEi.num_named_barrier)
	.set _ZN2at6native32elementwise_kernel_manual_unrollILi128ELi4EZNS0_15gpu_kernel_implINS0_13BinaryFunctorIN3c1015Float8_e4m3fnuzES5_bNS0_12_GLOBAL__N_116CompareEqFunctorIS5_EEEEEEvRNS_18TensorIteratorBaseERKT_EUlibE_EEviT1_.private_seg_size, 64+max(.L_ZN2at6native6invokeINS0_13BinaryFunctorIN3c1015Float8_e4m3fnuzES4_bNS0_12_GLOBAL__N_116CompareEqFunctorIS4_EEEEi15function_traitsIS8_EEENT1_11result_typeERKT_PrKPcPKT0_PKNS3_10ScalarTypeEi.private_seg_size)
	.set _ZN2at6native32elementwise_kernel_manual_unrollILi128ELi4EZNS0_15gpu_kernel_implINS0_13BinaryFunctorIN3c1015Float8_e4m3fnuzES5_bNS0_12_GLOBAL__N_116CompareEqFunctorIS5_EEEEEEvRNS_18TensorIteratorBaseERKT_EUlibE_EEviT1_.uses_vcc, or(1, .L_ZN2at6native6invokeINS0_13BinaryFunctorIN3c1015Float8_e4m3fnuzES4_bNS0_12_GLOBAL__N_116CompareEqFunctorIS4_EEEEi15function_traitsIS8_EEENT1_11result_typeERKT_PrKPcPKT0_PKNS3_10ScalarTypeEi.uses_vcc)
	.set _ZN2at6native32elementwise_kernel_manual_unrollILi128ELi4EZNS0_15gpu_kernel_implINS0_13BinaryFunctorIN3c1015Float8_e4m3fnuzES5_bNS0_12_GLOBAL__N_116CompareEqFunctorIS5_EEEEEEvRNS_18TensorIteratorBaseERKT_EUlibE_EEviT1_.uses_flat_scratch, or(1, .L_ZN2at6native6invokeINS0_13BinaryFunctorIN3c1015Float8_e4m3fnuzES4_bNS0_12_GLOBAL__N_116CompareEqFunctorIS4_EEEEi15function_traitsIS8_EEENT1_11result_typeERKT_PrKPcPKT0_PKNS3_10ScalarTypeEi.uses_flat_scratch)
	.set _ZN2at6native32elementwise_kernel_manual_unrollILi128ELi4EZNS0_15gpu_kernel_implINS0_13BinaryFunctorIN3c1015Float8_e4m3fnuzES5_bNS0_12_GLOBAL__N_116CompareEqFunctorIS5_EEEEEEvRNS_18TensorIteratorBaseERKT_EUlibE_EEviT1_.has_dyn_sized_stack, or(0, .L_ZN2at6native6invokeINS0_13BinaryFunctorIN3c1015Float8_e4m3fnuzES4_bNS0_12_GLOBAL__N_116CompareEqFunctorIS4_EEEEi15function_traitsIS8_EEENT1_11result_typeERKT_PrKPcPKT0_PKNS3_10ScalarTypeEi.has_dyn_sized_stack)
	.set _ZN2at6native32elementwise_kernel_manual_unrollILi128ELi4EZNS0_15gpu_kernel_implINS0_13BinaryFunctorIN3c1015Float8_e4m3fnuzES5_bNS0_12_GLOBAL__N_116CompareEqFunctorIS5_EEEEEEvRNS_18TensorIteratorBaseERKT_EUlibE_EEviT1_.has_recursion, or(0, .L_ZN2at6native6invokeINS0_13BinaryFunctorIN3c1015Float8_e4m3fnuzES4_bNS0_12_GLOBAL__N_116CompareEqFunctorIS4_EEEEi15function_traitsIS8_EEENT1_11result_typeERKT_PrKPcPKT0_PKNS3_10ScalarTypeEi.has_recursion)
	.set _ZN2at6native32elementwise_kernel_manual_unrollILi128ELi4EZNS0_15gpu_kernel_implINS0_13BinaryFunctorIN3c1015Float8_e4m3fnuzES5_bNS0_12_GLOBAL__N_116CompareEqFunctorIS5_EEEEEEvRNS_18TensorIteratorBaseERKT_EUlibE_EEviT1_.has_indirect_call, or(0, .L_ZN2at6native6invokeINS0_13BinaryFunctorIN3c1015Float8_e4m3fnuzES4_bNS0_12_GLOBAL__N_116CompareEqFunctorIS4_EEEEi15function_traitsIS8_EEENT1_11result_typeERKT_PrKPcPKT0_PKNS3_10ScalarTypeEi.has_indirect_call)
	.section	.AMDGPU.csdata,"",@progbits
; Kernel info:
; codeLenInByte = 68176
; TotalNumSgprs: 35
; NumVgprs: 28
; ScratchSize: 64
; MemoryBound: 0
; FloatMode: 240
; IeeeMode: 1
; LDSByteSize: 0 bytes/workgroup (compile time only)
; SGPRBlocks: 0
; VGPRBlocks: 1
; NumSGPRsForWavesPerEU: 35
; NumVGPRsForWavesPerEU: 28
; NamedBarCnt: 0
; Occupancy: 16
; WaveLimiterHint : 1
; COMPUTE_PGM_RSRC2:SCRATCH_EN: 1
; COMPUTE_PGM_RSRC2:USER_SGPR: 2
; COMPUTE_PGM_RSRC2:TRAP_HANDLER: 0
; COMPUTE_PGM_RSRC2:TGID_X_EN: 1
; COMPUTE_PGM_RSRC2:TGID_Y_EN: 0
; COMPUTE_PGM_RSRC2:TGID_Z_EN: 0
; COMPUTE_PGM_RSRC2:TIDIG_COMP_CNT: 0
	.text
	.p2align	2                               ; -- Begin function _ZN2at6native6invokeINS0_13BinaryFunctorIN3c1015Float8_e4m3fnuzES4_bNS0_12_GLOBAL__N_116CompareEqFunctorIS4_EEEEj15function_traitsIS8_EEENT1_11result_typeERKT_PrKPcPKT0_PKNS3_10ScalarTypeEi
	.type	_ZN2at6native6invokeINS0_13BinaryFunctorIN3c1015Float8_e4m3fnuzES4_bNS0_12_GLOBAL__N_116CompareEqFunctorIS4_EEEEj15function_traitsIS8_EEENT1_11result_typeERKT_PrKPcPKT0_PKNS3_10ScalarTypeEi,@function
_ZN2at6native6invokeINS0_13BinaryFunctorIN3c1015Float8_e4m3fnuzES4_bNS0_12_GLOBAL__N_116CompareEqFunctorIS4_EEEEj15function_traitsIS8_EEENT1_11result_typeERKT_PrKPcPKT0_PKNS3_10ScalarTypeEi: ; @_ZN2at6native6invokeINS0_13BinaryFunctorIN3c1015Float8_e4m3fnuzES4_bNS0_12_GLOBAL__N_116CompareEqFunctorIS4_EEEEj15function_traitsIS8_EEENT1_11result_typeERKT_PrKPcPKT0_PKNS3_10ScalarTypeEi
; %bb.0:
	s_wait_loadcnt_dscnt 0x0
	s_wait_kmcnt 0x0
	v_dual_mov_b32 v7, v6 :: v_dual_mov_b32 v6, v5
	v_dual_mov_b32 v5, v4 :: v_dual_mov_b32 v4, v3
	;; [unrolled: 1-line block ×3, first 2 shown]
	flat_load_b64 v[8:9], v[2:3]
	flat_load_b32 v12, v[4:5]
	flat_load_u8 v10, v[6:7]
	v_mov_b32_e32 v13, 0
	s_mov_b32 s3, 0
	s_mov_b32 s0, 0
	s_mov_b32 s1, exec_lo
                                        ; implicit-def: $vgpr1
	s_wait_loadcnt_dscnt 0x101
	v_add_nc_u64_e32 v[8:9], v[8:9], v[12:13]
	s_wait_loadcnt_dscnt 0x0
	v_cmpx_lt_i16_e32 10, v10
	s_xor_b32 s1, exec_lo, s1
	s_cbranch_execz .LBB296_13
; %bb.1:
	s_mov_b32 s4, 0
	s_mov_b32 s2, 0
	s_mov_b32 s3, exec_lo
                                        ; implicit-def: $vgpr1
	v_cmpx_lt_i16_e32 25, v10
	s_xor_b32 s3, exec_lo, s3
	s_cbranch_execnz .LBB296_268
; %bb.2:
	s_and_not1_saveexec_b32 s3, s3
	s_cbranch_execnz .LBB296_325
.LBB296_3:
	s_or_b32 exec_lo, exec_lo, s3
	s_mov_b32 s3, 0
	s_and_saveexec_b32 s5, s4
	s_cbranch_execnz .LBB296_372
.LBB296_4:
	s_or_b32 exec_lo, exec_lo, s5
	s_and_saveexec_b32 s4, s0
	s_delay_alu instid0(SALU_CYCLE_1)
	s_xor_b32 s0, exec_lo, s4
	s_cbranch_execz .LBB296_12
.LBB296_5:
	s_wait_loadcnt_dscnt 0x0
	flat_load_u8 v1, v[8:9]
	s_mov_b32 s5, 0
	s_mov_b32 s4, exec_lo
	s_wait_loadcnt_dscnt 0x0
	v_cmp_ne_u16_e32 vcc_lo, 0, v1
	v_mov_b32_e32 v1, 0x80
	s_wait_xcnt 0x0
	v_cndmask_b32_e64 v9, 0, 1.0, vcc_lo
	s_delay_alu instid0(VALU_DEP_1)
	v_cmpx_gt_u32_e32 0x43800000, v9
	s_cbranch_execz .LBB296_11
; %bb.6:
	s_mov_b32 s6, exec_lo
                                        ; implicit-def: $vgpr8
	v_cmpx_lt_u32_e32 0x3bffffff, v9
	s_xor_b32 s6, exec_lo, s6
	s_cbranch_execnz .LBB296_496
; %bb.7:
	s_and_not1_saveexec_b32 s6, s6
	s_cbranch_execnz .LBB296_497
.LBB296_8:
	s_or_b32 exec_lo, exec_lo, s6
	v_mov_b32_e32 v1, 0
	s_and_saveexec_b32 s6, s5
.LBB296_9:
	v_mov_b32_e32 v1, v8
.LBB296_10:
	s_or_b32 exec_lo, exec_lo, s6
.LBB296_11:
	s_delay_alu instid0(SALU_CYCLE_1) | instskip(NEXT) | instid1(SALU_CYCLE_1)
	s_or_b32 exec_lo, exec_lo, s4
	s_or_b32 s2, s2, exec_lo
.LBB296_12:
	s_or_b32 exec_lo, exec_lo, s0
	s_delay_alu instid0(SALU_CYCLE_1)
	s_and_b32 s0, s3, exec_lo
	s_and_b32 s3, s2, exec_lo
                                        ; implicit-def: $vgpr10
                                        ; implicit-def: $vgpr8_vgpr9
.LBB296_13:
	s_and_not1_saveexec_b32 s1, s1
	s_cbranch_execz .LBB296_121
; %bb.14:
	s_mov_b32 s2, exec_lo
                                        ; implicit-def: $vgpr1
	v_cmpx_lt_i16_e32 4, v10
	s_xor_b32 s2, exec_lo, s2
	s_cbranch_execz .LBB296_72
; %bb.15:
	s_mov_b32 s4, exec_lo
                                        ; implicit-def: $vgpr1
	v_cmpx_lt_i16_e32 7, v10
	s_xor_b32 s4, exec_lo, s4
	;; [unrolled: 6-line block ×4, first 2 shown]
	s_cbranch_execz .LBB296_25
; %bb.18:
	flat_load_b64 v[8:9], v[8:9]
	s_wait_loadcnt_dscnt 0x101
	v_mov_b32_e32 v1, 0x80
	s_mov_b32 s7, exec_lo
	s_wait_loadcnt_dscnt 0x0
	v_cvt_f32_f64_e32 v8, v[8:9]
	s_delay_alu instid0(VALU_DEP_1) | instskip(NEXT) | instid1(VALU_DEP_1)
	v_and_b32_e32 v9, 0x7fffffff, v8
	v_cmpx_gt_u32_e32 0x43800000, v9
	s_cbranch_execz .LBB296_24
; %bb.19:
	v_cmp_lt_u32_e32 vcc_lo, 0x3bffffff, v9
	s_mov_b32 s8, 0
                                        ; implicit-def: $vgpr9
	s_and_saveexec_b32 s9, vcc_lo
	s_delay_alu instid0(SALU_CYCLE_1)
	s_xor_b32 s9, exec_lo, s9
	s_cbranch_execnz .LBB296_524
; %bb.20:
	s_and_not1_saveexec_b32 s9, s9
	s_cbranch_execnz .LBB296_525
.LBB296_21:
	s_or_b32 exec_lo, exec_lo, s9
	v_mov_b32_e32 v1, 0
	s_and_saveexec_b32 s9, s8
.LBB296_22:
	v_lshrrev_b32_e32 v1, 24, v8
	s_delay_alu instid0(VALU_DEP_1)
	v_and_or_b32 v1, 0x80, v1, v9
.LBB296_23:
	s_or_b32 exec_lo, exec_lo, s9
.LBB296_24:
	s_delay_alu instid0(SALU_CYCLE_1)
	s_or_b32 exec_lo, exec_lo, s7
                                        ; implicit-def: $vgpr8_vgpr9
.LBB296_25:
	s_and_not1_saveexec_b32 s6, s6
	s_cbranch_execz .LBB296_33
; %bb.26:
	flat_load_b32 v8, v[8:9]
	s_wait_loadcnt_dscnt 0x101
	v_mov_b32_e32 v1, 0x80
	s_mov_b32 s7, exec_lo
	s_wait_loadcnt_dscnt 0x0
	v_and_b32_e32 v9, 0x7fffffff, v8
	s_delay_alu instid0(VALU_DEP_1)
	v_cmpx_gt_u32_e32 0x43800000, v9
	s_cbranch_execz .LBB296_32
; %bb.27:
	v_cmp_lt_u32_e32 vcc_lo, 0x3bffffff, v9
	s_mov_b32 s8, 0
                                        ; implicit-def: $vgpr9
	s_and_saveexec_b32 s9, vcc_lo
	s_delay_alu instid0(SALU_CYCLE_1)
	s_xor_b32 s9, exec_lo, s9
	s_cbranch_execnz .LBB296_526
; %bb.28:
	s_and_not1_saveexec_b32 s9, s9
	s_cbranch_execnz .LBB296_527
.LBB296_29:
	s_or_b32 exec_lo, exec_lo, s9
	v_mov_b32_e32 v1, 0
	s_and_saveexec_b32 s9, s8
.LBB296_30:
	v_lshrrev_b32_e32 v1, 24, v8
	s_delay_alu instid0(VALU_DEP_1)
	v_and_or_b32 v1, 0x80, v1, v9
.LBB296_31:
	s_or_b32 exec_lo, exec_lo, s9
.LBB296_32:
	s_delay_alu instid0(SALU_CYCLE_1)
	s_or_b32 exec_lo, exec_lo, s7
.LBB296_33:
	s_delay_alu instid0(SALU_CYCLE_1)
	s_or_b32 exec_lo, exec_lo, s6
                                        ; implicit-def: $vgpr8_vgpr9
.LBB296_34:
	s_and_not1_saveexec_b32 s5, s5
	s_cbranch_execz .LBB296_42
; %bb.35:
	s_wait_loadcnt_dscnt 0x0
	flat_load_b32 v1, v[8:9]
	s_mov_b32 s6, exec_lo
	s_wait_loadcnt_dscnt 0x0
	v_cvt_f32_f16_e32 v8, v1
	v_mov_b32_e32 v1, 0x80
	s_delay_alu instid0(VALU_DEP_2) | instskip(NEXT) | instid1(VALU_DEP_1)
	v_and_b32_e32 v9, 0x7fffffff, v8
	v_cmpx_gt_u32_e32 0x43800000, v9
	s_cbranch_execz .LBB296_41
; %bb.36:
	v_cmp_lt_u32_e32 vcc_lo, 0x3bffffff, v9
	s_mov_b32 s7, 0
                                        ; implicit-def: $vgpr9
	s_and_saveexec_b32 s8, vcc_lo
	s_delay_alu instid0(SALU_CYCLE_1)
	s_xor_b32 s8, exec_lo, s8
	s_cbranch_execnz .LBB296_498
; %bb.37:
	s_and_not1_saveexec_b32 s8, s8
	s_cbranch_execnz .LBB296_499
.LBB296_38:
	s_or_b32 exec_lo, exec_lo, s8
	v_mov_b32_e32 v1, 0
	s_and_saveexec_b32 s8, s7
.LBB296_39:
	v_lshrrev_b32_e32 v1, 24, v8
	s_delay_alu instid0(VALU_DEP_1)
	v_and_or_b32 v1, 0x80, v1, v9
.LBB296_40:
	s_or_b32 exec_lo, exec_lo, s8
.LBB296_41:
	s_delay_alu instid0(SALU_CYCLE_1)
	s_or_b32 exec_lo, exec_lo, s6
.LBB296_42:
	s_delay_alu instid0(SALU_CYCLE_1)
	s_or_b32 exec_lo, exec_lo, s5
                                        ; implicit-def: $vgpr10
                                        ; implicit-def: $vgpr8_vgpr9
.LBB296_43:
	s_and_not1_saveexec_b32 s4, s4
	s_cbranch_execz .LBB296_71
; %bb.44:
	s_mov_b32 s5, exec_lo
                                        ; implicit-def: $vgpr1
	v_cmpx_lt_i16_e32 5, v10
	s_xor_b32 s5, exec_lo, s5
	s_cbranch_execz .LBB296_62
; %bb.45:
	s_mov_b32 s6, exec_lo
                                        ; implicit-def: $vgpr1
	v_cmpx_lt_i16_e32 6, v10
	s_xor_b32 s6, exec_lo, s6
	s_cbranch_execz .LBB296_53
; %bb.46:
	flat_load_b64 v[8:9], v[8:9]
	s_wait_loadcnt_dscnt 0x101
	v_mov_b32_e32 v1, 0x80
	s_mov_b32 s7, exec_lo
	s_wait_loadcnt_dscnt 0x0
	v_cvt_f32_f64_e32 v8, v[8:9]
	s_delay_alu instid0(VALU_DEP_1) | instskip(NEXT) | instid1(VALU_DEP_1)
	v_and_b32_e32 v9, 0x7fffffff, v8
	v_cmpx_gt_u32_e32 0x43800000, v9
	s_cbranch_execz .LBB296_52
; %bb.47:
	v_cmp_lt_u32_e32 vcc_lo, 0x3bffffff, v9
	s_mov_b32 s8, 0
                                        ; implicit-def: $vgpr9
	s_and_saveexec_b32 s9, vcc_lo
	s_delay_alu instid0(SALU_CYCLE_1)
	s_xor_b32 s9, exec_lo, s9
	s_cbranch_execnz .LBB296_528
; %bb.48:
	s_and_not1_saveexec_b32 s9, s9
	s_cbranch_execnz .LBB296_529
.LBB296_49:
	s_or_b32 exec_lo, exec_lo, s9
	v_mov_b32_e32 v1, 0
	s_and_saveexec_b32 s9, s8
.LBB296_50:
	v_lshrrev_b32_e32 v1, 24, v8
	s_delay_alu instid0(VALU_DEP_1)
	v_and_or_b32 v1, 0x80, v1, v9
.LBB296_51:
	s_or_b32 exec_lo, exec_lo, s9
.LBB296_52:
	s_delay_alu instid0(SALU_CYCLE_1)
	s_or_b32 exec_lo, exec_lo, s7
                                        ; implicit-def: $vgpr8_vgpr9
.LBB296_53:
	s_and_not1_saveexec_b32 s6, s6
	s_cbranch_execz .LBB296_61
; %bb.54:
	flat_load_b32 v8, v[8:9]
	s_wait_loadcnt_dscnt 0x101
	v_mov_b32_e32 v1, 0x80
	s_mov_b32 s7, exec_lo
	s_wait_loadcnt_dscnt 0x0
	v_and_b32_e32 v9, 0x7fffffff, v8
	s_delay_alu instid0(VALU_DEP_1)
	v_cmpx_gt_u32_e32 0x43800000, v9
	s_cbranch_execz .LBB296_60
; %bb.55:
	v_cmp_lt_u32_e32 vcc_lo, 0x3bffffff, v9
	s_mov_b32 s8, 0
                                        ; implicit-def: $vgpr9
	s_and_saveexec_b32 s9, vcc_lo
	s_delay_alu instid0(SALU_CYCLE_1)
	s_xor_b32 s9, exec_lo, s9
	s_cbranch_execnz .LBB296_530
; %bb.56:
	s_and_not1_saveexec_b32 s9, s9
	s_cbranch_execnz .LBB296_531
.LBB296_57:
	s_or_b32 exec_lo, exec_lo, s9
	v_mov_b32_e32 v1, 0
	s_and_saveexec_b32 s9, s8
.LBB296_58:
	v_lshrrev_b32_e32 v1, 24, v8
	s_delay_alu instid0(VALU_DEP_1)
	v_and_or_b32 v1, 0x80, v1, v9
.LBB296_59:
	s_or_b32 exec_lo, exec_lo, s9
.LBB296_60:
	s_delay_alu instid0(SALU_CYCLE_1)
	s_or_b32 exec_lo, exec_lo, s7
.LBB296_61:
	s_delay_alu instid0(SALU_CYCLE_1)
	s_or_b32 exec_lo, exec_lo, s6
                                        ; implicit-def: $vgpr8_vgpr9
.LBB296_62:
	s_and_not1_saveexec_b32 s5, s5
	s_cbranch_execz .LBB296_70
; %bb.63:
	s_wait_loadcnt_dscnt 0x0
	flat_load_u16 v1, v[8:9]
	s_mov_b32 s6, exec_lo
	s_wait_loadcnt_dscnt 0x0
	v_cvt_f32_f16_e32 v8, v1
	v_mov_b32_e32 v1, 0x80
	s_delay_alu instid0(VALU_DEP_2) | instskip(NEXT) | instid1(VALU_DEP_1)
	v_and_b32_e32 v9, 0x7fffffff, v8
	v_cmpx_gt_u32_e32 0x43800000, v9
	s_cbranch_execz .LBB296_69
; %bb.64:
	v_cmp_lt_u32_e32 vcc_lo, 0x3bffffff, v9
	s_mov_b32 s7, 0
                                        ; implicit-def: $vgpr9
	s_and_saveexec_b32 s8, vcc_lo
	s_delay_alu instid0(SALU_CYCLE_1)
	s_xor_b32 s8, exec_lo, s8
	s_cbranch_execnz .LBB296_500
; %bb.65:
	s_and_not1_saveexec_b32 s8, s8
	s_cbranch_execnz .LBB296_501
.LBB296_66:
	s_or_b32 exec_lo, exec_lo, s8
	v_mov_b32_e32 v1, 0
	s_and_saveexec_b32 s8, s7
.LBB296_67:
	v_lshrrev_b32_e32 v1, 24, v8
	s_delay_alu instid0(VALU_DEP_1)
	v_and_or_b32 v1, 0x80, v1, v9
.LBB296_68:
	s_or_b32 exec_lo, exec_lo, s8
.LBB296_69:
	s_delay_alu instid0(SALU_CYCLE_1)
	s_or_b32 exec_lo, exec_lo, s6
.LBB296_70:
	s_delay_alu instid0(SALU_CYCLE_1)
	s_or_b32 exec_lo, exec_lo, s5
.LBB296_71:
	s_delay_alu instid0(SALU_CYCLE_1)
	s_or_b32 exec_lo, exec_lo, s4
                                        ; implicit-def: $vgpr10
                                        ; implicit-def: $vgpr8_vgpr9
.LBB296_72:
	s_and_not1_saveexec_b32 s2, s2
	s_cbranch_execz .LBB296_120
; %bb.73:
	s_mov_b32 s4, exec_lo
                                        ; implicit-def: $vgpr1
	v_cmpx_lt_i16_e32 1, v10
	s_xor_b32 s4, exec_lo, s4
	s_cbranch_execz .LBB296_101
; %bb.74:
	s_mov_b32 s5, exec_lo
                                        ; implicit-def: $vgpr1
	v_cmpx_lt_i16_e32 2, v10
	s_xor_b32 s5, exec_lo, s5
	;; [unrolled: 6-line block ×3, first 2 shown]
	s_cbranch_execz .LBB296_83
; %bb.76:
	flat_load_b64 v[8:9], v[8:9]
	s_mov_b32 s7, exec_lo
	s_wait_loadcnt_dscnt 0x0
	v_xor_b32_e32 v1, v8, v9
	v_cls_i32_e32 v10, v9
	s_delay_alu instid0(VALU_DEP_2) | instskip(NEXT) | instid1(VALU_DEP_1)
	v_ashrrev_i32_e32 v1, 31, v1
	v_add_nc_u32_e32 v1, 32, v1
	s_delay_alu instid0(VALU_DEP_1) | instskip(SKIP_1) | instid1(VALU_DEP_1)
	v_add_min_u32_e64 v1, v10, -1, v1
	s_wait_xcnt 0x0
	v_lshlrev_b64_e32 v[8:9], v1, v[8:9]
	v_sub_nc_u32_e32 v1, 32, v1
	s_delay_alu instid0(VALU_DEP_2) | instskip(NEXT) | instid1(VALU_DEP_1)
	v_min_u32_e32 v8, 1, v8
	v_or_b32_e32 v8, v9, v8
	s_delay_alu instid0(VALU_DEP_1) | instskip(NEXT) | instid1(VALU_DEP_1)
	v_cvt_f32_i32_e32 v8, v8
	v_ldexp_f32 v8, v8, v1
	v_mov_b32_e32 v1, 0x80
	s_delay_alu instid0(VALU_DEP_2) | instskip(NEXT) | instid1(VALU_DEP_1)
	v_and_b32_e32 v9, 0x7fffffff, v8
	v_cmpx_gt_u32_e32 0x43800000, v9
	s_cbranch_execz .LBB296_82
; %bb.77:
	v_cmp_lt_u32_e32 vcc_lo, 0x3bffffff, v9
	s_mov_b32 s8, 0
                                        ; implicit-def: $vgpr9
	s_and_saveexec_b32 s9, vcc_lo
	s_delay_alu instid0(SALU_CYCLE_1)
	s_xor_b32 s9, exec_lo, s9
	s_cbranch_execnz .LBB296_532
; %bb.78:
	s_and_not1_saveexec_b32 s9, s9
	s_cbranch_execnz .LBB296_533
.LBB296_79:
	s_or_b32 exec_lo, exec_lo, s9
	v_mov_b32_e32 v1, 0
	s_and_saveexec_b32 s9, s8
.LBB296_80:
	v_lshrrev_b32_e32 v1, 24, v8
	s_delay_alu instid0(VALU_DEP_1)
	v_and_or_b32 v1, 0x80, v1, v9
.LBB296_81:
	s_or_b32 exec_lo, exec_lo, s9
.LBB296_82:
	s_delay_alu instid0(SALU_CYCLE_1)
	s_or_b32 exec_lo, exec_lo, s7
                                        ; implicit-def: $vgpr8_vgpr9
.LBB296_83:
	s_and_not1_saveexec_b32 s6, s6
	s_cbranch_execz .LBB296_91
; %bb.84:
	s_wait_loadcnt_dscnt 0x0
	flat_load_b32 v1, v[8:9]
	s_mov_b32 s7, exec_lo
	s_wait_loadcnt_dscnt 0x0
	v_cvt_f32_i32_e32 v8, v1
	v_mov_b32_e32 v1, 0x80
	s_delay_alu instid0(VALU_DEP_2) | instskip(NEXT) | instid1(VALU_DEP_1)
	v_and_b32_e32 v9, 0x7fffffff, v8
	v_cmpx_gt_u32_e32 0x43800000, v9
	s_cbranch_execz .LBB296_90
; %bb.85:
	v_cmp_lt_u32_e32 vcc_lo, 0x3bffffff, v9
	s_mov_b32 s8, 0
                                        ; implicit-def: $vgpr9
	s_and_saveexec_b32 s9, vcc_lo
	s_delay_alu instid0(SALU_CYCLE_1)
	s_xor_b32 s9, exec_lo, s9
	s_cbranch_execnz .LBB296_534
; %bb.86:
	s_and_not1_saveexec_b32 s9, s9
	s_cbranch_execnz .LBB296_535
.LBB296_87:
	s_or_b32 exec_lo, exec_lo, s9
	v_mov_b32_e32 v1, 0
	s_and_saveexec_b32 s9, s8
.LBB296_88:
	v_lshrrev_b32_e32 v1, 24, v8
	s_delay_alu instid0(VALU_DEP_1)
	v_and_or_b32 v1, 0x80, v1, v9
.LBB296_89:
	s_or_b32 exec_lo, exec_lo, s9
.LBB296_90:
	s_delay_alu instid0(SALU_CYCLE_1)
	s_or_b32 exec_lo, exec_lo, s7
.LBB296_91:
	s_delay_alu instid0(SALU_CYCLE_1)
	s_or_b32 exec_lo, exec_lo, s6
                                        ; implicit-def: $vgpr8_vgpr9
.LBB296_92:
	s_and_not1_saveexec_b32 s5, s5
	s_cbranch_execz .LBB296_100
; %bb.93:
	s_wait_loadcnt_dscnt 0x0
	flat_load_i16 v1, v[8:9]
	s_mov_b32 s6, exec_lo
	s_wait_loadcnt_dscnt 0x0
	v_cvt_f32_i32_e32 v8, v1
	v_mov_b32_e32 v1, 0x80
	s_delay_alu instid0(VALU_DEP_2) | instskip(NEXT) | instid1(VALU_DEP_1)
	v_and_b32_e32 v9, 0x7fffffff, v8
	v_cmpx_gt_u32_e32 0x43800000, v9
	s_cbranch_execz .LBB296_99
; %bb.94:
	v_cmp_lt_u32_e32 vcc_lo, 0x3bffffff, v9
	s_mov_b32 s7, 0
                                        ; implicit-def: $vgpr9
	s_and_saveexec_b32 s8, vcc_lo
	s_delay_alu instid0(SALU_CYCLE_1)
	s_xor_b32 s8, exec_lo, s8
	s_cbranch_execnz .LBB296_502
; %bb.95:
	s_and_not1_saveexec_b32 s8, s8
	s_cbranch_execnz .LBB296_503
.LBB296_96:
	s_or_b32 exec_lo, exec_lo, s8
	v_mov_b32_e32 v1, 0
	s_and_saveexec_b32 s8, s7
.LBB296_97:
	v_lshrrev_b32_e32 v1, 24, v8
	s_delay_alu instid0(VALU_DEP_1)
	v_and_or_b32 v1, 0x80, v1, v9
.LBB296_98:
	s_or_b32 exec_lo, exec_lo, s8
.LBB296_99:
	s_delay_alu instid0(SALU_CYCLE_1)
	s_or_b32 exec_lo, exec_lo, s6
.LBB296_100:
	s_delay_alu instid0(SALU_CYCLE_1)
	s_or_b32 exec_lo, exec_lo, s5
                                        ; implicit-def: $vgpr10
                                        ; implicit-def: $vgpr8_vgpr9
.LBB296_101:
	s_and_not1_saveexec_b32 s4, s4
	s_cbranch_execz .LBB296_119
; %bb.102:
	s_mov_b32 s5, exec_lo
                                        ; implicit-def: $vgpr1
	v_cmpx_lt_i16_e32 0, v10
	s_xor_b32 s5, exec_lo, s5
	s_cbranch_execz .LBB296_110
; %bb.103:
	s_wait_loadcnt_dscnt 0x0
	flat_load_i8 v1, v[8:9]
	s_mov_b32 s6, exec_lo
	s_wait_loadcnt_dscnt 0x0
	v_cvt_f32_i32_e32 v8, v1
	v_mov_b32_e32 v1, 0x80
	s_delay_alu instid0(VALU_DEP_2) | instskip(NEXT) | instid1(VALU_DEP_1)
	v_and_b32_e32 v9, 0x7fffffff, v8
	v_cmpx_gt_u32_e32 0x43800000, v9
	s_cbranch_execz .LBB296_109
; %bb.104:
	v_cmp_lt_u32_e32 vcc_lo, 0x3bffffff, v9
	s_mov_b32 s7, 0
                                        ; implicit-def: $vgpr9
	s_and_saveexec_b32 s8, vcc_lo
	s_delay_alu instid0(SALU_CYCLE_1)
	s_xor_b32 s8, exec_lo, s8
	s_cbranch_execnz .LBB296_504
; %bb.105:
	s_and_not1_saveexec_b32 s8, s8
	s_cbranch_execnz .LBB296_505
.LBB296_106:
	s_or_b32 exec_lo, exec_lo, s8
	v_mov_b32_e32 v1, 0
	s_and_saveexec_b32 s8, s7
.LBB296_107:
	v_lshrrev_b32_e32 v1, 24, v8
	s_delay_alu instid0(VALU_DEP_1)
	v_and_or_b32 v1, 0x80, v1, v9
.LBB296_108:
	s_or_b32 exec_lo, exec_lo, s8
.LBB296_109:
	s_delay_alu instid0(SALU_CYCLE_1)
	s_or_b32 exec_lo, exec_lo, s6
                                        ; implicit-def: $vgpr8_vgpr9
.LBB296_110:
	s_and_not1_saveexec_b32 s5, s5
	s_cbranch_execz .LBB296_118
; %bb.111:
	s_wait_loadcnt_dscnt 0x0
	flat_load_u8 v1, v[8:9]
	s_mov_b32 s6, exec_lo
	s_wait_loadcnt_dscnt 0x0
	v_cvt_f32_ubyte0_e32 v9, v1
	v_mov_b32_e32 v1, 0x80
	s_delay_alu instid0(VALU_DEP_2)
	v_cmpx_gt_u32_e32 0x43800000, v9
	s_cbranch_execz .LBB296_117
; %bb.112:
	s_mov_b32 s7, 0
	s_mov_b32 s8, exec_lo
                                        ; implicit-def: $vgpr8
	v_cmpx_lt_u32_e32 0x3bffffff, v9
	s_xor_b32 s8, exec_lo, s8
	s_cbranch_execnz .LBB296_506
; %bb.113:
	s_and_not1_saveexec_b32 s8, s8
	s_cbranch_execnz .LBB296_507
.LBB296_114:
	s_or_b32 exec_lo, exec_lo, s8
	v_mov_b32_e32 v1, 0
	s_and_saveexec_b32 s8, s7
.LBB296_115:
	v_mov_b32_e32 v1, v8
.LBB296_116:
	s_or_b32 exec_lo, exec_lo, s8
.LBB296_117:
	s_delay_alu instid0(SALU_CYCLE_1)
	s_or_b32 exec_lo, exec_lo, s6
.LBB296_118:
	s_delay_alu instid0(SALU_CYCLE_1)
	s_or_b32 exec_lo, exec_lo, s5
.LBB296_119:
	s_delay_alu instid0(SALU_CYCLE_1)
	s_or_b32 exec_lo, exec_lo, s4
.LBB296_120:
	s_delay_alu instid0(SALU_CYCLE_1) | instskip(NEXT) | instid1(SALU_CYCLE_1)
	s_or_b32 exec_lo, exec_lo, s2
	s_or_b32 s3, s3, exec_lo
.LBB296_121:
	s_or_b32 exec_lo, exec_lo, s1
	s_mov_b32 s5, 0
	s_mov_b32 s4, 0
	;; [unrolled: 1-line block ×3, first 2 shown]
                                        ; implicit-def: $vgpr10
                                        ; implicit-def: $vgpr8_vgpr9
                                        ; implicit-def: $vgpr11
	s_and_saveexec_b32 s1, s3
	s_cbranch_execnz .LBB296_127
; %bb.122:
	s_or_b32 exec_lo, exec_lo, s1
	s_and_saveexec_b32 s1, s0
	s_cbranch_execnz .LBB296_133
.LBB296_123:
	s_or_b32 exec_lo, exec_lo, s1
	s_and_saveexec_b32 s0, s5
	s_delay_alu instid0(SALU_CYCLE_1)
	s_xor_b32 s0, exec_lo, s0
	s_cbranch_execnz .LBB296_134
.LBB296_124:
	s_or_b32 exec_lo, exec_lo, s0
	s_and_saveexec_b32 s0, s4
	s_cbranch_execnz .LBB296_141
.LBB296_125:
	s_or_b32 exec_lo, exec_lo, s0
                                        ; implicit-def: $sgpr1
	s_and_saveexec_b32 s0, s2
	s_cbranch_execnz .LBB296_248
.LBB296_126:
	s_or_b32 exec_lo, exec_lo, s0
	s_delay_alu instid0(VALU_DEP_1)
	v_cndmask_b32_e64 v0, 0, 1, s1
	s_wait_loadcnt_dscnt 0x0
	s_set_pc_i64 s[30:31]
.LBB296_127:
	flat_load_b64 v[8:9], v[2:3] offset:8
	flat_load_b32 v12, v[4:5] offset:4
	flat_load_u8 v10, v[6:7] offset:1
	v_mov_b32_e32 v13, 0
	s_mov_b32 s4, -1
	s_mov_b32 s3, 0
	s_mov_b32 s5, s0
	;; [unrolled: 1-line block ×3, first 2 shown]
	s_mov_b32 s2, exec_lo
                                        ; implicit-def: $vgpr11
	s_wait_loadcnt_dscnt 0x101
	v_add_nc_u64_e32 v[8:9], v[8:9], v[12:13]
	s_wait_loadcnt_dscnt 0x0
	v_cmpx_lt_i16_e32 10, v10
	s_cbranch_execz .LBB296_132
; %bb.128:
	s_mov_b32 s5, 0
	s_mov_b32 s4, exec_lo
                                        ; implicit-def: $vgpr11
	v_cmpx_lt_i16_e32 25, v10
	s_xor_b32 s4, exec_lo, s4
	s_cbranch_execnz .LBB296_373
; %bb.129:
	s_and_not1_saveexec_b32 s4, s4
	s_cbranch_execnz .LBB296_430
.LBB296_130:
	s_or_b32 exec_lo, exec_lo, s4
	s_mov_b32 s7, s0
	s_and_saveexec_b32 s4, s6
	s_cbranch_execnz .LBB296_477
.LBB296_131:
	s_or_b32 exec_lo, exec_lo, s4
	s_delay_alu instid0(SALU_CYCLE_1)
	s_and_b32 s6, s5, exec_lo
	s_and_not1_b32 s5, s0, exec_lo
	s_and_b32 s7, s7, exec_lo
	s_xor_b32 s4, exec_lo, -1
	s_and_b32 s3, s3, exec_lo
	s_or_b32 s5, s5, s7
.LBB296_132:
	s_or_b32 exec_lo, exec_lo, s2
	s_delay_alu instid0(SALU_CYCLE_1)
	s_and_b32 s2, s6, exec_lo
	s_and_not1_b32 s0, s0, exec_lo
	s_and_b32 s6, s5, exec_lo
	s_and_b32 s4, s4, exec_lo
	;; [unrolled: 1-line block ×3, first 2 shown]
	s_or_b32 s0, s0, s6
	s_or_b32 exec_lo, exec_lo, s1
	s_and_saveexec_b32 s1, s0
	s_cbranch_execz .LBB296_123
.LBB296_133:
	; divergent unreachable
	s_or_b32 exec_lo, exec_lo, s1
	s_and_saveexec_b32 s0, s5
	s_delay_alu instid0(SALU_CYCLE_1)
	s_xor_b32 s0, exec_lo, s0
	s_cbranch_execz .LBB296_124
.LBB296_134:
	flat_load_u8 v2, v[8:9]
	s_wait_loadcnt_dscnt 0x101
	v_mov_b32_e32 v11, 0x80
	s_mov_b32 s3, 0
	s_mov_b32 s1, exec_lo
	s_wait_loadcnt_dscnt 0x0
	v_cmp_ne_u16_e32 vcc_lo, 0, v2
	v_cndmask_b32_e64 v3, 0, 1.0, vcc_lo
	s_wait_xcnt 0x0
	s_delay_alu instid0(VALU_DEP_1)
	v_cmpx_gt_u32_e32 0x43800000, v3
	s_cbranch_execz .LBB296_140
; %bb.135:
	s_mov_b32 s5, exec_lo
                                        ; implicit-def: $vgpr2
	v_cmpx_lt_u32_e32 0x3bffffff, v3
	s_xor_b32 s5, exec_lo, s5
	s_cbranch_execnz .LBB296_478
; %bb.136:
	s_and_not1_saveexec_b32 s5, s5
	s_cbranch_execnz .LBB296_479
.LBB296_137:
	s_or_b32 exec_lo, exec_lo, s5
	v_mov_b32_e32 v11, 0
	s_and_saveexec_b32 s5, s3
.LBB296_138:
	v_mov_b32_e32 v11, v2
.LBB296_139:
	s_or_b32 exec_lo, exec_lo, s5
.LBB296_140:
	s_delay_alu instid0(SALU_CYCLE_1) | instskip(NEXT) | instid1(SALU_CYCLE_1)
	s_or_b32 exec_lo, exec_lo, s1
	s_or_b32 s2, s2, exec_lo
	s_or_b32 exec_lo, exec_lo, s0
	s_and_saveexec_b32 s0, s4
	s_cbranch_execz .LBB296_125
.LBB296_141:
	s_mov_b32 s1, exec_lo
                                        ; implicit-def: $vgpr11
	v_cmpx_lt_i16_e32 4, v10
	s_xor_b32 s1, exec_lo, s1
	s_cbranch_execz .LBB296_199
; %bb.142:
	s_mov_b32 s3, exec_lo
                                        ; implicit-def: $vgpr11
	v_cmpx_lt_i16_e32 7, v10
	s_xor_b32 s3, exec_lo, s3
	s_cbranch_execz .LBB296_170
; %bb.143:
	s_mov_b32 s4, exec_lo
                                        ; implicit-def: $vgpr11
	v_cmpx_lt_i16_e32 8, v10
	s_xor_b32 s4, exec_lo, s4
	s_cbranch_execz .LBB296_161
; %bb.144:
	s_mov_b32 s5, exec_lo
                                        ; implicit-def: $vgpr11
	v_cmpx_lt_i16_e32 9, v10
	s_xor_b32 s5, exec_lo, s5
	s_cbranch_execz .LBB296_152
; %bb.145:
	flat_load_b64 v[2:3], v[8:9]
	s_wait_loadcnt_dscnt 0x101
	v_mov_b32_e32 v11, 0x80
	s_mov_b32 s6, exec_lo
	s_wait_loadcnt_dscnt 0x0
	v_cvt_f32_f64_e32 v2, v[2:3]
	s_delay_alu instid0(VALU_DEP_1) | instskip(SKIP_1) | instid1(VALU_DEP_1)
	v_and_b32_e32 v3, 0x7fffffff, v2
	s_wait_xcnt 0x0
	v_cmpx_gt_u32_e32 0x43800000, v3
	s_cbranch_execz .LBB296_151
; %bb.146:
	v_cmp_lt_u32_e32 vcc_lo, 0x3bffffff, v3
	s_mov_b32 s7, 0
                                        ; implicit-def: $vgpr3
	s_and_saveexec_b32 s8, vcc_lo
	s_delay_alu instid0(SALU_CYCLE_1)
	s_xor_b32 s8, exec_lo, s8
	s_cbranch_execnz .LBB296_536
; %bb.147:
	s_and_not1_saveexec_b32 s8, s8
	s_cbranch_execnz .LBB296_537
.LBB296_148:
	s_or_b32 exec_lo, exec_lo, s8
	v_mov_b32_e32 v11, 0
	s_and_saveexec_b32 s8, s7
.LBB296_149:
	v_lshrrev_b32_e32 v2, 24, v2
	s_delay_alu instid0(VALU_DEP_1)
	v_and_or_b32 v11, 0x80, v2, v3
.LBB296_150:
	s_or_b32 exec_lo, exec_lo, s8
.LBB296_151:
	s_delay_alu instid0(SALU_CYCLE_1)
	s_or_b32 exec_lo, exec_lo, s6
                                        ; implicit-def: $vgpr8_vgpr9
.LBB296_152:
	s_and_not1_saveexec_b32 s5, s5
	s_cbranch_execz .LBB296_160
; %bb.153:
	flat_load_b32 v2, v[8:9]
	s_wait_loadcnt_dscnt 0x101
	v_mov_b32_e32 v11, 0x80
	s_mov_b32 s6, exec_lo
	s_wait_loadcnt_dscnt 0x0
	v_and_b32_e32 v3, 0x7fffffff, v2
	s_wait_xcnt 0x0
	s_delay_alu instid0(VALU_DEP_1)
	v_cmpx_gt_u32_e32 0x43800000, v3
	s_cbranch_execz .LBB296_159
; %bb.154:
	v_cmp_lt_u32_e32 vcc_lo, 0x3bffffff, v3
	s_mov_b32 s7, 0
                                        ; implicit-def: $vgpr3
	s_and_saveexec_b32 s8, vcc_lo
	s_delay_alu instid0(SALU_CYCLE_1)
	s_xor_b32 s8, exec_lo, s8
	s_cbranch_execnz .LBB296_538
; %bb.155:
	s_and_not1_saveexec_b32 s8, s8
	s_cbranch_execnz .LBB296_539
.LBB296_156:
	s_or_b32 exec_lo, exec_lo, s8
	v_mov_b32_e32 v11, 0
	s_and_saveexec_b32 s8, s7
.LBB296_157:
	v_lshrrev_b32_e32 v2, 24, v2
	s_delay_alu instid0(VALU_DEP_1)
	v_and_or_b32 v11, 0x80, v2, v3
.LBB296_158:
	s_or_b32 exec_lo, exec_lo, s8
.LBB296_159:
	s_delay_alu instid0(SALU_CYCLE_1)
	s_or_b32 exec_lo, exec_lo, s6
.LBB296_160:
	s_delay_alu instid0(SALU_CYCLE_1)
	s_or_b32 exec_lo, exec_lo, s5
                                        ; implicit-def: $vgpr8_vgpr9
.LBB296_161:
	s_and_not1_saveexec_b32 s4, s4
	s_cbranch_execz .LBB296_169
; %bb.162:
	flat_load_b32 v2, v[8:9]
	s_wait_loadcnt_dscnt 0x101
	v_mov_b32_e32 v11, 0x80
	s_mov_b32 s5, exec_lo
	s_wait_loadcnt_dscnt 0x0
	v_cvt_f32_f16_e32 v2, v2
	s_delay_alu instid0(VALU_DEP_1) | instskip(SKIP_1) | instid1(VALU_DEP_1)
	v_and_b32_e32 v3, 0x7fffffff, v2
	s_wait_xcnt 0x0
	v_cmpx_gt_u32_e32 0x43800000, v3
	s_cbranch_execz .LBB296_168
; %bb.163:
	v_cmp_lt_u32_e32 vcc_lo, 0x3bffffff, v3
	s_mov_b32 s6, 0
                                        ; implicit-def: $vgpr3
	s_and_saveexec_b32 s7, vcc_lo
	s_delay_alu instid0(SALU_CYCLE_1)
	s_xor_b32 s7, exec_lo, s7
	s_cbranch_execnz .LBB296_508
; %bb.164:
	s_and_not1_saveexec_b32 s7, s7
	s_cbranch_execnz .LBB296_509
.LBB296_165:
	s_or_b32 exec_lo, exec_lo, s7
	v_mov_b32_e32 v11, 0
	s_and_saveexec_b32 s7, s6
.LBB296_166:
	v_lshrrev_b32_e32 v2, 24, v2
	s_delay_alu instid0(VALU_DEP_1)
	v_and_or_b32 v11, 0x80, v2, v3
.LBB296_167:
	s_or_b32 exec_lo, exec_lo, s7
.LBB296_168:
	s_delay_alu instid0(SALU_CYCLE_1)
	s_or_b32 exec_lo, exec_lo, s5
.LBB296_169:
	s_delay_alu instid0(SALU_CYCLE_1)
	s_or_b32 exec_lo, exec_lo, s4
                                        ; implicit-def: $vgpr8_vgpr9
.LBB296_170:
	s_and_not1_saveexec_b32 s3, s3
	s_cbranch_execz .LBB296_198
; %bb.171:
	s_mov_b32 s4, exec_lo
                                        ; implicit-def: $vgpr11
	v_cmpx_lt_i16_e32 5, v10
	s_xor_b32 s4, exec_lo, s4
	s_cbranch_execz .LBB296_189
; %bb.172:
	s_mov_b32 s5, exec_lo
                                        ; implicit-def: $vgpr11
	v_cmpx_lt_i16_e32 6, v10
	s_xor_b32 s5, exec_lo, s5
	s_cbranch_execz .LBB296_180
; %bb.173:
	flat_load_b64 v[2:3], v[8:9]
	s_wait_loadcnt_dscnt 0x101
	v_mov_b32_e32 v11, 0x80
	s_mov_b32 s6, exec_lo
	s_wait_loadcnt_dscnt 0x0
	v_cvt_f32_f64_e32 v2, v[2:3]
	s_delay_alu instid0(VALU_DEP_1) | instskip(SKIP_1) | instid1(VALU_DEP_1)
	v_and_b32_e32 v3, 0x7fffffff, v2
	s_wait_xcnt 0x0
	v_cmpx_gt_u32_e32 0x43800000, v3
	s_cbranch_execz .LBB296_179
; %bb.174:
	v_cmp_lt_u32_e32 vcc_lo, 0x3bffffff, v3
	s_mov_b32 s7, 0
                                        ; implicit-def: $vgpr3
	s_and_saveexec_b32 s8, vcc_lo
	s_delay_alu instid0(SALU_CYCLE_1)
	s_xor_b32 s8, exec_lo, s8
	s_cbranch_execnz .LBB296_540
; %bb.175:
	s_and_not1_saveexec_b32 s8, s8
	s_cbranch_execnz .LBB296_541
.LBB296_176:
	s_or_b32 exec_lo, exec_lo, s8
	v_mov_b32_e32 v11, 0
	s_and_saveexec_b32 s8, s7
.LBB296_177:
	v_lshrrev_b32_e32 v2, 24, v2
	s_delay_alu instid0(VALU_DEP_1)
	v_and_or_b32 v11, 0x80, v2, v3
.LBB296_178:
	s_or_b32 exec_lo, exec_lo, s8
.LBB296_179:
	s_delay_alu instid0(SALU_CYCLE_1)
	s_or_b32 exec_lo, exec_lo, s6
                                        ; implicit-def: $vgpr8_vgpr9
.LBB296_180:
	s_and_not1_saveexec_b32 s5, s5
	s_cbranch_execz .LBB296_188
; %bb.181:
	flat_load_b32 v2, v[8:9]
	s_wait_loadcnt_dscnt 0x101
	v_mov_b32_e32 v11, 0x80
	s_mov_b32 s6, exec_lo
	s_wait_loadcnt_dscnt 0x0
	v_and_b32_e32 v3, 0x7fffffff, v2
	s_wait_xcnt 0x0
	s_delay_alu instid0(VALU_DEP_1)
	v_cmpx_gt_u32_e32 0x43800000, v3
	s_cbranch_execz .LBB296_187
; %bb.182:
	v_cmp_lt_u32_e32 vcc_lo, 0x3bffffff, v3
	s_mov_b32 s7, 0
                                        ; implicit-def: $vgpr3
	s_and_saveexec_b32 s8, vcc_lo
	s_delay_alu instid0(SALU_CYCLE_1)
	s_xor_b32 s8, exec_lo, s8
	s_cbranch_execnz .LBB296_542
; %bb.183:
	s_and_not1_saveexec_b32 s8, s8
	s_cbranch_execnz .LBB296_543
.LBB296_184:
	s_or_b32 exec_lo, exec_lo, s8
	v_mov_b32_e32 v11, 0
	s_and_saveexec_b32 s8, s7
.LBB296_185:
	v_lshrrev_b32_e32 v2, 24, v2
	s_delay_alu instid0(VALU_DEP_1)
	v_and_or_b32 v11, 0x80, v2, v3
.LBB296_186:
	s_or_b32 exec_lo, exec_lo, s8
.LBB296_187:
	s_delay_alu instid0(SALU_CYCLE_1)
	s_or_b32 exec_lo, exec_lo, s6
.LBB296_188:
	s_delay_alu instid0(SALU_CYCLE_1)
	s_or_b32 exec_lo, exec_lo, s5
                                        ; implicit-def: $vgpr8_vgpr9
.LBB296_189:
	s_and_not1_saveexec_b32 s4, s4
	s_cbranch_execz .LBB296_197
; %bb.190:
	flat_load_u16 v2, v[8:9]
	s_wait_loadcnt_dscnt 0x101
	v_mov_b32_e32 v11, 0x80
	s_mov_b32 s5, exec_lo
	s_wait_loadcnt_dscnt 0x0
	v_cvt_f32_f16_e32 v2, v2
	s_delay_alu instid0(VALU_DEP_1) | instskip(SKIP_1) | instid1(VALU_DEP_1)
	v_and_b32_e32 v3, 0x7fffffff, v2
	s_wait_xcnt 0x0
	v_cmpx_gt_u32_e32 0x43800000, v3
	s_cbranch_execz .LBB296_196
; %bb.191:
	v_cmp_lt_u32_e32 vcc_lo, 0x3bffffff, v3
	s_mov_b32 s6, 0
                                        ; implicit-def: $vgpr3
	s_and_saveexec_b32 s7, vcc_lo
	s_delay_alu instid0(SALU_CYCLE_1)
	s_xor_b32 s7, exec_lo, s7
	s_cbranch_execnz .LBB296_510
; %bb.192:
	s_and_not1_saveexec_b32 s7, s7
	s_cbranch_execnz .LBB296_511
.LBB296_193:
	s_or_b32 exec_lo, exec_lo, s7
	v_mov_b32_e32 v11, 0
	s_and_saveexec_b32 s7, s6
.LBB296_194:
	v_lshrrev_b32_e32 v2, 24, v2
	s_delay_alu instid0(VALU_DEP_1)
	v_and_or_b32 v11, 0x80, v2, v3
.LBB296_195:
	s_or_b32 exec_lo, exec_lo, s7
.LBB296_196:
	s_delay_alu instid0(SALU_CYCLE_1)
	s_or_b32 exec_lo, exec_lo, s5
.LBB296_197:
	s_delay_alu instid0(SALU_CYCLE_1)
	s_or_b32 exec_lo, exec_lo, s4
.LBB296_198:
	s_delay_alu instid0(SALU_CYCLE_1)
	s_or_b32 exec_lo, exec_lo, s3
                                        ; implicit-def: $vgpr8_vgpr9
.LBB296_199:
	s_and_not1_saveexec_b32 s1, s1
	s_cbranch_execz .LBB296_247
; %bb.200:
	s_mov_b32 s3, exec_lo
                                        ; implicit-def: $vgpr11
	v_cmpx_lt_i16_e32 1, v10
	s_xor_b32 s3, exec_lo, s3
	s_cbranch_execz .LBB296_228
; %bb.201:
	s_mov_b32 s4, exec_lo
                                        ; implicit-def: $vgpr11
	v_cmpx_lt_i16_e32 2, v10
	s_xor_b32 s4, exec_lo, s4
	;; [unrolled: 6-line block ×3, first 2 shown]
	s_cbranch_execz .LBB296_210
; %bb.203:
	flat_load_b64 v[2:3], v[8:9]
	s_mov_b32 s6, exec_lo
	s_wait_loadcnt_dscnt 0x101
	v_mov_b32_e32 v11, 0x80
	s_wait_loadcnt_dscnt 0x0
	v_xor_b32_e32 v4, v2, v3
	v_cls_i32_e32 v5, v3
	s_delay_alu instid0(VALU_DEP_2) | instskip(NEXT) | instid1(VALU_DEP_1)
	v_ashrrev_i32_e32 v4, 31, v4
	v_add_nc_u32_e32 v4, 32, v4
	s_delay_alu instid0(VALU_DEP_1) | instskip(NEXT) | instid1(VALU_DEP_1)
	v_add_min_u32_e64 v4, v5, -1, v4
	v_lshlrev_b64_e32 v[2:3], v4, v[2:3]
	s_delay_alu instid0(VALU_DEP_1) | instskip(NEXT) | instid1(VALU_DEP_1)
	v_min_u32_e32 v2, 1, v2
	v_dual_sub_nc_u32 v3, 32, v4 :: v_dual_bitop2_b32 v2, v3, v2 bitop3:0x54
	s_delay_alu instid0(VALU_DEP_1) | instskip(NEXT) | instid1(VALU_DEP_1)
	v_cvt_f32_i32_e32 v2, v2
	v_ldexp_f32 v2, v2, v3
	s_delay_alu instid0(VALU_DEP_1) | instskip(SKIP_1) | instid1(VALU_DEP_1)
	v_and_b32_e32 v3, 0x7fffffff, v2
	s_wait_xcnt 0x0
	v_cmpx_gt_u32_e32 0x43800000, v3
	s_cbranch_execz .LBB296_209
; %bb.204:
	v_cmp_lt_u32_e32 vcc_lo, 0x3bffffff, v3
	s_mov_b32 s7, 0
                                        ; implicit-def: $vgpr3
	s_and_saveexec_b32 s8, vcc_lo
	s_delay_alu instid0(SALU_CYCLE_1)
	s_xor_b32 s8, exec_lo, s8
	s_cbranch_execnz .LBB296_544
; %bb.205:
	s_and_not1_saveexec_b32 s8, s8
	s_cbranch_execnz .LBB296_545
.LBB296_206:
	s_or_b32 exec_lo, exec_lo, s8
	v_mov_b32_e32 v11, 0
	s_and_saveexec_b32 s8, s7
.LBB296_207:
	v_lshrrev_b32_e32 v2, 24, v2
	s_delay_alu instid0(VALU_DEP_1)
	v_and_or_b32 v11, 0x80, v2, v3
.LBB296_208:
	s_or_b32 exec_lo, exec_lo, s8
.LBB296_209:
	s_delay_alu instid0(SALU_CYCLE_1)
	s_or_b32 exec_lo, exec_lo, s6
                                        ; implicit-def: $vgpr8_vgpr9
.LBB296_210:
	s_and_not1_saveexec_b32 s5, s5
	s_cbranch_execz .LBB296_218
; %bb.211:
	flat_load_b32 v2, v[8:9]
	s_wait_loadcnt_dscnt 0x101
	v_mov_b32_e32 v11, 0x80
	s_mov_b32 s6, exec_lo
	s_wait_loadcnt_dscnt 0x0
	v_cvt_f32_i32_e32 v2, v2
	s_delay_alu instid0(VALU_DEP_1) | instskip(SKIP_1) | instid1(VALU_DEP_1)
	v_and_b32_e32 v3, 0x7fffffff, v2
	s_wait_xcnt 0x0
	v_cmpx_gt_u32_e32 0x43800000, v3
	s_cbranch_execz .LBB296_217
; %bb.212:
	v_cmp_lt_u32_e32 vcc_lo, 0x3bffffff, v3
	s_mov_b32 s7, 0
                                        ; implicit-def: $vgpr3
	s_and_saveexec_b32 s8, vcc_lo
	s_delay_alu instid0(SALU_CYCLE_1)
	s_xor_b32 s8, exec_lo, s8
	s_cbranch_execnz .LBB296_546
; %bb.213:
	s_and_not1_saveexec_b32 s8, s8
	s_cbranch_execnz .LBB296_547
.LBB296_214:
	s_or_b32 exec_lo, exec_lo, s8
	v_mov_b32_e32 v11, 0
	s_and_saveexec_b32 s8, s7
.LBB296_215:
	v_lshrrev_b32_e32 v2, 24, v2
	s_delay_alu instid0(VALU_DEP_1)
	v_and_or_b32 v11, 0x80, v2, v3
.LBB296_216:
	s_or_b32 exec_lo, exec_lo, s8
.LBB296_217:
	s_delay_alu instid0(SALU_CYCLE_1)
	s_or_b32 exec_lo, exec_lo, s6
.LBB296_218:
	s_delay_alu instid0(SALU_CYCLE_1)
	s_or_b32 exec_lo, exec_lo, s5
                                        ; implicit-def: $vgpr8_vgpr9
.LBB296_219:
	s_and_not1_saveexec_b32 s4, s4
	s_cbranch_execz .LBB296_227
; %bb.220:
	flat_load_i16 v2, v[8:9]
	s_wait_loadcnt_dscnt 0x101
	v_mov_b32_e32 v11, 0x80
	s_mov_b32 s5, exec_lo
	s_wait_loadcnt_dscnt 0x0
	v_cvt_f32_i32_e32 v2, v2
	s_delay_alu instid0(VALU_DEP_1) | instskip(SKIP_1) | instid1(VALU_DEP_1)
	v_and_b32_e32 v3, 0x7fffffff, v2
	s_wait_xcnt 0x0
	v_cmpx_gt_u32_e32 0x43800000, v3
	s_cbranch_execz .LBB296_226
; %bb.221:
	v_cmp_lt_u32_e32 vcc_lo, 0x3bffffff, v3
	s_mov_b32 s6, 0
                                        ; implicit-def: $vgpr3
	s_and_saveexec_b32 s7, vcc_lo
	s_delay_alu instid0(SALU_CYCLE_1)
	s_xor_b32 s7, exec_lo, s7
	s_cbranch_execnz .LBB296_512
; %bb.222:
	s_and_not1_saveexec_b32 s7, s7
	s_cbranch_execnz .LBB296_513
.LBB296_223:
	s_or_b32 exec_lo, exec_lo, s7
	v_mov_b32_e32 v11, 0
	s_and_saveexec_b32 s7, s6
.LBB296_224:
	v_lshrrev_b32_e32 v2, 24, v2
	s_delay_alu instid0(VALU_DEP_1)
	v_and_or_b32 v11, 0x80, v2, v3
.LBB296_225:
	s_or_b32 exec_lo, exec_lo, s7
.LBB296_226:
	s_delay_alu instid0(SALU_CYCLE_1)
	s_or_b32 exec_lo, exec_lo, s5
.LBB296_227:
	s_delay_alu instid0(SALU_CYCLE_1)
	s_or_b32 exec_lo, exec_lo, s4
                                        ; implicit-def: $vgpr8_vgpr9
.LBB296_228:
	s_and_not1_saveexec_b32 s3, s3
	s_cbranch_execz .LBB296_246
; %bb.229:
	s_mov_b32 s4, exec_lo
                                        ; implicit-def: $vgpr11
	v_cmpx_lt_i16_e32 0, v10
	s_xor_b32 s4, exec_lo, s4
	s_cbranch_execz .LBB296_237
; %bb.230:
	flat_load_i8 v2, v[8:9]
	s_wait_loadcnt_dscnt 0x101
	v_mov_b32_e32 v11, 0x80
	s_mov_b32 s5, exec_lo
	s_wait_loadcnt_dscnt 0x0
	v_cvt_f32_i32_e32 v2, v2
	s_delay_alu instid0(VALU_DEP_1) | instskip(SKIP_1) | instid1(VALU_DEP_1)
	v_and_b32_e32 v3, 0x7fffffff, v2
	s_wait_xcnt 0x0
	v_cmpx_gt_u32_e32 0x43800000, v3
	s_cbranch_execz .LBB296_236
; %bb.231:
	v_cmp_lt_u32_e32 vcc_lo, 0x3bffffff, v3
	s_mov_b32 s6, 0
                                        ; implicit-def: $vgpr3
	s_and_saveexec_b32 s7, vcc_lo
	s_delay_alu instid0(SALU_CYCLE_1)
	s_xor_b32 s7, exec_lo, s7
	s_cbranch_execnz .LBB296_514
; %bb.232:
	s_and_not1_saveexec_b32 s7, s7
	s_cbranch_execnz .LBB296_515
.LBB296_233:
	s_or_b32 exec_lo, exec_lo, s7
	v_mov_b32_e32 v11, 0
	s_and_saveexec_b32 s7, s6
.LBB296_234:
	v_lshrrev_b32_e32 v2, 24, v2
	s_delay_alu instid0(VALU_DEP_1)
	v_and_or_b32 v11, 0x80, v2, v3
.LBB296_235:
	s_or_b32 exec_lo, exec_lo, s7
.LBB296_236:
	s_delay_alu instid0(SALU_CYCLE_1)
	s_or_b32 exec_lo, exec_lo, s5
                                        ; implicit-def: $vgpr8_vgpr9
.LBB296_237:
	s_and_not1_saveexec_b32 s4, s4
	s_cbranch_execz .LBB296_245
; %bb.238:
	flat_load_u8 v2, v[8:9]
	s_wait_loadcnt_dscnt 0x101
	v_mov_b32_e32 v11, 0x80
	s_mov_b32 s5, exec_lo
	s_wait_loadcnt_dscnt 0x0
	v_cvt_f32_ubyte0_e32 v3, v2
	s_wait_xcnt 0x0
	s_delay_alu instid0(VALU_DEP_1)
	v_cmpx_gt_u32_e32 0x43800000, v3
	s_cbranch_execz .LBB296_244
; %bb.239:
	s_mov_b32 s6, 0
	s_mov_b32 s7, exec_lo
                                        ; implicit-def: $vgpr2
	v_cmpx_lt_u32_e32 0x3bffffff, v3
	s_xor_b32 s7, exec_lo, s7
	s_cbranch_execnz .LBB296_516
; %bb.240:
	s_and_not1_saveexec_b32 s7, s7
	s_cbranch_execnz .LBB296_517
.LBB296_241:
	s_or_b32 exec_lo, exec_lo, s7
	v_mov_b32_e32 v11, 0
	s_and_saveexec_b32 s7, s6
.LBB296_242:
	v_mov_b32_e32 v11, v2
.LBB296_243:
	s_or_b32 exec_lo, exec_lo, s7
.LBB296_244:
	s_delay_alu instid0(SALU_CYCLE_1)
	s_or_b32 exec_lo, exec_lo, s5
.LBB296_245:
	s_delay_alu instid0(SALU_CYCLE_1)
	s_or_b32 exec_lo, exec_lo, s4
.LBB296_246:
	s_delay_alu instid0(SALU_CYCLE_1)
	s_or_b32 exec_lo, exec_lo, s3
.LBB296_247:
	s_delay_alu instid0(SALU_CYCLE_1) | instskip(NEXT) | instid1(SALU_CYCLE_1)
	s_or_b32 exec_lo, exec_lo, s1
	s_or_b32 s2, s2, exec_lo
	s_or_b32 exec_lo, exec_lo, s0
                                        ; implicit-def: $sgpr1
	s_and_saveexec_b32 s0, s2
	s_cbranch_execz .LBB296_126
.LBB296_248:
	s_mov_b32 s2, exec_lo
                                        ; implicit-def: $sgpr1
	v_cmpx_ne_u32_e32 0, v0
	s_xor_b32 s2, exec_lo, s2
	s_cbranch_execz .LBB296_258
; %bb.249:
	s_wait_loadcnt_dscnt 0x0
	v_and_b32_e32 v2, 0xff, v1
	s_mov_b32 s1, 0
	s_mov_b32 s3, exec_lo
	s_delay_alu instid0(VALU_DEP_1)
	v_cmpx_lt_i16_e32 0x7f, v2
	s_xor_b32 s3, exec_lo, s3
	s_cbranch_execnz .LBB296_480
; %bb.250:
	s_or_saveexec_b32 s3, s3
	v_mov_b32_e32 v0, 0x7f800001
	s_xor_b32 exec_lo, exec_lo, s3
	s_cbranch_execnz .LBB296_483
.LBB296_251:
	s_or_b32 exec_lo, exec_lo, s3
	s_and_saveexec_b32 s3, s1
	s_cbranch_execz .LBB296_253
.LBB296_252:
	v_and_b32_e32 v0, 7, v1
	v_lshrrev_b16 v3, 3, v1
	s_delay_alu instid0(VALU_DEP_2) | instskip(NEXT) | instid1(VALU_DEP_1)
	v_clz_i32_u32_e32 v2, v0
	v_min_u32_e32 v2, 32, v2
	s_delay_alu instid0(VALU_DEP_3) | instskip(NEXT) | instid1(VALU_DEP_2)
	v_and_b32_e32 v3, 15, v3
	v_subrev_nc_u32_e32 v4, 28, v2
	v_sub_nc_u32_e32 v2, 29, v2
	s_delay_alu instid0(VALU_DEP_3) | instskip(NEXT) | instid1(VALU_DEP_3)
	v_cmp_eq_u32_e32 vcc_lo, 0, v3
	v_dual_lshlrev_b32 v4, v4, v1 :: v_dual_lshlrev_b32 v1, 24, v1
	s_delay_alu instid0(VALU_DEP_1) | instskip(NEXT) | instid1(VALU_DEP_2)
	v_dual_cndmask_b32 v2, v3, v2, vcc_lo :: v_dual_bitop2_b32 v4, 7, v4 bitop3:0x40
	v_and_b32_e32 v1, 0x80000000, v1
	s_delay_alu instid0(VALU_DEP_2) | instskip(NEXT) | instid1(VALU_DEP_3)
	v_cndmask_b32_e32 v0, v0, v4, vcc_lo
	v_lshl_add_u32 v2, v2, 23, 0x3b800000
	s_delay_alu instid0(VALU_DEP_2) | instskip(NEXT) | instid1(VALU_DEP_1)
	v_lshlrev_b32_e32 v0, 20, v0
	v_or3_b32 v0, v1, v2, v0
.LBB296_253:
	s_or_b32 exec_lo, exec_lo, s3
	v_and_b32_e32 v2, 0xff, v11
	s_mov_b32 s1, 0
	s_mov_b32 s3, exec_lo
	s_delay_alu instid0(VALU_DEP_1)
	v_cmpx_lt_i16_e32 0x7f, v2
	s_xor_b32 s3, exec_lo, s3
	s_cbranch_execnz .LBB296_484
; %bb.254:
	s_or_saveexec_b32 s3, s3
	v_mov_b32_e32 v1, 0x7f800001
	s_xor_b32 exec_lo, exec_lo, s3
	s_cbranch_execnz .LBB296_487
.LBB296_255:
	s_or_b32 exec_lo, exec_lo, s3
	s_and_saveexec_b32 s3, s1
	s_cbranch_execz .LBB296_257
.LBB296_256:
	v_and_b32_e32 v1, 7, v11
	v_lshrrev_b16 v3, 3, v11
	v_lshlrev_b32_e32 v5, 24, v11
	s_delay_alu instid0(VALU_DEP_3) | instskip(NEXT) | instid1(VALU_DEP_1)
	v_clz_i32_u32_e32 v2, v1
	v_min_u32_e32 v2, 32, v2
	s_delay_alu instid0(VALU_DEP_4) | instskip(NEXT) | instid1(VALU_DEP_2)
	v_and_b32_e32 v3, 15, v3
	v_subrev_nc_u32_e32 v4, 28, v2
	v_sub_nc_u32_e32 v2, 29, v2
	s_delay_alu instid0(VALU_DEP_3) | instskip(NEXT) | instid1(VALU_DEP_3)
	v_cmp_eq_u32_e32 vcc_lo, 0, v3
	v_lshlrev_b32_e32 v4, v4, v11
	s_delay_alu instid0(VALU_DEP_1) | instskip(SKIP_1) | instid1(VALU_DEP_2)
	v_dual_cndmask_b32 v2, v3, v2, vcc_lo :: v_dual_bitop2_b32 v4, 7, v4 bitop3:0x40
	v_and_b32_e32 v3, 0x80000000, v5
	v_cndmask_b32_e32 v1, v1, v4, vcc_lo
	s_delay_alu instid0(VALU_DEP_3) | instskip(NEXT) | instid1(VALU_DEP_2)
	v_lshl_add_u32 v2, v2, 23, 0x3b800000
	v_lshlrev_b32_e32 v1, 20, v1
	s_delay_alu instid0(VALU_DEP_1)
	v_or3_b32 v1, v3, v2, v1
.LBB296_257:
	s_or_b32 exec_lo, exec_lo, s3
	s_delay_alu instid0(VALU_DEP_1)
	v_cmp_neq_f32_e64 s1, v0, v1
                                        ; implicit-def: $vgpr11
                                        ; implicit-def: $vgpr1
.LBB296_258:
	s_and_not1_saveexec_b32 s2, s2
	s_cbranch_execz .LBB296_126
; %bb.259:
	s_wait_loadcnt_dscnt 0x0
	v_and_b32_e32 v2, 0xff, v1
	s_mov_b32 s2, 0
	s_mov_b32 s3, exec_lo
	s_delay_alu instid0(VALU_DEP_1)
	v_cmpx_lt_i16_e32 0x7f, v2
	s_xor_b32 s3, exec_lo, s3
	s_cbranch_execnz .LBB296_488
; %bb.260:
	s_or_saveexec_b32 s3, s3
	v_mov_b32_e32 v0, 0x7f800001
	s_xor_b32 exec_lo, exec_lo, s3
	s_cbranch_execnz .LBB296_491
.LBB296_261:
	s_or_b32 exec_lo, exec_lo, s3
	s_and_saveexec_b32 s3, s2
	s_cbranch_execz .LBB296_263
.LBB296_262:
	v_and_b32_e32 v0, 7, v1
	v_lshrrev_b16 v3, 3, v1
	s_delay_alu instid0(VALU_DEP_2) | instskip(NEXT) | instid1(VALU_DEP_1)
	v_clz_i32_u32_e32 v2, v0
	v_min_u32_e32 v2, 32, v2
	s_delay_alu instid0(VALU_DEP_3) | instskip(NEXT) | instid1(VALU_DEP_2)
	v_and_b32_e32 v3, 15, v3
	v_subrev_nc_u32_e32 v4, 28, v2
	v_sub_nc_u32_e32 v2, 29, v2
	s_delay_alu instid0(VALU_DEP_3) | instskip(NEXT) | instid1(VALU_DEP_3)
	v_cmp_eq_u32_e32 vcc_lo, 0, v3
	v_dual_lshlrev_b32 v4, v4, v1 :: v_dual_lshlrev_b32 v1, 24, v1
	s_delay_alu instid0(VALU_DEP_1) | instskip(NEXT) | instid1(VALU_DEP_2)
	v_dual_cndmask_b32 v2, v3, v2, vcc_lo :: v_dual_bitop2_b32 v4, 7, v4 bitop3:0x40
	v_and_b32_e32 v1, 0x80000000, v1
	s_delay_alu instid0(VALU_DEP_2) | instskip(NEXT) | instid1(VALU_DEP_3)
	v_cndmask_b32_e32 v0, v0, v4, vcc_lo
	v_lshl_add_u32 v2, v2, 23, 0x3b800000
	s_delay_alu instid0(VALU_DEP_2) | instskip(NEXT) | instid1(VALU_DEP_1)
	v_lshlrev_b32_e32 v0, 20, v0
	v_or3_b32 v0, v1, v2, v0
.LBB296_263:
	s_or_b32 exec_lo, exec_lo, s3
	v_and_b32_e32 v2, 0xff, v11
	s_mov_b32 s2, 0
	s_mov_b32 s3, exec_lo
	s_delay_alu instid0(VALU_DEP_1)
	v_cmpx_lt_i16_e32 0x7f, v2
	s_xor_b32 s3, exec_lo, s3
	s_cbranch_execnz .LBB296_492
; %bb.264:
	s_or_saveexec_b32 s3, s3
	v_mov_b32_e32 v1, 0x7f800001
	s_xor_b32 exec_lo, exec_lo, s3
	s_cbranch_execnz .LBB296_495
.LBB296_265:
	s_or_b32 exec_lo, exec_lo, s3
	s_and_saveexec_b32 s3, s2
	s_cbranch_execz .LBB296_267
.LBB296_266:
	v_and_b32_e32 v1, 7, v11
	v_lshrrev_b16 v3, 3, v11
	v_lshlrev_b32_e32 v5, 24, v11
	s_delay_alu instid0(VALU_DEP_3) | instskip(NEXT) | instid1(VALU_DEP_1)
	v_clz_i32_u32_e32 v2, v1
	v_min_u32_e32 v2, 32, v2
	s_delay_alu instid0(VALU_DEP_4) | instskip(NEXT) | instid1(VALU_DEP_2)
	v_and_b32_e32 v3, 15, v3
	v_subrev_nc_u32_e32 v4, 28, v2
	v_sub_nc_u32_e32 v2, 29, v2
	s_delay_alu instid0(VALU_DEP_3) | instskip(NEXT) | instid1(VALU_DEP_3)
	v_cmp_eq_u32_e32 vcc_lo, 0, v3
	v_lshlrev_b32_e32 v4, v4, v11
	s_delay_alu instid0(VALU_DEP_1) | instskip(SKIP_1) | instid1(VALU_DEP_2)
	v_dual_cndmask_b32 v2, v3, v2, vcc_lo :: v_dual_bitop2_b32 v4, 7, v4 bitop3:0x40
	v_and_b32_e32 v3, 0x80000000, v5
	v_cndmask_b32_e32 v1, v1, v4, vcc_lo
	s_delay_alu instid0(VALU_DEP_3) | instskip(NEXT) | instid1(VALU_DEP_2)
	v_lshl_add_u32 v2, v2, 23, 0x3b800000
	v_lshlrev_b32_e32 v1, 20, v1
	s_delay_alu instid0(VALU_DEP_1)
	v_or3_b32 v1, v3, v2, v1
.LBB296_267:
	s_or_b32 exec_lo, exec_lo, s3
	s_delay_alu instid0(VALU_DEP_1) | instskip(SKIP_2) | instid1(SALU_CYCLE_1)
	v_cmp_eq_f32_e32 vcc_lo, v0, v1
	s_and_not1_b32 s1, s1, exec_lo
	s_and_b32 s2, vcc_lo, exec_lo
	s_or_b32 s1, s1, s2
	s_or_b32 exec_lo, exec_lo, s0
	v_cndmask_b32_e64 v0, 0, 1, s1
	s_set_pc_i64 s[30:31]
.LBB296_268:
	s_mov_b32 s5, 0
	s_mov_b32 s2, exec_lo
                                        ; implicit-def: $vgpr1
	v_cmpx_lt_i16_e32 28, v10
	s_xor_b32 s2, exec_lo, s2
	s_cbranch_execz .LBB296_302
; %bb.269:
	s_mov_b32 s6, 0
	s_mov_b32 s7, 0
	s_mov_b32 s4, exec_lo
                                        ; implicit-def: $vgpr1
	v_cmpx_lt_i16_e32 43, v10
	s_xor_b32 s4, exec_lo, s4
	s_cbranch_execz .LBB296_291
; %bb.270:
	s_mov_b32 s7, exec_lo
                                        ; implicit-def: $vgpr1
	v_cmpx_lt_i16_e32 45, v10
	s_xor_b32 s7, exec_lo, s7
	s_cbranch_execz .LBB296_280
; %bb.271:
	s_mov_b32 s8, -1
	s_mov_b32 s5, exec_lo
                                        ; implicit-def: $vgpr1
	v_cmpx_eq_u16_e32 46, v10
	s_cbranch_execz .LBB296_279
; %bb.272:
	flat_load_b32 v1, v[8:9]
	s_mov_b32 s6, exec_lo
	s_wait_loadcnt_dscnt 0x0
	v_dual_mov_b32 v1, 0x80 :: v_dual_lshlrev_b32 v10, 16, v1
	s_delay_alu instid0(VALU_DEP_1) | instskip(SKIP_1) | instid1(VALU_DEP_1)
	v_and_b32_e32 v11, 0x7fffffff, v10
	s_wait_xcnt 0x0
	v_cmpx_gt_u32_e32 0x43800000, v11
	s_cbranch_execz .LBB296_278
; %bb.273:
	v_cmp_lt_u32_e32 vcc_lo, 0x3bffffff, v11
	s_mov_b32 s8, 0
                                        ; implicit-def: $vgpr11
	s_and_saveexec_b32 s9, vcc_lo
	s_delay_alu instid0(SALU_CYCLE_1)
	s_xor_b32 s9, exec_lo, s9
	s_cbranch_execnz .LBB296_566
; %bb.274:
	s_and_not1_saveexec_b32 s9, s9
	s_cbranch_execnz .LBB296_567
.LBB296_275:
	s_or_b32 exec_lo, exec_lo, s9
	v_mov_b32_e32 v1, 0
	s_and_saveexec_b32 s9, s8
.LBB296_276:
	v_lshrrev_b32_e32 v1, 24, v10
	s_delay_alu instid0(VALU_DEP_1)
	v_and_or_b32 v1, 0x80, v1, v11
.LBB296_277:
	s_or_b32 exec_lo, exec_lo, s9
.LBB296_278:
	s_delay_alu instid0(SALU_CYCLE_1) | instskip(NEXT) | instid1(SALU_CYCLE_1)
	s_or_b32 exec_lo, exec_lo, s6
	s_mov_b32 s6, exec_lo
	s_xor_b32 s8, exec_lo, -1
.LBB296_279:
	s_or_b32 exec_lo, exec_lo, s5
	s_delay_alu instid0(SALU_CYCLE_1)
	s_and_b32 s6, s6, exec_lo
	s_and_b32 s5, s8, exec_lo
                                        ; implicit-def: $vgpr10
.LBB296_280:
	s_and_not1_saveexec_b32 s7, s7
	s_cbranch_execz .LBB296_290
; %bb.281:
	s_mov_b32 s9, -1
	s_mov_b32 s10, s6
	s_mov_b32 s8, exec_lo
                                        ; implicit-def: $vgpr1
	v_cmpx_eq_u16_e32 44, v10
	s_cbranch_execz .LBB296_289
; %bb.282:
	flat_load_u8 v1, v[8:9]
	s_mov_b32 s10, 0
	s_mov_b32 s9, exec_lo
	s_wait_loadcnt_dscnt 0x0
	v_lshlrev_b32_e32 v10, 23, v1
	v_cmp_ne_u32_e32 vcc_lo, 0xff, v1
	s_delay_alu instid0(VALU_DEP_2) | instskip(SKIP_2) | instid1(VALU_DEP_3)
	v_cndmask_b32_e32 v10, 0x7f800001, v10, vcc_lo
	v_cmp_ne_u32_e32 vcc_lo, 0, v1
	v_mov_b32_e32 v1, 0x80
	v_cndmask_b32_e32 v11, 0x400000, v10, vcc_lo
	s_wait_xcnt 0x0
	s_delay_alu instid0(VALU_DEP_1)
	v_cmpx_gt_u32_e32 0x43800000, v11
	s_cbranch_execz .LBB296_288
; %bb.283:
	s_mov_b32 s11, exec_lo
                                        ; implicit-def: $vgpr10
	v_cmpx_lt_u32_e32 0x3bffffff, v11
	s_xor_b32 s11, exec_lo, s11
	s_cbranch_execnz .LBB296_568
; %bb.284:
	s_and_not1_saveexec_b32 s11, s11
	s_cbranch_execnz .LBB296_569
.LBB296_285:
	s_or_b32 exec_lo, exec_lo, s11
	v_mov_b32_e32 v1, 0
	s_and_saveexec_b32 s11, s10
.LBB296_286:
	v_mov_b32_e32 v1, v10
.LBB296_287:
	s_or_b32 exec_lo, exec_lo, s11
.LBB296_288:
	s_delay_alu instid0(SALU_CYCLE_1) | instskip(NEXT) | instid1(SALU_CYCLE_1)
	s_or_b32 exec_lo, exec_lo, s9
	s_or_b32 s10, s6, exec_lo
	s_xor_b32 s9, exec_lo, -1
.LBB296_289:
	s_or_b32 exec_lo, exec_lo, s8
	s_delay_alu instid0(SALU_CYCLE_1)
	s_and_not1_b32 s6, s6, exec_lo
	s_and_b32 s8, s10, exec_lo
	s_and_not1_b32 s5, s5, exec_lo
	s_and_b32 s9, s9, exec_lo
	s_or_b32 s6, s6, s8
	s_or_b32 s5, s5, s9
.LBB296_290:
	s_or_b32 exec_lo, exec_lo, s7
	s_delay_alu instid0(SALU_CYCLE_1)
	s_and_b32 s7, s6, exec_lo
	s_and_b32 s6, s5, exec_lo
                                        ; implicit-def: $vgpr10
.LBB296_291:
	s_and_not1_saveexec_b32 s4, s4
	s_cbranch_execz .LBB296_301
; %bb.292:
	s_mov_b32 s8, -1
	s_mov_b32 s9, s7
	s_mov_b32 s5, exec_lo
                                        ; implicit-def: $vgpr1
	v_cmpx_eq_u16_e32 29, v10
	s_cbranch_execz .LBB296_300
; %bb.293:
	flat_load_b64 v[10:11], v[8:9]
	s_mov_b32 s8, exec_lo
	s_wait_loadcnt_dscnt 0x0
	v_clz_i32_u32_e32 v1, v11
	s_delay_alu instid0(VALU_DEP_1) | instskip(NEXT) | instid1(VALU_DEP_1)
	v_min_u32_e32 v1, 32, v1
	v_lshlrev_b64_e32 v[10:11], v1, v[10:11]
	v_sub_nc_u32_e32 v1, 32, v1
	s_delay_alu instid0(VALU_DEP_2) | instskip(NEXT) | instid1(VALU_DEP_1)
	v_min_u32_e32 v10, 1, v10
	v_or_b32_e32 v10, v11, v10
	s_delay_alu instid0(VALU_DEP_1) | instskip(NEXT) | instid1(VALU_DEP_1)
	v_cvt_f32_u32_e32 v10, v10
	v_ldexp_f32 v11, v10, v1
	v_mov_b32_e32 v1, 0x80
	s_wait_xcnt 0x0
	s_delay_alu instid0(VALU_DEP_2)
	v_cmpx_gt_u32_e32 0x43800000, v11
	s_cbranch_execz .LBB296_299
; %bb.294:
	s_mov_b32 s9, 0
	s_mov_b32 s10, exec_lo
                                        ; implicit-def: $vgpr10
	v_cmpx_lt_u32_e32 0x3bffffff, v11
	s_xor_b32 s10, exec_lo, s10
	s_cbranch_execnz .LBB296_548
; %bb.295:
	s_and_not1_saveexec_b32 s10, s10
	s_cbranch_execnz .LBB296_549
.LBB296_296:
	s_or_b32 exec_lo, exec_lo, s10
	v_mov_b32_e32 v1, 0
	s_and_saveexec_b32 s10, s9
.LBB296_297:
	v_mov_b32_e32 v1, v10
.LBB296_298:
	s_or_b32 exec_lo, exec_lo, s10
.LBB296_299:
	s_delay_alu instid0(SALU_CYCLE_1) | instskip(NEXT) | instid1(SALU_CYCLE_1)
	s_or_b32 exec_lo, exec_lo, s8
	s_or_b32 s9, s7, exec_lo
	s_xor_b32 s8, exec_lo, -1
.LBB296_300:
	s_or_b32 exec_lo, exec_lo, s5
	s_delay_alu instid0(SALU_CYCLE_1)
	s_and_not1_b32 s5, s7, exec_lo
	s_and_b32 s7, s9, exec_lo
	s_and_not1_b32 s6, s6, exec_lo
	s_and_b32 s8, s8, exec_lo
	s_or_b32 s7, s5, s7
	s_or_b32 s6, s6, s8
.LBB296_301:
	s_or_b32 exec_lo, exec_lo, s4
	s_delay_alu instid0(SALU_CYCLE_1)
	s_and_b32 s5, s7, exec_lo
	s_and_b32 s4, s6, exec_lo
                                        ; implicit-def: $vgpr10
.LBB296_302:
	s_and_not1_saveexec_b32 s2, s2
	s_cbranch_execz .LBB296_324
; %bb.303:
	s_mov_b32 s6, exec_lo
                                        ; implicit-def: $vgpr1
	v_cmpx_lt_i16_e32 26, v10
	s_xor_b32 s6, exec_lo, s6
	s_cbranch_execz .LBB296_321
; %bb.304:
	s_mov_b32 s7, exec_lo
                                        ; implicit-def: $vgpr1
	v_cmpx_lt_i16_e32 27, v10
	s_xor_b32 s7, exec_lo, s7
	s_cbranch_execz .LBB296_312
; %bb.305:
	flat_load_b32 v1, v[8:9]
	s_mov_b32 s8, exec_lo
	s_wait_loadcnt_dscnt 0x0
	v_cvt_f32_u32_e32 v11, v1
	v_mov_b32_e32 v1, 0x80
	s_wait_xcnt 0x0
	s_delay_alu instid0(VALU_DEP_2)
	v_cmpx_gt_u32_e32 0x43800000, v11
	s_cbranch_execz .LBB296_311
; %bb.306:
	s_mov_b32 s9, 0
	s_mov_b32 s10, exec_lo
                                        ; implicit-def: $vgpr10
	v_cmpx_lt_u32_e32 0x3bffffff, v11
	s_xor_b32 s10, exec_lo, s10
	s_cbranch_execnz .LBB296_550
; %bb.307:
	s_and_not1_saveexec_b32 s10, s10
	s_cbranch_execnz .LBB296_551
.LBB296_308:
	s_or_b32 exec_lo, exec_lo, s10
	v_mov_b32_e32 v1, 0
	s_and_saveexec_b32 s10, s9
.LBB296_309:
	v_mov_b32_e32 v1, v10
.LBB296_310:
	s_or_b32 exec_lo, exec_lo, s10
.LBB296_311:
	s_delay_alu instid0(SALU_CYCLE_1)
	s_or_b32 exec_lo, exec_lo, s8
.LBB296_312:
	s_and_not1_saveexec_b32 s7, s7
	s_cbranch_execz .LBB296_320
; %bb.313:
	flat_load_u16 v1, v[8:9]
	s_mov_b32 s8, exec_lo
	s_wait_loadcnt_dscnt 0x0
	v_cvt_f32_u32_e32 v11, v1
	v_mov_b32_e32 v1, 0x80
	s_wait_xcnt 0x0
	s_delay_alu instid0(VALU_DEP_2)
	v_cmpx_gt_u32_e32 0x43800000, v11
	s_cbranch_execz .LBB296_319
; %bb.314:
	s_mov_b32 s9, 0
	s_mov_b32 s10, exec_lo
                                        ; implicit-def: $vgpr10
	v_cmpx_lt_u32_e32 0x3bffffff, v11
	s_xor_b32 s10, exec_lo, s10
	s_cbranch_execnz .LBB296_552
; %bb.315:
	s_and_not1_saveexec_b32 s10, s10
	s_cbranch_execnz .LBB296_553
.LBB296_316:
	s_or_b32 exec_lo, exec_lo, s10
	v_mov_b32_e32 v1, 0
	s_and_saveexec_b32 s10, s9
.LBB296_317:
	v_mov_b32_e32 v1, v10
.LBB296_318:
	s_or_b32 exec_lo, exec_lo, s10
.LBB296_319:
	s_delay_alu instid0(SALU_CYCLE_1)
	s_or_b32 exec_lo, exec_lo, s8
.LBB296_320:
	s_delay_alu instid0(SALU_CYCLE_1)
	s_or_b32 exec_lo, exec_lo, s7
.LBB296_321:
	s_and_not1_saveexec_b32 s6, s6
	s_cbranch_execz .LBB296_323
; %bb.322:
	flat_load_u8 v1, v[8:9]
.LBB296_323:
	s_wait_xcnt 0x0
	s_or_b32 exec_lo, exec_lo, s6
	s_delay_alu instid0(SALU_CYCLE_1)
	s_or_b32 s5, s5, exec_lo
.LBB296_324:
	s_or_b32 exec_lo, exec_lo, s2
	s_delay_alu instid0(SALU_CYCLE_1)
	s_and_b32 s2, s5, exec_lo
	s_and_b32 s4, s4, exec_lo
                                        ; implicit-def: $vgpr10
	s_and_not1_saveexec_b32 s3, s3
	s_cbranch_execz .LBB296_3
.LBB296_325:
	s_mov_b32 s5, s2
	s_mov_b32 s0, exec_lo
                                        ; implicit-def: $vgpr1
	v_cmpx_lt_i16_e32 22, v10
	s_xor_b32 s0, exec_lo, s0
	s_cbranch_execz .LBB296_357
; %bb.326:
	s_mov_b32 s5, exec_lo
                                        ; implicit-def: $vgpr1
	v_cmpx_lt_i16_e32 23, v10
	s_xor_b32 s5, exec_lo, s5
	s_cbranch_execz .LBB296_348
; %bb.327:
	;; [unrolled: 6-line block ×3, first 2 shown]
	s_wait_loadcnt_dscnt 0x0
	flat_load_u8 v1, v[8:9]
	s_mov_b32 s7, 0
	s_mov_b32 s8, exec_lo
	s_wait_loadcnt_dscnt 0x0
	v_cmpx_lt_i16_e32 0x7f, v1
	s_xor_b32 s8, exec_lo, s8
	s_cbranch_execnz .LBB296_518
; %bb.329:
	s_or_saveexec_b32 s8, s8
	v_mov_b32_e32 v10, 0x7f800001
	s_xor_b32 exec_lo, exec_lo, s8
	s_cbranch_execnz .LBB296_521
.LBB296_330:
	s_or_b32 exec_lo, exec_lo, s8
	s_and_saveexec_b32 s8, s7
	s_cbranch_execz .LBB296_332
.LBB296_331:
	v_and_b32_e32 v10, 0xffff, v1
	s_delay_alu instid0(VALU_DEP_1) | instskip(SKIP_1) | instid1(VALU_DEP_2)
	v_and_b32_e32 v11, 3, v10
	v_bfe_u32 v14, v10, 2, 5
	v_clz_i32_u32_e32 v12, v11
	s_delay_alu instid0(VALU_DEP_2) | instskip(NEXT) | instid1(VALU_DEP_2)
	v_cmp_eq_u32_e32 vcc_lo, 0, v14
	v_min_u32_e32 v12, 32, v12
	s_delay_alu instid0(VALU_DEP_1) | instskip(NEXT) | instid1(VALU_DEP_1)
	v_subrev_nc_u32_e32 v13, 29, v12
	v_dual_lshlrev_b32 v10, v13, v10 :: v_dual_sub_nc_u32 v12, 30, v12
	s_delay_alu instid0(VALU_DEP_1) | instskip(NEXT) | instid1(VALU_DEP_1)
	v_dual_lshlrev_b32 v1, 24, v1 :: v_dual_bitop2_b32 v10, 3, v10 bitop3:0x40
	v_dual_cndmask_b32 v12, v14, v12, vcc_lo :: v_dual_cndmask_b32 v10, v11, v10, vcc_lo
	s_delay_alu instid0(VALU_DEP_2) | instskip(NEXT) | instid1(VALU_DEP_2)
	v_and_b32_e32 v1, 0x80000000, v1
	v_lshl_add_u32 v11, v12, 23, 0x37800000
	s_delay_alu instid0(VALU_DEP_3) | instskip(NEXT) | instid1(VALU_DEP_1)
	v_lshlrev_b32_e32 v10, 21, v10
	v_or3_b32 v10, v1, v11, v10
.LBB296_332:
	s_or_b32 exec_lo, exec_lo, s8
	s_delay_alu instid0(VALU_DEP_1) | instskip(SKIP_2) | instid1(VALU_DEP_2)
	v_and_b32_e32 v11, 0x7fffffff, v10
	v_mov_b32_e32 v1, 0x80
	s_mov_b32 s7, exec_lo
	v_cmpx_gt_u32_e32 0x43800000, v11
	s_cbranch_execz .LBB296_338
; %bb.333:
	v_cmp_lt_u32_e32 vcc_lo, 0x3bffffff, v11
	s_mov_b32 s8, 0
                                        ; implicit-def: $vgpr11
	s_and_saveexec_b32 s9, vcc_lo
	s_delay_alu instid0(SALU_CYCLE_1)
	s_xor_b32 s9, exec_lo, s9
	s_cbranch_execnz .LBB296_554
; %bb.334:
	s_and_not1_saveexec_b32 s9, s9
	s_cbranch_execnz .LBB296_555
.LBB296_335:
	s_or_b32 exec_lo, exec_lo, s9
	v_mov_b32_e32 v1, 0
	s_and_saveexec_b32 s9, s8
.LBB296_336:
	v_lshrrev_b32_e32 v1, 24, v10
	s_delay_alu instid0(VALU_DEP_1)
	v_and_or_b32 v1, 0x80, v1, v11
.LBB296_337:
	s_or_b32 exec_lo, exec_lo, s9
.LBB296_338:
	s_delay_alu instid0(SALU_CYCLE_1)
	s_or_b32 exec_lo, exec_lo, s7
.LBB296_339:
	s_and_not1_saveexec_b32 s6, s6
	s_cbranch_execz .LBB296_347
; %bb.340:
	s_wait_loadcnt_dscnt 0x0
	flat_load_u8 v1, v[8:9]
	s_mov_b32 s8, 0
	s_mov_b32 s7, exec_lo
	s_wait_loadcnt_dscnt 0x0
	v_lshlrev_b32_e32 v1, 24, v1
	s_delay_alu instid0(VALU_DEP_1) | instskip(NEXT) | instid1(VALU_DEP_1)
	v_and_b32_e32 v10, 0x7f000000, v1
	v_clz_i32_u32_e32 v11, v10
	v_cmp_ne_u32_e32 vcc_lo, 0, v10
	v_add_nc_u32_e32 v13, 0x1000000, v10
	s_delay_alu instid0(VALU_DEP_3) | instskip(NEXT) | instid1(VALU_DEP_1)
	v_min_u32_e32 v11, 32, v11
	v_sub_nc_u32_e64 v11, v11, 4 clamp
	s_delay_alu instid0(VALU_DEP_1) | instskip(NEXT) | instid1(VALU_DEP_1)
	v_dual_lshlrev_b32 v12, v11, v10 :: v_dual_lshlrev_b32 v11, 23, v11
	v_lshrrev_b32_e32 v12, 4, v12
	s_delay_alu instid0(VALU_DEP_1) | instskip(NEXT) | instid1(VALU_DEP_1)
	v_dual_sub_nc_u32 v11, v12, v11 :: v_dual_ashrrev_i32 v12, 8, v13
	v_add_nc_u32_e32 v11, 0x3c000000, v11
	s_delay_alu instid0(VALU_DEP_1) | instskip(NEXT) | instid1(VALU_DEP_1)
	v_and_or_b32 v11, 0x7f800000, v12, v11
	v_cndmask_b32_e32 v12, 0, v11, vcc_lo
	s_delay_alu instid0(VALU_DEP_1) | instskip(SKIP_1) | instid1(VALU_DEP_2)
	v_and_or_b32 v10, 0x80000000, v1, v12
	v_mov_b32_e32 v1, 0x80
	v_and_b32_e32 v11, 0x7fffffff, v10
	s_wait_xcnt 0x0
	s_delay_alu instid0(VALU_DEP_1)
	v_cmpx_gt_u32_e32 0x43800000, v11
	s_cbranch_execz .LBB296_346
; %bb.341:
	v_cmp_lt_u32_e32 vcc_lo, 0x3bffffff, v11
                                        ; implicit-def: $vgpr11
	s_and_saveexec_b32 s9, vcc_lo
	s_delay_alu instid0(SALU_CYCLE_1)
	s_xor_b32 s9, exec_lo, s9
	s_cbranch_execnz .LBB296_556
; %bb.342:
	s_and_not1_saveexec_b32 s9, s9
	s_cbranch_execnz .LBB296_557
.LBB296_343:
	s_or_b32 exec_lo, exec_lo, s9
	v_mov_b32_e32 v1, 0
	s_and_saveexec_b32 s9, s8
.LBB296_344:
	v_lshrrev_b32_e32 v1, 24, v10
	s_delay_alu instid0(VALU_DEP_1)
	v_and_or_b32 v1, 0x80, v1, v11
.LBB296_345:
	s_or_b32 exec_lo, exec_lo, s9
.LBB296_346:
	s_delay_alu instid0(SALU_CYCLE_1)
	s_or_b32 exec_lo, exec_lo, s7
.LBB296_347:
	s_delay_alu instid0(SALU_CYCLE_1)
	s_or_b32 exec_lo, exec_lo, s6
.LBB296_348:
	s_and_not1_saveexec_b32 s5, s5
	s_cbranch_execz .LBB296_356
; %bb.349:
	s_wait_loadcnt_dscnt 0x0
	flat_load_u8 v1, v[8:9]
	s_mov_b32 s6, exec_lo
	s_wait_loadcnt_dscnt 0x0
	v_lshlrev_b32_e32 v10, 25, v1
	v_lshlrev_b16 v1, 8, v1
	s_delay_alu instid0(VALU_DEP_1) | instskip(SKIP_1) | instid1(VALU_DEP_2)
	v_and_or_b32 v12, 0x7f00, v1, 0.5
	v_bfe_i32 v1, v1, 0, 16
	v_dual_add_f32 v12, -0.5, v12 :: v_dual_lshrrev_b32 v11, 4, v10
	v_cmp_gt_u32_e32 vcc_lo, 0x8000000, v10
	s_delay_alu instid0(VALU_DEP_2) | instskip(NEXT) | instid1(VALU_DEP_1)
	v_or_b32_e32 v11, 0x70000000, v11
	v_mul_f32_e32 v11, 0x7800000, v11
	s_delay_alu instid0(VALU_DEP_1) | instskip(NEXT) | instid1(VALU_DEP_1)
	v_cndmask_b32_e32 v12, v11, v12, vcc_lo
	v_and_or_b32 v10, 0x80000000, v1, v12
	v_mov_b32_e32 v1, 0x80
	s_delay_alu instid0(VALU_DEP_2) | instskip(SKIP_1) | instid1(VALU_DEP_1)
	v_and_b32_e32 v11, 0x7fffffff, v10
	s_wait_xcnt 0x0
	v_cmpx_gt_u32_e32 0x43800000, v11
	s_cbranch_execz .LBB296_355
; %bb.350:
	v_cmp_lt_u32_e32 vcc_lo, 0x3bffffff, v11
	s_mov_b32 s7, 0
                                        ; implicit-def: $vgpr11
	s_and_saveexec_b32 s8, vcc_lo
	s_delay_alu instid0(SALU_CYCLE_1)
	s_xor_b32 s8, exec_lo, s8
	s_cbranch_execnz .LBB296_522
; %bb.351:
	s_and_not1_saveexec_b32 s8, s8
	s_cbranch_execnz .LBB296_523
.LBB296_352:
	s_or_b32 exec_lo, exec_lo, s8
	v_mov_b32_e32 v1, 0
	s_and_saveexec_b32 s8, s7
.LBB296_353:
	v_lshrrev_b32_e32 v1, 24, v10
	s_delay_alu instid0(VALU_DEP_1)
	v_and_or_b32 v1, 0x80, v1, v11
.LBB296_354:
	s_or_b32 exec_lo, exec_lo, s8
.LBB296_355:
	s_delay_alu instid0(SALU_CYCLE_1)
	s_or_b32 exec_lo, exec_lo, s6
.LBB296_356:
	s_delay_alu instid0(SALU_CYCLE_1) | instskip(NEXT) | instid1(SALU_CYCLE_1)
	s_or_b32 exec_lo, exec_lo, s5
	s_or_b32 s5, s2, exec_lo
                                        ; implicit-def: $vgpr10
.LBB296_357:
	s_or_saveexec_b32 s0, s0
	s_mov_b32 s6, 0
	s_mov_b32 s7, s4
	s_xor_b32 exec_lo, exec_lo, s0
	s_cbranch_execz .LBB296_371
; %bb.358:
	s_mov_b32 s7, s4
	s_mov_b32 s8, s5
	s_mov_b32 s6, exec_lo
                                        ; implicit-def: $vgpr1
	v_cmpx_lt_i16_e32 14, v10
	s_xor_b32 s6, exec_lo, s6
	s_cbranch_execz .LBB296_368
; %bb.359:
	s_mov_b32 s8, -1
	s_mov_b32 s9, s5
	s_mov_b32 s7, exec_lo
                                        ; implicit-def: $vgpr1
	v_cmpx_eq_u16_e32 15, v10
	s_cbranch_execz .LBB296_367
; %bb.360:
	flat_load_u16 v10, v[8:9]
	s_mov_b32 s8, exec_lo
	s_wait_loadcnt_dscnt 0x0
	v_dual_mov_b32 v1, 0x80 :: v_dual_lshlrev_b32 v12, 16, v10
	s_delay_alu instid0(VALU_DEP_1) | instskip(SKIP_1) | instid1(VALU_DEP_1)
	v_and_b32_e32 v11, 0x7fffffff, v12
	s_wait_xcnt 0x0
	v_cmpx_gt_u32_e32 0x43800000, v11
	s_cbranch_execz .LBB296_366
; %bb.361:
	v_cmp_lt_u32_e32 vcc_lo, 0x3bffffff, v11
	s_mov_b32 s9, 0
                                        ; implicit-def: $vgpr11
	s_and_saveexec_b32 s10, vcc_lo
	s_delay_alu instid0(SALU_CYCLE_1)
	s_xor_b32 s10, exec_lo, s10
	s_cbranch_execnz .LBB296_558
; %bb.362:
	s_and_not1_saveexec_b32 s10, s10
	s_cbranch_execnz .LBB296_559
.LBB296_363:
	s_or_b32 exec_lo, exec_lo, s10
	v_mov_b32_e32 v1, 0
	s_and_saveexec_b32 s10, s9
.LBB296_364:
	v_lshrrev_b32_e32 v1, 8, v10
	s_delay_alu instid0(VALU_DEP_1)
	v_and_or_b32 v1, 0x80, v1, v11
.LBB296_365:
	s_or_b32 exec_lo, exec_lo, s10
.LBB296_366:
	s_delay_alu instid0(SALU_CYCLE_1) | instskip(NEXT) | instid1(SALU_CYCLE_1)
	s_or_b32 exec_lo, exec_lo, s8
	s_or_b32 s9, s5, exec_lo
	s_xor_b32 s8, exec_lo, -1
.LBB296_367:
	s_or_b32 exec_lo, exec_lo, s7
	s_delay_alu instid0(SALU_CYCLE_1)
	s_and_not1_b32 s7, s5, exec_lo
	s_and_b32 s9, s9, exec_lo
	s_and_not1_b32 s10, s4, exec_lo
	s_and_b32 s11, s8, exec_lo
	s_or_b32 s8, s7, s9
	s_or_b32 s7, s10, s11
                                        ; implicit-def: $vgpr10
.LBB296_368:
	s_or_saveexec_b32 s6, s6
	s_mov_b32 s9, 0
	s_xor_b32 exec_lo, exec_lo, s6
; %bb.369:
	v_cmp_ne_u16_e32 vcc_lo, 11, v10
	s_and_not1_b32 s7, s7, exec_lo
	s_mov_b32 s9, exec_lo
	s_and_b32 s10, vcc_lo, exec_lo
	s_delay_alu instid0(SALU_CYCLE_1)
	s_or_b32 s7, s7, s10
; %bb.370:
	s_or_b32 exec_lo, exec_lo, s6
	s_delay_alu instid0(SALU_CYCLE_1)
	s_and_not1_b32 s5, s5, exec_lo
	s_and_b32 s6, s8, exec_lo
	s_and_not1_b32 s8, s4, exec_lo
	s_and_b32 s7, s7, exec_lo
	s_or_b32 s5, s5, s6
	s_and_b32 s6, s9, exec_lo
	s_or_b32 s7, s8, s7
.LBB296_371:
	s_or_b32 exec_lo, exec_lo, s0
	s_delay_alu instid0(SALU_CYCLE_1)
	s_and_not1_b32 s0, s2, exec_lo
	s_and_b32 s2, s5, exec_lo
	s_and_not1_b32 s4, s4, exec_lo
	s_and_b32 s5, s7, exec_lo
	s_or_b32 s2, s0, s2
	s_and_b32 s0, s6, exec_lo
	s_or_b32 s4, s4, s5
	s_or_b32 exec_lo, exec_lo, s3
	s_mov_b32 s3, 0
	s_and_saveexec_b32 s5, s4
	s_cbranch_execz .LBB296_4
.LBB296_372:
	s_mov_b32 s3, exec_lo
	s_and_not1_b32 s0, s0, exec_lo
	s_trap 2
	s_or_b32 exec_lo, exec_lo, s5
	s_and_saveexec_b32 s4, s0
	s_delay_alu instid0(SALU_CYCLE_1)
	s_xor_b32 s0, exec_lo, s4
	s_cbranch_execnz .LBB296_5
	s_branch .LBB296_12
.LBB296_373:
	s_mov_b32 s7, 0
	s_mov_b32 s5, exec_lo
                                        ; implicit-def: $vgpr11
	v_cmpx_lt_i16_e32 28, v10
	s_xor_b32 s5, exec_lo, s5
	s_cbranch_execz .LBB296_407
; %bb.374:
	s_mov_b32 s8, 0
	s_mov_b32 s9, 0
	s_mov_b32 s6, exec_lo
                                        ; implicit-def: $vgpr11
	v_cmpx_lt_i16_e32 43, v10
	s_xor_b32 s6, exec_lo, s6
	s_cbranch_execz .LBB296_396
; %bb.375:
	s_mov_b32 s9, exec_lo
                                        ; implicit-def: $vgpr11
	v_cmpx_lt_i16_e32 45, v10
	s_xor_b32 s9, exec_lo, s9
	s_cbranch_execz .LBB296_385
; %bb.376:
	s_mov_b32 s10, -1
	s_mov_b32 s7, exec_lo
                                        ; implicit-def: $vgpr11
	v_cmpx_eq_u16_e32 46, v10
	s_cbranch_execz .LBB296_384
; %bb.377:
	flat_load_b32 v2, v[8:9]
	s_mov_b32 s8, exec_lo
	s_wait_loadcnt_dscnt 0x0
	v_dual_mov_b32 v11, 0x80 :: v_dual_lshlrev_b32 v2, 16, v2
	s_delay_alu instid0(VALU_DEP_1) | instskip(SKIP_1) | instid1(VALU_DEP_1)
	v_and_b32_e32 v3, 0x7fffffff, v2
	s_wait_xcnt 0x0
	v_cmpx_gt_u32_e32 0x43800000, v3
	s_cbranch_execz .LBB296_383
; %bb.378:
	v_cmp_lt_u32_e32 vcc_lo, 0x3bffffff, v3
	s_mov_b32 s10, 0
                                        ; implicit-def: $vgpr3
	s_and_saveexec_b32 s11, vcc_lo
	s_delay_alu instid0(SALU_CYCLE_1)
	s_xor_b32 s11, exec_lo, s11
	s_cbranch_execnz .LBB296_582
; %bb.379:
	s_and_not1_saveexec_b32 s11, s11
	s_cbranch_execnz .LBB296_583
.LBB296_380:
	s_or_b32 exec_lo, exec_lo, s11
	v_mov_b32_e32 v11, 0
	s_and_saveexec_b32 s11, s10
.LBB296_381:
	v_lshrrev_b32_e32 v2, 24, v2
	s_delay_alu instid0(VALU_DEP_1)
	v_and_or_b32 v11, 0x80, v2, v3
.LBB296_382:
	s_or_b32 exec_lo, exec_lo, s11
.LBB296_383:
	s_delay_alu instid0(SALU_CYCLE_1) | instskip(NEXT) | instid1(SALU_CYCLE_1)
	s_or_b32 exec_lo, exec_lo, s8
	s_mov_b32 s8, exec_lo
	s_xor_b32 s10, exec_lo, -1
.LBB296_384:
	s_or_b32 exec_lo, exec_lo, s7
	s_delay_alu instid0(SALU_CYCLE_1)
	s_and_b32 s8, s8, exec_lo
	s_and_b32 s7, s10, exec_lo
.LBB296_385:
	s_and_not1_saveexec_b32 s9, s9
	s_cbranch_execz .LBB296_395
; %bb.386:
	s_mov_b32 s11, -1
	s_mov_b32 s12, s8
	s_mov_b32 s10, exec_lo
                                        ; implicit-def: $vgpr11
	v_cmpx_eq_u16_e32 44, v10
	s_cbranch_execz .LBB296_394
; %bb.387:
	flat_load_u8 v2, v[8:9]
	v_mov_b32_e32 v11, 0x80
	s_mov_b32 s12, 0
	s_mov_b32 s11, exec_lo
	s_wait_loadcnt_dscnt 0x0
	v_lshlrev_b32_e32 v3, 23, v2
	v_cmp_ne_u32_e32 vcc_lo, 0xff, v2
	s_delay_alu instid0(VALU_DEP_2) | instskip(SKIP_1) | instid1(VALU_DEP_2)
	v_cndmask_b32_e32 v3, 0x7f800001, v3, vcc_lo
	v_cmp_ne_u32_e32 vcc_lo, 0, v2
	v_cndmask_b32_e32 v3, 0x400000, v3, vcc_lo
	s_wait_xcnt 0x0
	s_delay_alu instid0(VALU_DEP_1)
	v_cmpx_gt_u32_e32 0x43800000, v3
	s_cbranch_execz .LBB296_393
; %bb.388:
	s_mov_b32 s13, exec_lo
                                        ; implicit-def: $vgpr2
	v_cmpx_lt_u32_e32 0x3bffffff, v3
	s_xor_b32 s13, exec_lo, s13
	s_cbranch_execnz .LBB296_584
; %bb.389:
	s_and_not1_saveexec_b32 s13, s13
	s_cbranch_execnz .LBB296_585
.LBB296_390:
	s_or_b32 exec_lo, exec_lo, s13
	v_mov_b32_e32 v11, 0
	s_and_saveexec_b32 s13, s12
.LBB296_391:
	v_mov_b32_e32 v11, v2
.LBB296_392:
	s_or_b32 exec_lo, exec_lo, s13
.LBB296_393:
	s_delay_alu instid0(SALU_CYCLE_1) | instskip(NEXT) | instid1(SALU_CYCLE_1)
	s_or_b32 exec_lo, exec_lo, s11
	s_or_b32 s12, s8, exec_lo
	s_xor_b32 s11, exec_lo, -1
.LBB296_394:
	s_or_b32 exec_lo, exec_lo, s10
	s_delay_alu instid0(SALU_CYCLE_1)
	s_and_not1_b32 s8, s8, exec_lo
	s_and_b32 s10, s12, exec_lo
	s_and_not1_b32 s7, s7, exec_lo
	s_and_b32 s11, s11, exec_lo
	s_or_b32 s8, s8, s10
	s_or_b32 s7, s7, s11
.LBB296_395:
	s_or_b32 exec_lo, exec_lo, s9
	s_delay_alu instid0(SALU_CYCLE_1)
	s_and_b32 s9, s8, exec_lo
	s_and_b32 s8, s7, exec_lo
.LBB296_396:
	s_and_not1_saveexec_b32 s6, s6
	s_cbranch_execz .LBB296_406
; %bb.397:
	s_mov_b32 s10, -1
	s_mov_b32 s11, s9
	s_mov_b32 s7, exec_lo
                                        ; implicit-def: $vgpr11
	v_cmpx_eq_u16_e32 29, v10
	s_cbranch_execz .LBB296_405
; %bb.398:
	flat_load_b64 v[2:3], v[8:9]
	v_mov_b32_e32 v11, 0x80
	s_mov_b32 s10, exec_lo
	s_wait_loadcnt_dscnt 0x0
	v_clz_i32_u32_e32 v4, v3
	s_delay_alu instid0(VALU_DEP_1) | instskip(NEXT) | instid1(VALU_DEP_1)
	v_min_u32_e32 v4, 32, v4
	v_lshlrev_b64_e32 v[2:3], v4, v[2:3]
	s_delay_alu instid0(VALU_DEP_1) | instskip(NEXT) | instid1(VALU_DEP_1)
	v_min_u32_e32 v2, 1, v2
	v_dual_sub_nc_u32 v3, 32, v4 :: v_dual_bitop2_b32 v2, v3, v2 bitop3:0x54
	s_delay_alu instid0(VALU_DEP_1) | instskip(NEXT) | instid1(VALU_DEP_1)
	v_cvt_f32_u32_e32 v2, v2
	v_ldexp_f32 v3, v2, v3
	s_wait_xcnt 0x0
	s_delay_alu instid0(VALU_DEP_1)
	v_cmpx_gt_u32_e32 0x43800000, v3
	s_cbranch_execz .LBB296_404
; %bb.399:
	s_mov_b32 s11, 0
	s_mov_b32 s12, exec_lo
                                        ; implicit-def: $vgpr2
	v_cmpx_lt_u32_e32 0x3bffffff, v3
	s_xor_b32 s12, exec_lo, s12
	s_cbranch_execnz .LBB296_570
; %bb.400:
	s_and_not1_saveexec_b32 s12, s12
	s_cbranch_execnz .LBB296_571
.LBB296_401:
	s_or_b32 exec_lo, exec_lo, s12
	v_mov_b32_e32 v11, 0
	s_and_saveexec_b32 s12, s11
.LBB296_402:
	v_mov_b32_e32 v11, v2
.LBB296_403:
	s_or_b32 exec_lo, exec_lo, s12
.LBB296_404:
	s_delay_alu instid0(SALU_CYCLE_1) | instskip(NEXT) | instid1(SALU_CYCLE_1)
	s_or_b32 exec_lo, exec_lo, s10
	s_or_b32 s11, s9, exec_lo
	s_xor_b32 s10, exec_lo, -1
.LBB296_405:
	s_or_b32 exec_lo, exec_lo, s7
	s_delay_alu instid0(SALU_CYCLE_1)
	s_and_not1_b32 s7, s9, exec_lo
	s_and_b32 s9, s11, exec_lo
	s_and_not1_b32 s8, s8, exec_lo
	s_and_b32 s10, s10, exec_lo
	s_or_b32 s9, s7, s9
	s_or_b32 s8, s8, s10
.LBB296_406:
	s_or_b32 exec_lo, exec_lo, s6
	s_delay_alu instid0(SALU_CYCLE_1)
	s_and_b32 s7, s9, exec_lo
	s_and_b32 s6, s8, exec_lo
.LBB296_407:
	s_and_not1_saveexec_b32 s5, s5
	s_cbranch_execz .LBB296_429
; %bb.408:
	s_mov_b32 s8, exec_lo
                                        ; implicit-def: $vgpr11
	v_cmpx_lt_i16_e32 26, v10
	s_xor_b32 s8, exec_lo, s8
	s_cbranch_execz .LBB296_426
; %bb.409:
	s_mov_b32 s9, exec_lo
                                        ; implicit-def: $vgpr11
	v_cmpx_lt_i16_e32 27, v10
	s_xor_b32 s9, exec_lo, s9
	s_cbranch_execz .LBB296_417
; %bb.410:
	flat_load_b32 v2, v[8:9]
	v_mov_b32_e32 v11, 0x80
	s_mov_b32 s10, exec_lo
	s_wait_loadcnt_dscnt 0x0
	v_cvt_f32_u32_e32 v3, v2
	s_wait_xcnt 0x0
	s_delay_alu instid0(VALU_DEP_1)
	v_cmpx_gt_u32_e32 0x43800000, v3
	s_cbranch_execz .LBB296_416
; %bb.411:
	s_mov_b32 s11, 0
	s_mov_b32 s12, exec_lo
                                        ; implicit-def: $vgpr2
	v_cmpx_lt_u32_e32 0x3bffffff, v3
	s_xor_b32 s12, exec_lo, s12
	s_cbranch_execnz .LBB296_572
; %bb.412:
	s_and_not1_saveexec_b32 s12, s12
	s_cbranch_execnz .LBB296_573
.LBB296_413:
	s_or_b32 exec_lo, exec_lo, s12
	v_mov_b32_e32 v11, 0
	s_and_saveexec_b32 s12, s11
.LBB296_414:
	v_mov_b32_e32 v11, v2
.LBB296_415:
	s_or_b32 exec_lo, exec_lo, s12
.LBB296_416:
	s_delay_alu instid0(SALU_CYCLE_1)
	s_or_b32 exec_lo, exec_lo, s10
.LBB296_417:
	s_and_not1_saveexec_b32 s9, s9
	s_cbranch_execz .LBB296_425
; %bb.418:
	flat_load_u16 v2, v[8:9]
	v_mov_b32_e32 v11, 0x80
	s_mov_b32 s10, exec_lo
	s_wait_loadcnt_dscnt 0x0
	v_cvt_f32_u32_e32 v3, v2
	s_wait_xcnt 0x0
	s_delay_alu instid0(VALU_DEP_1)
	v_cmpx_gt_u32_e32 0x43800000, v3
	s_cbranch_execz .LBB296_424
; %bb.419:
	s_mov_b32 s11, 0
	s_mov_b32 s12, exec_lo
                                        ; implicit-def: $vgpr2
	v_cmpx_lt_u32_e32 0x3bffffff, v3
	s_xor_b32 s12, exec_lo, s12
	s_cbranch_execnz .LBB296_574
; %bb.420:
	s_and_not1_saveexec_b32 s12, s12
	s_cbranch_execnz .LBB296_575
.LBB296_421:
	s_or_b32 exec_lo, exec_lo, s12
	v_mov_b32_e32 v11, 0
	s_and_saveexec_b32 s12, s11
.LBB296_422:
	v_mov_b32_e32 v11, v2
.LBB296_423:
	s_or_b32 exec_lo, exec_lo, s12
.LBB296_424:
	s_delay_alu instid0(SALU_CYCLE_1)
	s_or_b32 exec_lo, exec_lo, s10
.LBB296_425:
	s_delay_alu instid0(SALU_CYCLE_1)
	s_or_b32 exec_lo, exec_lo, s9
.LBB296_426:
	s_and_not1_saveexec_b32 s8, s8
	s_cbranch_execz .LBB296_428
; %bb.427:
	flat_load_u8 v11, v[8:9]
.LBB296_428:
	s_wait_xcnt 0x0
	s_or_b32 exec_lo, exec_lo, s8
	s_delay_alu instid0(SALU_CYCLE_1)
	s_or_b32 s7, s7, exec_lo
.LBB296_429:
	s_or_b32 exec_lo, exec_lo, s5
	s_delay_alu instid0(SALU_CYCLE_1)
	s_and_b32 s5, s7, exec_lo
	s_and_b32 s6, s6, exec_lo
	s_and_not1_saveexec_b32 s4, s4
	s_cbranch_execz .LBB296_130
.LBB296_430:
	s_mov_b32 s7, s5
	s_mov_b32 s3, exec_lo
                                        ; implicit-def: $vgpr11
	v_cmpx_lt_i16_e32 22, v10
	s_xor_b32 s3, exec_lo, s3
	s_cbranch_execz .LBB296_462
; %bb.431:
	s_mov_b32 s7, exec_lo
                                        ; implicit-def: $vgpr11
	v_cmpx_lt_i16_e32 23, v10
	s_xor_b32 s7, exec_lo, s7
	s_cbranch_execz .LBB296_453
; %bb.432:
	;; [unrolled: 6-line block ×3, first 2 shown]
	flat_load_u8 v3, v[8:9]
	s_mov_b32 s9, 0
	s_mov_b32 s10, exec_lo
	s_wait_loadcnt_dscnt 0x0
	v_cmpx_lt_i16_e32 0x7f, v3
	s_xor_b32 s10, exec_lo, s10
	s_cbranch_execnz .LBB296_560
; %bb.434:
	s_or_saveexec_b32 s10, s10
	v_mov_b32_e32 v2, 0x7f800001
	s_xor_b32 exec_lo, exec_lo, s10
	s_cbranch_execnz .LBB296_563
.LBB296_435:
	s_or_b32 exec_lo, exec_lo, s10
	s_and_saveexec_b32 s10, s9
	s_cbranch_execz .LBB296_437
.LBB296_436:
	v_and_b32_e32 v2, 0xffff, v3
	s_delay_alu instid0(VALU_DEP_1) | instskip(SKIP_1) | instid1(VALU_DEP_2)
	v_and_b32_e32 v4, 3, v2
	v_bfe_u32 v7, v2, 2, 5
	v_clz_i32_u32_e32 v5, v4
	s_delay_alu instid0(VALU_DEP_2) | instskip(NEXT) | instid1(VALU_DEP_2)
	v_cmp_eq_u32_e32 vcc_lo, 0, v7
	v_min_u32_e32 v5, 32, v5
	s_delay_alu instid0(VALU_DEP_1) | instskip(NEXT) | instid1(VALU_DEP_1)
	v_subrev_nc_u32_e32 v6, 29, v5
	v_dual_lshlrev_b32 v2, v6, v2 :: v_dual_sub_nc_u32 v5, 30, v5
	s_delay_alu instid0(VALU_DEP_1) | instskip(NEXT) | instid1(VALU_DEP_1)
	v_dual_lshlrev_b32 v3, 24, v3 :: v_dual_bitop2_b32 v2, 3, v2 bitop3:0x40
	v_dual_cndmask_b32 v5, v7, v5 :: v_dual_cndmask_b32 v2, v4, v2
	s_delay_alu instid0(VALU_DEP_2) | instskip(NEXT) | instid1(VALU_DEP_2)
	v_and_b32_e32 v3, 0x80000000, v3
	v_lshl_add_u32 v4, v5, 23, 0x37800000
	s_delay_alu instid0(VALU_DEP_3) | instskip(NEXT) | instid1(VALU_DEP_1)
	v_lshlrev_b32_e32 v2, 21, v2
	v_or3_b32 v2, v3, v4, v2
.LBB296_437:
	s_or_b32 exec_lo, exec_lo, s10
	s_delay_alu instid0(VALU_DEP_1) | instskip(SKIP_2) | instid1(VALU_DEP_2)
	v_and_b32_e32 v3, 0x7fffffff, v2
	v_mov_b32_e32 v11, 0x80
	s_mov_b32 s9, exec_lo
	v_cmpx_gt_u32_e32 0x43800000, v3
	s_cbranch_execz .LBB296_443
; %bb.438:
	v_cmp_lt_u32_e32 vcc_lo, 0x3bffffff, v3
	s_mov_b32 s10, 0
                                        ; implicit-def: $vgpr3
	s_and_saveexec_b32 s11, vcc_lo
	s_delay_alu instid0(SALU_CYCLE_1)
	s_xor_b32 s11, exec_lo, s11
	s_cbranch_execnz .LBB296_576
; %bb.439:
	s_and_not1_saveexec_b32 s11, s11
	s_cbranch_execnz .LBB296_577
.LBB296_440:
	s_or_b32 exec_lo, exec_lo, s11
	v_mov_b32_e32 v11, 0
	s_and_saveexec_b32 s11, s10
.LBB296_441:
	v_lshrrev_b32_e32 v2, 24, v2
	s_delay_alu instid0(VALU_DEP_1)
	v_and_or_b32 v11, 0x80, v2, v3
.LBB296_442:
	s_or_b32 exec_lo, exec_lo, s11
.LBB296_443:
	s_delay_alu instid0(SALU_CYCLE_1)
	s_or_b32 exec_lo, exec_lo, s9
.LBB296_444:
	s_and_not1_saveexec_b32 s8, s8
	s_cbranch_execz .LBB296_452
; %bb.445:
	flat_load_u8 v2, v[8:9]
	s_mov_b32 s10, 0
	s_mov_b32 s9, exec_lo
	s_wait_loadcnt_dscnt 0x0
	v_dual_mov_b32 v11, 0x80 :: v_dual_lshlrev_b32 v2, 24, v2
	s_delay_alu instid0(VALU_DEP_1) | instskip(NEXT) | instid1(VALU_DEP_1)
	v_and_b32_e32 v3, 0x7f000000, v2
	v_clz_i32_u32_e32 v4, v3
	v_add_nc_u32_e32 v6, 0x1000000, v3
	v_cmp_ne_u32_e32 vcc_lo, 0, v3
	s_delay_alu instid0(VALU_DEP_3) | instskip(NEXT) | instid1(VALU_DEP_1)
	v_min_u32_e32 v4, 32, v4
	v_sub_nc_u32_e64 v4, v4, 4 clamp
	s_delay_alu instid0(VALU_DEP_1) | instskip(NEXT) | instid1(VALU_DEP_1)
	v_dual_lshlrev_b32 v5, v4, v3 :: v_dual_lshlrev_b32 v4, 23, v4
	v_lshrrev_b32_e32 v5, 4, v5
	s_delay_alu instid0(VALU_DEP_1) | instskip(NEXT) | instid1(VALU_DEP_1)
	v_dual_sub_nc_u32 v4, v5, v4 :: v_dual_ashrrev_i32 v5, 8, v6
	v_add_nc_u32_e32 v4, 0x3c000000, v4
	s_delay_alu instid0(VALU_DEP_1) | instskip(NEXT) | instid1(VALU_DEP_1)
	v_and_or_b32 v4, 0x7f800000, v5, v4
	v_cndmask_b32_e32 v4, 0, v4, vcc_lo
	s_delay_alu instid0(VALU_DEP_1) | instskip(NEXT) | instid1(VALU_DEP_1)
	v_and_or_b32 v2, 0x80000000, v2, v4
	v_and_b32_e32 v3, 0x7fffffff, v2
	s_wait_xcnt 0x0
	s_delay_alu instid0(VALU_DEP_1)
	v_cmpx_gt_u32_e32 0x43800000, v3
	s_cbranch_execz .LBB296_451
; %bb.446:
	v_cmp_lt_u32_e32 vcc_lo, 0x3bffffff, v3
                                        ; implicit-def: $vgpr3
	s_and_saveexec_b32 s11, vcc_lo
	s_delay_alu instid0(SALU_CYCLE_1)
	s_xor_b32 s11, exec_lo, s11
	s_cbranch_execnz .LBB296_578
; %bb.447:
	s_and_not1_saveexec_b32 s11, s11
	s_cbranch_execnz .LBB296_579
.LBB296_448:
	s_or_b32 exec_lo, exec_lo, s11
	v_mov_b32_e32 v11, 0
	s_and_saveexec_b32 s11, s10
.LBB296_449:
	v_lshrrev_b32_e32 v2, 24, v2
	s_delay_alu instid0(VALU_DEP_1)
	v_and_or_b32 v11, 0x80, v2, v3
.LBB296_450:
	s_or_b32 exec_lo, exec_lo, s11
.LBB296_451:
	s_delay_alu instid0(SALU_CYCLE_1)
	s_or_b32 exec_lo, exec_lo, s9
.LBB296_452:
	s_delay_alu instid0(SALU_CYCLE_1)
	s_or_b32 exec_lo, exec_lo, s8
.LBB296_453:
	s_and_not1_saveexec_b32 s7, s7
	s_cbranch_execz .LBB296_461
; %bb.454:
	flat_load_u8 v2, v[8:9]
	s_mov_b32 s8, exec_lo
	s_wait_loadcnt_dscnt 0x101
	v_mov_b32_e32 v11, 0x80
	s_wait_loadcnt_dscnt 0x0
	v_lshlrev_b32_e32 v3, 25, v2
	v_lshlrev_b16 v2, 8, v2
	s_delay_alu instid0(VALU_DEP_1) | instskip(SKIP_1) | instid1(VALU_DEP_2)
	v_and_or_b32 v5, 0x7f00, v2, 0.5
	v_bfe_i32 v2, v2, 0, 16
	v_dual_add_f32 v5, -0.5, v5 :: v_dual_lshrrev_b32 v4, 4, v3
	v_cmp_gt_u32_e32 vcc_lo, 0x8000000, v3
	s_delay_alu instid0(VALU_DEP_2) | instskip(NEXT) | instid1(VALU_DEP_1)
	v_or_b32_e32 v4, 0x70000000, v4
	v_mul_f32_e32 v4, 0x7800000, v4
	s_delay_alu instid0(VALU_DEP_1) | instskip(NEXT) | instid1(VALU_DEP_1)
	v_cndmask_b32_e32 v4, v4, v5, vcc_lo
	v_and_or_b32 v2, 0x80000000, v2, v4
	s_delay_alu instid0(VALU_DEP_1) | instskip(SKIP_1) | instid1(VALU_DEP_1)
	v_and_b32_e32 v3, 0x7fffffff, v2
	s_wait_xcnt 0x0
	v_cmpx_gt_u32_e32 0x43800000, v3
	s_cbranch_execz .LBB296_460
; %bb.455:
	v_cmp_lt_u32_e32 vcc_lo, 0x3bffffff, v3
	s_mov_b32 s9, 0
                                        ; implicit-def: $vgpr3
	s_and_saveexec_b32 s10, vcc_lo
	s_delay_alu instid0(SALU_CYCLE_1)
	s_xor_b32 s10, exec_lo, s10
	s_cbranch_execnz .LBB296_564
; %bb.456:
	s_and_not1_saveexec_b32 s10, s10
	s_cbranch_execnz .LBB296_565
.LBB296_457:
	s_or_b32 exec_lo, exec_lo, s10
	v_mov_b32_e32 v11, 0
	s_and_saveexec_b32 s10, s9
.LBB296_458:
	v_lshrrev_b32_e32 v2, 24, v2
	s_delay_alu instid0(VALU_DEP_1)
	v_and_or_b32 v11, 0x80, v2, v3
.LBB296_459:
	s_or_b32 exec_lo, exec_lo, s10
.LBB296_460:
	s_delay_alu instid0(SALU_CYCLE_1)
	s_or_b32 exec_lo, exec_lo, s8
.LBB296_461:
	s_delay_alu instid0(SALU_CYCLE_1) | instskip(NEXT) | instid1(SALU_CYCLE_1)
	s_or_b32 exec_lo, exec_lo, s7
	s_or_b32 s7, s5, exec_lo
.LBB296_462:
	s_or_saveexec_b32 s3, s3
	s_mov_b32 s8, 0
	s_mov_b32 s9, s6
	s_xor_b32 exec_lo, exec_lo, s3
	s_cbranch_execz .LBB296_476
; %bb.463:
	s_mov_b32 s9, s6
	s_mov_b32 s10, s7
	s_mov_b32 s8, exec_lo
                                        ; implicit-def: $vgpr11
	v_cmpx_lt_i16_e32 14, v10
	s_xor_b32 s8, exec_lo, s8
	s_cbranch_execz .LBB296_473
; %bb.464:
	s_mov_b32 s10, -1
	s_mov_b32 s11, s7
	s_mov_b32 s9, exec_lo
                                        ; implicit-def: $vgpr11
	v_cmpx_eq_u16_e32 15, v10
	s_cbranch_execz .LBB296_472
; %bb.465:
	flat_load_u16 v2, v[8:9]
	s_mov_b32 s10, exec_lo
	s_wait_loadcnt_dscnt 0x0
	v_dual_mov_b32 v11, 0x80 :: v_dual_lshlrev_b32 v4, 16, v2
	s_delay_alu instid0(VALU_DEP_1) | instskip(SKIP_1) | instid1(VALU_DEP_1)
	v_and_b32_e32 v3, 0x7fffffff, v4
	s_wait_xcnt 0x0
	v_cmpx_gt_u32_e32 0x43800000, v3
	s_cbranch_execz .LBB296_471
; %bb.466:
	v_cmp_lt_u32_e32 vcc_lo, 0x3bffffff, v3
	s_mov_b32 s11, 0
                                        ; implicit-def: $vgpr3
	s_and_saveexec_b32 s12, vcc_lo
	s_delay_alu instid0(SALU_CYCLE_1)
	s_xor_b32 s12, exec_lo, s12
	s_cbranch_execnz .LBB296_580
; %bb.467:
	s_and_not1_saveexec_b32 s12, s12
	s_cbranch_execnz .LBB296_581
.LBB296_468:
	s_or_b32 exec_lo, exec_lo, s12
	v_mov_b32_e32 v11, 0
	s_and_saveexec_b32 s12, s11
.LBB296_469:
	v_lshrrev_b32_e32 v2, 8, v2
	s_delay_alu instid0(VALU_DEP_1)
	v_and_or_b32 v11, 0x80, v2, v3
.LBB296_470:
	s_or_b32 exec_lo, exec_lo, s12
.LBB296_471:
	s_delay_alu instid0(SALU_CYCLE_1) | instskip(NEXT) | instid1(SALU_CYCLE_1)
	s_or_b32 exec_lo, exec_lo, s10
	s_or_b32 s11, s7, exec_lo
	s_xor_b32 s10, exec_lo, -1
.LBB296_472:
	s_or_b32 exec_lo, exec_lo, s9
	s_delay_alu instid0(SALU_CYCLE_1)
	s_and_not1_b32 s9, s7, exec_lo
	s_and_b32 s11, s11, exec_lo
	s_and_not1_b32 s12, s6, exec_lo
	s_and_b32 s13, s10, exec_lo
	s_or_b32 s10, s9, s11
	s_or_b32 s9, s12, s13
.LBB296_473:
	s_or_saveexec_b32 s11, s8
	s_mov_b32 s8, 0
	s_xor_b32 exec_lo, exec_lo, s11
; %bb.474:
	v_cmp_ne_u16_e32 vcc_lo, 11, v10
	s_and_not1_b32 s9, s9, exec_lo
	s_mov_b32 s8, exec_lo
	s_and_b32 s12, vcc_lo, exec_lo
	s_delay_alu instid0(SALU_CYCLE_1)
	s_or_b32 s9, s9, s12
; %bb.475:
	s_or_b32 exec_lo, exec_lo, s11
	s_delay_alu instid0(SALU_CYCLE_1)
	s_and_not1_b32 s7, s7, exec_lo
	s_and_b32 s10, s10, exec_lo
	s_and_b32 s9, s9, exec_lo
	s_or_b32 s7, s7, s10
	s_and_not1_b32 s10, s6, exec_lo
	s_and_b32 s8, s8, exec_lo
	s_or_b32 s9, s10, s9
.LBB296_476:
	s_or_b32 exec_lo, exec_lo, s3
	s_delay_alu instid0(SALU_CYCLE_1)
	s_and_not1_b32 s3, s5, exec_lo
	s_and_b32 s5, s7, exec_lo
	s_and_not1_b32 s6, s6, exec_lo
	s_and_b32 s7, s9, exec_lo
	s_or_b32 s5, s3, s5
	s_and_b32 s3, s8, exec_lo
	s_or_b32 s6, s6, s7
	s_or_b32 exec_lo, exec_lo, s4
	s_mov_b32 s7, s0
	s_and_saveexec_b32 s4, s6
	s_cbranch_execz .LBB296_131
.LBB296_477:
	s_and_not1_b32 s3, s3, exec_lo
	s_or_b32 s7, s0, exec_lo
	s_trap 2
	s_branch .LBB296_131
.LBB296_478:
	v_bfe_u32 v2, v3, 20, 1
	s_mov_b32 s3, exec_lo
	s_delay_alu instid0(VALU_DEP_1) | instskip(NEXT) | instid1(VALU_DEP_1)
	v_add3_u32 v2, v3, v2, 0x487ffff
                                        ; implicit-def: $vgpr3
	v_lshrrev_b32_e32 v2, 20, v2
	s_and_not1_saveexec_b32 s5, s5
	s_cbranch_execz .LBB296_137
.LBB296_479:
	v_add_f32_e32 v2, 0x46000000, v3
	s_and_not1_b32 s3, s3, exec_lo
	s_delay_alu instid0(VALU_DEP_1) | instskip(NEXT) | instid1(VALU_DEP_1)
	v_and_b32_e32 v2, 0xff, v2
	v_cmp_ne_u32_e32 vcc_lo, 0, v2
	s_and_b32 s6, vcc_lo, exec_lo
	s_delay_alu instid0(SALU_CYCLE_1)
	s_or_b32 s3, s3, s6
	s_or_b32 exec_lo, exec_lo, s5
	v_mov_b32_e32 v11, 0
	s_and_saveexec_b32 s5, s3
	s_cbranch_execnz .LBB296_138
	s_branch .LBB296_139
.LBB296_480:
	s_mov_b32 s1, -1
	s_mov_b32 s4, exec_lo
	v_cmpx_eq_u16_e32 0x80, v2
; %bb.481:
	s_xor_b32 s1, exec_lo, -1
; %bb.482:
	s_or_b32 exec_lo, exec_lo, s4
	s_delay_alu instid0(SALU_CYCLE_1)
	s_and_b32 s1, s1, exec_lo
                                        ; implicit-def: $vgpr2
	s_or_saveexec_b32 s3, s3
	v_mov_b32_e32 v0, 0x7f800001
	s_xor_b32 exec_lo, exec_lo, s3
	s_cbranch_execz .LBB296_251
.LBB296_483:
	v_cmp_ne_u16_e32 vcc_lo, 0, v2
	v_mov_b32_e32 v0, 0
	s_and_not1_b32 s1, s1, exec_lo
	s_and_b32 s4, vcc_lo, exec_lo
	s_delay_alu instid0(SALU_CYCLE_1)
	s_or_b32 s1, s1, s4
	s_or_b32 exec_lo, exec_lo, s3
	s_and_saveexec_b32 s3, s1
	s_cbranch_execnz .LBB296_252
	s_branch .LBB296_253
.LBB296_484:
	s_mov_b32 s1, -1
	s_mov_b32 s4, exec_lo
	v_cmpx_eq_u16_e32 0x80, v2
; %bb.485:
	s_xor_b32 s1, exec_lo, -1
; %bb.486:
	s_or_b32 exec_lo, exec_lo, s4
	s_delay_alu instid0(SALU_CYCLE_1)
	s_and_b32 s1, s1, exec_lo
                                        ; implicit-def: $vgpr2
	s_or_saveexec_b32 s3, s3
	v_mov_b32_e32 v1, 0x7f800001
	s_xor_b32 exec_lo, exec_lo, s3
	s_cbranch_execz .LBB296_255
.LBB296_487:
	v_cmp_ne_u16_e32 vcc_lo, 0, v2
	v_mov_b32_e32 v1, 0
	s_and_not1_b32 s1, s1, exec_lo
	s_and_b32 s4, vcc_lo, exec_lo
	s_delay_alu instid0(SALU_CYCLE_1)
	s_or_b32 s1, s1, s4
	s_or_b32 exec_lo, exec_lo, s3
	s_and_saveexec_b32 s3, s1
	s_cbranch_execnz .LBB296_256
	s_branch .LBB296_257
.LBB296_488:
	s_mov_b32 s2, -1
	s_mov_b32 s4, exec_lo
	v_cmpx_eq_u16_e32 0x80, v2
; %bb.489:
	s_xor_b32 s2, exec_lo, -1
; %bb.490:
	s_or_b32 exec_lo, exec_lo, s4
	s_delay_alu instid0(SALU_CYCLE_1)
	s_and_b32 s2, s2, exec_lo
                                        ; implicit-def: $vgpr2
	s_or_saveexec_b32 s3, s3
	v_mov_b32_e32 v0, 0x7f800001
	s_xor_b32 exec_lo, exec_lo, s3
	s_cbranch_execz .LBB296_261
.LBB296_491:
	v_cmp_ne_u16_e32 vcc_lo, 0, v2
	v_mov_b32_e32 v0, 0
	s_and_not1_b32 s2, s2, exec_lo
	s_and_b32 s4, vcc_lo, exec_lo
	s_delay_alu instid0(SALU_CYCLE_1)
	s_or_b32 s2, s2, s4
	s_or_b32 exec_lo, exec_lo, s3
	s_and_saveexec_b32 s3, s2
	s_cbranch_execnz .LBB296_262
	s_branch .LBB296_263
.LBB296_492:
	s_mov_b32 s2, -1
	s_mov_b32 s4, exec_lo
	v_cmpx_eq_u16_e32 0x80, v2
; %bb.493:
	s_xor_b32 s2, exec_lo, -1
; %bb.494:
	s_or_b32 exec_lo, exec_lo, s4
	s_delay_alu instid0(SALU_CYCLE_1)
	s_and_b32 s2, s2, exec_lo
                                        ; implicit-def: $vgpr2
	s_or_saveexec_b32 s3, s3
	v_mov_b32_e32 v1, 0x7f800001
	s_xor_b32 exec_lo, exec_lo, s3
	s_cbranch_execz .LBB296_265
.LBB296_495:
	v_cmp_ne_u16_e32 vcc_lo, 0, v2
	v_mov_b32_e32 v1, 0
	s_and_not1_b32 s2, s2, exec_lo
	s_and_b32 s4, vcc_lo, exec_lo
	s_delay_alu instid0(SALU_CYCLE_1)
	s_or_b32 s2, s2, s4
	s_or_b32 exec_lo, exec_lo, s3
	s_and_saveexec_b32 s3, s2
	s_cbranch_execnz .LBB296_266
	s_branch .LBB296_267
.LBB296_496:
	v_bfe_u32 v1, v9, 20, 1
	s_mov_b32 s5, exec_lo
	s_delay_alu instid0(VALU_DEP_1) | instskip(NEXT) | instid1(VALU_DEP_1)
	v_add3_u32 v1, v9, v1, 0x487ffff
                                        ; implicit-def: $vgpr9
	v_lshrrev_b32_e32 v8, 20, v1
	s_and_not1_saveexec_b32 s6, s6
	s_cbranch_execz .LBB296_8
.LBB296_497:
	v_add_f32_e32 v1, 0x46000000, v9
	s_and_not1_b32 s5, s5, exec_lo
	s_delay_alu instid0(VALU_DEP_1) | instskip(NEXT) | instid1(VALU_DEP_1)
	v_and_b32_e32 v8, 0xff, v1
	v_cmp_ne_u32_e32 vcc_lo, 0, v8
	s_and_b32 s7, vcc_lo, exec_lo
	s_delay_alu instid0(SALU_CYCLE_1)
	s_or_b32 s5, s5, s7
	s_or_b32 exec_lo, exec_lo, s6
	v_mov_b32_e32 v1, 0
	s_and_saveexec_b32 s6, s5
	s_cbranch_execnz .LBB296_9
	s_branch .LBB296_10
.LBB296_498:
	v_bfe_u32 v1, v8, 20, 1
	s_mov_b32 s7, exec_lo
	s_delay_alu instid0(VALU_DEP_1) | instskip(NEXT) | instid1(VALU_DEP_1)
	v_add3_u32 v1, v8, v1, 0x487ffff
	v_lshrrev_b32_e32 v9, 20, v1
	s_and_not1_saveexec_b32 s8, s8
	s_cbranch_execz .LBB296_38
.LBB296_499:
	v_add_f32_e64 v1, 0x46000000, |v8|
	s_and_not1_b32 s7, s7, exec_lo
	s_delay_alu instid0(VALU_DEP_1) | instskip(NEXT) | instid1(VALU_DEP_1)
	v_and_b32_e32 v9, 0xff, v1
	v_cmp_ne_u32_e32 vcc_lo, 0, v9
	s_and_b32 s9, vcc_lo, exec_lo
	s_delay_alu instid0(SALU_CYCLE_1)
	s_or_b32 s7, s7, s9
	s_or_b32 exec_lo, exec_lo, s8
	v_mov_b32_e32 v1, 0
	s_and_saveexec_b32 s8, s7
	s_cbranch_execnz .LBB296_39
	s_branch .LBB296_40
.LBB296_500:
	v_bfe_u32 v1, v8, 20, 1
	s_mov_b32 s7, exec_lo
	s_delay_alu instid0(VALU_DEP_1) | instskip(NEXT) | instid1(VALU_DEP_1)
	v_add3_u32 v1, v8, v1, 0x487ffff
	v_lshrrev_b32_e32 v9, 20, v1
	s_and_not1_saveexec_b32 s8, s8
	s_cbranch_execz .LBB296_66
.LBB296_501:
	v_add_f32_e64 v1, 0x46000000, |v8|
	s_and_not1_b32 s7, s7, exec_lo
	s_delay_alu instid0(VALU_DEP_1) | instskip(NEXT) | instid1(VALU_DEP_1)
	v_and_b32_e32 v9, 0xff, v1
	v_cmp_ne_u32_e32 vcc_lo, 0, v9
	s_and_b32 s9, vcc_lo, exec_lo
	s_delay_alu instid0(SALU_CYCLE_1)
	s_or_b32 s7, s7, s9
	s_or_b32 exec_lo, exec_lo, s8
	v_mov_b32_e32 v1, 0
	s_and_saveexec_b32 s8, s7
	s_cbranch_execnz .LBB296_67
	s_branch .LBB296_68
.LBB296_502:
	v_bfe_u32 v1, v8, 20, 1
	s_mov_b32 s7, exec_lo
	s_delay_alu instid0(VALU_DEP_1) | instskip(NEXT) | instid1(VALU_DEP_1)
	v_add3_u32 v1, v8, v1, 0x487ffff
	v_lshrrev_b32_e32 v9, 20, v1
	s_and_not1_saveexec_b32 s8, s8
	s_cbranch_execz .LBB296_96
.LBB296_503:
	v_add_f32_e64 v1, 0x46000000, |v8|
	s_and_not1_b32 s7, s7, exec_lo
	s_delay_alu instid0(VALU_DEP_1) | instskip(NEXT) | instid1(VALU_DEP_1)
	v_and_b32_e32 v9, 0xff, v1
	v_cmp_ne_u32_e32 vcc_lo, 0, v9
	s_and_b32 s9, vcc_lo, exec_lo
	s_delay_alu instid0(SALU_CYCLE_1)
	s_or_b32 s7, s7, s9
	s_or_b32 exec_lo, exec_lo, s8
	v_mov_b32_e32 v1, 0
	s_and_saveexec_b32 s8, s7
	s_cbranch_execnz .LBB296_97
	s_branch .LBB296_98
.LBB296_504:
	v_bfe_u32 v1, v8, 20, 1
	s_mov_b32 s7, exec_lo
	s_delay_alu instid0(VALU_DEP_1) | instskip(NEXT) | instid1(VALU_DEP_1)
	v_add3_u32 v1, v8, v1, 0x487ffff
	v_lshrrev_b32_e32 v9, 20, v1
	s_and_not1_saveexec_b32 s8, s8
	s_cbranch_execz .LBB296_106
.LBB296_505:
	v_add_f32_e64 v1, 0x46000000, |v8|
	s_and_not1_b32 s7, s7, exec_lo
	s_delay_alu instid0(VALU_DEP_1) | instskip(NEXT) | instid1(VALU_DEP_1)
	v_and_b32_e32 v9, 0xff, v1
	v_cmp_ne_u32_e32 vcc_lo, 0, v9
	s_and_b32 s9, vcc_lo, exec_lo
	s_delay_alu instid0(SALU_CYCLE_1)
	s_or_b32 s7, s7, s9
	s_or_b32 exec_lo, exec_lo, s8
	v_mov_b32_e32 v1, 0
	s_and_saveexec_b32 s8, s7
	s_cbranch_execnz .LBB296_107
	s_branch .LBB296_108
.LBB296_506:
	v_bfe_u32 v1, v9, 20, 1
	s_mov_b32 s7, exec_lo
	s_delay_alu instid0(VALU_DEP_1) | instskip(NEXT) | instid1(VALU_DEP_1)
	v_add3_u32 v1, v9, v1, 0x487ffff
                                        ; implicit-def: $vgpr9
	v_lshrrev_b32_e32 v8, 20, v1
	s_and_not1_saveexec_b32 s8, s8
	s_cbranch_execz .LBB296_114
.LBB296_507:
	v_add_f32_e32 v1, 0x46000000, v9
	s_and_not1_b32 s7, s7, exec_lo
	s_delay_alu instid0(VALU_DEP_1) | instskip(NEXT) | instid1(VALU_DEP_1)
	v_and_b32_e32 v8, 0xff, v1
	v_cmp_ne_u32_e32 vcc_lo, 0, v8
	s_and_b32 s9, vcc_lo, exec_lo
	s_delay_alu instid0(SALU_CYCLE_1)
	s_or_b32 s7, s7, s9
	s_or_b32 exec_lo, exec_lo, s8
	v_mov_b32_e32 v1, 0
	s_and_saveexec_b32 s8, s7
	s_cbranch_execnz .LBB296_115
	s_branch .LBB296_116
.LBB296_508:
	v_bfe_u32 v3, v2, 20, 1
	s_mov_b32 s6, exec_lo
	s_delay_alu instid0(VALU_DEP_1) | instskip(NEXT) | instid1(VALU_DEP_1)
	v_add3_u32 v3, v2, v3, 0x487ffff
	v_lshrrev_b32_e32 v3, 20, v3
	s_and_not1_saveexec_b32 s7, s7
	s_cbranch_execz .LBB296_165
.LBB296_509:
	v_add_f32_e64 v3, 0x46000000, |v2|
	s_and_not1_b32 s6, s6, exec_lo
	s_delay_alu instid0(VALU_DEP_1) | instskip(NEXT) | instid1(VALU_DEP_1)
	v_and_b32_e32 v3, 0xff, v3
	v_cmp_ne_u32_e32 vcc_lo, 0, v3
	s_and_b32 s8, vcc_lo, exec_lo
	s_delay_alu instid0(SALU_CYCLE_1)
	s_or_b32 s6, s6, s8
	s_or_b32 exec_lo, exec_lo, s7
	v_mov_b32_e32 v11, 0
	s_and_saveexec_b32 s7, s6
	s_cbranch_execnz .LBB296_166
	s_branch .LBB296_167
.LBB296_510:
	v_bfe_u32 v3, v2, 20, 1
	s_mov_b32 s6, exec_lo
	s_delay_alu instid0(VALU_DEP_1) | instskip(NEXT) | instid1(VALU_DEP_1)
	v_add3_u32 v3, v2, v3, 0x487ffff
	v_lshrrev_b32_e32 v3, 20, v3
	s_and_not1_saveexec_b32 s7, s7
	s_cbranch_execz .LBB296_193
.LBB296_511:
	v_add_f32_e64 v3, 0x46000000, |v2|
	s_and_not1_b32 s6, s6, exec_lo
	s_delay_alu instid0(VALU_DEP_1) | instskip(NEXT) | instid1(VALU_DEP_1)
	v_and_b32_e32 v3, 0xff, v3
	v_cmp_ne_u32_e32 vcc_lo, 0, v3
	s_and_b32 s8, vcc_lo, exec_lo
	s_delay_alu instid0(SALU_CYCLE_1)
	s_or_b32 s6, s6, s8
	s_or_b32 exec_lo, exec_lo, s7
	v_mov_b32_e32 v11, 0
	s_and_saveexec_b32 s7, s6
	s_cbranch_execnz .LBB296_194
	s_branch .LBB296_195
.LBB296_512:
	v_bfe_u32 v3, v2, 20, 1
	s_mov_b32 s6, exec_lo
	s_delay_alu instid0(VALU_DEP_1) | instskip(NEXT) | instid1(VALU_DEP_1)
	v_add3_u32 v3, v2, v3, 0x487ffff
	v_lshrrev_b32_e32 v3, 20, v3
	s_and_not1_saveexec_b32 s7, s7
	s_cbranch_execz .LBB296_223
.LBB296_513:
	v_add_f32_e64 v3, 0x46000000, |v2|
	s_and_not1_b32 s6, s6, exec_lo
	s_delay_alu instid0(VALU_DEP_1) | instskip(NEXT) | instid1(VALU_DEP_1)
	v_and_b32_e32 v3, 0xff, v3
	v_cmp_ne_u32_e32 vcc_lo, 0, v3
	s_and_b32 s8, vcc_lo, exec_lo
	s_delay_alu instid0(SALU_CYCLE_1)
	s_or_b32 s6, s6, s8
	s_or_b32 exec_lo, exec_lo, s7
	v_mov_b32_e32 v11, 0
	s_and_saveexec_b32 s7, s6
	s_cbranch_execnz .LBB296_224
	s_branch .LBB296_225
.LBB296_514:
	v_bfe_u32 v3, v2, 20, 1
	s_mov_b32 s6, exec_lo
	s_delay_alu instid0(VALU_DEP_1) | instskip(NEXT) | instid1(VALU_DEP_1)
	v_add3_u32 v3, v2, v3, 0x487ffff
	v_lshrrev_b32_e32 v3, 20, v3
	s_and_not1_saveexec_b32 s7, s7
	s_cbranch_execz .LBB296_233
.LBB296_515:
	v_add_f32_e64 v3, 0x46000000, |v2|
	s_and_not1_b32 s6, s6, exec_lo
	s_delay_alu instid0(VALU_DEP_1) | instskip(NEXT) | instid1(VALU_DEP_1)
	v_and_b32_e32 v3, 0xff, v3
	v_cmp_ne_u32_e32 vcc_lo, 0, v3
	s_and_b32 s8, vcc_lo, exec_lo
	s_delay_alu instid0(SALU_CYCLE_1)
	s_or_b32 s6, s6, s8
	s_or_b32 exec_lo, exec_lo, s7
	v_mov_b32_e32 v11, 0
	s_and_saveexec_b32 s7, s6
	s_cbranch_execnz .LBB296_234
	s_branch .LBB296_235
.LBB296_516:
	v_bfe_u32 v2, v3, 20, 1
	s_mov_b32 s6, exec_lo
	s_delay_alu instid0(VALU_DEP_1) | instskip(NEXT) | instid1(VALU_DEP_1)
	v_add3_u32 v2, v3, v2, 0x487ffff
                                        ; implicit-def: $vgpr3
	v_lshrrev_b32_e32 v2, 20, v2
	s_and_not1_saveexec_b32 s7, s7
	s_cbranch_execz .LBB296_241
.LBB296_517:
	v_add_f32_e32 v2, 0x46000000, v3
	s_and_not1_b32 s6, s6, exec_lo
	s_delay_alu instid0(VALU_DEP_1) | instskip(NEXT) | instid1(VALU_DEP_1)
	v_and_b32_e32 v2, 0xff, v2
	v_cmp_ne_u32_e32 vcc_lo, 0, v2
	s_and_b32 s8, vcc_lo, exec_lo
	s_delay_alu instid0(SALU_CYCLE_1)
	s_or_b32 s6, s6, s8
	s_or_b32 exec_lo, exec_lo, s7
	v_mov_b32_e32 v11, 0
	s_and_saveexec_b32 s7, s6
	s_cbranch_execnz .LBB296_242
	s_branch .LBB296_243
.LBB296_518:
	s_mov_b32 s7, -1
	s_mov_b32 s9, exec_lo
	v_cmpx_eq_u16_e32 0x80, v1
; %bb.519:
	s_xor_b32 s7, exec_lo, -1
; %bb.520:
	s_or_b32 exec_lo, exec_lo, s9
	s_delay_alu instid0(SALU_CYCLE_1)
	s_and_b32 s7, s7, exec_lo
	s_or_saveexec_b32 s8, s8
	v_mov_b32_e32 v10, 0x7f800001
	s_xor_b32 exec_lo, exec_lo, s8
	s_cbranch_execz .LBB296_330
.LBB296_521:
	v_cmp_ne_u16_e32 vcc_lo, 0, v1
	v_mov_b32_e32 v10, 0
	s_and_not1_b32 s7, s7, exec_lo
	s_and_b32 s9, vcc_lo, exec_lo
	s_delay_alu instid0(SALU_CYCLE_1)
	s_or_b32 s7, s7, s9
	s_or_b32 exec_lo, exec_lo, s8
	s_and_saveexec_b32 s8, s7
	s_cbranch_execnz .LBB296_331
	s_branch .LBB296_332
.LBB296_522:
	v_bfe_u32 v1, v12, 20, 1
	s_mov_b32 s7, exec_lo
	s_delay_alu instid0(VALU_DEP_1) | instskip(NEXT) | instid1(VALU_DEP_1)
	v_add3_u32 v1, v10, v1, 0x487ffff
	v_lshrrev_b32_e32 v11, 20, v1
	s_and_not1_saveexec_b32 s8, s8
	s_cbranch_execz .LBB296_352
.LBB296_523:
	v_add_f32_e64 v1, 0x46000000, |v10|
	s_and_not1_b32 s7, s7, exec_lo
	s_delay_alu instid0(VALU_DEP_1) | instskip(NEXT) | instid1(VALU_DEP_1)
	v_and_b32_e32 v11, 0xff, v1
	v_cmp_ne_u32_e32 vcc_lo, 0, v11
	s_and_b32 s9, vcc_lo, exec_lo
	s_delay_alu instid0(SALU_CYCLE_1)
	s_or_b32 s7, s7, s9
	s_or_b32 exec_lo, exec_lo, s8
	v_mov_b32_e32 v1, 0
	s_and_saveexec_b32 s8, s7
	s_cbranch_execnz .LBB296_353
	s_branch .LBB296_354
.LBB296_524:
	v_bfe_u32 v1, v8, 20, 1
	s_mov_b32 s8, exec_lo
	s_delay_alu instid0(VALU_DEP_1) | instskip(NEXT) | instid1(VALU_DEP_1)
	v_add3_u32 v1, v8, v1, 0x487ffff
	v_lshrrev_b32_e32 v9, 20, v1
	s_and_not1_saveexec_b32 s9, s9
	s_cbranch_execz .LBB296_21
.LBB296_525:
	v_add_f32_e64 v1, 0x46000000, |v8|
	s_and_not1_b32 s8, s8, exec_lo
	s_delay_alu instid0(VALU_DEP_1) | instskip(NEXT) | instid1(VALU_DEP_1)
	v_and_b32_e32 v9, 0xff, v1
	v_cmp_ne_u32_e32 vcc_lo, 0, v9
	s_and_b32 s10, vcc_lo, exec_lo
	s_delay_alu instid0(SALU_CYCLE_1)
	s_or_b32 s8, s8, s10
	s_or_b32 exec_lo, exec_lo, s9
	v_mov_b32_e32 v1, 0
	s_and_saveexec_b32 s9, s8
	s_cbranch_execnz .LBB296_22
	s_branch .LBB296_23
.LBB296_526:
	v_bfe_u32 v1, v8, 20, 1
	s_mov_b32 s8, exec_lo
	s_delay_alu instid0(VALU_DEP_1) | instskip(NEXT) | instid1(VALU_DEP_1)
	v_add3_u32 v1, v8, v1, 0x487ffff
	v_lshrrev_b32_e32 v9, 20, v1
	s_and_not1_saveexec_b32 s9, s9
	s_cbranch_execz .LBB296_29
.LBB296_527:
	v_add_f32_e64 v1, 0x46000000, |v8|
	s_and_not1_b32 s8, s8, exec_lo
	s_delay_alu instid0(VALU_DEP_1) | instskip(NEXT) | instid1(VALU_DEP_1)
	v_and_b32_e32 v9, 0xff, v1
	v_cmp_ne_u32_e32 vcc_lo, 0, v9
	s_and_b32 s10, vcc_lo, exec_lo
	s_delay_alu instid0(SALU_CYCLE_1)
	s_or_b32 s8, s8, s10
	s_or_b32 exec_lo, exec_lo, s9
	v_mov_b32_e32 v1, 0
	s_and_saveexec_b32 s9, s8
	s_cbranch_execnz .LBB296_30
	s_branch .LBB296_31
.LBB296_528:
	v_bfe_u32 v1, v8, 20, 1
	s_mov_b32 s8, exec_lo
	s_delay_alu instid0(VALU_DEP_1) | instskip(NEXT) | instid1(VALU_DEP_1)
	v_add3_u32 v1, v8, v1, 0x487ffff
	v_lshrrev_b32_e32 v9, 20, v1
	s_and_not1_saveexec_b32 s9, s9
	s_cbranch_execz .LBB296_49
.LBB296_529:
	v_add_f32_e64 v1, 0x46000000, |v8|
	s_and_not1_b32 s8, s8, exec_lo
	s_delay_alu instid0(VALU_DEP_1) | instskip(NEXT) | instid1(VALU_DEP_1)
	v_and_b32_e32 v9, 0xff, v1
	v_cmp_ne_u32_e32 vcc_lo, 0, v9
	s_and_b32 s10, vcc_lo, exec_lo
	s_delay_alu instid0(SALU_CYCLE_1)
	s_or_b32 s8, s8, s10
	s_or_b32 exec_lo, exec_lo, s9
	v_mov_b32_e32 v1, 0
	s_and_saveexec_b32 s9, s8
	s_cbranch_execnz .LBB296_50
	s_branch .LBB296_51
.LBB296_530:
	v_bfe_u32 v1, v8, 20, 1
	s_mov_b32 s8, exec_lo
	s_delay_alu instid0(VALU_DEP_1) | instskip(NEXT) | instid1(VALU_DEP_1)
	v_add3_u32 v1, v8, v1, 0x487ffff
	v_lshrrev_b32_e32 v9, 20, v1
	s_and_not1_saveexec_b32 s9, s9
	s_cbranch_execz .LBB296_57
.LBB296_531:
	v_add_f32_e64 v1, 0x46000000, |v8|
	s_and_not1_b32 s8, s8, exec_lo
	s_delay_alu instid0(VALU_DEP_1) | instskip(NEXT) | instid1(VALU_DEP_1)
	v_and_b32_e32 v9, 0xff, v1
	v_cmp_ne_u32_e32 vcc_lo, 0, v9
	s_and_b32 s10, vcc_lo, exec_lo
	s_delay_alu instid0(SALU_CYCLE_1)
	s_or_b32 s8, s8, s10
	s_or_b32 exec_lo, exec_lo, s9
	v_mov_b32_e32 v1, 0
	s_and_saveexec_b32 s9, s8
	s_cbranch_execnz .LBB296_58
	s_branch .LBB296_59
.LBB296_532:
	v_bfe_u32 v1, v8, 20, 1
	s_mov_b32 s8, exec_lo
	s_delay_alu instid0(VALU_DEP_1) | instskip(NEXT) | instid1(VALU_DEP_1)
	v_add3_u32 v1, v8, v1, 0x487ffff
	v_lshrrev_b32_e32 v9, 20, v1
	s_and_not1_saveexec_b32 s9, s9
	s_cbranch_execz .LBB296_79
.LBB296_533:
	v_add_f32_e64 v1, 0x46000000, |v8|
	s_and_not1_b32 s8, s8, exec_lo
	s_delay_alu instid0(VALU_DEP_1) | instskip(NEXT) | instid1(VALU_DEP_1)
	v_and_b32_e32 v9, 0xff, v1
	v_cmp_ne_u32_e32 vcc_lo, 0, v9
	s_and_b32 s10, vcc_lo, exec_lo
	s_delay_alu instid0(SALU_CYCLE_1)
	s_or_b32 s8, s8, s10
	s_or_b32 exec_lo, exec_lo, s9
	v_mov_b32_e32 v1, 0
	s_and_saveexec_b32 s9, s8
	s_cbranch_execnz .LBB296_80
	s_branch .LBB296_81
.LBB296_534:
	v_bfe_u32 v1, v8, 20, 1
	s_mov_b32 s8, exec_lo
	s_delay_alu instid0(VALU_DEP_1) | instskip(NEXT) | instid1(VALU_DEP_1)
	v_add3_u32 v1, v8, v1, 0x487ffff
	v_lshrrev_b32_e32 v9, 20, v1
	s_and_not1_saveexec_b32 s9, s9
	s_cbranch_execz .LBB296_87
.LBB296_535:
	v_add_f32_e64 v1, 0x46000000, |v8|
	s_and_not1_b32 s8, s8, exec_lo
	s_delay_alu instid0(VALU_DEP_1) | instskip(NEXT) | instid1(VALU_DEP_1)
	v_and_b32_e32 v9, 0xff, v1
	v_cmp_ne_u32_e32 vcc_lo, 0, v9
	s_and_b32 s10, vcc_lo, exec_lo
	s_delay_alu instid0(SALU_CYCLE_1)
	s_or_b32 s8, s8, s10
	s_or_b32 exec_lo, exec_lo, s9
	v_mov_b32_e32 v1, 0
	s_and_saveexec_b32 s9, s8
	s_cbranch_execnz .LBB296_88
	s_branch .LBB296_89
.LBB296_536:
	v_bfe_u32 v3, v2, 20, 1
	s_mov_b32 s7, exec_lo
	s_delay_alu instid0(VALU_DEP_1) | instskip(NEXT) | instid1(VALU_DEP_1)
	v_add3_u32 v3, v2, v3, 0x487ffff
	v_lshrrev_b32_e32 v3, 20, v3
	s_and_not1_saveexec_b32 s8, s8
	s_cbranch_execz .LBB296_148
.LBB296_537:
	v_add_f32_e64 v3, 0x46000000, |v2|
	s_and_not1_b32 s7, s7, exec_lo
	s_delay_alu instid0(VALU_DEP_1) | instskip(NEXT) | instid1(VALU_DEP_1)
	v_and_b32_e32 v3, 0xff, v3
	v_cmp_ne_u32_e32 vcc_lo, 0, v3
	s_and_b32 s9, vcc_lo, exec_lo
	s_delay_alu instid0(SALU_CYCLE_1)
	s_or_b32 s7, s7, s9
	s_or_b32 exec_lo, exec_lo, s8
	v_mov_b32_e32 v11, 0
	s_and_saveexec_b32 s8, s7
	s_cbranch_execnz .LBB296_149
	s_branch .LBB296_150
.LBB296_538:
	v_bfe_u32 v3, v2, 20, 1
	s_mov_b32 s7, exec_lo
	s_delay_alu instid0(VALU_DEP_1) | instskip(NEXT) | instid1(VALU_DEP_1)
	v_add3_u32 v3, v2, v3, 0x487ffff
	v_lshrrev_b32_e32 v3, 20, v3
	s_and_not1_saveexec_b32 s8, s8
	s_cbranch_execz .LBB296_156
.LBB296_539:
	v_add_f32_e64 v3, 0x46000000, |v2|
	s_and_not1_b32 s7, s7, exec_lo
	s_delay_alu instid0(VALU_DEP_1) | instskip(NEXT) | instid1(VALU_DEP_1)
	v_and_b32_e32 v3, 0xff, v3
	v_cmp_ne_u32_e32 vcc_lo, 0, v3
	s_and_b32 s9, vcc_lo, exec_lo
	s_delay_alu instid0(SALU_CYCLE_1)
	s_or_b32 s7, s7, s9
	s_or_b32 exec_lo, exec_lo, s8
	v_mov_b32_e32 v11, 0
	s_and_saveexec_b32 s8, s7
	s_cbranch_execnz .LBB296_157
	s_branch .LBB296_158
.LBB296_540:
	v_bfe_u32 v3, v2, 20, 1
	s_mov_b32 s7, exec_lo
	s_delay_alu instid0(VALU_DEP_1) | instskip(NEXT) | instid1(VALU_DEP_1)
	v_add3_u32 v3, v2, v3, 0x487ffff
	v_lshrrev_b32_e32 v3, 20, v3
	s_and_not1_saveexec_b32 s8, s8
	s_cbranch_execz .LBB296_176
.LBB296_541:
	v_add_f32_e64 v3, 0x46000000, |v2|
	s_and_not1_b32 s7, s7, exec_lo
	s_delay_alu instid0(VALU_DEP_1) | instskip(NEXT) | instid1(VALU_DEP_1)
	v_and_b32_e32 v3, 0xff, v3
	v_cmp_ne_u32_e32 vcc_lo, 0, v3
	s_and_b32 s9, vcc_lo, exec_lo
	s_delay_alu instid0(SALU_CYCLE_1)
	s_or_b32 s7, s7, s9
	s_or_b32 exec_lo, exec_lo, s8
	v_mov_b32_e32 v11, 0
	s_and_saveexec_b32 s8, s7
	s_cbranch_execnz .LBB296_177
	s_branch .LBB296_178
.LBB296_542:
	v_bfe_u32 v3, v2, 20, 1
	s_mov_b32 s7, exec_lo
	s_delay_alu instid0(VALU_DEP_1) | instskip(NEXT) | instid1(VALU_DEP_1)
	v_add3_u32 v3, v2, v3, 0x487ffff
	v_lshrrev_b32_e32 v3, 20, v3
	s_and_not1_saveexec_b32 s8, s8
	s_cbranch_execz .LBB296_184
.LBB296_543:
	v_add_f32_e64 v3, 0x46000000, |v2|
	s_and_not1_b32 s7, s7, exec_lo
	s_delay_alu instid0(VALU_DEP_1) | instskip(NEXT) | instid1(VALU_DEP_1)
	v_and_b32_e32 v3, 0xff, v3
	v_cmp_ne_u32_e32 vcc_lo, 0, v3
	s_and_b32 s9, vcc_lo, exec_lo
	s_delay_alu instid0(SALU_CYCLE_1)
	s_or_b32 s7, s7, s9
	s_or_b32 exec_lo, exec_lo, s8
	v_mov_b32_e32 v11, 0
	s_and_saveexec_b32 s8, s7
	s_cbranch_execnz .LBB296_185
	s_branch .LBB296_186
.LBB296_544:
	v_bfe_u32 v3, v2, 20, 1
	s_mov_b32 s7, exec_lo
	s_delay_alu instid0(VALU_DEP_1) | instskip(NEXT) | instid1(VALU_DEP_1)
	v_add3_u32 v3, v2, v3, 0x487ffff
	v_lshrrev_b32_e32 v3, 20, v3
	s_and_not1_saveexec_b32 s8, s8
	s_cbranch_execz .LBB296_206
.LBB296_545:
	v_add_f32_e64 v3, 0x46000000, |v2|
	s_and_not1_b32 s7, s7, exec_lo
	s_delay_alu instid0(VALU_DEP_1) | instskip(NEXT) | instid1(VALU_DEP_1)
	v_and_b32_e32 v3, 0xff, v3
	v_cmp_ne_u32_e32 vcc_lo, 0, v3
	s_and_b32 s9, vcc_lo, exec_lo
	s_delay_alu instid0(SALU_CYCLE_1)
	s_or_b32 s7, s7, s9
	s_or_b32 exec_lo, exec_lo, s8
	v_mov_b32_e32 v11, 0
	s_and_saveexec_b32 s8, s7
	s_cbranch_execnz .LBB296_207
	s_branch .LBB296_208
.LBB296_546:
	v_bfe_u32 v3, v2, 20, 1
	s_mov_b32 s7, exec_lo
	s_delay_alu instid0(VALU_DEP_1) | instskip(NEXT) | instid1(VALU_DEP_1)
	v_add3_u32 v3, v2, v3, 0x487ffff
	v_lshrrev_b32_e32 v3, 20, v3
	s_and_not1_saveexec_b32 s8, s8
	s_cbranch_execz .LBB296_214
.LBB296_547:
	v_add_f32_e64 v3, 0x46000000, |v2|
	s_and_not1_b32 s7, s7, exec_lo
	s_delay_alu instid0(VALU_DEP_1) | instskip(NEXT) | instid1(VALU_DEP_1)
	v_and_b32_e32 v3, 0xff, v3
	v_cmp_ne_u32_e32 vcc_lo, 0, v3
	s_and_b32 s9, vcc_lo, exec_lo
	s_delay_alu instid0(SALU_CYCLE_1)
	s_or_b32 s7, s7, s9
	s_or_b32 exec_lo, exec_lo, s8
	v_mov_b32_e32 v11, 0
	s_and_saveexec_b32 s8, s7
	s_cbranch_execnz .LBB296_215
	s_branch .LBB296_216
.LBB296_548:
	v_bfe_u32 v1, v11, 20, 1
	s_mov_b32 s9, exec_lo
	s_delay_alu instid0(VALU_DEP_1) | instskip(NEXT) | instid1(VALU_DEP_1)
	v_add3_u32 v1, v11, v1, 0x487ffff
                                        ; implicit-def: $vgpr11
	v_lshrrev_b32_e32 v10, 20, v1
	s_and_not1_saveexec_b32 s10, s10
	s_cbranch_execz .LBB296_296
.LBB296_549:
	v_add_f32_e32 v1, 0x46000000, v11
	s_and_not1_b32 s9, s9, exec_lo
	s_delay_alu instid0(VALU_DEP_1) | instskip(NEXT) | instid1(VALU_DEP_1)
	v_and_b32_e32 v10, 0xff, v1
	v_cmp_ne_u32_e32 vcc_lo, 0, v10
	s_and_b32 s11, vcc_lo, exec_lo
	s_delay_alu instid0(SALU_CYCLE_1)
	s_or_b32 s9, s9, s11
	s_or_b32 exec_lo, exec_lo, s10
	v_mov_b32_e32 v1, 0
	s_and_saveexec_b32 s10, s9
	s_cbranch_execnz .LBB296_297
	s_branch .LBB296_298
.LBB296_550:
	v_bfe_u32 v1, v11, 20, 1
	s_mov_b32 s9, exec_lo
	s_delay_alu instid0(VALU_DEP_1) | instskip(NEXT) | instid1(VALU_DEP_1)
	v_add3_u32 v1, v11, v1, 0x487ffff
                                        ; implicit-def: $vgpr11
	v_lshrrev_b32_e32 v10, 20, v1
	s_and_not1_saveexec_b32 s10, s10
	s_cbranch_execz .LBB296_308
.LBB296_551:
	v_add_f32_e32 v1, 0x46000000, v11
	s_and_not1_b32 s9, s9, exec_lo
	s_delay_alu instid0(VALU_DEP_1) | instskip(NEXT) | instid1(VALU_DEP_1)
	v_and_b32_e32 v10, 0xff, v1
	v_cmp_ne_u32_e32 vcc_lo, 0, v10
	s_and_b32 s11, vcc_lo, exec_lo
	s_delay_alu instid0(SALU_CYCLE_1)
	s_or_b32 s9, s9, s11
	s_or_b32 exec_lo, exec_lo, s10
	v_mov_b32_e32 v1, 0
	s_and_saveexec_b32 s10, s9
	s_cbranch_execnz .LBB296_309
	s_branch .LBB296_310
.LBB296_552:
	v_bfe_u32 v1, v11, 20, 1
	s_mov_b32 s9, exec_lo
	s_delay_alu instid0(VALU_DEP_1) | instskip(NEXT) | instid1(VALU_DEP_1)
	v_add3_u32 v1, v11, v1, 0x487ffff
                                        ; implicit-def: $vgpr11
	v_lshrrev_b32_e32 v10, 20, v1
	s_and_not1_saveexec_b32 s10, s10
	s_cbranch_execz .LBB296_316
.LBB296_553:
	v_add_f32_e32 v1, 0x46000000, v11
	s_and_not1_b32 s9, s9, exec_lo
	s_delay_alu instid0(VALU_DEP_1) | instskip(NEXT) | instid1(VALU_DEP_1)
	v_and_b32_e32 v10, 0xff, v1
	v_cmp_ne_u32_e32 vcc_lo, 0, v10
	s_and_b32 s11, vcc_lo, exec_lo
	s_delay_alu instid0(SALU_CYCLE_1)
	s_or_b32 s9, s9, s11
	s_or_b32 exec_lo, exec_lo, s10
	v_mov_b32_e32 v1, 0
	s_and_saveexec_b32 s10, s9
	s_cbranch_execnz .LBB296_317
	s_branch .LBB296_318
.LBB296_554:
	v_bfe_u32 v1, v10, 20, 1
	s_mov_b32 s8, exec_lo
	s_delay_alu instid0(VALU_DEP_1) | instskip(NEXT) | instid1(VALU_DEP_1)
	v_add3_u32 v1, v10, v1, 0x487ffff
	v_lshrrev_b32_e32 v11, 20, v1
	s_and_not1_saveexec_b32 s9, s9
	s_cbranch_execz .LBB296_335
.LBB296_555:
	v_add_f32_e64 v1, 0x46000000, |v10|
	s_and_not1_b32 s8, s8, exec_lo
	s_delay_alu instid0(VALU_DEP_1) | instskip(NEXT) | instid1(VALU_DEP_1)
	v_and_b32_e32 v11, 0xff, v1
	v_cmp_ne_u32_e32 vcc_lo, 0, v11
	s_and_b32 s10, vcc_lo, exec_lo
	s_delay_alu instid0(SALU_CYCLE_1)
	s_or_b32 s8, s8, s10
	s_or_b32 exec_lo, exec_lo, s9
	v_mov_b32_e32 v1, 0
	s_and_saveexec_b32 s9, s8
	s_cbranch_execnz .LBB296_336
	s_branch .LBB296_337
.LBB296_556:
	v_bfe_u32 v1, v12, 20, 1
	s_mov_b32 s8, exec_lo
	s_delay_alu instid0(VALU_DEP_1) | instskip(NEXT) | instid1(VALU_DEP_1)
	v_add3_u32 v1, v10, v1, 0x487ffff
	v_lshrrev_b32_e32 v11, 20, v1
	s_and_not1_saveexec_b32 s9, s9
	s_cbranch_execz .LBB296_343
.LBB296_557:
	v_add_f32_e64 v1, 0x46000000, |v10|
	s_and_not1_b32 s8, s8, exec_lo
	s_delay_alu instid0(VALU_DEP_1) | instskip(NEXT) | instid1(VALU_DEP_1)
	v_and_b32_e32 v11, 0xff, v1
	v_cmp_ne_u32_e32 vcc_lo, 0, v11
	s_and_b32 s10, vcc_lo, exec_lo
	s_delay_alu instid0(SALU_CYCLE_1)
	s_or_b32 s8, s8, s10
	s_or_b32 exec_lo, exec_lo, s9
	v_mov_b32_e32 v1, 0
	s_and_saveexec_b32 s9, s8
	s_cbranch_execnz .LBB296_344
	s_branch .LBB296_345
.LBB296_558:
	v_bfe_u32 v1, v10, 4, 1
	s_mov_b32 s9, exec_lo
	s_delay_alu instid0(VALU_DEP_1) | instskip(NEXT) | instid1(VALU_DEP_1)
	v_add3_u32 v1, v12, v1, 0x487ffff
                                        ; implicit-def: $vgpr12
	v_lshrrev_b32_e32 v11, 20, v1
	s_and_not1_saveexec_b32 s10, s10
	s_cbranch_execz .LBB296_363
.LBB296_559:
	v_add_f32_e64 v1, 0x46000000, |v12|
	s_and_not1_b32 s9, s9, exec_lo
	s_delay_alu instid0(VALU_DEP_1) | instskip(NEXT) | instid1(VALU_DEP_1)
	v_and_b32_e32 v11, 0xff, v1
	v_cmp_ne_u32_e32 vcc_lo, 0, v11
	s_and_b32 s11, vcc_lo, exec_lo
	s_delay_alu instid0(SALU_CYCLE_1)
	s_or_b32 s9, s9, s11
	s_or_b32 exec_lo, exec_lo, s10
	v_mov_b32_e32 v1, 0
	s_and_saveexec_b32 s10, s9
	s_cbranch_execnz .LBB296_364
	s_branch .LBB296_365
.LBB296_560:
	s_mov_b32 s9, -1
	s_mov_b32 s11, exec_lo
	v_cmpx_eq_u16_e32 0x80, v3
; %bb.561:
	s_xor_b32 s9, exec_lo, -1
; %bb.562:
	s_or_b32 exec_lo, exec_lo, s11
	s_delay_alu instid0(SALU_CYCLE_1)
	s_and_b32 s9, s9, exec_lo
	s_or_saveexec_b32 s10, s10
	v_mov_b32_e32 v2, 0x7f800001
	s_xor_b32 exec_lo, exec_lo, s10
	s_cbranch_execz .LBB296_435
.LBB296_563:
	v_cmp_ne_u16_e32 vcc_lo, 0, v3
	v_mov_b32_e32 v2, 0
	s_and_not1_b32 s9, s9, exec_lo
	s_and_b32 s11, vcc_lo, exec_lo
	s_delay_alu instid0(SALU_CYCLE_1)
	s_or_b32 s9, s9, s11
	s_or_b32 exec_lo, exec_lo, s10
	s_and_saveexec_b32 s10, s9
	s_cbranch_execnz .LBB296_436
	s_branch .LBB296_437
.LBB296_564:
	v_bfe_u32 v3, v4, 20, 1
	s_mov_b32 s9, exec_lo
	s_delay_alu instid0(VALU_DEP_1) | instskip(NEXT) | instid1(VALU_DEP_1)
	v_add3_u32 v3, v2, v3, 0x487ffff
	v_lshrrev_b32_e32 v3, 20, v3
	s_and_not1_saveexec_b32 s10, s10
	s_cbranch_execz .LBB296_457
.LBB296_565:
	v_add_f32_e64 v3, 0x46000000, |v2|
	s_and_not1_b32 s9, s9, exec_lo
	s_delay_alu instid0(VALU_DEP_1) | instskip(NEXT) | instid1(VALU_DEP_1)
	v_and_b32_e32 v3, 0xff, v3
	v_cmp_ne_u32_e32 vcc_lo, 0, v3
	s_and_b32 s11, vcc_lo, exec_lo
	s_delay_alu instid0(SALU_CYCLE_1)
	s_or_b32 s9, s9, s11
	s_or_b32 exec_lo, exec_lo, s10
	v_mov_b32_e32 v11, 0
	s_and_saveexec_b32 s10, s9
	s_cbranch_execnz .LBB296_458
	s_branch .LBB296_459
.LBB296_566:
	v_bfe_u32 v1, v10, 20, 1
	s_mov_b32 s8, exec_lo
	s_delay_alu instid0(VALU_DEP_1) | instskip(NEXT) | instid1(VALU_DEP_1)
	v_add3_u32 v1, v10, v1, 0x487ffff
	v_lshrrev_b32_e32 v11, 20, v1
	s_and_not1_saveexec_b32 s9, s9
	s_cbranch_execz .LBB296_275
.LBB296_567:
	v_add_f32_e64 v1, 0x46000000, |v10|
	s_and_not1_b32 s8, s8, exec_lo
	s_delay_alu instid0(VALU_DEP_1) | instskip(NEXT) | instid1(VALU_DEP_1)
	v_and_b32_e32 v11, 0xff, v1
	v_cmp_ne_u32_e32 vcc_lo, 0, v11
	s_and_b32 s10, vcc_lo, exec_lo
	s_delay_alu instid0(SALU_CYCLE_1)
	s_or_b32 s8, s8, s10
	s_or_b32 exec_lo, exec_lo, s9
	v_mov_b32_e32 v1, 0
	s_and_saveexec_b32 s9, s8
	s_cbranch_execnz .LBB296_276
	s_branch .LBB296_277
.LBB296_568:
	v_bfe_u32 v1, v11, 20, 1
	s_mov_b32 s10, exec_lo
	s_delay_alu instid0(VALU_DEP_1) | instskip(NEXT) | instid1(VALU_DEP_1)
	v_add3_u32 v1, v11, v1, 0x487ffff
                                        ; implicit-def: $vgpr11
	v_lshrrev_b32_e32 v10, 20, v1
	s_and_not1_saveexec_b32 s11, s11
	s_cbranch_execz .LBB296_285
.LBB296_569:
	v_add_f32_e32 v1, 0x46000000, v11
	s_and_not1_b32 s10, s10, exec_lo
	s_delay_alu instid0(VALU_DEP_1) | instskip(NEXT) | instid1(VALU_DEP_1)
	v_and_b32_e32 v10, 0xff, v1
	v_cmp_ne_u32_e32 vcc_lo, 0, v10
	s_and_b32 s12, vcc_lo, exec_lo
	s_delay_alu instid0(SALU_CYCLE_1)
	s_or_b32 s10, s10, s12
	s_or_b32 exec_lo, exec_lo, s11
	v_mov_b32_e32 v1, 0
	s_and_saveexec_b32 s11, s10
	s_cbranch_execnz .LBB296_286
	s_branch .LBB296_287
.LBB296_570:
	v_bfe_u32 v2, v3, 20, 1
	s_mov_b32 s11, exec_lo
	s_delay_alu instid0(VALU_DEP_1) | instskip(NEXT) | instid1(VALU_DEP_1)
	v_add3_u32 v2, v3, v2, 0x487ffff
                                        ; implicit-def: $vgpr3
	v_lshrrev_b32_e32 v2, 20, v2
	s_and_not1_saveexec_b32 s12, s12
	s_cbranch_execz .LBB296_401
.LBB296_571:
	v_add_f32_e32 v2, 0x46000000, v3
	s_and_not1_b32 s11, s11, exec_lo
	s_delay_alu instid0(VALU_DEP_1) | instskip(NEXT) | instid1(VALU_DEP_1)
	v_and_b32_e32 v2, 0xff, v2
	v_cmp_ne_u32_e32 vcc_lo, 0, v2
	s_and_b32 s13, vcc_lo, exec_lo
	s_delay_alu instid0(SALU_CYCLE_1)
	s_or_b32 s11, s11, s13
	s_or_b32 exec_lo, exec_lo, s12
	v_mov_b32_e32 v11, 0
	s_and_saveexec_b32 s12, s11
	s_cbranch_execnz .LBB296_402
	s_branch .LBB296_403
.LBB296_572:
	v_bfe_u32 v2, v3, 20, 1
	s_mov_b32 s11, exec_lo
	s_delay_alu instid0(VALU_DEP_1) | instskip(NEXT) | instid1(VALU_DEP_1)
	v_add3_u32 v2, v3, v2, 0x487ffff
                                        ; implicit-def: $vgpr3
	v_lshrrev_b32_e32 v2, 20, v2
	s_and_not1_saveexec_b32 s12, s12
	s_cbranch_execz .LBB296_413
.LBB296_573:
	v_add_f32_e32 v2, 0x46000000, v3
	s_and_not1_b32 s11, s11, exec_lo
	s_delay_alu instid0(VALU_DEP_1) | instskip(NEXT) | instid1(VALU_DEP_1)
	v_and_b32_e32 v2, 0xff, v2
	v_cmp_ne_u32_e32 vcc_lo, 0, v2
	s_and_b32 s13, vcc_lo, exec_lo
	s_delay_alu instid0(SALU_CYCLE_1)
	s_or_b32 s11, s11, s13
	s_or_b32 exec_lo, exec_lo, s12
	v_mov_b32_e32 v11, 0
	s_and_saveexec_b32 s12, s11
	s_cbranch_execnz .LBB296_414
	s_branch .LBB296_415
.LBB296_574:
	v_bfe_u32 v2, v3, 20, 1
	s_mov_b32 s11, exec_lo
	s_delay_alu instid0(VALU_DEP_1) | instskip(NEXT) | instid1(VALU_DEP_1)
	v_add3_u32 v2, v3, v2, 0x487ffff
                                        ; implicit-def: $vgpr3
	v_lshrrev_b32_e32 v2, 20, v2
	s_and_not1_saveexec_b32 s12, s12
	s_cbranch_execz .LBB296_421
.LBB296_575:
	v_add_f32_e32 v2, 0x46000000, v3
	s_and_not1_b32 s11, s11, exec_lo
	s_delay_alu instid0(VALU_DEP_1) | instskip(NEXT) | instid1(VALU_DEP_1)
	v_and_b32_e32 v2, 0xff, v2
	v_cmp_ne_u32_e32 vcc_lo, 0, v2
	s_and_b32 s13, vcc_lo, exec_lo
	s_delay_alu instid0(SALU_CYCLE_1)
	s_or_b32 s11, s11, s13
	s_or_b32 exec_lo, exec_lo, s12
	v_mov_b32_e32 v11, 0
	s_and_saveexec_b32 s12, s11
	s_cbranch_execnz .LBB296_422
	s_branch .LBB296_423
.LBB296_576:
	v_bfe_u32 v3, v2, 20, 1
	s_mov_b32 s10, exec_lo
	s_delay_alu instid0(VALU_DEP_1) | instskip(NEXT) | instid1(VALU_DEP_1)
	v_add3_u32 v3, v2, v3, 0x487ffff
	v_lshrrev_b32_e32 v3, 20, v3
	s_and_not1_saveexec_b32 s11, s11
	s_cbranch_execz .LBB296_440
.LBB296_577:
	v_add_f32_e64 v3, 0x46000000, |v2|
	s_and_not1_b32 s10, s10, exec_lo
	s_delay_alu instid0(VALU_DEP_1) | instskip(NEXT) | instid1(VALU_DEP_1)
	v_and_b32_e32 v3, 0xff, v3
	v_cmp_ne_u32_e32 vcc_lo, 0, v3
	s_and_b32 s12, vcc_lo, exec_lo
	s_delay_alu instid0(SALU_CYCLE_1)
	s_or_b32 s10, s10, s12
	s_or_b32 exec_lo, exec_lo, s11
	v_mov_b32_e32 v11, 0
	s_and_saveexec_b32 s11, s10
	s_cbranch_execnz .LBB296_441
	s_branch .LBB296_442
.LBB296_578:
	v_bfe_u32 v3, v4, 20, 1
	s_mov_b32 s10, exec_lo
	s_delay_alu instid0(VALU_DEP_1) | instskip(NEXT) | instid1(VALU_DEP_1)
	v_add3_u32 v3, v2, v3, 0x487ffff
	v_lshrrev_b32_e32 v3, 20, v3
	s_and_not1_saveexec_b32 s11, s11
	s_cbranch_execz .LBB296_448
.LBB296_579:
	v_add_f32_e64 v3, 0x46000000, |v2|
	s_and_not1_b32 s10, s10, exec_lo
	s_delay_alu instid0(VALU_DEP_1) | instskip(NEXT) | instid1(VALU_DEP_1)
	v_and_b32_e32 v3, 0xff, v3
	v_cmp_ne_u32_e32 vcc_lo, 0, v3
	s_and_b32 s12, vcc_lo, exec_lo
	s_delay_alu instid0(SALU_CYCLE_1)
	s_or_b32 s10, s10, s12
	s_or_b32 exec_lo, exec_lo, s11
	v_mov_b32_e32 v11, 0
	s_and_saveexec_b32 s11, s10
	s_cbranch_execnz .LBB296_449
	s_branch .LBB296_450
.LBB296_580:
	v_bfe_u32 v3, v2, 4, 1
	s_mov_b32 s11, exec_lo
	s_delay_alu instid0(VALU_DEP_1) | instskip(NEXT) | instid1(VALU_DEP_1)
	v_add3_u32 v3, v4, v3, 0x487ffff
                                        ; implicit-def: $vgpr4
	v_lshrrev_b32_e32 v3, 20, v3
	s_and_not1_saveexec_b32 s12, s12
	s_cbranch_execz .LBB296_468
.LBB296_581:
	v_add_f32_e64 v3, 0x46000000, |v4|
	s_and_not1_b32 s11, s11, exec_lo
	s_delay_alu instid0(VALU_DEP_1) | instskip(NEXT) | instid1(VALU_DEP_1)
	v_and_b32_e32 v3, 0xff, v3
	v_cmp_ne_u32_e32 vcc_lo, 0, v3
	s_and_b32 s13, vcc_lo, exec_lo
	s_delay_alu instid0(SALU_CYCLE_1)
	s_or_b32 s11, s11, s13
	s_or_b32 exec_lo, exec_lo, s12
	v_mov_b32_e32 v11, 0
	s_and_saveexec_b32 s12, s11
	s_cbranch_execnz .LBB296_469
	s_branch .LBB296_470
.LBB296_582:
	v_bfe_u32 v3, v2, 20, 1
	s_mov_b32 s10, exec_lo
	s_delay_alu instid0(VALU_DEP_1) | instskip(NEXT) | instid1(VALU_DEP_1)
	v_add3_u32 v3, v2, v3, 0x487ffff
	v_lshrrev_b32_e32 v3, 20, v3
	s_and_not1_saveexec_b32 s11, s11
	s_cbranch_execz .LBB296_380
.LBB296_583:
	v_add_f32_e64 v3, 0x46000000, |v2|
	s_and_not1_b32 s10, s10, exec_lo
	s_delay_alu instid0(VALU_DEP_1) | instskip(NEXT) | instid1(VALU_DEP_1)
	v_and_b32_e32 v3, 0xff, v3
	v_cmp_ne_u32_e32 vcc_lo, 0, v3
	s_and_b32 s12, vcc_lo, exec_lo
	s_delay_alu instid0(SALU_CYCLE_1)
	s_or_b32 s10, s10, s12
	s_or_b32 exec_lo, exec_lo, s11
	v_mov_b32_e32 v11, 0
	s_and_saveexec_b32 s11, s10
	s_cbranch_execnz .LBB296_381
	s_branch .LBB296_382
.LBB296_584:
	v_bfe_u32 v2, v3, 20, 1
	s_mov_b32 s12, exec_lo
	s_delay_alu instid0(VALU_DEP_1) | instskip(NEXT) | instid1(VALU_DEP_1)
	v_add3_u32 v2, v3, v2, 0x487ffff
                                        ; implicit-def: $vgpr3
	v_lshrrev_b32_e32 v2, 20, v2
	s_and_not1_saveexec_b32 s13, s13
	s_cbranch_execz .LBB296_390
.LBB296_585:
	v_add_f32_e32 v2, 0x46000000, v3
	s_and_not1_b32 s12, s12, exec_lo
	s_delay_alu instid0(VALU_DEP_1) | instskip(NEXT) | instid1(VALU_DEP_1)
	v_and_b32_e32 v2, 0xff, v2
	v_cmp_ne_u32_e32 vcc_lo, 0, v2
	s_and_b32 s14, vcc_lo, exec_lo
	s_delay_alu instid0(SALU_CYCLE_1)
	s_or_b32 s12, s12, s14
	s_or_b32 exec_lo, exec_lo, s13
	v_mov_b32_e32 v11, 0
	s_and_saveexec_b32 s13, s12
	s_cbranch_execnz .LBB296_391
	s_branch .LBB296_392
.Lfunc_end296:
	.size	_ZN2at6native6invokeINS0_13BinaryFunctorIN3c1015Float8_e4m3fnuzES4_bNS0_12_GLOBAL__N_116CompareEqFunctorIS4_EEEEj15function_traitsIS8_EEENT1_11result_typeERKT_PrKPcPKT0_PKNS3_10ScalarTypeEi, .Lfunc_end296-_ZN2at6native6invokeINS0_13BinaryFunctorIN3c1015Float8_e4m3fnuzES4_bNS0_12_GLOBAL__N_116CompareEqFunctorIS4_EEEEj15function_traitsIS8_EEENT1_11result_typeERKT_PrKPcPKT0_PKNS3_10ScalarTypeEi
                                        ; -- End function
	.set .L_ZN2at6native6invokeINS0_13BinaryFunctorIN3c1015Float8_e4m3fnuzES4_bNS0_12_GLOBAL__N_116CompareEqFunctorIS4_EEEEj15function_traitsIS8_EEENT1_11result_typeERKT_PrKPcPKT0_PKNS3_10ScalarTypeEi.num_vgpr, 15
	.set .L_ZN2at6native6invokeINS0_13BinaryFunctorIN3c1015Float8_e4m3fnuzES4_bNS0_12_GLOBAL__N_116CompareEqFunctorIS4_EEEEj15function_traitsIS8_EEENT1_11result_typeERKT_PrKPcPKT0_PKNS3_10ScalarTypeEi.num_agpr, 0
	.set .L_ZN2at6native6invokeINS0_13BinaryFunctorIN3c1015Float8_e4m3fnuzES4_bNS0_12_GLOBAL__N_116CompareEqFunctorIS4_EEEEj15function_traitsIS8_EEENT1_11result_typeERKT_PrKPcPKT0_PKNS3_10ScalarTypeEi.numbered_sgpr, 32
	.set .L_ZN2at6native6invokeINS0_13BinaryFunctorIN3c1015Float8_e4m3fnuzES4_bNS0_12_GLOBAL__N_116CompareEqFunctorIS4_EEEEj15function_traitsIS8_EEENT1_11result_typeERKT_PrKPcPKT0_PKNS3_10ScalarTypeEi.num_named_barrier, 0
	.set .L_ZN2at6native6invokeINS0_13BinaryFunctorIN3c1015Float8_e4m3fnuzES4_bNS0_12_GLOBAL__N_116CompareEqFunctorIS4_EEEEj15function_traitsIS8_EEENT1_11result_typeERKT_PrKPcPKT0_PKNS3_10ScalarTypeEi.private_seg_size, 0
	.set .L_ZN2at6native6invokeINS0_13BinaryFunctorIN3c1015Float8_e4m3fnuzES4_bNS0_12_GLOBAL__N_116CompareEqFunctorIS4_EEEEj15function_traitsIS8_EEENT1_11result_typeERKT_PrKPcPKT0_PKNS3_10ScalarTypeEi.uses_vcc, 1
	.set .L_ZN2at6native6invokeINS0_13BinaryFunctorIN3c1015Float8_e4m3fnuzES4_bNS0_12_GLOBAL__N_116CompareEqFunctorIS4_EEEEj15function_traitsIS8_EEENT1_11result_typeERKT_PrKPcPKT0_PKNS3_10ScalarTypeEi.uses_flat_scratch, 0
	.set .L_ZN2at6native6invokeINS0_13BinaryFunctorIN3c1015Float8_e4m3fnuzES4_bNS0_12_GLOBAL__N_116CompareEqFunctorIS4_EEEEj15function_traitsIS8_EEENT1_11result_typeERKT_PrKPcPKT0_PKNS3_10ScalarTypeEi.has_dyn_sized_stack, 0
	.set .L_ZN2at6native6invokeINS0_13BinaryFunctorIN3c1015Float8_e4m3fnuzES4_bNS0_12_GLOBAL__N_116CompareEqFunctorIS4_EEEEj15function_traitsIS8_EEENT1_11result_typeERKT_PrKPcPKT0_PKNS3_10ScalarTypeEi.has_recursion, 0
	.set .L_ZN2at6native6invokeINS0_13BinaryFunctorIN3c1015Float8_e4m3fnuzES4_bNS0_12_GLOBAL__N_116CompareEqFunctorIS4_EEEEj15function_traitsIS8_EEENT1_11result_typeERKT_PrKPcPKT0_PKNS3_10ScalarTypeEi.has_indirect_call, 0
	.section	.AMDGPU.csdata,"",@progbits
; Function info:
; codeLenInByte = 15048
; TotalNumSgprs: 34
; NumVgprs: 15
; ScratchSize: 0
; MemoryBound: 0
	.section	.text._ZN2at6native32elementwise_kernel_manual_unrollILi128ELi4EZNS0_15gpu_kernel_implINS0_13BinaryFunctorIN3c1015Float8_e4m3fnuzES5_bNS0_12_GLOBAL__N_116CompareEqFunctorIS5_EEEEEEvRNS_18TensorIteratorBaseERKT_EUlibE0_EEviT1_,"axG",@progbits,_ZN2at6native32elementwise_kernel_manual_unrollILi128ELi4EZNS0_15gpu_kernel_implINS0_13BinaryFunctorIN3c1015Float8_e4m3fnuzES5_bNS0_12_GLOBAL__N_116CompareEqFunctorIS5_EEEEEEvRNS_18TensorIteratorBaseERKT_EUlibE0_EEviT1_,comdat
	.globl	_ZN2at6native32elementwise_kernel_manual_unrollILi128ELi4EZNS0_15gpu_kernel_implINS0_13BinaryFunctorIN3c1015Float8_e4m3fnuzES5_bNS0_12_GLOBAL__N_116CompareEqFunctorIS5_EEEEEEvRNS_18TensorIteratorBaseERKT_EUlibE0_EEviT1_ ; -- Begin function _ZN2at6native32elementwise_kernel_manual_unrollILi128ELi4EZNS0_15gpu_kernel_implINS0_13BinaryFunctorIN3c1015Float8_e4m3fnuzES5_bNS0_12_GLOBAL__N_116CompareEqFunctorIS5_EEEEEEvRNS_18TensorIteratorBaseERKT_EUlibE0_EEviT1_
	.p2align	8
	.type	_ZN2at6native32elementwise_kernel_manual_unrollILi128ELi4EZNS0_15gpu_kernel_implINS0_13BinaryFunctorIN3c1015Float8_e4m3fnuzES5_bNS0_12_GLOBAL__N_116CompareEqFunctorIS5_EEEEEEvRNS_18TensorIteratorBaseERKT_EUlibE0_EEviT1_,@function
_ZN2at6native32elementwise_kernel_manual_unrollILi128ELi4EZNS0_15gpu_kernel_implINS0_13BinaryFunctorIN3c1015Float8_e4m3fnuzES5_bNS0_12_GLOBAL__N_116CompareEqFunctorIS5_EEEEEEvRNS_18TensorIteratorBaseERKT_EUlibE0_EEviT1_: ; @_ZN2at6native32elementwise_kernel_manual_unrollILi128ELi4EZNS0_15gpu_kernel_implINS0_13BinaryFunctorIN3c1015Float8_e4m3fnuzES5_bNS0_12_GLOBAL__N_116CompareEqFunctorIS5_EEEEEEvRNS_18TensorIteratorBaseERKT_EUlibE0_EEviT1_
; %bb.0:
	s_clause 0xb
	s_load_b256 s[4:11], s[0:1], 0xa8
	s_load_b256 s[36:43], s[0:1], 0xc8
	;; [unrolled: 1-line block ×5, first 2 shown]
	s_load_b32 s28, s[0:1], 0x0
	s_load_b256 s[20:27], s[0:1], 0x8
	s_load_b256 s[68:75], s[0:1], 0x148
	;; [unrolled: 1-line block ×5, first 2 shown]
	s_load_b128 s[92:95], s[0:1], 0x1a0
	s_getreg_b32 s2, hwreg(HW_REG_IB_STS2, 6, 4)
	s_movk_i32 s32, 0x1c0
	s_wait_kmcnt 0x0
	v_mov_b64_e32 v[2:3], s[8:9]
	v_mov_b64_e32 v[6:7], s[36:37]
	;; [unrolled: 1-line block ×15, first 2 shown]
	s_clause 0x5
	scratch_store_b128 off, v[6:9], off offset:208
	scratch_store_b128 off, v[10:13], off offset:224
	;; [unrolled: 1-line block ×6, first 2 shown]
	s_wait_xcnt 0x5
	v_mov_b64_e32 v[6:7], s[64:65]
	v_mov_b64_e32 v[8:9], s[66:67]
	s_wait_xcnt 0x4
	v_mov_b64_e32 v[10:11], s[68:69]
	v_mov_b64_e32 v[12:13], s[70:71]
	s_wait_xcnt 0x3
	v_mov_b64_e32 v[14:15], s[72:73]
	s_load_b256 s[36:43], s[0:1], 0x48
	v_mov_b64_e32 v[16:17], s[74:75]
	v_mov_b64_e32 v[18:19], s[76:77]
	;; [unrolled: 1-line block ×5, first 2 shown]
	s_clause 0x5
	scratch_store_b128 off, v[30:33], off offset:304
	scratch_store_b128 off, v[6:9], off offset:320
	;; [unrolled: 1-line block ×6, first 2 shown]
	s_wait_xcnt 0x1
	v_mov_b64_e32 v[18:19], s[20:21]
	s_wait_xcnt 0x0
	v_mov_b64_e32 v[22:23], s[24:25]
	v_mov_b64_e32 v[20:21], s[22:23]
	;; [unrolled: 1-line block ×3, first 2 shown]
	s_clause 0x1
	s_load_b256 s[20:27], s[0:1], 0x68
	s_load_b256 s[44:51], s[0:1], 0x88
	v_mov_b64_e32 v[6:7], s[84:85]
	v_mov_b64_e32 v[8:9], s[86:87]
	;; [unrolled: 1-line block ×6, first 2 shown]
	s_clause 0x2
	scratch_store_b128 off, v[6:9], off offset:400
	scratch_store_b128 off, v[10:13], off offset:416
	;; [unrolled: 1-line block ×3, first 2 shown]
	s_wait_xcnt 0x2
	v_mov_b64_e32 v[6:7], s[12:13]
	v_mov_b64_e32 v[8:9], s[14:15]
	s_wait_xcnt 0x1
	v_mov_b64_e32 v[10:11], s[16:17]
	v_mov_b64_e32 v[12:13], s[18:19]
	s_wait_kmcnt 0x0
	v_mov_b64_e32 v[14:15], s[36:37]
	s_bfe_u32 s0, ttmp6, 0x4000c
	s_clause 0x1
	scratch_store_b128 off, v[18:21], off offset:16
	scratch_store_b128 off, v[22:25], off offset:32
	v_mov_b64_e32 v[16:17], s[38:39]
	s_wait_xcnt 0x1
	v_mov_b64_e32 v[18:19], s[40:41]
	v_mov_b64_e32 v[20:21], s[42:43]
	s_add_co_i32 s0, s0, 1
	s_and_b32 s1, ttmp6, 15
	s_mul_i32 s0, ttmp9, s0
	s_clause 0x1
	scratch_store_b128 off, v[6:9], off offset:48
	scratch_store_b128 off, v[10:13], off offset:64
	s_add_co_i32 s1, s1, s0
	s_wait_xcnt 0x1
	v_mov_b64_e32 v[6:7], s[20:21]
	s_cmp_eq_u32 s2, 0
	v_mov_b64_e32 v[8:9], s[22:23]
	s_wait_xcnt 0x0
	v_mov_b64_e32 v[10:11], s[24:25]
	s_clause 0x1
	scratch_store_b128 off, v[14:17], off offset:80
	scratch_store_b128 off, v[18:21], off offset:96
	v_mov_b64_e32 v[12:13], s[26:27]
	s_wait_xcnt 0x1
	v_mov_b64_e32 v[14:15], s[44:45]
	s_cselect_b32 s0, ttmp9, s1
	v_mov_b64_e32 v[16:17], s[46:47]
	s_wait_xcnt 0x0
	v_mov_b64_e32 v[18:19], s[48:49]
	v_mov_b64_e32 v[20:21], s[50:51]
	v_lshl_or_b32 v22, s0, 9, v0
	v_mov_b64_e32 v[4:5], s[10:11]
	s_clause 0x3
	scratch_store_b128 off, v[6:9], off offset:112
	scratch_store_b128 off, v[10:13], off offset:128
	;; [unrolled: 1-line block ×4, first 2 shown]
	s_wait_xcnt 0x3
	v_mov_b64_e32 v[8:9], s[6:7]
	v_mov_b64_e32 v[6:7], s[4:5]
	v_or_b32_e32 v0, 0x180, v22
	s_mov_b32 s15, 0
	s_mov_b32 s1, 0
	s_clause 0x1
	scratch_store_b128 off, v[2:5], off offset:192
	scratch_store_b128 off, v[6:9], off offset:176
	s_mov_b32 s0, exec_lo
	s_wait_xcnt 0x0
	v_cmpx_le_i32_e64 s28, v0
	s_xor_b32 s20, exec_lo, s0
	s_cbranch_execz .LBB297_139
; %bb.1:
	v_mbcnt_lo_u32_b32 v1, -1, 0
	v_dual_mov_b32 v0, 16 :: v_dual_mov_b32 v23, 0x7f
	s_mov_b32 s21, 0
	s_mov_b32 s22, 4
	s_delay_alu instid0(VALU_DEP_2)
	v_lshlrev_b32_e32 v1, 20, v1
	s_mov_b32 s24, 0
	s_get_pc_i64 s[16:17]
	s_add_nc_u64 s[16:17], s[16:17], _ZNK16OffsetCalculatorILi3EjLb0EE3getEj@rel64+4
	s_get_pc_i64 s[18:19]
	s_add_nc_u64 s[18:19], s[18:19], _ZN2at6native6invokeINS0_13BinaryFunctorIN3c1015Float8_e4m3fnuzES4_bNS0_12_GLOBAL__N_116CompareEqFunctorIS4_EEEEj15function_traitsIS8_EEENT1_11result_typeERKT_PrKPcPKT0_PKNS3_10ScalarTypeEi@rel64+4
                                        ; implicit-def: $sgpr23
                                        ; implicit-def: $sgpr25
	v_mov_b32_e32 v27, 0
	v_add_nc_u64_e32 v[20:21], src_flat_scratch_base_lo, v[0:1]
	v_mov_b32_e32 v0, 0
	s_delay_alu instid0(VALU_DEP_1) | instskip(NEXT) | instid1(VALU_DEP_3)
	v_add_nc_u64_e32 v[0:1], src_flat_scratch_base_lo, v[0:1]
	v_add_nc_u64_e32 v[28:29], 0x190, v[20:21]
	v_add_nc_u64_e32 v[30:31], 0x1a5, v[20:21]
	s_delay_alu instid0(VALU_DEP_3)
	v_add_nc_u64_e32 v[32:33], 4, v[0:1]
	s_branch .LBB297_3
.LBB297_2:                              ;   in Loop: Header=BB297_3 Depth=1
	s_or_b32 exec_lo, exec_lo, s2
	s_delay_alu instid0(SALU_CYCLE_1) | instskip(NEXT) | instid1(SALU_CYCLE_1)
	s_and_b32 s0, exec_lo, s1
	s_or_b32 s24, s0, s24
	s_and_not1_b32 s0, s23, exec_lo
	s_and_b32 s1, s25, exec_lo
	s_delay_alu instid0(SALU_CYCLE_1)
	s_or_b32 s23, s0, s1
	s_and_not1_b32 exec_lo, exec_lo, s24
	s_cbranch_execz .LBB297_137
.LBB297_3:                              ; =>This Inner Loop Header: Depth=1
	s_mov_b32 s0, -1
	s_mov_b32 s26, exec_lo
	v_cmpx_gt_i32_e64 s28, v22
	s_cbranch_execz .LBB297_89
; %bb.4:                                ;   in Loop: Header=BB297_3 Depth=1
	v_dual_mov_b32 v0, v20 :: v_dual_mov_b32 v1, v21
	v_mov_b32_e32 v2, v22
	s_swap_pc_i64 s[30:31], s[16:17]
	scratch_load_b32 v6, off, off offset:432
	v_mov_b32_e32 v26, v0
	scratch_store_b96 off, v[0:2], off
	s_wait_xcnt 0x0
	v_dual_mov_b32 v1, v28 :: v_dual_mov_b32 v2, v29
	v_dual_mov_b32 v3, v32 :: v_dual_mov_b32 v4, v33
	s_wait_loadcnt 0x0
	v_dual_mov_b32 v5, v30 :: v_dual_mov_b32 v0, v6
	v_mov_b32_e32 v6, v31
	s_swap_pc_i64 s[30:31], s[18:19]
	s_delay_alu instid0(VALU_DEP_2) | instskip(SKIP_2) | instid1(VALU_DEP_1)
	v_and_b32_e32 v0, 1, v0
	s_mov_b32 s1, 0
	s_mov_b32 s2, exec_lo
	v_cmp_eq_u32_e32 vcc_lo, 1, v0
	s_clause 0x1
	scratch_load_b64 v[0:1], off, off offset:408
	scratch_load_u8 v2, off, off offset:436
	s_wait_loadcnt 0x1
	v_add_nc_u64_e32 v[0:1], v[0:1], v[26:27]
	s_wait_loadcnt 0x0
	s_wait_xcnt 0x0
	v_cmpx_lt_i16_e32 10, v2
	s_xor_b32 s2, exec_lo, s2
	s_cbranch_execz .LBB297_91
; %bb.5:                                ;   in Loop: Header=BB297_3 Depth=1
	s_mov_b32 s3, exec_lo
	v_cmpx_lt_i16_e32 25, v2
	s_xor_b32 s3, exec_lo, s3
	s_cbranch_execz .LBB297_41
; %bb.6:                                ;   in Loop: Header=BB297_3 Depth=1
	s_mov_b32 s4, exec_lo
	;; [unrolled: 5-line block ×3, first 2 shown]
	v_cmpx_lt_i16_e32 43, v2
	s_xor_b32 s5, exec_lo, s5
	s_cbranch_execz .LBB297_19
; %bb.8:                                ;   in Loop: Header=BB297_3 Depth=1
	s_mov_b32 s6, 0
	s_mov_b32 s1, exec_lo
	v_cmpx_lt_i16_e32 45, v2
	s_xor_b32 s1, exec_lo, s1
	s_cbranch_execz .LBB297_12
; %bb.9:                                ;   in Loop: Header=BB297_3 Depth=1
	s_mov_b32 s7, exec_lo
	v_cmpx_eq_u16_e32 46, v2
	s_cbranch_execz .LBB297_11
; %bb.10:                               ;   in Loop: Header=BB297_3 Depth=1
	v_cndmask_b32_e64 v2, 0, 1.0, vcc_lo
	s_mov_b32 s6, exec_lo
	s_delay_alu instid0(VALU_DEP_1) | instskip(NEXT) | instid1(VALU_DEP_1)
	v_bfe_u32 v3, v2, 16, 1
	v_add3_u32 v2, v2, v3, 0x7fff
	s_delay_alu instid0(VALU_DEP_1)
	v_lshrrev_b32_e32 v2, 16, v2
	flat_store_b32 v[0:1], v2
.LBB297_11:                             ;   in Loop: Header=BB297_3 Depth=1
	s_wait_xcnt 0x0
	s_or_b32 exec_lo, exec_lo, s7
	s_delay_alu instid0(SALU_CYCLE_1)
	s_and_b32 s6, s6, exec_lo
                                        ; implicit-def: $vgpr2
                                        ; implicit-def: $vgpr0_vgpr1
.LBB297_12:                             ;   in Loop: Header=BB297_3 Depth=1
	s_and_not1_saveexec_b32 s7, s1
	s_cbranch_execz .LBB297_18
; %bb.13:                               ;   in Loop: Header=BB297_3 Depth=1
	s_mov_b32 s1, s6
	s_mov_b32 s8, exec_lo
	v_cmpx_eq_u16_e32 44, v2
	s_cbranch_execz .LBB297_17
; %bb.14:                               ;   in Loop: Header=BB297_3 Depth=1
	v_cndmask_b32_e64 v4, 0, 1.0, vcc_lo
	s_mov_b32 s9, exec_lo
	s_delay_alu instid0(VALU_DEP_1) | instskip(NEXT) | instid1(VALU_DEP_1)
	v_dual_mov_b32 v3, 0xff :: v_dual_lshrrev_b32 v2, 23, v4
	v_cmpx_ne_u32_e32 0xff, v2
; %bb.15:                               ;   in Loop: Header=BB297_3 Depth=1
	v_and_b32_e32 v3, 0x400000, v4
	v_and_or_b32 v4, 0x3fffff, v4, v2
	s_delay_alu instid0(VALU_DEP_2) | instskip(NEXT) | instid1(VALU_DEP_2)
	v_cmp_ne_u32_e64 s0, 0, v3
	v_cmp_ne_u32_e64 s1, 0, v4
	s_and_b32 s0, s0, s1
	s_delay_alu instid0(SALU_CYCLE_1) | instskip(NEXT) | instid1(VALU_DEP_1)
	v_cndmask_b32_e64 v3, 0, 1, s0
	v_add_nc_u32_e32 v3, v2, v3
; %bb.16:                               ;   in Loop: Header=BB297_3 Depth=1
	s_or_b32 exec_lo, exec_lo, s9
	s_delay_alu instid0(SALU_CYCLE_1)
	s_or_b32 s1, s6, exec_lo
	flat_store_b8 v[0:1], v3
.LBB297_17:                             ;   in Loop: Header=BB297_3 Depth=1
	s_wait_xcnt 0x0
	s_or_b32 exec_lo, exec_lo, s8
	s_delay_alu instid0(SALU_CYCLE_1) | instskip(SKIP_1) | instid1(SALU_CYCLE_1)
	s_and_not1_b32 s0, s6, exec_lo
	s_and_b32 s1, s1, exec_lo
	s_or_b32 s6, s0, s1
.LBB297_18:                             ;   in Loop: Header=BB297_3 Depth=1
	s_or_b32 exec_lo, exec_lo, s7
	s_delay_alu instid0(SALU_CYCLE_1)
	s_and_b32 s1, s6, exec_lo
                                        ; implicit-def: $vgpr2
                                        ; implicit-def: $vgpr0_vgpr1
.LBB297_19:                             ;   in Loop: Header=BB297_3 Depth=1
	s_and_not1_saveexec_b32 s5, s5
	s_cbranch_execz .LBB297_23
; %bb.20:                               ;   in Loop: Header=BB297_3 Depth=1
	s_mov_b32 s7, s1
	s_mov_b32 s6, exec_lo
	v_cmpx_eq_u16_e32 29, v2
	s_cbranch_execz .LBB297_22
; %bb.21:                               ;   in Loop: Header=BB297_3 Depth=1
	v_cndmask_b32_e64 v2, 0, 1, vcc_lo
	v_mov_b32_e32 v3, s21
	s_or_b32 s7, s1, exec_lo
	flat_store_b64 v[0:1], v[2:3]
.LBB297_22:                             ;   in Loop: Header=BB297_3 Depth=1
	s_wait_xcnt 0x0
	s_or_b32 exec_lo, exec_lo, s6
	s_delay_alu instid0(SALU_CYCLE_1) | instskip(SKIP_1) | instid1(SALU_CYCLE_1)
	s_and_not1_b32 s0, s1, exec_lo
	s_and_b32 s1, s7, exec_lo
	s_or_b32 s1, s0, s1
.LBB297_23:                             ;   in Loop: Header=BB297_3 Depth=1
	s_or_b32 exec_lo, exec_lo, s5
	s_delay_alu instid0(SALU_CYCLE_1)
	s_and_b32 s1, s1, exec_lo
                                        ; implicit-def: $vgpr0_vgpr1
                                        ; implicit-def: $vgpr2
.LBB297_24:                             ;   in Loop: Header=BB297_3 Depth=1
	s_and_not1_saveexec_b32 s4, s4
	s_cbranch_execz .LBB297_40
; %bb.25:                               ;   in Loop: Header=BB297_3 Depth=1
	s_mov_b32 s5, exec_lo
	v_cmpx_lt_i16_e32 26, v2
	s_xor_b32 s5, exec_lo, s5
	s_cbranch_execz .LBB297_31
; %bb.26:                               ;   in Loop: Header=BB297_3 Depth=1
	v_cmp_lt_i16_e64 s0, 27, v2
	s_and_saveexec_b32 s6, s0
	s_delay_alu instid0(SALU_CYCLE_1)
	s_xor_b32 s0, exec_lo, s6
	s_cbranch_execz .LBB297_28
; %bb.27:                               ;   in Loop: Header=BB297_3 Depth=1
	v_cndmask_b32_e64 v2, 0, 1, vcc_lo
	flat_store_b32 v[0:1], v2
                                        ; implicit-def: $vgpr0_vgpr1
.LBB297_28:                             ;   in Loop: Header=BB297_3 Depth=1
	s_wait_xcnt 0x0
	s_and_not1_saveexec_b32 s0, s0
	s_cbranch_execz .LBB297_30
; %bb.29:                               ;   in Loop: Header=BB297_3 Depth=1
	v_cndmask_b32_e64 v2, 0, 1, vcc_lo
	flat_store_b16 v[0:1], v2
.LBB297_30:                             ;   in Loop: Header=BB297_3 Depth=1
	s_wait_xcnt 0x0
	s_or_b32 exec_lo, exec_lo, s0
                                        ; implicit-def: $vgpr0_vgpr1
.LBB297_31:                             ;   in Loop: Header=BB297_3 Depth=1
	s_and_not1_saveexec_b32 s5, s5
	s_cbranch_execz .LBB297_39
; %bb.32:                               ;   in Loop: Header=BB297_3 Depth=1
	v_cndmask_b32_e64 v3, 0, 1.0, vcc_lo
	v_mov_b32_e32 v4, 0x80
	s_mov_b32 s6, exec_lo
	s_delay_alu instid0(VALU_DEP_2)
	v_cmpx_gt_u32_e32 0x43800000, v3
	s_cbranch_execz .LBB297_38
; %bb.33:                               ;   in Loop: Header=BB297_3 Depth=1
	v_cmp_lt_u32_e64 s0, 0x3bffffff, v3
	s_mov_b32 s7, 0
                                        ; implicit-def: $vgpr2
	s_and_saveexec_b32 s8, s0
	s_delay_alu instid0(SALU_CYCLE_1)
	s_xor_b32 s0, exec_lo, s8
	s_cbranch_execz .LBB297_133
; %bb.34:                               ;   in Loop: Header=BB297_3 Depth=1
	v_bfe_u32 v2, v3, 20, 1
	s_mov_b32 s7, exec_lo
	s_delay_alu instid0(VALU_DEP_1) | instskip(NEXT) | instid1(VALU_DEP_1)
	v_add3_u32 v2, v3, v2, 0x487ffff
                                        ; implicit-def: $vgpr3
	v_lshrrev_b32_e32 v2, 20, v2
	s_and_not1_saveexec_b32 s8, s0
	s_cbranch_execnz .LBB297_134
.LBB297_35:                             ;   in Loop: Header=BB297_3 Depth=1
	s_or_b32 exec_lo, exec_lo, s8
	v_mov_b32_e32 v4, 0
	s_and_saveexec_b32 s0, s7
.LBB297_36:                             ;   in Loop: Header=BB297_3 Depth=1
	v_mov_b32_e32 v4, v2
.LBB297_37:                             ;   in Loop: Header=BB297_3 Depth=1
	s_or_b32 exec_lo, exec_lo, s0
.LBB297_38:                             ;   in Loop: Header=BB297_3 Depth=1
	s_delay_alu instid0(SALU_CYCLE_1)
	s_or_b32 exec_lo, exec_lo, s6
	flat_store_b8 v[0:1], v4
.LBB297_39:                             ;   in Loop: Header=BB297_3 Depth=1
	s_wait_xcnt 0x0
	s_or_b32 exec_lo, exec_lo, s5
	s_delay_alu instid0(SALU_CYCLE_1)
	s_or_b32 s1, s1, exec_lo
.LBB297_40:                             ;   in Loop: Header=BB297_3 Depth=1
	s_or_b32 exec_lo, exec_lo, s4
	s_delay_alu instid0(SALU_CYCLE_1)
	s_and_b32 s1, s1, exec_lo
                                        ; implicit-def: $vgpr2
                                        ; implicit-def: $vgpr0_vgpr1
.LBB297_41:                             ;   in Loop: Header=BB297_3 Depth=1
	s_and_not1_saveexec_b32 s3, s3
	s_cbranch_execz .LBB297_85
; %bb.42:                               ;   in Loop: Header=BB297_3 Depth=1
	s_mov_b32 s5, s1
	s_mov_b32 s4, exec_lo
	v_cmpx_lt_i16_e32 22, v2
	s_xor_b32 s4, exec_lo, s4
	s_cbranch_execz .LBB297_74
; %bb.43:                               ;   in Loop: Header=BB297_3 Depth=1
	s_mov_b32 s5, exec_lo
	v_cmpx_lt_i16_e32 23, v2
	s_xor_b32 s5, exec_lo, s5
	s_cbranch_execz .LBB297_63
; %bb.44:                               ;   in Loop: Header=BB297_3 Depth=1
	;; [unrolled: 5-line block ×3, first 2 shown]
	v_cndmask_b32_e64 v3, 0, 1.0, vcc_lo
	v_mov_b32_e32 v4, 0x80
	s_mov_b32 s7, exec_lo
	s_delay_alu instid0(VALU_DEP_2)
	v_cmpx_gt_u32_e32 0x47800000, v3
	s_cbranch_execz .LBB297_51
; %bb.46:                               ;   in Loop: Header=BB297_3 Depth=1
	v_cmp_lt_u32_e64 s0, 0x37ffffff, v3
	s_mov_b32 s8, 0
                                        ; implicit-def: $vgpr2
	s_and_saveexec_b32 s9, s0
	s_delay_alu instid0(SALU_CYCLE_1)
	s_xor_b32 s0, exec_lo, s9
	s_cbranch_execz .LBB297_135
; %bb.47:                               ;   in Loop: Header=BB297_3 Depth=1
	v_bfe_u32 v2, v3, 21, 1
	s_mov_b32 s8, exec_lo
	s_delay_alu instid0(VALU_DEP_1) | instskip(NEXT) | instid1(VALU_DEP_1)
	v_add3_u32 v2, v3, v2, 0x88fffff
                                        ; implicit-def: $vgpr3
	v_lshrrev_b32_e32 v2, 21, v2
	s_and_not1_saveexec_b32 s9, s0
	s_cbranch_execnz .LBB297_136
.LBB297_48:                             ;   in Loop: Header=BB297_3 Depth=1
	s_or_b32 exec_lo, exec_lo, s9
	v_mov_b32_e32 v4, 0
	s_and_saveexec_b32 s0, s8
.LBB297_49:                             ;   in Loop: Header=BB297_3 Depth=1
	v_mov_b32_e32 v4, v2
.LBB297_50:                             ;   in Loop: Header=BB297_3 Depth=1
	s_or_b32 exec_lo, exec_lo, s0
.LBB297_51:                             ;   in Loop: Header=BB297_3 Depth=1
	s_delay_alu instid0(SALU_CYCLE_1)
	s_or_b32 exec_lo, exec_lo, s7
	flat_store_b8 v[0:1], v4
                                        ; implicit-def: $vgpr0_vgpr1
.LBB297_52:                             ;   in Loop: Header=BB297_3 Depth=1
	s_wait_xcnt 0x0
	s_and_not1_saveexec_b32 s6, s6
	s_cbranch_execz .LBB297_62
; %bb.53:                               ;   in Loop: Header=BB297_3 Depth=1
	v_cndmask_b32_e64 v3, 0, 1.0, vcc_lo
	s_mov_b32 s7, exec_lo
                                        ; implicit-def: $vgpr2
	s_delay_alu instid0(VALU_DEP_1)
	v_cmpx_gt_u32_e32 0x43f00000, v3
	s_xor_b32 s7, exec_lo, s7
	s_cbranch_execz .LBB297_59
; %bb.54:                               ;   in Loop: Header=BB297_3 Depth=1
	s_mov_b32 s8, exec_lo
                                        ; implicit-def: $vgpr2
	v_cmpx_lt_u32_e32 0x3c7fffff, v3
	s_xor_b32 s8, exec_lo, s8
; %bb.55:                               ;   in Loop: Header=BB297_3 Depth=1
	v_bfe_u32 v2, v3, 20, 1
	s_delay_alu instid0(VALU_DEP_1) | instskip(NEXT) | instid1(VALU_DEP_1)
	v_add3_u32 v2, v3, v2, 0x407ffff
	v_and_b32_e32 v3, 0xff00000, v2
	v_lshrrev_b32_e32 v2, 20, v2
	s_delay_alu instid0(VALU_DEP_2) | instskip(NEXT) | instid1(VALU_DEP_1)
	v_cmp_ne_u32_e64 s0, 0x7f00000, v3
                                        ; implicit-def: $vgpr3
	v_cndmask_b32_e64 v2, 0x7e, v2, s0
; %bb.56:                               ;   in Loop: Header=BB297_3 Depth=1
	s_and_not1_saveexec_b32 s0, s8
; %bb.57:                               ;   in Loop: Header=BB297_3 Depth=1
	v_add_f32_e32 v2, 0x46800000, v3
; %bb.58:                               ;   in Loop: Header=BB297_3 Depth=1
	s_or_b32 exec_lo, exec_lo, s0
                                        ; implicit-def: $vgpr3
.LBB297_59:                             ;   in Loop: Header=BB297_3 Depth=1
	s_and_not1_saveexec_b32 s7, s7
; %bb.60:                               ;   in Loop: Header=BB297_3 Depth=1
	v_cmp_lt_u32_e64 s0, 0x7f800000, v3
	s_delay_alu instid0(VALU_DEP_1)
	v_cndmask_b32_e64 v2, 0x7e, v23, s0
; %bb.61:                               ;   in Loop: Header=BB297_3 Depth=1
	s_or_b32 exec_lo, exec_lo, s7
	flat_store_b8 v[0:1], v2
.LBB297_62:                             ;   in Loop: Header=BB297_3 Depth=1
	s_wait_xcnt 0x0
	s_or_b32 exec_lo, exec_lo, s6
                                        ; implicit-def: $vgpr0_vgpr1
.LBB297_63:                             ;   in Loop: Header=BB297_3 Depth=1
	s_and_not1_saveexec_b32 s5, s5
	s_cbranch_execz .LBB297_73
; %bb.64:                               ;   in Loop: Header=BB297_3 Depth=1
	v_cndmask_b32_e64 v3, 0, 1.0, vcc_lo
	s_mov_b32 s6, exec_lo
                                        ; implicit-def: $vgpr2
	s_delay_alu instid0(VALU_DEP_1)
	v_cmpx_gt_u32_e32 0x47800000, v3
	s_xor_b32 s6, exec_lo, s6
	s_cbranch_execz .LBB297_70
; %bb.65:                               ;   in Loop: Header=BB297_3 Depth=1
	v_cmp_lt_u32_e64 s0, 0x387fffff, v3
                                        ; implicit-def: $vgpr2
	s_and_saveexec_b32 s7, s0
	s_delay_alu instid0(SALU_CYCLE_1)
	s_xor_b32 s0, exec_lo, s7
; %bb.66:                               ;   in Loop: Header=BB297_3 Depth=1
	v_bfe_u32 v2, v3, 21, 1
	s_delay_alu instid0(VALU_DEP_1) | instskip(NEXT) | instid1(VALU_DEP_1)
	v_add3_u32 v2, v3, v2, 0x80fffff
                                        ; implicit-def: $vgpr3
	v_lshrrev_b32_e32 v2, 21, v2
; %bb.67:                               ;   in Loop: Header=BB297_3 Depth=1
	s_and_not1_saveexec_b32 s0, s0
; %bb.68:                               ;   in Loop: Header=BB297_3 Depth=1
	v_add_f32_e32 v2, 0x43000000, v3
; %bb.69:                               ;   in Loop: Header=BB297_3 Depth=1
	s_or_b32 exec_lo, exec_lo, s0
                                        ; implicit-def: $vgpr3
.LBB297_70:                             ;   in Loop: Header=BB297_3 Depth=1
	s_and_not1_saveexec_b32 s6, s6
; %bb.71:                               ;   in Loop: Header=BB297_3 Depth=1
	v_cmp_lt_u32_e64 s0, 0x7f800000, v3
	s_delay_alu instid0(VALU_DEP_1)
	v_cndmask_b32_e64 v2, 0x7c, v23, s0
; %bb.72:                               ;   in Loop: Header=BB297_3 Depth=1
	s_or_b32 exec_lo, exec_lo, s6
	flat_store_b8 v[0:1], v2
.LBB297_73:                             ;   in Loop: Header=BB297_3 Depth=1
	s_wait_xcnt 0x0
	s_or_b32 exec_lo, exec_lo, s5
	s_delay_alu instid0(SALU_CYCLE_1)
	s_or_b32 s5, s1, exec_lo
                                        ; implicit-def: $vgpr2
                                        ; implicit-def: $vgpr0_vgpr1
.LBB297_74:                             ;   in Loop: Header=BB297_3 Depth=1
	s_and_not1_saveexec_b32 s4, s4
	s_cbranch_execz .LBB297_84
; %bb.75:                               ;   in Loop: Header=BB297_3 Depth=1
	s_mov_b32 s6, s5
	s_mov_b32 s7, exec_lo
	v_cmpx_lt_i16_e32 14, v2
	s_xor_b32 s7, exec_lo, s7
	s_cbranch_execz .LBB297_79
; %bb.76:                               ;   in Loop: Header=BB297_3 Depth=1
	s_mov_b32 s8, s5
	s_mov_b32 s6, exec_lo
	v_cmpx_eq_u16_e32 15, v2
	s_cbranch_execz .LBB297_78
; %bb.77:                               ;   in Loop: Header=BB297_3 Depth=1
	v_cndmask_b32_e64 v2, 0, 1.0, vcc_lo
	s_or_b32 s8, s5, exec_lo
	s_delay_alu instid0(VALU_DEP_1) | instskip(NEXT) | instid1(VALU_DEP_1)
	v_bfe_u32 v3, v2, 16, 1
	v_add3_u32 v2, v2, v3, 0x7fff
	flat_store_d16_hi_b16 v[0:1], v2
.LBB297_78:                             ;   in Loop: Header=BB297_3 Depth=1
	s_wait_xcnt 0x0
	s_or_b32 exec_lo, exec_lo, s6
	s_delay_alu instid0(SALU_CYCLE_1) | instskip(SKIP_1) | instid1(SALU_CYCLE_1)
	s_and_not1_b32 s0, s5, exec_lo
	s_and_b32 s6, s8, exec_lo
                                        ; implicit-def: $vgpr2
                                        ; implicit-def: $vgpr0_vgpr1
	s_or_b32 s6, s0, s6
.LBB297_79:                             ;   in Loop: Header=BB297_3 Depth=1
	s_and_not1_saveexec_b32 s7, s7
	s_cbranch_execz .LBB297_83
; %bb.80:                               ;   in Loop: Header=BB297_3 Depth=1
	s_mov_b32 s8, s6
	s_mov_b32 s9, exec_lo
	v_cmpx_eq_u16_e32 11, v2
	s_cbranch_execz .LBB297_82
; %bb.81:                               ;   in Loop: Header=BB297_3 Depth=1
	v_cndmask_b32_e64 v2, 0, 1, vcc_lo
	s_or_b32 s8, s6, exec_lo
	flat_store_b8 v[0:1], v2
.LBB297_82:                             ;   in Loop: Header=BB297_3 Depth=1
	s_wait_xcnt 0x0
	s_or_b32 exec_lo, exec_lo, s9
	s_delay_alu instid0(SALU_CYCLE_1) | instskip(SKIP_1) | instid1(SALU_CYCLE_1)
	s_and_not1_b32 s0, s6, exec_lo
	s_and_b32 s6, s8, exec_lo
	s_or_b32 s6, s0, s6
.LBB297_83:                             ;   in Loop: Header=BB297_3 Depth=1
	s_or_b32 exec_lo, exec_lo, s7
	s_delay_alu instid0(SALU_CYCLE_1) | instskip(SKIP_1) | instid1(SALU_CYCLE_1)
	s_and_not1_b32 s0, s5, exec_lo
	s_and_b32 s5, s6, exec_lo
	s_or_b32 s5, s0, s5
.LBB297_84:                             ;   in Loop: Header=BB297_3 Depth=1
	s_or_b32 exec_lo, exec_lo, s4
	s_delay_alu instid0(SALU_CYCLE_1) | instskip(SKIP_1) | instid1(SALU_CYCLE_1)
	s_and_not1_b32 s0, s1, exec_lo
	s_and_b32 s1, s5, exec_lo
	s_or_b32 s1, s0, s1
.LBB297_85:                             ;   in Loop: Header=BB297_3 Depth=1
	s_or_b32 exec_lo, exec_lo, s3
	s_delay_alu instid0(SALU_CYCLE_1)
	s_and_b32 s1, s1, exec_lo
                                        ; implicit-def: $vgpr2
                                        ; implicit-def: $vgpr0_vgpr1
	s_and_not1_saveexec_b32 s2, s2
	s_cbranch_execnz .LBB297_92
.LBB297_86:                             ;   in Loop: Header=BB297_3 Depth=1
	s_or_b32 exec_lo, exec_lo, s2
	s_mov_b32 s0, 0
	s_and_saveexec_b32 s2, s1
.LBB297_87:                             ;   in Loop: Header=BB297_3 Depth=1
	v_add_nc_u32_e32 v22, 0x80, v22
	s_mov_b32 s0, exec_lo
.LBB297_88:                             ;   in Loop: Header=BB297_3 Depth=1
	s_or_b32 exec_lo, exec_lo, s2
	s_delay_alu instid0(SALU_CYCLE_1)
	s_or_not1_b32 s0, s0, exec_lo
.LBB297_89:                             ;   in Loop: Header=BB297_3 Depth=1
	s_or_b32 exec_lo, exec_lo, s26
	s_mov_b32 s1, -1
	s_or_b32 s25, s25, exec_lo
	s_and_saveexec_b32 s2, s0
	s_cbranch_execz .LBB297_2
; %bb.90:                               ;   in Loop: Header=BB297_3 Depth=1
	s_add_co_i32 s22, s22, -1
	s_delay_alu instid0(SALU_CYCLE_1)
	s_cmp_eq_u32 s22, 0
	s_cselect_b32 s0, -1, 0
	s_and_not1_b32 s25, s25, exec_lo
	s_or_not1_b32 s1, s0, exec_lo
	s_branch .LBB297_2
.LBB297_91:                             ;   in Loop: Header=BB297_3 Depth=1
	s_and_not1_saveexec_b32 s2, s2
	s_cbranch_execz .LBB297_86
.LBB297_92:                             ;   in Loop: Header=BB297_3 Depth=1
	s_mov_b32 s3, exec_lo
	v_cmpx_lt_i16_e32 4, v2
	s_xor_b32 s3, exec_lo, s3
	s_cbranch_execz .LBB297_114
; %bb.93:                               ;   in Loop: Header=BB297_3 Depth=1
	s_mov_b32 s4, exec_lo
	v_cmpx_lt_i16_e32 7, v2
	s_xor_b32 s4, exec_lo, s4
	s_cbranch_execz .LBB297_103
; %bb.94:                               ;   in Loop: Header=BB297_3 Depth=1
	;; [unrolled: 5-line block ×3, first 2 shown]
	v_cmp_lt_i16_e64 s0, 9, v2
	s_and_saveexec_b32 s6, s0
	s_delay_alu instid0(SALU_CYCLE_1)
	s_xor_b32 s0, exec_lo, s6
	s_cbranch_execz .LBB297_97
; %bb.96:                               ;   in Loop: Header=BB297_3 Depth=1
	v_cndmask_b32_e64 v2, 0, 1, vcc_lo
	v_mov_b32_e32 v26, v27
	s_delay_alu instid0(VALU_DEP_2)
	v_cvt_f64_u32_e32 v[24:25], v2
	flat_store_b128 v[0:1], v[24:27]
                                        ; implicit-def: $vgpr0_vgpr1
.LBB297_97:                             ;   in Loop: Header=BB297_3 Depth=1
	s_wait_xcnt 0x0
	s_and_not1_saveexec_b32 s0, s0
	s_cbranch_execz .LBB297_99
; %bb.98:                               ;   in Loop: Header=BB297_3 Depth=1
	v_cndmask_b32_e64 v26, 0, 1.0, vcc_lo
	flat_store_b64 v[0:1], v[26:27]
.LBB297_99:                             ;   in Loop: Header=BB297_3 Depth=1
	s_wait_xcnt 0x0
	s_or_b32 exec_lo, exec_lo, s0
                                        ; implicit-def: $vgpr0_vgpr1
.LBB297_100:                            ;   in Loop: Header=BB297_3 Depth=1
	s_and_not1_saveexec_b32 s0, s5
	s_cbranch_execz .LBB297_102
; %bb.101:                              ;   in Loop: Header=BB297_3 Depth=1
	v_cndmask_b32_e64 v2, 0, 1.0, vcc_lo
	s_delay_alu instid0(VALU_DEP_1) | instskip(NEXT) | instid1(VALU_DEP_1)
	v_cvt_f16_f32_e32 v2, v2
	v_and_b32_e32 v2, 0xffff, v2
	flat_store_b32 v[0:1], v2
.LBB297_102:                            ;   in Loop: Header=BB297_3 Depth=1
	s_wait_xcnt 0x0
	s_or_b32 exec_lo, exec_lo, s0
                                        ; implicit-def: $vgpr0_vgpr1
                                        ; implicit-def: $vgpr2
.LBB297_103:                            ;   in Loop: Header=BB297_3 Depth=1
	s_and_not1_saveexec_b32 s4, s4
	s_cbranch_execz .LBB297_113
; %bb.104:                              ;   in Loop: Header=BB297_3 Depth=1
	s_mov_b32 s5, exec_lo
	v_cmpx_lt_i16_e32 5, v2
	s_xor_b32 s5, exec_lo, s5
	s_cbranch_execz .LBB297_110
; %bb.105:                              ;   in Loop: Header=BB297_3 Depth=1
	v_cmp_lt_i16_e64 s0, 6, v2
	s_and_saveexec_b32 s6, s0
	s_delay_alu instid0(SALU_CYCLE_1)
	s_xor_b32 s0, exec_lo, s6
	s_cbranch_execz .LBB297_107
; %bb.106:                              ;   in Loop: Header=BB297_3 Depth=1
	v_cndmask_b32_e64 v2, 0, 1, vcc_lo
	s_delay_alu instid0(VALU_DEP_1)
	v_cvt_f64_u32_e32 v[2:3], v2
	flat_store_b64 v[0:1], v[2:3]
                                        ; implicit-def: $vgpr0_vgpr1
.LBB297_107:                            ;   in Loop: Header=BB297_3 Depth=1
	s_wait_xcnt 0x0
	s_and_not1_saveexec_b32 s0, s0
	s_cbranch_execz .LBB297_109
; %bb.108:                              ;   in Loop: Header=BB297_3 Depth=1
	v_cndmask_b32_e64 v2, 0, 1.0, vcc_lo
	flat_store_b32 v[0:1], v2
.LBB297_109:                            ;   in Loop: Header=BB297_3 Depth=1
	s_wait_xcnt 0x0
	s_or_b32 exec_lo, exec_lo, s0
                                        ; implicit-def: $vgpr0_vgpr1
.LBB297_110:                            ;   in Loop: Header=BB297_3 Depth=1
	s_and_not1_saveexec_b32 s0, s5
	s_cbranch_execz .LBB297_112
; %bb.111:                              ;   in Loop: Header=BB297_3 Depth=1
	v_cndmask_b32_e64 v2, 0, 1.0, vcc_lo
	s_delay_alu instid0(VALU_DEP_1)
	v_cvt_f16_f32_e32 v2, v2
	flat_store_b16 v[0:1], v2
.LBB297_112:                            ;   in Loop: Header=BB297_3 Depth=1
	s_wait_xcnt 0x0
	s_or_b32 exec_lo, exec_lo, s0
.LBB297_113:                            ;   in Loop: Header=BB297_3 Depth=1
	s_delay_alu instid0(SALU_CYCLE_1)
	s_or_b32 exec_lo, exec_lo, s4
                                        ; implicit-def: $vgpr2
                                        ; implicit-def: $vgpr0_vgpr1
.LBB297_114:                            ;   in Loop: Header=BB297_3 Depth=1
	s_and_not1_saveexec_b32 s3, s3
	s_cbranch_execz .LBB297_132
; %bb.115:                              ;   in Loop: Header=BB297_3 Depth=1
	s_mov_b32 s4, exec_lo
	v_cmpx_lt_i16_e32 1, v2
	s_xor_b32 s4, exec_lo, s4
	s_cbranch_execz .LBB297_125
; %bb.116:                              ;   in Loop: Header=BB297_3 Depth=1
	s_mov_b32 s5, exec_lo
	v_cmpx_lt_i16_e32 2, v2
	s_xor_b32 s5, exec_lo, s5
	s_cbranch_execz .LBB297_122
; %bb.117:                              ;   in Loop: Header=BB297_3 Depth=1
	v_cmp_lt_i16_e64 s0, 3, v2
	s_and_saveexec_b32 s6, s0
	s_delay_alu instid0(SALU_CYCLE_1)
	s_xor_b32 s0, exec_lo, s6
	s_cbranch_execz .LBB297_119
; %bb.118:                              ;   in Loop: Header=BB297_3 Depth=1
	v_cndmask_b32_e64 v2, 0, 1, vcc_lo
	v_mov_b32_e32 v3, s21
	flat_store_b64 v[0:1], v[2:3]
                                        ; implicit-def: $vgpr0_vgpr1
.LBB297_119:                            ;   in Loop: Header=BB297_3 Depth=1
	s_wait_xcnt 0x0
	s_and_not1_saveexec_b32 s0, s0
	s_cbranch_execz .LBB297_121
; %bb.120:                              ;   in Loop: Header=BB297_3 Depth=1
	v_cndmask_b32_e64 v2, 0, 1, vcc_lo
	flat_store_b32 v[0:1], v2
.LBB297_121:                            ;   in Loop: Header=BB297_3 Depth=1
	s_wait_xcnt 0x0
	s_or_b32 exec_lo, exec_lo, s0
                                        ; implicit-def: $vgpr0_vgpr1
.LBB297_122:                            ;   in Loop: Header=BB297_3 Depth=1
	s_and_not1_saveexec_b32 s0, s5
	s_cbranch_execz .LBB297_124
; %bb.123:                              ;   in Loop: Header=BB297_3 Depth=1
	v_cndmask_b32_e64 v2, 0, 1, vcc_lo
	flat_store_b16 v[0:1], v2
.LBB297_124:                            ;   in Loop: Header=BB297_3 Depth=1
	s_wait_xcnt 0x0
	s_or_b32 exec_lo, exec_lo, s0
                                        ; implicit-def: $vgpr0_vgpr1
                                        ; implicit-def: $vgpr2
.LBB297_125:                            ;   in Loop: Header=BB297_3 Depth=1
	s_and_not1_saveexec_b32 s4, s4
	s_cbranch_execz .LBB297_131
; %bb.126:                              ;   in Loop: Header=BB297_3 Depth=1
	v_cmp_lt_i16_e64 s0, 0, v2
	v_cndmask_b32_e64 v2, 0, 1, vcc_lo
	s_and_saveexec_b32 s5, s0
	s_delay_alu instid0(SALU_CYCLE_1)
	s_xor_b32 s0, exec_lo, s5
	s_cbranch_execz .LBB297_128
; %bb.127:                              ;   in Loop: Header=BB297_3 Depth=1
	flat_store_b8 v[0:1], v2
                                        ; implicit-def: $vgpr0_vgpr1
                                        ; implicit-def: $vgpr2
.LBB297_128:                            ;   in Loop: Header=BB297_3 Depth=1
	s_wait_xcnt 0x0
	s_and_not1_saveexec_b32 s0, s0
	s_cbranch_execz .LBB297_130
; %bb.129:                              ;   in Loop: Header=BB297_3 Depth=1
	flat_store_b8 v[0:1], v2
.LBB297_130:                            ;   in Loop: Header=BB297_3 Depth=1
	s_wait_xcnt 0x0
	s_or_b32 exec_lo, exec_lo, s0
.LBB297_131:                            ;   in Loop: Header=BB297_3 Depth=1
	s_delay_alu instid0(SALU_CYCLE_1)
	s_or_b32 exec_lo, exec_lo, s4
.LBB297_132:                            ;   in Loop: Header=BB297_3 Depth=1
	s_delay_alu instid0(SALU_CYCLE_1) | instskip(NEXT) | instid1(SALU_CYCLE_1)
	s_or_b32 exec_lo, exec_lo, s3
	s_or_b32 s1, s1, exec_lo
	s_or_b32 exec_lo, exec_lo, s2
	s_mov_b32 s0, 0
	s_and_saveexec_b32 s2, s1
	s_cbranch_execnz .LBB297_87
	s_branch .LBB297_88
.LBB297_133:                            ;   in Loop: Header=BB297_3 Depth=1
	s_and_not1_saveexec_b32 s8, s0
	s_cbranch_execz .LBB297_35
.LBB297_134:                            ;   in Loop: Header=BB297_3 Depth=1
	v_add_f32_e32 v2, 0x46000000, v3
	s_and_not1_b32 s7, s7, exec_lo
	s_delay_alu instid0(VALU_DEP_1) | instskip(NEXT) | instid1(VALU_DEP_1)
	v_and_b32_e32 v2, 0xff, v2
	v_cmp_ne_u32_e64 s0, 0, v2
	s_and_b32 s0, s0, exec_lo
	s_delay_alu instid0(SALU_CYCLE_1)
	s_or_b32 s7, s7, s0
	s_or_b32 exec_lo, exec_lo, s8
	v_mov_b32_e32 v4, 0
	s_and_saveexec_b32 s0, s7
	s_cbranch_execnz .LBB297_36
	s_branch .LBB297_37
.LBB297_135:                            ;   in Loop: Header=BB297_3 Depth=1
	s_and_not1_saveexec_b32 s9, s0
	s_cbranch_execz .LBB297_48
.LBB297_136:                            ;   in Loop: Header=BB297_3 Depth=1
	v_add_f32_e32 v2, 0x42800000, v3
	s_and_not1_b32 s8, s8, exec_lo
	s_delay_alu instid0(VALU_DEP_1) | instskip(NEXT) | instid1(VALU_DEP_1)
	v_and_b32_e32 v2, 0xff, v2
	v_cmp_ne_u32_e64 s0, 0, v2
	s_and_b32 s0, s0, exec_lo
	s_delay_alu instid0(SALU_CYCLE_1)
	s_or_b32 s8, s8, s0
	s_or_b32 exec_lo, exec_lo, s9
	v_mov_b32_e32 v4, 0
	s_and_saveexec_b32 s0, s8
	s_cbranch_execnz .LBB297_49
	s_branch .LBB297_50
.LBB297_137:
	s_or_b32 exec_lo, exec_lo, s24
	s_mov_b32 s0, 0
	s_and_saveexec_b32 s1, s23
	s_delay_alu instid0(SALU_CYCLE_1)
	s_xor_b32 s1, exec_lo, s1
	s_cbranch_execnz .LBB297_2287
.LBB297_138:
	s_or_b32 exec_lo, exec_lo, s1
	s_delay_alu instid0(SALU_CYCLE_1)
	s_and_b32 s1, s0, exec_lo
                                        ; implicit-def: $vgpr0
                                        ; implicit-def: $vgpr22
.LBB297_139:
	s_or_saveexec_b32 s2, s20
	s_mov_b32 s0, 0
                                        ; implicit-def: $sgpr21
                                        ; implicit-def: $vgpr30_vgpr31
                                        ; implicit-def: $vgpr15
	s_xor_b32 exec_lo, exec_lo, s2
	s_cbranch_execz .LBB297_180
; %bb.140:
	scratch_load_b32 v1, off, off offset:16
                                        ; implicit-def: $vgpr28
                                        ; implicit-def: $vgpr16
                                        ; implicit-def: $vgpr10
	s_wait_loadcnt 0x0
	v_add_nc_u32_e32 v2, -1, v1
	s_delay_alu instid0(VALU_DEP_1) | instskip(SKIP_2) | instid1(SALU_CYCLE_1)
	v_cmp_lt_u32_e32 vcc_lo, 1, v2
	s_wait_xcnt 0x0
	s_and_saveexec_b32 s0, vcc_lo
	s_xor_b32 s3, exec_lo, s0
	s_cbranch_execz .LBB297_148
; %bb.141:
	v_dual_mov_b32 v28, 0 :: v_dual_mov_b32 v16, 0
	v_mov_b32_e32 v10, 0
	s_mov_b32 s4, exec_lo
	v_cmpx_ne_u32_e32 0, v1
	s_cbranch_execz .LBB297_147
; %bb.142:
	v_min_u32_e32 v4, 15, v2
	v_dual_mov_b32 v16, 0 :: v_dual_mov_b32 v28, 0
	s_sub_co_i32 s6, 16, 24
	s_mov_b32 s5, 0
	s_delay_alu instid0(VALU_DEP_2) | instskip(NEXT) | instid1(VALU_DEP_1)
	v_dual_mov_b32 v10, 0 :: v_dual_add_nc_u32 v3, 1, v4
	v_dual_mov_b32 v3, v22 :: v_dual_bitop2_b32 v5, 30, v3 bitop3:0x40
.LBB297_143:                            ; =>This Inner Loop Header: Depth=1
	s_clause 0x3
	scratch_load_b128 v[6:9], off, s6 offset:28
	scratch_load_b64 v[18:19], off, s6 offset:44
	scratch_load_b128 v[12:15], off, s6 offset:220
	scratch_load_b64 v[20:21], off, s6 offset:236
	s_wait_xcnt 0x0
	s_add_co_i32 s6, s6, 24
	v_add_nc_u32_e32 v5, -2, v5
	s_delay_alu instid0(VALU_DEP_1) | instskip(SKIP_3) | instid1(VALU_DEP_1)
	v_cmp_eq_u32_e64 s0, 0, v5
	s_or_b32 s5, s0, s5
	s_wait_loadcnt 0x3
	v_mul_hi_u32 v7, v7, v3
	v_add_nc_u32_e32 v7, v3, v7
	s_delay_alu instid0(VALU_DEP_1) | instskip(SKIP_1) | instid1(VALU_DEP_1)
	v_lshrrev_b32_e32 v7, v8, v7
	s_wait_loadcnt 0x2
	v_mul_hi_u32 v8, v18, v7
	v_mul_lo_u32 v6, v7, v6
	s_delay_alu instid0(VALU_DEP_2) | instskip(NEXT) | instid1(VALU_DEP_2)
	v_add_nc_u32_e32 v8, v7, v8
	v_sub_nc_u32_e32 v6, v3, v6
	s_delay_alu instid0(VALU_DEP_2) | instskip(SKIP_1) | instid1(VALU_DEP_2)
	v_lshrrev_b32_e32 v3, v19, v8
	s_wait_loadcnt 0x1
	v_mad_u32 v11, v6, v14, v28
	s_delay_alu instid0(VALU_DEP_2) | instskip(SKIP_2) | instid1(VALU_DEP_3)
	v_mul_lo_u32 v8, v3, v9
	v_mad_u32 v9, v6, v12, v10
	v_mad_u32 v6, v6, v13, v16
	v_sub_nc_u32_e32 v7, v7, v8
	s_wait_loadcnt 0x0
	s_delay_alu instid0(VALU_DEP_1)
	v_mad_u32 v16, v7, v20, v6
	v_mov_b32_e32 v6, s6
	v_mad_u32 v10, v7, v15, v9
	v_mad_u32 v28, v7, v21, v11
	s_and_not1_b32 exec_lo, exec_lo, s5
	s_cbranch_execnz .LBB297_143
; %bb.144:
	s_or_b32 exec_lo, exec_lo, s5
	v_and_b32_e32 v4, 1, v4
	s_mov_b32 s5, exec_lo
	s_delay_alu instid0(VALU_DEP_1)
	v_cmpx_eq_u32_e32 0, v4
	s_cbranch_execz .LBB297_146
; %bb.145:
	s_clause 0x1
	scratch_load_b96 v[12:14], v6, off offset:28
	scratch_load_b96 v[18:20], v6, off offset:220
	s_wait_loadcnt 0x1
	v_mul_hi_u32 v4, v13, v3
	s_delay_alu instid0(VALU_DEP_1) | instskip(NEXT) | instid1(VALU_DEP_1)
	v_add_nc_u32_e32 v4, v3, v4
	v_lshrrev_b32_e32 v4, v14, v4
	s_delay_alu instid0(VALU_DEP_1) | instskip(NEXT) | instid1(VALU_DEP_1)
	v_mul_lo_u32 v4, v4, v12
	v_sub_nc_u32_e32 v3, v3, v4
	s_wait_loadcnt 0x0
	s_delay_alu instid0(VALU_DEP_1)
	v_mad_u32 v10, v3, v18, v10
	v_mad_u32 v16, v3, v19, v16
	;; [unrolled: 1-line block ×3, first 2 shown]
.LBB297_146:
	s_wait_xcnt 0x0
	s_or_b32 exec_lo, exec_lo, s5
.LBB297_147:
	s_delay_alu instid0(SALU_CYCLE_1)
	s_or_b32 exec_lo, exec_lo, s4
.LBB297_148:
	s_and_not1_saveexec_b32 s3, s3
	s_cbranch_execz .LBB297_152
; %bb.149:
	s_clause 0x1
	scratch_load_b96 v[4:6], off, off offset:20
	scratch_load_b96 v[10:12], off, off offset:212
	s_mov_b32 s4, exec_lo
	s_wait_loadcnt 0x1
	v_mul_hi_u32 v3, v5, v22
	s_delay_alu instid0(VALU_DEP_1) | instskip(NEXT) | instid1(VALU_DEP_1)
	v_add_nc_u32_e32 v3, v22, v3
	v_lshrrev_b32_e32 v3, v6, v3
	s_delay_alu instid0(VALU_DEP_1) | instskip(NEXT) | instid1(VALU_DEP_1)
	v_mul_lo_u32 v4, v3, v4
	v_sub_nc_u32_e32 v4, v22, v4
	s_wait_loadcnt 0x0
	s_delay_alu instid0(VALU_DEP_1)
	v_mul_lo_u32 v10, v4, v10
	v_mul_lo_u32 v28, v4, v12
	;; [unrolled: 1-line block ×3, first 2 shown]
	s_wait_xcnt 0x0
	v_cmpx_lt_u32_e32 1, v1
	s_cbranch_execz .LBB297_151
; %bb.150:
	s_clause 0x1
	scratch_load_b96 v[4:6], off, off offset:32
	scratch_load_b96 v[12:14], off, off offset:224
	s_wait_loadcnt 0x1
	v_mul_hi_u32 v5, v5, v3
	s_delay_alu instid0(VALU_DEP_1) | instskip(NEXT) | instid1(VALU_DEP_1)
	v_add_nc_u32_e32 v5, v3, v5
	v_lshrrev_b32_e32 v5, v6, v5
	s_delay_alu instid0(VALU_DEP_1) | instskip(NEXT) | instid1(VALU_DEP_1)
	v_mul_lo_u32 v4, v5, v4
	v_sub_nc_u32_e32 v3, v3, v4
	s_wait_loadcnt 0x0
	s_delay_alu instid0(VALU_DEP_1)
	v_mad_u32 v10, v3, v12, v10
	v_mad_u32 v16, v3, v13, v16
	;; [unrolled: 1-line block ×3, first 2 shown]
.LBB297_151:
	s_wait_xcnt 0x0
	s_or_b32 exec_lo, exec_lo, s4
.LBB297_152:
	s_delay_alu instid0(SALU_CYCLE_1) | instskip(SKIP_2) | instid1(SALU_CYCLE_1)
	s_or_b32 exec_lo, exec_lo, s3
	v_add_nc_u32_e32 v3, 0x80, v22
                                        ; implicit-def: $vgpr24
                                        ; implicit-def: $vgpr26
                                        ; implicit-def: $vgpr8
	s_and_saveexec_b32 s0, vcc_lo
	s_xor_b32 s3, exec_lo, s0
	s_cbranch_execz .LBB297_160
; %bb.153:
	v_dual_mov_b32 v24, 0 :: v_dual_mov_b32 v26, 0
	v_mov_b32_e32 v8, 0
	s_mov_b32 s4, exec_lo
	v_cmpx_ne_u32_e32 0, v1
	s_cbranch_execz .LBB297_159
; %bb.154:
	v_min_u32_e32 v4, 15, v2
	v_mov_b32_e32 v24, 0
	s_sub_co_i32 s6, 16, 24
	s_mov_b32 s5, 0
	s_delay_alu instid0(VALU_DEP_2) | instskip(NEXT) | instid1(VALU_DEP_1)
	v_dual_mov_b32 v8, 0 :: v_dual_add_nc_u32 v5, 1, v4
	v_dual_mov_b32 v26, 0 :: v_dual_bitop2_b32 v5, 30, v5 bitop3:0x40
.LBB297_155:                            ; =>This Inner Loop Header: Depth=1
	s_clause 0x3
	scratch_load_b128 v[12:15], off, s6 offset:28
	scratch_load_b64 v[6:7], off, s6 offset:44
	scratch_load_b128 v[18:21], off, s6 offset:220
	scratch_load_b64 v[30:31], off, s6 offset:236
	s_wait_xcnt 0x0
	s_add_co_i32 s6, s6, 24
	v_add_nc_u32_e32 v5, -2, v5
	s_delay_alu instid0(VALU_DEP_1) | instskip(SKIP_3) | instid1(VALU_DEP_1)
	v_cmp_eq_u32_e64 s0, 0, v5
	s_or_b32 s5, s0, s5
	s_wait_loadcnt 0x3
	v_mul_hi_u32 v9, v13, v3
	v_add_nc_u32_e32 v9, v3, v9
	s_delay_alu instid0(VALU_DEP_1) | instskip(SKIP_1) | instid1(VALU_DEP_1)
	v_lshrrev_b32_e32 v9, v14, v9
	s_wait_loadcnt 0x2
	v_mul_hi_u32 v6, v6, v9
	v_mul_lo_u32 v11, v9, v12
	s_delay_alu instid0(VALU_DEP_1) | instskip(NEXT) | instid1(VALU_DEP_1)
	v_dual_add_nc_u32 v6, v9, v6 :: v_dual_sub_nc_u32 v11, v3, v11
	v_lshrrev_b32_e32 v3, v7, v6
	s_wait_loadcnt 0x1
	s_delay_alu instid0(VALU_DEP_2) | instskip(SKIP_3) | instid1(VALU_DEP_1)
	v_mad_u32 v7, v11, v18, v8
	v_mad_u32 v12, v11, v20, v24
	;; [unrolled: 1-line block ×3, first 2 shown]
	v_mul_lo_u32 v6, v3, v15
	v_sub_nc_u32_e32 v6, v9, v6
	s_delay_alu instid0(VALU_DEP_1)
	v_mad_u32 v8, v6, v21, v7
	s_wait_loadcnt 0x0
	v_mad_u32 v24, v6, v31, v12
	v_mad_u32 v26, v6, v30, v11
	v_mov_b32_e32 v6, s6
	s_and_not1_b32 exec_lo, exec_lo, s5
	s_cbranch_execnz .LBB297_155
; %bb.156:
	s_or_b32 exec_lo, exec_lo, s5
	v_and_b32_e32 v4, 1, v4
	s_mov_b32 s5, exec_lo
	s_delay_alu instid0(VALU_DEP_1)
	v_cmpx_eq_u32_e32 0, v4
	s_cbranch_execz .LBB297_158
; %bb.157:
	s_clause 0x1
	scratch_load_b96 v[12:14], v6, off offset:28
	scratch_load_b96 v[18:20], v6, off offset:220
	s_wait_loadcnt 0x1
	v_mul_hi_u32 v4, v13, v3
	s_delay_alu instid0(VALU_DEP_1) | instskip(NEXT) | instid1(VALU_DEP_1)
	v_add_nc_u32_e32 v4, v3, v4
	v_lshrrev_b32_e32 v4, v14, v4
	s_delay_alu instid0(VALU_DEP_1) | instskip(NEXT) | instid1(VALU_DEP_1)
	v_mul_lo_u32 v4, v4, v12
	v_sub_nc_u32_e32 v3, v3, v4
	s_wait_loadcnt 0x0
	s_delay_alu instid0(VALU_DEP_1)
	v_mad_u32 v8, v3, v18, v8
	v_mad_u32 v26, v3, v19, v26
	;; [unrolled: 1-line block ×3, first 2 shown]
.LBB297_158:
	s_wait_xcnt 0x0
	s_or_b32 exec_lo, exec_lo, s5
.LBB297_159:
	s_delay_alu instid0(SALU_CYCLE_1)
	s_or_b32 exec_lo, exec_lo, s4
                                        ; implicit-def: $vgpr3
.LBB297_160:
	s_and_not1_saveexec_b32 s3, s3
	s_cbranch_execz .LBB297_164
; %bb.161:
	s_clause 0x1
	scratch_load_b96 v[6:8], off, off offset:20
	scratch_load_b96 v[12:14], off, off offset:212
	s_mov_b32 s4, exec_lo
	s_wait_loadcnt 0x1
	v_mul_hi_u32 v4, v7, v3
	s_delay_alu instid0(VALU_DEP_1) | instskip(NEXT) | instid1(VALU_DEP_1)
	v_add_nc_u32_e32 v4, v3, v4
	v_lshrrev_b32_e32 v4, v8, v4
	s_delay_alu instid0(VALU_DEP_1) | instskip(NEXT) | instid1(VALU_DEP_1)
	v_mul_lo_u32 v5, v4, v6
	v_sub_nc_u32_e32 v3, v3, v5
	s_wait_loadcnt 0x0
	s_delay_alu instid0(VALU_DEP_1)
	v_mul_lo_u32 v8, v3, v12
	v_mul_lo_u32 v24, v3, v14
	;; [unrolled: 1-line block ×3, first 2 shown]
	s_wait_xcnt 0x0
	v_cmpx_lt_u32_e32 1, v1
	s_cbranch_execz .LBB297_163
; %bb.162:
	s_clause 0x1
	scratch_load_b96 v[12:14], off, off offset:32
	scratch_load_b96 v[18:20], off, off offset:224
	s_wait_loadcnt 0x1
	v_mul_hi_u32 v3, v13, v4
	s_delay_alu instid0(VALU_DEP_1) | instskip(NEXT) | instid1(VALU_DEP_1)
	v_add_nc_u32_e32 v3, v4, v3
	v_lshrrev_b32_e32 v3, v14, v3
	s_delay_alu instid0(VALU_DEP_1) | instskip(NEXT) | instid1(VALU_DEP_1)
	v_mul_lo_u32 v3, v3, v12
	v_sub_nc_u32_e32 v3, v4, v3
	s_wait_loadcnt 0x0
	s_delay_alu instid0(VALU_DEP_1)
	v_mad_u32 v8, v3, v18, v8
	v_mad_u32 v26, v3, v19, v26
	;; [unrolled: 1-line block ×3, first 2 shown]
.LBB297_163:
	s_wait_xcnt 0x0
	s_or_b32 exec_lo, exec_lo, s4
.LBB297_164:
	s_delay_alu instid0(SALU_CYCLE_1) | instskip(SKIP_2) | instid1(SALU_CYCLE_1)
	s_or_b32 exec_lo, exec_lo, s3
	v_add_nc_u32_e32 v3, 0x100, v22
                                        ; implicit-def: $vgpr18
                                        ; implicit-def: $vgpr20
                                        ; implicit-def: $vgpr6
	s_and_saveexec_b32 s0, vcc_lo
	s_xor_b32 s3, exec_lo, s0
	s_cbranch_execz .LBB297_183
; %bb.165:
	v_dual_mov_b32 v18, 0 :: v_dual_mov_b32 v20, 0
	v_mov_b32_e32 v6, 0
	s_mov_b32 s4, exec_lo
	v_cmpx_ne_u32_e32 0, v1
	s_cbranch_execz .LBB297_171
; %bb.166:
	v_min_u32_e32 v4, 15, v2
	v_mov_b32_e32 v18, 0
	s_sub_co_i32 s6, 16, 24
	s_mov_b32 s5, 0
	s_delay_alu instid0(VALU_DEP_2) | instskip(NEXT) | instid1(VALU_DEP_1)
	v_dual_mov_b32 v6, 0 :: v_dual_add_nc_u32 v5, 1, v4
	v_dual_mov_b32 v20, 0 :: v_dual_bitop2_b32 v5, 30, v5 bitop3:0x40
.LBB297_167:                            ; =>This Inner Loop Header: Depth=1
	s_clause 0x3
	scratch_load_b128 v[12:15], off, s6 offset:28
	scratch_load_b64 v[22:23], off, s6 offset:44
	scratch_load_b128 v[30:33], off, s6 offset:220
	scratch_load_b64 v[34:35], off, s6 offset:236
	s_wait_xcnt 0x0
	s_add_co_i32 s6, s6, 24
	v_add_nc_u32_e32 v5, -2, v5
	s_delay_alu instid0(VALU_DEP_1) | instskip(SKIP_3) | instid1(VALU_DEP_1)
	v_cmp_eq_u32_e64 s0, 0, v5
	s_or_b32 s5, s0, s5
	s_wait_loadcnt 0x3
	v_mul_hi_u32 v7, v13, v3
	v_add_nc_u32_e32 v7, v3, v7
	s_delay_alu instid0(VALU_DEP_1) | instskip(SKIP_1) | instid1(VALU_DEP_1)
	v_lshrrev_b32_e32 v7, v14, v7
	s_wait_loadcnt 0x2
	v_mul_hi_u32 v9, v22, v7
	v_mul_lo_u32 v11, v7, v12
	s_delay_alu instid0(VALU_DEP_2) | instskip(NEXT) | instid1(VALU_DEP_2)
	v_add_nc_u32_e32 v9, v7, v9
	v_sub_nc_u32_e32 v11, v3, v11
	s_delay_alu instid0(VALU_DEP_2) | instskip(SKIP_1) | instid1(VALU_DEP_2)
	v_lshrrev_b32_e32 v3, v23, v9
	s_wait_loadcnt 0x1
	v_mad_u32 v6, v11, v30, v6
	v_mad_u32 v12, v11, v32, v18
	;; [unrolled: 1-line block ×3, first 2 shown]
	v_mul_lo_u32 v9, v3, v15
	s_delay_alu instid0(VALU_DEP_1) | instskip(NEXT) | instid1(VALU_DEP_1)
	v_sub_nc_u32_e32 v7, v7, v9
	v_mad_u32 v6, v7, v33, v6
	s_wait_loadcnt 0x0
	v_mad_u32 v18, v7, v35, v12
	v_mad_u32 v20, v7, v34, v11
	v_mov_b32_e32 v7, s6
	s_and_not1_b32 exec_lo, exec_lo, s5
	s_cbranch_execnz .LBB297_167
; %bb.168:
	s_or_b32 exec_lo, exec_lo, s5
	v_and_b32_e32 v4, 1, v4
	s_mov_b32 s5, exec_lo
	s_delay_alu instid0(VALU_DEP_1)
	v_cmpx_eq_u32_e32 0, v4
	s_cbranch_execz .LBB297_170
; %bb.169:
	s_clause 0x1
	scratch_load_b96 v[12:14], v7, off offset:28
	scratch_load_b96 v[30:32], v7, off offset:220
	s_wait_loadcnt 0x1
	v_mul_hi_u32 v4, v13, v3
	s_delay_alu instid0(VALU_DEP_1) | instskip(NEXT) | instid1(VALU_DEP_1)
	v_add_nc_u32_e32 v4, v3, v4
	v_lshrrev_b32_e32 v4, v14, v4
	s_delay_alu instid0(VALU_DEP_1) | instskip(NEXT) | instid1(VALU_DEP_1)
	v_mul_lo_u32 v4, v4, v12
	v_sub_nc_u32_e32 v3, v3, v4
	s_wait_loadcnt 0x0
	s_delay_alu instid0(VALU_DEP_1)
	v_mad_u32 v6, v3, v30, v6
	v_mad_u32 v20, v3, v31, v20
	;; [unrolled: 1-line block ×3, first 2 shown]
.LBB297_170:
	s_wait_xcnt 0x0
	s_or_b32 exec_lo, exec_lo, s5
.LBB297_171:
	s_delay_alu instid0(SALU_CYCLE_1)
	s_or_b32 exec_lo, exec_lo, s4
                                        ; implicit-def: $vgpr3
	s_and_not1_saveexec_b32 s3, s3
	s_cbranch_execnz .LBB297_184
.LBB297_172:
	s_or_b32 exec_lo, exec_lo, s3
                                        ; implicit-def: $vgpr12
                                        ; implicit-def: $vgpr14
                                        ; implicit-def: $vgpr4
	s_and_saveexec_b32 s0, vcc_lo
	s_delay_alu instid0(SALU_CYCLE_1)
	s_xor_b32 s0, exec_lo, s0
	s_cbranch_execz .LBB297_187
.LBB297_173:
	v_dual_mov_b32 v12, 0 :: v_dual_mov_b32 v14, 0
	v_mov_b32_e32 v4, 0
	s_mov_b32 s3, exec_lo
	v_cmpx_ne_u32_e32 0, v1
	s_cbranch_execz .LBB297_179
; %bb.174:
	v_min_u32_e32 v1, 15, v2
	v_mov_b32_e32 v12, 0
	s_sub_co_i32 s5, 16, 24
	s_mov_b32 s4, 0
	s_delay_alu instid0(VALU_DEP_2) | instskip(NEXT) | instid1(VALU_DEP_1)
	v_dual_mov_b32 v4, 0 :: v_dual_add_nc_u32 v2, 1, v1
	v_dual_mov_b32 v14, 0 :: v_dual_bitop2_b32 v2, 30, v2 bitop3:0x40
.LBB297_175:                            ; =>This Inner Loop Header: Depth=1
	s_clause 0x3
	scratch_load_b128 v[30:33], off, s5 offset:28
	scratch_load_b64 v[22:23], off, s5 offset:44
	scratch_load_b128 v[34:37], off, s5 offset:220
	scratch_load_b64 v[38:39], off, s5 offset:236
	s_wait_xcnt 0x0
	s_add_co_i32 s5, s5, 24
	v_add_nc_u32_e32 v2, -2, v2
	s_delay_alu instid0(VALU_DEP_1) | instskip(SKIP_3) | instid1(VALU_DEP_1)
	v_cmp_eq_u32_e32 vcc_lo, 0, v2
	s_or_b32 s4, vcc_lo, s4
	s_wait_loadcnt 0x3
	v_mul_hi_u32 v3, v31, v0
	v_add_nc_u32_e32 v3, v0, v3
	s_delay_alu instid0(VALU_DEP_1) | instskip(SKIP_1) | instid1(VALU_DEP_1)
	v_lshrrev_b32_e32 v3, v32, v3
	s_wait_loadcnt 0x2
	v_mul_hi_u32 v5, v22, v3
	v_mul_lo_u32 v7, v3, v30
	s_delay_alu instid0(VALU_DEP_1) | instskip(NEXT) | instid1(VALU_DEP_1)
	v_dual_add_nc_u32 v5, v3, v5 :: v_dual_sub_nc_u32 v7, v0, v7
	v_lshrrev_b32_e32 v0, v23, v5
	s_wait_loadcnt 0x1
	s_delay_alu instid0(VALU_DEP_2) | instskip(SKIP_3) | instid1(VALU_DEP_1)
	v_mad_u32 v4, v7, v34, v4
	v_mad_u32 v9, v7, v36, v12
	;; [unrolled: 1-line block ×3, first 2 shown]
	v_mul_lo_u32 v5, v0, v33
	v_sub_nc_u32_e32 v3, v3, v5
	s_delay_alu instid0(VALU_DEP_1)
	v_mad_u32 v4, v3, v37, v4
	s_wait_loadcnt 0x0
	v_mad_u32 v12, v3, v39, v9
	v_mad_u32 v14, v3, v38, v7
	v_mov_b32_e32 v3, s5
	s_and_not1_b32 exec_lo, exec_lo, s4
	s_cbranch_execnz .LBB297_175
; %bb.176:
	s_or_b32 exec_lo, exec_lo, s4
	v_and_b32_e32 v1, 1, v1
	s_mov_b32 s4, exec_lo
	s_delay_alu instid0(VALU_DEP_1)
	v_cmpx_eq_u32_e32 0, v1
	s_cbranch_execz .LBB297_178
; %bb.177:
	s_clause 0x1
	scratch_load_b96 v[30:32], v3, off offset:28
	scratch_load_b96 v[34:36], v3, off offset:220
	s_wait_loadcnt 0x1
	v_mul_hi_u32 v1, v31, v0
	s_delay_alu instid0(VALU_DEP_1) | instskip(NEXT) | instid1(VALU_DEP_1)
	v_add_nc_u32_e32 v1, v0, v1
	v_lshrrev_b32_e32 v1, v32, v1
	s_delay_alu instid0(VALU_DEP_1) | instskip(NEXT) | instid1(VALU_DEP_1)
	v_mul_lo_u32 v1, v1, v30
	v_sub_nc_u32_e32 v0, v0, v1
	s_wait_loadcnt 0x0
	s_delay_alu instid0(VALU_DEP_1)
	v_mad_u32 v4, v0, v34, v4
	v_mad_u32 v14, v0, v35, v14
	;; [unrolled: 1-line block ×3, first 2 shown]
.LBB297_178:
	s_wait_xcnt 0x0
	s_or_b32 exec_lo, exec_lo, s4
.LBB297_179:
	s_delay_alu instid0(SALU_CYCLE_1)
	s_or_b32 exec_lo, exec_lo, s3
                                        ; implicit-def: $vgpr0
                                        ; implicit-def: $vgpr1
	s_and_not1_saveexec_b32 s0, s0
	s_cbranch_execz .LBB297_191
	s_branch .LBB297_188
.LBB297_180:
	s_or_b32 exec_lo, exec_lo, s2
	s_and_saveexec_b32 s2, s1
	s_cbranch_execz .LBB297_2030
.LBB297_181:
	; divergent unreachable
	s_or_b32 exec_lo, exec_lo, s2
	s_and_saveexec_b32 s1, s15
	s_delay_alu instid0(SALU_CYCLE_1)
	s_xor_b32 s1, exec_lo, s1
	s_cbranch_execnz .LBB297_2031
.LBB297_182:
	s_or_b32 exec_lo, exec_lo, s1
	s_and_saveexec_b32 s1, s0
	s_cbranch_execnz .LBB297_2032
	s_branch .LBB297_2070
.LBB297_183:
	s_and_not1_saveexec_b32 s3, s3
	s_cbranch_execz .LBB297_172
.LBB297_184:
	s_clause 0x1
	scratch_load_b96 v[12:14], off, off offset:20
	scratch_load_b96 v[18:20], off, off offset:212
	s_mov_b32 s4, exec_lo
	s_wait_loadcnt 0x1
	v_mul_hi_u32 v4, v13, v3
	s_delay_alu instid0(VALU_DEP_1) | instskip(NEXT) | instid1(VALU_DEP_1)
	v_add_nc_u32_e32 v4, v3, v4
	v_lshrrev_b32_e32 v4, v14, v4
	s_delay_alu instid0(VALU_DEP_1) | instskip(NEXT) | instid1(VALU_DEP_1)
	v_mul_lo_u32 v5, v4, v12
	v_sub_nc_u32_e32 v3, v3, v5
	s_wait_loadcnt 0x0
	s_delay_alu instid0(VALU_DEP_1)
	v_mul_lo_u32 v6, v3, v18
	v_mul_lo_u32 v18, v3, v20
	;; [unrolled: 1-line block ×3, first 2 shown]
	s_wait_xcnt 0x0
	v_cmpx_lt_u32_e32 1, v1
	s_cbranch_execz .LBB297_186
; %bb.185:
	s_clause 0x1
	scratch_load_b96 v[12:14], off, off offset:32
	scratch_load_b96 v[30:32], off, off offset:224
	s_wait_loadcnt 0x1
	v_mul_hi_u32 v3, v13, v4
	s_delay_alu instid0(VALU_DEP_1) | instskip(NEXT) | instid1(VALU_DEP_1)
	v_add_nc_u32_e32 v3, v4, v3
	v_lshrrev_b32_e32 v3, v14, v3
	s_delay_alu instid0(VALU_DEP_1) | instskip(NEXT) | instid1(VALU_DEP_1)
	v_mul_lo_u32 v3, v3, v12
	v_sub_nc_u32_e32 v3, v4, v3
	s_wait_loadcnt 0x0
	s_delay_alu instid0(VALU_DEP_1)
	v_mad_u32 v6, v3, v30, v6
	v_mad_u32 v20, v3, v31, v20
	;; [unrolled: 1-line block ×3, first 2 shown]
.LBB297_186:
	s_wait_xcnt 0x0
	s_or_b32 exec_lo, exec_lo, s4
	s_delay_alu instid0(SALU_CYCLE_1) | instskip(SKIP_1) | instid1(SALU_CYCLE_1)
	s_or_b32 exec_lo, exec_lo, s3
                                        ; implicit-def: $vgpr12
                                        ; implicit-def: $vgpr14
                                        ; implicit-def: $vgpr4
	s_and_saveexec_b32 s0, vcc_lo
	s_xor_b32 s0, exec_lo, s0
	s_cbranch_execnz .LBB297_173
.LBB297_187:
	s_and_not1_saveexec_b32 s0, s0
	s_cbranch_execz .LBB297_191
.LBB297_188:
	s_clause 0x1
	scratch_load_b96 v[12:14], off, off offset:20
	scratch_load_b96 v[30:32], off, off offset:212
	s_mov_b32 s3, exec_lo
	s_wait_loadcnt 0x1
	v_mul_hi_u32 v2, v13, v0
	s_delay_alu instid0(VALU_DEP_1) | instskip(NEXT) | instid1(VALU_DEP_1)
	v_add_nc_u32_e32 v2, v0, v2
	v_lshrrev_b32_e32 v2, v14, v2
	s_delay_alu instid0(VALU_DEP_1) | instskip(NEXT) | instid1(VALU_DEP_1)
	v_mul_lo_u32 v3, v2, v12
	v_sub_nc_u32_e32 v0, v0, v3
	s_wait_loadcnt 0x0
	s_delay_alu instid0(VALU_DEP_1)
	v_mul_lo_u32 v4, v0, v30
	v_mul_lo_u32 v12, v0, v32
	;; [unrolled: 1-line block ×3, first 2 shown]
	s_wait_xcnt 0x0
	v_cmpx_lt_u32_e32 1, v1
	s_cbranch_execz .LBB297_190
; %bb.189:
	s_clause 0x1
	scratch_load_b96 v[30:32], off, off offset:32
	scratch_load_b96 v[34:36], off, off offset:224
	s_wait_loadcnt 0x1
	v_mul_hi_u32 v0, v31, v2
	s_delay_alu instid0(VALU_DEP_1) | instskip(NEXT) | instid1(VALU_DEP_1)
	v_add_nc_u32_e32 v0, v2, v0
	v_lshrrev_b32_e32 v0, v32, v0
	s_delay_alu instid0(VALU_DEP_1) | instskip(NEXT) | instid1(VALU_DEP_1)
	v_mul_lo_u32 v0, v0, v30
	v_sub_nc_u32_e32 v0, v2, v0
	s_wait_loadcnt 0x0
	s_delay_alu instid0(VALU_DEP_1)
	v_mad_u32 v4, v0, v34, v4
	v_mad_u32 v14, v0, v35, v14
	;; [unrolled: 1-line block ×3, first 2 shown]
.LBB297_190:
	s_wait_xcnt 0x0
	s_or_b32 exec_lo, exec_lo, s3
.LBB297_191:
	s_delay_alu instid0(SALU_CYCLE_1)
	s_or_b32 exec_lo, exec_lo, s0
	s_clause 0x2
	scratch_load_b128 v[0:3], off, off offset:408
	scratch_load_u8 v7, off, off offset:437
	scratch_load_b32 v9, off, off offset:432
	v_mov_b32_e32 v17, 0
	s_mov_b32 s5, 0
	s_mov_b32 s3, s1
	s_mov_b32 s0, exec_lo
                                        ; implicit-def: $vgpr11
	s_wait_loadcnt 0x2
	v_add_nc_u64_e32 v[16:17], v[2:3], v[16:17]
	s_wait_loadcnt 0x1
	s_wait_xcnt 0x0
	v_cmpx_lt_i16_e32 10, v7
	s_xor_b32 s0, exec_lo, s0
	s_cbranch_execz .LBB297_260
; %bb.192:
	s_mov_b32 s3, 0
	s_mov_b32 s6, 0
	;; [unrolled: 1-line block ×3, first 2 shown]
	s_mov_b32 s5, exec_lo
                                        ; implicit-def: $vgpr11
	v_cmpx_lt_i16_e32 25, v7
	s_xor_b32 s5, exec_lo, s5
	s_cbranch_execz .LBB297_2071
; %bb.193:
	s_mov_b32 s7, 0
	s_mov_b32 s4, exec_lo
                                        ; implicit-def: $vgpr11
	v_cmpx_lt_i16_e32 28, v7
	s_xor_b32 s4, exec_lo, s4
	s_cbranch_execz .LBB297_227
; %bb.194:
	s_mov_b32 s8, 0
	s_mov_b32 s9, 0
	s_mov_b32 s6, exec_lo
                                        ; implicit-def: $vgpr11
	v_cmpx_lt_i16_e32 43, v7
	s_xor_b32 s6, exec_lo, s6
	s_cbranch_execz .LBB297_216
; %bb.195:
	s_mov_b32 s9, exec_lo
                                        ; implicit-def: $vgpr11
	v_cmpx_lt_i16_e32 45, v7
	s_xor_b32 s9, exec_lo, s9
	s_cbranch_execz .LBB297_205
; %bb.196:
	s_mov_b32 s10, -1
	s_mov_b32 s7, exec_lo
                                        ; implicit-def: $vgpr11
	v_cmpx_eq_u16_e32 46, v7
	s_cbranch_execz .LBB297_204
; %bb.197:
	flat_load_b32 v5, v[16:17]
	v_mov_b32_e32 v11, 0x80
	s_mov_b32 s8, exec_lo
	s_wait_loadcnt_dscnt 0x0
	v_lshlrev_b32_e32 v5, 16, v5
	s_delay_alu instid0(VALU_DEP_1) | instskip(SKIP_1) | instid1(VALU_DEP_1)
	v_and_b32_e32 v13, 0x7fffffff, v5
	s_wait_xcnt 0x0
	v_cmpx_gt_u32_e32 0x43800000, v13
	s_cbranch_execz .LBB297_203
; %bb.198:
	v_cmp_lt_u32_e32 vcc_lo, 0x3bffffff, v13
	s_mov_b32 s10, 0
                                        ; implicit-def: $vgpr13
	s_and_saveexec_b32 s11, vcc_lo
	s_delay_alu instid0(SALU_CYCLE_1)
	s_xor_b32 s11, exec_lo, s11
	s_cbranch_execz .LBB297_2454
; %bb.199:
	v_bfe_u32 v11, v5, 20, 1
	s_mov_b32 s10, exec_lo
	s_delay_alu instid0(VALU_DEP_1) | instskip(NEXT) | instid1(VALU_DEP_1)
	v_add3_u32 v11, v5, v11, 0x487ffff
	v_lshrrev_b32_e32 v13, 20, v11
	s_and_not1_saveexec_b32 s11, s11
	s_cbranch_execnz .LBB297_2455
.LBB297_200:
	s_or_b32 exec_lo, exec_lo, s11
	v_mov_b32_e32 v11, 0
	s_and_saveexec_b32 s11, s10
.LBB297_201:
	v_lshrrev_b32_e32 v5, 24, v5
	s_delay_alu instid0(VALU_DEP_1)
	v_and_or_b32 v11, 0x80, v5, v13
.LBB297_202:
	s_or_b32 exec_lo, exec_lo, s11
.LBB297_203:
	s_delay_alu instid0(SALU_CYCLE_1) | instskip(NEXT) | instid1(SALU_CYCLE_1)
	s_or_b32 exec_lo, exec_lo, s8
	s_mov_b32 s8, exec_lo
	s_xor_b32 s10, exec_lo, -1
.LBB297_204:
	s_or_b32 exec_lo, exec_lo, s7
	s_delay_alu instid0(SALU_CYCLE_1)
	s_and_b32 s8, s8, exec_lo
	s_and_b32 s7, s10, exec_lo
.LBB297_205:
	s_and_not1_saveexec_b32 s9, s9
	s_cbranch_execz .LBB297_215
; %bb.206:
	s_mov_b32 s11, -1
	s_mov_b32 s12, s8
	s_mov_b32 s10, exec_lo
                                        ; implicit-def: $vgpr11
	v_cmpx_eq_u16_e32 44, v7
	s_cbranch_execz .LBB297_214
; %bb.207:
	flat_load_u8 v5, v[16:17]
	s_mov_b32 s12, 0
	s_mov_b32 s11, exec_lo
	s_wait_loadcnt_dscnt 0x0
	v_lshlrev_b32_e32 v11, 23, v5
	v_cmp_ne_u32_e32 vcc_lo, 0xff, v5
	s_delay_alu instid0(VALU_DEP_2) | instskip(SKIP_1) | instid1(VALU_DEP_2)
	v_cndmask_b32_e32 v11, 0x7f800001, v11, vcc_lo
	v_cmp_ne_u32_e32 vcc_lo, 0, v5
	v_cndmask_b32_e32 v13, 0x400000, v11, vcc_lo
	v_mov_b32_e32 v11, 0x80
	s_wait_xcnt 0x0
	s_delay_alu instid0(VALU_DEP_2)
	v_cmpx_gt_u32_e32 0x43800000, v13
	s_cbranch_execz .LBB297_213
; %bb.208:
	s_mov_b32 s13, exec_lo
                                        ; implicit-def: $vgpr5
	v_cmpx_lt_u32_e32 0x3bffffff, v13
	s_xor_b32 s13, exec_lo, s13
	s_cbranch_execz .LBB297_2456
; %bb.209:
	v_bfe_u32 v5, v13, 20, 1
	s_mov_b32 s12, exec_lo
	s_delay_alu instid0(VALU_DEP_1) | instskip(NEXT) | instid1(VALU_DEP_1)
	v_add3_u32 v5, v13, v5, 0x487ffff
                                        ; implicit-def: $vgpr13
	v_lshrrev_b32_e32 v5, 20, v5
	s_and_not1_saveexec_b32 s13, s13
	s_cbranch_execnz .LBB297_2457
.LBB297_210:
	s_or_b32 exec_lo, exec_lo, s13
	v_mov_b32_e32 v11, 0
	s_and_saveexec_b32 s13, s12
.LBB297_211:
	v_mov_b32_e32 v11, v5
.LBB297_212:
	s_or_b32 exec_lo, exec_lo, s13
.LBB297_213:
	s_delay_alu instid0(SALU_CYCLE_1) | instskip(NEXT) | instid1(SALU_CYCLE_1)
	s_or_b32 exec_lo, exec_lo, s11
	s_or_b32 s12, s8, exec_lo
	s_xor_b32 s11, exec_lo, -1
.LBB297_214:
	s_or_b32 exec_lo, exec_lo, s10
	s_delay_alu instid0(SALU_CYCLE_1)
	s_and_not1_b32 s8, s8, exec_lo
	s_and_b32 s10, s12, exec_lo
	s_and_not1_b32 s7, s7, exec_lo
	s_and_b32 s11, s11, exec_lo
	s_or_b32 s8, s8, s10
	s_or_b32 s7, s7, s11
.LBB297_215:
	s_or_b32 exec_lo, exec_lo, s9
	s_delay_alu instid0(SALU_CYCLE_1)
	s_and_b32 s9, s8, exec_lo
	s_and_b32 s8, s7, exec_lo
.LBB297_216:
	s_and_not1_saveexec_b32 s6, s6
	s_cbranch_execz .LBB297_226
; %bb.217:
	s_mov_b32 s10, -1
	s_mov_b32 s11, s9
	s_mov_b32 s7, exec_lo
                                        ; implicit-def: $vgpr11
	v_cmpx_eq_u16_e32 29, v7
	s_cbranch_execz .LBB297_225
; %bb.218:
	flat_load_b64 v[22:23], v[16:17]
	s_mov_b32 s10, exec_lo
	s_wait_loadcnt_dscnt 0x0
	v_clz_i32_u32_e32 v5, v23
	s_delay_alu instid0(VALU_DEP_1) | instskip(NEXT) | instid1(VALU_DEP_1)
	v_min_u32_e32 v5, 32, v5
	v_lshlrev_b64_e32 v[22:23], v5, v[22:23]
	v_sub_nc_u32_e32 v5, 32, v5
	s_delay_alu instid0(VALU_DEP_2) | instskip(NEXT) | instid1(VALU_DEP_1)
	v_min_u32_e32 v11, 1, v22
	v_or_b32_e32 v11, v23, v11
	s_delay_alu instid0(VALU_DEP_1) | instskip(NEXT) | instid1(VALU_DEP_1)
	v_cvt_f32_u32_e32 v11, v11
	v_ldexp_f32 v13, v11, v5
	v_mov_b32_e32 v11, 0x80
	s_wait_xcnt 0x0
	s_delay_alu instid0(VALU_DEP_2)
	v_cmpx_gt_u32_e32 0x43800000, v13
	s_cbranch_execz .LBB297_224
; %bb.219:
	s_mov_b32 s11, 0
	s_mov_b32 s12, exec_lo
                                        ; implicit-def: $vgpr5
	v_cmpx_lt_u32_e32 0x3bffffff, v13
	s_xor_b32 s12, exec_lo, s12
	s_cbranch_execz .LBB297_2363
; %bb.220:
	v_bfe_u32 v5, v13, 20, 1
	s_mov_b32 s11, exec_lo
	s_delay_alu instid0(VALU_DEP_1) | instskip(NEXT) | instid1(VALU_DEP_1)
	v_add3_u32 v5, v13, v5, 0x487ffff
                                        ; implicit-def: $vgpr13
	v_lshrrev_b32_e32 v5, 20, v5
	s_and_not1_saveexec_b32 s12, s12
	s_cbranch_execnz .LBB297_2364
.LBB297_221:
	s_or_b32 exec_lo, exec_lo, s12
	v_mov_b32_e32 v11, 0
	s_and_saveexec_b32 s12, s11
.LBB297_222:
	v_mov_b32_e32 v11, v5
.LBB297_223:
	s_or_b32 exec_lo, exec_lo, s12
.LBB297_224:
	s_delay_alu instid0(SALU_CYCLE_1) | instskip(NEXT) | instid1(SALU_CYCLE_1)
	s_or_b32 exec_lo, exec_lo, s10
	s_or_b32 s11, s9, exec_lo
	s_xor_b32 s10, exec_lo, -1
.LBB297_225:
	s_or_b32 exec_lo, exec_lo, s7
	s_delay_alu instid0(SALU_CYCLE_1)
	s_and_not1_b32 s7, s9, exec_lo
	s_and_b32 s9, s11, exec_lo
	s_and_not1_b32 s8, s8, exec_lo
	s_and_b32 s10, s10, exec_lo
	s_or_b32 s9, s7, s9
	s_or_b32 s8, s8, s10
.LBB297_226:
	s_or_b32 exec_lo, exec_lo, s6
	s_delay_alu instid0(SALU_CYCLE_1)
	s_and_b32 s7, s9, exec_lo
	s_and_b32 s6, s8, exec_lo
.LBB297_227:
	s_and_not1_saveexec_b32 s4, s4
	s_cbranch_execz .LBB297_249
; %bb.228:
	s_mov_b32 s8, exec_lo
                                        ; implicit-def: $vgpr11
	v_cmpx_lt_i16_e32 26, v7
	s_xor_b32 s8, exec_lo, s8
	s_cbranch_execz .LBB297_246
; %bb.229:
	s_mov_b32 s9, exec_lo
                                        ; implicit-def: $vgpr11
	v_cmpx_lt_i16_e32 27, v7
	s_xor_b32 s9, exec_lo, s9
	s_cbranch_execz .LBB297_237
; %bb.230:
	flat_load_b32 v5, v[16:17]
	v_mov_b32_e32 v11, 0x80
	s_mov_b32 s10, exec_lo
	s_wait_loadcnt_dscnt 0x0
	v_cvt_f32_u32_e32 v13, v5
	s_wait_xcnt 0x0
	s_delay_alu instid0(VALU_DEP_1)
	v_cmpx_gt_u32_e32 0x43800000, v13
	s_cbranch_execz .LBB297_236
; %bb.231:
	s_mov_b32 s11, 0
	s_mov_b32 s12, exec_lo
                                        ; implicit-def: $vgpr5
	v_cmpx_lt_u32_e32 0x3bffffff, v13
	s_xor_b32 s12, exec_lo, s12
	s_cbranch_execz .LBB297_2365
; %bb.232:
	v_bfe_u32 v5, v13, 20, 1
	s_mov_b32 s11, exec_lo
	s_delay_alu instid0(VALU_DEP_1) | instskip(NEXT) | instid1(VALU_DEP_1)
	v_add3_u32 v5, v13, v5, 0x487ffff
                                        ; implicit-def: $vgpr13
	v_lshrrev_b32_e32 v5, 20, v5
	s_and_not1_saveexec_b32 s12, s12
	s_cbranch_execnz .LBB297_2366
.LBB297_233:
	s_or_b32 exec_lo, exec_lo, s12
	v_mov_b32_e32 v11, 0
	s_and_saveexec_b32 s12, s11
.LBB297_234:
	v_mov_b32_e32 v11, v5
.LBB297_235:
	s_or_b32 exec_lo, exec_lo, s12
.LBB297_236:
	s_delay_alu instid0(SALU_CYCLE_1)
	s_or_b32 exec_lo, exec_lo, s10
.LBB297_237:
	s_and_not1_saveexec_b32 s9, s9
	s_cbranch_execz .LBB297_245
; %bb.238:
	flat_load_u16 v5, v[16:17]
	v_mov_b32_e32 v11, 0x80
	s_mov_b32 s10, exec_lo
	s_wait_loadcnt_dscnt 0x0
	v_cvt_f32_u32_e32 v13, v5
	s_wait_xcnt 0x0
	s_delay_alu instid0(VALU_DEP_1)
	v_cmpx_gt_u32_e32 0x43800000, v13
	s_cbranch_execz .LBB297_244
; %bb.239:
	s_mov_b32 s11, 0
	s_mov_b32 s12, exec_lo
                                        ; implicit-def: $vgpr5
	v_cmpx_lt_u32_e32 0x3bffffff, v13
	s_xor_b32 s12, exec_lo, s12
	s_cbranch_execz .LBB297_2367
; %bb.240:
	v_bfe_u32 v5, v13, 20, 1
	s_mov_b32 s11, exec_lo
	s_delay_alu instid0(VALU_DEP_1) | instskip(NEXT) | instid1(VALU_DEP_1)
	v_add3_u32 v5, v13, v5, 0x487ffff
                                        ; implicit-def: $vgpr13
	v_lshrrev_b32_e32 v5, 20, v5
	s_and_not1_saveexec_b32 s12, s12
	s_cbranch_execnz .LBB297_2368
.LBB297_241:
	s_or_b32 exec_lo, exec_lo, s12
	v_mov_b32_e32 v11, 0
	s_and_saveexec_b32 s12, s11
.LBB297_242:
	v_mov_b32_e32 v11, v5
.LBB297_243:
	s_or_b32 exec_lo, exec_lo, s12
.LBB297_244:
	s_delay_alu instid0(SALU_CYCLE_1)
	s_or_b32 exec_lo, exec_lo, s10
.LBB297_245:
	s_delay_alu instid0(SALU_CYCLE_1)
	s_or_b32 exec_lo, exec_lo, s9
.LBB297_246:
	s_and_not1_saveexec_b32 s8, s8
	s_cbranch_execz .LBB297_248
; %bb.247:
	flat_load_u8 v11, v[16:17]
.LBB297_248:
	s_wait_xcnt 0x0
	s_or_b32 exec_lo, exec_lo, s8
	s_delay_alu instid0(SALU_CYCLE_1)
	s_or_b32 s7, s7, exec_lo
.LBB297_249:
	s_or_b32 exec_lo, exec_lo, s4
	s_delay_alu instid0(SALU_CYCLE_1)
	s_and_b32 s4, s7, exec_lo
	s_and_b32 s6, s6, exec_lo
	s_and_not1_saveexec_b32 s5, s5
	s_cbranch_execnz .LBB297_2072
.LBB297_250:
	s_or_b32 exec_lo, exec_lo, s5
	s_mov_b32 s5, s1
	s_and_saveexec_b32 s7, s6
	s_cbranch_execnz .LBB297_2121
.LBB297_251:
	s_or_b32 exec_lo, exec_lo, s7
	s_and_saveexec_b32 s6, s3
	s_delay_alu instid0(SALU_CYCLE_1)
	s_xor_b32 s3, exec_lo, s6
	s_cbranch_execz .LBB297_259
.LBB297_252:
	flat_load_u8 v5, v[16:17]
	s_wait_loadcnt_dscnt 0x101
	v_mov_b32_e32 v11, 0x80
	s_mov_b32 s7, 0
	s_mov_b32 s6, exec_lo
	s_wait_loadcnt_dscnt 0x0
	v_cmp_ne_u16_e32 vcc_lo, 0, v5
	v_cndmask_b32_e64 v13, 0, 1.0, vcc_lo
	s_wait_xcnt 0x0
	s_delay_alu instid0(VALU_DEP_1)
	v_cmpx_gt_u32_e32 0x43800000, v13
	s_cbranch_execz .LBB297_258
; %bb.253:
	s_mov_b32 s8, exec_lo
                                        ; implicit-def: $vgpr5
	v_cmpx_lt_u32_e32 0x3bffffff, v13
	s_xor_b32 s8, exec_lo, s8
	s_cbranch_execz .LBB297_2173
; %bb.254:
	v_bfe_u32 v5, v13, 20, 1
	s_mov_b32 s7, exec_lo
	s_delay_alu instid0(VALU_DEP_1) | instskip(NEXT) | instid1(VALU_DEP_1)
	v_add3_u32 v5, v13, v5, 0x487ffff
                                        ; implicit-def: $vgpr13
	v_lshrrev_b32_e32 v5, 20, v5
	s_and_not1_saveexec_b32 s8, s8
	s_cbranch_execnz .LBB297_2174
.LBB297_255:
	s_or_b32 exec_lo, exec_lo, s8
	v_mov_b32_e32 v11, 0
	s_and_saveexec_b32 s8, s7
.LBB297_256:
	v_mov_b32_e32 v11, v5
.LBB297_257:
	s_or_b32 exec_lo, exec_lo, s8
.LBB297_258:
	s_delay_alu instid0(SALU_CYCLE_1) | instskip(NEXT) | instid1(SALU_CYCLE_1)
	s_or_b32 exec_lo, exec_lo, s6
	s_or_b32 s4, s4, exec_lo
.LBB297_259:
	s_or_b32 exec_lo, exec_lo, s3
	s_delay_alu instid0(SALU_CYCLE_1) | instskip(SKIP_1) | instid1(SALU_CYCLE_1)
	s_and_not1_b32 s3, s1, exec_lo
	s_and_b32 s5, s5, exec_lo
                                        ; implicit-def: $vgpr16_vgpr17
	s_or_b32 s3, s3, s5
	s_and_b32 s5, s4, exec_lo
.LBB297_260:
	s_and_not1_saveexec_b32 s0, s0
	s_cbranch_execz .LBB297_368
; %bb.261:
	s_mov_b32 s4, exec_lo
                                        ; implicit-def: $vgpr11
	v_cmpx_lt_i16_e32 4, v7
	s_xor_b32 s4, exec_lo, s4
	s_cbranch_execz .LBB297_319
; %bb.262:
	s_mov_b32 s6, exec_lo
                                        ; implicit-def: $vgpr11
	v_cmpx_lt_i16_e32 7, v7
	s_xor_b32 s6, exec_lo, s6
	;; [unrolled: 6-line block ×4, first 2 shown]
	s_cbranch_execz .LBB297_272
; %bb.265:
	flat_load_b64 v[16:17], v[16:17]
	s_wait_loadcnt_dscnt 0x101
	v_mov_b32_e32 v11, 0x80
	s_mov_b32 s9, exec_lo
	s_wait_loadcnt_dscnt 0x0
	v_cvt_f32_f64_e32 v5, v[16:17]
	s_delay_alu instid0(VALU_DEP_1) | instskip(SKIP_1) | instid1(VALU_DEP_1)
	v_and_b32_e32 v13, 0x7fffffff, v5
	s_wait_xcnt 0x0
	v_cmpx_gt_u32_e32 0x43800000, v13
	s_cbranch_execz .LBB297_271
; %bb.266:
	v_cmp_lt_u32_e32 vcc_lo, 0x3bffffff, v13
	s_mov_b32 s10, 0
                                        ; implicit-def: $vgpr13
	s_and_saveexec_b32 s11, vcc_lo
	s_delay_alu instid0(SALU_CYCLE_1)
	s_xor_b32 s11, exec_lo, s11
	s_cbranch_execz .LBB297_2369
; %bb.267:
	v_bfe_u32 v11, v5, 20, 1
	s_mov_b32 s10, exec_lo
	s_delay_alu instid0(VALU_DEP_1) | instskip(NEXT) | instid1(VALU_DEP_1)
	v_add3_u32 v11, v5, v11, 0x487ffff
	v_lshrrev_b32_e32 v13, 20, v11
	s_and_not1_saveexec_b32 s11, s11
	s_cbranch_execnz .LBB297_2370
.LBB297_268:
	s_or_b32 exec_lo, exec_lo, s11
	v_mov_b32_e32 v11, 0
	s_and_saveexec_b32 s11, s10
.LBB297_269:
	v_lshrrev_b32_e32 v5, 24, v5
	s_delay_alu instid0(VALU_DEP_1)
	v_and_or_b32 v11, 0x80, v5, v13
.LBB297_270:
	s_or_b32 exec_lo, exec_lo, s11
.LBB297_271:
	s_delay_alu instid0(SALU_CYCLE_1)
	s_or_b32 exec_lo, exec_lo, s9
                                        ; implicit-def: $vgpr16_vgpr17
.LBB297_272:
	s_and_not1_saveexec_b32 s8, s8
	s_cbranch_execz .LBB297_280
; %bb.273:
	flat_load_b32 v5, v[16:17]
	s_wait_loadcnt_dscnt 0x101
	v_mov_b32_e32 v11, 0x80
	s_mov_b32 s9, exec_lo
	s_wait_loadcnt_dscnt 0x0
	v_and_b32_e32 v13, 0x7fffffff, v5
	s_wait_xcnt 0x0
	s_delay_alu instid0(VALU_DEP_1)
	v_cmpx_gt_u32_e32 0x43800000, v13
	s_cbranch_execz .LBB297_279
; %bb.274:
	v_cmp_lt_u32_e32 vcc_lo, 0x3bffffff, v13
	s_mov_b32 s10, 0
                                        ; implicit-def: $vgpr13
	s_and_saveexec_b32 s11, vcc_lo
	s_delay_alu instid0(SALU_CYCLE_1)
	s_xor_b32 s11, exec_lo, s11
	s_cbranch_execz .LBB297_2371
; %bb.275:
	v_bfe_u32 v11, v5, 20, 1
	s_mov_b32 s10, exec_lo
	s_delay_alu instid0(VALU_DEP_1) | instskip(NEXT) | instid1(VALU_DEP_1)
	v_add3_u32 v11, v5, v11, 0x487ffff
	v_lshrrev_b32_e32 v13, 20, v11
	s_and_not1_saveexec_b32 s11, s11
	s_cbranch_execnz .LBB297_2372
.LBB297_276:
	s_or_b32 exec_lo, exec_lo, s11
	v_mov_b32_e32 v11, 0
	s_and_saveexec_b32 s11, s10
.LBB297_277:
	v_lshrrev_b32_e32 v5, 24, v5
	s_delay_alu instid0(VALU_DEP_1)
	v_and_or_b32 v11, 0x80, v5, v13
.LBB297_278:
	s_or_b32 exec_lo, exec_lo, s11
.LBB297_279:
	s_delay_alu instid0(SALU_CYCLE_1)
	s_or_b32 exec_lo, exec_lo, s9
.LBB297_280:
	s_delay_alu instid0(SALU_CYCLE_1)
	s_or_b32 exec_lo, exec_lo, s8
                                        ; implicit-def: $vgpr16_vgpr17
.LBB297_281:
	s_and_not1_saveexec_b32 s7, s7
	s_cbranch_execz .LBB297_289
; %bb.282:
	flat_load_b32 v5, v[16:17]
	s_wait_loadcnt_dscnt 0x101
	v_mov_b32_e32 v11, 0x80
	s_mov_b32 s8, exec_lo
	s_wait_loadcnt_dscnt 0x0
	v_cvt_f32_f16_e32 v5, v5
	s_delay_alu instid0(VALU_DEP_1) | instskip(SKIP_1) | instid1(VALU_DEP_1)
	v_and_b32_e32 v13, 0x7fffffff, v5
	s_wait_xcnt 0x0
	v_cmpx_gt_u32_e32 0x43800000, v13
	s_cbranch_execz .LBB297_288
; %bb.283:
	v_cmp_lt_u32_e32 vcc_lo, 0x3bffffff, v13
	s_mov_b32 s9, 0
                                        ; implicit-def: $vgpr13
	s_and_saveexec_b32 s10, vcc_lo
	s_delay_alu instid0(SALU_CYCLE_1)
	s_xor_b32 s10, exec_lo, s10
	s_cbranch_execz .LBB297_2288
; %bb.284:
	v_bfe_u32 v11, v5, 20, 1
	s_mov_b32 s9, exec_lo
	s_delay_alu instid0(VALU_DEP_1) | instskip(NEXT) | instid1(VALU_DEP_1)
	v_add3_u32 v11, v5, v11, 0x487ffff
	v_lshrrev_b32_e32 v13, 20, v11
	s_and_not1_saveexec_b32 s10, s10
	s_cbranch_execnz .LBB297_2289
.LBB297_285:
	s_or_b32 exec_lo, exec_lo, s10
	v_mov_b32_e32 v11, 0
	s_and_saveexec_b32 s10, s9
.LBB297_286:
	v_lshrrev_b32_e32 v5, 24, v5
	s_delay_alu instid0(VALU_DEP_1)
	v_and_or_b32 v11, 0x80, v5, v13
.LBB297_287:
	s_or_b32 exec_lo, exec_lo, s10
.LBB297_288:
	s_delay_alu instid0(SALU_CYCLE_1)
	s_or_b32 exec_lo, exec_lo, s8
.LBB297_289:
	s_delay_alu instid0(SALU_CYCLE_1)
	s_or_b32 exec_lo, exec_lo, s7
                                        ; implicit-def: $vgpr16_vgpr17
.LBB297_290:
	s_and_not1_saveexec_b32 s6, s6
	s_cbranch_execz .LBB297_318
; %bb.291:
	s_mov_b32 s7, exec_lo
                                        ; implicit-def: $vgpr11
	v_cmpx_lt_i16_e32 5, v7
	s_xor_b32 s7, exec_lo, s7
	s_cbranch_execz .LBB297_309
; %bb.292:
	s_mov_b32 s8, exec_lo
                                        ; implicit-def: $vgpr11
	v_cmpx_lt_i16_e32 6, v7
	s_xor_b32 s8, exec_lo, s8
	s_cbranch_execz .LBB297_300
; %bb.293:
	flat_load_b64 v[16:17], v[16:17]
	s_wait_loadcnt_dscnt 0x101
	v_mov_b32_e32 v11, 0x80
	s_mov_b32 s9, exec_lo
	s_wait_loadcnt_dscnt 0x0
	v_cvt_f32_f64_e32 v5, v[16:17]
	s_delay_alu instid0(VALU_DEP_1) | instskip(SKIP_1) | instid1(VALU_DEP_1)
	v_and_b32_e32 v13, 0x7fffffff, v5
	s_wait_xcnt 0x0
	v_cmpx_gt_u32_e32 0x43800000, v13
	s_cbranch_execz .LBB297_299
; %bb.294:
	v_cmp_lt_u32_e32 vcc_lo, 0x3bffffff, v13
	s_mov_b32 s10, 0
                                        ; implicit-def: $vgpr13
	s_and_saveexec_b32 s11, vcc_lo
	s_delay_alu instid0(SALU_CYCLE_1)
	s_xor_b32 s11, exec_lo, s11
	s_cbranch_execz .LBB297_2373
; %bb.295:
	v_bfe_u32 v11, v5, 20, 1
	s_mov_b32 s10, exec_lo
	s_delay_alu instid0(VALU_DEP_1) | instskip(NEXT) | instid1(VALU_DEP_1)
	v_add3_u32 v11, v5, v11, 0x487ffff
	v_lshrrev_b32_e32 v13, 20, v11
	s_and_not1_saveexec_b32 s11, s11
	s_cbranch_execnz .LBB297_2374
.LBB297_296:
	s_or_b32 exec_lo, exec_lo, s11
	v_mov_b32_e32 v11, 0
	s_and_saveexec_b32 s11, s10
.LBB297_297:
	v_lshrrev_b32_e32 v5, 24, v5
	s_delay_alu instid0(VALU_DEP_1)
	v_and_or_b32 v11, 0x80, v5, v13
.LBB297_298:
	s_or_b32 exec_lo, exec_lo, s11
.LBB297_299:
	s_delay_alu instid0(SALU_CYCLE_1)
	s_or_b32 exec_lo, exec_lo, s9
                                        ; implicit-def: $vgpr16_vgpr17
.LBB297_300:
	s_and_not1_saveexec_b32 s8, s8
	s_cbranch_execz .LBB297_308
; %bb.301:
	flat_load_b32 v5, v[16:17]
	s_wait_loadcnt_dscnt 0x101
	v_mov_b32_e32 v11, 0x80
	s_mov_b32 s9, exec_lo
	s_wait_loadcnt_dscnt 0x0
	v_and_b32_e32 v13, 0x7fffffff, v5
	s_wait_xcnt 0x0
	s_delay_alu instid0(VALU_DEP_1)
	v_cmpx_gt_u32_e32 0x43800000, v13
	s_cbranch_execz .LBB297_307
; %bb.302:
	v_cmp_lt_u32_e32 vcc_lo, 0x3bffffff, v13
	s_mov_b32 s10, 0
                                        ; implicit-def: $vgpr13
	s_and_saveexec_b32 s11, vcc_lo
	s_delay_alu instid0(SALU_CYCLE_1)
	s_xor_b32 s11, exec_lo, s11
	s_cbranch_execz .LBB297_2375
; %bb.303:
	v_bfe_u32 v11, v5, 20, 1
	s_mov_b32 s10, exec_lo
	s_delay_alu instid0(VALU_DEP_1) | instskip(NEXT) | instid1(VALU_DEP_1)
	v_add3_u32 v11, v5, v11, 0x487ffff
	v_lshrrev_b32_e32 v13, 20, v11
	s_and_not1_saveexec_b32 s11, s11
	s_cbranch_execnz .LBB297_2376
.LBB297_304:
	s_or_b32 exec_lo, exec_lo, s11
	v_mov_b32_e32 v11, 0
	s_and_saveexec_b32 s11, s10
.LBB297_305:
	v_lshrrev_b32_e32 v5, 24, v5
	s_delay_alu instid0(VALU_DEP_1)
	v_and_or_b32 v11, 0x80, v5, v13
.LBB297_306:
	s_or_b32 exec_lo, exec_lo, s11
.LBB297_307:
	s_delay_alu instid0(SALU_CYCLE_1)
	s_or_b32 exec_lo, exec_lo, s9
.LBB297_308:
	s_delay_alu instid0(SALU_CYCLE_1)
	s_or_b32 exec_lo, exec_lo, s8
                                        ; implicit-def: $vgpr16_vgpr17
.LBB297_309:
	s_and_not1_saveexec_b32 s7, s7
	s_cbranch_execz .LBB297_317
; %bb.310:
	flat_load_u16 v5, v[16:17]
	s_wait_loadcnt_dscnt 0x101
	v_mov_b32_e32 v11, 0x80
	s_mov_b32 s8, exec_lo
	s_wait_loadcnt_dscnt 0x0
	v_cvt_f32_f16_e32 v5, v5
	s_delay_alu instid0(VALU_DEP_1) | instskip(SKIP_1) | instid1(VALU_DEP_1)
	v_and_b32_e32 v13, 0x7fffffff, v5
	s_wait_xcnt 0x0
	v_cmpx_gt_u32_e32 0x43800000, v13
	s_cbranch_execz .LBB297_316
; %bb.311:
	v_cmp_lt_u32_e32 vcc_lo, 0x3bffffff, v13
	s_mov_b32 s9, 0
                                        ; implicit-def: $vgpr13
	s_and_saveexec_b32 s10, vcc_lo
	s_delay_alu instid0(SALU_CYCLE_1)
	s_xor_b32 s10, exec_lo, s10
	s_cbranch_execz .LBB297_2290
; %bb.312:
	v_bfe_u32 v11, v5, 20, 1
	s_mov_b32 s9, exec_lo
	s_delay_alu instid0(VALU_DEP_1) | instskip(NEXT) | instid1(VALU_DEP_1)
	v_add3_u32 v11, v5, v11, 0x487ffff
	v_lshrrev_b32_e32 v13, 20, v11
	s_and_not1_saveexec_b32 s10, s10
	s_cbranch_execnz .LBB297_2291
.LBB297_313:
	s_or_b32 exec_lo, exec_lo, s10
	v_mov_b32_e32 v11, 0
	s_and_saveexec_b32 s10, s9
.LBB297_314:
	v_lshrrev_b32_e32 v5, 24, v5
	s_delay_alu instid0(VALU_DEP_1)
	v_and_or_b32 v11, 0x80, v5, v13
.LBB297_315:
	s_or_b32 exec_lo, exec_lo, s10
.LBB297_316:
	s_delay_alu instid0(SALU_CYCLE_1)
	s_or_b32 exec_lo, exec_lo, s8
.LBB297_317:
	s_delay_alu instid0(SALU_CYCLE_1)
	s_or_b32 exec_lo, exec_lo, s7
.LBB297_318:
	s_delay_alu instid0(SALU_CYCLE_1)
	s_or_b32 exec_lo, exec_lo, s6
                                        ; implicit-def: $vgpr16_vgpr17
.LBB297_319:
	s_and_not1_saveexec_b32 s4, s4
	s_cbranch_execz .LBB297_367
; %bb.320:
	s_mov_b32 s6, exec_lo
                                        ; implicit-def: $vgpr11
	v_cmpx_lt_i16_e32 1, v7
	s_xor_b32 s6, exec_lo, s6
	s_cbranch_execz .LBB297_348
; %bb.321:
	s_mov_b32 s7, exec_lo
                                        ; implicit-def: $vgpr11
	v_cmpx_lt_i16_e32 2, v7
	s_xor_b32 s7, exec_lo, s7
	;; [unrolled: 6-line block ×3, first 2 shown]
	s_cbranch_execz .LBB297_330
; %bb.323:
	flat_load_b64 v[16:17], v[16:17]
	s_mov_b32 s9, exec_lo
	s_wait_loadcnt_dscnt 0x0
	v_xor_b32_e32 v5, v16, v17
	v_cls_i32_e32 v11, v17
	s_delay_alu instid0(VALU_DEP_2) | instskip(NEXT) | instid1(VALU_DEP_1)
	v_ashrrev_i32_e32 v5, 31, v5
	v_add_nc_u32_e32 v5, 32, v5
	s_delay_alu instid0(VALU_DEP_1) | instskip(SKIP_1) | instid1(VALU_DEP_1)
	v_add_min_u32_e64 v5, v11, -1, v5
	s_wait_xcnt 0x0
	v_lshlrev_b64_e32 v[16:17], v5, v[16:17]
	v_sub_nc_u32_e32 v5, 32, v5
	s_delay_alu instid0(VALU_DEP_2) | instskip(NEXT) | instid1(VALU_DEP_1)
	v_min_u32_e32 v11, 1, v16
	v_or_b32_e32 v11, v17, v11
	s_delay_alu instid0(VALU_DEP_1) | instskip(NEXT) | instid1(VALU_DEP_1)
	v_cvt_f32_i32_e32 v11, v11
	v_ldexp_f32 v5, v11, v5
	v_mov_b32_e32 v11, 0x80
	s_delay_alu instid0(VALU_DEP_2) | instskip(NEXT) | instid1(VALU_DEP_1)
	v_and_b32_e32 v13, 0x7fffffff, v5
	v_cmpx_gt_u32_e32 0x43800000, v13
	s_cbranch_execz .LBB297_329
; %bb.324:
	v_cmp_lt_u32_e32 vcc_lo, 0x3bffffff, v13
	s_mov_b32 s10, 0
                                        ; implicit-def: $vgpr13
	s_and_saveexec_b32 s11, vcc_lo
	s_delay_alu instid0(SALU_CYCLE_1)
	s_xor_b32 s11, exec_lo, s11
	s_cbranch_execz .LBB297_2377
; %bb.325:
	v_bfe_u32 v11, v5, 20, 1
	s_mov_b32 s10, exec_lo
	s_delay_alu instid0(VALU_DEP_1) | instskip(NEXT) | instid1(VALU_DEP_1)
	v_add3_u32 v11, v5, v11, 0x487ffff
	v_lshrrev_b32_e32 v13, 20, v11
	s_and_not1_saveexec_b32 s11, s11
	s_cbranch_execnz .LBB297_2378
.LBB297_326:
	s_or_b32 exec_lo, exec_lo, s11
	v_mov_b32_e32 v11, 0
	s_and_saveexec_b32 s11, s10
.LBB297_327:
	v_lshrrev_b32_e32 v5, 24, v5
	s_delay_alu instid0(VALU_DEP_1)
	v_and_or_b32 v11, 0x80, v5, v13
.LBB297_328:
	s_or_b32 exec_lo, exec_lo, s11
.LBB297_329:
	s_delay_alu instid0(SALU_CYCLE_1)
	s_or_b32 exec_lo, exec_lo, s9
                                        ; implicit-def: $vgpr16_vgpr17
.LBB297_330:
	s_and_not1_saveexec_b32 s8, s8
	s_cbranch_execz .LBB297_338
; %bb.331:
	flat_load_b32 v5, v[16:17]
	s_wait_loadcnt_dscnt 0x101
	v_mov_b32_e32 v11, 0x80
	s_mov_b32 s9, exec_lo
	s_wait_loadcnt_dscnt 0x0
	v_cvt_f32_i32_e32 v5, v5
	s_delay_alu instid0(VALU_DEP_1) | instskip(SKIP_1) | instid1(VALU_DEP_1)
	v_and_b32_e32 v13, 0x7fffffff, v5
	s_wait_xcnt 0x0
	v_cmpx_gt_u32_e32 0x43800000, v13
	s_cbranch_execz .LBB297_337
; %bb.332:
	v_cmp_lt_u32_e32 vcc_lo, 0x3bffffff, v13
	s_mov_b32 s10, 0
                                        ; implicit-def: $vgpr13
	s_and_saveexec_b32 s11, vcc_lo
	s_delay_alu instid0(SALU_CYCLE_1)
	s_xor_b32 s11, exec_lo, s11
	s_cbranch_execz .LBB297_2379
; %bb.333:
	v_bfe_u32 v11, v5, 20, 1
	s_mov_b32 s10, exec_lo
	s_delay_alu instid0(VALU_DEP_1) | instskip(NEXT) | instid1(VALU_DEP_1)
	v_add3_u32 v11, v5, v11, 0x487ffff
	v_lshrrev_b32_e32 v13, 20, v11
	s_and_not1_saveexec_b32 s11, s11
	s_cbranch_execnz .LBB297_2380
.LBB297_334:
	s_or_b32 exec_lo, exec_lo, s11
	v_mov_b32_e32 v11, 0
	s_and_saveexec_b32 s11, s10
.LBB297_335:
	v_lshrrev_b32_e32 v5, 24, v5
	s_delay_alu instid0(VALU_DEP_1)
	v_and_or_b32 v11, 0x80, v5, v13
.LBB297_336:
	s_or_b32 exec_lo, exec_lo, s11
.LBB297_337:
	s_delay_alu instid0(SALU_CYCLE_1)
	s_or_b32 exec_lo, exec_lo, s9
.LBB297_338:
	s_delay_alu instid0(SALU_CYCLE_1)
	s_or_b32 exec_lo, exec_lo, s8
                                        ; implicit-def: $vgpr16_vgpr17
.LBB297_339:
	s_and_not1_saveexec_b32 s7, s7
	s_cbranch_execz .LBB297_347
; %bb.340:
	flat_load_i16 v5, v[16:17]
	s_wait_loadcnt_dscnt 0x101
	v_mov_b32_e32 v11, 0x80
	s_mov_b32 s8, exec_lo
	s_wait_loadcnt_dscnt 0x0
	v_cvt_f32_i32_e32 v5, v5
	s_delay_alu instid0(VALU_DEP_1) | instskip(SKIP_1) | instid1(VALU_DEP_1)
	v_and_b32_e32 v13, 0x7fffffff, v5
	s_wait_xcnt 0x0
	v_cmpx_gt_u32_e32 0x43800000, v13
	s_cbranch_execz .LBB297_346
; %bb.341:
	v_cmp_lt_u32_e32 vcc_lo, 0x3bffffff, v13
	s_mov_b32 s9, 0
                                        ; implicit-def: $vgpr13
	s_and_saveexec_b32 s10, vcc_lo
	s_delay_alu instid0(SALU_CYCLE_1)
	s_xor_b32 s10, exec_lo, s10
	s_cbranch_execz .LBB297_2292
; %bb.342:
	v_bfe_u32 v11, v5, 20, 1
	s_mov_b32 s9, exec_lo
	s_delay_alu instid0(VALU_DEP_1) | instskip(NEXT) | instid1(VALU_DEP_1)
	v_add3_u32 v11, v5, v11, 0x487ffff
	v_lshrrev_b32_e32 v13, 20, v11
	s_and_not1_saveexec_b32 s10, s10
	s_cbranch_execnz .LBB297_2293
.LBB297_343:
	s_or_b32 exec_lo, exec_lo, s10
	v_mov_b32_e32 v11, 0
	s_and_saveexec_b32 s10, s9
.LBB297_344:
	v_lshrrev_b32_e32 v5, 24, v5
	s_delay_alu instid0(VALU_DEP_1)
	v_and_or_b32 v11, 0x80, v5, v13
.LBB297_345:
	s_or_b32 exec_lo, exec_lo, s10
.LBB297_346:
	s_delay_alu instid0(SALU_CYCLE_1)
	s_or_b32 exec_lo, exec_lo, s8
.LBB297_347:
	s_delay_alu instid0(SALU_CYCLE_1)
	s_or_b32 exec_lo, exec_lo, s7
                                        ; implicit-def: $vgpr16_vgpr17
.LBB297_348:
	s_and_not1_saveexec_b32 s6, s6
	s_cbranch_execz .LBB297_366
; %bb.349:
	s_mov_b32 s7, exec_lo
                                        ; implicit-def: $vgpr11
	v_cmpx_lt_i16_e32 0, v7
	s_xor_b32 s7, exec_lo, s7
	s_cbranch_execz .LBB297_357
; %bb.350:
	flat_load_i8 v5, v[16:17]
	s_wait_loadcnt_dscnt 0x101
	v_mov_b32_e32 v11, 0x80
	s_mov_b32 s8, exec_lo
	s_wait_loadcnt_dscnt 0x0
	v_cvt_f32_i32_e32 v5, v5
	s_delay_alu instid0(VALU_DEP_1) | instskip(SKIP_1) | instid1(VALU_DEP_1)
	v_and_b32_e32 v13, 0x7fffffff, v5
	s_wait_xcnt 0x0
	v_cmpx_gt_u32_e32 0x43800000, v13
	s_cbranch_execz .LBB297_356
; %bb.351:
	v_cmp_lt_u32_e32 vcc_lo, 0x3bffffff, v13
	s_mov_b32 s9, 0
                                        ; implicit-def: $vgpr13
	s_and_saveexec_b32 s10, vcc_lo
	s_delay_alu instid0(SALU_CYCLE_1)
	s_xor_b32 s10, exec_lo, s10
	s_cbranch_execz .LBB297_2294
; %bb.352:
	v_bfe_u32 v11, v5, 20, 1
	s_mov_b32 s9, exec_lo
	s_delay_alu instid0(VALU_DEP_1) | instskip(NEXT) | instid1(VALU_DEP_1)
	v_add3_u32 v11, v5, v11, 0x487ffff
	v_lshrrev_b32_e32 v13, 20, v11
	s_and_not1_saveexec_b32 s10, s10
	s_cbranch_execnz .LBB297_2295
.LBB297_353:
	s_or_b32 exec_lo, exec_lo, s10
	v_mov_b32_e32 v11, 0
	s_and_saveexec_b32 s10, s9
.LBB297_354:
	v_lshrrev_b32_e32 v5, 24, v5
	s_delay_alu instid0(VALU_DEP_1)
	v_and_or_b32 v11, 0x80, v5, v13
.LBB297_355:
	s_or_b32 exec_lo, exec_lo, s10
.LBB297_356:
	s_delay_alu instid0(SALU_CYCLE_1)
	s_or_b32 exec_lo, exec_lo, s8
                                        ; implicit-def: $vgpr16_vgpr17
.LBB297_357:
	s_and_not1_saveexec_b32 s7, s7
	s_cbranch_execz .LBB297_365
; %bb.358:
	flat_load_u8 v5, v[16:17]
	s_wait_loadcnt_dscnt 0x101
	v_mov_b32_e32 v11, 0x80
	s_mov_b32 s8, exec_lo
	s_wait_loadcnt_dscnt 0x0
	v_cvt_f32_ubyte0_e32 v13, v5
	s_wait_xcnt 0x0
	s_delay_alu instid0(VALU_DEP_1)
	v_cmpx_gt_u32_e32 0x43800000, v13
	s_cbranch_execz .LBB297_364
; %bb.359:
	s_mov_b32 s9, 0
	s_mov_b32 s10, exec_lo
                                        ; implicit-def: $vgpr5
	v_cmpx_lt_u32_e32 0x3bffffff, v13
	s_xor_b32 s10, exec_lo, s10
	s_cbranch_execz .LBB297_2296
; %bb.360:
	v_bfe_u32 v5, v13, 20, 1
	s_mov_b32 s9, exec_lo
	s_delay_alu instid0(VALU_DEP_1) | instskip(NEXT) | instid1(VALU_DEP_1)
	v_add3_u32 v5, v13, v5, 0x487ffff
                                        ; implicit-def: $vgpr13
	v_lshrrev_b32_e32 v5, 20, v5
	s_and_not1_saveexec_b32 s10, s10
	s_cbranch_execnz .LBB297_2297
.LBB297_361:
	s_or_b32 exec_lo, exec_lo, s10
	v_mov_b32_e32 v11, 0
	s_and_saveexec_b32 s10, s9
.LBB297_362:
	v_mov_b32_e32 v11, v5
.LBB297_363:
	s_or_b32 exec_lo, exec_lo, s10
.LBB297_364:
	s_delay_alu instid0(SALU_CYCLE_1)
	s_or_b32 exec_lo, exec_lo, s8
.LBB297_365:
	s_delay_alu instid0(SALU_CYCLE_1)
	s_or_b32 exec_lo, exec_lo, s7
.LBB297_366:
	s_delay_alu instid0(SALU_CYCLE_1)
	s_or_b32 exec_lo, exec_lo, s6
.LBB297_367:
	s_delay_alu instid0(SALU_CYCLE_1) | instskip(NEXT) | instid1(SALU_CYCLE_1)
	s_or_b32 exec_lo, exec_lo, s4
	s_or_b32 s5, s5, exec_lo
.LBB297_368:
	s_or_b32 exec_lo, exec_lo, s0
	s_mov_b32 s6, 0
	s_mov_b32 s7, 0
                                        ; implicit-def: $sgpr21
                                        ; implicit-def: $vgpr30_vgpr31
                                        ; implicit-def: $vgpr15
	s_and_saveexec_b32 s4, s5
	s_cbranch_execz .LBB297_2029
; %bb.369:
	s_clause 0x1
	scratch_load_b64 v[16:17], off, off offset:424
	scratch_load_u8 v5, off, off offset:438
	v_mov_b32_e32 v29, 0
	s_mov_b32 s5, s3
	s_mov_b32 s0, exec_lo
                                        ; implicit-def: $vgpr13
	s_wait_loadcnt 0x1
	s_delay_alu instid0(VALU_DEP_1)
	v_add_nc_u64_e32 v[22:23], v[16:17], v[28:29]
	s_wait_loadcnt 0x0
	v_cmpx_lt_i16_e32 10, v5
	s_xor_b32 s0, exec_lo, s0
	s_cbranch_execz .LBB297_438
; %bb.370:
	s_mov_b32 s5, 0
	s_mov_b32 s8, 0
	s_mov_b32 s7, exec_lo
                                        ; implicit-def: $vgpr13
	v_cmpx_lt_i16_e32 25, v5
	s_xor_b32 s7, exec_lo, s7
	s_cbranch_execz .LBB297_2122
; %bb.371:
	s_mov_b32 s9, 0
	s_mov_b32 s6, exec_lo
                                        ; implicit-def: $vgpr13
	v_cmpx_lt_i16_e32 28, v5
	s_xor_b32 s6, exec_lo, s6
	s_cbranch_execz .LBB297_405
; %bb.372:
	s_mov_b32 s10, 0
	s_mov_b32 s11, 0
	s_mov_b32 s8, exec_lo
                                        ; implicit-def: $vgpr13
	v_cmpx_lt_i16_e32 43, v5
	s_xor_b32 s8, exec_lo, s8
	s_cbranch_execz .LBB297_394
; %bb.373:
	s_mov_b32 s11, exec_lo
                                        ; implicit-def: $vgpr13
	v_cmpx_lt_i16_e32 45, v5
	s_xor_b32 s11, exec_lo, s11
	s_cbranch_execz .LBB297_383
; %bb.374:
	s_mov_b32 s12, -1
	s_mov_b32 s9, exec_lo
                                        ; implicit-def: $vgpr13
	v_cmpx_eq_u16_e32 46, v5
	s_cbranch_execz .LBB297_382
; %bb.375:
	flat_load_b32 v13, v[22:23]
	s_mov_b32 s10, exec_lo
	s_wait_loadcnt_dscnt 0x0
	v_lshlrev_b32_e32 v15, 16, v13
	v_mov_b32_e32 v13, 0x80
	s_delay_alu instid0(VALU_DEP_2) | instskip(SKIP_1) | instid1(VALU_DEP_1)
	v_and_b32_e32 v19, 0x7fffffff, v15
	s_wait_xcnt 0x0
	v_cmpx_gt_u32_e32 0x43800000, v19
	s_cbranch_execz .LBB297_381
; %bb.376:
	v_cmp_lt_u32_e32 vcc_lo, 0x3bffffff, v19
	s_mov_b32 s12, 0
                                        ; implicit-def: $vgpr19
	s_and_saveexec_b32 s13, vcc_lo
	s_delay_alu instid0(SALU_CYCLE_1)
	s_xor_b32 s13, exec_lo, s13
	s_cbranch_execz .LBB297_2557
; %bb.377:
	v_bfe_u32 v13, v15, 20, 1
	s_mov_b32 s12, exec_lo
	s_delay_alu instid0(VALU_DEP_1) | instskip(NEXT) | instid1(VALU_DEP_1)
	v_add3_u32 v13, v15, v13, 0x487ffff
	v_lshrrev_b32_e32 v19, 20, v13
	s_and_not1_saveexec_b32 s13, s13
	s_cbranch_execnz .LBB297_2558
.LBB297_378:
	s_or_b32 exec_lo, exec_lo, s13
	v_mov_b32_e32 v13, 0
	s_and_saveexec_b32 s13, s12
.LBB297_379:
	v_lshrrev_b32_e32 v13, 24, v15
	s_delay_alu instid0(VALU_DEP_1)
	v_and_or_b32 v13, 0x80, v13, v19
.LBB297_380:
	s_or_b32 exec_lo, exec_lo, s13
.LBB297_381:
	s_delay_alu instid0(SALU_CYCLE_1) | instskip(NEXT) | instid1(SALU_CYCLE_1)
	s_or_b32 exec_lo, exec_lo, s10
	s_mov_b32 s10, exec_lo
	s_xor_b32 s12, exec_lo, -1
.LBB297_382:
	s_or_b32 exec_lo, exec_lo, s9
	s_delay_alu instid0(SALU_CYCLE_1)
	s_and_b32 s10, s10, exec_lo
	s_and_b32 s9, s12, exec_lo
.LBB297_383:
	s_and_not1_saveexec_b32 s11, s11
	s_cbranch_execz .LBB297_393
; %bb.384:
	s_mov_b32 s13, -1
	s_mov_b32 s14, s10
	s_mov_b32 s12, exec_lo
                                        ; implicit-def: $vgpr13
	v_cmpx_eq_u16_e32 44, v5
	s_cbranch_execz .LBB297_392
; %bb.385:
	flat_load_u8 v13, v[22:23]
	s_mov_b32 s14, 0
	s_mov_b32 s13, exec_lo
	s_wait_loadcnt_dscnt 0x0
	v_lshlrev_b32_e32 v15, 23, v13
	v_cmp_ne_u32_e32 vcc_lo, 0xff, v13
	s_delay_alu instid0(VALU_DEP_2) | instskip(SKIP_2) | instid1(VALU_DEP_3)
	v_cndmask_b32_e32 v15, 0x7f800001, v15, vcc_lo
	v_cmp_ne_u32_e32 vcc_lo, 0, v13
	v_mov_b32_e32 v13, 0x80
	v_cndmask_b32_e32 v19, 0x400000, v15, vcc_lo
	s_wait_xcnt 0x0
	s_delay_alu instid0(VALU_DEP_1)
	v_cmpx_gt_u32_e32 0x43800000, v19
	s_cbranch_execz .LBB297_391
; %bb.386:
	s_mov_b32 s15, exec_lo
                                        ; implicit-def: $vgpr15
	v_cmpx_lt_u32_e32 0x3bffffff, v19
	s_xor_b32 s15, exec_lo, s15
	s_cbranch_execz .LBB297_2559
; %bb.387:
	v_bfe_u32 v13, v19, 20, 1
	s_mov_b32 s14, exec_lo
	s_delay_alu instid0(VALU_DEP_1) | instskip(NEXT) | instid1(VALU_DEP_1)
	v_add3_u32 v13, v19, v13, 0x487ffff
                                        ; implicit-def: $vgpr19
	v_lshrrev_b32_e32 v15, 20, v13
	s_and_not1_saveexec_b32 s15, s15
	s_cbranch_execnz .LBB297_2560
.LBB297_388:
	s_or_b32 exec_lo, exec_lo, s15
	v_mov_b32_e32 v13, 0
	s_and_saveexec_b32 s15, s14
.LBB297_389:
	v_mov_b32_e32 v13, v15
.LBB297_390:
	s_or_b32 exec_lo, exec_lo, s15
.LBB297_391:
	s_delay_alu instid0(SALU_CYCLE_1) | instskip(NEXT) | instid1(SALU_CYCLE_1)
	s_or_b32 exec_lo, exec_lo, s13
	s_or_b32 s14, s10, exec_lo
	s_xor_b32 s13, exec_lo, -1
.LBB297_392:
	s_or_b32 exec_lo, exec_lo, s12
	s_delay_alu instid0(SALU_CYCLE_1)
	s_and_not1_b32 s10, s10, exec_lo
	s_and_b32 s12, s14, exec_lo
	s_and_not1_b32 s9, s9, exec_lo
	s_and_b32 s13, s13, exec_lo
	s_or_b32 s10, s10, s12
	s_or_b32 s9, s9, s13
.LBB297_393:
	s_or_b32 exec_lo, exec_lo, s11
	s_delay_alu instid0(SALU_CYCLE_1)
	s_and_b32 s11, s10, exec_lo
	s_and_b32 s10, s9, exec_lo
.LBB297_394:
	s_and_not1_saveexec_b32 s8, s8
	s_cbranch_execz .LBB297_404
; %bb.395:
	s_mov_b32 s12, -1
	s_mov_b32 s13, s11
	s_mov_b32 s9, exec_lo
                                        ; implicit-def: $vgpr13
	v_cmpx_eq_u16_e32 29, v5
	s_cbranch_execz .LBB297_403
; %bb.396:
	flat_load_b64 v[28:29], v[22:23]
	s_mov_b32 s12, exec_lo
	s_wait_loadcnt_dscnt 0x0
	v_clz_i32_u32_e32 v13, v29
	s_delay_alu instid0(VALU_DEP_1) | instskip(NEXT) | instid1(VALU_DEP_1)
	v_min_u32_e32 v13, 32, v13
	v_lshlrev_b64_e32 v[28:29], v13, v[28:29]
	v_sub_nc_u32_e32 v13, 32, v13
	s_delay_alu instid0(VALU_DEP_2) | instskip(NEXT) | instid1(VALU_DEP_1)
	v_min_u32_e32 v15, 1, v28
	v_or_b32_e32 v15, v29, v15
	s_delay_alu instid0(VALU_DEP_1) | instskip(NEXT) | instid1(VALU_DEP_1)
	v_cvt_f32_u32_e32 v15, v15
	v_ldexp_f32 v19, v15, v13
	v_mov_b32_e32 v13, 0x80
	s_wait_xcnt 0x0
	s_delay_alu instid0(VALU_DEP_2)
	v_cmpx_gt_u32_e32 0x43800000, v19
	s_cbranch_execz .LBB297_402
; %bb.397:
	s_mov_b32 s13, 0
	s_mov_b32 s14, exec_lo
                                        ; implicit-def: $vgpr15
	v_cmpx_lt_u32_e32 0x3bffffff, v19
	s_xor_b32 s14, exec_lo, s14
	s_cbranch_execz .LBB297_2458
; %bb.398:
	v_bfe_u32 v13, v19, 20, 1
	s_mov_b32 s13, exec_lo
	s_delay_alu instid0(VALU_DEP_1) | instskip(NEXT) | instid1(VALU_DEP_1)
	v_add3_u32 v13, v19, v13, 0x487ffff
                                        ; implicit-def: $vgpr19
	v_lshrrev_b32_e32 v15, 20, v13
	s_and_not1_saveexec_b32 s14, s14
	s_cbranch_execnz .LBB297_2459
.LBB297_399:
	s_or_b32 exec_lo, exec_lo, s14
	v_mov_b32_e32 v13, 0
	s_and_saveexec_b32 s14, s13
.LBB297_400:
	v_mov_b32_e32 v13, v15
.LBB297_401:
	s_or_b32 exec_lo, exec_lo, s14
.LBB297_402:
	s_delay_alu instid0(SALU_CYCLE_1) | instskip(NEXT) | instid1(SALU_CYCLE_1)
	s_or_b32 exec_lo, exec_lo, s12
	s_or_b32 s13, s11, exec_lo
	s_xor_b32 s12, exec_lo, -1
.LBB297_403:
	s_or_b32 exec_lo, exec_lo, s9
	s_delay_alu instid0(SALU_CYCLE_1)
	s_and_not1_b32 s9, s11, exec_lo
	s_and_b32 s11, s13, exec_lo
	s_and_not1_b32 s10, s10, exec_lo
	s_and_b32 s12, s12, exec_lo
	s_or_b32 s11, s9, s11
	s_or_b32 s10, s10, s12
.LBB297_404:
	s_or_b32 exec_lo, exec_lo, s8
	s_delay_alu instid0(SALU_CYCLE_1)
	s_and_b32 s9, s11, exec_lo
	s_and_b32 s8, s10, exec_lo
.LBB297_405:
	s_and_not1_saveexec_b32 s6, s6
	s_cbranch_execz .LBB297_427
; %bb.406:
	s_mov_b32 s10, exec_lo
                                        ; implicit-def: $vgpr13
	v_cmpx_lt_i16_e32 26, v5
	s_xor_b32 s10, exec_lo, s10
	s_cbranch_execz .LBB297_424
; %bb.407:
	s_mov_b32 s11, exec_lo
                                        ; implicit-def: $vgpr13
	v_cmpx_lt_i16_e32 27, v5
	s_xor_b32 s11, exec_lo, s11
	s_cbranch_execz .LBB297_415
; %bb.408:
	flat_load_b32 v13, v[22:23]
	s_mov_b32 s12, exec_lo
	s_wait_loadcnt_dscnt 0x0
	v_cvt_f32_u32_e32 v19, v13
	v_mov_b32_e32 v13, 0x80
	s_wait_xcnt 0x0
	s_delay_alu instid0(VALU_DEP_2)
	v_cmpx_gt_u32_e32 0x43800000, v19
	s_cbranch_execz .LBB297_414
; %bb.409:
	s_mov_b32 s13, 0
	s_mov_b32 s14, exec_lo
                                        ; implicit-def: $vgpr15
	v_cmpx_lt_u32_e32 0x3bffffff, v19
	s_xor_b32 s14, exec_lo, s14
	s_cbranch_execz .LBB297_2460
; %bb.410:
	v_bfe_u32 v13, v19, 20, 1
	s_mov_b32 s13, exec_lo
	s_delay_alu instid0(VALU_DEP_1) | instskip(NEXT) | instid1(VALU_DEP_1)
	v_add3_u32 v13, v19, v13, 0x487ffff
                                        ; implicit-def: $vgpr19
	v_lshrrev_b32_e32 v15, 20, v13
	s_and_not1_saveexec_b32 s14, s14
	s_cbranch_execnz .LBB297_2461
.LBB297_411:
	s_or_b32 exec_lo, exec_lo, s14
	v_mov_b32_e32 v13, 0
	s_and_saveexec_b32 s14, s13
.LBB297_412:
	v_mov_b32_e32 v13, v15
.LBB297_413:
	s_or_b32 exec_lo, exec_lo, s14
.LBB297_414:
	s_delay_alu instid0(SALU_CYCLE_1)
	s_or_b32 exec_lo, exec_lo, s12
.LBB297_415:
	s_and_not1_saveexec_b32 s11, s11
	s_cbranch_execz .LBB297_423
; %bb.416:
	flat_load_u16 v13, v[22:23]
	s_mov_b32 s12, exec_lo
	s_wait_loadcnt_dscnt 0x0
	v_cvt_f32_u32_e32 v19, v13
	v_mov_b32_e32 v13, 0x80
	s_wait_xcnt 0x0
	s_delay_alu instid0(VALU_DEP_2)
	v_cmpx_gt_u32_e32 0x43800000, v19
	s_cbranch_execz .LBB297_422
; %bb.417:
	s_mov_b32 s13, 0
	s_mov_b32 s14, exec_lo
                                        ; implicit-def: $vgpr15
	v_cmpx_lt_u32_e32 0x3bffffff, v19
	s_xor_b32 s14, exec_lo, s14
	s_cbranch_execz .LBB297_2462
; %bb.418:
	v_bfe_u32 v13, v19, 20, 1
	s_mov_b32 s13, exec_lo
	s_delay_alu instid0(VALU_DEP_1) | instskip(NEXT) | instid1(VALU_DEP_1)
	v_add3_u32 v13, v19, v13, 0x487ffff
                                        ; implicit-def: $vgpr19
	v_lshrrev_b32_e32 v15, 20, v13
	s_and_not1_saveexec_b32 s14, s14
	s_cbranch_execnz .LBB297_2463
.LBB297_419:
	s_or_b32 exec_lo, exec_lo, s14
	v_mov_b32_e32 v13, 0
	s_and_saveexec_b32 s14, s13
.LBB297_420:
	v_mov_b32_e32 v13, v15
.LBB297_421:
	s_or_b32 exec_lo, exec_lo, s14
.LBB297_422:
	s_delay_alu instid0(SALU_CYCLE_1)
	s_or_b32 exec_lo, exec_lo, s12
.LBB297_423:
	s_delay_alu instid0(SALU_CYCLE_1)
	s_or_b32 exec_lo, exec_lo, s11
.LBB297_424:
	s_and_not1_saveexec_b32 s10, s10
	s_cbranch_execz .LBB297_426
; %bb.425:
	flat_load_u8 v13, v[22:23]
.LBB297_426:
	s_wait_xcnt 0x0
	s_or_b32 exec_lo, exec_lo, s10
	s_delay_alu instid0(SALU_CYCLE_1)
	s_or_b32 s9, s9, exec_lo
.LBB297_427:
	s_or_b32 exec_lo, exec_lo, s6
	s_delay_alu instid0(SALU_CYCLE_1)
	s_and_b32 s6, s9, exec_lo
	s_and_b32 s8, s8, exec_lo
	s_and_not1_saveexec_b32 s7, s7
	s_cbranch_execnz .LBB297_2123
.LBB297_428:
	s_or_b32 exec_lo, exec_lo, s7
	s_mov_b32 s7, s3
	s_and_saveexec_b32 s9, s8
	s_cbranch_execnz .LBB297_2172
.LBB297_429:
	s_or_b32 exec_lo, exec_lo, s9
	s_and_saveexec_b32 s8, s5
	s_delay_alu instid0(SALU_CYCLE_1)
	s_xor_b32 s5, exec_lo, s8
	s_cbranch_execz .LBB297_437
.LBB297_430:
	s_wait_loadcnt_dscnt 0x0
	flat_load_u8 v13, v[22:23]
	s_mov_b32 s9, 0
	s_mov_b32 s8, exec_lo
	s_wait_loadcnt_dscnt 0x0
	v_cmp_ne_u16_e32 vcc_lo, 0, v13
	v_mov_b32_e32 v13, 0x80
	v_cndmask_b32_e64 v19, 0, 1.0, vcc_lo
	s_wait_xcnt 0x0
	s_delay_alu instid0(VALU_DEP_1)
	v_cmpx_gt_u32_e32 0x43800000, v19
	s_cbranch_execz .LBB297_436
; %bb.431:
	s_mov_b32 s10, exec_lo
                                        ; implicit-def: $vgpr15
	v_cmpx_lt_u32_e32 0x3bffffff, v19
	s_xor_b32 s10, exec_lo, s10
	s_cbranch_execz .LBB297_2234
; %bb.432:
	v_bfe_u32 v13, v19, 20, 1
	s_mov_b32 s9, exec_lo
	s_delay_alu instid0(VALU_DEP_1) | instskip(NEXT) | instid1(VALU_DEP_1)
	v_add3_u32 v13, v19, v13, 0x487ffff
                                        ; implicit-def: $vgpr19
	v_lshrrev_b32_e32 v15, 20, v13
	s_and_not1_saveexec_b32 s10, s10
	s_cbranch_execnz .LBB297_2235
.LBB297_433:
	s_or_b32 exec_lo, exec_lo, s10
	v_mov_b32_e32 v13, 0
	s_and_saveexec_b32 s10, s9
.LBB297_434:
	v_mov_b32_e32 v13, v15
.LBB297_435:
	s_or_b32 exec_lo, exec_lo, s10
.LBB297_436:
	s_delay_alu instid0(SALU_CYCLE_1) | instskip(NEXT) | instid1(SALU_CYCLE_1)
	s_or_b32 exec_lo, exec_lo, s8
	s_or_b32 s6, s6, exec_lo
.LBB297_437:
	s_or_b32 exec_lo, exec_lo, s5
	s_delay_alu instid0(SALU_CYCLE_1) | instskip(SKIP_1) | instid1(SALU_CYCLE_1)
	s_and_not1_b32 s5, s3, exec_lo
	s_and_b32 s7, s7, exec_lo
                                        ; implicit-def: $vgpr22_vgpr23
	s_or_b32 s5, s5, s7
	s_and_b32 s7, s6, exec_lo
.LBB297_438:
	s_and_not1_saveexec_b32 s0, s0
	s_cbranch_execz .LBB297_546
; %bb.439:
	s_mov_b32 s6, exec_lo
                                        ; implicit-def: $vgpr13
	v_cmpx_lt_i16_e32 4, v5
	s_xor_b32 s6, exec_lo, s6
	s_cbranch_execz .LBB297_497
; %bb.440:
	s_mov_b32 s8, exec_lo
                                        ; implicit-def: $vgpr13
	v_cmpx_lt_i16_e32 7, v5
	s_xor_b32 s8, exec_lo, s8
	;; [unrolled: 6-line block ×4, first 2 shown]
	s_cbranch_execz .LBB297_450
; %bb.443:
	flat_load_b64 v[22:23], v[22:23]
	s_wait_loadcnt_dscnt 0x101
	v_mov_b32_e32 v13, 0x80
	s_mov_b32 s11, exec_lo
	s_wait_loadcnt_dscnt 0x0
	v_cvt_f32_f64_e32 v15, v[22:23]
	s_delay_alu instid0(VALU_DEP_1) | instskip(SKIP_1) | instid1(VALU_DEP_1)
	v_and_b32_e32 v19, 0x7fffffff, v15
	s_wait_xcnt 0x0
	v_cmpx_gt_u32_e32 0x43800000, v19
	s_cbranch_execz .LBB297_449
; %bb.444:
	v_cmp_lt_u32_e32 vcc_lo, 0x3bffffff, v19
	s_mov_b32 s12, 0
                                        ; implicit-def: $vgpr19
	s_and_saveexec_b32 s13, vcc_lo
	s_delay_alu instid0(SALU_CYCLE_1)
	s_xor_b32 s13, exec_lo, s13
	s_cbranch_execz .LBB297_2464
; %bb.445:
	v_bfe_u32 v13, v15, 20, 1
	s_mov_b32 s12, exec_lo
	s_delay_alu instid0(VALU_DEP_1) | instskip(NEXT) | instid1(VALU_DEP_1)
	v_add3_u32 v13, v15, v13, 0x487ffff
	v_lshrrev_b32_e32 v19, 20, v13
	s_and_not1_saveexec_b32 s13, s13
	s_cbranch_execnz .LBB297_2465
.LBB297_446:
	s_or_b32 exec_lo, exec_lo, s13
	v_mov_b32_e32 v13, 0
	s_and_saveexec_b32 s13, s12
.LBB297_447:
	v_lshrrev_b32_e32 v13, 24, v15
	s_delay_alu instid0(VALU_DEP_1)
	v_and_or_b32 v13, 0x80, v13, v19
.LBB297_448:
	s_or_b32 exec_lo, exec_lo, s13
.LBB297_449:
	s_delay_alu instid0(SALU_CYCLE_1)
	s_or_b32 exec_lo, exec_lo, s11
                                        ; implicit-def: $vgpr22_vgpr23
.LBB297_450:
	s_and_not1_saveexec_b32 s10, s10
	s_cbranch_execz .LBB297_458
; %bb.451:
	flat_load_b32 v15, v[22:23]
	s_wait_loadcnt_dscnt 0x101
	v_mov_b32_e32 v13, 0x80
	s_mov_b32 s11, exec_lo
	s_wait_loadcnt_dscnt 0x0
	v_and_b32_e32 v19, 0x7fffffff, v15
	s_wait_xcnt 0x0
	s_delay_alu instid0(VALU_DEP_1)
	v_cmpx_gt_u32_e32 0x43800000, v19
	s_cbranch_execz .LBB297_457
; %bb.452:
	v_cmp_lt_u32_e32 vcc_lo, 0x3bffffff, v19
	s_mov_b32 s12, 0
                                        ; implicit-def: $vgpr19
	s_and_saveexec_b32 s13, vcc_lo
	s_delay_alu instid0(SALU_CYCLE_1)
	s_xor_b32 s13, exec_lo, s13
	s_cbranch_execz .LBB297_2466
; %bb.453:
	v_bfe_u32 v13, v15, 20, 1
	s_mov_b32 s12, exec_lo
	s_delay_alu instid0(VALU_DEP_1) | instskip(NEXT) | instid1(VALU_DEP_1)
	v_add3_u32 v13, v15, v13, 0x487ffff
	v_lshrrev_b32_e32 v19, 20, v13
	s_and_not1_saveexec_b32 s13, s13
	s_cbranch_execnz .LBB297_2467
.LBB297_454:
	s_or_b32 exec_lo, exec_lo, s13
	v_mov_b32_e32 v13, 0
	s_and_saveexec_b32 s13, s12
.LBB297_455:
	v_lshrrev_b32_e32 v13, 24, v15
	s_delay_alu instid0(VALU_DEP_1)
	v_and_or_b32 v13, 0x80, v13, v19
.LBB297_456:
	s_or_b32 exec_lo, exec_lo, s13
.LBB297_457:
	s_delay_alu instid0(SALU_CYCLE_1)
	s_or_b32 exec_lo, exec_lo, s11
.LBB297_458:
	s_delay_alu instid0(SALU_CYCLE_1)
	s_or_b32 exec_lo, exec_lo, s10
                                        ; implicit-def: $vgpr22_vgpr23
.LBB297_459:
	s_and_not1_saveexec_b32 s9, s9
	s_cbranch_execz .LBB297_467
; %bb.460:
	s_wait_loadcnt_dscnt 0x0
	flat_load_b32 v13, v[22:23]
	s_mov_b32 s10, exec_lo
	s_wait_loadcnt_dscnt 0x0
	v_cvt_f32_f16_e32 v15, v13
	v_mov_b32_e32 v13, 0x80
	s_delay_alu instid0(VALU_DEP_2) | instskip(SKIP_1) | instid1(VALU_DEP_1)
	v_and_b32_e32 v19, 0x7fffffff, v15
	s_wait_xcnt 0x0
	v_cmpx_gt_u32_e32 0x43800000, v19
	s_cbranch_execz .LBB297_466
; %bb.461:
	v_cmp_lt_u32_e32 vcc_lo, 0x3bffffff, v19
	s_mov_b32 s11, 0
                                        ; implicit-def: $vgpr19
	s_and_saveexec_b32 s12, vcc_lo
	s_delay_alu instid0(SALU_CYCLE_1)
	s_xor_b32 s12, exec_lo, s12
	s_cbranch_execz .LBB297_2381
; %bb.462:
	v_bfe_u32 v13, v15, 20, 1
	s_mov_b32 s11, exec_lo
	s_delay_alu instid0(VALU_DEP_1) | instskip(NEXT) | instid1(VALU_DEP_1)
	v_add3_u32 v13, v15, v13, 0x487ffff
	v_lshrrev_b32_e32 v19, 20, v13
	s_and_not1_saveexec_b32 s12, s12
	s_cbranch_execnz .LBB297_2382
.LBB297_463:
	s_or_b32 exec_lo, exec_lo, s12
	v_mov_b32_e32 v13, 0
	s_and_saveexec_b32 s12, s11
.LBB297_464:
	v_lshrrev_b32_e32 v13, 24, v15
	s_delay_alu instid0(VALU_DEP_1)
	v_and_or_b32 v13, 0x80, v13, v19
.LBB297_465:
	s_or_b32 exec_lo, exec_lo, s12
.LBB297_466:
	s_delay_alu instid0(SALU_CYCLE_1)
	s_or_b32 exec_lo, exec_lo, s10
.LBB297_467:
	s_delay_alu instid0(SALU_CYCLE_1)
	s_or_b32 exec_lo, exec_lo, s9
                                        ; implicit-def: $vgpr22_vgpr23
.LBB297_468:
	s_and_not1_saveexec_b32 s8, s8
	s_cbranch_execz .LBB297_496
; %bb.469:
	s_mov_b32 s9, exec_lo
                                        ; implicit-def: $vgpr13
	v_cmpx_lt_i16_e32 5, v5
	s_xor_b32 s9, exec_lo, s9
	s_cbranch_execz .LBB297_487
; %bb.470:
	s_mov_b32 s10, exec_lo
                                        ; implicit-def: $vgpr13
	v_cmpx_lt_i16_e32 6, v5
	s_xor_b32 s10, exec_lo, s10
	s_cbranch_execz .LBB297_478
; %bb.471:
	flat_load_b64 v[22:23], v[22:23]
	s_wait_loadcnt_dscnt 0x101
	v_mov_b32_e32 v13, 0x80
	s_mov_b32 s11, exec_lo
	s_wait_loadcnt_dscnt 0x0
	v_cvt_f32_f64_e32 v15, v[22:23]
	s_delay_alu instid0(VALU_DEP_1) | instskip(SKIP_1) | instid1(VALU_DEP_1)
	v_and_b32_e32 v19, 0x7fffffff, v15
	s_wait_xcnt 0x0
	v_cmpx_gt_u32_e32 0x43800000, v19
	s_cbranch_execz .LBB297_477
; %bb.472:
	v_cmp_lt_u32_e32 vcc_lo, 0x3bffffff, v19
	s_mov_b32 s12, 0
                                        ; implicit-def: $vgpr19
	s_and_saveexec_b32 s13, vcc_lo
	s_delay_alu instid0(SALU_CYCLE_1)
	s_xor_b32 s13, exec_lo, s13
	s_cbranch_execz .LBB297_2468
; %bb.473:
	v_bfe_u32 v13, v15, 20, 1
	s_mov_b32 s12, exec_lo
	s_delay_alu instid0(VALU_DEP_1) | instskip(NEXT) | instid1(VALU_DEP_1)
	v_add3_u32 v13, v15, v13, 0x487ffff
	v_lshrrev_b32_e32 v19, 20, v13
	s_and_not1_saveexec_b32 s13, s13
	s_cbranch_execnz .LBB297_2469
.LBB297_474:
	s_or_b32 exec_lo, exec_lo, s13
	v_mov_b32_e32 v13, 0
	s_and_saveexec_b32 s13, s12
.LBB297_475:
	v_lshrrev_b32_e32 v13, 24, v15
	s_delay_alu instid0(VALU_DEP_1)
	v_and_or_b32 v13, 0x80, v13, v19
.LBB297_476:
	s_or_b32 exec_lo, exec_lo, s13
.LBB297_477:
	s_delay_alu instid0(SALU_CYCLE_1)
	s_or_b32 exec_lo, exec_lo, s11
                                        ; implicit-def: $vgpr22_vgpr23
.LBB297_478:
	s_and_not1_saveexec_b32 s10, s10
	s_cbranch_execz .LBB297_486
; %bb.479:
	flat_load_b32 v15, v[22:23]
	s_wait_loadcnt_dscnt 0x101
	v_mov_b32_e32 v13, 0x80
	s_mov_b32 s11, exec_lo
	s_wait_loadcnt_dscnt 0x0
	v_and_b32_e32 v19, 0x7fffffff, v15
	s_wait_xcnt 0x0
	s_delay_alu instid0(VALU_DEP_1)
	v_cmpx_gt_u32_e32 0x43800000, v19
	s_cbranch_execz .LBB297_485
; %bb.480:
	v_cmp_lt_u32_e32 vcc_lo, 0x3bffffff, v19
	s_mov_b32 s12, 0
                                        ; implicit-def: $vgpr19
	s_and_saveexec_b32 s13, vcc_lo
	s_delay_alu instid0(SALU_CYCLE_1)
	s_xor_b32 s13, exec_lo, s13
	s_cbranch_execz .LBB297_2470
; %bb.481:
	v_bfe_u32 v13, v15, 20, 1
	s_mov_b32 s12, exec_lo
	s_delay_alu instid0(VALU_DEP_1) | instskip(NEXT) | instid1(VALU_DEP_1)
	v_add3_u32 v13, v15, v13, 0x487ffff
	v_lshrrev_b32_e32 v19, 20, v13
	s_and_not1_saveexec_b32 s13, s13
	s_cbranch_execnz .LBB297_2471
.LBB297_482:
	s_or_b32 exec_lo, exec_lo, s13
	v_mov_b32_e32 v13, 0
	s_and_saveexec_b32 s13, s12
.LBB297_483:
	v_lshrrev_b32_e32 v13, 24, v15
	s_delay_alu instid0(VALU_DEP_1)
	v_and_or_b32 v13, 0x80, v13, v19
.LBB297_484:
	s_or_b32 exec_lo, exec_lo, s13
.LBB297_485:
	s_delay_alu instid0(SALU_CYCLE_1)
	s_or_b32 exec_lo, exec_lo, s11
.LBB297_486:
	s_delay_alu instid0(SALU_CYCLE_1)
	s_or_b32 exec_lo, exec_lo, s10
                                        ; implicit-def: $vgpr22_vgpr23
.LBB297_487:
	s_and_not1_saveexec_b32 s9, s9
	s_cbranch_execz .LBB297_495
; %bb.488:
	s_wait_loadcnt_dscnt 0x0
	flat_load_u16 v13, v[22:23]
	s_mov_b32 s10, exec_lo
	s_wait_loadcnt_dscnt 0x0
	v_cvt_f32_f16_e32 v15, v13
	v_mov_b32_e32 v13, 0x80
	s_delay_alu instid0(VALU_DEP_2) | instskip(SKIP_1) | instid1(VALU_DEP_1)
	v_and_b32_e32 v19, 0x7fffffff, v15
	s_wait_xcnt 0x0
	v_cmpx_gt_u32_e32 0x43800000, v19
	s_cbranch_execz .LBB297_494
; %bb.489:
	v_cmp_lt_u32_e32 vcc_lo, 0x3bffffff, v19
	s_mov_b32 s11, 0
                                        ; implicit-def: $vgpr19
	s_and_saveexec_b32 s12, vcc_lo
	s_delay_alu instid0(SALU_CYCLE_1)
	s_xor_b32 s12, exec_lo, s12
	s_cbranch_execz .LBB297_2383
; %bb.490:
	v_bfe_u32 v13, v15, 20, 1
	s_mov_b32 s11, exec_lo
	s_delay_alu instid0(VALU_DEP_1) | instskip(NEXT) | instid1(VALU_DEP_1)
	v_add3_u32 v13, v15, v13, 0x487ffff
	v_lshrrev_b32_e32 v19, 20, v13
	s_and_not1_saveexec_b32 s12, s12
	s_cbranch_execnz .LBB297_2384
.LBB297_491:
	s_or_b32 exec_lo, exec_lo, s12
	v_mov_b32_e32 v13, 0
	s_and_saveexec_b32 s12, s11
.LBB297_492:
	v_lshrrev_b32_e32 v13, 24, v15
	s_delay_alu instid0(VALU_DEP_1)
	v_and_or_b32 v13, 0x80, v13, v19
.LBB297_493:
	s_or_b32 exec_lo, exec_lo, s12
.LBB297_494:
	s_delay_alu instid0(SALU_CYCLE_1)
	s_or_b32 exec_lo, exec_lo, s10
.LBB297_495:
	s_delay_alu instid0(SALU_CYCLE_1)
	s_or_b32 exec_lo, exec_lo, s9
.LBB297_496:
	s_delay_alu instid0(SALU_CYCLE_1)
	s_or_b32 exec_lo, exec_lo, s8
                                        ; implicit-def: $vgpr22_vgpr23
.LBB297_497:
	s_and_not1_saveexec_b32 s6, s6
	s_cbranch_execz .LBB297_545
; %bb.498:
	s_mov_b32 s8, exec_lo
                                        ; implicit-def: $vgpr13
	v_cmpx_lt_i16_e32 1, v5
	s_xor_b32 s8, exec_lo, s8
	s_cbranch_execz .LBB297_526
; %bb.499:
	s_mov_b32 s9, exec_lo
                                        ; implicit-def: $vgpr13
	v_cmpx_lt_i16_e32 2, v5
	s_xor_b32 s9, exec_lo, s9
	;; [unrolled: 6-line block ×3, first 2 shown]
	s_cbranch_execz .LBB297_508
; %bb.501:
	flat_load_b64 v[22:23], v[22:23]
	s_mov_b32 s11, exec_lo
	s_wait_loadcnt_dscnt 0x0
	v_xor_b32_e32 v13, v22, v23
	v_cls_i32_e32 v15, v23
	s_delay_alu instid0(VALU_DEP_2) | instskip(NEXT) | instid1(VALU_DEP_1)
	v_ashrrev_i32_e32 v13, 31, v13
	v_add_nc_u32_e32 v13, 32, v13
	s_delay_alu instid0(VALU_DEP_1) | instskip(SKIP_1) | instid1(VALU_DEP_1)
	v_add_min_u32_e64 v13, v15, -1, v13
	s_wait_xcnt 0x0
	v_lshlrev_b64_e32 v[22:23], v13, v[22:23]
	v_sub_nc_u32_e32 v13, 32, v13
	s_delay_alu instid0(VALU_DEP_2) | instskip(NEXT) | instid1(VALU_DEP_1)
	v_min_u32_e32 v15, 1, v22
	v_or_b32_e32 v15, v23, v15
	s_delay_alu instid0(VALU_DEP_1) | instskip(NEXT) | instid1(VALU_DEP_1)
	v_cvt_f32_i32_e32 v15, v15
	v_ldexp_f32 v15, v15, v13
	v_mov_b32_e32 v13, 0x80
	s_delay_alu instid0(VALU_DEP_2) | instskip(NEXT) | instid1(VALU_DEP_1)
	v_and_b32_e32 v19, 0x7fffffff, v15
	v_cmpx_gt_u32_e32 0x43800000, v19
	s_cbranch_execz .LBB297_507
; %bb.502:
	v_cmp_lt_u32_e32 vcc_lo, 0x3bffffff, v19
	s_mov_b32 s12, 0
                                        ; implicit-def: $vgpr19
	s_and_saveexec_b32 s13, vcc_lo
	s_delay_alu instid0(SALU_CYCLE_1)
	s_xor_b32 s13, exec_lo, s13
	s_cbranch_execz .LBB297_2472
; %bb.503:
	v_bfe_u32 v13, v15, 20, 1
	s_mov_b32 s12, exec_lo
	s_delay_alu instid0(VALU_DEP_1) | instskip(NEXT) | instid1(VALU_DEP_1)
	v_add3_u32 v13, v15, v13, 0x487ffff
	v_lshrrev_b32_e32 v19, 20, v13
	s_and_not1_saveexec_b32 s13, s13
	s_cbranch_execnz .LBB297_2473
.LBB297_504:
	s_or_b32 exec_lo, exec_lo, s13
	v_mov_b32_e32 v13, 0
	s_and_saveexec_b32 s13, s12
.LBB297_505:
	v_lshrrev_b32_e32 v13, 24, v15
	s_delay_alu instid0(VALU_DEP_1)
	v_and_or_b32 v13, 0x80, v13, v19
.LBB297_506:
	s_or_b32 exec_lo, exec_lo, s13
.LBB297_507:
	s_delay_alu instid0(SALU_CYCLE_1)
	s_or_b32 exec_lo, exec_lo, s11
                                        ; implicit-def: $vgpr22_vgpr23
.LBB297_508:
	s_and_not1_saveexec_b32 s10, s10
	s_cbranch_execz .LBB297_516
; %bb.509:
	s_wait_loadcnt_dscnt 0x0
	flat_load_b32 v13, v[22:23]
	s_mov_b32 s11, exec_lo
	s_wait_loadcnt_dscnt 0x0
	v_cvt_f32_i32_e32 v15, v13
	v_mov_b32_e32 v13, 0x80
	s_delay_alu instid0(VALU_DEP_2) | instskip(SKIP_1) | instid1(VALU_DEP_1)
	v_and_b32_e32 v19, 0x7fffffff, v15
	s_wait_xcnt 0x0
	v_cmpx_gt_u32_e32 0x43800000, v19
	s_cbranch_execz .LBB297_515
; %bb.510:
	v_cmp_lt_u32_e32 vcc_lo, 0x3bffffff, v19
	s_mov_b32 s12, 0
                                        ; implicit-def: $vgpr19
	s_and_saveexec_b32 s13, vcc_lo
	s_delay_alu instid0(SALU_CYCLE_1)
	s_xor_b32 s13, exec_lo, s13
	s_cbranch_execz .LBB297_2474
; %bb.511:
	v_bfe_u32 v13, v15, 20, 1
	s_mov_b32 s12, exec_lo
	s_delay_alu instid0(VALU_DEP_1) | instskip(NEXT) | instid1(VALU_DEP_1)
	v_add3_u32 v13, v15, v13, 0x487ffff
	v_lshrrev_b32_e32 v19, 20, v13
	s_and_not1_saveexec_b32 s13, s13
	s_cbranch_execnz .LBB297_2475
.LBB297_512:
	s_or_b32 exec_lo, exec_lo, s13
	v_mov_b32_e32 v13, 0
	s_and_saveexec_b32 s13, s12
.LBB297_513:
	v_lshrrev_b32_e32 v13, 24, v15
	s_delay_alu instid0(VALU_DEP_1)
	v_and_or_b32 v13, 0x80, v13, v19
.LBB297_514:
	s_or_b32 exec_lo, exec_lo, s13
.LBB297_515:
	s_delay_alu instid0(SALU_CYCLE_1)
	s_or_b32 exec_lo, exec_lo, s11
.LBB297_516:
	s_delay_alu instid0(SALU_CYCLE_1)
	s_or_b32 exec_lo, exec_lo, s10
                                        ; implicit-def: $vgpr22_vgpr23
.LBB297_517:
	s_and_not1_saveexec_b32 s9, s9
	s_cbranch_execz .LBB297_525
; %bb.518:
	s_wait_loadcnt_dscnt 0x0
	flat_load_i16 v13, v[22:23]
	s_mov_b32 s10, exec_lo
	s_wait_loadcnt_dscnt 0x0
	v_cvt_f32_i32_e32 v15, v13
	v_mov_b32_e32 v13, 0x80
	s_delay_alu instid0(VALU_DEP_2) | instskip(SKIP_1) | instid1(VALU_DEP_1)
	v_and_b32_e32 v19, 0x7fffffff, v15
	s_wait_xcnt 0x0
	v_cmpx_gt_u32_e32 0x43800000, v19
	s_cbranch_execz .LBB297_524
; %bb.519:
	v_cmp_lt_u32_e32 vcc_lo, 0x3bffffff, v19
	s_mov_b32 s11, 0
                                        ; implicit-def: $vgpr19
	s_and_saveexec_b32 s12, vcc_lo
	s_delay_alu instid0(SALU_CYCLE_1)
	s_xor_b32 s12, exec_lo, s12
	s_cbranch_execz .LBB297_2385
; %bb.520:
	v_bfe_u32 v13, v15, 20, 1
	s_mov_b32 s11, exec_lo
	s_delay_alu instid0(VALU_DEP_1) | instskip(NEXT) | instid1(VALU_DEP_1)
	v_add3_u32 v13, v15, v13, 0x487ffff
	v_lshrrev_b32_e32 v19, 20, v13
	s_and_not1_saveexec_b32 s12, s12
	s_cbranch_execnz .LBB297_2386
.LBB297_521:
	s_or_b32 exec_lo, exec_lo, s12
	v_mov_b32_e32 v13, 0
	s_and_saveexec_b32 s12, s11
.LBB297_522:
	v_lshrrev_b32_e32 v13, 24, v15
	s_delay_alu instid0(VALU_DEP_1)
	v_and_or_b32 v13, 0x80, v13, v19
.LBB297_523:
	s_or_b32 exec_lo, exec_lo, s12
.LBB297_524:
	s_delay_alu instid0(SALU_CYCLE_1)
	s_or_b32 exec_lo, exec_lo, s10
.LBB297_525:
	s_delay_alu instid0(SALU_CYCLE_1)
	s_or_b32 exec_lo, exec_lo, s9
                                        ; implicit-def: $vgpr22_vgpr23
.LBB297_526:
	s_and_not1_saveexec_b32 s8, s8
	s_cbranch_execz .LBB297_544
; %bb.527:
	s_mov_b32 s9, exec_lo
                                        ; implicit-def: $vgpr13
	v_cmpx_lt_i16_e32 0, v5
	s_xor_b32 s9, exec_lo, s9
	s_cbranch_execz .LBB297_535
; %bb.528:
	s_wait_loadcnt_dscnt 0x0
	flat_load_i8 v13, v[22:23]
	s_mov_b32 s10, exec_lo
	s_wait_loadcnt_dscnt 0x0
	v_cvt_f32_i32_e32 v15, v13
	v_mov_b32_e32 v13, 0x80
	s_delay_alu instid0(VALU_DEP_2) | instskip(SKIP_1) | instid1(VALU_DEP_1)
	v_and_b32_e32 v19, 0x7fffffff, v15
	s_wait_xcnt 0x0
	v_cmpx_gt_u32_e32 0x43800000, v19
	s_cbranch_execz .LBB297_534
; %bb.529:
	v_cmp_lt_u32_e32 vcc_lo, 0x3bffffff, v19
	s_mov_b32 s11, 0
                                        ; implicit-def: $vgpr19
	s_and_saveexec_b32 s12, vcc_lo
	s_delay_alu instid0(SALU_CYCLE_1)
	s_xor_b32 s12, exec_lo, s12
	s_cbranch_execz .LBB297_2387
; %bb.530:
	v_bfe_u32 v13, v15, 20, 1
	s_mov_b32 s11, exec_lo
	s_delay_alu instid0(VALU_DEP_1) | instskip(NEXT) | instid1(VALU_DEP_1)
	v_add3_u32 v13, v15, v13, 0x487ffff
	v_lshrrev_b32_e32 v19, 20, v13
	s_and_not1_saveexec_b32 s12, s12
	s_cbranch_execnz .LBB297_2388
.LBB297_531:
	s_or_b32 exec_lo, exec_lo, s12
	v_mov_b32_e32 v13, 0
	s_and_saveexec_b32 s12, s11
.LBB297_532:
	v_lshrrev_b32_e32 v13, 24, v15
	s_delay_alu instid0(VALU_DEP_1)
	v_and_or_b32 v13, 0x80, v13, v19
.LBB297_533:
	s_or_b32 exec_lo, exec_lo, s12
.LBB297_534:
	s_delay_alu instid0(SALU_CYCLE_1)
	s_or_b32 exec_lo, exec_lo, s10
                                        ; implicit-def: $vgpr22_vgpr23
.LBB297_535:
	s_and_not1_saveexec_b32 s9, s9
	s_cbranch_execz .LBB297_543
; %bb.536:
	s_wait_loadcnt_dscnt 0x0
	flat_load_u8 v13, v[22:23]
	s_mov_b32 s10, exec_lo
	s_wait_loadcnt_dscnt 0x0
	v_cvt_f32_ubyte0_e32 v19, v13
	v_mov_b32_e32 v13, 0x80
	s_wait_xcnt 0x0
	s_delay_alu instid0(VALU_DEP_2)
	v_cmpx_gt_u32_e32 0x43800000, v19
	s_cbranch_execz .LBB297_542
; %bb.537:
	s_mov_b32 s11, 0
	s_mov_b32 s12, exec_lo
                                        ; implicit-def: $vgpr15
	v_cmpx_lt_u32_e32 0x3bffffff, v19
	s_xor_b32 s12, exec_lo, s12
	s_cbranch_execz .LBB297_2389
; %bb.538:
	v_bfe_u32 v13, v19, 20, 1
	s_mov_b32 s11, exec_lo
	s_delay_alu instid0(VALU_DEP_1) | instskip(NEXT) | instid1(VALU_DEP_1)
	v_add3_u32 v13, v19, v13, 0x487ffff
                                        ; implicit-def: $vgpr19
	v_lshrrev_b32_e32 v15, 20, v13
	s_and_not1_saveexec_b32 s12, s12
	s_cbranch_execnz .LBB297_2390
.LBB297_539:
	s_or_b32 exec_lo, exec_lo, s12
	v_mov_b32_e32 v13, 0
	s_and_saveexec_b32 s12, s11
.LBB297_540:
	v_mov_b32_e32 v13, v15
.LBB297_541:
	s_or_b32 exec_lo, exec_lo, s12
.LBB297_542:
	s_delay_alu instid0(SALU_CYCLE_1)
	s_or_b32 exec_lo, exec_lo, s10
.LBB297_543:
	s_delay_alu instid0(SALU_CYCLE_1)
	s_or_b32 exec_lo, exec_lo, s9
.LBB297_544:
	s_delay_alu instid0(SALU_CYCLE_1)
	s_or_b32 exec_lo, exec_lo, s8
.LBB297_545:
	s_delay_alu instid0(SALU_CYCLE_1) | instskip(NEXT) | instid1(SALU_CYCLE_1)
	s_or_b32 exec_lo, exec_lo, s6
	s_or_b32 s7, s7, exec_lo
.LBB297_546:
	s_or_b32 exec_lo, exec_lo, s0
	s_mov_b32 s0, 0
	s_mov_b32 s8, 0
                                        ; implicit-def: $sgpr21
                                        ; implicit-def: $vgpr30_vgpr31
                                        ; implicit-def: $vgpr15
	s_and_saveexec_b32 s6, s7
	s_cbranch_execz .LBB297_2028
; %bb.547:
	v_cmp_ne_u32_e32 vcc_lo, 0, v9
                                        ; implicit-def: $sgpr9
	s_and_saveexec_b32 s0, vcc_lo
	s_delay_alu instid0(SALU_CYCLE_1)
	s_xor_b32 s7, exec_lo, s0
	s_cbranch_execz .LBB297_561
; %bb.548:
	s_wait_dscnt 0x0
	v_and_b32_e32 v15, 0xff, v11
	s_mov_b32 s9, exec_lo
	s_delay_alu instid0(VALU_DEP_1)
	v_cmpx_lt_i16_e32 0x7f, v15
	s_xor_b32 s9, exec_lo, s9
	s_cbranch_execz .LBB297_2175
; %bb.549:
	s_mov_b32 s8, -1
	s_mov_b32 s10, exec_lo
	v_cmpx_eq_u16_e32 0x80, v15
; %bb.550:
	s_xor_b32 s8, exec_lo, -1
; %bb.551:
	s_or_b32 exec_lo, exec_lo, s10
	s_delay_alu instid0(SALU_CYCLE_1)
	s_and_b32 s8, s8, exec_lo
                                        ; implicit-def: $vgpr15
	s_or_saveexec_b32 s9, s9
	v_mov_b32_e32 v9, 0x7f800001
	s_xor_b32 exec_lo, exec_lo, s9
	s_cbranch_execnz .LBB297_2176
.LBB297_552:
	s_or_b32 exec_lo, exec_lo, s9
	s_and_saveexec_b32 s9, s8
	s_cbranch_execz .LBB297_554
.LBB297_553:
	v_and_b32_e32 v9, 7, v11
	v_lshrrev_b16 v19, 3, v11
	s_delay_alu instid0(VALU_DEP_2) | instskip(NEXT) | instid1(VALU_DEP_1)
	v_clz_i32_u32_e32 v15, v9
	v_min_u32_e32 v15, 32, v15
	s_delay_alu instid0(VALU_DEP_1) | instskip(NEXT) | instid1(VALU_DEP_1)
	v_subrev_nc_u32_e32 v21, 28, v15
	v_lshlrev_b32_e32 v21, v21, v11
	s_delay_alu instid0(VALU_DEP_1) | instskip(SKIP_1) | instid1(VALU_DEP_1)
	v_dual_sub_nc_u32 v15, 29, v15 :: v_dual_bitop2_b32 v21, 7, v21 bitop3:0x40
	v_and_b32_e32 v19, 15, v19
	v_cmp_eq_u32_e64 s0, 0, v19
	s_delay_alu instid0(VALU_DEP_1) | instskip(NEXT) | instid1(VALU_DEP_1)
	v_dual_cndmask_b32 v9, v9, v21, s0 :: v_dual_lshlrev_b32 v11, 24, v11
	v_dual_cndmask_b32 v15, v19, v15, s0 :: v_dual_lshlrev_b32 v9, 20, v9
	s_delay_alu instid0(VALU_DEP_2) | instskip(NEXT) | instid1(VALU_DEP_2)
	v_and_b32_e32 v11, 0x80000000, v11
	v_lshl_add_u32 v15, v15, 23, 0x3b800000
	s_delay_alu instid0(VALU_DEP_1)
	v_or3_b32 v9, v11, v15, v9
.LBB297_554:
	s_or_b32 exec_lo, exec_lo, s9
	s_wait_loadcnt 0x0
	v_and_b32_e32 v15, 0xff, v13
	s_mov_b32 s8, 0
	s_mov_b32 s9, exec_lo
	s_delay_alu instid0(VALU_DEP_1)
	v_cmpx_lt_i16_e32 0x7f, v15
	s_xor_b32 s9, exec_lo, s9
	s_cbranch_execz .LBB297_2177
; %bb.555:
	s_mov_b32 s8, -1
	s_mov_b32 s10, exec_lo
	v_cmpx_eq_u16_e32 0x80, v15
; %bb.556:
	s_xor_b32 s8, exec_lo, -1
; %bb.557:
	s_or_b32 exec_lo, exec_lo, s10
	s_delay_alu instid0(SALU_CYCLE_1)
	s_and_b32 s8, s8, exec_lo
                                        ; implicit-def: $vgpr15
	s_or_saveexec_b32 s9, s9
	v_mov_b32_e32 v11, 0x7f800001
	s_xor_b32 exec_lo, exec_lo, s9
	s_cbranch_execnz .LBB297_2178
.LBB297_558:
	s_or_b32 exec_lo, exec_lo, s9
	s_and_saveexec_b32 s9, s8
	s_cbranch_execz .LBB297_560
.LBB297_559:
	v_and_b32_e32 v11, 7, v13
	v_lshrrev_b16 v19, 3, v13
	s_delay_alu instid0(VALU_DEP_2) | instskip(NEXT) | instid1(VALU_DEP_2)
	v_clz_i32_u32_e32 v15, v11
	v_and_b32_e32 v19, 15, v19
	s_delay_alu instid0(VALU_DEP_2) | instskip(NEXT) | instid1(VALU_DEP_1)
	v_min_u32_e32 v15, 32, v15
	v_subrev_nc_u32_e32 v21, 28, v15
	s_delay_alu instid0(VALU_DEP_1) | instskip(SKIP_2) | instid1(VALU_DEP_3)
	v_dual_lshlrev_b32 v21, v21, v13 :: v_dual_sub_nc_u32 v15, 29, v15
	v_lshlrev_b32_e32 v13, 24, v13
	v_cmp_eq_u32_e64 s0, 0, v19
	v_and_b32_e32 v21, 7, v21
	s_delay_alu instid0(VALU_DEP_3) | instskip(NEXT) | instid1(VALU_DEP_3)
	v_and_b32_e32 v13, 0x80000000, v13
	v_cndmask_b32_e64 v15, v19, v15, s0
	s_delay_alu instid0(VALU_DEP_3) | instskip(NEXT) | instid1(VALU_DEP_2)
	v_cndmask_b32_e64 v11, v11, v21, s0
	v_lshl_add_u32 v15, v15, 23, 0x3b800000
	s_delay_alu instid0(VALU_DEP_2) | instskip(NEXT) | instid1(VALU_DEP_1)
	v_lshlrev_b32_e32 v11, 20, v11
	v_or3_b32 v11, v13, v15, v11
.LBB297_560:
	s_or_b32 exec_lo, exec_lo, s9
	s_delay_alu instid0(VALU_DEP_1)
	v_cmp_neq_f32_e64 s9, v9, v11
                                        ; implicit-def: $vgpr13
                                        ; implicit-def: $vgpr11
.LBB297_561:
	s_and_not1_saveexec_b32 s7, s7
	s_cbranch_execz .LBB297_575
; %bb.562:
	s_wait_dscnt 0x0
	v_and_b32_e32 v15, 0xff, v11
	s_mov_b32 s8, 0
	s_mov_b32 s10, exec_lo
	s_delay_alu instid0(VALU_DEP_1)
	v_cmpx_lt_i16_e32 0x7f, v15
	s_xor_b32 s10, exec_lo, s10
	s_cbranch_execz .LBB297_2179
; %bb.563:
	s_mov_b32 s8, -1
	s_mov_b32 s11, exec_lo
	v_cmpx_eq_u16_e32 0x80, v15
; %bb.564:
	s_xor_b32 s8, exec_lo, -1
; %bb.565:
	s_or_b32 exec_lo, exec_lo, s11
	s_delay_alu instid0(SALU_CYCLE_1)
	s_and_b32 s8, s8, exec_lo
                                        ; implicit-def: $vgpr15
	s_or_saveexec_b32 s10, s10
	v_mov_b32_e32 v9, 0x7f800001
	s_xor_b32 exec_lo, exec_lo, s10
	s_cbranch_execnz .LBB297_2180
.LBB297_566:
	s_or_b32 exec_lo, exec_lo, s10
	s_and_saveexec_b32 s10, s8
	s_cbranch_execz .LBB297_568
.LBB297_567:
	v_and_b32_e32 v9, 7, v11
	v_lshrrev_b16 v19, 3, v11
	s_delay_alu instid0(VALU_DEP_2) | instskip(NEXT) | instid1(VALU_DEP_1)
	v_clz_i32_u32_e32 v15, v9
	v_min_u32_e32 v15, 32, v15
	s_delay_alu instid0(VALU_DEP_1) | instskip(NEXT) | instid1(VALU_DEP_1)
	v_subrev_nc_u32_e32 v21, 28, v15
	v_lshlrev_b32_e32 v21, v21, v11
	s_delay_alu instid0(VALU_DEP_1) | instskip(SKIP_1) | instid1(VALU_DEP_1)
	v_dual_sub_nc_u32 v15, 29, v15 :: v_dual_bitop2_b32 v21, 7, v21 bitop3:0x40
	v_and_b32_e32 v19, 15, v19
	v_cmp_eq_u32_e64 s0, 0, v19
	s_delay_alu instid0(VALU_DEP_1) | instskip(NEXT) | instid1(VALU_DEP_1)
	v_dual_cndmask_b32 v9, v9, v21, s0 :: v_dual_lshlrev_b32 v11, 24, v11
	v_dual_cndmask_b32 v15, v19, v15, s0 :: v_dual_lshlrev_b32 v9, 20, v9
	s_delay_alu instid0(VALU_DEP_2) | instskip(NEXT) | instid1(VALU_DEP_2)
	v_and_b32_e32 v11, 0x80000000, v11
	v_lshl_add_u32 v15, v15, 23, 0x3b800000
	s_delay_alu instid0(VALU_DEP_1)
	v_or3_b32 v9, v11, v15, v9
.LBB297_568:
	s_or_b32 exec_lo, exec_lo, s10
	s_wait_loadcnt 0x0
	v_and_b32_e32 v15, 0xff, v13
	s_mov_b32 s8, 0
	s_mov_b32 s10, exec_lo
	s_delay_alu instid0(VALU_DEP_1)
	v_cmpx_lt_i16_e32 0x7f, v15
	s_xor_b32 s10, exec_lo, s10
	s_cbranch_execz .LBB297_2181
; %bb.569:
	s_mov_b32 s8, -1
	s_mov_b32 s11, exec_lo
	v_cmpx_eq_u16_e32 0x80, v15
; %bb.570:
	s_xor_b32 s8, exec_lo, -1
; %bb.571:
	s_or_b32 exec_lo, exec_lo, s11
	s_delay_alu instid0(SALU_CYCLE_1)
	s_and_b32 s8, s8, exec_lo
                                        ; implicit-def: $vgpr15
	s_or_saveexec_b32 s10, s10
	v_mov_b32_e32 v11, 0x7f800001
	s_xor_b32 exec_lo, exec_lo, s10
	s_cbranch_execnz .LBB297_2182
.LBB297_572:
	s_or_b32 exec_lo, exec_lo, s10
	s_and_saveexec_b32 s10, s8
	s_cbranch_execz .LBB297_574
.LBB297_573:
	v_and_b32_e32 v11, 7, v13
	v_lshrrev_b16 v19, 3, v13
	s_delay_alu instid0(VALU_DEP_2) | instskip(NEXT) | instid1(VALU_DEP_2)
	v_clz_i32_u32_e32 v15, v11
	v_and_b32_e32 v19, 15, v19
	s_delay_alu instid0(VALU_DEP_2) | instskip(NEXT) | instid1(VALU_DEP_1)
	v_min_u32_e32 v15, 32, v15
	v_subrev_nc_u32_e32 v21, 28, v15
	s_delay_alu instid0(VALU_DEP_1) | instskip(SKIP_2) | instid1(VALU_DEP_3)
	v_dual_lshlrev_b32 v21, v21, v13 :: v_dual_sub_nc_u32 v15, 29, v15
	v_lshlrev_b32_e32 v13, 24, v13
	v_cmp_eq_u32_e64 s0, 0, v19
	v_and_b32_e32 v21, 7, v21
	s_delay_alu instid0(VALU_DEP_3) | instskip(NEXT) | instid1(VALU_DEP_3)
	v_and_b32_e32 v13, 0x80000000, v13
	v_cndmask_b32_e64 v15, v19, v15, s0
	s_delay_alu instid0(VALU_DEP_3) | instskip(NEXT) | instid1(VALU_DEP_2)
	v_cndmask_b32_e64 v11, v11, v21, s0
	v_lshl_add_u32 v15, v15, 23, 0x3b800000
	s_delay_alu instid0(VALU_DEP_2) | instskip(NEXT) | instid1(VALU_DEP_1)
	v_lshlrev_b32_e32 v11, 20, v11
	v_or3_b32 v11, v13, v15, v11
.LBB297_574:
	s_or_b32 exec_lo, exec_lo, s10
	s_delay_alu instid0(VALU_DEP_1) | instskip(SKIP_2) | instid1(SALU_CYCLE_1)
	v_cmp_eq_f32_e64 s0, v9, v11
	s_and_not1_b32 s8, s9, exec_lo
	s_and_b32 s0, s0, exec_lo
	s_or_b32 s9, s8, s0
.LBB297_575:
	s_or_b32 exec_lo, exec_lo, s7
	v_mov_b32_e32 v27, 0
	s_mov_b32 s10, 0
	s_mov_b32 s7, s5
	s_mov_b32 s8, exec_lo
                                        ; implicit-def: $vgpr9
	s_delay_alu instid0(VALU_DEP_1)
	v_add_nc_u64_e32 v[22:23], v[2:3], v[26:27]
	v_cmpx_lt_i16_e32 10, v7
	s_xor_b32 s8, exec_lo, s8
	s_cbranch_execz .LBB297_644
; %bb.576:
	s_mov_b32 s7, 0
	s_mov_b32 s12, 0
	s_mov_b32 s11, exec_lo
                                        ; implicit-def: $vgpr9
	v_cmpx_lt_i16_e32 25, v7
	s_xor_b32 s11, exec_lo, s11
	s_cbranch_execz .LBB297_2183
; %bb.577:
	s_mov_b32 s13, 0
	s_mov_b32 s10, exec_lo
                                        ; implicit-def: $vgpr9
	v_cmpx_lt_i16_e32 28, v7
	s_xor_b32 s10, exec_lo, s10
	s_cbranch_execz .LBB297_611
; %bb.578:
	s_mov_b32 s14, 0
	s_mov_b32 s15, 0
	s_mov_b32 s12, exec_lo
                                        ; implicit-def: $vgpr9
	v_cmpx_lt_i16_e32 43, v7
	s_xor_b32 s12, exec_lo, s12
	s_cbranch_execz .LBB297_600
; %bb.579:
	s_mov_b32 s15, exec_lo
                                        ; implicit-def: $vgpr9
	v_cmpx_lt_i16_e32 45, v7
	s_xor_b32 s15, exec_lo, s15
	s_cbranch_execz .LBB297_589
; %bb.580:
	s_mov_b32 s16, -1
	s_mov_b32 s13, exec_lo
                                        ; implicit-def: $vgpr9
	v_cmpx_eq_u16_e32 46, v7
	s_cbranch_execz .LBB297_588
; %bb.581:
	flat_load_b32 v9, v[22:23]
	s_mov_b32 s14, exec_lo
	s_wait_loadcnt_dscnt 0x0
	v_lshlrev_b32_e32 v11, 16, v9
	v_mov_b32_e32 v9, 0x80
	s_delay_alu instid0(VALU_DEP_2) | instskip(SKIP_1) | instid1(VALU_DEP_1)
	v_and_b32_e32 v13, 0x7fffffff, v11
	s_wait_xcnt 0x0
	v_cmpx_gt_u32_e32 0x43800000, v13
	s_cbranch_execz .LBB297_587
; %bb.582:
	v_cmp_lt_u32_e64 s0, 0x3bffffff, v13
	s_mov_b32 s16, 0
                                        ; implicit-def: $vgpr13
	s_and_saveexec_b32 s17, s0
	s_delay_alu instid0(SALU_CYCLE_1)
	s_xor_b32 s0, exec_lo, s17
	s_cbranch_execz .LBB297_2652
; %bb.583:
	v_bfe_u32 v9, v11, 20, 1
	s_mov_b32 s16, exec_lo
	s_delay_alu instid0(VALU_DEP_1) | instskip(NEXT) | instid1(VALU_DEP_1)
	v_add3_u32 v9, v11, v9, 0x487ffff
	v_lshrrev_b32_e32 v13, 20, v9
	s_and_not1_saveexec_b32 s17, s0
	s_cbranch_execnz .LBB297_2653
.LBB297_584:
	s_or_b32 exec_lo, exec_lo, s17
	v_mov_b32_e32 v9, 0
	s_and_saveexec_b32 s0, s16
.LBB297_585:
	v_lshrrev_b32_e32 v9, 24, v11
	s_delay_alu instid0(VALU_DEP_1)
	v_and_or_b32 v9, 0x80, v9, v13
.LBB297_586:
	s_or_b32 exec_lo, exec_lo, s0
.LBB297_587:
	s_delay_alu instid0(SALU_CYCLE_1) | instskip(NEXT) | instid1(SALU_CYCLE_1)
	s_or_b32 exec_lo, exec_lo, s14
	s_mov_b32 s14, exec_lo
	s_xor_b32 s16, exec_lo, -1
.LBB297_588:
	s_or_b32 exec_lo, exec_lo, s13
	s_delay_alu instid0(SALU_CYCLE_1)
	s_and_b32 s14, s14, exec_lo
	s_and_b32 s13, s16, exec_lo
.LBB297_589:
	s_and_not1_saveexec_b32 s15, s15
	s_cbranch_execz .LBB297_599
; %bb.590:
	s_mov_b32 s17, -1
	s_mov_b32 s18, s14
	s_mov_b32 s16, exec_lo
                                        ; implicit-def: $vgpr9
	v_cmpx_eq_u16_e32 44, v7
	s_cbranch_execz .LBB297_598
; %bb.591:
	flat_load_u8 v9, v[22:23]
	s_mov_b32 s18, 0
	s_mov_b32 s17, exec_lo
	s_wait_loadcnt_dscnt 0x0
	v_lshlrev_b32_e32 v11, 23, v9
	v_cmp_ne_u32_e64 s0, 0xff, v9
	s_delay_alu instid0(VALU_DEP_1) | instskip(SKIP_2) | instid1(VALU_DEP_2)
	v_cndmask_b32_e64 v11, 0x7f800001, v11, s0
	v_cmp_ne_u32_e64 s0, 0, v9
	v_mov_b32_e32 v9, 0x80
	v_cndmask_b32_e64 v13, 0x400000, v11, s0
	s_wait_xcnt 0x0
	s_delay_alu instid0(VALU_DEP_1)
	v_cmpx_gt_u32_e32 0x43800000, v13
	s_cbranch_execz .LBB297_597
; %bb.592:
	v_cmp_lt_u32_e64 s0, 0x3bffffff, v13
                                        ; implicit-def: $vgpr11
	s_and_saveexec_b32 s19, s0
	s_delay_alu instid0(SALU_CYCLE_1)
	s_xor_b32 s0, exec_lo, s19
	s_cbranch_execz .LBB297_2654
; %bb.593:
	v_bfe_u32 v9, v13, 20, 1
	s_mov_b32 s18, exec_lo
	s_delay_alu instid0(VALU_DEP_1) | instskip(NEXT) | instid1(VALU_DEP_1)
	v_add3_u32 v9, v13, v9, 0x487ffff
                                        ; implicit-def: $vgpr13
	v_lshrrev_b32_e32 v11, 20, v9
	s_and_not1_saveexec_b32 s19, s0
	s_cbranch_execnz .LBB297_2655
.LBB297_594:
	s_or_b32 exec_lo, exec_lo, s19
	v_mov_b32_e32 v9, 0
	s_and_saveexec_b32 s0, s18
.LBB297_595:
	v_mov_b32_e32 v9, v11
.LBB297_596:
	s_or_b32 exec_lo, exec_lo, s0
.LBB297_597:
	s_delay_alu instid0(SALU_CYCLE_1) | instskip(NEXT) | instid1(SALU_CYCLE_1)
	s_or_b32 exec_lo, exec_lo, s17
	s_or_b32 s18, s14, exec_lo
	s_xor_b32 s17, exec_lo, -1
.LBB297_598:
	s_or_b32 exec_lo, exec_lo, s16
	s_delay_alu instid0(SALU_CYCLE_1)
	s_and_not1_b32 s0, s14, exec_lo
	s_and_b32 s14, s18, exec_lo
	s_and_not1_b32 s13, s13, exec_lo
	s_and_b32 s16, s17, exec_lo
	s_or_b32 s14, s0, s14
	s_or_b32 s13, s13, s16
.LBB297_599:
	s_or_b32 exec_lo, exec_lo, s15
	s_delay_alu instid0(SALU_CYCLE_1)
	s_and_b32 s15, s14, exec_lo
	s_and_b32 s14, s13, exec_lo
.LBB297_600:
	s_and_not1_saveexec_b32 s12, s12
	s_cbranch_execz .LBB297_610
; %bb.601:
	s_mov_b32 s16, -1
	s_mov_b32 s17, s15
	s_mov_b32 s13, exec_lo
                                        ; implicit-def: $vgpr9
	v_cmpx_eq_u16_e32 29, v7
	s_cbranch_execz .LBB297_609
; %bb.602:
	flat_load_b64 v[26:27], v[22:23]
	s_mov_b32 s16, exec_lo
	s_wait_loadcnt_dscnt 0x0
	v_clz_i32_u32_e32 v9, v27
	s_delay_alu instid0(VALU_DEP_1) | instskip(NEXT) | instid1(VALU_DEP_1)
	v_min_u32_e32 v9, 32, v9
	v_lshlrev_b64_e32 v[26:27], v9, v[26:27]
	v_sub_nc_u32_e32 v9, 32, v9
	s_delay_alu instid0(VALU_DEP_2) | instskip(NEXT) | instid1(VALU_DEP_1)
	v_min_u32_e32 v11, 1, v26
	v_or_b32_e32 v11, v27, v11
	s_delay_alu instid0(VALU_DEP_1) | instskip(NEXT) | instid1(VALU_DEP_1)
	v_cvt_f32_u32_e32 v11, v11
	v_ldexp_f32 v13, v11, v9
	v_mov_b32_e32 v9, 0x80
	s_wait_xcnt 0x0
	s_delay_alu instid0(VALU_DEP_2)
	v_cmpx_gt_u32_e32 0x43800000, v13
	s_cbranch_execz .LBB297_608
; %bb.603:
	v_cmp_lt_u32_e64 s0, 0x3bffffff, v13
	s_mov_b32 s17, 0
                                        ; implicit-def: $vgpr11
	s_and_saveexec_b32 s18, s0
	s_delay_alu instid0(SALU_CYCLE_1)
	s_xor_b32 s0, exec_lo, s18
	s_cbranch_execz .LBB297_2561
; %bb.604:
	v_bfe_u32 v9, v13, 20, 1
	s_mov_b32 s17, exec_lo
	s_delay_alu instid0(VALU_DEP_1) | instskip(NEXT) | instid1(VALU_DEP_1)
	v_add3_u32 v9, v13, v9, 0x487ffff
                                        ; implicit-def: $vgpr13
	v_lshrrev_b32_e32 v11, 20, v9
	s_and_not1_saveexec_b32 s18, s0
	s_cbranch_execnz .LBB297_2562
.LBB297_605:
	s_or_b32 exec_lo, exec_lo, s18
	v_mov_b32_e32 v9, 0
	s_and_saveexec_b32 s0, s17
.LBB297_606:
	v_mov_b32_e32 v9, v11
.LBB297_607:
	s_or_b32 exec_lo, exec_lo, s0
.LBB297_608:
	s_delay_alu instid0(SALU_CYCLE_1) | instskip(NEXT) | instid1(SALU_CYCLE_1)
	s_or_b32 exec_lo, exec_lo, s16
	s_or_b32 s17, s15, exec_lo
	s_xor_b32 s16, exec_lo, -1
.LBB297_609:
	s_or_b32 exec_lo, exec_lo, s13
	s_delay_alu instid0(SALU_CYCLE_1)
	s_and_not1_b32 s0, s15, exec_lo
	s_and_b32 s13, s17, exec_lo
	s_and_not1_b32 s14, s14, exec_lo
	s_and_b32 s16, s16, exec_lo
	s_or_b32 s15, s0, s13
	s_or_b32 s14, s14, s16
.LBB297_610:
	s_or_b32 exec_lo, exec_lo, s12
	s_delay_alu instid0(SALU_CYCLE_1)
	s_and_b32 s13, s15, exec_lo
	s_and_b32 s12, s14, exec_lo
.LBB297_611:
	s_and_not1_saveexec_b32 s10, s10
	s_cbranch_execz .LBB297_633
; %bb.612:
	s_mov_b32 s14, exec_lo
                                        ; implicit-def: $vgpr9
	v_cmpx_lt_i16_e32 26, v7
	s_xor_b32 s14, exec_lo, s14
	s_cbranch_execz .LBB297_630
; %bb.613:
	s_mov_b32 s15, exec_lo
                                        ; implicit-def: $vgpr9
	v_cmpx_lt_i16_e32 27, v7
	s_xor_b32 s15, exec_lo, s15
	s_cbranch_execz .LBB297_621
; %bb.614:
	flat_load_b32 v9, v[22:23]
	s_mov_b32 s16, exec_lo
	s_wait_loadcnt_dscnt 0x0
	v_cvt_f32_u32_e32 v13, v9
	v_mov_b32_e32 v9, 0x80
	s_wait_xcnt 0x0
	s_delay_alu instid0(VALU_DEP_2)
	v_cmpx_gt_u32_e32 0x43800000, v13
	s_cbranch_execz .LBB297_620
; %bb.615:
	v_cmp_lt_u32_e64 s0, 0x3bffffff, v13
	s_mov_b32 s17, 0
                                        ; implicit-def: $vgpr11
	s_and_saveexec_b32 s18, s0
	s_delay_alu instid0(SALU_CYCLE_1)
	s_xor_b32 s0, exec_lo, s18
	s_cbranch_execz .LBB297_2563
; %bb.616:
	v_bfe_u32 v9, v13, 20, 1
	s_mov_b32 s17, exec_lo
	s_delay_alu instid0(VALU_DEP_1) | instskip(NEXT) | instid1(VALU_DEP_1)
	v_add3_u32 v9, v13, v9, 0x487ffff
                                        ; implicit-def: $vgpr13
	v_lshrrev_b32_e32 v11, 20, v9
	s_and_not1_saveexec_b32 s18, s0
	s_cbranch_execnz .LBB297_2564
.LBB297_617:
	s_or_b32 exec_lo, exec_lo, s18
	v_mov_b32_e32 v9, 0
	s_and_saveexec_b32 s0, s17
.LBB297_618:
	v_mov_b32_e32 v9, v11
.LBB297_619:
	s_or_b32 exec_lo, exec_lo, s0
.LBB297_620:
	s_delay_alu instid0(SALU_CYCLE_1)
	s_or_b32 exec_lo, exec_lo, s16
.LBB297_621:
	s_and_not1_saveexec_b32 s15, s15
	s_cbranch_execz .LBB297_629
; %bb.622:
	flat_load_u16 v9, v[22:23]
	s_mov_b32 s16, exec_lo
	s_wait_loadcnt_dscnt 0x0
	v_cvt_f32_u32_e32 v13, v9
	v_mov_b32_e32 v9, 0x80
	s_wait_xcnt 0x0
	s_delay_alu instid0(VALU_DEP_2)
	v_cmpx_gt_u32_e32 0x43800000, v13
	s_cbranch_execz .LBB297_628
; %bb.623:
	v_cmp_lt_u32_e64 s0, 0x3bffffff, v13
	s_mov_b32 s17, 0
                                        ; implicit-def: $vgpr11
	s_and_saveexec_b32 s18, s0
	s_delay_alu instid0(SALU_CYCLE_1)
	s_xor_b32 s0, exec_lo, s18
	s_cbranch_execz .LBB297_2565
; %bb.624:
	v_bfe_u32 v9, v13, 20, 1
	s_mov_b32 s17, exec_lo
	s_delay_alu instid0(VALU_DEP_1) | instskip(NEXT) | instid1(VALU_DEP_1)
	v_add3_u32 v9, v13, v9, 0x487ffff
                                        ; implicit-def: $vgpr13
	v_lshrrev_b32_e32 v11, 20, v9
	s_and_not1_saveexec_b32 s18, s0
	s_cbranch_execnz .LBB297_2566
.LBB297_625:
	s_or_b32 exec_lo, exec_lo, s18
	v_mov_b32_e32 v9, 0
	s_and_saveexec_b32 s0, s17
.LBB297_626:
	v_mov_b32_e32 v9, v11
.LBB297_627:
	s_or_b32 exec_lo, exec_lo, s0
.LBB297_628:
	s_delay_alu instid0(SALU_CYCLE_1)
	s_or_b32 exec_lo, exec_lo, s16
.LBB297_629:
	s_delay_alu instid0(SALU_CYCLE_1)
	s_or_b32 exec_lo, exec_lo, s15
.LBB297_630:
	s_and_not1_saveexec_b32 s0, s14
	s_cbranch_execz .LBB297_632
; %bb.631:
	flat_load_u8 v9, v[22:23]
.LBB297_632:
	s_wait_xcnt 0x0
	s_or_b32 exec_lo, exec_lo, s0
	s_delay_alu instid0(SALU_CYCLE_1)
	s_or_b32 s13, s13, exec_lo
.LBB297_633:
	s_or_b32 exec_lo, exec_lo, s10
	s_delay_alu instid0(SALU_CYCLE_1)
	s_and_b32 s10, s13, exec_lo
	s_and_b32 s12, s12, exec_lo
	s_and_not1_saveexec_b32 s11, s11
	s_cbranch_execnz .LBB297_2184
.LBB297_634:
	s_or_b32 exec_lo, exec_lo, s11
	s_mov_b32 s11, s5
	s_and_saveexec_b32 s0, s12
	s_cbranch_execnz .LBB297_2233
.LBB297_635:
	s_or_b32 exec_lo, exec_lo, s0
	s_and_saveexec_b32 s0, s7
	s_delay_alu instid0(SALU_CYCLE_1)
	s_xor_b32 s7, exec_lo, s0
	s_cbranch_execz .LBB297_643
.LBB297_636:
	s_wait_loadcnt_dscnt 0x0
	flat_load_u8 v9, v[22:23]
	s_mov_b32 s13, 0
	s_mov_b32 s12, exec_lo
	s_wait_loadcnt_dscnt 0x0
	v_cmp_ne_u16_e64 s0, 0, v9
	v_mov_b32_e32 v9, 0x80
	s_delay_alu instid0(VALU_DEP_2) | instskip(SKIP_1) | instid1(VALU_DEP_1)
	v_cndmask_b32_e64 v13, 0, 1.0, s0
	s_wait_xcnt 0x0
	v_cmpx_gt_u32_e32 0x43800000, v13
	s_cbranch_execz .LBB297_642
; %bb.637:
	v_cmp_lt_u32_e64 s0, 0x3bffffff, v13
                                        ; implicit-def: $vgpr11
	s_and_saveexec_b32 s14, s0
	s_delay_alu instid0(SALU_CYCLE_1)
	s_xor_b32 s0, exec_lo, s14
	s_cbranch_execz .LBB297_2298
; %bb.638:
	v_bfe_u32 v9, v13, 20, 1
	s_mov_b32 s13, exec_lo
	s_delay_alu instid0(VALU_DEP_1) | instskip(NEXT) | instid1(VALU_DEP_1)
	v_add3_u32 v9, v13, v9, 0x487ffff
                                        ; implicit-def: $vgpr13
	v_lshrrev_b32_e32 v11, 20, v9
	s_and_not1_saveexec_b32 s14, s0
	s_cbranch_execnz .LBB297_2299
.LBB297_639:
	s_or_b32 exec_lo, exec_lo, s14
	v_mov_b32_e32 v9, 0
	s_and_saveexec_b32 s0, s13
.LBB297_640:
	v_mov_b32_e32 v9, v11
.LBB297_641:
	s_or_b32 exec_lo, exec_lo, s0
.LBB297_642:
	s_delay_alu instid0(SALU_CYCLE_1) | instskip(NEXT) | instid1(SALU_CYCLE_1)
	s_or_b32 exec_lo, exec_lo, s12
	s_or_b32 s10, s10, exec_lo
.LBB297_643:
	s_or_b32 exec_lo, exec_lo, s7
	s_delay_alu instid0(SALU_CYCLE_1)
	s_and_not1_b32 s0, s5, exec_lo
	s_and_b32 s7, s11, exec_lo
	s_and_b32 s10, s10, exec_lo
	s_or_b32 s7, s0, s7
                                        ; implicit-def: $vgpr22_vgpr23
.LBB297_644:
	s_and_not1_saveexec_b32 s8, s8
	s_cbranch_execz .LBB297_752
; %bb.645:
	s_mov_b32 s11, exec_lo
                                        ; implicit-def: $vgpr9
	v_cmpx_lt_i16_e32 4, v7
	s_xor_b32 s11, exec_lo, s11
	s_cbranch_execz .LBB297_703
; %bb.646:
	s_mov_b32 s12, exec_lo
                                        ; implicit-def: $vgpr9
	v_cmpx_lt_i16_e32 7, v7
	s_xor_b32 s12, exec_lo, s12
	;; [unrolled: 6-line block ×4, first 2 shown]
	s_cbranch_execz .LBB297_656
; %bb.649:
	flat_load_b64 v[22:23], v[22:23]
	s_wait_loadcnt_dscnt 0x101
	v_mov_b32_e32 v9, 0x80
	s_mov_b32 s15, exec_lo
	s_wait_loadcnt_dscnt 0x0
	v_cvt_f32_f64_e32 v11, v[22:23]
	s_delay_alu instid0(VALU_DEP_1) | instskip(SKIP_1) | instid1(VALU_DEP_1)
	v_and_b32_e32 v13, 0x7fffffff, v11
	s_wait_xcnt 0x0
	v_cmpx_gt_u32_e32 0x43800000, v13
	s_cbranch_execz .LBB297_655
; %bb.650:
	v_cmp_lt_u32_e64 s0, 0x3bffffff, v13
	s_mov_b32 s16, 0
                                        ; implicit-def: $vgpr13
	s_and_saveexec_b32 s17, s0
	s_delay_alu instid0(SALU_CYCLE_1)
	s_xor_b32 s0, exec_lo, s17
	s_cbranch_execz .LBB297_2567
; %bb.651:
	v_bfe_u32 v9, v11, 20, 1
	s_mov_b32 s16, exec_lo
	s_delay_alu instid0(VALU_DEP_1) | instskip(NEXT) | instid1(VALU_DEP_1)
	v_add3_u32 v9, v11, v9, 0x487ffff
	v_lshrrev_b32_e32 v13, 20, v9
	s_and_not1_saveexec_b32 s17, s0
	s_cbranch_execnz .LBB297_2568
.LBB297_652:
	s_or_b32 exec_lo, exec_lo, s17
	v_mov_b32_e32 v9, 0
	s_and_saveexec_b32 s0, s16
.LBB297_653:
	v_lshrrev_b32_e32 v9, 24, v11
	s_delay_alu instid0(VALU_DEP_1)
	v_and_or_b32 v9, 0x80, v9, v13
.LBB297_654:
	s_or_b32 exec_lo, exec_lo, s0
.LBB297_655:
	s_delay_alu instid0(SALU_CYCLE_1)
	s_or_b32 exec_lo, exec_lo, s15
                                        ; implicit-def: $vgpr22_vgpr23
.LBB297_656:
	s_and_not1_saveexec_b32 s14, s14
	s_cbranch_execz .LBB297_664
; %bb.657:
	s_wait_dscnt 0x0
	flat_load_b32 v11, v[22:23]
	s_wait_loadcnt 0x1
	v_mov_b32_e32 v9, 0x80
	s_mov_b32 s15, exec_lo
	s_wait_loadcnt_dscnt 0x0
	v_and_b32_e32 v13, 0x7fffffff, v11
	s_wait_xcnt 0x0
	s_delay_alu instid0(VALU_DEP_1)
	v_cmpx_gt_u32_e32 0x43800000, v13
	s_cbranch_execz .LBB297_663
; %bb.658:
	v_cmp_lt_u32_e64 s0, 0x3bffffff, v13
	s_mov_b32 s16, 0
                                        ; implicit-def: $vgpr13
	s_and_saveexec_b32 s17, s0
	s_delay_alu instid0(SALU_CYCLE_1)
	s_xor_b32 s0, exec_lo, s17
	s_cbranch_execz .LBB297_2569
; %bb.659:
	v_bfe_u32 v9, v11, 20, 1
	s_mov_b32 s16, exec_lo
	s_delay_alu instid0(VALU_DEP_1) | instskip(NEXT) | instid1(VALU_DEP_1)
	v_add3_u32 v9, v11, v9, 0x487ffff
	v_lshrrev_b32_e32 v13, 20, v9
	s_and_not1_saveexec_b32 s17, s0
	s_cbranch_execnz .LBB297_2570
.LBB297_660:
	s_or_b32 exec_lo, exec_lo, s17
	v_mov_b32_e32 v9, 0
	s_and_saveexec_b32 s0, s16
.LBB297_661:
	v_lshrrev_b32_e32 v9, 24, v11
	s_delay_alu instid0(VALU_DEP_1)
	v_and_or_b32 v9, 0x80, v9, v13
.LBB297_662:
	s_or_b32 exec_lo, exec_lo, s0
.LBB297_663:
	s_delay_alu instid0(SALU_CYCLE_1)
	s_or_b32 exec_lo, exec_lo, s15
.LBB297_664:
	s_delay_alu instid0(SALU_CYCLE_1)
	s_or_b32 exec_lo, exec_lo, s14
                                        ; implicit-def: $vgpr22_vgpr23
.LBB297_665:
	s_and_not1_saveexec_b32 s13, s13
	s_cbranch_execz .LBB297_673
; %bb.666:
	s_wait_loadcnt_dscnt 0x0
	flat_load_b32 v9, v[22:23]
	s_mov_b32 s14, exec_lo
	s_wait_loadcnt_dscnt 0x0
	v_cvt_f32_f16_e32 v11, v9
	v_mov_b32_e32 v9, 0x80
	s_delay_alu instid0(VALU_DEP_2) | instskip(SKIP_1) | instid1(VALU_DEP_1)
	v_and_b32_e32 v13, 0x7fffffff, v11
	s_wait_xcnt 0x0
	v_cmpx_gt_u32_e32 0x43800000, v13
	s_cbranch_execz .LBB297_672
; %bb.667:
	v_cmp_lt_u32_e64 s0, 0x3bffffff, v13
	s_mov_b32 s15, 0
                                        ; implicit-def: $vgpr13
	s_and_saveexec_b32 s16, s0
	s_delay_alu instid0(SALU_CYCLE_1)
	s_xor_b32 s0, exec_lo, s16
	s_cbranch_execz .LBB297_2476
; %bb.668:
	v_bfe_u32 v9, v11, 20, 1
	s_mov_b32 s15, exec_lo
	s_delay_alu instid0(VALU_DEP_1) | instskip(NEXT) | instid1(VALU_DEP_1)
	v_add3_u32 v9, v11, v9, 0x487ffff
	v_lshrrev_b32_e32 v13, 20, v9
	s_and_not1_saveexec_b32 s16, s0
	s_cbranch_execnz .LBB297_2477
.LBB297_669:
	s_or_b32 exec_lo, exec_lo, s16
	v_mov_b32_e32 v9, 0
	s_and_saveexec_b32 s0, s15
.LBB297_670:
	v_lshrrev_b32_e32 v9, 24, v11
	s_delay_alu instid0(VALU_DEP_1)
	v_and_or_b32 v9, 0x80, v9, v13
.LBB297_671:
	s_or_b32 exec_lo, exec_lo, s0
.LBB297_672:
	s_delay_alu instid0(SALU_CYCLE_1)
	s_or_b32 exec_lo, exec_lo, s14
.LBB297_673:
	s_delay_alu instid0(SALU_CYCLE_1)
	s_or_b32 exec_lo, exec_lo, s13
                                        ; implicit-def: $vgpr22_vgpr23
.LBB297_674:
	s_and_not1_saveexec_b32 s12, s12
	s_cbranch_execz .LBB297_702
; %bb.675:
	s_mov_b32 s13, exec_lo
                                        ; implicit-def: $vgpr9
	v_cmpx_lt_i16_e32 5, v7
	s_xor_b32 s13, exec_lo, s13
	s_cbranch_execz .LBB297_693
; %bb.676:
	s_mov_b32 s14, exec_lo
                                        ; implicit-def: $vgpr9
	v_cmpx_lt_i16_e32 6, v7
	s_xor_b32 s14, exec_lo, s14
	s_cbranch_execz .LBB297_684
; %bb.677:
	flat_load_b64 v[22:23], v[22:23]
	s_wait_loadcnt_dscnt 0x101
	v_mov_b32_e32 v9, 0x80
	s_mov_b32 s15, exec_lo
	s_wait_loadcnt_dscnt 0x0
	v_cvt_f32_f64_e32 v11, v[22:23]
	s_delay_alu instid0(VALU_DEP_1) | instskip(SKIP_1) | instid1(VALU_DEP_1)
	v_and_b32_e32 v13, 0x7fffffff, v11
	s_wait_xcnt 0x0
	v_cmpx_gt_u32_e32 0x43800000, v13
	s_cbranch_execz .LBB297_683
; %bb.678:
	v_cmp_lt_u32_e64 s0, 0x3bffffff, v13
	s_mov_b32 s16, 0
                                        ; implicit-def: $vgpr13
	s_and_saveexec_b32 s17, s0
	s_delay_alu instid0(SALU_CYCLE_1)
	s_xor_b32 s0, exec_lo, s17
	s_cbranch_execz .LBB297_2571
; %bb.679:
	v_bfe_u32 v9, v11, 20, 1
	s_mov_b32 s16, exec_lo
	s_delay_alu instid0(VALU_DEP_1) | instskip(NEXT) | instid1(VALU_DEP_1)
	v_add3_u32 v9, v11, v9, 0x487ffff
	v_lshrrev_b32_e32 v13, 20, v9
	s_and_not1_saveexec_b32 s17, s0
	s_cbranch_execnz .LBB297_2572
.LBB297_680:
	s_or_b32 exec_lo, exec_lo, s17
	v_mov_b32_e32 v9, 0
	s_and_saveexec_b32 s0, s16
.LBB297_681:
	v_lshrrev_b32_e32 v9, 24, v11
	s_delay_alu instid0(VALU_DEP_1)
	v_and_or_b32 v9, 0x80, v9, v13
.LBB297_682:
	s_or_b32 exec_lo, exec_lo, s0
.LBB297_683:
	s_delay_alu instid0(SALU_CYCLE_1)
	s_or_b32 exec_lo, exec_lo, s15
                                        ; implicit-def: $vgpr22_vgpr23
.LBB297_684:
	s_and_not1_saveexec_b32 s14, s14
	s_cbranch_execz .LBB297_692
; %bb.685:
	s_wait_dscnt 0x0
	flat_load_b32 v11, v[22:23]
	s_wait_loadcnt 0x1
	v_mov_b32_e32 v9, 0x80
	s_mov_b32 s15, exec_lo
	s_wait_loadcnt_dscnt 0x0
	v_and_b32_e32 v13, 0x7fffffff, v11
	s_wait_xcnt 0x0
	s_delay_alu instid0(VALU_DEP_1)
	v_cmpx_gt_u32_e32 0x43800000, v13
	s_cbranch_execz .LBB297_691
; %bb.686:
	v_cmp_lt_u32_e64 s0, 0x3bffffff, v13
	s_mov_b32 s16, 0
                                        ; implicit-def: $vgpr13
	s_and_saveexec_b32 s17, s0
	s_delay_alu instid0(SALU_CYCLE_1)
	s_xor_b32 s0, exec_lo, s17
	s_cbranch_execz .LBB297_2573
; %bb.687:
	v_bfe_u32 v9, v11, 20, 1
	s_mov_b32 s16, exec_lo
	s_delay_alu instid0(VALU_DEP_1) | instskip(NEXT) | instid1(VALU_DEP_1)
	v_add3_u32 v9, v11, v9, 0x487ffff
	v_lshrrev_b32_e32 v13, 20, v9
	s_and_not1_saveexec_b32 s17, s0
	s_cbranch_execnz .LBB297_2574
.LBB297_688:
	s_or_b32 exec_lo, exec_lo, s17
	v_mov_b32_e32 v9, 0
	s_and_saveexec_b32 s0, s16
.LBB297_689:
	v_lshrrev_b32_e32 v9, 24, v11
	s_delay_alu instid0(VALU_DEP_1)
	v_and_or_b32 v9, 0x80, v9, v13
.LBB297_690:
	s_or_b32 exec_lo, exec_lo, s0
.LBB297_691:
	s_delay_alu instid0(SALU_CYCLE_1)
	s_or_b32 exec_lo, exec_lo, s15
.LBB297_692:
	s_delay_alu instid0(SALU_CYCLE_1)
	s_or_b32 exec_lo, exec_lo, s14
                                        ; implicit-def: $vgpr22_vgpr23
.LBB297_693:
	s_and_not1_saveexec_b32 s13, s13
	s_cbranch_execz .LBB297_701
; %bb.694:
	s_wait_loadcnt_dscnt 0x0
	flat_load_u16 v9, v[22:23]
	s_mov_b32 s14, exec_lo
	s_wait_loadcnt_dscnt 0x0
	v_cvt_f32_f16_e32 v11, v9
	v_mov_b32_e32 v9, 0x80
	s_delay_alu instid0(VALU_DEP_2) | instskip(SKIP_1) | instid1(VALU_DEP_1)
	v_and_b32_e32 v13, 0x7fffffff, v11
	s_wait_xcnt 0x0
	v_cmpx_gt_u32_e32 0x43800000, v13
	s_cbranch_execz .LBB297_700
; %bb.695:
	v_cmp_lt_u32_e64 s0, 0x3bffffff, v13
	s_mov_b32 s15, 0
                                        ; implicit-def: $vgpr13
	s_and_saveexec_b32 s16, s0
	s_delay_alu instid0(SALU_CYCLE_1)
	s_xor_b32 s0, exec_lo, s16
	s_cbranch_execz .LBB297_2478
; %bb.696:
	v_bfe_u32 v9, v11, 20, 1
	s_mov_b32 s15, exec_lo
	s_delay_alu instid0(VALU_DEP_1) | instskip(NEXT) | instid1(VALU_DEP_1)
	v_add3_u32 v9, v11, v9, 0x487ffff
	v_lshrrev_b32_e32 v13, 20, v9
	s_and_not1_saveexec_b32 s16, s0
	s_cbranch_execnz .LBB297_2479
.LBB297_697:
	s_or_b32 exec_lo, exec_lo, s16
	v_mov_b32_e32 v9, 0
	s_and_saveexec_b32 s0, s15
.LBB297_698:
	v_lshrrev_b32_e32 v9, 24, v11
	s_delay_alu instid0(VALU_DEP_1)
	v_and_or_b32 v9, 0x80, v9, v13
.LBB297_699:
	s_or_b32 exec_lo, exec_lo, s0
.LBB297_700:
	s_delay_alu instid0(SALU_CYCLE_1)
	s_or_b32 exec_lo, exec_lo, s14
.LBB297_701:
	s_delay_alu instid0(SALU_CYCLE_1)
	s_or_b32 exec_lo, exec_lo, s13
.LBB297_702:
	s_delay_alu instid0(SALU_CYCLE_1)
	s_or_b32 exec_lo, exec_lo, s12
                                        ; implicit-def: $vgpr22_vgpr23
.LBB297_703:
	s_and_not1_saveexec_b32 s11, s11
	s_cbranch_execz .LBB297_751
; %bb.704:
	s_mov_b32 s12, exec_lo
                                        ; implicit-def: $vgpr9
	v_cmpx_lt_i16_e32 1, v7
	s_xor_b32 s12, exec_lo, s12
	s_cbranch_execz .LBB297_732
; %bb.705:
	s_mov_b32 s13, exec_lo
                                        ; implicit-def: $vgpr9
	v_cmpx_lt_i16_e32 2, v7
	s_xor_b32 s13, exec_lo, s13
	;; [unrolled: 6-line block ×3, first 2 shown]
	s_cbranch_execz .LBB297_714
; %bb.707:
	flat_load_b64 v[22:23], v[22:23]
	s_mov_b32 s15, exec_lo
	s_wait_loadcnt_dscnt 0x0
	v_xor_b32_e32 v9, v22, v23
	v_cls_i32_e32 v11, v23
	s_delay_alu instid0(VALU_DEP_2) | instskip(NEXT) | instid1(VALU_DEP_1)
	v_ashrrev_i32_e32 v9, 31, v9
	v_add_nc_u32_e32 v9, 32, v9
	s_delay_alu instid0(VALU_DEP_1) | instskip(SKIP_1) | instid1(VALU_DEP_1)
	v_add_min_u32_e64 v9, v11, -1, v9
	s_wait_xcnt 0x0
	v_lshlrev_b64_e32 v[22:23], v9, v[22:23]
	v_sub_nc_u32_e32 v9, 32, v9
	s_delay_alu instid0(VALU_DEP_2) | instskip(NEXT) | instid1(VALU_DEP_1)
	v_min_u32_e32 v11, 1, v22
	v_or_b32_e32 v11, v23, v11
	s_delay_alu instid0(VALU_DEP_1) | instskip(NEXT) | instid1(VALU_DEP_1)
	v_cvt_f32_i32_e32 v11, v11
	v_ldexp_f32 v11, v11, v9
	v_mov_b32_e32 v9, 0x80
	s_delay_alu instid0(VALU_DEP_2) | instskip(NEXT) | instid1(VALU_DEP_1)
	v_and_b32_e32 v13, 0x7fffffff, v11
	v_cmpx_gt_u32_e32 0x43800000, v13
	s_cbranch_execz .LBB297_713
; %bb.708:
	v_cmp_lt_u32_e64 s0, 0x3bffffff, v13
	s_mov_b32 s16, 0
                                        ; implicit-def: $vgpr13
	s_and_saveexec_b32 s17, s0
	s_delay_alu instid0(SALU_CYCLE_1)
	s_xor_b32 s0, exec_lo, s17
	s_cbranch_execz .LBB297_2575
; %bb.709:
	v_bfe_u32 v9, v11, 20, 1
	s_mov_b32 s16, exec_lo
	s_delay_alu instid0(VALU_DEP_1) | instskip(NEXT) | instid1(VALU_DEP_1)
	v_add3_u32 v9, v11, v9, 0x487ffff
	v_lshrrev_b32_e32 v13, 20, v9
	s_and_not1_saveexec_b32 s17, s0
	s_cbranch_execnz .LBB297_2576
.LBB297_710:
	s_or_b32 exec_lo, exec_lo, s17
	v_mov_b32_e32 v9, 0
	s_and_saveexec_b32 s0, s16
.LBB297_711:
	v_lshrrev_b32_e32 v9, 24, v11
	s_delay_alu instid0(VALU_DEP_1)
	v_and_or_b32 v9, 0x80, v9, v13
.LBB297_712:
	s_or_b32 exec_lo, exec_lo, s0
.LBB297_713:
	s_delay_alu instid0(SALU_CYCLE_1)
	s_or_b32 exec_lo, exec_lo, s15
                                        ; implicit-def: $vgpr22_vgpr23
.LBB297_714:
	s_and_not1_saveexec_b32 s14, s14
	s_cbranch_execz .LBB297_722
; %bb.715:
	s_wait_loadcnt_dscnt 0x0
	flat_load_b32 v9, v[22:23]
	s_mov_b32 s15, exec_lo
	s_wait_loadcnt_dscnt 0x0
	v_cvt_f32_i32_e32 v11, v9
	v_mov_b32_e32 v9, 0x80
	s_delay_alu instid0(VALU_DEP_2) | instskip(SKIP_1) | instid1(VALU_DEP_1)
	v_and_b32_e32 v13, 0x7fffffff, v11
	s_wait_xcnt 0x0
	v_cmpx_gt_u32_e32 0x43800000, v13
	s_cbranch_execz .LBB297_721
; %bb.716:
	v_cmp_lt_u32_e64 s0, 0x3bffffff, v13
	s_mov_b32 s16, 0
                                        ; implicit-def: $vgpr13
	s_and_saveexec_b32 s17, s0
	s_delay_alu instid0(SALU_CYCLE_1)
	s_xor_b32 s0, exec_lo, s17
	s_cbranch_execz .LBB297_2577
; %bb.717:
	v_bfe_u32 v9, v11, 20, 1
	s_mov_b32 s16, exec_lo
	s_delay_alu instid0(VALU_DEP_1) | instskip(NEXT) | instid1(VALU_DEP_1)
	v_add3_u32 v9, v11, v9, 0x487ffff
	v_lshrrev_b32_e32 v13, 20, v9
	s_and_not1_saveexec_b32 s17, s0
	s_cbranch_execnz .LBB297_2578
.LBB297_718:
	s_or_b32 exec_lo, exec_lo, s17
	v_mov_b32_e32 v9, 0
	s_and_saveexec_b32 s0, s16
.LBB297_719:
	v_lshrrev_b32_e32 v9, 24, v11
	s_delay_alu instid0(VALU_DEP_1)
	v_and_or_b32 v9, 0x80, v9, v13
.LBB297_720:
	s_or_b32 exec_lo, exec_lo, s0
.LBB297_721:
	s_delay_alu instid0(SALU_CYCLE_1)
	s_or_b32 exec_lo, exec_lo, s15
.LBB297_722:
	s_delay_alu instid0(SALU_CYCLE_1)
	s_or_b32 exec_lo, exec_lo, s14
                                        ; implicit-def: $vgpr22_vgpr23
.LBB297_723:
	s_and_not1_saveexec_b32 s13, s13
	s_cbranch_execz .LBB297_731
; %bb.724:
	s_wait_loadcnt_dscnt 0x0
	flat_load_i16 v9, v[22:23]
	s_mov_b32 s14, exec_lo
	s_wait_loadcnt_dscnt 0x0
	v_cvt_f32_i32_e32 v11, v9
	v_mov_b32_e32 v9, 0x80
	s_delay_alu instid0(VALU_DEP_2) | instskip(SKIP_1) | instid1(VALU_DEP_1)
	v_and_b32_e32 v13, 0x7fffffff, v11
	s_wait_xcnt 0x0
	v_cmpx_gt_u32_e32 0x43800000, v13
	s_cbranch_execz .LBB297_730
; %bb.725:
	v_cmp_lt_u32_e64 s0, 0x3bffffff, v13
	s_mov_b32 s15, 0
                                        ; implicit-def: $vgpr13
	s_and_saveexec_b32 s16, s0
	s_delay_alu instid0(SALU_CYCLE_1)
	s_xor_b32 s0, exec_lo, s16
	s_cbranch_execz .LBB297_2480
; %bb.726:
	v_bfe_u32 v9, v11, 20, 1
	s_mov_b32 s15, exec_lo
	s_delay_alu instid0(VALU_DEP_1) | instskip(NEXT) | instid1(VALU_DEP_1)
	v_add3_u32 v9, v11, v9, 0x487ffff
	v_lshrrev_b32_e32 v13, 20, v9
	s_and_not1_saveexec_b32 s16, s0
	s_cbranch_execnz .LBB297_2481
.LBB297_727:
	s_or_b32 exec_lo, exec_lo, s16
	v_mov_b32_e32 v9, 0
	s_and_saveexec_b32 s0, s15
.LBB297_728:
	v_lshrrev_b32_e32 v9, 24, v11
	s_delay_alu instid0(VALU_DEP_1)
	v_and_or_b32 v9, 0x80, v9, v13
.LBB297_729:
	s_or_b32 exec_lo, exec_lo, s0
.LBB297_730:
	s_delay_alu instid0(SALU_CYCLE_1)
	s_or_b32 exec_lo, exec_lo, s14
.LBB297_731:
	s_delay_alu instid0(SALU_CYCLE_1)
	s_or_b32 exec_lo, exec_lo, s13
                                        ; implicit-def: $vgpr22_vgpr23
.LBB297_732:
	s_and_not1_saveexec_b32 s12, s12
	s_cbranch_execz .LBB297_750
; %bb.733:
	s_mov_b32 s13, exec_lo
                                        ; implicit-def: $vgpr9
	v_cmpx_lt_i16_e32 0, v7
	s_xor_b32 s13, exec_lo, s13
	s_cbranch_execz .LBB297_741
; %bb.734:
	s_wait_loadcnt_dscnt 0x0
	flat_load_i8 v9, v[22:23]
	s_mov_b32 s14, exec_lo
	s_wait_loadcnt_dscnt 0x0
	v_cvt_f32_i32_e32 v11, v9
	v_mov_b32_e32 v9, 0x80
	s_delay_alu instid0(VALU_DEP_2) | instskip(SKIP_1) | instid1(VALU_DEP_1)
	v_and_b32_e32 v13, 0x7fffffff, v11
	s_wait_xcnt 0x0
	v_cmpx_gt_u32_e32 0x43800000, v13
	s_cbranch_execz .LBB297_740
; %bb.735:
	v_cmp_lt_u32_e64 s0, 0x3bffffff, v13
	s_mov_b32 s15, 0
                                        ; implicit-def: $vgpr13
	s_and_saveexec_b32 s16, s0
	s_delay_alu instid0(SALU_CYCLE_1)
	s_xor_b32 s0, exec_lo, s16
	s_cbranch_execz .LBB297_2482
; %bb.736:
	v_bfe_u32 v9, v11, 20, 1
	s_mov_b32 s15, exec_lo
	s_delay_alu instid0(VALU_DEP_1) | instskip(NEXT) | instid1(VALU_DEP_1)
	v_add3_u32 v9, v11, v9, 0x487ffff
	v_lshrrev_b32_e32 v13, 20, v9
	s_and_not1_saveexec_b32 s16, s0
	s_cbranch_execnz .LBB297_2483
.LBB297_737:
	s_or_b32 exec_lo, exec_lo, s16
	v_mov_b32_e32 v9, 0
	s_and_saveexec_b32 s0, s15
.LBB297_738:
	v_lshrrev_b32_e32 v9, 24, v11
	s_delay_alu instid0(VALU_DEP_1)
	v_and_or_b32 v9, 0x80, v9, v13
.LBB297_739:
	s_or_b32 exec_lo, exec_lo, s0
.LBB297_740:
	s_delay_alu instid0(SALU_CYCLE_1)
	s_or_b32 exec_lo, exec_lo, s14
                                        ; implicit-def: $vgpr22_vgpr23
.LBB297_741:
	s_and_not1_saveexec_b32 s13, s13
	s_cbranch_execz .LBB297_749
; %bb.742:
	s_wait_loadcnt_dscnt 0x0
	flat_load_u8 v9, v[22:23]
	s_mov_b32 s14, exec_lo
	s_wait_loadcnt_dscnt 0x0
	v_cvt_f32_ubyte0_e32 v13, v9
	v_mov_b32_e32 v9, 0x80
	s_wait_xcnt 0x0
	s_delay_alu instid0(VALU_DEP_2)
	v_cmpx_gt_u32_e32 0x43800000, v13
	s_cbranch_execz .LBB297_748
; %bb.743:
	v_cmp_lt_u32_e64 s0, 0x3bffffff, v13
	s_mov_b32 s15, 0
                                        ; implicit-def: $vgpr11
	s_and_saveexec_b32 s16, s0
	s_delay_alu instid0(SALU_CYCLE_1)
	s_xor_b32 s0, exec_lo, s16
	s_cbranch_execz .LBB297_2484
; %bb.744:
	v_bfe_u32 v9, v13, 20, 1
	s_mov_b32 s15, exec_lo
	s_delay_alu instid0(VALU_DEP_1) | instskip(NEXT) | instid1(VALU_DEP_1)
	v_add3_u32 v9, v13, v9, 0x487ffff
                                        ; implicit-def: $vgpr13
	v_lshrrev_b32_e32 v11, 20, v9
	s_and_not1_saveexec_b32 s16, s0
	s_cbranch_execnz .LBB297_2485
.LBB297_745:
	s_or_b32 exec_lo, exec_lo, s16
	v_mov_b32_e32 v9, 0
	s_and_saveexec_b32 s0, s15
.LBB297_746:
	v_mov_b32_e32 v9, v11
.LBB297_747:
	s_or_b32 exec_lo, exec_lo, s0
.LBB297_748:
	s_delay_alu instid0(SALU_CYCLE_1)
	s_or_b32 exec_lo, exec_lo, s14
.LBB297_749:
	s_delay_alu instid0(SALU_CYCLE_1)
	s_or_b32 exec_lo, exec_lo, s13
.LBB297_750:
	s_delay_alu instid0(SALU_CYCLE_1)
	s_or_b32 exec_lo, exec_lo, s12
.LBB297_751:
	s_delay_alu instid0(SALU_CYCLE_1) | instskip(NEXT) | instid1(SALU_CYCLE_1)
	s_or_b32 exec_lo, exec_lo, s11
	s_or_b32 s10, s10, exec_lo
.LBB297_752:
	s_or_b32 exec_lo, exec_lo, s8
	s_mov_b32 s0, 0
	s_mov_b32 s11, 0
                                        ; implicit-def: $sgpr21
                                        ; implicit-def: $vgpr30_vgpr31
                                        ; implicit-def: $vgpr15
	s_and_saveexec_b32 s8, s10
	s_cbranch_execz .LBB297_2027
; %bb.753:
	v_mov_b32_e32 v25, 0
	s_mov_b32 s12, 0
	s_mov_b32 s10, s7
	s_mov_b32 s11, exec_lo
                                        ; implicit-def: $vgpr11
	s_delay_alu instid0(VALU_DEP_1)
	v_add_nc_u64_e32 v[22:23], v[16:17], v[24:25]
	v_cmpx_lt_i16_e32 10, v5
	s_xor_b32 s11, exec_lo, s11
	s_cbranch_execz .LBB297_822
; %bb.754:
	s_mov_b32 s10, 0
	s_mov_b32 s14, 0
	s_mov_b32 s13, exec_lo
                                        ; implicit-def: $vgpr11
	v_cmpx_lt_i16_e32 25, v5
	s_xor_b32 s13, exec_lo, s13
	s_cbranch_execz .LBB297_2236
; %bb.755:
	s_mov_b32 s15, 0
	s_mov_b32 s12, exec_lo
                                        ; implicit-def: $vgpr11
	v_cmpx_lt_i16_e32 28, v5
	s_xor_b32 s12, exec_lo, s12
	s_cbranch_execz .LBB297_789
; %bb.756:
	s_mov_b32 s16, 0
	s_mov_b32 s17, 0
	s_mov_b32 s14, exec_lo
                                        ; implicit-def: $vgpr11
	v_cmpx_lt_i16_e32 43, v5
	s_xor_b32 s14, exec_lo, s14
	s_cbranch_execz .LBB297_778
; %bb.757:
	s_mov_b32 s17, exec_lo
                                        ; implicit-def: $vgpr11
	v_cmpx_lt_i16_e32 45, v5
	s_xor_b32 s17, exec_lo, s17
	s_cbranch_execz .LBB297_767
; %bb.758:
	s_mov_b32 s18, -1
	s_mov_b32 s15, exec_lo
                                        ; implicit-def: $vgpr11
	v_cmpx_eq_u16_e32 46, v5
	s_cbranch_execz .LBB297_766
; %bb.759:
	s_wait_dscnt 0x0
	flat_load_b32 v11, v[22:23]
	s_mov_b32 s16, exec_lo
	s_wait_loadcnt_dscnt 0x0
	v_lshlrev_b32_e32 v13, 16, v11
	v_mov_b32_e32 v11, 0x80
	s_delay_alu instid0(VALU_DEP_2) | instskip(SKIP_1) | instid1(VALU_DEP_1)
	v_and_b32_e32 v15, 0x7fffffff, v13
	s_wait_xcnt 0x0
	v_cmpx_gt_u32_e32 0x43800000, v15
	s_cbranch_execz .LBB297_765
; %bb.760:
	v_cmp_lt_u32_e64 s0, 0x3bffffff, v15
	s_mov_b32 s18, 0
                                        ; implicit-def: $vgpr15
	s_and_saveexec_b32 s19, s0
	s_delay_alu instid0(SALU_CYCLE_1)
	s_xor_b32 s0, exec_lo, s19
	s_cbranch_execz .LBB297_2747
; %bb.761:
	v_bfe_u32 v11, v13, 20, 1
	s_mov_b32 s18, exec_lo
	s_delay_alu instid0(VALU_DEP_1) | instskip(NEXT) | instid1(VALU_DEP_1)
	v_add3_u32 v11, v13, v11, 0x487ffff
	v_lshrrev_b32_e32 v15, 20, v11
	s_and_not1_saveexec_b32 s19, s0
	s_cbranch_execnz .LBB297_2748
.LBB297_762:
	s_or_b32 exec_lo, exec_lo, s19
	v_mov_b32_e32 v11, 0
	s_and_saveexec_b32 s0, s18
.LBB297_763:
	v_lshrrev_b32_e32 v11, 24, v13
	s_delay_alu instid0(VALU_DEP_1)
	v_and_or_b32 v11, 0x80, v11, v15
.LBB297_764:
	s_or_b32 exec_lo, exec_lo, s0
.LBB297_765:
	s_delay_alu instid0(SALU_CYCLE_1) | instskip(NEXT) | instid1(SALU_CYCLE_1)
	s_or_b32 exec_lo, exec_lo, s16
	s_mov_b32 s16, exec_lo
	s_xor_b32 s18, exec_lo, -1
.LBB297_766:
	s_or_b32 exec_lo, exec_lo, s15
	s_delay_alu instid0(SALU_CYCLE_1)
	s_and_b32 s16, s16, exec_lo
	s_and_b32 s15, s18, exec_lo
.LBB297_767:
	s_and_not1_saveexec_b32 s17, s17
	s_cbranch_execz .LBB297_777
; %bb.768:
	s_mov_b32 s19, -1
	s_mov_b32 s20, s16
	s_mov_b32 s18, exec_lo
                                        ; implicit-def: $vgpr11
	v_cmpx_eq_u16_e32 44, v5
	s_cbranch_execz .LBB297_776
; %bb.769:
	s_wait_dscnt 0x0
	flat_load_u8 v11, v[22:23]
	s_mov_b32 s20, 0
	s_mov_b32 s19, exec_lo
	s_wait_loadcnt_dscnt 0x0
	v_lshlrev_b32_e32 v13, 23, v11
	v_cmp_ne_u32_e64 s0, 0xff, v11
	s_delay_alu instid0(VALU_DEP_1) | instskip(SKIP_2) | instid1(VALU_DEP_2)
	v_cndmask_b32_e64 v13, 0x7f800001, v13, s0
	v_cmp_ne_u32_e64 s0, 0, v11
	v_mov_b32_e32 v11, 0x80
	v_cndmask_b32_e64 v15, 0x400000, v13, s0
	s_wait_xcnt 0x0
	s_delay_alu instid0(VALU_DEP_1)
	v_cmpx_gt_u32_e32 0x43800000, v15
	s_cbranch_execz .LBB297_775
; %bb.770:
	v_cmp_lt_u32_e64 s0, 0x3bffffff, v15
                                        ; implicit-def: $vgpr13
	s_and_saveexec_b32 s21, s0
	s_delay_alu instid0(SALU_CYCLE_1)
	s_xor_b32 s0, exec_lo, s21
	s_cbranch_execz .LBB297_2749
; %bb.771:
	v_bfe_u32 v11, v15, 20, 1
	s_mov_b32 s20, exec_lo
	s_delay_alu instid0(VALU_DEP_1) | instskip(NEXT) | instid1(VALU_DEP_1)
	v_add3_u32 v11, v15, v11, 0x487ffff
                                        ; implicit-def: $vgpr15
	v_lshrrev_b32_e32 v13, 20, v11
	s_and_not1_saveexec_b32 s21, s0
	s_cbranch_execnz .LBB297_2750
.LBB297_772:
	s_or_b32 exec_lo, exec_lo, s21
	v_mov_b32_e32 v11, 0
	s_and_saveexec_b32 s0, s20
.LBB297_773:
	v_mov_b32_e32 v11, v13
.LBB297_774:
	s_or_b32 exec_lo, exec_lo, s0
.LBB297_775:
	s_delay_alu instid0(SALU_CYCLE_1) | instskip(NEXT) | instid1(SALU_CYCLE_1)
	s_or_b32 exec_lo, exec_lo, s19
	s_or_b32 s20, s16, exec_lo
	s_xor_b32 s19, exec_lo, -1
.LBB297_776:
	s_or_b32 exec_lo, exec_lo, s18
	s_delay_alu instid0(SALU_CYCLE_1)
	s_and_not1_b32 s0, s16, exec_lo
	s_and_b32 s16, s20, exec_lo
	s_and_not1_b32 s15, s15, exec_lo
	s_and_b32 s18, s19, exec_lo
	s_or_b32 s16, s0, s16
	s_or_b32 s15, s15, s18
.LBB297_777:
	s_or_b32 exec_lo, exec_lo, s17
	s_delay_alu instid0(SALU_CYCLE_1)
	s_and_b32 s17, s16, exec_lo
	s_and_b32 s16, s15, exec_lo
.LBB297_778:
	s_and_not1_saveexec_b32 s14, s14
	s_cbranch_execz .LBB297_788
; %bb.779:
	s_mov_b32 s18, -1
	s_mov_b32 s19, s17
	s_mov_b32 s15, exec_lo
                                        ; implicit-def: $vgpr11
	v_cmpx_eq_u16_e32 29, v5
	s_cbranch_execz .LBB297_787
; %bb.780:
	flat_load_b64 v[24:25], v[22:23]
	s_mov_b32 s18, exec_lo
	s_wait_loadcnt_dscnt 0x0
	v_clz_i32_u32_e32 v11, v25
	s_delay_alu instid0(VALU_DEP_1) | instskip(NEXT) | instid1(VALU_DEP_1)
	v_min_u32_e32 v11, 32, v11
	v_lshlrev_b64_e32 v[24:25], v11, v[24:25]
	v_sub_nc_u32_e32 v11, 32, v11
	s_delay_alu instid0(VALU_DEP_2) | instskip(NEXT) | instid1(VALU_DEP_1)
	v_min_u32_e32 v13, 1, v24
	v_or_b32_e32 v13, v25, v13
	s_delay_alu instid0(VALU_DEP_1) | instskip(NEXT) | instid1(VALU_DEP_1)
	v_cvt_f32_u32_e32 v13, v13
	v_ldexp_f32 v15, v13, v11
	v_mov_b32_e32 v11, 0x80
	s_wait_xcnt 0x0
	s_delay_alu instid0(VALU_DEP_2)
	v_cmpx_gt_u32_e32 0x43800000, v15
	s_cbranch_execz .LBB297_786
; %bb.781:
	v_cmp_lt_u32_e64 s0, 0x3bffffff, v15
	s_mov_b32 s19, 0
                                        ; implicit-def: $vgpr13
	s_and_saveexec_b32 s20, s0
	s_delay_alu instid0(SALU_CYCLE_1)
	s_xor_b32 s0, exec_lo, s20
	s_cbranch_execz .LBB297_2656
; %bb.782:
	v_bfe_u32 v11, v15, 20, 1
	s_mov_b32 s19, exec_lo
	s_delay_alu instid0(VALU_DEP_1) | instskip(NEXT) | instid1(VALU_DEP_1)
	v_add3_u32 v11, v15, v11, 0x487ffff
                                        ; implicit-def: $vgpr15
	v_lshrrev_b32_e32 v13, 20, v11
	s_and_not1_saveexec_b32 s20, s0
	s_cbranch_execnz .LBB297_2657
.LBB297_783:
	s_or_b32 exec_lo, exec_lo, s20
	v_mov_b32_e32 v11, 0
	s_and_saveexec_b32 s0, s19
.LBB297_784:
	v_mov_b32_e32 v11, v13
.LBB297_785:
	s_or_b32 exec_lo, exec_lo, s0
.LBB297_786:
	s_delay_alu instid0(SALU_CYCLE_1) | instskip(NEXT) | instid1(SALU_CYCLE_1)
	s_or_b32 exec_lo, exec_lo, s18
	s_or_b32 s19, s17, exec_lo
	s_xor_b32 s18, exec_lo, -1
.LBB297_787:
	s_or_b32 exec_lo, exec_lo, s15
	s_delay_alu instid0(SALU_CYCLE_1)
	s_and_not1_b32 s0, s17, exec_lo
	s_and_b32 s15, s19, exec_lo
	s_and_not1_b32 s16, s16, exec_lo
	s_and_b32 s18, s18, exec_lo
	s_or_b32 s17, s0, s15
	s_or_b32 s16, s16, s18
.LBB297_788:
	s_or_b32 exec_lo, exec_lo, s14
	s_delay_alu instid0(SALU_CYCLE_1)
	s_and_b32 s15, s17, exec_lo
	s_and_b32 s14, s16, exec_lo
.LBB297_789:
	s_and_not1_saveexec_b32 s12, s12
	s_cbranch_execz .LBB297_811
; %bb.790:
	s_mov_b32 s16, exec_lo
                                        ; implicit-def: $vgpr11
	v_cmpx_lt_i16_e32 26, v5
	s_xor_b32 s16, exec_lo, s16
	s_cbranch_execz .LBB297_808
; %bb.791:
	s_mov_b32 s17, exec_lo
                                        ; implicit-def: $vgpr11
	v_cmpx_lt_i16_e32 27, v5
	s_xor_b32 s17, exec_lo, s17
	s_cbranch_execz .LBB297_799
; %bb.792:
	s_wait_dscnt 0x0
	flat_load_b32 v11, v[22:23]
	s_mov_b32 s18, exec_lo
	s_wait_loadcnt_dscnt 0x0
	v_cvt_f32_u32_e32 v15, v11
	v_mov_b32_e32 v11, 0x80
	s_wait_xcnt 0x0
	s_delay_alu instid0(VALU_DEP_2)
	v_cmpx_gt_u32_e32 0x43800000, v15
	s_cbranch_execz .LBB297_798
; %bb.793:
	v_cmp_lt_u32_e64 s0, 0x3bffffff, v15
	s_mov_b32 s19, 0
                                        ; implicit-def: $vgpr13
	s_and_saveexec_b32 s20, s0
	s_delay_alu instid0(SALU_CYCLE_1)
	s_xor_b32 s0, exec_lo, s20
	s_cbranch_execz .LBB297_2658
; %bb.794:
	v_bfe_u32 v11, v15, 20, 1
	s_mov_b32 s19, exec_lo
	s_delay_alu instid0(VALU_DEP_1) | instskip(NEXT) | instid1(VALU_DEP_1)
	v_add3_u32 v11, v15, v11, 0x487ffff
                                        ; implicit-def: $vgpr15
	v_lshrrev_b32_e32 v13, 20, v11
	s_and_not1_saveexec_b32 s20, s0
	s_cbranch_execnz .LBB297_2659
.LBB297_795:
	s_or_b32 exec_lo, exec_lo, s20
	v_mov_b32_e32 v11, 0
	s_and_saveexec_b32 s0, s19
.LBB297_796:
	v_mov_b32_e32 v11, v13
.LBB297_797:
	s_or_b32 exec_lo, exec_lo, s0
.LBB297_798:
	s_delay_alu instid0(SALU_CYCLE_1)
	s_or_b32 exec_lo, exec_lo, s18
.LBB297_799:
	s_and_not1_saveexec_b32 s17, s17
	s_cbranch_execz .LBB297_807
; %bb.800:
	s_wait_dscnt 0x0
	flat_load_u16 v11, v[22:23]
	s_mov_b32 s18, exec_lo
	s_wait_loadcnt_dscnt 0x0
	v_cvt_f32_u32_e32 v15, v11
	v_mov_b32_e32 v11, 0x80
	s_wait_xcnt 0x0
	s_delay_alu instid0(VALU_DEP_2)
	v_cmpx_gt_u32_e32 0x43800000, v15
	s_cbranch_execz .LBB297_806
; %bb.801:
	v_cmp_lt_u32_e64 s0, 0x3bffffff, v15
	s_mov_b32 s19, 0
                                        ; implicit-def: $vgpr13
	s_and_saveexec_b32 s20, s0
	s_delay_alu instid0(SALU_CYCLE_1)
	s_xor_b32 s0, exec_lo, s20
	s_cbranch_execz .LBB297_2660
; %bb.802:
	v_bfe_u32 v11, v15, 20, 1
	s_mov_b32 s19, exec_lo
	s_delay_alu instid0(VALU_DEP_1) | instskip(NEXT) | instid1(VALU_DEP_1)
	v_add3_u32 v11, v15, v11, 0x487ffff
                                        ; implicit-def: $vgpr15
	v_lshrrev_b32_e32 v13, 20, v11
	s_and_not1_saveexec_b32 s20, s0
	s_cbranch_execnz .LBB297_2661
.LBB297_803:
	s_or_b32 exec_lo, exec_lo, s20
	v_mov_b32_e32 v11, 0
	s_and_saveexec_b32 s0, s19
.LBB297_804:
	v_mov_b32_e32 v11, v13
.LBB297_805:
	s_or_b32 exec_lo, exec_lo, s0
.LBB297_806:
	s_delay_alu instid0(SALU_CYCLE_1)
	s_or_b32 exec_lo, exec_lo, s18
.LBB297_807:
	s_delay_alu instid0(SALU_CYCLE_1)
	s_or_b32 exec_lo, exec_lo, s17
.LBB297_808:
	s_and_not1_saveexec_b32 s0, s16
	s_cbranch_execz .LBB297_810
; %bb.809:
	s_wait_dscnt 0x0
	flat_load_u8 v11, v[22:23]
.LBB297_810:
	s_wait_xcnt 0x0
	s_or_b32 exec_lo, exec_lo, s0
	s_delay_alu instid0(SALU_CYCLE_1)
	s_or_b32 s15, s15, exec_lo
.LBB297_811:
	s_or_b32 exec_lo, exec_lo, s12
	s_delay_alu instid0(SALU_CYCLE_1)
	s_and_b32 s12, s15, exec_lo
	s_and_b32 s14, s14, exec_lo
	s_and_not1_saveexec_b32 s13, s13
	s_cbranch_execnz .LBB297_2237
.LBB297_812:
	s_or_b32 exec_lo, exec_lo, s13
	s_mov_b32 s13, s7
	s_and_saveexec_b32 s0, s14
	s_cbranch_execnz .LBB297_2286
.LBB297_813:
	s_or_b32 exec_lo, exec_lo, s0
	s_and_saveexec_b32 s0, s10
	s_delay_alu instid0(SALU_CYCLE_1)
	s_xor_b32 s10, exec_lo, s0
	s_cbranch_execz .LBB297_821
.LBB297_814:
	s_wait_loadcnt_dscnt 0x0
	flat_load_u8 v11, v[22:23]
	s_mov_b32 s15, 0
	s_mov_b32 s14, exec_lo
	s_wait_loadcnt_dscnt 0x0
	v_cmp_ne_u16_e64 s0, 0, v11
	v_mov_b32_e32 v11, 0x80
	s_delay_alu instid0(VALU_DEP_2) | instskip(SKIP_1) | instid1(VALU_DEP_1)
	v_cndmask_b32_e64 v15, 0, 1.0, s0
	s_wait_xcnt 0x0
	v_cmpx_gt_u32_e32 0x43800000, v15
	s_cbranch_execz .LBB297_820
; %bb.815:
	v_cmp_lt_u32_e64 s0, 0x3bffffff, v15
                                        ; implicit-def: $vgpr13
	s_and_saveexec_b32 s16, s0
	s_delay_alu instid0(SALU_CYCLE_1)
	s_xor_b32 s0, exec_lo, s16
	s_cbranch_execz .LBB297_2391
; %bb.816:
	v_bfe_u32 v11, v15, 20, 1
	s_mov_b32 s15, exec_lo
	s_delay_alu instid0(VALU_DEP_1) | instskip(NEXT) | instid1(VALU_DEP_1)
	v_add3_u32 v11, v15, v11, 0x487ffff
                                        ; implicit-def: $vgpr15
	v_lshrrev_b32_e32 v13, 20, v11
	s_and_not1_saveexec_b32 s16, s0
	s_cbranch_execnz .LBB297_2392
.LBB297_817:
	s_or_b32 exec_lo, exec_lo, s16
	v_mov_b32_e32 v11, 0
	s_and_saveexec_b32 s0, s15
.LBB297_818:
	v_mov_b32_e32 v11, v13
.LBB297_819:
	s_or_b32 exec_lo, exec_lo, s0
.LBB297_820:
	s_delay_alu instid0(SALU_CYCLE_1) | instskip(NEXT) | instid1(SALU_CYCLE_1)
	s_or_b32 exec_lo, exec_lo, s14
	s_or_b32 s12, s12, exec_lo
.LBB297_821:
	s_or_b32 exec_lo, exec_lo, s10
	s_delay_alu instid0(SALU_CYCLE_1)
	s_and_not1_b32 s0, s7, exec_lo
	s_and_b32 s10, s13, exec_lo
	s_and_b32 s12, s12, exec_lo
	s_or_b32 s10, s0, s10
                                        ; implicit-def: $vgpr22_vgpr23
.LBB297_822:
	s_and_not1_saveexec_b32 s11, s11
	s_cbranch_execz .LBB297_930
; %bb.823:
	s_mov_b32 s13, exec_lo
                                        ; implicit-def: $vgpr11
	v_cmpx_lt_i16_e32 4, v5
	s_xor_b32 s13, exec_lo, s13
	s_cbranch_execz .LBB297_881
; %bb.824:
	s_mov_b32 s14, exec_lo
                                        ; implicit-def: $vgpr11
	v_cmpx_lt_i16_e32 7, v5
	s_xor_b32 s14, exec_lo, s14
	;; [unrolled: 6-line block ×4, first 2 shown]
	s_cbranch_execz .LBB297_834
; %bb.827:
	flat_load_b64 v[22:23], v[22:23]
	s_wait_loadcnt_dscnt 0x101
	v_mov_b32_e32 v11, 0x80
	s_mov_b32 s17, exec_lo
	s_wait_loadcnt_dscnt 0x0
	v_cvt_f32_f64_e32 v13, v[22:23]
	s_delay_alu instid0(VALU_DEP_1) | instskip(SKIP_1) | instid1(VALU_DEP_1)
	v_and_b32_e32 v15, 0x7fffffff, v13
	s_wait_xcnt 0x0
	v_cmpx_gt_u32_e32 0x43800000, v15
	s_cbranch_execz .LBB297_833
; %bb.828:
	v_cmp_lt_u32_e64 s0, 0x3bffffff, v15
	s_mov_b32 s18, 0
                                        ; implicit-def: $vgpr15
	s_and_saveexec_b32 s19, s0
	s_delay_alu instid0(SALU_CYCLE_1)
	s_xor_b32 s0, exec_lo, s19
	s_cbranch_execz .LBB297_2662
; %bb.829:
	v_bfe_u32 v11, v13, 20, 1
	s_mov_b32 s18, exec_lo
	s_delay_alu instid0(VALU_DEP_1) | instskip(NEXT) | instid1(VALU_DEP_1)
	v_add3_u32 v11, v13, v11, 0x487ffff
	v_lshrrev_b32_e32 v15, 20, v11
	s_and_not1_saveexec_b32 s19, s0
	s_cbranch_execnz .LBB297_2663
.LBB297_830:
	s_or_b32 exec_lo, exec_lo, s19
	v_mov_b32_e32 v11, 0
	s_and_saveexec_b32 s0, s18
.LBB297_831:
	v_lshrrev_b32_e32 v11, 24, v13
	s_delay_alu instid0(VALU_DEP_1)
	v_and_or_b32 v11, 0x80, v11, v15
.LBB297_832:
	s_or_b32 exec_lo, exec_lo, s0
.LBB297_833:
	s_delay_alu instid0(SALU_CYCLE_1)
	s_or_b32 exec_lo, exec_lo, s17
                                        ; implicit-def: $vgpr22_vgpr23
.LBB297_834:
	s_and_not1_saveexec_b32 s16, s16
	s_cbranch_execz .LBB297_842
; %bb.835:
	s_wait_loadcnt_dscnt 0x0
	flat_load_b32 v13, v[22:23]
	v_mov_b32_e32 v11, 0x80
	s_mov_b32 s17, exec_lo
	s_wait_loadcnt_dscnt 0x0
	v_and_b32_e32 v15, 0x7fffffff, v13
	s_wait_xcnt 0x0
	s_delay_alu instid0(VALU_DEP_1)
	v_cmpx_gt_u32_e32 0x43800000, v15
	s_cbranch_execz .LBB297_841
; %bb.836:
	v_cmp_lt_u32_e64 s0, 0x3bffffff, v15
	s_mov_b32 s18, 0
                                        ; implicit-def: $vgpr15
	s_and_saveexec_b32 s19, s0
	s_delay_alu instid0(SALU_CYCLE_1)
	s_xor_b32 s0, exec_lo, s19
	s_cbranch_execz .LBB297_2664
; %bb.837:
	v_bfe_u32 v11, v13, 20, 1
	s_mov_b32 s18, exec_lo
	s_delay_alu instid0(VALU_DEP_1) | instskip(NEXT) | instid1(VALU_DEP_1)
	v_add3_u32 v11, v13, v11, 0x487ffff
	v_lshrrev_b32_e32 v15, 20, v11
	s_and_not1_saveexec_b32 s19, s0
	s_cbranch_execnz .LBB297_2665
.LBB297_838:
	s_or_b32 exec_lo, exec_lo, s19
	v_mov_b32_e32 v11, 0
	s_and_saveexec_b32 s0, s18
.LBB297_839:
	v_lshrrev_b32_e32 v11, 24, v13
	s_delay_alu instid0(VALU_DEP_1)
	v_and_or_b32 v11, 0x80, v11, v15
.LBB297_840:
	s_or_b32 exec_lo, exec_lo, s0
.LBB297_841:
	s_delay_alu instid0(SALU_CYCLE_1)
	s_or_b32 exec_lo, exec_lo, s17
.LBB297_842:
	s_delay_alu instid0(SALU_CYCLE_1)
	s_or_b32 exec_lo, exec_lo, s16
                                        ; implicit-def: $vgpr22_vgpr23
.LBB297_843:
	s_and_not1_saveexec_b32 s15, s15
	s_cbranch_execz .LBB297_851
; %bb.844:
	s_wait_loadcnt_dscnt 0x0
	flat_load_b32 v11, v[22:23]
	s_mov_b32 s16, exec_lo
	s_wait_loadcnt_dscnt 0x0
	v_cvt_f32_f16_e32 v13, v11
	v_mov_b32_e32 v11, 0x80
	s_delay_alu instid0(VALU_DEP_2) | instskip(SKIP_1) | instid1(VALU_DEP_1)
	v_and_b32_e32 v15, 0x7fffffff, v13
	s_wait_xcnt 0x0
	v_cmpx_gt_u32_e32 0x43800000, v15
	s_cbranch_execz .LBB297_850
; %bb.845:
	v_cmp_lt_u32_e64 s0, 0x3bffffff, v15
	s_mov_b32 s17, 0
                                        ; implicit-def: $vgpr15
	s_and_saveexec_b32 s18, s0
	s_delay_alu instid0(SALU_CYCLE_1)
	s_xor_b32 s0, exec_lo, s18
	s_cbranch_execz .LBB297_2579
; %bb.846:
	v_bfe_u32 v11, v13, 20, 1
	s_mov_b32 s17, exec_lo
	s_delay_alu instid0(VALU_DEP_1) | instskip(NEXT) | instid1(VALU_DEP_1)
	v_add3_u32 v11, v13, v11, 0x487ffff
	v_lshrrev_b32_e32 v15, 20, v11
	s_and_not1_saveexec_b32 s18, s0
	s_cbranch_execnz .LBB297_2580
.LBB297_847:
	s_or_b32 exec_lo, exec_lo, s18
	v_mov_b32_e32 v11, 0
	s_and_saveexec_b32 s0, s17
.LBB297_848:
	v_lshrrev_b32_e32 v11, 24, v13
	s_delay_alu instid0(VALU_DEP_1)
	v_and_or_b32 v11, 0x80, v11, v15
.LBB297_849:
	s_or_b32 exec_lo, exec_lo, s0
.LBB297_850:
	s_delay_alu instid0(SALU_CYCLE_1)
	s_or_b32 exec_lo, exec_lo, s16
.LBB297_851:
	s_delay_alu instid0(SALU_CYCLE_1)
	s_or_b32 exec_lo, exec_lo, s15
                                        ; implicit-def: $vgpr22_vgpr23
.LBB297_852:
	s_and_not1_saveexec_b32 s14, s14
	s_cbranch_execz .LBB297_880
; %bb.853:
	s_mov_b32 s15, exec_lo
                                        ; implicit-def: $vgpr11
	v_cmpx_lt_i16_e32 5, v5
	s_xor_b32 s15, exec_lo, s15
	s_cbranch_execz .LBB297_871
; %bb.854:
	s_mov_b32 s16, exec_lo
                                        ; implicit-def: $vgpr11
	v_cmpx_lt_i16_e32 6, v5
	s_xor_b32 s16, exec_lo, s16
	s_cbranch_execz .LBB297_862
; %bb.855:
	flat_load_b64 v[22:23], v[22:23]
	s_wait_loadcnt_dscnt 0x101
	v_mov_b32_e32 v11, 0x80
	s_mov_b32 s17, exec_lo
	s_wait_loadcnt_dscnt 0x0
	v_cvt_f32_f64_e32 v13, v[22:23]
	s_delay_alu instid0(VALU_DEP_1) | instskip(SKIP_1) | instid1(VALU_DEP_1)
	v_and_b32_e32 v15, 0x7fffffff, v13
	s_wait_xcnt 0x0
	v_cmpx_gt_u32_e32 0x43800000, v15
	s_cbranch_execz .LBB297_861
; %bb.856:
	v_cmp_lt_u32_e64 s0, 0x3bffffff, v15
	s_mov_b32 s18, 0
                                        ; implicit-def: $vgpr15
	s_and_saveexec_b32 s19, s0
	s_delay_alu instid0(SALU_CYCLE_1)
	s_xor_b32 s0, exec_lo, s19
	s_cbranch_execz .LBB297_2666
; %bb.857:
	v_bfe_u32 v11, v13, 20, 1
	s_mov_b32 s18, exec_lo
	s_delay_alu instid0(VALU_DEP_1) | instskip(NEXT) | instid1(VALU_DEP_1)
	v_add3_u32 v11, v13, v11, 0x487ffff
	v_lshrrev_b32_e32 v15, 20, v11
	s_and_not1_saveexec_b32 s19, s0
	s_cbranch_execnz .LBB297_2667
.LBB297_858:
	s_or_b32 exec_lo, exec_lo, s19
	v_mov_b32_e32 v11, 0
	s_and_saveexec_b32 s0, s18
.LBB297_859:
	v_lshrrev_b32_e32 v11, 24, v13
	s_delay_alu instid0(VALU_DEP_1)
	v_and_or_b32 v11, 0x80, v11, v15
.LBB297_860:
	s_or_b32 exec_lo, exec_lo, s0
.LBB297_861:
	s_delay_alu instid0(SALU_CYCLE_1)
	s_or_b32 exec_lo, exec_lo, s17
                                        ; implicit-def: $vgpr22_vgpr23
.LBB297_862:
	s_and_not1_saveexec_b32 s16, s16
	s_cbranch_execz .LBB297_870
; %bb.863:
	s_wait_loadcnt_dscnt 0x0
	flat_load_b32 v13, v[22:23]
	v_mov_b32_e32 v11, 0x80
	s_mov_b32 s17, exec_lo
	s_wait_loadcnt_dscnt 0x0
	v_and_b32_e32 v15, 0x7fffffff, v13
	s_wait_xcnt 0x0
	s_delay_alu instid0(VALU_DEP_1)
	v_cmpx_gt_u32_e32 0x43800000, v15
	s_cbranch_execz .LBB297_869
; %bb.864:
	v_cmp_lt_u32_e64 s0, 0x3bffffff, v15
	s_mov_b32 s18, 0
                                        ; implicit-def: $vgpr15
	s_and_saveexec_b32 s19, s0
	s_delay_alu instid0(SALU_CYCLE_1)
	s_xor_b32 s0, exec_lo, s19
	s_cbranch_execz .LBB297_2668
; %bb.865:
	v_bfe_u32 v11, v13, 20, 1
	s_mov_b32 s18, exec_lo
	s_delay_alu instid0(VALU_DEP_1) | instskip(NEXT) | instid1(VALU_DEP_1)
	v_add3_u32 v11, v13, v11, 0x487ffff
	v_lshrrev_b32_e32 v15, 20, v11
	s_and_not1_saveexec_b32 s19, s0
	s_cbranch_execnz .LBB297_2669
.LBB297_866:
	s_or_b32 exec_lo, exec_lo, s19
	v_mov_b32_e32 v11, 0
	s_and_saveexec_b32 s0, s18
.LBB297_867:
	v_lshrrev_b32_e32 v11, 24, v13
	s_delay_alu instid0(VALU_DEP_1)
	v_and_or_b32 v11, 0x80, v11, v15
.LBB297_868:
	s_or_b32 exec_lo, exec_lo, s0
.LBB297_869:
	s_delay_alu instid0(SALU_CYCLE_1)
	s_or_b32 exec_lo, exec_lo, s17
.LBB297_870:
	s_delay_alu instid0(SALU_CYCLE_1)
	s_or_b32 exec_lo, exec_lo, s16
                                        ; implicit-def: $vgpr22_vgpr23
.LBB297_871:
	s_and_not1_saveexec_b32 s15, s15
	s_cbranch_execz .LBB297_879
; %bb.872:
	s_wait_loadcnt_dscnt 0x0
	flat_load_u16 v11, v[22:23]
	s_mov_b32 s16, exec_lo
	s_wait_loadcnt_dscnt 0x0
	v_cvt_f32_f16_e32 v13, v11
	v_mov_b32_e32 v11, 0x80
	s_delay_alu instid0(VALU_DEP_2) | instskip(SKIP_1) | instid1(VALU_DEP_1)
	v_and_b32_e32 v15, 0x7fffffff, v13
	s_wait_xcnt 0x0
	v_cmpx_gt_u32_e32 0x43800000, v15
	s_cbranch_execz .LBB297_878
; %bb.873:
	v_cmp_lt_u32_e64 s0, 0x3bffffff, v15
	s_mov_b32 s17, 0
                                        ; implicit-def: $vgpr15
	s_and_saveexec_b32 s18, s0
	s_delay_alu instid0(SALU_CYCLE_1)
	s_xor_b32 s0, exec_lo, s18
	s_cbranch_execz .LBB297_2581
; %bb.874:
	v_bfe_u32 v11, v13, 20, 1
	s_mov_b32 s17, exec_lo
	s_delay_alu instid0(VALU_DEP_1) | instskip(NEXT) | instid1(VALU_DEP_1)
	v_add3_u32 v11, v13, v11, 0x487ffff
	v_lshrrev_b32_e32 v15, 20, v11
	s_and_not1_saveexec_b32 s18, s0
	s_cbranch_execnz .LBB297_2582
.LBB297_875:
	s_or_b32 exec_lo, exec_lo, s18
	v_mov_b32_e32 v11, 0
	s_and_saveexec_b32 s0, s17
.LBB297_876:
	v_lshrrev_b32_e32 v11, 24, v13
	s_delay_alu instid0(VALU_DEP_1)
	v_and_or_b32 v11, 0x80, v11, v15
.LBB297_877:
	s_or_b32 exec_lo, exec_lo, s0
.LBB297_878:
	s_delay_alu instid0(SALU_CYCLE_1)
	s_or_b32 exec_lo, exec_lo, s16
.LBB297_879:
	s_delay_alu instid0(SALU_CYCLE_1)
	s_or_b32 exec_lo, exec_lo, s15
.LBB297_880:
	s_delay_alu instid0(SALU_CYCLE_1)
	s_or_b32 exec_lo, exec_lo, s14
                                        ; implicit-def: $vgpr22_vgpr23
.LBB297_881:
	s_and_not1_saveexec_b32 s13, s13
	s_cbranch_execz .LBB297_929
; %bb.882:
	s_mov_b32 s14, exec_lo
                                        ; implicit-def: $vgpr11
	v_cmpx_lt_i16_e32 1, v5
	s_xor_b32 s14, exec_lo, s14
	s_cbranch_execz .LBB297_910
; %bb.883:
	s_mov_b32 s15, exec_lo
                                        ; implicit-def: $vgpr11
	v_cmpx_lt_i16_e32 2, v5
	s_xor_b32 s15, exec_lo, s15
	;; [unrolled: 6-line block ×3, first 2 shown]
	s_cbranch_execz .LBB297_892
; %bb.885:
	flat_load_b64 v[22:23], v[22:23]
	s_mov_b32 s17, exec_lo
	s_wait_loadcnt_dscnt 0x0
	v_xor_b32_e32 v11, v22, v23
	v_cls_i32_e32 v13, v23
	s_delay_alu instid0(VALU_DEP_2) | instskip(NEXT) | instid1(VALU_DEP_1)
	v_ashrrev_i32_e32 v11, 31, v11
	v_add_nc_u32_e32 v11, 32, v11
	s_delay_alu instid0(VALU_DEP_1) | instskip(SKIP_1) | instid1(VALU_DEP_1)
	v_add_min_u32_e64 v11, v13, -1, v11
	s_wait_xcnt 0x0
	v_lshlrev_b64_e32 v[22:23], v11, v[22:23]
	v_sub_nc_u32_e32 v11, 32, v11
	s_delay_alu instid0(VALU_DEP_2) | instskip(NEXT) | instid1(VALU_DEP_1)
	v_min_u32_e32 v13, 1, v22
	v_or_b32_e32 v13, v23, v13
	s_delay_alu instid0(VALU_DEP_1) | instskip(NEXT) | instid1(VALU_DEP_1)
	v_cvt_f32_i32_e32 v13, v13
	v_ldexp_f32 v13, v13, v11
	v_mov_b32_e32 v11, 0x80
	s_delay_alu instid0(VALU_DEP_2) | instskip(NEXT) | instid1(VALU_DEP_1)
	v_and_b32_e32 v15, 0x7fffffff, v13
	v_cmpx_gt_u32_e32 0x43800000, v15
	s_cbranch_execz .LBB297_891
; %bb.886:
	v_cmp_lt_u32_e64 s0, 0x3bffffff, v15
	s_mov_b32 s18, 0
                                        ; implicit-def: $vgpr15
	s_and_saveexec_b32 s19, s0
	s_delay_alu instid0(SALU_CYCLE_1)
	s_xor_b32 s0, exec_lo, s19
	s_cbranch_execz .LBB297_2670
; %bb.887:
	v_bfe_u32 v11, v13, 20, 1
	s_mov_b32 s18, exec_lo
	s_delay_alu instid0(VALU_DEP_1) | instskip(NEXT) | instid1(VALU_DEP_1)
	v_add3_u32 v11, v13, v11, 0x487ffff
	v_lshrrev_b32_e32 v15, 20, v11
	s_and_not1_saveexec_b32 s19, s0
	s_cbranch_execnz .LBB297_2671
.LBB297_888:
	s_or_b32 exec_lo, exec_lo, s19
	v_mov_b32_e32 v11, 0
	s_and_saveexec_b32 s0, s18
.LBB297_889:
	v_lshrrev_b32_e32 v11, 24, v13
	s_delay_alu instid0(VALU_DEP_1)
	v_and_or_b32 v11, 0x80, v11, v15
.LBB297_890:
	s_or_b32 exec_lo, exec_lo, s0
.LBB297_891:
	s_delay_alu instid0(SALU_CYCLE_1)
	s_or_b32 exec_lo, exec_lo, s17
                                        ; implicit-def: $vgpr22_vgpr23
.LBB297_892:
	s_and_not1_saveexec_b32 s16, s16
	s_cbranch_execz .LBB297_900
; %bb.893:
	s_wait_loadcnt_dscnt 0x0
	flat_load_b32 v11, v[22:23]
	s_mov_b32 s17, exec_lo
	s_wait_loadcnt_dscnt 0x0
	v_cvt_f32_i32_e32 v13, v11
	v_mov_b32_e32 v11, 0x80
	s_delay_alu instid0(VALU_DEP_2) | instskip(SKIP_1) | instid1(VALU_DEP_1)
	v_and_b32_e32 v15, 0x7fffffff, v13
	s_wait_xcnt 0x0
	v_cmpx_gt_u32_e32 0x43800000, v15
	s_cbranch_execz .LBB297_899
; %bb.894:
	v_cmp_lt_u32_e64 s0, 0x3bffffff, v15
	s_mov_b32 s18, 0
                                        ; implicit-def: $vgpr15
	s_and_saveexec_b32 s19, s0
	s_delay_alu instid0(SALU_CYCLE_1)
	s_xor_b32 s0, exec_lo, s19
	s_cbranch_execz .LBB297_2672
; %bb.895:
	v_bfe_u32 v11, v13, 20, 1
	s_mov_b32 s18, exec_lo
	s_delay_alu instid0(VALU_DEP_1) | instskip(NEXT) | instid1(VALU_DEP_1)
	v_add3_u32 v11, v13, v11, 0x487ffff
	v_lshrrev_b32_e32 v15, 20, v11
	s_and_not1_saveexec_b32 s19, s0
	s_cbranch_execnz .LBB297_2673
.LBB297_896:
	s_or_b32 exec_lo, exec_lo, s19
	v_mov_b32_e32 v11, 0
	s_and_saveexec_b32 s0, s18
.LBB297_897:
	v_lshrrev_b32_e32 v11, 24, v13
	s_delay_alu instid0(VALU_DEP_1)
	v_and_or_b32 v11, 0x80, v11, v15
.LBB297_898:
	s_or_b32 exec_lo, exec_lo, s0
.LBB297_899:
	s_delay_alu instid0(SALU_CYCLE_1)
	s_or_b32 exec_lo, exec_lo, s17
.LBB297_900:
	s_delay_alu instid0(SALU_CYCLE_1)
	s_or_b32 exec_lo, exec_lo, s16
                                        ; implicit-def: $vgpr22_vgpr23
.LBB297_901:
	s_and_not1_saveexec_b32 s15, s15
	s_cbranch_execz .LBB297_909
; %bb.902:
	s_wait_loadcnt_dscnt 0x0
	flat_load_i16 v11, v[22:23]
	s_mov_b32 s16, exec_lo
	s_wait_loadcnt_dscnt 0x0
	v_cvt_f32_i32_e32 v13, v11
	v_mov_b32_e32 v11, 0x80
	s_delay_alu instid0(VALU_DEP_2) | instskip(SKIP_1) | instid1(VALU_DEP_1)
	v_and_b32_e32 v15, 0x7fffffff, v13
	s_wait_xcnt 0x0
	v_cmpx_gt_u32_e32 0x43800000, v15
	s_cbranch_execz .LBB297_908
; %bb.903:
	v_cmp_lt_u32_e64 s0, 0x3bffffff, v15
	s_mov_b32 s17, 0
                                        ; implicit-def: $vgpr15
	s_and_saveexec_b32 s18, s0
	s_delay_alu instid0(SALU_CYCLE_1)
	s_xor_b32 s0, exec_lo, s18
	s_cbranch_execz .LBB297_2583
; %bb.904:
	v_bfe_u32 v11, v13, 20, 1
	s_mov_b32 s17, exec_lo
	s_delay_alu instid0(VALU_DEP_1) | instskip(NEXT) | instid1(VALU_DEP_1)
	v_add3_u32 v11, v13, v11, 0x487ffff
	v_lshrrev_b32_e32 v15, 20, v11
	s_and_not1_saveexec_b32 s18, s0
	s_cbranch_execnz .LBB297_2584
.LBB297_905:
	s_or_b32 exec_lo, exec_lo, s18
	v_mov_b32_e32 v11, 0
	s_and_saveexec_b32 s0, s17
.LBB297_906:
	v_lshrrev_b32_e32 v11, 24, v13
	s_delay_alu instid0(VALU_DEP_1)
	v_and_or_b32 v11, 0x80, v11, v15
.LBB297_907:
	s_or_b32 exec_lo, exec_lo, s0
.LBB297_908:
	s_delay_alu instid0(SALU_CYCLE_1)
	s_or_b32 exec_lo, exec_lo, s16
.LBB297_909:
	s_delay_alu instid0(SALU_CYCLE_1)
	s_or_b32 exec_lo, exec_lo, s15
                                        ; implicit-def: $vgpr22_vgpr23
.LBB297_910:
	s_and_not1_saveexec_b32 s14, s14
	s_cbranch_execz .LBB297_928
; %bb.911:
	s_mov_b32 s15, exec_lo
                                        ; implicit-def: $vgpr11
	v_cmpx_lt_i16_e32 0, v5
	s_xor_b32 s15, exec_lo, s15
	s_cbranch_execz .LBB297_919
; %bb.912:
	s_wait_loadcnt_dscnt 0x0
	flat_load_i8 v11, v[22:23]
	s_mov_b32 s16, exec_lo
	s_wait_loadcnt_dscnt 0x0
	v_cvt_f32_i32_e32 v13, v11
	v_mov_b32_e32 v11, 0x80
	s_delay_alu instid0(VALU_DEP_2) | instskip(SKIP_1) | instid1(VALU_DEP_1)
	v_and_b32_e32 v15, 0x7fffffff, v13
	s_wait_xcnt 0x0
	v_cmpx_gt_u32_e32 0x43800000, v15
	s_cbranch_execz .LBB297_918
; %bb.913:
	v_cmp_lt_u32_e64 s0, 0x3bffffff, v15
	s_mov_b32 s17, 0
                                        ; implicit-def: $vgpr15
	s_and_saveexec_b32 s18, s0
	s_delay_alu instid0(SALU_CYCLE_1)
	s_xor_b32 s0, exec_lo, s18
	s_cbranch_execz .LBB297_2585
; %bb.914:
	v_bfe_u32 v11, v13, 20, 1
	s_mov_b32 s17, exec_lo
	s_delay_alu instid0(VALU_DEP_1) | instskip(NEXT) | instid1(VALU_DEP_1)
	v_add3_u32 v11, v13, v11, 0x487ffff
	v_lshrrev_b32_e32 v15, 20, v11
	s_and_not1_saveexec_b32 s18, s0
	s_cbranch_execnz .LBB297_2586
.LBB297_915:
	s_or_b32 exec_lo, exec_lo, s18
	v_mov_b32_e32 v11, 0
	s_and_saveexec_b32 s0, s17
.LBB297_916:
	v_lshrrev_b32_e32 v11, 24, v13
	s_delay_alu instid0(VALU_DEP_1)
	v_and_or_b32 v11, 0x80, v11, v15
.LBB297_917:
	s_or_b32 exec_lo, exec_lo, s0
.LBB297_918:
	s_delay_alu instid0(SALU_CYCLE_1)
	s_or_b32 exec_lo, exec_lo, s16
                                        ; implicit-def: $vgpr22_vgpr23
.LBB297_919:
	s_and_not1_saveexec_b32 s15, s15
	s_cbranch_execz .LBB297_927
; %bb.920:
	s_wait_loadcnt_dscnt 0x0
	flat_load_u8 v11, v[22:23]
	s_mov_b32 s16, exec_lo
	s_wait_loadcnt_dscnt 0x0
	v_cvt_f32_ubyte0_e32 v15, v11
	v_mov_b32_e32 v11, 0x80
	s_wait_xcnt 0x0
	s_delay_alu instid0(VALU_DEP_2)
	v_cmpx_gt_u32_e32 0x43800000, v15
	s_cbranch_execz .LBB297_926
; %bb.921:
	v_cmp_lt_u32_e64 s0, 0x3bffffff, v15
	s_mov_b32 s17, 0
                                        ; implicit-def: $vgpr13
	s_and_saveexec_b32 s18, s0
	s_delay_alu instid0(SALU_CYCLE_1)
	s_xor_b32 s0, exec_lo, s18
	s_cbranch_execz .LBB297_2587
; %bb.922:
	v_bfe_u32 v11, v15, 20, 1
	s_mov_b32 s17, exec_lo
	s_delay_alu instid0(VALU_DEP_1) | instskip(NEXT) | instid1(VALU_DEP_1)
	v_add3_u32 v11, v15, v11, 0x487ffff
                                        ; implicit-def: $vgpr15
	v_lshrrev_b32_e32 v13, 20, v11
	s_and_not1_saveexec_b32 s18, s0
	s_cbranch_execnz .LBB297_2588
.LBB297_923:
	s_or_b32 exec_lo, exec_lo, s18
	v_mov_b32_e32 v11, 0
	s_and_saveexec_b32 s0, s17
.LBB297_924:
	v_mov_b32_e32 v11, v13
.LBB297_925:
	s_or_b32 exec_lo, exec_lo, s0
.LBB297_926:
	s_delay_alu instid0(SALU_CYCLE_1)
	s_or_b32 exec_lo, exec_lo, s16
.LBB297_927:
	s_delay_alu instid0(SALU_CYCLE_1)
	s_or_b32 exec_lo, exec_lo, s15
.LBB297_928:
	s_delay_alu instid0(SALU_CYCLE_1)
	s_or_b32 exec_lo, exec_lo, s14
.LBB297_929:
	s_delay_alu instid0(SALU_CYCLE_1) | instskip(NEXT) | instid1(SALU_CYCLE_1)
	s_or_b32 exec_lo, exec_lo, s13
	s_or_b32 s12, s12, exec_lo
.LBB297_930:
	s_or_b32 exec_lo, exec_lo, s11
	s_mov_b32 s0, 0
	s_mov_b32 s13, 0
                                        ; implicit-def: $sgpr21
                                        ; implicit-def: $vgpr30_vgpr31
                                        ; implicit-def: $vgpr15
	s_and_saveexec_b32 s11, s12
	s_cbranch_execz .LBB297_2026
; %bb.931:
                                        ; implicit-def: $sgpr13
	s_and_saveexec_b32 s0, vcc_lo
	s_delay_alu instid0(SALU_CYCLE_1)
	s_xor_b32 s12, exec_lo, s0
	s_cbranch_execz .LBB297_945
; %bb.932:
	s_wait_loadcnt_dscnt 0x0
	v_and_b32_e32 v15, 0xff, v9
	s_mov_b32 s13, 0
	s_mov_b32 s14, exec_lo
	s_delay_alu instid0(VALU_DEP_1)
	v_cmpx_lt_i16_e32 0x7f, v15
	s_xor_b32 s14, exec_lo, s14
	s_cbranch_execz .LBB297_2300
; %bb.933:
	s_mov_b32 s13, -1
	s_mov_b32 s15, exec_lo
	v_cmpx_eq_u16_e32 0x80, v15
; %bb.934:
	s_xor_b32 s13, exec_lo, -1
; %bb.935:
	s_or_b32 exec_lo, exec_lo, s15
	s_delay_alu instid0(SALU_CYCLE_1)
	s_and_b32 s13, s13, exec_lo
                                        ; implicit-def: $vgpr15
	s_or_saveexec_b32 s14, s14
	v_mov_b32_e32 v13, 0x7f800001
	s_xor_b32 exec_lo, exec_lo, s14
	s_cbranch_execnz .LBB297_2301
.LBB297_936:
	s_or_b32 exec_lo, exec_lo, s14
	s_and_saveexec_b32 s14, s13
	s_cbranch_execz .LBB297_938
.LBB297_937:
	v_and_b32_e32 v13, 7, v9
	v_lshrrev_b16 v19, 3, v9
	s_delay_alu instid0(VALU_DEP_2) | instskip(NEXT) | instid1(VALU_DEP_2)
	v_clz_i32_u32_e32 v15, v13
	v_and_b32_e32 v19, 15, v19
	s_delay_alu instid0(VALU_DEP_2) | instskip(NEXT) | instid1(VALU_DEP_1)
	v_min_u32_e32 v15, 32, v15
	v_subrev_nc_u32_e32 v21, 28, v15
	s_delay_alu instid0(VALU_DEP_1) | instskip(SKIP_2) | instid1(VALU_DEP_3)
	v_dual_lshlrev_b32 v21, v21, v9 :: v_dual_sub_nc_u32 v15, 29, v15
	v_lshlrev_b32_e32 v9, 24, v9
	v_cmp_eq_u32_e64 s0, 0, v19
	v_and_b32_e32 v21, 7, v21
	s_delay_alu instid0(VALU_DEP_3) | instskip(NEXT) | instid1(VALU_DEP_2)
	v_and_b32_e32 v9, 0x80000000, v9
	v_dual_cndmask_b32 v15, v19, v15, s0 :: v_dual_cndmask_b32 v13, v13, v21, s0
	s_delay_alu instid0(VALU_DEP_1) | instskip(NEXT) | instid1(VALU_DEP_2)
	v_lshl_add_u32 v15, v15, 23, 0x3b800000
	v_lshlrev_b32_e32 v13, 20, v13
	s_delay_alu instid0(VALU_DEP_1)
	v_or3_b32 v13, v9, v15, v13
.LBB297_938:
	s_or_b32 exec_lo, exec_lo, s14
	v_and_b32_e32 v15, 0xff, v11
	s_mov_b32 s13, 0
	s_mov_b32 s14, exec_lo
	s_delay_alu instid0(VALU_DEP_1)
	v_cmpx_lt_i16_e32 0x7f, v15
	s_xor_b32 s14, exec_lo, s14
	s_cbranch_execz .LBB297_2302
; %bb.939:
	s_mov_b32 s13, -1
	s_mov_b32 s15, exec_lo
	v_cmpx_eq_u16_e32 0x80, v15
; %bb.940:
	s_xor_b32 s13, exec_lo, -1
; %bb.941:
	s_or_b32 exec_lo, exec_lo, s15
	s_delay_alu instid0(SALU_CYCLE_1)
	s_and_b32 s13, s13, exec_lo
                                        ; implicit-def: $vgpr15
	s_or_saveexec_b32 s14, s14
	v_mov_b32_e32 v9, 0x7f800001
	s_xor_b32 exec_lo, exec_lo, s14
	s_cbranch_execnz .LBB297_2303
.LBB297_942:
	s_or_b32 exec_lo, exec_lo, s14
	s_and_saveexec_b32 s14, s13
	s_cbranch_execz .LBB297_944
.LBB297_943:
	v_and_b32_e32 v9, 7, v11
	v_lshrrev_b16 v19, 3, v11
	s_delay_alu instid0(VALU_DEP_2) | instskip(NEXT) | instid1(VALU_DEP_1)
	v_clz_i32_u32_e32 v15, v9
	v_min_u32_e32 v15, 32, v15
	s_delay_alu instid0(VALU_DEP_1) | instskip(NEXT) | instid1(VALU_DEP_1)
	v_subrev_nc_u32_e32 v21, 28, v15
	v_lshlrev_b32_e32 v21, v21, v11
	s_delay_alu instid0(VALU_DEP_1) | instskip(SKIP_1) | instid1(VALU_DEP_1)
	v_dual_sub_nc_u32 v15, 29, v15 :: v_dual_bitop2_b32 v21, 7, v21 bitop3:0x40
	v_and_b32_e32 v19, 15, v19
	v_cmp_eq_u32_e64 s0, 0, v19
	s_delay_alu instid0(VALU_DEP_1) | instskip(NEXT) | instid1(VALU_DEP_1)
	v_dual_cndmask_b32 v9, v9, v21, s0 :: v_dual_lshlrev_b32 v11, 24, v11
	v_dual_cndmask_b32 v15, v19, v15, s0 :: v_dual_lshlrev_b32 v9, 20, v9
	s_delay_alu instid0(VALU_DEP_2) | instskip(NEXT) | instid1(VALU_DEP_2)
	v_and_b32_e32 v11, 0x80000000, v11
	v_lshl_add_u32 v15, v15, 23, 0x3b800000
	s_delay_alu instid0(VALU_DEP_1)
	v_or3_b32 v9, v11, v15, v9
.LBB297_944:
	s_or_b32 exec_lo, exec_lo, s14
	s_delay_alu instid0(VALU_DEP_1)
	v_cmp_neq_f32_e64 s13, v13, v9
                                        ; implicit-def: $vgpr11
                                        ; implicit-def: $vgpr9
.LBB297_945:
	s_and_not1_saveexec_b32 s12, s12
	s_cbranch_execz .LBB297_959
; %bb.946:
	s_wait_loadcnt_dscnt 0x0
	v_and_b32_e32 v15, 0xff, v9
	s_mov_b32 s14, 0
	s_mov_b32 s15, exec_lo
	s_delay_alu instid0(VALU_DEP_1)
	v_cmpx_lt_i16_e32 0x7f, v15
	s_xor_b32 s15, exec_lo, s15
	s_cbranch_execz .LBB297_2304
; %bb.947:
	s_mov_b32 s14, -1
	s_mov_b32 s16, exec_lo
	v_cmpx_eq_u16_e32 0x80, v15
; %bb.948:
	s_xor_b32 s14, exec_lo, -1
; %bb.949:
	s_or_b32 exec_lo, exec_lo, s16
	s_delay_alu instid0(SALU_CYCLE_1)
	s_and_b32 s14, s14, exec_lo
                                        ; implicit-def: $vgpr15
	s_or_saveexec_b32 s15, s15
	v_mov_b32_e32 v13, 0x7f800001
	s_xor_b32 exec_lo, exec_lo, s15
	s_cbranch_execnz .LBB297_2305
.LBB297_950:
	s_or_b32 exec_lo, exec_lo, s15
	s_and_saveexec_b32 s15, s14
	s_cbranch_execz .LBB297_952
.LBB297_951:
	v_and_b32_e32 v13, 7, v9
	v_lshrrev_b16 v19, 3, v9
	s_delay_alu instid0(VALU_DEP_2) | instskip(NEXT) | instid1(VALU_DEP_2)
	v_clz_i32_u32_e32 v15, v13
	v_and_b32_e32 v19, 15, v19
	s_delay_alu instid0(VALU_DEP_2) | instskip(NEXT) | instid1(VALU_DEP_1)
	v_min_u32_e32 v15, 32, v15
	v_subrev_nc_u32_e32 v21, 28, v15
	s_delay_alu instid0(VALU_DEP_1) | instskip(SKIP_2) | instid1(VALU_DEP_3)
	v_dual_lshlrev_b32 v21, v21, v9 :: v_dual_sub_nc_u32 v15, 29, v15
	v_lshlrev_b32_e32 v9, 24, v9
	v_cmp_eq_u32_e64 s0, 0, v19
	v_and_b32_e32 v21, 7, v21
	s_delay_alu instid0(VALU_DEP_3) | instskip(NEXT) | instid1(VALU_DEP_2)
	v_and_b32_e32 v9, 0x80000000, v9
	v_dual_cndmask_b32 v15, v19, v15, s0 :: v_dual_cndmask_b32 v13, v13, v21, s0
	s_delay_alu instid0(VALU_DEP_1) | instskip(NEXT) | instid1(VALU_DEP_2)
	v_lshl_add_u32 v15, v15, 23, 0x3b800000
	v_lshlrev_b32_e32 v13, 20, v13
	s_delay_alu instid0(VALU_DEP_1)
	v_or3_b32 v13, v9, v15, v13
.LBB297_952:
	s_or_b32 exec_lo, exec_lo, s15
	v_and_b32_e32 v15, 0xff, v11
	s_mov_b32 s14, 0
	s_mov_b32 s15, exec_lo
	s_delay_alu instid0(VALU_DEP_1)
	v_cmpx_lt_i16_e32 0x7f, v15
	s_xor_b32 s15, exec_lo, s15
	s_cbranch_execz .LBB297_2306
; %bb.953:
	s_mov_b32 s14, -1
	s_mov_b32 s16, exec_lo
	v_cmpx_eq_u16_e32 0x80, v15
; %bb.954:
	s_xor_b32 s14, exec_lo, -1
; %bb.955:
	s_or_b32 exec_lo, exec_lo, s16
	s_delay_alu instid0(SALU_CYCLE_1)
	s_and_b32 s14, s14, exec_lo
                                        ; implicit-def: $vgpr15
	s_or_saveexec_b32 s15, s15
	v_mov_b32_e32 v9, 0x7f800001
	s_xor_b32 exec_lo, exec_lo, s15
	s_cbranch_execnz .LBB297_2307
.LBB297_956:
	s_or_b32 exec_lo, exec_lo, s15
	s_and_saveexec_b32 s15, s14
	s_cbranch_execz .LBB297_958
.LBB297_957:
	v_and_b32_e32 v9, 7, v11
	v_lshrrev_b16 v19, 3, v11
	s_delay_alu instid0(VALU_DEP_2) | instskip(NEXT) | instid1(VALU_DEP_1)
	v_clz_i32_u32_e32 v15, v9
	v_min_u32_e32 v15, 32, v15
	s_delay_alu instid0(VALU_DEP_1) | instskip(NEXT) | instid1(VALU_DEP_1)
	v_subrev_nc_u32_e32 v21, 28, v15
	v_lshlrev_b32_e32 v21, v21, v11
	s_delay_alu instid0(VALU_DEP_1) | instskip(SKIP_1) | instid1(VALU_DEP_1)
	v_dual_sub_nc_u32 v15, 29, v15 :: v_dual_bitop2_b32 v21, 7, v21 bitop3:0x40
	v_and_b32_e32 v19, 15, v19
	v_cmp_eq_u32_e64 s0, 0, v19
	s_delay_alu instid0(VALU_DEP_1) | instskip(NEXT) | instid1(VALU_DEP_1)
	v_dual_cndmask_b32 v9, v9, v21, s0 :: v_dual_lshlrev_b32 v11, 24, v11
	v_dual_cndmask_b32 v15, v19, v15, s0 :: v_dual_lshlrev_b32 v9, 20, v9
	s_delay_alu instid0(VALU_DEP_2) | instskip(NEXT) | instid1(VALU_DEP_2)
	v_and_b32_e32 v11, 0x80000000, v11
	v_lshl_add_u32 v15, v15, 23, 0x3b800000
	s_delay_alu instid0(VALU_DEP_1)
	v_or3_b32 v9, v11, v15, v9
.LBB297_958:
	s_or_b32 exec_lo, exec_lo, s15
	s_delay_alu instid0(VALU_DEP_1) | instskip(SKIP_2) | instid1(SALU_CYCLE_1)
	v_cmp_eq_f32_e64 s0, v13, v9
	s_and_not1_b32 s13, s13, exec_lo
	s_and_b32 s0, s0, exec_lo
	s_or_b32 s13, s13, s0
.LBB297_959:
	s_or_b32 exec_lo, exec_lo, s12
	v_mov_b32_e32 v21, 0
	s_mov_b32 s15, 0
	s_mov_b32 s12, s10
	s_mov_b32 s14, exec_lo
                                        ; implicit-def: $vgpr9
	s_delay_alu instid0(VALU_DEP_1)
	v_add_nc_u64_e32 v[20:21], v[2:3], v[20:21]
	v_cmpx_lt_i16_e32 10, v7
	s_xor_b32 s14, exec_lo, s14
	s_cbranch_execz .LBB297_1028
; %bb.960:
	s_mov_b32 s12, 0
	s_mov_b32 s17, 0
	s_mov_b32 s16, exec_lo
                                        ; implicit-def: $vgpr9
	v_cmpx_lt_i16_e32 25, v7
	s_xor_b32 s16, exec_lo, s16
	s_cbranch_execz .LBB297_2308
; %bb.961:
	s_mov_b32 s18, 0
	s_mov_b32 s15, exec_lo
                                        ; implicit-def: $vgpr9
	v_cmpx_lt_i16_e32 28, v7
	s_xor_b32 s15, exec_lo, s15
	s_cbranch_execz .LBB297_995
; %bb.962:
	s_mov_b32 s19, 0
	s_mov_b32 s20, 0
	s_mov_b32 s17, exec_lo
                                        ; implicit-def: $vgpr9
	v_cmpx_lt_i16_e32 43, v7
	s_xor_b32 s17, exec_lo, s17
	s_cbranch_execz .LBB297_984
; %bb.963:
	s_mov_b32 s20, exec_lo
                                        ; implicit-def: $vgpr9
	v_cmpx_lt_i16_e32 45, v7
	s_xor_b32 s20, exec_lo, s20
	s_cbranch_execz .LBB297_973
; %bb.964:
	s_mov_b32 s21, -1
	s_mov_b32 s18, exec_lo
                                        ; implicit-def: $vgpr9
	v_cmpx_eq_u16_e32 46, v7
	s_cbranch_execz .LBB297_972
; %bb.965:
	s_wait_loadcnt_dscnt 0x0
	flat_load_b32 v9, v[20:21]
	s_mov_b32 s19, exec_lo
	s_wait_loadcnt_dscnt 0x0
	v_lshlrev_b32_e32 v11, 16, v9
	v_mov_b32_e32 v9, 0x80
	s_delay_alu instid0(VALU_DEP_2) | instskip(SKIP_1) | instid1(VALU_DEP_1)
	v_and_b32_e32 v13, 0x7fffffff, v11
	s_wait_xcnt 0x0
	v_cmpx_gt_u32_e32 0x43800000, v13
	s_cbranch_execz .LBB297_971
; %bb.966:
	v_cmp_lt_u32_e64 s0, 0x3bffffff, v13
	s_mov_b32 s21, 0
                                        ; implicit-def: $vgpr13
	s_and_saveexec_b32 s22, s0
	s_delay_alu instid0(SALU_CYCLE_1)
	s_xor_b32 s0, exec_lo, s22
	s_cbranch_execz .LBB297_2834
; %bb.967:
	v_bfe_u32 v9, v11, 20, 1
	s_mov_b32 s21, exec_lo
	s_delay_alu instid0(VALU_DEP_1) | instskip(NEXT) | instid1(VALU_DEP_1)
	v_add3_u32 v9, v11, v9, 0x487ffff
	v_lshrrev_b32_e32 v13, 20, v9
	s_and_not1_saveexec_b32 s22, s0
	s_cbranch_execnz .LBB297_2835
.LBB297_968:
	s_or_b32 exec_lo, exec_lo, s22
	v_mov_b32_e32 v9, 0
	s_and_saveexec_b32 s0, s21
.LBB297_969:
	v_lshrrev_b32_e32 v9, 24, v11
	s_delay_alu instid0(VALU_DEP_1)
	v_and_or_b32 v9, 0x80, v9, v13
.LBB297_970:
	s_or_b32 exec_lo, exec_lo, s0
.LBB297_971:
	s_delay_alu instid0(SALU_CYCLE_1) | instskip(NEXT) | instid1(SALU_CYCLE_1)
	s_or_b32 exec_lo, exec_lo, s19
	s_mov_b32 s19, exec_lo
	s_xor_b32 s21, exec_lo, -1
.LBB297_972:
	s_or_b32 exec_lo, exec_lo, s18
	s_delay_alu instid0(SALU_CYCLE_1)
	s_and_b32 s19, s19, exec_lo
	s_and_b32 s18, s21, exec_lo
.LBB297_973:
	s_and_not1_saveexec_b32 s20, s20
	s_cbranch_execz .LBB297_983
; %bb.974:
	s_mov_b32 s22, -1
	s_mov_b32 s23, s19
	s_mov_b32 s21, exec_lo
                                        ; implicit-def: $vgpr9
	v_cmpx_eq_u16_e32 44, v7
	s_cbranch_execz .LBB297_982
; %bb.975:
	s_wait_loadcnt_dscnt 0x0
	flat_load_u8 v9, v[20:21]
	s_mov_b32 s23, 0
	s_mov_b32 s22, exec_lo
	s_wait_loadcnt_dscnt 0x0
	v_lshlrev_b32_e32 v11, 23, v9
	v_cmp_ne_u32_e64 s0, 0xff, v9
	s_delay_alu instid0(VALU_DEP_1) | instskip(SKIP_2) | instid1(VALU_DEP_2)
	v_cndmask_b32_e64 v11, 0x7f800001, v11, s0
	v_cmp_ne_u32_e64 s0, 0, v9
	v_mov_b32_e32 v9, 0x80
	v_cndmask_b32_e64 v13, 0x400000, v11, s0
	s_wait_xcnt 0x0
	s_delay_alu instid0(VALU_DEP_1)
	v_cmpx_gt_u32_e32 0x43800000, v13
	s_cbranch_execz .LBB297_981
; %bb.976:
	v_cmp_lt_u32_e64 s0, 0x3bffffff, v13
                                        ; implicit-def: $vgpr11
	s_and_saveexec_b32 s24, s0
	s_delay_alu instid0(SALU_CYCLE_1)
	s_xor_b32 s0, exec_lo, s24
	s_cbranch_execz .LBB297_2836
; %bb.977:
	v_bfe_u32 v9, v13, 20, 1
	s_mov_b32 s23, exec_lo
	s_delay_alu instid0(VALU_DEP_1) | instskip(NEXT) | instid1(VALU_DEP_1)
	v_add3_u32 v9, v13, v9, 0x487ffff
                                        ; implicit-def: $vgpr13
	v_lshrrev_b32_e32 v11, 20, v9
	s_and_not1_saveexec_b32 s24, s0
	s_cbranch_execnz .LBB297_2837
.LBB297_978:
	s_or_b32 exec_lo, exec_lo, s24
	v_mov_b32_e32 v9, 0
	s_and_saveexec_b32 s0, s23
.LBB297_979:
	v_mov_b32_e32 v9, v11
.LBB297_980:
	s_or_b32 exec_lo, exec_lo, s0
.LBB297_981:
	s_delay_alu instid0(SALU_CYCLE_1) | instskip(NEXT) | instid1(SALU_CYCLE_1)
	s_or_b32 exec_lo, exec_lo, s22
	s_or_b32 s23, s19, exec_lo
	s_xor_b32 s22, exec_lo, -1
.LBB297_982:
	s_or_b32 exec_lo, exec_lo, s21
	s_delay_alu instid0(SALU_CYCLE_1)
	s_and_not1_b32 s0, s19, exec_lo
	s_and_b32 s19, s23, exec_lo
	s_and_not1_b32 s18, s18, exec_lo
	s_and_b32 s21, s22, exec_lo
	s_or_b32 s19, s0, s19
	s_or_b32 s18, s18, s21
.LBB297_983:
	s_or_b32 exec_lo, exec_lo, s20
	s_delay_alu instid0(SALU_CYCLE_1)
	s_and_b32 s20, s19, exec_lo
	s_and_b32 s19, s18, exec_lo
.LBB297_984:
	s_and_not1_saveexec_b32 s17, s17
	s_cbranch_execz .LBB297_994
; %bb.985:
	s_mov_b32 s21, -1
	s_mov_b32 s22, s20
	s_mov_b32 s18, exec_lo
                                        ; implicit-def: $vgpr9
	v_cmpx_eq_u16_e32 29, v7
	s_cbranch_execz .LBB297_993
; %bb.986:
	flat_load_b64 v[22:23], v[20:21]
	s_mov_b32 s21, exec_lo
	s_wait_loadcnt_dscnt 0x0
	v_clz_i32_u32_e32 v9, v23
	s_delay_alu instid0(VALU_DEP_1) | instskip(NEXT) | instid1(VALU_DEP_1)
	v_min_u32_e32 v9, 32, v9
	v_lshlrev_b64_e32 v[22:23], v9, v[22:23]
	v_sub_nc_u32_e32 v9, 32, v9
	s_delay_alu instid0(VALU_DEP_2) | instskip(NEXT) | instid1(VALU_DEP_1)
	v_min_u32_e32 v11, 1, v22
	v_or_b32_e32 v11, v23, v11
	s_delay_alu instid0(VALU_DEP_1) | instskip(NEXT) | instid1(VALU_DEP_1)
	v_cvt_f32_u32_e32 v11, v11
	v_ldexp_f32 v13, v11, v9
	v_mov_b32_e32 v9, 0x80
	s_wait_xcnt 0x0
	s_delay_alu instid0(VALU_DEP_2)
	v_cmpx_gt_u32_e32 0x43800000, v13
	s_cbranch_execz .LBB297_992
; %bb.987:
	v_cmp_lt_u32_e64 s0, 0x3bffffff, v13
	s_mov_b32 s22, 0
                                        ; implicit-def: $vgpr11
	s_and_saveexec_b32 s23, s0
	s_delay_alu instid0(SALU_CYCLE_1)
	s_xor_b32 s0, exec_lo, s23
	s_cbranch_execz .LBB297_2751
; %bb.988:
	v_bfe_u32 v9, v13, 20, 1
	s_mov_b32 s22, exec_lo
	s_delay_alu instid0(VALU_DEP_1) | instskip(NEXT) | instid1(VALU_DEP_1)
	v_add3_u32 v9, v13, v9, 0x487ffff
                                        ; implicit-def: $vgpr13
	v_lshrrev_b32_e32 v11, 20, v9
	s_and_not1_saveexec_b32 s23, s0
	s_cbranch_execnz .LBB297_2752
.LBB297_989:
	s_or_b32 exec_lo, exec_lo, s23
	v_mov_b32_e32 v9, 0
	s_and_saveexec_b32 s0, s22
.LBB297_990:
	v_mov_b32_e32 v9, v11
.LBB297_991:
	s_or_b32 exec_lo, exec_lo, s0
.LBB297_992:
	s_delay_alu instid0(SALU_CYCLE_1) | instskip(NEXT) | instid1(SALU_CYCLE_1)
	s_or_b32 exec_lo, exec_lo, s21
	s_or_b32 s22, s20, exec_lo
	s_xor_b32 s21, exec_lo, -1
.LBB297_993:
	s_or_b32 exec_lo, exec_lo, s18
	s_delay_alu instid0(SALU_CYCLE_1)
	s_and_not1_b32 s0, s20, exec_lo
	s_and_b32 s18, s22, exec_lo
	s_and_not1_b32 s19, s19, exec_lo
	s_and_b32 s21, s21, exec_lo
	s_or_b32 s20, s0, s18
	s_or_b32 s19, s19, s21
.LBB297_994:
	s_or_b32 exec_lo, exec_lo, s17
	s_delay_alu instid0(SALU_CYCLE_1)
	s_and_b32 s18, s20, exec_lo
	s_and_b32 s17, s19, exec_lo
.LBB297_995:
	s_and_not1_saveexec_b32 s15, s15
	s_cbranch_execz .LBB297_1017
; %bb.996:
	s_mov_b32 s19, exec_lo
                                        ; implicit-def: $vgpr9
	v_cmpx_lt_i16_e32 26, v7
	s_xor_b32 s19, exec_lo, s19
	s_cbranch_execz .LBB297_1014
; %bb.997:
	s_mov_b32 s20, exec_lo
                                        ; implicit-def: $vgpr9
	v_cmpx_lt_i16_e32 27, v7
	s_xor_b32 s20, exec_lo, s20
	s_cbranch_execz .LBB297_1005
; %bb.998:
	s_wait_loadcnt_dscnt 0x0
	flat_load_b32 v9, v[20:21]
	s_mov_b32 s21, exec_lo
	s_wait_loadcnt_dscnt 0x0
	v_cvt_f32_u32_e32 v13, v9
	v_mov_b32_e32 v9, 0x80
	s_wait_xcnt 0x0
	s_delay_alu instid0(VALU_DEP_2)
	v_cmpx_gt_u32_e32 0x43800000, v13
	s_cbranch_execz .LBB297_1004
; %bb.999:
	v_cmp_lt_u32_e64 s0, 0x3bffffff, v13
	s_mov_b32 s22, 0
                                        ; implicit-def: $vgpr11
	s_and_saveexec_b32 s23, s0
	s_delay_alu instid0(SALU_CYCLE_1)
	s_xor_b32 s0, exec_lo, s23
	s_cbranch_execz .LBB297_2753
; %bb.1000:
	v_bfe_u32 v9, v13, 20, 1
	s_mov_b32 s22, exec_lo
	s_delay_alu instid0(VALU_DEP_1) | instskip(NEXT) | instid1(VALU_DEP_1)
	v_add3_u32 v9, v13, v9, 0x487ffff
                                        ; implicit-def: $vgpr13
	v_lshrrev_b32_e32 v11, 20, v9
	s_and_not1_saveexec_b32 s23, s0
	s_cbranch_execnz .LBB297_2754
.LBB297_1001:
	s_or_b32 exec_lo, exec_lo, s23
	v_mov_b32_e32 v9, 0
	s_and_saveexec_b32 s0, s22
.LBB297_1002:
	v_mov_b32_e32 v9, v11
.LBB297_1003:
	s_or_b32 exec_lo, exec_lo, s0
.LBB297_1004:
	s_delay_alu instid0(SALU_CYCLE_1)
	s_or_b32 exec_lo, exec_lo, s21
.LBB297_1005:
	s_and_not1_saveexec_b32 s20, s20
	s_cbranch_execz .LBB297_1013
; %bb.1006:
	s_wait_loadcnt_dscnt 0x0
	flat_load_u16 v9, v[20:21]
	s_mov_b32 s21, exec_lo
	s_wait_loadcnt_dscnt 0x0
	v_cvt_f32_u32_e32 v13, v9
	v_mov_b32_e32 v9, 0x80
	s_wait_xcnt 0x0
	s_delay_alu instid0(VALU_DEP_2)
	v_cmpx_gt_u32_e32 0x43800000, v13
	s_cbranch_execz .LBB297_1012
; %bb.1007:
	v_cmp_lt_u32_e64 s0, 0x3bffffff, v13
	s_mov_b32 s22, 0
                                        ; implicit-def: $vgpr11
	s_and_saveexec_b32 s23, s0
	s_delay_alu instid0(SALU_CYCLE_1)
	s_xor_b32 s0, exec_lo, s23
	s_cbranch_execz .LBB297_2755
; %bb.1008:
	v_bfe_u32 v9, v13, 20, 1
	s_mov_b32 s22, exec_lo
	s_delay_alu instid0(VALU_DEP_1) | instskip(NEXT) | instid1(VALU_DEP_1)
	v_add3_u32 v9, v13, v9, 0x487ffff
                                        ; implicit-def: $vgpr13
	v_lshrrev_b32_e32 v11, 20, v9
	s_and_not1_saveexec_b32 s23, s0
	s_cbranch_execnz .LBB297_2756
.LBB297_1009:
	s_or_b32 exec_lo, exec_lo, s23
	v_mov_b32_e32 v9, 0
	s_and_saveexec_b32 s0, s22
.LBB297_1010:
	v_mov_b32_e32 v9, v11
.LBB297_1011:
	s_or_b32 exec_lo, exec_lo, s0
.LBB297_1012:
	s_delay_alu instid0(SALU_CYCLE_1)
	s_or_b32 exec_lo, exec_lo, s21
.LBB297_1013:
	s_delay_alu instid0(SALU_CYCLE_1)
	s_or_b32 exec_lo, exec_lo, s20
.LBB297_1014:
	s_and_not1_saveexec_b32 s0, s19
	s_cbranch_execz .LBB297_1016
; %bb.1015:
	s_wait_loadcnt_dscnt 0x0
	flat_load_u8 v9, v[20:21]
.LBB297_1016:
	s_wait_xcnt 0x0
	s_or_b32 exec_lo, exec_lo, s0
	s_delay_alu instid0(SALU_CYCLE_1)
	s_or_b32 s18, s18, exec_lo
.LBB297_1017:
	s_or_b32 exec_lo, exec_lo, s15
	s_delay_alu instid0(SALU_CYCLE_1)
	s_and_b32 s15, s18, exec_lo
	s_and_b32 s17, s17, exec_lo
	s_and_not1_saveexec_b32 s16, s16
	s_cbranch_execnz .LBB297_2309
.LBB297_1018:
	s_or_b32 exec_lo, exec_lo, s16
	s_mov_b32 s16, s10
	s_and_saveexec_b32 s0, s17
	s_cbranch_execnz .LBB297_2358
.LBB297_1019:
	s_or_b32 exec_lo, exec_lo, s0
	s_and_saveexec_b32 s0, s12
	s_delay_alu instid0(SALU_CYCLE_1)
	s_xor_b32 s12, exec_lo, s0
	s_cbranch_execz .LBB297_1027
.LBB297_1020:
	s_wait_loadcnt_dscnt 0x0
	flat_load_u8 v9, v[20:21]
	s_mov_b32 s18, 0
	s_mov_b32 s17, exec_lo
	s_wait_loadcnt_dscnt 0x0
	v_cmp_ne_u16_e64 s0, 0, v9
	v_mov_b32_e32 v9, 0x80
	s_delay_alu instid0(VALU_DEP_2) | instskip(SKIP_1) | instid1(VALU_DEP_1)
	v_cndmask_b32_e64 v13, 0, 1.0, s0
	s_wait_xcnt 0x0
	v_cmpx_gt_u32_e32 0x43800000, v13
	s_cbranch_execz .LBB297_1026
; %bb.1021:
	v_cmp_lt_u32_e64 s0, 0x3bffffff, v13
                                        ; implicit-def: $vgpr11
	s_and_saveexec_b32 s19, s0
	s_delay_alu instid0(SALU_CYCLE_1)
	s_xor_b32 s0, exec_lo, s19
	s_cbranch_execz .LBB297_2486
; %bb.1022:
	v_bfe_u32 v9, v13, 20, 1
	s_mov_b32 s18, exec_lo
	s_delay_alu instid0(VALU_DEP_1) | instskip(NEXT) | instid1(VALU_DEP_1)
	v_add3_u32 v9, v13, v9, 0x487ffff
                                        ; implicit-def: $vgpr13
	v_lshrrev_b32_e32 v11, 20, v9
	s_and_not1_saveexec_b32 s19, s0
	s_cbranch_execnz .LBB297_2487
.LBB297_1023:
	s_or_b32 exec_lo, exec_lo, s19
	v_mov_b32_e32 v9, 0
	s_and_saveexec_b32 s0, s18
.LBB297_1024:
	v_mov_b32_e32 v9, v11
.LBB297_1025:
	s_or_b32 exec_lo, exec_lo, s0
.LBB297_1026:
	s_delay_alu instid0(SALU_CYCLE_1) | instskip(NEXT) | instid1(SALU_CYCLE_1)
	s_or_b32 exec_lo, exec_lo, s17
	s_or_b32 s15, s15, exec_lo
.LBB297_1027:
	s_or_b32 exec_lo, exec_lo, s12
	s_delay_alu instid0(SALU_CYCLE_1)
	s_and_not1_b32 s0, s10, exec_lo
	s_and_b32 s12, s16, exec_lo
	s_and_b32 s15, s15, exec_lo
	s_or_b32 s12, s0, s12
                                        ; implicit-def: $vgpr20_vgpr21
.LBB297_1028:
	s_and_not1_saveexec_b32 s14, s14
	s_cbranch_execz .LBB297_1136
; %bb.1029:
	s_mov_b32 s16, exec_lo
                                        ; implicit-def: $vgpr9
	v_cmpx_lt_i16_e32 4, v7
	s_xor_b32 s16, exec_lo, s16
	s_cbranch_execz .LBB297_1087
; %bb.1030:
	s_mov_b32 s17, exec_lo
                                        ; implicit-def: $vgpr9
	v_cmpx_lt_i16_e32 7, v7
	s_xor_b32 s17, exec_lo, s17
	;; [unrolled: 6-line block ×4, first 2 shown]
	s_cbranch_execz .LBB297_1040
; %bb.1033:
	flat_load_b64 v[20:21], v[20:21]
	s_wait_loadcnt_dscnt 0x101
	v_mov_b32_e32 v9, 0x80
	s_mov_b32 s20, exec_lo
	s_wait_loadcnt_dscnt 0x0
	v_cvt_f32_f64_e32 v11, v[20:21]
	s_delay_alu instid0(VALU_DEP_1) | instskip(SKIP_1) | instid1(VALU_DEP_1)
	v_and_b32_e32 v13, 0x7fffffff, v11
	s_wait_xcnt 0x0
	v_cmpx_gt_u32_e32 0x43800000, v13
	s_cbranch_execz .LBB297_1039
; %bb.1034:
	v_cmp_lt_u32_e64 s0, 0x3bffffff, v13
	s_mov_b32 s21, 0
                                        ; implicit-def: $vgpr13
	s_and_saveexec_b32 s22, s0
	s_delay_alu instid0(SALU_CYCLE_1)
	s_xor_b32 s0, exec_lo, s22
	s_cbranch_execz .LBB297_2757
; %bb.1035:
	v_bfe_u32 v9, v11, 20, 1
	s_mov_b32 s21, exec_lo
	s_delay_alu instid0(VALU_DEP_1) | instskip(NEXT) | instid1(VALU_DEP_1)
	v_add3_u32 v9, v11, v9, 0x487ffff
	v_lshrrev_b32_e32 v13, 20, v9
	s_and_not1_saveexec_b32 s22, s0
	s_cbranch_execnz .LBB297_2758
.LBB297_1036:
	s_or_b32 exec_lo, exec_lo, s22
	v_mov_b32_e32 v9, 0
	s_and_saveexec_b32 s0, s21
.LBB297_1037:
	v_lshrrev_b32_e32 v9, 24, v11
	s_delay_alu instid0(VALU_DEP_1)
	v_and_or_b32 v9, 0x80, v9, v13
.LBB297_1038:
	s_or_b32 exec_lo, exec_lo, s0
.LBB297_1039:
	s_delay_alu instid0(SALU_CYCLE_1)
	s_or_b32 exec_lo, exec_lo, s20
                                        ; implicit-def: $vgpr20_vgpr21
.LBB297_1040:
	s_and_not1_saveexec_b32 s19, s19
	s_cbranch_execz .LBB297_1048
; %bb.1041:
	s_wait_loadcnt_dscnt 0x0
	flat_load_b32 v11, v[20:21]
	v_mov_b32_e32 v9, 0x80
	s_mov_b32 s20, exec_lo
	s_wait_loadcnt_dscnt 0x0
	v_and_b32_e32 v13, 0x7fffffff, v11
	s_wait_xcnt 0x0
	s_delay_alu instid0(VALU_DEP_1)
	v_cmpx_gt_u32_e32 0x43800000, v13
	s_cbranch_execz .LBB297_1047
; %bb.1042:
	v_cmp_lt_u32_e64 s0, 0x3bffffff, v13
	s_mov_b32 s21, 0
                                        ; implicit-def: $vgpr13
	s_and_saveexec_b32 s22, s0
	s_delay_alu instid0(SALU_CYCLE_1)
	s_xor_b32 s0, exec_lo, s22
	s_cbranch_execz .LBB297_2759
; %bb.1043:
	v_bfe_u32 v9, v11, 20, 1
	s_mov_b32 s21, exec_lo
	s_delay_alu instid0(VALU_DEP_1) | instskip(NEXT) | instid1(VALU_DEP_1)
	v_add3_u32 v9, v11, v9, 0x487ffff
	v_lshrrev_b32_e32 v13, 20, v9
	s_and_not1_saveexec_b32 s22, s0
	s_cbranch_execnz .LBB297_2760
.LBB297_1044:
	s_or_b32 exec_lo, exec_lo, s22
	v_mov_b32_e32 v9, 0
	s_and_saveexec_b32 s0, s21
.LBB297_1045:
	v_lshrrev_b32_e32 v9, 24, v11
	s_delay_alu instid0(VALU_DEP_1)
	v_and_or_b32 v9, 0x80, v9, v13
.LBB297_1046:
	s_or_b32 exec_lo, exec_lo, s0
.LBB297_1047:
	s_delay_alu instid0(SALU_CYCLE_1)
	s_or_b32 exec_lo, exec_lo, s20
.LBB297_1048:
	s_delay_alu instid0(SALU_CYCLE_1)
	s_or_b32 exec_lo, exec_lo, s19
                                        ; implicit-def: $vgpr20_vgpr21
.LBB297_1049:
	s_and_not1_saveexec_b32 s18, s18
	s_cbranch_execz .LBB297_1057
; %bb.1050:
	s_wait_loadcnt_dscnt 0x0
	flat_load_b32 v9, v[20:21]
	s_mov_b32 s19, exec_lo
	s_wait_loadcnt_dscnt 0x0
	v_cvt_f32_f16_e32 v11, v9
	v_mov_b32_e32 v9, 0x80
	s_delay_alu instid0(VALU_DEP_2) | instskip(SKIP_1) | instid1(VALU_DEP_1)
	v_and_b32_e32 v13, 0x7fffffff, v11
	s_wait_xcnt 0x0
	v_cmpx_gt_u32_e32 0x43800000, v13
	s_cbranch_execz .LBB297_1056
; %bb.1051:
	v_cmp_lt_u32_e64 s0, 0x3bffffff, v13
	s_mov_b32 s20, 0
                                        ; implicit-def: $vgpr13
	s_and_saveexec_b32 s21, s0
	s_delay_alu instid0(SALU_CYCLE_1)
	s_xor_b32 s0, exec_lo, s21
	s_cbranch_execz .LBB297_2674
; %bb.1052:
	v_bfe_u32 v9, v11, 20, 1
	s_mov_b32 s20, exec_lo
	s_delay_alu instid0(VALU_DEP_1) | instskip(NEXT) | instid1(VALU_DEP_1)
	v_add3_u32 v9, v11, v9, 0x487ffff
	v_lshrrev_b32_e32 v13, 20, v9
	s_and_not1_saveexec_b32 s21, s0
	s_cbranch_execnz .LBB297_2675
.LBB297_1053:
	s_or_b32 exec_lo, exec_lo, s21
	v_mov_b32_e32 v9, 0
	s_and_saveexec_b32 s0, s20
.LBB297_1054:
	v_lshrrev_b32_e32 v9, 24, v11
	s_delay_alu instid0(VALU_DEP_1)
	v_and_or_b32 v9, 0x80, v9, v13
.LBB297_1055:
	s_or_b32 exec_lo, exec_lo, s0
.LBB297_1056:
	s_delay_alu instid0(SALU_CYCLE_1)
	s_or_b32 exec_lo, exec_lo, s19
.LBB297_1057:
	s_delay_alu instid0(SALU_CYCLE_1)
	s_or_b32 exec_lo, exec_lo, s18
                                        ; implicit-def: $vgpr20_vgpr21
.LBB297_1058:
	s_and_not1_saveexec_b32 s17, s17
	s_cbranch_execz .LBB297_1086
; %bb.1059:
	s_mov_b32 s18, exec_lo
                                        ; implicit-def: $vgpr9
	v_cmpx_lt_i16_e32 5, v7
	s_xor_b32 s18, exec_lo, s18
	s_cbranch_execz .LBB297_1077
; %bb.1060:
	s_mov_b32 s19, exec_lo
                                        ; implicit-def: $vgpr9
	v_cmpx_lt_i16_e32 6, v7
	s_xor_b32 s19, exec_lo, s19
	s_cbranch_execz .LBB297_1068
; %bb.1061:
	flat_load_b64 v[20:21], v[20:21]
	s_wait_loadcnt_dscnt 0x101
	v_mov_b32_e32 v9, 0x80
	s_mov_b32 s20, exec_lo
	s_wait_loadcnt_dscnt 0x0
	v_cvt_f32_f64_e32 v11, v[20:21]
	s_delay_alu instid0(VALU_DEP_1) | instskip(SKIP_1) | instid1(VALU_DEP_1)
	v_and_b32_e32 v13, 0x7fffffff, v11
	s_wait_xcnt 0x0
	v_cmpx_gt_u32_e32 0x43800000, v13
	s_cbranch_execz .LBB297_1067
; %bb.1062:
	v_cmp_lt_u32_e64 s0, 0x3bffffff, v13
	s_mov_b32 s21, 0
                                        ; implicit-def: $vgpr13
	s_and_saveexec_b32 s22, s0
	s_delay_alu instid0(SALU_CYCLE_1)
	s_xor_b32 s0, exec_lo, s22
	s_cbranch_execz .LBB297_2761
; %bb.1063:
	v_bfe_u32 v9, v11, 20, 1
	s_mov_b32 s21, exec_lo
	s_delay_alu instid0(VALU_DEP_1) | instskip(NEXT) | instid1(VALU_DEP_1)
	v_add3_u32 v9, v11, v9, 0x487ffff
	v_lshrrev_b32_e32 v13, 20, v9
	s_and_not1_saveexec_b32 s22, s0
	s_cbranch_execnz .LBB297_2762
.LBB297_1064:
	s_or_b32 exec_lo, exec_lo, s22
	v_mov_b32_e32 v9, 0
	s_and_saveexec_b32 s0, s21
.LBB297_1065:
	v_lshrrev_b32_e32 v9, 24, v11
	s_delay_alu instid0(VALU_DEP_1)
	v_and_or_b32 v9, 0x80, v9, v13
.LBB297_1066:
	s_or_b32 exec_lo, exec_lo, s0
.LBB297_1067:
	s_delay_alu instid0(SALU_CYCLE_1)
	s_or_b32 exec_lo, exec_lo, s20
                                        ; implicit-def: $vgpr20_vgpr21
.LBB297_1068:
	s_and_not1_saveexec_b32 s19, s19
	s_cbranch_execz .LBB297_1076
; %bb.1069:
	s_wait_loadcnt_dscnt 0x0
	flat_load_b32 v11, v[20:21]
	v_mov_b32_e32 v9, 0x80
	s_mov_b32 s20, exec_lo
	s_wait_loadcnt_dscnt 0x0
	v_and_b32_e32 v13, 0x7fffffff, v11
	s_wait_xcnt 0x0
	s_delay_alu instid0(VALU_DEP_1)
	v_cmpx_gt_u32_e32 0x43800000, v13
	s_cbranch_execz .LBB297_1075
; %bb.1070:
	v_cmp_lt_u32_e64 s0, 0x3bffffff, v13
	s_mov_b32 s21, 0
                                        ; implicit-def: $vgpr13
	s_and_saveexec_b32 s22, s0
	s_delay_alu instid0(SALU_CYCLE_1)
	s_xor_b32 s0, exec_lo, s22
	s_cbranch_execz .LBB297_2763
; %bb.1071:
	v_bfe_u32 v9, v11, 20, 1
	s_mov_b32 s21, exec_lo
	s_delay_alu instid0(VALU_DEP_1) | instskip(NEXT) | instid1(VALU_DEP_1)
	v_add3_u32 v9, v11, v9, 0x487ffff
	v_lshrrev_b32_e32 v13, 20, v9
	s_and_not1_saveexec_b32 s22, s0
	s_cbranch_execnz .LBB297_2764
.LBB297_1072:
	s_or_b32 exec_lo, exec_lo, s22
	v_mov_b32_e32 v9, 0
	s_and_saveexec_b32 s0, s21
.LBB297_1073:
	v_lshrrev_b32_e32 v9, 24, v11
	s_delay_alu instid0(VALU_DEP_1)
	v_and_or_b32 v9, 0x80, v9, v13
.LBB297_1074:
	s_or_b32 exec_lo, exec_lo, s0
.LBB297_1075:
	s_delay_alu instid0(SALU_CYCLE_1)
	s_or_b32 exec_lo, exec_lo, s20
.LBB297_1076:
	s_delay_alu instid0(SALU_CYCLE_1)
	s_or_b32 exec_lo, exec_lo, s19
                                        ; implicit-def: $vgpr20_vgpr21
.LBB297_1077:
	s_and_not1_saveexec_b32 s18, s18
	s_cbranch_execz .LBB297_1085
; %bb.1078:
	s_wait_loadcnt_dscnt 0x0
	flat_load_u16 v9, v[20:21]
	s_mov_b32 s19, exec_lo
	s_wait_loadcnt_dscnt 0x0
	v_cvt_f32_f16_e32 v11, v9
	v_mov_b32_e32 v9, 0x80
	s_delay_alu instid0(VALU_DEP_2) | instskip(SKIP_1) | instid1(VALU_DEP_1)
	v_and_b32_e32 v13, 0x7fffffff, v11
	s_wait_xcnt 0x0
	v_cmpx_gt_u32_e32 0x43800000, v13
	s_cbranch_execz .LBB297_1084
; %bb.1079:
	v_cmp_lt_u32_e64 s0, 0x3bffffff, v13
	s_mov_b32 s20, 0
                                        ; implicit-def: $vgpr13
	s_and_saveexec_b32 s21, s0
	s_delay_alu instid0(SALU_CYCLE_1)
	s_xor_b32 s0, exec_lo, s21
	s_cbranch_execz .LBB297_2676
; %bb.1080:
	v_bfe_u32 v9, v11, 20, 1
	s_mov_b32 s20, exec_lo
	s_delay_alu instid0(VALU_DEP_1) | instskip(NEXT) | instid1(VALU_DEP_1)
	v_add3_u32 v9, v11, v9, 0x487ffff
	v_lshrrev_b32_e32 v13, 20, v9
	s_and_not1_saveexec_b32 s21, s0
	s_cbranch_execnz .LBB297_2677
.LBB297_1081:
	s_or_b32 exec_lo, exec_lo, s21
	v_mov_b32_e32 v9, 0
	s_and_saveexec_b32 s0, s20
.LBB297_1082:
	v_lshrrev_b32_e32 v9, 24, v11
	s_delay_alu instid0(VALU_DEP_1)
	v_and_or_b32 v9, 0x80, v9, v13
.LBB297_1083:
	s_or_b32 exec_lo, exec_lo, s0
.LBB297_1084:
	s_delay_alu instid0(SALU_CYCLE_1)
	s_or_b32 exec_lo, exec_lo, s19
.LBB297_1085:
	s_delay_alu instid0(SALU_CYCLE_1)
	s_or_b32 exec_lo, exec_lo, s18
.LBB297_1086:
	s_delay_alu instid0(SALU_CYCLE_1)
	s_or_b32 exec_lo, exec_lo, s17
                                        ; implicit-def: $vgpr20_vgpr21
.LBB297_1087:
	s_and_not1_saveexec_b32 s16, s16
	s_cbranch_execz .LBB297_1135
; %bb.1088:
	s_mov_b32 s17, exec_lo
                                        ; implicit-def: $vgpr9
	v_cmpx_lt_i16_e32 1, v7
	s_xor_b32 s17, exec_lo, s17
	s_cbranch_execz .LBB297_1116
; %bb.1089:
	s_mov_b32 s18, exec_lo
                                        ; implicit-def: $vgpr9
	v_cmpx_lt_i16_e32 2, v7
	s_xor_b32 s18, exec_lo, s18
	;; [unrolled: 6-line block ×3, first 2 shown]
	s_cbranch_execz .LBB297_1098
; %bb.1091:
	flat_load_b64 v[20:21], v[20:21]
	s_mov_b32 s20, exec_lo
	s_wait_loadcnt_dscnt 0x0
	v_xor_b32_e32 v9, v20, v21
	v_cls_i32_e32 v11, v21
	s_delay_alu instid0(VALU_DEP_2) | instskip(NEXT) | instid1(VALU_DEP_1)
	v_ashrrev_i32_e32 v9, 31, v9
	v_add_nc_u32_e32 v9, 32, v9
	s_delay_alu instid0(VALU_DEP_1) | instskip(SKIP_1) | instid1(VALU_DEP_1)
	v_add_min_u32_e64 v9, v11, -1, v9
	s_wait_xcnt 0x0
	v_lshlrev_b64_e32 v[20:21], v9, v[20:21]
	v_sub_nc_u32_e32 v9, 32, v9
	s_delay_alu instid0(VALU_DEP_2) | instskip(NEXT) | instid1(VALU_DEP_1)
	v_min_u32_e32 v11, 1, v20
	v_or_b32_e32 v11, v21, v11
	s_delay_alu instid0(VALU_DEP_1) | instskip(NEXT) | instid1(VALU_DEP_1)
	v_cvt_f32_i32_e32 v11, v11
	v_ldexp_f32 v11, v11, v9
	v_mov_b32_e32 v9, 0x80
	s_delay_alu instid0(VALU_DEP_2) | instskip(NEXT) | instid1(VALU_DEP_1)
	v_and_b32_e32 v13, 0x7fffffff, v11
	v_cmpx_gt_u32_e32 0x43800000, v13
	s_cbranch_execz .LBB297_1097
; %bb.1092:
	v_cmp_lt_u32_e64 s0, 0x3bffffff, v13
	s_mov_b32 s21, 0
                                        ; implicit-def: $vgpr13
	s_and_saveexec_b32 s22, s0
	s_delay_alu instid0(SALU_CYCLE_1)
	s_xor_b32 s0, exec_lo, s22
	s_cbranch_execz .LBB297_2765
; %bb.1093:
	v_bfe_u32 v9, v11, 20, 1
	s_mov_b32 s21, exec_lo
	s_delay_alu instid0(VALU_DEP_1) | instskip(NEXT) | instid1(VALU_DEP_1)
	v_add3_u32 v9, v11, v9, 0x487ffff
	v_lshrrev_b32_e32 v13, 20, v9
	s_and_not1_saveexec_b32 s22, s0
	s_cbranch_execnz .LBB297_2766
.LBB297_1094:
	s_or_b32 exec_lo, exec_lo, s22
	v_mov_b32_e32 v9, 0
	s_and_saveexec_b32 s0, s21
.LBB297_1095:
	v_lshrrev_b32_e32 v9, 24, v11
	s_delay_alu instid0(VALU_DEP_1)
	v_and_or_b32 v9, 0x80, v9, v13
.LBB297_1096:
	s_or_b32 exec_lo, exec_lo, s0
.LBB297_1097:
	s_delay_alu instid0(SALU_CYCLE_1)
	s_or_b32 exec_lo, exec_lo, s20
                                        ; implicit-def: $vgpr20_vgpr21
.LBB297_1098:
	s_and_not1_saveexec_b32 s19, s19
	s_cbranch_execz .LBB297_1106
; %bb.1099:
	s_wait_loadcnt_dscnt 0x0
	flat_load_b32 v9, v[20:21]
	s_mov_b32 s20, exec_lo
	s_wait_loadcnt_dscnt 0x0
	v_cvt_f32_i32_e32 v11, v9
	v_mov_b32_e32 v9, 0x80
	s_delay_alu instid0(VALU_DEP_2) | instskip(SKIP_1) | instid1(VALU_DEP_1)
	v_and_b32_e32 v13, 0x7fffffff, v11
	s_wait_xcnt 0x0
	v_cmpx_gt_u32_e32 0x43800000, v13
	s_cbranch_execz .LBB297_1105
; %bb.1100:
	v_cmp_lt_u32_e64 s0, 0x3bffffff, v13
	s_mov_b32 s21, 0
                                        ; implicit-def: $vgpr13
	s_and_saveexec_b32 s22, s0
	s_delay_alu instid0(SALU_CYCLE_1)
	s_xor_b32 s0, exec_lo, s22
	s_cbranch_execz .LBB297_2767
; %bb.1101:
	v_bfe_u32 v9, v11, 20, 1
	s_mov_b32 s21, exec_lo
	s_delay_alu instid0(VALU_DEP_1) | instskip(NEXT) | instid1(VALU_DEP_1)
	v_add3_u32 v9, v11, v9, 0x487ffff
	v_lshrrev_b32_e32 v13, 20, v9
	s_and_not1_saveexec_b32 s22, s0
	s_cbranch_execnz .LBB297_2768
.LBB297_1102:
	s_or_b32 exec_lo, exec_lo, s22
	v_mov_b32_e32 v9, 0
	s_and_saveexec_b32 s0, s21
.LBB297_1103:
	v_lshrrev_b32_e32 v9, 24, v11
	s_delay_alu instid0(VALU_DEP_1)
	v_and_or_b32 v9, 0x80, v9, v13
.LBB297_1104:
	s_or_b32 exec_lo, exec_lo, s0
.LBB297_1105:
	s_delay_alu instid0(SALU_CYCLE_1)
	s_or_b32 exec_lo, exec_lo, s20
.LBB297_1106:
	s_delay_alu instid0(SALU_CYCLE_1)
	s_or_b32 exec_lo, exec_lo, s19
                                        ; implicit-def: $vgpr20_vgpr21
.LBB297_1107:
	s_and_not1_saveexec_b32 s18, s18
	s_cbranch_execz .LBB297_1115
; %bb.1108:
	s_wait_loadcnt_dscnt 0x0
	flat_load_i16 v9, v[20:21]
	s_mov_b32 s19, exec_lo
	s_wait_loadcnt_dscnt 0x0
	v_cvt_f32_i32_e32 v11, v9
	v_mov_b32_e32 v9, 0x80
	s_delay_alu instid0(VALU_DEP_2) | instskip(SKIP_1) | instid1(VALU_DEP_1)
	v_and_b32_e32 v13, 0x7fffffff, v11
	s_wait_xcnt 0x0
	v_cmpx_gt_u32_e32 0x43800000, v13
	s_cbranch_execz .LBB297_1114
; %bb.1109:
	v_cmp_lt_u32_e64 s0, 0x3bffffff, v13
	s_mov_b32 s20, 0
                                        ; implicit-def: $vgpr13
	s_and_saveexec_b32 s21, s0
	s_delay_alu instid0(SALU_CYCLE_1)
	s_xor_b32 s0, exec_lo, s21
	s_cbranch_execz .LBB297_2678
; %bb.1110:
	v_bfe_u32 v9, v11, 20, 1
	s_mov_b32 s20, exec_lo
	s_delay_alu instid0(VALU_DEP_1) | instskip(NEXT) | instid1(VALU_DEP_1)
	v_add3_u32 v9, v11, v9, 0x487ffff
	v_lshrrev_b32_e32 v13, 20, v9
	s_and_not1_saveexec_b32 s21, s0
	s_cbranch_execnz .LBB297_2679
.LBB297_1111:
	s_or_b32 exec_lo, exec_lo, s21
	v_mov_b32_e32 v9, 0
	s_and_saveexec_b32 s0, s20
.LBB297_1112:
	v_lshrrev_b32_e32 v9, 24, v11
	s_delay_alu instid0(VALU_DEP_1)
	v_and_or_b32 v9, 0x80, v9, v13
.LBB297_1113:
	s_or_b32 exec_lo, exec_lo, s0
.LBB297_1114:
	s_delay_alu instid0(SALU_CYCLE_1)
	s_or_b32 exec_lo, exec_lo, s19
.LBB297_1115:
	s_delay_alu instid0(SALU_CYCLE_1)
	s_or_b32 exec_lo, exec_lo, s18
                                        ; implicit-def: $vgpr20_vgpr21
.LBB297_1116:
	s_and_not1_saveexec_b32 s17, s17
	s_cbranch_execz .LBB297_1134
; %bb.1117:
	s_mov_b32 s18, exec_lo
                                        ; implicit-def: $vgpr9
	v_cmpx_lt_i16_e32 0, v7
	s_xor_b32 s18, exec_lo, s18
	s_cbranch_execz .LBB297_1125
; %bb.1118:
	s_wait_loadcnt_dscnt 0x0
	flat_load_i8 v9, v[20:21]
	s_mov_b32 s19, exec_lo
	s_wait_loadcnt_dscnt 0x0
	v_cvt_f32_i32_e32 v11, v9
	v_mov_b32_e32 v9, 0x80
	s_delay_alu instid0(VALU_DEP_2) | instskip(SKIP_1) | instid1(VALU_DEP_1)
	v_and_b32_e32 v13, 0x7fffffff, v11
	s_wait_xcnt 0x0
	v_cmpx_gt_u32_e32 0x43800000, v13
	s_cbranch_execz .LBB297_1124
; %bb.1119:
	v_cmp_lt_u32_e64 s0, 0x3bffffff, v13
	s_mov_b32 s20, 0
                                        ; implicit-def: $vgpr13
	s_and_saveexec_b32 s21, s0
	s_delay_alu instid0(SALU_CYCLE_1)
	s_xor_b32 s0, exec_lo, s21
	s_cbranch_execz .LBB297_2680
; %bb.1120:
	v_bfe_u32 v9, v11, 20, 1
	s_mov_b32 s20, exec_lo
	s_delay_alu instid0(VALU_DEP_1) | instskip(NEXT) | instid1(VALU_DEP_1)
	v_add3_u32 v9, v11, v9, 0x487ffff
	v_lshrrev_b32_e32 v13, 20, v9
	s_and_not1_saveexec_b32 s21, s0
	s_cbranch_execnz .LBB297_2681
.LBB297_1121:
	s_or_b32 exec_lo, exec_lo, s21
	v_mov_b32_e32 v9, 0
	s_and_saveexec_b32 s0, s20
.LBB297_1122:
	v_lshrrev_b32_e32 v9, 24, v11
	s_delay_alu instid0(VALU_DEP_1)
	v_and_or_b32 v9, 0x80, v9, v13
.LBB297_1123:
	s_or_b32 exec_lo, exec_lo, s0
.LBB297_1124:
	s_delay_alu instid0(SALU_CYCLE_1)
	s_or_b32 exec_lo, exec_lo, s19
                                        ; implicit-def: $vgpr20_vgpr21
.LBB297_1125:
	s_and_not1_saveexec_b32 s18, s18
	s_cbranch_execz .LBB297_1133
; %bb.1126:
	s_wait_loadcnt_dscnt 0x0
	flat_load_u8 v9, v[20:21]
	s_mov_b32 s19, exec_lo
	s_wait_loadcnt_dscnt 0x0
	v_cvt_f32_ubyte0_e32 v13, v9
	v_mov_b32_e32 v9, 0x80
	s_wait_xcnt 0x0
	s_delay_alu instid0(VALU_DEP_2)
	v_cmpx_gt_u32_e32 0x43800000, v13
	s_cbranch_execz .LBB297_1132
; %bb.1127:
	v_cmp_lt_u32_e64 s0, 0x3bffffff, v13
	s_mov_b32 s20, 0
                                        ; implicit-def: $vgpr11
	s_and_saveexec_b32 s21, s0
	s_delay_alu instid0(SALU_CYCLE_1)
	s_xor_b32 s0, exec_lo, s21
	s_cbranch_execz .LBB297_2682
; %bb.1128:
	v_bfe_u32 v9, v13, 20, 1
	s_mov_b32 s20, exec_lo
	s_delay_alu instid0(VALU_DEP_1) | instskip(NEXT) | instid1(VALU_DEP_1)
	v_add3_u32 v9, v13, v9, 0x487ffff
                                        ; implicit-def: $vgpr13
	v_lshrrev_b32_e32 v11, 20, v9
	s_and_not1_saveexec_b32 s21, s0
	s_cbranch_execnz .LBB297_2683
.LBB297_1129:
	s_or_b32 exec_lo, exec_lo, s21
	v_mov_b32_e32 v9, 0
	s_and_saveexec_b32 s0, s20
.LBB297_1130:
	v_mov_b32_e32 v9, v11
.LBB297_1131:
	s_or_b32 exec_lo, exec_lo, s0
.LBB297_1132:
	s_delay_alu instid0(SALU_CYCLE_1)
	s_or_b32 exec_lo, exec_lo, s19
.LBB297_1133:
	s_delay_alu instid0(SALU_CYCLE_1)
	s_or_b32 exec_lo, exec_lo, s18
.LBB297_1134:
	s_delay_alu instid0(SALU_CYCLE_1)
	s_or_b32 exec_lo, exec_lo, s17
.LBB297_1135:
	s_delay_alu instid0(SALU_CYCLE_1) | instskip(NEXT) | instid1(SALU_CYCLE_1)
	s_or_b32 exec_lo, exec_lo, s16
	s_or_b32 s15, s15, exec_lo
.LBB297_1136:
	s_or_b32 exec_lo, exec_lo, s14
	s_mov_b32 s0, 0
	s_mov_b32 s16, 0
                                        ; implicit-def: $sgpr21
                                        ; implicit-def: $vgpr30_vgpr31
                                        ; implicit-def: $vgpr15
	s_and_saveexec_b32 s14, s15
	s_cbranch_execz .LBB297_2025
; %bb.1137:
	v_mov_b32_e32 v19, 0
	s_mov_b32 s17, 0
	s_mov_b32 s15, s12
	s_mov_b32 s16, exec_lo
                                        ; implicit-def: $vgpr11
	s_delay_alu instid0(VALU_DEP_1)
	v_add_nc_u64_e32 v[18:19], v[16:17], v[18:19]
	v_cmpx_lt_i16_e32 10, v5
	s_xor_b32 s16, exec_lo, s16
	s_cbranch_execz .LBB297_1206
; %bb.1138:
	s_mov_b32 s15, 0
	s_mov_b32 s19, 0
	s_mov_b32 s18, exec_lo
                                        ; implicit-def: $vgpr11
	v_cmpx_lt_i16_e32 25, v5
	s_xor_b32 s18, exec_lo, s18
	s_cbranch_execz .LBB297_2393
; %bb.1139:
	s_mov_b32 s20, 0
	s_mov_b32 s17, exec_lo
                                        ; implicit-def: $vgpr11
	v_cmpx_lt_i16_e32 28, v5
	s_xor_b32 s17, exec_lo, s17
	s_cbranch_execz .LBB297_1173
; %bb.1140:
	s_mov_b32 s21, 0
	s_mov_b32 s22, 0
	s_mov_b32 s19, exec_lo
                                        ; implicit-def: $vgpr11
	v_cmpx_lt_i16_e32 43, v5
	s_xor_b32 s19, exec_lo, s19
	s_cbranch_execz .LBB297_1162
; %bb.1141:
	s_mov_b32 s22, exec_lo
                                        ; implicit-def: $vgpr11
	v_cmpx_lt_i16_e32 45, v5
	s_xor_b32 s22, exec_lo, s22
	s_cbranch_execz .LBB297_1151
; %bb.1142:
	s_mov_b32 s23, -1
	s_mov_b32 s20, exec_lo
                                        ; implicit-def: $vgpr11
	v_cmpx_eq_u16_e32 46, v5
	s_cbranch_execz .LBB297_1150
; %bb.1143:
	s_wait_loadcnt_dscnt 0x0
	flat_load_b32 v11, v[18:19]
	s_mov_b32 s21, exec_lo
	s_wait_loadcnt_dscnt 0x0
	v_lshlrev_b32_e32 v13, 16, v11
	v_mov_b32_e32 v11, 0x80
	s_delay_alu instid0(VALU_DEP_2) | instskip(SKIP_1) | instid1(VALU_DEP_1)
	v_and_b32_e32 v15, 0x7fffffff, v13
	s_wait_xcnt 0x0
	v_cmpx_gt_u32_e32 0x43800000, v15
	s_cbranch_execz .LBB297_1149
; %bb.1144:
	v_cmp_lt_u32_e64 s0, 0x3bffffff, v15
	s_mov_b32 s23, 0
                                        ; implicit-def: $vgpr15
	s_and_saveexec_b32 s24, s0
	s_delay_alu instid0(SALU_CYCLE_1)
	s_xor_b32 s0, exec_lo, s24
	s_cbranch_execz .LBB297_2919
; %bb.1145:
	v_bfe_u32 v11, v13, 20, 1
	s_mov_b32 s23, exec_lo
	s_delay_alu instid0(VALU_DEP_1) | instskip(NEXT) | instid1(VALU_DEP_1)
	v_add3_u32 v11, v13, v11, 0x487ffff
	v_lshrrev_b32_e32 v15, 20, v11
	s_and_not1_saveexec_b32 s24, s0
	s_cbranch_execnz .LBB297_2920
.LBB297_1146:
	s_or_b32 exec_lo, exec_lo, s24
	v_mov_b32_e32 v11, 0
	s_and_saveexec_b32 s0, s23
.LBB297_1147:
	v_lshrrev_b32_e32 v11, 24, v13
	s_delay_alu instid0(VALU_DEP_1)
	v_and_or_b32 v11, 0x80, v11, v15
.LBB297_1148:
	s_or_b32 exec_lo, exec_lo, s0
.LBB297_1149:
	s_delay_alu instid0(SALU_CYCLE_1) | instskip(NEXT) | instid1(SALU_CYCLE_1)
	s_or_b32 exec_lo, exec_lo, s21
	s_mov_b32 s21, exec_lo
	s_xor_b32 s23, exec_lo, -1
.LBB297_1150:
	s_or_b32 exec_lo, exec_lo, s20
	s_delay_alu instid0(SALU_CYCLE_1)
	s_and_b32 s21, s21, exec_lo
	s_and_b32 s20, s23, exec_lo
.LBB297_1151:
	s_and_not1_saveexec_b32 s22, s22
	s_cbranch_execz .LBB297_1161
; %bb.1152:
	s_mov_b32 s24, -1
	s_mov_b32 s25, s21
	s_mov_b32 s23, exec_lo
                                        ; implicit-def: $vgpr11
	v_cmpx_eq_u16_e32 44, v5
	s_cbranch_execz .LBB297_1160
; %bb.1153:
	s_wait_loadcnt_dscnt 0x0
	flat_load_u8 v11, v[18:19]
	s_mov_b32 s25, 0
	s_mov_b32 s24, exec_lo
	s_wait_loadcnt_dscnt 0x0
	v_lshlrev_b32_e32 v13, 23, v11
	v_cmp_ne_u32_e64 s0, 0xff, v11
	s_delay_alu instid0(VALU_DEP_1) | instskip(SKIP_2) | instid1(VALU_DEP_2)
	v_cndmask_b32_e64 v13, 0x7f800001, v13, s0
	v_cmp_ne_u32_e64 s0, 0, v11
	v_mov_b32_e32 v11, 0x80
	v_cndmask_b32_e64 v15, 0x400000, v13, s0
	s_wait_xcnt 0x0
	s_delay_alu instid0(VALU_DEP_1)
	v_cmpx_gt_u32_e32 0x43800000, v15
	s_cbranch_execz .LBB297_1159
; %bb.1154:
	v_cmp_lt_u32_e64 s0, 0x3bffffff, v15
                                        ; implicit-def: $vgpr13
	s_and_saveexec_b32 s26, s0
	s_delay_alu instid0(SALU_CYCLE_1)
	s_xor_b32 s0, exec_lo, s26
	s_cbranch_execz .LBB297_2921
; %bb.1155:
	v_bfe_u32 v11, v15, 20, 1
	s_mov_b32 s25, exec_lo
	s_delay_alu instid0(VALU_DEP_1) | instskip(NEXT) | instid1(VALU_DEP_1)
	v_add3_u32 v11, v15, v11, 0x487ffff
                                        ; implicit-def: $vgpr15
	v_lshrrev_b32_e32 v13, 20, v11
	s_and_not1_saveexec_b32 s26, s0
	s_cbranch_execnz .LBB297_2922
.LBB297_1156:
	s_or_b32 exec_lo, exec_lo, s26
	v_mov_b32_e32 v11, 0
	s_and_saveexec_b32 s0, s25
.LBB297_1157:
	v_mov_b32_e32 v11, v13
.LBB297_1158:
	s_or_b32 exec_lo, exec_lo, s0
.LBB297_1159:
	s_delay_alu instid0(SALU_CYCLE_1) | instskip(NEXT) | instid1(SALU_CYCLE_1)
	s_or_b32 exec_lo, exec_lo, s24
	s_or_b32 s25, s21, exec_lo
	s_xor_b32 s24, exec_lo, -1
.LBB297_1160:
	s_or_b32 exec_lo, exec_lo, s23
	s_delay_alu instid0(SALU_CYCLE_1)
	s_and_not1_b32 s0, s21, exec_lo
	s_and_b32 s21, s25, exec_lo
	s_and_not1_b32 s20, s20, exec_lo
	s_and_b32 s23, s24, exec_lo
	s_or_b32 s21, s0, s21
	s_or_b32 s20, s20, s23
.LBB297_1161:
	s_or_b32 exec_lo, exec_lo, s22
	s_delay_alu instid0(SALU_CYCLE_1)
	s_and_b32 s22, s21, exec_lo
	s_and_b32 s21, s20, exec_lo
.LBB297_1162:
	s_and_not1_saveexec_b32 s19, s19
	s_cbranch_execz .LBB297_1172
; %bb.1163:
	s_mov_b32 s23, -1
	s_mov_b32 s24, s22
	s_mov_b32 s20, exec_lo
                                        ; implicit-def: $vgpr11
	v_cmpx_eq_u16_e32 29, v5
	s_cbranch_execz .LBB297_1171
; %bb.1164:
	flat_load_b64 v[20:21], v[18:19]
	s_mov_b32 s23, exec_lo
	s_wait_loadcnt_dscnt 0x0
	v_clz_i32_u32_e32 v11, v21
	s_delay_alu instid0(VALU_DEP_1) | instskip(NEXT) | instid1(VALU_DEP_1)
	v_min_u32_e32 v11, 32, v11
	v_lshlrev_b64_e32 v[20:21], v11, v[20:21]
	v_sub_nc_u32_e32 v11, 32, v11
	s_delay_alu instid0(VALU_DEP_2) | instskip(NEXT) | instid1(VALU_DEP_1)
	v_min_u32_e32 v13, 1, v20
	v_or_b32_e32 v13, v21, v13
	s_delay_alu instid0(VALU_DEP_1) | instskip(NEXT) | instid1(VALU_DEP_1)
	v_cvt_f32_u32_e32 v13, v13
	v_ldexp_f32 v15, v13, v11
	v_mov_b32_e32 v11, 0x80
	s_wait_xcnt 0x0
	s_delay_alu instid0(VALU_DEP_2)
	v_cmpx_gt_u32_e32 0x43800000, v15
	s_cbranch_execz .LBB297_1170
; %bb.1165:
	v_cmp_lt_u32_e64 s0, 0x3bffffff, v15
	s_mov_b32 s24, 0
                                        ; implicit-def: $vgpr13
	s_and_saveexec_b32 s25, s0
	s_delay_alu instid0(SALU_CYCLE_1)
	s_xor_b32 s0, exec_lo, s25
	s_cbranch_execz .LBB297_2838
; %bb.1166:
	v_bfe_u32 v11, v15, 20, 1
	s_mov_b32 s24, exec_lo
	s_delay_alu instid0(VALU_DEP_1) | instskip(NEXT) | instid1(VALU_DEP_1)
	v_add3_u32 v11, v15, v11, 0x487ffff
                                        ; implicit-def: $vgpr15
	v_lshrrev_b32_e32 v13, 20, v11
	s_and_not1_saveexec_b32 s25, s0
	s_cbranch_execnz .LBB297_2839
.LBB297_1167:
	s_or_b32 exec_lo, exec_lo, s25
	v_mov_b32_e32 v11, 0
	s_and_saveexec_b32 s0, s24
.LBB297_1168:
	v_mov_b32_e32 v11, v13
.LBB297_1169:
	s_or_b32 exec_lo, exec_lo, s0
.LBB297_1170:
	s_delay_alu instid0(SALU_CYCLE_1) | instskip(NEXT) | instid1(SALU_CYCLE_1)
	s_or_b32 exec_lo, exec_lo, s23
	s_or_b32 s24, s22, exec_lo
	s_xor_b32 s23, exec_lo, -1
.LBB297_1171:
	s_or_b32 exec_lo, exec_lo, s20
	s_delay_alu instid0(SALU_CYCLE_1)
	s_and_not1_b32 s0, s22, exec_lo
	s_and_b32 s20, s24, exec_lo
	s_and_not1_b32 s21, s21, exec_lo
	s_and_b32 s23, s23, exec_lo
	s_or_b32 s22, s0, s20
	s_or_b32 s21, s21, s23
.LBB297_1172:
	s_or_b32 exec_lo, exec_lo, s19
	s_delay_alu instid0(SALU_CYCLE_1)
	s_and_b32 s20, s22, exec_lo
	s_and_b32 s19, s21, exec_lo
.LBB297_1173:
	s_and_not1_saveexec_b32 s17, s17
	s_cbranch_execz .LBB297_1195
; %bb.1174:
	s_mov_b32 s21, exec_lo
                                        ; implicit-def: $vgpr11
	v_cmpx_lt_i16_e32 26, v5
	s_xor_b32 s21, exec_lo, s21
	s_cbranch_execz .LBB297_1192
; %bb.1175:
	s_mov_b32 s22, exec_lo
                                        ; implicit-def: $vgpr11
	v_cmpx_lt_i16_e32 27, v5
	s_xor_b32 s22, exec_lo, s22
	s_cbranch_execz .LBB297_1183
; %bb.1176:
	s_wait_loadcnt_dscnt 0x0
	flat_load_b32 v11, v[18:19]
	s_mov_b32 s23, exec_lo
	s_wait_loadcnt_dscnt 0x0
	v_cvt_f32_u32_e32 v15, v11
	v_mov_b32_e32 v11, 0x80
	s_wait_xcnt 0x0
	s_delay_alu instid0(VALU_DEP_2)
	v_cmpx_gt_u32_e32 0x43800000, v15
	s_cbranch_execz .LBB297_1182
; %bb.1177:
	v_cmp_lt_u32_e64 s0, 0x3bffffff, v15
	s_mov_b32 s24, 0
                                        ; implicit-def: $vgpr13
	s_and_saveexec_b32 s25, s0
	s_delay_alu instid0(SALU_CYCLE_1)
	s_xor_b32 s0, exec_lo, s25
	s_cbranch_execz .LBB297_2840
; %bb.1178:
	v_bfe_u32 v11, v15, 20, 1
	s_mov_b32 s24, exec_lo
	s_delay_alu instid0(VALU_DEP_1) | instskip(NEXT) | instid1(VALU_DEP_1)
	v_add3_u32 v11, v15, v11, 0x487ffff
                                        ; implicit-def: $vgpr15
	v_lshrrev_b32_e32 v13, 20, v11
	s_and_not1_saveexec_b32 s25, s0
	s_cbranch_execnz .LBB297_2841
.LBB297_1179:
	s_or_b32 exec_lo, exec_lo, s25
	v_mov_b32_e32 v11, 0
	s_and_saveexec_b32 s0, s24
.LBB297_1180:
	v_mov_b32_e32 v11, v13
.LBB297_1181:
	s_or_b32 exec_lo, exec_lo, s0
.LBB297_1182:
	s_delay_alu instid0(SALU_CYCLE_1)
	s_or_b32 exec_lo, exec_lo, s23
.LBB297_1183:
	s_and_not1_saveexec_b32 s22, s22
	s_cbranch_execz .LBB297_1191
; %bb.1184:
	s_wait_loadcnt_dscnt 0x0
	flat_load_u16 v11, v[18:19]
	s_mov_b32 s23, exec_lo
	s_wait_loadcnt_dscnt 0x0
	v_cvt_f32_u32_e32 v15, v11
	v_mov_b32_e32 v11, 0x80
	s_wait_xcnt 0x0
	s_delay_alu instid0(VALU_DEP_2)
	v_cmpx_gt_u32_e32 0x43800000, v15
	s_cbranch_execz .LBB297_1190
; %bb.1185:
	v_cmp_lt_u32_e64 s0, 0x3bffffff, v15
	s_mov_b32 s24, 0
                                        ; implicit-def: $vgpr13
	s_and_saveexec_b32 s25, s0
	s_delay_alu instid0(SALU_CYCLE_1)
	s_xor_b32 s0, exec_lo, s25
	s_cbranch_execz .LBB297_2842
; %bb.1186:
	v_bfe_u32 v11, v15, 20, 1
	s_mov_b32 s24, exec_lo
	s_delay_alu instid0(VALU_DEP_1) | instskip(NEXT) | instid1(VALU_DEP_1)
	v_add3_u32 v11, v15, v11, 0x487ffff
                                        ; implicit-def: $vgpr15
	v_lshrrev_b32_e32 v13, 20, v11
	s_and_not1_saveexec_b32 s25, s0
	s_cbranch_execnz .LBB297_2843
.LBB297_1187:
	s_or_b32 exec_lo, exec_lo, s25
	v_mov_b32_e32 v11, 0
	s_and_saveexec_b32 s0, s24
.LBB297_1188:
	v_mov_b32_e32 v11, v13
.LBB297_1189:
	s_or_b32 exec_lo, exec_lo, s0
.LBB297_1190:
	s_delay_alu instid0(SALU_CYCLE_1)
	s_or_b32 exec_lo, exec_lo, s23
.LBB297_1191:
	s_delay_alu instid0(SALU_CYCLE_1)
	s_or_b32 exec_lo, exec_lo, s22
.LBB297_1192:
	s_and_not1_saveexec_b32 s0, s21
	s_cbranch_execz .LBB297_1194
; %bb.1193:
	s_wait_loadcnt_dscnt 0x0
	flat_load_u8 v11, v[18:19]
.LBB297_1194:
	s_wait_xcnt 0x0
	s_or_b32 exec_lo, exec_lo, s0
	s_delay_alu instid0(SALU_CYCLE_1)
	s_or_b32 s20, s20, exec_lo
.LBB297_1195:
	s_or_b32 exec_lo, exec_lo, s17
	s_delay_alu instid0(SALU_CYCLE_1)
	s_and_b32 s17, s20, exec_lo
	s_and_b32 s19, s19, exec_lo
	s_and_not1_saveexec_b32 s18, s18
	s_cbranch_execnz .LBB297_2394
.LBB297_1196:
	s_or_b32 exec_lo, exec_lo, s18
	s_mov_b32 s18, s12
	s_and_saveexec_b32 s0, s19
	s_cbranch_execnz .LBB297_2443
.LBB297_1197:
	s_or_b32 exec_lo, exec_lo, s0
	s_and_saveexec_b32 s0, s15
	s_delay_alu instid0(SALU_CYCLE_1)
	s_xor_b32 s15, exec_lo, s0
	s_cbranch_execz .LBB297_1205
.LBB297_1198:
	s_wait_loadcnt_dscnt 0x0
	flat_load_u8 v11, v[18:19]
	s_mov_b32 s20, 0
	s_mov_b32 s19, exec_lo
	s_wait_loadcnt_dscnt 0x0
	v_cmp_ne_u16_e64 s0, 0, v11
	v_mov_b32_e32 v11, 0x80
	s_delay_alu instid0(VALU_DEP_2) | instskip(SKIP_1) | instid1(VALU_DEP_1)
	v_cndmask_b32_e64 v15, 0, 1.0, s0
	s_wait_xcnt 0x0
	v_cmpx_gt_u32_e32 0x43800000, v15
	s_cbranch_execz .LBB297_1204
; %bb.1199:
	v_cmp_lt_u32_e64 s0, 0x3bffffff, v15
                                        ; implicit-def: $vgpr13
	s_and_saveexec_b32 s21, s0
	s_delay_alu instid0(SALU_CYCLE_1)
	s_xor_b32 s0, exec_lo, s21
	s_cbranch_execz .LBB297_2589
; %bb.1200:
	v_bfe_u32 v11, v15, 20, 1
	s_mov_b32 s20, exec_lo
	s_delay_alu instid0(VALU_DEP_1) | instskip(NEXT) | instid1(VALU_DEP_1)
	v_add3_u32 v11, v15, v11, 0x487ffff
                                        ; implicit-def: $vgpr15
	v_lshrrev_b32_e32 v13, 20, v11
	s_and_not1_saveexec_b32 s21, s0
	s_cbranch_execnz .LBB297_2590
.LBB297_1201:
	s_or_b32 exec_lo, exec_lo, s21
	v_mov_b32_e32 v11, 0
	s_and_saveexec_b32 s0, s20
.LBB297_1202:
	v_mov_b32_e32 v11, v13
.LBB297_1203:
	s_or_b32 exec_lo, exec_lo, s0
.LBB297_1204:
	s_delay_alu instid0(SALU_CYCLE_1) | instskip(NEXT) | instid1(SALU_CYCLE_1)
	s_or_b32 exec_lo, exec_lo, s19
	s_or_b32 s17, s17, exec_lo
.LBB297_1205:
	s_or_b32 exec_lo, exec_lo, s15
	s_delay_alu instid0(SALU_CYCLE_1)
	s_and_not1_b32 s0, s12, exec_lo
	s_and_b32 s15, s18, exec_lo
	s_and_b32 s17, s17, exec_lo
	s_or_b32 s15, s0, s15
                                        ; implicit-def: $vgpr18_vgpr19
.LBB297_1206:
	s_and_not1_saveexec_b32 s16, s16
	s_cbranch_execz .LBB297_1314
; %bb.1207:
	s_mov_b32 s18, exec_lo
                                        ; implicit-def: $vgpr11
	v_cmpx_lt_i16_e32 4, v5
	s_xor_b32 s18, exec_lo, s18
	s_cbranch_execz .LBB297_1265
; %bb.1208:
	s_mov_b32 s19, exec_lo
                                        ; implicit-def: $vgpr11
	v_cmpx_lt_i16_e32 7, v5
	s_xor_b32 s19, exec_lo, s19
	;; [unrolled: 6-line block ×4, first 2 shown]
	s_cbranch_execz .LBB297_1218
; %bb.1211:
	flat_load_b64 v[18:19], v[18:19]
	s_wait_loadcnt_dscnt 0x101
	v_mov_b32_e32 v11, 0x80
	s_mov_b32 s22, exec_lo
	s_wait_loadcnt_dscnt 0x0
	v_cvt_f32_f64_e32 v13, v[18:19]
	s_delay_alu instid0(VALU_DEP_1) | instskip(SKIP_1) | instid1(VALU_DEP_1)
	v_and_b32_e32 v15, 0x7fffffff, v13
	s_wait_xcnt 0x0
	v_cmpx_gt_u32_e32 0x43800000, v15
	s_cbranch_execz .LBB297_1217
; %bb.1212:
	v_cmp_lt_u32_e64 s0, 0x3bffffff, v15
	s_mov_b32 s23, 0
                                        ; implicit-def: $vgpr15
	s_and_saveexec_b32 s24, s0
	s_delay_alu instid0(SALU_CYCLE_1)
	s_xor_b32 s0, exec_lo, s24
	s_cbranch_execz .LBB297_2844
; %bb.1213:
	v_bfe_u32 v11, v13, 20, 1
	s_mov_b32 s23, exec_lo
	s_delay_alu instid0(VALU_DEP_1) | instskip(NEXT) | instid1(VALU_DEP_1)
	v_add3_u32 v11, v13, v11, 0x487ffff
	v_lshrrev_b32_e32 v15, 20, v11
	s_and_not1_saveexec_b32 s24, s0
	s_cbranch_execnz .LBB297_2845
.LBB297_1214:
	s_or_b32 exec_lo, exec_lo, s24
	v_mov_b32_e32 v11, 0
	s_and_saveexec_b32 s0, s23
.LBB297_1215:
	v_lshrrev_b32_e32 v11, 24, v13
	s_delay_alu instid0(VALU_DEP_1)
	v_and_or_b32 v11, 0x80, v11, v15
.LBB297_1216:
	s_or_b32 exec_lo, exec_lo, s0
.LBB297_1217:
	s_delay_alu instid0(SALU_CYCLE_1)
	s_or_b32 exec_lo, exec_lo, s22
                                        ; implicit-def: $vgpr18_vgpr19
.LBB297_1218:
	s_and_not1_saveexec_b32 s21, s21
	s_cbranch_execz .LBB297_1226
; %bb.1219:
	s_wait_loadcnt_dscnt 0x0
	flat_load_b32 v13, v[18:19]
	v_mov_b32_e32 v11, 0x80
	s_mov_b32 s22, exec_lo
	s_wait_loadcnt_dscnt 0x0
	v_and_b32_e32 v15, 0x7fffffff, v13
	s_wait_xcnt 0x0
	s_delay_alu instid0(VALU_DEP_1)
	v_cmpx_gt_u32_e32 0x43800000, v15
	s_cbranch_execz .LBB297_1225
; %bb.1220:
	v_cmp_lt_u32_e64 s0, 0x3bffffff, v15
	s_mov_b32 s23, 0
                                        ; implicit-def: $vgpr15
	s_and_saveexec_b32 s24, s0
	s_delay_alu instid0(SALU_CYCLE_1)
	s_xor_b32 s0, exec_lo, s24
	s_cbranch_execz .LBB297_2846
; %bb.1221:
	v_bfe_u32 v11, v13, 20, 1
	s_mov_b32 s23, exec_lo
	s_delay_alu instid0(VALU_DEP_1) | instskip(NEXT) | instid1(VALU_DEP_1)
	v_add3_u32 v11, v13, v11, 0x487ffff
	v_lshrrev_b32_e32 v15, 20, v11
	s_and_not1_saveexec_b32 s24, s0
	s_cbranch_execnz .LBB297_2847
.LBB297_1222:
	s_or_b32 exec_lo, exec_lo, s24
	v_mov_b32_e32 v11, 0
	s_and_saveexec_b32 s0, s23
.LBB297_1223:
	v_lshrrev_b32_e32 v11, 24, v13
	s_delay_alu instid0(VALU_DEP_1)
	v_and_or_b32 v11, 0x80, v11, v15
.LBB297_1224:
	s_or_b32 exec_lo, exec_lo, s0
.LBB297_1225:
	s_delay_alu instid0(SALU_CYCLE_1)
	s_or_b32 exec_lo, exec_lo, s22
.LBB297_1226:
	s_delay_alu instid0(SALU_CYCLE_1)
	s_or_b32 exec_lo, exec_lo, s21
                                        ; implicit-def: $vgpr18_vgpr19
.LBB297_1227:
	s_and_not1_saveexec_b32 s20, s20
	s_cbranch_execz .LBB297_1235
; %bb.1228:
	s_wait_loadcnt_dscnt 0x0
	flat_load_b32 v11, v[18:19]
	s_mov_b32 s21, exec_lo
	s_wait_loadcnt_dscnt 0x0
	v_cvt_f32_f16_e32 v13, v11
	v_mov_b32_e32 v11, 0x80
	s_delay_alu instid0(VALU_DEP_2) | instskip(SKIP_1) | instid1(VALU_DEP_1)
	v_and_b32_e32 v15, 0x7fffffff, v13
	s_wait_xcnt 0x0
	v_cmpx_gt_u32_e32 0x43800000, v15
	s_cbranch_execz .LBB297_1234
; %bb.1229:
	v_cmp_lt_u32_e64 s0, 0x3bffffff, v15
	s_mov_b32 s22, 0
                                        ; implicit-def: $vgpr15
	s_and_saveexec_b32 s23, s0
	s_delay_alu instid0(SALU_CYCLE_1)
	s_xor_b32 s0, exec_lo, s23
	s_cbranch_execz .LBB297_2769
; %bb.1230:
	v_bfe_u32 v11, v13, 20, 1
	s_mov_b32 s22, exec_lo
	s_delay_alu instid0(VALU_DEP_1) | instskip(NEXT) | instid1(VALU_DEP_1)
	v_add3_u32 v11, v13, v11, 0x487ffff
	v_lshrrev_b32_e32 v15, 20, v11
	s_and_not1_saveexec_b32 s23, s0
	s_cbranch_execnz .LBB297_2770
.LBB297_1231:
	s_or_b32 exec_lo, exec_lo, s23
	v_mov_b32_e32 v11, 0
	s_and_saveexec_b32 s0, s22
.LBB297_1232:
	v_lshrrev_b32_e32 v11, 24, v13
	s_delay_alu instid0(VALU_DEP_1)
	v_and_or_b32 v11, 0x80, v11, v15
.LBB297_1233:
	s_or_b32 exec_lo, exec_lo, s0
.LBB297_1234:
	s_delay_alu instid0(SALU_CYCLE_1)
	s_or_b32 exec_lo, exec_lo, s21
.LBB297_1235:
	s_delay_alu instid0(SALU_CYCLE_1)
	s_or_b32 exec_lo, exec_lo, s20
                                        ; implicit-def: $vgpr18_vgpr19
.LBB297_1236:
	s_and_not1_saveexec_b32 s19, s19
	s_cbranch_execz .LBB297_1264
; %bb.1237:
	s_mov_b32 s20, exec_lo
                                        ; implicit-def: $vgpr11
	v_cmpx_lt_i16_e32 5, v5
	s_xor_b32 s20, exec_lo, s20
	s_cbranch_execz .LBB297_1255
; %bb.1238:
	s_mov_b32 s21, exec_lo
                                        ; implicit-def: $vgpr11
	v_cmpx_lt_i16_e32 6, v5
	s_xor_b32 s21, exec_lo, s21
	s_cbranch_execz .LBB297_1246
; %bb.1239:
	flat_load_b64 v[18:19], v[18:19]
	s_wait_loadcnt_dscnt 0x101
	v_mov_b32_e32 v11, 0x80
	s_mov_b32 s22, exec_lo
	s_wait_loadcnt_dscnt 0x0
	v_cvt_f32_f64_e32 v13, v[18:19]
	s_delay_alu instid0(VALU_DEP_1) | instskip(SKIP_1) | instid1(VALU_DEP_1)
	v_and_b32_e32 v15, 0x7fffffff, v13
	s_wait_xcnt 0x0
	v_cmpx_gt_u32_e32 0x43800000, v15
	s_cbranch_execz .LBB297_1245
; %bb.1240:
	v_cmp_lt_u32_e64 s0, 0x3bffffff, v15
	s_mov_b32 s23, 0
                                        ; implicit-def: $vgpr15
	s_and_saveexec_b32 s24, s0
	s_delay_alu instid0(SALU_CYCLE_1)
	s_xor_b32 s0, exec_lo, s24
	s_cbranch_execz .LBB297_2848
; %bb.1241:
	v_bfe_u32 v11, v13, 20, 1
	s_mov_b32 s23, exec_lo
	s_delay_alu instid0(VALU_DEP_1) | instskip(NEXT) | instid1(VALU_DEP_1)
	v_add3_u32 v11, v13, v11, 0x487ffff
	v_lshrrev_b32_e32 v15, 20, v11
	s_and_not1_saveexec_b32 s24, s0
	s_cbranch_execnz .LBB297_2849
.LBB297_1242:
	s_or_b32 exec_lo, exec_lo, s24
	v_mov_b32_e32 v11, 0
	s_and_saveexec_b32 s0, s23
.LBB297_1243:
	v_lshrrev_b32_e32 v11, 24, v13
	s_delay_alu instid0(VALU_DEP_1)
	v_and_or_b32 v11, 0x80, v11, v15
.LBB297_1244:
	s_or_b32 exec_lo, exec_lo, s0
.LBB297_1245:
	s_delay_alu instid0(SALU_CYCLE_1)
	s_or_b32 exec_lo, exec_lo, s22
                                        ; implicit-def: $vgpr18_vgpr19
.LBB297_1246:
	s_and_not1_saveexec_b32 s21, s21
	s_cbranch_execz .LBB297_1254
; %bb.1247:
	s_wait_loadcnt_dscnt 0x0
	flat_load_b32 v13, v[18:19]
	v_mov_b32_e32 v11, 0x80
	s_mov_b32 s22, exec_lo
	s_wait_loadcnt_dscnt 0x0
	v_and_b32_e32 v15, 0x7fffffff, v13
	s_wait_xcnt 0x0
	s_delay_alu instid0(VALU_DEP_1)
	v_cmpx_gt_u32_e32 0x43800000, v15
	s_cbranch_execz .LBB297_1253
; %bb.1248:
	v_cmp_lt_u32_e64 s0, 0x3bffffff, v15
	s_mov_b32 s23, 0
                                        ; implicit-def: $vgpr15
	s_and_saveexec_b32 s24, s0
	s_delay_alu instid0(SALU_CYCLE_1)
	s_xor_b32 s0, exec_lo, s24
	s_cbranch_execz .LBB297_2850
; %bb.1249:
	v_bfe_u32 v11, v13, 20, 1
	s_mov_b32 s23, exec_lo
	s_delay_alu instid0(VALU_DEP_1) | instskip(NEXT) | instid1(VALU_DEP_1)
	v_add3_u32 v11, v13, v11, 0x487ffff
	v_lshrrev_b32_e32 v15, 20, v11
	s_and_not1_saveexec_b32 s24, s0
	s_cbranch_execnz .LBB297_2851
.LBB297_1250:
	s_or_b32 exec_lo, exec_lo, s24
	v_mov_b32_e32 v11, 0
	s_and_saveexec_b32 s0, s23
.LBB297_1251:
	v_lshrrev_b32_e32 v11, 24, v13
	s_delay_alu instid0(VALU_DEP_1)
	v_and_or_b32 v11, 0x80, v11, v15
.LBB297_1252:
	s_or_b32 exec_lo, exec_lo, s0
.LBB297_1253:
	s_delay_alu instid0(SALU_CYCLE_1)
	s_or_b32 exec_lo, exec_lo, s22
.LBB297_1254:
	s_delay_alu instid0(SALU_CYCLE_1)
	s_or_b32 exec_lo, exec_lo, s21
                                        ; implicit-def: $vgpr18_vgpr19
.LBB297_1255:
	s_and_not1_saveexec_b32 s20, s20
	s_cbranch_execz .LBB297_1263
; %bb.1256:
	s_wait_loadcnt_dscnt 0x0
	flat_load_u16 v11, v[18:19]
	s_mov_b32 s21, exec_lo
	s_wait_loadcnt_dscnt 0x0
	v_cvt_f32_f16_e32 v13, v11
	v_mov_b32_e32 v11, 0x80
	s_delay_alu instid0(VALU_DEP_2) | instskip(SKIP_1) | instid1(VALU_DEP_1)
	v_and_b32_e32 v15, 0x7fffffff, v13
	s_wait_xcnt 0x0
	v_cmpx_gt_u32_e32 0x43800000, v15
	s_cbranch_execz .LBB297_1262
; %bb.1257:
	v_cmp_lt_u32_e64 s0, 0x3bffffff, v15
	s_mov_b32 s22, 0
                                        ; implicit-def: $vgpr15
	s_and_saveexec_b32 s23, s0
	s_delay_alu instid0(SALU_CYCLE_1)
	s_xor_b32 s0, exec_lo, s23
	s_cbranch_execz .LBB297_2771
; %bb.1258:
	v_bfe_u32 v11, v13, 20, 1
	s_mov_b32 s22, exec_lo
	s_delay_alu instid0(VALU_DEP_1) | instskip(NEXT) | instid1(VALU_DEP_1)
	v_add3_u32 v11, v13, v11, 0x487ffff
	v_lshrrev_b32_e32 v15, 20, v11
	s_and_not1_saveexec_b32 s23, s0
	s_cbranch_execnz .LBB297_2772
.LBB297_1259:
	s_or_b32 exec_lo, exec_lo, s23
	v_mov_b32_e32 v11, 0
	s_and_saveexec_b32 s0, s22
.LBB297_1260:
	v_lshrrev_b32_e32 v11, 24, v13
	s_delay_alu instid0(VALU_DEP_1)
	v_and_or_b32 v11, 0x80, v11, v15
.LBB297_1261:
	s_or_b32 exec_lo, exec_lo, s0
.LBB297_1262:
	s_delay_alu instid0(SALU_CYCLE_1)
	s_or_b32 exec_lo, exec_lo, s21
.LBB297_1263:
	s_delay_alu instid0(SALU_CYCLE_1)
	s_or_b32 exec_lo, exec_lo, s20
.LBB297_1264:
	s_delay_alu instid0(SALU_CYCLE_1)
	s_or_b32 exec_lo, exec_lo, s19
                                        ; implicit-def: $vgpr18_vgpr19
.LBB297_1265:
	s_and_not1_saveexec_b32 s18, s18
	s_cbranch_execz .LBB297_1313
; %bb.1266:
	s_mov_b32 s19, exec_lo
                                        ; implicit-def: $vgpr11
	v_cmpx_lt_i16_e32 1, v5
	s_xor_b32 s19, exec_lo, s19
	s_cbranch_execz .LBB297_1294
; %bb.1267:
	s_mov_b32 s20, exec_lo
                                        ; implicit-def: $vgpr11
	v_cmpx_lt_i16_e32 2, v5
	s_xor_b32 s20, exec_lo, s20
	;; [unrolled: 6-line block ×3, first 2 shown]
	s_cbranch_execz .LBB297_1276
; %bb.1269:
	flat_load_b64 v[18:19], v[18:19]
	s_mov_b32 s22, exec_lo
	s_wait_loadcnt_dscnt 0x0
	v_xor_b32_e32 v11, v18, v19
	v_cls_i32_e32 v13, v19
	s_delay_alu instid0(VALU_DEP_2) | instskip(NEXT) | instid1(VALU_DEP_1)
	v_ashrrev_i32_e32 v11, 31, v11
	v_add_nc_u32_e32 v11, 32, v11
	s_delay_alu instid0(VALU_DEP_1) | instskip(SKIP_1) | instid1(VALU_DEP_1)
	v_add_min_u32_e64 v11, v13, -1, v11
	s_wait_xcnt 0x0
	v_lshlrev_b64_e32 v[18:19], v11, v[18:19]
	v_sub_nc_u32_e32 v11, 32, v11
	s_delay_alu instid0(VALU_DEP_2) | instskip(NEXT) | instid1(VALU_DEP_1)
	v_min_u32_e32 v13, 1, v18
	v_or_b32_e32 v13, v19, v13
	s_delay_alu instid0(VALU_DEP_1) | instskip(NEXT) | instid1(VALU_DEP_1)
	v_cvt_f32_i32_e32 v13, v13
	v_ldexp_f32 v13, v13, v11
	v_mov_b32_e32 v11, 0x80
	s_delay_alu instid0(VALU_DEP_2) | instskip(NEXT) | instid1(VALU_DEP_1)
	v_and_b32_e32 v15, 0x7fffffff, v13
	v_cmpx_gt_u32_e32 0x43800000, v15
	s_cbranch_execz .LBB297_1275
; %bb.1270:
	v_cmp_lt_u32_e64 s0, 0x3bffffff, v15
	s_mov_b32 s23, 0
                                        ; implicit-def: $vgpr15
	s_and_saveexec_b32 s24, s0
	s_delay_alu instid0(SALU_CYCLE_1)
	s_xor_b32 s0, exec_lo, s24
	s_cbranch_execz .LBB297_2852
; %bb.1271:
	v_bfe_u32 v11, v13, 20, 1
	s_mov_b32 s23, exec_lo
	s_delay_alu instid0(VALU_DEP_1) | instskip(NEXT) | instid1(VALU_DEP_1)
	v_add3_u32 v11, v13, v11, 0x487ffff
	v_lshrrev_b32_e32 v15, 20, v11
	s_and_not1_saveexec_b32 s24, s0
	s_cbranch_execnz .LBB297_2853
.LBB297_1272:
	s_or_b32 exec_lo, exec_lo, s24
	v_mov_b32_e32 v11, 0
	s_and_saveexec_b32 s0, s23
.LBB297_1273:
	v_lshrrev_b32_e32 v11, 24, v13
	s_delay_alu instid0(VALU_DEP_1)
	v_and_or_b32 v11, 0x80, v11, v15
.LBB297_1274:
	s_or_b32 exec_lo, exec_lo, s0
.LBB297_1275:
	s_delay_alu instid0(SALU_CYCLE_1)
	s_or_b32 exec_lo, exec_lo, s22
                                        ; implicit-def: $vgpr18_vgpr19
.LBB297_1276:
	s_and_not1_saveexec_b32 s21, s21
	s_cbranch_execz .LBB297_1284
; %bb.1277:
	s_wait_loadcnt_dscnt 0x0
	flat_load_b32 v11, v[18:19]
	s_mov_b32 s22, exec_lo
	s_wait_loadcnt_dscnt 0x0
	v_cvt_f32_i32_e32 v13, v11
	v_mov_b32_e32 v11, 0x80
	s_delay_alu instid0(VALU_DEP_2) | instskip(SKIP_1) | instid1(VALU_DEP_1)
	v_and_b32_e32 v15, 0x7fffffff, v13
	s_wait_xcnt 0x0
	v_cmpx_gt_u32_e32 0x43800000, v15
	s_cbranch_execz .LBB297_1283
; %bb.1278:
	v_cmp_lt_u32_e64 s0, 0x3bffffff, v15
	s_mov_b32 s23, 0
                                        ; implicit-def: $vgpr15
	s_and_saveexec_b32 s24, s0
	s_delay_alu instid0(SALU_CYCLE_1)
	s_xor_b32 s0, exec_lo, s24
	s_cbranch_execz .LBB297_2854
; %bb.1279:
	v_bfe_u32 v11, v13, 20, 1
	s_mov_b32 s23, exec_lo
	s_delay_alu instid0(VALU_DEP_1) | instskip(NEXT) | instid1(VALU_DEP_1)
	v_add3_u32 v11, v13, v11, 0x487ffff
	v_lshrrev_b32_e32 v15, 20, v11
	s_and_not1_saveexec_b32 s24, s0
	s_cbranch_execnz .LBB297_2855
.LBB297_1280:
	s_or_b32 exec_lo, exec_lo, s24
	v_mov_b32_e32 v11, 0
	s_and_saveexec_b32 s0, s23
.LBB297_1281:
	v_lshrrev_b32_e32 v11, 24, v13
	s_delay_alu instid0(VALU_DEP_1)
	v_and_or_b32 v11, 0x80, v11, v15
.LBB297_1282:
	s_or_b32 exec_lo, exec_lo, s0
.LBB297_1283:
	s_delay_alu instid0(SALU_CYCLE_1)
	s_or_b32 exec_lo, exec_lo, s22
.LBB297_1284:
	s_delay_alu instid0(SALU_CYCLE_1)
	s_or_b32 exec_lo, exec_lo, s21
                                        ; implicit-def: $vgpr18_vgpr19
.LBB297_1285:
	s_and_not1_saveexec_b32 s20, s20
	s_cbranch_execz .LBB297_1293
; %bb.1286:
	s_wait_loadcnt_dscnt 0x0
	flat_load_i16 v11, v[18:19]
	s_mov_b32 s21, exec_lo
	s_wait_loadcnt_dscnt 0x0
	v_cvt_f32_i32_e32 v13, v11
	v_mov_b32_e32 v11, 0x80
	s_delay_alu instid0(VALU_DEP_2) | instskip(SKIP_1) | instid1(VALU_DEP_1)
	v_and_b32_e32 v15, 0x7fffffff, v13
	s_wait_xcnt 0x0
	v_cmpx_gt_u32_e32 0x43800000, v15
	s_cbranch_execz .LBB297_1292
; %bb.1287:
	v_cmp_lt_u32_e64 s0, 0x3bffffff, v15
	s_mov_b32 s22, 0
                                        ; implicit-def: $vgpr15
	s_and_saveexec_b32 s23, s0
	s_delay_alu instid0(SALU_CYCLE_1)
	s_xor_b32 s0, exec_lo, s23
	s_cbranch_execz .LBB297_2773
; %bb.1288:
	v_bfe_u32 v11, v13, 20, 1
	s_mov_b32 s22, exec_lo
	s_delay_alu instid0(VALU_DEP_1) | instskip(NEXT) | instid1(VALU_DEP_1)
	v_add3_u32 v11, v13, v11, 0x487ffff
	v_lshrrev_b32_e32 v15, 20, v11
	s_and_not1_saveexec_b32 s23, s0
	s_cbranch_execnz .LBB297_2774
.LBB297_1289:
	s_or_b32 exec_lo, exec_lo, s23
	v_mov_b32_e32 v11, 0
	s_and_saveexec_b32 s0, s22
.LBB297_1290:
	v_lshrrev_b32_e32 v11, 24, v13
	s_delay_alu instid0(VALU_DEP_1)
	v_and_or_b32 v11, 0x80, v11, v15
.LBB297_1291:
	s_or_b32 exec_lo, exec_lo, s0
.LBB297_1292:
	s_delay_alu instid0(SALU_CYCLE_1)
	s_or_b32 exec_lo, exec_lo, s21
.LBB297_1293:
	s_delay_alu instid0(SALU_CYCLE_1)
	s_or_b32 exec_lo, exec_lo, s20
                                        ; implicit-def: $vgpr18_vgpr19
.LBB297_1294:
	s_and_not1_saveexec_b32 s19, s19
	s_cbranch_execz .LBB297_1312
; %bb.1295:
	s_mov_b32 s20, exec_lo
                                        ; implicit-def: $vgpr11
	v_cmpx_lt_i16_e32 0, v5
	s_xor_b32 s20, exec_lo, s20
	s_cbranch_execz .LBB297_1303
; %bb.1296:
	s_wait_loadcnt_dscnt 0x0
	flat_load_i8 v11, v[18:19]
	s_mov_b32 s21, exec_lo
	s_wait_loadcnt_dscnt 0x0
	v_cvt_f32_i32_e32 v13, v11
	v_mov_b32_e32 v11, 0x80
	s_delay_alu instid0(VALU_DEP_2) | instskip(SKIP_1) | instid1(VALU_DEP_1)
	v_and_b32_e32 v15, 0x7fffffff, v13
	s_wait_xcnt 0x0
	v_cmpx_gt_u32_e32 0x43800000, v15
	s_cbranch_execz .LBB297_1302
; %bb.1297:
	v_cmp_lt_u32_e64 s0, 0x3bffffff, v15
	s_mov_b32 s22, 0
                                        ; implicit-def: $vgpr15
	s_and_saveexec_b32 s23, s0
	s_delay_alu instid0(SALU_CYCLE_1)
	s_xor_b32 s0, exec_lo, s23
	s_cbranch_execz .LBB297_2775
; %bb.1298:
	v_bfe_u32 v11, v13, 20, 1
	s_mov_b32 s22, exec_lo
	s_delay_alu instid0(VALU_DEP_1) | instskip(NEXT) | instid1(VALU_DEP_1)
	v_add3_u32 v11, v13, v11, 0x487ffff
	v_lshrrev_b32_e32 v15, 20, v11
	s_and_not1_saveexec_b32 s23, s0
	s_cbranch_execnz .LBB297_2776
.LBB297_1299:
	s_or_b32 exec_lo, exec_lo, s23
	v_mov_b32_e32 v11, 0
	s_and_saveexec_b32 s0, s22
.LBB297_1300:
	v_lshrrev_b32_e32 v11, 24, v13
	s_delay_alu instid0(VALU_DEP_1)
	v_and_or_b32 v11, 0x80, v11, v15
.LBB297_1301:
	s_or_b32 exec_lo, exec_lo, s0
.LBB297_1302:
	s_delay_alu instid0(SALU_CYCLE_1)
	s_or_b32 exec_lo, exec_lo, s21
                                        ; implicit-def: $vgpr18_vgpr19
.LBB297_1303:
	s_and_not1_saveexec_b32 s20, s20
	s_cbranch_execz .LBB297_1311
; %bb.1304:
	s_wait_loadcnt_dscnt 0x0
	flat_load_u8 v11, v[18:19]
	s_mov_b32 s21, exec_lo
	s_wait_loadcnt_dscnt 0x0
	v_cvt_f32_ubyte0_e32 v15, v11
	v_mov_b32_e32 v11, 0x80
	s_wait_xcnt 0x0
	s_delay_alu instid0(VALU_DEP_2)
	v_cmpx_gt_u32_e32 0x43800000, v15
	s_cbranch_execz .LBB297_1310
; %bb.1305:
	v_cmp_lt_u32_e64 s0, 0x3bffffff, v15
	s_mov_b32 s22, 0
                                        ; implicit-def: $vgpr13
	s_and_saveexec_b32 s23, s0
	s_delay_alu instid0(SALU_CYCLE_1)
	s_xor_b32 s0, exec_lo, s23
	s_cbranch_execz .LBB297_2777
; %bb.1306:
	v_bfe_u32 v11, v15, 20, 1
	s_mov_b32 s22, exec_lo
	s_delay_alu instid0(VALU_DEP_1) | instskip(NEXT) | instid1(VALU_DEP_1)
	v_add3_u32 v11, v15, v11, 0x487ffff
                                        ; implicit-def: $vgpr15
	v_lshrrev_b32_e32 v13, 20, v11
	s_and_not1_saveexec_b32 s23, s0
	s_cbranch_execnz .LBB297_2778
.LBB297_1307:
	s_or_b32 exec_lo, exec_lo, s23
	v_mov_b32_e32 v11, 0
	s_and_saveexec_b32 s0, s22
.LBB297_1308:
	v_mov_b32_e32 v11, v13
.LBB297_1309:
	s_or_b32 exec_lo, exec_lo, s0
.LBB297_1310:
	s_delay_alu instid0(SALU_CYCLE_1)
	s_or_b32 exec_lo, exec_lo, s21
.LBB297_1311:
	s_delay_alu instid0(SALU_CYCLE_1)
	s_or_b32 exec_lo, exec_lo, s20
.LBB297_1312:
	s_delay_alu instid0(SALU_CYCLE_1)
	s_or_b32 exec_lo, exec_lo, s19
.LBB297_1313:
	s_delay_alu instid0(SALU_CYCLE_1) | instskip(NEXT) | instid1(SALU_CYCLE_1)
	s_or_b32 exec_lo, exec_lo, s18
	s_or_b32 s17, s17, exec_lo
.LBB297_1314:
	s_or_b32 exec_lo, exec_lo, s16
	s_mov_b32 s0, 0
	s_mov_b32 s19, 0
                                        ; implicit-def: $sgpr21
                                        ; implicit-def: $vgpr30_vgpr31
                                        ; implicit-def: $vgpr15
	s_and_saveexec_b32 s16, s17
	s_cbranch_execz .LBB297_2024
; %bb.1315:
                                        ; implicit-def: $sgpr17
	s_and_saveexec_b32 s0, vcc_lo
	s_delay_alu instid0(SALU_CYCLE_1)
	s_xor_b32 s18, exec_lo, s0
	s_cbranch_execz .LBB297_1329
; %bb.1316:
	s_wait_loadcnt_dscnt 0x0
	v_and_b32_e32 v15, 0xff, v9
	s_mov_b32 s17, 0
	s_mov_b32 s19, exec_lo
	s_delay_alu instid0(VALU_DEP_1)
	v_cmpx_lt_i16_e32 0x7f, v15
	s_xor_b32 s19, exec_lo, s19
	s_cbranch_execz .LBB297_2488
; %bb.1317:
	s_mov_b32 s17, -1
	s_mov_b32 s20, exec_lo
	v_cmpx_eq_u16_e32 0x80, v15
; %bb.1318:
	s_xor_b32 s17, exec_lo, -1
; %bb.1319:
	s_or_b32 exec_lo, exec_lo, s20
	s_delay_alu instid0(SALU_CYCLE_1)
	s_and_b32 s17, s17, exec_lo
                                        ; implicit-def: $vgpr15
	s_or_saveexec_b32 s19, s19
	v_mov_b32_e32 v13, 0x7f800001
	s_xor_b32 exec_lo, exec_lo, s19
	s_cbranch_execnz .LBB297_2489
.LBB297_1320:
	s_or_b32 exec_lo, exec_lo, s19
	s_and_saveexec_b32 s19, s17
	s_cbranch_execz .LBB297_1322
.LBB297_1321:
	v_and_b32_e32 v13, 7, v9
	v_lshrrev_b16 v18, 3, v9
	s_delay_alu instid0(VALU_DEP_2) | instskip(NEXT) | instid1(VALU_DEP_1)
	v_clz_i32_u32_e32 v15, v13
	v_min_u32_e32 v15, 32, v15
	s_delay_alu instid0(VALU_DEP_3) | instskip(NEXT) | instid1(VALU_DEP_2)
	v_and_b32_e32 v18, 15, v18
	v_subrev_nc_u32_e32 v19, 28, v15
	v_sub_nc_u32_e32 v15, 29, v15
	s_delay_alu instid0(VALU_DEP_3) | instskip(NEXT) | instid1(VALU_DEP_3)
	v_cmp_eq_u32_e64 s0, 0, v18
	v_dual_lshlrev_b32 v19, v19, v9 :: v_dual_lshlrev_b32 v9, 24, v9
	s_delay_alu instid0(VALU_DEP_1) | instskip(NEXT) | instid1(VALU_DEP_2)
	v_and_b32_e32 v19, 7, v19
	v_and_b32_e32 v9, 0x80000000, v9
	s_delay_alu instid0(VALU_DEP_2) | instskip(NEXT) | instid1(VALU_DEP_1)
	v_cndmask_b32_e64 v13, v13, v19, s0
	v_dual_cndmask_b32 v15, v18, v15, s0 :: v_dual_lshlrev_b32 v13, 20, v13
	s_delay_alu instid0(VALU_DEP_1) | instskip(NEXT) | instid1(VALU_DEP_1)
	v_lshl_add_u32 v15, v15, 23, 0x3b800000
	v_or3_b32 v13, v9, v15, v13
.LBB297_1322:
	s_or_b32 exec_lo, exec_lo, s19
	v_and_b32_e32 v15, 0xff, v11
	s_mov_b32 s17, 0
	s_mov_b32 s19, exec_lo
	s_delay_alu instid0(VALU_DEP_1)
	v_cmpx_lt_i16_e32 0x7f, v15
	s_xor_b32 s19, exec_lo, s19
	s_cbranch_execz .LBB297_2490
; %bb.1323:
	s_mov_b32 s17, -1
	s_mov_b32 s20, exec_lo
	v_cmpx_eq_u16_e32 0x80, v15
; %bb.1324:
	s_xor_b32 s17, exec_lo, -1
; %bb.1325:
	s_or_b32 exec_lo, exec_lo, s20
	s_delay_alu instid0(SALU_CYCLE_1)
	s_and_b32 s17, s17, exec_lo
                                        ; implicit-def: $vgpr15
	s_or_saveexec_b32 s19, s19
	v_mov_b32_e32 v9, 0x7f800001
	s_xor_b32 exec_lo, exec_lo, s19
	s_cbranch_execnz .LBB297_2491
.LBB297_1326:
	s_or_b32 exec_lo, exec_lo, s19
	s_and_saveexec_b32 s19, s17
	s_cbranch_execz .LBB297_1328
.LBB297_1327:
	v_and_b32_e32 v9, 7, v11
	v_lshrrev_b16 v18, 3, v11
	s_delay_alu instid0(VALU_DEP_2) | instskip(NEXT) | instid1(VALU_DEP_1)
	v_clz_i32_u32_e32 v15, v9
	v_min_u32_e32 v15, 32, v15
	s_delay_alu instid0(VALU_DEP_3) | instskip(NEXT) | instid1(VALU_DEP_2)
	v_and_b32_e32 v18, 15, v18
	v_subrev_nc_u32_e32 v19, 28, v15
	v_sub_nc_u32_e32 v15, 29, v15
	s_delay_alu instid0(VALU_DEP_3) | instskip(NEXT) | instid1(VALU_DEP_3)
	v_cmp_eq_u32_e64 s0, 0, v18
	v_dual_lshlrev_b32 v19, v19, v11 :: v_dual_lshlrev_b32 v11, 24, v11
	s_delay_alu instid0(VALU_DEP_2) | instskip(NEXT) | instid1(VALU_DEP_2)
	v_cndmask_b32_e64 v15, v18, v15, s0
	v_and_b32_e32 v19, 7, v19
	s_delay_alu instid0(VALU_DEP_3) | instskip(NEXT) | instid1(VALU_DEP_3)
	v_and_b32_e32 v11, 0x80000000, v11
	v_lshl_add_u32 v15, v15, 23, 0x3b800000
	s_delay_alu instid0(VALU_DEP_3) | instskip(NEXT) | instid1(VALU_DEP_1)
	v_cndmask_b32_e64 v9, v9, v19, s0
	v_lshlrev_b32_e32 v9, 20, v9
	s_delay_alu instid0(VALU_DEP_1)
	v_or3_b32 v9, v11, v15, v9
.LBB297_1328:
	s_or_b32 exec_lo, exec_lo, s19
	s_delay_alu instid0(VALU_DEP_1)
	v_cmp_neq_f32_e64 s17, v13, v9
                                        ; implicit-def: $vgpr11
                                        ; implicit-def: $vgpr9
.LBB297_1329:
	s_and_not1_saveexec_b32 s18, s18
	s_cbranch_execz .LBB297_1343
; %bb.1330:
	s_wait_loadcnt_dscnt 0x0
	v_and_b32_e32 v15, 0xff, v9
	s_mov_b32 s19, 0
	s_mov_b32 s20, exec_lo
	s_delay_alu instid0(VALU_DEP_1)
	v_cmpx_lt_i16_e32 0x7f, v15
	s_xor_b32 s20, exec_lo, s20
	s_cbranch_execz .LBB297_2492
; %bb.1331:
	s_mov_b32 s19, -1
	s_mov_b32 s21, exec_lo
	v_cmpx_eq_u16_e32 0x80, v15
; %bb.1332:
	s_xor_b32 s19, exec_lo, -1
; %bb.1333:
	s_or_b32 exec_lo, exec_lo, s21
	s_delay_alu instid0(SALU_CYCLE_1)
	s_and_b32 s19, s19, exec_lo
                                        ; implicit-def: $vgpr15
	s_or_saveexec_b32 s20, s20
	v_mov_b32_e32 v13, 0x7f800001
	s_xor_b32 exec_lo, exec_lo, s20
	s_cbranch_execnz .LBB297_2493
.LBB297_1334:
	s_or_b32 exec_lo, exec_lo, s20
	s_and_saveexec_b32 s20, s19
	s_cbranch_execz .LBB297_1336
.LBB297_1335:
	v_and_b32_e32 v13, 7, v9
	v_lshrrev_b16 v18, 3, v9
	s_delay_alu instid0(VALU_DEP_2) | instskip(NEXT) | instid1(VALU_DEP_1)
	v_clz_i32_u32_e32 v15, v13
	v_min_u32_e32 v15, 32, v15
	s_delay_alu instid0(VALU_DEP_3) | instskip(NEXT) | instid1(VALU_DEP_2)
	v_and_b32_e32 v18, 15, v18
	v_subrev_nc_u32_e32 v19, 28, v15
	v_sub_nc_u32_e32 v15, 29, v15
	s_delay_alu instid0(VALU_DEP_3) | instskip(NEXT) | instid1(VALU_DEP_3)
	v_cmp_eq_u32_e64 s0, 0, v18
	v_dual_lshlrev_b32 v19, v19, v9 :: v_dual_lshlrev_b32 v9, 24, v9
	s_delay_alu instid0(VALU_DEP_1) | instskip(NEXT) | instid1(VALU_DEP_2)
	v_and_b32_e32 v19, 7, v19
	v_and_b32_e32 v9, 0x80000000, v9
	s_delay_alu instid0(VALU_DEP_2) | instskip(NEXT) | instid1(VALU_DEP_1)
	v_cndmask_b32_e64 v13, v13, v19, s0
	v_dual_cndmask_b32 v15, v18, v15, s0 :: v_dual_lshlrev_b32 v13, 20, v13
	s_delay_alu instid0(VALU_DEP_1) | instskip(NEXT) | instid1(VALU_DEP_1)
	v_lshl_add_u32 v15, v15, 23, 0x3b800000
	v_or3_b32 v13, v9, v15, v13
.LBB297_1336:
	s_or_b32 exec_lo, exec_lo, s20
	v_and_b32_e32 v15, 0xff, v11
	s_mov_b32 s19, 0
	s_mov_b32 s20, exec_lo
	s_delay_alu instid0(VALU_DEP_1)
	v_cmpx_lt_i16_e32 0x7f, v15
	s_xor_b32 s20, exec_lo, s20
	s_cbranch_execz .LBB297_2494
; %bb.1337:
	s_mov_b32 s19, -1
	s_mov_b32 s21, exec_lo
	v_cmpx_eq_u16_e32 0x80, v15
; %bb.1338:
	s_xor_b32 s19, exec_lo, -1
; %bb.1339:
	s_or_b32 exec_lo, exec_lo, s21
	s_delay_alu instid0(SALU_CYCLE_1)
	s_and_b32 s19, s19, exec_lo
                                        ; implicit-def: $vgpr15
	s_or_saveexec_b32 s20, s20
	v_mov_b32_e32 v9, 0x7f800001
	s_xor_b32 exec_lo, exec_lo, s20
	s_cbranch_execnz .LBB297_2495
.LBB297_1340:
	s_or_b32 exec_lo, exec_lo, s20
	s_and_saveexec_b32 s20, s19
	s_cbranch_execz .LBB297_1342
.LBB297_1341:
	v_and_b32_e32 v9, 7, v11
	v_lshrrev_b16 v18, 3, v11
	s_delay_alu instid0(VALU_DEP_2) | instskip(NEXT) | instid1(VALU_DEP_1)
	v_clz_i32_u32_e32 v15, v9
	v_min_u32_e32 v15, 32, v15
	s_delay_alu instid0(VALU_DEP_3) | instskip(NEXT) | instid1(VALU_DEP_2)
	v_and_b32_e32 v18, 15, v18
	v_subrev_nc_u32_e32 v19, 28, v15
	v_sub_nc_u32_e32 v15, 29, v15
	s_delay_alu instid0(VALU_DEP_3) | instskip(NEXT) | instid1(VALU_DEP_3)
	v_cmp_eq_u32_e64 s0, 0, v18
	v_dual_lshlrev_b32 v19, v19, v11 :: v_dual_lshlrev_b32 v11, 24, v11
	s_delay_alu instid0(VALU_DEP_2) | instskip(NEXT) | instid1(VALU_DEP_2)
	v_cndmask_b32_e64 v15, v18, v15, s0
	v_and_b32_e32 v19, 7, v19
	s_delay_alu instid0(VALU_DEP_3) | instskip(NEXT) | instid1(VALU_DEP_3)
	v_and_b32_e32 v11, 0x80000000, v11
	v_lshl_add_u32 v15, v15, 23, 0x3b800000
	s_delay_alu instid0(VALU_DEP_3) | instskip(NEXT) | instid1(VALU_DEP_1)
	v_cndmask_b32_e64 v9, v9, v19, s0
	v_lshlrev_b32_e32 v9, 20, v9
	s_delay_alu instid0(VALU_DEP_1)
	v_or3_b32 v9, v11, v15, v9
.LBB297_1342:
	s_or_b32 exec_lo, exec_lo, s20
	s_delay_alu instid0(VALU_DEP_1) | instskip(SKIP_2) | instid1(SALU_CYCLE_1)
	v_cmp_eq_f32_e64 s0, v13, v9
	s_and_not1_b32 s17, s17, exec_lo
	s_and_b32 s0, s0, exec_lo
	s_or_b32 s17, s17, s0
.LBB297_1343:
	s_or_b32 exec_lo, exec_lo, s18
	v_mov_b32_e32 v15, 0
	s_mov_b32 s20, 0
	s_mov_b32 s18, s15
	s_mov_b32 s19, exec_lo
                                        ; implicit-def: $vgpr9
	s_delay_alu instid0(VALU_DEP_1)
	v_add_nc_u64_e32 v[2:3], v[2:3], v[14:15]
	v_cmpx_lt_i16_e32 10, v7
	s_xor_b32 s19, exec_lo, s19
	s_cbranch_execz .LBB297_1412
; %bb.1344:
	s_mov_b32 s18, 0
	s_mov_b32 s22, 0
	s_mov_b32 s21, exec_lo
                                        ; implicit-def: $vgpr9
	v_cmpx_lt_i16_e32 25, v7
	s_xor_b32 s21, exec_lo, s21
	s_cbranch_execz .LBB297_2496
; %bb.1345:
	s_mov_b32 s23, 0
	s_mov_b32 s20, exec_lo
                                        ; implicit-def: $vgpr9
	v_cmpx_lt_i16_e32 28, v7
	s_xor_b32 s20, exec_lo, s20
	s_cbranch_execz .LBB297_1379
; %bb.1346:
	s_mov_b32 s24, 0
	s_mov_b32 s25, 0
	s_mov_b32 s22, exec_lo
                                        ; implicit-def: $vgpr9
	v_cmpx_lt_i16_e32 43, v7
	s_xor_b32 s22, exec_lo, s22
	s_cbranch_execz .LBB297_1368
; %bb.1347:
	s_mov_b32 s25, exec_lo
                                        ; implicit-def: $vgpr9
	v_cmpx_lt_i16_e32 45, v7
	s_xor_b32 s25, exec_lo, s25
	s_cbranch_execz .LBB297_1357
; %bb.1348:
	s_mov_b32 s26, -1
	s_mov_b32 s23, exec_lo
                                        ; implicit-def: $vgpr9
	v_cmpx_eq_u16_e32 46, v7
	s_cbranch_execz .LBB297_1356
; %bb.1349:
	flat_load_b32 v7, v[2:3]
	s_wait_loadcnt_dscnt 0x101
	v_mov_b32_e32 v9, 0x80
	s_mov_b32 s24, exec_lo
	s_wait_loadcnt_dscnt 0x0
	v_lshlrev_b32_e32 v7, 16, v7
	s_delay_alu instid0(VALU_DEP_1) | instskip(SKIP_1) | instid1(VALU_DEP_1)
	v_and_b32_e32 v11, 0x7fffffff, v7
	s_wait_xcnt 0x0
	v_cmpx_gt_u32_e32 0x43800000, v11
	s_cbranch_execz .LBB297_1355
; %bb.1350:
	v_cmp_lt_u32_e64 s0, 0x3bffffff, v11
	s_mov_b32 s26, 0
                                        ; implicit-def: $vgpr11
	s_and_saveexec_b32 s27, s0
	s_delay_alu instid0(SALU_CYCLE_1)
	s_xor_b32 s0, exec_lo, s27
	s_cbranch_execz .LBB297_3004
; %bb.1351:
	v_bfe_u32 v9, v7, 20, 1
	s_mov_b32 s26, exec_lo
	s_delay_alu instid0(VALU_DEP_1) | instskip(NEXT) | instid1(VALU_DEP_1)
	v_add3_u32 v9, v7, v9, 0x487ffff
	v_lshrrev_b32_e32 v11, 20, v9
	s_and_not1_saveexec_b32 s27, s0
	s_cbranch_execnz .LBB297_3005
.LBB297_1352:
	s_or_b32 exec_lo, exec_lo, s27
	v_mov_b32_e32 v9, 0
	s_and_saveexec_b32 s0, s26
.LBB297_1353:
	v_lshrrev_b32_e32 v7, 24, v7
	s_delay_alu instid0(VALU_DEP_1)
	v_and_or_b32 v9, 0x80, v7, v11
.LBB297_1354:
	s_or_b32 exec_lo, exec_lo, s0
.LBB297_1355:
	s_delay_alu instid0(SALU_CYCLE_1) | instskip(NEXT) | instid1(SALU_CYCLE_1)
	s_or_b32 exec_lo, exec_lo, s24
	s_mov_b32 s24, exec_lo
	s_xor_b32 s26, exec_lo, -1
.LBB297_1356:
	s_or_b32 exec_lo, exec_lo, s23
	s_delay_alu instid0(SALU_CYCLE_1)
	s_and_b32 s24, s24, exec_lo
	s_and_b32 s23, s26, exec_lo
                                        ; implicit-def: $vgpr7
.LBB297_1357:
	s_and_not1_saveexec_b32 s25, s25
	s_cbranch_execz .LBB297_1367
; %bb.1358:
	s_mov_b32 s27, -1
	s_mov_b32 s28, s24
	s_mov_b32 s26, exec_lo
                                        ; implicit-def: $vgpr9
	v_cmpx_eq_u16_e32 44, v7
	s_cbranch_execz .LBB297_1366
; %bb.1359:
	flat_load_u8 v7, v[2:3]
	s_mov_b32 s28, 0
	s_mov_b32 s27, exec_lo
	s_wait_loadcnt_dscnt 0x0
	v_lshlrev_b32_e32 v9, 23, v7
	v_cmp_ne_u32_e64 s0, 0xff, v7
	s_delay_alu instid0(VALU_DEP_1) | instskip(SKIP_1) | instid1(VALU_DEP_1)
	v_cndmask_b32_e64 v9, 0x7f800001, v9, s0
	v_cmp_ne_u32_e64 s0, 0, v7
	v_cndmask_b32_e64 v11, 0x400000, v9, s0
	v_mov_b32_e32 v9, 0x80
	s_wait_xcnt 0x0
	s_delay_alu instid0(VALU_DEP_2)
	v_cmpx_gt_u32_e32 0x43800000, v11
	s_cbranch_execz .LBB297_1365
; %bb.1360:
	v_cmp_lt_u32_e64 s0, 0x3bffffff, v11
                                        ; implicit-def: $vgpr7
	s_and_saveexec_b32 s29, s0
	s_delay_alu instid0(SALU_CYCLE_1)
	s_xor_b32 s0, exec_lo, s29
	s_cbranch_execz .LBB297_3006
; %bb.1361:
	v_bfe_u32 v7, v11, 20, 1
	s_mov_b32 s28, exec_lo
	s_delay_alu instid0(VALU_DEP_1) | instskip(NEXT) | instid1(VALU_DEP_1)
	v_add3_u32 v7, v11, v7, 0x487ffff
                                        ; implicit-def: $vgpr11
	v_lshrrev_b32_e32 v7, 20, v7
	s_and_not1_saveexec_b32 s29, s0
	s_cbranch_execnz .LBB297_3007
.LBB297_1362:
	s_or_b32 exec_lo, exec_lo, s29
	v_mov_b32_e32 v9, 0
	s_and_saveexec_b32 s0, s28
.LBB297_1363:
	v_mov_b32_e32 v9, v7
.LBB297_1364:
	s_or_b32 exec_lo, exec_lo, s0
.LBB297_1365:
	s_delay_alu instid0(SALU_CYCLE_1) | instskip(NEXT) | instid1(SALU_CYCLE_1)
	s_or_b32 exec_lo, exec_lo, s27
	s_or_b32 s28, s24, exec_lo
	s_xor_b32 s27, exec_lo, -1
.LBB297_1366:
	s_or_b32 exec_lo, exec_lo, s26
	s_delay_alu instid0(SALU_CYCLE_1)
	s_and_not1_b32 s0, s24, exec_lo
	s_and_b32 s24, s28, exec_lo
	s_and_not1_b32 s23, s23, exec_lo
	s_and_b32 s26, s27, exec_lo
	s_or_b32 s24, s0, s24
	s_or_b32 s23, s23, s26
.LBB297_1367:
	s_or_b32 exec_lo, exec_lo, s25
	s_delay_alu instid0(SALU_CYCLE_1)
	s_and_b32 s25, s24, exec_lo
	s_and_b32 s24, s23, exec_lo
                                        ; implicit-def: $vgpr7
.LBB297_1368:
	s_and_not1_saveexec_b32 s22, s22
	s_cbranch_execz .LBB297_1378
; %bb.1369:
	s_mov_b32 s26, -1
	s_mov_b32 s27, s25
	s_mov_b32 s23, exec_lo
                                        ; implicit-def: $vgpr9
	v_cmpx_eq_u16_e32 29, v7
	s_cbranch_execz .LBB297_1377
; %bb.1370:
	flat_load_b64 v[14:15], v[2:3]
	s_mov_b32 s26, exec_lo
	s_wait_loadcnt_dscnt 0x0
	v_clz_i32_u32_e32 v7, v15
	s_delay_alu instid0(VALU_DEP_1) | instskip(NEXT) | instid1(VALU_DEP_1)
	v_min_u32_e32 v7, 32, v7
	v_lshlrev_b64_e32 v[14:15], v7, v[14:15]
	v_sub_nc_u32_e32 v7, 32, v7
	s_delay_alu instid0(VALU_DEP_2) | instskip(NEXT) | instid1(VALU_DEP_1)
	v_min_u32_e32 v9, 1, v14
	v_or_b32_e32 v9, v15, v9
	s_delay_alu instid0(VALU_DEP_1) | instskip(NEXT) | instid1(VALU_DEP_1)
	v_cvt_f32_u32_e32 v9, v9
	v_ldexp_f32 v11, v9, v7
	v_mov_b32_e32 v9, 0x80
	s_wait_xcnt 0x0
	s_delay_alu instid0(VALU_DEP_2)
	v_cmpx_gt_u32_e32 0x43800000, v11
	s_cbranch_execz .LBB297_1376
; %bb.1371:
	v_cmp_lt_u32_e64 s0, 0x3bffffff, v11
	s_mov_b32 s27, 0
                                        ; implicit-def: $vgpr7
	s_and_saveexec_b32 s28, s0
	s_delay_alu instid0(SALU_CYCLE_1)
	s_xor_b32 s0, exec_lo, s28
	s_cbranch_execz .LBB297_2923
; %bb.1372:
	v_bfe_u32 v7, v11, 20, 1
	s_mov_b32 s27, exec_lo
	s_delay_alu instid0(VALU_DEP_1) | instskip(NEXT) | instid1(VALU_DEP_1)
	v_add3_u32 v7, v11, v7, 0x487ffff
                                        ; implicit-def: $vgpr11
	v_lshrrev_b32_e32 v7, 20, v7
	s_and_not1_saveexec_b32 s28, s0
	s_cbranch_execnz .LBB297_2924
.LBB297_1373:
	s_or_b32 exec_lo, exec_lo, s28
	v_mov_b32_e32 v9, 0
	s_and_saveexec_b32 s0, s27
.LBB297_1374:
	v_mov_b32_e32 v9, v7
.LBB297_1375:
	s_or_b32 exec_lo, exec_lo, s0
.LBB297_1376:
	s_delay_alu instid0(SALU_CYCLE_1) | instskip(NEXT) | instid1(SALU_CYCLE_1)
	s_or_b32 exec_lo, exec_lo, s26
	s_or_b32 s27, s25, exec_lo
	s_xor_b32 s26, exec_lo, -1
.LBB297_1377:
	s_or_b32 exec_lo, exec_lo, s23
	s_delay_alu instid0(SALU_CYCLE_1)
	s_and_not1_b32 s0, s25, exec_lo
	s_and_b32 s23, s27, exec_lo
	s_and_not1_b32 s24, s24, exec_lo
	s_and_b32 s26, s26, exec_lo
	s_or_b32 s25, s0, s23
	s_or_b32 s24, s24, s26
.LBB297_1378:
	s_or_b32 exec_lo, exec_lo, s22
	s_delay_alu instid0(SALU_CYCLE_1)
	s_and_b32 s23, s25, exec_lo
	s_and_b32 s22, s24, exec_lo
                                        ; implicit-def: $vgpr7
.LBB297_1379:
	s_and_not1_saveexec_b32 s20, s20
	s_cbranch_execz .LBB297_1401
; %bb.1380:
	s_mov_b32 s24, exec_lo
                                        ; implicit-def: $vgpr9
	v_cmpx_lt_i16_e32 26, v7
	s_xor_b32 s24, exec_lo, s24
	s_cbranch_execz .LBB297_1398
; %bb.1381:
	s_mov_b32 s25, exec_lo
                                        ; implicit-def: $vgpr9
	v_cmpx_lt_i16_e32 27, v7
	s_xor_b32 s25, exec_lo, s25
	s_cbranch_execz .LBB297_1389
; %bb.1382:
	flat_load_b32 v7, v[2:3]
	s_wait_loadcnt_dscnt 0x101
	v_mov_b32_e32 v9, 0x80
	s_mov_b32 s26, exec_lo
	s_wait_loadcnt_dscnt 0x0
	v_cvt_f32_u32_e32 v11, v7
	s_wait_xcnt 0x0
	s_delay_alu instid0(VALU_DEP_1)
	v_cmpx_gt_u32_e32 0x43800000, v11
	s_cbranch_execz .LBB297_1388
; %bb.1383:
	v_cmp_lt_u32_e64 s0, 0x3bffffff, v11
	s_mov_b32 s27, 0
                                        ; implicit-def: $vgpr7
	s_and_saveexec_b32 s28, s0
	s_delay_alu instid0(SALU_CYCLE_1)
	s_xor_b32 s0, exec_lo, s28
	s_cbranch_execz .LBB297_2925
; %bb.1384:
	v_bfe_u32 v7, v11, 20, 1
	s_mov_b32 s27, exec_lo
	s_delay_alu instid0(VALU_DEP_1) | instskip(NEXT) | instid1(VALU_DEP_1)
	v_add3_u32 v7, v11, v7, 0x487ffff
                                        ; implicit-def: $vgpr11
	v_lshrrev_b32_e32 v7, 20, v7
	s_and_not1_saveexec_b32 s28, s0
	s_cbranch_execnz .LBB297_2926
.LBB297_1385:
	s_or_b32 exec_lo, exec_lo, s28
	v_mov_b32_e32 v9, 0
	s_and_saveexec_b32 s0, s27
.LBB297_1386:
	v_mov_b32_e32 v9, v7
.LBB297_1387:
	s_or_b32 exec_lo, exec_lo, s0
.LBB297_1388:
	s_delay_alu instid0(SALU_CYCLE_1)
	s_or_b32 exec_lo, exec_lo, s26
.LBB297_1389:
	s_and_not1_saveexec_b32 s25, s25
	s_cbranch_execz .LBB297_1397
; %bb.1390:
	flat_load_u16 v7, v[2:3]
	s_wait_loadcnt_dscnt 0x101
	v_mov_b32_e32 v9, 0x80
	s_mov_b32 s26, exec_lo
	s_wait_loadcnt_dscnt 0x0
	v_cvt_f32_u32_e32 v11, v7
	s_wait_xcnt 0x0
	s_delay_alu instid0(VALU_DEP_1)
	v_cmpx_gt_u32_e32 0x43800000, v11
	s_cbranch_execz .LBB297_1396
; %bb.1391:
	v_cmp_lt_u32_e64 s0, 0x3bffffff, v11
	s_mov_b32 s27, 0
                                        ; implicit-def: $vgpr7
	s_and_saveexec_b32 s28, s0
	s_delay_alu instid0(SALU_CYCLE_1)
	s_xor_b32 s0, exec_lo, s28
	s_cbranch_execz .LBB297_2927
; %bb.1392:
	v_bfe_u32 v7, v11, 20, 1
	s_mov_b32 s27, exec_lo
	s_delay_alu instid0(VALU_DEP_1) | instskip(NEXT) | instid1(VALU_DEP_1)
	v_add3_u32 v7, v11, v7, 0x487ffff
                                        ; implicit-def: $vgpr11
	v_lshrrev_b32_e32 v7, 20, v7
	s_and_not1_saveexec_b32 s28, s0
	s_cbranch_execnz .LBB297_2928
.LBB297_1393:
	s_or_b32 exec_lo, exec_lo, s28
	v_mov_b32_e32 v9, 0
	s_and_saveexec_b32 s0, s27
.LBB297_1394:
	v_mov_b32_e32 v9, v7
.LBB297_1395:
	s_or_b32 exec_lo, exec_lo, s0
.LBB297_1396:
	s_delay_alu instid0(SALU_CYCLE_1)
	s_or_b32 exec_lo, exec_lo, s26
.LBB297_1397:
	s_delay_alu instid0(SALU_CYCLE_1)
	s_or_b32 exec_lo, exec_lo, s25
.LBB297_1398:
	s_and_not1_saveexec_b32 s0, s24
	s_cbranch_execz .LBB297_1400
; %bb.1399:
	s_wait_loadcnt_dscnt 0x0
	flat_load_u8 v9, v[2:3]
.LBB297_1400:
	s_wait_xcnt 0x0
	s_or_b32 exec_lo, exec_lo, s0
	s_delay_alu instid0(SALU_CYCLE_1)
	s_or_b32 s23, s23, exec_lo
.LBB297_1401:
	s_or_b32 exec_lo, exec_lo, s20
	s_delay_alu instid0(SALU_CYCLE_1)
	s_and_b32 s20, s23, exec_lo
	s_and_b32 s22, s22, exec_lo
                                        ; implicit-def: $vgpr7
	s_and_not1_saveexec_b32 s21, s21
	s_cbranch_execnz .LBB297_2497
.LBB297_1402:
	s_or_b32 exec_lo, exec_lo, s21
	s_mov_b32 s21, s15
	s_and_saveexec_b32 s0, s22
	s_cbranch_execnz .LBB297_2546
.LBB297_1403:
	s_or_b32 exec_lo, exec_lo, s0
	s_and_saveexec_b32 s0, s18
	s_delay_alu instid0(SALU_CYCLE_1)
	s_xor_b32 s18, exec_lo, s0
	s_cbranch_execz .LBB297_1411
.LBB297_1404:
	flat_load_u8 v2, v[2:3]
	s_wait_loadcnt_dscnt 0x101
	v_mov_b32_e32 v9, 0x80
	s_mov_b32 s23, 0
	s_mov_b32 s22, exec_lo
	s_wait_loadcnt_dscnt 0x0
	v_cmp_ne_u16_e64 s0, 0, v2
	s_wait_xcnt 0x0
	s_delay_alu instid0(VALU_DEP_1) | instskip(NEXT) | instid1(VALU_DEP_1)
	v_cndmask_b32_e64 v3, 0, 1.0, s0
	v_cmpx_gt_u32_e32 0x43800000, v3
	s_cbranch_execz .LBB297_1410
; %bb.1405:
	v_cmp_lt_u32_e64 s0, 0x3bffffff, v3
                                        ; implicit-def: $vgpr2
	s_and_saveexec_b32 s24, s0
	s_delay_alu instid0(SALU_CYCLE_1)
	s_xor_b32 s0, exec_lo, s24
	s_cbranch_execz .LBB297_2684
; %bb.1406:
	v_bfe_u32 v2, v3, 20, 1
	s_mov_b32 s23, exec_lo
	s_delay_alu instid0(VALU_DEP_1) | instskip(NEXT) | instid1(VALU_DEP_1)
	v_add3_u32 v2, v3, v2, 0x487ffff
                                        ; implicit-def: $vgpr3
	v_lshrrev_b32_e32 v2, 20, v2
	s_and_not1_saveexec_b32 s24, s0
	s_cbranch_execnz .LBB297_2685
.LBB297_1407:
	s_or_b32 exec_lo, exec_lo, s24
	v_mov_b32_e32 v9, 0
	s_and_saveexec_b32 s0, s23
.LBB297_1408:
	v_mov_b32_e32 v9, v2
.LBB297_1409:
	s_or_b32 exec_lo, exec_lo, s0
.LBB297_1410:
	s_delay_alu instid0(SALU_CYCLE_1) | instskip(NEXT) | instid1(SALU_CYCLE_1)
	s_or_b32 exec_lo, exec_lo, s22
	s_or_b32 s20, s20, exec_lo
.LBB297_1411:
	s_or_b32 exec_lo, exec_lo, s18
	s_delay_alu instid0(SALU_CYCLE_1)
	s_and_not1_b32 s0, s15, exec_lo
	s_and_b32 s18, s21, exec_lo
	s_and_b32 s20, s20, exec_lo
	s_or_b32 s18, s0, s18
                                        ; implicit-def: $vgpr7
                                        ; implicit-def: $vgpr2_vgpr3
.LBB297_1412:
	s_and_not1_saveexec_b32 s19, s19
	s_cbranch_execz .LBB297_1520
; %bb.1413:
	s_mov_b32 s21, exec_lo
                                        ; implicit-def: $vgpr9
	v_cmpx_lt_i16_e32 4, v7
	s_xor_b32 s21, exec_lo, s21
	s_cbranch_execz .LBB297_1471
; %bb.1414:
	s_mov_b32 s22, exec_lo
                                        ; implicit-def: $vgpr9
	v_cmpx_lt_i16_e32 7, v7
	s_xor_b32 s22, exec_lo, s22
	;; [unrolled: 6-line block ×4, first 2 shown]
	s_cbranch_execz .LBB297_1424
; %bb.1417:
	flat_load_b64 v[2:3], v[2:3]
	s_wait_loadcnt_dscnt 0x101
	v_mov_b32_e32 v9, 0x80
	s_mov_b32 s25, exec_lo
	s_wait_loadcnt_dscnt 0x0
	v_cvt_f32_f64_e32 v2, v[2:3]
	s_delay_alu instid0(VALU_DEP_1) | instskip(NEXT) | instid1(VALU_DEP_1)
	v_and_b32_e32 v3, 0x7fffffff, v2
	v_cmpx_gt_u32_e32 0x43800000, v3
	s_cbranch_execz .LBB297_1423
; %bb.1418:
	v_cmp_lt_u32_e64 s0, 0x3bffffff, v3
	s_mov_b32 s26, 0
                                        ; implicit-def: $vgpr3
	s_and_saveexec_b32 s27, s0
	s_delay_alu instid0(SALU_CYCLE_1)
	s_xor_b32 s0, exec_lo, s27
	s_cbranch_execz .LBB297_2929
; %bb.1419:
	v_bfe_u32 v3, v2, 20, 1
	s_mov_b32 s26, exec_lo
	s_delay_alu instid0(VALU_DEP_1) | instskip(NEXT) | instid1(VALU_DEP_1)
	v_add3_u32 v3, v2, v3, 0x487ffff
	v_lshrrev_b32_e32 v3, 20, v3
	s_and_not1_saveexec_b32 s27, s0
	s_cbranch_execnz .LBB297_2930
.LBB297_1420:
	s_or_b32 exec_lo, exec_lo, s27
	v_mov_b32_e32 v9, 0
	s_and_saveexec_b32 s0, s26
.LBB297_1421:
	v_lshrrev_b32_e32 v2, 24, v2
	s_delay_alu instid0(VALU_DEP_1)
	v_and_or_b32 v9, 0x80, v2, v3
.LBB297_1422:
	s_or_b32 exec_lo, exec_lo, s0
.LBB297_1423:
	s_delay_alu instid0(SALU_CYCLE_1)
	s_or_b32 exec_lo, exec_lo, s25
                                        ; implicit-def: $vgpr2_vgpr3
.LBB297_1424:
	s_and_not1_saveexec_b32 s24, s24
	s_cbranch_execz .LBB297_1432
; %bb.1425:
	flat_load_b32 v2, v[2:3]
	s_wait_loadcnt_dscnt 0x101
	v_mov_b32_e32 v9, 0x80
	s_mov_b32 s25, exec_lo
	s_wait_loadcnt_dscnt 0x0
	v_and_b32_e32 v3, 0x7fffffff, v2
	s_delay_alu instid0(VALU_DEP_1)
	v_cmpx_gt_u32_e32 0x43800000, v3
	s_cbranch_execz .LBB297_1431
; %bb.1426:
	v_cmp_lt_u32_e64 s0, 0x3bffffff, v3
	s_mov_b32 s26, 0
                                        ; implicit-def: $vgpr3
	s_and_saveexec_b32 s27, s0
	s_delay_alu instid0(SALU_CYCLE_1)
	s_xor_b32 s0, exec_lo, s27
	s_cbranch_execz .LBB297_2931
; %bb.1427:
	v_bfe_u32 v3, v2, 20, 1
	s_mov_b32 s26, exec_lo
	s_delay_alu instid0(VALU_DEP_1) | instskip(NEXT) | instid1(VALU_DEP_1)
	v_add3_u32 v3, v2, v3, 0x487ffff
	v_lshrrev_b32_e32 v3, 20, v3
	s_and_not1_saveexec_b32 s27, s0
	s_cbranch_execnz .LBB297_2932
.LBB297_1428:
	s_or_b32 exec_lo, exec_lo, s27
	v_mov_b32_e32 v9, 0
	s_and_saveexec_b32 s0, s26
.LBB297_1429:
	v_lshrrev_b32_e32 v2, 24, v2
	s_delay_alu instid0(VALU_DEP_1)
	v_and_or_b32 v9, 0x80, v2, v3
.LBB297_1430:
	s_or_b32 exec_lo, exec_lo, s0
.LBB297_1431:
	s_delay_alu instid0(SALU_CYCLE_1)
	s_or_b32 exec_lo, exec_lo, s25
.LBB297_1432:
	s_delay_alu instid0(SALU_CYCLE_1)
	s_or_b32 exec_lo, exec_lo, s24
                                        ; implicit-def: $vgpr2_vgpr3
.LBB297_1433:
	s_and_not1_saveexec_b32 s23, s23
	s_cbranch_execz .LBB297_1441
; %bb.1434:
	flat_load_b32 v2, v[2:3]
	s_wait_loadcnt_dscnt 0x101
	v_mov_b32_e32 v9, 0x80
	s_mov_b32 s24, exec_lo
	s_wait_loadcnt_dscnt 0x0
	v_cvt_f32_f16_e32 v2, v2
	s_delay_alu instid0(VALU_DEP_1) | instskip(NEXT) | instid1(VALU_DEP_1)
	v_and_b32_e32 v3, 0x7fffffff, v2
	v_cmpx_gt_u32_e32 0x43800000, v3
	s_cbranch_execz .LBB297_1440
; %bb.1435:
	v_cmp_lt_u32_e64 s0, 0x3bffffff, v3
	s_mov_b32 s25, 0
                                        ; implicit-def: $vgpr3
	s_and_saveexec_b32 s26, s0
	s_delay_alu instid0(SALU_CYCLE_1)
	s_xor_b32 s0, exec_lo, s26
	s_cbranch_execz .LBB297_2856
; %bb.1436:
	v_bfe_u32 v3, v2, 20, 1
	s_mov_b32 s25, exec_lo
	s_delay_alu instid0(VALU_DEP_1) | instskip(NEXT) | instid1(VALU_DEP_1)
	v_add3_u32 v3, v2, v3, 0x487ffff
	v_lshrrev_b32_e32 v3, 20, v3
	s_and_not1_saveexec_b32 s26, s0
	s_cbranch_execnz .LBB297_2857
.LBB297_1437:
	s_or_b32 exec_lo, exec_lo, s26
	v_mov_b32_e32 v9, 0
	s_and_saveexec_b32 s0, s25
.LBB297_1438:
	v_lshrrev_b32_e32 v2, 24, v2
	s_delay_alu instid0(VALU_DEP_1)
	v_and_or_b32 v9, 0x80, v2, v3
.LBB297_1439:
	s_or_b32 exec_lo, exec_lo, s0
.LBB297_1440:
	s_delay_alu instid0(SALU_CYCLE_1)
	s_or_b32 exec_lo, exec_lo, s24
.LBB297_1441:
	s_delay_alu instid0(SALU_CYCLE_1)
	s_or_b32 exec_lo, exec_lo, s23
                                        ; implicit-def: $vgpr7
                                        ; implicit-def: $vgpr2_vgpr3
.LBB297_1442:
	s_and_not1_saveexec_b32 s22, s22
	s_cbranch_execz .LBB297_1470
; %bb.1443:
	s_mov_b32 s23, exec_lo
                                        ; implicit-def: $vgpr9
	v_cmpx_lt_i16_e32 5, v7
	s_xor_b32 s23, exec_lo, s23
	s_cbranch_execz .LBB297_1461
; %bb.1444:
	s_mov_b32 s24, exec_lo
                                        ; implicit-def: $vgpr9
	v_cmpx_lt_i16_e32 6, v7
	s_xor_b32 s24, exec_lo, s24
	s_cbranch_execz .LBB297_1452
; %bb.1445:
	flat_load_b64 v[2:3], v[2:3]
	s_wait_loadcnt_dscnt 0x101
	v_mov_b32_e32 v9, 0x80
	s_mov_b32 s25, exec_lo
	s_wait_loadcnt_dscnt 0x0
	v_cvt_f32_f64_e32 v2, v[2:3]
	s_delay_alu instid0(VALU_DEP_1) | instskip(NEXT) | instid1(VALU_DEP_1)
	v_and_b32_e32 v3, 0x7fffffff, v2
	v_cmpx_gt_u32_e32 0x43800000, v3
	s_cbranch_execz .LBB297_1451
; %bb.1446:
	v_cmp_lt_u32_e64 s0, 0x3bffffff, v3
	s_mov_b32 s26, 0
                                        ; implicit-def: $vgpr3
	s_and_saveexec_b32 s27, s0
	s_delay_alu instid0(SALU_CYCLE_1)
	s_xor_b32 s0, exec_lo, s27
	s_cbranch_execz .LBB297_2933
; %bb.1447:
	v_bfe_u32 v3, v2, 20, 1
	s_mov_b32 s26, exec_lo
	s_delay_alu instid0(VALU_DEP_1) | instskip(NEXT) | instid1(VALU_DEP_1)
	v_add3_u32 v3, v2, v3, 0x487ffff
	v_lshrrev_b32_e32 v3, 20, v3
	s_and_not1_saveexec_b32 s27, s0
	s_cbranch_execnz .LBB297_2934
.LBB297_1448:
	s_or_b32 exec_lo, exec_lo, s27
	v_mov_b32_e32 v9, 0
	s_and_saveexec_b32 s0, s26
.LBB297_1449:
	v_lshrrev_b32_e32 v2, 24, v2
	s_delay_alu instid0(VALU_DEP_1)
	v_and_or_b32 v9, 0x80, v2, v3
.LBB297_1450:
	s_or_b32 exec_lo, exec_lo, s0
.LBB297_1451:
	s_delay_alu instid0(SALU_CYCLE_1)
	s_or_b32 exec_lo, exec_lo, s25
                                        ; implicit-def: $vgpr2_vgpr3
.LBB297_1452:
	s_and_not1_saveexec_b32 s24, s24
	s_cbranch_execz .LBB297_1460
; %bb.1453:
	flat_load_b32 v2, v[2:3]
	s_wait_loadcnt_dscnt 0x101
	v_mov_b32_e32 v9, 0x80
	s_mov_b32 s25, exec_lo
	s_wait_loadcnt_dscnt 0x0
	v_and_b32_e32 v3, 0x7fffffff, v2
	s_delay_alu instid0(VALU_DEP_1)
	v_cmpx_gt_u32_e32 0x43800000, v3
	s_cbranch_execz .LBB297_1459
; %bb.1454:
	v_cmp_lt_u32_e64 s0, 0x3bffffff, v3
	s_mov_b32 s26, 0
                                        ; implicit-def: $vgpr3
	s_and_saveexec_b32 s27, s0
	s_delay_alu instid0(SALU_CYCLE_1)
	s_xor_b32 s0, exec_lo, s27
	s_cbranch_execz .LBB297_2935
; %bb.1455:
	v_bfe_u32 v3, v2, 20, 1
	s_mov_b32 s26, exec_lo
	s_delay_alu instid0(VALU_DEP_1) | instskip(NEXT) | instid1(VALU_DEP_1)
	v_add3_u32 v3, v2, v3, 0x487ffff
	v_lshrrev_b32_e32 v3, 20, v3
	s_and_not1_saveexec_b32 s27, s0
	s_cbranch_execnz .LBB297_2936
.LBB297_1456:
	s_or_b32 exec_lo, exec_lo, s27
	v_mov_b32_e32 v9, 0
	s_and_saveexec_b32 s0, s26
.LBB297_1457:
	v_lshrrev_b32_e32 v2, 24, v2
	s_delay_alu instid0(VALU_DEP_1)
	v_and_or_b32 v9, 0x80, v2, v3
.LBB297_1458:
	s_or_b32 exec_lo, exec_lo, s0
.LBB297_1459:
	s_delay_alu instid0(SALU_CYCLE_1)
	s_or_b32 exec_lo, exec_lo, s25
.LBB297_1460:
	s_delay_alu instid0(SALU_CYCLE_1)
	s_or_b32 exec_lo, exec_lo, s24
                                        ; implicit-def: $vgpr2_vgpr3
.LBB297_1461:
	s_and_not1_saveexec_b32 s23, s23
	s_cbranch_execz .LBB297_1469
; %bb.1462:
	flat_load_u16 v2, v[2:3]
	s_wait_loadcnt_dscnt 0x101
	v_mov_b32_e32 v9, 0x80
	s_mov_b32 s24, exec_lo
	s_wait_loadcnt_dscnt 0x0
	v_cvt_f32_f16_e32 v2, v2
	s_delay_alu instid0(VALU_DEP_1) | instskip(NEXT) | instid1(VALU_DEP_1)
	v_and_b32_e32 v3, 0x7fffffff, v2
	v_cmpx_gt_u32_e32 0x43800000, v3
	s_cbranch_execz .LBB297_1468
; %bb.1463:
	v_cmp_lt_u32_e64 s0, 0x3bffffff, v3
	s_mov_b32 s25, 0
                                        ; implicit-def: $vgpr3
	s_and_saveexec_b32 s26, s0
	s_delay_alu instid0(SALU_CYCLE_1)
	s_xor_b32 s0, exec_lo, s26
	s_cbranch_execz .LBB297_2858
; %bb.1464:
	v_bfe_u32 v3, v2, 20, 1
	s_mov_b32 s25, exec_lo
	s_delay_alu instid0(VALU_DEP_1) | instskip(NEXT) | instid1(VALU_DEP_1)
	v_add3_u32 v3, v2, v3, 0x487ffff
	v_lshrrev_b32_e32 v3, 20, v3
	s_and_not1_saveexec_b32 s26, s0
	s_cbranch_execnz .LBB297_2859
.LBB297_1465:
	s_or_b32 exec_lo, exec_lo, s26
	v_mov_b32_e32 v9, 0
	s_and_saveexec_b32 s0, s25
.LBB297_1466:
	v_lshrrev_b32_e32 v2, 24, v2
	s_delay_alu instid0(VALU_DEP_1)
	v_and_or_b32 v9, 0x80, v2, v3
.LBB297_1467:
	s_or_b32 exec_lo, exec_lo, s0
.LBB297_1468:
	s_delay_alu instid0(SALU_CYCLE_1)
	s_or_b32 exec_lo, exec_lo, s24
.LBB297_1469:
	s_delay_alu instid0(SALU_CYCLE_1)
	s_or_b32 exec_lo, exec_lo, s23
.LBB297_1470:
	s_delay_alu instid0(SALU_CYCLE_1)
	s_or_b32 exec_lo, exec_lo, s22
                                        ; implicit-def: $vgpr7
                                        ; implicit-def: $vgpr2_vgpr3
.LBB297_1471:
	s_and_not1_saveexec_b32 s21, s21
	s_cbranch_execz .LBB297_1519
; %bb.1472:
	s_mov_b32 s22, exec_lo
                                        ; implicit-def: $vgpr9
	v_cmpx_lt_i16_e32 1, v7
	s_xor_b32 s22, exec_lo, s22
	s_cbranch_execz .LBB297_1500
; %bb.1473:
	s_mov_b32 s23, exec_lo
                                        ; implicit-def: $vgpr9
	v_cmpx_lt_i16_e32 2, v7
	s_xor_b32 s23, exec_lo, s23
	;; [unrolled: 6-line block ×3, first 2 shown]
	s_cbranch_execz .LBB297_1482
; %bb.1475:
	flat_load_b64 v[2:3], v[2:3]
	s_mov_b32 s25, exec_lo
	s_wait_loadcnt_dscnt 0x0
	v_xor_b32_e32 v7, v2, v3
	v_cls_i32_e32 v9, v3
	s_delay_alu instid0(VALU_DEP_2) | instskip(NEXT) | instid1(VALU_DEP_1)
	v_ashrrev_i32_e32 v7, 31, v7
	v_add_nc_u32_e32 v7, 32, v7
	s_delay_alu instid0(VALU_DEP_1) | instskip(SKIP_2) | instid1(VALU_DEP_2)
	v_add_min_u32_e64 v7, v9, -1, v7
	v_mov_b32_e32 v9, 0x80
	s_wait_xcnt 0x0
	v_lshlrev_b64_e32 v[2:3], v7, v[2:3]
	s_delay_alu instid0(VALU_DEP_1) | instskip(NEXT) | instid1(VALU_DEP_1)
	v_min_u32_e32 v2, 1, v2
	v_dual_sub_nc_u32 v3, 32, v7 :: v_dual_bitop2_b32 v2, v3, v2 bitop3:0x54
	s_delay_alu instid0(VALU_DEP_1) | instskip(NEXT) | instid1(VALU_DEP_1)
	v_cvt_f32_i32_e32 v2, v2
	v_ldexp_f32 v2, v2, v3
	s_delay_alu instid0(VALU_DEP_1) | instskip(NEXT) | instid1(VALU_DEP_1)
	v_and_b32_e32 v3, 0x7fffffff, v2
	v_cmpx_gt_u32_e32 0x43800000, v3
	s_cbranch_execz .LBB297_1481
; %bb.1476:
	v_cmp_lt_u32_e64 s0, 0x3bffffff, v3
	s_mov_b32 s26, 0
                                        ; implicit-def: $vgpr3
	s_and_saveexec_b32 s27, s0
	s_delay_alu instid0(SALU_CYCLE_1)
	s_xor_b32 s0, exec_lo, s27
	s_cbranch_execz .LBB297_2937
; %bb.1477:
	v_bfe_u32 v3, v2, 20, 1
	s_mov_b32 s26, exec_lo
	s_delay_alu instid0(VALU_DEP_1) | instskip(NEXT) | instid1(VALU_DEP_1)
	v_add3_u32 v3, v2, v3, 0x487ffff
	v_lshrrev_b32_e32 v3, 20, v3
	s_and_not1_saveexec_b32 s27, s0
	s_cbranch_execnz .LBB297_2938
.LBB297_1478:
	s_or_b32 exec_lo, exec_lo, s27
	v_mov_b32_e32 v9, 0
	s_and_saveexec_b32 s0, s26
.LBB297_1479:
	v_lshrrev_b32_e32 v2, 24, v2
	s_delay_alu instid0(VALU_DEP_1)
	v_and_or_b32 v9, 0x80, v2, v3
.LBB297_1480:
	s_or_b32 exec_lo, exec_lo, s0
.LBB297_1481:
	s_delay_alu instid0(SALU_CYCLE_1)
	s_or_b32 exec_lo, exec_lo, s25
                                        ; implicit-def: $vgpr2_vgpr3
.LBB297_1482:
	s_and_not1_saveexec_b32 s24, s24
	s_cbranch_execz .LBB297_1490
; %bb.1483:
	flat_load_b32 v2, v[2:3]
	s_wait_loadcnt_dscnt 0x101
	v_mov_b32_e32 v9, 0x80
	s_mov_b32 s25, exec_lo
	s_wait_loadcnt_dscnt 0x0
	v_cvt_f32_i32_e32 v2, v2
	s_delay_alu instid0(VALU_DEP_1) | instskip(NEXT) | instid1(VALU_DEP_1)
	v_and_b32_e32 v3, 0x7fffffff, v2
	v_cmpx_gt_u32_e32 0x43800000, v3
	s_cbranch_execz .LBB297_1489
; %bb.1484:
	v_cmp_lt_u32_e64 s0, 0x3bffffff, v3
	s_mov_b32 s26, 0
                                        ; implicit-def: $vgpr3
	s_and_saveexec_b32 s27, s0
	s_delay_alu instid0(SALU_CYCLE_1)
	s_xor_b32 s0, exec_lo, s27
	s_cbranch_execz .LBB297_2939
; %bb.1485:
	v_bfe_u32 v3, v2, 20, 1
	s_mov_b32 s26, exec_lo
	s_delay_alu instid0(VALU_DEP_1) | instskip(NEXT) | instid1(VALU_DEP_1)
	v_add3_u32 v3, v2, v3, 0x487ffff
	v_lshrrev_b32_e32 v3, 20, v3
	s_and_not1_saveexec_b32 s27, s0
	s_cbranch_execnz .LBB297_2940
.LBB297_1486:
	s_or_b32 exec_lo, exec_lo, s27
	v_mov_b32_e32 v9, 0
	s_and_saveexec_b32 s0, s26
.LBB297_1487:
	v_lshrrev_b32_e32 v2, 24, v2
	s_delay_alu instid0(VALU_DEP_1)
	v_and_or_b32 v9, 0x80, v2, v3
.LBB297_1488:
	s_or_b32 exec_lo, exec_lo, s0
.LBB297_1489:
	s_delay_alu instid0(SALU_CYCLE_1)
	s_or_b32 exec_lo, exec_lo, s25
.LBB297_1490:
	s_delay_alu instid0(SALU_CYCLE_1)
	s_or_b32 exec_lo, exec_lo, s24
                                        ; implicit-def: $vgpr2_vgpr3
.LBB297_1491:
	s_and_not1_saveexec_b32 s23, s23
	s_cbranch_execz .LBB297_1499
; %bb.1492:
	flat_load_i16 v2, v[2:3]
	s_wait_loadcnt_dscnt 0x101
	v_mov_b32_e32 v9, 0x80
	s_mov_b32 s24, exec_lo
	s_wait_loadcnt_dscnt 0x0
	v_cvt_f32_i32_e32 v2, v2
	s_delay_alu instid0(VALU_DEP_1) | instskip(NEXT) | instid1(VALU_DEP_1)
	v_and_b32_e32 v3, 0x7fffffff, v2
	v_cmpx_gt_u32_e32 0x43800000, v3
	s_cbranch_execz .LBB297_1498
; %bb.1493:
	v_cmp_lt_u32_e64 s0, 0x3bffffff, v3
	s_mov_b32 s25, 0
                                        ; implicit-def: $vgpr3
	s_and_saveexec_b32 s26, s0
	s_delay_alu instid0(SALU_CYCLE_1)
	s_xor_b32 s0, exec_lo, s26
	s_cbranch_execz .LBB297_2860
; %bb.1494:
	v_bfe_u32 v3, v2, 20, 1
	s_mov_b32 s25, exec_lo
	s_delay_alu instid0(VALU_DEP_1) | instskip(NEXT) | instid1(VALU_DEP_1)
	v_add3_u32 v3, v2, v3, 0x487ffff
	v_lshrrev_b32_e32 v3, 20, v3
	s_and_not1_saveexec_b32 s26, s0
	s_cbranch_execnz .LBB297_2861
.LBB297_1495:
	s_or_b32 exec_lo, exec_lo, s26
	v_mov_b32_e32 v9, 0
	s_and_saveexec_b32 s0, s25
.LBB297_1496:
	v_lshrrev_b32_e32 v2, 24, v2
	s_delay_alu instid0(VALU_DEP_1)
	v_and_or_b32 v9, 0x80, v2, v3
.LBB297_1497:
	s_or_b32 exec_lo, exec_lo, s0
.LBB297_1498:
	s_delay_alu instid0(SALU_CYCLE_1)
	s_or_b32 exec_lo, exec_lo, s24
.LBB297_1499:
	s_delay_alu instid0(SALU_CYCLE_1)
	s_or_b32 exec_lo, exec_lo, s23
                                        ; implicit-def: $vgpr7
                                        ; implicit-def: $vgpr2_vgpr3
.LBB297_1500:
	s_and_not1_saveexec_b32 s22, s22
	s_cbranch_execz .LBB297_1518
; %bb.1501:
	s_mov_b32 s23, exec_lo
                                        ; implicit-def: $vgpr9
	v_cmpx_lt_i16_e32 0, v7
	s_xor_b32 s23, exec_lo, s23
	s_cbranch_execz .LBB297_1509
; %bb.1502:
	flat_load_i8 v2, v[2:3]
	s_wait_loadcnt_dscnt 0x101
	v_mov_b32_e32 v9, 0x80
	s_mov_b32 s24, exec_lo
	s_wait_loadcnt_dscnt 0x0
	v_cvt_f32_i32_e32 v2, v2
	s_delay_alu instid0(VALU_DEP_1) | instskip(NEXT) | instid1(VALU_DEP_1)
	v_and_b32_e32 v3, 0x7fffffff, v2
	v_cmpx_gt_u32_e32 0x43800000, v3
	s_cbranch_execz .LBB297_1508
; %bb.1503:
	v_cmp_lt_u32_e64 s0, 0x3bffffff, v3
	s_mov_b32 s25, 0
                                        ; implicit-def: $vgpr3
	s_and_saveexec_b32 s26, s0
	s_delay_alu instid0(SALU_CYCLE_1)
	s_xor_b32 s0, exec_lo, s26
	s_cbranch_execz .LBB297_2862
; %bb.1504:
	v_bfe_u32 v3, v2, 20, 1
	s_mov_b32 s25, exec_lo
	s_delay_alu instid0(VALU_DEP_1) | instskip(NEXT) | instid1(VALU_DEP_1)
	v_add3_u32 v3, v2, v3, 0x487ffff
	v_lshrrev_b32_e32 v3, 20, v3
	s_and_not1_saveexec_b32 s26, s0
	s_cbranch_execnz .LBB297_2863
.LBB297_1505:
	s_or_b32 exec_lo, exec_lo, s26
	v_mov_b32_e32 v9, 0
	s_and_saveexec_b32 s0, s25
.LBB297_1506:
	v_lshrrev_b32_e32 v2, 24, v2
	s_delay_alu instid0(VALU_DEP_1)
	v_and_or_b32 v9, 0x80, v2, v3
.LBB297_1507:
	s_or_b32 exec_lo, exec_lo, s0
.LBB297_1508:
	s_delay_alu instid0(SALU_CYCLE_1)
	s_or_b32 exec_lo, exec_lo, s24
                                        ; implicit-def: $vgpr2_vgpr3
.LBB297_1509:
	s_and_not1_saveexec_b32 s23, s23
	s_cbranch_execz .LBB297_1517
; %bb.1510:
	flat_load_u8 v2, v[2:3]
	s_wait_loadcnt_dscnt 0x101
	v_mov_b32_e32 v9, 0x80
	s_mov_b32 s24, exec_lo
	s_wait_loadcnt_dscnt 0x0
	v_cvt_f32_ubyte0_e32 v3, v2
	s_delay_alu instid0(VALU_DEP_1)
	v_cmpx_gt_u32_e32 0x43800000, v3
	s_cbranch_execz .LBB297_1516
; %bb.1511:
	v_cmp_lt_u32_e64 s0, 0x3bffffff, v3
	s_mov_b32 s25, 0
                                        ; implicit-def: $vgpr2
	s_and_saveexec_b32 s26, s0
	s_delay_alu instid0(SALU_CYCLE_1)
	s_xor_b32 s0, exec_lo, s26
	s_cbranch_execz .LBB297_2864
; %bb.1512:
	v_bfe_u32 v2, v3, 20, 1
	s_mov_b32 s25, exec_lo
	s_delay_alu instid0(VALU_DEP_1) | instskip(NEXT) | instid1(VALU_DEP_1)
	v_add3_u32 v2, v3, v2, 0x487ffff
                                        ; implicit-def: $vgpr3
	v_lshrrev_b32_e32 v2, 20, v2
	s_and_not1_saveexec_b32 s26, s0
	s_cbranch_execnz .LBB297_2865
.LBB297_1513:
	s_or_b32 exec_lo, exec_lo, s26
	v_mov_b32_e32 v9, 0
	s_and_saveexec_b32 s0, s25
.LBB297_1514:
	v_mov_b32_e32 v9, v2
.LBB297_1515:
	s_or_b32 exec_lo, exec_lo, s0
.LBB297_1516:
	s_delay_alu instid0(SALU_CYCLE_1)
	s_or_b32 exec_lo, exec_lo, s24
.LBB297_1517:
	s_delay_alu instid0(SALU_CYCLE_1)
	s_or_b32 exec_lo, exec_lo, s23
.LBB297_1518:
	s_delay_alu instid0(SALU_CYCLE_1)
	s_or_b32 exec_lo, exec_lo, s22
.LBB297_1519:
	s_delay_alu instid0(SALU_CYCLE_1) | instskip(NEXT) | instid1(SALU_CYCLE_1)
	s_or_b32 exec_lo, exec_lo, s21
	s_or_b32 s20, s20, exec_lo
.LBB297_1520:
	s_or_b32 exec_lo, exec_lo, s19
	s_mov_b32 s0, 0
	s_mov_b32 s22, 0
                                        ; implicit-def: $sgpr21
                                        ; implicit-def: $vgpr30_vgpr31
                                        ; implicit-def: $vgpr15
	s_and_saveexec_b32 s19, s20
	s_cbranch_execz .LBB297_2023
; %bb.1521:
	s_wait_loadcnt_dscnt 0x0
	v_mov_b32_e32 v13, 0
	s_mov_b32 s23, 0
	s_mov_b32 s20, s18
	s_mov_b32 s21, exec_lo
                                        ; implicit-def: $vgpr7
	s_delay_alu instid0(VALU_DEP_1)
	v_add_nc_u64_e32 v[2:3], v[16:17], v[12:13]
	v_cmpx_lt_i16_e32 10, v5
	s_xor_b32 s21, exec_lo, s21
	s_cbranch_execz .LBB297_1590
; %bb.1522:
	s_mov_b32 s20, 0
	s_mov_b32 s24, 0
	s_mov_b32 s23, exec_lo
                                        ; implicit-def: $vgpr7
	v_cmpx_lt_i16_e32 25, v5
	s_xor_b32 s23, exec_lo, s23
	s_cbranch_execz .LBB297_2591
; %bb.1523:
	s_mov_b32 s25, 0
	s_mov_b32 s22, exec_lo
                                        ; implicit-def: $vgpr7
	v_cmpx_lt_i16_e32 28, v5
	s_xor_b32 s22, exec_lo, s22
	s_cbranch_execz .LBB297_1557
; %bb.1524:
	s_mov_b32 s26, 0
	s_mov_b32 s27, 0
	s_mov_b32 s24, exec_lo
                                        ; implicit-def: $vgpr7
	v_cmpx_lt_i16_e32 43, v5
	s_xor_b32 s24, exec_lo, s24
	s_cbranch_execz .LBB297_1546
; %bb.1525:
	s_mov_b32 s27, exec_lo
                                        ; implicit-def: $vgpr7
	v_cmpx_lt_i16_e32 45, v5
	s_xor_b32 s27, exec_lo, s27
	s_cbranch_execz .LBB297_1535
; %bb.1526:
	s_mov_b32 s28, -1
	s_mov_b32 s25, exec_lo
                                        ; implicit-def: $vgpr7
	v_cmpx_eq_u16_e32 46, v5
	s_cbranch_execz .LBB297_1534
; %bb.1527:
	flat_load_b32 v5, v[2:3]
	v_mov_b32_e32 v7, 0x80
	s_mov_b32 s26, exec_lo
	s_wait_loadcnt_dscnt 0x0
	v_lshlrev_b32_e32 v5, 16, v5
	s_delay_alu instid0(VALU_DEP_1) | instskip(SKIP_1) | instid1(VALU_DEP_1)
	v_and_b32_e32 v11, 0x7fffffff, v5
	s_wait_xcnt 0x0
	v_cmpx_gt_u32_e32 0x43800000, v11
	s_cbranch_execz .LBB297_1533
; %bb.1528:
	v_cmp_lt_u32_e64 s0, 0x3bffffff, v11
	s_mov_b32 s28, 0
                                        ; implicit-def: $vgpr11
	s_and_saveexec_b32 s29, s0
	s_delay_alu instid0(SALU_CYCLE_1)
	s_xor_b32 s0, exec_lo, s29
	s_cbranch_execz .LBB297_3034
; %bb.1529:
	v_bfe_u32 v7, v5, 20, 1
	s_mov_b32 s28, exec_lo
	s_delay_alu instid0(VALU_DEP_1) | instskip(NEXT) | instid1(VALU_DEP_1)
	v_add3_u32 v7, v5, v7, 0x487ffff
	v_lshrrev_b32_e32 v11, 20, v7
	s_and_not1_saveexec_b32 s29, s0
	s_cbranch_execnz .LBB297_3035
.LBB297_1530:
	s_or_b32 exec_lo, exec_lo, s29
	v_mov_b32_e32 v7, 0
	s_and_saveexec_b32 s0, s28
.LBB297_1531:
	v_lshrrev_b32_e32 v5, 24, v5
	s_delay_alu instid0(VALU_DEP_1)
	v_and_or_b32 v7, 0x80, v5, v11
.LBB297_1532:
	s_or_b32 exec_lo, exec_lo, s0
.LBB297_1533:
	s_delay_alu instid0(SALU_CYCLE_1) | instskip(NEXT) | instid1(SALU_CYCLE_1)
	s_or_b32 exec_lo, exec_lo, s26
	s_mov_b32 s26, exec_lo
	s_xor_b32 s28, exec_lo, -1
.LBB297_1534:
	s_or_b32 exec_lo, exec_lo, s25
	s_delay_alu instid0(SALU_CYCLE_1)
	s_and_b32 s26, s26, exec_lo
	s_and_b32 s25, s28, exec_lo
                                        ; implicit-def: $vgpr5
.LBB297_1535:
	s_and_not1_saveexec_b32 s27, s27
	s_cbranch_execz .LBB297_1545
; %bb.1536:
	s_mov_b32 s29, -1
	s_mov_b32 s30, s26
	s_mov_b32 s28, exec_lo
                                        ; implicit-def: $vgpr7
	v_cmpx_eq_u16_e32 44, v5
	s_cbranch_execz .LBB297_1544
; %bb.1537:
	flat_load_u8 v5, v[2:3]
	s_mov_b32 s30, 0
	s_mov_b32 s29, exec_lo
	s_wait_loadcnt_dscnt 0x0
	v_lshlrev_b32_e32 v7, 23, v5
	v_cmp_ne_u32_e64 s0, 0xff, v5
	s_delay_alu instid0(VALU_DEP_1) | instskip(SKIP_1) | instid1(VALU_DEP_1)
	v_cndmask_b32_e64 v7, 0x7f800001, v7, s0
	v_cmp_ne_u32_e64 s0, 0, v5
	v_cndmask_b32_e64 v11, 0x400000, v7, s0
	v_mov_b32_e32 v7, 0x80
	s_wait_xcnt 0x0
	s_delay_alu instid0(VALU_DEP_2)
	v_cmpx_gt_u32_e32 0x43800000, v11
	s_cbranch_execz .LBB297_1543
; %bb.1538:
	v_cmp_lt_u32_e64 s0, 0x3bffffff, v11
                                        ; implicit-def: $vgpr5
	s_and_saveexec_b32 s31, s0
	s_delay_alu instid0(SALU_CYCLE_1)
	s_xor_b32 s0, exec_lo, s31
	s_cbranch_execz .LBB297_3036
; %bb.1539:
	v_bfe_u32 v5, v11, 20, 1
	s_mov_b32 s30, exec_lo
	s_delay_alu instid0(VALU_DEP_1) | instskip(NEXT) | instid1(VALU_DEP_1)
	v_add3_u32 v5, v11, v5, 0x487ffff
                                        ; implicit-def: $vgpr11
	v_lshrrev_b32_e32 v5, 20, v5
	s_and_not1_saveexec_b32 s31, s0
	s_cbranch_execnz .LBB297_3037
.LBB297_1540:
	s_or_b32 exec_lo, exec_lo, s31
	v_mov_b32_e32 v7, 0
	s_and_saveexec_b32 s0, s30
.LBB297_1541:
	v_mov_b32_e32 v7, v5
.LBB297_1542:
	s_or_b32 exec_lo, exec_lo, s0
.LBB297_1543:
	s_delay_alu instid0(SALU_CYCLE_1) | instskip(NEXT) | instid1(SALU_CYCLE_1)
	s_or_b32 exec_lo, exec_lo, s29
	s_or_b32 s30, s26, exec_lo
	s_xor_b32 s29, exec_lo, -1
.LBB297_1544:
	s_or_b32 exec_lo, exec_lo, s28
	s_delay_alu instid0(SALU_CYCLE_1)
	s_and_not1_b32 s0, s26, exec_lo
	s_and_b32 s26, s30, exec_lo
	s_and_not1_b32 s25, s25, exec_lo
	s_and_b32 s28, s29, exec_lo
	s_or_b32 s26, s0, s26
	s_or_b32 s25, s25, s28
.LBB297_1545:
	s_or_b32 exec_lo, exec_lo, s27
	s_delay_alu instid0(SALU_CYCLE_1)
	s_and_b32 s27, s26, exec_lo
	s_and_b32 s26, s25, exec_lo
                                        ; implicit-def: $vgpr5
.LBB297_1546:
	s_and_not1_saveexec_b32 s24, s24
	s_cbranch_execz .LBB297_1556
; %bb.1547:
	s_mov_b32 s28, -1
	s_mov_b32 s29, s27
	s_mov_b32 s25, exec_lo
                                        ; implicit-def: $vgpr7
	v_cmpx_eq_u16_e32 29, v5
	s_cbranch_execz .LBB297_1555
; %bb.1548:
	flat_load_b64 v[12:13], v[2:3]
	s_mov_b32 s28, exec_lo
	s_wait_loadcnt_dscnt 0x0
	v_clz_i32_u32_e32 v5, v13
	s_delay_alu instid0(VALU_DEP_1) | instskip(NEXT) | instid1(VALU_DEP_1)
	v_min_u32_e32 v5, 32, v5
	v_lshlrev_b64_e32 v[12:13], v5, v[12:13]
	v_sub_nc_u32_e32 v5, 32, v5
	s_delay_alu instid0(VALU_DEP_2) | instskip(NEXT) | instid1(VALU_DEP_1)
	v_min_u32_e32 v7, 1, v12
	v_or_b32_e32 v7, v13, v7
	s_delay_alu instid0(VALU_DEP_1) | instskip(NEXT) | instid1(VALU_DEP_1)
	v_cvt_f32_u32_e32 v7, v7
	v_ldexp_f32 v11, v7, v5
	v_mov_b32_e32 v7, 0x80
	s_wait_xcnt 0x0
	s_delay_alu instid0(VALU_DEP_2)
	v_cmpx_gt_u32_e32 0x43800000, v11
	s_cbranch_execz .LBB297_1554
; %bb.1549:
	v_cmp_lt_u32_e64 s0, 0x3bffffff, v11
	s_mov_b32 s29, 0
                                        ; implicit-def: $vgpr5
	s_and_saveexec_b32 s30, s0
	s_delay_alu instid0(SALU_CYCLE_1)
	s_xor_b32 s0, exec_lo, s30
	s_cbranch_execz .LBB297_3008
; %bb.1550:
	v_bfe_u32 v5, v11, 20, 1
	s_mov_b32 s29, exec_lo
	s_delay_alu instid0(VALU_DEP_1) | instskip(NEXT) | instid1(VALU_DEP_1)
	v_add3_u32 v5, v11, v5, 0x487ffff
                                        ; implicit-def: $vgpr11
	v_lshrrev_b32_e32 v5, 20, v5
	s_and_not1_saveexec_b32 s30, s0
	s_cbranch_execnz .LBB297_3009
.LBB297_1551:
	s_or_b32 exec_lo, exec_lo, s30
	v_mov_b32_e32 v7, 0
	s_and_saveexec_b32 s0, s29
.LBB297_1552:
	v_mov_b32_e32 v7, v5
.LBB297_1553:
	s_or_b32 exec_lo, exec_lo, s0
.LBB297_1554:
	s_delay_alu instid0(SALU_CYCLE_1) | instskip(NEXT) | instid1(SALU_CYCLE_1)
	s_or_b32 exec_lo, exec_lo, s28
	s_or_b32 s29, s27, exec_lo
	s_xor_b32 s28, exec_lo, -1
.LBB297_1555:
	s_or_b32 exec_lo, exec_lo, s25
	s_delay_alu instid0(SALU_CYCLE_1)
	s_and_not1_b32 s0, s27, exec_lo
	s_and_b32 s25, s29, exec_lo
	s_and_not1_b32 s26, s26, exec_lo
	s_and_b32 s28, s28, exec_lo
	s_or_b32 s27, s0, s25
	s_or_b32 s26, s26, s28
.LBB297_1556:
	s_or_b32 exec_lo, exec_lo, s24
	s_delay_alu instid0(SALU_CYCLE_1)
	s_and_b32 s25, s27, exec_lo
	s_and_b32 s24, s26, exec_lo
                                        ; implicit-def: $vgpr5
.LBB297_1557:
	s_and_not1_saveexec_b32 s22, s22
	s_cbranch_execz .LBB297_1579
; %bb.1558:
	s_mov_b32 s26, exec_lo
                                        ; implicit-def: $vgpr7
	v_cmpx_lt_i16_e32 26, v5
	s_xor_b32 s26, exec_lo, s26
	s_cbranch_execz .LBB297_1576
; %bb.1559:
	s_mov_b32 s27, exec_lo
                                        ; implicit-def: $vgpr7
	v_cmpx_lt_i16_e32 27, v5
	s_xor_b32 s27, exec_lo, s27
	s_cbranch_execz .LBB297_1567
; %bb.1560:
	flat_load_b32 v5, v[2:3]
	v_mov_b32_e32 v7, 0x80
	s_mov_b32 s28, exec_lo
	s_wait_loadcnt_dscnt 0x0
	v_cvt_f32_u32_e32 v11, v5
	s_wait_xcnt 0x0
	s_delay_alu instid0(VALU_DEP_1)
	v_cmpx_gt_u32_e32 0x43800000, v11
	s_cbranch_execz .LBB297_1566
; %bb.1561:
	v_cmp_lt_u32_e64 s0, 0x3bffffff, v11
	s_mov_b32 s29, 0
                                        ; implicit-def: $vgpr5
	s_and_saveexec_b32 s30, s0
	s_delay_alu instid0(SALU_CYCLE_1)
	s_xor_b32 s0, exec_lo, s30
	s_cbranch_execz .LBB297_3010
; %bb.1562:
	v_bfe_u32 v5, v11, 20, 1
	s_mov_b32 s29, exec_lo
	s_delay_alu instid0(VALU_DEP_1) | instskip(NEXT) | instid1(VALU_DEP_1)
	v_add3_u32 v5, v11, v5, 0x487ffff
                                        ; implicit-def: $vgpr11
	v_lshrrev_b32_e32 v5, 20, v5
	s_and_not1_saveexec_b32 s30, s0
	s_cbranch_execnz .LBB297_3011
.LBB297_1563:
	s_or_b32 exec_lo, exec_lo, s30
	v_mov_b32_e32 v7, 0
	s_and_saveexec_b32 s0, s29
.LBB297_1564:
	v_mov_b32_e32 v7, v5
.LBB297_1565:
	s_or_b32 exec_lo, exec_lo, s0
.LBB297_1566:
	s_delay_alu instid0(SALU_CYCLE_1)
	s_or_b32 exec_lo, exec_lo, s28
.LBB297_1567:
	s_and_not1_saveexec_b32 s27, s27
	s_cbranch_execz .LBB297_1575
; %bb.1568:
	flat_load_u16 v5, v[2:3]
	v_mov_b32_e32 v7, 0x80
	s_mov_b32 s28, exec_lo
	s_wait_loadcnt_dscnt 0x0
	v_cvt_f32_u32_e32 v11, v5
	s_wait_xcnt 0x0
	s_delay_alu instid0(VALU_DEP_1)
	v_cmpx_gt_u32_e32 0x43800000, v11
	s_cbranch_execz .LBB297_1574
; %bb.1569:
	v_cmp_lt_u32_e64 s0, 0x3bffffff, v11
	s_mov_b32 s29, 0
                                        ; implicit-def: $vgpr5
	s_and_saveexec_b32 s30, s0
	s_delay_alu instid0(SALU_CYCLE_1)
	s_xor_b32 s0, exec_lo, s30
	s_cbranch_execz .LBB297_3012
; %bb.1570:
	v_bfe_u32 v5, v11, 20, 1
	s_mov_b32 s29, exec_lo
	s_delay_alu instid0(VALU_DEP_1) | instskip(NEXT) | instid1(VALU_DEP_1)
	v_add3_u32 v5, v11, v5, 0x487ffff
                                        ; implicit-def: $vgpr11
	v_lshrrev_b32_e32 v5, 20, v5
	s_and_not1_saveexec_b32 s30, s0
	s_cbranch_execnz .LBB297_3013
.LBB297_1571:
	s_or_b32 exec_lo, exec_lo, s30
	v_mov_b32_e32 v7, 0
	s_and_saveexec_b32 s0, s29
.LBB297_1572:
	v_mov_b32_e32 v7, v5
.LBB297_1573:
	s_or_b32 exec_lo, exec_lo, s0
.LBB297_1574:
	s_delay_alu instid0(SALU_CYCLE_1)
	s_or_b32 exec_lo, exec_lo, s28
.LBB297_1575:
	s_delay_alu instid0(SALU_CYCLE_1)
	s_or_b32 exec_lo, exec_lo, s27
.LBB297_1576:
	s_and_not1_saveexec_b32 s0, s26
	s_cbranch_execz .LBB297_1578
; %bb.1577:
	flat_load_u8 v7, v[2:3]
.LBB297_1578:
	s_wait_xcnt 0x0
	s_or_b32 exec_lo, exec_lo, s0
	s_delay_alu instid0(SALU_CYCLE_1)
	s_or_b32 s25, s25, exec_lo
.LBB297_1579:
	s_or_b32 exec_lo, exec_lo, s22
	s_delay_alu instid0(SALU_CYCLE_1)
	s_and_b32 s22, s25, exec_lo
	s_and_b32 s24, s24, exec_lo
                                        ; implicit-def: $vgpr5
	s_and_not1_saveexec_b32 s23, s23
	s_cbranch_execnz .LBB297_2592
.LBB297_1580:
	s_or_b32 exec_lo, exec_lo, s23
	s_mov_b32 s23, s18
	s_and_saveexec_b32 s0, s24
	s_cbranch_execnz .LBB297_2641
.LBB297_1581:
	s_or_b32 exec_lo, exec_lo, s0
	s_and_saveexec_b32 s0, s20
	s_delay_alu instid0(SALU_CYCLE_1)
	s_xor_b32 s20, exec_lo, s0
	s_cbranch_execz .LBB297_1589
.LBB297_1582:
	flat_load_u8 v2, v[2:3]
	s_wait_loadcnt_dscnt 0x101
	v_mov_b32_e32 v7, 0x80
	s_mov_b32 s25, 0
	s_mov_b32 s24, exec_lo
	s_wait_loadcnt_dscnt 0x0
	v_cmp_ne_u16_e64 s0, 0, v2
	s_wait_xcnt 0x0
	s_delay_alu instid0(VALU_DEP_1) | instskip(NEXT) | instid1(VALU_DEP_1)
	v_cndmask_b32_e64 v3, 0, 1.0, s0
	v_cmpx_gt_u32_e32 0x43800000, v3
	s_cbranch_execz .LBB297_1588
; %bb.1583:
	v_cmp_lt_u32_e64 s0, 0x3bffffff, v3
                                        ; implicit-def: $vgpr2
	s_and_saveexec_b32 s26, s0
	s_delay_alu instid0(SALU_CYCLE_1)
	s_xor_b32 s0, exec_lo, s26
	s_cbranch_execz .LBB297_2779
; %bb.1584:
	v_bfe_u32 v2, v3, 20, 1
	s_mov_b32 s25, exec_lo
	s_delay_alu instid0(VALU_DEP_1) | instskip(NEXT) | instid1(VALU_DEP_1)
	v_add3_u32 v2, v3, v2, 0x487ffff
                                        ; implicit-def: $vgpr3
	v_lshrrev_b32_e32 v2, 20, v2
	s_and_not1_saveexec_b32 s26, s0
	s_cbranch_execnz .LBB297_2780
.LBB297_1585:
	s_or_b32 exec_lo, exec_lo, s26
	v_mov_b32_e32 v7, 0
	s_and_saveexec_b32 s0, s25
.LBB297_1586:
	v_mov_b32_e32 v7, v2
.LBB297_1587:
	s_or_b32 exec_lo, exec_lo, s0
.LBB297_1588:
	s_delay_alu instid0(SALU_CYCLE_1) | instskip(NEXT) | instid1(SALU_CYCLE_1)
	s_or_b32 exec_lo, exec_lo, s24
	s_or_b32 s22, s22, exec_lo
.LBB297_1589:
	s_or_b32 exec_lo, exec_lo, s20
	s_delay_alu instid0(SALU_CYCLE_1)
	s_and_not1_b32 s0, s18, exec_lo
	s_and_b32 s20, s23, exec_lo
	s_and_b32 s23, s22, exec_lo
	s_or_b32 s20, s0, s20
                                        ; implicit-def: $vgpr5
                                        ; implicit-def: $vgpr2_vgpr3
.LBB297_1590:
	s_and_not1_saveexec_b32 s21, s21
	s_cbranch_execz .LBB297_1698
; %bb.1591:
	s_mov_b32 s22, exec_lo
                                        ; implicit-def: $vgpr7
	v_cmpx_lt_i16_e32 4, v5
	s_xor_b32 s22, exec_lo, s22
	s_cbranch_execz .LBB297_1649
; %bb.1592:
	s_mov_b32 s24, exec_lo
                                        ; implicit-def: $vgpr7
	v_cmpx_lt_i16_e32 7, v5
	s_xor_b32 s24, exec_lo, s24
	;; [unrolled: 6-line block ×4, first 2 shown]
	s_cbranch_execz .LBB297_1602
; %bb.1595:
	flat_load_b64 v[2:3], v[2:3]
	s_wait_loadcnt_dscnt 0x101
	v_mov_b32_e32 v7, 0x80
	s_mov_b32 s27, exec_lo
	s_wait_loadcnt_dscnt 0x0
	v_cvt_f32_f64_e32 v2, v[2:3]
	s_delay_alu instid0(VALU_DEP_1) | instskip(NEXT) | instid1(VALU_DEP_1)
	v_and_b32_e32 v3, 0x7fffffff, v2
	v_cmpx_gt_u32_e32 0x43800000, v3
	s_cbranch_execz .LBB297_1601
; %bb.1596:
	v_cmp_lt_u32_e64 s0, 0x3bffffff, v3
	s_mov_b32 s28, 0
                                        ; implicit-def: $vgpr3
	s_and_saveexec_b32 s29, s0
	s_delay_alu instid0(SALU_CYCLE_1)
	s_xor_b32 s0, exec_lo, s29
	s_cbranch_execz .LBB297_3014
; %bb.1597:
	v_bfe_u32 v3, v2, 20, 1
	s_mov_b32 s28, exec_lo
	s_delay_alu instid0(VALU_DEP_1) | instskip(NEXT) | instid1(VALU_DEP_1)
	v_add3_u32 v3, v2, v3, 0x487ffff
	v_lshrrev_b32_e32 v3, 20, v3
	s_and_not1_saveexec_b32 s29, s0
	s_cbranch_execnz .LBB297_3015
.LBB297_1598:
	s_or_b32 exec_lo, exec_lo, s29
	v_mov_b32_e32 v7, 0
	s_and_saveexec_b32 s0, s28
.LBB297_1599:
	v_lshrrev_b32_e32 v2, 24, v2
	s_delay_alu instid0(VALU_DEP_1)
	v_and_or_b32 v7, 0x80, v2, v3
.LBB297_1600:
	s_or_b32 exec_lo, exec_lo, s0
.LBB297_1601:
	s_delay_alu instid0(SALU_CYCLE_1)
	s_or_b32 exec_lo, exec_lo, s27
                                        ; implicit-def: $vgpr2_vgpr3
.LBB297_1602:
	s_and_not1_saveexec_b32 s26, s26
	s_cbranch_execz .LBB297_1610
; %bb.1603:
	flat_load_b32 v2, v[2:3]
	s_wait_loadcnt_dscnt 0x101
	v_mov_b32_e32 v7, 0x80
	s_mov_b32 s27, exec_lo
	s_wait_loadcnt_dscnt 0x0
	v_and_b32_e32 v3, 0x7fffffff, v2
	s_delay_alu instid0(VALU_DEP_1)
	v_cmpx_gt_u32_e32 0x43800000, v3
	s_cbranch_execz .LBB297_1609
; %bb.1604:
	v_cmp_lt_u32_e64 s0, 0x3bffffff, v3
	s_mov_b32 s28, 0
                                        ; implicit-def: $vgpr3
	s_and_saveexec_b32 s29, s0
	s_delay_alu instid0(SALU_CYCLE_1)
	s_xor_b32 s0, exec_lo, s29
	s_cbranch_execz .LBB297_3016
; %bb.1605:
	v_bfe_u32 v3, v2, 20, 1
	s_mov_b32 s28, exec_lo
	s_delay_alu instid0(VALU_DEP_1) | instskip(NEXT) | instid1(VALU_DEP_1)
	v_add3_u32 v3, v2, v3, 0x487ffff
	v_lshrrev_b32_e32 v3, 20, v3
	s_and_not1_saveexec_b32 s29, s0
	s_cbranch_execnz .LBB297_3017
.LBB297_1606:
	s_or_b32 exec_lo, exec_lo, s29
	v_mov_b32_e32 v7, 0
	s_and_saveexec_b32 s0, s28
.LBB297_1607:
	v_lshrrev_b32_e32 v2, 24, v2
	s_delay_alu instid0(VALU_DEP_1)
	v_and_or_b32 v7, 0x80, v2, v3
.LBB297_1608:
	s_or_b32 exec_lo, exec_lo, s0
.LBB297_1609:
	s_delay_alu instid0(SALU_CYCLE_1)
	s_or_b32 exec_lo, exec_lo, s27
.LBB297_1610:
	s_delay_alu instid0(SALU_CYCLE_1)
	s_or_b32 exec_lo, exec_lo, s26
                                        ; implicit-def: $vgpr2_vgpr3
.LBB297_1611:
	s_and_not1_saveexec_b32 s25, s25
	s_cbranch_execz .LBB297_1619
; %bb.1612:
	flat_load_b32 v2, v[2:3]
	s_wait_loadcnt_dscnt 0x101
	v_mov_b32_e32 v7, 0x80
	s_mov_b32 s26, exec_lo
	s_wait_loadcnt_dscnt 0x0
	v_cvt_f32_f16_e32 v2, v2
	s_delay_alu instid0(VALU_DEP_1) | instskip(NEXT) | instid1(VALU_DEP_1)
	v_and_b32_e32 v3, 0x7fffffff, v2
	v_cmpx_gt_u32_e32 0x43800000, v3
	s_cbranch_execz .LBB297_1618
; %bb.1613:
	v_cmp_lt_u32_e64 s0, 0x3bffffff, v3
	s_mov_b32 s27, 0
                                        ; implicit-def: $vgpr3
	s_and_saveexec_b32 s28, s0
	s_delay_alu instid0(SALU_CYCLE_1)
	s_xor_b32 s0, exec_lo, s28
	s_cbranch_execz .LBB297_2941
; %bb.1614:
	v_bfe_u32 v3, v2, 20, 1
	s_mov_b32 s27, exec_lo
	s_delay_alu instid0(VALU_DEP_1) | instskip(NEXT) | instid1(VALU_DEP_1)
	v_add3_u32 v3, v2, v3, 0x487ffff
	v_lshrrev_b32_e32 v3, 20, v3
	s_and_not1_saveexec_b32 s28, s0
	s_cbranch_execnz .LBB297_2942
.LBB297_1615:
	s_or_b32 exec_lo, exec_lo, s28
	v_mov_b32_e32 v7, 0
	s_and_saveexec_b32 s0, s27
.LBB297_1616:
	v_lshrrev_b32_e32 v2, 24, v2
	s_delay_alu instid0(VALU_DEP_1)
	v_and_or_b32 v7, 0x80, v2, v3
.LBB297_1617:
	s_or_b32 exec_lo, exec_lo, s0
.LBB297_1618:
	s_delay_alu instid0(SALU_CYCLE_1)
	s_or_b32 exec_lo, exec_lo, s26
.LBB297_1619:
	s_delay_alu instid0(SALU_CYCLE_1)
	s_or_b32 exec_lo, exec_lo, s25
                                        ; implicit-def: $vgpr5
                                        ; implicit-def: $vgpr2_vgpr3
.LBB297_1620:
	s_and_not1_saveexec_b32 s24, s24
	s_cbranch_execz .LBB297_1648
; %bb.1621:
	s_mov_b32 s25, exec_lo
                                        ; implicit-def: $vgpr7
	v_cmpx_lt_i16_e32 5, v5
	s_xor_b32 s25, exec_lo, s25
	s_cbranch_execz .LBB297_1639
; %bb.1622:
	s_mov_b32 s26, exec_lo
                                        ; implicit-def: $vgpr7
	v_cmpx_lt_i16_e32 6, v5
	s_xor_b32 s26, exec_lo, s26
	s_cbranch_execz .LBB297_1630
; %bb.1623:
	flat_load_b64 v[2:3], v[2:3]
	s_wait_loadcnt_dscnt 0x101
	v_mov_b32_e32 v7, 0x80
	s_mov_b32 s27, exec_lo
	s_wait_loadcnt_dscnt 0x0
	v_cvt_f32_f64_e32 v2, v[2:3]
	s_delay_alu instid0(VALU_DEP_1) | instskip(NEXT) | instid1(VALU_DEP_1)
	v_and_b32_e32 v3, 0x7fffffff, v2
	v_cmpx_gt_u32_e32 0x43800000, v3
	s_cbranch_execz .LBB297_1629
; %bb.1624:
	v_cmp_lt_u32_e64 s0, 0x3bffffff, v3
	s_mov_b32 s28, 0
                                        ; implicit-def: $vgpr3
	s_and_saveexec_b32 s29, s0
	s_delay_alu instid0(SALU_CYCLE_1)
	s_xor_b32 s0, exec_lo, s29
	s_cbranch_execz .LBB297_3018
; %bb.1625:
	v_bfe_u32 v3, v2, 20, 1
	s_mov_b32 s28, exec_lo
	s_delay_alu instid0(VALU_DEP_1) | instskip(NEXT) | instid1(VALU_DEP_1)
	v_add3_u32 v3, v2, v3, 0x487ffff
	v_lshrrev_b32_e32 v3, 20, v3
	s_and_not1_saveexec_b32 s29, s0
	s_cbranch_execnz .LBB297_3019
.LBB297_1626:
	s_or_b32 exec_lo, exec_lo, s29
	v_mov_b32_e32 v7, 0
	s_and_saveexec_b32 s0, s28
.LBB297_1627:
	v_lshrrev_b32_e32 v2, 24, v2
	s_delay_alu instid0(VALU_DEP_1)
	v_and_or_b32 v7, 0x80, v2, v3
.LBB297_1628:
	s_or_b32 exec_lo, exec_lo, s0
.LBB297_1629:
	s_delay_alu instid0(SALU_CYCLE_1)
	s_or_b32 exec_lo, exec_lo, s27
                                        ; implicit-def: $vgpr2_vgpr3
.LBB297_1630:
	s_and_not1_saveexec_b32 s26, s26
	s_cbranch_execz .LBB297_1638
; %bb.1631:
	flat_load_b32 v2, v[2:3]
	s_wait_loadcnt_dscnt 0x101
	v_mov_b32_e32 v7, 0x80
	s_mov_b32 s27, exec_lo
	s_wait_loadcnt_dscnt 0x0
	v_and_b32_e32 v3, 0x7fffffff, v2
	s_delay_alu instid0(VALU_DEP_1)
	v_cmpx_gt_u32_e32 0x43800000, v3
	s_cbranch_execz .LBB297_1637
; %bb.1632:
	v_cmp_lt_u32_e64 s0, 0x3bffffff, v3
	s_mov_b32 s28, 0
                                        ; implicit-def: $vgpr3
	s_and_saveexec_b32 s29, s0
	s_delay_alu instid0(SALU_CYCLE_1)
	s_xor_b32 s0, exec_lo, s29
	s_cbranch_execz .LBB297_3020
; %bb.1633:
	v_bfe_u32 v3, v2, 20, 1
	s_mov_b32 s28, exec_lo
	s_delay_alu instid0(VALU_DEP_1) | instskip(NEXT) | instid1(VALU_DEP_1)
	v_add3_u32 v3, v2, v3, 0x487ffff
	v_lshrrev_b32_e32 v3, 20, v3
	s_and_not1_saveexec_b32 s29, s0
	s_cbranch_execnz .LBB297_3021
.LBB297_1634:
	s_or_b32 exec_lo, exec_lo, s29
	v_mov_b32_e32 v7, 0
	s_and_saveexec_b32 s0, s28
.LBB297_1635:
	v_lshrrev_b32_e32 v2, 24, v2
	s_delay_alu instid0(VALU_DEP_1)
	v_and_or_b32 v7, 0x80, v2, v3
.LBB297_1636:
	s_or_b32 exec_lo, exec_lo, s0
.LBB297_1637:
	s_delay_alu instid0(SALU_CYCLE_1)
	s_or_b32 exec_lo, exec_lo, s27
.LBB297_1638:
	s_delay_alu instid0(SALU_CYCLE_1)
	s_or_b32 exec_lo, exec_lo, s26
                                        ; implicit-def: $vgpr2_vgpr3
.LBB297_1639:
	s_and_not1_saveexec_b32 s25, s25
	s_cbranch_execz .LBB297_1647
; %bb.1640:
	flat_load_u16 v2, v[2:3]
	s_wait_loadcnt_dscnt 0x101
	v_mov_b32_e32 v7, 0x80
	s_mov_b32 s26, exec_lo
	s_wait_loadcnt_dscnt 0x0
	v_cvt_f32_f16_e32 v2, v2
	s_delay_alu instid0(VALU_DEP_1) | instskip(NEXT) | instid1(VALU_DEP_1)
	v_and_b32_e32 v3, 0x7fffffff, v2
	v_cmpx_gt_u32_e32 0x43800000, v3
	s_cbranch_execz .LBB297_1646
; %bb.1641:
	v_cmp_lt_u32_e64 s0, 0x3bffffff, v3
	s_mov_b32 s27, 0
                                        ; implicit-def: $vgpr3
	s_and_saveexec_b32 s28, s0
	s_delay_alu instid0(SALU_CYCLE_1)
	s_xor_b32 s0, exec_lo, s28
	s_cbranch_execz .LBB297_2943
; %bb.1642:
	v_bfe_u32 v3, v2, 20, 1
	s_mov_b32 s27, exec_lo
	s_delay_alu instid0(VALU_DEP_1) | instskip(NEXT) | instid1(VALU_DEP_1)
	v_add3_u32 v3, v2, v3, 0x487ffff
	v_lshrrev_b32_e32 v3, 20, v3
	s_and_not1_saveexec_b32 s28, s0
	s_cbranch_execnz .LBB297_2944
.LBB297_1643:
	s_or_b32 exec_lo, exec_lo, s28
	v_mov_b32_e32 v7, 0
	s_and_saveexec_b32 s0, s27
.LBB297_1644:
	v_lshrrev_b32_e32 v2, 24, v2
	s_delay_alu instid0(VALU_DEP_1)
	v_and_or_b32 v7, 0x80, v2, v3
.LBB297_1645:
	s_or_b32 exec_lo, exec_lo, s0
.LBB297_1646:
	s_delay_alu instid0(SALU_CYCLE_1)
	s_or_b32 exec_lo, exec_lo, s26
.LBB297_1647:
	s_delay_alu instid0(SALU_CYCLE_1)
	s_or_b32 exec_lo, exec_lo, s25
.LBB297_1648:
	s_delay_alu instid0(SALU_CYCLE_1)
	s_or_b32 exec_lo, exec_lo, s24
                                        ; implicit-def: $vgpr5
                                        ; implicit-def: $vgpr2_vgpr3
.LBB297_1649:
	s_and_not1_saveexec_b32 s22, s22
	s_cbranch_execz .LBB297_1697
; %bb.1650:
	s_mov_b32 s24, exec_lo
                                        ; implicit-def: $vgpr7
	v_cmpx_lt_i16_e32 1, v5
	s_xor_b32 s24, exec_lo, s24
	s_cbranch_execz .LBB297_1678
; %bb.1651:
	s_mov_b32 s25, exec_lo
                                        ; implicit-def: $vgpr7
	v_cmpx_lt_i16_e32 2, v5
	s_xor_b32 s25, exec_lo, s25
	;; [unrolled: 6-line block ×3, first 2 shown]
	s_cbranch_execz .LBB297_1660
; %bb.1653:
	flat_load_b64 v[2:3], v[2:3]
	s_mov_b32 s27, exec_lo
	s_wait_loadcnt_dscnt 0x0
	v_xor_b32_e32 v5, v2, v3
	v_cls_i32_e32 v7, v3
	s_delay_alu instid0(VALU_DEP_2) | instskip(NEXT) | instid1(VALU_DEP_1)
	v_ashrrev_i32_e32 v5, 31, v5
	v_add_nc_u32_e32 v5, 32, v5
	s_delay_alu instid0(VALU_DEP_1) | instskip(SKIP_2) | instid1(VALU_DEP_2)
	v_add_min_u32_e64 v5, v7, -1, v5
	v_mov_b32_e32 v7, 0x80
	s_wait_xcnt 0x0
	v_lshlrev_b64_e32 v[2:3], v5, v[2:3]
	s_delay_alu instid0(VALU_DEP_1) | instskip(NEXT) | instid1(VALU_DEP_1)
	v_min_u32_e32 v2, 1, v2
	v_dual_sub_nc_u32 v3, 32, v5 :: v_dual_bitop2_b32 v2, v3, v2 bitop3:0x54
	s_delay_alu instid0(VALU_DEP_1) | instskip(NEXT) | instid1(VALU_DEP_1)
	v_cvt_f32_i32_e32 v2, v2
	v_ldexp_f32 v2, v2, v3
	s_delay_alu instid0(VALU_DEP_1) | instskip(NEXT) | instid1(VALU_DEP_1)
	v_and_b32_e32 v3, 0x7fffffff, v2
	v_cmpx_gt_u32_e32 0x43800000, v3
	s_cbranch_execz .LBB297_1659
; %bb.1654:
	v_cmp_lt_u32_e64 s0, 0x3bffffff, v3
	s_mov_b32 s28, 0
                                        ; implicit-def: $vgpr3
	s_and_saveexec_b32 s29, s0
	s_delay_alu instid0(SALU_CYCLE_1)
	s_xor_b32 s0, exec_lo, s29
	s_cbranch_execz .LBB297_3022
; %bb.1655:
	v_bfe_u32 v3, v2, 20, 1
	s_mov_b32 s28, exec_lo
	s_delay_alu instid0(VALU_DEP_1) | instskip(NEXT) | instid1(VALU_DEP_1)
	v_add3_u32 v3, v2, v3, 0x487ffff
	v_lshrrev_b32_e32 v3, 20, v3
	s_and_not1_saveexec_b32 s29, s0
	s_cbranch_execnz .LBB297_3023
.LBB297_1656:
	s_or_b32 exec_lo, exec_lo, s29
	v_mov_b32_e32 v7, 0
	s_and_saveexec_b32 s0, s28
.LBB297_1657:
	v_lshrrev_b32_e32 v2, 24, v2
	s_delay_alu instid0(VALU_DEP_1)
	v_and_or_b32 v7, 0x80, v2, v3
.LBB297_1658:
	s_or_b32 exec_lo, exec_lo, s0
.LBB297_1659:
	s_delay_alu instid0(SALU_CYCLE_1)
	s_or_b32 exec_lo, exec_lo, s27
                                        ; implicit-def: $vgpr2_vgpr3
.LBB297_1660:
	s_and_not1_saveexec_b32 s26, s26
	s_cbranch_execz .LBB297_1668
; %bb.1661:
	flat_load_b32 v2, v[2:3]
	s_wait_loadcnt_dscnt 0x101
	v_mov_b32_e32 v7, 0x80
	s_mov_b32 s27, exec_lo
	s_wait_loadcnt_dscnt 0x0
	v_cvt_f32_i32_e32 v2, v2
	s_delay_alu instid0(VALU_DEP_1) | instskip(NEXT) | instid1(VALU_DEP_1)
	v_and_b32_e32 v3, 0x7fffffff, v2
	v_cmpx_gt_u32_e32 0x43800000, v3
	s_cbranch_execz .LBB297_1667
; %bb.1662:
	v_cmp_lt_u32_e64 s0, 0x3bffffff, v3
	s_mov_b32 s28, 0
                                        ; implicit-def: $vgpr3
	s_and_saveexec_b32 s29, s0
	s_delay_alu instid0(SALU_CYCLE_1)
	s_xor_b32 s0, exec_lo, s29
	s_cbranch_execz .LBB297_3024
; %bb.1663:
	v_bfe_u32 v3, v2, 20, 1
	s_mov_b32 s28, exec_lo
	s_delay_alu instid0(VALU_DEP_1) | instskip(NEXT) | instid1(VALU_DEP_1)
	v_add3_u32 v3, v2, v3, 0x487ffff
	v_lshrrev_b32_e32 v3, 20, v3
	s_and_not1_saveexec_b32 s29, s0
	s_cbranch_execnz .LBB297_3025
.LBB297_1664:
	s_or_b32 exec_lo, exec_lo, s29
	v_mov_b32_e32 v7, 0
	s_and_saveexec_b32 s0, s28
.LBB297_1665:
	v_lshrrev_b32_e32 v2, 24, v2
	s_delay_alu instid0(VALU_DEP_1)
	v_and_or_b32 v7, 0x80, v2, v3
.LBB297_1666:
	s_or_b32 exec_lo, exec_lo, s0
.LBB297_1667:
	s_delay_alu instid0(SALU_CYCLE_1)
	s_or_b32 exec_lo, exec_lo, s27
.LBB297_1668:
	s_delay_alu instid0(SALU_CYCLE_1)
	s_or_b32 exec_lo, exec_lo, s26
                                        ; implicit-def: $vgpr2_vgpr3
.LBB297_1669:
	s_and_not1_saveexec_b32 s25, s25
	s_cbranch_execz .LBB297_1677
; %bb.1670:
	flat_load_i16 v2, v[2:3]
	s_wait_loadcnt_dscnt 0x101
	v_mov_b32_e32 v7, 0x80
	s_mov_b32 s26, exec_lo
	s_wait_loadcnt_dscnt 0x0
	v_cvt_f32_i32_e32 v2, v2
	s_delay_alu instid0(VALU_DEP_1) | instskip(NEXT) | instid1(VALU_DEP_1)
	v_and_b32_e32 v3, 0x7fffffff, v2
	v_cmpx_gt_u32_e32 0x43800000, v3
	s_cbranch_execz .LBB297_1676
; %bb.1671:
	v_cmp_lt_u32_e64 s0, 0x3bffffff, v3
	s_mov_b32 s27, 0
                                        ; implicit-def: $vgpr3
	s_and_saveexec_b32 s28, s0
	s_delay_alu instid0(SALU_CYCLE_1)
	s_xor_b32 s0, exec_lo, s28
	s_cbranch_execz .LBB297_2945
; %bb.1672:
	v_bfe_u32 v3, v2, 20, 1
	s_mov_b32 s27, exec_lo
	s_delay_alu instid0(VALU_DEP_1) | instskip(NEXT) | instid1(VALU_DEP_1)
	v_add3_u32 v3, v2, v3, 0x487ffff
	v_lshrrev_b32_e32 v3, 20, v3
	s_and_not1_saveexec_b32 s28, s0
	s_cbranch_execnz .LBB297_2946
.LBB297_1673:
	s_or_b32 exec_lo, exec_lo, s28
	v_mov_b32_e32 v7, 0
	s_and_saveexec_b32 s0, s27
.LBB297_1674:
	v_lshrrev_b32_e32 v2, 24, v2
	s_delay_alu instid0(VALU_DEP_1)
	v_and_or_b32 v7, 0x80, v2, v3
.LBB297_1675:
	s_or_b32 exec_lo, exec_lo, s0
.LBB297_1676:
	s_delay_alu instid0(SALU_CYCLE_1)
	s_or_b32 exec_lo, exec_lo, s26
.LBB297_1677:
	s_delay_alu instid0(SALU_CYCLE_1)
	s_or_b32 exec_lo, exec_lo, s25
                                        ; implicit-def: $vgpr5
                                        ; implicit-def: $vgpr2_vgpr3
.LBB297_1678:
	s_and_not1_saveexec_b32 s24, s24
	s_cbranch_execz .LBB297_1696
; %bb.1679:
	s_mov_b32 s25, exec_lo
                                        ; implicit-def: $vgpr7
	v_cmpx_lt_i16_e32 0, v5
	s_xor_b32 s25, exec_lo, s25
	s_cbranch_execz .LBB297_1687
; %bb.1680:
	flat_load_i8 v2, v[2:3]
	s_wait_loadcnt_dscnt 0x101
	v_mov_b32_e32 v7, 0x80
	s_mov_b32 s26, exec_lo
	s_wait_loadcnt_dscnt 0x0
	v_cvt_f32_i32_e32 v2, v2
	s_delay_alu instid0(VALU_DEP_1) | instskip(NEXT) | instid1(VALU_DEP_1)
	v_and_b32_e32 v3, 0x7fffffff, v2
	v_cmpx_gt_u32_e32 0x43800000, v3
	s_cbranch_execz .LBB297_1686
; %bb.1681:
	v_cmp_lt_u32_e64 s0, 0x3bffffff, v3
	s_mov_b32 s27, 0
                                        ; implicit-def: $vgpr3
	s_and_saveexec_b32 s28, s0
	s_delay_alu instid0(SALU_CYCLE_1)
	s_xor_b32 s0, exec_lo, s28
	s_cbranch_execz .LBB297_2947
; %bb.1682:
	v_bfe_u32 v3, v2, 20, 1
	s_mov_b32 s27, exec_lo
	s_delay_alu instid0(VALU_DEP_1) | instskip(NEXT) | instid1(VALU_DEP_1)
	v_add3_u32 v3, v2, v3, 0x487ffff
	v_lshrrev_b32_e32 v3, 20, v3
	s_and_not1_saveexec_b32 s28, s0
	s_cbranch_execnz .LBB297_2948
.LBB297_1683:
	s_or_b32 exec_lo, exec_lo, s28
	v_mov_b32_e32 v7, 0
	s_and_saveexec_b32 s0, s27
.LBB297_1684:
	v_lshrrev_b32_e32 v2, 24, v2
	s_delay_alu instid0(VALU_DEP_1)
	v_and_or_b32 v7, 0x80, v2, v3
.LBB297_1685:
	s_or_b32 exec_lo, exec_lo, s0
.LBB297_1686:
	s_delay_alu instid0(SALU_CYCLE_1)
	s_or_b32 exec_lo, exec_lo, s26
                                        ; implicit-def: $vgpr2_vgpr3
.LBB297_1687:
	s_and_not1_saveexec_b32 s25, s25
	s_cbranch_execz .LBB297_1695
; %bb.1688:
	flat_load_u8 v2, v[2:3]
	s_wait_loadcnt_dscnt 0x101
	v_mov_b32_e32 v7, 0x80
	s_mov_b32 s26, exec_lo
	s_wait_loadcnt_dscnt 0x0
	v_cvt_f32_ubyte0_e32 v3, v2
	s_delay_alu instid0(VALU_DEP_1)
	v_cmpx_gt_u32_e32 0x43800000, v3
	s_cbranch_execz .LBB297_1694
; %bb.1689:
	v_cmp_lt_u32_e64 s0, 0x3bffffff, v3
	s_mov_b32 s27, 0
                                        ; implicit-def: $vgpr2
	s_and_saveexec_b32 s28, s0
	s_delay_alu instid0(SALU_CYCLE_1)
	s_xor_b32 s0, exec_lo, s28
	s_cbranch_execz .LBB297_2949
; %bb.1690:
	v_bfe_u32 v2, v3, 20, 1
	s_mov_b32 s27, exec_lo
	s_delay_alu instid0(VALU_DEP_1) | instskip(NEXT) | instid1(VALU_DEP_1)
	v_add3_u32 v2, v3, v2, 0x487ffff
                                        ; implicit-def: $vgpr3
	v_lshrrev_b32_e32 v2, 20, v2
	s_and_not1_saveexec_b32 s28, s0
	s_cbranch_execnz .LBB297_2950
.LBB297_1691:
	s_or_b32 exec_lo, exec_lo, s28
	v_mov_b32_e32 v7, 0
	s_and_saveexec_b32 s0, s27
.LBB297_1692:
	v_mov_b32_e32 v7, v2
.LBB297_1693:
	s_or_b32 exec_lo, exec_lo, s0
.LBB297_1694:
	s_delay_alu instid0(SALU_CYCLE_1)
	s_or_b32 exec_lo, exec_lo, s26
.LBB297_1695:
	s_delay_alu instid0(SALU_CYCLE_1)
	s_or_b32 exec_lo, exec_lo, s25
.LBB297_1696:
	s_delay_alu instid0(SALU_CYCLE_1)
	s_or_b32 exec_lo, exec_lo, s24
.LBB297_1697:
	s_delay_alu instid0(SALU_CYCLE_1) | instskip(NEXT) | instid1(SALU_CYCLE_1)
	s_or_b32 exec_lo, exec_lo, s22
	s_or_b32 s23, s23, exec_lo
.LBB297_1698:
	s_or_b32 exec_lo, exec_lo, s21
	s_mov_b32 s0, 0
	s_mov_b32 s24, 0
                                        ; implicit-def: $sgpr21
                                        ; implicit-def: $vgpr30_vgpr31
                                        ; implicit-def: $vgpr15
	s_and_saveexec_b32 s22, s23
	s_cbranch_execz .LBB297_2022
; %bb.1699:
                                        ; implicit-def: $sgpr21
	s_and_saveexec_b32 s0, vcc_lo
	s_delay_alu instid0(SALU_CYCLE_1)
	s_xor_b32 s0, exec_lo, s0
	s_cbranch_execz .LBB297_1713
; %bb.1700:
	v_and_b32_e32 v3, 0xff, v9
	s_mov_b32 s21, 0
	s_mov_b32 s23, exec_lo
	s_delay_alu instid0(VALU_DEP_1)
	v_cmpx_lt_i16_e32 0x7f, v3
	s_xor_b32 s23, exec_lo, s23
	s_cbranch_execz .LBB297_2686
; %bb.1701:
	s_mov_b32 s21, -1
	s_mov_b32 s24, exec_lo
	v_cmpx_eq_u16_e32 0x80, v3
; %bb.1702:
	s_xor_b32 s21, exec_lo, -1
; %bb.1703:
	s_or_b32 exec_lo, exec_lo, s24
	s_delay_alu instid0(SALU_CYCLE_1)
	s_and_b32 s21, s21, exec_lo
                                        ; implicit-def: $vgpr3
	s_or_saveexec_b32 s23, s23
	v_mov_b32_e32 v2, 0x7f800001
	s_xor_b32 exec_lo, exec_lo, s23
	s_cbranch_execnz .LBB297_2687
.LBB297_1704:
	s_or_b32 exec_lo, exec_lo, s23
	s_and_saveexec_b32 s23, s21
	s_cbranch_execz .LBB297_1706
.LBB297_1705:
	v_and_b32_e32 v2, 7, v9
	v_lshrrev_b16 v5, 3, v9
	s_delay_alu instid0(VALU_DEP_2) | instskip(NEXT) | instid1(VALU_DEP_1)
	v_clz_i32_u32_e32 v3, v2
	v_min_u32_e32 v3, 32, v3
	s_delay_alu instid0(VALU_DEP_3) | instskip(NEXT) | instid1(VALU_DEP_2)
	v_and_b32_e32 v5, 15, v5
	v_subrev_nc_u32_e32 v11, 28, v3
	v_sub_nc_u32_e32 v3, 29, v3
	s_delay_alu instid0(VALU_DEP_3) | instskip(NEXT) | instid1(VALU_DEP_3)
	v_cmp_eq_u32_e32 vcc_lo, 0, v5
	v_dual_lshlrev_b32 v11, v11, v9 :: v_dual_lshlrev_b32 v9, 24, v9
	s_delay_alu instid0(VALU_DEP_1) | instskip(NEXT) | instid1(VALU_DEP_1)
	v_and_b32_e32 v11, 7, v11
	v_cndmask_b32_e32 v2, v2, v11, vcc_lo
	v_cndmask_b32_e32 v3, v5, v3, vcc_lo
	s_delay_alu instid0(VALU_DEP_4) | instskip(NEXT) | instid1(VALU_DEP_3)
	v_and_b32_e32 v5, 0x80000000, v9
	v_lshlrev_b32_e32 v2, 20, v2
	s_delay_alu instid0(VALU_DEP_3) | instskip(NEXT) | instid1(VALU_DEP_1)
	v_lshl_add_u32 v3, v3, 23, 0x3b800000
	v_or3_b32 v2, v5, v3, v2
.LBB297_1706:
	s_or_b32 exec_lo, exec_lo, s23
	s_wait_loadcnt_dscnt 0x0
	v_and_b32_e32 v5, 0xff, v7
	s_mov_b32 s21, 0
	s_mov_b32 s23, exec_lo
	s_delay_alu instid0(VALU_DEP_1)
	v_cmpx_lt_i16_e32 0x7f, v5
	s_xor_b32 s23, exec_lo, s23
	s_cbranch_execz .LBB297_2688
; %bb.1707:
	s_mov_b32 s21, -1
	s_mov_b32 s24, exec_lo
	v_cmpx_eq_u16_e32 0x80, v5
; %bb.1708:
	s_xor_b32 s21, exec_lo, -1
; %bb.1709:
	s_or_b32 exec_lo, exec_lo, s24
	s_delay_alu instid0(SALU_CYCLE_1)
	s_and_b32 s21, s21, exec_lo
                                        ; implicit-def: $vgpr5
	s_or_saveexec_b32 s23, s23
	v_mov_b32_e32 v3, 0x7f800001
	s_xor_b32 exec_lo, exec_lo, s23
	s_cbranch_execnz .LBB297_2689
.LBB297_1710:
	s_or_b32 exec_lo, exec_lo, s23
	s_and_saveexec_b32 s23, s21
	s_cbranch_execz .LBB297_1712
.LBB297_1711:
	v_and_b32_e32 v3, 7, v7
	v_lshrrev_b16 v9, 3, v7
	s_delay_alu instid0(VALU_DEP_2) | instskip(NEXT) | instid1(VALU_DEP_2)
	v_clz_i32_u32_e32 v5, v3
	v_and_b32_e32 v9, 15, v9
	s_delay_alu instid0(VALU_DEP_2) | instskip(NEXT) | instid1(VALU_DEP_1)
	v_min_u32_e32 v5, 32, v5
	v_subrev_nc_u32_e32 v11, 28, v5
	s_delay_alu instid0(VALU_DEP_1) | instskip(SKIP_2) | instid1(VALU_DEP_3)
	v_dual_lshlrev_b32 v11, v11, v7 :: v_dual_sub_nc_u32 v5, 29, v5
	v_lshlrev_b32_e32 v7, 24, v7
	v_cmp_eq_u32_e32 vcc_lo, 0, v9
	v_and_b32_e32 v11, 7, v11
	s_delay_alu instid0(VALU_DEP_3) | instskip(NEXT) | instid1(VALU_DEP_2)
	v_and_b32_e32 v7, 0x80000000, v7
	v_dual_cndmask_b32 v5, v9, v5, vcc_lo :: v_dual_cndmask_b32 v3, v3, v11, vcc_lo
	s_delay_alu instid0(VALU_DEP_1) | instskip(NEXT) | instid1(VALU_DEP_2)
	v_lshl_add_u32 v5, v5, 23, 0x3b800000
	v_lshlrev_b32_e32 v3, 20, v3
	s_delay_alu instid0(VALU_DEP_1)
	v_or3_b32 v3, v7, v5, v3
.LBB297_1712:
	s_or_b32 exec_lo, exec_lo, s23
	s_delay_alu instid0(VALU_DEP_1)
	v_cmp_neq_f32_e64 s21, v2, v3
                                        ; implicit-def: $vgpr7
                                        ; implicit-def: $vgpr9
.LBB297_1713:
	s_and_not1_saveexec_b32 s0, s0
	s_cbranch_execz .LBB297_1727
; %bb.1714:
	v_and_b32_e32 v3, 0xff, v9
	s_mov_b32 s23, 0
	s_mov_b32 s24, exec_lo
	s_delay_alu instid0(VALU_DEP_1)
	v_cmpx_lt_i16_e32 0x7f, v3
	s_xor_b32 s24, exec_lo, s24
	s_cbranch_execz .LBB297_2690
; %bb.1715:
	s_mov_b32 s23, -1
	s_mov_b32 s25, exec_lo
	v_cmpx_eq_u16_e32 0x80, v3
; %bb.1716:
	s_xor_b32 s23, exec_lo, -1
; %bb.1717:
	s_or_b32 exec_lo, exec_lo, s25
	s_delay_alu instid0(SALU_CYCLE_1)
	s_and_b32 s23, s23, exec_lo
                                        ; implicit-def: $vgpr3
	s_or_saveexec_b32 s24, s24
	v_mov_b32_e32 v2, 0x7f800001
	s_xor_b32 exec_lo, exec_lo, s24
	s_cbranch_execnz .LBB297_2691
.LBB297_1718:
	s_or_b32 exec_lo, exec_lo, s24
	s_and_saveexec_b32 s24, s23
	s_cbranch_execz .LBB297_1720
.LBB297_1719:
	v_and_b32_e32 v2, 7, v9
	v_lshrrev_b16 v5, 3, v9
	s_delay_alu instid0(VALU_DEP_2) | instskip(NEXT) | instid1(VALU_DEP_1)
	v_clz_i32_u32_e32 v3, v2
	v_min_u32_e32 v3, 32, v3
	s_delay_alu instid0(VALU_DEP_3) | instskip(NEXT) | instid1(VALU_DEP_2)
	v_and_b32_e32 v5, 15, v5
	v_subrev_nc_u32_e32 v11, 28, v3
	v_sub_nc_u32_e32 v3, 29, v3
	s_delay_alu instid0(VALU_DEP_3) | instskip(NEXT) | instid1(VALU_DEP_3)
	v_cmp_eq_u32_e32 vcc_lo, 0, v5
	v_dual_lshlrev_b32 v11, v11, v9 :: v_dual_lshlrev_b32 v9, 24, v9
	s_delay_alu instid0(VALU_DEP_1) | instskip(NEXT) | instid1(VALU_DEP_1)
	v_and_b32_e32 v11, 7, v11
	v_cndmask_b32_e32 v2, v2, v11, vcc_lo
	v_cndmask_b32_e32 v3, v5, v3, vcc_lo
	s_delay_alu instid0(VALU_DEP_4) | instskip(NEXT) | instid1(VALU_DEP_3)
	v_and_b32_e32 v5, 0x80000000, v9
	v_lshlrev_b32_e32 v2, 20, v2
	s_delay_alu instid0(VALU_DEP_3) | instskip(NEXT) | instid1(VALU_DEP_1)
	v_lshl_add_u32 v3, v3, 23, 0x3b800000
	v_or3_b32 v2, v5, v3, v2
.LBB297_1720:
	s_or_b32 exec_lo, exec_lo, s24
	s_wait_loadcnt_dscnt 0x0
	v_and_b32_e32 v5, 0xff, v7
	s_mov_b32 s23, 0
	s_mov_b32 s24, exec_lo
	s_delay_alu instid0(VALU_DEP_1)
	v_cmpx_lt_i16_e32 0x7f, v5
	s_xor_b32 s24, exec_lo, s24
	s_cbranch_execz .LBB297_2692
; %bb.1721:
	s_mov_b32 s23, -1
	s_mov_b32 s25, exec_lo
	v_cmpx_eq_u16_e32 0x80, v5
; %bb.1722:
	s_xor_b32 s23, exec_lo, -1
; %bb.1723:
	s_or_b32 exec_lo, exec_lo, s25
	s_delay_alu instid0(SALU_CYCLE_1)
	s_and_b32 s23, s23, exec_lo
                                        ; implicit-def: $vgpr5
	s_or_saveexec_b32 s24, s24
	v_mov_b32_e32 v3, 0x7f800001
	s_xor_b32 exec_lo, exec_lo, s24
	s_cbranch_execnz .LBB297_2693
.LBB297_1724:
	s_or_b32 exec_lo, exec_lo, s24
	s_and_saveexec_b32 s24, s23
	s_cbranch_execz .LBB297_1726
.LBB297_1725:
	v_and_b32_e32 v3, 7, v7
	v_lshrrev_b16 v9, 3, v7
	s_delay_alu instid0(VALU_DEP_2) | instskip(NEXT) | instid1(VALU_DEP_2)
	v_clz_i32_u32_e32 v5, v3
	v_and_b32_e32 v9, 15, v9
	s_delay_alu instid0(VALU_DEP_2) | instskip(NEXT) | instid1(VALU_DEP_1)
	v_min_u32_e32 v5, 32, v5
	v_subrev_nc_u32_e32 v11, 28, v5
	s_delay_alu instid0(VALU_DEP_1) | instskip(SKIP_2) | instid1(VALU_DEP_3)
	v_dual_lshlrev_b32 v11, v11, v7 :: v_dual_sub_nc_u32 v5, 29, v5
	v_lshlrev_b32_e32 v7, 24, v7
	v_cmp_eq_u32_e32 vcc_lo, 0, v9
	v_and_b32_e32 v11, 7, v11
	s_delay_alu instid0(VALU_DEP_3) | instskip(NEXT) | instid1(VALU_DEP_2)
	v_and_b32_e32 v7, 0x80000000, v7
	v_dual_cndmask_b32 v5, v9, v5, vcc_lo :: v_dual_cndmask_b32 v3, v3, v11, vcc_lo
	s_delay_alu instid0(VALU_DEP_1) | instskip(NEXT) | instid1(VALU_DEP_2)
	v_lshl_add_u32 v5, v5, 23, 0x3b800000
	v_lshlrev_b32_e32 v3, 20, v3
	s_delay_alu instid0(VALU_DEP_1)
	v_or3_b32 v3, v7, v5, v3
.LBB297_1726:
	s_or_b32 exec_lo, exec_lo, s24
	s_delay_alu instid0(VALU_DEP_1) | instskip(SKIP_2) | instid1(SALU_CYCLE_1)
	v_cmp_eq_f32_e32 vcc_lo, v2, v3
	s_and_not1_b32 s21, s21, exec_lo
	s_and_b32 s23, vcc_lo, exec_lo
	s_or_b32 s21, s21, s23
.LBB297_1727:
	s_or_b32 exec_lo, exec_lo, s0
	scratch_load_u8 v5, off, off offset:436
	v_mov_b32_e32 v11, 0
	s_mov_b32 s0, 0
	s_mov_b32 s23, s20
	s_mov_b32 s24, exec_lo
	s_delay_alu instid0(VALU_DEP_1)
	v_add_nc_u64_e32 v[2:3], v[0:1], v[10:11]
	s_wait_loadcnt 0x0
	v_cmpx_lt_i16_e32 10, v5
	s_xor_b32 s24, exec_lo, s24
	s_cbranch_execz .LBB297_1768
; %bb.1728:
	s_mov_b32 s25, 0
	s_mov_b32 s23, 0
	s_mov_b32 s26, exec_lo
	v_cmpx_lt_i16_e32 25, v5
	s_xor_b32 s26, exec_lo, s26
	s_cbranch_execz .LBB297_2694
; %bb.1729:
	s_mov_b32 s27, 0
	s_mov_b32 s23, exec_lo
	v_cmpx_lt_i16_e32 28, v5
	s_xor_b32 s23, exec_lo, s23
	s_cbranch_execz .LBB297_1747
; %bb.1730:
	;; [unrolled: 6-line block ×4, first 2 shown]
	s_mov_b32 s30, -1
	s_mov_b32 s29, exec_lo
	v_cmpx_eq_u16_e32 46, v5
	s_cbranch_execz .LBB297_1734
; %bb.1733:
	v_cndmask_b32_e64 v5, 0, 1.0, s9
	s_mov_b32 s28, exec_lo
	s_xor_b32 s30, exec_lo, -1
	s_wait_dscnt 0x0
	s_delay_alu instid0(VALU_DEP_1) | instskip(NEXT) | instid1(VALU_DEP_1)
	v_bfe_u32 v7, v5, 16, 1
	v_add3_u32 v5, v5, v7, 0x7fff
	s_delay_alu instid0(VALU_DEP_1)
	v_lshrrev_b32_e32 v5, 16, v5
	flat_store_b32 v[2:3], v5
.LBB297_1734:
	s_wait_xcnt 0x0
	s_or_b32 exec_lo, exec_lo, s29
	s_delay_alu instid0(SALU_CYCLE_1)
	s_and_b32 s29, s28, exec_lo
	s_and_b32 s28, s30, exec_lo
                                        ; implicit-def: $vgpr5
.LBB297_1735:
	s_and_not1_saveexec_b32 s30, s0
	s_cbranch_execz .LBB297_1741
; %bb.1736:
	s_mov_b32 s0, -1
	s_mov_b32 s33, s29
	s_mov_b32 s31, exec_lo
	v_cmpx_eq_u16_e32 44, v5
	s_cbranch_execz .LBB297_1740
; %bb.1737:
	v_cndmask_b32_e64 v9, 0, 1.0, s9
	s_wait_dscnt 0x0
	v_mov_b32_e32 v7, 0xff
	s_mov_b32 s33, exec_lo
	s_delay_alu instid0(VALU_DEP_2) | instskip(NEXT) | instid1(VALU_DEP_1)
	v_lshrrev_b32_e32 v5, 23, v9
	v_cmpx_ne_u32_e32 0xff, v5
; %bb.1738:
	v_and_b32_e32 v7, 0x400000, v9
	v_and_or_b32 v9, 0x3fffff, v9, v5
	s_delay_alu instid0(VALU_DEP_2) | instskip(NEXT) | instid1(VALU_DEP_2)
	v_cmp_ne_u32_e32 vcc_lo, 0, v7
	v_cmp_ne_u32_e64 s0, 0, v9
	s_and_b32 s0, vcc_lo, s0
	s_delay_alu instid0(SALU_CYCLE_1) | instskip(NEXT) | instid1(VALU_DEP_1)
	v_cndmask_b32_e64 v7, 0, 1, s0
	v_add_nc_u32_e32 v7, v5, v7
; %bb.1739:
	s_or_b32 exec_lo, exec_lo, s33
	s_delay_alu instid0(SALU_CYCLE_1)
	s_or_b32 s33, s29, exec_lo
	s_xor_b32 s0, exec_lo, -1
	flat_store_b8 v[2:3], v7
.LBB297_1740:
	s_wait_xcnt 0x0
	s_or_b32 exec_lo, exec_lo, s31
	s_delay_alu instid0(SALU_CYCLE_1)
	s_and_not1_b32 s29, s29, exec_lo
	s_and_b32 s31, s33, exec_lo
	s_and_not1_b32 s28, s28, exec_lo
	s_and_b32 s0, s0, exec_lo
	s_or_b32 s29, s29, s31
	s_or_b32 s28, s28, s0
.LBB297_1741:
	s_or_b32 exec_lo, exec_lo, s30
	s_delay_alu instid0(SALU_CYCLE_1)
	s_and_b32 s0, s29, exec_lo
	s_and_b32 s28, s28, exec_lo
                                        ; implicit-def: $vgpr5
.LBB297_1742:
	s_and_not1_saveexec_b32 s27, s27
	s_cbranch_execz .LBB297_1746
; %bb.1743:
	s_mov_b32 s29, -1
	s_mov_b32 s31, s0
	s_mov_b32 s30, exec_lo
	v_cmpx_eq_u16_e32 29, v5
	s_cbranch_execz .LBB297_1745
; %bb.1744:
	s_mov_b32 s29, 0
	v_cndmask_b32_e64 v10, 0, 1, s9
	v_mov_b32_e32 v11, s29
	s_or_b32 s31, s0, exec_lo
	s_xor_b32 s29, exec_lo, -1
	flat_store_b64 v[2:3], v[10:11]
.LBB297_1745:
	s_wait_xcnt 0x0
	s_or_b32 exec_lo, exec_lo, s30
	s_delay_alu instid0(SALU_CYCLE_1)
	s_and_not1_b32 s0, s0, exec_lo
	s_and_b32 s30, s31, exec_lo
	s_and_not1_b32 s28, s28, exec_lo
	s_and_b32 s29, s29, exec_lo
	s_or_b32 s0, s0, s30
	s_or_b32 s28, s28, s29
.LBB297_1746:
	s_or_b32 exec_lo, exec_lo, s27
	s_delay_alu instid0(SALU_CYCLE_1)
	s_and_b32 s0, s0, exec_lo
	s_and_b32 s27, s28, exec_lo
                                        ; implicit-def: $vgpr5
.LBB297_1747:
	s_and_not1_saveexec_b32 s23, s23
	s_cbranch_execz .LBB297_1763
; %bb.1748:
	s_mov_b32 s28, exec_lo
	v_cmpx_lt_i16_e32 26, v5
	s_xor_b32 s28, exec_lo, s28
	s_cbranch_execz .LBB297_1754
; %bb.1749:
	s_mov_b32 s29, exec_lo
	v_cmpx_lt_i16_e32 27, v5
	s_xor_b32 s29, exec_lo, s29
	s_cbranch_execz .LBB297_1751
; %bb.1750:
	v_cndmask_b32_e64 v5, 0, 1, s9
	flat_store_b32 v[2:3], v5
.LBB297_1751:
	s_wait_xcnt 0x0
	s_and_not1_saveexec_b32 s29, s29
	s_cbranch_execz .LBB297_1753
; %bb.1752:
	v_cndmask_b32_e64 v5, 0, 1, s9
	flat_store_b16 v[2:3], v5
.LBB297_1753:
	s_wait_xcnt 0x0
	s_or_b32 exec_lo, exec_lo, s29
.LBB297_1754:
	s_and_not1_saveexec_b32 s28, s28
	s_cbranch_execz .LBB297_1762
; %bb.1755:
	s_wait_dscnt 0x0
	v_cndmask_b32_e64 v7, 0, 1.0, s9
	v_mov_b32_e32 v9, 0x80
	s_mov_b32 s29, exec_lo
	s_delay_alu instid0(VALU_DEP_2)
	v_cmpx_gt_u32_e32 0x43800000, v7
	s_cbranch_execz .LBB297_1761
; %bb.1756:
	s_mov_b32 s30, 0
	s_mov_b32 s31, exec_lo
                                        ; implicit-def: $vgpr5
	v_cmpx_lt_u32_e32 0x3bffffff, v7
	s_xor_b32 s31, exec_lo, s31
	s_cbranch_execz .LBB297_3026
; %bb.1757:
	v_bfe_u32 v5, v7, 20, 1
	s_mov_b32 s30, exec_lo
	s_delay_alu instid0(VALU_DEP_1) | instskip(NEXT) | instid1(VALU_DEP_1)
	v_add3_u32 v5, v7, v5, 0x487ffff
                                        ; implicit-def: $vgpr7
	v_lshrrev_b32_e32 v5, 20, v5
	s_and_not1_saveexec_b32 s31, s31
	s_cbranch_execnz .LBB297_3027
.LBB297_1758:
	s_or_b32 exec_lo, exec_lo, s31
	v_mov_b32_e32 v9, 0
	s_and_saveexec_b32 s31, s30
.LBB297_1759:
	v_mov_b32_e32 v9, v5
.LBB297_1760:
	s_or_b32 exec_lo, exec_lo, s31
.LBB297_1761:
	s_delay_alu instid0(SALU_CYCLE_1)
	s_or_b32 exec_lo, exec_lo, s29
	flat_store_b8 v[2:3], v9
.LBB297_1762:
	s_wait_xcnt 0x0
	s_or_b32 exec_lo, exec_lo, s28
	s_delay_alu instid0(SALU_CYCLE_1)
	s_or_b32 s0, s0, exec_lo
.LBB297_1763:
	s_or_b32 exec_lo, exec_lo, s23
	s_delay_alu instid0(SALU_CYCLE_1)
	s_and_b32 s0, s0, exec_lo
	s_and_b32 s23, s27, exec_lo
                                        ; implicit-def: $vgpr5
	s_and_not1_saveexec_b32 s26, s26
	s_cbranch_execnz .LBB297_2695
.LBB297_1764:
	s_or_b32 exec_lo, exec_lo, s26
	s_mov_b32 s26, s20
	s_and_saveexec_b32 s27, s23
	s_cbranch_execnz .LBB297_2736
.LBB297_1765:
	s_or_b32 exec_lo, exec_lo, s27
	s_and_saveexec_b32 s23, s25
	s_delay_alu instid0(SALU_CYCLE_1)
	s_xor_b32 s23, exec_lo, s23
	s_cbranch_execz .LBB297_1767
.LBB297_1766:
	v_cndmask_b32_e64 v5, 0, 1, s9
	s_or_b32 s0, s0, exec_lo
	flat_store_b8 v[2:3], v5
.LBB297_1767:
	s_wait_xcnt 0x0
	s_or_b32 exec_lo, exec_lo, s23
	s_delay_alu instid0(SALU_CYCLE_1)
	s_and_not1_b32 s23, s20, exec_lo
	s_and_b32 s25, s26, exec_lo
	s_and_b32 s0, s0, exec_lo
	s_or_b32 s23, s23, s25
                                        ; implicit-def: $vgpr5
                                        ; implicit-def: $vgpr2_vgpr3
.LBB297_1768:
	s_and_not1_saveexec_b32 s24, s24
	s_cbranch_execz .LBB297_1810
; %bb.1769:
	s_mov_b32 s25, exec_lo
	v_cmpx_lt_i16_e32 4, v5
	s_xor_b32 s25, exec_lo, s25
	s_cbranch_execz .LBB297_1791
; %bb.1770:
	s_mov_b32 s26, exec_lo
	v_cmpx_lt_i16_e32 7, v5
	s_xor_b32 s26, exec_lo, s26
	;; [unrolled: 5-line block ×4, first 2 shown]
	s_cbranch_execz .LBB297_1774
; %bb.1773:
	v_cndmask_b32_e64 v5, 0, 1, s9
	v_mov_b32_e32 v12, 0
	s_delay_alu instid0(VALU_DEP_2) | instskip(NEXT) | instid1(VALU_DEP_2)
	v_cvt_f64_u32_e32 v[10:11], v5
	v_mov_b32_e32 v13, v12
	flat_store_b128 v[2:3], v[10:13]
                                        ; implicit-def: $vgpr2_vgpr3
.LBB297_1774:
	s_wait_xcnt 0x0
	s_and_not1_saveexec_b32 s28, s28
	s_cbranch_execz .LBB297_1776
; %bb.1775:
	v_cndmask_b32_e64 v10, 0, 1.0, s9
	v_mov_b32_e32 v11, 0
	flat_store_b64 v[2:3], v[10:11]
.LBB297_1776:
	s_wait_xcnt 0x0
	s_or_b32 exec_lo, exec_lo, s28
                                        ; implicit-def: $vgpr2_vgpr3
.LBB297_1777:
	s_and_not1_saveexec_b32 s27, s27
	s_cbranch_execz .LBB297_1779
; %bb.1778:
	v_cndmask_b32_e64 v5, 0, 1.0, s9
	s_delay_alu instid0(VALU_DEP_1) | instskip(NEXT) | instid1(VALU_DEP_1)
	v_cvt_f16_f32_e32 v5, v5
	v_and_b32_e32 v5, 0xffff, v5
	flat_store_b32 v[2:3], v5
.LBB297_1779:
	s_wait_xcnt 0x0
	s_or_b32 exec_lo, exec_lo, s27
                                        ; implicit-def: $vgpr2_vgpr3
                                        ; implicit-def: $vgpr5
.LBB297_1780:
	s_and_not1_saveexec_b32 s26, s26
	s_cbranch_execz .LBB297_1790
; %bb.1781:
	s_mov_b32 s27, exec_lo
	v_cmpx_lt_i16_e32 5, v5
	s_xor_b32 s27, exec_lo, s27
	s_cbranch_execz .LBB297_1787
; %bb.1782:
	s_mov_b32 s28, exec_lo
	v_cmpx_lt_i16_e32 6, v5
	s_xor_b32 s28, exec_lo, s28
	s_cbranch_execz .LBB297_1784
; %bb.1783:
	v_cndmask_b32_e64 v5, 0, 1, s9
	s_delay_alu instid0(VALU_DEP_1)
	v_cvt_f64_u32_e32 v[10:11], v5
	flat_store_b64 v[2:3], v[10:11]
                                        ; implicit-def: $vgpr2_vgpr3
.LBB297_1784:
	s_wait_xcnt 0x0
	s_and_not1_saveexec_b32 s28, s28
	s_cbranch_execz .LBB297_1786
; %bb.1785:
	v_cndmask_b32_e64 v5, 0, 1.0, s9
	flat_store_b32 v[2:3], v5
.LBB297_1786:
	s_wait_xcnt 0x0
	s_or_b32 exec_lo, exec_lo, s28
                                        ; implicit-def: $vgpr2_vgpr3
.LBB297_1787:
	s_and_not1_saveexec_b32 s27, s27
	s_cbranch_execz .LBB297_1789
; %bb.1788:
	v_cndmask_b32_e64 v5, 0, 1.0, s9
	s_delay_alu instid0(VALU_DEP_1)
	v_cvt_f16_f32_e32 v5, v5
	flat_store_b16 v[2:3], v5
.LBB297_1789:
	s_wait_xcnt 0x0
	s_or_b32 exec_lo, exec_lo, s27
.LBB297_1790:
	s_delay_alu instid0(SALU_CYCLE_1)
	s_or_b32 exec_lo, exec_lo, s26
                                        ; implicit-def: $vgpr5
                                        ; implicit-def: $vgpr2_vgpr3
.LBB297_1791:
	s_and_not1_saveexec_b32 s25, s25
	s_cbranch_execz .LBB297_1809
; %bb.1792:
	s_mov_b32 s26, exec_lo
	v_cmpx_lt_i16_e32 1, v5
	s_xor_b32 s26, exec_lo, s26
	s_cbranch_execz .LBB297_1802
; %bb.1793:
	s_mov_b32 s27, exec_lo
	v_cmpx_lt_i16_e32 2, v5
	s_xor_b32 s27, exec_lo, s27
	;; [unrolled: 5-line block ×3, first 2 shown]
	s_cbranch_execz .LBB297_1796
; %bb.1795:
	s_mov_b32 s29, 0
	v_cndmask_b32_e64 v10, 0, 1, s9
	v_mov_b32_e32 v11, s29
	flat_store_b64 v[2:3], v[10:11]
                                        ; implicit-def: $vgpr2_vgpr3
.LBB297_1796:
	s_wait_xcnt 0x0
	s_and_not1_saveexec_b32 s28, s28
	s_cbranch_execz .LBB297_1798
; %bb.1797:
	v_cndmask_b32_e64 v5, 0, 1, s9
	flat_store_b32 v[2:3], v5
.LBB297_1798:
	s_wait_xcnt 0x0
	s_or_b32 exec_lo, exec_lo, s28
                                        ; implicit-def: $vgpr2_vgpr3
.LBB297_1799:
	s_and_not1_saveexec_b32 s27, s27
	s_cbranch_execz .LBB297_1801
; %bb.1800:
	v_cndmask_b32_e64 v5, 0, 1, s9
	flat_store_b16 v[2:3], v5
.LBB297_1801:
	s_wait_xcnt 0x0
	s_or_b32 exec_lo, exec_lo, s27
                                        ; implicit-def: $vgpr2_vgpr3
                                        ; implicit-def: $vgpr5
.LBB297_1802:
	s_and_not1_saveexec_b32 s26, s26
	s_cbranch_execz .LBB297_1808
; %bb.1803:
	v_cmp_lt_i16_e32 vcc_lo, 0, v5
	v_cndmask_b32_e64 v5, 0, 1, s9
	s_and_saveexec_b32 s9, vcc_lo
	s_delay_alu instid0(SALU_CYCLE_1)
	s_xor_b32 s9, exec_lo, s9
	s_cbranch_execz .LBB297_1805
; %bb.1804:
	flat_store_b8 v[2:3], v5
                                        ; implicit-def: $vgpr2_vgpr3
                                        ; implicit-def: $vgpr5
.LBB297_1805:
	s_wait_xcnt 0x0
	s_and_not1_saveexec_b32 s9, s9
	s_cbranch_execz .LBB297_1807
; %bb.1806:
	flat_store_b8 v[2:3], v5
.LBB297_1807:
	s_wait_xcnt 0x0
	s_or_b32 exec_lo, exec_lo, s9
.LBB297_1808:
	s_delay_alu instid0(SALU_CYCLE_1)
	s_or_b32 exec_lo, exec_lo, s26
.LBB297_1809:
	s_delay_alu instid0(SALU_CYCLE_1) | instskip(NEXT) | instid1(SALU_CYCLE_1)
	s_or_b32 exec_lo, exec_lo, s25
	s_or_b32 s0, s0, exec_lo
.LBB297_1810:
	s_or_b32 exec_lo, exec_lo, s24
	s_mov_b32 s25, 0
	s_mov_b32 s26, 0
                                        ; implicit-def: $vgpr30_vgpr31
                                        ; implicit-def: $vgpr15
	s_and_saveexec_b32 s9, s0
	s_cbranch_execz .LBB297_2021
; %bb.1811:
	scratch_load_u8 v5, off, off offset:436
	v_mov_b32_e32 v9, 0
	s_mov_b32 s0, 0
	s_mov_b32 s24, s23
	s_mov_b32 s25, exec_lo
	s_delay_alu instid0(VALU_DEP_1)
	v_add_nc_u64_e32 v[2:3], v[0:1], v[8:9]
	s_wait_loadcnt 0x0
	v_cmpx_lt_i16_e32 10, v5
	s_xor_b32 s25, exec_lo, s25
	s_cbranch_execz .LBB297_1852
; %bb.1812:
	s_mov_b32 s24, 0
	s_mov_b32 s27, exec_lo
	v_cmpx_lt_i16_e32 25, v5
	s_xor_b32 s27, exec_lo, s27
	s_cbranch_execz .LBB297_2781
; %bb.1813:
	s_mov_b32 s28, 0
	s_mov_b32 s24, exec_lo
	;; [unrolled: 6-line block ×4, first 2 shown]
	v_cmpx_lt_i16_e32 45, v5
	s_xor_b32 s0, exec_lo, s0
	s_cbranch_execz .LBB297_1819
; %bb.1816:
	s_mov_b32 s31, -1
	s_mov_b32 s30, exec_lo
	v_cmpx_eq_u16_e32 46, v5
	s_cbranch_execz .LBB297_1818
; %bb.1817:
	v_cndmask_b32_e64 v5, 0, 1.0, s13
	s_mov_b32 s29, exec_lo
	s_xor_b32 s31, exec_lo, -1
	s_wait_dscnt 0x0
	s_delay_alu instid0(VALU_DEP_1) | instskip(NEXT) | instid1(VALU_DEP_1)
	v_bfe_u32 v7, v5, 16, 1
	v_add3_u32 v5, v5, v7, 0x7fff
	s_delay_alu instid0(VALU_DEP_1)
	v_lshrrev_b32_e32 v5, 16, v5
	flat_store_b32 v[2:3], v5
.LBB297_1818:
	s_wait_xcnt 0x0
	s_or_b32 exec_lo, exec_lo, s30
	s_delay_alu instid0(SALU_CYCLE_1)
	s_and_b32 s30, s29, exec_lo
	s_and_b32 s29, s31, exec_lo
                                        ; implicit-def: $vgpr5
.LBB297_1819:
	s_and_not1_saveexec_b32 s31, s0
	s_cbranch_execz .LBB297_1825
; %bb.1820:
	s_mov_b32 s0, -1
	s_mov_b32 s34, s30
	s_mov_b32 s33, exec_lo
	v_cmpx_eq_u16_e32 44, v5
	s_cbranch_execz .LBB297_1824
; %bb.1821:
	v_cndmask_b32_e64 v8, 0, 1.0, s13
	s_wait_dscnt 0x0
	v_mov_b32_e32 v7, 0xff
	s_mov_b32 s34, exec_lo
	s_delay_alu instid0(VALU_DEP_2) | instskip(NEXT) | instid1(VALU_DEP_1)
	v_lshrrev_b32_e32 v5, 23, v8
	v_cmpx_ne_u32_e32 0xff, v5
; %bb.1822:
	v_and_b32_e32 v7, 0x400000, v8
	v_and_or_b32 v8, 0x3fffff, v8, v5
	s_delay_alu instid0(VALU_DEP_2) | instskip(NEXT) | instid1(VALU_DEP_2)
	v_cmp_ne_u32_e32 vcc_lo, 0, v7
	v_cmp_ne_u32_e64 s0, 0, v8
	s_and_b32 s0, vcc_lo, s0
	s_delay_alu instid0(SALU_CYCLE_1) | instskip(NEXT) | instid1(VALU_DEP_1)
	v_cndmask_b32_e64 v7, 0, 1, s0
	v_add_nc_u32_e32 v7, v5, v7
; %bb.1823:
	s_or_b32 exec_lo, exec_lo, s34
	s_delay_alu instid0(SALU_CYCLE_1)
	s_or_b32 s34, s30, exec_lo
	s_xor_b32 s0, exec_lo, -1
	flat_store_b8 v[2:3], v7
.LBB297_1824:
	s_wait_xcnt 0x0
	s_or_b32 exec_lo, exec_lo, s33
	s_delay_alu instid0(SALU_CYCLE_1)
	s_and_not1_b32 s30, s30, exec_lo
	s_and_b32 s33, s34, exec_lo
	s_and_not1_b32 s29, s29, exec_lo
	s_and_b32 s0, s0, exec_lo
	s_or_b32 s30, s30, s33
	s_or_b32 s29, s29, s0
.LBB297_1825:
	s_or_b32 exec_lo, exec_lo, s31
	s_delay_alu instid0(SALU_CYCLE_1)
	s_and_b32 s0, s30, exec_lo
	s_and_b32 s29, s29, exec_lo
                                        ; implicit-def: $vgpr5
.LBB297_1826:
	s_and_not1_saveexec_b32 s28, s28
	s_cbranch_execz .LBB297_1830
; %bb.1827:
	s_mov_b32 s30, -1
	s_mov_b32 s33, s0
	s_mov_b32 s31, exec_lo
	v_cmpx_eq_u16_e32 29, v5
	s_cbranch_execz .LBB297_1829
; %bb.1828:
	s_mov_b32 s30, 0
	v_cndmask_b32_e64 v8, 0, 1, s13
	v_mov_b32_e32 v9, s30
	s_or_b32 s33, s0, exec_lo
	s_xor_b32 s30, exec_lo, -1
	flat_store_b64 v[2:3], v[8:9]
.LBB297_1829:
	s_wait_xcnt 0x0
	s_or_b32 exec_lo, exec_lo, s31
	s_delay_alu instid0(SALU_CYCLE_1)
	s_and_not1_b32 s0, s0, exec_lo
	s_and_b32 s31, s33, exec_lo
	s_and_not1_b32 s29, s29, exec_lo
	s_and_b32 s30, s30, exec_lo
	s_or_b32 s0, s0, s31
	s_or_b32 s29, s29, s30
.LBB297_1830:
	s_or_b32 exec_lo, exec_lo, s28
	s_delay_alu instid0(SALU_CYCLE_1)
	s_and_b32 s0, s0, exec_lo
	s_and_b32 s28, s29, exec_lo
                                        ; implicit-def: $vgpr5
.LBB297_1831:
	s_and_not1_saveexec_b32 s24, s24
	s_cbranch_execz .LBB297_1847
; %bb.1832:
	s_mov_b32 s29, exec_lo
	v_cmpx_lt_i16_e32 26, v5
	s_xor_b32 s29, exec_lo, s29
	s_cbranch_execz .LBB297_1838
; %bb.1833:
	s_mov_b32 s30, exec_lo
	v_cmpx_lt_i16_e32 27, v5
	s_xor_b32 s30, exec_lo, s30
	s_cbranch_execz .LBB297_1835
; %bb.1834:
	v_cndmask_b32_e64 v5, 0, 1, s13
	flat_store_b32 v[2:3], v5
.LBB297_1835:
	s_wait_xcnt 0x0
	s_and_not1_saveexec_b32 s30, s30
	s_cbranch_execz .LBB297_1837
; %bb.1836:
	v_cndmask_b32_e64 v5, 0, 1, s13
	flat_store_b16 v[2:3], v5
.LBB297_1837:
	s_wait_xcnt 0x0
	s_or_b32 exec_lo, exec_lo, s30
.LBB297_1838:
	s_and_not1_saveexec_b32 s29, s29
	s_cbranch_execz .LBB297_1846
; %bb.1839:
	s_wait_dscnt 0x0
	v_cndmask_b32_e64 v7, 0, 1.0, s13
	v_mov_b32_e32 v8, 0x80
	s_mov_b32 s30, exec_lo
	s_delay_alu instid0(VALU_DEP_2)
	v_cmpx_gt_u32_e32 0x43800000, v7
	s_cbranch_execz .LBB297_1845
; %bb.1840:
	s_mov_b32 s31, 0
	s_mov_b32 s33, exec_lo
                                        ; implicit-def: $vgpr5
	v_cmpx_lt_u32_e32 0x3bffffff, v7
	s_xor_b32 s33, exec_lo, s33
	s_cbranch_execz .LBB297_3038
; %bb.1841:
	v_bfe_u32 v5, v7, 20, 1
	s_mov_b32 s31, exec_lo
	s_delay_alu instid0(VALU_DEP_1) | instskip(NEXT) | instid1(VALU_DEP_1)
	v_add3_u32 v5, v7, v5, 0x487ffff
                                        ; implicit-def: $vgpr7
	v_lshrrev_b32_e32 v5, 20, v5
	s_and_not1_saveexec_b32 s33, s33
	s_cbranch_execnz .LBB297_3039
.LBB297_1842:
	s_or_b32 exec_lo, exec_lo, s33
	v_mov_b32_e32 v8, 0
	s_and_saveexec_b32 s33, s31
.LBB297_1843:
	v_mov_b32_e32 v8, v5
.LBB297_1844:
	s_or_b32 exec_lo, exec_lo, s33
.LBB297_1845:
	s_delay_alu instid0(SALU_CYCLE_1)
	s_or_b32 exec_lo, exec_lo, s30
	flat_store_b8 v[2:3], v8
.LBB297_1846:
	s_wait_xcnt 0x0
	s_or_b32 exec_lo, exec_lo, s29
	s_delay_alu instid0(SALU_CYCLE_1)
	s_or_b32 s0, s0, exec_lo
.LBB297_1847:
	s_or_b32 exec_lo, exec_lo, s24
	s_delay_alu instid0(SALU_CYCLE_1)
	s_and_b32 s0, s0, exec_lo
	s_and_b32 s24, s28, exec_lo
                                        ; implicit-def: $vgpr5
	s_and_not1_saveexec_b32 s27, s27
	s_cbranch_execnz .LBB297_2782
.LBB297_1848:
	s_or_b32 exec_lo, exec_lo, s27
	s_mov_b32 s27, s23
	s_and_saveexec_b32 s28, s24
	s_cbranch_execnz .LBB297_2823
.LBB297_1849:
	s_or_b32 exec_lo, exec_lo, s28
	s_and_saveexec_b32 s24, s26
	s_delay_alu instid0(SALU_CYCLE_1)
	s_xor_b32 s24, exec_lo, s24
	s_cbranch_execz .LBB297_1851
.LBB297_1850:
	v_cndmask_b32_e64 v5, 0, 1, s13
	s_or_b32 s0, s0, exec_lo
	flat_store_b8 v[2:3], v5
.LBB297_1851:
	s_wait_xcnt 0x0
	s_or_b32 exec_lo, exec_lo, s24
	s_delay_alu instid0(SALU_CYCLE_1)
	s_and_not1_b32 s24, s23, exec_lo
	s_and_b32 s26, s27, exec_lo
	s_and_b32 s0, s0, exec_lo
	s_or_b32 s24, s24, s26
                                        ; implicit-def: $vgpr5
                                        ; implicit-def: $vgpr2_vgpr3
.LBB297_1852:
	s_and_not1_saveexec_b32 s25, s25
	s_cbranch_execz .LBB297_1894
; %bb.1853:
	s_mov_b32 s26, exec_lo
	v_cmpx_lt_i16_e32 4, v5
	s_xor_b32 s26, exec_lo, s26
	s_cbranch_execz .LBB297_1875
; %bb.1854:
	s_mov_b32 s27, exec_lo
	v_cmpx_lt_i16_e32 7, v5
	s_xor_b32 s27, exec_lo, s27
	;; [unrolled: 5-line block ×4, first 2 shown]
	s_cbranch_execz .LBB297_1858
; %bb.1857:
	v_cndmask_b32_e64 v5, 0, 1, s13
	v_mov_b32_e32 v10, 0
	s_delay_alu instid0(VALU_DEP_2) | instskip(NEXT) | instid1(VALU_DEP_2)
	v_cvt_f64_u32_e32 v[8:9], v5
	v_mov_b32_e32 v11, v10
	flat_store_b128 v[2:3], v[8:11]
                                        ; implicit-def: $vgpr2_vgpr3
.LBB297_1858:
	s_wait_xcnt 0x0
	s_and_not1_saveexec_b32 s29, s29
	s_cbranch_execz .LBB297_1860
; %bb.1859:
	v_cndmask_b32_e64 v8, 0, 1.0, s13
	v_mov_b32_e32 v9, 0
	flat_store_b64 v[2:3], v[8:9]
.LBB297_1860:
	s_wait_xcnt 0x0
	s_or_b32 exec_lo, exec_lo, s29
                                        ; implicit-def: $vgpr2_vgpr3
.LBB297_1861:
	s_and_not1_saveexec_b32 s28, s28
	s_cbranch_execz .LBB297_1863
; %bb.1862:
	v_cndmask_b32_e64 v5, 0, 1.0, s13
	s_delay_alu instid0(VALU_DEP_1) | instskip(NEXT) | instid1(VALU_DEP_1)
	v_cvt_f16_f32_e32 v5, v5
	v_and_b32_e32 v5, 0xffff, v5
	flat_store_b32 v[2:3], v5
.LBB297_1863:
	s_wait_xcnt 0x0
	s_or_b32 exec_lo, exec_lo, s28
                                        ; implicit-def: $vgpr2_vgpr3
                                        ; implicit-def: $vgpr5
.LBB297_1864:
	s_and_not1_saveexec_b32 s27, s27
	s_cbranch_execz .LBB297_1874
; %bb.1865:
	s_mov_b32 s28, exec_lo
	v_cmpx_lt_i16_e32 5, v5
	s_xor_b32 s28, exec_lo, s28
	s_cbranch_execz .LBB297_1871
; %bb.1866:
	s_mov_b32 s29, exec_lo
	v_cmpx_lt_i16_e32 6, v5
	s_xor_b32 s29, exec_lo, s29
	s_cbranch_execz .LBB297_1868
; %bb.1867:
	v_cndmask_b32_e64 v5, 0, 1, s13
	s_delay_alu instid0(VALU_DEP_1)
	v_cvt_f64_u32_e32 v[8:9], v5
	flat_store_b64 v[2:3], v[8:9]
                                        ; implicit-def: $vgpr2_vgpr3
.LBB297_1868:
	s_wait_xcnt 0x0
	s_and_not1_saveexec_b32 s29, s29
	s_cbranch_execz .LBB297_1870
; %bb.1869:
	v_cndmask_b32_e64 v5, 0, 1.0, s13
	flat_store_b32 v[2:3], v5
.LBB297_1870:
	s_wait_xcnt 0x0
	s_or_b32 exec_lo, exec_lo, s29
                                        ; implicit-def: $vgpr2_vgpr3
.LBB297_1871:
	s_and_not1_saveexec_b32 s28, s28
	s_cbranch_execz .LBB297_1873
; %bb.1872:
	v_cndmask_b32_e64 v5, 0, 1.0, s13
	s_delay_alu instid0(VALU_DEP_1)
	v_cvt_f16_f32_e32 v5, v5
	flat_store_b16 v[2:3], v5
.LBB297_1873:
	s_wait_xcnt 0x0
	s_or_b32 exec_lo, exec_lo, s28
.LBB297_1874:
	s_delay_alu instid0(SALU_CYCLE_1)
	s_or_b32 exec_lo, exec_lo, s27
                                        ; implicit-def: $vgpr5
                                        ; implicit-def: $vgpr2_vgpr3
.LBB297_1875:
	s_and_not1_saveexec_b32 s26, s26
	s_cbranch_execz .LBB297_1893
; %bb.1876:
	s_mov_b32 s27, exec_lo
	v_cmpx_lt_i16_e32 1, v5
	s_xor_b32 s27, exec_lo, s27
	s_cbranch_execz .LBB297_1886
; %bb.1877:
	s_mov_b32 s28, exec_lo
	v_cmpx_lt_i16_e32 2, v5
	s_xor_b32 s28, exec_lo, s28
	;; [unrolled: 5-line block ×3, first 2 shown]
	s_cbranch_execz .LBB297_1880
; %bb.1879:
	s_mov_b32 s30, 0
	v_cndmask_b32_e64 v8, 0, 1, s13
	v_mov_b32_e32 v9, s30
	flat_store_b64 v[2:3], v[8:9]
                                        ; implicit-def: $vgpr2_vgpr3
.LBB297_1880:
	s_wait_xcnt 0x0
	s_and_not1_saveexec_b32 s29, s29
	s_cbranch_execz .LBB297_1882
; %bb.1881:
	v_cndmask_b32_e64 v5, 0, 1, s13
	flat_store_b32 v[2:3], v5
.LBB297_1882:
	s_wait_xcnt 0x0
	s_or_b32 exec_lo, exec_lo, s29
                                        ; implicit-def: $vgpr2_vgpr3
.LBB297_1883:
	s_and_not1_saveexec_b32 s28, s28
	s_cbranch_execz .LBB297_1885
; %bb.1884:
	v_cndmask_b32_e64 v5, 0, 1, s13
	flat_store_b16 v[2:3], v5
.LBB297_1885:
	s_wait_xcnt 0x0
	s_or_b32 exec_lo, exec_lo, s28
                                        ; implicit-def: $vgpr2_vgpr3
                                        ; implicit-def: $vgpr5
.LBB297_1886:
	s_and_not1_saveexec_b32 s27, s27
	s_cbranch_execz .LBB297_1892
; %bb.1887:
	v_cmp_lt_i16_e32 vcc_lo, 0, v5
	v_cndmask_b32_e64 v5, 0, 1, s13
	s_and_saveexec_b32 s13, vcc_lo
	s_delay_alu instid0(SALU_CYCLE_1)
	s_xor_b32 s13, exec_lo, s13
	s_cbranch_execz .LBB297_1889
; %bb.1888:
	flat_store_b8 v[2:3], v5
                                        ; implicit-def: $vgpr2_vgpr3
                                        ; implicit-def: $vgpr5
.LBB297_1889:
	s_wait_xcnt 0x0
	s_and_not1_saveexec_b32 s13, s13
	s_cbranch_execz .LBB297_1891
; %bb.1890:
	flat_store_b8 v[2:3], v5
.LBB297_1891:
	s_wait_xcnt 0x0
	s_or_b32 exec_lo, exec_lo, s13
.LBB297_1892:
	s_delay_alu instid0(SALU_CYCLE_1)
	s_or_b32 exec_lo, exec_lo, s27
.LBB297_1893:
	s_delay_alu instid0(SALU_CYCLE_1) | instskip(NEXT) | instid1(SALU_CYCLE_1)
	s_or_b32 exec_lo, exec_lo, s26
	s_or_b32 s0, s0, exec_lo
.LBB297_1894:
	s_or_b32 exec_lo, exec_lo, s25
	s_mov_b32 s25, 0
	s_mov_b32 s27, 0
                                        ; implicit-def: $vgpr30_vgpr31
                                        ; implicit-def: $vgpr15
	s_and_saveexec_b32 s13, s0
	s_cbranch_execz .LBB297_2020
; %bb.1895:
	scratch_load_u8 v5, off, off offset:436
	s_wait_dscnt 0x0
	v_mov_b32_e32 v7, 0
	s_mov_b32 s0, 0
	s_mov_b32 s25, s24
	s_mov_b32 s26, exec_lo
	s_delay_alu instid0(VALU_DEP_1)
	v_add_nc_u64_e32 v[2:3], v[0:1], v[6:7]
	s_wait_loadcnt 0x0
	v_cmpx_lt_i16_e32 10, v5
	s_xor_b32 s26, exec_lo, s26
	s_cbranch_execz .LBB297_1936
; %bb.1896:
	s_mov_b32 s25, 0
	s_mov_b32 s28, exec_lo
	v_cmpx_lt_i16_e32 25, v5
	s_xor_b32 s28, exec_lo, s28
	s_cbranch_execz .LBB297_2866
; %bb.1897:
	s_mov_b32 s29, 0
	s_mov_b32 s25, exec_lo
	;; [unrolled: 6-line block ×4, first 2 shown]
	v_cmpx_lt_i16_e32 45, v5
	s_xor_b32 s0, exec_lo, s0
	s_cbranch_execz .LBB297_1903
; %bb.1900:
	s_mov_b32 s33, -1
	s_mov_b32 s31, exec_lo
	v_cmpx_eq_u16_e32 46, v5
	s_cbranch_execz .LBB297_1902
; %bb.1901:
	v_cndmask_b32_e64 v5, 0, 1.0, s17
	s_mov_b32 s30, exec_lo
	s_xor_b32 s33, exec_lo, -1
	s_delay_alu instid0(VALU_DEP_1) | instskip(NEXT) | instid1(VALU_DEP_1)
	v_bfe_u32 v6, v5, 16, 1
	v_add3_u32 v5, v5, v6, 0x7fff
	s_delay_alu instid0(VALU_DEP_1)
	v_lshrrev_b32_e32 v5, 16, v5
	flat_store_b32 v[2:3], v5
.LBB297_1902:
	s_wait_xcnt 0x0
	s_or_b32 exec_lo, exec_lo, s31
	s_delay_alu instid0(SALU_CYCLE_1)
	s_and_b32 s31, s30, exec_lo
	s_and_b32 s30, s33, exec_lo
                                        ; implicit-def: $vgpr5
.LBB297_1903:
	s_and_not1_saveexec_b32 s33, s0
	s_cbranch_execz .LBB297_1909
; %bb.1904:
	s_mov_b32 s0, -1
	s_mov_b32 s35, s31
	s_mov_b32 s34, exec_lo
	v_cmpx_eq_u16_e32 44, v5
	s_cbranch_execz .LBB297_1908
; %bb.1905:
	v_cndmask_b32_e64 v7, 0, 1.0, s17
	s_mov_b32 s35, exec_lo
	s_delay_alu instid0(VALU_DEP_1) | instskip(NEXT) | instid1(VALU_DEP_1)
	v_dual_mov_b32 v6, 0xff :: v_dual_lshrrev_b32 v5, 23, v7
	v_cmpx_ne_u32_e32 0xff, v5
; %bb.1906:
	v_and_b32_e32 v6, 0x400000, v7
	v_and_or_b32 v7, 0x3fffff, v7, v5
	s_delay_alu instid0(VALU_DEP_2) | instskip(NEXT) | instid1(VALU_DEP_2)
	v_cmp_ne_u32_e32 vcc_lo, 0, v6
	v_cmp_ne_u32_e64 s0, 0, v7
	s_and_b32 s0, vcc_lo, s0
	s_delay_alu instid0(SALU_CYCLE_1) | instskip(NEXT) | instid1(VALU_DEP_1)
	v_cndmask_b32_e64 v6, 0, 1, s0
	v_add_nc_u32_e32 v6, v5, v6
; %bb.1907:
	s_or_b32 exec_lo, exec_lo, s35
	s_delay_alu instid0(SALU_CYCLE_1)
	s_or_b32 s35, s31, exec_lo
	s_xor_b32 s0, exec_lo, -1
	flat_store_b8 v[2:3], v6
.LBB297_1908:
	s_wait_xcnt 0x0
	s_or_b32 exec_lo, exec_lo, s34
	s_delay_alu instid0(SALU_CYCLE_1)
	s_and_not1_b32 s31, s31, exec_lo
	s_and_b32 s34, s35, exec_lo
	s_and_not1_b32 s30, s30, exec_lo
	s_and_b32 s0, s0, exec_lo
	s_or_b32 s31, s31, s34
	s_or_b32 s30, s30, s0
.LBB297_1909:
	s_or_b32 exec_lo, exec_lo, s33
	s_delay_alu instid0(SALU_CYCLE_1)
	s_and_b32 s0, s31, exec_lo
	s_and_b32 s30, s30, exec_lo
                                        ; implicit-def: $vgpr5
.LBB297_1910:
	s_and_not1_saveexec_b32 s29, s29
	s_cbranch_execz .LBB297_1914
; %bb.1911:
	s_mov_b32 s31, -1
	s_mov_b32 s34, s0
	s_mov_b32 s33, exec_lo
	v_cmpx_eq_u16_e32 29, v5
	s_cbranch_execz .LBB297_1913
; %bb.1912:
	s_mov_b32 s31, 0
	v_cndmask_b32_e64 v6, 0, 1, s17
	v_mov_b32_e32 v7, s31
	s_or_b32 s34, s0, exec_lo
	s_xor_b32 s31, exec_lo, -1
	flat_store_b64 v[2:3], v[6:7]
.LBB297_1913:
	s_wait_xcnt 0x0
	s_or_b32 exec_lo, exec_lo, s33
	s_delay_alu instid0(SALU_CYCLE_1)
	s_and_not1_b32 s0, s0, exec_lo
	s_and_b32 s33, s34, exec_lo
	s_and_not1_b32 s30, s30, exec_lo
	s_and_b32 s31, s31, exec_lo
	s_or_b32 s0, s0, s33
	s_or_b32 s30, s30, s31
.LBB297_1914:
	s_or_b32 exec_lo, exec_lo, s29
	s_delay_alu instid0(SALU_CYCLE_1)
	s_and_b32 s0, s0, exec_lo
	s_and_b32 s29, s30, exec_lo
                                        ; implicit-def: $vgpr5
.LBB297_1915:
	s_and_not1_saveexec_b32 s25, s25
	s_cbranch_execz .LBB297_1931
; %bb.1916:
	s_mov_b32 s30, exec_lo
	v_cmpx_lt_i16_e32 26, v5
	s_xor_b32 s30, exec_lo, s30
	s_cbranch_execz .LBB297_1922
; %bb.1917:
	s_mov_b32 s31, exec_lo
	v_cmpx_lt_i16_e32 27, v5
	s_xor_b32 s31, exec_lo, s31
	s_cbranch_execz .LBB297_1919
; %bb.1918:
	v_cndmask_b32_e64 v5, 0, 1, s17
	flat_store_b32 v[2:3], v5
.LBB297_1919:
	s_wait_xcnt 0x0
	s_and_not1_saveexec_b32 s31, s31
	s_cbranch_execz .LBB297_1921
; %bb.1920:
	v_cndmask_b32_e64 v5, 0, 1, s17
	flat_store_b16 v[2:3], v5
.LBB297_1921:
	s_wait_xcnt 0x0
	s_or_b32 exec_lo, exec_lo, s31
.LBB297_1922:
	s_and_not1_saveexec_b32 s30, s30
	s_cbranch_execz .LBB297_1930
; %bb.1923:
	v_cndmask_b32_e64 v6, 0, 1.0, s17
	v_mov_b32_e32 v7, 0x80
	s_mov_b32 s31, exec_lo
	s_delay_alu instid0(VALU_DEP_2)
	v_cmpx_gt_u32_e32 0x43800000, v6
	s_cbranch_execz .LBB297_1929
; %bb.1924:
	s_mov_b32 s33, 0
	s_mov_b32 s34, exec_lo
                                        ; implicit-def: $vgpr5
	v_cmpx_lt_u32_e32 0x3bffffff, v6
	s_xor_b32 s34, exec_lo, s34
	s_cbranch_execz .LBB297_3042
; %bb.1925:
	v_bfe_u32 v5, v6, 20, 1
	s_mov_b32 s33, exec_lo
	s_delay_alu instid0(VALU_DEP_1) | instskip(NEXT) | instid1(VALU_DEP_1)
	v_add3_u32 v5, v6, v5, 0x487ffff
                                        ; implicit-def: $vgpr6
	v_lshrrev_b32_e32 v5, 20, v5
	s_and_not1_saveexec_b32 s34, s34
	s_cbranch_execnz .LBB297_3043
.LBB297_1926:
	s_or_b32 exec_lo, exec_lo, s34
	v_mov_b32_e32 v7, 0
	s_and_saveexec_b32 s34, s33
.LBB297_1927:
	v_mov_b32_e32 v7, v5
.LBB297_1928:
	s_or_b32 exec_lo, exec_lo, s34
.LBB297_1929:
	s_delay_alu instid0(SALU_CYCLE_1)
	s_or_b32 exec_lo, exec_lo, s31
	flat_store_b8 v[2:3], v7
.LBB297_1930:
	s_wait_xcnt 0x0
	s_or_b32 exec_lo, exec_lo, s30
	s_delay_alu instid0(SALU_CYCLE_1)
	s_or_b32 s0, s0, exec_lo
.LBB297_1931:
	s_or_b32 exec_lo, exec_lo, s25
	s_delay_alu instid0(SALU_CYCLE_1)
	s_and_b32 s0, s0, exec_lo
	s_and_b32 s25, s29, exec_lo
                                        ; implicit-def: $vgpr5
	s_and_not1_saveexec_b32 s28, s28
	s_cbranch_execnz .LBB297_2867
.LBB297_1932:
	s_or_b32 exec_lo, exec_lo, s28
	s_mov_b32 s28, s24
	s_and_saveexec_b32 s29, s25
	s_cbranch_execnz .LBB297_2908
.LBB297_1933:
	s_or_b32 exec_lo, exec_lo, s29
	s_and_saveexec_b32 s25, s27
	s_delay_alu instid0(SALU_CYCLE_1)
	s_xor_b32 s25, exec_lo, s25
	s_cbranch_execz .LBB297_1935
.LBB297_1934:
	v_cndmask_b32_e64 v5, 0, 1, s17
	s_or_b32 s0, s0, exec_lo
	flat_store_b8 v[2:3], v5
.LBB297_1935:
	s_wait_xcnt 0x0
	s_or_b32 exec_lo, exec_lo, s25
	s_delay_alu instid0(SALU_CYCLE_1)
	s_and_not1_b32 s25, s24, exec_lo
	s_and_b32 s27, s28, exec_lo
	s_and_b32 s0, s0, exec_lo
	s_or_b32 s25, s25, s27
                                        ; implicit-def: $vgpr5
                                        ; implicit-def: $vgpr2_vgpr3
.LBB297_1936:
	s_and_not1_saveexec_b32 s26, s26
	s_cbranch_execz .LBB297_1978
; %bb.1937:
	s_mov_b32 s27, exec_lo
	v_cmpx_lt_i16_e32 4, v5
	s_xor_b32 s27, exec_lo, s27
	s_cbranch_execz .LBB297_1959
; %bb.1938:
	s_mov_b32 s28, exec_lo
	v_cmpx_lt_i16_e32 7, v5
	s_xor_b32 s28, exec_lo, s28
	;; [unrolled: 5-line block ×4, first 2 shown]
	s_cbranch_execz .LBB297_1942
; %bb.1941:
	v_cndmask_b32_e64 v5, 0, 1, s17
	v_mov_b32_e32 v8, 0
	s_delay_alu instid0(VALU_DEP_2) | instskip(NEXT) | instid1(VALU_DEP_2)
	v_cvt_f64_u32_e32 v[6:7], v5
	v_mov_b32_e32 v9, v8
	flat_store_b128 v[2:3], v[6:9]
                                        ; implicit-def: $vgpr2_vgpr3
.LBB297_1942:
	s_wait_xcnt 0x0
	s_and_not1_saveexec_b32 s30, s30
	s_cbranch_execz .LBB297_1944
; %bb.1943:
	v_cndmask_b32_e64 v6, 0, 1.0, s17
	v_mov_b32_e32 v7, 0
	flat_store_b64 v[2:3], v[6:7]
.LBB297_1944:
	s_wait_xcnt 0x0
	s_or_b32 exec_lo, exec_lo, s30
                                        ; implicit-def: $vgpr2_vgpr3
.LBB297_1945:
	s_and_not1_saveexec_b32 s29, s29
	s_cbranch_execz .LBB297_1947
; %bb.1946:
	v_cndmask_b32_e64 v5, 0, 1.0, s17
	s_delay_alu instid0(VALU_DEP_1) | instskip(NEXT) | instid1(VALU_DEP_1)
	v_cvt_f16_f32_e32 v5, v5
	v_and_b32_e32 v5, 0xffff, v5
	flat_store_b32 v[2:3], v5
.LBB297_1947:
	s_wait_xcnt 0x0
	s_or_b32 exec_lo, exec_lo, s29
                                        ; implicit-def: $vgpr2_vgpr3
                                        ; implicit-def: $vgpr5
.LBB297_1948:
	s_and_not1_saveexec_b32 s28, s28
	s_cbranch_execz .LBB297_1958
; %bb.1949:
	s_mov_b32 s29, exec_lo
	v_cmpx_lt_i16_e32 5, v5
	s_xor_b32 s29, exec_lo, s29
	s_cbranch_execz .LBB297_1955
; %bb.1950:
	s_mov_b32 s30, exec_lo
	v_cmpx_lt_i16_e32 6, v5
	s_xor_b32 s30, exec_lo, s30
	s_cbranch_execz .LBB297_1952
; %bb.1951:
	v_cndmask_b32_e64 v5, 0, 1, s17
	s_delay_alu instid0(VALU_DEP_1)
	v_cvt_f64_u32_e32 v[6:7], v5
	flat_store_b64 v[2:3], v[6:7]
                                        ; implicit-def: $vgpr2_vgpr3
.LBB297_1952:
	s_wait_xcnt 0x0
	s_and_not1_saveexec_b32 s30, s30
	s_cbranch_execz .LBB297_1954
; %bb.1953:
	v_cndmask_b32_e64 v5, 0, 1.0, s17
	flat_store_b32 v[2:3], v5
.LBB297_1954:
	s_wait_xcnt 0x0
	s_or_b32 exec_lo, exec_lo, s30
                                        ; implicit-def: $vgpr2_vgpr3
.LBB297_1955:
	s_and_not1_saveexec_b32 s29, s29
	s_cbranch_execz .LBB297_1957
; %bb.1956:
	v_cndmask_b32_e64 v5, 0, 1.0, s17
	s_delay_alu instid0(VALU_DEP_1)
	v_cvt_f16_f32_e32 v5, v5
	flat_store_b16 v[2:3], v5
.LBB297_1957:
	s_wait_xcnt 0x0
	s_or_b32 exec_lo, exec_lo, s29
.LBB297_1958:
	s_delay_alu instid0(SALU_CYCLE_1)
	s_or_b32 exec_lo, exec_lo, s28
                                        ; implicit-def: $vgpr5
                                        ; implicit-def: $vgpr2_vgpr3
.LBB297_1959:
	s_and_not1_saveexec_b32 s27, s27
	s_cbranch_execz .LBB297_1977
; %bb.1960:
	s_mov_b32 s28, exec_lo
	v_cmpx_lt_i16_e32 1, v5
	s_xor_b32 s28, exec_lo, s28
	s_cbranch_execz .LBB297_1970
; %bb.1961:
	s_mov_b32 s29, exec_lo
	v_cmpx_lt_i16_e32 2, v5
	s_xor_b32 s29, exec_lo, s29
	;; [unrolled: 5-line block ×3, first 2 shown]
	s_cbranch_execz .LBB297_1964
; %bb.1963:
	s_mov_b32 s31, 0
	v_cndmask_b32_e64 v6, 0, 1, s17
	v_mov_b32_e32 v7, s31
	flat_store_b64 v[2:3], v[6:7]
                                        ; implicit-def: $vgpr2_vgpr3
.LBB297_1964:
	s_wait_xcnt 0x0
	s_and_not1_saveexec_b32 s30, s30
	s_cbranch_execz .LBB297_1966
; %bb.1965:
	v_cndmask_b32_e64 v5, 0, 1, s17
	flat_store_b32 v[2:3], v5
.LBB297_1966:
	s_wait_xcnt 0x0
	s_or_b32 exec_lo, exec_lo, s30
                                        ; implicit-def: $vgpr2_vgpr3
.LBB297_1967:
	s_and_not1_saveexec_b32 s29, s29
	s_cbranch_execz .LBB297_1969
; %bb.1968:
	v_cndmask_b32_e64 v5, 0, 1, s17
	flat_store_b16 v[2:3], v5
.LBB297_1969:
	s_wait_xcnt 0x0
	s_or_b32 exec_lo, exec_lo, s29
                                        ; implicit-def: $vgpr2_vgpr3
                                        ; implicit-def: $vgpr5
.LBB297_1970:
	s_and_not1_saveexec_b32 s28, s28
	s_cbranch_execz .LBB297_1976
; %bb.1971:
	v_cmp_lt_i16_e32 vcc_lo, 0, v5
	v_cndmask_b32_e64 v5, 0, 1, s17
	s_and_saveexec_b32 s17, vcc_lo
	s_delay_alu instid0(SALU_CYCLE_1)
	s_xor_b32 s17, exec_lo, s17
	s_cbranch_execz .LBB297_1973
; %bb.1972:
	flat_store_b8 v[2:3], v5
                                        ; implicit-def: $vgpr2_vgpr3
                                        ; implicit-def: $vgpr5
.LBB297_1973:
	s_wait_xcnt 0x0
	s_and_not1_saveexec_b32 s17, s17
	s_cbranch_execz .LBB297_1975
; %bb.1974:
	flat_store_b8 v[2:3], v5
.LBB297_1975:
	s_wait_xcnt 0x0
	s_or_b32 exec_lo, exec_lo, s17
.LBB297_1976:
	s_delay_alu instid0(SALU_CYCLE_1)
	s_or_b32 exec_lo, exec_lo, s28
.LBB297_1977:
	s_delay_alu instid0(SALU_CYCLE_1) | instskip(NEXT) | instid1(SALU_CYCLE_1)
	s_or_b32 exec_lo, exec_lo, s27
	s_or_b32 s0, s0, exec_lo
.LBB297_1978:
	s_or_b32 exec_lo, exec_lo, s26
	s_mov_b32 s26, 0
	s_mov_b32 s27, 0
                                        ; implicit-def: $vgpr30_vgpr31
                                        ; implicit-def: $vgpr15
	s_and_saveexec_b32 s17, s0
	s_cbranch_execz .LBB297_2019
; %bb.1979:
	scratch_load_u8 v15, off, off offset:436
	v_mov_b32_e32 v5, 0
	s_mov_b32 s0, 0
	s_mov_b32 s27, -1
	s_mov_b32 s28, s25
	s_mov_b32 s26, exec_lo
	v_add_nc_u64_e32 v[30:31], v[0:1], v[4:5]
	s_wait_loadcnt 0x0
	v_cmpx_lt_i16_e32 10, v15
	s_cbranch_execz .LBB297_2018
; %bb.1980:
	s_mov_b32 s28, 0
	s_mov_b32 s27, exec_lo
	v_cmpx_lt_i16_e32 25, v15
	s_xor_b32 s27, exec_lo, s27
	s_cbranch_execz .LBB297_2951
; %bb.1981:
	s_mov_b32 s29, exec_lo
	v_cmpx_lt_i16_e32 28, v15
	s_xor_b32 s29, exec_lo, s29
	s_cbranch_execz .LBB297_1999
; %bb.1982:
	;; [unrolled: 5-line block ×3, first 2 shown]
	s_mov_b32 s31, 0
	s_mov_b32 s0, exec_lo
	v_cmpx_lt_i16_e32 45, v15
	s_xor_b32 s0, exec_lo, s0
	s_cbranch_execz .LBB297_1987
; %bb.1984:
	s_mov_b32 s33, -1
	s_mov_b32 s31, exec_lo
	v_cmpx_eq_u16_e32 46, v15
	s_cbranch_execz .LBB297_1986
; %bb.1985:
	v_cndmask_b32_e64 v0, 0, 1.0, s21
	s_xor_b32 s33, exec_lo, -1
	s_delay_alu instid0(VALU_DEP_1) | instskip(NEXT) | instid1(VALU_DEP_1)
	v_bfe_u32 v1, v0, 16, 1
	v_add3_u32 v0, v0, v1, 0x7fff
	s_delay_alu instid0(VALU_DEP_1)
	v_lshrrev_b32_e32 v0, 16, v0
	flat_store_b32 v[30:31], v0
.LBB297_1986:
	s_wait_xcnt 0x0
	s_or_b32 exec_lo, exec_lo, s31
	s_delay_alu instid0(SALU_CYCLE_1)
	s_and_b32 s31, s33, exec_lo
.LBB297_1987:
	s_and_not1_saveexec_b32 s33, s0
	s_cbranch_execz .LBB297_1993
; %bb.1988:
	s_mov_b32 s0, -1
	s_mov_b32 s34, exec_lo
	v_cmpx_eq_u16_e32 44, v15
	s_cbranch_execz .LBB297_1992
; %bb.1989:
	v_cndmask_b32_e64 v2, 0, 1.0, s21
	s_mov_b32 s35, exec_lo
	s_delay_alu instid0(VALU_DEP_1) | instskip(NEXT) | instid1(VALU_DEP_1)
	v_dual_mov_b32 v1, 0xff :: v_dual_lshrrev_b32 v0, 23, v2
	v_cmpx_ne_u32_e32 0xff, v0
; %bb.1990:
	v_and_b32_e32 v1, 0x400000, v2
	v_and_or_b32 v2, 0x3fffff, v2, v0
	s_delay_alu instid0(VALU_DEP_2) | instskip(NEXT) | instid1(VALU_DEP_2)
	v_cmp_ne_u32_e32 vcc_lo, 0, v1
	v_cmp_ne_u32_e64 s0, 0, v2
	s_and_b32 s0, vcc_lo, s0
	s_delay_alu instid0(SALU_CYCLE_1) | instskip(NEXT) | instid1(VALU_DEP_1)
	v_cndmask_b32_e64 v1, 0, 1, s0
	v_add_nc_u32_e32 v1, v0, v1
; %bb.1991:
	s_or_b32 exec_lo, exec_lo, s35
	s_delay_alu instid0(SALU_CYCLE_1)
	s_xor_b32 s0, exec_lo, -1
	flat_store_b8 v[30:31], v1
.LBB297_1992:
	s_wait_xcnt 0x0
	s_or_b32 exec_lo, exec_lo, s34
	s_delay_alu instid0(SALU_CYCLE_1) | instskip(SKIP_1) | instid1(SALU_CYCLE_1)
	s_and_not1_b32 s31, s31, exec_lo
	s_and_b32 s0, s0, exec_lo
	s_or_b32 s31, s31, s0
.LBB297_1993:
	s_or_b32 exec_lo, exec_lo, s33
	s_delay_alu instid0(SALU_CYCLE_1)
	s_and_b32 s0, s31, exec_lo
.LBB297_1994:
	s_and_not1_saveexec_b32 s30, s30
	s_cbranch_execz .LBB297_1998
; %bb.1995:
	s_mov_b32 s33, -1
	s_mov_b32 s31, exec_lo
	v_cmpx_eq_u16_e32 29, v15
	s_cbranch_execz .LBB297_1997
; %bb.1996:
	s_mov_b32 s33, 0
	v_cndmask_b32_e64 v0, 0, 1, s21
	v_mov_b32_e32 v1, s33
	s_xor_b32 s33, exec_lo, -1
	flat_store_b64 v[30:31], v[0:1]
.LBB297_1997:
	s_wait_xcnt 0x0
	s_or_b32 exec_lo, exec_lo, s31
	s_delay_alu instid0(SALU_CYCLE_1) | instskip(SKIP_1) | instid1(SALU_CYCLE_1)
	s_and_not1_b32 s0, s0, exec_lo
	s_and_b32 s31, s33, exec_lo
	s_or_b32 s0, s0, s31
.LBB297_1998:
	s_or_b32 exec_lo, exec_lo, s30
	s_delay_alu instid0(SALU_CYCLE_1)
	s_and_b32 s0, s0, exec_lo
.LBB297_1999:
	s_and_not1_saveexec_b32 s29, s29
	s_cbranch_execz .LBB297_2015
; %bb.2000:
	s_mov_b32 s30, exec_lo
	v_cmpx_lt_i16_e32 26, v15
	s_xor_b32 s30, exec_lo, s30
	s_cbranch_execz .LBB297_2006
; %bb.2001:
	v_cndmask_b32_e64 v0, 0, 1, s21
	s_mov_b32 s31, exec_lo
	v_cmpx_lt_i16_e32 27, v15
	s_xor_b32 s31, exec_lo, s31
	s_cbranch_execz .LBB297_2003
; %bb.2002:
	flat_store_b32 v[30:31], v0
                                        ; implicit-def: $vgpr0
.LBB297_2003:
	s_wait_xcnt 0x0
	s_and_not1_saveexec_b32 s31, s31
	s_cbranch_execz .LBB297_2005
; %bb.2004:
	flat_store_b16 v[30:31], v0
.LBB297_2005:
	s_wait_xcnt 0x0
	s_or_b32 exec_lo, exec_lo, s31
.LBB297_2006:
	s_and_not1_saveexec_b32 s30, s30
	s_cbranch_execz .LBB297_2014
; %bb.2007:
	v_cndmask_b32_e64 v1, 0, 1.0, s21
	v_mov_b32_e32 v2, 0x80
	s_mov_b32 s31, exec_lo
	s_delay_alu instid0(VALU_DEP_2)
	v_cmpx_gt_u32_e32 0x43800000, v1
	s_cbranch_execz .LBB297_2013
; %bb.2008:
	s_mov_b32 s33, 0
	s_mov_b32 s34, exec_lo
                                        ; implicit-def: $vgpr0
	v_cmpx_lt_u32_e32 0x3bffffff, v1
	s_xor_b32 s34, exec_lo, s34
	s_cbranch_execz .LBB297_3046
; %bb.2009:
	v_bfe_u32 v0, v1, 20, 1
	s_mov_b32 s33, exec_lo
	s_delay_alu instid0(VALU_DEP_1) | instskip(NEXT) | instid1(VALU_DEP_1)
	v_add3_u32 v0, v1, v0, 0x487ffff
                                        ; implicit-def: $vgpr1
	v_lshrrev_b32_e32 v0, 20, v0
	s_and_not1_saveexec_b32 s34, s34
	s_cbranch_execnz .LBB297_3047
.LBB297_2010:
	s_or_b32 exec_lo, exec_lo, s34
	v_mov_b32_e32 v2, 0
	s_and_saveexec_b32 s34, s33
.LBB297_2011:
	v_mov_b32_e32 v2, v0
.LBB297_2012:
	s_or_b32 exec_lo, exec_lo, s34
.LBB297_2013:
	s_delay_alu instid0(SALU_CYCLE_1)
	s_or_b32 exec_lo, exec_lo, s31
	flat_store_b8 v[30:31], v2
.LBB297_2014:
	s_wait_xcnt 0x0
	s_or_b32 exec_lo, exec_lo, s30
.LBB297_2015:
	s_delay_alu instid0(SALU_CYCLE_1) | instskip(NEXT) | instid1(SALU_CYCLE_1)
	s_or_b32 exec_lo, exec_lo, s29
	s_and_b32 s0, s0, exec_lo
	s_and_not1_saveexec_b32 s27, s27
	s_cbranch_execnz .LBB297_2952
.LBB297_2016:
	s_or_b32 exec_lo, exec_lo, s27
	s_mov_b32 s29, s25
	s_and_saveexec_b32 s27, s0
	s_cbranch_execnz .LBB297_2993
.LBB297_2017:
	s_or_b32 exec_lo, exec_lo, s27
	s_delay_alu instid0(SALU_CYCLE_1)
	s_and_not1_b32 s30, s25, exec_lo
	s_and_b32 s29, s29, exec_lo
	s_xor_b32 s27, exec_lo, -1
	s_and_b32 s0, s28, exec_lo
	s_or_b32 s28, s30, s29
.LBB297_2018:
	s_or_b32 exec_lo, exec_lo, s26
	s_delay_alu instid0(SALU_CYCLE_1)
	s_and_not1_b32 s25, s25, exec_lo
	s_and_b32 s28, s28, exec_lo
	s_and_b32 s27, s27, exec_lo
	;; [unrolled: 1-line block ×3, first 2 shown]
	s_or_b32 s25, s25, s28
.LBB297_2019:
	s_or_b32 exec_lo, exec_lo, s17
	s_delay_alu instid0(SALU_CYCLE_1)
	s_and_not1_b32 s0, s24, exec_lo
	s_and_b32 s17, s25, exec_lo
	s_and_b32 s27, s27, exec_lo
	;; [unrolled: 1-line block ×3, first 2 shown]
	s_or_b32 s24, s0, s17
.LBB297_2020:
	s_or_b32 exec_lo, exec_lo, s13
	s_delay_alu instid0(SALU_CYCLE_1)
	s_and_not1_b32 s0, s23, exec_lo
	s_and_b32 s13, s24, exec_lo
	s_and_b32 s26, s27, exec_lo
	;; [unrolled: 1-line block ×3, first 2 shown]
	s_or_b32 s23, s0, s13
.LBB297_2021:
	s_or_b32 exec_lo, exec_lo, s9
	s_delay_alu instid0(SALU_CYCLE_1)
	s_and_not1_b32 s9, s20, exec_lo
	s_and_b32 s13, s23, exec_lo
	s_and_b32 s24, s26, exec_lo
	;; [unrolled: 1-line block ×3, first 2 shown]
	s_or_b32 s20, s9, s13
.LBB297_2022:
	s_or_b32 exec_lo, exec_lo, s22
	s_delay_alu instid0(SALU_CYCLE_1)
	s_and_not1_b32 s9, s18, exec_lo
	s_and_b32 s13, s20, exec_lo
	s_and_b32 s22, s24, exec_lo
	;; [unrolled: 1-line block ×3, first 2 shown]
	s_or_b32 s18, s9, s13
.LBB297_2023:
	s_or_b32 exec_lo, exec_lo, s19
	s_delay_alu instid0(SALU_CYCLE_1)
	s_and_not1_b32 s9, s15, exec_lo
	s_and_b32 s13, s18, exec_lo
	s_and_b32 s19, s22, exec_lo
	;; [unrolled: 1-line block ×3, first 2 shown]
	s_or_b32 s15, s9, s13
.LBB297_2024:
	s_or_b32 exec_lo, exec_lo, s16
	s_delay_alu instid0(SALU_CYCLE_1)
	s_and_not1_b32 s9, s12, exec_lo
	s_and_b32 s12, s15, exec_lo
	s_and_b32 s16, s19, exec_lo
	;; [unrolled: 1-line block ×3, first 2 shown]
	s_or_b32 s12, s9, s12
.LBB297_2025:
	s_or_b32 exec_lo, exec_lo, s14
	s_delay_alu instid0(SALU_CYCLE_1)
	s_and_not1_b32 s9, s10, exec_lo
	s_and_b32 s10, s12, exec_lo
	s_and_b32 s13, s16, exec_lo
	s_and_b32 s0, s0, exec_lo
	s_or_b32 s10, s9, s10
.LBB297_2026:
	s_or_b32 exec_lo, exec_lo, s11
	s_delay_alu instid0(SALU_CYCLE_1)
	s_and_not1_b32 s7, s7, exec_lo
	s_and_b32 s9, s10, exec_lo
	s_and_b32 s11, s13, exec_lo
	;; [unrolled: 1-line block ×3, first 2 shown]
	s_or_b32 s7, s7, s9
.LBB297_2027:
	s_or_b32 exec_lo, exec_lo, s8
	s_delay_alu instid0(SALU_CYCLE_1)
	s_and_not1_b32 s5, s5, exec_lo
	s_and_b32 s7, s7, exec_lo
	s_and_b32 s8, s11, exec_lo
	;; [unrolled: 1-line block ×3, first 2 shown]
	s_or_b32 s5, s5, s7
.LBB297_2028:
	s_or_b32 exec_lo, exec_lo, s6
	s_delay_alu instid0(SALU_CYCLE_1)
	s_and_not1_b32 s3, s3, exec_lo
	s_and_b32 s5, s5, exec_lo
	s_and_b32 s7, s8, exec_lo
	;; [unrolled: 1-line block ×3, first 2 shown]
	s_or_b32 s3, s3, s5
.LBB297_2029:
	s_or_b32 exec_lo, exec_lo, s4
	s_delay_alu instid0(SALU_CYCLE_1)
	s_and_not1_b32 s1, s1, exec_lo
	s_and_b32 s3, s3, exec_lo
	s_and_b32 s0, s7, exec_lo
	;; [unrolled: 1-line block ×3, first 2 shown]
	s_or_b32 s1, s1, s3
	s_or_b32 exec_lo, exec_lo, s2
	s_and_saveexec_b32 s2, s1
	s_cbranch_execnz .LBB297_181
.LBB297_2030:
	s_or_b32 exec_lo, exec_lo, s2
	s_and_saveexec_b32 s1, s15
	s_delay_alu instid0(SALU_CYCLE_1)
	s_xor_b32 s1, exec_lo, s1
	s_cbranch_execz .LBB297_182
.LBB297_2031:
	v_cndmask_b32_e64 v0, 0, 1, s21
	flat_store_b8 v[30:31], v0
	s_wait_xcnt 0x0
	s_or_b32 exec_lo, exec_lo, s1
	s_and_saveexec_b32 s1, s0
	s_cbranch_execz .LBB297_2070
.LBB297_2032:
	s_mov_b32 s0, exec_lo
	v_cmpx_lt_i16_e32 4, v15
	s_xor_b32 s0, exec_lo, s0
	s_cbranch_execz .LBB297_2054
; %bb.2033:
	s_mov_b32 s1, s21
	s_mov_b32 s2, exec_lo
	v_cmpx_lt_i16_e32 7, v15
	s_xor_b32 s2, exec_lo, s2
	s_cbranch_execz .LBB297_2043
; %bb.2034:
	s_mov_b32 s3, s21
	s_mov_b32 s1, exec_lo
	v_cmpx_lt_i16_e32 8, v15
	s_xor_b32 s1, exec_lo, s1
	s_cbranch_execz .LBB297_2040
; %bb.2035:
	s_mov_b32 s3, exec_lo
	v_cmpx_lt_i16_e32 9, v15
	s_xor_b32 s3, exec_lo, s3
	s_cbranch_execz .LBB297_2037
; %bb.2036:
	v_cndmask_b32_e64 v0, 0, 1, s21
	v_mov_b32_e32 v2, 0
	s_delay_alu instid0(VALU_DEP_2) | instskip(NEXT) | instid1(VALU_DEP_2)
	v_cvt_f64_u32_e32 v[0:1], v0
	v_mov_b32_e32 v3, v2
	flat_store_b128 v[30:31], v[0:3]
.LBB297_2037:
	s_wait_xcnt 0x0
	s_and_not1_saveexec_b32 s3, s3
	s_cbranch_execz .LBB297_2039
; %bb.2038:
	v_cndmask_b32_e64 v0, 0, 1.0, s21
	v_mov_b32_e32 v1, 0
	flat_store_b64 v[30:31], v[0:1]
.LBB297_2039:
	s_wait_xcnt 0x0
	s_or_b32 exec_lo, exec_lo, s3
	s_delay_alu instid0(SALU_CYCLE_1) | instskip(SKIP_1) | instid1(SALU_CYCLE_1)
	s_and_not1_b32 s3, s21, exec_lo
	s_and_b32 s4, s21, exec_lo
	s_or_b32 s3, s3, s4
.LBB297_2040:
	s_and_not1_saveexec_b32 s1, s1
	s_cbranch_execz .LBB297_2042
; %bb.2041:
	v_cndmask_b32_e64 v0, 0, 1.0, s3
	s_delay_alu instid0(VALU_DEP_1) | instskip(NEXT) | instid1(VALU_DEP_1)
	v_cvt_f16_f32_e32 v0, v0
	v_and_b32_e32 v0, 0xffff, v0
	flat_store_b32 v[30:31], v0
.LBB297_2042:
	s_wait_xcnt 0x0
	s_or_b32 exec_lo, exec_lo, s1
	s_delay_alu instid0(SALU_CYCLE_1) | instskip(SKIP_1) | instid1(SALU_CYCLE_1)
	s_and_not1_b32 s1, s21, exec_lo
	s_and_b32 s3, s3, exec_lo
	s_or_b32 s1, s1, s3
.LBB297_2043:
	s_and_not1_saveexec_b32 s2, s2
	s_cbranch_execz .LBB297_2053
; %bb.2044:
	s_mov_b32 s4, s1
	s_mov_b32 s3, exec_lo
	v_cmpx_lt_i16_e32 5, v15
	s_xor_b32 s3, exec_lo, s3
	s_cbranch_execz .LBB297_2050
; %bb.2045:
	s_mov_b32 s4, exec_lo
	v_cmpx_lt_i16_e32 6, v15
	s_xor_b32 s4, exec_lo, s4
	s_cbranch_execz .LBB297_2047
; %bb.2046:
	v_cndmask_b32_e64 v0, 0, 1, s1
	s_delay_alu instid0(VALU_DEP_1)
	v_cvt_f64_u32_e32 v[0:1], v0
	flat_store_b64 v[30:31], v[0:1]
.LBB297_2047:
	s_wait_xcnt 0x0
	s_and_not1_saveexec_b32 s4, s4
	s_cbranch_execz .LBB297_2049
; %bb.2048:
	v_cndmask_b32_e64 v0, 0, 1.0, s1
	flat_store_b32 v[30:31], v0
.LBB297_2049:
	s_wait_xcnt 0x0
	s_or_b32 exec_lo, exec_lo, s4
	s_delay_alu instid0(SALU_CYCLE_1) | instskip(SKIP_1) | instid1(SALU_CYCLE_1)
	s_and_not1_b32 s4, s1, exec_lo
	s_and_b32 s5, s1, exec_lo
	s_or_b32 s4, s4, s5
.LBB297_2050:
	s_and_not1_saveexec_b32 s3, s3
	s_cbranch_execz .LBB297_2052
; %bb.2051:
	v_cndmask_b32_e64 v0, 0, 1.0, s4
	s_delay_alu instid0(VALU_DEP_1)
	v_cvt_f16_f32_e32 v0, v0
	flat_store_b16 v[30:31], v0
.LBB297_2052:
	s_wait_xcnt 0x0
	s_or_b32 exec_lo, exec_lo, s3
	s_delay_alu instid0(SALU_CYCLE_1) | instskip(SKIP_1) | instid1(SALU_CYCLE_1)
	s_and_not1_b32 s1, s1, exec_lo
	s_and_b32 s3, s4, exec_lo
	s_or_b32 s1, s1, s3
.LBB297_2053:
	s_or_b32 exec_lo, exec_lo, s2
	s_delay_alu instid0(SALU_CYCLE_1) | instskip(SKIP_1) | instid1(SALU_CYCLE_1)
	s_and_not1_b32 s2, s21, exec_lo
	s_and_b32 s1, s1, exec_lo
	s_or_b32 s21, s2, s1
.LBB297_2054:
	s_and_not1_saveexec_b32 s0, s0
	s_cbranch_execz .LBB297_2070
; %bb.2055:
	s_mov_b32 s0, exec_lo
	v_cmpx_lt_i16_e32 1, v15
	s_xor_b32 s0, exec_lo, s0
	s_cbranch_execz .LBB297_2065
; %bb.2056:
	s_mov_b32 s2, s21
	s_mov_b32 s1, exec_lo
	v_cmpx_lt_i16_e32 2, v15
	s_xor_b32 s1, exec_lo, s1
	s_cbranch_execz .LBB297_2062
; %bb.2057:
	v_cndmask_b32_e64 v0, 0, 1, s21
	s_mov_b32 s2, exec_lo
	v_cmpx_lt_i16_e32 3, v15
	s_xor_b32 s2, exec_lo, s2
	s_cbranch_execz .LBB297_2059
; %bb.2058:
	s_mov_b32 s3, 0
	s_delay_alu instid0(SALU_CYCLE_1)
	v_mov_b32_e32 v1, s3
	flat_store_b64 v[30:31], v[0:1]
                                        ; implicit-def: $vgpr30_vgpr31
                                        ; implicit-def: $vgpr0
.LBB297_2059:
	s_wait_xcnt 0x0
	s_and_not1_saveexec_b32 s2, s2
	s_cbranch_execz .LBB297_2061
; %bb.2060:
	flat_store_b32 v[30:31], v0
.LBB297_2061:
	s_wait_xcnt 0x0
	s_or_b32 exec_lo, exec_lo, s2
	s_delay_alu instid0(SALU_CYCLE_1) | instskip(SKIP_1) | instid1(SALU_CYCLE_1)
	s_and_not1_b32 s2, s21, exec_lo
	s_and_b32 s3, s21, exec_lo
                                        ; implicit-def: $vgpr30_vgpr31
	s_or_b32 s2, s2, s3
.LBB297_2062:
	s_and_not1_saveexec_b32 s1, s1
	s_cbranch_execz .LBB297_2064
; %bb.2063:
	v_cndmask_b32_e64 v0, 0, 1, s2
	flat_store_b16 v[30:31], v0
.LBB297_2064:
	s_wait_xcnt 0x0
	s_or_b32 exec_lo, exec_lo, s1
	s_delay_alu instid0(SALU_CYCLE_1) | instskip(SKIP_1) | instid1(SALU_CYCLE_1)
	s_and_not1_b32 s1, s21, exec_lo
	s_and_b32 s2, s2, exec_lo
                                        ; implicit-def: $vgpr30_vgpr31
	s_or_b32 s21, s1, s2
.LBB297_2065:
	s_and_not1_saveexec_b32 s0, s0
	s_cbranch_execz .LBB297_2070
; %bb.2066:
	v_cndmask_b32_e64 v0, 0, 1, s21
	s_mov_b32 s0, exec_lo
	v_cmpx_lt_i16_e32 0, v15
	s_xor_b32 s0, exec_lo, s0
	s_cbranch_execz .LBB297_2068
; %bb.2067:
	flat_store_b8 v[30:31], v0
                                        ; implicit-def: $vgpr30_vgpr31
                                        ; implicit-def: $vgpr0
.LBB297_2068:
	s_wait_xcnt 0x0
	s_and_not1_saveexec_b32 s0, s0
	s_cbranch_execz .LBB297_2070
; %bb.2069:
	flat_store_b8 v[30:31], v0
	s_endpgm
.LBB297_2070:
	s_endpgm
.LBB297_2071:
	s_and_not1_saveexec_b32 s5, s5
	s_cbranch_execz .LBB297_250
.LBB297_2072:
	s_mov_b32 s7, s4
	s_mov_b32 s3, exec_lo
                                        ; implicit-def: $vgpr11
	v_cmpx_lt_i16_e32 22, v7
	s_xor_b32 s3, exec_lo, s3
	s_cbranch_execz .LBB297_2106
; %bb.2073:
	s_mov_b32 s7, exec_lo
                                        ; implicit-def: $vgpr11
	v_cmpx_lt_i16_e32 23, v7
	s_xor_b32 s7, exec_lo, s7
	s_cbranch_execz .LBB297_2097
; %bb.2074:
	;; [unrolled: 6-line block ×3, first 2 shown]
	s_wait_loadcnt_dscnt 0x0
	flat_load_u8 v11, v[16:17]
	s_mov_b32 s9, 0
	s_mov_b32 s10, exec_lo
	s_wait_loadcnt_dscnt 0x0
	v_cmpx_lt_i16_e32 0x7f, v11
	s_xor_b32 s10, exec_lo, s10
	s_cbranch_execz .LBB297_2359
; %bb.2076:
	s_mov_b32 s9, -1
	s_mov_b32 s11, exec_lo
	v_cmpx_eq_u16_e32 0x80, v11
; %bb.2077:
	s_xor_b32 s9, exec_lo, -1
; %bb.2078:
	s_or_b32 exec_lo, exec_lo, s11
	s_delay_alu instid0(SALU_CYCLE_1)
	s_and_b32 s9, s9, exec_lo
	s_or_saveexec_b32 s10, s10
	v_mov_b32_e32 v5, 0x7f800001
	s_xor_b32 exec_lo, exec_lo, s10
	s_cbranch_execnz .LBB297_2360
.LBB297_2079:
	s_or_b32 exec_lo, exec_lo, s10
	s_and_saveexec_b32 s10, s9
	s_cbranch_execz .LBB297_2081
.LBB297_2080:
	v_and_b32_e32 v5, 0xffff, v11
	s_delay_alu instid0(VALU_DEP_1) | instskip(SKIP_1) | instid1(VALU_DEP_2)
	v_and_b32_e32 v13, 3, v5
	v_bfe_u32 v21, v5, 2, 5
	v_clz_i32_u32_e32 v15, v13
	s_delay_alu instid0(VALU_DEP_2) | instskip(NEXT) | instid1(VALU_DEP_2)
	v_cmp_eq_u32_e32 vcc_lo, 0, v21
	v_min_u32_e32 v15, 32, v15
	s_delay_alu instid0(VALU_DEP_1) | instskip(NEXT) | instid1(VALU_DEP_1)
	v_subrev_nc_u32_e32 v19, 29, v15
	v_dual_lshlrev_b32 v5, v19, v5 :: v_dual_sub_nc_u32 v15, 30, v15
	s_delay_alu instid0(VALU_DEP_1) | instskip(NEXT) | instid1(VALU_DEP_1)
	v_dual_lshlrev_b32 v11, 24, v11 :: v_dual_bitop2_b32 v5, 3, v5 bitop3:0x40
	v_cndmask_b32_e32 v5, v13, v5, vcc_lo
	s_delay_alu instid0(VALU_DEP_3) | instskip(NEXT) | instid1(VALU_DEP_3)
	v_cndmask_b32_e32 v15, v21, v15, vcc_lo
	v_and_b32_e32 v11, 0x80000000, v11
	s_delay_alu instid0(VALU_DEP_3) | instskip(NEXT) | instid1(VALU_DEP_3)
	v_lshlrev_b32_e32 v5, 21, v5
	v_lshl_add_u32 v13, v15, 23, 0x37800000
	s_delay_alu instid0(VALU_DEP_1)
	v_or3_b32 v5, v11, v13, v5
.LBB297_2081:
	s_or_b32 exec_lo, exec_lo, s10
	s_delay_alu instid0(VALU_DEP_1) | instskip(SKIP_2) | instid1(VALU_DEP_2)
	v_and_b32_e32 v13, 0x7fffffff, v5
	v_mov_b32_e32 v11, 0x80
	s_mov_b32 s9, exec_lo
	v_cmpx_gt_u32_e32 0x43800000, v13
	s_cbranch_execz .LBB297_2087
; %bb.2082:
	v_cmp_lt_u32_e32 vcc_lo, 0x3bffffff, v13
	s_mov_b32 s10, 0
                                        ; implicit-def: $vgpr13
	s_and_saveexec_b32 s11, vcc_lo
	s_delay_alu instid0(SALU_CYCLE_1)
	s_xor_b32 s11, exec_lo, s11
	s_cbranch_execz .LBB297_2444
; %bb.2083:
	v_bfe_u32 v11, v5, 20, 1
	s_mov_b32 s10, exec_lo
	s_delay_alu instid0(VALU_DEP_1) | instskip(NEXT) | instid1(VALU_DEP_1)
	v_add3_u32 v11, v5, v11, 0x487ffff
	v_lshrrev_b32_e32 v13, 20, v11
	s_and_not1_saveexec_b32 s11, s11
	s_cbranch_execnz .LBB297_2445
.LBB297_2084:
	s_or_b32 exec_lo, exec_lo, s11
	v_mov_b32_e32 v11, 0
	s_and_saveexec_b32 s11, s10
.LBB297_2085:
	v_lshrrev_b32_e32 v5, 24, v5
	s_delay_alu instid0(VALU_DEP_1)
	v_and_or_b32 v11, 0x80, v5, v13
.LBB297_2086:
	s_or_b32 exec_lo, exec_lo, s11
.LBB297_2087:
	s_delay_alu instid0(SALU_CYCLE_1)
	s_or_b32 exec_lo, exec_lo, s9
.LBB297_2088:
	s_and_not1_saveexec_b32 s8, s8
	s_cbranch_execz .LBB297_2096
; %bb.2089:
	flat_load_u8 v5, v[16:17]
	s_mov_b32 s10, 0
	s_mov_b32 s9, exec_lo
	s_wait_loadcnt_dscnt 0x0
	v_lshlrev_b32_e32 v5, 24, v5
	s_delay_alu instid0(VALU_DEP_1) | instskip(NEXT) | instid1(VALU_DEP_1)
	v_and_b32_e32 v11, 0x7f000000, v5
	v_clz_i32_u32_e32 v13, v11
	v_add_nc_u32_e32 v19, 0x1000000, v11
	v_cmp_ne_u32_e32 vcc_lo, 0, v11
	s_delay_alu instid0(VALU_DEP_3) | instskip(NEXT) | instid1(VALU_DEP_1)
	v_min_u32_e32 v13, 32, v13
	v_sub_nc_u32_e64 v13, v13, 4 clamp
	s_delay_alu instid0(VALU_DEP_1) | instskip(SKIP_1) | instid1(VALU_DEP_2)
	v_dual_lshlrev_b32 v15, v13, v11 :: v_dual_lshlrev_b32 v13, 23, v13
	v_mov_b32_e32 v11, 0x80
	v_lshrrev_b32_e32 v15, 4, v15
	s_delay_alu instid0(VALU_DEP_1) | instskip(NEXT) | instid1(VALU_DEP_1)
	v_dual_sub_nc_u32 v13, v15, v13 :: v_dual_ashrrev_i32 v15, 8, v19
	v_add_nc_u32_e32 v13, 0x3c000000, v13
	s_delay_alu instid0(VALU_DEP_1) | instskip(NEXT) | instid1(VALU_DEP_1)
	v_and_or_b32 v13, 0x7f800000, v15, v13
	v_cndmask_b32_e32 v15, 0, v13, vcc_lo
	s_delay_alu instid0(VALU_DEP_1) | instskip(NEXT) | instid1(VALU_DEP_1)
	v_and_or_b32 v5, 0x80000000, v5, v15
	v_and_b32_e32 v13, 0x7fffffff, v5
	s_wait_xcnt 0x0
	s_delay_alu instid0(VALU_DEP_1)
	v_cmpx_gt_u32_e32 0x43800000, v13
	s_cbranch_execz .LBB297_2095
; %bb.2090:
	v_cmp_lt_u32_e32 vcc_lo, 0x3bffffff, v13
                                        ; implicit-def: $vgpr13
	s_and_saveexec_b32 s11, vcc_lo
	s_delay_alu instid0(SALU_CYCLE_1)
	s_xor_b32 s11, exec_lo, s11
	s_cbranch_execz .LBB297_2446
; %bb.2091:
	v_bfe_u32 v11, v15, 20, 1
	s_mov_b32 s10, exec_lo
	s_delay_alu instid0(VALU_DEP_1) | instskip(NEXT) | instid1(VALU_DEP_1)
	v_add3_u32 v11, v5, v11, 0x487ffff
	v_lshrrev_b32_e32 v13, 20, v11
	s_and_not1_saveexec_b32 s11, s11
	s_cbranch_execnz .LBB297_2447
.LBB297_2092:
	s_or_b32 exec_lo, exec_lo, s11
	v_mov_b32_e32 v11, 0
	s_and_saveexec_b32 s11, s10
.LBB297_2093:
	v_lshrrev_b32_e32 v5, 24, v5
	s_delay_alu instid0(VALU_DEP_1)
	v_and_or_b32 v11, 0x80, v5, v13
.LBB297_2094:
	s_or_b32 exec_lo, exec_lo, s11
.LBB297_2095:
	s_delay_alu instid0(SALU_CYCLE_1)
	s_or_b32 exec_lo, exec_lo, s9
.LBB297_2096:
	s_delay_alu instid0(SALU_CYCLE_1)
	s_or_b32 exec_lo, exec_lo, s8
.LBB297_2097:
	s_and_not1_saveexec_b32 s7, s7
	s_cbranch_execz .LBB297_2105
; %bb.2098:
	flat_load_u8 v5, v[16:17]
	s_mov_b32 s8, exec_lo
	s_wait_loadcnt_dscnt 0x0
	v_lshlrev_b32_e32 v11, 25, v5
	v_lshlrev_b16 v5, 8, v5
	s_delay_alu instid0(VALU_DEP_1) | instskip(SKIP_1) | instid1(VALU_DEP_2)
	v_and_or_b32 v15, 0x7f00, v5, 0.5
	v_bfe_i32 v5, v5, 0, 16
	v_add_f32_e32 v15, -0.5, v15
	v_lshrrev_b32_e32 v13, 4, v11
	v_cmp_gt_u32_e32 vcc_lo, 0x8000000, v11
	v_mov_b32_e32 v11, 0x80
	s_delay_alu instid0(VALU_DEP_3) | instskip(NEXT) | instid1(VALU_DEP_1)
	v_or_b32_e32 v13, 0x70000000, v13
	v_mul_f32_e32 v13, 0x7800000, v13
	s_delay_alu instid0(VALU_DEP_1) | instskip(NEXT) | instid1(VALU_DEP_1)
	v_cndmask_b32_e32 v15, v13, v15, vcc_lo
	v_and_or_b32 v5, 0x80000000, v5, v15
	s_delay_alu instid0(VALU_DEP_1) | instskip(SKIP_1) | instid1(VALU_DEP_1)
	v_and_b32_e32 v13, 0x7fffffff, v5
	s_wait_xcnt 0x0
	v_cmpx_gt_u32_e32 0x43800000, v13
	s_cbranch_execz .LBB297_2104
; %bb.2099:
	v_cmp_lt_u32_e32 vcc_lo, 0x3bffffff, v13
	s_mov_b32 s9, 0
                                        ; implicit-def: $vgpr13
	s_and_saveexec_b32 s10, vcc_lo
	s_delay_alu instid0(SALU_CYCLE_1)
	s_xor_b32 s10, exec_lo, s10
	s_cbranch_execz .LBB297_2361
; %bb.2100:
	v_bfe_u32 v11, v15, 20, 1
	s_mov_b32 s9, exec_lo
	s_delay_alu instid0(VALU_DEP_1) | instskip(NEXT) | instid1(VALU_DEP_1)
	v_add3_u32 v11, v5, v11, 0x487ffff
	v_lshrrev_b32_e32 v13, 20, v11
	s_and_not1_saveexec_b32 s10, s10
	s_cbranch_execnz .LBB297_2362
.LBB297_2101:
	s_or_b32 exec_lo, exec_lo, s10
	v_mov_b32_e32 v11, 0
	s_and_saveexec_b32 s10, s9
.LBB297_2102:
	v_lshrrev_b32_e32 v5, 24, v5
	s_delay_alu instid0(VALU_DEP_1)
	v_and_or_b32 v11, 0x80, v5, v13
.LBB297_2103:
	s_or_b32 exec_lo, exec_lo, s10
.LBB297_2104:
	s_delay_alu instid0(SALU_CYCLE_1)
	s_or_b32 exec_lo, exec_lo, s8
.LBB297_2105:
	s_delay_alu instid0(SALU_CYCLE_1) | instskip(NEXT) | instid1(SALU_CYCLE_1)
	s_or_b32 exec_lo, exec_lo, s7
	s_or_b32 s7, s4, exec_lo
.LBB297_2106:
	s_or_saveexec_b32 s3, s3
	s_mov_b32 s8, 0
	s_mov_b32 s9, s6
	s_xor_b32 exec_lo, exec_lo, s3
	s_cbranch_execz .LBB297_2120
; %bb.2107:
	s_mov_b32 s9, s6
	s_mov_b32 s10, s7
	s_mov_b32 s8, exec_lo
                                        ; implicit-def: $vgpr11
	v_cmpx_lt_i16_e32 14, v7
	s_xor_b32 s8, exec_lo, s8
	s_cbranch_execz .LBB297_2117
; %bb.2108:
	s_mov_b32 s10, -1
	s_mov_b32 s11, s7
	s_mov_b32 s9, exec_lo
                                        ; implicit-def: $vgpr11
	v_cmpx_eq_u16_e32 15, v7
	s_cbranch_execz .LBB297_2116
; %bb.2109:
	flat_load_u16 v5, v[16:17]
	s_wait_loadcnt_dscnt 0x101
	v_mov_b32_e32 v11, 0x80
	s_mov_b32 s10, exec_lo
	s_wait_loadcnt_dscnt 0x0
	v_lshlrev_b32_e32 v15, 16, v5
	s_delay_alu instid0(VALU_DEP_1) | instskip(SKIP_1) | instid1(VALU_DEP_1)
	v_and_b32_e32 v13, 0x7fffffff, v15
	s_wait_xcnt 0x0
	v_cmpx_gt_u32_e32 0x43800000, v13
	s_cbranch_execz .LBB297_2115
; %bb.2110:
	v_cmp_lt_u32_e32 vcc_lo, 0x3bffffff, v13
	s_mov_b32 s11, 0
                                        ; implicit-def: $vgpr13
	s_and_saveexec_b32 s12, vcc_lo
	s_delay_alu instid0(SALU_CYCLE_1)
	s_xor_b32 s12, exec_lo, s12
	s_cbranch_execz .LBB297_2448
; %bb.2111:
	v_bfe_u32 v11, v5, 4, 1
	s_mov_b32 s11, exec_lo
	s_delay_alu instid0(VALU_DEP_1) | instskip(NEXT) | instid1(VALU_DEP_1)
	v_add3_u32 v11, v15, v11, 0x487ffff
                                        ; implicit-def: $vgpr15
	v_lshrrev_b32_e32 v13, 20, v11
	s_and_not1_saveexec_b32 s12, s12
	s_cbranch_execnz .LBB297_2449
.LBB297_2112:
	s_or_b32 exec_lo, exec_lo, s12
	v_mov_b32_e32 v11, 0
	s_and_saveexec_b32 s12, s11
.LBB297_2113:
	v_lshrrev_b32_e32 v5, 8, v5
	s_delay_alu instid0(VALU_DEP_1)
	v_and_or_b32 v11, 0x80, v5, v13
.LBB297_2114:
	s_or_b32 exec_lo, exec_lo, s12
.LBB297_2115:
	s_delay_alu instid0(SALU_CYCLE_1) | instskip(NEXT) | instid1(SALU_CYCLE_1)
	s_or_b32 exec_lo, exec_lo, s10
	s_or_b32 s11, s7, exec_lo
	s_xor_b32 s10, exec_lo, -1
.LBB297_2116:
	s_or_b32 exec_lo, exec_lo, s9
	s_delay_alu instid0(SALU_CYCLE_1)
	s_and_not1_b32 s9, s7, exec_lo
	s_and_b32 s11, s11, exec_lo
	s_and_not1_b32 s12, s6, exec_lo
	s_and_b32 s13, s10, exec_lo
	s_or_b32 s10, s9, s11
	s_or_b32 s9, s12, s13
.LBB297_2117:
	s_or_saveexec_b32 s11, s8
	s_mov_b32 s8, 0
	s_xor_b32 exec_lo, exec_lo, s11
; %bb.2118:
	v_cmp_ne_u16_e32 vcc_lo, 11, v7
	s_and_not1_b32 s9, s9, exec_lo
	s_mov_b32 s8, exec_lo
	s_and_b32 s12, vcc_lo, exec_lo
	s_delay_alu instid0(SALU_CYCLE_1)
	s_or_b32 s9, s9, s12
; %bb.2119:
	s_or_b32 exec_lo, exec_lo, s11
	s_delay_alu instid0(SALU_CYCLE_1)
	s_and_not1_b32 s7, s7, exec_lo
	s_and_b32 s10, s10, exec_lo
	s_and_b32 s9, s9, exec_lo
	s_or_b32 s7, s7, s10
	s_and_not1_b32 s10, s6, exec_lo
	s_and_b32 s8, s8, exec_lo
	s_or_b32 s9, s10, s9
.LBB297_2120:
	s_or_b32 exec_lo, exec_lo, s3
	s_delay_alu instid0(SALU_CYCLE_1)
	s_and_not1_b32 s3, s4, exec_lo
	s_and_b32 s4, s7, exec_lo
	s_and_not1_b32 s6, s6, exec_lo
	s_and_b32 s7, s9, exec_lo
	s_or_b32 s4, s3, s4
	s_and_b32 s3, s8, exec_lo
	s_or_b32 s6, s6, s7
	s_or_b32 exec_lo, exec_lo, s5
	s_mov_b32 s5, s1
	s_and_saveexec_b32 s7, s6
	s_cbranch_execz .LBB297_251
.LBB297_2121:
	s_or_b32 s5, s1, exec_lo
	s_and_not1_b32 s3, s3, exec_lo
	s_trap 2
	s_or_b32 exec_lo, exec_lo, s7
	s_and_saveexec_b32 s6, s3
	s_delay_alu instid0(SALU_CYCLE_1)
	s_xor_b32 s3, exec_lo, s6
	s_cbranch_execnz .LBB297_252
	s_branch .LBB297_259
.LBB297_2122:
	s_and_not1_saveexec_b32 s7, s7
	s_cbranch_execz .LBB297_428
.LBB297_2123:
	s_mov_b32 s9, s6
	s_mov_b32 s5, exec_lo
                                        ; implicit-def: $vgpr13
	v_cmpx_lt_i16_e32 22, v5
	s_xor_b32 s5, exec_lo, s5
	s_cbranch_execz .LBB297_2157
; %bb.2124:
	s_mov_b32 s9, exec_lo
                                        ; implicit-def: $vgpr13
	v_cmpx_lt_i16_e32 23, v5
	s_xor_b32 s9, exec_lo, s9
	s_cbranch_execz .LBB297_2148
; %bb.2125:
	;; [unrolled: 6-line block ×3, first 2 shown]
	s_wait_loadcnt_dscnt 0x0
	flat_load_u8 v13, v[22:23]
	s_mov_b32 s11, 0
	s_mov_b32 s12, exec_lo
	s_wait_loadcnt_dscnt 0x0
	v_cmpx_lt_i16_e32 0x7f, v13
	s_xor_b32 s12, exec_lo, s12
	s_cbranch_execz .LBB297_2450
; %bb.2127:
	s_mov_b32 s11, -1
	s_mov_b32 s13, exec_lo
	v_cmpx_eq_u16_e32 0x80, v13
; %bb.2128:
	s_xor_b32 s11, exec_lo, -1
; %bb.2129:
	s_or_b32 exec_lo, exec_lo, s13
	s_delay_alu instid0(SALU_CYCLE_1)
	s_and_b32 s11, s11, exec_lo
	s_or_saveexec_b32 s12, s12
	v_mov_b32_e32 v15, 0x7f800001
	s_xor_b32 exec_lo, exec_lo, s12
	s_cbranch_execnz .LBB297_2451
.LBB297_2130:
	s_or_b32 exec_lo, exec_lo, s12
	s_and_saveexec_b32 s12, s11
	s_cbranch_execz .LBB297_2132
.LBB297_2131:
	v_and_b32_e32 v15, 0xffff, v13
	s_delay_alu instid0(VALU_DEP_1) | instskip(SKIP_1) | instid1(VALU_DEP_2)
	v_and_b32_e32 v19, 3, v15
	v_bfe_u32 v27, v15, 2, 5
	v_clz_i32_u32_e32 v21, v19
	s_delay_alu instid0(VALU_DEP_2) | instskip(NEXT) | instid1(VALU_DEP_2)
	v_cmp_eq_u32_e32 vcc_lo, 0, v27
	v_min_u32_e32 v21, 32, v21
	s_delay_alu instid0(VALU_DEP_1) | instskip(NEXT) | instid1(VALU_DEP_1)
	v_subrev_nc_u32_e32 v25, 29, v21
	v_dual_lshlrev_b32 v15, v25, v15 :: v_dual_sub_nc_u32 v21, 30, v21
	s_delay_alu instid0(VALU_DEP_1) | instskip(NEXT) | instid1(VALU_DEP_1)
	v_dual_lshlrev_b32 v13, 24, v13 :: v_dual_bitop2_b32 v15, 3, v15 bitop3:0x40
	v_cndmask_b32_e32 v15, v19, v15, vcc_lo
	s_delay_alu instid0(VALU_DEP_3) | instskip(NEXT) | instid1(VALU_DEP_3)
	v_cndmask_b32_e32 v21, v27, v21, vcc_lo
	v_and_b32_e32 v13, 0x80000000, v13
	s_delay_alu instid0(VALU_DEP_3) | instskip(NEXT) | instid1(VALU_DEP_3)
	v_lshlrev_b32_e32 v15, 21, v15
	v_lshl_add_u32 v19, v21, 23, 0x37800000
	s_delay_alu instid0(VALU_DEP_1)
	v_or3_b32 v15, v13, v19, v15
.LBB297_2132:
	s_or_b32 exec_lo, exec_lo, s12
	s_delay_alu instid0(VALU_DEP_1) | instskip(SKIP_2) | instid1(VALU_DEP_2)
	v_and_b32_e32 v19, 0x7fffffff, v15
	v_mov_b32_e32 v13, 0x80
	s_mov_b32 s11, exec_lo
	v_cmpx_gt_u32_e32 0x43800000, v19
	s_cbranch_execz .LBB297_2138
; %bb.2133:
	v_cmp_lt_u32_e32 vcc_lo, 0x3bffffff, v19
	s_mov_b32 s12, 0
                                        ; implicit-def: $vgpr19
	s_and_saveexec_b32 s13, vcc_lo
	s_delay_alu instid0(SALU_CYCLE_1)
	s_xor_b32 s13, exec_lo, s13
	s_cbranch_execz .LBB297_2547
; %bb.2134:
	v_bfe_u32 v13, v15, 20, 1
	s_mov_b32 s12, exec_lo
	s_delay_alu instid0(VALU_DEP_1) | instskip(NEXT) | instid1(VALU_DEP_1)
	v_add3_u32 v13, v15, v13, 0x487ffff
	v_lshrrev_b32_e32 v19, 20, v13
	s_and_not1_saveexec_b32 s13, s13
	s_cbranch_execnz .LBB297_2548
.LBB297_2135:
	s_or_b32 exec_lo, exec_lo, s13
	v_mov_b32_e32 v13, 0
	s_and_saveexec_b32 s13, s12
.LBB297_2136:
	v_lshrrev_b32_e32 v13, 24, v15
	s_delay_alu instid0(VALU_DEP_1)
	v_and_or_b32 v13, 0x80, v13, v19
.LBB297_2137:
	s_or_b32 exec_lo, exec_lo, s13
.LBB297_2138:
	s_delay_alu instid0(SALU_CYCLE_1)
	s_or_b32 exec_lo, exec_lo, s11
.LBB297_2139:
	s_and_not1_saveexec_b32 s10, s10
	s_cbranch_execz .LBB297_2147
; %bb.2140:
	s_wait_loadcnt_dscnt 0x0
	flat_load_u8 v13, v[22:23]
	s_mov_b32 s12, 0
	s_mov_b32 s11, exec_lo
	s_wait_loadcnt_dscnt 0x0
	v_lshlrev_b32_e32 v13, 24, v13
	s_delay_alu instid0(VALU_DEP_1) | instskip(NEXT) | instid1(VALU_DEP_1)
	v_and_b32_e32 v15, 0x7f000000, v13
	v_clz_i32_u32_e32 v19, v15
	v_add_nc_u32_e32 v25, 0x1000000, v15
	v_cmp_ne_u32_e32 vcc_lo, 0, v15
	s_delay_alu instid0(VALU_DEP_3) | instskip(NEXT) | instid1(VALU_DEP_1)
	v_min_u32_e32 v19, 32, v19
	v_sub_nc_u32_e64 v19, v19, 4 clamp
	s_delay_alu instid0(VALU_DEP_1) | instskip(NEXT) | instid1(VALU_DEP_1)
	v_lshlrev_b32_e32 v21, v19, v15
	v_dual_lshlrev_b32 v19, 23, v19 :: v_dual_lshrrev_b32 v21, 4, v21
	s_delay_alu instid0(VALU_DEP_1) | instskip(NEXT) | instid1(VALU_DEP_1)
	v_dual_sub_nc_u32 v19, v21, v19 :: v_dual_ashrrev_i32 v21, 8, v25
	v_add_nc_u32_e32 v19, 0x3c000000, v19
	s_delay_alu instid0(VALU_DEP_1) | instskip(NEXT) | instid1(VALU_DEP_1)
	v_and_or_b32 v19, 0x7f800000, v21, v19
	v_cndmask_b32_e32 v21, 0, v19, vcc_lo
	s_delay_alu instid0(VALU_DEP_1) | instskip(SKIP_1) | instid1(VALU_DEP_2)
	v_and_or_b32 v15, 0x80000000, v13, v21
	v_mov_b32_e32 v13, 0x80
	v_and_b32_e32 v19, 0x7fffffff, v15
	s_wait_xcnt 0x0
	s_delay_alu instid0(VALU_DEP_1)
	v_cmpx_gt_u32_e32 0x43800000, v19
	s_cbranch_execz .LBB297_2146
; %bb.2141:
	v_cmp_lt_u32_e32 vcc_lo, 0x3bffffff, v19
                                        ; implicit-def: $vgpr19
	s_and_saveexec_b32 s13, vcc_lo
	s_delay_alu instid0(SALU_CYCLE_1)
	s_xor_b32 s13, exec_lo, s13
	s_cbranch_execz .LBB297_2549
; %bb.2142:
	v_bfe_u32 v13, v21, 20, 1
	s_mov_b32 s12, exec_lo
	s_delay_alu instid0(VALU_DEP_1) | instskip(NEXT) | instid1(VALU_DEP_1)
	v_add3_u32 v13, v15, v13, 0x487ffff
	v_lshrrev_b32_e32 v19, 20, v13
	s_and_not1_saveexec_b32 s13, s13
	s_cbranch_execnz .LBB297_2550
.LBB297_2143:
	s_or_b32 exec_lo, exec_lo, s13
	v_mov_b32_e32 v13, 0
	s_and_saveexec_b32 s13, s12
.LBB297_2144:
	v_lshrrev_b32_e32 v13, 24, v15
	s_delay_alu instid0(VALU_DEP_1)
	v_and_or_b32 v13, 0x80, v13, v19
.LBB297_2145:
	s_or_b32 exec_lo, exec_lo, s13
.LBB297_2146:
	s_delay_alu instid0(SALU_CYCLE_1)
	s_or_b32 exec_lo, exec_lo, s11
.LBB297_2147:
	s_delay_alu instid0(SALU_CYCLE_1)
	s_or_b32 exec_lo, exec_lo, s10
.LBB297_2148:
	s_and_not1_saveexec_b32 s9, s9
	s_cbranch_execz .LBB297_2156
; %bb.2149:
	s_wait_loadcnt_dscnt 0x0
	flat_load_u8 v13, v[22:23]
	s_mov_b32 s10, exec_lo
	s_wait_loadcnt_dscnt 0x0
	v_lshlrev_b32_e32 v15, 25, v13
	v_lshlrev_b16 v13, 8, v13
	s_delay_alu instid0(VALU_DEP_2) | instskip(NEXT) | instid1(VALU_DEP_2)
	v_cmp_gt_u32_e32 vcc_lo, 0x8000000, v15
	v_and_or_b32 v21, 0x7f00, v13, 0.5
	v_lshrrev_b32_e32 v19, 4, v15
	v_bfe_i32 v13, v13, 0, 16
	s_delay_alu instid0(VALU_DEP_3) | instskip(NEXT) | instid1(VALU_DEP_3)
	v_add_f32_e32 v21, -0.5, v21
	v_or_b32_e32 v19, 0x70000000, v19
	s_delay_alu instid0(VALU_DEP_1) | instskip(NEXT) | instid1(VALU_DEP_1)
	v_mul_f32_e32 v19, 0x7800000, v19
	v_cndmask_b32_e32 v21, v19, v21, vcc_lo
	s_delay_alu instid0(VALU_DEP_1) | instskip(SKIP_1) | instid1(VALU_DEP_2)
	v_and_or_b32 v15, 0x80000000, v13, v21
	v_mov_b32_e32 v13, 0x80
	v_and_b32_e32 v19, 0x7fffffff, v15
	s_wait_xcnt 0x0
	s_delay_alu instid0(VALU_DEP_1)
	v_cmpx_gt_u32_e32 0x43800000, v19
	s_cbranch_execz .LBB297_2155
; %bb.2150:
	v_cmp_lt_u32_e32 vcc_lo, 0x3bffffff, v19
	s_mov_b32 s11, 0
                                        ; implicit-def: $vgpr19
	s_and_saveexec_b32 s12, vcc_lo
	s_delay_alu instid0(SALU_CYCLE_1)
	s_xor_b32 s12, exec_lo, s12
	s_cbranch_execz .LBB297_2452
; %bb.2151:
	v_bfe_u32 v13, v21, 20, 1
	s_mov_b32 s11, exec_lo
	s_delay_alu instid0(VALU_DEP_1) | instskip(NEXT) | instid1(VALU_DEP_1)
	v_add3_u32 v13, v15, v13, 0x487ffff
	v_lshrrev_b32_e32 v19, 20, v13
	s_and_not1_saveexec_b32 s12, s12
	s_cbranch_execnz .LBB297_2453
.LBB297_2152:
	s_or_b32 exec_lo, exec_lo, s12
	v_mov_b32_e32 v13, 0
	s_and_saveexec_b32 s12, s11
.LBB297_2153:
	v_lshrrev_b32_e32 v13, 24, v15
	s_delay_alu instid0(VALU_DEP_1)
	v_and_or_b32 v13, 0x80, v13, v19
.LBB297_2154:
	s_or_b32 exec_lo, exec_lo, s12
.LBB297_2155:
	s_delay_alu instid0(SALU_CYCLE_1)
	s_or_b32 exec_lo, exec_lo, s10
.LBB297_2156:
	s_delay_alu instid0(SALU_CYCLE_1) | instskip(NEXT) | instid1(SALU_CYCLE_1)
	s_or_b32 exec_lo, exec_lo, s9
	s_or_b32 s9, s6, exec_lo
.LBB297_2157:
	s_or_saveexec_b32 s5, s5
	s_mov_b32 s10, 0
	s_mov_b32 s11, s8
	s_xor_b32 exec_lo, exec_lo, s5
	s_cbranch_execz .LBB297_2171
; %bb.2158:
	s_mov_b32 s11, s8
	s_mov_b32 s12, s9
	s_mov_b32 s10, exec_lo
                                        ; implicit-def: $vgpr13
	v_cmpx_lt_i16_e32 14, v5
	s_xor_b32 s10, exec_lo, s10
	s_cbranch_execz .LBB297_2168
; %bb.2159:
	s_mov_b32 s12, -1
	s_mov_b32 s13, s9
	s_mov_b32 s11, exec_lo
                                        ; implicit-def: $vgpr13
	v_cmpx_eq_u16_e32 15, v5
	s_cbranch_execz .LBB297_2167
; %bb.2160:
	flat_load_u16 v15, v[22:23]
	s_wait_loadcnt_dscnt 0x101
	v_mov_b32_e32 v13, 0x80
	s_mov_b32 s12, exec_lo
	s_wait_loadcnt_dscnt 0x0
	v_lshlrev_b32_e32 v21, 16, v15
	s_delay_alu instid0(VALU_DEP_1) | instskip(SKIP_1) | instid1(VALU_DEP_1)
	v_and_b32_e32 v19, 0x7fffffff, v21
	s_wait_xcnt 0x0
	v_cmpx_gt_u32_e32 0x43800000, v19
	s_cbranch_execz .LBB297_2166
; %bb.2161:
	v_cmp_lt_u32_e32 vcc_lo, 0x3bffffff, v19
	s_mov_b32 s13, 0
                                        ; implicit-def: $vgpr19
	s_and_saveexec_b32 s14, vcc_lo
	s_delay_alu instid0(SALU_CYCLE_1)
	s_xor_b32 s14, exec_lo, s14
	s_cbranch_execz .LBB297_2551
; %bb.2162:
	v_bfe_u32 v13, v15, 4, 1
	s_mov_b32 s13, exec_lo
	s_delay_alu instid0(VALU_DEP_1) | instskip(NEXT) | instid1(VALU_DEP_1)
	v_add3_u32 v13, v21, v13, 0x487ffff
                                        ; implicit-def: $vgpr21
	v_lshrrev_b32_e32 v19, 20, v13
	s_and_not1_saveexec_b32 s14, s14
	s_cbranch_execnz .LBB297_2552
.LBB297_2163:
	s_or_b32 exec_lo, exec_lo, s14
	v_mov_b32_e32 v13, 0
	s_and_saveexec_b32 s14, s13
.LBB297_2164:
	v_lshrrev_b32_e32 v13, 8, v15
	s_delay_alu instid0(VALU_DEP_1)
	v_and_or_b32 v13, 0x80, v13, v19
.LBB297_2165:
	s_or_b32 exec_lo, exec_lo, s14
.LBB297_2166:
	s_delay_alu instid0(SALU_CYCLE_1) | instskip(NEXT) | instid1(SALU_CYCLE_1)
	s_or_b32 exec_lo, exec_lo, s12
	s_or_b32 s13, s9, exec_lo
	s_xor_b32 s12, exec_lo, -1
.LBB297_2167:
	s_or_b32 exec_lo, exec_lo, s11
	s_delay_alu instid0(SALU_CYCLE_1)
	s_and_not1_b32 s11, s9, exec_lo
	s_and_b32 s13, s13, exec_lo
	s_and_not1_b32 s14, s8, exec_lo
	s_and_b32 s15, s12, exec_lo
	s_or_b32 s12, s11, s13
	s_or_b32 s11, s14, s15
.LBB297_2168:
	s_or_saveexec_b32 s13, s10
	s_mov_b32 s10, 0
	s_xor_b32 exec_lo, exec_lo, s13
; %bb.2169:
	v_cmp_ne_u16_e32 vcc_lo, 11, v5
	s_and_not1_b32 s11, s11, exec_lo
	s_mov_b32 s10, exec_lo
	s_and_b32 s14, vcc_lo, exec_lo
	s_delay_alu instid0(SALU_CYCLE_1)
	s_or_b32 s11, s11, s14
; %bb.2170:
	s_or_b32 exec_lo, exec_lo, s13
	s_delay_alu instid0(SALU_CYCLE_1)
	s_and_not1_b32 s9, s9, exec_lo
	s_and_b32 s12, s12, exec_lo
	s_and_b32 s11, s11, exec_lo
	s_or_b32 s9, s9, s12
	s_and_not1_b32 s12, s8, exec_lo
	s_and_b32 s10, s10, exec_lo
	s_or_b32 s11, s12, s11
.LBB297_2171:
	s_or_b32 exec_lo, exec_lo, s5
	s_delay_alu instid0(SALU_CYCLE_1)
	s_and_not1_b32 s5, s6, exec_lo
	s_and_b32 s6, s9, exec_lo
	s_and_not1_b32 s8, s8, exec_lo
	s_and_b32 s9, s11, exec_lo
	s_or_b32 s6, s5, s6
	s_and_b32 s5, s10, exec_lo
	s_or_b32 s8, s8, s9
	s_or_b32 exec_lo, exec_lo, s7
	s_mov_b32 s7, s3
	s_and_saveexec_b32 s9, s8
	s_cbranch_execz .LBB297_429
.LBB297_2172:
	s_or_b32 s7, s3, exec_lo
	s_and_not1_b32 s5, s5, exec_lo
	s_trap 2
	s_or_b32 exec_lo, exec_lo, s9
	s_and_saveexec_b32 s8, s5
	s_delay_alu instid0(SALU_CYCLE_1)
	s_xor_b32 s5, exec_lo, s8
	s_cbranch_execnz .LBB297_430
	s_branch .LBB297_437
.LBB297_2173:
	s_and_not1_saveexec_b32 s8, s8
	s_cbranch_execz .LBB297_255
.LBB297_2174:
	v_add_f32_e32 v5, 0x46000000, v13
	s_and_not1_b32 s7, s7, exec_lo
	s_delay_alu instid0(VALU_DEP_1) | instskip(NEXT) | instid1(VALU_DEP_1)
	v_and_b32_e32 v5, 0xff, v5
	v_cmp_ne_u32_e32 vcc_lo, 0, v5
	s_and_b32 s9, vcc_lo, exec_lo
	s_delay_alu instid0(SALU_CYCLE_1)
	s_or_b32 s7, s7, s9
	s_or_b32 exec_lo, exec_lo, s8
	v_mov_b32_e32 v11, 0
	s_and_saveexec_b32 s8, s7
	s_cbranch_execnz .LBB297_256
	s_branch .LBB297_257
.LBB297_2175:
	s_or_saveexec_b32 s9, s9
	v_mov_b32_e32 v9, 0x7f800001
	s_xor_b32 exec_lo, exec_lo, s9
	s_cbranch_execz .LBB297_552
.LBB297_2176:
	v_cmp_ne_u16_e64 s0, 0, v15
	v_mov_b32_e32 v9, 0
	s_and_not1_b32 s8, s8, exec_lo
	s_and_b32 s0, s0, exec_lo
	s_delay_alu instid0(SALU_CYCLE_1)
	s_or_b32 s8, s8, s0
	s_or_b32 exec_lo, exec_lo, s9
	s_and_saveexec_b32 s9, s8
	s_cbranch_execnz .LBB297_553
	s_branch .LBB297_554
.LBB297_2177:
	s_or_saveexec_b32 s9, s9
	v_mov_b32_e32 v11, 0x7f800001
	s_xor_b32 exec_lo, exec_lo, s9
	s_cbranch_execz .LBB297_558
.LBB297_2178:
	v_cmp_ne_u16_e64 s0, 0, v15
	v_mov_b32_e32 v11, 0
	s_and_not1_b32 s8, s8, exec_lo
	s_and_b32 s0, s0, exec_lo
	s_delay_alu instid0(SALU_CYCLE_1)
	s_or_b32 s8, s8, s0
	s_or_b32 exec_lo, exec_lo, s9
	s_and_saveexec_b32 s9, s8
	s_cbranch_execnz .LBB297_559
	s_branch .LBB297_560
.LBB297_2179:
	s_or_saveexec_b32 s10, s10
	v_mov_b32_e32 v9, 0x7f800001
	s_xor_b32 exec_lo, exec_lo, s10
	s_cbranch_execz .LBB297_566
.LBB297_2180:
	v_cmp_ne_u16_e64 s0, 0, v15
	v_mov_b32_e32 v9, 0
	s_and_not1_b32 s8, s8, exec_lo
	s_and_b32 s0, s0, exec_lo
	s_delay_alu instid0(SALU_CYCLE_1)
	s_or_b32 s8, s8, s0
	s_or_b32 exec_lo, exec_lo, s10
	s_and_saveexec_b32 s10, s8
	s_cbranch_execnz .LBB297_567
	s_branch .LBB297_568
.LBB297_2181:
	s_or_saveexec_b32 s10, s10
	v_mov_b32_e32 v11, 0x7f800001
	s_xor_b32 exec_lo, exec_lo, s10
	s_cbranch_execz .LBB297_572
.LBB297_2182:
	v_cmp_ne_u16_e64 s0, 0, v15
	v_mov_b32_e32 v11, 0
	s_and_not1_b32 s8, s8, exec_lo
	s_and_b32 s0, s0, exec_lo
	s_delay_alu instid0(SALU_CYCLE_1)
	s_or_b32 s8, s8, s0
	s_or_b32 exec_lo, exec_lo, s10
	s_and_saveexec_b32 s10, s8
	s_cbranch_execnz .LBB297_573
	s_branch .LBB297_574
.LBB297_2183:
	s_and_not1_saveexec_b32 s11, s11
	s_cbranch_execz .LBB297_634
.LBB297_2184:
	s_mov_b32 s13, s10
	s_mov_b32 s7, exec_lo
                                        ; implicit-def: $vgpr9
	v_cmpx_lt_i16_e32 22, v7
	s_xor_b32 s7, exec_lo, s7
	s_cbranch_execz .LBB297_2218
; %bb.2185:
	s_mov_b32 s13, exec_lo
                                        ; implicit-def: $vgpr9
	v_cmpx_lt_i16_e32 23, v7
	s_xor_b32 s13, exec_lo, s13
	s_cbranch_execz .LBB297_2209
; %bb.2186:
	;; [unrolled: 6-line block ×3, first 2 shown]
	s_wait_loadcnt_dscnt 0x0
	flat_load_u8 v9, v[22:23]
	s_mov_b32 s15, 0
	s_mov_b32 s16, exec_lo
	s_wait_loadcnt_dscnt 0x0
	v_cmpx_lt_i16_e32 0x7f, v9
	s_xor_b32 s16, exec_lo, s16
	s_cbranch_execz .LBB297_2553
; %bb.2188:
	s_mov_b32 s15, -1
	s_mov_b32 s17, exec_lo
	v_cmpx_eq_u16_e32 0x80, v9
; %bb.2189:
	s_xor_b32 s15, exec_lo, -1
; %bb.2190:
	s_or_b32 exec_lo, exec_lo, s17
	s_delay_alu instid0(SALU_CYCLE_1)
	s_and_b32 s15, s15, exec_lo
	s_or_saveexec_b32 s16, s16
	v_mov_b32_e32 v11, 0x7f800001
	s_xor_b32 exec_lo, exec_lo, s16
	s_cbranch_execnz .LBB297_2554
.LBB297_2191:
	s_or_b32 exec_lo, exec_lo, s16
	s_and_saveexec_b32 s16, s15
	s_cbranch_execz .LBB297_2193
.LBB297_2192:
	v_and_b32_e32 v11, 0xffff, v9
	s_delay_alu instid0(VALU_DEP_1) | instskip(SKIP_1) | instid1(VALU_DEP_2)
	v_dual_lshlrev_b32 v9, 24, v9 :: v_dual_bitop2_b32 v13, 3, v11 bitop3:0x40
	v_bfe_u32 v21, v11, 2, 5
	v_and_b32_e32 v9, 0x80000000, v9
	s_delay_alu instid0(VALU_DEP_3) | instskip(NEXT) | instid1(VALU_DEP_3)
	v_clz_i32_u32_e32 v15, v13
	v_cmp_eq_u32_e64 s0, 0, v21
	s_delay_alu instid0(VALU_DEP_2) | instskip(NEXT) | instid1(VALU_DEP_1)
	v_min_u32_e32 v15, 32, v15
	v_subrev_nc_u32_e32 v19, 29, v15
	v_sub_nc_u32_e32 v15, 30, v15
	s_delay_alu instid0(VALU_DEP_2) | instskip(NEXT) | instid1(VALU_DEP_2)
	v_lshlrev_b32_e32 v11, v19, v11
	v_cndmask_b32_e64 v15, v21, v15, s0
	s_delay_alu instid0(VALU_DEP_2) | instskip(NEXT) | instid1(VALU_DEP_1)
	v_and_b32_e32 v11, 3, v11
	v_cndmask_b32_e64 v11, v13, v11, s0
	s_delay_alu instid0(VALU_DEP_3) | instskip(NEXT) | instid1(VALU_DEP_2)
	v_lshl_add_u32 v13, v15, 23, 0x37800000
	v_lshlrev_b32_e32 v11, 21, v11
	s_delay_alu instid0(VALU_DEP_1)
	v_or3_b32 v11, v9, v13, v11
.LBB297_2193:
	s_or_b32 exec_lo, exec_lo, s16
	s_delay_alu instid0(VALU_DEP_1) | instskip(SKIP_2) | instid1(VALU_DEP_2)
	v_and_b32_e32 v13, 0x7fffffff, v11
	v_mov_b32_e32 v9, 0x80
	s_mov_b32 s15, exec_lo
	v_cmpx_gt_u32_e32 0x43800000, v13
	s_cbranch_execz .LBB297_2199
; %bb.2194:
	v_cmp_lt_u32_e64 s0, 0x3bffffff, v13
	s_mov_b32 s16, 0
                                        ; implicit-def: $vgpr13
	s_and_saveexec_b32 s17, s0
	s_delay_alu instid0(SALU_CYCLE_1)
	s_xor_b32 s0, exec_lo, s17
	s_cbranch_execz .LBB297_2642
; %bb.2195:
	v_bfe_u32 v9, v11, 20, 1
	s_mov_b32 s16, exec_lo
	s_delay_alu instid0(VALU_DEP_1) | instskip(NEXT) | instid1(VALU_DEP_1)
	v_add3_u32 v9, v11, v9, 0x487ffff
	v_lshrrev_b32_e32 v13, 20, v9
	s_and_not1_saveexec_b32 s17, s0
	s_cbranch_execnz .LBB297_2643
.LBB297_2196:
	s_or_b32 exec_lo, exec_lo, s17
	v_mov_b32_e32 v9, 0
	s_and_saveexec_b32 s0, s16
.LBB297_2197:
	v_lshrrev_b32_e32 v9, 24, v11
	s_delay_alu instid0(VALU_DEP_1)
	v_and_or_b32 v9, 0x80, v9, v13
.LBB297_2198:
	s_or_b32 exec_lo, exec_lo, s0
.LBB297_2199:
	s_delay_alu instid0(SALU_CYCLE_1)
	s_or_b32 exec_lo, exec_lo, s15
.LBB297_2200:
	s_and_not1_saveexec_b32 s14, s14
	s_cbranch_execz .LBB297_2208
; %bb.2201:
	s_wait_loadcnt_dscnt 0x0
	flat_load_u8 v9, v[22:23]
	s_mov_b32 s16, 0
	s_mov_b32 s15, exec_lo
	s_wait_loadcnt_dscnt 0x0
	v_lshlrev_b32_e32 v9, 24, v9
	s_delay_alu instid0(VALU_DEP_1) | instskip(NEXT) | instid1(VALU_DEP_1)
	v_and_b32_e32 v11, 0x7f000000, v9
	v_clz_i32_u32_e32 v13, v11
	v_add_nc_u32_e32 v19, 0x1000000, v11
	v_cmp_ne_u32_e64 s0, 0, v11
	s_delay_alu instid0(VALU_DEP_3) | instskip(NEXT) | instid1(VALU_DEP_1)
	v_min_u32_e32 v13, 32, v13
	v_sub_nc_u32_e64 v13, v13, 4 clamp
	s_delay_alu instid0(VALU_DEP_1) | instskip(NEXT) | instid1(VALU_DEP_1)
	v_dual_lshlrev_b32 v15, v13, v11 :: v_dual_lshlrev_b32 v13, 23, v13
	v_lshrrev_b32_e32 v15, 4, v15
	s_delay_alu instid0(VALU_DEP_1) | instskip(NEXT) | instid1(VALU_DEP_1)
	v_dual_sub_nc_u32 v13, v15, v13 :: v_dual_ashrrev_i32 v15, 8, v19
	v_add_nc_u32_e32 v13, 0x3c000000, v13
	s_delay_alu instid0(VALU_DEP_1) | instskip(NEXT) | instid1(VALU_DEP_1)
	v_and_or_b32 v13, 0x7f800000, v15, v13
	v_cndmask_b32_e64 v15, 0, v13, s0
	s_delay_alu instid0(VALU_DEP_1) | instskip(SKIP_1) | instid1(VALU_DEP_2)
	v_and_or_b32 v11, 0x80000000, v9, v15
	v_mov_b32_e32 v9, 0x80
	v_and_b32_e32 v13, 0x7fffffff, v11
	s_wait_xcnt 0x0
	s_delay_alu instid0(VALU_DEP_1)
	v_cmpx_gt_u32_e32 0x43800000, v13
	s_cbranch_execz .LBB297_2207
; %bb.2202:
	v_cmp_lt_u32_e64 s0, 0x3bffffff, v13
                                        ; implicit-def: $vgpr13
	s_and_saveexec_b32 s17, s0
	s_delay_alu instid0(SALU_CYCLE_1)
	s_xor_b32 s0, exec_lo, s17
	s_cbranch_execz .LBB297_2644
; %bb.2203:
	v_bfe_u32 v9, v15, 20, 1
	s_mov_b32 s16, exec_lo
	s_delay_alu instid0(VALU_DEP_1) | instskip(NEXT) | instid1(VALU_DEP_1)
	v_add3_u32 v9, v11, v9, 0x487ffff
	v_lshrrev_b32_e32 v13, 20, v9
	s_and_not1_saveexec_b32 s17, s0
	s_cbranch_execnz .LBB297_2645
.LBB297_2204:
	s_or_b32 exec_lo, exec_lo, s17
	v_mov_b32_e32 v9, 0
	s_and_saveexec_b32 s0, s16
.LBB297_2205:
	v_lshrrev_b32_e32 v9, 24, v11
	s_delay_alu instid0(VALU_DEP_1)
	v_and_or_b32 v9, 0x80, v9, v13
.LBB297_2206:
	s_or_b32 exec_lo, exec_lo, s0
.LBB297_2207:
	s_delay_alu instid0(SALU_CYCLE_1)
	s_or_b32 exec_lo, exec_lo, s15
.LBB297_2208:
	s_delay_alu instid0(SALU_CYCLE_1)
	s_or_b32 exec_lo, exec_lo, s14
.LBB297_2209:
	s_and_not1_saveexec_b32 s13, s13
	s_cbranch_execz .LBB297_2217
; %bb.2210:
	s_wait_loadcnt_dscnt 0x0
	flat_load_u8 v9, v[22:23]
	s_mov_b32 s14, exec_lo
	s_wait_loadcnt_dscnt 0x0
	v_lshlrev_b32_e32 v11, 25, v9
	v_lshlrev_b16 v9, 8, v9
	s_delay_alu instid0(VALU_DEP_1) | instskip(SKIP_1) | instid1(VALU_DEP_2)
	v_and_or_b32 v15, 0x7f00, v9, 0.5
	v_bfe_i32 v9, v9, 0, 16
	v_add_f32_e32 v15, -0.5, v15
	v_lshrrev_b32_e32 v13, 4, v11
	v_cmp_gt_u32_e64 s0, 0x8000000, v11
	s_delay_alu instid0(VALU_DEP_2) | instskip(NEXT) | instid1(VALU_DEP_1)
	v_or_b32_e32 v13, 0x70000000, v13
	v_mul_f32_e32 v13, 0x7800000, v13
	s_delay_alu instid0(VALU_DEP_1) | instskip(NEXT) | instid1(VALU_DEP_1)
	v_cndmask_b32_e64 v15, v13, v15, s0
	v_and_or_b32 v11, 0x80000000, v9, v15
	v_mov_b32_e32 v9, 0x80
	s_delay_alu instid0(VALU_DEP_2) | instskip(SKIP_1) | instid1(VALU_DEP_1)
	v_and_b32_e32 v13, 0x7fffffff, v11
	s_wait_xcnt 0x0
	v_cmpx_gt_u32_e32 0x43800000, v13
	s_cbranch_execz .LBB297_2216
; %bb.2211:
	v_cmp_lt_u32_e64 s0, 0x3bffffff, v13
	s_mov_b32 s15, 0
                                        ; implicit-def: $vgpr13
	s_and_saveexec_b32 s16, s0
	s_delay_alu instid0(SALU_CYCLE_1)
	s_xor_b32 s0, exec_lo, s16
	s_cbranch_execz .LBB297_2555
; %bb.2212:
	v_bfe_u32 v9, v15, 20, 1
	s_mov_b32 s15, exec_lo
	s_delay_alu instid0(VALU_DEP_1) | instskip(NEXT) | instid1(VALU_DEP_1)
	v_add3_u32 v9, v11, v9, 0x487ffff
	v_lshrrev_b32_e32 v13, 20, v9
	s_and_not1_saveexec_b32 s16, s0
	s_cbranch_execnz .LBB297_2556
.LBB297_2213:
	s_or_b32 exec_lo, exec_lo, s16
	v_mov_b32_e32 v9, 0
	s_and_saveexec_b32 s0, s15
.LBB297_2214:
	v_lshrrev_b32_e32 v9, 24, v11
	s_delay_alu instid0(VALU_DEP_1)
	v_and_or_b32 v9, 0x80, v9, v13
.LBB297_2215:
	s_or_b32 exec_lo, exec_lo, s0
.LBB297_2216:
	s_delay_alu instid0(SALU_CYCLE_1)
	s_or_b32 exec_lo, exec_lo, s14
.LBB297_2217:
	s_delay_alu instid0(SALU_CYCLE_1) | instskip(NEXT) | instid1(SALU_CYCLE_1)
	s_or_b32 exec_lo, exec_lo, s13
	s_or_b32 s13, s10, exec_lo
.LBB297_2218:
	s_or_saveexec_b32 s7, s7
	s_mov_b32 s0, 0
	s_mov_b32 s14, s12
	s_xor_b32 exec_lo, exec_lo, s7
	s_cbranch_execz .LBB297_2232
; %bb.2219:
	s_mov_b32 s15, s12
	s_mov_b32 s16, s13
	s_mov_b32 s14, exec_lo
                                        ; implicit-def: $vgpr9
	v_cmpx_lt_i16_e32 14, v7
	s_xor_b32 s14, exec_lo, s14
	s_cbranch_execz .LBB297_2229
; %bb.2220:
	s_mov_b32 s16, -1
	s_mov_b32 s17, s13
	s_mov_b32 s15, exec_lo
                                        ; implicit-def: $vgpr9
	v_cmpx_eq_u16_e32 15, v7
	s_cbranch_execz .LBB297_2228
; %bb.2221:
	s_wait_dscnt 0x0
	flat_load_u16 v11, v[22:23]
	s_wait_loadcnt 0x1
	v_mov_b32_e32 v9, 0x80
	s_mov_b32 s16, exec_lo
	s_wait_loadcnt_dscnt 0x0
	v_lshlrev_b32_e32 v15, 16, v11
	s_delay_alu instid0(VALU_DEP_1) | instskip(SKIP_1) | instid1(VALU_DEP_1)
	v_and_b32_e32 v13, 0x7fffffff, v15
	s_wait_xcnt 0x0
	v_cmpx_gt_u32_e32 0x43800000, v13
	s_cbranch_execz .LBB297_2227
; %bb.2222:
	v_cmp_lt_u32_e64 s0, 0x3bffffff, v13
	s_mov_b32 s17, 0
                                        ; implicit-def: $vgpr13
	s_and_saveexec_b32 s18, s0
	s_delay_alu instid0(SALU_CYCLE_1)
	s_xor_b32 s0, exec_lo, s18
	s_cbranch_execz .LBB297_2646
; %bb.2223:
	v_bfe_u32 v9, v11, 4, 1
	s_mov_b32 s17, exec_lo
	s_delay_alu instid0(VALU_DEP_1) | instskip(NEXT) | instid1(VALU_DEP_1)
	v_add3_u32 v9, v15, v9, 0x487ffff
                                        ; implicit-def: $vgpr15
	v_lshrrev_b32_e32 v13, 20, v9
	s_and_not1_saveexec_b32 s18, s0
	s_cbranch_execnz .LBB297_2647
.LBB297_2224:
	s_or_b32 exec_lo, exec_lo, s18
	v_mov_b32_e32 v9, 0
	s_and_saveexec_b32 s0, s17
.LBB297_2225:
	v_lshrrev_b32_e32 v9, 8, v11
	s_delay_alu instid0(VALU_DEP_1)
	v_and_or_b32 v9, 0x80, v9, v13
.LBB297_2226:
	s_or_b32 exec_lo, exec_lo, s0
.LBB297_2227:
	s_delay_alu instid0(SALU_CYCLE_1) | instskip(NEXT) | instid1(SALU_CYCLE_1)
	s_or_b32 exec_lo, exec_lo, s16
	s_or_b32 s17, s13, exec_lo
	s_xor_b32 s16, exec_lo, -1
.LBB297_2228:
	s_or_b32 exec_lo, exec_lo, s15
	s_delay_alu instid0(SALU_CYCLE_1)
	s_and_not1_b32 s0, s13, exec_lo
	s_and_b32 s15, s17, exec_lo
	s_and_not1_b32 s17, s12, exec_lo
	s_and_b32 s18, s16, exec_lo
	s_or_b32 s16, s0, s15
	s_or_b32 s15, s17, s18
.LBB297_2229:
	s_or_saveexec_b32 s17, s14
	s_mov_b32 s14, 0
	s_xor_b32 exec_lo, exec_lo, s17
; %bb.2230:
	v_cmp_ne_u16_e64 s0, 11, v7
	s_and_not1_b32 s15, s15, exec_lo
	s_mov_b32 s14, exec_lo
	s_and_b32 s0, s0, exec_lo
	s_delay_alu instid0(SALU_CYCLE_1)
	s_or_b32 s15, s15, s0
; %bb.2231:
	s_or_b32 exec_lo, exec_lo, s17
	s_delay_alu instid0(SALU_CYCLE_1)
	s_and_not1_b32 s0, s13, exec_lo
	s_and_b32 s13, s16, exec_lo
	s_and_not1_b32 s16, s12, exec_lo
	s_and_b32 s15, s15, exec_lo
	s_or_b32 s13, s0, s13
	s_and_b32 s0, s14, exec_lo
	s_or_b32 s14, s16, s15
.LBB297_2232:
	s_or_b32 exec_lo, exec_lo, s7
	s_delay_alu instid0(SALU_CYCLE_1)
	s_and_not1_b32 s7, s10, exec_lo
	s_and_b32 s10, s13, exec_lo
	s_and_not1_b32 s12, s12, exec_lo
	s_and_b32 s13, s14, exec_lo
	s_or_b32 s10, s7, s10
	s_and_b32 s7, s0, exec_lo
	s_or_b32 s12, s12, s13
	s_or_b32 exec_lo, exec_lo, s11
	s_mov_b32 s11, s5
	s_and_saveexec_b32 s0, s12
	s_cbranch_execz .LBB297_635
.LBB297_2233:
	s_or_b32 s11, s5, exec_lo
	s_and_not1_b32 s7, s7, exec_lo
	s_trap 2
	s_or_b32 exec_lo, exec_lo, s0
	s_and_saveexec_b32 s0, s7
	s_delay_alu instid0(SALU_CYCLE_1)
	s_xor_b32 s7, exec_lo, s0
	s_cbranch_execnz .LBB297_636
	s_branch .LBB297_643
.LBB297_2234:
	s_and_not1_saveexec_b32 s10, s10
	s_cbranch_execz .LBB297_433
.LBB297_2235:
	v_add_f32_e32 v13, 0x46000000, v19
	s_and_not1_b32 s9, s9, exec_lo
	s_delay_alu instid0(VALU_DEP_1) | instskip(NEXT) | instid1(VALU_DEP_1)
	v_and_b32_e32 v15, 0xff, v13
	v_cmp_ne_u32_e32 vcc_lo, 0, v15
	s_and_b32 s11, vcc_lo, exec_lo
	s_delay_alu instid0(SALU_CYCLE_1)
	s_or_b32 s9, s9, s11
	s_or_b32 exec_lo, exec_lo, s10
	v_mov_b32_e32 v13, 0
	s_and_saveexec_b32 s10, s9
	s_cbranch_execnz .LBB297_434
	s_branch .LBB297_435
.LBB297_2236:
	s_and_not1_saveexec_b32 s13, s13
	s_cbranch_execz .LBB297_812
.LBB297_2237:
	s_mov_b32 s15, s12
	s_mov_b32 s10, exec_lo
                                        ; implicit-def: $vgpr11
	v_cmpx_lt_i16_e32 22, v5
	s_xor_b32 s10, exec_lo, s10
	s_cbranch_execz .LBB297_2271
; %bb.2238:
	s_mov_b32 s15, exec_lo
                                        ; implicit-def: $vgpr11
	v_cmpx_lt_i16_e32 23, v5
	s_xor_b32 s15, exec_lo, s15
	s_cbranch_execz .LBB297_2262
; %bb.2239:
	;; [unrolled: 6-line block ×3, first 2 shown]
	s_wait_loadcnt_dscnt 0x0
	flat_load_u8 v11, v[22:23]
	s_mov_b32 s17, 0
	s_mov_b32 s18, exec_lo
	s_wait_loadcnt_dscnt 0x0
	v_cmpx_lt_i16_e32 0x7f, v11
	s_xor_b32 s18, exec_lo, s18
	s_cbranch_execz .LBB297_2648
; %bb.2241:
	s_mov_b32 s17, -1
	s_mov_b32 s19, exec_lo
	v_cmpx_eq_u16_e32 0x80, v11
; %bb.2242:
	s_xor_b32 s17, exec_lo, -1
; %bb.2243:
	s_or_b32 exec_lo, exec_lo, s19
	s_delay_alu instid0(SALU_CYCLE_1)
	s_and_b32 s17, s17, exec_lo
	s_or_saveexec_b32 s18, s18
	v_mov_b32_e32 v13, 0x7f800001
	s_xor_b32 exec_lo, exec_lo, s18
	s_cbranch_execnz .LBB297_2649
.LBB297_2244:
	s_or_b32 exec_lo, exec_lo, s18
	s_and_saveexec_b32 s18, s17
	s_cbranch_execz .LBB297_2246
.LBB297_2245:
	v_and_b32_e32 v13, 0xffff, v11
	s_delay_alu instid0(VALU_DEP_1) | instskip(SKIP_1) | instid1(VALU_DEP_2)
	v_and_b32_e32 v15, 3, v13
	v_bfe_u32 v24, v13, 2, 5
	v_clz_i32_u32_e32 v19, v15
	s_delay_alu instid0(VALU_DEP_2) | instskip(NEXT) | instid1(VALU_DEP_2)
	v_cmp_eq_u32_e64 s0, 0, v24
	v_min_u32_e32 v19, 32, v19
	s_delay_alu instid0(VALU_DEP_1) | instskip(NEXT) | instid1(VALU_DEP_1)
	v_subrev_nc_u32_e32 v21, 29, v19
	v_dual_lshlrev_b32 v13, v21, v13 :: v_dual_sub_nc_u32 v19, 30, v19
	s_delay_alu instid0(VALU_DEP_1) | instskip(NEXT) | instid1(VALU_DEP_1)
	v_dual_lshlrev_b32 v11, 24, v11 :: v_dual_bitop2_b32 v13, 3, v13 bitop3:0x40
	v_dual_cndmask_b32 v13, v15, v13, s0 :: v_dual_cndmask_b32 v19, v24, v19, s0
	s_delay_alu instid0(VALU_DEP_2) | instskip(NEXT) | instid1(VALU_DEP_2)
	v_and_b32_e32 v11, 0x80000000, v11
	v_lshlrev_b32_e32 v13, 21, v13
	s_delay_alu instid0(VALU_DEP_3) | instskip(NEXT) | instid1(VALU_DEP_1)
	v_lshl_add_u32 v15, v19, 23, 0x37800000
	v_or3_b32 v13, v11, v15, v13
.LBB297_2246:
	s_or_b32 exec_lo, exec_lo, s18
	s_delay_alu instid0(VALU_DEP_1) | instskip(SKIP_2) | instid1(VALU_DEP_2)
	v_and_b32_e32 v15, 0x7fffffff, v13
	v_mov_b32_e32 v11, 0x80
	s_mov_b32 s17, exec_lo
	v_cmpx_gt_u32_e32 0x43800000, v15
	s_cbranch_execz .LBB297_2252
; %bb.2247:
	v_cmp_lt_u32_e64 s0, 0x3bffffff, v15
	s_mov_b32 s18, 0
                                        ; implicit-def: $vgpr15
	s_and_saveexec_b32 s19, s0
	s_delay_alu instid0(SALU_CYCLE_1)
	s_xor_b32 s0, exec_lo, s19
	s_cbranch_execz .LBB297_2737
; %bb.2248:
	v_bfe_u32 v11, v13, 20, 1
	s_mov_b32 s18, exec_lo
	s_delay_alu instid0(VALU_DEP_1) | instskip(NEXT) | instid1(VALU_DEP_1)
	v_add3_u32 v11, v13, v11, 0x487ffff
	v_lshrrev_b32_e32 v15, 20, v11
	s_and_not1_saveexec_b32 s19, s0
	s_cbranch_execnz .LBB297_2738
.LBB297_2249:
	s_or_b32 exec_lo, exec_lo, s19
	v_mov_b32_e32 v11, 0
	s_and_saveexec_b32 s0, s18
.LBB297_2250:
	v_lshrrev_b32_e32 v11, 24, v13
	s_delay_alu instid0(VALU_DEP_1)
	v_and_or_b32 v11, 0x80, v11, v15
.LBB297_2251:
	s_or_b32 exec_lo, exec_lo, s0
.LBB297_2252:
	s_delay_alu instid0(SALU_CYCLE_1)
	s_or_b32 exec_lo, exec_lo, s17
.LBB297_2253:
	s_and_not1_saveexec_b32 s16, s16
	s_cbranch_execz .LBB297_2261
; %bb.2254:
	s_wait_loadcnt_dscnt 0x0
	flat_load_u8 v11, v[22:23]
	s_mov_b32 s18, 0
	s_mov_b32 s17, exec_lo
	s_wait_loadcnt_dscnt 0x0
	v_lshlrev_b32_e32 v11, 24, v11
	s_delay_alu instid0(VALU_DEP_1) | instskip(NEXT) | instid1(VALU_DEP_1)
	v_and_b32_e32 v13, 0x7f000000, v11
	v_clz_i32_u32_e32 v15, v13
	v_add_nc_u32_e32 v21, 0x1000000, v13
	v_cmp_ne_u32_e64 s0, 0, v13
	s_delay_alu instid0(VALU_DEP_3) | instskip(NEXT) | instid1(VALU_DEP_1)
	v_min_u32_e32 v15, 32, v15
	v_sub_nc_u32_e64 v15, v15, 4 clamp
	s_delay_alu instid0(VALU_DEP_1) | instskip(NEXT) | instid1(VALU_DEP_1)
	v_dual_lshlrev_b32 v19, v15, v13 :: v_dual_lshlrev_b32 v15, 23, v15
	v_lshrrev_b32_e32 v19, 4, v19
	s_delay_alu instid0(VALU_DEP_1) | instskip(NEXT) | instid1(VALU_DEP_1)
	v_dual_sub_nc_u32 v15, v19, v15 :: v_dual_ashrrev_i32 v19, 8, v21
	v_add_nc_u32_e32 v15, 0x3c000000, v15
	s_delay_alu instid0(VALU_DEP_1) | instskip(NEXT) | instid1(VALU_DEP_1)
	v_and_or_b32 v15, 0x7f800000, v19, v15
	v_cndmask_b32_e64 v19, 0, v15, s0
	s_delay_alu instid0(VALU_DEP_1) | instskip(SKIP_1) | instid1(VALU_DEP_2)
	v_and_or_b32 v13, 0x80000000, v11, v19
	v_mov_b32_e32 v11, 0x80
	v_and_b32_e32 v15, 0x7fffffff, v13
	s_wait_xcnt 0x0
	s_delay_alu instid0(VALU_DEP_1)
	v_cmpx_gt_u32_e32 0x43800000, v15
	s_cbranch_execz .LBB297_2260
; %bb.2255:
	v_cmp_lt_u32_e64 s0, 0x3bffffff, v15
                                        ; implicit-def: $vgpr15
	s_and_saveexec_b32 s19, s0
	s_delay_alu instid0(SALU_CYCLE_1)
	s_xor_b32 s0, exec_lo, s19
	s_cbranch_execz .LBB297_2739
; %bb.2256:
	v_bfe_u32 v11, v19, 20, 1
	s_mov_b32 s18, exec_lo
	s_delay_alu instid0(VALU_DEP_1) | instskip(NEXT) | instid1(VALU_DEP_1)
	v_add3_u32 v11, v13, v11, 0x487ffff
	v_lshrrev_b32_e32 v15, 20, v11
	s_and_not1_saveexec_b32 s19, s0
	s_cbranch_execnz .LBB297_2740
.LBB297_2257:
	s_or_b32 exec_lo, exec_lo, s19
	v_mov_b32_e32 v11, 0
	s_and_saveexec_b32 s0, s18
.LBB297_2258:
	v_lshrrev_b32_e32 v11, 24, v13
	s_delay_alu instid0(VALU_DEP_1)
	v_and_or_b32 v11, 0x80, v11, v15
.LBB297_2259:
	s_or_b32 exec_lo, exec_lo, s0
.LBB297_2260:
	s_delay_alu instid0(SALU_CYCLE_1)
	s_or_b32 exec_lo, exec_lo, s17
.LBB297_2261:
	s_delay_alu instid0(SALU_CYCLE_1)
	s_or_b32 exec_lo, exec_lo, s16
.LBB297_2262:
	s_and_not1_saveexec_b32 s15, s15
	s_cbranch_execz .LBB297_2270
; %bb.2263:
	s_wait_loadcnt_dscnt 0x0
	flat_load_u8 v11, v[22:23]
	s_mov_b32 s16, exec_lo
	s_wait_loadcnt_dscnt 0x0
	v_lshlrev_b32_e32 v13, 25, v11
	v_lshlrev_b16 v11, 8, v11
	s_delay_alu instid0(VALU_DEP_2) | instskip(NEXT) | instid1(VALU_DEP_2)
	v_cmp_gt_u32_e64 s0, 0x8000000, v13
	v_and_or_b32 v19, 0x7f00, v11, 0.5
	v_lshrrev_b32_e32 v15, 4, v13
	v_bfe_i32 v11, v11, 0, 16
	s_delay_alu instid0(VALU_DEP_3) | instskip(NEXT) | instid1(VALU_DEP_3)
	v_add_f32_e32 v19, -0.5, v19
	v_or_b32_e32 v15, 0x70000000, v15
	s_delay_alu instid0(VALU_DEP_1) | instskip(NEXT) | instid1(VALU_DEP_1)
	v_mul_f32_e32 v15, 0x7800000, v15
	v_cndmask_b32_e64 v19, v15, v19, s0
	s_delay_alu instid0(VALU_DEP_1) | instskip(SKIP_1) | instid1(VALU_DEP_2)
	v_and_or_b32 v13, 0x80000000, v11, v19
	v_mov_b32_e32 v11, 0x80
	v_and_b32_e32 v15, 0x7fffffff, v13
	s_wait_xcnt 0x0
	s_delay_alu instid0(VALU_DEP_1)
	v_cmpx_gt_u32_e32 0x43800000, v15
	s_cbranch_execz .LBB297_2269
; %bb.2264:
	v_cmp_lt_u32_e64 s0, 0x3bffffff, v15
	s_mov_b32 s17, 0
                                        ; implicit-def: $vgpr15
	s_and_saveexec_b32 s18, s0
	s_delay_alu instid0(SALU_CYCLE_1)
	s_xor_b32 s0, exec_lo, s18
	s_cbranch_execz .LBB297_2650
; %bb.2265:
	v_bfe_u32 v11, v19, 20, 1
	s_mov_b32 s17, exec_lo
	s_delay_alu instid0(VALU_DEP_1) | instskip(NEXT) | instid1(VALU_DEP_1)
	v_add3_u32 v11, v13, v11, 0x487ffff
	v_lshrrev_b32_e32 v15, 20, v11
	s_and_not1_saveexec_b32 s18, s0
	s_cbranch_execnz .LBB297_2651
.LBB297_2266:
	s_or_b32 exec_lo, exec_lo, s18
	v_mov_b32_e32 v11, 0
	s_and_saveexec_b32 s0, s17
.LBB297_2267:
	v_lshrrev_b32_e32 v11, 24, v13
	s_delay_alu instid0(VALU_DEP_1)
	v_and_or_b32 v11, 0x80, v11, v15
.LBB297_2268:
	s_or_b32 exec_lo, exec_lo, s0
.LBB297_2269:
	s_delay_alu instid0(SALU_CYCLE_1)
	s_or_b32 exec_lo, exec_lo, s16
.LBB297_2270:
	s_delay_alu instid0(SALU_CYCLE_1) | instskip(NEXT) | instid1(SALU_CYCLE_1)
	s_or_b32 exec_lo, exec_lo, s15
	s_or_b32 s15, s12, exec_lo
.LBB297_2271:
	s_or_saveexec_b32 s10, s10
	s_mov_b32 s0, 0
	s_mov_b32 s16, s14
	s_xor_b32 exec_lo, exec_lo, s10
	s_cbranch_execz .LBB297_2285
; %bb.2272:
	s_mov_b32 s17, s14
	s_mov_b32 s18, s15
	s_mov_b32 s16, exec_lo
                                        ; implicit-def: $vgpr11
	v_cmpx_lt_i16_e32 14, v5
	s_xor_b32 s16, exec_lo, s16
	s_cbranch_execz .LBB297_2282
; %bb.2273:
	s_mov_b32 s18, -1
	s_mov_b32 s19, s15
	s_mov_b32 s17, exec_lo
                                        ; implicit-def: $vgpr11
	v_cmpx_eq_u16_e32 15, v5
	s_cbranch_execz .LBB297_2281
; %bb.2274:
	s_wait_loadcnt_dscnt 0x0
	flat_load_u16 v13, v[22:23]
	v_mov_b32_e32 v11, 0x80
	s_mov_b32 s18, exec_lo
	s_wait_loadcnt_dscnt 0x0
	v_lshlrev_b32_e32 v19, 16, v13
	s_delay_alu instid0(VALU_DEP_1) | instskip(SKIP_1) | instid1(VALU_DEP_1)
	v_and_b32_e32 v15, 0x7fffffff, v19
	s_wait_xcnt 0x0
	v_cmpx_gt_u32_e32 0x43800000, v15
	s_cbranch_execz .LBB297_2280
; %bb.2275:
	v_cmp_lt_u32_e64 s0, 0x3bffffff, v15
	s_mov_b32 s19, 0
                                        ; implicit-def: $vgpr15
	s_and_saveexec_b32 s20, s0
	s_delay_alu instid0(SALU_CYCLE_1)
	s_xor_b32 s0, exec_lo, s20
	s_cbranch_execz .LBB297_2741
; %bb.2276:
	v_bfe_u32 v11, v13, 4, 1
	s_mov_b32 s19, exec_lo
	s_delay_alu instid0(VALU_DEP_1) | instskip(NEXT) | instid1(VALU_DEP_1)
	v_add3_u32 v11, v19, v11, 0x487ffff
                                        ; implicit-def: $vgpr19
	v_lshrrev_b32_e32 v15, 20, v11
	s_and_not1_saveexec_b32 s20, s0
	s_cbranch_execnz .LBB297_2742
.LBB297_2277:
	s_or_b32 exec_lo, exec_lo, s20
	v_mov_b32_e32 v11, 0
	s_and_saveexec_b32 s0, s19
.LBB297_2278:
	v_lshrrev_b32_e32 v11, 8, v13
	s_delay_alu instid0(VALU_DEP_1)
	v_and_or_b32 v11, 0x80, v11, v15
.LBB297_2279:
	s_or_b32 exec_lo, exec_lo, s0
.LBB297_2280:
	s_delay_alu instid0(SALU_CYCLE_1) | instskip(NEXT) | instid1(SALU_CYCLE_1)
	s_or_b32 exec_lo, exec_lo, s18
	s_or_b32 s19, s15, exec_lo
	s_xor_b32 s18, exec_lo, -1
.LBB297_2281:
	s_or_b32 exec_lo, exec_lo, s17
	s_delay_alu instid0(SALU_CYCLE_1)
	s_and_not1_b32 s0, s15, exec_lo
	s_and_b32 s17, s19, exec_lo
	s_and_not1_b32 s19, s14, exec_lo
	s_and_b32 s20, s18, exec_lo
	s_or_b32 s18, s0, s17
	s_or_b32 s17, s19, s20
.LBB297_2282:
	s_or_saveexec_b32 s19, s16
	s_mov_b32 s16, 0
	s_xor_b32 exec_lo, exec_lo, s19
; %bb.2283:
	v_cmp_ne_u16_e64 s0, 11, v5
	s_and_not1_b32 s17, s17, exec_lo
	s_mov_b32 s16, exec_lo
	s_and_b32 s0, s0, exec_lo
	s_delay_alu instid0(SALU_CYCLE_1)
	s_or_b32 s17, s17, s0
; %bb.2284:
	s_or_b32 exec_lo, exec_lo, s19
	s_delay_alu instid0(SALU_CYCLE_1)
	s_and_not1_b32 s0, s15, exec_lo
	s_and_b32 s15, s18, exec_lo
	s_and_not1_b32 s18, s14, exec_lo
	s_and_b32 s17, s17, exec_lo
	s_or_b32 s15, s0, s15
	s_and_b32 s0, s16, exec_lo
	s_or_b32 s16, s18, s17
.LBB297_2285:
	s_or_b32 exec_lo, exec_lo, s10
	s_delay_alu instid0(SALU_CYCLE_1)
	s_and_not1_b32 s10, s12, exec_lo
	s_and_b32 s12, s15, exec_lo
	s_and_not1_b32 s14, s14, exec_lo
	s_and_b32 s15, s16, exec_lo
	s_or_b32 s12, s10, s12
	s_and_b32 s10, s0, exec_lo
	s_or_b32 s14, s14, s15
	s_or_b32 exec_lo, exec_lo, s13
	s_mov_b32 s13, s7
	s_and_saveexec_b32 s0, s14
	s_cbranch_execz .LBB297_813
.LBB297_2286:
	s_or_b32 s13, s7, exec_lo
	s_and_not1_b32 s10, s10, exec_lo
	s_trap 2
	s_or_b32 exec_lo, exec_lo, s0
	s_and_saveexec_b32 s0, s10
	s_delay_alu instid0(SALU_CYCLE_1)
	s_xor_b32 s10, exec_lo, s0
	s_cbranch_execnz .LBB297_814
	s_branch .LBB297_821
.LBB297_2287:
	s_mov_b32 s0, exec_lo
	s_trap 2
	s_branch .LBB297_138
.LBB297_2288:
	s_and_not1_saveexec_b32 s10, s10
	s_cbranch_execz .LBB297_285
.LBB297_2289:
	v_add_f32_e64 v11, 0x46000000, |v5|
	s_and_not1_b32 s9, s9, exec_lo
	s_delay_alu instid0(VALU_DEP_1) | instskip(NEXT) | instid1(VALU_DEP_1)
	v_and_b32_e32 v13, 0xff, v11
	v_cmp_ne_u32_e32 vcc_lo, 0, v13
	s_and_b32 s11, vcc_lo, exec_lo
	s_delay_alu instid0(SALU_CYCLE_1)
	s_or_b32 s9, s9, s11
	s_or_b32 exec_lo, exec_lo, s10
	v_mov_b32_e32 v11, 0
	s_and_saveexec_b32 s10, s9
	s_cbranch_execnz .LBB297_286
	s_branch .LBB297_287
.LBB297_2290:
	s_and_not1_saveexec_b32 s10, s10
	s_cbranch_execz .LBB297_313
.LBB297_2291:
	v_add_f32_e64 v11, 0x46000000, |v5|
	s_and_not1_b32 s9, s9, exec_lo
	s_delay_alu instid0(VALU_DEP_1) | instskip(NEXT) | instid1(VALU_DEP_1)
	v_and_b32_e32 v13, 0xff, v11
	v_cmp_ne_u32_e32 vcc_lo, 0, v13
	s_and_b32 s11, vcc_lo, exec_lo
	s_delay_alu instid0(SALU_CYCLE_1)
	s_or_b32 s9, s9, s11
	s_or_b32 exec_lo, exec_lo, s10
	v_mov_b32_e32 v11, 0
	s_and_saveexec_b32 s10, s9
	s_cbranch_execnz .LBB297_314
	s_branch .LBB297_315
.LBB297_2292:
	s_and_not1_saveexec_b32 s10, s10
	s_cbranch_execz .LBB297_343
.LBB297_2293:
	v_add_f32_e64 v11, 0x46000000, |v5|
	s_and_not1_b32 s9, s9, exec_lo
	s_delay_alu instid0(VALU_DEP_1) | instskip(NEXT) | instid1(VALU_DEP_1)
	v_and_b32_e32 v13, 0xff, v11
	v_cmp_ne_u32_e32 vcc_lo, 0, v13
	s_and_b32 s11, vcc_lo, exec_lo
	s_delay_alu instid0(SALU_CYCLE_1)
	s_or_b32 s9, s9, s11
	s_or_b32 exec_lo, exec_lo, s10
	v_mov_b32_e32 v11, 0
	s_and_saveexec_b32 s10, s9
	s_cbranch_execnz .LBB297_344
	s_branch .LBB297_345
.LBB297_2294:
	s_and_not1_saveexec_b32 s10, s10
	s_cbranch_execz .LBB297_353
.LBB297_2295:
	v_add_f32_e64 v11, 0x46000000, |v5|
	s_and_not1_b32 s9, s9, exec_lo
	s_delay_alu instid0(VALU_DEP_1) | instskip(NEXT) | instid1(VALU_DEP_1)
	v_and_b32_e32 v13, 0xff, v11
	v_cmp_ne_u32_e32 vcc_lo, 0, v13
	s_and_b32 s11, vcc_lo, exec_lo
	s_delay_alu instid0(SALU_CYCLE_1)
	s_or_b32 s9, s9, s11
	s_or_b32 exec_lo, exec_lo, s10
	v_mov_b32_e32 v11, 0
	s_and_saveexec_b32 s10, s9
	s_cbranch_execnz .LBB297_354
	s_branch .LBB297_355
.LBB297_2296:
	s_and_not1_saveexec_b32 s10, s10
	s_cbranch_execz .LBB297_361
.LBB297_2297:
	v_add_f32_e32 v5, 0x46000000, v13
	s_and_not1_b32 s9, s9, exec_lo
	s_delay_alu instid0(VALU_DEP_1) | instskip(NEXT) | instid1(VALU_DEP_1)
	v_and_b32_e32 v5, 0xff, v5
	v_cmp_ne_u32_e32 vcc_lo, 0, v5
	s_and_b32 s11, vcc_lo, exec_lo
	s_delay_alu instid0(SALU_CYCLE_1)
	s_or_b32 s9, s9, s11
	s_or_b32 exec_lo, exec_lo, s10
	v_mov_b32_e32 v11, 0
	s_and_saveexec_b32 s10, s9
	s_cbranch_execnz .LBB297_362
	s_branch .LBB297_363
.LBB297_2298:
	s_and_not1_saveexec_b32 s14, s0
	s_cbranch_execz .LBB297_639
.LBB297_2299:
	v_add_f32_e32 v9, 0x46000000, v13
	s_and_not1_b32 s13, s13, exec_lo
	s_delay_alu instid0(VALU_DEP_1) | instskip(NEXT) | instid1(VALU_DEP_1)
	v_and_b32_e32 v11, 0xff, v9
	v_cmp_ne_u32_e64 s0, 0, v11
	s_and_b32 s0, s0, exec_lo
	s_delay_alu instid0(SALU_CYCLE_1)
	s_or_b32 s13, s13, s0
	s_or_b32 exec_lo, exec_lo, s14
	v_mov_b32_e32 v9, 0
	s_and_saveexec_b32 s0, s13
	s_cbranch_execnz .LBB297_640
	s_branch .LBB297_641
.LBB297_2300:
	s_or_saveexec_b32 s14, s14
	v_mov_b32_e32 v13, 0x7f800001
	s_xor_b32 exec_lo, exec_lo, s14
	s_cbranch_execz .LBB297_936
.LBB297_2301:
	v_cmp_ne_u16_e64 s0, 0, v15
	v_mov_b32_e32 v13, 0
	s_and_not1_b32 s13, s13, exec_lo
	s_and_b32 s0, s0, exec_lo
	s_delay_alu instid0(SALU_CYCLE_1)
	s_or_b32 s13, s13, s0
	s_or_b32 exec_lo, exec_lo, s14
	s_and_saveexec_b32 s14, s13
	s_cbranch_execnz .LBB297_937
	s_branch .LBB297_938
.LBB297_2302:
	s_or_saveexec_b32 s14, s14
	v_mov_b32_e32 v9, 0x7f800001
	s_xor_b32 exec_lo, exec_lo, s14
	s_cbranch_execz .LBB297_942
.LBB297_2303:
	v_cmp_ne_u16_e64 s0, 0, v15
	v_mov_b32_e32 v9, 0
	s_and_not1_b32 s13, s13, exec_lo
	s_and_b32 s0, s0, exec_lo
	s_delay_alu instid0(SALU_CYCLE_1)
	s_or_b32 s13, s13, s0
	s_or_b32 exec_lo, exec_lo, s14
	s_and_saveexec_b32 s14, s13
	s_cbranch_execnz .LBB297_943
	s_branch .LBB297_944
.LBB297_2304:
	s_or_saveexec_b32 s15, s15
	v_mov_b32_e32 v13, 0x7f800001
	s_xor_b32 exec_lo, exec_lo, s15
	s_cbranch_execz .LBB297_950
.LBB297_2305:
	v_cmp_ne_u16_e64 s0, 0, v15
	v_mov_b32_e32 v13, 0
	s_and_not1_b32 s14, s14, exec_lo
	s_and_b32 s0, s0, exec_lo
	s_delay_alu instid0(SALU_CYCLE_1)
	s_or_b32 s14, s14, s0
	s_or_b32 exec_lo, exec_lo, s15
	s_and_saveexec_b32 s15, s14
	s_cbranch_execnz .LBB297_951
	s_branch .LBB297_952
.LBB297_2306:
	s_or_saveexec_b32 s15, s15
	v_mov_b32_e32 v9, 0x7f800001
	s_xor_b32 exec_lo, exec_lo, s15
	s_cbranch_execz .LBB297_956
.LBB297_2307:
	v_cmp_ne_u16_e64 s0, 0, v15
	v_mov_b32_e32 v9, 0
	s_and_not1_b32 s14, s14, exec_lo
	s_and_b32 s0, s0, exec_lo
	s_delay_alu instid0(SALU_CYCLE_1)
	s_or_b32 s14, s14, s0
	s_or_b32 exec_lo, exec_lo, s15
	s_and_saveexec_b32 s15, s14
	s_cbranch_execnz .LBB297_957
	s_branch .LBB297_958
.LBB297_2308:
	s_and_not1_saveexec_b32 s16, s16
	s_cbranch_execz .LBB297_1018
.LBB297_2309:
	s_mov_b32 s18, s15
	s_mov_b32 s12, exec_lo
                                        ; implicit-def: $vgpr9
	v_cmpx_lt_i16_e32 22, v7
	s_xor_b32 s12, exec_lo, s12
	s_cbranch_execz .LBB297_2343
; %bb.2310:
	s_mov_b32 s18, exec_lo
                                        ; implicit-def: $vgpr9
	v_cmpx_lt_i16_e32 23, v7
	s_xor_b32 s18, exec_lo, s18
	s_cbranch_execz .LBB297_2334
; %bb.2311:
	;; [unrolled: 6-line block ×3, first 2 shown]
	s_wait_loadcnt_dscnt 0x0
	flat_load_u8 v9, v[20:21]
	s_mov_b32 s20, 0
	s_mov_b32 s21, exec_lo
	s_wait_loadcnt_dscnt 0x0
	v_cmpx_lt_i16_e32 0x7f, v9
	s_xor_b32 s21, exec_lo, s21
	s_cbranch_execz .LBB297_2743
; %bb.2313:
	s_mov_b32 s20, -1
	s_mov_b32 s22, exec_lo
	v_cmpx_eq_u16_e32 0x80, v9
; %bb.2314:
	s_xor_b32 s20, exec_lo, -1
; %bb.2315:
	s_or_b32 exec_lo, exec_lo, s22
	s_delay_alu instid0(SALU_CYCLE_1)
	s_and_b32 s20, s20, exec_lo
	s_or_saveexec_b32 s21, s21
	v_mov_b32_e32 v11, 0x7f800001
	s_xor_b32 exec_lo, exec_lo, s21
	s_cbranch_execnz .LBB297_2744
.LBB297_2316:
	s_or_b32 exec_lo, exec_lo, s21
	s_and_saveexec_b32 s21, s20
	s_cbranch_execz .LBB297_2318
.LBB297_2317:
	v_and_b32_e32 v11, 0xffff, v9
	s_delay_alu instid0(VALU_DEP_1) | instskip(SKIP_1) | instid1(VALU_DEP_2)
	v_dual_lshlrev_b32 v9, 24, v9 :: v_dual_bitop2_b32 v13, 3, v11 bitop3:0x40
	v_bfe_u32 v22, v11, 2, 5
	v_and_b32_e32 v9, 0x80000000, v9
	s_delay_alu instid0(VALU_DEP_3) | instskip(NEXT) | instid1(VALU_DEP_3)
	v_clz_i32_u32_e32 v15, v13
	v_cmp_eq_u32_e64 s0, 0, v22
	s_delay_alu instid0(VALU_DEP_2) | instskip(NEXT) | instid1(VALU_DEP_1)
	v_min_u32_e32 v15, 32, v15
	v_subrev_nc_u32_e32 v19, 29, v15
	v_sub_nc_u32_e32 v15, 30, v15
	s_delay_alu instid0(VALU_DEP_2) | instskip(NEXT) | instid1(VALU_DEP_2)
	v_lshlrev_b32_e32 v11, v19, v11
	v_cndmask_b32_e64 v15, v22, v15, s0
	s_delay_alu instid0(VALU_DEP_2) | instskip(NEXT) | instid1(VALU_DEP_1)
	v_and_b32_e32 v11, 3, v11
	v_cndmask_b32_e64 v11, v13, v11, s0
	s_delay_alu instid0(VALU_DEP_3) | instskip(NEXT) | instid1(VALU_DEP_2)
	v_lshl_add_u32 v13, v15, 23, 0x37800000
	v_lshlrev_b32_e32 v11, 21, v11
	s_delay_alu instid0(VALU_DEP_1)
	v_or3_b32 v11, v9, v13, v11
.LBB297_2318:
	s_or_b32 exec_lo, exec_lo, s21
	s_delay_alu instid0(VALU_DEP_1) | instskip(SKIP_2) | instid1(VALU_DEP_2)
	v_and_b32_e32 v13, 0x7fffffff, v11
	v_mov_b32_e32 v9, 0x80
	s_mov_b32 s20, exec_lo
	v_cmpx_gt_u32_e32 0x43800000, v13
	s_cbranch_execz .LBB297_2324
; %bb.2319:
	v_cmp_lt_u32_e64 s0, 0x3bffffff, v13
	s_mov_b32 s21, 0
                                        ; implicit-def: $vgpr13
	s_and_saveexec_b32 s22, s0
	s_delay_alu instid0(SALU_CYCLE_1)
	s_xor_b32 s0, exec_lo, s22
	s_cbranch_execz .LBB297_2824
; %bb.2320:
	v_bfe_u32 v9, v11, 20, 1
	s_mov_b32 s21, exec_lo
	s_delay_alu instid0(VALU_DEP_1) | instskip(NEXT) | instid1(VALU_DEP_1)
	v_add3_u32 v9, v11, v9, 0x487ffff
	v_lshrrev_b32_e32 v13, 20, v9
	s_and_not1_saveexec_b32 s22, s0
	s_cbranch_execnz .LBB297_2825
.LBB297_2321:
	s_or_b32 exec_lo, exec_lo, s22
	v_mov_b32_e32 v9, 0
	s_and_saveexec_b32 s0, s21
.LBB297_2322:
	v_lshrrev_b32_e32 v9, 24, v11
	s_delay_alu instid0(VALU_DEP_1)
	v_and_or_b32 v9, 0x80, v9, v13
.LBB297_2323:
	s_or_b32 exec_lo, exec_lo, s0
.LBB297_2324:
	s_delay_alu instid0(SALU_CYCLE_1)
	s_or_b32 exec_lo, exec_lo, s20
.LBB297_2325:
	s_and_not1_saveexec_b32 s19, s19
	s_cbranch_execz .LBB297_2333
; %bb.2326:
	s_wait_loadcnt_dscnt 0x0
	flat_load_u8 v9, v[20:21]
	s_mov_b32 s21, 0
	s_mov_b32 s20, exec_lo
	s_wait_loadcnt_dscnt 0x0
	v_lshlrev_b32_e32 v9, 24, v9
	s_delay_alu instid0(VALU_DEP_1) | instskip(NEXT) | instid1(VALU_DEP_1)
	v_and_b32_e32 v11, 0x7f000000, v9
	v_clz_i32_u32_e32 v13, v11
	v_add_nc_u32_e32 v19, 0x1000000, v11
	v_cmp_ne_u32_e64 s0, 0, v11
	s_delay_alu instid0(VALU_DEP_3) | instskip(NEXT) | instid1(VALU_DEP_1)
	v_min_u32_e32 v13, 32, v13
	v_sub_nc_u32_e64 v13, v13, 4 clamp
	s_delay_alu instid0(VALU_DEP_1) | instskip(NEXT) | instid1(VALU_DEP_1)
	v_dual_lshlrev_b32 v15, v13, v11 :: v_dual_lshlrev_b32 v13, 23, v13
	v_lshrrev_b32_e32 v15, 4, v15
	s_delay_alu instid0(VALU_DEP_1) | instskip(NEXT) | instid1(VALU_DEP_1)
	v_dual_sub_nc_u32 v13, v15, v13 :: v_dual_ashrrev_i32 v15, 8, v19
	v_add_nc_u32_e32 v13, 0x3c000000, v13
	s_delay_alu instid0(VALU_DEP_1) | instskip(NEXT) | instid1(VALU_DEP_1)
	v_and_or_b32 v13, 0x7f800000, v15, v13
	v_cndmask_b32_e64 v15, 0, v13, s0
	s_delay_alu instid0(VALU_DEP_1) | instskip(SKIP_1) | instid1(VALU_DEP_2)
	v_and_or_b32 v11, 0x80000000, v9, v15
	v_mov_b32_e32 v9, 0x80
	v_and_b32_e32 v13, 0x7fffffff, v11
	s_wait_xcnt 0x0
	s_delay_alu instid0(VALU_DEP_1)
	v_cmpx_gt_u32_e32 0x43800000, v13
	s_cbranch_execz .LBB297_2332
; %bb.2327:
	v_cmp_lt_u32_e64 s0, 0x3bffffff, v13
                                        ; implicit-def: $vgpr13
	s_and_saveexec_b32 s22, s0
	s_delay_alu instid0(SALU_CYCLE_1)
	s_xor_b32 s0, exec_lo, s22
	s_cbranch_execz .LBB297_2826
; %bb.2328:
	v_bfe_u32 v9, v15, 20, 1
	s_mov_b32 s21, exec_lo
	s_delay_alu instid0(VALU_DEP_1) | instskip(NEXT) | instid1(VALU_DEP_1)
	v_add3_u32 v9, v11, v9, 0x487ffff
	v_lshrrev_b32_e32 v13, 20, v9
	s_and_not1_saveexec_b32 s22, s0
	s_cbranch_execnz .LBB297_2827
.LBB297_2329:
	s_or_b32 exec_lo, exec_lo, s22
	v_mov_b32_e32 v9, 0
	s_and_saveexec_b32 s0, s21
.LBB297_2330:
	v_lshrrev_b32_e32 v9, 24, v11
	s_delay_alu instid0(VALU_DEP_1)
	v_and_or_b32 v9, 0x80, v9, v13
.LBB297_2331:
	s_or_b32 exec_lo, exec_lo, s0
.LBB297_2332:
	s_delay_alu instid0(SALU_CYCLE_1)
	s_or_b32 exec_lo, exec_lo, s20
.LBB297_2333:
	s_delay_alu instid0(SALU_CYCLE_1)
	s_or_b32 exec_lo, exec_lo, s19
.LBB297_2334:
	s_and_not1_saveexec_b32 s18, s18
	s_cbranch_execz .LBB297_2342
; %bb.2335:
	s_wait_loadcnt_dscnt 0x0
	flat_load_u8 v9, v[20:21]
	s_mov_b32 s19, exec_lo
	s_wait_loadcnt_dscnt 0x0
	v_lshlrev_b32_e32 v11, 25, v9
	v_lshlrev_b16 v9, 8, v9
	s_delay_alu instid0(VALU_DEP_1) | instskip(SKIP_1) | instid1(VALU_DEP_2)
	v_and_or_b32 v15, 0x7f00, v9, 0.5
	v_bfe_i32 v9, v9, 0, 16
	v_add_f32_e32 v15, -0.5, v15
	v_lshrrev_b32_e32 v13, 4, v11
	v_cmp_gt_u32_e64 s0, 0x8000000, v11
	s_delay_alu instid0(VALU_DEP_2) | instskip(NEXT) | instid1(VALU_DEP_1)
	v_or_b32_e32 v13, 0x70000000, v13
	v_mul_f32_e32 v13, 0x7800000, v13
	s_delay_alu instid0(VALU_DEP_1) | instskip(NEXT) | instid1(VALU_DEP_1)
	v_cndmask_b32_e64 v15, v13, v15, s0
	v_and_or_b32 v11, 0x80000000, v9, v15
	v_mov_b32_e32 v9, 0x80
	s_delay_alu instid0(VALU_DEP_2) | instskip(SKIP_1) | instid1(VALU_DEP_1)
	v_and_b32_e32 v13, 0x7fffffff, v11
	s_wait_xcnt 0x0
	v_cmpx_gt_u32_e32 0x43800000, v13
	s_cbranch_execz .LBB297_2341
; %bb.2336:
	v_cmp_lt_u32_e64 s0, 0x3bffffff, v13
	s_mov_b32 s20, 0
                                        ; implicit-def: $vgpr13
	s_and_saveexec_b32 s21, s0
	s_delay_alu instid0(SALU_CYCLE_1)
	s_xor_b32 s0, exec_lo, s21
	s_cbranch_execz .LBB297_2745
; %bb.2337:
	v_bfe_u32 v9, v15, 20, 1
	s_mov_b32 s20, exec_lo
	s_delay_alu instid0(VALU_DEP_1) | instskip(NEXT) | instid1(VALU_DEP_1)
	v_add3_u32 v9, v11, v9, 0x487ffff
	v_lshrrev_b32_e32 v13, 20, v9
	s_and_not1_saveexec_b32 s21, s0
	s_cbranch_execnz .LBB297_2746
.LBB297_2338:
	s_or_b32 exec_lo, exec_lo, s21
	v_mov_b32_e32 v9, 0
	s_and_saveexec_b32 s0, s20
.LBB297_2339:
	v_lshrrev_b32_e32 v9, 24, v11
	s_delay_alu instid0(VALU_DEP_1)
	v_and_or_b32 v9, 0x80, v9, v13
.LBB297_2340:
	s_or_b32 exec_lo, exec_lo, s0
.LBB297_2341:
	s_delay_alu instid0(SALU_CYCLE_1)
	s_or_b32 exec_lo, exec_lo, s19
.LBB297_2342:
	s_delay_alu instid0(SALU_CYCLE_1) | instskip(NEXT) | instid1(SALU_CYCLE_1)
	s_or_b32 exec_lo, exec_lo, s18
	s_or_b32 s18, s15, exec_lo
.LBB297_2343:
	s_or_saveexec_b32 s12, s12
	s_mov_b32 s0, 0
	s_mov_b32 s19, s17
	s_xor_b32 exec_lo, exec_lo, s12
	s_cbranch_execz .LBB297_2357
; %bb.2344:
	s_mov_b32 s20, s17
	s_mov_b32 s21, s18
	s_mov_b32 s19, exec_lo
                                        ; implicit-def: $vgpr9
	v_cmpx_lt_i16_e32 14, v7
	s_xor_b32 s19, exec_lo, s19
	s_cbranch_execz .LBB297_2354
; %bb.2345:
	s_mov_b32 s21, -1
	s_mov_b32 s22, s18
	s_mov_b32 s20, exec_lo
                                        ; implicit-def: $vgpr9
	v_cmpx_eq_u16_e32 15, v7
	s_cbranch_execz .LBB297_2353
; %bb.2346:
	s_wait_loadcnt_dscnt 0x0
	flat_load_u16 v11, v[20:21]
	v_mov_b32_e32 v9, 0x80
	s_mov_b32 s21, exec_lo
	s_wait_loadcnt_dscnt 0x0
	v_lshlrev_b32_e32 v15, 16, v11
	s_delay_alu instid0(VALU_DEP_1) | instskip(SKIP_1) | instid1(VALU_DEP_1)
	v_and_b32_e32 v13, 0x7fffffff, v15
	s_wait_xcnt 0x0
	v_cmpx_gt_u32_e32 0x43800000, v13
	s_cbranch_execz .LBB297_2352
; %bb.2347:
	v_cmp_lt_u32_e64 s0, 0x3bffffff, v13
	s_mov_b32 s22, 0
                                        ; implicit-def: $vgpr13
	s_and_saveexec_b32 s23, s0
	s_delay_alu instid0(SALU_CYCLE_1)
	s_xor_b32 s0, exec_lo, s23
	s_cbranch_execz .LBB297_2828
; %bb.2348:
	v_bfe_u32 v9, v11, 4, 1
	s_mov_b32 s22, exec_lo
	s_delay_alu instid0(VALU_DEP_1) | instskip(NEXT) | instid1(VALU_DEP_1)
	v_add3_u32 v9, v15, v9, 0x487ffff
                                        ; implicit-def: $vgpr15
	v_lshrrev_b32_e32 v13, 20, v9
	s_and_not1_saveexec_b32 s23, s0
	s_cbranch_execnz .LBB297_2829
.LBB297_2349:
	s_or_b32 exec_lo, exec_lo, s23
	v_mov_b32_e32 v9, 0
	s_and_saveexec_b32 s0, s22
.LBB297_2350:
	v_lshrrev_b32_e32 v9, 8, v11
	s_delay_alu instid0(VALU_DEP_1)
	v_and_or_b32 v9, 0x80, v9, v13
.LBB297_2351:
	s_or_b32 exec_lo, exec_lo, s0
.LBB297_2352:
	s_delay_alu instid0(SALU_CYCLE_1) | instskip(NEXT) | instid1(SALU_CYCLE_1)
	s_or_b32 exec_lo, exec_lo, s21
	s_or_b32 s22, s18, exec_lo
	s_xor_b32 s21, exec_lo, -1
.LBB297_2353:
	s_or_b32 exec_lo, exec_lo, s20
	s_delay_alu instid0(SALU_CYCLE_1)
	s_and_not1_b32 s0, s18, exec_lo
	s_and_b32 s20, s22, exec_lo
	s_and_not1_b32 s22, s17, exec_lo
	s_and_b32 s23, s21, exec_lo
	s_or_b32 s21, s0, s20
	s_or_b32 s20, s22, s23
.LBB297_2354:
	s_or_saveexec_b32 s22, s19
	s_mov_b32 s19, 0
	s_xor_b32 exec_lo, exec_lo, s22
; %bb.2355:
	v_cmp_ne_u16_e64 s0, 11, v7
	s_and_not1_b32 s20, s20, exec_lo
	s_mov_b32 s19, exec_lo
	s_and_b32 s0, s0, exec_lo
	s_delay_alu instid0(SALU_CYCLE_1)
	s_or_b32 s20, s20, s0
; %bb.2356:
	s_or_b32 exec_lo, exec_lo, s22
	s_delay_alu instid0(SALU_CYCLE_1)
	s_and_not1_b32 s0, s18, exec_lo
	s_and_b32 s18, s21, exec_lo
	s_and_not1_b32 s21, s17, exec_lo
	s_and_b32 s20, s20, exec_lo
	s_or_b32 s18, s0, s18
	s_and_b32 s0, s19, exec_lo
	s_or_b32 s19, s21, s20
.LBB297_2357:
	s_or_b32 exec_lo, exec_lo, s12
	s_delay_alu instid0(SALU_CYCLE_1)
	s_and_not1_b32 s12, s15, exec_lo
	s_and_b32 s15, s18, exec_lo
	s_and_not1_b32 s17, s17, exec_lo
	s_and_b32 s18, s19, exec_lo
	s_or_b32 s15, s12, s15
	s_and_b32 s12, s0, exec_lo
	s_or_b32 s17, s17, s18
	s_or_b32 exec_lo, exec_lo, s16
	s_mov_b32 s16, s10
	s_and_saveexec_b32 s0, s17
	s_cbranch_execz .LBB297_1019
.LBB297_2358:
	s_or_b32 s16, s10, exec_lo
	s_and_not1_b32 s12, s12, exec_lo
	s_trap 2
	s_or_b32 exec_lo, exec_lo, s0
	s_and_saveexec_b32 s0, s12
	s_delay_alu instid0(SALU_CYCLE_1)
	s_xor_b32 s12, exec_lo, s0
	s_cbranch_execnz .LBB297_1020
	s_branch .LBB297_1027
.LBB297_2359:
	s_or_saveexec_b32 s10, s10
	v_mov_b32_e32 v5, 0x7f800001
	s_xor_b32 exec_lo, exec_lo, s10
	s_cbranch_execz .LBB297_2079
.LBB297_2360:
	v_cmp_ne_u16_e32 vcc_lo, 0, v11
	v_mov_b32_e32 v5, 0
	s_and_not1_b32 s9, s9, exec_lo
	s_and_b32 s11, vcc_lo, exec_lo
	s_delay_alu instid0(SALU_CYCLE_1)
	s_or_b32 s9, s9, s11
	s_or_b32 exec_lo, exec_lo, s10
	s_and_saveexec_b32 s10, s9
	s_cbranch_execnz .LBB297_2080
	s_branch .LBB297_2081
.LBB297_2361:
	s_and_not1_saveexec_b32 s10, s10
	s_cbranch_execz .LBB297_2101
.LBB297_2362:
	v_add_f32_e64 v11, 0x46000000, |v5|
	s_and_not1_b32 s9, s9, exec_lo
	s_delay_alu instid0(VALU_DEP_1) | instskip(NEXT) | instid1(VALU_DEP_1)
	v_and_b32_e32 v13, 0xff, v11
	v_cmp_ne_u32_e32 vcc_lo, 0, v13
	s_and_b32 s11, vcc_lo, exec_lo
	s_delay_alu instid0(SALU_CYCLE_1)
	s_or_b32 s9, s9, s11
	s_or_b32 exec_lo, exec_lo, s10
	v_mov_b32_e32 v11, 0
	s_and_saveexec_b32 s10, s9
	s_cbranch_execnz .LBB297_2102
	s_branch .LBB297_2103
.LBB297_2363:
	s_and_not1_saveexec_b32 s12, s12
	s_cbranch_execz .LBB297_221
.LBB297_2364:
	v_add_f32_e32 v5, 0x46000000, v13
	s_and_not1_b32 s11, s11, exec_lo
	s_delay_alu instid0(VALU_DEP_1) | instskip(NEXT) | instid1(VALU_DEP_1)
	v_and_b32_e32 v5, 0xff, v5
	v_cmp_ne_u32_e32 vcc_lo, 0, v5
	s_and_b32 s13, vcc_lo, exec_lo
	s_delay_alu instid0(SALU_CYCLE_1)
	s_or_b32 s11, s11, s13
	s_or_b32 exec_lo, exec_lo, s12
	v_mov_b32_e32 v11, 0
	s_and_saveexec_b32 s12, s11
	s_cbranch_execnz .LBB297_222
	s_branch .LBB297_223
.LBB297_2365:
	s_and_not1_saveexec_b32 s12, s12
	s_cbranch_execz .LBB297_233
.LBB297_2366:
	v_add_f32_e32 v5, 0x46000000, v13
	s_and_not1_b32 s11, s11, exec_lo
	s_delay_alu instid0(VALU_DEP_1) | instskip(NEXT) | instid1(VALU_DEP_1)
	v_and_b32_e32 v5, 0xff, v5
	v_cmp_ne_u32_e32 vcc_lo, 0, v5
	s_and_b32 s13, vcc_lo, exec_lo
	s_delay_alu instid0(SALU_CYCLE_1)
	s_or_b32 s11, s11, s13
	s_or_b32 exec_lo, exec_lo, s12
	v_mov_b32_e32 v11, 0
	s_and_saveexec_b32 s12, s11
	s_cbranch_execnz .LBB297_234
	s_branch .LBB297_235
.LBB297_2367:
	s_and_not1_saveexec_b32 s12, s12
	s_cbranch_execz .LBB297_241
.LBB297_2368:
	v_add_f32_e32 v5, 0x46000000, v13
	s_and_not1_b32 s11, s11, exec_lo
	s_delay_alu instid0(VALU_DEP_1) | instskip(NEXT) | instid1(VALU_DEP_1)
	v_and_b32_e32 v5, 0xff, v5
	v_cmp_ne_u32_e32 vcc_lo, 0, v5
	s_and_b32 s13, vcc_lo, exec_lo
	s_delay_alu instid0(SALU_CYCLE_1)
	s_or_b32 s11, s11, s13
	s_or_b32 exec_lo, exec_lo, s12
	v_mov_b32_e32 v11, 0
	s_and_saveexec_b32 s12, s11
	s_cbranch_execnz .LBB297_242
	s_branch .LBB297_243
.LBB297_2369:
	s_and_not1_saveexec_b32 s11, s11
	s_cbranch_execz .LBB297_268
.LBB297_2370:
	v_add_f32_e64 v11, 0x46000000, |v5|
	s_and_not1_b32 s10, s10, exec_lo
	s_delay_alu instid0(VALU_DEP_1) | instskip(NEXT) | instid1(VALU_DEP_1)
	v_and_b32_e32 v13, 0xff, v11
	v_cmp_ne_u32_e32 vcc_lo, 0, v13
	s_and_b32 s12, vcc_lo, exec_lo
	s_delay_alu instid0(SALU_CYCLE_1)
	s_or_b32 s10, s10, s12
	s_or_b32 exec_lo, exec_lo, s11
	v_mov_b32_e32 v11, 0
	s_and_saveexec_b32 s11, s10
	s_cbranch_execnz .LBB297_269
	s_branch .LBB297_270
.LBB297_2371:
	s_and_not1_saveexec_b32 s11, s11
	s_cbranch_execz .LBB297_276
.LBB297_2372:
	v_add_f32_e64 v11, 0x46000000, |v5|
	s_and_not1_b32 s10, s10, exec_lo
	s_delay_alu instid0(VALU_DEP_1) | instskip(NEXT) | instid1(VALU_DEP_1)
	v_and_b32_e32 v13, 0xff, v11
	v_cmp_ne_u32_e32 vcc_lo, 0, v13
	s_and_b32 s12, vcc_lo, exec_lo
	s_delay_alu instid0(SALU_CYCLE_1)
	s_or_b32 s10, s10, s12
	s_or_b32 exec_lo, exec_lo, s11
	v_mov_b32_e32 v11, 0
	s_and_saveexec_b32 s11, s10
	s_cbranch_execnz .LBB297_277
	s_branch .LBB297_278
.LBB297_2373:
	s_and_not1_saveexec_b32 s11, s11
	s_cbranch_execz .LBB297_296
.LBB297_2374:
	v_add_f32_e64 v11, 0x46000000, |v5|
	s_and_not1_b32 s10, s10, exec_lo
	s_delay_alu instid0(VALU_DEP_1) | instskip(NEXT) | instid1(VALU_DEP_1)
	v_and_b32_e32 v13, 0xff, v11
	v_cmp_ne_u32_e32 vcc_lo, 0, v13
	s_and_b32 s12, vcc_lo, exec_lo
	s_delay_alu instid0(SALU_CYCLE_1)
	s_or_b32 s10, s10, s12
	s_or_b32 exec_lo, exec_lo, s11
	v_mov_b32_e32 v11, 0
	s_and_saveexec_b32 s11, s10
	s_cbranch_execnz .LBB297_297
	s_branch .LBB297_298
.LBB297_2375:
	s_and_not1_saveexec_b32 s11, s11
	s_cbranch_execz .LBB297_304
.LBB297_2376:
	v_add_f32_e64 v11, 0x46000000, |v5|
	s_and_not1_b32 s10, s10, exec_lo
	s_delay_alu instid0(VALU_DEP_1) | instskip(NEXT) | instid1(VALU_DEP_1)
	v_and_b32_e32 v13, 0xff, v11
	v_cmp_ne_u32_e32 vcc_lo, 0, v13
	s_and_b32 s12, vcc_lo, exec_lo
	s_delay_alu instid0(SALU_CYCLE_1)
	s_or_b32 s10, s10, s12
	s_or_b32 exec_lo, exec_lo, s11
	v_mov_b32_e32 v11, 0
	s_and_saveexec_b32 s11, s10
	s_cbranch_execnz .LBB297_305
	s_branch .LBB297_306
.LBB297_2377:
	s_and_not1_saveexec_b32 s11, s11
	s_cbranch_execz .LBB297_326
.LBB297_2378:
	v_add_f32_e64 v11, 0x46000000, |v5|
	s_and_not1_b32 s10, s10, exec_lo
	s_delay_alu instid0(VALU_DEP_1) | instskip(NEXT) | instid1(VALU_DEP_1)
	v_and_b32_e32 v13, 0xff, v11
	v_cmp_ne_u32_e32 vcc_lo, 0, v13
	s_and_b32 s12, vcc_lo, exec_lo
	s_delay_alu instid0(SALU_CYCLE_1)
	s_or_b32 s10, s10, s12
	s_or_b32 exec_lo, exec_lo, s11
	v_mov_b32_e32 v11, 0
	s_and_saveexec_b32 s11, s10
	s_cbranch_execnz .LBB297_327
	s_branch .LBB297_328
.LBB297_2379:
	s_and_not1_saveexec_b32 s11, s11
	s_cbranch_execz .LBB297_334
.LBB297_2380:
	v_add_f32_e64 v11, 0x46000000, |v5|
	s_and_not1_b32 s10, s10, exec_lo
	s_delay_alu instid0(VALU_DEP_1) | instskip(NEXT) | instid1(VALU_DEP_1)
	v_and_b32_e32 v13, 0xff, v11
	v_cmp_ne_u32_e32 vcc_lo, 0, v13
	s_and_b32 s12, vcc_lo, exec_lo
	s_delay_alu instid0(SALU_CYCLE_1)
	s_or_b32 s10, s10, s12
	s_or_b32 exec_lo, exec_lo, s11
	v_mov_b32_e32 v11, 0
	s_and_saveexec_b32 s11, s10
	s_cbranch_execnz .LBB297_335
	s_branch .LBB297_336
.LBB297_2381:
	s_and_not1_saveexec_b32 s12, s12
	s_cbranch_execz .LBB297_463
.LBB297_2382:
	v_add_f32_e64 v13, 0x46000000, |v15|
	s_and_not1_b32 s11, s11, exec_lo
	s_delay_alu instid0(VALU_DEP_1) | instskip(NEXT) | instid1(VALU_DEP_1)
	v_and_b32_e32 v19, 0xff, v13
	v_cmp_ne_u32_e32 vcc_lo, 0, v19
	s_and_b32 s13, vcc_lo, exec_lo
	s_delay_alu instid0(SALU_CYCLE_1)
	s_or_b32 s11, s11, s13
	s_or_b32 exec_lo, exec_lo, s12
	v_mov_b32_e32 v13, 0
	s_and_saveexec_b32 s12, s11
	s_cbranch_execnz .LBB297_464
	s_branch .LBB297_465
.LBB297_2383:
	s_and_not1_saveexec_b32 s12, s12
	s_cbranch_execz .LBB297_491
.LBB297_2384:
	v_add_f32_e64 v13, 0x46000000, |v15|
	s_and_not1_b32 s11, s11, exec_lo
	s_delay_alu instid0(VALU_DEP_1) | instskip(NEXT) | instid1(VALU_DEP_1)
	v_and_b32_e32 v19, 0xff, v13
	v_cmp_ne_u32_e32 vcc_lo, 0, v19
	s_and_b32 s13, vcc_lo, exec_lo
	s_delay_alu instid0(SALU_CYCLE_1)
	s_or_b32 s11, s11, s13
	s_or_b32 exec_lo, exec_lo, s12
	v_mov_b32_e32 v13, 0
	s_and_saveexec_b32 s12, s11
	s_cbranch_execnz .LBB297_492
	s_branch .LBB297_493
.LBB297_2385:
	s_and_not1_saveexec_b32 s12, s12
	s_cbranch_execz .LBB297_521
.LBB297_2386:
	v_add_f32_e64 v13, 0x46000000, |v15|
	s_and_not1_b32 s11, s11, exec_lo
	s_delay_alu instid0(VALU_DEP_1) | instskip(NEXT) | instid1(VALU_DEP_1)
	v_and_b32_e32 v19, 0xff, v13
	v_cmp_ne_u32_e32 vcc_lo, 0, v19
	s_and_b32 s13, vcc_lo, exec_lo
	s_delay_alu instid0(SALU_CYCLE_1)
	s_or_b32 s11, s11, s13
	s_or_b32 exec_lo, exec_lo, s12
	v_mov_b32_e32 v13, 0
	s_and_saveexec_b32 s12, s11
	s_cbranch_execnz .LBB297_522
	s_branch .LBB297_523
.LBB297_2387:
	s_and_not1_saveexec_b32 s12, s12
	s_cbranch_execz .LBB297_531
.LBB297_2388:
	v_add_f32_e64 v13, 0x46000000, |v15|
	s_and_not1_b32 s11, s11, exec_lo
	s_delay_alu instid0(VALU_DEP_1) | instskip(NEXT) | instid1(VALU_DEP_1)
	v_and_b32_e32 v19, 0xff, v13
	v_cmp_ne_u32_e32 vcc_lo, 0, v19
	s_and_b32 s13, vcc_lo, exec_lo
	s_delay_alu instid0(SALU_CYCLE_1)
	s_or_b32 s11, s11, s13
	s_or_b32 exec_lo, exec_lo, s12
	v_mov_b32_e32 v13, 0
	s_and_saveexec_b32 s12, s11
	s_cbranch_execnz .LBB297_532
	s_branch .LBB297_533
.LBB297_2389:
	s_and_not1_saveexec_b32 s12, s12
	s_cbranch_execz .LBB297_539
.LBB297_2390:
	v_add_f32_e32 v13, 0x46000000, v19
	s_and_not1_b32 s11, s11, exec_lo
	s_delay_alu instid0(VALU_DEP_1) | instskip(NEXT) | instid1(VALU_DEP_1)
	v_and_b32_e32 v15, 0xff, v13
	v_cmp_ne_u32_e32 vcc_lo, 0, v15
	s_and_b32 s13, vcc_lo, exec_lo
	s_delay_alu instid0(SALU_CYCLE_1)
	s_or_b32 s11, s11, s13
	s_or_b32 exec_lo, exec_lo, s12
	v_mov_b32_e32 v13, 0
	s_and_saveexec_b32 s12, s11
	s_cbranch_execnz .LBB297_540
	s_branch .LBB297_541
.LBB297_2391:
	s_and_not1_saveexec_b32 s16, s0
	s_cbranch_execz .LBB297_817
.LBB297_2392:
	v_add_f32_e32 v11, 0x46000000, v15
	s_and_not1_b32 s15, s15, exec_lo
	s_delay_alu instid0(VALU_DEP_1) | instskip(NEXT) | instid1(VALU_DEP_1)
	v_and_b32_e32 v13, 0xff, v11
	v_cmp_ne_u32_e64 s0, 0, v13
	s_and_b32 s0, s0, exec_lo
	s_delay_alu instid0(SALU_CYCLE_1)
	s_or_b32 s15, s15, s0
	s_or_b32 exec_lo, exec_lo, s16
	v_mov_b32_e32 v11, 0
	s_and_saveexec_b32 s0, s15
	s_cbranch_execnz .LBB297_818
	s_branch .LBB297_819
.LBB297_2393:
	s_and_not1_saveexec_b32 s18, s18
	s_cbranch_execz .LBB297_1196
.LBB297_2394:
	s_mov_b32 s20, s17
	s_mov_b32 s15, exec_lo
                                        ; implicit-def: $vgpr11
	v_cmpx_lt_i16_e32 22, v5
	s_xor_b32 s15, exec_lo, s15
	s_cbranch_execz .LBB297_2428
; %bb.2395:
	s_mov_b32 s20, exec_lo
                                        ; implicit-def: $vgpr11
	v_cmpx_lt_i16_e32 23, v5
	s_xor_b32 s20, exec_lo, s20
	s_cbranch_execz .LBB297_2419
; %bb.2396:
	s_mov_b32 s21, exec_lo
                                        ; implicit-def: $vgpr11
	v_cmpx_lt_i16_e32 24, v5
	s_xor_b32 s21, exec_lo, s21
	s_cbranch_execz .LBB297_2410
; %bb.2397:
	s_wait_loadcnt_dscnt 0x0
	flat_load_u8 v11, v[18:19]
	s_mov_b32 s22, 0
	s_mov_b32 s23, exec_lo
	s_wait_loadcnt_dscnt 0x0
	v_cmpx_lt_i16_e32 0x7f, v11
	s_xor_b32 s23, exec_lo, s23
	s_cbranch_execz .LBB297_2830
; %bb.2398:
	s_mov_b32 s22, -1
	s_mov_b32 s24, exec_lo
	v_cmpx_eq_u16_e32 0x80, v11
; %bb.2399:
	s_xor_b32 s22, exec_lo, -1
; %bb.2400:
	s_or_b32 exec_lo, exec_lo, s24
	s_delay_alu instid0(SALU_CYCLE_1)
	s_and_b32 s22, s22, exec_lo
	s_or_saveexec_b32 s23, s23
	v_mov_b32_e32 v13, 0x7f800001
	s_xor_b32 exec_lo, exec_lo, s23
	s_cbranch_execnz .LBB297_2831
.LBB297_2401:
	s_or_b32 exec_lo, exec_lo, s23
	s_and_saveexec_b32 s23, s22
	s_cbranch_execz .LBB297_2403
.LBB297_2402:
	v_and_b32_e32 v13, 0xffff, v11
	s_delay_alu instid0(VALU_DEP_1) | instskip(SKIP_1) | instid1(VALU_DEP_2)
	v_and_b32_e32 v15, 3, v13
	v_bfe_u32 v22, v13, 2, 5
	v_clz_i32_u32_e32 v20, v15
	s_delay_alu instid0(VALU_DEP_2) | instskip(NEXT) | instid1(VALU_DEP_2)
	v_cmp_eq_u32_e64 s0, 0, v22
	v_min_u32_e32 v20, 32, v20
	s_delay_alu instid0(VALU_DEP_1) | instskip(NEXT) | instid1(VALU_DEP_1)
	v_subrev_nc_u32_e32 v21, 29, v20
	v_dual_lshlrev_b32 v13, v21, v13 :: v_dual_sub_nc_u32 v20, 30, v20
	s_delay_alu instid0(VALU_DEP_1) | instskip(NEXT) | instid1(VALU_DEP_1)
	v_dual_lshlrev_b32 v11, 24, v11 :: v_dual_bitop2_b32 v13, 3, v13 bitop3:0x40
	v_dual_cndmask_b32 v20, v22, v20, s0 :: v_dual_cndmask_b32 v13, v15, v13, s0
	s_delay_alu instid0(VALU_DEP_2) | instskip(NEXT) | instid1(VALU_DEP_2)
	v_and_b32_e32 v11, 0x80000000, v11
	v_lshl_add_u32 v15, v20, 23, 0x37800000
	s_delay_alu instid0(VALU_DEP_3) | instskip(NEXT) | instid1(VALU_DEP_1)
	v_lshlrev_b32_e32 v13, 21, v13
	v_or3_b32 v13, v11, v15, v13
.LBB297_2403:
	s_or_b32 exec_lo, exec_lo, s23
	s_delay_alu instid0(VALU_DEP_1) | instskip(SKIP_2) | instid1(VALU_DEP_2)
	v_and_b32_e32 v15, 0x7fffffff, v13
	v_mov_b32_e32 v11, 0x80
	s_mov_b32 s22, exec_lo
	v_cmpx_gt_u32_e32 0x43800000, v15
	s_cbranch_execz .LBB297_2409
; %bb.2404:
	v_cmp_lt_u32_e64 s0, 0x3bffffff, v15
	s_mov_b32 s23, 0
                                        ; implicit-def: $vgpr15
	s_and_saveexec_b32 s24, s0
	s_delay_alu instid0(SALU_CYCLE_1)
	s_xor_b32 s0, exec_lo, s24
	s_cbranch_execz .LBB297_2909
; %bb.2405:
	v_bfe_u32 v11, v13, 20, 1
	s_mov_b32 s23, exec_lo
	s_delay_alu instid0(VALU_DEP_1) | instskip(NEXT) | instid1(VALU_DEP_1)
	v_add3_u32 v11, v13, v11, 0x487ffff
	v_lshrrev_b32_e32 v15, 20, v11
	s_and_not1_saveexec_b32 s24, s0
	s_cbranch_execnz .LBB297_2910
.LBB297_2406:
	s_or_b32 exec_lo, exec_lo, s24
	v_mov_b32_e32 v11, 0
	s_and_saveexec_b32 s0, s23
.LBB297_2407:
	v_lshrrev_b32_e32 v11, 24, v13
	s_delay_alu instid0(VALU_DEP_1)
	v_and_or_b32 v11, 0x80, v11, v15
.LBB297_2408:
	s_or_b32 exec_lo, exec_lo, s0
.LBB297_2409:
	s_delay_alu instid0(SALU_CYCLE_1)
	s_or_b32 exec_lo, exec_lo, s22
.LBB297_2410:
	s_and_not1_saveexec_b32 s21, s21
	s_cbranch_execz .LBB297_2418
; %bb.2411:
	s_wait_loadcnt_dscnt 0x0
	flat_load_u8 v11, v[18:19]
	s_mov_b32 s23, 0
	s_mov_b32 s22, exec_lo
	s_wait_loadcnt_dscnt 0x0
	v_lshlrev_b32_e32 v11, 24, v11
	s_delay_alu instid0(VALU_DEP_1) | instskip(NEXT) | instid1(VALU_DEP_1)
	v_and_b32_e32 v13, 0x7f000000, v11
	v_clz_i32_u32_e32 v15, v13
	v_add_nc_u32_e32 v21, 0x1000000, v13
	v_cmp_ne_u32_e64 s0, 0, v13
	s_delay_alu instid0(VALU_DEP_3) | instskip(NEXT) | instid1(VALU_DEP_1)
	v_min_u32_e32 v15, 32, v15
	v_sub_nc_u32_e64 v15, v15, 4 clamp
	s_delay_alu instid0(VALU_DEP_1) | instskip(NEXT) | instid1(VALU_DEP_1)
	v_dual_lshlrev_b32 v20, v15, v13 :: v_dual_lshlrev_b32 v15, 23, v15
	v_lshrrev_b32_e32 v20, 4, v20
	s_delay_alu instid0(VALU_DEP_1) | instskip(NEXT) | instid1(VALU_DEP_1)
	v_dual_sub_nc_u32 v15, v20, v15 :: v_dual_ashrrev_i32 v20, 8, v21
	v_add_nc_u32_e32 v15, 0x3c000000, v15
	s_delay_alu instid0(VALU_DEP_1) | instskip(NEXT) | instid1(VALU_DEP_1)
	v_and_or_b32 v15, 0x7f800000, v20, v15
	v_cndmask_b32_e64 v20, 0, v15, s0
	s_delay_alu instid0(VALU_DEP_1) | instskip(SKIP_1) | instid1(VALU_DEP_2)
	v_and_or_b32 v13, 0x80000000, v11, v20
	v_mov_b32_e32 v11, 0x80
	v_and_b32_e32 v15, 0x7fffffff, v13
	s_wait_xcnt 0x0
	s_delay_alu instid0(VALU_DEP_1)
	v_cmpx_gt_u32_e32 0x43800000, v15
	s_cbranch_execz .LBB297_2417
; %bb.2412:
	v_cmp_lt_u32_e64 s0, 0x3bffffff, v15
                                        ; implicit-def: $vgpr15
	s_and_saveexec_b32 s24, s0
	s_delay_alu instid0(SALU_CYCLE_1)
	s_xor_b32 s0, exec_lo, s24
	s_cbranch_execz .LBB297_2911
; %bb.2413:
	v_bfe_u32 v11, v20, 20, 1
	s_mov_b32 s23, exec_lo
	s_delay_alu instid0(VALU_DEP_1) | instskip(NEXT) | instid1(VALU_DEP_1)
	v_add3_u32 v11, v13, v11, 0x487ffff
	v_lshrrev_b32_e32 v15, 20, v11
	s_and_not1_saveexec_b32 s24, s0
	s_cbranch_execnz .LBB297_2912
.LBB297_2414:
	s_or_b32 exec_lo, exec_lo, s24
	v_mov_b32_e32 v11, 0
	s_and_saveexec_b32 s0, s23
.LBB297_2415:
	v_lshrrev_b32_e32 v11, 24, v13
	s_delay_alu instid0(VALU_DEP_1)
	v_and_or_b32 v11, 0x80, v11, v15
.LBB297_2416:
	s_or_b32 exec_lo, exec_lo, s0
.LBB297_2417:
	s_delay_alu instid0(SALU_CYCLE_1)
	s_or_b32 exec_lo, exec_lo, s22
.LBB297_2418:
	s_delay_alu instid0(SALU_CYCLE_1)
	s_or_b32 exec_lo, exec_lo, s21
.LBB297_2419:
	s_and_not1_saveexec_b32 s20, s20
	s_cbranch_execz .LBB297_2427
; %bb.2420:
	s_wait_loadcnt_dscnt 0x0
	flat_load_u8 v11, v[18:19]
	s_mov_b32 s21, exec_lo
	s_wait_loadcnt_dscnt 0x0
	v_lshlrev_b32_e32 v13, 25, v11
	v_lshlrev_b16 v11, 8, v11
	s_delay_alu instid0(VALU_DEP_1) | instskip(SKIP_1) | instid1(VALU_DEP_2)
	v_and_or_b32 v20, 0x7f00, v11, 0.5
	v_bfe_i32 v11, v11, 0, 16
	v_dual_add_f32 v20, -0.5, v20 :: v_dual_lshrrev_b32 v15, 4, v13
	v_cmp_gt_u32_e64 s0, 0x8000000, v13
	s_delay_alu instid0(VALU_DEP_2) | instskip(NEXT) | instid1(VALU_DEP_1)
	v_or_b32_e32 v15, 0x70000000, v15
	v_mul_f32_e32 v15, 0x7800000, v15
	s_delay_alu instid0(VALU_DEP_1) | instskip(NEXT) | instid1(VALU_DEP_1)
	v_cndmask_b32_e64 v20, v15, v20, s0
	v_and_or_b32 v13, 0x80000000, v11, v20
	v_mov_b32_e32 v11, 0x80
	s_delay_alu instid0(VALU_DEP_2) | instskip(SKIP_1) | instid1(VALU_DEP_1)
	v_and_b32_e32 v15, 0x7fffffff, v13
	s_wait_xcnt 0x0
	v_cmpx_gt_u32_e32 0x43800000, v15
	s_cbranch_execz .LBB297_2426
; %bb.2421:
	v_cmp_lt_u32_e64 s0, 0x3bffffff, v15
	s_mov_b32 s22, 0
                                        ; implicit-def: $vgpr15
	s_and_saveexec_b32 s23, s0
	s_delay_alu instid0(SALU_CYCLE_1)
	s_xor_b32 s0, exec_lo, s23
	s_cbranch_execz .LBB297_2832
; %bb.2422:
	v_bfe_u32 v11, v20, 20, 1
	s_mov_b32 s22, exec_lo
	s_delay_alu instid0(VALU_DEP_1) | instskip(NEXT) | instid1(VALU_DEP_1)
	v_add3_u32 v11, v13, v11, 0x487ffff
	v_lshrrev_b32_e32 v15, 20, v11
	s_and_not1_saveexec_b32 s23, s0
	s_cbranch_execnz .LBB297_2833
.LBB297_2423:
	s_or_b32 exec_lo, exec_lo, s23
	v_mov_b32_e32 v11, 0
	s_and_saveexec_b32 s0, s22
.LBB297_2424:
	v_lshrrev_b32_e32 v11, 24, v13
	s_delay_alu instid0(VALU_DEP_1)
	v_and_or_b32 v11, 0x80, v11, v15
.LBB297_2425:
	s_or_b32 exec_lo, exec_lo, s0
.LBB297_2426:
	s_delay_alu instid0(SALU_CYCLE_1)
	s_or_b32 exec_lo, exec_lo, s21
.LBB297_2427:
	s_delay_alu instid0(SALU_CYCLE_1) | instskip(NEXT) | instid1(SALU_CYCLE_1)
	s_or_b32 exec_lo, exec_lo, s20
	s_or_b32 s20, s17, exec_lo
.LBB297_2428:
	s_or_saveexec_b32 s15, s15
	s_mov_b32 s0, 0
	s_mov_b32 s21, s19
	s_xor_b32 exec_lo, exec_lo, s15
	s_cbranch_execz .LBB297_2442
; %bb.2429:
	s_mov_b32 s22, s19
	s_mov_b32 s23, s20
	s_mov_b32 s21, exec_lo
                                        ; implicit-def: $vgpr11
	v_cmpx_lt_i16_e32 14, v5
	s_xor_b32 s21, exec_lo, s21
	s_cbranch_execz .LBB297_2439
; %bb.2430:
	s_mov_b32 s23, -1
	s_mov_b32 s24, s20
	s_mov_b32 s22, exec_lo
                                        ; implicit-def: $vgpr11
	v_cmpx_eq_u16_e32 15, v5
	s_cbranch_execz .LBB297_2438
; %bb.2431:
	s_wait_loadcnt_dscnt 0x0
	flat_load_u16 v13, v[18:19]
	s_mov_b32 s23, exec_lo
	s_wait_loadcnt_dscnt 0x0
	v_dual_mov_b32 v11, 0x80 :: v_dual_lshlrev_b32 v20, 16, v13
	s_delay_alu instid0(VALU_DEP_1) | instskip(SKIP_1) | instid1(VALU_DEP_1)
	v_and_b32_e32 v15, 0x7fffffff, v20
	s_wait_xcnt 0x0
	v_cmpx_gt_u32_e32 0x43800000, v15
	s_cbranch_execz .LBB297_2437
; %bb.2432:
	v_cmp_lt_u32_e64 s0, 0x3bffffff, v15
	s_mov_b32 s24, 0
                                        ; implicit-def: $vgpr15
	s_and_saveexec_b32 s25, s0
	s_delay_alu instid0(SALU_CYCLE_1)
	s_xor_b32 s0, exec_lo, s25
	s_cbranch_execz .LBB297_2913
; %bb.2433:
	v_bfe_u32 v11, v13, 4, 1
	s_mov_b32 s24, exec_lo
	s_delay_alu instid0(VALU_DEP_1) | instskip(NEXT) | instid1(VALU_DEP_1)
	v_add3_u32 v11, v20, v11, 0x487ffff
                                        ; implicit-def: $vgpr20
	v_lshrrev_b32_e32 v15, 20, v11
	s_and_not1_saveexec_b32 s25, s0
	s_cbranch_execnz .LBB297_2914
.LBB297_2434:
	s_or_b32 exec_lo, exec_lo, s25
	v_mov_b32_e32 v11, 0
	s_and_saveexec_b32 s0, s24
.LBB297_2435:
	v_lshrrev_b32_e32 v11, 8, v13
	s_delay_alu instid0(VALU_DEP_1)
	v_and_or_b32 v11, 0x80, v11, v15
.LBB297_2436:
	s_or_b32 exec_lo, exec_lo, s0
.LBB297_2437:
	s_delay_alu instid0(SALU_CYCLE_1) | instskip(NEXT) | instid1(SALU_CYCLE_1)
	s_or_b32 exec_lo, exec_lo, s23
	s_or_b32 s24, s20, exec_lo
	s_xor_b32 s23, exec_lo, -1
.LBB297_2438:
	s_or_b32 exec_lo, exec_lo, s22
	s_delay_alu instid0(SALU_CYCLE_1)
	s_and_not1_b32 s0, s20, exec_lo
	s_and_b32 s22, s24, exec_lo
	s_and_not1_b32 s24, s19, exec_lo
	s_and_b32 s25, s23, exec_lo
	s_or_b32 s23, s0, s22
	s_or_b32 s22, s24, s25
.LBB297_2439:
	s_or_saveexec_b32 s24, s21
	s_mov_b32 s21, 0
	s_xor_b32 exec_lo, exec_lo, s24
; %bb.2440:
	v_cmp_ne_u16_e64 s0, 11, v5
	s_and_not1_b32 s22, s22, exec_lo
	s_mov_b32 s21, exec_lo
	s_and_b32 s0, s0, exec_lo
	s_delay_alu instid0(SALU_CYCLE_1)
	s_or_b32 s22, s22, s0
; %bb.2441:
	s_or_b32 exec_lo, exec_lo, s24
	s_delay_alu instid0(SALU_CYCLE_1)
	s_and_not1_b32 s0, s20, exec_lo
	s_and_b32 s20, s23, exec_lo
	s_and_not1_b32 s23, s19, exec_lo
	s_and_b32 s22, s22, exec_lo
	s_or_b32 s20, s0, s20
	s_and_b32 s0, s21, exec_lo
	s_or_b32 s21, s23, s22
.LBB297_2442:
	s_or_b32 exec_lo, exec_lo, s15
	s_delay_alu instid0(SALU_CYCLE_1)
	s_and_not1_b32 s15, s17, exec_lo
	s_and_b32 s17, s20, exec_lo
	s_and_not1_b32 s19, s19, exec_lo
	s_and_b32 s20, s21, exec_lo
	s_or_b32 s17, s15, s17
	s_and_b32 s15, s0, exec_lo
	s_or_b32 s19, s19, s20
	s_or_b32 exec_lo, exec_lo, s18
	s_mov_b32 s18, s12
	s_and_saveexec_b32 s0, s19
	s_cbranch_execz .LBB297_1197
.LBB297_2443:
	s_or_b32 s18, s12, exec_lo
	s_and_not1_b32 s15, s15, exec_lo
	s_trap 2
	s_or_b32 exec_lo, exec_lo, s0
	s_and_saveexec_b32 s0, s15
	s_delay_alu instid0(SALU_CYCLE_1)
	s_xor_b32 s15, exec_lo, s0
	s_cbranch_execnz .LBB297_1198
	s_branch .LBB297_1205
.LBB297_2444:
	s_and_not1_saveexec_b32 s11, s11
	s_cbranch_execz .LBB297_2084
.LBB297_2445:
	v_add_f32_e64 v11, 0x46000000, |v5|
	s_and_not1_b32 s10, s10, exec_lo
	s_delay_alu instid0(VALU_DEP_1) | instskip(NEXT) | instid1(VALU_DEP_1)
	v_and_b32_e32 v13, 0xff, v11
	v_cmp_ne_u32_e32 vcc_lo, 0, v13
	s_and_b32 s12, vcc_lo, exec_lo
	s_delay_alu instid0(SALU_CYCLE_1)
	s_or_b32 s10, s10, s12
	s_or_b32 exec_lo, exec_lo, s11
	v_mov_b32_e32 v11, 0
	s_and_saveexec_b32 s11, s10
	s_cbranch_execnz .LBB297_2085
	s_branch .LBB297_2086
.LBB297_2446:
	s_and_not1_saveexec_b32 s11, s11
	s_cbranch_execz .LBB297_2092
.LBB297_2447:
	v_add_f32_e64 v11, 0x46000000, |v5|
	s_and_not1_b32 s10, s10, exec_lo
	s_delay_alu instid0(VALU_DEP_1) | instskip(NEXT) | instid1(VALU_DEP_1)
	v_and_b32_e32 v13, 0xff, v11
	v_cmp_ne_u32_e32 vcc_lo, 0, v13
	s_and_b32 s12, vcc_lo, exec_lo
	s_delay_alu instid0(SALU_CYCLE_1)
	s_or_b32 s10, s10, s12
	s_or_b32 exec_lo, exec_lo, s11
	v_mov_b32_e32 v11, 0
	s_and_saveexec_b32 s11, s10
	s_cbranch_execnz .LBB297_2093
	s_branch .LBB297_2094
.LBB297_2448:
	s_and_not1_saveexec_b32 s12, s12
	s_cbranch_execz .LBB297_2112
.LBB297_2449:
	v_add_f32_e64 v11, 0x46000000, |v15|
	s_and_not1_b32 s11, s11, exec_lo
	s_delay_alu instid0(VALU_DEP_1) | instskip(NEXT) | instid1(VALU_DEP_1)
	v_and_b32_e32 v13, 0xff, v11
	v_cmp_ne_u32_e32 vcc_lo, 0, v13
	s_and_b32 s13, vcc_lo, exec_lo
	s_delay_alu instid0(SALU_CYCLE_1)
	s_or_b32 s11, s11, s13
	s_or_b32 exec_lo, exec_lo, s12
	v_mov_b32_e32 v11, 0
	s_and_saveexec_b32 s12, s11
	s_cbranch_execnz .LBB297_2113
	s_branch .LBB297_2114
.LBB297_2450:
	s_or_saveexec_b32 s12, s12
	v_mov_b32_e32 v15, 0x7f800001
	s_xor_b32 exec_lo, exec_lo, s12
	s_cbranch_execz .LBB297_2130
.LBB297_2451:
	v_cmp_ne_u16_e32 vcc_lo, 0, v13
	v_mov_b32_e32 v15, 0
	s_and_not1_b32 s11, s11, exec_lo
	s_and_b32 s13, vcc_lo, exec_lo
	s_delay_alu instid0(SALU_CYCLE_1)
	s_or_b32 s11, s11, s13
	s_or_b32 exec_lo, exec_lo, s12
	s_and_saveexec_b32 s12, s11
	s_cbranch_execnz .LBB297_2131
	s_branch .LBB297_2132
.LBB297_2452:
	s_and_not1_saveexec_b32 s12, s12
	s_cbranch_execz .LBB297_2152
.LBB297_2453:
	v_add_f32_e64 v13, 0x46000000, |v15|
	s_and_not1_b32 s11, s11, exec_lo
	s_delay_alu instid0(VALU_DEP_1) | instskip(NEXT) | instid1(VALU_DEP_1)
	v_and_b32_e32 v19, 0xff, v13
	v_cmp_ne_u32_e32 vcc_lo, 0, v19
	s_and_b32 s13, vcc_lo, exec_lo
	s_delay_alu instid0(SALU_CYCLE_1)
	s_or_b32 s11, s11, s13
	s_or_b32 exec_lo, exec_lo, s12
	v_mov_b32_e32 v13, 0
	s_and_saveexec_b32 s12, s11
	s_cbranch_execnz .LBB297_2153
	s_branch .LBB297_2154
.LBB297_2454:
	s_and_not1_saveexec_b32 s11, s11
	s_cbranch_execz .LBB297_200
.LBB297_2455:
	v_add_f32_e64 v11, 0x46000000, |v5|
	s_and_not1_b32 s10, s10, exec_lo
	s_delay_alu instid0(VALU_DEP_1) | instskip(NEXT) | instid1(VALU_DEP_1)
	v_and_b32_e32 v13, 0xff, v11
	v_cmp_ne_u32_e32 vcc_lo, 0, v13
	s_and_b32 s12, vcc_lo, exec_lo
	s_delay_alu instid0(SALU_CYCLE_1)
	s_or_b32 s10, s10, s12
	s_or_b32 exec_lo, exec_lo, s11
	v_mov_b32_e32 v11, 0
	s_and_saveexec_b32 s11, s10
	s_cbranch_execnz .LBB297_201
	s_branch .LBB297_202
.LBB297_2456:
	s_and_not1_saveexec_b32 s13, s13
	s_cbranch_execz .LBB297_210
.LBB297_2457:
	v_add_f32_e32 v5, 0x46000000, v13
	s_and_not1_b32 s12, s12, exec_lo
	s_delay_alu instid0(VALU_DEP_1) | instskip(NEXT) | instid1(VALU_DEP_1)
	v_and_b32_e32 v5, 0xff, v5
	v_cmp_ne_u32_e32 vcc_lo, 0, v5
	s_and_b32 s14, vcc_lo, exec_lo
	s_delay_alu instid0(SALU_CYCLE_1)
	s_or_b32 s12, s12, s14
	s_or_b32 exec_lo, exec_lo, s13
	v_mov_b32_e32 v11, 0
	s_and_saveexec_b32 s13, s12
	s_cbranch_execnz .LBB297_211
	s_branch .LBB297_212
.LBB297_2458:
	s_and_not1_saveexec_b32 s14, s14
	s_cbranch_execz .LBB297_399
.LBB297_2459:
	v_add_f32_e32 v13, 0x46000000, v19
	s_and_not1_b32 s13, s13, exec_lo
	s_delay_alu instid0(VALU_DEP_1) | instskip(NEXT) | instid1(VALU_DEP_1)
	v_and_b32_e32 v15, 0xff, v13
	v_cmp_ne_u32_e32 vcc_lo, 0, v15
	s_and_b32 s15, vcc_lo, exec_lo
	s_delay_alu instid0(SALU_CYCLE_1)
	s_or_b32 s13, s13, s15
	s_or_b32 exec_lo, exec_lo, s14
	v_mov_b32_e32 v13, 0
	s_and_saveexec_b32 s14, s13
	s_cbranch_execnz .LBB297_400
	s_branch .LBB297_401
.LBB297_2460:
	s_and_not1_saveexec_b32 s14, s14
	s_cbranch_execz .LBB297_411
.LBB297_2461:
	v_add_f32_e32 v13, 0x46000000, v19
	s_and_not1_b32 s13, s13, exec_lo
	s_delay_alu instid0(VALU_DEP_1) | instskip(NEXT) | instid1(VALU_DEP_1)
	v_and_b32_e32 v15, 0xff, v13
	v_cmp_ne_u32_e32 vcc_lo, 0, v15
	s_and_b32 s15, vcc_lo, exec_lo
	s_delay_alu instid0(SALU_CYCLE_1)
	s_or_b32 s13, s13, s15
	s_or_b32 exec_lo, exec_lo, s14
	v_mov_b32_e32 v13, 0
	s_and_saveexec_b32 s14, s13
	s_cbranch_execnz .LBB297_412
	s_branch .LBB297_413
.LBB297_2462:
	s_and_not1_saveexec_b32 s14, s14
	s_cbranch_execz .LBB297_419
.LBB297_2463:
	v_add_f32_e32 v13, 0x46000000, v19
	s_and_not1_b32 s13, s13, exec_lo
	s_delay_alu instid0(VALU_DEP_1) | instskip(NEXT) | instid1(VALU_DEP_1)
	v_and_b32_e32 v15, 0xff, v13
	v_cmp_ne_u32_e32 vcc_lo, 0, v15
	s_and_b32 s15, vcc_lo, exec_lo
	s_delay_alu instid0(SALU_CYCLE_1)
	s_or_b32 s13, s13, s15
	s_or_b32 exec_lo, exec_lo, s14
	v_mov_b32_e32 v13, 0
	s_and_saveexec_b32 s14, s13
	s_cbranch_execnz .LBB297_420
	s_branch .LBB297_421
.LBB297_2464:
	s_and_not1_saveexec_b32 s13, s13
	s_cbranch_execz .LBB297_446
.LBB297_2465:
	v_add_f32_e64 v13, 0x46000000, |v15|
	s_and_not1_b32 s12, s12, exec_lo
	s_delay_alu instid0(VALU_DEP_1) | instskip(NEXT) | instid1(VALU_DEP_1)
	v_and_b32_e32 v19, 0xff, v13
	v_cmp_ne_u32_e32 vcc_lo, 0, v19
	s_and_b32 s14, vcc_lo, exec_lo
	s_delay_alu instid0(SALU_CYCLE_1)
	s_or_b32 s12, s12, s14
	s_or_b32 exec_lo, exec_lo, s13
	v_mov_b32_e32 v13, 0
	s_and_saveexec_b32 s13, s12
	s_cbranch_execnz .LBB297_447
	s_branch .LBB297_448
.LBB297_2466:
	s_and_not1_saveexec_b32 s13, s13
	s_cbranch_execz .LBB297_454
.LBB297_2467:
	v_add_f32_e64 v13, 0x46000000, |v15|
	s_and_not1_b32 s12, s12, exec_lo
	s_delay_alu instid0(VALU_DEP_1) | instskip(NEXT) | instid1(VALU_DEP_1)
	v_and_b32_e32 v19, 0xff, v13
	v_cmp_ne_u32_e32 vcc_lo, 0, v19
	s_and_b32 s14, vcc_lo, exec_lo
	s_delay_alu instid0(SALU_CYCLE_1)
	s_or_b32 s12, s12, s14
	s_or_b32 exec_lo, exec_lo, s13
	v_mov_b32_e32 v13, 0
	s_and_saveexec_b32 s13, s12
	s_cbranch_execnz .LBB297_455
	s_branch .LBB297_456
.LBB297_2468:
	s_and_not1_saveexec_b32 s13, s13
	s_cbranch_execz .LBB297_474
.LBB297_2469:
	v_add_f32_e64 v13, 0x46000000, |v15|
	s_and_not1_b32 s12, s12, exec_lo
	s_delay_alu instid0(VALU_DEP_1) | instskip(NEXT) | instid1(VALU_DEP_1)
	v_and_b32_e32 v19, 0xff, v13
	v_cmp_ne_u32_e32 vcc_lo, 0, v19
	s_and_b32 s14, vcc_lo, exec_lo
	s_delay_alu instid0(SALU_CYCLE_1)
	s_or_b32 s12, s12, s14
	s_or_b32 exec_lo, exec_lo, s13
	v_mov_b32_e32 v13, 0
	s_and_saveexec_b32 s13, s12
	s_cbranch_execnz .LBB297_475
	s_branch .LBB297_476
.LBB297_2470:
	s_and_not1_saveexec_b32 s13, s13
	s_cbranch_execz .LBB297_482
.LBB297_2471:
	v_add_f32_e64 v13, 0x46000000, |v15|
	s_and_not1_b32 s12, s12, exec_lo
	s_delay_alu instid0(VALU_DEP_1) | instskip(NEXT) | instid1(VALU_DEP_1)
	v_and_b32_e32 v19, 0xff, v13
	v_cmp_ne_u32_e32 vcc_lo, 0, v19
	s_and_b32 s14, vcc_lo, exec_lo
	s_delay_alu instid0(SALU_CYCLE_1)
	s_or_b32 s12, s12, s14
	s_or_b32 exec_lo, exec_lo, s13
	v_mov_b32_e32 v13, 0
	s_and_saveexec_b32 s13, s12
	s_cbranch_execnz .LBB297_483
	s_branch .LBB297_484
.LBB297_2472:
	s_and_not1_saveexec_b32 s13, s13
	s_cbranch_execz .LBB297_504
.LBB297_2473:
	v_add_f32_e64 v13, 0x46000000, |v15|
	s_and_not1_b32 s12, s12, exec_lo
	s_delay_alu instid0(VALU_DEP_1) | instskip(NEXT) | instid1(VALU_DEP_1)
	v_and_b32_e32 v19, 0xff, v13
	v_cmp_ne_u32_e32 vcc_lo, 0, v19
	s_and_b32 s14, vcc_lo, exec_lo
	s_delay_alu instid0(SALU_CYCLE_1)
	s_or_b32 s12, s12, s14
	s_or_b32 exec_lo, exec_lo, s13
	v_mov_b32_e32 v13, 0
	s_and_saveexec_b32 s13, s12
	s_cbranch_execnz .LBB297_505
	s_branch .LBB297_506
.LBB297_2474:
	s_and_not1_saveexec_b32 s13, s13
	s_cbranch_execz .LBB297_512
.LBB297_2475:
	v_add_f32_e64 v13, 0x46000000, |v15|
	s_and_not1_b32 s12, s12, exec_lo
	s_delay_alu instid0(VALU_DEP_1) | instskip(NEXT) | instid1(VALU_DEP_1)
	v_and_b32_e32 v19, 0xff, v13
	v_cmp_ne_u32_e32 vcc_lo, 0, v19
	s_and_b32 s14, vcc_lo, exec_lo
	s_delay_alu instid0(SALU_CYCLE_1)
	s_or_b32 s12, s12, s14
	s_or_b32 exec_lo, exec_lo, s13
	v_mov_b32_e32 v13, 0
	s_and_saveexec_b32 s13, s12
	s_cbranch_execnz .LBB297_513
	s_branch .LBB297_514
.LBB297_2476:
	s_and_not1_saveexec_b32 s16, s0
	s_cbranch_execz .LBB297_669
.LBB297_2477:
	v_add_f32_e64 v9, 0x46000000, |v11|
	s_and_not1_b32 s15, s15, exec_lo
	s_delay_alu instid0(VALU_DEP_1) | instskip(NEXT) | instid1(VALU_DEP_1)
	v_and_b32_e32 v13, 0xff, v9
	v_cmp_ne_u32_e64 s0, 0, v13
	s_and_b32 s0, s0, exec_lo
	s_delay_alu instid0(SALU_CYCLE_1)
	s_or_b32 s15, s15, s0
	s_or_b32 exec_lo, exec_lo, s16
	v_mov_b32_e32 v9, 0
	s_and_saveexec_b32 s0, s15
	s_cbranch_execnz .LBB297_670
	s_branch .LBB297_671
.LBB297_2478:
	s_and_not1_saveexec_b32 s16, s0
	s_cbranch_execz .LBB297_697
.LBB297_2479:
	v_add_f32_e64 v9, 0x46000000, |v11|
	s_and_not1_b32 s15, s15, exec_lo
	s_delay_alu instid0(VALU_DEP_1) | instskip(NEXT) | instid1(VALU_DEP_1)
	v_and_b32_e32 v13, 0xff, v9
	v_cmp_ne_u32_e64 s0, 0, v13
	s_and_b32 s0, s0, exec_lo
	s_delay_alu instid0(SALU_CYCLE_1)
	s_or_b32 s15, s15, s0
	s_or_b32 exec_lo, exec_lo, s16
	v_mov_b32_e32 v9, 0
	s_and_saveexec_b32 s0, s15
	s_cbranch_execnz .LBB297_698
	s_branch .LBB297_699
.LBB297_2480:
	s_and_not1_saveexec_b32 s16, s0
	s_cbranch_execz .LBB297_727
.LBB297_2481:
	v_add_f32_e64 v9, 0x46000000, |v11|
	s_and_not1_b32 s15, s15, exec_lo
	s_delay_alu instid0(VALU_DEP_1) | instskip(NEXT) | instid1(VALU_DEP_1)
	v_and_b32_e32 v13, 0xff, v9
	v_cmp_ne_u32_e64 s0, 0, v13
	s_and_b32 s0, s0, exec_lo
	s_delay_alu instid0(SALU_CYCLE_1)
	s_or_b32 s15, s15, s0
	s_or_b32 exec_lo, exec_lo, s16
	v_mov_b32_e32 v9, 0
	s_and_saveexec_b32 s0, s15
	s_cbranch_execnz .LBB297_728
	s_branch .LBB297_729
.LBB297_2482:
	s_and_not1_saveexec_b32 s16, s0
	s_cbranch_execz .LBB297_737
.LBB297_2483:
	v_add_f32_e64 v9, 0x46000000, |v11|
	s_and_not1_b32 s15, s15, exec_lo
	s_delay_alu instid0(VALU_DEP_1) | instskip(NEXT) | instid1(VALU_DEP_1)
	v_and_b32_e32 v13, 0xff, v9
	v_cmp_ne_u32_e64 s0, 0, v13
	s_and_b32 s0, s0, exec_lo
	s_delay_alu instid0(SALU_CYCLE_1)
	s_or_b32 s15, s15, s0
	s_or_b32 exec_lo, exec_lo, s16
	v_mov_b32_e32 v9, 0
	s_and_saveexec_b32 s0, s15
	s_cbranch_execnz .LBB297_738
	s_branch .LBB297_739
.LBB297_2484:
	s_and_not1_saveexec_b32 s16, s0
	s_cbranch_execz .LBB297_745
.LBB297_2485:
	v_add_f32_e32 v9, 0x46000000, v13
	s_and_not1_b32 s15, s15, exec_lo
	s_delay_alu instid0(VALU_DEP_1) | instskip(NEXT) | instid1(VALU_DEP_1)
	v_and_b32_e32 v11, 0xff, v9
	v_cmp_ne_u32_e64 s0, 0, v11
	s_and_b32 s0, s0, exec_lo
	s_delay_alu instid0(SALU_CYCLE_1)
	s_or_b32 s15, s15, s0
	s_or_b32 exec_lo, exec_lo, s16
	v_mov_b32_e32 v9, 0
	s_and_saveexec_b32 s0, s15
	s_cbranch_execnz .LBB297_746
	s_branch .LBB297_747
.LBB297_2486:
	s_and_not1_saveexec_b32 s19, s0
	s_cbranch_execz .LBB297_1023
.LBB297_2487:
	v_add_f32_e32 v9, 0x46000000, v13
	s_and_not1_b32 s18, s18, exec_lo
	s_delay_alu instid0(VALU_DEP_1) | instskip(NEXT) | instid1(VALU_DEP_1)
	v_and_b32_e32 v11, 0xff, v9
	v_cmp_ne_u32_e64 s0, 0, v11
	s_and_b32 s0, s0, exec_lo
	s_delay_alu instid0(SALU_CYCLE_1)
	s_or_b32 s18, s18, s0
	s_or_b32 exec_lo, exec_lo, s19
	v_mov_b32_e32 v9, 0
	s_and_saveexec_b32 s0, s18
	s_cbranch_execnz .LBB297_1024
	s_branch .LBB297_1025
.LBB297_2488:
	s_or_saveexec_b32 s19, s19
	v_mov_b32_e32 v13, 0x7f800001
	s_xor_b32 exec_lo, exec_lo, s19
	s_cbranch_execz .LBB297_1320
.LBB297_2489:
	v_cmp_ne_u16_e64 s0, 0, v15
	v_mov_b32_e32 v13, 0
	s_and_not1_b32 s17, s17, exec_lo
	s_and_b32 s0, s0, exec_lo
	s_delay_alu instid0(SALU_CYCLE_1)
	s_or_b32 s17, s17, s0
	s_or_b32 exec_lo, exec_lo, s19
	s_and_saveexec_b32 s19, s17
	s_cbranch_execnz .LBB297_1321
	s_branch .LBB297_1322
.LBB297_2490:
	s_or_saveexec_b32 s19, s19
	v_mov_b32_e32 v9, 0x7f800001
	s_xor_b32 exec_lo, exec_lo, s19
	s_cbranch_execz .LBB297_1326
.LBB297_2491:
	v_cmp_ne_u16_e64 s0, 0, v15
	v_mov_b32_e32 v9, 0
	s_and_not1_b32 s17, s17, exec_lo
	s_and_b32 s0, s0, exec_lo
	s_delay_alu instid0(SALU_CYCLE_1)
	s_or_b32 s17, s17, s0
	s_or_b32 exec_lo, exec_lo, s19
	s_and_saveexec_b32 s19, s17
	s_cbranch_execnz .LBB297_1327
	s_branch .LBB297_1328
.LBB297_2492:
	s_or_saveexec_b32 s20, s20
	v_mov_b32_e32 v13, 0x7f800001
	s_xor_b32 exec_lo, exec_lo, s20
	s_cbranch_execz .LBB297_1334
.LBB297_2493:
	v_cmp_ne_u16_e64 s0, 0, v15
	v_mov_b32_e32 v13, 0
	s_and_not1_b32 s19, s19, exec_lo
	s_and_b32 s0, s0, exec_lo
	s_delay_alu instid0(SALU_CYCLE_1)
	s_or_b32 s19, s19, s0
	s_or_b32 exec_lo, exec_lo, s20
	s_and_saveexec_b32 s20, s19
	s_cbranch_execnz .LBB297_1335
	s_branch .LBB297_1336
.LBB297_2494:
	s_or_saveexec_b32 s20, s20
	v_mov_b32_e32 v9, 0x7f800001
	s_xor_b32 exec_lo, exec_lo, s20
	s_cbranch_execz .LBB297_1340
.LBB297_2495:
	v_cmp_ne_u16_e64 s0, 0, v15
	v_mov_b32_e32 v9, 0
	s_and_not1_b32 s19, s19, exec_lo
	s_and_b32 s0, s0, exec_lo
	s_delay_alu instid0(SALU_CYCLE_1)
	s_or_b32 s19, s19, s0
	s_or_b32 exec_lo, exec_lo, s20
	s_and_saveexec_b32 s20, s19
	s_cbranch_execnz .LBB297_1341
	s_branch .LBB297_1342
.LBB297_2496:
	s_and_not1_saveexec_b32 s21, s21
	s_cbranch_execz .LBB297_1402
.LBB297_2497:
	s_mov_b32 s23, s20
	s_mov_b32 s18, exec_lo
                                        ; implicit-def: $vgpr9
	v_cmpx_lt_i16_e32 22, v7
	s_xor_b32 s18, exec_lo, s18
	s_cbranch_execz .LBB297_2531
; %bb.2498:
	s_mov_b32 s23, exec_lo
                                        ; implicit-def: $vgpr9
	v_cmpx_lt_i16_e32 23, v7
	s_xor_b32 s23, exec_lo, s23
	s_cbranch_execz .LBB297_2522
; %bb.2499:
	s_mov_b32 s24, exec_lo
                                        ; implicit-def: $vgpr9
	v_cmpx_lt_i16_e32 24, v7
	s_xor_b32 s24, exec_lo, s24
	s_cbranch_execz .LBB297_2513
; %bb.2500:
	s_wait_loadcnt_dscnt 0x0
	flat_load_u8 v9, v[2:3]
	s_mov_b32 s25, 0
	s_mov_b32 s26, exec_lo
	s_wait_loadcnt_dscnt 0x0
	v_cmpx_lt_i16_e32 0x7f, v9
	s_xor_b32 s26, exec_lo, s26
	s_cbranch_execz .LBB297_2915
; %bb.2501:
	s_mov_b32 s25, -1
	s_mov_b32 s27, exec_lo
	v_cmpx_eq_u16_e32 0x80, v9
; %bb.2502:
	s_xor_b32 s25, exec_lo, -1
; %bb.2503:
	s_or_b32 exec_lo, exec_lo, s27
	s_delay_alu instid0(SALU_CYCLE_1)
	s_and_b32 s25, s25, exec_lo
	s_or_saveexec_b32 s26, s26
	v_mov_b32_e32 v7, 0x7f800001
	s_xor_b32 exec_lo, exec_lo, s26
	s_cbranch_execnz .LBB297_2916
.LBB297_2504:
	s_or_b32 exec_lo, exec_lo, s26
	s_and_saveexec_b32 s26, s25
	s_cbranch_execz .LBB297_2506
.LBB297_2505:
	v_and_b32_e32 v7, 0xffff, v9
	s_delay_alu instid0(VALU_DEP_1) | instskip(SKIP_1) | instid1(VALU_DEP_2)
	v_and_b32_e32 v11, 3, v7
	v_bfe_u32 v15, v7, 2, 5
	v_clz_i32_u32_e32 v13, v11
	s_delay_alu instid0(VALU_DEP_2) | instskip(NEXT) | instid1(VALU_DEP_2)
	v_cmp_eq_u32_e64 s0, 0, v15
	v_min_u32_e32 v13, 32, v13
	s_delay_alu instid0(VALU_DEP_1) | instskip(NEXT) | instid1(VALU_DEP_1)
	v_subrev_nc_u32_e32 v14, 29, v13
	v_dual_lshlrev_b32 v7, v14, v7 :: v_dual_sub_nc_u32 v13, 30, v13
	s_delay_alu instid0(VALU_DEP_1) | instskip(NEXT) | instid1(VALU_DEP_1)
	v_dual_lshlrev_b32 v9, 24, v9 :: v_dual_bitop2_b32 v7, 3, v7 bitop3:0x40
	v_cndmask_b32_e64 v7, v11, v7, s0
	s_delay_alu instid0(VALU_DEP_3) | instskip(NEXT) | instid1(VALU_DEP_3)
	v_cndmask_b32_e64 v13, v15, v13, s0
	v_and_b32_e32 v9, 0x80000000, v9
	s_delay_alu instid0(VALU_DEP_3) | instskip(NEXT) | instid1(VALU_DEP_3)
	v_lshlrev_b32_e32 v7, 21, v7
	v_lshl_add_u32 v11, v13, 23, 0x37800000
	s_delay_alu instid0(VALU_DEP_1)
	v_or3_b32 v7, v9, v11, v7
.LBB297_2506:
	s_or_b32 exec_lo, exec_lo, s26
	s_delay_alu instid0(VALU_DEP_1) | instskip(SKIP_2) | instid1(VALU_DEP_2)
	v_and_b32_e32 v11, 0x7fffffff, v7
	v_mov_b32_e32 v9, 0x80
	s_mov_b32 s25, exec_lo
	v_cmpx_gt_u32_e32 0x43800000, v11
	s_cbranch_execz .LBB297_2512
; %bb.2507:
	v_cmp_lt_u32_e64 s0, 0x3bffffff, v11
	s_mov_b32 s26, 0
                                        ; implicit-def: $vgpr11
	s_and_saveexec_b32 s27, s0
	s_delay_alu instid0(SALU_CYCLE_1)
	s_xor_b32 s0, exec_lo, s27
	s_cbranch_execz .LBB297_2994
; %bb.2508:
	v_bfe_u32 v9, v7, 20, 1
	s_mov_b32 s26, exec_lo
	s_delay_alu instid0(VALU_DEP_1) | instskip(NEXT) | instid1(VALU_DEP_1)
	v_add3_u32 v9, v7, v9, 0x487ffff
	v_lshrrev_b32_e32 v11, 20, v9
	s_and_not1_saveexec_b32 s27, s0
	s_cbranch_execnz .LBB297_2995
.LBB297_2509:
	s_or_b32 exec_lo, exec_lo, s27
	v_mov_b32_e32 v9, 0
	s_and_saveexec_b32 s0, s26
.LBB297_2510:
	v_lshrrev_b32_e32 v7, 24, v7
	s_delay_alu instid0(VALU_DEP_1)
	v_and_or_b32 v9, 0x80, v7, v11
.LBB297_2511:
	s_or_b32 exec_lo, exec_lo, s0
.LBB297_2512:
	s_delay_alu instid0(SALU_CYCLE_1)
	s_or_b32 exec_lo, exec_lo, s25
.LBB297_2513:
	s_and_not1_saveexec_b32 s24, s24
	s_cbranch_execz .LBB297_2521
; %bb.2514:
	flat_load_u8 v7, v[2:3]
	s_mov_b32 s26, 0
	s_mov_b32 s25, exec_lo
	s_wait_loadcnt_dscnt 0x0
	v_lshlrev_b32_e32 v7, 24, v7
	s_delay_alu instid0(VALU_DEP_1) | instskip(NEXT) | instid1(VALU_DEP_1)
	v_and_b32_e32 v9, 0x7f000000, v7
	v_clz_i32_u32_e32 v11, v9
	v_add_nc_u32_e32 v14, 0x1000000, v9
	v_cmp_ne_u32_e64 s0, 0, v9
	s_delay_alu instid0(VALU_DEP_3) | instskip(NEXT) | instid1(VALU_DEP_1)
	v_min_u32_e32 v11, 32, v11
	v_sub_nc_u32_e64 v11, v11, 4 clamp
	s_delay_alu instid0(VALU_DEP_1) | instskip(SKIP_1) | instid1(VALU_DEP_2)
	v_dual_lshlrev_b32 v13, v11, v9 :: v_dual_lshlrev_b32 v11, 23, v11
	v_mov_b32_e32 v9, 0x80
	v_lshrrev_b32_e32 v13, 4, v13
	s_delay_alu instid0(VALU_DEP_1) | instskip(NEXT) | instid1(VALU_DEP_1)
	v_dual_sub_nc_u32 v11, v13, v11 :: v_dual_ashrrev_i32 v13, 8, v14
	v_add_nc_u32_e32 v11, 0x3c000000, v11
	s_delay_alu instid0(VALU_DEP_1) | instskip(NEXT) | instid1(VALU_DEP_1)
	v_and_or_b32 v11, 0x7f800000, v13, v11
	v_cndmask_b32_e64 v13, 0, v11, s0
	s_delay_alu instid0(VALU_DEP_1) | instskip(NEXT) | instid1(VALU_DEP_1)
	v_and_or_b32 v7, 0x80000000, v7, v13
	v_and_b32_e32 v11, 0x7fffffff, v7
	s_wait_xcnt 0x0
	s_delay_alu instid0(VALU_DEP_1)
	v_cmpx_gt_u32_e32 0x43800000, v11
	s_cbranch_execz .LBB297_2520
; %bb.2515:
	v_cmp_lt_u32_e64 s0, 0x3bffffff, v11
                                        ; implicit-def: $vgpr11
	s_and_saveexec_b32 s27, s0
	s_delay_alu instid0(SALU_CYCLE_1)
	s_xor_b32 s0, exec_lo, s27
	s_cbranch_execz .LBB297_2996
; %bb.2516:
	v_bfe_u32 v9, v13, 20, 1
	s_mov_b32 s26, exec_lo
	s_delay_alu instid0(VALU_DEP_1) | instskip(NEXT) | instid1(VALU_DEP_1)
	v_add3_u32 v9, v7, v9, 0x487ffff
	v_lshrrev_b32_e32 v11, 20, v9
	s_and_not1_saveexec_b32 s27, s0
	s_cbranch_execnz .LBB297_2997
.LBB297_2517:
	s_or_b32 exec_lo, exec_lo, s27
	v_mov_b32_e32 v9, 0
	s_and_saveexec_b32 s0, s26
.LBB297_2518:
	v_lshrrev_b32_e32 v7, 24, v7
	s_delay_alu instid0(VALU_DEP_1)
	v_and_or_b32 v9, 0x80, v7, v11
.LBB297_2519:
	s_or_b32 exec_lo, exec_lo, s0
.LBB297_2520:
	s_delay_alu instid0(SALU_CYCLE_1)
	s_or_b32 exec_lo, exec_lo, s25
.LBB297_2521:
	s_delay_alu instid0(SALU_CYCLE_1)
	s_or_b32 exec_lo, exec_lo, s24
.LBB297_2522:
	s_and_not1_saveexec_b32 s23, s23
	s_cbranch_execz .LBB297_2530
; %bb.2523:
	flat_load_u8 v7, v[2:3]
	s_mov_b32 s24, exec_lo
	s_wait_loadcnt_dscnt 0x0
	v_lshlrev_b32_e32 v9, 25, v7
	v_lshlrev_b16 v7, 8, v7
	s_delay_alu instid0(VALU_DEP_1) | instskip(SKIP_1) | instid1(VALU_DEP_2)
	v_and_or_b32 v13, 0x7f00, v7, 0.5
	v_bfe_i32 v7, v7, 0, 16
	v_add_f32_e32 v13, -0.5, v13
	v_lshrrev_b32_e32 v11, 4, v9
	v_cmp_gt_u32_e64 s0, 0x8000000, v9
	v_mov_b32_e32 v9, 0x80
	s_delay_alu instid0(VALU_DEP_3) | instskip(NEXT) | instid1(VALU_DEP_1)
	v_or_b32_e32 v11, 0x70000000, v11
	v_mul_f32_e32 v11, 0x7800000, v11
	s_delay_alu instid0(VALU_DEP_1) | instskip(NEXT) | instid1(VALU_DEP_1)
	v_cndmask_b32_e64 v13, v11, v13, s0
	v_and_or_b32 v7, 0x80000000, v7, v13
	s_delay_alu instid0(VALU_DEP_1) | instskip(SKIP_1) | instid1(VALU_DEP_1)
	v_and_b32_e32 v11, 0x7fffffff, v7
	s_wait_xcnt 0x0
	v_cmpx_gt_u32_e32 0x43800000, v11
	s_cbranch_execz .LBB297_2529
; %bb.2524:
	v_cmp_lt_u32_e64 s0, 0x3bffffff, v11
	s_mov_b32 s25, 0
                                        ; implicit-def: $vgpr11
	s_and_saveexec_b32 s26, s0
	s_delay_alu instid0(SALU_CYCLE_1)
	s_xor_b32 s0, exec_lo, s26
	s_cbranch_execz .LBB297_2917
; %bb.2525:
	v_bfe_u32 v9, v13, 20, 1
	s_mov_b32 s25, exec_lo
	s_delay_alu instid0(VALU_DEP_1) | instskip(NEXT) | instid1(VALU_DEP_1)
	v_add3_u32 v9, v7, v9, 0x487ffff
	v_lshrrev_b32_e32 v11, 20, v9
	s_and_not1_saveexec_b32 s26, s0
	s_cbranch_execnz .LBB297_2918
.LBB297_2526:
	s_or_b32 exec_lo, exec_lo, s26
	v_mov_b32_e32 v9, 0
	s_and_saveexec_b32 s0, s25
.LBB297_2527:
	v_lshrrev_b32_e32 v7, 24, v7
	s_delay_alu instid0(VALU_DEP_1)
	v_and_or_b32 v9, 0x80, v7, v11
.LBB297_2528:
	s_or_b32 exec_lo, exec_lo, s0
.LBB297_2529:
	s_delay_alu instid0(SALU_CYCLE_1)
	s_or_b32 exec_lo, exec_lo, s24
.LBB297_2530:
	s_delay_alu instid0(SALU_CYCLE_1) | instskip(NEXT) | instid1(SALU_CYCLE_1)
	s_or_b32 exec_lo, exec_lo, s23
	s_or_b32 s23, s20, exec_lo
                                        ; implicit-def: $vgpr7
.LBB297_2531:
	s_or_saveexec_b32 s18, s18
	s_mov_b32 s0, 0
	s_mov_b32 s24, s22
	s_xor_b32 exec_lo, exec_lo, s18
	s_cbranch_execz .LBB297_2545
; %bb.2532:
	s_mov_b32 s25, s22
	s_mov_b32 s26, s23
	s_mov_b32 s24, exec_lo
                                        ; implicit-def: $vgpr9
	v_cmpx_lt_i16_e32 14, v7
	s_xor_b32 s24, exec_lo, s24
	s_cbranch_execz .LBB297_2542
; %bb.2533:
	s_mov_b32 s26, -1
	s_mov_b32 s27, s23
	s_mov_b32 s25, exec_lo
                                        ; implicit-def: $vgpr9
	v_cmpx_eq_u16_e32 15, v7
	s_cbranch_execz .LBB297_2541
; %bb.2534:
	flat_load_u16 v7, v[2:3]
	s_wait_loadcnt_dscnt 0x101
	v_mov_b32_e32 v9, 0x80
	s_mov_b32 s26, exec_lo
	s_wait_loadcnt_dscnt 0x0
	v_lshlrev_b32_e32 v13, 16, v7
	s_delay_alu instid0(VALU_DEP_1) | instskip(SKIP_1) | instid1(VALU_DEP_1)
	v_and_b32_e32 v11, 0x7fffffff, v13
	s_wait_xcnt 0x0
	v_cmpx_gt_u32_e32 0x43800000, v11
	s_cbranch_execz .LBB297_2540
; %bb.2535:
	v_cmp_lt_u32_e64 s0, 0x3bffffff, v11
	s_mov_b32 s27, 0
                                        ; implicit-def: $vgpr11
	s_and_saveexec_b32 s28, s0
	s_delay_alu instid0(SALU_CYCLE_1)
	s_xor_b32 s0, exec_lo, s28
	s_cbranch_execz .LBB297_2998
; %bb.2536:
	v_bfe_u32 v9, v7, 4, 1
	s_mov_b32 s27, exec_lo
	s_delay_alu instid0(VALU_DEP_1) | instskip(NEXT) | instid1(VALU_DEP_1)
	v_add3_u32 v9, v13, v9, 0x487ffff
                                        ; implicit-def: $vgpr13
	v_lshrrev_b32_e32 v11, 20, v9
	s_and_not1_saveexec_b32 s28, s0
	s_cbranch_execnz .LBB297_2999
.LBB297_2537:
	s_or_b32 exec_lo, exec_lo, s28
	v_mov_b32_e32 v9, 0
	s_and_saveexec_b32 s0, s27
.LBB297_2538:
	v_lshrrev_b32_e32 v7, 8, v7
	s_delay_alu instid0(VALU_DEP_1)
	v_and_or_b32 v9, 0x80, v7, v11
.LBB297_2539:
	s_or_b32 exec_lo, exec_lo, s0
.LBB297_2540:
	s_delay_alu instid0(SALU_CYCLE_1) | instskip(NEXT) | instid1(SALU_CYCLE_1)
	s_or_b32 exec_lo, exec_lo, s26
	s_or_b32 s27, s23, exec_lo
	s_xor_b32 s26, exec_lo, -1
.LBB297_2541:
	s_or_b32 exec_lo, exec_lo, s25
	s_delay_alu instid0(SALU_CYCLE_1)
	s_and_not1_b32 s0, s23, exec_lo
	s_and_b32 s25, s27, exec_lo
	s_and_not1_b32 s27, s22, exec_lo
	s_and_b32 s28, s26, exec_lo
	s_or_b32 s26, s0, s25
	s_or_b32 s25, s27, s28
                                        ; implicit-def: $vgpr7
.LBB297_2542:
	s_or_saveexec_b32 s24, s24
	s_mov_b32 s27, 0
	s_xor_b32 exec_lo, exec_lo, s24
; %bb.2543:
	v_cmp_ne_u16_e64 s0, 11, v7
	s_and_not1_b32 s25, s25, exec_lo
	s_mov_b32 s27, exec_lo
	s_and_b32 s0, s0, exec_lo
	s_delay_alu instid0(SALU_CYCLE_1)
	s_or_b32 s25, s25, s0
; %bb.2544:
	s_or_b32 exec_lo, exec_lo, s24
	s_delay_alu instid0(SALU_CYCLE_1)
	s_and_not1_b32 s0, s23, exec_lo
	s_and_b32 s23, s26, exec_lo
	s_and_not1_b32 s24, s22, exec_lo
	s_and_b32 s25, s25, exec_lo
	s_or_b32 s23, s0, s23
	s_and_b32 s0, s27, exec_lo
	s_or_b32 s24, s24, s25
.LBB297_2545:
	s_or_b32 exec_lo, exec_lo, s18
	s_delay_alu instid0(SALU_CYCLE_1)
	s_and_not1_b32 s18, s20, exec_lo
	s_and_b32 s20, s23, exec_lo
	s_and_not1_b32 s22, s22, exec_lo
	s_and_b32 s23, s24, exec_lo
	s_or_b32 s20, s18, s20
	s_and_b32 s18, s0, exec_lo
	s_or_b32 s22, s22, s23
	s_or_b32 exec_lo, exec_lo, s21
	s_mov_b32 s21, s15
	s_and_saveexec_b32 s0, s22
	s_cbranch_execz .LBB297_1403
.LBB297_2546:
	s_or_b32 s21, s15, exec_lo
	s_and_not1_b32 s18, s18, exec_lo
	s_trap 2
	s_or_b32 exec_lo, exec_lo, s0
	s_and_saveexec_b32 s0, s18
	s_delay_alu instid0(SALU_CYCLE_1)
	s_xor_b32 s18, exec_lo, s0
	s_cbranch_execnz .LBB297_1404
	s_branch .LBB297_1411
.LBB297_2547:
	s_and_not1_saveexec_b32 s13, s13
	s_cbranch_execz .LBB297_2135
.LBB297_2548:
	v_add_f32_e64 v13, 0x46000000, |v15|
	s_and_not1_b32 s12, s12, exec_lo
	s_delay_alu instid0(VALU_DEP_1) | instskip(NEXT) | instid1(VALU_DEP_1)
	v_and_b32_e32 v19, 0xff, v13
	v_cmp_ne_u32_e32 vcc_lo, 0, v19
	s_and_b32 s14, vcc_lo, exec_lo
	s_delay_alu instid0(SALU_CYCLE_1)
	s_or_b32 s12, s12, s14
	s_or_b32 exec_lo, exec_lo, s13
	v_mov_b32_e32 v13, 0
	s_and_saveexec_b32 s13, s12
	s_cbranch_execnz .LBB297_2136
	s_branch .LBB297_2137
.LBB297_2549:
	s_and_not1_saveexec_b32 s13, s13
	s_cbranch_execz .LBB297_2143
.LBB297_2550:
	v_add_f32_e64 v13, 0x46000000, |v15|
	s_and_not1_b32 s12, s12, exec_lo
	s_delay_alu instid0(VALU_DEP_1) | instskip(NEXT) | instid1(VALU_DEP_1)
	v_and_b32_e32 v19, 0xff, v13
	v_cmp_ne_u32_e32 vcc_lo, 0, v19
	s_and_b32 s14, vcc_lo, exec_lo
	s_delay_alu instid0(SALU_CYCLE_1)
	s_or_b32 s12, s12, s14
	s_or_b32 exec_lo, exec_lo, s13
	v_mov_b32_e32 v13, 0
	s_and_saveexec_b32 s13, s12
	s_cbranch_execnz .LBB297_2144
	s_branch .LBB297_2145
.LBB297_2551:
	s_and_not1_saveexec_b32 s14, s14
	s_cbranch_execz .LBB297_2163
.LBB297_2552:
	v_add_f32_e64 v13, 0x46000000, |v21|
	s_and_not1_b32 s13, s13, exec_lo
	s_delay_alu instid0(VALU_DEP_1) | instskip(NEXT) | instid1(VALU_DEP_1)
	v_and_b32_e32 v19, 0xff, v13
	v_cmp_ne_u32_e32 vcc_lo, 0, v19
	s_and_b32 s15, vcc_lo, exec_lo
	s_delay_alu instid0(SALU_CYCLE_1)
	s_or_b32 s13, s13, s15
	s_or_b32 exec_lo, exec_lo, s14
	v_mov_b32_e32 v13, 0
	s_and_saveexec_b32 s14, s13
	s_cbranch_execnz .LBB297_2164
	s_branch .LBB297_2165
.LBB297_2553:
	s_or_saveexec_b32 s16, s16
	v_mov_b32_e32 v11, 0x7f800001
	s_xor_b32 exec_lo, exec_lo, s16
	s_cbranch_execz .LBB297_2191
.LBB297_2554:
	v_cmp_ne_u16_e64 s0, 0, v9
	v_mov_b32_e32 v11, 0
	s_and_not1_b32 s15, s15, exec_lo
	s_and_b32 s0, s0, exec_lo
	s_delay_alu instid0(SALU_CYCLE_1)
	s_or_b32 s15, s15, s0
	s_or_b32 exec_lo, exec_lo, s16
	s_and_saveexec_b32 s16, s15
	s_cbranch_execnz .LBB297_2192
	s_branch .LBB297_2193
.LBB297_2555:
	s_and_not1_saveexec_b32 s16, s0
	s_cbranch_execz .LBB297_2213
.LBB297_2556:
	v_add_f32_e64 v9, 0x46000000, |v11|
	s_and_not1_b32 s15, s15, exec_lo
	s_delay_alu instid0(VALU_DEP_1) | instskip(NEXT) | instid1(VALU_DEP_1)
	v_and_b32_e32 v13, 0xff, v9
	v_cmp_ne_u32_e64 s0, 0, v13
	s_and_b32 s0, s0, exec_lo
	s_delay_alu instid0(SALU_CYCLE_1)
	s_or_b32 s15, s15, s0
	s_or_b32 exec_lo, exec_lo, s16
	v_mov_b32_e32 v9, 0
	s_and_saveexec_b32 s0, s15
	s_cbranch_execnz .LBB297_2214
	s_branch .LBB297_2215
.LBB297_2557:
	s_and_not1_saveexec_b32 s13, s13
	s_cbranch_execz .LBB297_378
.LBB297_2558:
	v_add_f32_e64 v13, 0x46000000, |v15|
	s_and_not1_b32 s12, s12, exec_lo
	s_delay_alu instid0(VALU_DEP_1) | instskip(NEXT) | instid1(VALU_DEP_1)
	v_and_b32_e32 v19, 0xff, v13
	v_cmp_ne_u32_e32 vcc_lo, 0, v19
	s_and_b32 s14, vcc_lo, exec_lo
	s_delay_alu instid0(SALU_CYCLE_1)
	s_or_b32 s12, s12, s14
	s_or_b32 exec_lo, exec_lo, s13
	v_mov_b32_e32 v13, 0
	s_and_saveexec_b32 s13, s12
	s_cbranch_execnz .LBB297_379
	s_branch .LBB297_380
.LBB297_2559:
	s_and_not1_saveexec_b32 s15, s15
	s_cbranch_execz .LBB297_388
.LBB297_2560:
	v_add_f32_e32 v13, 0x46000000, v19
	s_and_not1_b32 s14, s14, exec_lo
	s_delay_alu instid0(VALU_DEP_1) | instskip(NEXT) | instid1(VALU_DEP_1)
	v_and_b32_e32 v15, 0xff, v13
	v_cmp_ne_u32_e32 vcc_lo, 0, v15
	s_and_b32 s16, vcc_lo, exec_lo
	s_delay_alu instid0(SALU_CYCLE_1)
	s_or_b32 s14, s14, s16
	s_or_b32 exec_lo, exec_lo, s15
	v_mov_b32_e32 v13, 0
	s_and_saveexec_b32 s15, s14
	s_cbranch_execnz .LBB297_389
	s_branch .LBB297_390
.LBB297_2561:
	s_and_not1_saveexec_b32 s18, s0
	s_cbranch_execz .LBB297_605
.LBB297_2562:
	v_add_f32_e32 v9, 0x46000000, v13
	s_and_not1_b32 s17, s17, exec_lo
	s_delay_alu instid0(VALU_DEP_1) | instskip(NEXT) | instid1(VALU_DEP_1)
	v_and_b32_e32 v11, 0xff, v9
	v_cmp_ne_u32_e64 s0, 0, v11
	s_and_b32 s0, s0, exec_lo
	s_delay_alu instid0(SALU_CYCLE_1)
	s_or_b32 s17, s17, s0
	s_or_b32 exec_lo, exec_lo, s18
	v_mov_b32_e32 v9, 0
	s_and_saveexec_b32 s0, s17
	s_cbranch_execnz .LBB297_606
	s_branch .LBB297_607
.LBB297_2563:
	s_and_not1_saveexec_b32 s18, s0
	s_cbranch_execz .LBB297_617
.LBB297_2564:
	v_add_f32_e32 v9, 0x46000000, v13
	s_and_not1_b32 s17, s17, exec_lo
	s_delay_alu instid0(VALU_DEP_1) | instskip(NEXT) | instid1(VALU_DEP_1)
	v_and_b32_e32 v11, 0xff, v9
	v_cmp_ne_u32_e64 s0, 0, v11
	s_and_b32 s0, s0, exec_lo
	s_delay_alu instid0(SALU_CYCLE_1)
	s_or_b32 s17, s17, s0
	s_or_b32 exec_lo, exec_lo, s18
	v_mov_b32_e32 v9, 0
	s_and_saveexec_b32 s0, s17
	s_cbranch_execnz .LBB297_618
	s_branch .LBB297_619
.LBB297_2565:
	s_and_not1_saveexec_b32 s18, s0
	s_cbranch_execz .LBB297_625
.LBB297_2566:
	v_add_f32_e32 v9, 0x46000000, v13
	s_and_not1_b32 s17, s17, exec_lo
	s_delay_alu instid0(VALU_DEP_1) | instskip(NEXT) | instid1(VALU_DEP_1)
	v_and_b32_e32 v11, 0xff, v9
	v_cmp_ne_u32_e64 s0, 0, v11
	s_and_b32 s0, s0, exec_lo
	s_delay_alu instid0(SALU_CYCLE_1)
	s_or_b32 s17, s17, s0
	s_or_b32 exec_lo, exec_lo, s18
	v_mov_b32_e32 v9, 0
	s_and_saveexec_b32 s0, s17
	s_cbranch_execnz .LBB297_626
	s_branch .LBB297_627
.LBB297_2567:
	s_and_not1_saveexec_b32 s17, s0
	s_cbranch_execz .LBB297_652
.LBB297_2568:
	v_add_f32_e64 v9, 0x46000000, |v11|
	s_and_not1_b32 s16, s16, exec_lo
	s_delay_alu instid0(VALU_DEP_1) | instskip(NEXT) | instid1(VALU_DEP_1)
	v_and_b32_e32 v13, 0xff, v9
	v_cmp_ne_u32_e64 s0, 0, v13
	s_and_b32 s0, s0, exec_lo
	s_delay_alu instid0(SALU_CYCLE_1)
	s_or_b32 s16, s16, s0
	s_or_b32 exec_lo, exec_lo, s17
	v_mov_b32_e32 v9, 0
	s_and_saveexec_b32 s0, s16
	s_cbranch_execnz .LBB297_653
	s_branch .LBB297_654
.LBB297_2569:
	s_and_not1_saveexec_b32 s17, s0
	s_cbranch_execz .LBB297_660
.LBB297_2570:
	v_add_f32_e64 v9, 0x46000000, |v11|
	s_and_not1_b32 s16, s16, exec_lo
	s_delay_alu instid0(VALU_DEP_1) | instskip(NEXT) | instid1(VALU_DEP_1)
	v_and_b32_e32 v13, 0xff, v9
	v_cmp_ne_u32_e64 s0, 0, v13
	s_and_b32 s0, s0, exec_lo
	s_delay_alu instid0(SALU_CYCLE_1)
	s_or_b32 s16, s16, s0
	s_or_b32 exec_lo, exec_lo, s17
	v_mov_b32_e32 v9, 0
	s_and_saveexec_b32 s0, s16
	s_cbranch_execnz .LBB297_661
	s_branch .LBB297_662
.LBB297_2571:
	s_and_not1_saveexec_b32 s17, s0
	s_cbranch_execz .LBB297_680
.LBB297_2572:
	v_add_f32_e64 v9, 0x46000000, |v11|
	s_and_not1_b32 s16, s16, exec_lo
	s_delay_alu instid0(VALU_DEP_1) | instskip(NEXT) | instid1(VALU_DEP_1)
	v_and_b32_e32 v13, 0xff, v9
	v_cmp_ne_u32_e64 s0, 0, v13
	s_and_b32 s0, s0, exec_lo
	s_delay_alu instid0(SALU_CYCLE_1)
	s_or_b32 s16, s16, s0
	s_or_b32 exec_lo, exec_lo, s17
	v_mov_b32_e32 v9, 0
	s_and_saveexec_b32 s0, s16
	s_cbranch_execnz .LBB297_681
	s_branch .LBB297_682
.LBB297_2573:
	s_and_not1_saveexec_b32 s17, s0
	s_cbranch_execz .LBB297_688
.LBB297_2574:
	v_add_f32_e64 v9, 0x46000000, |v11|
	s_and_not1_b32 s16, s16, exec_lo
	s_delay_alu instid0(VALU_DEP_1) | instskip(NEXT) | instid1(VALU_DEP_1)
	v_and_b32_e32 v13, 0xff, v9
	v_cmp_ne_u32_e64 s0, 0, v13
	s_and_b32 s0, s0, exec_lo
	s_delay_alu instid0(SALU_CYCLE_1)
	s_or_b32 s16, s16, s0
	s_or_b32 exec_lo, exec_lo, s17
	v_mov_b32_e32 v9, 0
	s_and_saveexec_b32 s0, s16
	s_cbranch_execnz .LBB297_689
	s_branch .LBB297_690
.LBB297_2575:
	s_and_not1_saveexec_b32 s17, s0
	s_cbranch_execz .LBB297_710
.LBB297_2576:
	v_add_f32_e64 v9, 0x46000000, |v11|
	s_and_not1_b32 s16, s16, exec_lo
	s_delay_alu instid0(VALU_DEP_1) | instskip(NEXT) | instid1(VALU_DEP_1)
	v_and_b32_e32 v13, 0xff, v9
	v_cmp_ne_u32_e64 s0, 0, v13
	s_and_b32 s0, s0, exec_lo
	s_delay_alu instid0(SALU_CYCLE_1)
	s_or_b32 s16, s16, s0
	s_or_b32 exec_lo, exec_lo, s17
	v_mov_b32_e32 v9, 0
	s_and_saveexec_b32 s0, s16
	s_cbranch_execnz .LBB297_711
	s_branch .LBB297_712
.LBB297_2577:
	s_and_not1_saveexec_b32 s17, s0
	s_cbranch_execz .LBB297_718
.LBB297_2578:
	v_add_f32_e64 v9, 0x46000000, |v11|
	s_and_not1_b32 s16, s16, exec_lo
	s_delay_alu instid0(VALU_DEP_1) | instskip(NEXT) | instid1(VALU_DEP_1)
	v_and_b32_e32 v13, 0xff, v9
	v_cmp_ne_u32_e64 s0, 0, v13
	s_and_b32 s0, s0, exec_lo
	s_delay_alu instid0(SALU_CYCLE_1)
	s_or_b32 s16, s16, s0
	s_or_b32 exec_lo, exec_lo, s17
	v_mov_b32_e32 v9, 0
	s_and_saveexec_b32 s0, s16
	s_cbranch_execnz .LBB297_719
	s_branch .LBB297_720
.LBB297_2579:
	s_and_not1_saveexec_b32 s18, s0
	s_cbranch_execz .LBB297_847
.LBB297_2580:
	v_add_f32_e64 v11, 0x46000000, |v13|
	s_and_not1_b32 s17, s17, exec_lo
	s_delay_alu instid0(VALU_DEP_1) | instskip(NEXT) | instid1(VALU_DEP_1)
	v_and_b32_e32 v15, 0xff, v11
	v_cmp_ne_u32_e64 s0, 0, v15
	s_and_b32 s0, s0, exec_lo
	s_delay_alu instid0(SALU_CYCLE_1)
	s_or_b32 s17, s17, s0
	s_or_b32 exec_lo, exec_lo, s18
	v_mov_b32_e32 v11, 0
	s_and_saveexec_b32 s0, s17
	s_cbranch_execnz .LBB297_848
	s_branch .LBB297_849
.LBB297_2581:
	s_and_not1_saveexec_b32 s18, s0
	s_cbranch_execz .LBB297_875
.LBB297_2582:
	v_add_f32_e64 v11, 0x46000000, |v13|
	s_and_not1_b32 s17, s17, exec_lo
	s_delay_alu instid0(VALU_DEP_1) | instskip(NEXT) | instid1(VALU_DEP_1)
	v_and_b32_e32 v15, 0xff, v11
	v_cmp_ne_u32_e64 s0, 0, v15
	s_and_b32 s0, s0, exec_lo
	s_delay_alu instid0(SALU_CYCLE_1)
	s_or_b32 s17, s17, s0
	s_or_b32 exec_lo, exec_lo, s18
	v_mov_b32_e32 v11, 0
	s_and_saveexec_b32 s0, s17
	s_cbranch_execnz .LBB297_876
	s_branch .LBB297_877
.LBB297_2583:
	s_and_not1_saveexec_b32 s18, s0
	s_cbranch_execz .LBB297_905
.LBB297_2584:
	v_add_f32_e64 v11, 0x46000000, |v13|
	s_and_not1_b32 s17, s17, exec_lo
	s_delay_alu instid0(VALU_DEP_1) | instskip(NEXT) | instid1(VALU_DEP_1)
	v_and_b32_e32 v15, 0xff, v11
	v_cmp_ne_u32_e64 s0, 0, v15
	s_and_b32 s0, s0, exec_lo
	s_delay_alu instid0(SALU_CYCLE_1)
	s_or_b32 s17, s17, s0
	s_or_b32 exec_lo, exec_lo, s18
	v_mov_b32_e32 v11, 0
	s_and_saveexec_b32 s0, s17
	s_cbranch_execnz .LBB297_906
	s_branch .LBB297_907
.LBB297_2585:
	s_and_not1_saveexec_b32 s18, s0
	s_cbranch_execz .LBB297_915
.LBB297_2586:
	v_add_f32_e64 v11, 0x46000000, |v13|
	s_and_not1_b32 s17, s17, exec_lo
	s_delay_alu instid0(VALU_DEP_1) | instskip(NEXT) | instid1(VALU_DEP_1)
	v_and_b32_e32 v15, 0xff, v11
	v_cmp_ne_u32_e64 s0, 0, v15
	s_and_b32 s0, s0, exec_lo
	s_delay_alu instid0(SALU_CYCLE_1)
	s_or_b32 s17, s17, s0
	s_or_b32 exec_lo, exec_lo, s18
	v_mov_b32_e32 v11, 0
	s_and_saveexec_b32 s0, s17
	s_cbranch_execnz .LBB297_916
	s_branch .LBB297_917
.LBB297_2587:
	s_and_not1_saveexec_b32 s18, s0
	s_cbranch_execz .LBB297_923
.LBB297_2588:
	v_add_f32_e32 v11, 0x46000000, v15
	s_and_not1_b32 s17, s17, exec_lo
	s_delay_alu instid0(VALU_DEP_1) | instskip(NEXT) | instid1(VALU_DEP_1)
	v_and_b32_e32 v13, 0xff, v11
	v_cmp_ne_u32_e64 s0, 0, v13
	s_and_b32 s0, s0, exec_lo
	s_delay_alu instid0(SALU_CYCLE_1)
	s_or_b32 s17, s17, s0
	s_or_b32 exec_lo, exec_lo, s18
	v_mov_b32_e32 v11, 0
	s_and_saveexec_b32 s0, s17
	s_cbranch_execnz .LBB297_924
	s_branch .LBB297_925
.LBB297_2589:
	s_and_not1_saveexec_b32 s21, s0
	s_cbranch_execz .LBB297_1201
.LBB297_2590:
	v_add_f32_e32 v11, 0x46000000, v15
	s_and_not1_b32 s20, s20, exec_lo
	s_delay_alu instid0(VALU_DEP_1) | instskip(NEXT) | instid1(VALU_DEP_1)
	v_and_b32_e32 v13, 0xff, v11
	v_cmp_ne_u32_e64 s0, 0, v13
	s_and_b32 s0, s0, exec_lo
	s_delay_alu instid0(SALU_CYCLE_1)
	s_or_b32 s20, s20, s0
	s_or_b32 exec_lo, exec_lo, s21
	v_mov_b32_e32 v11, 0
	s_and_saveexec_b32 s0, s20
	s_cbranch_execnz .LBB297_1202
	s_branch .LBB297_1203
.LBB297_2591:
	s_and_not1_saveexec_b32 s23, s23
	s_cbranch_execz .LBB297_1580
.LBB297_2592:
	s_mov_b32 s25, s22
	s_mov_b32 s20, exec_lo
                                        ; implicit-def: $vgpr7
	v_cmpx_lt_i16_e32 22, v5
	s_xor_b32 s20, exec_lo, s20
	s_cbranch_execz .LBB297_2626
; %bb.2593:
	s_mov_b32 s25, exec_lo
                                        ; implicit-def: $vgpr7
	v_cmpx_lt_i16_e32 23, v5
	s_xor_b32 s25, exec_lo, s25
	s_cbranch_execz .LBB297_2617
; %bb.2594:
	;; [unrolled: 6-line block ×3, first 2 shown]
	s_wait_loadcnt_dscnt 0x0
	flat_load_u8 v7, v[2:3]
	s_mov_b32 s27, 0
	s_mov_b32 s28, exec_lo
	s_wait_loadcnt_dscnt 0x0
	v_cmpx_lt_i16_e32 0x7f, v7
	s_xor_b32 s28, exec_lo, s28
	s_cbranch_execz .LBB297_3000
; %bb.2596:
	s_mov_b32 s27, -1
	s_mov_b32 s29, exec_lo
	v_cmpx_eq_u16_e32 0x80, v7
; %bb.2597:
	s_xor_b32 s27, exec_lo, -1
; %bb.2598:
	s_or_b32 exec_lo, exec_lo, s29
	s_delay_alu instid0(SALU_CYCLE_1)
	s_and_b32 s27, s27, exec_lo
	s_or_saveexec_b32 s28, s28
	v_mov_b32_e32 v5, 0x7f800001
	s_xor_b32 exec_lo, exec_lo, s28
	s_cbranch_execnz .LBB297_3001
.LBB297_2599:
	s_or_b32 exec_lo, exec_lo, s28
	s_and_saveexec_b32 s28, s27
	s_cbranch_execz .LBB297_2601
.LBB297_2600:
	v_and_b32_e32 v5, 0xffff, v7
	s_delay_alu instid0(VALU_DEP_1) | instskip(SKIP_1) | instid1(VALU_DEP_2)
	v_and_b32_e32 v11, 3, v5
	v_bfe_u32 v14, v5, 2, 5
	v_clz_i32_u32_e32 v12, v11
	s_delay_alu instid0(VALU_DEP_2) | instskip(NEXT) | instid1(VALU_DEP_2)
	v_cmp_eq_u32_e64 s0, 0, v14
	v_min_u32_e32 v12, 32, v12
	s_delay_alu instid0(VALU_DEP_1) | instskip(NEXT) | instid1(VALU_DEP_1)
	v_subrev_nc_u32_e32 v13, 29, v12
	v_dual_lshlrev_b32 v5, v13, v5 :: v_dual_sub_nc_u32 v12, 30, v12
	s_delay_alu instid0(VALU_DEP_1) | instskip(NEXT) | instid1(VALU_DEP_1)
	v_dual_lshlrev_b32 v7, 24, v7 :: v_dual_bitop2_b32 v5, 3, v5 bitop3:0x40
	v_dual_cndmask_b32 v12, v14, v12, s0 :: v_dual_cndmask_b32 v5, v11, v5, s0
	s_delay_alu instid0(VALU_DEP_2) | instskip(NEXT) | instid1(VALU_DEP_2)
	v_and_b32_e32 v7, 0x80000000, v7
	v_lshl_add_u32 v11, v12, 23, 0x37800000
	s_delay_alu instid0(VALU_DEP_3) | instskip(NEXT) | instid1(VALU_DEP_1)
	v_lshlrev_b32_e32 v5, 21, v5
	v_or3_b32 v5, v7, v11, v5
.LBB297_2601:
	s_or_b32 exec_lo, exec_lo, s28
	s_delay_alu instid0(VALU_DEP_1) | instskip(SKIP_2) | instid1(VALU_DEP_2)
	v_and_b32_e32 v11, 0x7fffffff, v5
	v_mov_b32_e32 v7, 0x80
	s_mov_b32 s27, exec_lo
	v_cmpx_gt_u32_e32 0x43800000, v11
	s_cbranch_execz .LBB297_2607
; %bb.2602:
	v_cmp_lt_u32_e64 s0, 0x3bffffff, v11
	s_mov_b32 s28, 0
                                        ; implicit-def: $vgpr11
	s_and_saveexec_b32 s29, s0
	s_delay_alu instid0(SALU_CYCLE_1)
	s_xor_b32 s0, exec_lo, s29
	s_cbranch_execz .LBB297_3028
; %bb.2603:
	v_bfe_u32 v7, v5, 20, 1
	s_mov_b32 s28, exec_lo
	s_delay_alu instid0(VALU_DEP_1) | instskip(NEXT) | instid1(VALU_DEP_1)
	v_add3_u32 v7, v5, v7, 0x487ffff
	v_lshrrev_b32_e32 v11, 20, v7
	s_and_not1_saveexec_b32 s29, s0
	s_cbranch_execnz .LBB297_3029
.LBB297_2604:
	s_or_b32 exec_lo, exec_lo, s29
	v_mov_b32_e32 v7, 0
	s_and_saveexec_b32 s0, s28
.LBB297_2605:
	v_lshrrev_b32_e32 v5, 24, v5
	s_delay_alu instid0(VALU_DEP_1)
	v_and_or_b32 v7, 0x80, v5, v11
.LBB297_2606:
	s_or_b32 exec_lo, exec_lo, s0
.LBB297_2607:
	s_delay_alu instid0(SALU_CYCLE_1)
	s_or_b32 exec_lo, exec_lo, s27
.LBB297_2608:
	s_and_not1_saveexec_b32 s26, s26
	s_cbranch_execz .LBB297_2616
; %bb.2609:
	flat_load_u8 v5, v[2:3]
	s_mov_b32 s28, 0
	s_mov_b32 s27, exec_lo
	s_wait_loadcnt_dscnt 0x0
	v_lshlrev_b32_e32 v5, 24, v5
	s_delay_alu instid0(VALU_DEP_1) | instskip(NEXT) | instid1(VALU_DEP_1)
	v_and_b32_e32 v7, 0x7f000000, v5
	v_clz_i32_u32_e32 v11, v7
	v_add_nc_u32_e32 v13, 0x1000000, v7
	v_cmp_ne_u32_e64 s0, 0, v7
	s_delay_alu instid0(VALU_DEP_3) | instskip(NEXT) | instid1(VALU_DEP_1)
	v_min_u32_e32 v11, 32, v11
	v_sub_nc_u32_e64 v11, v11, 4 clamp
	s_delay_alu instid0(VALU_DEP_1) | instskip(SKIP_1) | instid1(VALU_DEP_2)
	v_lshlrev_b32_e32 v12, v11, v7
	v_lshlrev_b32_e32 v11, 23, v11
	v_dual_mov_b32 v7, 0x80 :: v_dual_lshrrev_b32 v12, 4, v12
	s_delay_alu instid0(VALU_DEP_1) | instskip(NEXT) | instid1(VALU_DEP_1)
	v_dual_sub_nc_u32 v11, v12, v11 :: v_dual_ashrrev_i32 v12, 8, v13
	v_add_nc_u32_e32 v11, 0x3c000000, v11
	s_delay_alu instid0(VALU_DEP_1) | instskip(NEXT) | instid1(VALU_DEP_1)
	v_and_or_b32 v11, 0x7f800000, v12, v11
	v_cndmask_b32_e64 v12, 0, v11, s0
	s_delay_alu instid0(VALU_DEP_1) | instskip(NEXT) | instid1(VALU_DEP_1)
	v_and_or_b32 v5, 0x80000000, v5, v12
	v_and_b32_e32 v11, 0x7fffffff, v5
	s_wait_xcnt 0x0
	s_delay_alu instid0(VALU_DEP_1)
	v_cmpx_gt_u32_e32 0x43800000, v11
	s_cbranch_execz .LBB297_2615
; %bb.2610:
	v_cmp_lt_u32_e64 s0, 0x3bffffff, v11
                                        ; implicit-def: $vgpr11
	s_and_saveexec_b32 s29, s0
	s_delay_alu instid0(SALU_CYCLE_1)
	s_xor_b32 s0, exec_lo, s29
	s_cbranch_execz .LBB297_3030
; %bb.2611:
	v_bfe_u32 v7, v12, 20, 1
	s_mov_b32 s28, exec_lo
	s_delay_alu instid0(VALU_DEP_1) | instskip(NEXT) | instid1(VALU_DEP_1)
	v_add3_u32 v7, v5, v7, 0x487ffff
	v_lshrrev_b32_e32 v11, 20, v7
	s_and_not1_saveexec_b32 s29, s0
	s_cbranch_execnz .LBB297_3031
.LBB297_2612:
	s_or_b32 exec_lo, exec_lo, s29
	v_mov_b32_e32 v7, 0
	s_and_saveexec_b32 s0, s28
.LBB297_2613:
	v_lshrrev_b32_e32 v5, 24, v5
	s_delay_alu instid0(VALU_DEP_1)
	v_and_or_b32 v7, 0x80, v5, v11
.LBB297_2614:
	s_or_b32 exec_lo, exec_lo, s0
.LBB297_2615:
	s_delay_alu instid0(SALU_CYCLE_1)
	s_or_b32 exec_lo, exec_lo, s27
.LBB297_2616:
	s_delay_alu instid0(SALU_CYCLE_1)
	s_or_b32 exec_lo, exec_lo, s26
.LBB297_2617:
	s_and_not1_saveexec_b32 s25, s25
	s_cbranch_execz .LBB297_2625
; %bb.2618:
	flat_load_u8 v5, v[2:3]
	s_mov_b32 s26, exec_lo
	s_wait_loadcnt_dscnt 0x0
	v_lshlrev_b32_e32 v7, 25, v5
	v_lshlrev_b16 v5, 8, v5
	s_delay_alu instid0(VALU_DEP_1) | instskip(SKIP_1) | instid1(VALU_DEP_2)
	v_and_or_b32 v12, 0x7f00, v5, 0.5
	v_bfe_i32 v5, v5, 0, 16
	v_dual_add_f32 v12, -0.5, v12 :: v_dual_lshrrev_b32 v11, 4, v7
	v_cmp_gt_u32_e64 s0, 0x8000000, v7
	v_mov_b32_e32 v7, 0x80
	s_delay_alu instid0(VALU_DEP_3) | instskip(NEXT) | instid1(VALU_DEP_1)
	v_or_b32_e32 v11, 0x70000000, v11
	v_mul_f32_e32 v11, 0x7800000, v11
	s_delay_alu instid0(VALU_DEP_1) | instskip(NEXT) | instid1(VALU_DEP_1)
	v_cndmask_b32_e64 v12, v11, v12, s0
	v_and_or_b32 v5, 0x80000000, v5, v12
	s_delay_alu instid0(VALU_DEP_1) | instskip(SKIP_1) | instid1(VALU_DEP_1)
	v_and_b32_e32 v11, 0x7fffffff, v5
	s_wait_xcnt 0x0
	v_cmpx_gt_u32_e32 0x43800000, v11
	s_cbranch_execz .LBB297_2624
; %bb.2619:
	v_cmp_lt_u32_e64 s0, 0x3bffffff, v11
	s_mov_b32 s27, 0
                                        ; implicit-def: $vgpr11
	s_and_saveexec_b32 s28, s0
	s_delay_alu instid0(SALU_CYCLE_1)
	s_xor_b32 s0, exec_lo, s28
	s_cbranch_execz .LBB297_3002
; %bb.2620:
	v_bfe_u32 v7, v12, 20, 1
	s_mov_b32 s27, exec_lo
	s_delay_alu instid0(VALU_DEP_1) | instskip(NEXT) | instid1(VALU_DEP_1)
	v_add3_u32 v7, v5, v7, 0x487ffff
	v_lshrrev_b32_e32 v11, 20, v7
	s_and_not1_saveexec_b32 s28, s0
	s_cbranch_execnz .LBB297_3003
.LBB297_2621:
	s_or_b32 exec_lo, exec_lo, s28
	v_mov_b32_e32 v7, 0
	s_and_saveexec_b32 s0, s27
.LBB297_2622:
	v_lshrrev_b32_e32 v5, 24, v5
	s_delay_alu instid0(VALU_DEP_1)
	v_and_or_b32 v7, 0x80, v5, v11
.LBB297_2623:
	s_or_b32 exec_lo, exec_lo, s0
.LBB297_2624:
	s_delay_alu instid0(SALU_CYCLE_1)
	s_or_b32 exec_lo, exec_lo, s26
.LBB297_2625:
	s_delay_alu instid0(SALU_CYCLE_1) | instskip(NEXT) | instid1(SALU_CYCLE_1)
	s_or_b32 exec_lo, exec_lo, s25
	s_or_b32 s25, s22, exec_lo
                                        ; implicit-def: $vgpr5
.LBB297_2626:
	s_or_saveexec_b32 s20, s20
	s_mov_b32 s0, 0
	s_mov_b32 s26, s24
	s_xor_b32 exec_lo, exec_lo, s20
	s_cbranch_execz .LBB297_2640
; %bb.2627:
	s_mov_b32 s27, s24
	s_mov_b32 s28, s25
	s_mov_b32 s26, exec_lo
                                        ; implicit-def: $vgpr7
	v_cmpx_lt_i16_e32 14, v5
	s_xor_b32 s26, exec_lo, s26
	s_cbranch_execz .LBB297_2637
; %bb.2628:
	s_mov_b32 s28, -1
	s_mov_b32 s29, s25
	s_mov_b32 s27, exec_lo
                                        ; implicit-def: $vgpr7
	v_cmpx_eq_u16_e32 15, v5
	s_cbranch_execz .LBB297_2636
; %bb.2629:
	flat_load_u16 v5, v[2:3]
	s_mov_b32 s28, exec_lo
	s_wait_loadcnt_dscnt 0x0
	v_dual_mov_b32 v7, 0x80 :: v_dual_lshlrev_b32 v12, 16, v5
	s_delay_alu instid0(VALU_DEP_1) | instskip(SKIP_1) | instid1(VALU_DEP_1)
	v_and_b32_e32 v11, 0x7fffffff, v12
	s_wait_xcnt 0x0
	v_cmpx_gt_u32_e32 0x43800000, v11
	s_cbranch_execz .LBB297_2635
; %bb.2630:
	v_cmp_lt_u32_e64 s0, 0x3bffffff, v11
	s_mov_b32 s29, 0
                                        ; implicit-def: $vgpr11
	s_and_saveexec_b32 s30, s0
	s_delay_alu instid0(SALU_CYCLE_1)
	s_xor_b32 s0, exec_lo, s30
	s_cbranch_execz .LBB297_3032
; %bb.2631:
	v_bfe_u32 v7, v5, 4, 1
	s_mov_b32 s29, exec_lo
	s_delay_alu instid0(VALU_DEP_1) | instskip(NEXT) | instid1(VALU_DEP_1)
	v_add3_u32 v7, v12, v7, 0x487ffff
                                        ; implicit-def: $vgpr12
	v_lshrrev_b32_e32 v11, 20, v7
	s_and_not1_saveexec_b32 s30, s0
	s_cbranch_execnz .LBB297_3033
.LBB297_2632:
	s_or_b32 exec_lo, exec_lo, s30
	v_mov_b32_e32 v7, 0
	s_and_saveexec_b32 s0, s29
.LBB297_2633:
	v_lshrrev_b32_e32 v5, 8, v5
	s_delay_alu instid0(VALU_DEP_1)
	v_and_or_b32 v7, 0x80, v5, v11
.LBB297_2634:
	s_or_b32 exec_lo, exec_lo, s0
.LBB297_2635:
	s_delay_alu instid0(SALU_CYCLE_1) | instskip(NEXT) | instid1(SALU_CYCLE_1)
	s_or_b32 exec_lo, exec_lo, s28
	s_or_b32 s29, s25, exec_lo
	s_xor_b32 s28, exec_lo, -1
.LBB297_2636:
	s_or_b32 exec_lo, exec_lo, s27
	s_delay_alu instid0(SALU_CYCLE_1)
	s_and_not1_b32 s0, s25, exec_lo
	s_and_b32 s27, s29, exec_lo
	s_and_not1_b32 s29, s24, exec_lo
	s_and_b32 s30, s28, exec_lo
	s_or_b32 s28, s0, s27
	s_or_b32 s27, s29, s30
                                        ; implicit-def: $vgpr5
.LBB297_2637:
	s_or_saveexec_b32 s26, s26
	s_mov_b32 s29, 0
	s_xor_b32 exec_lo, exec_lo, s26
; %bb.2638:
	v_cmp_ne_u16_e64 s0, 11, v5
	s_and_not1_b32 s27, s27, exec_lo
	s_mov_b32 s29, exec_lo
	s_and_b32 s0, s0, exec_lo
	s_delay_alu instid0(SALU_CYCLE_1)
	s_or_b32 s27, s27, s0
; %bb.2639:
	s_or_b32 exec_lo, exec_lo, s26
	s_delay_alu instid0(SALU_CYCLE_1)
	s_and_not1_b32 s0, s25, exec_lo
	s_and_b32 s25, s28, exec_lo
	s_and_not1_b32 s26, s24, exec_lo
	s_and_b32 s27, s27, exec_lo
	s_or_b32 s25, s0, s25
	s_and_b32 s0, s29, exec_lo
	s_or_b32 s26, s26, s27
.LBB297_2640:
	s_or_b32 exec_lo, exec_lo, s20
	s_delay_alu instid0(SALU_CYCLE_1)
	s_and_not1_b32 s20, s22, exec_lo
	s_and_b32 s22, s25, exec_lo
	s_and_not1_b32 s24, s24, exec_lo
	s_and_b32 s25, s26, exec_lo
	s_or_b32 s22, s20, s22
	s_and_b32 s20, s0, exec_lo
	s_or_b32 s24, s24, s25
	s_or_b32 exec_lo, exec_lo, s23
	s_mov_b32 s23, s18
	s_and_saveexec_b32 s0, s24
	s_cbranch_execz .LBB297_1581
.LBB297_2641:
	s_or_b32 s23, s18, exec_lo
	s_and_not1_b32 s20, s20, exec_lo
	s_trap 2
	s_or_b32 exec_lo, exec_lo, s0
	s_and_saveexec_b32 s0, s20
	s_delay_alu instid0(SALU_CYCLE_1)
	s_xor_b32 s20, exec_lo, s0
	s_cbranch_execnz .LBB297_1582
	s_branch .LBB297_1589
.LBB297_2642:
	s_and_not1_saveexec_b32 s17, s0
	s_cbranch_execz .LBB297_2196
.LBB297_2643:
	v_add_f32_e64 v9, 0x46000000, |v11|
	s_and_not1_b32 s16, s16, exec_lo
	s_delay_alu instid0(VALU_DEP_1) | instskip(NEXT) | instid1(VALU_DEP_1)
	v_and_b32_e32 v13, 0xff, v9
	v_cmp_ne_u32_e64 s0, 0, v13
	s_and_b32 s0, s0, exec_lo
	s_delay_alu instid0(SALU_CYCLE_1)
	s_or_b32 s16, s16, s0
	s_or_b32 exec_lo, exec_lo, s17
	v_mov_b32_e32 v9, 0
	s_and_saveexec_b32 s0, s16
	s_cbranch_execnz .LBB297_2197
	s_branch .LBB297_2198
.LBB297_2644:
	s_and_not1_saveexec_b32 s17, s0
	s_cbranch_execz .LBB297_2204
.LBB297_2645:
	v_add_f32_e64 v9, 0x46000000, |v11|
	s_and_not1_b32 s16, s16, exec_lo
	s_delay_alu instid0(VALU_DEP_1) | instskip(NEXT) | instid1(VALU_DEP_1)
	v_and_b32_e32 v13, 0xff, v9
	v_cmp_ne_u32_e64 s0, 0, v13
	s_and_b32 s0, s0, exec_lo
	s_delay_alu instid0(SALU_CYCLE_1)
	s_or_b32 s16, s16, s0
	s_or_b32 exec_lo, exec_lo, s17
	v_mov_b32_e32 v9, 0
	s_and_saveexec_b32 s0, s16
	s_cbranch_execnz .LBB297_2205
	s_branch .LBB297_2206
.LBB297_2646:
	s_and_not1_saveexec_b32 s18, s0
	s_cbranch_execz .LBB297_2224
.LBB297_2647:
	v_add_f32_e64 v9, 0x46000000, |v15|
	s_and_not1_b32 s17, s17, exec_lo
	s_delay_alu instid0(VALU_DEP_1) | instskip(NEXT) | instid1(VALU_DEP_1)
	v_and_b32_e32 v13, 0xff, v9
	v_cmp_ne_u32_e64 s0, 0, v13
	s_and_b32 s0, s0, exec_lo
	s_delay_alu instid0(SALU_CYCLE_1)
	s_or_b32 s17, s17, s0
	s_or_b32 exec_lo, exec_lo, s18
	v_mov_b32_e32 v9, 0
	s_and_saveexec_b32 s0, s17
	s_cbranch_execnz .LBB297_2225
	s_branch .LBB297_2226
.LBB297_2648:
	s_or_saveexec_b32 s18, s18
	v_mov_b32_e32 v13, 0x7f800001
	s_xor_b32 exec_lo, exec_lo, s18
	s_cbranch_execz .LBB297_2244
.LBB297_2649:
	v_cmp_ne_u16_e64 s0, 0, v11
	v_mov_b32_e32 v13, 0
	s_and_not1_b32 s17, s17, exec_lo
	s_and_b32 s0, s0, exec_lo
	s_delay_alu instid0(SALU_CYCLE_1)
	s_or_b32 s17, s17, s0
	s_or_b32 exec_lo, exec_lo, s18
	s_and_saveexec_b32 s18, s17
	s_cbranch_execnz .LBB297_2245
	s_branch .LBB297_2246
.LBB297_2650:
	s_and_not1_saveexec_b32 s18, s0
	s_cbranch_execz .LBB297_2266
.LBB297_2651:
	v_add_f32_e64 v11, 0x46000000, |v13|
	s_and_not1_b32 s17, s17, exec_lo
	s_delay_alu instid0(VALU_DEP_1) | instskip(NEXT) | instid1(VALU_DEP_1)
	v_and_b32_e32 v15, 0xff, v11
	v_cmp_ne_u32_e64 s0, 0, v15
	s_and_b32 s0, s0, exec_lo
	s_delay_alu instid0(SALU_CYCLE_1)
	s_or_b32 s17, s17, s0
	s_or_b32 exec_lo, exec_lo, s18
	v_mov_b32_e32 v11, 0
	s_and_saveexec_b32 s0, s17
	s_cbranch_execnz .LBB297_2267
	s_branch .LBB297_2268
.LBB297_2652:
	s_and_not1_saveexec_b32 s17, s0
	s_cbranch_execz .LBB297_584
.LBB297_2653:
	v_add_f32_e64 v9, 0x46000000, |v11|
	s_and_not1_b32 s16, s16, exec_lo
	s_delay_alu instid0(VALU_DEP_1) | instskip(NEXT) | instid1(VALU_DEP_1)
	v_and_b32_e32 v13, 0xff, v9
	v_cmp_ne_u32_e64 s0, 0, v13
	s_and_b32 s0, s0, exec_lo
	s_delay_alu instid0(SALU_CYCLE_1)
	s_or_b32 s16, s16, s0
	s_or_b32 exec_lo, exec_lo, s17
	v_mov_b32_e32 v9, 0
	s_and_saveexec_b32 s0, s16
	s_cbranch_execnz .LBB297_585
	s_branch .LBB297_586
.LBB297_2654:
	s_and_not1_saveexec_b32 s19, s0
	s_cbranch_execz .LBB297_594
.LBB297_2655:
	v_add_f32_e32 v9, 0x46000000, v13
	s_and_not1_b32 s18, s18, exec_lo
	s_delay_alu instid0(VALU_DEP_1) | instskip(NEXT) | instid1(VALU_DEP_1)
	v_and_b32_e32 v11, 0xff, v9
	v_cmp_ne_u32_e64 s0, 0, v11
	s_and_b32 s0, s0, exec_lo
	s_delay_alu instid0(SALU_CYCLE_1)
	s_or_b32 s18, s18, s0
	s_or_b32 exec_lo, exec_lo, s19
	v_mov_b32_e32 v9, 0
	s_and_saveexec_b32 s0, s18
	s_cbranch_execnz .LBB297_595
	s_branch .LBB297_596
.LBB297_2656:
	s_and_not1_saveexec_b32 s20, s0
	s_cbranch_execz .LBB297_783
.LBB297_2657:
	v_add_f32_e32 v11, 0x46000000, v15
	s_and_not1_b32 s19, s19, exec_lo
	s_delay_alu instid0(VALU_DEP_1) | instskip(NEXT) | instid1(VALU_DEP_1)
	v_and_b32_e32 v13, 0xff, v11
	v_cmp_ne_u32_e64 s0, 0, v13
	s_and_b32 s0, s0, exec_lo
	s_delay_alu instid0(SALU_CYCLE_1)
	s_or_b32 s19, s19, s0
	s_or_b32 exec_lo, exec_lo, s20
	v_mov_b32_e32 v11, 0
	s_and_saveexec_b32 s0, s19
	s_cbranch_execnz .LBB297_784
	s_branch .LBB297_785
.LBB297_2658:
	s_and_not1_saveexec_b32 s20, s0
	s_cbranch_execz .LBB297_795
.LBB297_2659:
	v_add_f32_e32 v11, 0x46000000, v15
	s_and_not1_b32 s19, s19, exec_lo
	s_delay_alu instid0(VALU_DEP_1) | instskip(NEXT) | instid1(VALU_DEP_1)
	v_and_b32_e32 v13, 0xff, v11
	v_cmp_ne_u32_e64 s0, 0, v13
	s_and_b32 s0, s0, exec_lo
	s_delay_alu instid0(SALU_CYCLE_1)
	s_or_b32 s19, s19, s0
	s_or_b32 exec_lo, exec_lo, s20
	v_mov_b32_e32 v11, 0
	s_and_saveexec_b32 s0, s19
	s_cbranch_execnz .LBB297_796
	s_branch .LBB297_797
.LBB297_2660:
	s_and_not1_saveexec_b32 s20, s0
	s_cbranch_execz .LBB297_803
.LBB297_2661:
	v_add_f32_e32 v11, 0x46000000, v15
	s_and_not1_b32 s19, s19, exec_lo
	s_delay_alu instid0(VALU_DEP_1) | instskip(NEXT) | instid1(VALU_DEP_1)
	v_and_b32_e32 v13, 0xff, v11
	v_cmp_ne_u32_e64 s0, 0, v13
	s_and_b32 s0, s0, exec_lo
	s_delay_alu instid0(SALU_CYCLE_1)
	s_or_b32 s19, s19, s0
	s_or_b32 exec_lo, exec_lo, s20
	v_mov_b32_e32 v11, 0
	s_and_saveexec_b32 s0, s19
	s_cbranch_execnz .LBB297_804
	s_branch .LBB297_805
.LBB297_2662:
	s_and_not1_saveexec_b32 s19, s0
	s_cbranch_execz .LBB297_830
.LBB297_2663:
	v_add_f32_e64 v11, 0x46000000, |v13|
	s_and_not1_b32 s18, s18, exec_lo
	s_delay_alu instid0(VALU_DEP_1) | instskip(NEXT) | instid1(VALU_DEP_1)
	v_and_b32_e32 v15, 0xff, v11
	v_cmp_ne_u32_e64 s0, 0, v15
	s_and_b32 s0, s0, exec_lo
	s_delay_alu instid0(SALU_CYCLE_1)
	s_or_b32 s18, s18, s0
	s_or_b32 exec_lo, exec_lo, s19
	v_mov_b32_e32 v11, 0
	s_and_saveexec_b32 s0, s18
	s_cbranch_execnz .LBB297_831
	s_branch .LBB297_832
.LBB297_2664:
	s_and_not1_saveexec_b32 s19, s0
	s_cbranch_execz .LBB297_838
.LBB297_2665:
	v_add_f32_e64 v11, 0x46000000, |v13|
	s_and_not1_b32 s18, s18, exec_lo
	s_delay_alu instid0(VALU_DEP_1) | instskip(NEXT) | instid1(VALU_DEP_1)
	v_and_b32_e32 v15, 0xff, v11
	v_cmp_ne_u32_e64 s0, 0, v15
	s_and_b32 s0, s0, exec_lo
	s_delay_alu instid0(SALU_CYCLE_1)
	s_or_b32 s18, s18, s0
	s_or_b32 exec_lo, exec_lo, s19
	v_mov_b32_e32 v11, 0
	s_and_saveexec_b32 s0, s18
	s_cbranch_execnz .LBB297_839
	s_branch .LBB297_840
.LBB297_2666:
	s_and_not1_saveexec_b32 s19, s0
	s_cbranch_execz .LBB297_858
.LBB297_2667:
	v_add_f32_e64 v11, 0x46000000, |v13|
	s_and_not1_b32 s18, s18, exec_lo
	s_delay_alu instid0(VALU_DEP_1) | instskip(NEXT) | instid1(VALU_DEP_1)
	v_and_b32_e32 v15, 0xff, v11
	v_cmp_ne_u32_e64 s0, 0, v15
	s_and_b32 s0, s0, exec_lo
	s_delay_alu instid0(SALU_CYCLE_1)
	s_or_b32 s18, s18, s0
	s_or_b32 exec_lo, exec_lo, s19
	v_mov_b32_e32 v11, 0
	s_and_saveexec_b32 s0, s18
	s_cbranch_execnz .LBB297_859
	s_branch .LBB297_860
.LBB297_2668:
	s_and_not1_saveexec_b32 s19, s0
	s_cbranch_execz .LBB297_866
.LBB297_2669:
	v_add_f32_e64 v11, 0x46000000, |v13|
	s_and_not1_b32 s18, s18, exec_lo
	s_delay_alu instid0(VALU_DEP_1) | instskip(NEXT) | instid1(VALU_DEP_1)
	v_and_b32_e32 v15, 0xff, v11
	v_cmp_ne_u32_e64 s0, 0, v15
	s_and_b32 s0, s0, exec_lo
	s_delay_alu instid0(SALU_CYCLE_1)
	s_or_b32 s18, s18, s0
	s_or_b32 exec_lo, exec_lo, s19
	v_mov_b32_e32 v11, 0
	s_and_saveexec_b32 s0, s18
	s_cbranch_execnz .LBB297_867
	s_branch .LBB297_868
.LBB297_2670:
	s_and_not1_saveexec_b32 s19, s0
	s_cbranch_execz .LBB297_888
.LBB297_2671:
	v_add_f32_e64 v11, 0x46000000, |v13|
	s_and_not1_b32 s18, s18, exec_lo
	s_delay_alu instid0(VALU_DEP_1) | instskip(NEXT) | instid1(VALU_DEP_1)
	v_and_b32_e32 v15, 0xff, v11
	v_cmp_ne_u32_e64 s0, 0, v15
	s_and_b32 s0, s0, exec_lo
	s_delay_alu instid0(SALU_CYCLE_1)
	s_or_b32 s18, s18, s0
	s_or_b32 exec_lo, exec_lo, s19
	v_mov_b32_e32 v11, 0
	s_and_saveexec_b32 s0, s18
	s_cbranch_execnz .LBB297_889
	s_branch .LBB297_890
.LBB297_2672:
	s_and_not1_saveexec_b32 s19, s0
	s_cbranch_execz .LBB297_896
.LBB297_2673:
	v_add_f32_e64 v11, 0x46000000, |v13|
	s_and_not1_b32 s18, s18, exec_lo
	s_delay_alu instid0(VALU_DEP_1) | instskip(NEXT) | instid1(VALU_DEP_1)
	v_and_b32_e32 v15, 0xff, v11
	v_cmp_ne_u32_e64 s0, 0, v15
	s_and_b32 s0, s0, exec_lo
	s_delay_alu instid0(SALU_CYCLE_1)
	s_or_b32 s18, s18, s0
	s_or_b32 exec_lo, exec_lo, s19
	v_mov_b32_e32 v11, 0
	s_and_saveexec_b32 s0, s18
	s_cbranch_execnz .LBB297_897
	s_branch .LBB297_898
.LBB297_2674:
	s_and_not1_saveexec_b32 s21, s0
	s_cbranch_execz .LBB297_1053
.LBB297_2675:
	v_add_f32_e64 v9, 0x46000000, |v11|
	s_and_not1_b32 s20, s20, exec_lo
	s_delay_alu instid0(VALU_DEP_1) | instskip(NEXT) | instid1(VALU_DEP_1)
	v_and_b32_e32 v13, 0xff, v9
	v_cmp_ne_u32_e64 s0, 0, v13
	s_and_b32 s0, s0, exec_lo
	s_delay_alu instid0(SALU_CYCLE_1)
	s_or_b32 s20, s20, s0
	s_or_b32 exec_lo, exec_lo, s21
	v_mov_b32_e32 v9, 0
	s_and_saveexec_b32 s0, s20
	s_cbranch_execnz .LBB297_1054
	s_branch .LBB297_1055
.LBB297_2676:
	s_and_not1_saveexec_b32 s21, s0
	s_cbranch_execz .LBB297_1081
.LBB297_2677:
	v_add_f32_e64 v9, 0x46000000, |v11|
	s_and_not1_b32 s20, s20, exec_lo
	s_delay_alu instid0(VALU_DEP_1) | instskip(NEXT) | instid1(VALU_DEP_1)
	v_and_b32_e32 v13, 0xff, v9
	v_cmp_ne_u32_e64 s0, 0, v13
	s_and_b32 s0, s0, exec_lo
	s_delay_alu instid0(SALU_CYCLE_1)
	s_or_b32 s20, s20, s0
	s_or_b32 exec_lo, exec_lo, s21
	v_mov_b32_e32 v9, 0
	s_and_saveexec_b32 s0, s20
	s_cbranch_execnz .LBB297_1082
	s_branch .LBB297_1083
.LBB297_2678:
	s_and_not1_saveexec_b32 s21, s0
	s_cbranch_execz .LBB297_1111
.LBB297_2679:
	v_add_f32_e64 v9, 0x46000000, |v11|
	s_and_not1_b32 s20, s20, exec_lo
	s_delay_alu instid0(VALU_DEP_1) | instskip(NEXT) | instid1(VALU_DEP_1)
	v_and_b32_e32 v13, 0xff, v9
	v_cmp_ne_u32_e64 s0, 0, v13
	s_and_b32 s0, s0, exec_lo
	s_delay_alu instid0(SALU_CYCLE_1)
	s_or_b32 s20, s20, s0
	s_or_b32 exec_lo, exec_lo, s21
	v_mov_b32_e32 v9, 0
	s_and_saveexec_b32 s0, s20
	s_cbranch_execnz .LBB297_1112
	s_branch .LBB297_1113
.LBB297_2680:
	s_and_not1_saveexec_b32 s21, s0
	s_cbranch_execz .LBB297_1121
.LBB297_2681:
	v_add_f32_e64 v9, 0x46000000, |v11|
	s_and_not1_b32 s20, s20, exec_lo
	s_delay_alu instid0(VALU_DEP_1) | instskip(NEXT) | instid1(VALU_DEP_1)
	v_and_b32_e32 v13, 0xff, v9
	v_cmp_ne_u32_e64 s0, 0, v13
	s_and_b32 s0, s0, exec_lo
	s_delay_alu instid0(SALU_CYCLE_1)
	s_or_b32 s20, s20, s0
	s_or_b32 exec_lo, exec_lo, s21
	v_mov_b32_e32 v9, 0
	s_and_saveexec_b32 s0, s20
	s_cbranch_execnz .LBB297_1122
	s_branch .LBB297_1123
.LBB297_2682:
	s_and_not1_saveexec_b32 s21, s0
	s_cbranch_execz .LBB297_1129
.LBB297_2683:
	v_add_f32_e32 v9, 0x46000000, v13
	s_and_not1_b32 s20, s20, exec_lo
	s_delay_alu instid0(VALU_DEP_1) | instskip(NEXT) | instid1(VALU_DEP_1)
	v_and_b32_e32 v11, 0xff, v9
	v_cmp_ne_u32_e64 s0, 0, v11
	s_and_b32 s0, s0, exec_lo
	s_delay_alu instid0(SALU_CYCLE_1)
	s_or_b32 s20, s20, s0
	s_or_b32 exec_lo, exec_lo, s21
	v_mov_b32_e32 v9, 0
	s_and_saveexec_b32 s0, s20
	s_cbranch_execnz .LBB297_1130
	s_branch .LBB297_1131
.LBB297_2684:
	s_and_not1_saveexec_b32 s24, s0
	s_cbranch_execz .LBB297_1407
.LBB297_2685:
	v_add_f32_e32 v2, 0x46000000, v3
	s_and_not1_b32 s23, s23, exec_lo
	s_delay_alu instid0(VALU_DEP_1) | instskip(NEXT) | instid1(VALU_DEP_1)
	v_and_b32_e32 v2, 0xff, v2
	v_cmp_ne_u32_e64 s0, 0, v2
	s_and_b32 s0, s0, exec_lo
	s_delay_alu instid0(SALU_CYCLE_1)
	s_or_b32 s23, s23, s0
	s_or_b32 exec_lo, exec_lo, s24
	v_mov_b32_e32 v9, 0
	s_and_saveexec_b32 s0, s23
	s_cbranch_execnz .LBB297_1408
	s_branch .LBB297_1409
.LBB297_2686:
	s_or_saveexec_b32 s23, s23
	v_mov_b32_e32 v2, 0x7f800001
	s_xor_b32 exec_lo, exec_lo, s23
	s_cbranch_execz .LBB297_1704
.LBB297_2687:
	v_cmp_ne_u16_e32 vcc_lo, 0, v3
	v_mov_b32_e32 v2, 0
	s_and_not1_b32 s21, s21, exec_lo
	s_and_b32 s24, vcc_lo, exec_lo
	s_delay_alu instid0(SALU_CYCLE_1)
	s_or_b32 s21, s21, s24
	s_or_b32 exec_lo, exec_lo, s23
	s_and_saveexec_b32 s23, s21
	s_cbranch_execnz .LBB297_1705
	s_branch .LBB297_1706
.LBB297_2688:
	s_or_saveexec_b32 s23, s23
	v_mov_b32_e32 v3, 0x7f800001
	s_xor_b32 exec_lo, exec_lo, s23
	s_cbranch_execz .LBB297_1710
.LBB297_2689:
	v_cmp_ne_u16_e32 vcc_lo, 0, v5
	v_mov_b32_e32 v3, 0
	s_and_not1_b32 s21, s21, exec_lo
	s_and_b32 s24, vcc_lo, exec_lo
	s_delay_alu instid0(SALU_CYCLE_1)
	s_or_b32 s21, s21, s24
	s_or_b32 exec_lo, exec_lo, s23
	s_and_saveexec_b32 s23, s21
	s_cbranch_execnz .LBB297_1711
	s_branch .LBB297_1712
.LBB297_2690:
	s_or_saveexec_b32 s24, s24
	v_mov_b32_e32 v2, 0x7f800001
	s_xor_b32 exec_lo, exec_lo, s24
	s_cbranch_execz .LBB297_1718
.LBB297_2691:
	v_cmp_ne_u16_e32 vcc_lo, 0, v3
	v_mov_b32_e32 v2, 0
	s_and_not1_b32 s23, s23, exec_lo
	s_and_b32 s25, vcc_lo, exec_lo
	s_delay_alu instid0(SALU_CYCLE_1)
	s_or_b32 s23, s23, s25
	s_or_b32 exec_lo, exec_lo, s24
	s_and_saveexec_b32 s24, s23
	s_cbranch_execnz .LBB297_1719
	s_branch .LBB297_1720
.LBB297_2692:
	s_or_saveexec_b32 s24, s24
	v_mov_b32_e32 v3, 0x7f800001
	s_xor_b32 exec_lo, exec_lo, s24
	s_cbranch_execz .LBB297_1724
.LBB297_2693:
	v_cmp_ne_u16_e32 vcc_lo, 0, v5
	v_mov_b32_e32 v3, 0
	s_and_not1_b32 s23, s23, exec_lo
	s_and_b32 s25, vcc_lo, exec_lo
	s_delay_alu instid0(SALU_CYCLE_1)
	s_or_b32 s23, s23, s25
	s_or_b32 exec_lo, exec_lo, s24
	s_and_saveexec_b32 s24, s23
	s_cbranch_execnz .LBB297_1725
	s_branch .LBB297_1726
.LBB297_2694:
	s_and_not1_saveexec_b32 s26, s26
	s_cbranch_execz .LBB297_1764
.LBB297_2695:
	s_mov_b32 s27, s0
	s_mov_b32 s25, exec_lo
	v_cmpx_lt_i16_e32 22, v5
	s_xor_b32 s25, exec_lo, s25
	s_cbranch_execz .LBB297_2727
; %bb.2696:
	s_mov_b32 s27, exec_lo
	v_cmpx_lt_i16_e32 23, v5
	s_xor_b32 s27, exec_lo, s27
	s_cbranch_execz .LBB297_2716
; %bb.2697:
	;; [unrolled: 5-line block ×3, first 2 shown]
	s_wait_dscnt 0x0
	v_cndmask_b32_e64 v7, 0, 1.0, s9
	v_mov_b32_e32 v9, 0x80
	s_mov_b32 s29, exec_lo
	s_delay_alu instid0(VALU_DEP_2)
	v_cmpx_gt_u32_e32 0x47800000, v7
	s_cbranch_execz .LBB297_2704
; %bb.2699:
	s_mov_b32 s30, 0
	s_mov_b32 s31, exec_lo
                                        ; implicit-def: $vgpr5
	v_cmpx_lt_u32_e32 0x37ffffff, v7
	s_xor_b32 s31, exec_lo, s31
	s_cbranch_execz .LBB297_3040
; %bb.2700:
	v_bfe_u32 v5, v7, 21, 1
	s_mov_b32 s30, exec_lo
	s_delay_alu instid0(VALU_DEP_1) | instskip(NEXT) | instid1(VALU_DEP_1)
	v_add3_u32 v5, v7, v5, 0x88fffff
                                        ; implicit-def: $vgpr7
	v_lshrrev_b32_e32 v5, 21, v5
	s_and_not1_saveexec_b32 s31, s31
	s_cbranch_execnz .LBB297_3041
.LBB297_2701:
	s_or_b32 exec_lo, exec_lo, s31
	v_mov_b32_e32 v9, 0
	s_and_saveexec_b32 s31, s30
.LBB297_2702:
	v_mov_b32_e32 v9, v5
.LBB297_2703:
	s_or_b32 exec_lo, exec_lo, s31
.LBB297_2704:
	s_delay_alu instid0(SALU_CYCLE_1)
	s_or_b32 exec_lo, exec_lo, s29
	flat_store_b8 v[2:3], v9
.LBB297_2705:
	s_wait_xcnt 0x0
	s_and_not1_saveexec_b32 s28, s28
	s_cbranch_execz .LBB297_2715
; %bb.2706:
	s_wait_dscnt 0x0
	v_cndmask_b32_e64 v7, 0, 1.0, s9
	s_mov_b32 s29, exec_lo
                                        ; implicit-def: $vgpr5
	s_delay_alu instid0(VALU_DEP_1)
	v_cmpx_gt_u32_e32 0x43f00000, v7
	s_xor_b32 s29, exec_lo, s29
	s_cbranch_execz .LBB297_2712
; %bb.2707:
	s_mov_b32 s30, exec_lo
                                        ; implicit-def: $vgpr5
	v_cmpx_lt_u32_e32 0x3c7fffff, v7
	s_xor_b32 s30, exec_lo, s30
; %bb.2708:
	v_bfe_u32 v5, v7, 20, 1
	s_delay_alu instid0(VALU_DEP_1) | instskip(NEXT) | instid1(VALU_DEP_1)
	v_add3_u32 v5, v7, v5, 0x407ffff
	v_and_b32_e32 v7, 0xff00000, v5
	v_lshrrev_b32_e32 v5, 20, v5
	s_delay_alu instid0(VALU_DEP_2) | instskip(NEXT) | instid1(VALU_DEP_2)
	v_cmp_ne_u32_e32 vcc_lo, 0x7f00000, v7
                                        ; implicit-def: $vgpr7
	v_cndmask_b32_e32 v5, 0x7e, v5, vcc_lo
; %bb.2709:
	s_and_not1_saveexec_b32 s30, s30
; %bb.2710:
	v_add_f32_e32 v5, 0x46800000, v7
; %bb.2711:
	s_or_b32 exec_lo, exec_lo, s30
                                        ; implicit-def: $vgpr7
.LBB297_2712:
	s_and_not1_saveexec_b32 s29, s29
; %bb.2713:
	v_mov_b32_e32 v5, 0x7f
	v_cmp_lt_u32_e32 vcc_lo, 0x7f800000, v7
	s_delay_alu instid0(VALU_DEP_2)
	v_cndmask_b32_e32 v5, 0x7e, v5, vcc_lo
; %bb.2714:
	s_or_b32 exec_lo, exec_lo, s29
	flat_store_b8 v[2:3], v5
.LBB297_2715:
	s_wait_xcnt 0x0
	s_or_b32 exec_lo, exec_lo, s28
.LBB297_2716:
	s_and_not1_saveexec_b32 s27, s27
	s_cbranch_execz .LBB297_2726
; %bb.2717:
	s_wait_dscnt 0x0
	v_cndmask_b32_e64 v7, 0, 1.0, s9
	s_mov_b32 s28, exec_lo
                                        ; implicit-def: $vgpr5
	s_delay_alu instid0(VALU_DEP_1)
	v_cmpx_gt_u32_e32 0x47800000, v7
	s_xor_b32 s28, exec_lo, s28
	s_cbranch_execz .LBB297_2723
; %bb.2718:
	s_mov_b32 s29, exec_lo
                                        ; implicit-def: $vgpr5
	v_cmpx_lt_u32_e32 0x387fffff, v7
	s_xor_b32 s29, exec_lo, s29
; %bb.2719:
	v_bfe_u32 v5, v7, 21, 1
	s_delay_alu instid0(VALU_DEP_1) | instskip(NEXT) | instid1(VALU_DEP_1)
	v_add3_u32 v5, v7, v5, 0x80fffff
                                        ; implicit-def: $vgpr7
	v_lshrrev_b32_e32 v5, 21, v5
; %bb.2720:
	s_and_not1_saveexec_b32 s29, s29
; %bb.2721:
	v_add_f32_e32 v5, 0x43000000, v7
; %bb.2722:
	s_or_b32 exec_lo, exec_lo, s29
                                        ; implicit-def: $vgpr7
.LBB297_2723:
	s_and_not1_saveexec_b32 s28, s28
; %bb.2724:
	v_mov_b32_e32 v5, 0x7f
	v_cmp_lt_u32_e32 vcc_lo, 0x7f800000, v7
	s_delay_alu instid0(VALU_DEP_2)
	v_cndmask_b32_e32 v5, 0x7c, v5, vcc_lo
; %bb.2725:
	s_or_b32 exec_lo, exec_lo, s28
	flat_store_b8 v[2:3], v5
.LBB297_2726:
	s_wait_xcnt 0x0
	s_or_b32 exec_lo, exec_lo, s27
	s_delay_alu instid0(SALU_CYCLE_1)
	s_or_b32 s27, s0, exec_lo
                                        ; implicit-def: $vgpr5
.LBB297_2727:
	s_or_saveexec_b32 s25, s25
	s_mov_b32 s28, 0
	s_mov_b32 s29, s23
	s_xor_b32 exec_lo, exec_lo, s25
	s_cbranch_execz .LBB297_2735
; %bb.2728:
	s_mov_b32 s28, s23
	s_mov_b32 s29, s27
	s_mov_b32 s30, exec_lo
	v_cmpx_lt_i16_e32 14, v5
	s_xor_b32 s30, exec_lo, s30
	s_cbranch_execz .LBB297_2732
; %bb.2729:
	s_mov_b32 s28, -1
	s_mov_b32 s31, s27
	s_mov_b32 s29, exec_lo
	v_cmpx_eq_u16_e32 15, v5
	s_cbranch_execz .LBB297_2731
; %bb.2730:
	v_cndmask_b32_e64 v5, 0, 1.0, s9
	s_or_b32 s31, s27, exec_lo
	s_xor_b32 s28, exec_lo, -1
	s_wait_dscnt 0x0
	s_delay_alu instid0(VALU_DEP_1) | instskip(NEXT) | instid1(VALU_DEP_1)
	v_bfe_u32 v7, v5, 16, 1
	v_add3_u32 v5, v5, v7, 0x7fff
	flat_store_d16_hi_b16 v[2:3], v5
.LBB297_2731:
	s_wait_xcnt 0x0
	s_or_b32 exec_lo, exec_lo, s29
	s_delay_alu instid0(SALU_CYCLE_1)
	s_and_not1_b32 s29, s27, exec_lo
	s_and_b32 s31, s31, exec_lo
	s_and_not1_b32 s33, s23, exec_lo
	s_and_b32 s28, s28, exec_lo
	s_or_b32 s29, s29, s31
	s_or_b32 s28, s33, s28
                                        ; implicit-def: $vgpr5
.LBB297_2732:
	s_or_saveexec_b32 s31, s30
	s_mov_b32 s30, 0
	s_xor_b32 exec_lo, exec_lo, s31
; %bb.2733:
	v_cmp_ne_u16_e32 vcc_lo, 11, v5
	s_and_not1_b32 s28, s28, exec_lo
	s_mov_b32 s30, exec_lo
	s_and_b32 s33, vcc_lo, exec_lo
	s_delay_alu instid0(SALU_CYCLE_1)
	s_or_b32 s28, s28, s33
; %bb.2734:
	s_or_b32 exec_lo, exec_lo, s31
	s_delay_alu instid0(SALU_CYCLE_1)
	s_and_not1_b32 s27, s27, exec_lo
	s_and_b32 s29, s29, exec_lo
	s_and_b32 s31, s28, exec_lo
	s_or_b32 s27, s27, s29
	s_and_not1_b32 s29, s23, exec_lo
	s_and_b32 s28, s30, exec_lo
	s_or_b32 s29, s29, s31
.LBB297_2735:
	s_or_b32 exec_lo, exec_lo, s25
	s_delay_alu instid0(SALU_CYCLE_1)
	s_and_not1_b32 s0, s0, exec_lo
	s_and_b32 s25, s27, exec_lo
	s_and_not1_b32 s23, s23, exec_lo
	s_and_b32 s27, s29, exec_lo
	s_or_b32 s0, s0, s25
	s_and_b32 s25, s28, exec_lo
	s_or_b32 s23, s23, s27
	s_or_b32 exec_lo, exec_lo, s26
	s_mov_b32 s26, s20
	s_and_saveexec_b32 s27, s23
	s_cbranch_execz .LBB297_1765
.LBB297_2736:
	s_or_b32 s26, s20, exec_lo
	s_and_not1_b32 s25, s25, exec_lo
	s_trap 2
	s_or_b32 exec_lo, exec_lo, s27
	s_and_saveexec_b32 s23, s25
	s_delay_alu instid0(SALU_CYCLE_1)
	s_xor_b32 s23, exec_lo, s23
	s_cbranch_execnz .LBB297_1766
	s_branch .LBB297_1767
.LBB297_2737:
	s_and_not1_saveexec_b32 s19, s0
	s_cbranch_execz .LBB297_2249
.LBB297_2738:
	v_add_f32_e64 v11, 0x46000000, |v13|
	s_and_not1_b32 s18, s18, exec_lo
	s_delay_alu instid0(VALU_DEP_1) | instskip(NEXT) | instid1(VALU_DEP_1)
	v_and_b32_e32 v15, 0xff, v11
	v_cmp_ne_u32_e64 s0, 0, v15
	s_and_b32 s0, s0, exec_lo
	s_delay_alu instid0(SALU_CYCLE_1)
	s_or_b32 s18, s18, s0
	s_or_b32 exec_lo, exec_lo, s19
	v_mov_b32_e32 v11, 0
	s_and_saveexec_b32 s0, s18
	s_cbranch_execnz .LBB297_2250
	s_branch .LBB297_2251
.LBB297_2739:
	s_and_not1_saveexec_b32 s19, s0
	s_cbranch_execz .LBB297_2257
.LBB297_2740:
	v_add_f32_e64 v11, 0x46000000, |v13|
	s_and_not1_b32 s18, s18, exec_lo
	s_delay_alu instid0(VALU_DEP_1) | instskip(NEXT) | instid1(VALU_DEP_1)
	v_and_b32_e32 v15, 0xff, v11
	v_cmp_ne_u32_e64 s0, 0, v15
	s_and_b32 s0, s0, exec_lo
	s_delay_alu instid0(SALU_CYCLE_1)
	s_or_b32 s18, s18, s0
	s_or_b32 exec_lo, exec_lo, s19
	v_mov_b32_e32 v11, 0
	s_and_saveexec_b32 s0, s18
	s_cbranch_execnz .LBB297_2258
	s_branch .LBB297_2259
.LBB297_2741:
	s_and_not1_saveexec_b32 s20, s0
	s_cbranch_execz .LBB297_2277
.LBB297_2742:
	v_add_f32_e64 v11, 0x46000000, |v19|
	s_and_not1_b32 s19, s19, exec_lo
	s_delay_alu instid0(VALU_DEP_1) | instskip(NEXT) | instid1(VALU_DEP_1)
	v_and_b32_e32 v15, 0xff, v11
	v_cmp_ne_u32_e64 s0, 0, v15
	s_and_b32 s0, s0, exec_lo
	s_delay_alu instid0(SALU_CYCLE_1)
	s_or_b32 s19, s19, s0
	s_or_b32 exec_lo, exec_lo, s20
	v_mov_b32_e32 v11, 0
	s_and_saveexec_b32 s0, s19
	s_cbranch_execnz .LBB297_2278
	s_branch .LBB297_2279
.LBB297_2743:
	s_or_saveexec_b32 s21, s21
	v_mov_b32_e32 v11, 0x7f800001
	s_xor_b32 exec_lo, exec_lo, s21
	s_cbranch_execz .LBB297_2316
.LBB297_2744:
	v_cmp_ne_u16_e64 s0, 0, v9
	v_mov_b32_e32 v11, 0
	s_and_not1_b32 s20, s20, exec_lo
	s_and_b32 s0, s0, exec_lo
	s_delay_alu instid0(SALU_CYCLE_1)
	s_or_b32 s20, s20, s0
	s_or_b32 exec_lo, exec_lo, s21
	s_and_saveexec_b32 s21, s20
	s_cbranch_execnz .LBB297_2317
	s_branch .LBB297_2318
.LBB297_2745:
	s_and_not1_saveexec_b32 s21, s0
	s_cbranch_execz .LBB297_2338
.LBB297_2746:
	v_add_f32_e64 v9, 0x46000000, |v11|
	s_and_not1_b32 s20, s20, exec_lo
	s_delay_alu instid0(VALU_DEP_1) | instskip(NEXT) | instid1(VALU_DEP_1)
	v_and_b32_e32 v13, 0xff, v9
	v_cmp_ne_u32_e64 s0, 0, v13
	s_and_b32 s0, s0, exec_lo
	s_delay_alu instid0(SALU_CYCLE_1)
	s_or_b32 s20, s20, s0
	s_or_b32 exec_lo, exec_lo, s21
	v_mov_b32_e32 v9, 0
	s_and_saveexec_b32 s0, s20
	s_cbranch_execnz .LBB297_2339
	s_branch .LBB297_2340
.LBB297_2747:
	s_and_not1_saveexec_b32 s19, s0
	s_cbranch_execz .LBB297_762
.LBB297_2748:
	v_add_f32_e64 v11, 0x46000000, |v13|
	s_and_not1_b32 s18, s18, exec_lo
	s_delay_alu instid0(VALU_DEP_1) | instskip(NEXT) | instid1(VALU_DEP_1)
	v_and_b32_e32 v15, 0xff, v11
	v_cmp_ne_u32_e64 s0, 0, v15
	s_and_b32 s0, s0, exec_lo
	s_delay_alu instid0(SALU_CYCLE_1)
	s_or_b32 s18, s18, s0
	s_or_b32 exec_lo, exec_lo, s19
	v_mov_b32_e32 v11, 0
	s_and_saveexec_b32 s0, s18
	s_cbranch_execnz .LBB297_763
	s_branch .LBB297_764
.LBB297_2749:
	s_and_not1_saveexec_b32 s21, s0
	s_cbranch_execz .LBB297_772
.LBB297_2750:
	v_add_f32_e32 v11, 0x46000000, v15
	s_and_not1_b32 s20, s20, exec_lo
	s_delay_alu instid0(VALU_DEP_1) | instskip(NEXT) | instid1(VALU_DEP_1)
	v_and_b32_e32 v13, 0xff, v11
	v_cmp_ne_u32_e64 s0, 0, v13
	s_and_b32 s0, s0, exec_lo
	s_delay_alu instid0(SALU_CYCLE_1)
	s_or_b32 s20, s20, s0
	s_or_b32 exec_lo, exec_lo, s21
	v_mov_b32_e32 v11, 0
	s_and_saveexec_b32 s0, s20
	s_cbranch_execnz .LBB297_773
	s_branch .LBB297_774
.LBB297_2751:
	s_and_not1_saveexec_b32 s23, s0
	s_cbranch_execz .LBB297_989
.LBB297_2752:
	v_add_f32_e32 v9, 0x46000000, v13
	s_and_not1_b32 s22, s22, exec_lo
	s_delay_alu instid0(VALU_DEP_1) | instskip(NEXT) | instid1(VALU_DEP_1)
	v_and_b32_e32 v11, 0xff, v9
	v_cmp_ne_u32_e64 s0, 0, v11
	s_and_b32 s0, s0, exec_lo
	s_delay_alu instid0(SALU_CYCLE_1)
	s_or_b32 s22, s22, s0
	s_or_b32 exec_lo, exec_lo, s23
	v_mov_b32_e32 v9, 0
	s_and_saveexec_b32 s0, s22
	s_cbranch_execnz .LBB297_990
	s_branch .LBB297_991
.LBB297_2753:
	s_and_not1_saveexec_b32 s23, s0
	s_cbranch_execz .LBB297_1001
.LBB297_2754:
	v_add_f32_e32 v9, 0x46000000, v13
	s_and_not1_b32 s22, s22, exec_lo
	s_delay_alu instid0(VALU_DEP_1) | instskip(NEXT) | instid1(VALU_DEP_1)
	v_and_b32_e32 v11, 0xff, v9
	v_cmp_ne_u32_e64 s0, 0, v11
	s_and_b32 s0, s0, exec_lo
	s_delay_alu instid0(SALU_CYCLE_1)
	s_or_b32 s22, s22, s0
	s_or_b32 exec_lo, exec_lo, s23
	v_mov_b32_e32 v9, 0
	s_and_saveexec_b32 s0, s22
	s_cbranch_execnz .LBB297_1002
	s_branch .LBB297_1003
.LBB297_2755:
	s_and_not1_saveexec_b32 s23, s0
	s_cbranch_execz .LBB297_1009
.LBB297_2756:
	v_add_f32_e32 v9, 0x46000000, v13
	s_and_not1_b32 s22, s22, exec_lo
	s_delay_alu instid0(VALU_DEP_1) | instskip(NEXT) | instid1(VALU_DEP_1)
	v_and_b32_e32 v11, 0xff, v9
	v_cmp_ne_u32_e64 s0, 0, v11
	s_and_b32 s0, s0, exec_lo
	s_delay_alu instid0(SALU_CYCLE_1)
	s_or_b32 s22, s22, s0
	s_or_b32 exec_lo, exec_lo, s23
	v_mov_b32_e32 v9, 0
	s_and_saveexec_b32 s0, s22
	s_cbranch_execnz .LBB297_1010
	s_branch .LBB297_1011
.LBB297_2757:
	s_and_not1_saveexec_b32 s22, s0
	s_cbranch_execz .LBB297_1036
.LBB297_2758:
	v_add_f32_e64 v9, 0x46000000, |v11|
	s_and_not1_b32 s21, s21, exec_lo
	s_delay_alu instid0(VALU_DEP_1) | instskip(NEXT) | instid1(VALU_DEP_1)
	v_and_b32_e32 v13, 0xff, v9
	v_cmp_ne_u32_e64 s0, 0, v13
	s_and_b32 s0, s0, exec_lo
	s_delay_alu instid0(SALU_CYCLE_1)
	s_or_b32 s21, s21, s0
	s_or_b32 exec_lo, exec_lo, s22
	v_mov_b32_e32 v9, 0
	s_and_saveexec_b32 s0, s21
	s_cbranch_execnz .LBB297_1037
	s_branch .LBB297_1038
.LBB297_2759:
	s_and_not1_saveexec_b32 s22, s0
	s_cbranch_execz .LBB297_1044
.LBB297_2760:
	v_add_f32_e64 v9, 0x46000000, |v11|
	s_and_not1_b32 s21, s21, exec_lo
	s_delay_alu instid0(VALU_DEP_1) | instskip(NEXT) | instid1(VALU_DEP_1)
	v_and_b32_e32 v13, 0xff, v9
	v_cmp_ne_u32_e64 s0, 0, v13
	s_and_b32 s0, s0, exec_lo
	s_delay_alu instid0(SALU_CYCLE_1)
	s_or_b32 s21, s21, s0
	s_or_b32 exec_lo, exec_lo, s22
	v_mov_b32_e32 v9, 0
	s_and_saveexec_b32 s0, s21
	s_cbranch_execnz .LBB297_1045
	s_branch .LBB297_1046
.LBB297_2761:
	s_and_not1_saveexec_b32 s22, s0
	s_cbranch_execz .LBB297_1064
.LBB297_2762:
	v_add_f32_e64 v9, 0x46000000, |v11|
	s_and_not1_b32 s21, s21, exec_lo
	s_delay_alu instid0(VALU_DEP_1) | instskip(NEXT) | instid1(VALU_DEP_1)
	v_and_b32_e32 v13, 0xff, v9
	v_cmp_ne_u32_e64 s0, 0, v13
	s_and_b32 s0, s0, exec_lo
	s_delay_alu instid0(SALU_CYCLE_1)
	s_or_b32 s21, s21, s0
	s_or_b32 exec_lo, exec_lo, s22
	v_mov_b32_e32 v9, 0
	s_and_saveexec_b32 s0, s21
	s_cbranch_execnz .LBB297_1065
	s_branch .LBB297_1066
.LBB297_2763:
	s_and_not1_saveexec_b32 s22, s0
	s_cbranch_execz .LBB297_1072
.LBB297_2764:
	v_add_f32_e64 v9, 0x46000000, |v11|
	s_and_not1_b32 s21, s21, exec_lo
	s_delay_alu instid0(VALU_DEP_1) | instskip(NEXT) | instid1(VALU_DEP_1)
	v_and_b32_e32 v13, 0xff, v9
	v_cmp_ne_u32_e64 s0, 0, v13
	s_and_b32 s0, s0, exec_lo
	s_delay_alu instid0(SALU_CYCLE_1)
	s_or_b32 s21, s21, s0
	s_or_b32 exec_lo, exec_lo, s22
	v_mov_b32_e32 v9, 0
	s_and_saveexec_b32 s0, s21
	s_cbranch_execnz .LBB297_1073
	s_branch .LBB297_1074
.LBB297_2765:
	s_and_not1_saveexec_b32 s22, s0
	s_cbranch_execz .LBB297_1094
.LBB297_2766:
	v_add_f32_e64 v9, 0x46000000, |v11|
	s_and_not1_b32 s21, s21, exec_lo
	s_delay_alu instid0(VALU_DEP_1) | instskip(NEXT) | instid1(VALU_DEP_1)
	v_and_b32_e32 v13, 0xff, v9
	v_cmp_ne_u32_e64 s0, 0, v13
	s_and_b32 s0, s0, exec_lo
	s_delay_alu instid0(SALU_CYCLE_1)
	s_or_b32 s21, s21, s0
	s_or_b32 exec_lo, exec_lo, s22
	v_mov_b32_e32 v9, 0
	s_and_saveexec_b32 s0, s21
	s_cbranch_execnz .LBB297_1095
	s_branch .LBB297_1096
.LBB297_2767:
	s_and_not1_saveexec_b32 s22, s0
	s_cbranch_execz .LBB297_1102
.LBB297_2768:
	v_add_f32_e64 v9, 0x46000000, |v11|
	s_and_not1_b32 s21, s21, exec_lo
	s_delay_alu instid0(VALU_DEP_1) | instskip(NEXT) | instid1(VALU_DEP_1)
	v_and_b32_e32 v13, 0xff, v9
	v_cmp_ne_u32_e64 s0, 0, v13
	s_and_b32 s0, s0, exec_lo
	s_delay_alu instid0(SALU_CYCLE_1)
	s_or_b32 s21, s21, s0
	s_or_b32 exec_lo, exec_lo, s22
	v_mov_b32_e32 v9, 0
	s_and_saveexec_b32 s0, s21
	s_cbranch_execnz .LBB297_1103
	s_branch .LBB297_1104
.LBB297_2769:
	s_and_not1_saveexec_b32 s23, s0
	s_cbranch_execz .LBB297_1231
.LBB297_2770:
	v_add_f32_e64 v11, 0x46000000, |v13|
	s_and_not1_b32 s22, s22, exec_lo
	s_delay_alu instid0(VALU_DEP_1) | instskip(NEXT) | instid1(VALU_DEP_1)
	v_and_b32_e32 v15, 0xff, v11
	v_cmp_ne_u32_e64 s0, 0, v15
	s_and_b32 s0, s0, exec_lo
	s_delay_alu instid0(SALU_CYCLE_1)
	s_or_b32 s22, s22, s0
	s_or_b32 exec_lo, exec_lo, s23
	v_mov_b32_e32 v11, 0
	s_and_saveexec_b32 s0, s22
	s_cbranch_execnz .LBB297_1232
	s_branch .LBB297_1233
.LBB297_2771:
	s_and_not1_saveexec_b32 s23, s0
	s_cbranch_execz .LBB297_1259
.LBB297_2772:
	v_add_f32_e64 v11, 0x46000000, |v13|
	s_and_not1_b32 s22, s22, exec_lo
	s_delay_alu instid0(VALU_DEP_1) | instskip(NEXT) | instid1(VALU_DEP_1)
	v_and_b32_e32 v15, 0xff, v11
	v_cmp_ne_u32_e64 s0, 0, v15
	s_and_b32 s0, s0, exec_lo
	s_delay_alu instid0(SALU_CYCLE_1)
	s_or_b32 s22, s22, s0
	s_or_b32 exec_lo, exec_lo, s23
	v_mov_b32_e32 v11, 0
	s_and_saveexec_b32 s0, s22
	s_cbranch_execnz .LBB297_1260
	s_branch .LBB297_1261
.LBB297_2773:
	s_and_not1_saveexec_b32 s23, s0
	s_cbranch_execz .LBB297_1289
.LBB297_2774:
	v_add_f32_e64 v11, 0x46000000, |v13|
	s_and_not1_b32 s22, s22, exec_lo
	s_delay_alu instid0(VALU_DEP_1) | instskip(NEXT) | instid1(VALU_DEP_1)
	v_and_b32_e32 v15, 0xff, v11
	v_cmp_ne_u32_e64 s0, 0, v15
	s_and_b32 s0, s0, exec_lo
	s_delay_alu instid0(SALU_CYCLE_1)
	s_or_b32 s22, s22, s0
	s_or_b32 exec_lo, exec_lo, s23
	v_mov_b32_e32 v11, 0
	s_and_saveexec_b32 s0, s22
	s_cbranch_execnz .LBB297_1290
	s_branch .LBB297_1291
.LBB297_2775:
	s_and_not1_saveexec_b32 s23, s0
	s_cbranch_execz .LBB297_1299
.LBB297_2776:
	v_add_f32_e64 v11, 0x46000000, |v13|
	s_and_not1_b32 s22, s22, exec_lo
	s_delay_alu instid0(VALU_DEP_1) | instskip(NEXT) | instid1(VALU_DEP_1)
	v_and_b32_e32 v15, 0xff, v11
	v_cmp_ne_u32_e64 s0, 0, v15
	s_and_b32 s0, s0, exec_lo
	s_delay_alu instid0(SALU_CYCLE_1)
	s_or_b32 s22, s22, s0
	s_or_b32 exec_lo, exec_lo, s23
	v_mov_b32_e32 v11, 0
	s_and_saveexec_b32 s0, s22
	s_cbranch_execnz .LBB297_1300
	s_branch .LBB297_1301
.LBB297_2777:
	s_and_not1_saveexec_b32 s23, s0
	s_cbranch_execz .LBB297_1307
.LBB297_2778:
	v_add_f32_e32 v11, 0x46000000, v15
	s_and_not1_b32 s22, s22, exec_lo
	s_delay_alu instid0(VALU_DEP_1) | instskip(NEXT) | instid1(VALU_DEP_1)
	v_and_b32_e32 v13, 0xff, v11
	v_cmp_ne_u32_e64 s0, 0, v13
	s_and_b32 s0, s0, exec_lo
	s_delay_alu instid0(SALU_CYCLE_1)
	s_or_b32 s22, s22, s0
	s_or_b32 exec_lo, exec_lo, s23
	v_mov_b32_e32 v11, 0
	s_and_saveexec_b32 s0, s22
	s_cbranch_execnz .LBB297_1308
	s_branch .LBB297_1309
.LBB297_2779:
	s_and_not1_saveexec_b32 s26, s0
	s_cbranch_execz .LBB297_1585
.LBB297_2780:
	v_add_f32_e32 v2, 0x46000000, v3
	s_and_not1_b32 s25, s25, exec_lo
	s_delay_alu instid0(VALU_DEP_1) | instskip(NEXT) | instid1(VALU_DEP_1)
	v_and_b32_e32 v2, 0xff, v2
	v_cmp_ne_u32_e64 s0, 0, v2
	s_and_b32 s0, s0, exec_lo
	s_delay_alu instid0(SALU_CYCLE_1)
	s_or_b32 s25, s25, s0
	s_or_b32 exec_lo, exec_lo, s26
	v_mov_b32_e32 v7, 0
	s_and_saveexec_b32 s0, s25
	s_cbranch_execnz .LBB297_1586
	s_branch .LBB297_1587
.LBB297_2781:
	s_and_not1_saveexec_b32 s27, s27
	s_cbranch_execz .LBB297_1848
.LBB297_2782:
	s_mov_b32 s28, s0
	s_mov_b32 s26, exec_lo
	v_cmpx_lt_i16_e32 22, v5
	s_xor_b32 s26, exec_lo, s26
	s_cbranch_execz .LBB297_2814
; %bb.2783:
	s_mov_b32 s28, exec_lo
	v_cmpx_lt_i16_e32 23, v5
	s_xor_b32 s28, exec_lo, s28
	s_cbranch_execz .LBB297_2803
; %bb.2784:
	;; [unrolled: 5-line block ×3, first 2 shown]
	s_wait_dscnt 0x0
	v_cndmask_b32_e64 v7, 0, 1.0, s13
	v_mov_b32_e32 v8, 0x80
	s_mov_b32 s30, exec_lo
	s_delay_alu instid0(VALU_DEP_2)
	v_cmpx_gt_u32_e32 0x47800000, v7
	s_cbranch_execz .LBB297_2791
; %bb.2786:
	s_mov_b32 s31, 0
	s_mov_b32 s33, exec_lo
                                        ; implicit-def: $vgpr5
	v_cmpx_lt_u32_e32 0x37ffffff, v7
	s_xor_b32 s33, exec_lo, s33
	s_cbranch_execz .LBB297_3044
; %bb.2787:
	v_bfe_u32 v5, v7, 21, 1
	s_mov_b32 s31, exec_lo
	s_delay_alu instid0(VALU_DEP_1) | instskip(NEXT) | instid1(VALU_DEP_1)
	v_add3_u32 v5, v7, v5, 0x88fffff
                                        ; implicit-def: $vgpr7
	v_lshrrev_b32_e32 v5, 21, v5
	s_and_not1_saveexec_b32 s33, s33
	s_cbranch_execnz .LBB297_3045
.LBB297_2788:
	s_or_b32 exec_lo, exec_lo, s33
	v_mov_b32_e32 v8, 0
	s_and_saveexec_b32 s33, s31
.LBB297_2789:
	v_mov_b32_e32 v8, v5
.LBB297_2790:
	s_or_b32 exec_lo, exec_lo, s33
.LBB297_2791:
	s_delay_alu instid0(SALU_CYCLE_1)
	s_or_b32 exec_lo, exec_lo, s30
	flat_store_b8 v[2:3], v8
.LBB297_2792:
	s_wait_xcnt 0x0
	s_and_not1_saveexec_b32 s29, s29
	s_cbranch_execz .LBB297_2802
; %bb.2793:
	s_wait_dscnt 0x0
	v_cndmask_b32_e64 v7, 0, 1.0, s13
	s_mov_b32 s30, exec_lo
                                        ; implicit-def: $vgpr5
	s_delay_alu instid0(VALU_DEP_1)
	v_cmpx_gt_u32_e32 0x43f00000, v7
	s_xor_b32 s30, exec_lo, s30
	s_cbranch_execz .LBB297_2799
; %bb.2794:
	s_mov_b32 s31, exec_lo
                                        ; implicit-def: $vgpr5
	v_cmpx_lt_u32_e32 0x3c7fffff, v7
	s_xor_b32 s31, exec_lo, s31
; %bb.2795:
	v_bfe_u32 v5, v7, 20, 1
	s_delay_alu instid0(VALU_DEP_1) | instskip(NEXT) | instid1(VALU_DEP_1)
	v_add3_u32 v5, v7, v5, 0x407ffff
	v_and_b32_e32 v7, 0xff00000, v5
	v_lshrrev_b32_e32 v5, 20, v5
	s_delay_alu instid0(VALU_DEP_2) | instskip(NEXT) | instid1(VALU_DEP_2)
	v_cmp_ne_u32_e32 vcc_lo, 0x7f00000, v7
                                        ; implicit-def: $vgpr7
	v_cndmask_b32_e32 v5, 0x7e, v5, vcc_lo
; %bb.2796:
	s_and_not1_saveexec_b32 s31, s31
; %bb.2797:
	v_add_f32_e32 v5, 0x46800000, v7
; %bb.2798:
	s_or_b32 exec_lo, exec_lo, s31
                                        ; implicit-def: $vgpr7
.LBB297_2799:
	s_and_not1_saveexec_b32 s30, s30
; %bb.2800:
	v_mov_b32_e32 v5, 0x7f
	v_cmp_lt_u32_e32 vcc_lo, 0x7f800000, v7
	s_delay_alu instid0(VALU_DEP_2)
	v_cndmask_b32_e32 v5, 0x7e, v5, vcc_lo
; %bb.2801:
	s_or_b32 exec_lo, exec_lo, s30
	flat_store_b8 v[2:3], v5
.LBB297_2802:
	s_wait_xcnt 0x0
	s_or_b32 exec_lo, exec_lo, s29
.LBB297_2803:
	s_and_not1_saveexec_b32 s28, s28
	s_cbranch_execz .LBB297_2813
; %bb.2804:
	s_wait_dscnt 0x0
	v_cndmask_b32_e64 v7, 0, 1.0, s13
	s_mov_b32 s29, exec_lo
                                        ; implicit-def: $vgpr5
	s_delay_alu instid0(VALU_DEP_1)
	v_cmpx_gt_u32_e32 0x47800000, v7
	s_xor_b32 s29, exec_lo, s29
	s_cbranch_execz .LBB297_2810
; %bb.2805:
	s_mov_b32 s30, exec_lo
                                        ; implicit-def: $vgpr5
	v_cmpx_lt_u32_e32 0x387fffff, v7
	s_xor_b32 s30, exec_lo, s30
; %bb.2806:
	v_bfe_u32 v5, v7, 21, 1
	s_delay_alu instid0(VALU_DEP_1) | instskip(NEXT) | instid1(VALU_DEP_1)
	v_add3_u32 v5, v7, v5, 0x80fffff
                                        ; implicit-def: $vgpr7
	v_lshrrev_b32_e32 v5, 21, v5
; %bb.2807:
	s_and_not1_saveexec_b32 s30, s30
; %bb.2808:
	v_add_f32_e32 v5, 0x43000000, v7
; %bb.2809:
	s_or_b32 exec_lo, exec_lo, s30
                                        ; implicit-def: $vgpr7
.LBB297_2810:
	s_and_not1_saveexec_b32 s29, s29
; %bb.2811:
	v_mov_b32_e32 v5, 0x7f
	v_cmp_lt_u32_e32 vcc_lo, 0x7f800000, v7
	s_delay_alu instid0(VALU_DEP_2)
	v_cndmask_b32_e32 v5, 0x7c, v5, vcc_lo
; %bb.2812:
	s_or_b32 exec_lo, exec_lo, s29
	flat_store_b8 v[2:3], v5
.LBB297_2813:
	s_wait_xcnt 0x0
	s_or_b32 exec_lo, exec_lo, s28
	s_delay_alu instid0(SALU_CYCLE_1)
	s_or_b32 s28, s0, exec_lo
                                        ; implicit-def: $vgpr5
.LBB297_2814:
	s_or_saveexec_b32 s26, s26
	s_mov_b32 s29, 0
	s_mov_b32 s30, s24
	s_xor_b32 exec_lo, exec_lo, s26
	s_cbranch_execz .LBB297_2822
; %bb.2815:
	s_mov_b32 s29, s24
	s_mov_b32 s30, s28
	s_mov_b32 s31, exec_lo
	v_cmpx_lt_i16_e32 14, v5
	s_xor_b32 s31, exec_lo, s31
	s_cbranch_execz .LBB297_2819
; %bb.2816:
	s_mov_b32 s29, -1
	s_mov_b32 s33, s28
	s_mov_b32 s30, exec_lo
	v_cmpx_eq_u16_e32 15, v5
	s_cbranch_execz .LBB297_2818
; %bb.2817:
	v_cndmask_b32_e64 v5, 0, 1.0, s13
	s_or_b32 s33, s28, exec_lo
	s_xor_b32 s29, exec_lo, -1
	s_wait_dscnt 0x0
	s_delay_alu instid0(VALU_DEP_1) | instskip(NEXT) | instid1(VALU_DEP_1)
	v_bfe_u32 v7, v5, 16, 1
	v_add3_u32 v5, v5, v7, 0x7fff
	flat_store_d16_hi_b16 v[2:3], v5
.LBB297_2818:
	s_wait_xcnt 0x0
	s_or_b32 exec_lo, exec_lo, s30
	s_delay_alu instid0(SALU_CYCLE_1)
	s_and_not1_b32 s30, s28, exec_lo
	s_and_b32 s33, s33, exec_lo
	s_and_not1_b32 s34, s24, exec_lo
	s_and_b32 s29, s29, exec_lo
	s_or_b32 s30, s30, s33
	s_or_b32 s29, s34, s29
                                        ; implicit-def: $vgpr5
.LBB297_2819:
	s_or_saveexec_b32 s33, s31
	s_mov_b32 s31, 0
	s_xor_b32 exec_lo, exec_lo, s33
; %bb.2820:
	v_cmp_ne_u16_e32 vcc_lo, 11, v5
	s_and_not1_b32 s29, s29, exec_lo
	s_mov_b32 s31, exec_lo
	s_and_b32 s34, vcc_lo, exec_lo
	s_delay_alu instid0(SALU_CYCLE_1)
	s_or_b32 s29, s29, s34
; %bb.2821:
	s_or_b32 exec_lo, exec_lo, s33
	s_delay_alu instid0(SALU_CYCLE_1)
	s_and_not1_b32 s28, s28, exec_lo
	s_and_b32 s30, s30, exec_lo
	s_and_b32 s33, s29, exec_lo
	s_or_b32 s28, s28, s30
	s_and_not1_b32 s30, s24, exec_lo
	s_and_b32 s29, s31, exec_lo
	s_or_b32 s30, s30, s33
.LBB297_2822:
	s_or_b32 exec_lo, exec_lo, s26
	s_delay_alu instid0(SALU_CYCLE_1)
	s_and_not1_b32 s0, s0, exec_lo
	s_and_b32 s26, s28, exec_lo
	s_and_not1_b32 s24, s24, exec_lo
	s_and_b32 s28, s30, exec_lo
	s_or_b32 s0, s0, s26
	s_and_b32 s26, s29, exec_lo
	s_or_b32 s24, s24, s28
	s_or_b32 exec_lo, exec_lo, s27
	s_mov_b32 s27, s23
	s_and_saveexec_b32 s28, s24
	s_cbranch_execz .LBB297_1849
.LBB297_2823:
	s_or_b32 s27, s23, exec_lo
	s_and_not1_b32 s26, s26, exec_lo
	s_trap 2
	s_or_b32 exec_lo, exec_lo, s28
	s_and_saveexec_b32 s24, s26
	s_delay_alu instid0(SALU_CYCLE_1)
	s_xor_b32 s24, exec_lo, s24
	s_cbranch_execnz .LBB297_1850
	s_branch .LBB297_1851
.LBB297_2824:
	s_and_not1_saveexec_b32 s22, s0
	s_cbranch_execz .LBB297_2321
.LBB297_2825:
	v_add_f32_e64 v9, 0x46000000, |v11|
	s_and_not1_b32 s21, s21, exec_lo
	s_delay_alu instid0(VALU_DEP_1) | instskip(NEXT) | instid1(VALU_DEP_1)
	v_and_b32_e32 v13, 0xff, v9
	v_cmp_ne_u32_e64 s0, 0, v13
	s_and_b32 s0, s0, exec_lo
	s_delay_alu instid0(SALU_CYCLE_1)
	s_or_b32 s21, s21, s0
	s_or_b32 exec_lo, exec_lo, s22
	v_mov_b32_e32 v9, 0
	s_and_saveexec_b32 s0, s21
	s_cbranch_execnz .LBB297_2322
	s_branch .LBB297_2323
.LBB297_2826:
	s_and_not1_saveexec_b32 s22, s0
	s_cbranch_execz .LBB297_2329
.LBB297_2827:
	v_add_f32_e64 v9, 0x46000000, |v11|
	s_and_not1_b32 s21, s21, exec_lo
	s_delay_alu instid0(VALU_DEP_1) | instskip(NEXT) | instid1(VALU_DEP_1)
	v_and_b32_e32 v13, 0xff, v9
	v_cmp_ne_u32_e64 s0, 0, v13
	s_and_b32 s0, s0, exec_lo
	s_delay_alu instid0(SALU_CYCLE_1)
	s_or_b32 s21, s21, s0
	s_or_b32 exec_lo, exec_lo, s22
	v_mov_b32_e32 v9, 0
	s_and_saveexec_b32 s0, s21
	s_cbranch_execnz .LBB297_2330
	s_branch .LBB297_2331
.LBB297_2828:
	s_and_not1_saveexec_b32 s23, s0
	s_cbranch_execz .LBB297_2349
.LBB297_2829:
	v_add_f32_e64 v9, 0x46000000, |v15|
	s_and_not1_b32 s22, s22, exec_lo
	s_delay_alu instid0(VALU_DEP_1) | instskip(NEXT) | instid1(VALU_DEP_1)
	v_and_b32_e32 v13, 0xff, v9
	v_cmp_ne_u32_e64 s0, 0, v13
	s_and_b32 s0, s0, exec_lo
	s_delay_alu instid0(SALU_CYCLE_1)
	s_or_b32 s22, s22, s0
	s_or_b32 exec_lo, exec_lo, s23
	v_mov_b32_e32 v9, 0
	s_and_saveexec_b32 s0, s22
	s_cbranch_execnz .LBB297_2350
	s_branch .LBB297_2351
.LBB297_2830:
	s_or_saveexec_b32 s23, s23
	v_mov_b32_e32 v13, 0x7f800001
	s_xor_b32 exec_lo, exec_lo, s23
	s_cbranch_execz .LBB297_2401
.LBB297_2831:
	v_cmp_ne_u16_e64 s0, 0, v11
	v_mov_b32_e32 v13, 0
	s_and_not1_b32 s22, s22, exec_lo
	s_and_b32 s0, s0, exec_lo
	s_delay_alu instid0(SALU_CYCLE_1)
	s_or_b32 s22, s22, s0
	s_or_b32 exec_lo, exec_lo, s23
	s_and_saveexec_b32 s23, s22
	s_cbranch_execnz .LBB297_2402
	s_branch .LBB297_2403
.LBB297_2832:
	s_and_not1_saveexec_b32 s23, s0
	s_cbranch_execz .LBB297_2423
.LBB297_2833:
	v_add_f32_e64 v11, 0x46000000, |v13|
	s_and_not1_b32 s22, s22, exec_lo
	s_delay_alu instid0(VALU_DEP_1) | instskip(NEXT) | instid1(VALU_DEP_1)
	v_and_b32_e32 v15, 0xff, v11
	v_cmp_ne_u32_e64 s0, 0, v15
	s_and_b32 s0, s0, exec_lo
	s_delay_alu instid0(SALU_CYCLE_1)
	s_or_b32 s22, s22, s0
	s_or_b32 exec_lo, exec_lo, s23
	v_mov_b32_e32 v11, 0
	s_and_saveexec_b32 s0, s22
	s_cbranch_execnz .LBB297_2424
	s_branch .LBB297_2425
.LBB297_2834:
	s_and_not1_saveexec_b32 s22, s0
	s_cbranch_execz .LBB297_968
.LBB297_2835:
	v_add_f32_e64 v9, 0x46000000, |v11|
	s_and_not1_b32 s21, s21, exec_lo
	s_delay_alu instid0(VALU_DEP_1) | instskip(NEXT) | instid1(VALU_DEP_1)
	v_and_b32_e32 v13, 0xff, v9
	v_cmp_ne_u32_e64 s0, 0, v13
	s_and_b32 s0, s0, exec_lo
	s_delay_alu instid0(SALU_CYCLE_1)
	s_or_b32 s21, s21, s0
	s_or_b32 exec_lo, exec_lo, s22
	v_mov_b32_e32 v9, 0
	s_and_saveexec_b32 s0, s21
	s_cbranch_execnz .LBB297_969
	s_branch .LBB297_970
.LBB297_2836:
	s_and_not1_saveexec_b32 s24, s0
	s_cbranch_execz .LBB297_978
.LBB297_2837:
	v_add_f32_e32 v9, 0x46000000, v13
	s_and_not1_b32 s23, s23, exec_lo
	s_delay_alu instid0(VALU_DEP_1) | instskip(NEXT) | instid1(VALU_DEP_1)
	v_and_b32_e32 v11, 0xff, v9
	v_cmp_ne_u32_e64 s0, 0, v11
	s_and_b32 s0, s0, exec_lo
	s_delay_alu instid0(SALU_CYCLE_1)
	s_or_b32 s23, s23, s0
	s_or_b32 exec_lo, exec_lo, s24
	v_mov_b32_e32 v9, 0
	s_and_saveexec_b32 s0, s23
	s_cbranch_execnz .LBB297_979
	s_branch .LBB297_980
.LBB297_2838:
	s_and_not1_saveexec_b32 s25, s0
	s_cbranch_execz .LBB297_1167
.LBB297_2839:
	v_add_f32_e32 v11, 0x46000000, v15
	s_and_not1_b32 s24, s24, exec_lo
	s_delay_alu instid0(VALU_DEP_1) | instskip(NEXT) | instid1(VALU_DEP_1)
	v_and_b32_e32 v13, 0xff, v11
	v_cmp_ne_u32_e64 s0, 0, v13
	s_and_b32 s0, s0, exec_lo
	s_delay_alu instid0(SALU_CYCLE_1)
	s_or_b32 s24, s24, s0
	s_or_b32 exec_lo, exec_lo, s25
	v_mov_b32_e32 v11, 0
	s_and_saveexec_b32 s0, s24
	s_cbranch_execnz .LBB297_1168
	s_branch .LBB297_1169
.LBB297_2840:
	s_and_not1_saveexec_b32 s25, s0
	s_cbranch_execz .LBB297_1179
.LBB297_2841:
	v_add_f32_e32 v11, 0x46000000, v15
	s_and_not1_b32 s24, s24, exec_lo
	s_delay_alu instid0(VALU_DEP_1) | instskip(NEXT) | instid1(VALU_DEP_1)
	v_and_b32_e32 v13, 0xff, v11
	v_cmp_ne_u32_e64 s0, 0, v13
	s_and_b32 s0, s0, exec_lo
	s_delay_alu instid0(SALU_CYCLE_1)
	s_or_b32 s24, s24, s0
	s_or_b32 exec_lo, exec_lo, s25
	v_mov_b32_e32 v11, 0
	s_and_saveexec_b32 s0, s24
	s_cbranch_execnz .LBB297_1180
	s_branch .LBB297_1181
.LBB297_2842:
	s_and_not1_saveexec_b32 s25, s0
	s_cbranch_execz .LBB297_1187
.LBB297_2843:
	v_add_f32_e32 v11, 0x46000000, v15
	s_and_not1_b32 s24, s24, exec_lo
	s_delay_alu instid0(VALU_DEP_1) | instskip(NEXT) | instid1(VALU_DEP_1)
	v_and_b32_e32 v13, 0xff, v11
	v_cmp_ne_u32_e64 s0, 0, v13
	s_and_b32 s0, s0, exec_lo
	s_delay_alu instid0(SALU_CYCLE_1)
	s_or_b32 s24, s24, s0
	s_or_b32 exec_lo, exec_lo, s25
	v_mov_b32_e32 v11, 0
	s_and_saveexec_b32 s0, s24
	s_cbranch_execnz .LBB297_1188
	s_branch .LBB297_1189
.LBB297_2844:
	s_and_not1_saveexec_b32 s24, s0
	s_cbranch_execz .LBB297_1214
.LBB297_2845:
	v_add_f32_e64 v11, 0x46000000, |v13|
	s_and_not1_b32 s23, s23, exec_lo
	s_delay_alu instid0(VALU_DEP_1) | instskip(NEXT) | instid1(VALU_DEP_1)
	v_and_b32_e32 v15, 0xff, v11
	v_cmp_ne_u32_e64 s0, 0, v15
	s_and_b32 s0, s0, exec_lo
	s_delay_alu instid0(SALU_CYCLE_1)
	s_or_b32 s23, s23, s0
	s_or_b32 exec_lo, exec_lo, s24
	v_mov_b32_e32 v11, 0
	s_and_saveexec_b32 s0, s23
	s_cbranch_execnz .LBB297_1215
	s_branch .LBB297_1216
.LBB297_2846:
	s_and_not1_saveexec_b32 s24, s0
	s_cbranch_execz .LBB297_1222
.LBB297_2847:
	v_add_f32_e64 v11, 0x46000000, |v13|
	s_and_not1_b32 s23, s23, exec_lo
	s_delay_alu instid0(VALU_DEP_1) | instskip(NEXT) | instid1(VALU_DEP_1)
	v_and_b32_e32 v15, 0xff, v11
	v_cmp_ne_u32_e64 s0, 0, v15
	s_and_b32 s0, s0, exec_lo
	s_delay_alu instid0(SALU_CYCLE_1)
	s_or_b32 s23, s23, s0
	s_or_b32 exec_lo, exec_lo, s24
	v_mov_b32_e32 v11, 0
	s_and_saveexec_b32 s0, s23
	s_cbranch_execnz .LBB297_1223
	s_branch .LBB297_1224
.LBB297_2848:
	s_and_not1_saveexec_b32 s24, s0
	s_cbranch_execz .LBB297_1242
.LBB297_2849:
	v_add_f32_e64 v11, 0x46000000, |v13|
	s_and_not1_b32 s23, s23, exec_lo
	s_delay_alu instid0(VALU_DEP_1) | instskip(NEXT) | instid1(VALU_DEP_1)
	v_and_b32_e32 v15, 0xff, v11
	v_cmp_ne_u32_e64 s0, 0, v15
	s_and_b32 s0, s0, exec_lo
	s_delay_alu instid0(SALU_CYCLE_1)
	s_or_b32 s23, s23, s0
	s_or_b32 exec_lo, exec_lo, s24
	v_mov_b32_e32 v11, 0
	s_and_saveexec_b32 s0, s23
	s_cbranch_execnz .LBB297_1243
	s_branch .LBB297_1244
.LBB297_2850:
	s_and_not1_saveexec_b32 s24, s0
	s_cbranch_execz .LBB297_1250
.LBB297_2851:
	v_add_f32_e64 v11, 0x46000000, |v13|
	s_and_not1_b32 s23, s23, exec_lo
	s_delay_alu instid0(VALU_DEP_1) | instskip(NEXT) | instid1(VALU_DEP_1)
	v_and_b32_e32 v15, 0xff, v11
	v_cmp_ne_u32_e64 s0, 0, v15
	s_and_b32 s0, s0, exec_lo
	s_delay_alu instid0(SALU_CYCLE_1)
	s_or_b32 s23, s23, s0
	s_or_b32 exec_lo, exec_lo, s24
	v_mov_b32_e32 v11, 0
	s_and_saveexec_b32 s0, s23
	s_cbranch_execnz .LBB297_1251
	s_branch .LBB297_1252
.LBB297_2852:
	s_and_not1_saveexec_b32 s24, s0
	s_cbranch_execz .LBB297_1272
.LBB297_2853:
	v_add_f32_e64 v11, 0x46000000, |v13|
	s_and_not1_b32 s23, s23, exec_lo
	s_delay_alu instid0(VALU_DEP_1) | instskip(NEXT) | instid1(VALU_DEP_1)
	v_and_b32_e32 v15, 0xff, v11
	v_cmp_ne_u32_e64 s0, 0, v15
	s_and_b32 s0, s0, exec_lo
	s_delay_alu instid0(SALU_CYCLE_1)
	s_or_b32 s23, s23, s0
	s_or_b32 exec_lo, exec_lo, s24
	v_mov_b32_e32 v11, 0
	s_and_saveexec_b32 s0, s23
	s_cbranch_execnz .LBB297_1273
	s_branch .LBB297_1274
.LBB297_2854:
	s_and_not1_saveexec_b32 s24, s0
	s_cbranch_execz .LBB297_1280
.LBB297_2855:
	v_add_f32_e64 v11, 0x46000000, |v13|
	s_and_not1_b32 s23, s23, exec_lo
	s_delay_alu instid0(VALU_DEP_1) | instskip(NEXT) | instid1(VALU_DEP_1)
	v_and_b32_e32 v15, 0xff, v11
	v_cmp_ne_u32_e64 s0, 0, v15
	s_and_b32 s0, s0, exec_lo
	s_delay_alu instid0(SALU_CYCLE_1)
	s_or_b32 s23, s23, s0
	s_or_b32 exec_lo, exec_lo, s24
	v_mov_b32_e32 v11, 0
	s_and_saveexec_b32 s0, s23
	s_cbranch_execnz .LBB297_1281
	s_branch .LBB297_1282
.LBB297_2856:
	s_and_not1_saveexec_b32 s26, s0
	s_cbranch_execz .LBB297_1437
.LBB297_2857:
	v_add_f32_e64 v3, 0x46000000, |v2|
	s_and_not1_b32 s25, s25, exec_lo
	s_delay_alu instid0(VALU_DEP_1) | instskip(NEXT) | instid1(VALU_DEP_1)
	v_and_b32_e32 v3, 0xff, v3
	v_cmp_ne_u32_e64 s0, 0, v3
	s_and_b32 s0, s0, exec_lo
	s_delay_alu instid0(SALU_CYCLE_1)
	s_or_b32 s25, s25, s0
	s_or_b32 exec_lo, exec_lo, s26
	v_mov_b32_e32 v9, 0
	s_and_saveexec_b32 s0, s25
	s_cbranch_execnz .LBB297_1438
	s_branch .LBB297_1439
.LBB297_2858:
	s_and_not1_saveexec_b32 s26, s0
	s_cbranch_execz .LBB297_1465
.LBB297_2859:
	v_add_f32_e64 v3, 0x46000000, |v2|
	s_and_not1_b32 s25, s25, exec_lo
	s_delay_alu instid0(VALU_DEP_1) | instskip(NEXT) | instid1(VALU_DEP_1)
	v_and_b32_e32 v3, 0xff, v3
	v_cmp_ne_u32_e64 s0, 0, v3
	s_and_b32 s0, s0, exec_lo
	s_delay_alu instid0(SALU_CYCLE_1)
	s_or_b32 s25, s25, s0
	s_or_b32 exec_lo, exec_lo, s26
	v_mov_b32_e32 v9, 0
	s_and_saveexec_b32 s0, s25
	s_cbranch_execnz .LBB297_1466
	s_branch .LBB297_1467
.LBB297_2860:
	s_and_not1_saveexec_b32 s26, s0
	s_cbranch_execz .LBB297_1495
.LBB297_2861:
	v_add_f32_e64 v3, 0x46000000, |v2|
	s_and_not1_b32 s25, s25, exec_lo
	s_delay_alu instid0(VALU_DEP_1) | instskip(NEXT) | instid1(VALU_DEP_1)
	v_and_b32_e32 v3, 0xff, v3
	v_cmp_ne_u32_e64 s0, 0, v3
	s_and_b32 s0, s0, exec_lo
	s_delay_alu instid0(SALU_CYCLE_1)
	s_or_b32 s25, s25, s0
	s_or_b32 exec_lo, exec_lo, s26
	v_mov_b32_e32 v9, 0
	s_and_saveexec_b32 s0, s25
	s_cbranch_execnz .LBB297_1496
	s_branch .LBB297_1497
.LBB297_2862:
	s_and_not1_saveexec_b32 s26, s0
	s_cbranch_execz .LBB297_1505
.LBB297_2863:
	v_add_f32_e64 v3, 0x46000000, |v2|
	s_and_not1_b32 s25, s25, exec_lo
	s_delay_alu instid0(VALU_DEP_1) | instskip(NEXT) | instid1(VALU_DEP_1)
	v_and_b32_e32 v3, 0xff, v3
	v_cmp_ne_u32_e64 s0, 0, v3
	s_and_b32 s0, s0, exec_lo
	s_delay_alu instid0(SALU_CYCLE_1)
	s_or_b32 s25, s25, s0
	s_or_b32 exec_lo, exec_lo, s26
	v_mov_b32_e32 v9, 0
	s_and_saveexec_b32 s0, s25
	s_cbranch_execnz .LBB297_1506
	s_branch .LBB297_1507
.LBB297_2864:
	s_and_not1_saveexec_b32 s26, s0
	s_cbranch_execz .LBB297_1513
.LBB297_2865:
	v_add_f32_e32 v2, 0x46000000, v3
	s_and_not1_b32 s25, s25, exec_lo
	s_delay_alu instid0(VALU_DEP_1) | instskip(NEXT) | instid1(VALU_DEP_1)
	v_and_b32_e32 v2, 0xff, v2
	v_cmp_ne_u32_e64 s0, 0, v2
	s_and_b32 s0, s0, exec_lo
	s_delay_alu instid0(SALU_CYCLE_1)
	s_or_b32 s25, s25, s0
	s_or_b32 exec_lo, exec_lo, s26
	v_mov_b32_e32 v9, 0
	s_and_saveexec_b32 s0, s25
	s_cbranch_execnz .LBB297_1514
	s_branch .LBB297_1515
.LBB297_2866:
	s_and_not1_saveexec_b32 s28, s28
	s_cbranch_execz .LBB297_1932
.LBB297_2867:
	s_mov_b32 s29, s0
	s_mov_b32 s27, exec_lo
	v_cmpx_lt_i16_e32 22, v5
	s_xor_b32 s27, exec_lo, s27
	s_cbranch_execz .LBB297_2899
; %bb.2868:
	s_mov_b32 s29, exec_lo
	v_cmpx_lt_i16_e32 23, v5
	s_xor_b32 s29, exec_lo, s29
	s_cbranch_execz .LBB297_2888
; %bb.2869:
	;; [unrolled: 5-line block ×3, first 2 shown]
	v_cndmask_b32_e64 v6, 0, 1.0, s17
	v_mov_b32_e32 v7, 0x80
	s_mov_b32 s31, exec_lo
	s_delay_alu instid0(VALU_DEP_2)
	v_cmpx_gt_u32_e32 0x47800000, v6
	s_cbranch_execz .LBB297_2876
; %bb.2871:
	s_mov_b32 s33, 0
	s_mov_b32 s34, exec_lo
                                        ; implicit-def: $vgpr5
	v_cmpx_lt_u32_e32 0x37ffffff, v6
	s_xor_b32 s34, exec_lo, s34
	s_cbranch_execz .LBB297_3048
; %bb.2872:
	v_bfe_u32 v5, v6, 21, 1
	s_mov_b32 s33, exec_lo
	s_delay_alu instid0(VALU_DEP_1) | instskip(NEXT) | instid1(VALU_DEP_1)
	v_add3_u32 v5, v6, v5, 0x88fffff
                                        ; implicit-def: $vgpr6
	v_lshrrev_b32_e32 v5, 21, v5
	s_and_not1_saveexec_b32 s34, s34
	s_cbranch_execnz .LBB297_3049
.LBB297_2873:
	s_or_b32 exec_lo, exec_lo, s34
	v_mov_b32_e32 v7, 0
	s_and_saveexec_b32 s34, s33
.LBB297_2874:
	v_mov_b32_e32 v7, v5
.LBB297_2875:
	s_or_b32 exec_lo, exec_lo, s34
.LBB297_2876:
	s_delay_alu instid0(SALU_CYCLE_1)
	s_or_b32 exec_lo, exec_lo, s31
	flat_store_b8 v[2:3], v7
.LBB297_2877:
	s_wait_xcnt 0x0
	s_and_not1_saveexec_b32 s30, s30
	s_cbranch_execz .LBB297_2887
; %bb.2878:
	v_cndmask_b32_e64 v6, 0, 1.0, s17
	s_mov_b32 s31, exec_lo
                                        ; implicit-def: $vgpr5
	s_delay_alu instid0(VALU_DEP_1)
	v_cmpx_gt_u32_e32 0x43f00000, v6
	s_xor_b32 s31, exec_lo, s31
	s_cbranch_execz .LBB297_2884
; %bb.2879:
	s_mov_b32 s33, exec_lo
                                        ; implicit-def: $vgpr5
	v_cmpx_lt_u32_e32 0x3c7fffff, v6
	s_xor_b32 s33, exec_lo, s33
; %bb.2880:
	v_bfe_u32 v5, v6, 20, 1
	s_delay_alu instid0(VALU_DEP_1) | instskip(NEXT) | instid1(VALU_DEP_1)
	v_add3_u32 v5, v6, v5, 0x407ffff
	v_and_b32_e32 v6, 0xff00000, v5
	v_lshrrev_b32_e32 v5, 20, v5
	s_delay_alu instid0(VALU_DEP_2) | instskip(NEXT) | instid1(VALU_DEP_2)
	v_cmp_ne_u32_e32 vcc_lo, 0x7f00000, v6
                                        ; implicit-def: $vgpr6
	v_cndmask_b32_e32 v5, 0x7e, v5, vcc_lo
; %bb.2881:
	s_and_not1_saveexec_b32 s33, s33
; %bb.2882:
	v_add_f32_e32 v5, 0x46800000, v6
; %bb.2883:
	s_or_b32 exec_lo, exec_lo, s33
                                        ; implicit-def: $vgpr6
.LBB297_2884:
	s_and_not1_saveexec_b32 s31, s31
; %bb.2885:
	v_mov_b32_e32 v5, 0x7f
	v_cmp_lt_u32_e32 vcc_lo, 0x7f800000, v6
	s_delay_alu instid0(VALU_DEP_2)
	v_cndmask_b32_e32 v5, 0x7e, v5, vcc_lo
; %bb.2886:
	s_or_b32 exec_lo, exec_lo, s31
	flat_store_b8 v[2:3], v5
.LBB297_2887:
	s_wait_xcnt 0x0
	s_or_b32 exec_lo, exec_lo, s30
.LBB297_2888:
	s_and_not1_saveexec_b32 s29, s29
	s_cbranch_execz .LBB297_2898
; %bb.2889:
	v_cndmask_b32_e64 v6, 0, 1.0, s17
	s_mov_b32 s30, exec_lo
                                        ; implicit-def: $vgpr5
	s_delay_alu instid0(VALU_DEP_1)
	v_cmpx_gt_u32_e32 0x47800000, v6
	s_xor_b32 s30, exec_lo, s30
	s_cbranch_execz .LBB297_2895
; %bb.2890:
	s_mov_b32 s31, exec_lo
                                        ; implicit-def: $vgpr5
	v_cmpx_lt_u32_e32 0x387fffff, v6
	s_xor_b32 s31, exec_lo, s31
; %bb.2891:
	v_bfe_u32 v5, v6, 21, 1
	s_delay_alu instid0(VALU_DEP_1) | instskip(NEXT) | instid1(VALU_DEP_1)
	v_add3_u32 v5, v6, v5, 0x80fffff
                                        ; implicit-def: $vgpr6
	v_lshrrev_b32_e32 v5, 21, v5
; %bb.2892:
	s_and_not1_saveexec_b32 s31, s31
; %bb.2893:
	v_add_f32_e32 v5, 0x43000000, v6
; %bb.2894:
	s_or_b32 exec_lo, exec_lo, s31
                                        ; implicit-def: $vgpr6
.LBB297_2895:
	s_and_not1_saveexec_b32 s30, s30
; %bb.2896:
	v_mov_b32_e32 v5, 0x7f
	v_cmp_lt_u32_e32 vcc_lo, 0x7f800000, v6
	s_delay_alu instid0(VALU_DEP_2)
	v_cndmask_b32_e32 v5, 0x7c, v5, vcc_lo
; %bb.2897:
	s_or_b32 exec_lo, exec_lo, s30
	flat_store_b8 v[2:3], v5
.LBB297_2898:
	s_wait_xcnt 0x0
	s_or_b32 exec_lo, exec_lo, s29
	s_delay_alu instid0(SALU_CYCLE_1)
	s_or_b32 s29, s0, exec_lo
                                        ; implicit-def: $vgpr5
.LBB297_2899:
	s_or_saveexec_b32 s27, s27
	s_mov_b32 s30, 0
	s_mov_b32 s31, s25
	s_xor_b32 exec_lo, exec_lo, s27
	s_cbranch_execz .LBB297_2907
; %bb.2900:
	s_mov_b32 s30, s25
	s_mov_b32 s31, s29
	s_mov_b32 s33, exec_lo
	v_cmpx_lt_i16_e32 14, v5
	s_xor_b32 s33, exec_lo, s33
	s_cbranch_execz .LBB297_2904
; %bb.2901:
	s_mov_b32 s30, -1
	s_mov_b32 s34, s29
	s_mov_b32 s31, exec_lo
	v_cmpx_eq_u16_e32 15, v5
	s_cbranch_execz .LBB297_2903
; %bb.2902:
	v_cndmask_b32_e64 v5, 0, 1.0, s17
	s_or_b32 s34, s29, exec_lo
	s_xor_b32 s30, exec_lo, -1
	s_delay_alu instid0(VALU_DEP_1) | instskip(NEXT) | instid1(VALU_DEP_1)
	v_bfe_u32 v6, v5, 16, 1
	v_add3_u32 v5, v5, v6, 0x7fff
	flat_store_d16_hi_b16 v[2:3], v5
.LBB297_2903:
	s_wait_xcnt 0x0
	s_or_b32 exec_lo, exec_lo, s31
	s_delay_alu instid0(SALU_CYCLE_1)
	s_and_not1_b32 s31, s29, exec_lo
	s_and_b32 s34, s34, exec_lo
	s_and_not1_b32 s35, s25, exec_lo
	s_and_b32 s30, s30, exec_lo
	s_or_b32 s31, s31, s34
	s_or_b32 s30, s35, s30
                                        ; implicit-def: $vgpr5
.LBB297_2904:
	s_or_saveexec_b32 s34, s33
	s_mov_b32 s33, 0
	s_xor_b32 exec_lo, exec_lo, s34
; %bb.2905:
	v_cmp_ne_u16_e32 vcc_lo, 11, v5
	s_and_not1_b32 s30, s30, exec_lo
	s_mov_b32 s33, exec_lo
	s_and_b32 s35, vcc_lo, exec_lo
	s_delay_alu instid0(SALU_CYCLE_1)
	s_or_b32 s30, s30, s35
; %bb.2906:
	s_or_b32 exec_lo, exec_lo, s34
	s_delay_alu instid0(SALU_CYCLE_1)
	s_and_not1_b32 s29, s29, exec_lo
	s_and_b32 s31, s31, exec_lo
	s_and_b32 s34, s30, exec_lo
	s_or_b32 s29, s29, s31
	s_and_not1_b32 s31, s25, exec_lo
	s_and_b32 s30, s33, exec_lo
	s_or_b32 s31, s31, s34
.LBB297_2907:
	s_or_b32 exec_lo, exec_lo, s27
	s_delay_alu instid0(SALU_CYCLE_1)
	s_and_not1_b32 s0, s0, exec_lo
	s_and_b32 s27, s29, exec_lo
	s_and_not1_b32 s25, s25, exec_lo
	s_and_b32 s29, s31, exec_lo
	s_or_b32 s0, s0, s27
	s_and_b32 s27, s30, exec_lo
	s_or_b32 s25, s25, s29
	s_or_b32 exec_lo, exec_lo, s28
	s_mov_b32 s28, s24
	s_and_saveexec_b32 s29, s25
	s_cbranch_execz .LBB297_1933
.LBB297_2908:
	s_or_b32 s28, s24, exec_lo
	s_and_not1_b32 s27, s27, exec_lo
	s_trap 2
	s_or_b32 exec_lo, exec_lo, s29
	s_and_saveexec_b32 s25, s27
	s_delay_alu instid0(SALU_CYCLE_1)
	s_xor_b32 s25, exec_lo, s25
	s_cbranch_execnz .LBB297_1934
	s_branch .LBB297_1935
.LBB297_2909:
	s_and_not1_saveexec_b32 s24, s0
	s_cbranch_execz .LBB297_2406
.LBB297_2910:
	v_add_f32_e64 v11, 0x46000000, |v13|
	s_and_not1_b32 s23, s23, exec_lo
	s_delay_alu instid0(VALU_DEP_1) | instskip(NEXT) | instid1(VALU_DEP_1)
	v_and_b32_e32 v15, 0xff, v11
	v_cmp_ne_u32_e64 s0, 0, v15
	s_and_b32 s0, s0, exec_lo
	s_delay_alu instid0(SALU_CYCLE_1)
	s_or_b32 s23, s23, s0
	s_or_b32 exec_lo, exec_lo, s24
	v_mov_b32_e32 v11, 0
	s_and_saveexec_b32 s0, s23
	s_cbranch_execnz .LBB297_2407
	s_branch .LBB297_2408
.LBB297_2911:
	s_and_not1_saveexec_b32 s24, s0
	s_cbranch_execz .LBB297_2414
.LBB297_2912:
	v_add_f32_e64 v11, 0x46000000, |v13|
	s_and_not1_b32 s23, s23, exec_lo
	s_delay_alu instid0(VALU_DEP_1) | instskip(NEXT) | instid1(VALU_DEP_1)
	v_and_b32_e32 v15, 0xff, v11
	v_cmp_ne_u32_e64 s0, 0, v15
	s_and_b32 s0, s0, exec_lo
	s_delay_alu instid0(SALU_CYCLE_1)
	s_or_b32 s23, s23, s0
	s_or_b32 exec_lo, exec_lo, s24
	v_mov_b32_e32 v11, 0
	s_and_saveexec_b32 s0, s23
	s_cbranch_execnz .LBB297_2415
	s_branch .LBB297_2416
.LBB297_2913:
	s_and_not1_saveexec_b32 s25, s0
	s_cbranch_execz .LBB297_2434
.LBB297_2914:
	v_add_f32_e64 v11, 0x46000000, |v20|
	s_and_not1_b32 s24, s24, exec_lo
	s_delay_alu instid0(VALU_DEP_1) | instskip(NEXT) | instid1(VALU_DEP_1)
	v_and_b32_e32 v15, 0xff, v11
	v_cmp_ne_u32_e64 s0, 0, v15
	s_and_b32 s0, s0, exec_lo
	s_delay_alu instid0(SALU_CYCLE_1)
	s_or_b32 s24, s24, s0
	s_or_b32 exec_lo, exec_lo, s25
	v_mov_b32_e32 v11, 0
	s_and_saveexec_b32 s0, s24
	s_cbranch_execnz .LBB297_2435
	s_branch .LBB297_2436
.LBB297_2915:
	s_or_saveexec_b32 s26, s26
	v_mov_b32_e32 v7, 0x7f800001
	s_xor_b32 exec_lo, exec_lo, s26
	s_cbranch_execz .LBB297_2504
.LBB297_2916:
	v_cmp_ne_u16_e64 s0, 0, v9
	v_mov_b32_e32 v7, 0
	s_and_not1_b32 s25, s25, exec_lo
	s_and_b32 s0, s0, exec_lo
	s_delay_alu instid0(SALU_CYCLE_1)
	s_or_b32 s25, s25, s0
	s_or_b32 exec_lo, exec_lo, s26
	s_and_saveexec_b32 s26, s25
	s_cbranch_execnz .LBB297_2505
	s_branch .LBB297_2506
.LBB297_2917:
	s_and_not1_saveexec_b32 s26, s0
	s_cbranch_execz .LBB297_2526
.LBB297_2918:
	v_add_f32_e64 v9, 0x46000000, |v7|
	s_and_not1_b32 s25, s25, exec_lo
	s_delay_alu instid0(VALU_DEP_1) | instskip(NEXT) | instid1(VALU_DEP_1)
	v_and_b32_e32 v11, 0xff, v9
	v_cmp_ne_u32_e64 s0, 0, v11
	s_and_b32 s0, s0, exec_lo
	s_delay_alu instid0(SALU_CYCLE_1)
	s_or_b32 s25, s25, s0
	s_or_b32 exec_lo, exec_lo, s26
	v_mov_b32_e32 v9, 0
	s_and_saveexec_b32 s0, s25
	s_cbranch_execnz .LBB297_2527
	s_branch .LBB297_2528
.LBB297_2919:
	s_and_not1_saveexec_b32 s24, s0
	s_cbranch_execz .LBB297_1146
.LBB297_2920:
	v_add_f32_e64 v11, 0x46000000, |v13|
	s_and_not1_b32 s23, s23, exec_lo
	s_delay_alu instid0(VALU_DEP_1) | instskip(NEXT) | instid1(VALU_DEP_1)
	v_and_b32_e32 v15, 0xff, v11
	v_cmp_ne_u32_e64 s0, 0, v15
	s_and_b32 s0, s0, exec_lo
	s_delay_alu instid0(SALU_CYCLE_1)
	s_or_b32 s23, s23, s0
	s_or_b32 exec_lo, exec_lo, s24
	v_mov_b32_e32 v11, 0
	s_and_saveexec_b32 s0, s23
	s_cbranch_execnz .LBB297_1147
	s_branch .LBB297_1148
.LBB297_2921:
	s_and_not1_saveexec_b32 s26, s0
	s_cbranch_execz .LBB297_1156
.LBB297_2922:
	v_add_f32_e32 v11, 0x46000000, v15
	s_and_not1_b32 s25, s25, exec_lo
	s_delay_alu instid0(VALU_DEP_1) | instskip(NEXT) | instid1(VALU_DEP_1)
	v_and_b32_e32 v13, 0xff, v11
	v_cmp_ne_u32_e64 s0, 0, v13
	s_and_b32 s0, s0, exec_lo
	s_delay_alu instid0(SALU_CYCLE_1)
	s_or_b32 s25, s25, s0
	s_or_b32 exec_lo, exec_lo, s26
	v_mov_b32_e32 v11, 0
	s_and_saveexec_b32 s0, s25
	s_cbranch_execnz .LBB297_1157
	s_branch .LBB297_1158
.LBB297_2923:
	s_and_not1_saveexec_b32 s28, s0
	s_cbranch_execz .LBB297_1373
.LBB297_2924:
	v_add_f32_e32 v7, 0x46000000, v11
	s_and_not1_b32 s27, s27, exec_lo
	s_delay_alu instid0(VALU_DEP_1) | instskip(NEXT) | instid1(VALU_DEP_1)
	v_and_b32_e32 v7, 0xff, v7
	v_cmp_ne_u32_e64 s0, 0, v7
	s_and_b32 s0, s0, exec_lo
	s_delay_alu instid0(SALU_CYCLE_1)
	s_or_b32 s27, s27, s0
	s_or_b32 exec_lo, exec_lo, s28
	v_mov_b32_e32 v9, 0
	s_and_saveexec_b32 s0, s27
	s_cbranch_execnz .LBB297_1374
	s_branch .LBB297_1375
.LBB297_2925:
	s_and_not1_saveexec_b32 s28, s0
	s_cbranch_execz .LBB297_1385
.LBB297_2926:
	v_add_f32_e32 v7, 0x46000000, v11
	s_and_not1_b32 s27, s27, exec_lo
	s_delay_alu instid0(VALU_DEP_1) | instskip(NEXT) | instid1(VALU_DEP_1)
	v_and_b32_e32 v7, 0xff, v7
	v_cmp_ne_u32_e64 s0, 0, v7
	s_and_b32 s0, s0, exec_lo
	s_delay_alu instid0(SALU_CYCLE_1)
	s_or_b32 s27, s27, s0
	s_or_b32 exec_lo, exec_lo, s28
	v_mov_b32_e32 v9, 0
	s_and_saveexec_b32 s0, s27
	s_cbranch_execnz .LBB297_1386
	s_branch .LBB297_1387
.LBB297_2927:
	s_and_not1_saveexec_b32 s28, s0
	s_cbranch_execz .LBB297_1393
.LBB297_2928:
	v_add_f32_e32 v7, 0x46000000, v11
	s_and_not1_b32 s27, s27, exec_lo
	s_delay_alu instid0(VALU_DEP_1) | instskip(NEXT) | instid1(VALU_DEP_1)
	v_and_b32_e32 v7, 0xff, v7
	v_cmp_ne_u32_e64 s0, 0, v7
	s_and_b32 s0, s0, exec_lo
	s_delay_alu instid0(SALU_CYCLE_1)
	s_or_b32 s27, s27, s0
	s_or_b32 exec_lo, exec_lo, s28
	v_mov_b32_e32 v9, 0
	s_and_saveexec_b32 s0, s27
	s_cbranch_execnz .LBB297_1394
	s_branch .LBB297_1395
.LBB297_2929:
	s_and_not1_saveexec_b32 s27, s0
	s_cbranch_execz .LBB297_1420
.LBB297_2930:
	v_add_f32_e64 v3, 0x46000000, |v2|
	s_and_not1_b32 s26, s26, exec_lo
	s_delay_alu instid0(VALU_DEP_1) | instskip(NEXT) | instid1(VALU_DEP_1)
	v_and_b32_e32 v3, 0xff, v3
	v_cmp_ne_u32_e64 s0, 0, v3
	s_and_b32 s0, s0, exec_lo
	s_delay_alu instid0(SALU_CYCLE_1)
	s_or_b32 s26, s26, s0
	s_or_b32 exec_lo, exec_lo, s27
	v_mov_b32_e32 v9, 0
	s_and_saveexec_b32 s0, s26
	s_cbranch_execnz .LBB297_1421
	s_branch .LBB297_1422
.LBB297_2931:
	s_and_not1_saveexec_b32 s27, s0
	s_cbranch_execz .LBB297_1428
.LBB297_2932:
	v_add_f32_e64 v3, 0x46000000, |v2|
	s_and_not1_b32 s26, s26, exec_lo
	s_delay_alu instid0(VALU_DEP_1) | instskip(NEXT) | instid1(VALU_DEP_1)
	v_and_b32_e32 v3, 0xff, v3
	v_cmp_ne_u32_e64 s0, 0, v3
	s_and_b32 s0, s0, exec_lo
	s_delay_alu instid0(SALU_CYCLE_1)
	s_or_b32 s26, s26, s0
	s_or_b32 exec_lo, exec_lo, s27
	v_mov_b32_e32 v9, 0
	s_and_saveexec_b32 s0, s26
	s_cbranch_execnz .LBB297_1429
	s_branch .LBB297_1430
.LBB297_2933:
	s_and_not1_saveexec_b32 s27, s0
	s_cbranch_execz .LBB297_1448
.LBB297_2934:
	v_add_f32_e64 v3, 0x46000000, |v2|
	s_and_not1_b32 s26, s26, exec_lo
	s_delay_alu instid0(VALU_DEP_1) | instskip(NEXT) | instid1(VALU_DEP_1)
	v_and_b32_e32 v3, 0xff, v3
	v_cmp_ne_u32_e64 s0, 0, v3
	s_and_b32 s0, s0, exec_lo
	s_delay_alu instid0(SALU_CYCLE_1)
	s_or_b32 s26, s26, s0
	s_or_b32 exec_lo, exec_lo, s27
	v_mov_b32_e32 v9, 0
	s_and_saveexec_b32 s0, s26
	s_cbranch_execnz .LBB297_1449
	s_branch .LBB297_1450
.LBB297_2935:
	s_and_not1_saveexec_b32 s27, s0
	s_cbranch_execz .LBB297_1456
.LBB297_2936:
	v_add_f32_e64 v3, 0x46000000, |v2|
	s_and_not1_b32 s26, s26, exec_lo
	s_delay_alu instid0(VALU_DEP_1) | instskip(NEXT) | instid1(VALU_DEP_1)
	v_and_b32_e32 v3, 0xff, v3
	v_cmp_ne_u32_e64 s0, 0, v3
	s_and_b32 s0, s0, exec_lo
	s_delay_alu instid0(SALU_CYCLE_1)
	s_or_b32 s26, s26, s0
	s_or_b32 exec_lo, exec_lo, s27
	v_mov_b32_e32 v9, 0
	s_and_saveexec_b32 s0, s26
	s_cbranch_execnz .LBB297_1457
	s_branch .LBB297_1458
.LBB297_2937:
	s_and_not1_saveexec_b32 s27, s0
	s_cbranch_execz .LBB297_1478
.LBB297_2938:
	v_add_f32_e64 v3, 0x46000000, |v2|
	s_and_not1_b32 s26, s26, exec_lo
	s_delay_alu instid0(VALU_DEP_1) | instskip(NEXT) | instid1(VALU_DEP_1)
	v_and_b32_e32 v3, 0xff, v3
	v_cmp_ne_u32_e64 s0, 0, v3
	s_and_b32 s0, s0, exec_lo
	s_delay_alu instid0(SALU_CYCLE_1)
	s_or_b32 s26, s26, s0
	s_or_b32 exec_lo, exec_lo, s27
	v_mov_b32_e32 v9, 0
	s_and_saveexec_b32 s0, s26
	s_cbranch_execnz .LBB297_1479
	s_branch .LBB297_1480
.LBB297_2939:
	s_and_not1_saveexec_b32 s27, s0
	s_cbranch_execz .LBB297_1486
.LBB297_2940:
	v_add_f32_e64 v3, 0x46000000, |v2|
	s_and_not1_b32 s26, s26, exec_lo
	s_delay_alu instid0(VALU_DEP_1) | instskip(NEXT) | instid1(VALU_DEP_1)
	v_and_b32_e32 v3, 0xff, v3
	v_cmp_ne_u32_e64 s0, 0, v3
	s_and_b32 s0, s0, exec_lo
	s_delay_alu instid0(SALU_CYCLE_1)
	s_or_b32 s26, s26, s0
	s_or_b32 exec_lo, exec_lo, s27
	v_mov_b32_e32 v9, 0
	s_and_saveexec_b32 s0, s26
	s_cbranch_execnz .LBB297_1487
	s_branch .LBB297_1488
.LBB297_2941:
	s_and_not1_saveexec_b32 s28, s0
	s_cbranch_execz .LBB297_1615
.LBB297_2942:
	v_add_f32_e64 v3, 0x46000000, |v2|
	s_and_not1_b32 s27, s27, exec_lo
	s_delay_alu instid0(VALU_DEP_1) | instskip(NEXT) | instid1(VALU_DEP_1)
	v_and_b32_e32 v3, 0xff, v3
	v_cmp_ne_u32_e64 s0, 0, v3
	s_and_b32 s0, s0, exec_lo
	s_delay_alu instid0(SALU_CYCLE_1)
	s_or_b32 s27, s27, s0
	s_or_b32 exec_lo, exec_lo, s28
	v_mov_b32_e32 v7, 0
	s_and_saveexec_b32 s0, s27
	s_cbranch_execnz .LBB297_1616
	s_branch .LBB297_1617
.LBB297_2943:
	s_and_not1_saveexec_b32 s28, s0
	s_cbranch_execz .LBB297_1643
.LBB297_2944:
	v_add_f32_e64 v3, 0x46000000, |v2|
	s_and_not1_b32 s27, s27, exec_lo
	s_delay_alu instid0(VALU_DEP_1) | instskip(NEXT) | instid1(VALU_DEP_1)
	v_and_b32_e32 v3, 0xff, v3
	v_cmp_ne_u32_e64 s0, 0, v3
	s_and_b32 s0, s0, exec_lo
	s_delay_alu instid0(SALU_CYCLE_1)
	s_or_b32 s27, s27, s0
	s_or_b32 exec_lo, exec_lo, s28
	v_mov_b32_e32 v7, 0
	s_and_saveexec_b32 s0, s27
	s_cbranch_execnz .LBB297_1644
	s_branch .LBB297_1645
.LBB297_2945:
	s_and_not1_saveexec_b32 s28, s0
	s_cbranch_execz .LBB297_1673
.LBB297_2946:
	v_add_f32_e64 v3, 0x46000000, |v2|
	s_and_not1_b32 s27, s27, exec_lo
	s_delay_alu instid0(VALU_DEP_1) | instskip(NEXT) | instid1(VALU_DEP_1)
	v_and_b32_e32 v3, 0xff, v3
	v_cmp_ne_u32_e64 s0, 0, v3
	s_and_b32 s0, s0, exec_lo
	s_delay_alu instid0(SALU_CYCLE_1)
	s_or_b32 s27, s27, s0
	s_or_b32 exec_lo, exec_lo, s28
	v_mov_b32_e32 v7, 0
	s_and_saveexec_b32 s0, s27
	s_cbranch_execnz .LBB297_1674
	s_branch .LBB297_1675
.LBB297_2947:
	s_and_not1_saveexec_b32 s28, s0
	s_cbranch_execz .LBB297_1683
.LBB297_2948:
	v_add_f32_e64 v3, 0x46000000, |v2|
	s_and_not1_b32 s27, s27, exec_lo
	s_delay_alu instid0(VALU_DEP_1) | instskip(NEXT) | instid1(VALU_DEP_1)
	v_and_b32_e32 v3, 0xff, v3
	v_cmp_ne_u32_e64 s0, 0, v3
	s_and_b32 s0, s0, exec_lo
	s_delay_alu instid0(SALU_CYCLE_1)
	s_or_b32 s27, s27, s0
	s_or_b32 exec_lo, exec_lo, s28
	v_mov_b32_e32 v7, 0
	s_and_saveexec_b32 s0, s27
	s_cbranch_execnz .LBB297_1684
	s_branch .LBB297_1685
.LBB297_2949:
	s_and_not1_saveexec_b32 s28, s0
	s_cbranch_execz .LBB297_1691
.LBB297_2950:
	v_add_f32_e32 v2, 0x46000000, v3
	s_and_not1_b32 s27, s27, exec_lo
	s_delay_alu instid0(VALU_DEP_1) | instskip(NEXT) | instid1(VALU_DEP_1)
	v_and_b32_e32 v2, 0xff, v2
	v_cmp_ne_u32_e64 s0, 0, v2
	s_and_b32 s0, s0, exec_lo
	s_delay_alu instid0(SALU_CYCLE_1)
	s_or_b32 s27, s27, s0
	s_or_b32 exec_lo, exec_lo, s28
	v_mov_b32_e32 v7, 0
	s_and_saveexec_b32 s0, s27
	s_cbranch_execnz .LBB297_1692
	s_branch .LBB297_1693
.LBB297_2951:
	s_and_not1_saveexec_b32 s27, s27
	s_cbranch_execz .LBB297_2016
.LBB297_2952:
	s_mov_b32 s28, exec_lo
	v_cmpx_lt_i16_e32 22, v15
	s_xor_b32 s28, exec_lo, s28
	s_cbranch_execz .LBB297_2984
; %bb.2953:
	s_mov_b32 s29, exec_lo
	v_cmpx_lt_i16_e32 23, v15
	s_xor_b32 s29, exec_lo, s29
	s_cbranch_execz .LBB297_2973
; %bb.2954:
	;; [unrolled: 5-line block ×3, first 2 shown]
	v_cndmask_b32_e64 v1, 0, 1.0, s21
	v_mov_b32_e32 v2, 0x80
	s_mov_b32 s31, exec_lo
	s_delay_alu instid0(VALU_DEP_2)
	v_cmpx_gt_u32_e32 0x47800000, v1
	s_cbranch_execz .LBB297_2961
; %bb.2956:
	s_mov_b32 s33, 0
	s_mov_b32 s34, exec_lo
                                        ; implicit-def: $vgpr0
	v_cmpx_lt_u32_e32 0x37ffffff, v1
	s_xor_b32 s34, exec_lo, s34
	s_cbranch_execz .LBB297_3050
; %bb.2957:
	v_bfe_u32 v0, v1, 21, 1
	s_mov_b32 s33, exec_lo
	s_delay_alu instid0(VALU_DEP_1) | instskip(NEXT) | instid1(VALU_DEP_1)
	v_add3_u32 v0, v1, v0, 0x88fffff
                                        ; implicit-def: $vgpr1
	v_lshrrev_b32_e32 v0, 21, v0
	s_and_not1_saveexec_b32 s34, s34
	s_cbranch_execnz .LBB297_3051
.LBB297_2958:
	s_or_b32 exec_lo, exec_lo, s34
	v_mov_b32_e32 v2, 0
	s_and_saveexec_b32 s34, s33
.LBB297_2959:
	v_mov_b32_e32 v2, v0
.LBB297_2960:
	s_or_b32 exec_lo, exec_lo, s34
.LBB297_2961:
	s_delay_alu instid0(SALU_CYCLE_1)
	s_or_b32 exec_lo, exec_lo, s31
	flat_store_b8 v[30:31], v2
.LBB297_2962:
	s_wait_xcnt 0x0
	s_and_not1_saveexec_b32 s30, s30
	s_cbranch_execz .LBB297_2972
; %bb.2963:
	v_cndmask_b32_e64 v1, 0, 1.0, s21
	s_mov_b32 s31, exec_lo
                                        ; implicit-def: $vgpr0
	s_delay_alu instid0(VALU_DEP_1)
	v_cmpx_gt_u32_e32 0x43f00000, v1
	s_xor_b32 s31, exec_lo, s31
	s_cbranch_execz .LBB297_2969
; %bb.2964:
	s_mov_b32 s33, exec_lo
                                        ; implicit-def: $vgpr0
	v_cmpx_lt_u32_e32 0x3c7fffff, v1
	s_xor_b32 s33, exec_lo, s33
; %bb.2965:
	v_bfe_u32 v0, v1, 20, 1
	s_delay_alu instid0(VALU_DEP_1) | instskip(NEXT) | instid1(VALU_DEP_1)
	v_add3_u32 v0, v1, v0, 0x407ffff
	v_and_b32_e32 v1, 0xff00000, v0
	v_lshrrev_b32_e32 v0, 20, v0
	s_delay_alu instid0(VALU_DEP_2) | instskip(NEXT) | instid1(VALU_DEP_2)
	v_cmp_ne_u32_e32 vcc_lo, 0x7f00000, v1
                                        ; implicit-def: $vgpr1
	v_cndmask_b32_e32 v0, 0x7e, v0, vcc_lo
; %bb.2966:
	s_and_not1_saveexec_b32 s33, s33
; %bb.2967:
	v_add_f32_e32 v0, 0x46800000, v1
; %bb.2968:
	s_or_b32 exec_lo, exec_lo, s33
                                        ; implicit-def: $vgpr1
.LBB297_2969:
	s_and_not1_saveexec_b32 s31, s31
; %bb.2970:
	v_mov_b32_e32 v0, 0x7f
	v_cmp_lt_u32_e32 vcc_lo, 0x7f800000, v1
	s_delay_alu instid0(VALU_DEP_2)
	v_cndmask_b32_e32 v0, 0x7e, v0, vcc_lo
; %bb.2971:
	s_or_b32 exec_lo, exec_lo, s31
	flat_store_b8 v[30:31], v0
.LBB297_2972:
	s_wait_xcnt 0x0
	s_or_b32 exec_lo, exec_lo, s30
.LBB297_2973:
	s_and_not1_saveexec_b32 s29, s29
	s_cbranch_execz .LBB297_2983
; %bb.2974:
	v_cndmask_b32_e64 v1, 0, 1.0, s21
	s_mov_b32 s30, exec_lo
                                        ; implicit-def: $vgpr0
	s_delay_alu instid0(VALU_DEP_1)
	v_cmpx_gt_u32_e32 0x47800000, v1
	s_xor_b32 s30, exec_lo, s30
	s_cbranch_execz .LBB297_2980
; %bb.2975:
	s_mov_b32 s31, exec_lo
                                        ; implicit-def: $vgpr0
	v_cmpx_lt_u32_e32 0x387fffff, v1
	s_xor_b32 s31, exec_lo, s31
; %bb.2976:
	v_bfe_u32 v0, v1, 21, 1
	s_delay_alu instid0(VALU_DEP_1) | instskip(NEXT) | instid1(VALU_DEP_1)
	v_add3_u32 v0, v1, v0, 0x80fffff
                                        ; implicit-def: $vgpr1
	v_lshrrev_b32_e32 v0, 21, v0
; %bb.2977:
	s_and_not1_saveexec_b32 s31, s31
; %bb.2978:
	v_add_f32_e32 v0, 0x43000000, v1
; %bb.2979:
	s_or_b32 exec_lo, exec_lo, s31
                                        ; implicit-def: $vgpr1
.LBB297_2980:
	s_and_not1_saveexec_b32 s30, s30
; %bb.2981:
	v_mov_b32_e32 v0, 0x7f
	v_cmp_lt_u32_e32 vcc_lo, 0x7f800000, v1
	s_delay_alu instid0(VALU_DEP_2)
	v_cndmask_b32_e32 v0, 0x7c, v0, vcc_lo
; %bb.2982:
	s_or_b32 exec_lo, exec_lo, s30
	flat_store_b8 v[30:31], v0
.LBB297_2983:
	s_wait_xcnt 0x0
	s_or_b32 exec_lo, exec_lo, s29
.LBB297_2984:
	s_or_saveexec_b32 s28, s28
	s_mov_b32 s29, 0
	s_mov_b32 s30, s0
	s_xor_b32 exec_lo, exec_lo, s28
	s_cbranch_execz .LBB297_2992
; %bb.2985:
	s_mov_b32 s29, s0
	s_mov_b32 s30, exec_lo
	v_cmpx_lt_i16_e32 14, v15
	s_xor_b32 s30, exec_lo, s30
	s_cbranch_execz .LBB297_2989
; %bb.2986:
	s_mov_b32 s31, -1
	s_mov_b32 s29, exec_lo
	v_cmpx_eq_u16_e32 15, v15
	s_cbranch_execz .LBB297_2988
; %bb.2987:
	v_cndmask_b32_e64 v0, 0, 1.0, s21
	s_xor_b32 s31, exec_lo, -1
	s_delay_alu instid0(VALU_DEP_1) | instskip(NEXT) | instid1(VALU_DEP_1)
	v_bfe_u32 v1, v0, 16, 1
	v_add3_u32 v0, v0, v1, 0x7fff
	flat_store_d16_hi_b16 v[30:31], v0
.LBB297_2988:
	s_wait_xcnt 0x0
	s_or_b32 exec_lo, exec_lo, s29
	s_delay_alu instid0(SALU_CYCLE_1) | instskip(SKIP_1) | instid1(SALU_CYCLE_1)
	s_and_not1_b32 s29, s0, exec_lo
	s_and_b32 s31, s31, exec_lo
	s_or_b32 s29, s29, s31
.LBB297_2989:
	s_or_saveexec_b32 s30, s30
	s_mov_b32 s31, 0
	s_xor_b32 exec_lo, exec_lo, s30
; %bb.2990:
	v_cmp_ne_u16_e32 vcc_lo, 11, v15
	s_and_not1_b32 s29, s29, exec_lo
	s_mov_b32 s31, exec_lo
	s_and_b32 s33, vcc_lo, exec_lo
	s_delay_alu instid0(SALU_CYCLE_1)
	s_or_b32 s29, s29, s33
; %bb.2991:
	s_or_b32 exec_lo, exec_lo, s30
	s_delay_alu instid0(SALU_CYCLE_1)
	s_and_not1_b32 s30, s0, exec_lo
	s_and_b32 s33, s29, exec_lo
	s_and_b32 s29, s31, exec_lo
	s_or_b32 s30, s30, s33
.LBB297_2992:
	s_or_b32 exec_lo, exec_lo, s28
	s_delay_alu instid0(SALU_CYCLE_1)
	s_and_not1_b32 s0, s0, exec_lo
	s_and_b32 s30, s30, exec_lo
	s_and_b32 s28, s29, exec_lo
	s_or_b32 s0, s0, s30
	s_or_b32 exec_lo, exec_lo, s27
	s_mov_b32 s29, s25
	s_and_saveexec_b32 s27, s0
	s_cbranch_execz .LBB297_2017
.LBB297_2993:
	s_and_not1_b32 s28, s28, exec_lo
	s_or_b32 s29, s25, exec_lo
	s_trap 2
	s_branch .LBB297_2017
.LBB297_2994:
	s_and_not1_saveexec_b32 s27, s0
	s_cbranch_execz .LBB297_2509
.LBB297_2995:
	v_add_f32_e64 v9, 0x46000000, |v7|
	s_and_not1_b32 s26, s26, exec_lo
	s_delay_alu instid0(VALU_DEP_1) | instskip(NEXT) | instid1(VALU_DEP_1)
	v_and_b32_e32 v11, 0xff, v9
	v_cmp_ne_u32_e64 s0, 0, v11
	s_and_b32 s0, s0, exec_lo
	s_delay_alu instid0(SALU_CYCLE_1)
	s_or_b32 s26, s26, s0
	s_or_b32 exec_lo, exec_lo, s27
	v_mov_b32_e32 v9, 0
	s_and_saveexec_b32 s0, s26
	s_cbranch_execnz .LBB297_2510
	s_branch .LBB297_2511
.LBB297_2996:
	s_and_not1_saveexec_b32 s27, s0
	s_cbranch_execz .LBB297_2517
.LBB297_2997:
	v_add_f32_e64 v9, 0x46000000, |v7|
	s_and_not1_b32 s26, s26, exec_lo
	s_delay_alu instid0(VALU_DEP_1) | instskip(NEXT) | instid1(VALU_DEP_1)
	v_and_b32_e32 v11, 0xff, v9
	v_cmp_ne_u32_e64 s0, 0, v11
	s_and_b32 s0, s0, exec_lo
	s_delay_alu instid0(SALU_CYCLE_1)
	s_or_b32 s26, s26, s0
	s_or_b32 exec_lo, exec_lo, s27
	v_mov_b32_e32 v9, 0
	s_and_saveexec_b32 s0, s26
	s_cbranch_execnz .LBB297_2518
	s_branch .LBB297_2519
.LBB297_2998:
	s_and_not1_saveexec_b32 s28, s0
	s_cbranch_execz .LBB297_2537
.LBB297_2999:
	v_add_f32_e64 v9, 0x46000000, |v13|
	s_and_not1_b32 s27, s27, exec_lo
	s_delay_alu instid0(VALU_DEP_1) | instskip(NEXT) | instid1(VALU_DEP_1)
	v_and_b32_e32 v11, 0xff, v9
	v_cmp_ne_u32_e64 s0, 0, v11
	s_and_b32 s0, s0, exec_lo
	s_delay_alu instid0(SALU_CYCLE_1)
	s_or_b32 s27, s27, s0
	s_or_b32 exec_lo, exec_lo, s28
	v_mov_b32_e32 v9, 0
	s_and_saveexec_b32 s0, s27
	s_cbranch_execnz .LBB297_2538
	s_branch .LBB297_2539
.LBB297_3000:
	s_or_saveexec_b32 s28, s28
	v_mov_b32_e32 v5, 0x7f800001
	s_xor_b32 exec_lo, exec_lo, s28
	s_cbranch_execz .LBB297_2599
.LBB297_3001:
	v_cmp_ne_u16_e64 s0, 0, v7
	v_mov_b32_e32 v5, 0
	s_and_not1_b32 s27, s27, exec_lo
	s_and_b32 s0, s0, exec_lo
	s_delay_alu instid0(SALU_CYCLE_1)
	s_or_b32 s27, s27, s0
	s_or_b32 exec_lo, exec_lo, s28
	s_and_saveexec_b32 s28, s27
	s_cbranch_execnz .LBB297_2600
	s_branch .LBB297_2601
.LBB297_3002:
	s_and_not1_saveexec_b32 s28, s0
	s_cbranch_execz .LBB297_2621
.LBB297_3003:
	v_add_f32_e64 v7, 0x46000000, |v5|
	s_and_not1_b32 s27, s27, exec_lo
	s_delay_alu instid0(VALU_DEP_1) | instskip(NEXT) | instid1(VALU_DEP_1)
	v_and_b32_e32 v11, 0xff, v7
	v_cmp_ne_u32_e64 s0, 0, v11
	s_and_b32 s0, s0, exec_lo
	s_delay_alu instid0(SALU_CYCLE_1)
	s_or_b32 s27, s27, s0
	s_or_b32 exec_lo, exec_lo, s28
	v_mov_b32_e32 v7, 0
	s_and_saveexec_b32 s0, s27
	s_cbranch_execnz .LBB297_2622
	s_branch .LBB297_2623
.LBB297_3004:
	s_and_not1_saveexec_b32 s27, s0
	s_cbranch_execz .LBB297_1352
.LBB297_3005:
	v_add_f32_e64 v9, 0x46000000, |v7|
	s_and_not1_b32 s26, s26, exec_lo
	s_delay_alu instid0(VALU_DEP_1) | instskip(NEXT) | instid1(VALU_DEP_1)
	v_and_b32_e32 v11, 0xff, v9
	v_cmp_ne_u32_e64 s0, 0, v11
	s_and_b32 s0, s0, exec_lo
	s_delay_alu instid0(SALU_CYCLE_1)
	s_or_b32 s26, s26, s0
	s_or_b32 exec_lo, exec_lo, s27
	v_mov_b32_e32 v9, 0
	s_and_saveexec_b32 s0, s26
	s_cbranch_execnz .LBB297_1353
	s_branch .LBB297_1354
.LBB297_3006:
	s_and_not1_saveexec_b32 s29, s0
	s_cbranch_execz .LBB297_1362
.LBB297_3007:
	v_add_f32_e32 v7, 0x46000000, v11
	s_and_not1_b32 s28, s28, exec_lo
	s_delay_alu instid0(VALU_DEP_1) | instskip(NEXT) | instid1(VALU_DEP_1)
	v_and_b32_e32 v7, 0xff, v7
	v_cmp_ne_u32_e64 s0, 0, v7
	s_and_b32 s0, s0, exec_lo
	s_delay_alu instid0(SALU_CYCLE_1)
	s_or_b32 s28, s28, s0
	s_or_b32 exec_lo, exec_lo, s29
	v_mov_b32_e32 v9, 0
	s_and_saveexec_b32 s0, s28
	s_cbranch_execnz .LBB297_1363
	s_branch .LBB297_1364
.LBB297_3008:
	s_and_not1_saveexec_b32 s30, s0
	s_cbranch_execz .LBB297_1551
.LBB297_3009:
	v_add_f32_e32 v5, 0x46000000, v11
	s_and_not1_b32 s29, s29, exec_lo
	s_delay_alu instid0(VALU_DEP_1) | instskip(NEXT) | instid1(VALU_DEP_1)
	v_and_b32_e32 v5, 0xff, v5
	v_cmp_ne_u32_e64 s0, 0, v5
	s_and_b32 s0, s0, exec_lo
	s_delay_alu instid0(SALU_CYCLE_1)
	s_or_b32 s29, s29, s0
	s_or_b32 exec_lo, exec_lo, s30
	v_mov_b32_e32 v7, 0
	s_and_saveexec_b32 s0, s29
	s_cbranch_execnz .LBB297_1552
	s_branch .LBB297_1553
.LBB297_3010:
	s_and_not1_saveexec_b32 s30, s0
	s_cbranch_execz .LBB297_1563
.LBB297_3011:
	v_add_f32_e32 v5, 0x46000000, v11
	s_and_not1_b32 s29, s29, exec_lo
	s_delay_alu instid0(VALU_DEP_1) | instskip(NEXT) | instid1(VALU_DEP_1)
	v_and_b32_e32 v5, 0xff, v5
	v_cmp_ne_u32_e64 s0, 0, v5
	s_and_b32 s0, s0, exec_lo
	s_delay_alu instid0(SALU_CYCLE_1)
	s_or_b32 s29, s29, s0
	s_or_b32 exec_lo, exec_lo, s30
	v_mov_b32_e32 v7, 0
	s_and_saveexec_b32 s0, s29
	s_cbranch_execnz .LBB297_1564
	s_branch .LBB297_1565
.LBB297_3012:
	s_and_not1_saveexec_b32 s30, s0
	s_cbranch_execz .LBB297_1571
.LBB297_3013:
	v_add_f32_e32 v5, 0x46000000, v11
	s_and_not1_b32 s29, s29, exec_lo
	s_delay_alu instid0(VALU_DEP_1) | instskip(NEXT) | instid1(VALU_DEP_1)
	v_and_b32_e32 v5, 0xff, v5
	v_cmp_ne_u32_e64 s0, 0, v5
	s_and_b32 s0, s0, exec_lo
	s_delay_alu instid0(SALU_CYCLE_1)
	s_or_b32 s29, s29, s0
	s_or_b32 exec_lo, exec_lo, s30
	v_mov_b32_e32 v7, 0
	s_and_saveexec_b32 s0, s29
	s_cbranch_execnz .LBB297_1572
	s_branch .LBB297_1573
.LBB297_3014:
	s_and_not1_saveexec_b32 s29, s0
	s_cbranch_execz .LBB297_1598
.LBB297_3015:
	v_add_f32_e64 v3, 0x46000000, |v2|
	s_and_not1_b32 s28, s28, exec_lo
	s_delay_alu instid0(VALU_DEP_1) | instskip(NEXT) | instid1(VALU_DEP_1)
	v_and_b32_e32 v3, 0xff, v3
	v_cmp_ne_u32_e64 s0, 0, v3
	s_and_b32 s0, s0, exec_lo
	s_delay_alu instid0(SALU_CYCLE_1)
	s_or_b32 s28, s28, s0
	s_or_b32 exec_lo, exec_lo, s29
	v_mov_b32_e32 v7, 0
	s_and_saveexec_b32 s0, s28
	s_cbranch_execnz .LBB297_1599
	s_branch .LBB297_1600
.LBB297_3016:
	s_and_not1_saveexec_b32 s29, s0
	s_cbranch_execz .LBB297_1606
.LBB297_3017:
	v_add_f32_e64 v3, 0x46000000, |v2|
	s_and_not1_b32 s28, s28, exec_lo
	s_delay_alu instid0(VALU_DEP_1) | instskip(NEXT) | instid1(VALU_DEP_1)
	v_and_b32_e32 v3, 0xff, v3
	v_cmp_ne_u32_e64 s0, 0, v3
	s_and_b32 s0, s0, exec_lo
	s_delay_alu instid0(SALU_CYCLE_1)
	s_or_b32 s28, s28, s0
	s_or_b32 exec_lo, exec_lo, s29
	v_mov_b32_e32 v7, 0
	s_and_saveexec_b32 s0, s28
	s_cbranch_execnz .LBB297_1607
	s_branch .LBB297_1608
.LBB297_3018:
	s_and_not1_saveexec_b32 s29, s0
	s_cbranch_execz .LBB297_1626
.LBB297_3019:
	v_add_f32_e64 v3, 0x46000000, |v2|
	s_and_not1_b32 s28, s28, exec_lo
	s_delay_alu instid0(VALU_DEP_1) | instskip(NEXT) | instid1(VALU_DEP_1)
	v_and_b32_e32 v3, 0xff, v3
	v_cmp_ne_u32_e64 s0, 0, v3
	s_and_b32 s0, s0, exec_lo
	s_delay_alu instid0(SALU_CYCLE_1)
	s_or_b32 s28, s28, s0
	s_or_b32 exec_lo, exec_lo, s29
	v_mov_b32_e32 v7, 0
	s_and_saveexec_b32 s0, s28
	s_cbranch_execnz .LBB297_1627
	s_branch .LBB297_1628
.LBB297_3020:
	s_and_not1_saveexec_b32 s29, s0
	s_cbranch_execz .LBB297_1634
.LBB297_3021:
	v_add_f32_e64 v3, 0x46000000, |v2|
	s_and_not1_b32 s28, s28, exec_lo
	s_delay_alu instid0(VALU_DEP_1) | instskip(NEXT) | instid1(VALU_DEP_1)
	v_and_b32_e32 v3, 0xff, v3
	v_cmp_ne_u32_e64 s0, 0, v3
	s_and_b32 s0, s0, exec_lo
	s_delay_alu instid0(SALU_CYCLE_1)
	s_or_b32 s28, s28, s0
	s_or_b32 exec_lo, exec_lo, s29
	v_mov_b32_e32 v7, 0
	s_and_saveexec_b32 s0, s28
	s_cbranch_execnz .LBB297_1635
	s_branch .LBB297_1636
.LBB297_3022:
	s_and_not1_saveexec_b32 s29, s0
	s_cbranch_execz .LBB297_1656
.LBB297_3023:
	v_add_f32_e64 v3, 0x46000000, |v2|
	s_and_not1_b32 s28, s28, exec_lo
	s_delay_alu instid0(VALU_DEP_1) | instskip(NEXT) | instid1(VALU_DEP_1)
	v_and_b32_e32 v3, 0xff, v3
	v_cmp_ne_u32_e64 s0, 0, v3
	s_and_b32 s0, s0, exec_lo
	s_delay_alu instid0(SALU_CYCLE_1)
	s_or_b32 s28, s28, s0
	s_or_b32 exec_lo, exec_lo, s29
	v_mov_b32_e32 v7, 0
	s_and_saveexec_b32 s0, s28
	s_cbranch_execnz .LBB297_1657
	s_branch .LBB297_1658
.LBB297_3024:
	s_and_not1_saveexec_b32 s29, s0
	s_cbranch_execz .LBB297_1664
.LBB297_3025:
	v_add_f32_e64 v3, 0x46000000, |v2|
	s_and_not1_b32 s28, s28, exec_lo
	s_delay_alu instid0(VALU_DEP_1) | instskip(NEXT) | instid1(VALU_DEP_1)
	v_and_b32_e32 v3, 0xff, v3
	v_cmp_ne_u32_e64 s0, 0, v3
	s_and_b32 s0, s0, exec_lo
	s_delay_alu instid0(SALU_CYCLE_1)
	s_or_b32 s28, s28, s0
	s_or_b32 exec_lo, exec_lo, s29
	v_mov_b32_e32 v7, 0
	s_and_saveexec_b32 s0, s28
	s_cbranch_execnz .LBB297_1665
	s_branch .LBB297_1666
.LBB297_3026:
	s_and_not1_saveexec_b32 s31, s31
	s_cbranch_execz .LBB297_1758
.LBB297_3027:
	v_add_f32_e32 v5, 0x46000000, v7
	s_and_not1_b32 s30, s30, exec_lo
	s_delay_alu instid0(VALU_DEP_1) | instskip(NEXT) | instid1(VALU_DEP_1)
	v_and_b32_e32 v5, 0xff, v5
	v_cmp_ne_u32_e32 vcc_lo, 0, v5
	s_and_b32 s33, vcc_lo, exec_lo
	s_delay_alu instid0(SALU_CYCLE_1)
	s_or_b32 s30, s30, s33
	s_or_b32 exec_lo, exec_lo, s31
	v_mov_b32_e32 v9, 0
	s_and_saveexec_b32 s31, s30
	s_cbranch_execnz .LBB297_1759
	s_branch .LBB297_1760
.LBB297_3028:
	s_and_not1_saveexec_b32 s29, s0
	s_cbranch_execz .LBB297_2604
.LBB297_3029:
	v_add_f32_e64 v7, 0x46000000, |v5|
	s_and_not1_b32 s28, s28, exec_lo
	s_delay_alu instid0(VALU_DEP_1) | instskip(NEXT) | instid1(VALU_DEP_1)
	v_and_b32_e32 v11, 0xff, v7
	v_cmp_ne_u32_e64 s0, 0, v11
	s_and_b32 s0, s0, exec_lo
	s_delay_alu instid0(SALU_CYCLE_1)
	s_or_b32 s28, s28, s0
	s_or_b32 exec_lo, exec_lo, s29
	v_mov_b32_e32 v7, 0
	s_and_saveexec_b32 s0, s28
	s_cbranch_execnz .LBB297_2605
	s_branch .LBB297_2606
.LBB297_3030:
	s_and_not1_saveexec_b32 s29, s0
	s_cbranch_execz .LBB297_2612
.LBB297_3031:
	v_add_f32_e64 v7, 0x46000000, |v5|
	s_and_not1_b32 s28, s28, exec_lo
	s_delay_alu instid0(VALU_DEP_1) | instskip(NEXT) | instid1(VALU_DEP_1)
	v_and_b32_e32 v11, 0xff, v7
	v_cmp_ne_u32_e64 s0, 0, v11
	s_and_b32 s0, s0, exec_lo
	s_delay_alu instid0(SALU_CYCLE_1)
	s_or_b32 s28, s28, s0
	s_or_b32 exec_lo, exec_lo, s29
	v_mov_b32_e32 v7, 0
	s_and_saveexec_b32 s0, s28
	s_cbranch_execnz .LBB297_2613
	s_branch .LBB297_2614
.LBB297_3032:
	s_and_not1_saveexec_b32 s30, s0
	s_cbranch_execz .LBB297_2632
.LBB297_3033:
	v_add_f32_e64 v7, 0x46000000, |v12|
	s_and_not1_b32 s29, s29, exec_lo
	s_delay_alu instid0(VALU_DEP_1) | instskip(NEXT) | instid1(VALU_DEP_1)
	v_and_b32_e32 v11, 0xff, v7
	v_cmp_ne_u32_e64 s0, 0, v11
	s_and_b32 s0, s0, exec_lo
	s_delay_alu instid0(SALU_CYCLE_1)
	s_or_b32 s29, s29, s0
	s_or_b32 exec_lo, exec_lo, s30
	v_mov_b32_e32 v7, 0
	s_and_saveexec_b32 s0, s29
	s_cbranch_execnz .LBB297_2633
	s_branch .LBB297_2634
.LBB297_3034:
	s_and_not1_saveexec_b32 s29, s0
	s_cbranch_execz .LBB297_1530
.LBB297_3035:
	v_add_f32_e64 v7, 0x46000000, |v5|
	s_and_not1_b32 s28, s28, exec_lo
	s_delay_alu instid0(VALU_DEP_1) | instskip(NEXT) | instid1(VALU_DEP_1)
	v_and_b32_e32 v11, 0xff, v7
	v_cmp_ne_u32_e64 s0, 0, v11
	s_and_b32 s0, s0, exec_lo
	s_delay_alu instid0(SALU_CYCLE_1)
	s_or_b32 s28, s28, s0
	s_or_b32 exec_lo, exec_lo, s29
	v_mov_b32_e32 v7, 0
	s_and_saveexec_b32 s0, s28
	s_cbranch_execnz .LBB297_1531
	s_branch .LBB297_1532
.LBB297_3036:
	s_and_not1_saveexec_b32 s31, s0
	s_cbranch_execz .LBB297_1540
.LBB297_3037:
	v_add_f32_e32 v5, 0x46000000, v11
	s_and_not1_b32 s30, s30, exec_lo
	s_delay_alu instid0(VALU_DEP_1) | instskip(NEXT) | instid1(VALU_DEP_1)
	v_and_b32_e32 v5, 0xff, v5
	v_cmp_ne_u32_e64 s0, 0, v5
	s_and_b32 s0, s0, exec_lo
	s_delay_alu instid0(SALU_CYCLE_1)
	s_or_b32 s30, s30, s0
	s_or_b32 exec_lo, exec_lo, s31
	v_mov_b32_e32 v7, 0
	s_and_saveexec_b32 s0, s30
	s_cbranch_execnz .LBB297_1541
	s_branch .LBB297_1542
.LBB297_3038:
	s_and_not1_saveexec_b32 s33, s33
	s_cbranch_execz .LBB297_1842
.LBB297_3039:
	v_add_f32_e32 v5, 0x46000000, v7
	s_and_not1_b32 s31, s31, exec_lo
	s_delay_alu instid0(VALU_DEP_1) | instskip(NEXT) | instid1(VALU_DEP_1)
	v_and_b32_e32 v5, 0xff, v5
	v_cmp_ne_u32_e32 vcc_lo, 0, v5
	s_and_b32 s34, vcc_lo, exec_lo
	s_delay_alu instid0(SALU_CYCLE_1)
	s_or_b32 s31, s31, s34
	s_or_b32 exec_lo, exec_lo, s33
	v_mov_b32_e32 v8, 0
	s_and_saveexec_b32 s33, s31
	s_cbranch_execnz .LBB297_1843
	s_branch .LBB297_1844
.LBB297_3040:
	s_and_not1_saveexec_b32 s31, s31
	s_cbranch_execz .LBB297_2701
.LBB297_3041:
	v_add_f32_e32 v5, 0x42800000, v7
	s_and_not1_b32 s30, s30, exec_lo
	s_delay_alu instid0(VALU_DEP_1) | instskip(NEXT) | instid1(VALU_DEP_1)
	v_and_b32_e32 v5, 0xff, v5
	v_cmp_ne_u32_e32 vcc_lo, 0, v5
	s_and_b32 s33, vcc_lo, exec_lo
	s_delay_alu instid0(SALU_CYCLE_1)
	s_or_b32 s30, s30, s33
	s_or_b32 exec_lo, exec_lo, s31
	v_mov_b32_e32 v9, 0
	s_and_saveexec_b32 s31, s30
	s_cbranch_execnz .LBB297_2702
	s_branch .LBB297_2703
.LBB297_3042:
	s_and_not1_saveexec_b32 s34, s34
	s_cbranch_execz .LBB297_1926
.LBB297_3043:
	v_add_f32_e32 v5, 0x46000000, v6
	s_and_not1_b32 s33, s33, exec_lo
	s_delay_alu instid0(VALU_DEP_1) | instskip(NEXT) | instid1(VALU_DEP_1)
	v_and_b32_e32 v5, 0xff, v5
	v_cmp_ne_u32_e32 vcc_lo, 0, v5
	s_and_b32 s35, vcc_lo, exec_lo
	s_delay_alu instid0(SALU_CYCLE_1)
	s_or_b32 s33, s33, s35
	s_or_b32 exec_lo, exec_lo, s34
	v_mov_b32_e32 v7, 0
	s_and_saveexec_b32 s34, s33
	s_cbranch_execnz .LBB297_1927
	s_branch .LBB297_1928
.LBB297_3044:
	s_and_not1_saveexec_b32 s33, s33
	s_cbranch_execz .LBB297_2788
.LBB297_3045:
	v_add_f32_e32 v5, 0x42800000, v7
	s_and_not1_b32 s31, s31, exec_lo
	s_delay_alu instid0(VALU_DEP_1) | instskip(NEXT) | instid1(VALU_DEP_1)
	v_and_b32_e32 v5, 0xff, v5
	v_cmp_ne_u32_e32 vcc_lo, 0, v5
	s_and_b32 s34, vcc_lo, exec_lo
	s_delay_alu instid0(SALU_CYCLE_1)
	s_or_b32 s31, s31, s34
	s_or_b32 exec_lo, exec_lo, s33
	v_mov_b32_e32 v8, 0
	s_and_saveexec_b32 s33, s31
	s_cbranch_execnz .LBB297_2789
	s_branch .LBB297_2790
.LBB297_3046:
	s_and_not1_saveexec_b32 s34, s34
	s_cbranch_execz .LBB297_2010
.LBB297_3047:
	v_add_f32_e32 v0, 0x46000000, v1
	s_and_not1_b32 s33, s33, exec_lo
	s_delay_alu instid0(VALU_DEP_1) | instskip(NEXT) | instid1(VALU_DEP_1)
	v_and_b32_e32 v0, 0xff, v0
	v_cmp_ne_u32_e32 vcc_lo, 0, v0
	s_and_b32 s35, vcc_lo, exec_lo
	s_delay_alu instid0(SALU_CYCLE_1)
	s_or_b32 s33, s33, s35
	s_or_b32 exec_lo, exec_lo, s34
	v_mov_b32_e32 v2, 0
	s_and_saveexec_b32 s34, s33
	s_cbranch_execnz .LBB297_2011
	s_branch .LBB297_2012
.LBB297_3048:
	s_and_not1_saveexec_b32 s34, s34
	s_cbranch_execz .LBB297_2873
.LBB297_3049:
	v_add_f32_e32 v5, 0x42800000, v6
	s_and_not1_b32 s33, s33, exec_lo
	s_delay_alu instid0(VALU_DEP_1) | instskip(NEXT) | instid1(VALU_DEP_1)
	v_and_b32_e32 v5, 0xff, v5
	v_cmp_ne_u32_e32 vcc_lo, 0, v5
	s_and_b32 s35, vcc_lo, exec_lo
	s_delay_alu instid0(SALU_CYCLE_1)
	s_or_b32 s33, s33, s35
	s_or_b32 exec_lo, exec_lo, s34
	v_mov_b32_e32 v7, 0
	s_and_saveexec_b32 s34, s33
	s_cbranch_execnz .LBB297_2874
	s_branch .LBB297_2875
.LBB297_3050:
	s_and_not1_saveexec_b32 s34, s34
	s_cbranch_execz .LBB297_2958
.LBB297_3051:
	v_add_f32_e32 v0, 0x42800000, v1
	s_and_not1_b32 s33, s33, exec_lo
	s_delay_alu instid0(VALU_DEP_1) | instskip(NEXT) | instid1(VALU_DEP_1)
	v_and_b32_e32 v0, 0xff, v0
	v_cmp_ne_u32_e32 vcc_lo, 0, v0
	s_and_b32 s35, vcc_lo, exec_lo
	s_delay_alu instid0(SALU_CYCLE_1)
	s_or_b32 s33, s33, s35
	s_or_b32 exec_lo, exec_lo, s34
	v_mov_b32_e32 v2, 0
	s_and_saveexec_b32 s34, s33
	s_cbranch_execnz .LBB297_2959
	s_branch .LBB297_2960
	.section	.rodata,"a",@progbits
	.p2align	6, 0x0
	.amdhsa_kernel _ZN2at6native32elementwise_kernel_manual_unrollILi128ELi4EZNS0_15gpu_kernel_implINS0_13BinaryFunctorIN3c1015Float8_e4m3fnuzES5_bNS0_12_GLOBAL__N_116CompareEqFunctorIS5_EEEEEEvRNS_18TensorIteratorBaseERKT_EUlibE0_EEviT1_
		.amdhsa_group_segment_fixed_size 0
		.amdhsa_private_segment_fixed_size 448
		.amdhsa_kernarg_size 432
		.amdhsa_user_sgpr_count 2
		.amdhsa_user_sgpr_dispatch_ptr 0
		.amdhsa_user_sgpr_queue_ptr 0
		.amdhsa_user_sgpr_kernarg_segment_ptr 1
		.amdhsa_user_sgpr_dispatch_id 0
		.amdhsa_user_sgpr_kernarg_preload_length 0
		.amdhsa_user_sgpr_kernarg_preload_offset 0
		.amdhsa_user_sgpr_private_segment_size 0
		.amdhsa_wavefront_size32 1
		.amdhsa_uses_dynamic_stack 0
		.amdhsa_enable_private_segment 1
		.amdhsa_system_sgpr_workgroup_id_x 1
		.amdhsa_system_sgpr_workgroup_id_y 0
		.amdhsa_system_sgpr_workgroup_id_z 0
		.amdhsa_system_sgpr_workgroup_info 0
		.amdhsa_system_vgpr_workitem_id 0
		.amdhsa_next_free_vgpr 40
		.amdhsa_next_free_sgpr 96
		.amdhsa_named_barrier_count 0
		.amdhsa_reserve_vcc 1
		.amdhsa_float_round_mode_32 0
		.amdhsa_float_round_mode_16_64 0
		.amdhsa_float_denorm_mode_32 3
		.amdhsa_float_denorm_mode_16_64 3
		.amdhsa_fp16_overflow 0
		.amdhsa_memory_ordered 1
		.amdhsa_forward_progress 1
		.amdhsa_inst_pref_size 255
		.amdhsa_round_robin_scheduling 0
		.amdhsa_exception_fp_ieee_invalid_op 0
		.amdhsa_exception_fp_denorm_src 0
		.amdhsa_exception_fp_ieee_div_zero 0
		.amdhsa_exception_fp_ieee_overflow 0
		.amdhsa_exception_fp_ieee_underflow 0
		.amdhsa_exception_fp_ieee_inexact 0
		.amdhsa_exception_int_div_zero 0
	.end_amdhsa_kernel
	.section	.text._ZN2at6native32elementwise_kernel_manual_unrollILi128ELi4EZNS0_15gpu_kernel_implINS0_13BinaryFunctorIN3c1015Float8_e4m3fnuzES5_bNS0_12_GLOBAL__N_116CompareEqFunctorIS5_EEEEEEvRNS_18TensorIteratorBaseERKT_EUlibE0_EEviT1_,"axG",@progbits,_ZN2at6native32elementwise_kernel_manual_unrollILi128ELi4EZNS0_15gpu_kernel_implINS0_13BinaryFunctorIN3c1015Float8_e4m3fnuzES5_bNS0_12_GLOBAL__N_116CompareEqFunctorIS5_EEEEEEvRNS_18TensorIteratorBaseERKT_EUlibE0_EEviT1_,comdat
.Lfunc_end297:
	.size	_ZN2at6native32elementwise_kernel_manual_unrollILi128ELi4EZNS0_15gpu_kernel_implINS0_13BinaryFunctorIN3c1015Float8_e4m3fnuzES5_bNS0_12_GLOBAL__N_116CompareEqFunctorIS5_EEEEEEvRNS_18TensorIteratorBaseERKT_EUlibE0_EEviT1_, .Lfunc_end297-_ZN2at6native32elementwise_kernel_manual_unrollILi128ELi4EZNS0_15gpu_kernel_implINS0_13BinaryFunctorIN3c1015Float8_e4m3fnuzES5_bNS0_12_GLOBAL__N_116CompareEqFunctorIS5_EEEEEEvRNS_18TensorIteratorBaseERKT_EUlibE0_EEviT1_
                                        ; -- End function
	.set _ZN2at6native32elementwise_kernel_manual_unrollILi128ELi4EZNS0_15gpu_kernel_implINS0_13BinaryFunctorIN3c1015Float8_e4m3fnuzES5_bNS0_12_GLOBAL__N_116CompareEqFunctorIS5_EEEEEEvRNS_18TensorIteratorBaseERKT_EUlibE0_EEviT1_.num_vgpr, max(40, .L_ZNK16OffsetCalculatorILi3EjLb0EE3getEj.num_vgpr, .L_ZN2at6native6invokeINS0_13BinaryFunctorIN3c1015Float8_e4m3fnuzES4_bNS0_12_GLOBAL__N_116CompareEqFunctorIS4_EEEEj15function_traitsIS8_EEENT1_11result_typeERKT_PrKPcPKT0_PKNS3_10ScalarTypeEi.num_vgpr)
	.set _ZN2at6native32elementwise_kernel_manual_unrollILi128ELi4EZNS0_15gpu_kernel_implINS0_13BinaryFunctorIN3c1015Float8_e4m3fnuzES5_bNS0_12_GLOBAL__N_116CompareEqFunctorIS5_EEEEEEvRNS_18TensorIteratorBaseERKT_EUlibE0_EEviT1_.num_agpr, max(0, .L_ZNK16OffsetCalculatorILi3EjLb0EE3getEj.num_agpr, .L_ZN2at6native6invokeINS0_13BinaryFunctorIN3c1015Float8_e4m3fnuzES4_bNS0_12_GLOBAL__N_116CompareEqFunctorIS4_EEEEj15function_traitsIS8_EEENT1_11result_typeERKT_PrKPcPKT0_PKNS3_10ScalarTypeEi.num_agpr)
	.set _ZN2at6native32elementwise_kernel_manual_unrollILi128ELi4EZNS0_15gpu_kernel_implINS0_13BinaryFunctorIN3c1015Float8_e4m3fnuzES5_bNS0_12_GLOBAL__N_116CompareEqFunctorIS5_EEEEEEvRNS_18TensorIteratorBaseERKT_EUlibE0_EEviT1_.numbered_sgpr, max(96, .L_ZNK16OffsetCalculatorILi3EjLb0EE3getEj.numbered_sgpr, .L_ZN2at6native6invokeINS0_13BinaryFunctorIN3c1015Float8_e4m3fnuzES4_bNS0_12_GLOBAL__N_116CompareEqFunctorIS4_EEEEj15function_traitsIS8_EEENT1_11result_typeERKT_PrKPcPKT0_PKNS3_10ScalarTypeEi.numbered_sgpr)
	.set _ZN2at6native32elementwise_kernel_manual_unrollILi128ELi4EZNS0_15gpu_kernel_implINS0_13BinaryFunctorIN3c1015Float8_e4m3fnuzES5_bNS0_12_GLOBAL__N_116CompareEqFunctorIS5_EEEEEEvRNS_18TensorIteratorBaseERKT_EUlibE0_EEviT1_.num_named_barrier, max(0, .L_ZNK16OffsetCalculatorILi3EjLb0EE3getEj.num_named_barrier, .L_ZN2at6native6invokeINS0_13BinaryFunctorIN3c1015Float8_e4m3fnuzES4_bNS0_12_GLOBAL__N_116CompareEqFunctorIS4_EEEEj15function_traitsIS8_EEENT1_11result_typeERKT_PrKPcPKT0_PKNS3_10ScalarTypeEi.num_named_barrier)
	.set _ZN2at6native32elementwise_kernel_manual_unrollILi128ELi4EZNS0_15gpu_kernel_implINS0_13BinaryFunctorIN3c1015Float8_e4m3fnuzES5_bNS0_12_GLOBAL__N_116CompareEqFunctorIS5_EEEEEEvRNS_18TensorIteratorBaseERKT_EUlibE0_EEviT1_.private_seg_size, 448+max(.L_ZNK16OffsetCalculatorILi3EjLb0EE3getEj.private_seg_size, .L_ZN2at6native6invokeINS0_13BinaryFunctorIN3c1015Float8_e4m3fnuzES4_bNS0_12_GLOBAL__N_116CompareEqFunctorIS4_EEEEj15function_traitsIS8_EEENT1_11result_typeERKT_PrKPcPKT0_PKNS3_10ScalarTypeEi.private_seg_size)
	.set _ZN2at6native32elementwise_kernel_manual_unrollILi128ELi4EZNS0_15gpu_kernel_implINS0_13BinaryFunctorIN3c1015Float8_e4m3fnuzES5_bNS0_12_GLOBAL__N_116CompareEqFunctorIS5_EEEEEEvRNS_18TensorIteratorBaseERKT_EUlibE0_EEviT1_.uses_vcc, or(1, .L_ZNK16OffsetCalculatorILi3EjLb0EE3getEj.uses_vcc, .L_ZN2at6native6invokeINS0_13BinaryFunctorIN3c1015Float8_e4m3fnuzES4_bNS0_12_GLOBAL__N_116CompareEqFunctorIS4_EEEEj15function_traitsIS8_EEENT1_11result_typeERKT_PrKPcPKT0_PKNS3_10ScalarTypeEi.uses_vcc)
	.set _ZN2at6native32elementwise_kernel_manual_unrollILi128ELi4EZNS0_15gpu_kernel_implINS0_13BinaryFunctorIN3c1015Float8_e4m3fnuzES5_bNS0_12_GLOBAL__N_116CompareEqFunctorIS5_EEEEEEvRNS_18TensorIteratorBaseERKT_EUlibE0_EEviT1_.uses_flat_scratch, or(1, .L_ZNK16OffsetCalculatorILi3EjLb0EE3getEj.uses_flat_scratch, .L_ZN2at6native6invokeINS0_13BinaryFunctorIN3c1015Float8_e4m3fnuzES4_bNS0_12_GLOBAL__N_116CompareEqFunctorIS4_EEEEj15function_traitsIS8_EEENT1_11result_typeERKT_PrKPcPKT0_PKNS3_10ScalarTypeEi.uses_flat_scratch)
	.set _ZN2at6native32elementwise_kernel_manual_unrollILi128ELi4EZNS0_15gpu_kernel_implINS0_13BinaryFunctorIN3c1015Float8_e4m3fnuzES5_bNS0_12_GLOBAL__N_116CompareEqFunctorIS5_EEEEEEvRNS_18TensorIteratorBaseERKT_EUlibE0_EEviT1_.has_dyn_sized_stack, or(0, .L_ZNK16OffsetCalculatorILi3EjLb0EE3getEj.has_dyn_sized_stack, .L_ZN2at6native6invokeINS0_13BinaryFunctorIN3c1015Float8_e4m3fnuzES4_bNS0_12_GLOBAL__N_116CompareEqFunctorIS4_EEEEj15function_traitsIS8_EEENT1_11result_typeERKT_PrKPcPKT0_PKNS3_10ScalarTypeEi.has_dyn_sized_stack)
	.set _ZN2at6native32elementwise_kernel_manual_unrollILi128ELi4EZNS0_15gpu_kernel_implINS0_13BinaryFunctorIN3c1015Float8_e4m3fnuzES5_bNS0_12_GLOBAL__N_116CompareEqFunctorIS5_EEEEEEvRNS_18TensorIteratorBaseERKT_EUlibE0_EEviT1_.has_recursion, or(0, .L_ZNK16OffsetCalculatorILi3EjLb0EE3getEj.has_recursion, .L_ZN2at6native6invokeINS0_13BinaryFunctorIN3c1015Float8_e4m3fnuzES4_bNS0_12_GLOBAL__N_116CompareEqFunctorIS4_EEEEj15function_traitsIS8_EEENT1_11result_typeERKT_PrKPcPKT0_PKNS3_10ScalarTypeEi.has_recursion)
	.set _ZN2at6native32elementwise_kernel_manual_unrollILi128ELi4EZNS0_15gpu_kernel_implINS0_13BinaryFunctorIN3c1015Float8_e4m3fnuzES5_bNS0_12_GLOBAL__N_116CompareEqFunctorIS5_EEEEEEvRNS_18TensorIteratorBaseERKT_EUlibE0_EEviT1_.has_indirect_call, or(0, .L_ZNK16OffsetCalculatorILi3EjLb0EE3getEj.has_indirect_call, .L_ZN2at6native6invokeINS0_13BinaryFunctorIN3c1015Float8_e4m3fnuzES4_bNS0_12_GLOBAL__N_116CompareEqFunctorIS4_EEEEj15function_traitsIS8_EEENT1_11result_typeERKT_PrKPcPKT0_PKNS3_10ScalarTypeEi.has_indirect_call)
	.section	.AMDGPU.csdata,"",@progbits
; Kernel info:
; codeLenInByte = 78360
; TotalNumSgprs: 98
; NumVgprs: 40
; ScratchSize: 448
; MemoryBound: 0
; FloatMode: 240
; IeeeMode: 1
; LDSByteSize: 0 bytes/workgroup (compile time only)
; SGPRBlocks: 0
; VGPRBlocks: 2
; NumSGPRsForWavesPerEU: 98
; NumVGPRsForWavesPerEU: 40
; NamedBarCnt: 0
; Occupancy: 16
; WaveLimiterHint : 1
; COMPUTE_PGM_RSRC2:SCRATCH_EN: 1
; COMPUTE_PGM_RSRC2:USER_SGPR: 2
; COMPUTE_PGM_RSRC2:TRAP_HANDLER: 0
; COMPUTE_PGM_RSRC2:TGID_X_EN: 1
; COMPUTE_PGM_RSRC2:TGID_Y_EN: 0
; COMPUTE_PGM_RSRC2:TGID_Z_EN: 0
; COMPUTE_PGM_RSRC2:TIDIG_COMP_CNT: 0
	.text
	.p2align	2                               ; -- Begin function _ZN2at6native25elementwise_kernel_helperILb0ENS0_13AUnaryFunctorIN3c1015Float8_e4m3fnuzES4_bNS0_12_GLOBAL__N_116CompareEqFunctorIS4_EEEENS0_6memory8policies11unroll_baseILi256ESt5arrayIPcLm2EE23TrivialOffsetCalculatorILi1EjESG_NS9_15LoadWithoutCastENS9_16StoreWithoutCastELi16ELi1EEEEEvT0_T1_
	.type	_ZN2at6native25elementwise_kernel_helperILb0ENS0_13AUnaryFunctorIN3c1015Float8_e4m3fnuzES4_bNS0_12_GLOBAL__N_116CompareEqFunctorIS4_EEEENS0_6memory8policies11unroll_baseILi256ESt5arrayIPcLm2EE23TrivialOffsetCalculatorILi1EjESG_NS9_15LoadWithoutCastENS9_16StoreWithoutCastELi16ELi1EEEEEvT0_T1_,@function
_ZN2at6native25elementwise_kernel_helperILb0ENS0_13AUnaryFunctorIN3c1015Float8_e4m3fnuzES4_bNS0_12_GLOBAL__N_116CompareEqFunctorIS4_EEEENS0_6memory8policies11unroll_baseILi256ESt5arrayIPcLm2EE23TrivialOffsetCalculatorILi1EjESG_NS9_15LoadWithoutCastENS9_16StoreWithoutCastELi16ELi1EEEEEvT0_T1_: ; @_ZN2at6native25elementwise_kernel_helperILb0ENS0_13AUnaryFunctorIN3c1015Float8_e4m3fnuzES4_bNS0_12_GLOBAL__N_116CompareEqFunctorIS4_EEEENS0_6memory8policies11unroll_baseILi256ESt5arrayIPcLm2EE23TrivialOffsetCalculatorILi1EjESG_NS9_15LoadWithoutCastENS9_16StoreWithoutCastELi16ELi1EEEEEvT0_T1_
; %bb.0:
	s_wait_loadcnt_dscnt 0x0
	s_wait_kmcnt 0x0
	s_bfe_u32 s0, ttmp6, 0x4000c
	s_and_b32 s1, ttmp6, 15
	s_add_co_i32 s0, s0, 1
	s_getreg_b32 s2, hwreg(HW_REG_IB_STS2, 6, 4)
	s_mul_i32 s0, ttmp9, s0
	v_and_b32_e32 v9, 0x3ff, v31
	s_add_co_i32 s1, s1, s0
	s_cmp_eq_u32 s2, 0
	v_mov_b32_e32 v13, 0
	s_cselect_b32 s0, ttmp9, s1
	v_cmp_lt_i32_e32 vcc_lo, v9, v6
	s_lshl_b32 s2, s0, 12
	s_delay_alu instid0(SALU_CYCLE_1)
	v_dual_mov_b32 v8, 0 :: v_dual_bitop2_b32 v10, s2, v9 bitop3:0x54
	v_dual_mov_b32 v15, 0 :: v_dual_add_nc_u32 v20, 0x100, v9
	v_dual_mov_b32 v14, 0 :: v_dual_mov_b32 v16, 0
	v_dual_mov_b32 v21, 0 :: v_dual_mov_b32 v22, 0
	;; [unrolled: 1-line block ×7, first 2 shown]
	s_and_saveexec_b32 s1, vcc_lo
	s_cbranch_execz .LBB298_32
; %bb.1:
	v_mov_b32_e32 v11, 0
	v_add_nc_u32_e32 v7, 0x100, v9
	s_mov_b32 s3, exec_lo
	s_delay_alu instid0(VALU_DEP_2)
	v_add_nc_u64_e32 v[12:13], v[4:5], v[10:11]
	v_dual_mov_b32 v17, v11 :: v_dual_mov_b32 v29, v11
	v_dual_mov_b32 v28, v11 :: v_dual_mov_b32 v27, v11
	;; [unrolled: 1-line block ×3, first 2 shown]
	v_mov_b32_e32 v24, v11
	flat_load_u8 v30, v[12:13]
	v_dual_mov_b32 v23, v11 :: v_dual_mov_b32 v22, v11
	v_dual_mov_b32 v21, v11 :: v_dual_mov_b32 v16, v11
	;; [unrolled: 1-line block ×3, first 2 shown]
	s_wait_xcnt 0x0
	v_mov_b32_e32 v13, v11
	v_cmpx_lt_u32_e64 v7, v6
	s_cbranch_execz .LBB298_31
; %bb.2:
	v_dual_mov_b32 v17, 0 :: v_dual_add_nc_u32 v16, s2, v9
	v_add_nc_u32_e32 v7, 0x200, v9
	s_mov_b32 s4, exec_lo
	s_delay_alu instid0(VALU_DEP_2)
	v_add_nc_u64_e32 v[18:19], v[4:5], v[16:17]
	v_dual_mov_b32 v29, v17 :: v_dual_mov_b32 v27, v17
	v_dual_mov_b32 v28, v17 :: v_dual_mov_b32 v26, v17
	v_dual_mov_b32 v25, v17 :: v_dual_mov_b32 v24, v17
	v_mov_b32_e32 v23, v17
	flat_load_u8 v11, v[18:19] offset:256
	v_dual_mov_b32 v22, v17 :: v_dual_mov_b32 v21, v17
	v_dual_mov_b32 v16, v17 :: v_dual_mov_b32 v14, v17
	;; [unrolled: 1-line block ×3, first 2 shown]
	s_wait_xcnt 0x0
	v_cmpx_lt_u32_e64 v7, v6
	s_cbranch_execz .LBB298_30
; %bb.3:
	flat_load_u8 v17, v[18:19] offset:512
	v_dual_mov_b32 v28, 0 :: v_dual_add_nc_u32 v7, 0x300, v9
	v_dual_mov_b32 v29, 0 :: v_dual_mov_b32 v27, 0
	v_dual_mov_b32 v26, 0 :: v_dual_mov_b32 v25, 0
	;; [unrolled: 1-line block ×6, first 2 shown]
	s_mov_b32 s5, exec_lo
	s_wait_xcnt 0x0
	v_cmpx_lt_u32_e64 v7, v6
	s_cbranch_execz .LBB298_29
; %bb.4:
	flat_load_u8 v29, v[18:19] offset:768
	v_or_b32_e32 v7, 0x400, v9
	v_dual_mov_b32 v28, 0 :: v_dual_mov_b32 v27, 0
	v_dual_mov_b32 v26, 0 :: v_dual_mov_b32 v25, 0
	v_dual_mov_b32 v24, 0 :: v_dual_mov_b32 v23, 0
	v_dual_mov_b32 v22, 0 :: v_dual_mov_b32 v21, 0
	v_dual_mov_b32 v16, 0 :: v_dual_mov_b32 v14, 0
	v_dual_mov_b32 v15, 0 :: v_dual_mov_b32 v13, 0
	s_mov_b32 s6, exec_lo
	s_wait_xcnt 0x0
	v_cmpx_lt_u32_e64 v7, v6
	s_cbranch_execz .LBB298_28
; %bb.5:
	flat_load_u8 v28, v[18:19] offset:1024
	v_dual_mov_b32 v26, 0 :: v_dual_add_nc_u32 v7, 0x500, v9
	v_dual_mov_b32 v27, 0 :: v_dual_mov_b32 v25, 0
	v_dual_mov_b32 v24, 0 :: v_dual_mov_b32 v23, 0
	;; [unrolled: 1-line block ×5, first 2 shown]
	s_mov_b32 s7, exec_lo
	s_wait_xcnt 0x0
	v_cmpx_lt_u32_e64 v7, v6
	s_cbranch_execz .LBB298_27
; %bb.6:
	flat_load_u8 v27, v[18:19] offset:1280
	v_dual_mov_b32 v26, 0 :: v_dual_add_nc_u32 v7, 0x600, v9
	v_dual_mov_b32 v25, 0 :: v_dual_mov_b32 v24, 0
	v_dual_mov_b32 v23, 0 :: v_dual_mov_b32 v22, 0
	;; [unrolled: 1-line block ×4, first 2 shown]
	v_mov_b32_e32 v13, 0
	s_mov_b32 s8, exec_lo
	s_wait_xcnt 0x0
	v_cmpx_lt_u32_e64 v7, v6
	s_cbranch_execz .LBB298_26
; %bb.7:
	flat_load_u8 v26, v[18:19] offset:1536
	v_dual_mov_b32 v24, 0 :: v_dual_add_nc_u32 v7, 0x700, v9
	v_dual_mov_b32 v25, 0 :: v_dual_mov_b32 v23, 0
	v_dual_mov_b32 v22, 0 :: v_dual_mov_b32 v21, 0
	;; [unrolled: 1-line block ×4, first 2 shown]
	s_mov_b32 s9, exec_lo
	s_wait_xcnt 0x0
	v_cmpx_lt_u32_e64 v7, v6
	s_cbranch_execz .LBB298_25
; %bb.8:
	flat_load_u8 v25, v[18:19] offset:1792
	v_or_b32_e32 v7, 0x800, v9
	v_dual_mov_b32 v24, 0 :: v_dual_mov_b32 v23, 0
	v_dual_mov_b32 v22, 0 :: v_dual_mov_b32 v21, 0
	;; [unrolled: 1-line block ×4, first 2 shown]
	s_mov_b32 s10, exec_lo
	s_wait_xcnt 0x0
	v_cmpx_lt_u32_e64 v7, v6
	s_cbranch_execz .LBB298_24
; %bb.9:
	flat_load_u8 v24, v[18:19] offset:2048
	v_dual_mov_b32 v22, 0 :: v_dual_add_nc_u32 v7, 0x900, v9
	v_dual_mov_b32 v23, 0 :: v_dual_mov_b32 v21, 0
	v_dual_mov_b32 v16, 0 :: v_dual_mov_b32 v14, 0
	;; [unrolled: 1-line block ×3, first 2 shown]
	s_mov_b32 s11, exec_lo
	s_wait_xcnt 0x0
	v_cmpx_lt_u32_e64 v7, v6
	s_cbranch_execz .LBB298_23
; %bb.10:
	flat_load_u8 v23, v[18:19] offset:2304
	v_dual_mov_b32 v22, 0 :: v_dual_add_nc_u32 v7, 0xa00, v9
	v_dual_mov_b32 v21, 0 :: v_dual_mov_b32 v16, 0
	v_dual_mov_b32 v14, 0 :: v_dual_mov_b32 v15, 0
	v_mov_b32_e32 v13, 0
	s_mov_b32 s12, exec_lo
	s_wait_xcnt 0x0
	v_cmpx_lt_u32_e64 v7, v6
	s_cbranch_execz .LBB298_22
; %bb.11:
	flat_load_u8 v22, v[18:19] offset:2560
	v_dual_mov_b32 v16, 0 :: v_dual_add_nc_u32 v7, 0xb00, v9
	v_dual_mov_b32 v21, 0 :: v_dual_mov_b32 v14, 0
	v_dual_mov_b32 v15, 0 :: v_dual_mov_b32 v13, 0
	s_mov_b32 s13, exec_lo
	s_wait_xcnt 0x0
	v_cmpx_lt_u32_e64 v7, v6
	s_cbranch_execz .LBB298_21
; %bb.12:
	flat_load_u8 v21, v[18:19] offset:2816
	v_or_b32_e32 v7, 0xc00, v9
	v_dual_mov_b32 v16, 0 :: v_dual_mov_b32 v14, 0
	v_dual_mov_b32 v15, 0 :: v_dual_mov_b32 v13, 0
	s_mov_b32 s14, exec_lo
	s_wait_xcnt 0x0
	v_cmpx_lt_u32_e64 v7, v6
	s_cbranch_execz .LBB298_20
; %bb.13:
	flat_load_u8 v16, v[18:19] offset:3072
	v_dual_mov_b32 v14, 0 :: v_dual_add_nc_u32 v7, 0xd00, v9
	v_dual_mov_b32 v15, 0 :: v_dual_mov_b32 v13, 0
	s_mov_b32 s15, exec_lo
	s_wait_xcnt 0x0
	s_delay_alu instid0(VALU_DEP_2)
	v_cmpx_lt_u32_e64 v7, v6
	s_cbranch_execz .LBB298_19
; %bb.14:
	v_dual_mov_b32 v15, 0 :: v_dual_add_nc_u32 v14, s2, v7
	v_add_nc_u32_e32 v7, 0xe00, v9
	s_mov_b32 s16, exec_lo
	s_delay_alu instid0(VALU_DEP_2)
	v_add_nc_u64_e32 v[12:13], v[4:5], v[14:15]
	flat_load_u8 v14, v[12:13]
	s_wait_xcnt 0x0
	v_mov_b32_e32 v13, v15
	v_cmpx_lt_u32_e64 v7, v6
	s_cbranch_execz .LBB298_18
; %bb.15:
	v_dual_mov_b32 v13, 0 :: v_dual_add_nc_u32 v12, s2, v7
	v_add_nc_u32_e32 v7, 0xf00, v9
	s_mov_b32 s17, exec_lo
	s_delay_alu instid0(VALU_DEP_2)
	v_add_nc_u64_e32 v[18:19], v[4:5], v[12:13]
	flat_load_u8 v15, v[18:19]
	s_wait_xcnt 0x0
	v_cmpx_lt_u32_e64 v7, v6
	s_cbranch_execz .LBB298_17
; %bb.16:
	v_dual_mov_b32 v13, 0 :: v_dual_add_nc_u32 v12, s2, v7
	s_delay_alu instid0(VALU_DEP_1)
	v_add_nc_u64_e32 v[4:5], v[4:5], v[12:13]
	flat_load_u8 v13, v[4:5]
.LBB298_17:
	s_wait_xcnt 0x0
	s_or_b32 exec_lo, exec_lo, s17
.LBB298_18:
	s_delay_alu instid0(SALU_CYCLE_1)
	s_or_b32 exec_lo, exec_lo, s16
.LBB298_19:
	s_delay_alu instid0(SALU_CYCLE_1)
	s_or_b32 exec_lo, exec_lo, s15
.LBB298_20:
	s_delay_alu instid0(SALU_CYCLE_1)
	s_or_b32 exec_lo, exec_lo, s14
.LBB298_21:
	s_delay_alu instid0(SALU_CYCLE_1)
	s_or_b32 exec_lo, exec_lo, s13
.LBB298_22:
	s_delay_alu instid0(SALU_CYCLE_1)
	s_or_b32 exec_lo, exec_lo, s12
.LBB298_23:
	s_delay_alu instid0(SALU_CYCLE_1)
	s_or_b32 exec_lo, exec_lo, s11
.LBB298_24:
	s_delay_alu instid0(SALU_CYCLE_1)
	s_or_b32 exec_lo, exec_lo, s10
.LBB298_25:
	s_delay_alu instid0(SALU_CYCLE_1)
	s_or_b32 exec_lo, exec_lo, s9
.LBB298_26:
	s_delay_alu instid0(SALU_CYCLE_1)
	s_or_b32 exec_lo, exec_lo, s8
.LBB298_27:
	s_delay_alu instid0(SALU_CYCLE_1)
	s_or_b32 exec_lo, exec_lo, s7
.LBB298_28:
	s_delay_alu instid0(SALU_CYCLE_1)
	s_or_b32 exec_lo, exec_lo, s6
.LBB298_29:
	s_delay_alu instid0(SALU_CYCLE_1)
	s_or_b32 exec_lo, exec_lo, s5
.LBB298_30:
	s_delay_alu instid0(SALU_CYCLE_1)
	s_or_b32 exec_lo, exec_lo, s4
.LBB298_31:
	s_delay_alu instid0(SALU_CYCLE_1)
	s_or_b32 exec_lo, exec_lo, s3
.LBB298_32:
	s_delay_alu instid0(SALU_CYCLE_1) | instskip(SKIP_2) | instid1(VALU_DEP_2)
	s_or_b32 exec_lo, exec_lo, s1
	v_and_b32_e32 v4, 7, v1
	v_bfe_u32 v12, v1, 3, 4
	v_clz_i32_u32_e32 v5, v4
	s_delay_alu instid0(VALU_DEP_2) | instskip(NEXT) | instid1(VALU_DEP_2)
	v_cmp_eq_u32_e64 s0, 0, v12
	v_min_u32_e32 v5, 32, v5
	s_delay_alu instid0(VALU_DEP_1) | instskip(NEXT) | instid1(VALU_DEP_1)
	v_subrev_nc_u32_e32 v7, 28, v5
	v_lshlrev_b32_e32 v7, v7, v1
	s_delay_alu instid0(VALU_DEP_1) | instskip(NEXT) | instid1(VALU_DEP_1)
	v_dual_sub_nc_u32 v5, 29, v5 :: v_dual_bitop2_b32 v7, 7, v7 bitop3:0x40
	v_dual_lshlrev_b32 v18, 24, v1 :: v_dual_cndmask_b32 v4, v4, v7, s0
	s_delay_alu instid0(VALU_DEP_2) | instskip(NEXT) | instid1(VALU_DEP_2)
	v_cndmask_b32_e64 v5, v12, v5, s0
	v_and_b32_e32 v12, 0x80000000, v18
	v_cmp_ne_u32_e64 s0, 0, v0
	s_delay_alu instid0(VALU_DEP_4) | instskip(NEXT) | instid1(VALU_DEP_4)
	v_dual_mov_b32 v7, v8 :: v_dual_lshlrev_b32 v18, 20, v4
	v_lshl_add_u32 v5, v5, 23, 0x3b800000
	v_mov_b32_e32 v4, v8
	s_delay_alu instid0(VALU_DEP_2)
	v_or3_b32 v0, v12, v5, v18
	v_mov_b32_e32 v5, v8
	s_and_saveexec_b32 s3, vcc_lo
	s_cbranch_execz .LBB298_54
; %bb.33:
                                        ; implicit-def: $sgpr4
	s_and_saveexec_b32 s1, s0
	s_delay_alu instid0(SALU_CYCLE_1)
	s_xor_b32 s5, exec_lo, s1
	s_cbranch_execz .LBB298_43
; %bb.34:
	v_and_b32_e32 v5, 0xff, v1
	s_mov_b32 s4, 0
	s_mov_b32 s6, exec_lo
	s_delay_alu instid0(VALU_DEP_1)
	v_cmpx_lt_i16_e32 0x7f, v5
	s_xor_b32 s6, exec_lo, s6
	s_cbranch_execnz .LBB298_417
; %bb.35:
	s_or_saveexec_b32 s6, s6
	v_mov_b32_e32 v4, 0x7f800001
	s_xor_b32 exec_lo, exec_lo, s6
	s_cbranch_execnz .LBB298_420
.LBB298_36:
	s_or_b32 exec_lo, exec_lo, s6
	s_and_saveexec_b32 s1, s4
.LBB298_37:
	v_mov_b32_e32 v4, v0
.LBB298_38:
	s_or_b32 exec_lo, exec_lo, s1
	s_wait_loadcnt_dscnt 0x0
	v_and_b32_e32 v7, 0xff, v30
	s_mov_b32 s4, 0
	s_mov_b32 s6, exec_lo
	s_delay_alu instid0(VALU_DEP_1)
	v_cmpx_lt_i16_e32 0x7f, v7
	s_xor_b32 s6, exec_lo, s6
	s_cbranch_execnz .LBB298_421
; %bb.39:
	s_or_saveexec_b32 s6, s6
	v_mov_b32_e32 v5, 0x7f800001
	s_xor_b32 exec_lo, exec_lo, s6
	s_cbranch_execnz .LBB298_424
.LBB298_40:
	s_or_b32 exec_lo, exec_lo, s6
	s_and_saveexec_b32 s6, s4
	s_cbranch_execz .LBB298_42
.LBB298_41:
	v_and_b32_e32 v5, 7, v30
	v_lshrrev_b16 v8, 3, v30
	v_lshlrev_b32_e32 v18, 24, v30
	s_delay_alu instid0(VALU_DEP_3) | instskip(NEXT) | instid1(VALU_DEP_1)
	v_clz_i32_u32_e32 v7, v5
	v_min_u32_e32 v7, 32, v7
	s_delay_alu instid0(VALU_DEP_4) | instskip(NEXT) | instid1(VALU_DEP_2)
	v_and_b32_e32 v8, 15, v8
	v_subrev_nc_u32_e32 v12, 28, v7
	v_sub_nc_u32_e32 v7, 29, v7
	s_delay_alu instid0(VALU_DEP_3) | instskip(NEXT) | instid1(VALU_DEP_3)
	v_cmp_eq_u32_e64 s1, 0, v8
	v_lshlrev_b32_e32 v12, v12, v30
	s_delay_alu instid0(VALU_DEP_1) | instskip(SKIP_1) | instid1(VALU_DEP_2)
	v_dual_cndmask_b32 v7, v8, v7, s1 :: v_dual_bitop2_b32 v12, 7, v12 bitop3:0x40
	v_and_b32_e32 v8, 0x80000000, v18
	v_cndmask_b32_e64 v5, v5, v12, s1
	s_delay_alu instid0(VALU_DEP_3) | instskip(NEXT) | instid1(VALU_DEP_2)
	v_lshl_add_u32 v7, v7, 23, 0x3b800000
	v_lshlrev_b32_e32 v5, 20, v5
	s_delay_alu instid0(VALU_DEP_1)
	v_or3_b32 v5, v8, v7, v5
.LBB298_42:
	s_or_b32 exec_lo, exec_lo, s6
	s_delay_alu instid0(VALU_DEP_1)
	v_cmp_neq_f32_e64 s4, v4, v5
                                        ; implicit-def: $vgpr30
.LBB298_43:
	s_and_not1_saveexec_b32 s5, s5
	s_cbranch_execz .LBB298_53
; %bb.44:
	v_and_b32_e32 v5, 0xff, v1
	s_mov_b32 s6, 0
	s_mov_b32 s7, exec_lo
	s_delay_alu instid0(VALU_DEP_1)
	v_cmpx_lt_i16_e32 0x7f, v5
	s_xor_b32 s7, exec_lo, s7
	s_cbranch_execnz .LBB298_425
; %bb.45:
	s_or_saveexec_b32 s7, s7
	v_mov_b32_e32 v4, 0x7f800001
	s_xor_b32 exec_lo, exec_lo, s7
	s_cbranch_execnz .LBB298_428
.LBB298_46:
	s_or_b32 exec_lo, exec_lo, s7
	s_and_saveexec_b32 s1, s6
.LBB298_47:
	v_mov_b32_e32 v4, v0
.LBB298_48:
	s_or_b32 exec_lo, exec_lo, s1
	s_wait_loadcnt_dscnt 0x0
	v_and_b32_e32 v7, 0xff, v30
	s_mov_b32 s6, 0
	s_mov_b32 s7, exec_lo
	s_delay_alu instid0(VALU_DEP_1)
	v_cmpx_lt_i16_e32 0x7f, v7
	s_xor_b32 s7, exec_lo, s7
	s_cbranch_execnz .LBB298_429
; %bb.49:
	s_or_saveexec_b32 s7, s7
	v_mov_b32_e32 v5, 0x7f800001
	s_xor_b32 exec_lo, exec_lo, s7
	s_cbranch_execnz .LBB298_432
.LBB298_50:
	s_or_b32 exec_lo, exec_lo, s7
	s_and_saveexec_b32 s7, s6
	s_cbranch_execz .LBB298_52
.LBB298_51:
	v_and_b32_e32 v5, 7, v30
	v_lshrrev_b16 v8, 3, v30
	v_lshlrev_b32_e32 v18, 24, v30
	s_delay_alu instid0(VALU_DEP_3) | instskip(NEXT) | instid1(VALU_DEP_1)
	v_clz_i32_u32_e32 v7, v5
	v_min_u32_e32 v7, 32, v7
	s_delay_alu instid0(VALU_DEP_4) | instskip(NEXT) | instid1(VALU_DEP_2)
	v_and_b32_e32 v8, 15, v8
	v_subrev_nc_u32_e32 v12, 28, v7
	v_sub_nc_u32_e32 v7, 29, v7
	s_delay_alu instid0(VALU_DEP_3) | instskip(NEXT) | instid1(VALU_DEP_3)
	v_cmp_eq_u32_e64 s1, 0, v8
	v_lshlrev_b32_e32 v12, v12, v30
	s_delay_alu instid0(VALU_DEP_1) | instskip(SKIP_1) | instid1(VALU_DEP_2)
	v_dual_cndmask_b32 v7, v8, v7, s1 :: v_dual_bitop2_b32 v12, 7, v12 bitop3:0x40
	v_and_b32_e32 v8, 0x80000000, v18
	v_cndmask_b32_e64 v5, v5, v12, s1
	s_delay_alu instid0(VALU_DEP_3) | instskip(NEXT) | instid1(VALU_DEP_2)
	v_lshl_add_u32 v7, v7, 23, 0x3b800000
	v_lshlrev_b32_e32 v5, 20, v5
	s_delay_alu instid0(VALU_DEP_1)
	v_or3_b32 v5, v8, v7, v5
.LBB298_52:
	s_or_b32 exec_lo, exec_lo, s7
	s_delay_alu instid0(VALU_DEP_1) | instskip(SKIP_2) | instid1(SALU_CYCLE_1)
	v_cmp_eq_f32_e64 s1, v4, v5
	s_and_not1_b32 s4, s4, exec_lo
	s_and_b32 s1, s1, exec_lo
	s_or_b32 s4, s4, s1
.LBB298_53:
	s_or_b32 exec_lo, exec_lo, s5
	s_delay_alu instid0(VALU_DEP_1) | instskip(SKIP_1) | instid1(VALU_DEP_2)
	v_cndmask_b32_e64 v4, 0, 1, s4
	v_mov_b32_e32 v7, 0
	v_and_b32_e32 v8, 0xffff, v4
	s_delay_alu instid0(VALU_DEP_2)
	v_dual_mov_b32 v4, v7 :: v_dual_mov_b32 v5, v7
.LBB298_54:
	s_or_b32 exec_lo, exec_lo, s3
	s_delay_alu instid0(SALU_CYCLE_1)
	s_mov_b32 s3, exec_lo
	v_cmpx_lt_i32_e64 v20, v6
	s_cbranch_execz .LBB298_76
; %bb.55:
                                        ; implicit-def: $sgpr4
	s_and_saveexec_b32 s1, s0
	s_delay_alu instid0(SALU_CYCLE_1)
	s_xor_b32 s5, exec_lo, s1
	s_cbranch_execz .LBB298_65
; %bb.56:
	v_and_b32_e32 v18, 0xff, v1
	s_mov_b32 s4, 0
	s_mov_b32 s6, exec_lo
	s_delay_alu instid0(VALU_DEP_1)
	v_cmpx_lt_i16_e32 0x7f, v18
	s_xor_b32 s6, exec_lo, s6
	s_cbranch_execnz .LBB298_433
; %bb.57:
	s_or_saveexec_b32 s6, s6
	v_mov_b32_e32 v12, 0x7f800001
	s_xor_b32 exec_lo, exec_lo, s6
	s_cbranch_execnz .LBB298_436
.LBB298_58:
	s_or_b32 exec_lo, exec_lo, s6
	s_and_saveexec_b32 s1, s4
.LBB298_59:
	v_mov_b32_e32 v12, v0
.LBB298_60:
	s_or_b32 exec_lo, exec_lo, s1
	s_wait_loadcnt_dscnt 0x0
	v_and_b32_e32 v19, 0xff, v11
	s_mov_b32 s4, 0
	s_mov_b32 s6, exec_lo
	s_delay_alu instid0(VALU_DEP_1)
	v_cmpx_lt_i16_e32 0x7f, v19
	s_xor_b32 s6, exec_lo, s6
	s_cbranch_execnz .LBB298_437
; %bb.61:
	s_or_saveexec_b32 s6, s6
	v_mov_b32_e32 v18, 0x7f800001
	s_xor_b32 exec_lo, exec_lo, s6
	s_cbranch_execnz .LBB298_440
.LBB298_62:
	s_or_b32 exec_lo, exec_lo, s6
	s_and_saveexec_b32 s6, s4
	s_cbranch_execz .LBB298_64
.LBB298_63:
	v_and_b32_e32 v18, 7, v11
	v_lshrrev_b16 v30, 3, v11
	s_delay_alu instid0(VALU_DEP_2) | instskip(NEXT) | instid1(VALU_DEP_1)
	v_clz_i32_u32_e32 v19, v18
	v_min_u32_e32 v19, 32, v19
	s_delay_alu instid0(VALU_DEP_3) | instskip(NEXT) | instid1(VALU_DEP_2)
	v_and_b32_e32 v30, 15, v30
	v_subrev_nc_u32_e32 v31, 28, v19
	v_sub_nc_u32_e32 v19, 29, v19
	s_delay_alu instid0(VALU_DEP_3) | instskip(NEXT) | instid1(VALU_DEP_3)
	v_cmp_eq_u32_e64 s1, 0, v30
	v_dual_lshlrev_b32 v31, v31, v11 :: v_dual_lshlrev_b32 v11, 24, v11
	s_delay_alu instid0(VALU_DEP_2) | instskip(NEXT) | instid1(VALU_DEP_2)
	v_cndmask_b32_e64 v19, v30, v19, s1
	v_and_b32_e32 v31, 7, v31
	s_delay_alu instid0(VALU_DEP_3) | instskip(NEXT) | instid1(VALU_DEP_3)
	v_and_b32_e32 v11, 0x80000000, v11
	v_lshl_add_u32 v19, v19, 23, 0x3b800000
	s_delay_alu instid0(VALU_DEP_3) | instskip(NEXT) | instid1(VALU_DEP_1)
	v_cndmask_b32_e64 v18, v18, v31, s1
	v_lshlrev_b32_e32 v18, 20, v18
	s_delay_alu instid0(VALU_DEP_1)
	v_or3_b32 v18, v11, v19, v18
.LBB298_64:
	s_or_b32 exec_lo, exec_lo, s6
	s_delay_alu instid0(VALU_DEP_1)
	v_cmp_neq_f32_e64 s4, v12, v18
.LBB298_65:
	s_and_not1_saveexec_b32 s5, s5
	s_cbranch_execz .LBB298_75
; %bb.66:
	v_and_b32_e32 v18, 0xff, v1
	s_mov_b32 s6, 0
	s_mov_b32 s7, exec_lo
	s_delay_alu instid0(VALU_DEP_1)
	v_cmpx_lt_i16_e32 0x7f, v18
	s_xor_b32 s7, exec_lo, s7
	s_cbranch_execnz .LBB298_441
; %bb.67:
	s_or_saveexec_b32 s7, s7
	v_mov_b32_e32 v12, 0x7f800001
	s_xor_b32 exec_lo, exec_lo, s7
	s_cbranch_execnz .LBB298_444
.LBB298_68:
	s_or_b32 exec_lo, exec_lo, s7
	s_and_saveexec_b32 s1, s6
.LBB298_69:
	v_mov_b32_e32 v12, v0
.LBB298_70:
	s_or_b32 exec_lo, exec_lo, s1
	s_wait_loadcnt_dscnt 0x0
	v_and_b32_e32 v19, 0xff, v11
	s_mov_b32 s6, 0
	s_mov_b32 s7, exec_lo
	s_delay_alu instid0(VALU_DEP_1)
	v_cmpx_lt_i16_e32 0x7f, v19
	s_xor_b32 s7, exec_lo, s7
	s_cbranch_execnz .LBB298_445
; %bb.71:
	s_or_saveexec_b32 s7, s7
	v_mov_b32_e32 v18, 0x7f800001
	s_xor_b32 exec_lo, exec_lo, s7
	s_cbranch_execnz .LBB298_448
.LBB298_72:
	s_or_b32 exec_lo, exec_lo, s7
	s_and_saveexec_b32 s7, s6
	s_cbranch_execz .LBB298_74
.LBB298_73:
	v_and_b32_e32 v18, 7, v11
	v_lshrrev_b16 v30, 3, v11
	s_delay_alu instid0(VALU_DEP_2) | instskip(NEXT) | instid1(VALU_DEP_1)
	v_clz_i32_u32_e32 v19, v18
	v_min_u32_e32 v19, 32, v19
	s_delay_alu instid0(VALU_DEP_3) | instskip(NEXT) | instid1(VALU_DEP_2)
	v_and_b32_e32 v30, 15, v30
	v_subrev_nc_u32_e32 v31, 28, v19
	v_sub_nc_u32_e32 v19, 29, v19
	s_delay_alu instid0(VALU_DEP_3) | instskip(NEXT) | instid1(VALU_DEP_3)
	v_cmp_eq_u32_e64 s1, 0, v30
	v_dual_lshlrev_b32 v31, v31, v11 :: v_dual_lshlrev_b32 v11, 24, v11
	s_delay_alu instid0(VALU_DEP_2) | instskip(NEXT) | instid1(VALU_DEP_2)
	v_cndmask_b32_e64 v19, v30, v19, s1
	v_and_b32_e32 v31, 7, v31
	s_delay_alu instid0(VALU_DEP_3) | instskip(NEXT) | instid1(VALU_DEP_3)
	v_and_b32_e32 v11, 0x80000000, v11
	v_lshl_add_u32 v19, v19, 23, 0x3b800000
	s_delay_alu instid0(VALU_DEP_3) | instskip(NEXT) | instid1(VALU_DEP_1)
	v_cndmask_b32_e64 v18, v18, v31, s1
	v_lshlrev_b32_e32 v18, 20, v18
	s_delay_alu instid0(VALU_DEP_1)
	v_or3_b32 v18, v11, v19, v18
.LBB298_74:
	s_or_b32 exec_lo, exec_lo, s7
	s_delay_alu instid0(VALU_DEP_1) | instskip(SKIP_2) | instid1(SALU_CYCLE_1)
	v_cmp_eq_f32_e64 s1, v12, v18
	s_and_not1_b32 s4, s4, exec_lo
	s_and_b32 s1, s1, exec_lo
	s_or_b32 s4, s4, s1
.LBB298_75:
	s_or_b32 exec_lo, exec_lo, s5
	s_wait_loadcnt_dscnt 0x0
	v_cndmask_b32_e64 v11, 0, 1, s4
	s_delay_alu instid0(VALU_DEP_1) | instskip(NEXT) | instid1(VALU_DEP_1)
	v_lshlrev_b16 v11, 8, v11
	v_bitop3_b16 v11, v8, v11, 0xff bitop3:0xec
	s_delay_alu instid0(VALU_DEP_1) | instskip(NEXT) | instid1(VALU_DEP_1)
	v_and_b32_e32 v11, 0xffff, v11
	v_and_or_b32 v8, 0xffff0000, v8, v11
.LBB298_76:
	s_or_b32 exec_lo, exec_lo, s3
	s_wait_loadcnt_dscnt 0x0
	v_add_nc_u32_e32 v11, 0x200, v9
	s_mov_b32 s3, exec_lo
	s_delay_alu instid0(VALU_DEP_1)
	v_cmpx_lt_i32_e64 v11, v6
	s_cbranch_execz .LBB298_98
; %bb.77:
                                        ; implicit-def: $sgpr4
	s_and_saveexec_b32 s1, s0
	s_delay_alu instid0(SALU_CYCLE_1)
	s_xor_b32 s5, exec_lo, s1
	s_cbranch_execz .LBB298_87
; %bb.78:
	v_and_b32_e32 v12, 0xff, v1
	s_mov_b32 s4, 0
	s_mov_b32 s6, exec_lo
	s_delay_alu instid0(VALU_DEP_1)
	v_cmpx_lt_i16_e32 0x7f, v12
	s_xor_b32 s6, exec_lo, s6
	s_cbranch_execnz .LBB298_449
; %bb.79:
	s_or_saveexec_b32 s6, s6
	v_mov_b32_e32 v11, 0x7f800001
	s_xor_b32 exec_lo, exec_lo, s6
	s_cbranch_execnz .LBB298_452
.LBB298_80:
	s_or_b32 exec_lo, exec_lo, s6
	s_and_saveexec_b32 s1, s4
.LBB298_81:
	v_mov_b32_e32 v11, v0
.LBB298_82:
	s_or_b32 exec_lo, exec_lo, s1
	v_and_b32_e32 v18, 0xff, v17
	s_mov_b32 s4, 0
	s_mov_b32 s6, exec_lo
	s_delay_alu instid0(VALU_DEP_1)
	v_cmpx_lt_i16_e32 0x7f, v18
	s_xor_b32 s6, exec_lo, s6
	s_cbranch_execnz .LBB298_453
; %bb.83:
	s_or_saveexec_b32 s6, s6
	v_mov_b32_e32 v12, 0x7f800001
	s_xor_b32 exec_lo, exec_lo, s6
	s_cbranch_execnz .LBB298_456
.LBB298_84:
	s_or_b32 exec_lo, exec_lo, s6
	s_and_saveexec_b32 s6, s4
	s_cbranch_execz .LBB298_86
.LBB298_85:
	v_and_b32_e32 v12, 7, v17
	v_lshrrev_b16 v19, 3, v17
	s_delay_alu instid0(VALU_DEP_2) | instskip(NEXT) | instid1(VALU_DEP_1)
	v_clz_i32_u32_e32 v18, v12
	v_min_u32_e32 v18, 32, v18
	s_delay_alu instid0(VALU_DEP_3) | instskip(NEXT) | instid1(VALU_DEP_2)
	v_and_b32_e32 v19, 15, v19
	v_subrev_nc_u32_e32 v30, 28, v18
	v_sub_nc_u32_e32 v18, 29, v18
	s_delay_alu instid0(VALU_DEP_3) | instskip(NEXT) | instid1(VALU_DEP_3)
	v_cmp_eq_u32_e64 s1, 0, v19
	v_dual_lshlrev_b32 v30, v30, v17 :: v_dual_lshlrev_b32 v17, 24, v17
	s_delay_alu instid0(VALU_DEP_1) | instskip(NEXT) | instid1(VALU_DEP_2)
	v_and_b32_e32 v30, 7, v30
	v_and_b32_e32 v17, 0x80000000, v17
	s_delay_alu instid0(VALU_DEP_2) | instskip(NEXT) | instid1(VALU_DEP_1)
	v_cndmask_b32_e64 v12, v12, v30, s1
	v_dual_cndmask_b32 v18, v19, v18, s1 :: v_dual_lshlrev_b32 v12, 20, v12
	s_delay_alu instid0(VALU_DEP_1) | instskip(NEXT) | instid1(VALU_DEP_1)
	v_lshl_add_u32 v18, v18, 23, 0x3b800000
	v_or3_b32 v12, v17, v18, v12
.LBB298_86:
	s_or_b32 exec_lo, exec_lo, s6
	s_delay_alu instid0(VALU_DEP_1)
	v_cmp_neq_f32_e64 s4, v11, v12
                                        ; implicit-def: $vgpr17
.LBB298_87:
	s_and_not1_saveexec_b32 s5, s5
	s_cbranch_execz .LBB298_97
; %bb.88:
	v_and_b32_e32 v12, 0xff, v1
	s_mov_b32 s6, 0
	s_mov_b32 s7, exec_lo
	s_delay_alu instid0(VALU_DEP_1)
	v_cmpx_lt_i16_e32 0x7f, v12
	s_xor_b32 s7, exec_lo, s7
	s_cbranch_execnz .LBB298_457
; %bb.89:
	s_or_saveexec_b32 s7, s7
	v_mov_b32_e32 v11, 0x7f800001
	s_xor_b32 exec_lo, exec_lo, s7
	s_cbranch_execnz .LBB298_460
.LBB298_90:
	s_or_b32 exec_lo, exec_lo, s7
	s_and_saveexec_b32 s1, s6
.LBB298_91:
	v_mov_b32_e32 v11, v0
.LBB298_92:
	s_or_b32 exec_lo, exec_lo, s1
	v_and_b32_e32 v18, 0xff, v17
	s_mov_b32 s6, 0
	s_mov_b32 s7, exec_lo
	s_delay_alu instid0(VALU_DEP_1)
	v_cmpx_lt_i16_e32 0x7f, v18
	s_xor_b32 s7, exec_lo, s7
	s_cbranch_execnz .LBB298_461
; %bb.93:
	s_or_saveexec_b32 s7, s7
	v_mov_b32_e32 v12, 0x7f800001
	s_xor_b32 exec_lo, exec_lo, s7
	s_cbranch_execnz .LBB298_464
.LBB298_94:
	s_or_b32 exec_lo, exec_lo, s7
	s_and_saveexec_b32 s7, s6
	s_cbranch_execz .LBB298_96
.LBB298_95:
	v_and_b32_e32 v12, 7, v17
	v_lshrrev_b16 v19, 3, v17
	s_delay_alu instid0(VALU_DEP_2) | instskip(NEXT) | instid1(VALU_DEP_1)
	v_clz_i32_u32_e32 v18, v12
	v_min_u32_e32 v18, 32, v18
	s_delay_alu instid0(VALU_DEP_3) | instskip(NEXT) | instid1(VALU_DEP_2)
	v_and_b32_e32 v19, 15, v19
	v_subrev_nc_u32_e32 v30, 28, v18
	v_sub_nc_u32_e32 v18, 29, v18
	s_delay_alu instid0(VALU_DEP_3) | instskip(NEXT) | instid1(VALU_DEP_3)
	v_cmp_eq_u32_e64 s1, 0, v19
	v_dual_lshlrev_b32 v30, v30, v17 :: v_dual_lshlrev_b32 v17, 24, v17
	s_delay_alu instid0(VALU_DEP_1) | instskip(NEXT) | instid1(VALU_DEP_2)
	v_and_b32_e32 v30, 7, v30
	v_and_b32_e32 v17, 0x80000000, v17
	s_delay_alu instid0(VALU_DEP_2) | instskip(NEXT) | instid1(VALU_DEP_1)
	v_cndmask_b32_e64 v12, v12, v30, s1
	v_dual_cndmask_b32 v18, v19, v18, s1 :: v_dual_lshlrev_b32 v12, 20, v12
	s_delay_alu instid0(VALU_DEP_1) | instskip(NEXT) | instid1(VALU_DEP_1)
	v_lshl_add_u32 v18, v18, 23, 0x3b800000
	v_or3_b32 v12, v17, v18, v12
.LBB298_96:
	s_or_b32 exec_lo, exec_lo, s7
	s_delay_alu instid0(VALU_DEP_1) | instskip(SKIP_2) | instid1(SALU_CYCLE_1)
	v_cmp_eq_f32_e64 s1, v11, v12
	s_and_not1_b32 s4, s4, exec_lo
	s_and_b32 s1, s1, exec_lo
	s_or_b32 s4, s4, s1
.LBB298_97:
	s_or_b32 exec_lo, exec_lo, s5
	v_lshrrev_b32_e32 v11, 16, v8
	v_cndmask_b32_e64 v12, 0, 1, s4
	s_delay_alu instid0(VALU_DEP_1) | instskip(NEXT) | instid1(VALU_DEP_1)
	v_bitop3_b16 v11, v12, v11, 0xff00 bitop3:0xf8
	v_lshlrev_b32_e32 v11, 16, v11
	s_delay_alu instid0(VALU_DEP_1)
	v_and_or_b32 v8, 0xffff, v8, v11
.LBB298_98:
	s_or_b32 exec_lo, exec_lo, s3
	v_add_nc_u32_e32 v11, 0x300, v9
	s_mov_b32 s3, exec_lo
	s_delay_alu instid0(VALU_DEP_1)
	v_cmpx_lt_i32_e64 v11, v6
	s_cbranch_execz .LBB298_120
; %bb.99:
                                        ; implicit-def: $sgpr4
	s_and_saveexec_b32 s1, s0
	s_delay_alu instid0(SALU_CYCLE_1)
	s_xor_b32 s5, exec_lo, s1
	s_cbranch_execz .LBB298_109
; %bb.100:
	v_and_b32_e32 v12, 0xff, v1
	s_mov_b32 s4, 0
	s_mov_b32 s6, exec_lo
	s_delay_alu instid0(VALU_DEP_1)
	v_cmpx_lt_i16_e32 0x7f, v12
	s_xor_b32 s6, exec_lo, s6
	s_cbranch_execnz .LBB298_465
; %bb.101:
	s_or_saveexec_b32 s6, s6
	v_mov_b32_e32 v11, 0x7f800001
	s_xor_b32 exec_lo, exec_lo, s6
	s_cbranch_execnz .LBB298_468
.LBB298_102:
	s_or_b32 exec_lo, exec_lo, s6
	s_and_saveexec_b32 s1, s4
.LBB298_103:
	v_mov_b32_e32 v11, v0
.LBB298_104:
	s_or_b32 exec_lo, exec_lo, s1
	v_and_b32_e32 v17, 0xff, v29
	s_mov_b32 s4, 0
	s_mov_b32 s6, exec_lo
	s_delay_alu instid0(VALU_DEP_1)
	v_cmpx_lt_i16_e32 0x7f, v17
	s_xor_b32 s6, exec_lo, s6
	s_cbranch_execnz .LBB298_469
; %bb.105:
	s_or_saveexec_b32 s6, s6
	v_mov_b32_e32 v12, 0x7f800001
	s_xor_b32 exec_lo, exec_lo, s6
	s_cbranch_execnz .LBB298_472
.LBB298_106:
	s_or_b32 exec_lo, exec_lo, s6
	s_and_saveexec_b32 s6, s4
	s_cbranch_execz .LBB298_108
.LBB298_107:
	v_and_b32_e32 v12, 7, v29
	v_lshrrev_b16 v18, 3, v29
	s_delay_alu instid0(VALU_DEP_2) | instskip(NEXT) | instid1(VALU_DEP_1)
	v_clz_i32_u32_e32 v17, v12
	v_min_u32_e32 v17, 32, v17
	s_delay_alu instid0(VALU_DEP_3) | instskip(NEXT) | instid1(VALU_DEP_2)
	v_and_b32_e32 v18, 15, v18
	v_subrev_nc_u32_e32 v19, 28, v17
	v_sub_nc_u32_e32 v17, 29, v17
	s_delay_alu instid0(VALU_DEP_3) | instskip(NEXT) | instid1(VALU_DEP_3)
	v_cmp_eq_u32_e64 s1, 0, v18
	v_dual_lshlrev_b32 v19, v19, v29 :: v_dual_lshlrev_b32 v29, 24, v29
	s_delay_alu instid0(VALU_DEP_1) | instskip(NEXT) | instid1(VALU_DEP_2)
	v_dual_cndmask_b32 v17, v18, v17, s1 :: v_dual_bitop2_b32 v19, 7, v19 bitop3:0x40
	v_and_b32_e32 v18, 0x80000000, v29
	s_delay_alu instid0(VALU_DEP_2) | instskip(NEXT) | instid1(VALU_DEP_3)
	v_cndmask_b32_e64 v12, v12, v19, s1
	v_lshl_add_u32 v17, v17, 23, 0x3b800000
	s_delay_alu instid0(VALU_DEP_2) | instskip(NEXT) | instid1(VALU_DEP_1)
	v_lshlrev_b32_e32 v12, 20, v12
	v_or3_b32 v12, v18, v17, v12
.LBB298_108:
	s_or_b32 exec_lo, exec_lo, s6
	s_delay_alu instid0(VALU_DEP_1)
	v_cmp_neq_f32_e64 s4, v11, v12
                                        ; implicit-def: $vgpr29
.LBB298_109:
	s_and_not1_saveexec_b32 s5, s5
	s_cbranch_execz .LBB298_119
; %bb.110:
	v_and_b32_e32 v12, 0xff, v1
	s_mov_b32 s6, 0
	s_mov_b32 s7, exec_lo
	s_delay_alu instid0(VALU_DEP_1)
	v_cmpx_lt_i16_e32 0x7f, v12
	s_xor_b32 s7, exec_lo, s7
	s_cbranch_execnz .LBB298_473
; %bb.111:
	s_or_saveexec_b32 s7, s7
	v_mov_b32_e32 v11, 0x7f800001
	s_xor_b32 exec_lo, exec_lo, s7
	s_cbranch_execnz .LBB298_476
.LBB298_112:
	s_or_b32 exec_lo, exec_lo, s7
	s_and_saveexec_b32 s1, s6
.LBB298_113:
	v_mov_b32_e32 v11, v0
.LBB298_114:
	s_or_b32 exec_lo, exec_lo, s1
	v_and_b32_e32 v17, 0xff, v29
	s_mov_b32 s6, 0
	s_mov_b32 s7, exec_lo
	s_delay_alu instid0(VALU_DEP_1)
	v_cmpx_lt_i16_e32 0x7f, v17
	s_xor_b32 s7, exec_lo, s7
	s_cbranch_execnz .LBB298_477
; %bb.115:
	s_or_saveexec_b32 s7, s7
	v_mov_b32_e32 v12, 0x7f800001
	s_xor_b32 exec_lo, exec_lo, s7
	s_cbranch_execnz .LBB298_480
.LBB298_116:
	s_or_b32 exec_lo, exec_lo, s7
	s_and_saveexec_b32 s7, s6
	s_cbranch_execz .LBB298_118
.LBB298_117:
	v_and_b32_e32 v12, 7, v29
	v_lshrrev_b16 v18, 3, v29
	s_delay_alu instid0(VALU_DEP_2) | instskip(NEXT) | instid1(VALU_DEP_1)
	v_clz_i32_u32_e32 v17, v12
	v_min_u32_e32 v17, 32, v17
	s_delay_alu instid0(VALU_DEP_3) | instskip(NEXT) | instid1(VALU_DEP_2)
	v_and_b32_e32 v18, 15, v18
	v_subrev_nc_u32_e32 v19, 28, v17
	v_sub_nc_u32_e32 v17, 29, v17
	s_delay_alu instid0(VALU_DEP_3) | instskip(NEXT) | instid1(VALU_DEP_3)
	v_cmp_eq_u32_e64 s1, 0, v18
	v_dual_lshlrev_b32 v19, v19, v29 :: v_dual_lshlrev_b32 v29, 24, v29
	s_delay_alu instid0(VALU_DEP_1) | instskip(NEXT) | instid1(VALU_DEP_2)
	v_dual_cndmask_b32 v17, v18, v17, s1 :: v_dual_bitop2_b32 v19, 7, v19 bitop3:0x40
	v_and_b32_e32 v18, 0x80000000, v29
	s_delay_alu instid0(VALU_DEP_2) | instskip(NEXT) | instid1(VALU_DEP_3)
	v_cndmask_b32_e64 v12, v12, v19, s1
	v_lshl_add_u32 v17, v17, 23, 0x3b800000
	s_delay_alu instid0(VALU_DEP_2) | instskip(NEXT) | instid1(VALU_DEP_1)
	v_lshlrev_b32_e32 v12, 20, v12
	v_or3_b32 v12, v18, v17, v12
.LBB298_118:
	s_or_b32 exec_lo, exec_lo, s7
	s_delay_alu instid0(VALU_DEP_1) | instskip(SKIP_2) | instid1(SALU_CYCLE_1)
	v_cmp_eq_f32_e64 s1, v11, v12
	s_and_not1_b32 s4, s4, exec_lo
	s_and_b32 s1, s1, exec_lo
	s_or_b32 s4, s4, s1
.LBB298_119:
	s_or_b32 exec_lo, exec_lo, s5
	s_delay_alu instid0(VALU_DEP_1) | instskip(SKIP_1) | instid1(VALU_DEP_2)
	v_cndmask_b32_e64 v11, 0, 1, s4
	v_lshrrev_b32_e32 v12, 16, v8
	v_lshlrev_b16 v11, 8, v11
	s_delay_alu instid0(VALU_DEP_1) | instskip(NEXT) | instid1(VALU_DEP_1)
	v_bitop3_b16 v11, v12, v11, 0xff bitop3:0xec
	v_lshlrev_b32_e32 v11, 16, v11
	s_delay_alu instid0(VALU_DEP_1)
	v_and_or_b32 v8, 0xffff, v8, v11
.LBB298_120:
	s_or_b32 exec_lo, exec_lo, s3
	v_or_b32_e32 v11, 0x400, v9
	s_mov_b32 s3, exec_lo
	s_delay_alu instid0(VALU_DEP_1)
	v_cmpx_lt_i32_e64 v11, v6
	s_cbranch_execz .LBB298_142
; %bb.121:
                                        ; implicit-def: $sgpr4
	s_and_saveexec_b32 s1, s0
	s_delay_alu instid0(SALU_CYCLE_1)
	s_xor_b32 s5, exec_lo, s1
	s_cbranch_execz .LBB298_131
; %bb.122:
	v_and_b32_e32 v12, 0xff, v1
	s_mov_b32 s4, 0
	s_mov_b32 s6, exec_lo
	s_delay_alu instid0(VALU_DEP_1)
	v_cmpx_lt_i16_e32 0x7f, v12
	s_xor_b32 s6, exec_lo, s6
	s_cbranch_execnz .LBB298_481
; %bb.123:
	s_or_saveexec_b32 s6, s6
	v_mov_b32_e32 v11, 0x7f800001
	s_xor_b32 exec_lo, exec_lo, s6
	s_cbranch_execnz .LBB298_484
.LBB298_124:
	s_or_b32 exec_lo, exec_lo, s6
	s_and_saveexec_b32 s1, s4
.LBB298_125:
	v_mov_b32_e32 v11, v0
.LBB298_126:
	s_or_b32 exec_lo, exec_lo, s1
	v_and_b32_e32 v17, 0xff, v28
	s_mov_b32 s4, 0
	s_mov_b32 s6, exec_lo
	s_delay_alu instid0(VALU_DEP_1)
	v_cmpx_lt_i16_e32 0x7f, v17
	s_xor_b32 s6, exec_lo, s6
	s_cbranch_execnz .LBB298_485
; %bb.127:
	s_or_saveexec_b32 s6, s6
	v_mov_b32_e32 v12, 0x7f800001
	s_xor_b32 exec_lo, exec_lo, s6
	s_cbranch_execnz .LBB298_488
.LBB298_128:
	s_or_b32 exec_lo, exec_lo, s6
	s_and_saveexec_b32 s6, s4
	s_cbranch_execz .LBB298_130
.LBB298_129:
	v_and_b32_e32 v12, 7, v28
	v_lshrrev_b16 v18, 3, v28
	s_delay_alu instid0(VALU_DEP_2) | instskip(NEXT) | instid1(VALU_DEP_1)
	v_clz_i32_u32_e32 v17, v12
	v_min_u32_e32 v17, 32, v17
	s_delay_alu instid0(VALU_DEP_3) | instskip(NEXT) | instid1(VALU_DEP_2)
	v_and_b32_e32 v18, 15, v18
	v_subrev_nc_u32_e32 v19, 28, v17
	v_sub_nc_u32_e32 v17, 29, v17
	s_delay_alu instid0(VALU_DEP_3) | instskip(NEXT) | instid1(VALU_DEP_3)
	v_cmp_eq_u32_e64 s1, 0, v18
	v_dual_lshlrev_b32 v19, v19, v28 :: v_dual_lshlrev_b32 v28, 24, v28
	s_delay_alu instid0(VALU_DEP_1) | instskip(NEXT) | instid1(VALU_DEP_2)
	v_dual_cndmask_b32 v17, v18, v17, s1 :: v_dual_bitop2_b32 v19, 7, v19 bitop3:0x40
	v_and_b32_e32 v18, 0x80000000, v28
	s_delay_alu instid0(VALU_DEP_2) | instskip(NEXT) | instid1(VALU_DEP_3)
	v_cndmask_b32_e64 v12, v12, v19, s1
	v_lshl_add_u32 v17, v17, 23, 0x3b800000
	s_delay_alu instid0(VALU_DEP_2) | instskip(NEXT) | instid1(VALU_DEP_1)
	v_lshlrev_b32_e32 v12, 20, v12
	v_or3_b32 v12, v18, v17, v12
.LBB298_130:
	s_or_b32 exec_lo, exec_lo, s6
	s_delay_alu instid0(VALU_DEP_1)
	v_cmp_neq_f32_e64 s4, v11, v12
                                        ; implicit-def: $vgpr28
.LBB298_131:
	s_and_not1_saveexec_b32 s5, s5
	s_cbranch_execz .LBB298_141
; %bb.132:
	v_and_b32_e32 v12, 0xff, v1
	s_mov_b32 s6, 0
	s_mov_b32 s7, exec_lo
	s_delay_alu instid0(VALU_DEP_1)
	v_cmpx_lt_i16_e32 0x7f, v12
	s_xor_b32 s7, exec_lo, s7
	s_cbranch_execnz .LBB298_489
; %bb.133:
	s_or_saveexec_b32 s7, s7
	v_mov_b32_e32 v11, 0x7f800001
	s_xor_b32 exec_lo, exec_lo, s7
	s_cbranch_execnz .LBB298_492
.LBB298_134:
	s_or_b32 exec_lo, exec_lo, s7
	s_and_saveexec_b32 s1, s6
.LBB298_135:
	v_mov_b32_e32 v11, v0
.LBB298_136:
	s_or_b32 exec_lo, exec_lo, s1
	v_and_b32_e32 v17, 0xff, v28
	s_mov_b32 s6, 0
	s_mov_b32 s7, exec_lo
	s_delay_alu instid0(VALU_DEP_1)
	v_cmpx_lt_i16_e32 0x7f, v17
	s_xor_b32 s7, exec_lo, s7
	s_cbranch_execnz .LBB298_493
; %bb.137:
	s_or_saveexec_b32 s7, s7
	v_mov_b32_e32 v12, 0x7f800001
	s_xor_b32 exec_lo, exec_lo, s7
	s_cbranch_execnz .LBB298_496
.LBB298_138:
	s_or_b32 exec_lo, exec_lo, s7
	s_and_saveexec_b32 s7, s6
	s_cbranch_execz .LBB298_140
.LBB298_139:
	v_and_b32_e32 v12, 7, v28
	v_lshrrev_b16 v18, 3, v28
	s_delay_alu instid0(VALU_DEP_2) | instskip(NEXT) | instid1(VALU_DEP_1)
	v_clz_i32_u32_e32 v17, v12
	v_min_u32_e32 v17, 32, v17
	s_delay_alu instid0(VALU_DEP_3) | instskip(NEXT) | instid1(VALU_DEP_2)
	v_and_b32_e32 v18, 15, v18
	v_subrev_nc_u32_e32 v19, 28, v17
	v_sub_nc_u32_e32 v17, 29, v17
	s_delay_alu instid0(VALU_DEP_3) | instskip(NEXT) | instid1(VALU_DEP_3)
	v_cmp_eq_u32_e64 s1, 0, v18
	v_dual_lshlrev_b32 v19, v19, v28 :: v_dual_lshlrev_b32 v28, 24, v28
	s_delay_alu instid0(VALU_DEP_1) | instskip(NEXT) | instid1(VALU_DEP_2)
	v_dual_cndmask_b32 v17, v18, v17, s1 :: v_dual_bitop2_b32 v19, 7, v19 bitop3:0x40
	v_and_b32_e32 v18, 0x80000000, v28
	s_delay_alu instid0(VALU_DEP_2) | instskip(NEXT) | instid1(VALU_DEP_3)
	v_cndmask_b32_e64 v12, v12, v19, s1
	v_lshl_add_u32 v17, v17, 23, 0x3b800000
	s_delay_alu instid0(VALU_DEP_2) | instskip(NEXT) | instid1(VALU_DEP_1)
	v_lshlrev_b32_e32 v12, 20, v12
	v_or3_b32 v12, v18, v17, v12
.LBB298_140:
	s_or_b32 exec_lo, exec_lo, s7
	s_delay_alu instid0(VALU_DEP_1) | instskip(SKIP_2) | instid1(SALU_CYCLE_1)
	v_cmp_eq_f32_e64 s1, v11, v12
	s_and_not1_b32 s4, s4, exec_lo
	s_and_b32 s1, s1, exec_lo
	s_or_b32 s4, s4, s1
.LBB298_141:
	s_or_b32 exec_lo, exec_lo, s5
	s_delay_alu instid0(VALU_DEP_1) | instskip(NEXT) | instid1(VALU_DEP_1)
	v_cndmask_b32_e64 v11, 0, 1, s4
	v_bitop3_b16 v11, v11, v7, 0xff00 bitop3:0xf8
	s_delay_alu instid0(VALU_DEP_1) | instskip(NEXT) | instid1(VALU_DEP_1)
	v_and_b32_e32 v11, 0xffff, v11
	v_and_or_b32 v7, 0xffff0000, v7, v11
.LBB298_142:
	s_or_b32 exec_lo, exec_lo, s3
	v_add_nc_u32_e32 v11, 0x500, v9
	s_mov_b32 s3, exec_lo
	s_delay_alu instid0(VALU_DEP_1)
	v_cmpx_lt_i32_e64 v11, v6
	s_cbranch_execz .LBB298_164
; %bb.143:
                                        ; implicit-def: $sgpr4
	s_and_saveexec_b32 s1, s0
	s_delay_alu instid0(SALU_CYCLE_1)
	s_xor_b32 s5, exec_lo, s1
	s_cbranch_execz .LBB298_153
; %bb.144:
	v_and_b32_e32 v12, 0xff, v1
	s_mov_b32 s4, 0
	s_mov_b32 s6, exec_lo
	s_delay_alu instid0(VALU_DEP_1)
	v_cmpx_lt_i16_e32 0x7f, v12
	s_xor_b32 s6, exec_lo, s6
	s_cbranch_execnz .LBB298_497
; %bb.145:
	s_or_saveexec_b32 s6, s6
	v_mov_b32_e32 v11, 0x7f800001
	s_xor_b32 exec_lo, exec_lo, s6
	s_cbranch_execnz .LBB298_500
.LBB298_146:
	s_or_b32 exec_lo, exec_lo, s6
	s_and_saveexec_b32 s1, s4
.LBB298_147:
	v_mov_b32_e32 v11, v0
.LBB298_148:
	s_or_b32 exec_lo, exec_lo, s1
	v_and_b32_e32 v17, 0xff, v27
	s_mov_b32 s4, 0
	s_mov_b32 s6, exec_lo
	s_delay_alu instid0(VALU_DEP_1)
	v_cmpx_lt_i16_e32 0x7f, v17
	s_xor_b32 s6, exec_lo, s6
	s_cbranch_execnz .LBB298_501
; %bb.149:
	s_or_saveexec_b32 s6, s6
	v_mov_b32_e32 v12, 0x7f800001
	s_xor_b32 exec_lo, exec_lo, s6
	s_cbranch_execnz .LBB298_504
.LBB298_150:
	s_or_b32 exec_lo, exec_lo, s6
	s_and_saveexec_b32 s6, s4
	s_cbranch_execz .LBB298_152
.LBB298_151:
	v_and_b32_e32 v12, 7, v27
	v_lshrrev_b16 v18, 3, v27
	s_delay_alu instid0(VALU_DEP_2) | instskip(NEXT) | instid1(VALU_DEP_1)
	v_clz_i32_u32_e32 v17, v12
	v_min_u32_e32 v17, 32, v17
	s_delay_alu instid0(VALU_DEP_3) | instskip(NEXT) | instid1(VALU_DEP_2)
	v_and_b32_e32 v18, 15, v18
	v_subrev_nc_u32_e32 v19, 28, v17
	v_sub_nc_u32_e32 v17, 29, v17
	s_delay_alu instid0(VALU_DEP_3) | instskip(NEXT) | instid1(VALU_DEP_1)
	v_cmp_eq_u32_e64 s1, 0, v18
	v_dual_lshlrev_b32 v19, v19, v27 :: v_dual_cndmask_b32 v17, v18, v17, s1
	s_delay_alu instid0(VALU_DEP_1) | instskip(NEXT) | instid1(VALU_DEP_2)
	v_and_b32_e32 v19, 7, v19
	v_lshl_add_u32 v17, v17, 23, 0x3b800000
	s_delay_alu instid0(VALU_DEP_2) | instskip(NEXT) | instid1(VALU_DEP_1)
	v_cndmask_b32_e64 v12, v12, v19, s1
	v_dual_lshlrev_b32 v27, 24, v27 :: v_dual_lshlrev_b32 v12, 20, v12
	s_delay_alu instid0(VALU_DEP_1) | instskip(NEXT) | instid1(VALU_DEP_1)
	v_and_b32_e32 v18, 0x80000000, v27
	v_or3_b32 v12, v18, v17, v12
.LBB298_152:
	s_or_b32 exec_lo, exec_lo, s6
	s_delay_alu instid0(VALU_DEP_1)
	v_cmp_neq_f32_e64 s4, v11, v12
                                        ; implicit-def: $vgpr27
.LBB298_153:
	s_and_not1_saveexec_b32 s5, s5
	s_cbranch_execz .LBB298_163
; %bb.154:
	v_and_b32_e32 v12, 0xff, v1
	s_mov_b32 s6, 0
	s_mov_b32 s7, exec_lo
	s_delay_alu instid0(VALU_DEP_1)
	v_cmpx_lt_i16_e32 0x7f, v12
	s_xor_b32 s7, exec_lo, s7
	s_cbranch_execnz .LBB298_505
; %bb.155:
	s_or_saveexec_b32 s7, s7
	v_mov_b32_e32 v11, 0x7f800001
	s_xor_b32 exec_lo, exec_lo, s7
	s_cbranch_execnz .LBB298_508
.LBB298_156:
	s_or_b32 exec_lo, exec_lo, s7
	s_and_saveexec_b32 s1, s6
.LBB298_157:
	v_mov_b32_e32 v11, v0
.LBB298_158:
	s_or_b32 exec_lo, exec_lo, s1
	v_and_b32_e32 v17, 0xff, v27
	s_mov_b32 s6, 0
	s_mov_b32 s7, exec_lo
	s_delay_alu instid0(VALU_DEP_1)
	v_cmpx_lt_i16_e32 0x7f, v17
	s_xor_b32 s7, exec_lo, s7
	s_cbranch_execnz .LBB298_509
; %bb.159:
	s_or_saveexec_b32 s7, s7
	v_mov_b32_e32 v12, 0x7f800001
	s_xor_b32 exec_lo, exec_lo, s7
	s_cbranch_execnz .LBB298_512
.LBB298_160:
	s_or_b32 exec_lo, exec_lo, s7
	s_and_saveexec_b32 s7, s6
	s_cbranch_execz .LBB298_162
.LBB298_161:
	v_and_b32_e32 v12, 7, v27
	v_lshrrev_b16 v18, 3, v27
	s_delay_alu instid0(VALU_DEP_2) | instskip(NEXT) | instid1(VALU_DEP_1)
	v_clz_i32_u32_e32 v17, v12
	v_min_u32_e32 v17, 32, v17
	s_delay_alu instid0(VALU_DEP_3) | instskip(NEXT) | instid1(VALU_DEP_2)
	v_and_b32_e32 v18, 15, v18
	v_subrev_nc_u32_e32 v19, 28, v17
	v_sub_nc_u32_e32 v17, 29, v17
	s_delay_alu instid0(VALU_DEP_3) | instskip(NEXT) | instid1(VALU_DEP_1)
	v_cmp_eq_u32_e64 s1, 0, v18
	v_dual_lshlrev_b32 v19, v19, v27 :: v_dual_cndmask_b32 v17, v18, v17, s1
	s_delay_alu instid0(VALU_DEP_1) | instskip(NEXT) | instid1(VALU_DEP_2)
	v_and_b32_e32 v19, 7, v19
	v_lshl_add_u32 v17, v17, 23, 0x3b800000
	s_delay_alu instid0(VALU_DEP_2) | instskip(NEXT) | instid1(VALU_DEP_1)
	v_cndmask_b32_e64 v12, v12, v19, s1
	v_dual_lshlrev_b32 v27, 24, v27 :: v_dual_lshlrev_b32 v12, 20, v12
	s_delay_alu instid0(VALU_DEP_1) | instskip(NEXT) | instid1(VALU_DEP_1)
	v_and_b32_e32 v18, 0x80000000, v27
	v_or3_b32 v12, v18, v17, v12
.LBB298_162:
	s_or_b32 exec_lo, exec_lo, s7
	s_delay_alu instid0(VALU_DEP_1) | instskip(SKIP_2) | instid1(SALU_CYCLE_1)
	v_cmp_eq_f32_e64 s1, v11, v12
	s_and_not1_b32 s4, s4, exec_lo
	s_and_b32 s1, s1, exec_lo
	s_or_b32 s4, s4, s1
.LBB298_163:
	s_or_b32 exec_lo, exec_lo, s5
	s_delay_alu instid0(VALU_DEP_1) | instskip(NEXT) | instid1(VALU_DEP_1)
	v_cndmask_b32_e64 v11, 0, 1, s4
	v_lshlrev_b16 v11, 8, v11
	s_delay_alu instid0(VALU_DEP_1) | instskip(NEXT) | instid1(VALU_DEP_1)
	v_bitop3_b16 v11, v7, v11, 0xff bitop3:0xec
	v_and_b32_e32 v11, 0xffff, v11
	s_delay_alu instid0(VALU_DEP_1)
	v_and_or_b32 v7, 0xffff0000, v7, v11
.LBB298_164:
	s_or_b32 exec_lo, exec_lo, s3
	v_add_nc_u32_e32 v11, 0x600, v9
	s_mov_b32 s3, exec_lo
	s_delay_alu instid0(VALU_DEP_1)
	v_cmpx_lt_i32_e64 v11, v6
	s_cbranch_execz .LBB298_186
; %bb.165:
                                        ; implicit-def: $sgpr4
	s_and_saveexec_b32 s1, s0
	s_delay_alu instid0(SALU_CYCLE_1)
	s_xor_b32 s5, exec_lo, s1
	s_cbranch_execz .LBB298_175
; %bb.166:
	v_and_b32_e32 v12, 0xff, v1
	s_mov_b32 s4, 0
	s_mov_b32 s6, exec_lo
	s_delay_alu instid0(VALU_DEP_1)
	v_cmpx_lt_i16_e32 0x7f, v12
	s_xor_b32 s6, exec_lo, s6
	s_cbranch_execnz .LBB298_513
; %bb.167:
	s_or_saveexec_b32 s6, s6
	v_mov_b32_e32 v11, 0x7f800001
	s_xor_b32 exec_lo, exec_lo, s6
	s_cbranch_execnz .LBB298_516
.LBB298_168:
	s_or_b32 exec_lo, exec_lo, s6
	s_and_saveexec_b32 s1, s4
.LBB298_169:
	v_mov_b32_e32 v11, v0
.LBB298_170:
	s_or_b32 exec_lo, exec_lo, s1
	v_and_b32_e32 v17, 0xff, v26
	s_mov_b32 s4, 0
	s_mov_b32 s6, exec_lo
	s_delay_alu instid0(VALU_DEP_1)
	v_cmpx_lt_i16_e32 0x7f, v17
	s_xor_b32 s6, exec_lo, s6
	s_cbranch_execnz .LBB298_517
; %bb.171:
	s_or_saveexec_b32 s6, s6
	v_mov_b32_e32 v12, 0x7f800001
	s_xor_b32 exec_lo, exec_lo, s6
	s_cbranch_execnz .LBB298_520
.LBB298_172:
	s_or_b32 exec_lo, exec_lo, s6
	s_and_saveexec_b32 s6, s4
	s_cbranch_execz .LBB298_174
.LBB298_173:
	v_and_b32_e32 v12, 7, v26
	v_lshrrev_b16 v18, 3, v26
	s_delay_alu instid0(VALU_DEP_2) | instskip(NEXT) | instid1(VALU_DEP_1)
	v_clz_i32_u32_e32 v17, v12
	v_min_u32_e32 v17, 32, v17
	s_delay_alu instid0(VALU_DEP_3) | instskip(NEXT) | instid1(VALU_DEP_2)
	v_and_b32_e32 v18, 15, v18
	v_subrev_nc_u32_e32 v19, 28, v17
	v_sub_nc_u32_e32 v17, 29, v17
	s_delay_alu instid0(VALU_DEP_3) | instskip(NEXT) | instid1(VALU_DEP_3)
	v_cmp_eq_u32_e64 s1, 0, v18
	v_dual_lshlrev_b32 v19, v19, v26 :: v_dual_lshlrev_b32 v26, 24, v26
	s_delay_alu instid0(VALU_DEP_1) | instskip(NEXT) | instid1(VALU_DEP_2)
	v_dual_cndmask_b32 v17, v18, v17, s1 :: v_dual_bitop2_b32 v19, 7, v19 bitop3:0x40
	v_and_b32_e32 v18, 0x80000000, v26
	s_delay_alu instid0(VALU_DEP_2) | instskip(NEXT) | instid1(VALU_DEP_3)
	v_cndmask_b32_e64 v12, v12, v19, s1
	v_lshl_add_u32 v17, v17, 23, 0x3b800000
	s_delay_alu instid0(VALU_DEP_2) | instskip(NEXT) | instid1(VALU_DEP_1)
	v_lshlrev_b32_e32 v12, 20, v12
	v_or3_b32 v12, v18, v17, v12
.LBB298_174:
	s_or_b32 exec_lo, exec_lo, s6
	s_delay_alu instid0(VALU_DEP_1)
	v_cmp_neq_f32_e64 s4, v11, v12
                                        ; implicit-def: $vgpr26
.LBB298_175:
	s_and_not1_saveexec_b32 s5, s5
	s_cbranch_execz .LBB298_185
; %bb.176:
	v_and_b32_e32 v12, 0xff, v1
	s_mov_b32 s6, 0
	s_mov_b32 s7, exec_lo
	s_delay_alu instid0(VALU_DEP_1)
	v_cmpx_lt_i16_e32 0x7f, v12
	s_xor_b32 s7, exec_lo, s7
	s_cbranch_execnz .LBB298_521
; %bb.177:
	s_or_saveexec_b32 s7, s7
	v_mov_b32_e32 v11, 0x7f800001
	s_xor_b32 exec_lo, exec_lo, s7
	s_cbranch_execnz .LBB298_524
.LBB298_178:
	s_or_b32 exec_lo, exec_lo, s7
	s_and_saveexec_b32 s1, s6
.LBB298_179:
	v_mov_b32_e32 v11, v0
.LBB298_180:
	s_or_b32 exec_lo, exec_lo, s1
	v_and_b32_e32 v17, 0xff, v26
	s_mov_b32 s6, 0
	s_mov_b32 s7, exec_lo
	s_delay_alu instid0(VALU_DEP_1)
	v_cmpx_lt_i16_e32 0x7f, v17
	s_xor_b32 s7, exec_lo, s7
	s_cbranch_execnz .LBB298_525
; %bb.181:
	s_or_saveexec_b32 s7, s7
	v_mov_b32_e32 v12, 0x7f800001
	s_xor_b32 exec_lo, exec_lo, s7
	s_cbranch_execnz .LBB298_528
.LBB298_182:
	s_or_b32 exec_lo, exec_lo, s7
	s_and_saveexec_b32 s7, s6
	s_cbranch_execz .LBB298_184
.LBB298_183:
	v_and_b32_e32 v12, 7, v26
	v_lshrrev_b16 v18, 3, v26
	s_delay_alu instid0(VALU_DEP_2) | instskip(NEXT) | instid1(VALU_DEP_1)
	v_clz_i32_u32_e32 v17, v12
	v_min_u32_e32 v17, 32, v17
	s_delay_alu instid0(VALU_DEP_3) | instskip(NEXT) | instid1(VALU_DEP_2)
	v_and_b32_e32 v18, 15, v18
	v_subrev_nc_u32_e32 v19, 28, v17
	v_sub_nc_u32_e32 v17, 29, v17
	s_delay_alu instid0(VALU_DEP_3) | instskip(NEXT) | instid1(VALU_DEP_3)
	v_cmp_eq_u32_e64 s1, 0, v18
	v_dual_lshlrev_b32 v19, v19, v26 :: v_dual_lshlrev_b32 v26, 24, v26
	s_delay_alu instid0(VALU_DEP_1) | instskip(NEXT) | instid1(VALU_DEP_2)
	v_dual_cndmask_b32 v17, v18, v17, s1 :: v_dual_bitop2_b32 v19, 7, v19 bitop3:0x40
	v_and_b32_e32 v18, 0x80000000, v26
	s_delay_alu instid0(VALU_DEP_2) | instskip(NEXT) | instid1(VALU_DEP_3)
	v_cndmask_b32_e64 v12, v12, v19, s1
	v_lshl_add_u32 v17, v17, 23, 0x3b800000
	s_delay_alu instid0(VALU_DEP_2) | instskip(NEXT) | instid1(VALU_DEP_1)
	v_lshlrev_b32_e32 v12, 20, v12
	v_or3_b32 v12, v18, v17, v12
.LBB298_184:
	s_or_b32 exec_lo, exec_lo, s7
	s_delay_alu instid0(VALU_DEP_1) | instskip(SKIP_2) | instid1(SALU_CYCLE_1)
	v_cmp_eq_f32_e64 s1, v11, v12
	s_and_not1_b32 s4, s4, exec_lo
	s_and_b32 s1, s1, exec_lo
	s_or_b32 s4, s4, s1
.LBB298_185:
	s_or_b32 exec_lo, exec_lo, s5
	v_lshrrev_b32_e32 v11, 16, v7
	v_cndmask_b32_e64 v12, 0, 1, s4
	s_delay_alu instid0(VALU_DEP_1) | instskip(NEXT) | instid1(VALU_DEP_1)
	v_bitop3_b16 v11, v12, v11, 0xff00 bitop3:0xf8
	v_lshlrev_b32_e32 v11, 16, v11
	s_delay_alu instid0(VALU_DEP_1)
	v_and_or_b32 v7, 0xffff, v7, v11
.LBB298_186:
	s_or_b32 exec_lo, exec_lo, s3
	v_add_nc_u32_e32 v11, 0x700, v9
	s_mov_b32 s3, exec_lo
	s_delay_alu instid0(VALU_DEP_1)
	v_cmpx_lt_i32_e64 v11, v6
	s_cbranch_execz .LBB298_208
; %bb.187:
                                        ; implicit-def: $sgpr4
	s_and_saveexec_b32 s1, s0
	s_delay_alu instid0(SALU_CYCLE_1)
	s_xor_b32 s5, exec_lo, s1
	s_cbranch_execz .LBB298_197
; %bb.188:
	v_and_b32_e32 v12, 0xff, v1
	s_mov_b32 s4, 0
	s_mov_b32 s6, exec_lo
	s_delay_alu instid0(VALU_DEP_1)
	v_cmpx_lt_i16_e32 0x7f, v12
	s_xor_b32 s6, exec_lo, s6
	s_cbranch_execnz .LBB298_529
; %bb.189:
	s_or_saveexec_b32 s6, s6
	v_mov_b32_e32 v11, 0x7f800001
	s_xor_b32 exec_lo, exec_lo, s6
	s_cbranch_execnz .LBB298_532
.LBB298_190:
	s_or_b32 exec_lo, exec_lo, s6
	s_and_saveexec_b32 s1, s4
.LBB298_191:
	v_mov_b32_e32 v11, v0
.LBB298_192:
	s_or_b32 exec_lo, exec_lo, s1
	v_and_b32_e32 v17, 0xff, v25
	s_mov_b32 s4, 0
	s_mov_b32 s6, exec_lo
	s_delay_alu instid0(VALU_DEP_1)
	v_cmpx_lt_i16_e32 0x7f, v17
	s_xor_b32 s6, exec_lo, s6
	s_cbranch_execnz .LBB298_533
; %bb.193:
	s_or_saveexec_b32 s6, s6
	v_mov_b32_e32 v12, 0x7f800001
	s_xor_b32 exec_lo, exec_lo, s6
	s_cbranch_execnz .LBB298_536
.LBB298_194:
	s_or_b32 exec_lo, exec_lo, s6
	s_and_saveexec_b32 s6, s4
	s_cbranch_execz .LBB298_196
.LBB298_195:
	v_and_b32_e32 v12, 7, v25
	v_lshrrev_b16 v18, 3, v25
	s_delay_alu instid0(VALU_DEP_2) | instskip(NEXT) | instid1(VALU_DEP_1)
	v_clz_i32_u32_e32 v17, v12
	v_min_u32_e32 v17, 32, v17
	s_delay_alu instid0(VALU_DEP_3) | instskip(NEXT) | instid1(VALU_DEP_2)
	v_and_b32_e32 v18, 15, v18
	v_subrev_nc_u32_e32 v19, 28, v17
	v_sub_nc_u32_e32 v17, 29, v17
	s_delay_alu instid0(VALU_DEP_3) | instskip(NEXT) | instid1(VALU_DEP_3)
	v_cmp_eq_u32_e64 s1, 0, v18
	v_dual_lshlrev_b32 v19, v19, v25 :: v_dual_lshlrev_b32 v25, 24, v25
	s_delay_alu instid0(VALU_DEP_1) | instskip(NEXT) | instid1(VALU_DEP_2)
	v_dual_cndmask_b32 v17, v18, v17, s1 :: v_dual_bitop2_b32 v19, 7, v19 bitop3:0x40
	v_and_b32_e32 v18, 0x80000000, v25
	s_delay_alu instid0(VALU_DEP_2) | instskip(NEXT) | instid1(VALU_DEP_3)
	v_cndmask_b32_e64 v12, v12, v19, s1
	v_lshl_add_u32 v17, v17, 23, 0x3b800000
	s_delay_alu instid0(VALU_DEP_2) | instskip(NEXT) | instid1(VALU_DEP_1)
	v_lshlrev_b32_e32 v12, 20, v12
	v_or3_b32 v12, v18, v17, v12
.LBB298_196:
	s_or_b32 exec_lo, exec_lo, s6
	s_delay_alu instid0(VALU_DEP_1)
	v_cmp_neq_f32_e64 s4, v11, v12
                                        ; implicit-def: $vgpr25
.LBB298_197:
	s_and_not1_saveexec_b32 s5, s5
	s_cbranch_execz .LBB298_207
; %bb.198:
	v_and_b32_e32 v12, 0xff, v1
	s_mov_b32 s6, 0
	s_mov_b32 s7, exec_lo
	s_delay_alu instid0(VALU_DEP_1)
	v_cmpx_lt_i16_e32 0x7f, v12
	s_xor_b32 s7, exec_lo, s7
	s_cbranch_execnz .LBB298_537
; %bb.199:
	s_or_saveexec_b32 s7, s7
	v_mov_b32_e32 v11, 0x7f800001
	s_xor_b32 exec_lo, exec_lo, s7
	s_cbranch_execnz .LBB298_540
.LBB298_200:
	s_or_b32 exec_lo, exec_lo, s7
	s_and_saveexec_b32 s1, s6
.LBB298_201:
	v_mov_b32_e32 v11, v0
.LBB298_202:
	s_or_b32 exec_lo, exec_lo, s1
	v_and_b32_e32 v17, 0xff, v25
	s_mov_b32 s6, 0
	s_mov_b32 s7, exec_lo
	s_delay_alu instid0(VALU_DEP_1)
	v_cmpx_lt_i16_e32 0x7f, v17
	s_xor_b32 s7, exec_lo, s7
	s_cbranch_execnz .LBB298_541
; %bb.203:
	s_or_saveexec_b32 s7, s7
	v_mov_b32_e32 v12, 0x7f800001
	s_xor_b32 exec_lo, exec_lo, s7
	s_cbranch_execnz .LBB298_544
.LBB298_204:
	s_or_b32 exec_lo, exec_lo, s7
	s_and_saveexec_b32 s7, s6
	s_cbranch_execz .LBB298_206
.LBB298_205:
	v_and_b32_e32 v12, 7, v25
	v_lshrrev_b16 v18, 3, v25
	s_delay_alu instid0(VALU_DEP_2) | instskip(NEXT) | instid1(VALU_DEP_1)
	v_clz_i32_u32_e32 v17, v12
	v_min_u32_e32 v17, 32, v17
	s_delay_alu instid0(VALU_DEP_3) | instskip(NEXT) | instid1(VALU_DEP_2)
	v_and_b32_e32 v18, 15, v18
	v_subrev_nc_u32_e32 v19, 28, v17
	v_sub_nc_u32_e32 v17, 29, v17
	s_delay_alu instid0(VALU_DEP_3) | instskip(NEXT) | instid1(VALU_DEP_3)
	v_cmp_eq_u32_e64 s1, 0, v18
	v_dual_lshlrev_b32 v19, v19, v25 :: v_dual_lshlrev_b32 v25, 24, v25
	s_delay_alu instid0(VALU_DEP_1) | instskip(NEXT) | instid1(VALU_DEP_2)
	v_dual_cndmask_b32 v17, v18, v17, s1 :: v_dual_bitop2_b32 v19, 7, v19 bitop3:0x40
	v_and_b32_e32 v18, 0x80000000, v25
	s_delay_alu instid0(VALU_DEP_2) | instskip(NEXT) | instid1(VALU_DEP_3)
	v_cndmask_b32_e64 v12, v12, v19, s1
	v_lshl_add_u32 v17, v17, 23, 0x3b800000
	s_delay_alu instid0(VALU_DEP_2) | instskip(NEXT) | instid1(VALU_DEP_1)
	v_lshlrev_b32_e32 v12, 20, v12
	v_or3_b32 v12, v18, v17, v12
.LBB298_206:
	s_or_b32 exec_lo, exec_lo, s7
	s_delay_alu instid0(VALU_DEP_1) | instskip(SKIP_2) | instid1(SALU_CYCLE_1)
	v_cmp_eq_f32_e64 s1, v11, v12
	s_and_not1_b32 s4, s4, exec_lo
	s_and_b32 s1, s1, exec_lo
	s_or_b32 s4, s4, s1
.LBB298_207:
	s_or_b32 exec_lo, exec_lo, s5
	s_delay_alu instid0(VALU_DEP_1) | instskip(SKIP_1) | instid1(VALU_DEP_2)
	v_cndmask_b32_e64 v11, 0, 1, s4
	v_lshrrev_b32_e32 v12, 16, v7
	v_lshlrev_b16 v11, 8, v11
	s_delay_alu instid0(VALU_DEP_1) | instskip(NEXT) | instid1(VALU_DEP_1)
	v_bitop3_b16 v11, v12, v11, 0xff bitop3:0xec
	v_lshlrev_b32_e32 v11, 16, v11
	s_delay_alu instid0(VALU_DEP_1)
	v_and_or_b32 v7, 0xffff, v7, v11
.LBB298_208:
	s_or_b32 exec_lo, exec_lo, s3
	v_or_b32_e32 v11, 0x800, v9
	s_mov_b32 s3, exec_lo
	s_delay_alu instid0(VALU_DEP_1)
	v_cmpx_lt_i32_e64 v11, v6
	s_cbranch_execz .LBB298_230
; %bb.209:
                                        ; implicit-def: $sgpr4
	s_and_saveexec_b32 s1, s0
	s_delay_alu instid0(SALU_CYCLE_1)
	s_xor_b32 s5, exec_lo, s1
	s_cbranch_execz .LBB298_219
; %bb.210:
	v_and_b32_e32 v12, 0xff, v1
	s_mov_b32 s4, 0
	s_mov_b32 s6, exec_lo
	s_delay_alu instid0(VALU_DEP_1)
	v_cmpx_lt_i16_e32 0x7f, v12
	s_xor_b32 s6, exec_lo, s6
	s_cbranch_execnz .LBB298_545
; %bb.211:
	s_or_saveexec_b32 s6, s6
	v_mov_b32_e32 v11, 0x7f800001
	s_xor_b32 exec_lo, exec_lo, s6
	s_cbranch_execnz .LBB298_548
.LBB298_212:
	s_or_b32 exec_lo, exec_lo, s6
	s_and_saveexec_b32 s1, s4
.LBB298_213:
	v_mov_b32_e32 v11, v0
.LBB298_214:
	s_or_b32 exec_lo, exec_lo, s1
	v_and_b32_e32 v17, 0xff, v24
	s_mov_b32 s4, 0
	s_mov_b32 s6, exec_lo
	s_delay_alu instid0(VALU_DEP_1)
	v_cmpx_lt_i16_e32 0x7f, v17
	s_xor_b32 s6, exec_lo, s6
	s_cbranch_execnz .LBB298_549
; %bb.215:
	s_or_saveexec_b32 s6, s6
	v_mov_b32_e32 v12, 0x7f800001
	s_xor_b32 exec_lo, exec_lo, s6
	s_cbranch_execnz .LBB298_552
.LBB298_216:
	s_or_b32 exec_lo, exec_lo, s6
	s_and_saveexec_b32 s6, s4
	s_cbranch_execz .LBB298_218
.LBB298_217:
	v_and_b32_e32 v12, 7, v24
	v_lshrrev_b16 v18, 3, v24
	s_delay_alu instid0(VALU_DEP_2) | instskip(NEXT) | instid1(VALU_DEP_1)
	v_clz_i32_u32_e32 v17, v12
	v_min_u32_e32 v17, 32, v17
	s_delay_alu instid0(VALU_DEP_3) | instskip(NEXT) | instid1(VALU_DEP_2)
	v_and_b32_e32 v18, 15, v18
	v_subrev_nc_u32_e32 v19, 28, v17
	v_sub_nc_u32_e32 v17, 29, v17
	s_delay_alu instid0(VALU_DEP_3) | instskip(NEXT) | instid1(VALU_DEP_3)
	v_cmp_eq_u32_e64 s1, 0, v18
	v_dual_lshlrev_b32 v19, v19, v24 :: v_dual_lshlrev_b32 v24, 24, v24
	s_delay_alu instid0(VALU_DEP_1) | instskip(NEXT) | instid1(VALU_DEP_2)
	v_dual_cndmask_b32 v17, v18, v17, s1 :: v_dual_bitop2_b32 v19, 7, v19 bitop3:0x40
	v_and_b32_e32 v18, 0x80000000, v24
	s_delay_alu instid0(VALU_DEP_2) | instskip(NEXT) | instid1(VALU_DEP_3)
	v_cndmask_b32_e64 v12, v12, v19, s1
	v_lshl_add_u32 v17, v17, 23, 0x3b800000
	s_delay_alu instid0(VALU_DEP_2) | instskip(NEXT) | instid1(VALU_DEP_1)
	v_lshlrev_b32_e32 v12, 20, v12
	v_or3_b32 v12, v18, v17, v12
.LBB298_218:
	s_or_b32 exec_lo, exec_lo, s6
	s_delay_alu instid0(VALU_DEP_1)
	v_cmp_neq_f32_e64 s4, v11, v12
                                        ; implicit-def: $vgpr24
.LBB298_219:
	s_and_not1_saveexec_b32 s5, s5
	s_cbranch_execz .LBB298_229
; %bb.220:
	v_and_b32_e32 v12, 0xff, v1
	s_mov_b32 s6, 0
	s_mov_b32 s7, exec_lo
	s_delay_alu instid0(VALU_DEP_1)
	v_cmpx_lt_i16_e32 0x7f, v12
	s_xor_b32 s7, exec_lo, s7
	s_cbranch_execnz .LBB298_553
; %bb.221:
	s_or_saveexec_b32 s7, s7
	v_mov_b32_e32 v11, 0x7f800001
	s_xor_b32 exec_lo, exec_lo, s7
	s_cbranch_execnz .LBB298_556
.LBB298_222:
	s_or_b32 exec_lo, exec_lo, s7
	s_and_saveexec_b32 s1, s6
.LBB298_223:
	v_mov_b32_e32 v11, v0
.LBB298_224:
	s_or_b32 exec_lo, exec_lo, s1
	v_and_b32_e32 v17, 0xff, v24
	s_mov_b32 s6, 0
	s_mov_b32 s7, exec_lo
	s_delay_alu instid0(VALU_DEP_1)
	v_cmpx_lt_i16_e32 0x7f, v17
	s_xor_b32 s7, exec_lo, s7
	s_cbranch_execnz .LBB298_557
; %bb.225:
	s_or_saveexec_b32 s7, s7
	v_mov_b32_e32 v12, 0x7f800001
	s_xor_b32 exec_lo, exec_lo, s7
	s_cbranch_execnz .LBB298_560
.LBB298_226:
	s_or_b32 exec_lo, exec_lo, s7
	s_and_saveexec_b32 s7, s6
	s_cbranch_execz .LBB298_228
.LBB298_227:
	v_and_b32_e32 v12, 7, v24
	v_lshrrev_b16 v18, 3, v24
	s_delay_alu instid0(VALU_DEP_2) | instskip(NEXT) | instid1(VALU_DEP_1)
	v_clz_i32_u32_e32 v17, v12
	v_min_u32_e32 v17, 32, v17
	s_delay_alu instid0(VALU_DEP_3) | instskip(NEXT) | instid1(VALU_DEP_2)
	v_and_b32_e32 v18, 15, v18
	v_subrev_nc_u32_e32 v19, 28, v17
	v_sub_nc_u32_e32 v17, 29, v17
	s_delay_alu instid0(VALU_DEP_3) | instskip(NEXT) | instid1(VALU_DEP_3)
	v_cmp_eq_u32_e64 s1, 0, v18
	v_dual_lshlrev_b32 v19, v19, v24 :: v_dual_lshlrev_b32 v24, 24, v24
	s_delay_alu instid0(VALU_DEP_1) | instskip(NEXT) | instid1(VALU_DEP_2)
	v_dual_cndmask_b32 v17, v18, v17, s1 :: v_dual_bitop2_b32 v19, 7, v19 bitop3:0x40
	v_and_b32_e32 v18, 0x80000000, v24
	s_delay_alu instid0(VALU_DEP_2) | instskip(NEXT) | instid1(VALU_DEP_3)
	v_cndmask_b32_e64 v12, v12, v19, s1
	v_lshl_add_u32 v17, v17, 23, 0x3b800000
	s_delay_alu instid0(VALU_DEP_2) | instskip(NEXT) | instid1(VALU_DEP_1)
	v_lshlrev_b32_e32 v12, 20, v12
	v_or3_b32 v12, v18, v17, v12
.LBB298_228:
	s_or_b32 exec_lo, exec_lo, s7
	s_delay_alu instid0(VALU_DEP_1) | instskip(SKIP_2) | instid1(SALU_CYCLE_1)
	v_cmp_eq_f32_e64 s1, v11, v12
	s_and_not1_b32 s4, s4, exec_lo
	s_and_b32 s1, s1, exec_lo
	s_or_b32 s4, s4, s1
.LBB298_229:
	s_or_b32 exec_lo, exec_lo, s5
	s_delay_alu instid0(VALU_DEP_1) | instskip(NEXT) | instid1(VALU_DEP_1)
	v_cndmask_b32_e64 v11, 0, 1, s4
	v_bitop3_b16 v11, v11, v4, 0xff00 bitop3:0xf8
	s_delay_alu instid0(VALU_DEP_1) | instskip(NEXT) | instid1(VALU_DEP_1)
	v_and_b32_e32 v11, 0xffff, v11
	v_and_or_b32 v4, 0xffff0000, v4, v11
.LBB298_230:
	s_or_b32 exec_lo, exec_lo, s3
	v_add_nc_u32_e32 v11, 0x900, v9
	s_mov_b32 s3, exec_lo
	s_delay_alu instid0(VALU_DEP_1)
	v_cmpx_lt_i32_e64 v11, v6
	s_cbranch_execz .LBB298_252
; %bb.231:
                                        ; implicit-def: $sgpr4
	s_and_saveexec_b32 s1, s0
	s_delay_alu instid0(SALU_CYCLE_1)
	s_xor_b32 s5, exec_lo, s1
	s_cbranch_execz .LBB298_241
; %bb.232:
	v_and_b32_e32 v12, 0xff, v1
	s_mov_b32 s4, 0
	s_mov_b32 s6, exec_lo
	s_delay_alu instid0(VALU_DEP_1)
	v_cmpx_lt_i16_e32 0x7f, v12
	s_xor_b32 s6, exec_lo, s6
	s_cbranch_execnz .LBB298_561
; %bb.233:
	s_or_saveexec_b32 s6, s6
	v_mov_b32_e32 v11, 0x7f800001
	s_xor_b32 exec_lo, exec_lo, s6
	s_cbranch_execnz .LBB298_564
.LBB298_234:
	s_or_b32 exec_lo, exec_lo, s6
	s_and_saveexec_b32 s1, s4
.LBB298_235:
	v_mov_b32_e32 v11, v0
.LBB298_236:
	s_or_b32 exec_lo, exec_lo, s1
	v_and_b32_e32 v17, 0xff, v23
	s_mov_b32 s4, 0
	s_mov_b32 s6, exec_lo
	s_delay_alu instid0(VALU_DEP_1)
	v_cmpx_lt_i16_e32 0x7f, v17
	s_xor_b32 s6, exec_lo, s6
	s_cbranch_execnz .LBB298_565
; %bb.237:
	s_or_saveexec_b32 s6, s6
	v_mov_b32_e32 v12, 0x7f800001
	s_xor_b32 exec_lo, exec_lo, s6
	s_cbranch_execnz .LBB298_568
.LBB298_238:
	s_or_b32 exec_lo, exec_lo, s6
	s_and_saveexec_b32 s6, s4
	s_cbranch_execz .LBB298_240
.LBB298_239:
	v_and_b32_e32 v12, 7, v23
	v_lshrrev_b16 v18, 3, v23
	s_delay_alu instid0(VALU_DEP_2) | instskip(NEXT) | instid1(VALU_DEP_1)
	v_clz_i32_u32_e32 v17, v12
	v_min_u32_e32 v17, 32, v17
	s_delay_alu instid0(VALU_DEP_3) | instskip(NEXT) | instid1(VALU_DEP_2)
	v_and_b32_e32 v18, 15, v18
	v_subrev_nc_u32_e32 v19, 28, v17
	v_sub_nc_u32_e32 v17, 29, v17
	s_delay_alu instid0(VALU_DEP_3) | instskip(NEXT) | instid1(VALU_DEP_1)
	v_cmp_eq_u32_e64 s1, 0, v18
	v_dual_lshlrev_b32 v19, v19, v23 :: v_dual_cndmask_b32 v17, v18, v17, s1
	s_delay_alu instid0(VALU_DEP_1) | instskip(NEXT) | instid1(VALU_DEP_2)
	v_and_b32_e32 v19, 7, v19
	v_lshl_add_u32 v17, v17, 23, 0x3b800000
	s_delay_alu instid0(VALU_DEP_2) | instskip(NEXT) | instid1(VALU_DEP_1)
	v_cndmask_b32_e64 v12, v12, v19, s1
	v_dual_lshlrev_b32 v23, 24, v23 :: v_dual_lshlrev_b32 v12, 20, v12
	s_delay_alu instid0(VALU_DEP_1) | instskip(NEXT) | instid1(VALU_DEP_1)
	v_and_b32_e32 v18, 0x80000000, v23
	v_or3_b32 v12, v18, v17, v12
.LBB298_240:
	s_or_b32 exec_lo, exec_lo, s6
	s_delay_alu instid0(VALU_DEP_1)
	v_cmp_neq_f32_e64 s4, v11, v12
                                        ; implicit-def: $vgpr23
.LBB298_241:
	s_and_not1_saveexec_b32 s5, s5
	s_cbranch_execz .LBB298_251
; %bb.242:
	v_and_b32_e32 v12, 0xff, v1
	s_mov_b32 s6, 0
	s_mov_b32 s7, exec_lo
	s_delay_alu instid0(VALU_DEP_1)
	v_cmpx_lt_i16_e32 0x7f, v12
	s_xor_b32 s7, exec_lo, s7
	s_cbranch_execnz .LBB298_569
; %bb.243:
	s_or_saveexec_b32 s7, s7
	v_mov_b32_e32 v11, 0x7f800001
	s_xor_b32 exec_lo, exec_lo, s7
	s_cbranch_execnz .LBB298_572
.LBB298_244:
	s_or_b32 exec_lo, exec_lo, s7
	s_and_saveexec_b32 s1, s6
.LBB298_245:
	v_mov_b32_e32 v11, v0
.LBB298_246:
	s_or_b32 exec_lo, exec_lo, s1
	v_and_b32_e32 v17, 0xff, v23
	s_mov_b32 s6, 0
	s_mov_b32 s7, exec_lo
	s_delay_alu instid0(VALU_DEP_1)
	v_cmpx_lt_i16_e32 0x7f, v17
	s_xor_b32 s7, exec_lo, s7
	s_cbranch_execnz .LBB298_573
; %bb.247:
	s_or_saveexec_b32 s7, s7
	v_mov_b32_e32 v12, 0x7f800001
	s_xor_b32 exec_lo, exec_lo, s7
	s_cbranch_execnz .LBB298_576
.LBB298_248:
	s_or_b32 exec_lo, exec_lo, s7
	s_and_saveexec_b32 s7, s6
	s_cbranch_execz .LBB298_250
.LBB298_249:
	v_and_b32_e32 v12, 7, v23
	v_lshrrev_b16 v18, 3, v23
	s_delay_alu instid0(VALU_DEP_2) | instskip(NEXT) | instid1(VALU_DEP_1)
	v_clz_i32_u32_e32 v17, v12
	v_min_u32_e32 v17, 32, v17
	s_delay_alu instid0(VALU_DEP_3) | instskip(NEXT) | instid1(VALU_DEP_2)
	v_and_b32_e32 v18, 15, v18
	v_subrev_nc_u32_e32 v19, 28, v17
	v_sub_nc_u32_e32 v17, 29, v17
	s_delay_alu instid0(VALU_DEP_3) | instskip(NEXT) | instid1(VALU_DEP_1)
	v_cmp_eq_u32_e64 s1, 0, v18
	v_dual_lshlrev_b32 v19, v19, v23 :: v_dual_cndmask_b32 v17, v18, v17, s1
	s_delay_alu instid0(VALU_DEP_1) | instskip(NEXT) | instid1(VALU_DEP_2)
	v_and_b32_e32 v19, 7, v19
	v_lshl_add_u32 v17, v17, 23, 0x3b800000
	s_delay_alu instid0(VALU_DEP_2) | instskip(NEXT) | instid1(VALU_DEP_1)
	v_cndmask_b32_e64 v12, v12, v19, s1
	v_dual_lshlrev_b32 v23, 24, v23 :: v_dual_lshlrev_b32 v12, 20, v12
	s_delay_alu instid0(VALU_DEP_1) | instskip(NEXT) | instid1(VALU_DEP_1)
	v_and_b32_e32 v18, 0x80000000, v23
	v_or3_b32 v12, v18, v17, v12
.LBB298_250:
	s_or_b32 exec_lo, exec_lo, s7
	s_delay_alu instid0(VALU_DEP_1) | instskip(SKIP_2) | instid1(SALU_CYCLE_1)
	v_cmp_eq_f32_e64 s1, v11, v12
	s_and_not1_b32 s4, s4, exec_lo
	s_and_b32 s1, s1, exec_lo
	s_or_b32 s4, s4, s1
.LBB298_251:
	s_or_b32 exec_lo, exec_lo, s5
	s_delay_alu instid0(VALU_DEP_1) | instskip(NEXT) | instid1(VALU_DEP_1)
	v_cndmask_b32_e64 v11, 0, 1, s4
	v_lshlrev_b16 v11, 8, v11
	s_delay_alu instid0(VALU_DEP_1) | instskip(NEXT) | instid1(VALU_DEP_1)
	v_bitop3_b16 v11, v4, v11, 0xff bitop3:0xec
	v_and_b32_e32 v11, 0xffff, v11
	s_delay_alu instid0(VALU_DEP_1)
	v_and_or_b32 v4, 0xffff0000, v4, v11
.LBB298_252:
	s_or_b32 exec_lo, exec_lo, s3
	v_add_nc_u32_e32 v11, 0xa00, v9
	s_mov_b32 s3, exec_lo
	s_delay_alu instid0(VALU_DEP_1)
	v_cmpx_lt_i32_e64 v11, v6
	s_cbranch_execz .LBB298_274
; %bb.253:
                                        ; implicit-def: $sgpr4
	s_and_saveexec_b32 s1, s0
	s_delay_alu instid0(SALU_CYCLE_1)
	s_xor_b32 s5, exec_lo, s1
	s_cbranch_execz .LBB298_263
; %bb.254:
	v_and_b32_e32 v12, 0xff, v1
	s_mov_b32 s4, 0
	s_mov_b32 s6, exec_lo
	s_delay_alu instid0(VALU_DEP_1)
	v_cmpx_lt_i16_e32 0x7f, v12
	s_xor_b32 s6, exec_lo, s6
	s_cbranch_execnz .LBB298_577
; %bb.255:
	s_or_saveexec_b32 s6, s6
	v_mov_b32_e32 v11, 0x7f800001
	s_xor_b32 exec_lo, exec_lo, s6
	s_cbranch_execnz .LBB298_580
.LBB298_256:
	s_or_b32 exec_lo, exec_lo, s6
	s_and_saveexec_b32 s1, s4
.LBB298_257:
	v_mov_b32_e32 v11, v0
.LBB298_258:
	s_or_b32 exec_lo, exec_lo, s1
	v_and_b32_e32 v17, 0xff, v22
	s_mov_b32 s4, 0
	s_mov_b32 s6, exec_lo
	s_delay_alu instid0(VALU_DEP_1)
	v_cmpx_lt_i16_e32 0x7f, v17
	s_xor_b32 s6, exec_lo, s6
	s_cbranch_execnz .LBB298_581
; %bb.259:
	s_or_saveexec_b32 s6, s6
	v_mov_b32_e32 v12, 0x7f800001
	s_xor_b32 exec_lo, exec_lo, s6
	s_cbranch_execnz .LBB298_584
.LBB298_260:
	s_or_b32 exec_lo, exec_lo, s6
	s_and_saveexec_b32 s6, s4
	s_cbranch_execz .LBB298_262
.LBB298_261:
	v_and_b32_e32 v12, 7, v22
	v_lshrrev_b16 v18, 3, v22
	s_delay_alu instid0(VALU_DEP_2) | instskip(NEXT) | instid1(VALU_DEP_1)
	v_clz_i32_u32_e32 v17, v12
	v_min_u32_e32 v17, 32, v17
	s_delay_alu instid0(VALU_DEP_3) | instskip(NEXT) | instid1(VALU_DEP_2)
	v_and_b32_e32 v18, 15, v18
	v_subrev_nc_u32_e32 v19, 28, v17
	v_sub_nc_u32_e32 v17, 29, v17
	s_delay_alu instid0(VALU_DEP_3) | instskip(NEXT) | instid1(VALU_DEP_3)
	v_cmp_eq_u32_e64 s1, 0, v18
	v_dual_lshlrev_b32 v19, v19, v22 :: v_dual_lshlrev_b32 v22, 24, v22
	s_delay_alu instid0(VALU_DEP_1) | instskip(NEXT) | instid1(VALU_DEP_2)
	v_dual_cndmask_b32 v17, v18, v17, s1 :: v_dual_bitop2_b32 v19, 7, v19 bitop3:0x40
	v_and_b32_e32 v18, 0x80000000, v22
	s_delay_alu instid0(VALU_DEP_2) | instskip(NEXT) | instid1(VALU_DEP_3)
	v_cndmask_b32_e64 v12, v12, v19, s1
	v_lshl_add_u32 v17, v17, 23, 0x3b800000
	s_delay_alu instid0(VALU_DEP_2) | instskip(NEXT) | instid1(VALU_DEP_1)
	v_lshlrev_b32_e32 v12, 20, v12
	v_or3_b32 v12, v18, v17, v12
.LBB298_262:
	s_or_b32 exec_lo, exec_lo, s6
	s_delay_alu instid0(VALU_DEP_1)
	v_cmp_neq_f32_e64 s4, v11, v12
                                        ; implicit-def: $vgpr22
.LBB298_263:
	s_and_not1_saveexec_b32 s5, s5
	s_cbranch_execz .LBB298_273
; %bb.264:
	v_and_b32_e32 v12, 0xff, v1
	s_mov_b32 s6, 0
	s_mov_b32 s7, exec_lo
	s_delay_alu instid0(VALU_DEP_1)
	v_cmpx_lt_i16_e32 0x7f, v12
	s_xor_b32 s7, exec_lo, s7
	s_cbranch_execnz .LBB298_585
; %bb.265:
	s_or_saveexec_b32 s7, s7
	v_mov_b32_e32 v11, 0x7f800001
	s_xor_b32 exec_lo, exec_lo, s7
	s_cbranch_execnz .LBB298_588
.LBB298_266:
	s_or_b32 exec_lo, exec_lo, s7
	s_and_saveexec_b32 s1, s6
.LBB298_267:
	v_mov_b32_e32 v11, v0
.LBB298_268:
	s_or_b32 exec_lo, exec_lo, s1
	v_and_b32_e32 v17, 0xff, v22
	s_mov_b32 s6, 0
	s_mov_b32 s7, exec_lo
	s_delay_alu instid0(VALU_DEP_1)
	v_cmpx_lt_i16_e32 0x7f, v17
	s_xor_b32 s7, exec_lo, s7
	s_cbranch_execnz .LBB298_589
; %bb.269:
	s_or_saveexec_b32 s7, s7
	v_mov_b32_e32 v12, 0x7f800001
	s_xor_b32 exec_lo, exec_lo, s7
	s_cbranch_execnz .LBB298_592
.LBB298_270:
	s_or_b32 exec_lo, exec_lo, s7
	s_and_saveexec_b32 s7, s6
	s_cbranch_execz .LBB298_272
.LBB298_271:
	v_and_b32_e32 v12, 7, v22
	v_lshrrev_b16 v18, 3, v22
	s_delay_alu instid0(VALU_DEP_2) | instskip(NEXT) | instid1(VALU_DEP_1)
	v_clz_i32_u32_e32 v17, v12
	v_min_u32_e32 v17, 32, v17
	s_delay_alu instid0(VALU_DEP_3) | instskip(NEXT) | instid1(VALU_DEP_2)
	v_and_b32_e32 v18, 15, v18
	v_subrev_nc_u32_e32 v19, 28, v17
	v_sub_nc_u32_e32 v17, 29, v17
	s_delay_alu instid0(VALU_DEP_3) | instskip(NEXT) | instid1(VALU_DEP_3)
	v_cmp_eq_u32_e64 s1, 0, v18
	v_dual_lshlrev_b32 v19, v19, v22 :: v_dual_lshlrev_b32 v22, 24, v22
	s_delay_alu instid0(VALU_DEP_1) | instskip(NEXT) | instid1(VALU_DEP_2)
	v_dual_cndmask_b32 v17, v18, v17, s1 :: v_dual_bitop2_b32 v19, 7, v19 bitop3:0x40
	v_and_b32_e32 v18, 0x80000000, v22
	s_delay_alu instid0(VALU_DEP_2) | instskip(NEXT) | instid1(VALU_DEP_3)
	v_cndmask_b32_e64 v12, v12, v19, s1
	v_lshl_add_u32 v17, v17, 23, 0x3b800000
	s_delay_alu instid0(VALU_DEP_2) | instskip(NEXT) | instid1(VALU_DEP_1)
	v_lshlrev_b32_e32 v12, 20, v12
	v_or3_b32 v12, v18, v17, v12
.LBB298_272:
	s_or_b32 exec_lo, exec_lo, s7
	s_delay_alu instid0(VALU_DEP_1) | instskip(SKIP_2) | instid1(SALU_CYCLE_1)
	v_cmp_eq_f32_e64 s1, v11, v12
	s_and_not1_b32 s4, s4, exec_lo
	s_and_b32 s1, s1, exec_lo
	s_or_b32 s4, s4, s1
.LBB298_273:
	s_or_b32 exec_lo, exec_lo, s5
	v_lshrrev_b32_e32 v11, 16, v4
	v_cndmask_b32_e64 v12, 0, 1, s4
	s_delay_alu instid0(VALU_DEP_1) | instskip(NEXT) | instid1(VALU_DEP_1)
	v_bitop3_b16 v11, v12, v11, 0xff00 bitop3:0xf8
	v_lshlrev_b32_e32 v11, 16, v11
	s_delay_alu instid0(VALU_DEP_1)
	v_and_or_b32 v4, 0xffff, v4, v11
.LBB298_274:
	s_or_b32 exec_lo, exec_lo, s3
	v_add_nc_u32_e32 v11, 0xb00, v9
	s_mov_b32 s3, exec_lo
	s_delay_alu instid0(VALU_DEP_1)
	v_cmpx_lt_i32_e64 v11, v6
	s_cbranch_execz .LBB298_296
; %bb.275:
                                        ; implicit-def: $sgpr4
	s_and_saveexec_b32 s1, s0
	s_delay_alu instid0(SALU_CYCLE_1)
	s_xor_b32 s5, exec_lo, s1
	s_cbranch_execz .LBB298_285
; %bb.276:
	v_and_b32_e32 v12, 0xff, v1
	s_mov_b32 s4, 0
	s_mov_b32 s6, exec_lo
	s_delay_alu instid0(VALU_DEP_1)
	v_cmpx_lt_i16_e32 0x7f, v12
	s_xor_b32 s6, exec_lo, s6
	s_cbranch_execnz .LBB298_593
; %bb.277:
	s_or_saveexec_b32 s6, s6
	v_mov_b32_e32 v11, 0x7f800001
	s_xor_b32 exec_lo, exec_lo, s6
	s_cbranch_execnz .LBB298_596
.LBB298_278:
	s_or_b32 exec_lo, exec_lo, s6
	s_and_saveexec_b32 s1, s4
.LBB298_279:
	v_mov_b32_e32 v11, v0
.LBB298_280:
	s_or_b32 exec_lo, exec_lo, s1
	v_and_b32_e32 v17, 0xff, v21
	s_mov_b32 s4, 0
	s_mov_b32 s6, exec_lo
	s_delay_alu instid0(VALU_DEP_1)
	v_cmpx_lt_i16_e32 0x7f, v17
	s_xor_b32 s6, exec_lo, s6
	s_cbranch_execnz .LBB298_597
; %bb.281:
	s_or_saveexec_b32 s6, s6
	v_mov_b32_e32 v12, 0x7f800001
	s_xor_b32 exec_lo, exec_lo, s6
	s_cbranch_execnz .LBB298_600
.LBB298_282:
	s_or_b32 exec_lo, exec_lo, s6
	s_and_saveexec_b32 s6, s4
	s_cbranch_execz .LBB298_284
.LBB298_283:
	v_and_b32_e32 v12, 7, v21
	v_lshrrev_b16 v18, 3, v21
	s_delay_alu instid0(VALU_DEP_2) | instskip(NEXT) | instid1(VALU_DEP_1)
	v_clz_i32_u32_e32 v17, v12
	v_min_u32_e32 v17, 32, v17
	s_delay_alu instid0(VALU_DEP_3) | instskip(NEXT) | instid1(VALU_DEP_2)
	v_and_b32_e32 v18, 15, v18
	v_subrev_nc_u32_e32 v19, 28, v17
	v_sub_nc_u32_e32 v17, 29, v17
	s_delay_alu instid0(VALU_DEP_3) | instskip(NEXT) | instid1(VALU_DEP_3)
	v_cmp_eq_u32_e64 s1, 0, v18
	v_dual_lshlrev_b32 v19, v19, v21 :: v_dual_lshlrev_b32 v21, 24, v21
	s_delay_alu instid0(VALU_DEP_1) | instskip(NEXT) | instid1(VALU_DEP_2)
	v_dual_cndmask_b32 v17, v18, v17, s1 :: v_dual_bitop2_b32 v19, 7, v19 bitop3:0x40
	v_and_b32_e32 v18, 0x80000000, v21
	s_delay_alu instid0(VALU_DEP_2) | instskip(NEXT) | instid1(VALU_DEP_3)
	v_cndmask_b32_e64 v12, v12, v19, s1
	v_lshl_add_u32 v17, v17, 23, 0x3b800000
	s_delay_alu instid0(VALU_DEP_2) | instskip(NEXT) | instid1(VALU_DEP_1)
	v_lshlrev_b32_e32 v12, 20, v12
	v_or3_b32 v12, v18, v17, v12
.LBB298_284:
	s_or_b32 exec_lo, exec_lo, s6
	s_delay_alu instid0(VALU_DEP_1)
	v_cmp_neq_f32_e64 s4, v11, v12
                                        ; implicit-def: $vgpr21
.LBB298_285:
	s_and_not1_saveexec_b32 s5, s5
	s_cbranch_execz .LBB298_295
; %bb.286:
	v_and_b32_e32 v12, 0xff, v1
	s_mov_b32 s6, 0
	s_mov_b32 s7, exec_lo
	s_delay_alu instid0(VALU_DEP_1)
	v_cmpx_lt_i16_e32 0x7f, v12
	s_xor_b32 s7, exec_lo, s7
	s_cbranch_execnz .LBB298_601
; %bb.287:
	s_or_saveexec_b32 s7, s7
	v_mov_b32_e32 v11, 0x7f800001
	s_xor_b32 exec_lo, exec_lo, s7
	s_cbranch_execnz .LBB298_604
.LBB298_288:
	s_or_b32 exec_lo, exec_lo, s7
	s_and_saveexec_b32 s1, s6
.LBB298_289:
	v_mov_b32_e32 v11, v0
.LBB298_290:
	s_or_b32 exec_lo, exec_lo, s1
	v_and_b32_e32 v17, 0xff, v21
	s_mov_b32 s6, 0
	s_mov_b32 s7, exec_lo
	s_delay_alu instid0(VALU_DEP_1)
	v_cmpx_lt_i16_e32 0x7f, v17
	s_xor_b32 s7, exec_lo, s7
	s_cbranch_execnz .LBB298_605
; %bb.291:
	s_or_saveexec_b32 s7, s7
	v_mov_b32_e32 v12, 0x7f800001
	s_xor_b32 exec_lo, exec_lo, s7
	s_cbranch_execnz .LBB298_608
.LBB298_292:
	s_or_b32 exec_lo, exec_lo, s7
	s_and_saveexec_b32 s7, s6
	s_cbranch_execz .LBB298_294
.LBB298_293:
	v_and_b32_e32 v12, 7, v21
	v_lshrrev_b16 v18, 3, v21
	s_delay_alu instid0(VALU_DEP_2) | instskip(NEXT) | instid1(VALU_DEP_1)
	v_clz_i32_u32_e32 v17, v12
	v_min_u32_e32 v17, 32, v17
	s_delay_alu instid0(VALU_DEP_3) | instskip(NEXT) | instid1(VALU_DEP_2)
	v_and_b32_e32 v18, 15, v18
	v_subrev_nc_u32_e32 v19, 28, v17
	v_sub_nc_u32_e32 v17, 29, v17
	s_delay_alu instid0(VALU_DEP_3) | instskip(NEXT) | instid1(VALU_DEP_3)
	v_cmp_eq_u32_e64 s1, 0, v18
	v_dual_lshlrev_b32 v19, v19, v21 :: v_dual_lshlrev_b32 v21, 24, v21
	s_delay_alu instid0(VALU_DEP_1) | instskip(NEXT) | instid1(VALU_DEP_2)
	v_dual_cndmask_b32 v17, v18, v17, s1 :: v_dual_bitop2_b32 v19, 7, v19 bitop3:0x40
	v_and_b32_e32 v18, 0x80000000, v21
	s_delay_alu instid0(VALU_DEP_2) | instskip(NEXT) | instid1(VALU_DEP_3)
	v_cndmask_b32_e64 v12, v12, v19, s1
	v_lshl_add_u32 v17, v17, 23, 0x3b800000
	s_delay_alu instid0(VALU_DEP_2) | instskip(NEXT) | instid1(VALU_DEP_1)
	v_lshlrev_b32_e32 v12, 20, v12
	v_or3_b32 v12, v18, v17, v12
.LBB298_294:
	s_or_b32 exec_lo, exec_lo, s7
	s_delay_alu instid0(VALU_DEP_1) | instskip(SKIP_2) | instid1(SALU_CYCLE_1)
	v_cmp_eq_f32_e64 s1, v11, v12
	s_and_not1_b32 s4, s4, exec_lo
	s_and_b32 s1, s1, exec_lo
	s_or_b32 s4, s4, s1
.LBB298_295:
	s_or_b32 exec_lo, exec_lo, s5
	s_delay_alu instid0(VALU_DEP_1) | instskip(SKIP_1) | instid1(VALU_DEP_2)
	v_cndmask_b32_e64 v11, 0, 1, s4
	v_lshrrev_b32_e32 v12, 16, v4
	v_lshlrev_b16 v11, 8, v11
	s_delay_alu instid0(VALU_DEP_1) | instskip(NEXT) | instid1(VALU_DEP_1)
	v_bitop3_b16 v11, v12, v11, 0xff bitop3:0xec
	v_lshlrev_b32_e32 v11, 16, v11
	s_delay_alu instid0(VALU_DEP_1)
	v_and_or_b32 v4, 0xffff, v4, v11
.LBB298_296:
	s_or_b32 exec_lo, exec_lo, s3
	v_or_b32_e32 v11, 0xc00, v9
	s_mov_b32 s3, exec_lo
	s_delay_alu instid0(VALU_DEP_1)
	v_cmpx_lt_i32_e64 v11, v6
	s_cbranch_execz .LBB298_318
; %bb.297:
                                        ; implicit-def: $sgpr4
	s_and_saveexec_b32 s1, s0
	s_delay_alu instid0(SALU_CYCLE_1)
	s_xor_b32 s5, exec_lo, s1
	s_cbranch_execz .LBB298_307
; %bb.298:
	v_and_b32_e32 v12, 0xff, v1
	s_mov_b32 s4, 0
	s_mov_b32 s6, exec_lo
	s_delay_alu instid0(VALU_DEP_1)
	v_cmpx_lt_i16_e32 0x7f, v12
	s_xor_b32 s6, exec_lo, s6
	s_cbranch_execnz .LBB298_609
; %bb.299:
	s_or_saveexec_b32 s6, s6
	v_mov_b32_e32 v11, 0x7f800001
	s_xor_b32 exec_lo, exec_lo, s6
	s_cbranch_execnz .LBB298_612
.LBB298_300:
	s_or_b32 exec_lo, exec_lo, s6
	s_and_saveexec_b32 s1, s4
.LBB298_301:
	v_mov_b32_e32 v11, v0
.LBB298_302:
	s_or_b32 exec_lo, exec_lo, s1
	v_and_b32_e32 v17, 0xff, v16
	s_mov_b32 s4, 0
	s_mov_b32 s6, exec_lo
	s_delay_alu instid0(VALU_DEP_1)
	v_cmpx_lt_i16_e32 0x7f, v17
	s_xor_b32 s6, exec_lo, s6
	s_cbranch_execnz .LBB298_613
; %bb.303:
	s_or_saveexec_b32 s6, s6
	v_mov_b32_e32 v12, 0x7f800001
	s_xor_b32 exec_lo, exec_lo, s6
	s_cbranch_execnz .LBB298_616
.LBB298_304:
	s_or_b32 exec_lo, exec_lo, s6
	s_and_saveexec_b32 s6, s4
	s_cbranch_execz .LBB298_306
.LBB298_305:
	v_and_b32_e32 v12, 7, v16
	v_lshrrev_b16 v18, 3, v16
	s_delay_alu instid0(VALU_DEP_2) | instskip(NEXT) | instid1(VALU_DEP_1)
	v_clz_i32_u32_e32 v17, v12
	v_min_u32_e32 v17, 32, v17
	s_delay_alu instid0(VALU_DEP_3) | instskip(NEXT) | instid1(VALU_DEP_2)
	v_and_b32_e32 v18, 15, v18
	v_subrev_nc_u32_e32 v19, 28, v17
	v_sub_nc_u32_e32 v17, 29, v17
	s_delay_alu instid0(VALU_DEP_3) | instskip(NEXT) | instid1(VALU_DEP_3)
	v_cmp_eq_u32_e64 s1, 0, v18
	v_dual_lshlrev_b32 v19, v19, v16 :: v_dual_lshlrev_b32 v16, 24, v16
	s_delay_alu instid0(VALU_DEP_1) | instskip(NEXT) | instid1(VALU_DEP_2)
	v_dual_cndmask_b32 v17, v18, v17, s1 :: v_dual_bitop2_b32 v19, 7, v19 bitop3:0x40
	v_and_b32_e32 v16, 0x80000000, v16
	s_delay_alu instid0(VALU_DEP_2) | instskip(NEXT) | instid1(VALU_DEP_3)
	v_cndmask_b32_e64 v12, v12, v19, s1
	v_lshl_add_u32 v17, v17, 23, 0x3b800000
	s_delay_alu instid0(VALU_DEP_2) | instskip(NEXT) | instid1(VALU_DEP_1)
	v_lshlrev_b32_e32 v12, 20, v12
	v_or3_b32 v12, v16, v17, v12
.LBB298_306:
	s_or_b32 exec_lo, exec_lo, s6
	s_delay_alu instid0(VALU_DEP_1)
	v_cmp_neq_f32_e64 s4, v11, v12
                                        ; implicit-def: $vgpr16
.LBB298_307:
	s_and_not1_saveexec_b32 s5, s5
	s_cbranch_execz .LBB298_317
; %bb.308:
	v_and_b32_e32 v12, 0xff, v1
	s_mov_b32 s6, 0
	s_mov_b32 s7, exec_lo
	s_delay_alu instid0(VALU_DEP_1)
	v_cmpx_lt_i16_e32 0x7f, v12
	s_xor_b32 s7, exec_lo, s7
	s_cbranch_execnz .LBB298_617
; %bb.309:
	s_or_saveexec_b32 s7, s7
	v_mov_b32_e32 v11, 0x7f800001
	s_xor_b32 exec_lo, exec_lo, s7
	s_cbranch_execnz .LBB298_620
.LBB298_310:
	s_or_b32 exec_lo, exec_lo, s7
	s_and_saveexec_b32 s1, s6
.LBB298_311:
	v_mov_b32_e32 v11, v0
.LBB298_312:
	s_or_b32 exec_lo, exec_lo, s1
	v_and_b32_e32 v17, 0xff, v16
	s_mov_b32 s6, 0
	s_mov_b32 s7, exec_lo
	s_delay_alu instid0(VALU_DEP_1)
	v_cmpx_lt_i16_e32 0x7f, v17
	s_xor_b32 s7, exec_lo, s7
	s_cbranch_execnz .LBB298_621
; %bb.313:
	s_or_saveexec_b32 s7, s7
	v_mov_b32_e32 v12, 0x7f800001
	s_xor_b32 exec_lo, exec_lo, s7
	s_cbranch_execnz .LBB298_624
.LBB298_314:
	s_or_b32 exec_lo, exec_lo, s7
	s_and_saveexec_b32 s7, s6
	s_cbranch_execz .LBB298_316
.LBB298_315:
	v_and_b32_e32 v12, 7, v16
	v_lshrrev_b16 v18, 3, v16
	s_delay_alu instid0(VALU_DEP_2) | instskip(NEXT) | instid1(VALU_DEP_1)
	v_clz_i32_u32_e32 v17, v12
	v_min_u32_e32 v17, 32, v17
	s_delay_alu instid0(VALU_DEP_3) | instskip(NEXT) | instid1(VALU_DEP_2)
	v_and_b32_e32 v18, 15, v18
	v_subrev_nc_u32_e32 v19, 28, v17
	v_sub_nc_u32_e32 v17, 29, v17
	s_delay_alu instid0(VALU_DEP_3) | instskip(NEXT) | instid1(VALU_DEP_3)
	v_cmp_eq_u32_e64 s1, 0, v18
	v_dual_lshlrev_b32 v19, v19, v16 :: v_dual_lshlrev_b32 v16, 24, v16
	s_delay_alu instid0(VALU_DEP_1) | instskip(NEXT) | instid1(VALU_DEP_2)
	v_dual_cndmask_b32 v17, v18, v17, s1 :: v_dual_bitop2_b32 v19, 7, v19 bitop3:0x40
	v_and_b32_e32 v16, 0x80000000, v16
	s_delay_alu instid0(VALU_DEP_2) | instskip(NEXT) | instid1(VALU_DEP_3)
	v_cndmask_b32_e64 v12, v12, v19, s1
	v_lshl_add_u32 v17, v17, 23, 0x3b800000
	s_delay_alu instid0(VALU_DEP_2) | instskip(NEXT) | instid1(VALU_DEP_1)
	v_lshlrev_b32_e32 v12, 20, v12
	v_or3_b32 v12, v16, v17, v12
.LBB298_316:
	s_or_b32 exec_lo, exec_lo, s7
	s_delay_alu instid0(VALU_DEP_1) | instskip(SKIP_2) | instid1(SALU_CYCLE_1)
	v_cmp_eq_f32_e64 s1, v11, v12
	s_and_not1_b32 s4, s4, exec_lo
	s_and_b32 s1, s1, exec_lo
	s_or_b32 s4, s4, s1
.LBB298_317:
	s_or_b32 exec_lo, exec_lo, s5
	s_delay_alu instid0(VALU_DEP_1) | instskip(NEXT) | instid1(VALU_DEP_1)
	v_cndmask_b32_e64 v11, 0, 1, s4
	v_bitop3_b16 v11, v11, v5, 0xff00 bitop3:0xf8
	s_delay_alu instid0(VALU_DEP_1) | instskip(NEXT) | instid1(VALU_DEP_1)
	v_and_b32_e32 v11, 0xffff, v11
	v_and_or_b32 v5, 0xffff0000, v5, v11
.LBB298_318:
	s_or_b32 exec_lo, exec_lo, s3
	v_add_nc_u32_e32 v11, 0xd00, v9
	s_mov_b32 s3, exec_lo
	s_delay_alu instid0(VALU_DEP_1)
	v_cmpx_lt_i32_e64 v11, v6
	s_cbranch_execz .LBB298_340
; %bb.319:
                                        ; implicit-def: $sgpr4
	s_and_saveexec_b32 s1, s0
	s_delay_alu instid0(SALU_CYCLE_1)
	s_xor_b32 s5, exec_lo, s1
	s_cbranch_execz .LBB298_329
; %bb.320:
	v_and_b32_e32 v12, 0xff, v1
	s_mov_b32 s4, 0
	s_mov_b32 s6, exec_lo
	s_delay_alu instid0(VALU_DEP_1)
	v_cmpx_lt_i16_e32 0x7f, v12
	s_xor_b32 s6, exec_lo, s6
	s_cbranch_execnz .LBB298_625
; %bb.321:
	s_or_saveexec_b32 s6, s6
	v_mov_b32_e32 v11, 0x7f800001
	s_xor_b32 exec_lo, exec_lo, s6
	s_cbranch_execnz .LBB298_628
.LBB298_322:
	s_or_b32 exec_lo, exec_lo, s6
	s_and_saveexec_b32 s1, s4
.LBB298_323:
	v_mov_b32_e32 v11, v0
.LBB298_324:
	s_or_b32 exec_lo, exec_lo, s1
	v_and_b32_e32 v16, 0xff, v14
	s_mov_b32 s4, 0
	s_mov_b32 s6, exec_lo
	s_delay_alu instid0(VALU_DEP_1)
	v_cmpx_lt_i16_e32 0x7f, v16
	s_xor_b32 s6, exec_lo, s6
	s_cbranch_execnz .LBB298_629
; %bb.325:
	s_or_saveexec_b32 s6, s6
	v_mov_b32_e32 v12, 0x7f800001
	s_xor_b32 exec_lo, exec_lo, s6
	s_cbranch_execnz .LBB298_632
.LBB298_326:
	s_or_b32 exec_lo, exec_lo, s6
	s_and_saveexec_b32 s6, s4
	s_cbranch_execz .LBB298_328
.LBB298_327:
	v_and_b32_e32 v12, 7, v14
	v_lshrrev_b16 v17, 3, v14
	s_delay_alu instid0(VALU_DEP_2) | instskip(NEXT) | instid1(VALU_DEP_1)
	v_clz_i32_u32_e32 v16, v12
	v_min_u32_e32 v16, 32, v16
	s_delay_alu instid0(VALU_DEP_3) | instskip(NEXT) | instid1(VALU_DEP_2)
	v_and_b32_e32 v17, 15, v17
	v_subrev_nc_u32_e32 v18, 28, v16
	v_sub_nc_u32_e32 v16, 29, v16
	s_delay_alu instid0(VALU_DEP_3) | instskip(NEXT) | instid1(VALU_DEP_1)
	v_cmp_eq_u32_e64 s1, 0, v17
	v_dual_lshlrev_b32 v18, v18, v14 :: v_dual_cndmask_b32 v16, v17, v16, s1
	s_delay_alu instid0(VALU_DEP_1) | instskip(NEXT) | instid1(VALU_DEP_2)
	v_and_b32_e32 v18, 7, v18
	v_lshl_add_u32 v16, v16, 23, 0x3b800000
	s_delay_alu instid0(VALU_DEP_2) | instskip(NEXT) | instid1(VALU_DEP_1)
	v_cndmask_b32_e64 v12, v12, v18, s1
	v_dual_lshlrev_b32 v14, 24, v14 :: v_dual_lshlrev_b32 v12, 20, v12
	s_delay_alu instid0(VALU_DEP_1) | instskip(NEXT) | instid1(VALU_DEP_1)
	v_and_b32_e32 v14, 0x80000000, v14
	v_or3_b32 v12, v14, v16, v12
.LBB298_328:
	s_or_b32 exec_lo, exec_lo, s6
	s_delay_alu instid0(VALU_DEP_1)
	v_cmp_neq_f32_e64 s4, v11, v12
                                        ; implicit-def: $vgpr14
.LBB298_329:
	s_and_not1_saveexec_b32 s5, s5
	s_cbranch_execz .LBB298_339
; %bb.330:
	v_and_b32_e32 v12, 0xff, v1
	s_mov_b32 s6, 0
	s_mov_b32 s7, exec_lo
	s_delay_alu instid0(VALU_DEP_1)
	v_cmpx_lt_i16_e32 0x7f, v12
	s_xor_b32 s7, exec_lo, s7
	s_cbranch_execnz .LBB298_633
; %bb.331:
	s_or_saveexec_b32 s7, s7
	v_mov_b32_e32 v11, 0x7f800001
	s_xor_b32 exec_lo, exec_lo, s7
	s_cbranch_execnz .LBB298_636
.LBB298_332:
	s_or_b32 exec_lo, exec_lo, s7
	s_and_saveexec_b32 s1, s6
.LBB298_333:
	v_mov_b32_e32 v11, v0
.LBB298_334:
	s_or_b32 exec_lo, exec_lo, s1
	v_and_b32_e32 v16, 0xff, v14
	s_mov_b32 s6, 0
	s_mov_b32 s7, exec_lo
	s_delay_alu instid0(VALU_DEP_1)
	v_cmpx_lt_i16_e32 0x7f, v16
	s_xor_b32 s7, exec_lo, s7
	s_cbranch_execnz .LBB298_637
; %bb.335:
	s_or_saveexec_b32 s7, s7
	v_mov_b32_e32 v12, 0x7f800001
	s_xor_b32 exec_lo, exec_lo, s7
	s_cbranch_execnz .LBB298_640
.LBB298_336:
	s_or_b32 exec_lo, exec_lo, s7
	s_and_saveexec_b32 s7, s6
	s_cbranch_execz .LBB298_338
.LBB298_337:
	v_and_b32_e32 v12, 7, v14
	v_lshrrev_b16 v17, 3, v14
	s_delay_alu instid0(VALU_DEP_2) | instskip(NEXT) | instid1(VALU_DEP_1)
	v_clz_i32_u32_e32 v16, v12
	v_min_u32_e32 v16, 32, v16
	s_delay_alu instid0(VALU_DEP_3) | instskip(NEXT) | instid1(VALU_DEP_2)
	v_and_b32_e32 v17, 15, v17
	v_subrev_nc_u32_e32 v18, 28, v16
	v_sub_nc_u32_e32 v16, 29, v16
	s_delay_alu instid0(VALU_DEP_3) | instskip(NEXT) | instid1(VALU_DEP_1)
	v_cmp_eq_u32_e64 s1, 0, v17
	v_dual_lshlrev_b32 v18, v18, v14 :: v_dual_cndmask_b32 v16, v17, v16, s1
	s_delay_alu instid0(VALU_DEP_1) | instskip(NEXT) | instid1(VALU_DEP_2)
	v_and_b32_e32 v18, 7, v18
	v_lshl_add_u32 v16, v16, 23, 0x3b800000
	s_delay_alu instid0(VALU_DEP_2) | instskip(NEXT) | instid1(VALU_DEP_1)
	v_cndmask_b32_e64 v12, v12, v18, s1
	v_dual_lshlrev_b32 v14, 24, v14 :: v_dual_lshlrev_b32 v12, 20, v12
	s_delay_alu instid0(VALU_DEP_1) | instskip(NEXT) | instid1(VALU_DEP_1)
	v_and_b32_e32 v14, 0x80000000, v14
	v_or3_b32 v12, v14, v16, v12
.LBB298_338:
	s_or_b32 exec_lo, exec_lo, s7
	s_delay_alu instid0(VALU_DEP_1) | instskip(SKIP_2) | instid1(SALU_CYCLE_1)
	v_cmp_eq_f32_e64 s1, v11, v12
	s_and_not1_b32 s4, s4, exec_lo
	s_and_b32 s1, s1, exec_lo
	s_or_b32 s4, s4, s1
.LBB298_339:
	s_or_b32 exec_lo, exec_lo, s5
	s_delay_alu instid0(VALU_DEP_1) | instskip(NEXT) | instid1(VALU_DEP_1)
	v_cndmask_b32_e64 v11, 0, 1, s4
	v_lshlrev_b16 v11, 8, v11
	s_delay_alu instid0(VALU_DEP_1) | instskip(NEXT) | instid1(VALU_DEP_1)
	v_bitop3_b16 v11, v5, v11, 0xff bitop3:0xec
	v_and_b32_e32 v11, 0xffff, v11
	s_delay_alu instid0(VALU_DEP_1)
	v_and_or_b32 v5, 0xffff0000, v5, v11
.LBB298_340:
	s_or_b32 exec_lo, exec_lo, s3
	v_add_nc_u32_e32 v11, 0xe00, v9
	s_mov_b32 s3, exec_lo
	s_delay_alu instid0(VALU_DEP_1)
	v_cmpx_lt_i32_e64 v11, v6
	s_cbranch_execz .LBB298_362
; %bb.341:
                                        ; implicit-def: $sgpr4
	s_and_saveexec_b32 s1, s0
	s_delay_alu instid0(SALU_CYCLE_1)
	s_xor_b32 s5, exec_lo, s1
	s_cbranch_execz .LBB298_351
; %bb.342:
	v_and_b32_e32 v12, 0xff, v1
	s_mov_b32 s4, 0
	s_mov_b32 s6, exec_lo
	s_delay_alu instid0(VALU_DEP_1)
	v_cmpx_lt_i16_e32 0x7f, v12
	s_xor_b32 s6, exec_lo, s6
	s_cbranch_execnz .LBB298_641
; %bb.343:
	s_or_saveexec_b32 s6, s6
	v_mov_b32_e32 v11, 0x7f800001
	s_xor_b32 exec_lo, exec_lo, s6
	s_cbranch_execnz .LBB298_644
.LBB298_344:
	s_or_b32 exec_lo, exec_lo, s6
	s_and_saveexec_b32 s1, s4
.LBB298_345:
	v_mov_b32_e32 v11, v0
.LBB298_346:
	s_or_b32 exec_lo, exec_lo, s1
	v_and_b32_e32 v14, 0xff, v15
	s_mov_b32 s4, 0
	s_mov_b32 s6, exec_lo
	s_delay_alu instid0(VALU_DEP_1)
	v_cmpx_lt_i16_e32 0x7f, v14
	s_xor_b32 s6, exec_lo, s6
	s_cbranch_execnz .LBB298_645
; %bb.347:
	s_or_saveexec_b32 s6, s6
	v_mov_b32_e32 v12, 0x7f800001
	s_xor_b32 exec_lo, exec_lo, s6
	s_cbranch_execnz .LBB298_648
.LBB298_348:
	s_or_b32 exec_lo, exec_lo, s6
	s_and_saveexec_b32 s6, s4
	s_cbranch_execz .LBB298_350
.LBB298_349:
	v_and_b32_e32 v12, 7, v15
	v_lshrrev_b16 v16, 3, v15
	s_delay_alu instid0(VALU_DEP_2) | instskip(NEXT) | instid1(VALU_DEP_1)
	v_clz_i32_u32_e32 v14, v12
	v_min_u32_e32 v14, 32, v14
	s_delay_alu instid0(VALU_DEP_3) | instskip(NEXT) | instid1(VALU_DEP_2)
	v_and_b32_e32 v16, 15, v16
	v_subrev_nc_u32_e32 v17, 28, v14
	v_sub_nc_u32_e32 v14, 29, v14
	s_delay_alu instid0(VALU_DEP_3) | instskip(NEXT) | instid1(VALU_DEP_3)
	v_cmp_eq_u32_e64 s1, 0, v16
	v_dual_lshlrev_b32 v17, v17, v15 :: v_dual_lshlrev_b32 v15, 24, v15
	s_delay_alu instid0(VALU_DEP_1) | instskip(NEXT) | instid1(VALU_DEP_2)
	v_and_b32_e32 v17, 7, v17
	v_and_b32_e32 v15, 0x80000000, v15
	s_delay_alu instid0(VALU_DEP_2) | instskip(NEXT) | instid1(VALU_DEP_1)
	v_cndmask_b32_e64 v12, v12, v17, s1
	v_dual_cndmask_b32 v14, v16, v14, s1 :: v_dual_lshlrev_b32 v12, 20, v12
	s_delay_alu instid0(VALU_DEP_1) | instskip(NEXT) | instid1(VALU_DEP_1)
	v_lshl_add_u32 v14, v14, 23, 0x3b800000
	v_or3_b32 v12, v15, v14, v12
.LBB298_350:
	s_or_b32 exec_lo, exec_lo, s6
	s_delay_alu instid0(VALU_DEP_1)
	v_cmp_neq_f32_e64 s4, v11, v12
                                        ; implicit-def: $vgpr15
.LBB298_351:
	s_and_not1_saveexec_b32 s5, s5
	s_cbranch_execz .LBB298_361
; %bb.352:
	v_and_b32_e32 v12, 0xff, v1
	s_mov_b32 s6, 0
	s_mov_b32 s7, exec_lo
	s_delay_alu instid0(VALU_DEP_1)
	v_cmpx_lt_i16_e32 0x7f, v12
	s_xor_b32 s7, exec_lo, s7
	s_cbranch_execnz .LBB298_649
; %bb.353:
	s_or_saveexec_b32 s7, s7
	v_mov_b32_e32 v11, 0x7f800001
	s_xor_b32 exec_lo, exec_lo, s7
	s_cbranch_execnz .LBB298_652
.LBB298_354:
	s_or_b32 exec_lo, exec_lo, s7
	s_and_saveexec_b32 s1, s6
.LBB298_355:
	v_mov_b32_e32 v11, v0
.LBB298_356:
	s_or_b32 exec_lo, exec_lo, s1
	v_and_b32_e32 v14, 0xff, v15
	s_mov_b32 s6, 0
	s_mov_b32 s7, exec_lo
	s_delay_alu instid0(VALU_DEP_1)
	v_cmpx_lt_i16_e32 0x7f, v14
	s_xor_b32 s7, exec_lo, s7
	s_cbranch_execnz .LBB298_653
; %bb.357:
	s_or_saveexec_b32 s7, s7
	v_mov_b32_e32 v12, 0x7f800001
	s_xor_b32 exec_lo, exec_lo, s7
	s_cbranch_execnz .LBB298_656
.LBB298_358:
	s_or_b32 exec_lo, exec_lo, s7
	s_and_saveexec_b32 s7, s6
	s_cbranch_execz .LBB298_360
.LBB298_359:
	v_and_b32_e32 v12, 7, v15
	v_lshrrev_b16 v16, 3, v15
	s_delay_alu instid0(VALU_DEP_2) | instskip(NEXT) | instid1(VALU_DEP_1)
	v_clz_i32_u32_e32 v14, v12
	v_min_u32_e32 v14, 32, v14
	s_delay_alu instid0(VALU_DEP_3) | instskip(NEXT) | instid1(VALU_DEP_2)
	v_and_b32_e32 v16, 15, v16
	v_subrev_nc_u32_e32 v17, 28, v14
	v_sub_nc_u32_e32 v14, 29, v14
	s_delay_alu instid0(VALU_DEP_3) | instskip(NEXT) | instid1(VALU_DEP_3)
	v_cmp_eq_u32_e64 s1, 0, v16
	v_dual_lshlrev_b32 v17, v17, v15 :: v_dual_lshlrev_b32 v15, 24, v15
	s_delay_alu instid0(VALU_DEP_1) | instskip(NEXT) | instid1(VALU_DEP_2)
	v_and_b32_e32 v17, 7, v17
	v_and_b32_e32 v15, 0x80000000, v15
	s_delay_alu instid0(VALU_DEP_2) | instskip(NEXT) | instid1(VALU_DEP_1)
	v_cndmask_b32_e64 v12, v12, v17, s1
	v_dual_cndmask_b32 v14, v16, v14, s1 :: v_dual_lshlrev_b32 v12, 20, v12
	s_delay_alu instid0(VALU_DEP_1) | instskip(NEXT) | instid1(VALU_DEP_1)
	v_lshl_add_u32 v14, v14, 23, 0x3b800000
	v_or3_b32 v12, v15, v14, v12
.LBB298_360:
	s_or_b32 exec_lo, exec_lo, s7
	s_delay_alu instid0(VALU_DEP_1) | instskip(SKIP_2) | instid1(SALU_CYCLE_1)
	v_cmp_eq_f32_e64 s1, v11, v12
	s_and_not1_b32 s4, s4, exec_lo
	s_and_b32 s1, s1, exec_lo
	s_or_b32 s4, s4, s1
.LBB298_361:
	s_or_b32 exec_lo, exec_lo, s5
	v_lshrrev_b32_e32 v11, 16, v5
	v_cndmask_b32_e64 v12, 0, 1, s4
	s_delay_alu instid0(VALU_DEP_1) | instskip(NEXT) | instid1(VALU_DEP_1)
	v_bitop3_b16 v11, v12, v11, 0xff00 bitop3:0xf8
	v_lshlrev_b32_e32 v11, 16, v11
	s_delay_alu instid0(VALU_DEP_1)
	v_and_or_b32 v5, 0xffff, v5, v11
.LBB298_362:
	s_or_b32 exec_lo, exec_lo, s3
	v_add_nc_u32_e32 v11, 0xf00, v9
	s_mov_b32 s3, exec_lo
	s_delay_alu instid0(VALU_DEP_1)
	v_cmpx_lt_i32_e64 v11, v6
	s_cbranch_execnz .LBB298_380
; %bb.363:
	s_or_b32 exec_lo, exec_lo, s3
	s_and_saveexec_b32 s0, vcc_lo
	s_delay_alu instid0(SALU_CYCLE_1)
	s_xor_b32 s0, exec_lo, s0
	s_cbranch_execnz .LBB298_401
.LBB298_364:
	s_or_b32 exec_lo, exec_lo, s0
	s_delay_alu instid0(SALU_CYCLE_1)
	s_mov_b32 s0, exec_lo
	v_cmpx_lt_i32_e64 v9, v6
	s_cbranch_execnz .LBB298_402
.LBB298_365:
	s_or_b32 exec_lo, exec_lo, s0
	s_delay_alu instid0(SALU_CYCLE_1)
	s_mov_b32 s0, exec_lo
	v_cmpx_lt_i32_e64 v9, v6
	s_cbranch_execnz .LBB298_403
.LBB298_366:
	s_or_b32 exec_lo, exec_lo, s0
	s_delay_alu instid0(SALU_CYCLE_1)
	s_mov_b32 s0, exec_lo
	v_cmpx_lt_i32_e64 v9, v6
	s_cbranch_execnz .LBB298_404
.LBB298_367:
	s_or_b32 exec_lo, exec_lo, s0
	s_delay_alu instid0(SALU_CYCLE_1)
	s_mov_b32 s0, exec_lo
	v_cmpx_lt_i32_e64 v9, v6
	s_cbranch_execnz .LBB298_405
.LBB298_368:
	s_or_b32 exec_lo, exec_lo, s0
	s_delay_alu instid0(SALU_CYCLE_1)
	s_mov_b32 s0, exec_lo
	v_cmpx_lt_i32_e64 v9, v6
	s_cbranch_execnz .LBB298_406
.LBB298_369:
	s_or_b32 exec_lo, exec_lo, s0
	s_delay_alu instid0(SALU_CYCLE_1)
	s_mov_b32 s0, exec_lo
	v_cmpx_lt_i32_e64 v9, v6
	s_cbranch_execnz .LBB298_407
.LBB298_370:
	s_or_b32 exec_lo, exec_lo, s0
	s_delay_alu instid0(SALU_CYCLE_1)
	s_mov_b32 s0, exec_lo
	v_cmpx_lt_i32_e64 v9, v6
	s_cbranch_execnz .LBB298_408
.LBB298_371:
	s_or_b32 exec_lo, exec_lo, s0
	s_delay_alu instid0(SALU_CYCLE_1)
	s_mov_b32 s0, exec_lo
	v_cmpx_lt_i32_e64 v9, v6
	s_cbranch_execnz .LBB298_409
.LBB298_372:
	s_or_b32 exec_lo, exec_lo, s0
	s_delay_alu instid0(SALU_CYCLE_1)
	s_mov_b32 s0, exec_lo
	v_cmpx_lt_i32_e64 v9, v6
	s_cbranch_execnz .LBB298_410
.LBB298_373:
	s_or_b32 exec_lo, exec_lo, s0
	s_delay_alu instid0(SALU_CYCLE_1)
	s_mov_b32 s0, exec_lo
	v_cmpx_lt_i32_e64 v9, v6
	s_cbranch_execnz .LBB298_411
.LBB298_374:
	s_or_b32 exec_lo, exec_lo, s0
	s_delay_alu instid0(SALU_CYCLE_1)
	s_mov_b32 s0, exec_lo
	v_cmpx_lt_i32_e64 v9, v6
	s_cbranch_execnz .LBB298_412
.LBB298_375:
	s_or_b32 exec_lo, exec_lo, s0
	s_delay_alu instid0(SALU_CYCLE_1)
	s_mov_b32 s0, exec_lo
	v_cmpx_lt_i32_e64 v9, v6
	s_cbranch_execnz .LBB298_413
.LBB298_376:
	s_or_b32 exec_lo, exec_lo, s0
	s_delay_alu instid0(SALU_CYCLE_1)
	s_mov_b32 s0, exec_lo
	v_cmpx_lt_i32_e64 v9, v6
	s_cbranch_execnz .LBB298_414
.LBB298_377:
	s_or_b32 exec_lo, exec_lo, s0
	s_delay_alu instid0(SALU_CYCLE_1)
	s_mov_b32 s0, exec_lo
	v_cmpx_lt_i32_e64 v9, v6
	s_cbranch_execnz .LBB298_415
.LBB298_378:
	s_or_b32 exec_lo, exec_lo, s0
	s_delay_alu instid0(SALU_CYCLE_1)
	s_mov_b32 s0, exec_lo
	v_cmpx_lt_i32_e64 v9, v6
	s_cbranch_execnz .LBB298_416
.LBB298_379:
	s_or_b32 exec_lo, exec_lo, s0
	s_wait_dscnt 0x0
	s_set_pc_i64 s[30:31]
.LBB298_380:
                                        ; implicit-def: $sgpr1
	s_and_saveexec_b32 s4, s0
	s_delay_alu instid0(SALU_CYCLE_1)
	s_xor_b32 s4, exec_lo, s4
	s_cbranch_execz .LBB298_390
; %bb.381:
	v_and_b32_e32 v11, 0xff, v1
	s_mov_b32 s1, 0
	s_mov_b32 s5, exec_lo
	s_delay_alu instid0(VALU_DEP_1)
	v_cmpx_lt_i16_e32 0x7f, v11
	s_xor_b32 s5, exec_lo, s5
	s_cbranch_execnz .LBB298_657
; %bb.382:
	s_or_saveexec_b32 s5, s5
	v_mov_b32_e32 v1, 0x7f800001
	s_xor_b32 exec_lo, exec_lo, s5
	s_cbranch_execnz .LBB298_660
.LBB298_383:
	s_or_b32 exec_lo, exec_lo, s5
	s_and_saveexec_b32 s0, s1
.LBB298_384:
	v_mov_b32_e32 v1, v0
.LBB298_385:
	s_or_b32 exec_lo, exec_lo, s0
	v_and_b32_e32 v11, 0xff, v13
	s_mov_b32 s1, 0
	s_mov_b32 s5, exec_lo
	s_delay_alu instid0(VALU_DEP_1)
	v_cmpx_lt_i16_e32 0x7f, v11
	s_xor_b32 s5, exec_lo, s5
	s_cbranch_execnz .LBB298_661
; %bb.386:
	s_or_saveexec_b32 s5, s5
	v_mov_b32_e32 v0, 0x7f800001
	s_xor_b32 exec_lo, exec_lo, s5
	s_cbranch_execnz .LBB298_664
.LBB298_387:
	s_or_b32 exec_lo, exec_lo, s5
	s_and_saveexec_b32 s5, s1
	s_cbranch_execz .LBB298_389
.LBB298_388:
	v_and_b32_e32 v0, 7, v13
	v_lshrrev_b16 v12, 3, v13
	s_delay_alu instid0(VALU_DEP_2) | instskip(NEXT) | instid1(VALU_DEP_1)
	v_clz_i32_u32_e32 v11, v0
	v_min_u32_e32 v11, 32, v11
	s_delay_alu instid0(VALU_DEP_3) | instskip(NEXT) | instid1(VALU_DEP_2)
	v_and_b32_e32 v12, 15, v12
	v_subrev_nc_u32_e32 v14, 28, v11
	v_sub_nc_u32_e32 v11, 29, v11
	s_delay_alu instid0(VALU_DEP_3) | instskip(NEXT) | instid1(VALU_DEP_3)
	v_cmp_eq_u32_e64 s0, 0, v12
	v_dual_lshlrev_b32 v14, v14, v13 :: v_dual_lshlrev_b32 v13, 24, v13
	s_delay_alu instid0(VALU_DEP_1) | instskip(NEXT) | instid1(VALU_DEP_1)
	v_and_b32_e32 v14, 7, v14
	v_cndmask_b32_e64 v0, v0, v14, s0
	v_cndmask_b32_e64 v11, v12, v11, s0
	s_delay_alu instid0(VALU_DEP_4) | instskip(NEXT) | instid1(VALU_DEP_3)
	v_and_b32_e32 v12, 0x80000000, v13
	v_lshlrev_b32_e32 v0, 20, v0
	s_delay_alu instid0(VALU_DEP_3) | instskip(NEXT) | instid1(VALU_DEP_1)
	v_lshl_add_u32 v11, v11, 23, 0x3b800000
	v_or3_b32 v0, v12, v11, v0
.LBB298_389:
	s_or_b32 exec_lo, exec_lo, s5
	s_delay_alu instid0(VALU_DEP_1)
	v_cmp_neq_f32_e64 s1, v1, v0
                                        ; implicit-def: $vgpr13
                                        ; implicit-def: $vgpr0
                                        ; implicit-def: $vgpr1
.LBB298_390:
	s_and_not1_saveexec_b32 s4, s4
	s_cbranch_execz .LBB298_400
; %bb.391:
	v_and_b32_e32 v11, 0xff, v1
	s_mov_b32 s5, 0
	s_mov_b32 s6, exec_lo
	s_delay_alu instid0(VALU_DEP_1)
	v_cmpx_lt_i16_e32 0x7f, v11
	s_xor_b32 s6, exec_lo, s6
	s_cbranch_execnz .LBB298_665
; %bb.392:
	s_or_saveexec_b32 s6, s6
	v_mov_b32_e32 v1, 0x7f800001
	s_xor_b32 exec_lo, exec_lo, s6
	s_cbranch_execnz .LBB298_668
.LBB298_393:
	s_or_b32 exec_lo, exec_lo, s6
	s_and_saveexec_b32 s0, s5
.LBB298_394:
	v_mov_b32_e32 v1, v0
.LBB298_395:
	s_or_b32 exec_lo, exec_lo, s0
	v_and_b32_e32 v11, 0xff, v13
	s_mov_b32 s5, 0
	s_mov_b32 s6, exec_lo
	s_delay_alu instid0(VALU_DEP_1)
	v_cmpx_lt_i16_e32 0x7f, v11
	s_xor_b32 s6, exec_lo, s6
	s_cbranch_execnz .LBB298_669
; %bb.396:
	s_or_saveexec_b32 s6, s6
	v_mov_b32_e32 v0, 0x7f800001
	s_xor_b32 exec_lo, exec_lo, s6
	s_cbranch_execnz .LBB298_672
.LBB298_397:
	s_or_b32 exec_lo, exec_lo, s6
	s_and_saveexec_b32 s6, s5
	s_cbranch_execz .LBB298_399
.LBB298_398:
	v_and_b32_e32 v0, 7, v13
	v_lshrrev_b16 v12, 3, v13
	s_delay_alu instid0(VALU_DEP_2) | instskip(NEXT) | instid1(VALU_DEP_1)
	v_clz_i32_u32_e32 v11, v0
	v_min_u32_e32 v11, 32, v11
	s_delay_alu instid0(VALU_DEP_3) | instskip(NEXT) | instid1(VALU_DEP_2)
	v_and_b32_e32 v12, 15, v12
	v_subrev_nc_u32_e32 v14, 28, v11
	v_sub_nc_u32_e32 v11, 29, v11
	s_delay_alu instid0(VALU_DEP_3) | instskip(NEXT) | instid1(VALU_DEP_3)
	v_cmp_eq_u32_e64 s0, 0, v12
	v_dual_lshlrev_b32 v14, v14, v13 :: v_dual_lshlrev_b32 v13, 24, v13
	s_delay_alu instid0(VALU_DEP_1) | instskip(NEXT) | instid1(VALU_DEP_1)
	v_and_b32_e32 v14, 7, v14
	v_cndmask_b32_e64 v0, v0, v14, s0
	v_cndmask_b32_e64 v11, v12, v11, s0
	s_delay_alu instid0(VALU_DEP_4) | instskip(NEXT) | instid1(VALU_DEP_3)
	v_and_b32_e32 v12, 0x80000000, v13
	v_lshlrev_b32_e32 v0, 20, v0
	s_delay_alu instid0(VALU_DEP_3) | instskip(NEXT) | instid1(VALU_DEP_1)
	v_lshl_add_u32 v11, v11, 23, 0x3b800000
	v_or3_b32 v0, v12, v11, v0
.LBB298_399:
	s_or_b32 exec_lo, exec_lo, s6
	s_delay_alu instid0(VALU_DEP_1) | instskip(SKIP_2) | instid1(SALU_CYCLE_1)
	v_cmp_eq_f32_e64 s0, v1, v0
	s_and_not1_b32 s1, s1, exec_lo
	s_and_b32 s0, s0, exec_lo
	s_or_b32 s1, s1, s0
.LBB298_400:
	s_or_b32 exec_lo, exec_lo, s4
	s_delay_alu instid0(VALU_DEP_1) | instskip(SKIP_1) | instid1(VALU_DEP_2)
	v_cndmask_b32_e64 v0, 0, 1, s1
	v_lshrrev_b32_e32 v1, 16, v5
	v_lshlrev_b16 v0, 8, v0
	s_delay_alu instid0(VALU_DEP_1) | instskip(NEXT) | instid1(VALU_DEP_1)
	v_bitop3_b16 v0, v1, v0, 0xff bitop3:0xec
	v_lshlrev_b32_e32 v0, 16, v0
	s_delay_alu instid0(VALU_DEP_1) | instskip(SKIP_2) | instid1(SALU_CYCLE_1)
	v_and_or_b32 v5, 0xffff, v5, v0
	s_or_b32 exec_lo, exec_lo, s3
	s_and_saveexec_b32 s0, vcc_lo
	s_xor_b32 s0, exec_lo, s0
	s_cbranch_execz .LBB298_364
.LBB298_401:
	v_dual_mov_b32 v11, 0 :: v_dual_mov_b32 v9, v20
	s_delay_alu instid0(VALU_DEP_1) | instskip(SKIP_3) | instid1(SALU_CYCLE_1)
	v_add_nc_u64_e32 v[0:1], v[2:3], v[10:11]
	flat_store_b8 v[0:1], v8
	s_wait_xcnt 0x0
	s_or_b32 exec_lo, exec_lo, s0
	s_mov_b32 s0, exec_lo
	v_cmpx_lt_i32_e64 v9, v6
	s_cbranch_execz .LBB298_365
.LBB298_402:
	v_dual_mov_b32 v1, 0 :: v_dual_add_nc_u32 v0, s2, v9
	v_lshrrev_b32_e32 v10, 8, v8
	v_add_nc_u32_e32 v9, 0x100, v9
	s_delay_alu instid0(VALU_DEP_3) | instskip(SKIP_3) | instid1(SALU_CYCLE_1)
	v_add_nc_u64_e32 v[0:1], v[2:3], v[0:1]
	flat_store_b8 v[0:1], v10
	s_wait_xcnt 0x0
	s_or_b32 exec_lo, exec_lo, s0
	s_mov_b32 s0, exec_lo
	v_cmpx_lt_i32_e64 v9, v6
	s_cbranch_execz .LBB298_366
.LBB298_403:
	v_dual_mov_b32 v1, 0 :: v_dual_add_nc_u32 v0, s2, v9
	v_add_nc_u32_e32 v9, 0x100, v9
	s_delay_alu instid0(VALU_DEP_2) | instskip(SKIP_3) | instid1(SALU_CYCLE_1)
	v_add_nc_u64_e32 v[0:1], v[2:3], v[0:1]
	flat_store_d16_hi_b8 v[0:1], v8
	s_wait_xcnt 0x0
	s_or_b32 exec_lo, exec_lo, s0
	s_mov_b32 s0, exec_lo
	v_cmpx_lt_i32_e64 v9, v6
	s_cbranch_execz .LBB298_367
.LBB298_404:
	v_dual_mov_b32 v1, 0 :: v_dual_add_nc_u32 v0, s2, v9
	v_lshrrev_b32_e32 v8, 24, v8
	v_add_nc_u32_e32 v9, 0x100, v9
	s_delay_alu instid0(VALU_DEP_3) | instskip(SKIP_3) | instid1(SALU_CYCLE_1)
	v_add_nc_u64_e32 v[0:1], v[2:3], v[0:1]
	flat_store_b8 v[0:1], v8
	s_wait_xcnt 0x0
	s_or_b32 exec_lo, exec_lo, s0
	s_mov_b32 s0, exec_lo
	v_cmpx_lt_i32_e64 v9, v6
	s_cbranch_execz .LBB298_368
.LBB298_405:
	v_dual_mov_b32 v1, 0 :: v_dual_add_nc_u32 v0, s2, v9
	v_add_nc_u32_e32 v9, 0x100, v9
	s_delay_alu instid0(VALU_DEP_2) | instskip(SKIP_3) | instid1(SALU_CYCLE_1)
	v_add_nc_u64_e32 v[0:1], v[2:3], v[0:1]
	flat_store_b8 v[0:1], v7
	s_wait_xcnt 0x0
	s_or_b32 exec_lo, exec_lo, s0
	s_mov_b32 s0, exec_lo
	v_cmpx_lt_i32_e64 v9, v6
	s_cbranch_execz .LBB298_369
.LBB298_406:
	v_dual_mov_b32 v1, 0 :: v_dual_add_nc_u32 v0, s2, v9
	v_lshrrev_b32_e32 v8, 8, v7
	v_add_nc_u32_e32 v9, 0x100, v9
	s_delay_alu instid0(VALU_DEP_3) | instskip(SKIP_3) | instid1(SALU_CYCLE_1)
	v_add_nc_u64_e32 v[0:1], v[2:3], v[0:1]
	flat_store_b8 v[0:1], v8
	s_wait_xcnt 0x0
	s_or_b32 exec_lo, exec_lo, s0
	s_mov_b32 s0, exec_lo
	v_cmpx_lt_i32_e64 v9, v6
	s_cbranch_execz .LBB298_370
.LBB298_407:
	v_dual_mov_b32 v1, 0 :: v_dual_add_nc_u32 v0, s2, v9
	v_add_nc_u32_e32 v9, 0x100, v9
	s_delay_alu instid0(VALU_DEP_2) | instskip(SKIP_3) | instid1(SALU_CYCLE_1)
	v_add_nc_u64_e32 v[0:1], v[2:3], v[0:1]
	flat_store_d16_hi_b8 v[0:1], v7
	s_wait_xcnt 0x0
	s_or_b32 exec_lo, exec_lo, s0
	s_mov_b32 s0, exec_lo
	v_cmpx_lt_i32_e64 v9, v6
	s_cbranch_execz .LBB298_371
.LBB298_408:
	v_dual_mov_b32 v1, 0 :: v_dual_add_nc_u32 v0, s2, v9
	v_lshrrev_b32_e32 v7, 24, v7
	v_add_nc_u32_e32 v9, 0x100, v9
	s_delay_alu instid0(VALU_DEP_3) | instskip(SKIP_3) | instid1(SALU_CYCLE_1)
	v_add_nc_u64_e32 v[0:1], v[2:3], v[0:1]
	flat_store_b8 v[0:1], v7
	s_wait_xcnt 0x0
	s_or_b32 exec_lo, exec_lo, s0
	s_mov_b32 s0, exec_lo
	v_cmpx_lt_i32_e64 v9, v6
	s_cbranch_execz .LBB298_372
.LBB298_409:
	v_dual_mov_b32 v1, 0 :: v_dual_add_nc_u32 v0, s2, v9
	v_add_nc_u32_e32 v9, 0x100, v9
	s_delay_alu instid0(VALU_DEP_2) | instskip(SKIP_3) | instid1(SALU_CYCLE_1)
	v_add_nc_u64_e32 v[0:1], v[2:3], v[0:1]
	flat_store_b8 v[0:1], v4
	s_wait_xcnt 0x0
	s_or_b32 exec_lo, exec_lo, s0
	s_mov_b32 s0, exec_lo
	v_cmpx_lt_i32_e64 v9, v6
	s_cbranch_execz .LBB298_373
.LBB298_410:
	v_dual_mov_b32 v1, 0 :: v_dual_add_nc_u32 v0, s2, v9
	v_lshrrev_b32_e32 v7, 8, v4
	v_add_nc_u32_e32 v9, 0x100, v9
	s_delay_alu instid0(VALU_DEP_3) | instskip(SKIP_3) | instid1(SALU_CYCLE_1)
	v_add_nc_u64_e32 v[0:1], v[2:3], v[0:1]
	flat_store_b8 v[0:1], v7
	s_wait_xcnt 0x0
	s_or_b32 exec_lo, exec_lo, s0
	s_mov_b32 s0, exec_lo
	v_cmpx_lt_i32_e64 v9, v6
	s_cbranch_execz .LBB298_374
.LBB298_411:
	v_dual_mov_b32 v1, 0 :: v_dual_add_nc_u32 v0, s2, v9
	v_add_nc_u32_e32 v9, 0x100, v9
	s_delay_alu instid0(VALU_DEP_2) | instskip(SKIP_3) | instid1(SALU_CYCLE_1)
	v_add_nc_u64_e32 v[0:1], v[2:3], v[0:1]
	flat_store_d16_hi_b8 v[0:1], v4
	s_wait_xcnt 0x0
	s_or_b32 exec_lo, exec_lo, s0
	s_mov_b32 s0, exec_lo
	v_cmpx_lt_i32_e64 v9, v6
	s_cbranch_execz .LBB298_375
.LBB298_412:
	v_dual_mov_b32 v1, 0 :: v_dual_add_nc_u32 v0, s2, v9
	v_lshrrev_b32_e32 v4, 24, v4
	v_add_nc_u32_e32 v9, 0x100, v9
	s_delay_alu instid0(VALU_DEP_3) | instskip(SKIP_3) | instid1(SALU_CYCLE_1)
	v_add_nc_u64_e32 v[0:1], v[2:3], v[0:1]
	flat_store_b8 v[0:1], v4
	s_wait_xcnt 0x0
	s_or_b32 exec_lo, exec_lo, s0
	s_mov_b32 s0, exec_lo
	v_cmpx_lt_i32_e64 v9, v6
	s_cbranch_execz .LBB298_376
.LBB298_413:
	v_dual_mov_b32 v1, 0 :: v_dual_add_nc_u32 v0, s2, v9
	v_add_nc_u32_e32 v9, 0x100, v9
	s_delay_alu instid0(VALU_DEP_2) | instskip(SKIP_3) | instid1(SALU_CYCLE_1)
	v_add_nc_u64_e32 v[0:1], v[2:3], v[0:1]
	flat_store_b8 v[0:1], v5
	s_wait_xcnt 0x0
	s_or_b32 exec_lo, exec_lo, s0
	s_mov_b32 s0, exec_lo
	v_cmpx_lt_i32_e64 v9, v6
	s_cbranch_execz .LBB298_377
.LBB298_414:
	v_dual_mov_b32 v1, 0 :: v_dual_add_nc_u32 v0, s2, v9
	v_lshrrev_b32_e32 v4, 8, v5
	v_add_nc_u32_e32 v9, 0x100, v9
	s_delay_alu instid0(VALU_DEP_3) | instskip(SKIP_3) | instid1(SALU_CYCLE_1)
	v_add_nc_u64_e32 v[0:1], v[2:3], v[0:1]
	flat_store_b8 v[0:1], v4
	s_wait_xcnt 0x0
	s_or_b32 exec_lo, exec_lo, s0
	s_mov_b32 s0, exec_lo
	v_cmpx_lt_i32_e64 v9, v6
	s_cbranch_execz .LBB298_378
.LBB298_415:
	v_dual_mov_b32 v1, 0 :: v_dual_add_nc_u32 v0, s2, v9
	v_add_nc_u32_e32 v9, 0x100, v9
	s_delay_alu instid0(VALU_DEP_2) | instskip(SKIP_3) | instid1(SALU_CYCLE_1)
	v_add_nc_u64_e32 v[0:1], v[2:3], v[0:1]
	flat_store_d16_hi_b8 v[0:1], v5
	s_wait_xcnt 0x0
	s_or_b32 exec_lo, exec_lo, s0
	s_mov_b32 s0, exec_lo
	v_cmpx_lt_i32_e64 v9, v6
	s_cbranch_execz .LBB298_379
.LBB298_416:
	v_dual_mov_b32 v1, 0 :: v_dual_add_nc_u32 v0, s2, v9
	s_delay_alu instid0(VALU_DEP_1)
	v_add_nc_u64_e32 v[0:1], v[2:3], v[0:1]
	v_lshrrev_b32_e32 v2, 24, v5
	flat_store_b8 v[0:1], v2
	s_wait_xcnt 0x0
	s_or_b32 exec_lo, exec_lo, s0
	s_wait_dscnt 0x0
	s_set_pc_i64 s[30:31]
.LBB298_417:
	s_mov_b32 s4, -1
	s_mov_b32 s7, exec_lo
	v_cmpx_eq_u16_e32 0x80, v5
; %bb.418:
	s_xor_b32 s4, exec_lo, -1
; %bb.419:
	s_or_b32 exec_lo, exec_lo, s7
	s_delay_alu instid0(SALU_CYCLE_1)
	s_and_b32 s4, s4, exec_lo
                                        ; implicit-def: $vgpr5
	s_or_saveexec_b32 s6, s6
	v_mov_b32_e32 v4, 0x7f800001
	s_xor_b32 exec_lo, exec_lo, s6
	s_cbranch_execz .LBB298_36
.LBB298_420:
	v_cmp_ne_u16_e64 s1, 0, v5
	v_mov_b32_e32 v4, 0
	s_and_not1_b32 s4, s4, exec_lo
	s_and_b32 s1, s1, exec_lo
	s_delay_alu instid0(SALU_CYCLE_1)
	s_or_b32 s4, s4, s1
	s_or_b32 exec_lo, exec_lo, s6
	s_and_saveexec_b32 s1, s4
	s_cbranch_execnz .LBB298_37
	s_branch .LBB298_38
.LBB298_421:
	s_mov_b32 s4, -1
	s_mov_b32 s7, exec_lo
	v_cmpx_eq_u16_e32 0x80, v7
; %bb.422:
	s_xor_b32 s4, exec_lo, -1
; %bb.423:
	s_or_b32 exec_lo, exec_lo, s7
	s_delay_alu instid0(SALU_CYCLE_1)
	s_and_b32 s4, s4, exec_lo
                                        ; implicit-def: $vgpr7
	s_or_saveexec_b32 s6, s6
	v_mov_b32_e32 v5, 0x7f800001
	s_xor_b32 exec_lo, exec_lo, s6
	s_cbranch_execz .LBB298_40
.LBB298_424:
	v_cmp_ne_u16_e64 s1, 0, v7
	v_mov_b32_e32 v5, 0
	s_and_not1_b32 s4, s4, exec_lo
	s_and_b32 s1, s1, exec_lo
	s_delay_alu instid0(SALU_CYCLE_1)
	s_or_b32 s4, s4, s1
	s_or_b32 exec_lo, exec_lo, s6
	s_and_saveexec_b32 s6, s4
	s_cbranch_execnz .LBB298_41
	s_branch .LBB298_42
.LBB298_425:
	s_mov_b32 s6, -1
	s_mov_b32 s8, exec_lo
	v_cmpx_eq_u16_e32 0x80, v5
; %bb.426:
	s_xor_b32 s6, exec_lo, -1
; %bb.427:
	s_or_b32 exec_lo, exec_lo, s8
	s_delay_alu instid0(SALU_CYCLE_1)
	s_and_b32 s6, s6, exec_lo
                                        ; implicit-def: $vgpr5
	s_or_saveexec_b32 s7, s7
	v_mov_b32_e32 v4, 0x7f800001
	s_xor_b32 exec_lo, exec_lo, s7
	s_cbranch_execz .LBB298_46
.LBB298_428:
	v_cmp_ne_u16_e64 s1, 0, v5
	v_mov_b32_e32 v4, 0
	s_and_not1_b32 s6, s6, exec_lo
	s_and_b32 s1, s1, exec_lo
	s_delay_alu instid0(SALU_CYCLE_1)
	s_or_b32 s6, s6, s1
	s_or_b32 exec_lo, exec_lo, s7
	s_and_saveexec_b32 s1, s6
	s_cbranch_execnz .LBB298_47
	s_branch .LBB298_48
.LBB298_429:
	s_mov_b32 s6, -1
	s_mov_b32 s8, exec_lo
	v_cmpx_eq_u16_e32 0x80, v7
; %bb.430:
	s_xor_b32 s6, exec_lo, -1
; %bb.431:
	s_or_b32 exec_lo, exec_lo, s8
	s_delay_alu instid0(SALU_CYCLE_1)
	s_and_b32 s6, s6, exec_lo
                                        ; implicit-def: $vgpr7
	s_or_saveexec_b32 s7, s7
	v_mov_b32_e32 v5, 0x7f800001
	s_xor_b32 exec_lo, exec_lo, s7
	s_cbranch_execz .LBB298_50
.LBB298_432:
	v_cmp_ne_u16_e64 s1, 0, v7
	v_mov_b32_e32 v5, 0
	s_and_not1_b32 s6, s6, exec_lo
	s_and_b32 s1, s1, exec_lo
	s_delay_alu instid0(SALU_CYCLE_1)
	s_or_b32 s6, s6, s1
	s_or_b32 exec_lo, exec_lo, s7
	s_and_saveexec_b32 s7, s6
	s_cbranch_execnz .LBB298_51
	s_branch .LBB298_52
.LBB298_433:
	s_mov_b32 s4, -1
	s_mov_b32 s7, exec_lo
	v_cmpx_eq_u16_e32 0x80, v18
; %bb.434:
	s_xor_b32 s4, exec_lo, -1
; %bb.435:
	s_or_b32 exec_lo, exec_lo, s7
	s_delay_alu instid0(SALU_CYCLE_1)
	s_and_b32 s4, s4, exec_lo
                                        ; implicit-def: $vgpr18
	s_or_saveexec_b32 s6, s6
	v_mov_b32_e32 v12, 0x7f800001
	s_xor_b32 exec_lo, exec_lo, s6
	s_cbranch_execz .LBB298_58
.LBB298_436:
	v_cmp_ne_u16_e64 s1, 0, v18
	v_mov_b32_e32 v12, 0
	s_and_not1_b32 s4, s4, exec_lo
	s_and_b32 s1, s1, exec_lo
	s_delay_alu instid0(SALU_CYCLE_1)
	s_or_b32 s4, s4, s1
	s_or_b32 exec_lo, exec_lo, s6
	s_and_saveexec_b32 s1, s4
	s_cbranch_execnz .LBB298_59
	s_branch .LBB298_60
.LBB298_437:
	s_mov_b32 s4, -1
	s_mov_b32 s7, exec_lo
	v_cmpx_eq_u16_e32 0x80, v19
; %bb.438:
	s_xor_b32 s4, exec_lo, -1
; %bb.439:
	s_or_b32 exec_lo, exec_lo, s7
	s_delay_alu instid0(SALU_CYCLE_1)
	s_and_b32 s4, s4, exec_lo
                                        ; implicit-def: $vgpr19
	s_or_saveexec_b32 s6, s6
	v_mov_b32_e32 v18, 0x7f800001
	s_xor_b32 exec_lo, exec_lo, s6
	s_cbranch_execz .LBB298_62
.LBB298_440:
	v_cmp_ne_u16_e64 s1, 0, v19
	v_mov_b32_e32 v18, 0
	s_and_not1_b32 s4, s4, exec_lo
	s_and_b32 s1, s1, exec_lo
	s_delay_alu instid0(SALU_CYCLE_1)
	s_or_b32 s4, s4, s1
	s_or_b32 exec_lo, exec_lo, s6
	s_and_saveexec_b32 s6, s4
	s_cbranch_execnz .LBB298_63
	s_branch .LBB298_64
.LBB298_441:
	s_mov_b32 s6, -1
	s_mov_b32 s8, exec_lo
	v_cmpx_eq_u16_e32 0x80, v18
; %bb.442:
	s_xor_b32 s6, exec_lo, -1
; %bb.443:
	s_or_b32 exec_lo, exec_lo, s8
	s_delay_alu instid0(SALU_CYCLE_1)
	s_and_b32 s6, s6, exec_lo
                                        ; implicit-def: $vgpr18
	s_or_saveexec_b32 s7, s7
	v_mov_b32_e32 v12, 0x7f800001
	s_xor_b32 exec_lo, exec_lo, s7
	s_cbranch_execz .LBB298_68
.LBB298_444:
	v_cmp_ne_u16_e64 s1, 0, v18
	v_mov_b32_e32 v12, 0
	s_and_not1_b32 s6, s6, exec_lo
	s_and_b32 s1, s1, exec_lo
	s_delay_alu instid0(SALU_CYCLE_1)
	s_or_b32 s6, s6, s1
	s_or_b32 exec_lo, exec_lo, s7
	s_and_saveexec_b32 s1, s6
	s_cbranch_execnz .LBB298_69
	s_branch .LBB298_70
.LBB298_445:
	s_mov_b32 s6, -1
	s_mov_b32 s8, exec_lo
	v_cmpx_eq_u16_e32 0x80, v19
; %bb.446:
	s_xor_b32 s6, exec_lo, -1
; %bb.447:
	s_or_b32 exec_lo, exec_lo, s8
	s_delay_alu instid0(SALU_CYCLE_1)
	s_and_b32 s6, s6, exec_lo
                                        ; implicit-def: $vgpr19
	s_or_saveexec_b32 s7, s7
	v_mov_b32_e32 v18, 0x7f800001
	s_xor_b32 exec_lo, exec_lo, s7
	s_cbranch_execz .LBB298_72
.LBB298_448:
	v_cmp_ne_u16_e64 s1, 0, v19
	v_mov_b32_e32 v18, 0
	s_and_not1_b32 s6, s6, exec_lo
	s_and_b32 s1, s1, exec_lo
	s_delay_alu instid0(SALU_CYCLE_1)
	s_or_b32 s6, s6, s1
	s_or_b32 exec_lo, exec_lo, s7
	s_and_saveexec_b32 s7, s6
	s_cbranch_execnz .LBB298_73
	s_branch .LBB298_74
.LBB298_449:
	s_mov_b32 s4, -1
	s_mov_b32 s7, exec_lo
	v_cmpx_eq_u16_e32 0x80, v12
; %bb.450:
	s_xor_b32 s4, exec_lo, -1
; %bb.451:
	s_or_b32 exec_lo, exec_lo, s7
	s_delay_alu instid0(SALU_CYCLE_1)
	s_and_b32 s4, s4, exec_lo
                                        ; implicit-def: $vgpr12
	s_or_saveexec_b32 s6, s6
	v_mov_b32_e32 v11, 0x7f800001
	s_xor_b32 exec_lo, exec_lo, s6
	s_cbranch_execz .LBB298_80
.LBB298_452:
	v_cmp_ne_u16_e64 s1, 0, v12
	v_mov_b32_e32 v11, 0
	s_and_not1_b32 s4, s4, exec_lo
	s_and_b32 s1, s1, exec_lo
	s_delay_alu instid0(SALU_CYCLE_1)
	s_or_b32 s4, s4, s1
	s_or_b32 exec_lo, exec_lo, s6
	s_and_saveexec_b32 s1, s4
	s_cbranch_execnz .LBB298_81
	s_branch .LBB298_82
.LBB298_453:
	s_mov_b32 s4, -1
	s_mov_b32 s7, exec_lo
	v_cmpx_eq_u16_e32 0x80, v18
; %bb.454:
	s_xor_b32 s4, exec_lo, -1
; %bb.455:
	s_or_b32 exec_lo, exec_lo, s7
	s_delay_alu instid0(SALU_CYCLE_1)
	s_and_b32 s4, s4, exec_lo
                                        ; implicit-def: $vgpr18
	s_or_saveexec_b32 s6, s6
	v_mov_b32_e32 v12, 0x7f800001
	s_xor_b32 exec_lo, exec_lo, s6
	s_cbranch_execz .LBB298_84
.LBB298_456:
	v_cmp_ne_u16_e64 s1, 0, v18
	v_mov_b32_e32 v12, 0
	s_and_not1_b32 s4, s4, exec_lo
	s_and_b32 s1, s1, exec_lo
	s_delay_alu instid0(SALU_CYCLE_1)
	s_or_b32 s4, s4, s1
	s_or_b32 exec_lo, exec_lo, s6
	s_and_saveexec_b32 s6, s4
	s_cbranch_execnz .LBB298_85
	s_branch .LBB298_86
.LBB298_457:
	s_mov_b32 s6, -1
	s_mov_b32 s8, exec_lo
	v_cmpx_eq_u16_e32 0x80, v12
; %bb.458:
	s_xor_b32 s6, exec_lo, -1
; %bb.459:
	s_or_b32 exec_lo, exec_lo, s8
	s_delay_alu instid0(SALU_CYCLE_1)
	s_and_b32 s6, s6, exec_lo
                                        ; implicit-def: $vgpr12
	s_or_saveexec_b32 s7, s7
	v_mov_b32_e32 v11, 0x7f800001
	s_xor_b32 exec_lo, exec_lo, s7
	s_cbranch_execz .LBB298_90
.LBB298_460:
	v_cmp_ne_u16_e64 s1, 0, v12
	v_mov_b32_e32 v11, 0
	s_and_not1_b32 s6, s6, exec_lo
	s_and_b32 s1, s1, exec_lo
	s_delay_alu instid0(SALU_CYCLE_1)
	s_or_b32 s6, s6, s1
	s_or_b32 exec_lo, exec_lo, s7
	s_and_saveexec_b32 s1, s6
	s_cbranch_execnz .LBB298_91
	s_branch .LBB298_92
.LBB298_461:
	s_mov_b32 s6, -1
	s_mov_b32 s8, exec_lo
	v_cmpx_eq_u16_e32 0x80, v18
; %bb.462:
	s_xor_b32 s6, exec_lo, -1
; %bb.463:
	s_or_b32 exec_lo, exec_lo, s8
	s_delay_alu instid0(SALU_CYCLE_1)
	s_and_b32 s6, s6, exec_lo
                                        ; implicit-def: $vgpr18
	s_or_saveexec_b32 s7, s7
	v_mov_b32_e32 v12, 0x7f800001
	s_xor_b32 exec_lo, exec_lo, s7
	s_cbranch_execz .LBB298_94
.LBB298_464:
	v_cmp_ne_u16_e64 s1, 0, v18
	v_mov_b32_e32 v12, 0
	s_and_not1_b32 s6, s6, exec_lo
	s_and_b32 s1, s1, exec_lo
	s_delay_alu instid0(SALU_CYCLE_1)
	s_or_b32 s6, s6, s1
	s_or_b32 exec_lo, exec_lo, s7
	s_and_saveexec_b32 s7, s6
	s_cbranch_execnz .LBB298_95
	s_branch .LBB298_96
.LBB298_465:
	s_mov_b32 s4, -1
	s_mov_b32 s7, exec_lo
	v_cmpx_eq_u16_e32 0x80, v12
; %bb.466:
	s_xor_b32 s4, exec_lo, -1
; %bb.467:
	s_or_b32 exec_lo, exec_lo, s7
	s_delay_alu instid0(SALU_CYCLE_1)
	s_and_b32 s4, s4, exec_lo
                                        ; implicit-def: $vgpr12
	s_or_saveexec_b32 s6, s6
	v_mov_b32_e32 v11, 0x7f800001
	s_xor_b32 exec_lo, exec_lo, s6
	s_cbranch_execz .LBB298_102
.LBB298_468:
	v_cmp_ne_u16_e64 s1, 0, v12
	v_mov_b32_e32 v11, 0
	s_and_not1_b32 s4, s4, exec_lo
	s_and_b32 s1, s1, exec_lo
	s_delay_alu instid0(SALU_CYCLE_1)
	s_or_b32 s4, s4, s1
	s_or_b32 exec_lo, exec_lo, s6
	s_and_saveexec_b32 s1, s4
	s_cbranch_execnz .LBB298_103
	s_branch .LBB298_104
.LBB298_469:
	s_mov_b32 s4, -1
	s_mov_b32 s7, exec_lo
	v_cmpx_eq_u16_e32 0x80, v17
; %bb.470:
	s_xor_b32 s4, exec_lo, -1
; %bb.471:
	s_or_b32 exec_lo, exec_lo, s7
	s_delay_alu instid0(SALU_CYCLE_1)
	s_and_b32 s4, s4, exec_lo
                                        ; implicit-def: $vgpr17
	s_or_saveexec_b32 s6, s6
	v_mov_b32_e32 v12, 0x7f800001
	s_xor_b32 exec_lo, exec_lo, s6
	s_cbranch_execz .LBB298_106
.LBB298_472:
	v_cmp_ne_u16_e64 s1, 0, v17
	v_mov_b32_e32 v12, 0
	s_and_not1_b32 s4, s4, exec_lo
	s_and_b32 s1, s1, exec_lo
	s_delay_alu instid0(SALU_CYCLE_1)
	s_or_b32 s4, s4, s1
	s_or_b32 exec_lo, exec_lo, s6
	s_and_saveexec_b32 s6, s4
	s_cbranch_execnz .LBB298_107
	s_branch .LBB298_108
.LBB298_473:
	s_mov_b32 s6, -1
	s_mov_b32 s8, exec_lo
	v_cmpx_eq_u16_e32 0x80, v12
; %bb.474:
	s_xor_b32 s6, exec_lo, -1
; %bb.475:
	s_or_b32 exec_lo, exec_lo, s8
	s_delay_alu instid0(SALU_CYCLE_1)
	s_and_b32 s6, s6, exec_lo
                                        ; implicit-def: $vgpr12
	s_or_saveexec_b32 s7, s7
	v_mov_b32_e32 v11, 0x7f800001
	s_xor_b32 exec_lo, exec_lo, s7
	s_cbranch_execz .LBB298_112
.LBB298_476:
	v_cmp_ne_u16_e64 s1, 0, v12
	v_mov_b32_e32 v11, 0
	s_and_not1_b32 s6, s6, exec_lo
	s_and_b32 s1, s1, exec_lo
	s_delay_alu instid0(SALU_CYCLE_1)
	s_or_b32 s6, s6, s1
	s_or_b32 exec_lo, exec_lo, s7
	s_and_saveexec_b32 s1, s6
	s_cbranch_execnz .LBB298_113
	s_branch .LBB298_114
.LBB298_477:
	s_mov_b32 s6, -1
	s_mov_b32 s8, exec_lo
	v_cmpx_eq_u16_e32 0x80, v17
; %bb.478:
	s_xor_b32 s6, exec_lo, -1
; %bb.479:
	s_or_b32 exec_lo, exec_lo, s8
	s_delay_alu instid0(SALU_CYCLE_1)
	s_and_b32 s6, s6, exec_lo
                                        ; implicit-def: $vgpr17
	s_or_saveexec_b32 s7, s7
	v_mov_b32_e32 v12, 0x7f800001
	s_xor_b32 exec_lo, exec_lo, s7
	s_cbranch_execz .LBB298_116
.LBB298_480:
	v_cmp_ne_u16_e64 s1, 0, v17
	v_mov_b32_e32 v12, 0
	s_and_not1_b32 s6, s6, exec_lo
	s_and_b32 s1, s1, exec_lo
	s_delay_alu instid0(SALU_CYCLE_1)
	s_or_b32 s6, s6, s1
	s_or_b32 exec_lo, exec_lo, s7
	s_and_saveexec_b32 s7, s6
	s_cbranch_execnz .LBB298_117
	s_branch .LBB298_118
.LBB298_481:
	s_mov_b32 s4, -1
	s_mov_b32 s7, exec_lo
	v_cmpx_eq_u16_e32 0x80, v12
; %bb.482:
	s_xor_b32 s4, exec_lo, -1
; %bb.483:
	s_or_b32 exec_lo, exec_lo, s7
	s_delay_alu instid0(SALU_CYCLE_1)
	s_and_b32 s4, s4, exec_lo
                                        ; implicit-def: $vgpr12
	s_or_saveexec_b32 s6, s6
	v_mov_b32_e32 v11, 0x7f800001
	s_xor_b32 exec_lo, exec_lo, s6
	s_cbranch_execz .LBB298_124
.LBB298_484:
	v_cmp_ne_u16_e64 s1, 0, v12
	v_mov_b32_e32 v11, 0
	s_and_not1_b32 s4, s4, exec_lo
	s_and_b32 s1, s1, exec_lo
	s_delay_alu instid0(SALU_CYCLE_1)
	s_or_b32 s4, s4, s1
	s_or_b32 exec_lo, exec_lo, s6
	s_and_saveexec_b32 s1, s4
	s_cbranch_execnz .LBB298_125
	s_branch .LBB298_126
.LBB298_485:
	s_mov_b32 s4, -1
	s_mov_b32 s7, exec_lo
	v_cmpx_eq_u16_e32 0x80, v17
; %bb.486:
	s_xor_b32 s4, exec_lo, -1
; %bb.487:
	s_or_b32 exec_lo, exec_lo, s7
	s_delay_alu instid0(SALU_CYCLE_1)
	s_and_b32 s4, s4, exec_lo
                                        ; implicit-def: $vgpr17
	s_or_saveexec_b32 s6, s6
	v_mov_b32_e32 v12, 0x7f800001
	s_xor_b32 exec_lo, exec_lo, s6
	s_cbranch_execz .LBB298_128
.LBB298_488:
	v_cmp_ne_u16_e64 s1, 0, v17
	v_mov_b32_e32 v12, 0
	s_and_not1_b32 s4, s4, exec_lo
	s_and_b32 s1, s1, exec_lo
	s_delay_alu instid0(SALU_CYCLE_1)
	s_or_b32 s4, s4, s1
	s_or_b32 exec_lo, exec_lo, s6
	s_and_saveexec_b32 s6, s4
	s_cbranch_execnz .LBB298_129
	s_branch .LBB298_130
.LBB298_489:
	s_mov_b32 s6, -1
	s_mov_b32 s8, exec_lo
	v_cmpx_eq_u16_e32 0x80, v12
; %bb.490:
	s_xor_b32 s6, exec_lo, -1
; %bb.491:
	s_or_b32 exec_lo, exec_lo, s8
	s_delay_alu instid0(SALU_CYCLE_1)
	s_and_b32 s6, s6, exec_lo
                                        ; implicit-def: $vgpr12
	s_or_saveexec_b32 s7, s7
	v_mov_b32_e32 v11, 0x7f800001
	s_xor_b32 exec_lo, exec_lo, s7
	s_cbranch_execz .LBB298_134
.LBB298_492:
	v_cmp_ne_u16_e64 s1, 0, v12
	v_mov_b32_e32 v11, 0
	s_and_not1_b32 s6, s6, exec_lo
	s_and_b32 s1, s1, exec_lo
	s_delay_alu instid0(SALU_CYCLE_1)
	s_or_b32 s6, s6, s1
	s_or_b32 exec_lo, exec_lo, s7
	s_and_saveexec_b32 s1, s6
	s_cbranch_execnz .LBB298_135
	s_branch .LBB298_136
.LBB298_493:
	s_mov_b32 s6, -1
	s_mov_b32 s8, exec_lo
	v_cmpx_eq_u16_e32 0x80, v17
; %bb.494:
	s_xor_b32 s6, exec_lo, -1
; %bb.495:
	s_or_b32 exec_lo, exec_lo, s8
	s_delay_alu instid0(SALU_CYCLE_1)
	s_and_b32 s6, s6, exec_lo
                                        ; implicit-def: $vgpr17
	s_or_saveexec_b32 s7, s7
	v_mov_b32_e32 v12, 0x7f800001
	s_xor_b32 exec_lo, exec_lo, s7
	s_cbranch_execz .LBB298_138
.LBB298_496:
	v_cmp_ne_u16_e64 s1, 0, v17
	v_mov_b32_e32 v12, 0
	s_and_not1_b32 s6, s6, exec_lo
	s_and_b32 s1, s1, exec_lo
	s_delay_alu instid0(SALU_CYCLE_1)
	s_or_b32 s6, s6, s1
	s_or_b32 exec_lo, exec_lo, s7
	s_and_saveexec_b32 s7, s6
	s_cbranch_execnz .LBB298_139
	s_branch .LBB298_140
.LBB298_497:
	s_mov_b32 s4, -1
	s_mov_b32 s7, exec_lo
	v_cmpx_eq_u16_e32 0x80, v12
; %bb.498:
	s_xor_b32 s4, exec_lo, -1
; %bb.499:
	s_or_b32 exec_lo, exec_lo, s7
	s_delay_alu instid0(SALU_CYCLE_1)
	s_and_b32 s4, s4, exec_lo
                                        ; implicit-def: $vgpr12
	s_or_saveexec_b32 s6, s6
	v_mov_b32_e32 v11, 0x7f800001
	s_xor_b32 exec_lo, exec_lo, s6
	s_cbranch_execz .LBB298_146
.LBB298_500:
	v_cmp_ne_u16_e64 s1, 0, v12
	v_mov_b32_e32 v11, 0
	s_and_not1_b32 s4, s4, exec_lo
	s_and_b32 s1, s1, exec_lo
	s_delay_alu instid0(SALU_CYCLE_1)
	s_or_b32 s4, s4, s1
	s_or_b32 exec_lo, exec_lo, s6
	s_and_saveexec_b32 s1, s4
	s_cbranch_execnz .LBB298_147
	s_branch .LBB298_148
.LBB298_501:
	s_mov_b32 s4, -1
	s_mov_b32 s7, exec_lo
	v_cmpx_eq_u16_e32 0x80, v17
; %bb.502:
	s_xor_b32 s4, exec_lo, -1
; %bb.503:
	s_or_b32 exec_lo, exec_lo, s7
	s_delay_alu instid0(SALU_CYCLE_1)
	s_and_b32 s4, s4, exec_lo
                                        ; implicit-def: $vgpr17
	s_or_saveexec_b32 s6, s6
	v_mov_b32_e32 v12, 0x7f800001
	s_xor_b32 exec_lo, exec_lo, s6
	s_cbranch_execz .LBB298_150
.LBB298_504:
	v_cmp_ne_u16_e64 s1, 0, v17
	v_mov_b32_e32 v12, 0
	s_and_not1_b32 s4, s4, exec_lo
	s_and_b32 s1, s1, exec_lo
	s_delay_alu instid0(SALU_CYCLE_1)
	s_or_b32 s4, s4, s1
	s_or_b32 exec_lo, exec_lo, s6
	s_and_saveexec_b32 s6, s4
	s_cbranch_execnz .LBB298_151
	s_branch .LBB298_152
.LBB298_505:
	s_mov_b32 s6, -1
	s_mov_b32 s8, exec_lo
	v_cmpx_eq_u16_e32 0x80, v12
; %bb.506:
	s_xor_b32 s6, exec_lo, -1
; %bb.507:
	s_or_b32 exec_lo, exec_lo, s8
	s_delay_alu instid0(SALU_CYCLE_1)
	s_and_b32 s6, s6, exec_lo
                                        ; implicit-def: $vgpr12
	s_or_saveexec_b32 s7, s7
	v_mov_b32_e32 v11, 0x7f800001
	s_xor_b32 exec_lo, exec_lo, s7
	s_cbranch_execz .LBB298_156
.LBB298_508:
	v_cmp_ne_u16_e64 s1, 0, v12
	v_mov_b32_e32 v11, 0
	s_and_not1_b32 s6, s6, exec_lo
	s_and_b32 s1, s1, exec_lo
	s_delay_alu instid0(SALU_CYCLE_1)
	s_or_b32 s6, s6, s1
	s_or_b32 exec_lo, exec_lo, s7
	s_and_saveexec_b32 s1, s6
	s_cbranch_execnz .LBB298_157
	s_branch .LBB298_158
.LBB298_509:
	s_mov_b32 s6, -1
	s_mov_b32 s8, exec_lo
	v_cmpx_eq_u16_e32 0x80, v17
; %bb.510:
	s_xor_b32 s6, exec_lo, -1
; %bb.511:
	s_or_b32 exec_lo, exec_lo, s8
	s_delay_alu instid0(SALU_CYCLE_1)
	s_and_b32 s6, s6, exec_lo
                                        ; implicit-def: $vgpr17
	s_or_saveexec_b32 s7, s7
	v_mov_b32_e32 v12, 0x7f800001
	s_xor_b32 exec_lo, exec_lo, s7
	s_cbranch_execz .LBB298_160
.LBB298_512:
	v_cmp_ne_u16_e64 s1, 0, v17
	v_mov_b32_e32 v12, 0
	s_and_not1_b32 s6, s6, exec_lo
	s_and_b32 s1, s1, exec_lo
	s_delay_alu instid0(SALU_CYCLE_1)
	s_or_b32 s6, s6, s1
	s_or_b32 exec_lo, exec_lo, s7
	s_and_saveexec_b32 s7, s6
	s_cbranch_execnz .LBB298_161
	s_branch .LBB298_162
.LBB298_513:
	s_mov_b32 s4, -1
	s_mov_b32 s7, exec_lo
	v_cmpx_eq_u16_e32 0x80, v12
; %bb.514:
	s_xor_b32 s4, exec_lo, -1
; %bb.515:
	s_or_b32 exec_lo, exec_lo, s7
	s_delay_alu instid0(SALU_CYCLE_1)
	s_and_b32 s4, s4, exec_lo
                                        ; implicit-def: $vgpr12
	s_or_saveexec_b32 s6, s6
	v_mov_b32_e32 v11, 0x7f800001
	s_xor_b32 exec_lo, exec_lo, s6
	s_cbranch_execz .LBB298_168
.LBB298_516:
	v_cmp_ne_u16_e64 s1, 0, v12
	v_mov_b32_e32 v11, 0
	s_and_not1_b32 s4, s4, exec_lo
	s_and_b32 s1, s1, exec_lo
	s_delay_alu instid0(SALU_CYCLE_1)
	s_or_b32 s4, s4, s1
	s_or_b32 exec_lo, exec_lo, s6
	s_and_saveexec_b32 s1, s4
	s_cbranch_execnz .LBB298_169
	s_branch .LBB298_170
.LBB298_517:
	s_mov_b32 s4, -1
	s_mov_b32 s7, exec_lo
	v_cmpx_eq_u16_e32 0x80, v17
; %bb.518:
	s_xor_b32 s4, exec_lo, -1
; %bb.519:
	s_or_b32 exec_lo, exec_lo, s7
	s_delay_alu instid0(SALU_CYCLE_1)
	s_and_b32 s4, s4, exec_lo
                                        ; implicit-def: $vgpr17
	s_or_saveexec_b32 s6, s6
	v_mov_b32_e32 v12, 0x7f800001
	s_xor_b32 exec_lo, exec_lo, s6
	s_cbranch_execz .LBB298_172
.LBB298_520:
	v_cmp_ne_u16_e64 s1, 0, v17
	v_mov_b32_e32 v12, 0
	s_and_not1_b32 s4, s4, exec_lo
	s_and_b32 s1, s1, exec_lo
	s_delay_alu instid0(SALU_CYCLE_1)
	s_or_b32 s4, s4, s1
	s_or_b32 exec_lo, exec_lo, s6
	s_and_saveexec_b32 s6, s4
	s_cbranch_execnz .LBB298_173
	s_branch .LBB298_174
.LBB298_521:
	s_mov_b32 s6, -1
	s_mov_b32 s8, exec_lo
	v_cmpx_eq_u16_e32 0x80, v12
; %bb.522:
	s_xor_b32 s6, exec_lo, -1
; %bb.523:
	s_or_b32 exec_lo, exec_lo, s8
	s_delay_alu instid0(SALU_CYCLE_1)
	s_and_b32 s6, s6, exec_lo
                                        ; implicit-def: $vgpr12
	s_or_saveexec_b32 s7, s7
	v_mov_b32_e32 v11, 0x7f800001
	s_xor_b32 exec_lo, exec_lo, s7
	s_cbranch_execz .LBB298_178
.LBB298_524:
	v_cmp_ne_u16_e64 s1, 0, v12
	v_mov_b32_e32 v11, 0
	s_and_not1_b32 s6, s6, exec_lo
	s_and_b32 s1, s1, exec_lo
	s_delay_alu instid0(SALU_CYCLE_1)
	s_or_b32 s6, s6, s1
	s_or_b32 exec_lo, exec_lo, s7
	s_and_saveexec_b32 s1, s6
	s_cbranch_execnz .LBB298_179
	s_branch .LBB298_180
.LBB298_525:
	s_mov_b32 s6, -1
	s_mov_b32 s8, exec_lo
	v_cmpx_eq_u16_e32 0x80, v17
; %bb.526:
	s_xor_b32 s6, exec_lo, -1
; %bb.527:
	s_or_b32 exec_lo, exec_lo, s8
	s_delay_alu instid0(SALU_CYCLE_1)
	s_and_b32 s6, s6, exec_lo
                                        ; implicit-def: $vgpr17
	s_or_saveexec_b32 s7, s7
	v_mov_b32_e32 v12, 0x7f800001
	s_xor_b32 exec_lo, exec_lo, s7
	s_cbranch_execz .LBB298_182
.LBB298_528:
	v_cmp_ne_u16_e64 s1, 0, v17
	v_mov_b32_e32 v12, 0
	s_and_not1_b32 s6, s6, exec_lo
	s_and_b32 s1, s1, exec_lo
	s_delay_alu instid0(SALU_CYCLE_1)
	s_or_b32 s6, s6, s1
	s_or_b32 exec_lo, exec_lo, s7
	s_and_saveexec_b32 s7, s6
	s_cbranch_execnz .LBB298_183
	s_branch .LBB298_184
.LBB298_529:
	s_mov_b32 s4, -1
	s_mov_b32 s7, exec_lo
	v_cmpx_eq_u16_e32 0x80, v12
; %bb.530:
	s_xor_b32 s4, exec_lo, -1
; %bb.531:
	s_or_b32 exec_lo, exec_lo, s7
	s_delay_alu instid0(SALU_CYCLE_1)
	s_and_b32 s4, s4, exec_lo
                                        ; implicit-def: $vgpr12
	s_or_saveexec_b32 s6, s6
	v_mov_b32_e32 v11, 0x7f800001
	s_xor_b32 exec_lo, exec_lo, s6
	s_cbranch_execz .LBB298_190
.LBB298_532:
	v_cmp_ne_u16_e64 s1, 0, v12
	v_mov_b32_e32 v11, 0
	s_and_not1_b32 s4, s4, exec_lo
	s_and_b32 s1, s1, exec_lo
	s_delay_alu instid0(SALU_CYCLE_1)
	s_or_b32 s4, s4, s1
	s_or_b32 exec_lo, exec_lo, s6
	s_and_saveexec_b32 s1, s4
	s_cbranch_execnz .LBB298_191
	s_branch .LBB298_192
.LBB298_533:
	s_mov_b32 s4, -1
	s_mov_b32 s7, exec_lo
	v_cmpx_eq_u16_e32 0x80, v17
; %bb.534:
	s_xor_b32 s4, exec_lo, -1
; %bb.535:
	s_or_b32 exec_lo, exec_lo, s7
	s_delay_alu instid0(SALU_CYCLE_1)
	s_and_b32 s4, s4, exec_lo
                                        ; implicit-def: $vgpr17
	s_or_saveexec_b32 s6, s6
	v_mov_b32_e32 v12, 0x7f800001
	s_xor_b32 exec_lo, exec_lo, s6
	s_cbranch_execz .LBB298_194
.LBB298_536:
	v_cmp_ne_u16_e64 s1, 0, v17
	v_mov_b32_e32 v12, 0
	s_and_not1_b32 s4, s4, exec_lo
	s_and_b32 s1, s1, exec_lo
	s_delay_alu instid0(SALU_CYCLE_1)
	s_or_b32 s4, s4, s1
	s_or_b32 exec_lo, exec_lo, s6
	s_and_saveexec_b32 s6, s4
	s_cbranch_execnz .LBB298_195
	s_branch .LBB298_196
.LBB298_537:
	s_mov_b32 s6, -1
	s_mov_b32 s8, exec_lo
	v_cmpx_eq_u16_e32 0x80, v12
; %bb.538:
	s_xor_b32 s6, exec_lo, -1
; %bb.539:
	s_or_b32 exec_lo, exec_lo, s8
	s_delay_alu instid0(SALU_CYCLE_1)
	s_and_b32 s6, s6, exec_lo
                                        ; implicit-def: $vgpr12
	s_or_saveexec_b32 s7, s7
	v_mov_b32_e32 v11, 0x7f800001
	s_xor_b32 exec_lo, exec_lo, s7
	s_cbranch_execz .LBB298_200
.LBB298_540:
	v_cmp_ne_u16_e64 s1, 0, v12
	v_mov_b32_e32 v11, 0
	s_and_not1_b32 s6, s6, exec_lo
	s_and_b32 s1, s1, exec_lo
	s_delay_alu instid0(SALU_CYCLE_1)
	s_or_b32 s6, s6, s1
	s_or_b32 exec_lo, exec_lo, s7
	s_and_saveexec_b32 s1, s6
	s_cbranch_execnz .LBB298_201
	s_branch .LBB298_202
.LBB298_541:
	s_mov_b32 s6, -1
	s_mov_b32 s8, exec_lo
	v_cmpx_eq_u16_e32 0x80, v17
; %bb.542:
	s_xor_b32 s6, exec_lo, -1
; %bb.543:
	s_or_b32 exec_lo, exec_lo, s8
	s_delay_alu instid0(SALU_CYCLE_1)
	s_and_b32 s6, s6, exec_lo
                                        ; implicit-def: $vgpr17
	s_or_saveexec_b32 s7, s7
	v_mov_b32_e32 v12, 0x7f800001
	s_xor_b32 exec_lo, exec_lo, s7
	s_cbranch_execz .LBB298_204
.LBB298_544:
	v_cmp_ne_u16_e64 s1, 0, v17
	v_mov_b32_e32 v12, 0
	s_and_not1_b32 s6, s6, exec_lo
	s_and_b32 s1, s1, exec_lo
	s_delay_alu instid0(SALU_CYCLE_1)
	s_or_b32 s6, s6, s1
	s_or_b32 exec_lo, exec_lo, s7
	s_and_saveexec_b32 s7, s6
	s_cbranch_execnz .LBB298_205
	s_branch .LBB298_206
.LBB298_545:
	s_mov_b32 s4, -1
	s_mov_b32 s7, exec_lo
	v_cmpx_eq_u16_e32 0x80, v12
; %bb.546:
	s_xor_b32 s4, exec_lo, -1
; %bb.547:
	s_or_b32 exec_lo, exec_lo, s7
	s_delay_alu instid0(SALU_CYCLE_1)
	s_and_b32 s4, s4, exec_lo
                                        ; implicit-def: $vgpr12
	s_or_saveexec_b32 s6, s6
	v_mov_b32_e32 v11, 0x7f800001
	s_xor_b32 exec_lo, exec_lo, s6
	s_cbranch_execz .LBB298_212
.LBB298_548:
	v_cmp_ne_u16_e64 s1, 0, v12
	v_mov_b32_e32 v11, 0
	s_and_not1_b32 s4, s4, exec_lo
	s_and_b32 s1, s1, exec_lo
	s_delay_alu instid0(SALU_CYCLE_1)
	s_or_b32 s4, s4, s1
	s_or_b32 exec_lo, exec_lo, s6
	s_and_saveexec_b32 s1, s4
	s_cbranch_execnz .LBB298_213
	s_branch .LBB298_214
.LBB298_549:
	s_mov_b32 s4, -1
	s_mov_b32 s7, exec_lo
	v_cmpx_eq_u16_e32 0x80, v17
; %bb.550:
	s_xor_b32 s4, exec_lo, -1
; %bb.551:
	s_or_b32 exec_lo, exec_lo, s7
	s_delay_alu instid0(SALU_CYCLE_1)
	s_and_b32 s4, s4, exec_lo
                                        ; implicit-def: $vgpr17
	s_or_saveexec_b32 s6, s6
	v_mov_b32_e32 v12, 0x7f800001
	s_xor_b32 exec_lo, exec_lo, s6
	s_cbranch_execz .LBB298_216
.LBB298_552:
	v_cmp_ne_u16_e64 s1, 0, v17
	v_mov_b32_e32 v12, 0
	s_and_not1_b32 s4, s4, exec_lo
	s_and_b32 s1, s1, exec_lo
	s_delay_alu instid0(SALU_CYCLE_1)
	s_or_b32 s4, s4, s1
	s_or_b32 exec_lo, exec_lo, s6
	s_and_saveexec_b32 s6, s4
	s_cbranch_execnz .LBB298_217
	s_branch .LBB298_218
.LBB298_553:
	s_mov_b32 s6, -1
	s_mov_b32 s8, exec_lo
	v_cmpx_eq_u16_e32 0x80, v12
; %bb.554:
	s_xor_b32 s6, exec_lo, -1
; %bb.555:
	s_or_b32 exec_lo, exec_lo, s8
	s_delay_alu instid0(SALU_CYCLE_1)
	s_and_b32 s6, s6, exec_lo
                                        ; implicit-def: $vgpr12
	s_or_saveexec_b32 s7, s7
	v_mov_b32_e32 v11, 0x7f800001
	s_xor_b32 exec_lo, exec_lo, s7
	s_cbranch_execz .LBB298_222
.LBB298_556:
	v_cmp_ne_u16_e64 s1, 0, v12
	v_mov_b32_e32 v11, 0
	s_and_not1_b32 s6, s6, exec_lo
	s_and_b32 s1, s1, exec_lo
	s_delay_alu instid0(SALU_CYCLE_1)
	s_or_b32 s6, s6, s1
	s_or_b32 exec_lo, exec_lo, s7
	s_and_saveexec_b32 s1, s6
	s_cbranch_execnz .LBB298_223
	s_branch .LBB298_224
.LBB298_557:
	s_mov_b32 s6, -1
	s_mov_b32 s8, exec_lo
	v_cmpx_eq_u16_e32 0x80, v17
; %bb.558:
	s_xor_b32 s6, exec_lo, -1
; %bb.559:
	s_or_b32 exec_lo, exec_lo, s8
	s_delay_alu instid0(SALU_CYCLE_1)
	s_and_b32 s6, s6, exec_lo
                                        ; implicit-def: $vgpr17
	s_or_saveexec_b32 s7, s7
	v_mov_b32_e32 v12, 0x7f800001
	s_xor_b32 exec_lo, exec_lo, s7
	s_cbranch_execz .LBB298_226
.LBB298_560:
	v_cmp_ne_u16_e64 s1, 0, v17
	v_mov_b32_e32 v12, 0
	s_and_not1_b32 s6, s6, exec_lo
	s_and_b32 s1, s1, exec_lo
	s_delay_alu instid0(SALU_CYCLE_1)
	s_or_b32 s6, s6, s1
	s_or_b32 exec_lo, exec_lo, s7
	s_and_saveexec_b32 s7, s6
	s_cbranch_execnz .LBB298_227
	s_branch .LBB298_228
.LBB298_561:
	s_mov_b32 s4, -1
	s_mov_b32 s7, exec_lo
	v_cmpx_eq_u16_e32 0x80, v12
; %bb.562:
	s_xor_b32 s4, exec_lo, -1
; %bb.563:
	s_or_b32 exec_lo, exec_lo, s7
	s_delay_alu instid0(SALU_CYCLE_1)
	s_and_b32 s4, s4, exec_lo
                                        ; implicit-def: $vgpr12
	s_or_saveexec_b32 s6, s6
	v_mov_b32_e32 v11, 0x7f800001
	s_xor_b32 exec_lo, exec_lo, s6
	s_cbranch_execz .LBB298_234
.LBB298_564:
	v_cmp_ne_u16_e64 s1, 0, v12
	v_mov_b32_e32 v11, 0
	s_and_not1_b32 s4, s4, exec_lo
	s_and_b32 s1, s1, exec_lo
	s_delay_alu instid0(SALU_CYCLE_1)
	s_or_b32 s4, s4, s1
	s_or_b32 exec_lo, exec_lo, s6
	s_and_saveexec_b32 s1, s4
	s_cbranch_execnz .LBB298_235
	s_branch .LBB298_236
.LBB298_565:
	s_mov_b32 s4, -1
	s_mov_b32 s7, exec_lo
	v_cmpx_eq_u16_e32 0x80, v17
; %bb.566:
	s_xor_b32 s4, exec_lo, -1
; %bb.567:
	s_or_b32 exec_lo, exec_lo, s7
	s_delay_alu instid0(SALU_CYCLE_1)
	s_and_b32 s4, s4, exec_lo
                                        ; implicit-def: $vgpr17
	s_or_saveexec_b32 s6, s6
	v_mov_b32_e32 v12, 0x7f800001
	s_xor_b32 exec_lo, exec_lo, s6
	s_cbranch_execz .LBB298_238
.LBB298_568:
	v_cmp_ne_u16_e64 s1, 0, v17
	v_mov_b32_e32 v12, 0
	s_and_not1_b32 s4, s4, exec_lo
	s_and_b32 s1, s1, exec_lo
	s_delay_alu instid0(SALU_CYCLE_1)
	s_or_b32 s4, s4, s1
	s_or_b32 exec_lo, exec_lo, s6
	s_and_saveexec_b32 s6, s4
	s_cbranch_execnz .LBB298_239
	s_branch .LBB298_240
.LBB298_569:
	s_mov_b32 s6, -1
	s_mov_b32 s8, exec_lo
	v_cmpx_eq_u16_e32 0x80, v12
; %bb.570:
	s_xor_b32 s6, exec_lo, -1
; %bb.571:
	s_or_b32 exec_lo, exec_lo, s8
	s_delay_alu instid0(SALU_CYCLE_1)
	s_and_b32 s6, s6, exec_lo
                                        ; implicit-def: $vgpr12
	s_or_saveexec_b32 s7, s7
	v_mov_b32_e32 v11, 0x7f800001
	s_xor_b32 exec_lo, exec_lo, s7
	s_cbranch_execz .LBB298_244
.LBB298_572:
	v_cmp_ne_u16_e64 s1, 0, v12
	v_mov_b32_e32 v11, 0
	s_and_not1_b32 s6, s6, exec_lo
	s_and_b32 s1, s1, exec_lo
	s_delay_alu instid0(SALU_CYCLE_1)
	s_or_b32 s6, s6, s1
	s_or_b32 exec_lo, exec_lo, s7
	s_and_saveexec_b32 s1, s6
	s_cbranch_execnz .LBB298_245
	s_branch .LBB298_246
.LBB298_573:
	s_mov_b32 s6, -1
	s_mov_b32 s8, exec_lo
	v_cmpx_eq_u16_e32 0x80, v17
; %bb.574:
	s_xor_b32 s6, exec_lo, -1
; %bb.575:
	s_or_b32 exec_lo, exec_lo, s8
	s_delay_alu instid0(SALU_CYCLE_1)
	s_and_b32 s6, s6, exec_lo
                                        ; implicit-def: $vgpr17
	s_or_saveexec_b32 s7, s7
	v_mov_b32_e32 v12, 0x7f800001
	s_xor_b32 exec_lo, exec_lo, s7
	s_cbranch_execz .LBB298_248
.LBB298_576:
	v_cmp_ne_u16_e64 s1, 0, v17
	v_mov_b32_e32 v12, 0
	s_and_not1_b32 s6, s6, exec_lo
	s_and_b32 s1, s1, exec_lo
	s_delay_alu instid0(SALU_CYCLE_1)
	s_or_b32 s6, s6, s1
	s_or_b32 exec_lo, exec_lo, s7
	s_and_saveexec_b32 s7, s6
	s_cbranch_execnz .LBB298_249
	s_branch .LBB298_250
.LBB298_577:
	s_mov_b32 s4, -1
	s_mov_b32 s7, exec_lo
	v_cmpx_eq_u16_e32 0x80, v12
; %bb.578:
	s_xor_b32 s4, exec_lo, -1
; %bb.579:
	s_or_b32 exec_lo, exec_lo, s7
	s_delay_alu instid0(SALU_CYCLE_1)
	s_and_b32 s4, s4, exec_lo
                                        ; implicit-def: $vgpr12
	s_or_saveexec_b32 s6, s6
	v_mov_b32_e32 v11, 0x7f800001
	s_xor_b32 exec_lo, exec_lo, s6
	s_cbranch_execz .LBB298_256
.LBB298_580:
	v_cmp_ne_u16_e64 s1, 0, v12
	v_mov_b32_e32 v11, 0
	s_and_not1_b32 s4, s4, exec_lo
	s_and_b32 s1, s1, exec_lo
	s_delay_alu instid0(SALU_CYCLE_1)
	s_or_b32 s4, s4, s1
	s_or_b32 exec_lo, exec_lo, s6
	s_and_saveexec_b32 s1, s4
	s_cbranch_execnz .LBB298_257
	s_branch .LBB298_258
.LBB298_581:
	s_mov_b32 s4, -1
	s_mov_b32 s7, exec_lo
	v_cmpx_eq_u16_e32 0x80, v17
; %bb.582:
	s_xor_b32 s4, exec_lo, -1
; %bb.583:
	s_or_b32 exec_lo, exec_lo, s7
	s_delay_alu instid0(SALU_CYCLE_1)
	s_and_b32 s4, s4, exec_lo
                                        ; implicit-def: $vgpr17
	s_or_saveexec_b32 s6, s6
	v_mov_b32_e32 v12, 0x7f800001
	s_xor_b32 exec_lo, exec_lo, s6
	s_cbranch_execz .LBB298_260
.LBB298_584:
	v_cmp_ne_u16_e64 s1, 0, v17
	v_mov_b32_e32 v12, 0
	s_and_not1_b32 s4, s4, exec_lo
	s_and_b32 s1, s1, exec_lo
	s_delay_alu instid0(SALU_CYCLE_1)
	s_or_b32 s4, s4, s1
	s_or_b32 exec_lo, exec_lo, s6
	s_and_saveexec_b32 s6, s4
	s_cbranch_execnz .LBB298_261
	s_branch .LBB298_262
.LBB298_585:
	s_mov_b32 s6, -1
	s_mov_b32 s8, exec_lo
	v_cmpx_eq_u16_e32 0x80, v12
; %bb.586:
	s_xor_b32 s6, exec_lo, -1
; %bb.587:
	s_or_b32 exec_lo, exec_lo, s8
	s_delay_alu instid0(SALU_CYCLE_1)
	s_and_b32 s6, s6, exec_lo
                                        ; implicit-def: $vgpr12
	s_or_saveexec_b32 s7, s7
	v_mov_b32_e32 v11, 0x7f800001
	s_xor_b32 exec_lo, exec_lo, s7
	s_cbranch_execz .LBB298_266
.LBB298_588:
	v_cmp_ne_u16_e64 s1, 0, v12
	v_mov_b32_e32 v11, 0
	s_and_not1_b32 s6, s6, exec_lo
	s_and_b32 s1, s1, exec_lo
	s_delay_alu instid0(SALU_CYCLE_1)
	s_or_b32 s6, s6, s1
	s_or_b32 exec_lo, exec_lo, s7
	s_and_saveexec_b32 s1, s6
	s_cbranch_execnz .LBB298_267
	s_branch .LBB298_268
.LBB298_589:
	s_mov_b32 s6, -1
	s_mov_b32 s8, exec_lo
	v_cmpx_eq_u16_e32 0x80, v17
; %bb.590:
	s_xor_b32 s6, exec_lo, -1
; %bb.591:
	s_or_b32 exec_lo, exec_lo, s8
	s_delay_alu instid0(SALU_CYCLE_1)
	s_and_b32 s6, s6, exec_lo
                                        ; implicit-def: $vgpr17
	s_or_saveexec_b32 s7, s7
	v_mov_b32_e32 v12, 0x7f800001
	s_xor_b32 exec_lo, exec_lo, s7
	s_cbranch_execz .LBB298_270
.LBB298_592:
	v_cmp_ne_u16_e64 s1, 0, v17
	v_mov_b32_e32 v12, 0
	s_and_not1_b32 s6, s6, exec_lo
	s_and_b32 s1, s1, exec_lo
	s_delay_alu instid0(SALU_CYCLE_1)
	s_or_b32 s6, s6, s1
	s_or_b32 exec_lo, exec_lo, s7
	s_and_saveexec_b32 s7, s6
	s_cbranch_execnz .LBB298_271
	s_branch .LBB298_272
.LBB298_593:
	s_mov_b32 s4, -1
	s_mov_b32 s7, exec_lo
	v_cmpx_eq_u16_e32 0x80, v12
; %bb.594:
	s_xor_b32 s4, exec_lo, -1
; %bb.595:
	s_or_b32 exec_lo, exec_lo, s7
	s_delay_alu instid0(SALU_CYCLE_1)
	s_and_b32 s4, s4, exec_lo
                                        ; implicit-def: $vgpr12
	s_or_saveexec_b32 s6, s6
	v_mov_b32_e32 v11, 0x7f800001
	s_xor_b32 exec_lo, exec_lo, s6
	s_cbranch_execz .LBB298_278
.LBB298_596:
	v_cmp_ne_u16_e64 s1, 0, v12
	v_mov_b32_e32 v11, 0
	s_and_not1_b32 s4, s4, exec_lo
	s_and_b32 s1, s1, exec_lo
	s_delay_alu instid0(SALU_CYCLE_1)
	s_or_b32 s4, s4, s1
	s_or_b32 exec_lo, exec_lo, s6
	s_and_saveexec_b32 s1, s4
	s_cbranch_execnz .LBB298_279
	s_branch .LBB298_280
.LBB298_597:
	s_mov_b32 s4, -1
	s_mov_b32 s7, exec_lo
	v_cmpx_eq_u16_e32 0x80, v17
; %bb.598:
	s_xor_b32 s4, exec_lo, -1
; %bb.599:
	s_or_b32 exec_lo, exec_lo, s7
	s_delay_alu instid0(SALU_CYCLE_1)
	s_and_b32 s4, s4, exec_lo
                                        ; implicit-def: $vgpr17
	s_or_saveexec_b32 s6, s6
	v_mov_b32_e32 v12, 0x7f800001
	s_xor_b32 exec_lo, exec_lo, s6
	s_cbranch_execz .LBB298_282
.LBB298_600:
	v_cmp_ne_u16_e64 s1, 0, v17
	v_mov_b32_e32 v12, 0
	s_and_not1_b32 s4, s4, exec_lo
	s_and_b32 s1, s1, exec_lo
	s_delay_alu instid0(SALU_CYCLE_1)
	s_or_b32 s4, s4, s1
	s_or_b32 exec_lo, exec_lo, s6
	s_and_saveexec_b32 s6, s4
	s_cbranch_execnz .LBB298_283
	s_branch .LBB298_284
.LBB298_601:
	s_mov_b32 s6, -1
	s_mov_b32 s8, exec_lo
	v_cmpx_eq_u16_e32 0x80, v12
; %bb.602:
	s_xor_b32 s6, exec_lo, -1
; %bb.603:
	s_or_b32 exec_lo, exec_lo, s8
	s_delay_alu instid0(SALU_CYCLE_1)
	s_and_b32 s6, s6, exec_lo
                                        ; implicit-def: $vgpr12
	s_or_saveexec_b32 s7, s7
	v_mov_b32_e32 v11, 0x7f800001
	s_xor_b32 exec_lo, exec_lo, s7
	s_cbranch_execz .LBB298_288
.LBB298_604:
	v_cmp_ne_u16_e64 s1, 0, v12
	v_mov_b32_e32 v11, 0
	s_and_not1_b32 s6, s6, exec_lo
	s_and_b32 s1, s1, exec_lo
	s_delay_alu instid0(SALU_CYCLE_1)
	s_or_b32 s6, s6, s1
	s_or_b32 exec_lo, exec_lo, s7
	s_and_saveexec_b32 s1, s6
	s_cbranch_execnz .LBB298_289
	s_branch .LBB298_290
.LBB298_605:
	s_mov_b32 s6, -1
	s_mov_b32 s8, exec_lo
	v_cmpx_eq_u16_e32 0x80, v17
; %bb.606:
	s_xor_b32 s6, exec_lo, -1
; %bb.607:
	s_or_b32 exec_lo, exec_lo, s8
	s_delay_alu instid0(SALU_CYCLE_1)
	s_and_b32 s6, s6, exec_lo
                                        ; implicit-def: $vgpr17
	s_or_saveexec_b32 s7, s7
	v_mov_b32_e32 v12, 0x7f800001
	s_xor_b32 exec_lo, exec_lo, s7
	s_cbranch_execz .LBB298_292
.LBB298_608:
	v_cmp_ne_u16_e64 s1, 0, v17
	v_mov_b32_e32 v12, 0
	s_and_not1_b32 s6, s6, exec_lo
	s_and_b32 s1, s1, exec_lo
	s_delay_alu instid0(SALU_CYCLE_1)
	s_or_b32 s6, s6, s1
	s_or_b32 exec_lo, exec_lo, s7
	s_and_saveexec_b32 s7, s6
	s_cbranch_execnz .LBB298_293
	s_branch .LBB298_294
.LBB298_609:
	s_mov_b32 s4, -1
	s_mov_b32 s7, exec_lo
	v_cmpx_eq_u16_e32 0x80, v12
; %bb.610:
	s_xor_b32 s4, exec_lo, -1
; %bb.611:
	s_or_b32 exec_lo, exec_lo, s7
	s_delay_alu instid0(SALU_CYCLE_1)
	s_and_b32 s4, s4, exec_lo
                                        ; implicit-def: $vgpr12
	s_or_saveexec_b32 s6, s6
	v_mov_b32_e32 v11, 0x7f800001
	s_xor_b32 exec_lo, exec_lo, s6
	s_cbranch_execz .LBB298_300
.LBB298_612:
	v_cmp_ne_u16_e64 s1, 0, v12
	v_mov_b32_e32 v11, 0
	s_and_not1_b32 s4, s4, exec_lo
	s_and_b32 s1, s1, exec_lo
	s_delay_alu instid0(SALU_CYCLE_1)
	s_or_b32 s4, s4, s1
	s_or_b32 exec_lo, exec_lo, s6
	s_and_saveexec_b32 s1, s4
	s_cbranch_execnz .LBB298_301
	s_branch .LBB298_302
.LBB298_613:
	s_mov_b32 s4, -1
	s_mov_b32 s7, exec_lo
	v_cmpx_eq_u16_e32 0x80, v17
; %bb.614:
	s_xor_b32 s4, exec_lo, -1
; %bb.615:
	s_or_b32 exec_lo, exec_lo, s7
	s_delay_alu instid0(SALU_CYCLE_1)
	s_and_b32 s4, s4, exec_lo
                                        ; implicit-def: $vgpr17
	s_or_saveexec_b32 s6, s6
	v_mov_b32_e32 v12, 0x7f800001
	s_xor_b32 exec_lo, exec_lo, s6
	s_cbranch_execz .LBB298_304
.LBB298_616:
	v_cmp_ne_u16_e64 s1, 0, v17
	v_mov_b32_e32 v12, 0
	s_and_not1_b32 s4, s4, exec_lo
	s_and_b32 s1, s1, exec_lo
	s_delay_alu instid0(SALU_CYCLE_1)
	s_or_b32 s4, s4, s1
	s_or_b32 exec_lo, exec_lo, s6
	s_and_saveexec_b32 s6, s4
	s_cbranch_execnz .LBB298_305
	s_branch .LBB298_306
.LBB298_617:
	s_mov_b32 s6, -1
	s_mov_b32 s8, exec_lo
	v_cmpx_eq_u16_e32 0x80, v12
; %bb.618:
	s_xor_b32 s6, exec_lo, -1
; %bb.619:
	s_or_b32 exec_lo, exec_lo, s8
	s_delay_alu instid0(SALU_CYCLE_1)
	s_and_b32 s6, s6, exec_lo
                                        ; implicit-def: $vgpr12
	s_or_saveexec_b32 s7, s7
	v_mov_b32_e32 v11, 0x7f800001
	s_xor_b32 exec_lo, exec_lo, s7
	s_cbranch_execz .LBB298_310
.LBB298_620:
	v_cmp_ne_u16_e64 s1, 0, v12
	v_mov_b32_e32 v11, 0
	s_and_not1_b32 s6, s6, exec_lo
	s_and_b32 s1, s1, exec_lo
	s_delay_alu instid0(SALU_CYCLE_1)
	s_or_b32 s6, s6, s1
	s_or_b32 exec_lo, exec_lo, s7
	s_and_saveexec_b32 s1, s6
	s_cbranch_execnz .LBB298_311
	s_branch .LBB298_312
.LBB298_621:
	s_mov_b32 s6, -1
	s_mov_b32 s8, exec_lo
	v_cmpx_eq_u16_e32 0x80, v17
; %bb.622:
	s_xor_b32 s6, exec_lo, -1
; %bb.623:
	s_or_b32 exec_lo, exec_lo, s8
	s_delay_alu instid0(SALU_CYCLE_1)
	s_and_b32 s6, s6, exec_lo
                                        ; implicit-def: $vgpr17
	s_or_saveexec_b32 s7, s7
	v_mov_b32_e32 v12, 0x7f800001
	s_xor_b32 exec_lo, exec_lo, s7
	s_cbranch_execz .LBB298_314
.LBB298_624:
	v_cmp_ne_u16_e64 s1, 0, v17
	v_mov_b32_e32 v12, 0
	s_and_not1_b32 s6, s6, exec_lo
	s_and_b32 s1, s1, exec_lo
	s_delay_alu instid0(SALU_CYCLE_1)
	s_or_b32 s6, s6, s1
	s_or_b32 exec_lo, exec_lo, s7
	s_and_saveexec_b32 s7, s6
	s_cbranch_execnz .LBB298_315
	s_branch .LBB298_316
.LBB298_625:
	s_mov_b32 s4, -1
	s_mov_b32 s7, exec_lo
	v_cmpx_eq_u16_e32 0x80, v12
; %bb.626:
	s_xor_b32 s4, exec_lo, -1
; %bb.627:
	s_or_b32 exec_lo, exec_lo, s7
	s_delay_alu instid0(SALU_CYCLE_1)
	s_and_b32 s4, s4, exec_lo
                                        ; implicit-def: $vgpr12
	s_or_saveexec_b32 s6, s6
	v_mov_b32_e32 v11, 0x7f800001
	s_xor_b32 exec_lo, exec_lo, s6
	s_cbranch_execz .LBB298_322
.LBB298_628:
	v_cmp_ne_u16_e64 s1, 0, v12
	v_mov_b32_e32 v11, 0
	s_and_not1_b32 s4, s4, exec_lo
	s_and_b32 s1, s1, exec_lo
	s_delay_alu instid0(SALU_CYCLE_1)
	s_or_b32 s4, s4, s1
	s_or_b32 exec_lo, exec_lo, s6
	s_and_saveexec_b32 s1, s4
	s_cbranch_execnz .LBB298_323
	s_branch .LBB298_324
.LBB298_629:
	s_mov_b32 s4, -1
	s_mov_b32 s7, exec_lo
	v_cmpx_eq_u16_e32 0x80, v16
; %bb.630:
	s_xor_b32 s4, exec_lo, -1
; %bb.631:
	s_or_b32 exec_lo, exec_lo, s7
	s_delay_alu instid0(SALU_CYCLE_1)
	s_and_b32 s4, s4, exec_lo
                                        ; implicit-def: $vgpr16
	s_or_saveexec_b32 s6, s6
	v_mov_b32_e32 v12, 0x7f800001
	s_xor_b32 exec_lo, exec_lo, s6
	s_cbranch_execz .LBB298_326
.LBB298_632:
	v_cmp_ne_u16_e64 s1, 0, v16
	v_mov_b32_e32 v12, 0
	s_and_not1_b32 s4, s4, exec_lo
	s_and_b32 s1, s1, exec_lo
	s_delay_alu instid0(SALU_CYCLE_1)
	s_or_b32 s4, s4, s1
	s_or_b32 exec_lo, exec_lo, s6
	s_and_saveexec_b32 s6, s4
	s_cbranch_execnz .LBB298_327
	s_branch .LBB298_328
.LBB298_633:
	s_mov_b32 s6, -1
	s_mov_b32 s8, exec_lo
	v_cmpx_eq_u16_e32 0x80, v12
; %bb.634:
	s_xor_b32 s6, exec_lo, -1
; %bb.635:
	s_or_b32 exec_lo, exec_lo, s8
	s_delay_alu instid0(SALU_CYCLE_1)
	s_and_b32 s6, s6, exec_lo
                                        ; implicit-def: $vgpr12
	s_or_saveexec_b32 s7, s7
	v_mov_b32_e32 v11, 0x7f800001
	s_xor_b32 exec_lo, exec_lo, s7
	s_cbranch_execz .LBB298_332
.LBB298_636:
	v_cmp_ne_u16_e64 s1, 0, v12
	v_mov_b32_e32 v11, 0
	s_and_not1_b32 s6, s6, exec_lo
	s_and_b32 s1, s1, exec_lo
	s_delay_alu instid0(SALU_CYCLE_1)
	s_or_b32 s6, s6, s1
	s_or_b32 exec_lo, exec_lo, s7
	s_and_saveexec_b32 s1, s6
	s_cbranch_execnz .LBB298_333
	s_branch .LBB298_334
.LBB298_637:
	s_mov_b32 s6, -1
	s_mov_b32 s8, exec_lo
	v_cmpx_eq_u16_e32 0x80, v16
; %bb.638:
	s_xor_b32 s6, exec_lo, -1
; %bb.639:
	s_or_b32 exec_lo, exec_lo, s8
	s_delay_alu instid0(SALU_CYCLE_1)
	s_and_b32 s6, s6, exec_lo
                                        ; implicit-def: $vgpr16
	s_or_saveexec_b32 s7, s7
	v_mov_b32_e32 v12, 0x7f800001
	s_xor_b32 exec_lo, exec_lo, s7
	s_cbranch_execz .LBB298_336
.LBB298_640:
	v_cmp_ne_u16_e64 s1, 0, v16
	v_mov_b32_e32 v12, 0
	s_and_not1_b32 s6, s6, exec_lo
	s_and_b32 s1, s1, exec_lo
	s_delay_alu instid0(SALU_CYCLE_1)
	s_or_b32 s6, s6, s1
	s_or_b32 exec_lo, exec_lo, s7
	s_and_saveexec_b32 s7, s6
	s_cbranch_execnz .LBB298_337
	s_branch .LBB298_338
.LBB298_641:
	s_mov_b32 s4, -1
	s_mov_b32 s7, exec_lo
	v_cmpx_eq_u16_e32 0x80, v12
; %bb.642:
	s_xor_b32 s4, exec_lo, -1
; %bb.643:
	s_or_b32 exec_lo, exec_lo, s7
	s_delay_alu instid0(SALU_CYCLE_1)
	s_and_b32 s4, s4, exec_lo
                                        ; implicit-def: $vgpr12
	s_or_saveexec_b32 s6, s6
	v_mov_b32_e32 v11, 0x7f800001
	s_xor_b32 exec_lo, exec_lo, s6
	s_cbranch_execz .LBB298_344
.LBB298_644:
	v_cmp_ne_u16_e64 s1, 0, v12
	v_mov_b32_e32 v11, 0
	s_and_not1_b32 s4, s4, exec_lo
	s_and_b32 s1, s1, exec_lo
	s_delay_alu instid0(SALU_CYCLE_1)
	s_or_b32 s4, s4, s1
	s_or_b32 exec_lo, exec_lo, s6
	s_and_saveexec_b32 s1, s4
	s_cbranch_execnz .LBB298_345
	s_branch .LBB298_346
.LBB298_645:
	s_mov_b32 s4, -1
	s_mov_b32 s7, exec_lo
	v_cmpx_eq_u16_e32 0x80, v14
; %bb.646:
	s_xor_b32 s4, exec_lo, -1
; %bb.647:
	s_or_b32 exec_lo, exec_lo, s7
	s_delay_alu instid0(SALU_CYCLE_1)
	s_and_b32 s4, s4, exec_lo
                                        ; implicit-def: $vgpr14
	s_or_saveexec_b32 s6, s6
	v_mov_b32_e32 v12, 0x7f800001
	s_xor_b32 exec_lo, exec_lo, s6
	s_cbranch_execz .LBB298_348
.LBB298_648:
	v_cmp_ne_u16_e64 s1, 0, v14
	v_mov_b32_e32 v12, 0
	s_and_not1_b32 s4, s4, exec_lo
	s_and_b32 s1, s1, exec_lo
	s_delay_alu instid0(SALU_CYCLE_1)
	s_or_b32 s4, s4, s1
	s_or_b32 exec_lo, exec_lo, s6
	s_and_saveexec_b32 s6, s4
	s_cbranch_execnz .LBB298_349
	s_branch .LBB298_350
.LBB298_649:
	s_mov_b32 s6, -1
	s_mov_b32 s8, exec_lo
	v_cmpx_eq_u16_e32 0x80, v12
; %bb.650:
	s_xor_b32 s6, exec_lo, -1
; %bb.651:
	s_or_b32 exec_lo, exec_lo, s8
	s_delay_alu instid0(SALU_CYCLE_1)
	s_and_b32 s6, s6, exec_lo
                                        ; implicit-def: $vgpr12
	s_or_saveexec_b32 s7, s7
	v_mov_b32_e32 v11, 0x7f800001
	s_xor_b32 exec_lo, exec_lo, s7
	s_cbranch_execz .LBB298_354
.LBB298_652:
	v_cmp_ne_u16_e64 s1, 0, v12
	v_mov_b32_e32 v11, 0
	s_and_not1_b32 s6, s6, exec_lo
	s_and_b32 s1, s1, exec_lo
	s_delay_alu instid0(SALU_CYCLE_1)
	s_or_b32 s6, s6, s1
	s_or_b32 exec_lo, exec_lo, s7
	s_and_saveexec_b32 s1, s6
	s_cbranch_execnz .LBB298_355
	s_branch .LBB298_356
.LBB298_653:
	s_mov_b32 s6, -1
	s_mov_b32 s8, exec_lo
	v_cmpx_eq_u16_e32 0x80, v14
; %bb.654:
	s_xor_b32 s6, exec_lo, -1
; %bb.655:
	s_or_b32 exec_lo, exec_lo, s8
	s_delay_alu instid0(SALU_CYCLE_1)
	s_and_b32 s6, s6, exec_lo
                                        ; implicit-def: $vgpr14
	s_or_saveexec_b32 s7, s7
	v_mov_b32_e32 v12, 0x7f800001
	s_xor_b32 exec_lo, exec_lo, s7
	s_cbranch_execz .LBB298_358
.LBB298_656:
	v_cmp_ne_u16_e64 s1, 0, v14
	v_mov_b32_e32 v12, 0
	s_and_not1_b32 s6, s6, exec_lo
	s_and_b32 s1, s1, exec_lo
	s_delay_alu instid0(SALU_CYCLE_1)
	s_or_b32 s6, s6, s1
	s_or_b32 exec_lo, exec_lo, s7
	s_and_saveexec_b32 s7, s6
	s_cbranch_execnz .LBB298_359
	s_branch .LBB298_360
.LBB298_657:
	s_mov_b32 s1, -1
	s_mov_b32 s6, exec_lo
	v_cmpx_eq_u16_e32 0x80, v11
; %bb.658:
	s_xor_b32 s1, exec_lo, -1
; %bb.659:
	s_or_b32 exec_lo, exec_lo, s6
	s_delay_alu instid0(SALU_CYCLE_1)
	s_and_b32 s1, s1, exec_lo
                                        ; implicit-def: $vgpr11
	s_or_saveexec_b32 s5, s5
	v_mov_b32_e32 v1, 0x7f800001
	s_xor_b32 exec_lo, exec_lo, s5
	s_cbranch_execz .LBB298_383
.LBB298_660:
	v_cmp_ne_u16_e64 s0, 0, v11
	v_mov_b32_e32 v1, 0
	s_and_not1_b32 s1, s1, exec_lo
	s_and_b32 s0, s0, exec_lo
	s_delay_alu instid0(SALU_CYCLE_1)
	s_or_b32 s1, s1, s0
	s_or_b32 exec_lo, exec_lo, s5
	s_and_saveexec_b32 s0, s1
	s_cbranch_execnz .LBB298_384
	s_branch .LBB298_385
.LBB298_661:
	s_mov_b32 s1, -1
	s_mov_b32 s6, exec_lo
	v_cmpx_eq_u16_e32 0x80, v11
; %bb.662:
	s_xor_b32 s1, exec_lo, -1
; %bb.663:
	s_or_b32 exec_lo, exec_lo, s6
	s_delay_alu instid0(SALU_CYCLE_1)
	s_and_b32 s1, s1, exec_lo
                                        ; implicit-def: $vgpr11
	s_or_saveexec_b32 s5, s5
	v_mov_b32_e32 v0, 0x7f800001
	s_xor_b32 exec_lo, exec_lo, s5
	s_cbranch_execz .LBB298_387
.LBB298_664:
	v_cmp_ne_u16_e64 s0, 0, v11
	v_mov_b32_e32 v0, 0
	s_and_not1_b32 s1, s1, exec_lo
	s_and_b32 s0, s0, exec_lo
	s_delay_alu instid0(SALU_CYCLE_1)
	s_or_b32 s1, s1, s0
	s_or_b32 exec_lo, exec_lo, s5
	s_and_saveexec_b32 s5, s1
	s_cbranch_execnz .LBB298_388
	s_branch .LBB298_389
.LBB298_665:
	s_mov_b32 s5, -1
	s_mov_b32 s7, exec_lo
	v_cmpx_eq_u16_e32 0x80, v11
; %bb.666:
	s_xor_b32 s5, exec_lo, -1
; %bb.667:
	s_or_b32 exec_lo, exec_lo, s7
	s_delay_alu instid0(SALU_CYCLE_1)
	s_and_b32 s5, s5, exec_lo
                                        ; implicit-def: $vgpr11
	s_or_saveexec_b32 s6, s6
	v_mov_b32_e32 v1, 0x7f800001
	s_xor_b32 exec_lo, exec_lo, s6
	s_cbranch_execz .LBB298_393
.LBB298_668:
	v_cmp_ne_u16_e64 s0, 0, v11
	v_mov_b32_e32 v1, 0
	s_and_not1_b32 s5, s5, exec_lo
	s_and_b32 s0, s0, exec_lo
	s_delay_alu instid0(SALU_CYCLE_1)
	s_or_b32 s5, s5, s0
	s_or_b32 exec_lo, exec_lo, s6
	s_and_saveexec_b32 s0, s5
	s_cbranch_execnz .LBB298_394
	s_branch .LBB298_395
.LBB298_669:
	s_mov_b32 s5, -1
	s_mov_b32 s7, exec_lo
	v_cmpx_eq_u16_e32 0x80, v11
; %bb.670:
	s_xor_b32 s5, exec_lo, -1
; %bb.671:
	s_or_b32 exec_lo, exec_lo, s7
	s_delay_alu instid0(SALU_CYCLE_1)
	s_and_b32 s5, s5, exec_lo
                                        ; implicit-def: $vgpr11
	s_or_saveexec_b32 s6, s6
	v_mov_b32_e32 v0, 0x7f800001
	s_xor_b32 exec_lo, exec_lo, s6
	s_cbranch_execz .LBB298_397
.LBB298_672:
	v_cmp_ne_u16_e64 s0, 0, v11
	v_mov_b32_e32 v0, 0
	s_and_not1_b32 s5, s5, exec_lo
	s_and_b32 s0, s0, exec_lo
	s_delay_alu instid0(SALU_CYCLE_1)
	s_or_b32 s5, s5, s0
	s_or_b32 exec_lo, exec_lo, s6
	s_and_saveexec_b32 s6, s5
	s_cbranch_execnz .LBB298_398
	s_branch .LBB298_399
.Lfunc_end298:
	.size	_ZN2at6native25elementwise_kernel_helperILb0ENS0_13AUnaryFunctorIN3c1015Float8_e4m3fnuzES4_bNS0_12_GLOBAL__N_116CompareEqFunctorIS4_EEEENS0_6memory8policies11unroll_baseILi256ESt5arrayIPcLm2EE23TrivialOffsetCalculatorILi1EjESG_NS9_15LoadWithoutCastENS9_16StoreWithoutCastELi16ELi1EEEEEvT0_T1_, .Lfunc_end298-_ZN2at6native25elementwise_kernel_helperILb0ENS0_13AUnaryFunctorIN3c1015Float8_e4m3fnuzES4_bNS0_12_GLOBAL__N_116CompareEqFunctorIS4_EEEENS0_6memory8policies11unroll_baseILi256ESt5arrayIPcLm2EE23TrivialOffsetCalculatorILi1EjESG_NS9_15LoadWithoutCastENS9_16StoreWithoutCastELi16ELi1EEEEEvT0_T1_
                                        ; -- End function
	.set .L_ZN2at6native25elementwise_kernel_helperILb0ENS0_13AUnaryFunctorIN3c1015Float8_e4m3fnuzES4_bNS0_12_GLOBAL__N_116CompareEqFunctorIS4_EEEENS0_6memory8policies11unroll_baseILi256ESt5arrayIPcLm2EE23TrivialOffsetCalculatorILi1EjESG_NS9_15LoadWithoutCastENS9_16StoreWithoutCastELi16ELi1EEEEEvT0_T1_.num_vgpr, 32
	.set .L_ZN2at6native25elementwise_kernel_helperILb0ENS0_13AUnaryFunctorIN3c1015Float8_e4m3fnuzES4_bNS0_12_GLOBAL__N_116CompareEqFunctorIS4_EEEENS0_6memory8policies11unroll_baseILi256ESt5arrayIPcLm2EE23TrivialOffsetCalculatorILi1EjESG_NS9_15LoadWithoutCastENS9_16StoreWithoutCastELi16ELi1EEEEEvT0_T1_.num_agpr, 0
	.set .L_ZN2at6native25elementwise_kernel_helperILb0ENS0_13AUnaryFunctorIN3c1015Float8_e4m3fnuzES4_bNS0_12_GLOBAL__N_116CompareEqFunctorIS4_EEEENS0_6memory8policies11unroll_baseILi256ESt5arrayIPcLm2EE23TrivialOffsetCalculatorILi1EjESG_NS9_15LoadWithoutCastENS9_16StoreWithoutCastELi16ELi1EEEEEvT0_T1_.numbered_sgpr, 32
	.set .L_ZN2at6native25elementwise_kernel_helperILb0ENS0_13AUnaryFunctorIN3c1015Float8_e4m3fnuzES4_bNS0_12_GLOBAL__N_116CompareEqFunctorIS4_EEEENS0_6memory8policies11unroll_baseILi256ESt5arrayIPcLm2EE23TrivialOffsetCalculatorILi1EjESG_NS9_15LoadWithoutCastENS9_16StoreWithoutCastELi16ELi1EEEEEvT0_T1_.num_named_barrier, 0
	.set .L_ZN2at6native25elementwise_kernel_helperILb0ENS0_13AUnaryFunctorIN3c1015Float8_e4m3fnuzES4_bNS0_12_GLOBAL__N_116CompareEqFunctorIS4_EEEENS0_6memory8policies11unroll_baseILi256ESt5arrayIPcLm2EE23TrivialOffsetCalculatorILi1EjESG_NS9_15LoadWithoutCastENS9_16StoreWithoutCastELi16ELi1EEEEEvT0_T1_.private_seg_size, 0
	.set .L_ZN2at6native25elementwise_kernel_helperILb0ENS0_13AUnaryFunctorIN3c1015Float8_e4m3fnuzES4_bNS0_12_GLOBAL__N_116CompareEqFunctorIS4_EEEENS0_6memory8policies11unroll_baseILi256ESt5arrayIPcLm2EE23TrivialOffsetCalculatorILi1EjESG_NS9_15LoadWithoutCastENS9_16StoreWithoutCastELi16ELi1EEEEEvT0_T1_.uses_vcc, 1
	.set .L_ZN2at6native25elementwise_kernel_helperILb0ENS0_13AUnaryFunctorIN3c1015Float8_e4m3fnuzES4_bNS0_12_GLOBAL__N_116CompareEqFunctorIS4_EEEENS0_6memory8policies11unroll_baseILi256ESt5arrayIPcLm2EE23TrivialOffsetCalculatorILi1EjESG_NS9_15LoadWithoutCastENS9_16StoreWithoutCastELi16ELi1EEEEEvT0_T1_.uses_flat_scratch, 0
	.set .L_ZN2at6native25elementwise_kernel_helperILb0ENS0_13AUnaryFunctorIN3c1015Float8_e4m3fnuzES4_bNS0_12_GLOBAL__N_116CompareEqFunctorIS4_EEEENS0_6memory8policies11unroll_baseILi256ESt5arrayIPcLm2EE23TrivialOffsetCalculatorILi1EjESG_NS9_15LoadWithoutCastENS9_16StoreWithoutCastELi16ELi1EEEEEvT0_T1_.has_dyn_sized_stack, 0
	.set .L_ZN2at6native25elementwise_kernel_helperILb0ENS0_13AUnaryFunctorIN3c1015Float8_e4m3fnuzES4_bNS0_12_GLOBAL__N_116CompareEqFunctorIS4_EEEENS0_6memory8policies11unroll_baseILi256ESt5arrayIPcLm2EE23TrivialOffsetCalculatorILi1EjESG_NS9_15LoadWithoutCastENS9_16StoreWithoutCastELi16ELi1EEEEEvT0_T1_.has_recursion, 0
	.set .L_ZN2at6native25elementwise_kernel_helperILb0ENS0_13AUnaryFunctorIN3c1015Float8_e4m3fnuzES4_bNS0_12_GLOBAL__N_116CompareEqFunctorIS4_EEEENS0_6memory8policies11unroll_baseILi256ESt5arrayIPcLm2EE23TrivialOffsetCalculatorILi1EjESG_NS9_15LoadWithoutCastENS9_16StoreWithoutCastELi16ELi1EEEEEvT0_T1_.has_indirect_call, 0
	.section	.AMDGPU.csdata,"",@progbits
; Function info:
; codeLenInByte = 20296
; TotalNumSgprs: 34
; NumVgprs: 32
; ScratchSize: 0
; MemoryBound: 0
	.section	.text._ZN2at6native29vectorized_elementwise_kernelILi16ENS0_13AUnaryFunctorIN3c1015Float8_e4m3fnuzES4_bNS0_12_GLOBAL__N_116CompareEqFunctorIS4_EEEESt5arrayIPcLm2EEEEviT0_T1_,"axG",@progbits,_ZN2at6native29vectorized_elementwise_kernelILi16ENS0_13AUnaryFunctorIN3c1015Float8_e4m3fnuzES4_bNS0_12_GLOBAL__N_116CompareEqFunctorIS4_EEEESt5arrayIPcLm2EEEEviT0_T1_,comdat
	.globl	_ZN2at6native29vectorized_elementwise_kernelILi16ENS0_13AUnaryFunctorIN3c1015Float8_e4m3fnuzES4_bNS0_12_GLOBAL__N_116CompareEqFunctorIS4_EEEESt5arrayIPcLm2EEEEviT0_T1_ ; -- Begin function _ZN2at6native29vectorized_elementwise_kernelILi16ENS0_13AUnaryFunctorIN3c1015Float8_e4m3fnuzES4_bNS0_12_GLOBAL__N_116CompareEqFunctorIS4_EEEESt5arrayIPcLm2EEEEviT0_T1_
	.p2align	8
	.type	_ZN2at6native29vectorized_elementwise_kernelILi16ENS0_13AUnaryFunctorIN3c1015Float8_e4m3fnuzES4_bNS0_12_GLOBAL__N_116CompareEqFunctorIS4_EEEESt5arrayIPcLm2EEEEviT0_T1_,@function
_ZN2at6native29vectorized_elementwise_kernelILi16ENS0_13AUnaryFunctorIN3c1015Float8_e4m3fnuzES4_bNS0_12_GLOBAL__N_116CompareEqFunctorIS4_EEEESt5arrayIPcLm2EEEEviT0_T1_: ; @_ZN2at6native29vectorized_elementwise_kernelILi16ENS0_13AUnaryFunctorIN3c1015Float8_e4m3fnuzES4_bNS0_12_GLOBAL__N_116CompareEqFunctorIS4_EEEESt5arrayIPcLm2EEEEviT0_T1_
; %bb.0:
	s_clause 0x1
	s_load_b96 s[8:10], s[0:1], 0x0
	s_load_b128 s[4:7], s[0:1], 0x10
	s_wait_xcnt 0x0
	s_bfe_u32 s0, ttmp6, 0x4000c
	s_and_b32 s1, ttmp6, 15
	s_add_co_i32 s0, s0, 1
	s_getreg_b32 s2, hwreg(HW_REG_IB_STS2, 6, 4)
	s_mul_i32 s0, ttmp9, s0
	s_mov_b32 s32, 0
	s_add_co_i32 s1, s1, s0
	s_cmp_eq_u32 s2, 0
	s_cselect_b32 s0, ttmp9, s1
	s_mov_b32 s1, -1
	s_lshl_b32 s0, s0, 12
	s_wait_kmcnt 0x0
	s_sub_co_i32 s2, s8, s0
	s_delay_alu instid0(SALU_CYCLE_1)
	s_cmp_gt_i32 s2, 0xfff
	s_cbranch_scc1 .LBB299_3
; %bb.1:
	s_and_b32 vcc_lo, exec_lo, s1
	s_cbranch_vccnz .LBB299_576
.LBB299_2:
	s_sendmsg sendmsg(MSG_DEALLOC_VGPRS)
	s_endpgm
.LBB299_3:
	s_ashr_i32 s1, s0, 31
	s_cmp_lg_u32 s9, 0
	s_add_nc_u64 s[12:13], s[6:7], s[0:1]
	s_cselect_b32 s11, -1, 0
	global_load_b128 v[2:5], v0, s[12:13] scale_offset
	s_and_b32 s3, s10, 7
	s_wait_xcnt 0x0
	s_bfe_u32 s13, s10, 0x40003
	s_clz_i32_u32 s8, s3
	s_delay_alu instid0(SALU_CYCLE_1) | instskip(NEXT) | instid1(SALU_CYCLE_1)
	s_min_u32 s8, s8, 32
	s_sub_co_i32 s12, s8, 28
	s_sub_co_i32 s8, 29, s8
	s_lshl_b32 s12, s10, s12
	s_delay_alu instid0(SALU_CYCLE_1)
	s_and_b32 s12, s12, 7
	s_cmp_eq_u32 s13, 0
	s_cselect_b32 s8, s8, s13
	s_cselect_b32 s3, s12, s3
	s_lshl_b32 s12, s10, 24
	s_lshl_b32 s8, s8, 23
	s_and_b32 s12, s12, 0x80000000
	s_add_co_i32 s8, s8, 0x3b800000
	s_lshl_b32 s3, s3, 20
	s_or_b32 s8, s12, s8
	s_and_b32 vcc_lo, exec_lo, s11
	s_or_b32 s3, s8, s3
	s_cbranch_vccz .LBB299_8
; %bb.4:
	s_and_b32 s12, s10, 0xff
	s_delay_alu instid0(SALU_CYCLE_1)
	s_cmp_lt_i32 s12, 0x80
	s_cbranch_scc1 .LBB299_9
; %bb.5:
	s_and_b32 s8, 0xffff, s12
	s_mov_b32 s13, -1
	s_cmp_eq_u32 s8, 0x80
	s_cbranch_scc0 .LBB299_7
; %bb.6:
	s_mov_b32 s13, 0
.LBB299_7:
	s_mov_b32 s8, 0x7f800001
	s_branch .LBB299_11
.LBB299_8:
                                        ; implicit-def: $sgpr8
	s_cbranch_execnz .LBB299_18
	s_branch .LBB299_35
.LBB299_9:
	s_mov_b32 s13, 0
	s_mov_b32 s8, 0x7f800001
	s_cbranch_execz .LBB299_11
; %bb.10:
	s_and_b32 s8, 0xffff, s12
	s_delay_alu instid0(SALU_CYCLE_1)
	s_cmp_lg_u32 s8, 0
	s_mov_b32 s8, 0
	s_cselect_b32 s13, -1, 0
.LBB299_11:
	s_delay_alu instid0(SALU_CYCLE_1)
	s_and_not1_b32 vcc_lo, exec_lo, s13
	s_cbranch_vccnz .LBB299_13
; %bb.12:
	s_mov_b32 s8, s3
.LBB299_13:
	s_wait_loadcnt 0x0
	v_and_b32_e32 v6, 0xff, v2
	s_mov_b32 s12, 0
	s_mov_b32 s13, exec_lo
	s_delay_alu instid0(VALU_DEP_1)
	v_cmpx_lt_i16_e32 0x7f, v6
	s_xor_b32 s13, exec_lo, s13
	s_cbranch_execnz .LBB299_22
; %bb.14:
	s_or_saveexec_b32 s13, s13
	v_mov_b32_e32 v1, 0x7f800001
	s_xor_b32 exec_lo, exec_lo, s13
	s_cbranch_execnz .LBB299_25
.LBB299_15:
	s_or_b32 exec_lo, exec_lo, s13
	s_and_saveexec_b32 s13, s12
	s_cbranch_execz .LBB299_17
.LBB299_16:
	v_and_b32_e32 v1, 7, v2
	v_lshrrev_b16 v7, 3, v2
	v_lshlrev_b32_e32 v9, 24, v2
	s_delay_alu instid0(VALU_DEP_3) | instskip(NEXT) | instid1(VALU_DEP_1)
	v_clz_i32_u32_e32 v6, v1
	v_min_u32_e32 v6, 32, v6
	s_delay_alu instid0(VALU_DEP_4) | instskip(NEXT) | instid1(VALU_DEP_2)
	v_and_b32_e32 v7, 15, v7
	v_subrev_nc_u32_e32 v8, 28, v6
	v_sub_nc_u32_e32 v6, 29, v6
	s_delay_alu instid0(VALU_DEP_3) | instskip(NEXT) | instid1(VALU_DEP_3)
	v_cmp_eq_u32_e32 vcc_lo, 0, v7
	v_lshlrev_b32_e32 v8, v8, v2
	s_delay_alu instid0(VALU_DEP_1) | instskip(SKIP_1) | instid1(VALU_DEP_2)
	v_dual_cndmask_b32 v6, v7, v6, vcc_lo :: v_dual_bitop2_b32 v8, 7, v8 bitop3:0x40
	v_and_b32_e32 v7, 0x80000000, v9
	v_cndmask_b32_e32 v1, v1, v8, vcc_lo
	s_delay_alu instid0(VALU_DEP_3) | instskip(NEXT) | instid1(VALU_DEP_2)
	v_lshl_add_u32 v6, v6, 23, 0x3b800000
	v_lshlrev_b32_e32 v1, 20, v1
	s_delay_alu instid0(VALU_DEP_1)
	v_or3_b32 v1, v7, v6, v1
.LBB299_17:
	s_or_b32 exec_lo, exec_lo, s13
	s_delay_alu instid0(VALU_DEP_1)
	v_cmp_neq_f32_e64 s8, s8, v1
	s_branch .LBB299_35
.LBB299_18:
	s_and_b32 s12, s10, 0xff
	s_delay_alu instid0(SALU_CYCLE_1)
	s_cmp_lt_i32 s12, 0x80
	s_cbranch_scc1 .LBB299_26
; %bb.19:
	s_and_b32 s8, 0xffff, s12
	s_mov_b32 s13, -1
	s_cmp_eq_u32 s8, 0x80
	s_cbranch_scc0 .LBB299_21
; %bb.20:
	s_mov_b32 s13, 0
.LBB299_21:
	s_mov_b32 s8, 0x7f800001
	s_branch .LBB299_28
.LBB299_22:
	s_mov_b32 s12, -1
	s_mov_b32 s14, exec_lo
	v_cmpx_eq_u16_e32 0x80, v6
; %bb.23:
	s_xor_b32 s12, exec_lo, -1
; %bb.24:
	s_or_b32 exec_lo, exec_lo, s14
	s_delay_alu instid0(SALU_CYCLE_1)
	s_and_b32 s12, s12, exec_lo
                                        ; implicit-def: $vgpr6
	s_or_saveexec_b32 s13, s13
	v_mov_b32_e32 v1, 0x7f800001
	s_xor_b32 exec_lo, exec_lo, s13
	s_cbranch_execz .LBB299_15
.LBB299_25:
	v_cmp_ne_u16_e32 vcc_lo, 0, v6
	v_mov_b32_e32 v1, 0
	s_and_not1_b32 s12, s12, exec_lo
	s_and_b32 s14, vcc_lo, exec_lo
	s_delay_alu instid0(SALU_CYCLE_1)
	s_or_b32 s12, s12, s14
	s_or_b32 exec_lo, exec_lo, s13
	s_and_saveexec_b32 s13, s12
	s_cbranch_execnz .LBB299_16
	s_branch .LBB299_17
.LBB299_26:
	s_mov_b32 s13, 0
	s_mov_b32 s8, 0x7f800001
	s_cbranch_execz .LBB299_28
; %bb.27:
	s_and_b32 s8, 0xffff, s12
	s_delay_alu instid0(SALU_CYCLE_1)
	s_cmp_lg_u32 s8, 0
	s_mov_b32 s8, 0
	s_cselect_b32 s13, -1, 0
.LBB299_28:
	s_delay_alu instid0(SALU_CYCLE_1)
	s_and_not1_b32 vcc_lo, exec_lo, s13
	s_cbranch_vccnz .LBB299_30
; %bb.29:
	s_mov_b32 s8, s3
.LBB299_30:
	s_wait_loadcnt 0x0
	v_and_b32_e32 v6, 0xff, v2
	s_mov_b32 s12, 0
	s_mov_b32 s13, exec_lo
	s_delay_alu instid0(VALU_DEP_1)
	v_cmpx_lt_i16_e32 0x7f, v6
	s_xor_b32 s13, exec_lo, s13
	s_cbranch_execnz .LBB299_310
; %bb.31:
	s_or_saveexec_b32 s13, s13
	v_mov_b32_e32 v1, 0x7f800001
	s_xor_b32 exec_lo, exec_lo, s13
	s_cbranch_execnz .LBB299_313
.LBB299_32:
	s_or_b32 exec_lo, exec_lo, s13
	s_and_saveexec_b32 s13, s12
	s_cbranch_execz .LBB299_34
.LBB299_33:
	v_and_b32_e32 v1, 7, v2
	v_lshrrev_b16 v7, 3, v2
	v_lshlrev_b32_e32 v9, 24, v2
	s_delay_alu instid0(VALU_DEP_3) | instskip(NEXT) | instid1(VALU_DEP_1)
	v_clz_i32_u32_e32 v6, v1
	v_min_u32_e32 v6, 32, v6
	s_delay_alu instid0(VALU_DEP_4) | instskip(NEXT) | instid1(VALU_DEP_2)
	v_and_b32_e32 v7, 15, v7
	v_subrev_nc_u32_e32 v8, 28, v6
	v_sub_nc_u32_e32 v6, 29, v6
	s_delay_alu instid0(VALU_DEP_3) | instskip(NEXT) | instid1(VALU_DEP_3)
	v_cmp_eq_u32_e32 vcc_lo, 0, v7
	v_lshlrev_b32_e32 v8, v8, v2
	s_delay_alu instid0(VALU_DEP_1) | instskip(SKIP_1) | instid1(VALU_DEP_2)
	v_dual_cndmask_b32 v6, v7, v6, vcc_lo :: v_dual_bitop2_b32 v8, 7, v8 bitop3:0x40
	v_and_b32_e32 v7, 0x80000000, v9
	v_cndmask_b32_e32 v1, v1, v8, vcc_lo
	s_delay_alu instid0(VALU_DEP_3) | instskip(NEXT) | instid1(VALU_DEP_2)
	v_lshl_add_u32 v6, v6, 23, 0x3b800000
	v_lshlrev_b32_e32 v1, 20, v1
	s_delay_alu instid0(VALU_DEP_1)
	v_or3_b32 v1, v7, v6, v1
.LBB299_34:
	s_or_b32 exec_lo, exec_lo, s13
	s_delay_alu instid0(VALU_DEP_1)
	v_cmp_eq_f32_e64 s8, s8, v1
.LBB299_35:
	s_wait_loadcnt 0x0
	v_dual_lshrrev_b32 v1, 24, v5 :: v_dual_lshrrev_b32 v6, 16, v5
	v_dual_lshrrev_b32 v7, 8, v5 :: v_dual_lshrrev_b32 v8, 24, v4
	;; [unrolled: 1-line block ×6, first 2 shown]
	v_cndmask_b32_e64 v2, 0, 1, s11
	s_and_not1_b32 vcc_lo, exec_lo, s11
	s_cbranch_vccnz .LBB299_40
; %bb.36:
	s_and_b32 s12, s10, 0xff
	s_delay_alu instid0(SALU_CYCLE_1)
	s_cmp_lt_i32 s12, 0x80
	s_cbranch_scc1 .LBB299_46
; %bb.37:
	s_and_b32 s11, 0xffff, s12
	s_mov_b32 s13, -1
	s_cmp_eq_u32 s11, 0x80
	s_cbranch_scc0 .LBB299_39
; %bb.38:
	s_mov_b32 s13, 0
.LBB299_39:
	s_mov_b32 s11, 0x7f800001
	s_branch .LBB299_48
.LBB299_40:
                                        ; implicit-def: $sgpr11
	s_cbranch_execnz .LBB299_55
.LBB299_41:
	s_delay_alu instid0(VALU_DEP_1)
	v_cmp_ne_u32_e32 vcc_lo, 1, v2
	s_cbranch_vccnz .LBB299_323
.LBB299_42:
	s_and_b32 s13, s10, 0xff
	s_delay_alu instid0(SALU_CYCLE_1)
	s_cmp_lt_i32 s13, 0x80
	s_cbranch_scc1 .LBB299_59
; %bb.43:
	s_and_b32 s12, 0xffff, s13
	s_mov_b32 s14, -1
	s_cmp_eq_u32 s12, 0x80
	s_cbranch_scc0 .LBB299_45
; %bb.44:
	s_mov_b32 s14, 0
.LBB299_45:
	s_mov_b32 s12, 0x7f800001
	s_branch .LBB299_61
.LBB299_46:
	s_mov_b32 s13, 0
	s_mov_b32 s11, 0x7f800001
	s_cbranch_execz .LBB299_48
; %bb.47:
	s_and_b32 s11, 0xffff, s12
	s_delay_alu instid0(SALU_CYCLE_1)
	s_cmp_lg_u32 s11, 0
	s_mov_b32 s11, 0
	s_cselect_b32 s13, -1, 0
.LBB299_48:
	s_delay_alu instid0(SALU_CYCLE_1)
	s_and_not1_b32 vcc_lo, exec_lo, s13
	s_cbranch_vccnz .LBB299_50
; %bb.49:
	s_mov_b32 s11, s3
.LBB299_50:
	v_and_b32_e32 v18, 0xff, v16
	s_mov_b32 s12, 0
	s_mov_b32 s13, exec_lo
	s_delay_alu instid0(VALU_DEP_1)
	v_cmpx_lt_i16_e32 0x7f, v18
	s_xor_b32 s13, exec_lo, s13
	s_cbranch_execnz .LBB299_73
; %bb.51:
	s_or_saveexec_b32 s13, s13
	v_mov_b32_e32 v17, 0x7f800001
	s_xor_b32 exec_lo, exec_lo, s13
	s_cbranch_execnz .LBB299_76
.LBB299_52:
	s_or_b32 exec_lo, exec_lo, s13
	s_and_saveexec_b32 s13, s12
	s_cbranch_execz .LBB299_54
.LBB299_53:
	v_and_b32_e32 v17, 7, v16
	v_lshrrev_b16 v19, 3, v16
	s_delay_alu instid0(VALU_DEP_2) | instskip(NEXT) | instid1(VALU_DEP_1)
	v_clz_i32_u32_e32 v18, v17
	v_min_u32_e32 v18, 32, v18
	s_delay_alu instid0(VALU_DEP_3) | instskip(NEXT) | instid1(VALU_DEP_2)
	v_and_b32_e32 v19, 15, v19
	v_subrev_nc_u32_e32 v20, 28, v18
	v_sub_nc_u32_e32 v18, 29, v18
	s_delay_alu instid0(VALU_DEP_3) | instskip(NEXT) | instid1(VALU_DEP_2)
	v_cmp_eq_u32_e32 vcc_lo, 0, v19
	v_dual_lshlrev_b32 v20, v20, v16 :: v_dual_cndmask_b32 v18, v19, v18, vcc_lo
	s_delay_alu instid0(VALU_DEP_1) | instskip(NEXT) | instid1(VALU_DEP_2)
	v_and_b32_e32 v20, 7, v20
	v_lshl_add_u32 v18, v18, 23, 0x3b800000
	s_delay_alu instid0(VALU_DEP_2) | instskip(NEXT) | instid1(VALU_DEP_1)
	v_cndmask_b32_e32 v17, v17, v20, vcc_lo
	v_dual_lshlrev_b32 v21, 24, v16 :: v_dual_lshlrev_b32 v17, 20, v17
	s_delay_alu instid0(VALU_DEP_1) | instskip(NEXT) | instid1(VALU_DEP_1)
	v_and_b32_e32 v19, 0x80000000, v21
	v_or3_b32 v17, v19, v18, v17
.LBB299_54:
	s_or_b32 exec_lo, exec_lo, s13
	s_delay_alu instid0(VALU_DEP_1)
	v_cmp_neq_f32_e64 s11, s11, v17
	s_branch .LBB299_41
.LBB299_55:
	s_and_b32 s12, s10, 0xff
	s_delay_alu instid0(SALU_CYCLE_1)
	s_cmp_lt_i32 s12, 0x80
	s_cbranch_scc1 .LBB299_314
; %bb.56:
	s_and_b32 s11, 0xffff, s12
	s_mov_b32 s13, -1
	s_cmp_eq_u32 s11, 0x80
	s_cbranch_scc0 .LBB299_58
; %bb.57:
	s_mov_b32 s13, 0
.LBB299_58:
	s_mov_b32 s11, 0x7f800001
	s_branch .LBB299_316
.LBB299_59:
	s_mov_b32 s14, 0
	s_mov_b32 s12, 0x7f800001
	s_cbranch_execz .LBB299_61
; %bb.60:
	s_and_b32 s12, 0xffff, s13
	s_delay_alu instid0(SALU_CYCLE_1)
	s_cmp_lg_u32 s12, 0
	s_mov_b32 s12, 0
	s_cselect_b32 s14, -1, 0
.LBB299_61:
	s_delay_alu instid0(SALU_CYCLE_1)
	s_and_not1_b32 vcc_lo, exec_lo, s14
	s_cbranch_vccnz .LBB299_63
; %bb.62:
	s_mov_b32 s12, s3
.LBB299_63:
	v_and_b32_e32 v17, 0xff, v15
	s_mov_b32 s13, 0
	s_mov_b32 s14, exec_lo
	s_delay_alu instid0(VALU_DEP_1)
	v_cmpx_lt_i16_e32 0x7f, v17
	s_xor_b32 s14, exec_lo, s14
	s_cbranch_execnz .LBB299_77
; %bb.64:
	s_or_saveexec_b32 s14, s14
	v_mov_b32_e32 v16, 0x7f800001
	s_xor_b32 exec_lo, exec_lo, s14
	s_cbranch_execnz .LBB299_80
.LBB299_65:
	s_or_b32 exec_lo, exec_lo, s14
	s_and_saveexec_b32 s14, s13
	s_cbranch_execz .LBB299_67
.LBB299_66:
	v_and_b32_e32 v16, 7, v15
	v_lshrrev_b16 v18, 3, v15
	s_delay_alu instid0(VALU_DEP_2) | instskip(NEXT) | instid1(VALU_DEP_1)
	v_clz_i32_u32_e32 v17, v16
	v_min_u32_e32 v17, 32, v17
	s_delay_alu instid0(VALU_DEP_3) | instskip(NEXT) | instid1(VALU_DEP_2)
	v_and_b32_e32 v18, 15, v18
	v_subrev_nc_u32_e32 v19, 28, v17
	v_sub_nc_u32_e32 v17, 29, v17
	s_delay_alu instid0(VALU_DEP_3) | instskip(NEXT) | instid1(VALU_DEP_2)
	v_cmp_eq_u32_e32 vcc_lo, 0, v18
	v_dual_lshlrev_b32 v19, v19, v15 :: v_dual_cndmask_b32 v17, v18, v17, vcc_lo
	s_delay_alu instid0(VALU_DEP_1) | instskip(NEXT) | instid1(VALU_DEP_2)
	v_and_b32_e32 v19, 7, v19
	v_lshl_add_u32 v17, v17, 23, 0x3b800000
	s_delay_alu instid0(VALU_DEP_2) | instskip(NEXT) | instid1(VALU_DEP_1)
	v_cndmask_b32_e32 v16, v16, v19, vcc_lo
	v_dual_lshlrev_b32 v20, 24, v15 :: v_dual_lshlrev_b32 v16, 20, v16
	s_delay_alu instid0(VALU_DEP_1) | instskip(NEXT) | instid1(VALU_DEP_1)
	v_and_b32_e32 v18, 0x80000000, v20
	v_or3_b32 v16, v18, v17, v16
.LBB299_67:
	s_or_b32 exec_lo, exec_lo, s14
	s_delay_alu instid0(VALU_DEP_1)
	v_cmp_neq_f32_e64 s12, s12, v16
.LBB299_68:
	v_cmp_ne_u32_e32 vcc_lo, 1, v2
	s_cbranch_vccnz .LBB299_341
.LBB299_69:
	s_and_b32 s14, s10, 0xff
	s_delay_alu instid0(SALU_CYCLE_1)
	s_cmp_lt_i32 s14, 0x80
	s_cbranch_scc1 .LBB299_81
; %bb.70:
	s_and_b32 s13, 0xffff, s14
	s_mov_b32 s15, -1
	s_cmp_eq_u32 s13, 0x80
	s_cbranch_scc0 .LBB299_72
; %bb.71:
	s_mov_b32 s15, 0
.LBB299_72:
	s_mov_b32 s13, 0x7f800001
	s_branch .LBB299_83
.LBB299_73:
	s_mov_b32 s12, -1
	s_mov_b32 s14, exec_lo
	v_cmpx_eq_u16_e32 0x80, v18
; %bb.74:
	s_xor_b32 s12, exec_lo, -1
; %bb.75:
	s_or_b32 exec_lo, exec_lo, s14
	s_delay_alu instid0(SALU_CYCLE_1)
	s_and_b32 s12, s12, exec_lo
                                        ; implicit-def: $vgpr18
	s_or_saveexec_b32 s13, s13
	v_mov_b32_e32 v17, 0x7f800001
	s_xor_b32 exec_lo, exec_lo, s13
	s_cbranch_execz .LBB299_52
.LBB299_76:
	v_cmp_ne_u16_e32 vcc_lo, 0, v18
	v_mov_b32_e32 v17, 0
	s_and_not1_b32 s12, s12, exec_lo
	s_and_b32 s14, vcc_lo, exec_lo
	s_delay_alu instid0(SALU_CYCLE_1)
	s_or_b32 s12, s12, s14
	s_or_b32 exec_lo, exec_lo, s13
	s_and_saveexec_b32 s13, s12
	s_cbranch_execnz .LBB299_53
	s_branch .LBB299_54
.LBB299_77:
	s_mov_b32 s13, -1
	s_mov_b32 s15, exec_lo
	v_cmpx_eq_u16_e32 0x80, v17
; %bb.78:
	s_xor_b32 s13, exec_lo, -1
; %bb.79:
	s_or_b32 exec_lo, exec_lo, s15
	s_delay_alu instid0(SALU_CYCLE_1)
	s_and_b32 s13, s13, exec_lo
                                        ; implicit-def: $vgpr17
	s_or_saveexec_b32 s14, s14
	v_mov_b32_e32 v16, 0x7f800001
	s_xor_b32 exec_lo, exec_lo, s14
	s_cbranch_execz .LBB299_65
.LBB299_80:
	v_cmp_ne_u16_e32 vcc_lo, 0, v17
	v_mov_b32_e32 v16, 0
	s_and_not1_b32 s13, s13, exec_lo
	s_and_b32 s15, vcc_lo, exec_lo
	s_delay_alu instid0(SALU_CYCLE_1)
	s_or_b32 s13, s13, s15
	s_or_b32 exec_lo, exec_lo, s14
	s_and_saveexec_b32 s14, s13
	s_cbranch_execnz .LBB299_66
	s_branch .LBB299_67
.LBB299_81:
	s_mov_b32 s15, 0
	s_mov_b32 s13, 0x7f800001
	s_cbranch_execz .LBB299_83
; %bb.82:
	s_and_b32 s13, 0xffff, s14
	s_delay_alu instid0(SALU_CYCLE_1)
	s_cmp_lg_u32 s13, 0
	s_mov_b32 s13, 0
	s_cselect_b32 s15, -1, 0
.LBB299_83:
	s_delay_alu instid0(SALU_CYCLE_1)
	s_and_not1_b32 vcc_lo, exec_lo, s15
	s_cbranch_vccnz .LBB299_85
; %bb.84:
	s_mov_b32 s13, s3
.LBB299_85:
	s_mov_b32 s14, 0
	s_mov_b32 s15, exec_lo
	v_cmpx_lt_i16_e32 0x7f, v14
	s_xor_b32 s15, exec_lo, s15
	s_cbranch_execnz .LBB299_95
; %bb.86:
	s_or_saveexec_b32 s15, s15
	v_mov_b32_e32 v15, 0x7f800001
	s_xor_b32 exec_lo, exec_lo, s15
	s_cbranch_execnz .LBB299_98
.LBB299_87:
	s_or_b32 exec_lo, exec_lo, s15
	s_and_saveexec_b32 s15, s14
	s_cbranch_execz .LBB299_89
.LBB299_88:
	v_and_b32_e32 v15, 0xffff, v14
	s_delay_alu instid0(VALU_DEP_1) | instskip(SKIP_1) | instid1(VALU_DEP_2)
	v_and_b32_e32 v16, 7, v15
	v_bfe_u32 v19, v15, 3, 4
	v_clz_i32_u32_e32 v17, v16
	s_delay_alu instid0(VALU_DEP_2) | instskip(NEXT) | instid1(VALU_DEP_2)
	v_cmp_eq_u32_e32 vcc_lo, 0, v19
	v_min_u32_e32 v17, 32, v17
	s_delay_alu instid0(VALU_DEP_1) | instskip(NEXT) | instid1(VALU_DEP_1)
	v_subrev_nc_u32_e32 v18, 28, v17
	v_dual_lshlrev_b32 v15, v18, v15 :: v_dual_sub_nc_u32 v17, 29, v17
	s_delay_alu instid0(VALU_DEP_1) | instskip(NEXT) | instid1(VALU_DEP_1)
	v_dual_lshlrev_b32 v18, 24, v14 :: v_dual_bitop2_b32 v15, 7, v15 bitop3:0x40
	v_dual_cndmask_b32 v17, v19, v17, vcc_lo :: v_dual_cndmask_b32 v15, v16, v15, vcc_lo
	s_delay_alu instid0(VALU_DEP_2) | instskip(NEXT) | instid1(VALU_DEP_2)
	v_and_b32_e32 v16, 0x80000000, v18
	v_lshl_add_u32 v17, v17, 23, 0x3b800000
	s_delay_alu instid0(VALU_DEP_3) | instskip(NEXT) | instid1(VALU_DEP_1)
	v_lshlrev_b32_e32 v15, 20, v15
	v_or3_b32 v15, v16, v17, v15
.LBB299_89:
	s_or_b32 exec_lo, exec_lo, s15
	s_delay_alu instid0(VALU_DEP_1)
	v_cmp_neq_f32_e64 s13, s13, v15
.LBB299_90:
	v_cmp_ne_u32_e32 vcc_lo, 1, v2
	s_cbranch_vccnz .LBB299_359
.LBB299_91:
	s_and_b32 s15, s10, 0xff
	s_delay_alu instid0(SALU_CYCLE_1)
	s_cmp_lt_i32 s15, 0x80
	s_cbranch_scc1 .LBB299_99
; %bb.92:
	s_and_b32 s14, 0xffff, s15
	s_mov_b32 s16, -1
	s_cmp_eq_u32 s14, 0x80
	s_cbranch_scc0 .LBB299_94
; %bb.93:
	s_mov_b32 s16, 0
.LBB299_94:
	s_mov_b32 s14, 0x7f800001
	s_branch .LBB299_101
.LBB299_95:
	s_mov_b32 s14, -1
	s_mov_b32 s16, exec_lo
	v_cmpx_eq_u16_e32 0x80, v14
; %bb.96:
	s_xor_b32 s14, exec_lo, -1
; %bb.97:
	s_or_b32 exec_lo, exec_lo, s16
	s_delay_alu instid0(SALU_CYCLE_1)
	s_and_b32 s14, s14, exec_lo
	s_or_saveexec_b32 s15, s15
	v_mov_b32_e32 v15, 0x7f800001
	s_xor_b32 exec_lo, exec_lo, s15
	s_cbranch_execz .LBB299_87
.LBB299_98:
	v_cmp_ne_u16_e32 vcc_lo, 0, v14
	v_mov_b32_e32 v15, 0
	s_and_not1_b32 s14, s14, exec_lo
	s_and_b32 s16, vcc_lo, exec_lo
	s_delay_alu instid0(SALU_CYCLE_1)
	s_or_b32 s14, s14, s16
	s_or_b32 exec_lo, exec_lo, s15
	s_and_saveexec_b32 s15, s14
	s_cbranch_execnz .LBB299_88
	s_branch .LBB299_89
.LBB299_99:
	s_mov_b32 s16, 0
	s_mov_b32 s14, 0x7f800001
	s_cbranch_execz .LBB299_101
; %bb.100:
	s_and_b32 s14, 0xffff, s15
	s_delay_alu instid0(SALU_CYCLE_1)
	s_cmp_lg_u32 s14, 0
	s_mov_b32 s14, 0
	s_cselect_b32 s16, -1, 0
.LBB299_101:
	s_delay_alu instid0(SALU_CYCLE_1)
	s_and_not1_b32 vcc_lo, exec_lo, s16
	s_cbranch_vccnz .LBB299_103
; %bb.102:
	s_mov_b32 s14, s3
.LBB299_103:
	v_and_b32_e32 v15, 0xff, v3
	s_mov_b32 s15, 0
	s_mov_b32 s16, exec_lo
	s_delay_alu instid0(VALU_DEP_1)
	v_cmpx_lt_i16_e32 0x7f, v15
	s_xor_b32 s16, exec_lo, s16
	s_cbranch_execnz .LBB299_113
; %bb.104:
	s_or_saveexec_b32 s16, s16
	v_mov_b32_e32 v14, 0x7f800001
	s_xor_b32 exec_lo, exec_lo, s16
	s_cbranch_execnz .LBB299_116
.LBB299_105:
	s_or_b32 exec_lo, exec_lo, s16
	s_and_saveexec_b32 s16, s15
	s_cbranch_execz .LBB299_107
.LBB299_106:
	v_and_b32_e32 v14, 7, v3
	v_lshrrev_b16 v16, 3, v3
	v_lshlrev_b32_e32 v18, 24, v3
	s_delay_alu instid0(VALU_DEP_3) | instskip(NEXT) | instid1(VALU_DEP_1)
	v_clz_i32_u32_e32 v15, v14
	v_min_u32_e32 v15, 32, v15
	s_delay_alu instid0(VALU_DEP_4) | instskip(NEXT) | instid1(VALU_DEP_2)
	v_and_b32_e32 v16, 15, v16
	v_subrev_nc_u32_e32 v17, 28, v15
	v_sub_nc_u32_e32 v15, 29, v15
	s_delay_alu instid0(VALU_DEP_3) | instskip(NEXT) | instid1(VALU_DEP_3)
	v_cmp_eq_u32_e32 vcc_lo, 0, v16
	v_lshlrev_b32_e32 v17, v17, v3
	s_delay_alu instid0(VALU_DEP_1) | instskip(SKIP_1) | instid1(VALU_DEP_2)
	v_dual_cndmask_b32 v15, v16, v15, vcc_lo :: v_dual_bitop2_b32 v17, 7, v17 bitop3:0x40
	v_and_b32_e32 v16, 0x80000000, v18
	v_cndmask_b32_e32 v14, v14, v17, vcc_lo
	s_delay_alu instid0(VALU_DEP_3) | instskip(NEXT) | instid1(VALU_DEP_2)
	v_lshl_add_u32 v15, v15, 23, 0x3b800000
	v_lshlrev_b32_e32 v14, 20, v14
	s_delay_alu instid0(VALU_DEP_1)
	v_or3_b32 v14, v16, v15, v14
.LBB299_107:
	s_or_b32 exec_lo, exec_lo, s16
	s_delay_alu instid0(VALU_DEP_1)
	v_cmp_neq_f32_e64 s14, s14, v14
.LBB299_108:
	v_cmp_ne_u32_e32 vcc_lo, 1, v2
	s_cbranch_vccnz .LBB299_377
.LBB299_109:
	s_and_b32 s16, s10, 0xff
	s_delay_alu instid0(SALU_CYCLE_1)
	s_cmp_lt_i32 s16, 0x80
	s_cbranch_scc1 .LBB299_117
; %bb.110:
	s_and_b32 s15, 0xffff, s16
	s_mov_b32 s17, -1
	s_cmp_eq_u32 s15, 0x80
	s_cbranch_scc0 .LBB299_112
; %bb.111:
	s_mov_b32 s17, 0
.LBB299_112:
	s_mov_b32 s15, 0x7f800001
	s_branch .LBB299_119
.LBB299_113:
	s_mov_b32 s15, -1
	s_mov_b32 s17, exec_lo
	v_cmpx_eq_u16_e32 0x80, v15
; %bb.114:
	s_xor_b32 s15, exec_lo, -1
; %bb.115:
	s_or_b32 exec_lo, exec_lo, s17
	s_delay_alu instid0(SALU_CYCLE_1)
	s_and_b32 s15, s15, exec_lo
                                        ; implicit-def: $vgpr15
	s_or_saveexec_b32 s16, s16
	v_mov_b32_e32 v14, 0x7f800001
	s_xor_b32 exec_lo, exec_lo, s16
	s_cbranch_execz .LBB299_105
.LBB299_116:
	v_cmp_ne_u16_e32 vcc_lo, 0, v15
	v_mov_b32_e32 v14, 0
	s_and_not1_b32 s15, s15, exec_lo
	s_and_b32 s17, vcc_lo, exec_lo
	s_delay_alu instid0(SALU_CYCLE_1)
	s_or_b32 s15, s15, s17
	s_or_b32 exec_lo, exec_lo, s16
	s_and_saveexec_b32 s16, s15
	s_cbranch_execnz .LBB299_106
	s_branch .LBB299_107
.LBB299_117:
	s_mov_b32 s17, 0
	s_mov_b32 s15, 0x7f800001
	s_cbranch_execz .LBB299_119
; %bb.118:
	s_and_b32 s15, 0xffff, s16
	s_delay_alu instid0(SALU_CYCLE_1)
	s_cmp_lg_u32 s15, 0
	s_mov_b32 s15, 0
	s_cselect_b32 s17, -1, 0
.LBB299_119:
	s_delay_alu instid0(SALU_CYCLE_1)
	s_and_not1_b32 vcc_lo, exec_lo, s17
	s_cbranch_vccnz .LBB299_121
; %bb.120:
	s_mov_b32 s15, s3
.LBB299_121:
	v_and_b32_e32 v14, 0xff, v13
	s_mov_b32 s16, 0
	s_mov_b32 s17, exec_lo
	s_delay_alu instid0(VALU_DEP_1)
	v_cmpx_lt_i16_e32 0x7f, v14
	s_xor_b32 s17, exec_lo, s17
	s_cbranch_execnz .LBB299_131
; %bb.122:
	s_or_saveexec_b32 s17, s17
	v_mov_b32_e32 v3, 0x7f800001
	s_xor_b32 exec_lo, exec_lo, s17
	s_cbranch_execnz .LBB299_134
.LBB299_123:
	s_or_b32 exec_lo, exec_lo, s17
	s_and_saveexec_b32 s17, s16
	s_cbranch_execz .LBB299_125
.LBB299_124:
	v_and_b32_e32 v3, 7, v13
	v_lshrrev_b16 v15, 3, v13
	v_lshlrev_b32_e32 v17, 24, v13
	s_delay_alu instid0(VALU_DEP_3) | instskip(NEXT) | instid1(VALU_DEP_1)
	v_clz_i32_u32_e32 v14, v3
	v_min_u32_e32 v14, 32, v14
	s_delay_alu instid0(VALU_DEP_4) | instskip(NEXT) | instid1(VALU_DEP_2)
	v_and_b32_e32 v15, 15, v15
	v_subrev_nc_u32_e32 v16, 28, v14
	v_sub_nc_u32_e32 v14, 29, v14
	s_delay_alu instid0(VALU_DEP_3) | instskip(NEXT) | instid1(VALU_DEP_3)
	v_cmp_eq_u32_e32 vcc_lo, 0, v15
	v_lshlrev_b32_e32 v16, v16, v13
	s_delay_alu instid0(VALU_DEP_1) | instskip(NEXT) | instid1(VALU_DEP_1)
	v_and_b32_e32 v16, 7, v16
	v_cndmask_b32_e32 v3, v3, v16, vcc_lo
	v_cndmask_b32_e32 v14, v15, v14, vcc_lo
	v_and_b32_e32 v15, 0x80000000, v17
	s_delay_alu instid0(VALU_DEP_3) | instskip(NEXT) | instid1(VALU_DEP_3)
	v_lshlrev_b32_e32 v3, 20, v3
	v_lshl_add_u32 v14, v14, 23, 0x3b800000
	s_delay_alu instid0(VALU_DEP_1)
	v_or3_b32 v3, v15, v14, v3
.LBB299_125:
	s_or_b32 exec_lo, exec_lo, s17
	s_delay_alu instid0(VALU_DEP_1)
	v_cmp_neq_f32_e64 s15, s15, v3
.LBB299_126:
	v_cmp_ne_u32_e32 vcc_lo, 1, v2
	s_cbranch_vccnz .LBB299_395
.LBB299_127:
	s_and_b32 s17, s10, 0xff
	s_delay_alu instid0(SALU_CYCLE_1)
	s_cmp_lt_i32 s17, 0x80
	s_cbranch_scc1 .LBB299_135
; %bb.128:
	s_and_b32 s16, 0xffff, s17
	s_mov_b32 s18, -1
	s_cmp_eq_u32 s16, 0x80
	s_cbranch_scc0 .LBB299_130
; %bb.129:
	s_mov_b32 s18, 0
.LBB299_130:
	s_mov_b32 s16, 0x7f800001
	s_branch .LBB299_137
.LBB299_131:
	s_mov_b32 s16, -1
	s_mov_b32 s18, exec_lo
	v_cmpx_eq_u16_e32 0x80, v14
; %bb.132:
	s_xor_b32 s16, exec_lo, -1
; %bb.133:
	s_or_b32 exec_lo, exec_lo, s18
	s_delay_alu instid0(SALU_CYCLE_1)
	s_and_b32 s16, s16, exec_lo
                                        ; implicit-def: $vgpr14
	s_or_saveexec_b32 s17, s17
	v_mov_b32_e32 v3, 0x7f800001
	s_xor_b32 exec_lo, exec_lo, s17
	s_cbranch_execz .LBB299_123
.LBB299_134:
	v_cmp_ne_u16_e32 vcc_lo, 0, v14
	v_mov_b32_e32 v3, 0
	s_and_not1_b32 s16, s16, exec_lo
	s_and_b32 s18, vcc_lo, exec_lo
	s_delay_alu instid0(SALU_CYCLE_1)
	s_or_b32 s16, s16, s18
	s_or_b32 exec_lo, exec_lo, s17
	s_and_saveexec_b32 s17, s16
	s_cbranch_execnz .LBB299_124
	s_branch .LBB299_125
.LBB299_135:
	s_mov_b32 s18, 0
	s_mov_b32 s16, 0x7f800001
	s_cbranch_execz .LBB299_137
; %bb.136:
	s_and_b32 s16, 0xffff, s17
	s_delay_alu instid0(SALU_CYCLE_1)
	s_cmp_lg_u32 s16, 0
	s_mov_b32 s16, 0
	s_cselect_b32 s18, -1, 0
.LBB299_137:
	s_delay_alu instid0(SALU_CYCLE_1)
	s_and_not1_b32 vcc_lo, exec_lo, s18
	s_cbranch_vccnz .LBB299_139
; %bb.138:
	s_mov_b32 s16, s3
.LBB299_139:
	v_and_b32_e32 v13, 0xff, v12
	s_mov_b32 s17, 0
	s_mov_b32 s18, exec_lo
	s_delay_alu instid0(VALU_DEP_1)
	v_cmpx_lt_i16_e32 0x7f, v13
	s_xor_b32 s18, exec_lo, s18
	s_cbranch_execnz .LBB299_149
; %bb.140:
	s_or_saveexec_b32 s18, s18
	v_mov_b32_e32 v3, 0x7f800001
	s_xor_b32 exec_lo, exec_lo, s18
	s_cbranch_execnz .LBB299_152
.LBB299_141:
	s_or_b32 exec_lo, exec_lo, s18
	s_and_saveexec_b32 s18, s17
	s_cbranch_execz .LBB299_143
.LBB299_142:
	v_and_b32_e32 v3, 7, v12
	v_lshrrev_b16 v14, 3, v12
	v_lshlrev_b32_e32 v16, 24, v12
	s_delay_alu instid0(VALU_DEP_3) | instskip(NEXT) | instid1(VALU_DEP_1)
	v_clz_i32_u32_e32 v13, v3
	v_min_u32_e32 v13, 32, v13
	s_delay_alu instid0(VALU_DEP_4) | instskip(NEXT) | instid1(VALU_DEP_2)
	v_and_b32_e32 v14, 15, v14
	v_subrev_nc_u32_e32 v15, 28, v13
	v_sub_nc_u32_e32 v13, 29, v13
	s_delay_alu instid0(VALU_DEP_3) | instskip(NEXT) | instid1(VALU_DEP_3)
	v_cmp_eq_u32_e32 vcc_lo, 0, v14
	v_lshlrev_b32_e32 v15, v15, v12
	s_delay_alu instid0(VALU_DEP_1) | instskip(SKIP_1) | instid1(VALU_DEP_2)
	v_dual_cndmask_b32 v13, v14, v13, vcc_lo :: v_dual_bitop2_b32 v15, 7, v15 bitop3:0x40
	v_and_b32_e32 v14, 0x80000000, v16
	v_cndmask_b32_e32 v3, v3, v15, vcc_lo
	s_delay_alu instid0(VALU_DEP_3) | instskip(NEXT) | instid1(VALU_DEP_2)
	v_lshl_add_u32 v13, v13, 23, 0x3b800000
	v_lshlrev_b32_e32 v3, 20, v3
	s_delay_alu instid0(VALU_DEP_1)
	v_or3_b32 v3, v14, v13, v3
.LBB299_143:
	s_or_b32 exec_lo, exec_lo, s18
	s_delay_alu instid0(VALU_DEP_1)
	v_cmp_neq_f32_e64 s16, s16, v3
.LBB299_144:
	v_cmp_ne_u32_e32 vcc_lo, 1, v2
	s_cbranch_vccnz .LBB299_413
.LBB299_145:
	s_and_b32 s18, s10, 0xff
	s_delay_alu instid0(SALU_CYCLE_1)
	s_cmp_lt_i32 s18, 0x80
	s_cbranch_scc1 .LBB299_153
; %bb.146:
	s_and_b32 s17, 0xffff, s18
	s_mov_b32 s19, -1
	s_cmp_eq_u32 s17, 0x80
	s_cbranch_scc0 .LBB299_148
; %bb.147:
	s_mov_b32 s19, 0
.LBB299_148:
	s_mov_b32 s17, 0x7f800001
	s_branch .LBB299_155
.LBB299_149:
	s_mov_b32 s17, -1
	s_mov_b32 s19, exec_lo
	v_cmpx_eq_u16_e32 0x80, v13
; %bb.150:
	s_xor_b32 s17, exec_lo, -1
; %bb.151:
	s_or_b32 exec_lo, exec_lo, s19
	s_delay_alu instid0(SALU_CYCLE_1)
	s_and_b32 s17, s17, exec_lo
                                        ; implicit-def: $vgpr13
	s_or_saveexec_b32 s18, s18
	v_mov_b32_e32 v3, 0x7f800001
	s_xor_b32 exec_lo, exec_lo, s18
	s_cbranch_execz .LBB299_141
.LBB299_152:
	v_cmp_ne_u16_e32 vcc_lo, 0, v13
	v_mov_b32_e32 v3, 0
	s_and_not1_b32 s17, s17, exec_lo
	s_and_b32 s19, vcc_lo, exec_lo
	s_delay_alu instid0(SALU_CYCLE_1)
	s_or_b32 s17, s17, s19
	s_or_b32 exec_lo, exec_lo, s18
	s_and_saveexec_b32 s18, s17
	s_cbranch_execnz .LBB299_142
	s_branch .LBB299_143
.LBB299_153:
	s_mov_b32 s19, 0
	s_mov_b32 s17, 0x7f800001
	s_cbranch_execz .LBB299_155
; %bb.154:
	s_and_b32 s17, 0xffff, s18
	s_delay_alu instid0(SALU_CYCLE_1)
	s_cmp_lg_u32 s17, 0
	s_mov_b32 s17, 0
	s_cselect_b32 s19, -1, 0
.LBB299_155:
	s_delay_alu instid0(SALU_CYCLE_1)
	s_and_not1_b32 vcc_lo, exec_lo, s19
	s_cbranch_vccnz .LBB299_157
; %bb.156:
	s_mov_b32 s17, s3
.LBB299_157:
	s_mov_b32 s18, 0
	s_mov_b32 s19, exec_lo
	v_cmpx_lt_i16_e32 0x7f, v11
	s_xor_b32 s19, exec_lo, s19
	s_cbranch_execnz .LBB299_167
; %bb.158:
	s_or_saveexec_b32 s19, s19
	v_mov_b32_e32 v3, 0x7f800001
	s_xor_b32 exec_lo, exec_lo, s19
	s_cbranch_execnz .LBB299_170
.LBB299_159:
	s_or_b32 exec_lo, exec_lo, s19
	s_and_saveexec_b32 s19, s18
	s_cbranch_execz .LBB299_161
.LBB299_160:
	v_and_b32_e32 v3, 0xffff, v11
	s_delay_alu instid0(VALU_DEP_1) | instskip(SKIP_1) | instid1(VALU_DEP_2)
	v_and_b32_e32 v12, 7, v3
	v_bfe_u32 v15, v3, 3, 4
	v_clz_i32_u32_e32 v13, v12
	s_delay_alu instid0(VALU_DEP_2) | instskip(NEXT) | instid1(VALU_DEP_2)
	v_cmp_eq_u32_e32 vcc_lo, 0, v15
	v_min_u32_e32 v13, 32, v13
	s_delay_alu instid0(VALU_DEP_1) | instskip(NEXT) | instid1(VALU_DEP_1)
	v_subrev_nc_u32_e32 v14, 28, v13
	v_dual_lshlrev_b32 v3, v14, v3 :: v_dual_sub_nc_u32 v13, 29, v13
	s_delay_alu instid0(VALU_DEP_1) | instskip(NEXT) | instid1(VALU_DEP_2)
	v_and_b32_e32 v3, 7, v3
	v_dual_cndmask_b32 v13, v15, v13 :: v_dual_lshlrev_b32 v14, 24, v11
	s_delay_alu instid0(VALU_DEP_2) | instskip(NEXT) | instid1(VALU_DEP_2)
	v_cndmask_b32_e32 v3, v12, v3, vcc_lo
	v_and_b32_e32 v12, 0x80000000, v14
	s_delay_alu instid0(VALU_DEP_3) | instskip(NEXT) | instid1(VALU_DEP_3)
	v_lshl_add_u32 v13, v13, 23, 0x3b800000
	v_lshlrev_b32_e32 v3, 20, v3
	s_delay_alu instid0(VALU_DEP_1)
	v_or3_b32 v3, v12, v13, v3
.LBB299_161:
	s_or_b32 exec_lo, exec_lo, s19
	s_delay_alu instid0(VALU_DEP_1)
	v_cmp_neq_f32_e64 s17, s17, v3
.LBB299_162:
	v_cmp_ne_u32_e32 vcc_lo, 1, v2
	s_cbranch_vccnz .LBB299_431
.LBB299_163:
	s_and_b32 s19, s10, 0xff
	s_delay_alu instid0(SALU_CYCLE_1)
	s_cmp_lt_i32 s19, 0x80
	s_cbranch_scc1 .LBB299_171
; %bb.164:
	s_and_b32 s18, 0xffff, s19
	s_mov_b32 s20, -1
	s_cmp_eq_u32 s18, 0x80
	s_cbranch_scc0 .LBB299_166
; %bb.165:
	s_mov_b32 s20, 0
.LBB299_166:
	s_mov_b32 s18, 0x7f800001
	s_branch .LBB299_173
.LBB299_167:
	s_mov_b32 s18, -1
	s_mov_b32 s20, exec_lo
	v_cmpx_eq_u16_e32 0x80, v11
; %bb.168:
	s_xor_b32 s18, exec_lo, -1
; %bb.169:
	s_or_b32 exec_lo, exec_lo, s20
	s_delay_alu instid0(SALU_CYCLE_1)
	s_and_b32 s18, s18, exec_lo
	s_or_saveexec_b32 s19, s19
	v_mov_b32_e32 v3, 0x7f800001
	s_xor_b32 exec_lo, exec_lo, s19
	s_cbranch_execz .LBB299_159
.LBB299_170:
	v_cmp_ne_u16_e32 vcc_lo, 0, v11
	v_mov_b32_e32 v3, 0
	s_and_not1_b32 s18, s18, exec_lo
	s_and_b32 s20, vcc_lo, exec_lo
	s_delay_alu instid0(SALU_CYCLE_1)
	s_or_b32 s18, s18, s20
	s_or_b32 exec_lo, exec_lo, s19
	s_and_saveexec_b32 s19, s18
	s_cbranch_execnz .LBB299_160
	s_branch .LBB299_161
.LBB299_171:
	s_mov_b32 s20, 0
	s_mov_b32 s18, 0x7f800001
	s_cbranch_execz .LBB299_173
; %bb.172:
	s_and_b32 s18, 0xffff, s19
	s_delay_alu instid0(SALU_CYCLE_1)
	s_cmp_lg_u32 s18, 0
	s_mov_b32 s18, 0
	s_cselect_b32 s20, -1, 0
.LBB299_173:
	s_delay_alu instid0(SALU_CYCLE_1)
	s_and_not1_b32 vcc_lo, exec_lo, s20
	s_cbranch_vccnz .LBB299_175
; %bb.174:
	s_mov_b32 s18, s3
.LBB299_175:
	v_and_b32_e32 v11, 0xff, v4
	s_mov_b32 s19, 0
	s_mov_b32 s20, exec_lo
	s_delay_alu instid0(VALU_DEP_1)
	v_cmpx_lt_i16_e32 0x7f, v11
	s_xor_b32 s20, exec_lo, s20
	s_cbranch_execnz .LBB299_185
; %bb.176:
	s_or_saveexec_b32 s20, s20
	v_mov_b32_e32 v3, 0x7f800001
	s_xor_b32 exec_lo, exec_lo, s20
	s_cbranch_execnz .LBB299_188
.LBB299_177:
	s_or_b32 exec_lo, exec_lo, s20
	s_and_saveexec_b32 s20, s19
	s_cbranch_execz .LBB299_179
.LBB299_178:
	v_and_b32_e32 v3, 7, v4
	v_lshrrev_b16 v12, 3, v4
	v_lshlrev_b32_e32 v14, 24, v4
	s_delay_alu instid0(VALU_DEP_3) | instskip(NEXT) | instid1(VALU_DEP_1)
	v_clz_i32_u32_e32 v11, v3
	v_min_u32_e32 v11, 32, v11
	s_delay_alu instid0(VALU_DEP_4) | instskip(NEXT) | instid1(VALU_DEP_2)
	v_and_b32_e32 v12, 15, v12
	v_subrev_nc_u32_e32 v13, 28, v11
	v_sub_nc_u32_e32 v11, 29, v11
	s_delay_alu instid0(VALU_DEP_3) | instskip(NEXT) | instid1(VALU_DEP_3)
	v_cmp_eq_u32_e32 vcc_lo, 0, v12
	v_lshlrev_b32_e32 v13, v13, v4
	s_delay_alu instid0(VALU_DEP_1) | instskip(SKIP_1) | instid1(VALU_DEP_2)
	v_dual_cndmask_b32 v11, v12, v11, vcc_lo :: v_dual_bitop2_b32 v13, 7, v13 bitop3:0x40
	v_and_b32_e32 v12, 0x80000000, v14
	v_cndmask_b32_e32 v3, v3, v13, vcc_lo
	s_delay_alu instid0(VALU_DEP_3) | instskip(NEXT) | instid1(VALU_DEP_2)
	v_lshl_add_u32 v11, v11, 23, 0x3b800000
	v_lshlrev_b32_e32 v3, 20, v3
	s_delay_alu instid0(VALU_DEP_1)
	v_or3_b32 v3, v12, v11, v3
.LBB299_179:
	s_or_b32 exec_lo, exec_lo, s20
	s_delay_alu instid0(VALU_DEP_1)
	v_cmp_neq_f32_e64 s18, s18, v3
.LBB299_180:
	v_cmp_ne_u32_e32 vcc_lo, 1, v2
	s_cbranch_vccnz .LBB299_449
.LBB299_181:
	s_and_b32 s20, s10, 0xff
	s_delay_alu instid0(SALU_CYCLE_1)
	s_cmp_lt_i32 s20, 0x80
	s_cbranch_scc1 .LBB299_189
; %bb.182:
	s_and_b32 s19, 0xffff, s20
	s_mov_b32 s21, -1
	s_cmp_eq_u32 s19, 0x80
	s_cbranch_scc0 .LBB299_184
; %bb.183:
	s_mov_b32 s21, 0
.LBB299_184:
	s_mov_b32 s19, 0x7f800001
	s_branch .LBB299_191
.LBB299_185:
	s_mov_b32 s19, -1
	s_mov_b32 s21, exec_lo
	v_cmpx_eq_u16_e32 0x80, v11
; %bb.186:
	s_xor_b32 s19, exec_lo, -1
; %bb.187:
	s_or_b32 exec_lo, exec_lo, s21
	s_delay_alu instid0(SALU_CYCLE_1)
	s_and_b32 s19, s19, exec_lo
                                        ; implicit-def: $vgpr11
	s_or_saveexec_b32 s20, s20
	v_mov_b32_e32 v3, 0x7f800001
	s_xor_b32 exec_lo, exec_lo, s20
	s_cbranch_execz .LBB299_177
.LBB299_188:
	v_cmp_ne_u16_e32 vcc_lo, 0, v11
	v_mov_b32_e32 v3, 0
	s_and_not1_b32 s19, s19, exec_lo
	s_and_b32 s21, vcc_lo, exec_lo
	s_delay_alu instid0(SALU_CYCLE_1)
	s_or_b32 s19, s19, s21
	s_or_b32 exec_lo, exec_lo, s20
	s_and_saveexec_b32 s20, s19
	s_cbranch_execnz .LBB299_178
	s_branch .LBB299_179
.LBB299_189:
	s_mov_b32 s21, 0
	s_mov_b32 s19, 0x7f800001
	s_cbranch_execz .LBB299_191
; %bb.190:
	s_and_b32 s19, 0xffff, s20
	s_delay_alu instid0(SALU_CYCLE_1)
	s_cmp_lg_u32 s19, 0
	s_mov_b32 s19, 0
	s_cselect_b32 s21, -1, 0
.LBB299_191:
	s_delay_alu instid0(SALU_CYCLE_1)
	s_and_not1_b32 vcc_lo, exec_lo, s21
	s_cbranch_vccnz .LBB299_193
; %bb.192:
	s_mov_b32 s19, s3
.LBB299_193:
	v_and_b32_e32 v4, 0xff, v10
	s_mov_b32 s20, 0
	s_mov_b32 s21, exec_lo
	s_delay_alu instid0(VALU_DEP_1)
	v_cmpx_lt_i16_e32 0x7f, v4
	s_xor_b32 s21, exec_lo, s21
	s_cbranch_execnz .LBB299_203
; %bb.194:
	s_or_saveexec_b32 s21, s21
	v_mov_b32_e32 v3, 0x7f800001
	s_xor_b32 exec_lo, exec_lo, s21
	s_cbranch_execnz .LBB299_206
.LBB299_195:
	s_or_b32 exec_lo, exec_lo, s21
	s_and_saveexec_b32 s21, s20
	s_cbranch_execz .LBB299_197
.LBB299_196:
	v_and_b32_e32 v3, 7, v10
	v_lshrrev_b16 v11, 3, v10
	v_lshlrev_b32_e32 v13, 24, v10
	s_delay_alu instid0(VALU_DEP_3) | instskip(NEXT) | instid1(VALU_DEP_1)
	v_clz_i32_u32_e32 v4, v3
	v_min_u32_e32 v4, 32, v4
	s_delay_alu instid0(VALU_DEP_4) | instskip(NEXT) | instid1(VALU_DEP_2)
	v_and_b32_e32 v11, 15, v11
	v_subrev_nc_u32_e32 v12, 28, v4
	v_sub_nc_u32_e32 v4, 29, v4
	s_delay_alu instid0(VALU_DEP_3) | instskip(NEXT) | instid1(VALU_DEP_3)
	v_cmp_eq_u32_e32 vcc_lo, 0, v11
	v_lshlrev_b32_e32 v12, v12, v10
	s_delay_alu instid0(VALU_DEP_1) | instskip(NEXT) | instid1(VALU_DEP_1)
	v_and_b32_e32 v12, 7, v12
	v_cndmask_b32_e32 v3, v3, v12, vcc_lo
	v_cndmask_b32_e32 v4, v11, v4, vcc_lo
	v_and_b32_e32 v11, 0x80000000, v13
	s_delay_alu instid0(VALU_DEP_3) | instskip(NEXT) | instid1(VALU_DEP_3)
	v_lshlrev_b32_e32 v3, 20, v3
	v_lshl_add_u32 v4, v4, 23, 0x3b800000
	s_delay_alu instid0(VALU_DEP_1)
	v_or3_b32 v3, v11, v4, v3
.LBB299_197:
	s_or_b32 exec_lo, exec_lo, s21
	s_delay_alu instid0(VALU_DEP_1)
	v_cmp_neq_f32_e64 s19, s19, v3
.LBB299_198:
	v_cmp_ne_u32_e32 vcc_lo, 1, v2
	s_cbranch_vccnz .LBB299_467
.LBB299_199:
	s_and_b32 s21, s10, 0xff
	s_delay_alu instid0(SALU_CYCLE_1)
	s_cmp_lt_i32 s21, 0x80
	s_cbranch_scc1 .LBB299_207
; %bb.200:
	s_and_b32 s20, 0xffff, s21
	s_mov_b32 s22, -1
	s_cmp_eq_u32 s20, 0x80
	s_cbranch_scc0 .LBB299_202
; %bb.201:
	s_mov_b32 s22, 0
.LBB299_202:
	s_mov_b32 s20, 0x7f800001
	s_branch .LBB299_209
.LBB299_203:
	s_mov_b32 s20, -1
	s_mov_b32 s22, exec_lo
	v_cmpx_eq_u16_e32 0x80, v4
; %bb.204:
	s_xor_b32 s20, exec_lo, -1
; %bb.205:
	s_or_b32 exec_lo, exec_lo, s22
	s_delay_alu instid0(SALU_CYCLE_1)
	s_and_b32 s20, s20, exec_lo
                                        ; implicit-def: $vgpr4
	s_or_saveexec_b32 s21, s21
	v_mov_b32_e32 v3, 0x7f800001
	s_xor_b32 exec_lo, exec_lo, s21
	s_cbranch_execz .LBB299_195
.LBB299_206:
	v_cmp_ne_u16_e32 vcc_lo, 0, v4
	v_mov_b32_e32 v3, 0
	s_and_not1_b32 s20, s20, exec_lo
	s_and_b32 s22, vcc_lo, exec_lo
	s_delay_alu instid0(SALU_CYCLE_1)
	s_or_b32 s20, s20, s22
	s_or_b32 exec_lo, exec_lo, s21
	s_and_saveexec_b32 s21, s20
	s_cbranch_execnz .LBB299_196
	s_branch .LBB299_197
.LBB299_207:
	s_mov_b32 s22, 0
	s_mov_b32 s20, 0x7f800001
	s_cbranch_execz .LBB299_209
; %bb.208:
	s_and_b32 s20, 0xffff, s21
	s_delay_alu instid0(SALU_CYCLE_1)
	s_cmp_lg_u32 s20, 0
	s_mov_b32 s20, 0
	s_cselect_b32 s22, -1, 0
.LBB299_209:
	s_delay_alu instid0(SALU_CYCLE_1)
	s_and_not1_b32 vcc_lo, exec_lo, s22
	s_cbranch_vccnz .LBB299_211
; %bb.210:
	s_mov_b32 s20, s3
.LBB299_211:
	v_and_b32_e32 v4, 0xff, v9
	s_mov_b32 s21, 0
	s_mov_b32 s22, exec_lo
	s_delay_alu instid0(VALU_DEP_1)
	v_cmpx_lt_i16_e32 0x7f, v4
	s_xor_b32 s22, exec_lo, s22
	s_cbranch_execnz .LBB299_221
; %bb.212:
	s_or_saveexec_b32 s22, s22
	v_mov_b32_e32 v3, 0x7f800001
	s_xor_b32 exec_lo, exec_lo, s22
	s_cbranch_execnz .LBB299_224
.LBB299_213:
	s_or_b32 exec_lo, exec_lo, s22
	s_and_saveexec_b32 s22, s21
	s_cbranch_execz .LBB299_215
.LBB299_214:
	v_and_b32_e32 v3, 7, v9
	v_lshrrev_b16 v10, 3, v9
	v_lshlrev_b32_e32 v12, 24, v9
	s_delay_alu instid0(VALU_DEP_3) | instskip(NEXT) | instid1(VALU_DEP_1)
	v_clz_i32_u32_e32 v4, v3
	v_min_u32_e32 v4, 32, v4
	s_delay_alu instid0(VALU_DEP_4) | instskip(NEXT) | instid1(VALU_DEP_2)
	v_and_b32_e32 v10, 15, v10
	v_subrev_nc_u32_e32 v11, 28, v4
	v_sub_nc_u32_e32 v4, 29, v4
	s_delay_alu instid0(VALU_DEP_3) | instskip(NEXT) | instid1(VALU_DEP_3)
	v_cmp_eq_u32_e32 vcc_lo, 0, v10
	v_lshlrev_b32_e32 v11, v11, v9
	s_delay_alu instid0(VALU_DEP_1) | instskip(SKIP_1) | instid1(VALU_DEP_2)
	v_dual_cndmask_b32 v4, v10, v4, vcc_lo :: v_dual_bitop2_b32 v11, 7, v11 bitop3:0x40
	v_and_b32_e32 v10, 0x80000000, v12
	v_cndmask_b32_e32 v3, v3, v11, vcc_lo
	s_delay_alu instid0(VALU_DEP_3) | instskip(NEXT) | instid1(VALU_DEP_2)
	v_lshl_add_u32 v4, v4, 23, 0x3b800000
	v_lshlrev_b32_e32 v3, 20, v3
	s_delay_alu instid0(VALU_DEP_1)
	v_or3_b32 v3, v10, v4, v3
.LBB299_215:
	s_or_b32 exec_lo, exec_lo, s22
	s_delay_alu instid0(VALU_DEP_1)
	v_cmp_neq_f32_e64 s20, s20, v3
.LBB299_216:
	v_cmp_ne_u32_e32 vcc_lo, 1, v2
	s_cbranch_vccnz .LBB299_485
.LBB299_217:
	s_and_b32 s22, s10, 0xff
	s_delay_alu instid0(SALU_CYCLE_1)
	s_cmp_lt_i32 s22, 0x80
	s_cbranch_scc1 .LBB299_225
; %bb.218:
	s_and_b32 s21, 0xffff, s22
	s_mov_b32 s23, -1
	s_cmp_eq_u32 s21, 0x80
	s_cbranch_scc0 .LBB299_220
; %bb.219:
	s_mov_b32 s23, 0
.LBB299_220:
	s_mov_b32 s21, 0x7f800001
	s_branch .LBB299_227
.LBB299_221:
	s_mov_b32 s21, -1
	s_mov_b32 s23, exec_lo
	v_cmpx_eq_u16_e32 0x80, v4
; %bb.222:
	s_xor_b32 s21, exec_lo, -1
; %bb.223:
	s_or_b32 exec_lo, exec_lo, s23
	s_delay_alu instid0(SALU_CYCLE_1)
	s_and_b32 s21, s21, exec_lo
                                        ; implicit-def: $vgpr4
	s_or_saveexec_b32 s22, s22
	v_mov_b32_e32 v3, 0x7f800001
	s_xor_b32 exec_lo, exec_lo, s22
	s_cbranch_execz .LBB299_213
.LBB299_224:
	v_cmp_ne_u16_e32 vcc_lo, 0, v4
	v_mov_b32_e32 v3, 0
	s_and_not1_b32 s21, s21, exec_lo
	s_and_b32 s23, vcc_lo, exec_lo
	s_delay_alu instid0(SALU_CYCLE_1)
	s_or_b32 s21, s21, s23
	s_or_b32 exec_lo, exec_lo, s22
	s_and_saveexec_b32 s22, s21
	s_cbranch_execnz .LBB299_214
	s_branch .LBB299_215
.LBB299_225:
	s_mov_b32 s23, 0
	s_mov_b32 s21, 0x7f800001
	s_cbranch_execz .LBB299_227
; %bb.226:
	s_and_b32 s21, 0xffff, s22
	s_delay_alu instid0(SALU_CYCLE_1)
	s_cmp_lg_u32 s21, 0
	s_mov_b32 s21, 0
	s_cselect_b32 s23, -1, 0
.LBB299_227:
	s_delay_alu instid0(SALU_CYCLE_1)
	s_and_not1_b32 vcc_lo, exec_lo, s23
	s_cbranch_vccnz .LBB299_229
; %bb.228:
	s_mov_b32 s21, s3
.LBB299_229:
	s_mov_b32 s22, 0
	s_mov_b32 s23, exec_lo
	v_cmpx_lt_i16_e32 0x7f, v8
	s_xor_b32 s23, exec_lo, s23
	s_cbranch_execnz .LBB299_239
; %bb.230:
	s_or_saveexec_b32 s23, s23
	v_mov_b32_e32 v3, 0x7f800001
	s_xor_b32 exec_lo, exec_lo, s23
	s_cbranch_execnz .LBB299_242
.LBB299_231:
	s_or_b32 exec_lo, exec_lo, s23
	s_and_saveexec_b32 s23, s22
	s_cbranch_execz .LBB299_233
.LBB299_232:
	v_and_b32_e32 v3, 0xffff, v8
	s_delay_alu instid0(VALU_DEP_1) | instskip(SKIP_1) | instid1(VALU_DEP_2)
	v_and_b32_e32 v4, 7, v3
	v_bfe_u32 v11, v3, 3, 4
	v_clz_i32_u32_e32 v9, v4
	s_delay_alu instid0(VALU_DEP_2) | instskip(NEXT) | instid1(VALU_DEP_2)
	v_cmp_eq_u32_e32 vcc_lo, 0, v11
	v_min_u32_e32 v9, 32, v9
	s_delay_alu instid0(VALU_DEP_1) | instskip(NEXT) | instid1(VALU_DEP_1)
	v_subrev_nc_u32_e32 v10, 28, v9
	v_dual_lshlrev_b32 v3, v10, v3 :: v_dual_sub_nc_u32 v9, 29, v9
	s_delay_alu instid0(VALU_DEP_1) | instskip(NEXT) | instid1(VALU_DEP_1)
	v_dual_lshlrev_b32 v10, 24, v8 :: v_dual_bitop2_b32 v3, 7, v3 bitop3:0x40
	v_dual_cndmask_b32 v9, v11, v9, vcc_lo :: v_dual_cndmask_b32 v3, v4, v3, vcc_lo
	s_delay_alu instid0(VALU_DEP_2) | instskip(NEXT) | instid1(VALU_DEP_2)
	v_and_b32_e32 v4, 0x80000000, v10
	v_lshl_add_u32 v9, v9, 23, 0x3b800000
	s_delay_alu instid0(VALU_DEP_3) | instskip(NEXT) | instid1(VALU_DEP_1)
	v_lshlrev_b32_e32 v3, 20, v3
	v_or3_b32 v3, v4, v9, v3
.LBB299_233:
	s_or_b32 exec_lo, exec_lo, s23
	s_delay_alu instid0(VALU_DEP_1)
	v_cmp_neq_f32_e64 s21, s21, v3
.LBB299_234:
	v_cmp_ne_u32_e32 vcc_lo, 1, v2
	s_cbranch_vccnz .LBB299_503
.LBB299_235:
	s_and_b32 s23, s10, 0xff
	s_delay_alu instid0(SALU_CYCLE_1)
	s_cmp_lt_i32 s23, 0x80
	s_cbranch_scc1 .LBB299_243
; %bb.236:
	s_and_b32 s22, 0xffff, s23
	s_mov_b32 s24, -1
	s_cmp_eq_u32 s22, 0x80
	s_cbranch_scc0 .LBB299_238
; %bb.237:
	s_mov_b32 s24, 0
.LBB299_238:
	s_mov_b32 s22, 0x7f800001
	s_branch .LBB299_245
.LBB299_239:
	s_mov_b32 s22, -1
	s_mov_b32 s24, exec_lo
	v_cmpx_eq_u16_e32 0x80, v8
; %bb.240:
	s_xor_b32 s22, exec_lo, -1
; %bb.241:
	s_or_b32 exec_lo, exec_lo, s24
	s_delay_alu instid0(SALU_CYCLE_1)
	s_and_b32 s22, s22, exec_lo
	s_or_saveexec_b32 s23, s23
	v_mov_b32_e32 v3, 0x7f800001
	s_xor_b32 exec_lo, exec_lo, s23
	s_cbranch_execz .LBB299_231
.LBB299_242:
	v_cmp_ne_u16_e32 vcc_lo, 0, v8
	v_mov_b32_e32 v3, 0
	s_and_not1_b32 s22, s22, exec_lo
	s_and_b32 s24, vcc_lo, exec_lo
	s_delay_alu instid0(SALU_CYCLE_1)
	s_or_b32 s22, s22, s24
	s_or_b32 exec_lo, exec_lo, s23
	s_and_saveexec_b32 s23, s22
	s_cbranch_execnz .LBB299_232
	s_branch .LBB299_233
.LBB299_243:
	s_mov_b32 s24, 0
	s_mov_b32 s22, 0x7f800001
	s_cbranch_execz .LBB299_245
; %bb.244:
	s_and_b32 s22, 0xffff, s23
	s_delay_alu instid0(SALU_CYCLE_1)
	s_cmp_lg_u32 s22, 0
	s_mov_b32 s22, 0
	s_cselect_b32 s24, -1, 0
.LBB299_245:
	s_delay_alu instid0(SALU_CYCLE_1)
	s_and_not1_b32 vcc_lo, exec_lo, s24
	s_cbranch_vccnz .LBB299_247
; %bb.246:
	s_mov_b32 s22, s3
.LBB299_247:
	v_and_b32_e32 v4, 0xff, v5
	s_mov_b32 s23, 0
	s_mov_b32 s24, exec_lo
	s_delay_alu instid0(VALU_DEP_1)
	v_cmpx_lt_i16_e32 0x7f, v4
	s_xor_b32 s24, exec_lo, s24
	s_cbranch_execnz .LBB299_257
; %bb.248:
	s_or_saveexec_b32 s24, s24
	v_mov_b32_e32 v3, 0x7f800001
	s_xor_b32 exec_lo, exec_lo, s24
	s_cbranch_execnz .LBB299_260
.LBB299_249:
	s_or_b32 exec_lo, exec_lo, s24
	s_and_saveexec_b32 s24, s23
	s_cbranch_execz .LBB299_251
.LBB299_250:
	v_and_b32_e32 v3, 7, v5
	v_lshrrev_b16 v8, 3, v5
	v_lshlrev_b32_e32 v10, 24, v5
	s_delay_alu instid0(VALU_DEP_3) | instskip(NEXT) | instid1(VALU_DEP_3)
	v_clz_i32_u32_e32 v4, v3
	v_and_b32_e32 v8, 15, v8
	s_delay_alu instid0(VALU_DEP_2) | instskip(NEXT) | instid1(VALU_DEP_2)
	v_min_u32_e32 v4, 32, v4
	v_cmp_eq_u32_e32 vcc_lo, 0, v8
	s_delay_alu instid0(VALU_DEP_2) | instskip(NEXT) | instid1(VALU_DEP_1)
	v_subrev_nc_u32_e32 v9, 28, v4
	v_dual_lshlrev_b32 v9, v9, v5 :: v_dual_sub_nc_u32 v4, 29, v4
	s_delay_alu instid0(VALU_DEP_1) | instskip(SKIP_1) | instid1(VALU_DEP_2)
	v_dual_cndmask_b32 v4, v8, v4, vcc_lo :: v_dual_bitop2_b32 v9, 7, v9 bitop3:0x40
	v_and_b32_e32 v8, 0x80000000, v10
	v_cndmask_b32_e32 v3, v3, v9, vcc_lo
	s_delay_alu instid0(VALU_DEP_3) | instskip(NEXT) | instid1(VALU_DEP_2)
	v_lshl_add_u32 v4, v4, 23, 0x3b800000
	v_lshlrev_b32_e32 v3, 20, v3
	s_delay_alu instid0(VALU_DEP_1)
	v_or3_b32 v3, v8, v4, v3
.LBB299_251:
	s_or_b32 exec_lo, exec_lo, s24
	s_delay_alu instid0(VALU_DEP_1)
	v_cmp_neq_f32_e64 s22, s22, v3
.LBB299_252:
	v_cmp_ne_u32_e32 vcc_lo, 1, v2
	s_cbranch_vccnz .LBB299_521
.LBB299_253:
	s_and_b32 s24, s10, 0xff
	s_delay_alu instid0(SALU_CYCLE_1)
	s_cmp_lt_i32 s24, 0x80
	s_cbranch_scc1 .LBB299_261
; %bb.254:
	s_and_b32 s23, 0xffff, s24
	s_mov_b32 s25, -1
	s_cmp_eq_u32 s23, 0x80
	s_cbranch_scc0 .LBB299_256
; %bb.255:
	s_mov_b32 s25, 0
.LBB299_256:
	s_mov_b32 s23, 0x7f800001
	s_branch .LBB299_263
.LBB299_257:
	s_mov_b32 s23, -1
	s_mov_b32 s25, exec_lo
	v_cmpx_eq_u16_e32 0x80, v4
; %bb.258:
	s_xor_b32 s23, exec_lo, -1
; %bb.259:
	s_or_b32 exec_lo, exec_lo, s25
	s_delay_alu instid0(SALU_CYCLE_1)
	s_and_b32 s23, s23, exec_lo
                                        ; implicit-def: $vgpr4
	s_or_saveexec_b32 s24, s24
	v_mov_b32_e32 v3, 0x7f800001
	s_xor_b32 exec_lo, exec_lo, s24
	s_cbranch_execz .LBB299_249
.LBB299_260:
	v_cmp_ne_u16_e32 vcc_lo, 0, v4
	v_mov_b32_e32 v3, 0
	s_and_not1_b32 s23, s23, exec_lo
	s_and_b32 s25, vcc_lo, exec_lo
	s_delay_alu instid0(SALU_CYCLE_1)
	s_or_b32 s23, s23, s25
	s_or_b32 exec_lo, exec_lo, s24
	s_and_saveexec_b32 s24, s23
	s_cbranch_execnz .LBB299_250
	s_branch .LBB299_251
.LBB299_261:
	s_mov_b32 s25, 0
	s_mov_b32 s23, 0x7f800001
	s_cbranch_execz .LBB299_263
; %bb.262:
	s_and_b32 s23, 0xffff, s24
	s_delay_alu instid0(SALU_CYCLE_1)
	s_cmp_lg_u32 s23, 0
	s_mov_b32 s23, 0
	s_cselect_b32 s25, -1, 0
.LBB299_263:
	s_delay_alu instid0(SALU_CYCLE_1)
	s_and_not1_b32 vcc_lo, exec_lo, s25
	s_cbranch_vccnz .LBB299_265
; %bb.264:
	s_mov_b32 s23, s3
.LBB299_265:
	v_and_b32_e32 v4, 0xff, v7
	s_mov_b32 s24, 0
	s_mov_b32 s25, exec_lo
	s_delay_alu instid0(VALU_DEP_1)
	v_cmpx_lt_i16_e32 0x7f, v4
	s_xor_b32 s25, exec_lo, s25
	s_cbranch_execnz .LBB299_275
; %bb.266:
	s_or_saveexec_b32 s25, s25
	v_mov_b32_e32 v3, 0x7f800001
	s_xor_b32 exec_lo, exec_lo, s25
	s_cbranch_execnz .LBB299_278
.LBB299_267:
	s_or_b32 exec_lo, exec_lo, s25
	s_and_saveexec_b32 s25, s24
	s_cbranch_execz .LBB299_269
.LBB299_268:
	v_and_b32_e32 v3, 7, v7
	v_lshrrev_b16 v5, 3, v7
	v_lshlrev_b32_e32 v9, 24, v7
	s_delay_alu instid0(VALU_DEP_3) | instskip(NEXT) | instid1(VALU_DEP_1)
	v_clz_i32_u32_e32 v4, v3
	v_min_u32_e32 v4, 32, v4
	s_delay_alu instid0(VALU_DEP_4) | instskip(NEXT) | instid1(VALU_DEP_2)
	v_and_b32_e32 v5, 15, v5
	v_subrev_nc_u32_e32 v8, 28, v4
	v_sub_nc_u32_e32 v4, 29, v4
	s_delay_alu instid0(VALU_DEP_3) | instskip(NEXT) | instid1(VALU_DEP_3)
	v_cmp_eq_u32_e32 vcc_lo, 0, v5
	v_lshlrev_b32_e32 v8, v8, v7
	s_delay_alu instid0(VALU_DEP_1) | instskip(NEXT) | instid1(VALU_DEP_1)
	v_and_b32_e32 v8, 7, v8
	v_cndmask_b32_e32 v3, v3, v8, vcc_lo
	v_cndmask_b32_e32 v4, v5, v4, vcc_lo
	v_and_b32_e32 v5, 0x80000000, v9
	s_delay_alu instid0(VALU_DEP_3) | instskip(NEXT) | instid1(VALU_DEP_3)
	v_lshlrev_b32_e32 v3, 20, v3
	v_lshl_add_u32 v4, v4, 23, 0x3b800000
	s_delay_alu instid0(VALU_DEP_1)
	v_or3_b32 v3, v5, v4, v3
.LBB299_269:
	s_or_b32 exec_lo, exec_lo, s25
	s_delay_alu instid0(VALU_DEP_1)
	v_cmp_neq_f32_e64 s23, s23, v3
.LBB299_270:
	v_cmp_ne_u32_e32 vcc_lo, 1, v2
	s_cbranch_vccnz .LBB299_539
.LBB299_271:
	s_and_b32 s25, s10, 0xff
	s_delay_alu instid0(SALU_CYCLE_1)
	s_cmp_lt_i32 s25, 0x80
	s_cbranch_scc1 .LBB299_279
; %bb.272:
	s_and_b32 s24, 0xffff, s25
	s_mov_b32 s26, -1
	s_cmp_eq_u32 s24, 0x80
	s_cbranch_scc0 .LBB299_274
; %bb.273:
	s_mov_b32 s26, 0
.LBB299_274:
	s_mov_b32 s24, 0x7f800001
	s_branch .LBB299_281
.LBB299_275:
	s_mov_b32 s24, -1
	s_mov_b32 s26, exec_lo
	v_cmpx_eq_u16_e32 0x80, v4
; %bb.276:
	s_xor_b32 s24, exec_lo, -1
; %bb.277:
	s_or_b32 exec_lo, exec_lo, s26
	s_delay_alu instid0(SALU_CYCLE_1)
	s_and_b32 s24, s24, exec_lo
                                        ; implicit-def: $vgpr4
	s_or_saveexec_b32 s25, s25
	v_mov_b32_e32 v3, 0x7f800001
	s_xor_b32 exec_lo, exec_lo, s25
	s_cbranch_execz .LBB299_267
.LBB299_278:
	v_cmp_ne_u16_e32 vcc_lo, 0, v4
	v_mov_b32_e32 v3, 0
	s_and_not1_b32 s24, s24, exec_lo
	s_and_b32 s26, vcc_lo, exec_lo
	s_delay_alu instid0(SALU_CYCLE_1)
	s_or_b32 s24, s24, s26
	s_or_b32 exec_lo, exec_lo, s25
	s_and_saveexec_b32 s25, s24
	s_cbranch_execnz .LBB299_268
	s_branch .LBB299_269
.LBB299_279:
	s_mov_b32 s26, 0
	s_mov_b32 s24, 0x7f800001
	s_cbranch_execz .LBB299_281
; %bb.280:
	s_and_b32 s24, 0xffff, s25
	s_delay_alu instid0(SALU_CYCLE_1)
	s_cmp_lg_u32 s24, 0
	s_mov_b32 s24, 0
	s_cselect_b32 s26, -1, 0
.LBB299_281:
	s_delay_alu instid0(SALU_CYCLE_1)
	s_and_not1_b32 vcc_lo, exec_lo, s26
	s_cbranch_vccnz .LBB299_283
; %bb.282:
	s_mov_b32 s24, s3
.LBB299_283:
	v_and_b32_e32 v4, 0xff, v6
	s_mov_b32 s25, 0
	s_mov_b32 s26, exec_lo
	s_delay_alu instid0(VALU_DEP_1)
	v_cmpx_lt_i16_e32 0x7f, v4
	s_xor_b32 s26, exec_lo, s26
	s_cbranch_execnz .LBB299_293
; %bb.284:
	s_or_saveexec_b32 s26, s26
	v_mov_b32_e32 v3, 0x7f800001
	s_xor_b32 exec_lo, exec_lo, s26
	s_cbranch_execnz .LBB299_296
.LBB299_285:
	s_or_b32 exec_lo, exec_lo, s26
	s_and_saveexec_b32 s26, s25
	s_cbranch_execz .LBB299_287
.LBB299_286:
	v_and_b32_e32 v3, 7, v6
	v_lshrrev_b16 v5, 3, v6
	v_lshlrev_b32_e32 v8, 24, v6
	s_delay_alu instid0(VALU_DEP_3) | instskip(NEXT) | instid1(VALU_DEP_1)
	v_clz_i32_u32_e32 v4, v3
	v_min_u32_e32 v4, 32, v4
	s_delay_alu instid0(VALU_DEP_4) | instskip(NEXT) | instid1(VALU_DEP_2)
	v_and_b32_e32 v5, 15, v5
	v_subrev_nc_u32_e32 v7, 28, v4
	v_sub_nc_u32_e32 v4, 29, v4
	s_delay_alu instid0(VALU_DEP_3) | instskip(NEXT) | instid1(VALU_DEP_3)
	v_cmp_eq_u32_e32 vcc_lo, 0, v5
	v_lshlrev_b32_e32 v7, v7, v6
	s_delay_alu instid0(VALU_DEP_1) | instskip(SKIP_1) | instid1(VALU_DEP_2)
	v_dual_cndmask_b32 v4, v5, v4, vcc_lo :: v_dual_bitop2_b32 v7, 7, v7 bitop3:0x40
	v_and_b32_e32 v5, 0x80000000, v8
	v_cndmask_b32_e32 v3, v3, v7, vcc_lo
	s_delay_alu instid0(VALU_DEP_3) | instskip(NEXT) | instid1(VALU_DEP_2)
	v_lshl_add_u32 v4, v4, 23, 0x3b800000
	v_lshlrev_b32_e32 v3, 20, v3
	s_delay_alu instid0(VALU_DEP_1)
	v_or3_b32 v3, v5, v4, v3
.LBB299_287:
	s_or_b32 exec_lo, exec_lo, s26
	s_delay_alu instid0(VALU_DEP_1)
	v_cmp_neq_f32_e64 s24, s24, v3
.LBB299_288:
	v_cmp_ne_u32_e32 vcc_lo, 1, v2
	s_cbranch_vccnz .LBB299_557
.LBB299_289:
	s_and_b32 s26, s10, 0xff
	s_delay_alu instid0(SALU_CYCLE_1)
	s_cmp_lt_i32 s26, 0x80
	s_cbranch_scc1 .LBB299_297
; %bb.290:
	s_and_b32 s25, 0xffff, s26
	s_mov_b32 s27, -1
	s_cmp_eq_u32 s25, 0x80
	s_cbranch_scc0 .LBB299_292
; %bb.291:
	s_mov_b32 s27, 0
.LBB299_292:
	s_mov_b32 s25, 0x7f800001
	s_branch .LBB299_299
.LBB299_293:
	s_mov_b32 s25, -1
	s_mov_b32 s27, exec_lo
	v_cmpx_eq_u16_e32 0x80, v4
; %bb.294:
	s_xor_b32 s25, exec_lo, -1
; %bb.295:
	s_or_b32 exec_lo, exec_lo, s27
	s_delay_alu instid0(SALU_CYCLE_1)
	s_and_b32 s25, s25, exec_lo
                                        ; implicit-def: $vgpr4
	s_or_saveexec_b32 s26, s26
	v_mov_b32_e32 v3, 0x7f800001
	s_xor_b32 exec_lo, exec_lo, s26
	s_cbranch_execz .LBB299_285
.LBB299_296:
	v_cmp_ne_u16_e32 vcc_lo, 0, v4
	v_mov_b32_e32 v3, 0
	s_and_not1_b32 s25, s25, exec_lo
	s_and_b32 s27, vcc_lo, exec_lo
	s_delay_alu instid0(SALU_CYCLE_1)
	s_or_b32 s25, s25, s27
	s_or_b32 exec_lo, exec_lo, s26
	s_and_saveexec_b32 s26, s25
	s_cbranch_execnz .LBB299_286
	s_branch .LBB299_287
.LBB299_297:
	s_mov_b32 s27, 0
	s_mov_b32 s25, 0x7f800001
	s_cbranch_execz .LBB299_299
; %bb.298:
	s_and_b32 s25, 0xffff, s26
	s_delay_alu instid0(SALU_CYCLE_1)
	s_cmp_lg_u32 s25, 0
	s_mov_b32 s25, 0
	s_cselect_b32 s27, -1, 0
.LBB299_299:
	s_delay_alu instid0(SALU_CYCLE_1)
	s_and_not1_b32 vcc_lo, exec_lo, s27
	s_cbranch_vccnz .LBB299_301
; %bb.300:
	s_mov_b32 s25, s3
.LBB299_301:
	s_mov_b32 s26, 0
	s_mov_b32 s27, exec_lo
	v_cmpx_lt_i16_e32 0x7f, v1
	s_xor_b32 s27, exec_lo, s27
	s_cbranch_execnz .LBB299_306
; %bb.302:
	s_or_saveexec_b32 s27, s27
	v_mov_b32_e32 v2, 0x7f800001
	s_xor_b32 exec_lo, exec_lo, s27
	s_cbranch_execnz .LBB299_309
.LBB299_303:
	s_or_b32 exec_lo, exec_lo, s27
	s_and_saveexec_b32 s27, s26
	s_cbranch_execz .LBB299_305
.LBB299_304:
	v_and_b32_e32 v2, 0xffff, v1
	s_delay_alu instid0(VALU_DEP_1) | instskip(SKIP_1) | instid1(VALU_DEP_2)
	v_and_b32_e32 v3, 7, v2
	v_bfe_u32 v6, v2, 3, 4
	v_clz_i32_u32_e32 v4, v3
	s_delay_alu instid0(VALU_DEP_2) | instskip(NEXT) | instid1(VALU_DEP_2)
	v_cmp_eq_u32_e32 vcc_lo, 0, v6
	v_min_u32_e32 v4, 32, v4
	s_delay_alu instid0(VALU_DEP_1) | instskip(NEXT) | instid1(VALU_DEP_1)
	v_subrev_nc_u32_e32 v5, 28, v4
	v_dual_lshlrev_b32 v2, v5, v2 :: v_dual_sub_nc_u32 v4, 29, v4
	s_delay_alu instid0(VALU_DEP_1) | instskip(NEXT) | instid1(VALU_DEP_1)
	v_dual_lshlrev_b32 v5, 24, v1 :: v_dual_bitop2_b32 v2, 7, v2 bitop3:0x40
	v_dual_cndmask_b32 v4, v6, v4, vcc_lo :: v_dual_cndmask_b32 v2, v3, v2, vcc_lo
	s_delay_alu instid0(VALU_DEP_2) | instskip(NEXT) | instid1(VALU_DEP_2)
	v_and_b32_e32 v3, 0x80000000, v5
	v_lshl_add_u32 v4, v4, 23, 0x3b800000
	s_delay_alu instid0(VALU_DEP_3) | instskip(NEXT) | instid1(VALU_DEP_1)
	v_lshlrev_b32_e32 v2, 20, v2
	v_or3_b32 v2, v3, v4, v2
.LBB299_305:
	s_or_b32 exec_lo, exec_lo, s27
	s_delay_alu instid0(VALU_DEP_1)
	v_cmp_neq_f32_e64 s25, s25, v2
	s_branch .LBB299_575
.LBB299_306:
	s_mov_b32 s26, -1
	s_mov_b32 s28, exec_lo
	v_cmpx_eq_u16_e32 0x80, v1
; %bb.307:
	s_xor_b32 s26, exec_lo, -1
; %bb.308:
	s_or_b32 exec_lo, exec_lo, s28
	s_delay_alu instid0(SALU_CYCLE_1)
	s_and_b32 s26, s26, exec_lo
	s_or_saveexec_b32 s27, s27
	v_mov_b32_e32 v2, 0x7f800001
	s_xor_b32 exec_lo, exec_lo, s27
	s_cbranch_execz .LBB299_303
.LBB299_309:
	v_cmp_ne_u16_e32 vcc_lo, 0, v1
	v_mov_b32_e32 v2, 0
	s_and_not1_b32 s26, s26, exec_lo
	s_and_b32 s28, vcc_lo, exec_lo
	s_delay_alu instid0(SALU_CYCLE_1)
	s_or_b32 s26, s26, s28
	s_or_b32 exec_lo, exec_lo, s27
	s_and_saveexec_b32 s27, s26
	s_cbranch_execnz .LBB299_304
	s_branch .LBB299_305
.LBB299_310:
	s_mov_b32 s12, -1
	s_mov_b32 s14, exec_lo
	v_cmpx_eq_u16_e32 0x80, v6
; %bb.311:
	s_xor_b32 s12, exec_lo, -1
; %bb.312:
	s_or_b32 exec_lo, exec_lo, s14
	s_delay_alu instid0(SALU_CYCLE_1)
	s_and_b32 s12, s12, exec_lo
                                        ; implicit-def: $vgpr6
	s_or_saveexec_b32 s13, s13
	v_mov_b32_e32 v1, 0x7f800001
	s_xor_b32 exec_lo, exec_lo, s13
	s_cbranch_execz .LBB299_32
.LBB299_313:
	v_cmp_ne_u16_e32 vcc_lo, 0, v6
	v_mov_b32_e32 v1, 0
	s_and_not1_b32 s12, s12, exec_lo
	s_and_b32 s14, vcc_lo, exec_lo
	s_delay_alu instid0(SALU_CYCLE_1)
	s_or_b32 s12, s12, s14
	s_or_b32 exec_lo, exec_lo, s13
	s_and_saveexec_b32 s13, s12
	s_cbranch_execnz .LBB299_33
	s_branch .LBB299_34
.LBB299_314:
	s_mov_b32 s13, 0
	s_mov_b32 s11, 0x7f800001
	s_cbranch_execz .LBB299_316
; %bb.315:
	s_and_b32 s11, 0xffff, s12
	s_delay_alu instid0(SALU_CYCLE_1)
	s_cmp_lg_u32 s11, 0
	s_mov_b32 s11, 0
	s_cselect_b32 s13, -1, 0
.LBB299_316:
	s_delay_alu instid0(SALU_CYCLE_1)
	s_and_not1_b32 vcc_lo, exec_lo, s13
	s_cbranch_vccnz .LBB299_318
; %bb.317:
	s_mov_b32 s11, s3
.LBB299_318:
	v_and_b32_e32 v18, 0xff, v16
	s_mov_b32 s12, 0
	s_mov_b32 s13, exec_lo
	s_delay_alu instid0(VALU_DEP_1)
	v_cmpx_lt_i16_e32 0x7f, v18
	s_xor_b32 s13, exec_lo, s13
	s_cbranch_execnz .LBB299_328
; %bb.319:
	s_or_saveexec_b32 s13, s13
	v_mov_b32_e32 v17, 0x7f800001
	s_xor_b32 exec_lo, exec_lo, s13
	s_cbranch_execnz .LBB299_331
.LBB299_320:
	s_or_b32 exec_lo, exec_lo, s13
	s_and_saveexec_b32 s13, s12
	s_cbranch_execz .LBB299_322
.LBB299_321:
	v_and_b32_e32 v17, 7, v16
	v_lshrrev_b16 v19, 3, v16
	s_delay_alu instid0(VALU_DEP_2) | instskip(NEXT) | instid1(VALU_DEP_1)
	v_clz_i32_u32_e32 v18, v17
	v_min_u32_e32 v18, 32, v18
	s_delay_alu instid0(VALU_DEP_3) | instskip(NEXT) | instid1(VALU_DEP_2)
	v_and_b32_e32 v19, 15, v19
	v_subrev_nc_u32_e32 v20, 28, v18
	v_sub_nc_u32_e32 v18, 29, v18
	s_delay_alu instid0(VALU_DEP_3) | instskip(NEXT) | instid1(VALU_DEP_2)
	v_cmp_eq_u32_e32 vcc_lo, 0, v19
	v_dual_lshlrev_b32 v20, v20, v16 :: v_dual_cndmask_b32 v18, v19, v18, vcc_lo
	s_delay_alu instid0(VALU_DEP_1) | instskip(NEXT) | instid1(VALU_DEP_2)
	v_and_b32_e32 v20, 7, v20
	v_lshl_add_u32 v18, v18, 23, 0x3b800000
	s_delay_alu instid0(VALU_DEP_2) | instskip(NEXT) | instid1(VALU_DEP_1)
	v_cndmask_b32_e32 v17, v17, v20, vcc_lo
	v_dual_lshlrev_b32 v16, 24, v16 :: v_dual_lshlrev_b32 v17, 20, v17
	s_delay_alu instid0(VALU_DEP_1) | instskip(NEXT) | instid1(VALU_DEP_1)
	v_and_b32_e32 v16, 0x80000000, v16
	v_or3_b32 v17, v16, v18, v17
.LBB299_322:
	s_or_b32 exec_lo, exec_lo, s13
	s_delay_alu instid0(VALU_DEP_1)
	v_cmp_eq_f32_e64 s11, s11, v17
	v_cmp_ne_u32_e32 vcc_lo, 1, v2
	s_cbranch_vccz .LBB299_42
.LBB299_323:
                                        ; implicit-def: $sgpr12
	s_cbranch_execz .LBB299_68
; %bb.324:
	s_and_b32 s13, s10, 0xff
	s_delay_alu instid0(SALU_CYCLE_1)
	s_cmp_lt_i32 s13, 0x80
	s_cbranch_scc1 .LBB299_332
; %bb.325:
	s_and_b32 s12, 0xffff, s13
	s_mov_b32 s14, -1
	s_cmp_eq_u32 s12, 0x80
	s_cbranch_scc0 .LBB299_327
; %bb.326:
	s_mov_b32 s14, 0
.LBB299_327:
	s_mov_b32 s12, 0x7f800001
	s_branch .LBB299_334
.LBB299_328:
	s_mov_b32 s12, -1
	s_mov_b32 s14, exec_lo
	v_cmpx_eq_u16_e32 0x80, v18
; %bb.329:
	s_xor_b32 s12, exec_lo, -1
; %bb.330:
	s_or_b32 exec_lo, exec_lo, s14
	s_delay_alu instid0(SALU_CYCLE_1)
	s_and_b32 s12, s12, exec_lo
                                        ; implicit-def: $vgpr18
	s_or_saveexec_b32 s13, s13
	v_mov_b32_e32 v17, 0x7f800001
	s_xor_b32 exec_lo, exec_lo, s13
	s_cbranch_execz .LBB299_320
.LBB299_331:
	v_cmp_ne_u16_e32 vcc_lo, 0, v18
	v_mov_b32_e32 v17, 0
	s_and_not1_b32 s12, s12, exec_lo
	s_and_b32 s14, vcc_lo, exec_lo
	s_delay_alu instid0(SALU_CYCLE_1)
	s_or_b32 s12, s12, s14
	s_or_b32 exec_lo, exec_lo, s13
	s_and_saveexec_b32 s13, s12
	s_cbranch_execnz .LBB299_321
	s_branch .LBB299_322
.LBB299_332:
	s_mov_b32 s14, 0
	s_mov_b32 s12, 0x7f800001
	s_cbranch_execz .LBB299_334
; %bb.333:
	s_and_b32 s12, 0xffff, s13
	s_delay_alu instid0(SALU_CYCLE_1)
	s_cmp_lg_u32 s12, 0
	s_mov_b32 s12, 0
	s_cselect_b32 s14, -1, 0
.LBB299_334:
	s_delay_alu instid0(SALU_CYCLE_1)
	s_and_not1_b32 vcc_lo, exec_lo, s14
	s_cbranch_vccnz .LBB299_336
; %bb.335:
	s_mov_b32 s12, s3
.LBB299_336:
	v_and_b32_e32 v17, 0xff, v15
	s_mov_b32 s13, 0
	s_mov_b32 s14, exec_lo
	s_delay_alu instid0(VALU_DEP_1)
	v_cmpx_lt_i16_e32 0x7f, v17
	s_xor_b32 s14, exec_lo, s14
	s_cbranch_execnz .LBB299_346
; %bb.337:
	s_or_saveexec_b32 s14, s14
	v_mov_b32_e32 v16, 0x7f800001
	s_xor_b32 exec_lo, exec_lo, s14
	s_cbranch_execnz .LBB299_349
.LBB299_338:
	s_or_b32 exec_lo, exec_lo, s14
	s_and_saveexec_b32 s14, s13
	s_cbranch_execz .LBB299_340
.LBB299_339:
	v_and_b32_e32 v16, 7, v15
	v_lshrrev_b16 v18, 3, v15
	s_delay_alu instid0(VALU_DEP_2) | instskip(NEXT) | instid1(VALU_DEP_1)
	v_clz_i32_u32_e32 v17, v16
	v_min_u32_e32 v17, 32, v17
	s_delay_alu instid0(VALU_DEP_3) | instskip(NEXT) | instid1(VALU_DEP_2)
	v_and_b32_e32 v18, 15, v18
	v_subrev_nc_u32_e32 v19, 28, v17
	v_sub_nc_u32_e32 v17, 29, v17
	s_delay_alu instid0(VALU_DEP_3) | instskip(NEXT) | instid1(VALU_DEP_2)
	v_cmp_eq_u32_e32 vcc_lo, 0, v18
	v_dual_lshlrev_b32 v19, v19, v15 :: v_dual_cndmask_b32 v17, v18, v17, vcc_lo
	s_delay_alu instid0(VALU_DEP_1) | instskip(NEXT) | instid1(VALU_DEP_2)
	v_and_b32_e32 v19, 7, v19
	v_lshl_add_u32 v17, v17, 23, 0x3b800000
	s_delay_alu instid0(VALU_DEP_2) | instskip(NEXT) | instid1(VALU_DEP_1)
	v_cndmask_b32_e32 v16, v16, v19, vcc_lo
	v_dual_lshlrev_b32 v15, 24, v15 :: v_dual_lshlrev_b32 v16, 20, v16
	s_delay_alu instid0(VALU_DEP_1) | instskip(NEXT) | instid1(VALU_DEP_1)
	v_and_b32_e32 v15, 0x80000000, v15
	v_or3_b32 v16, v15, v17, v16
.LBB299_340:
	s_or_b32 exec_lo, exec_lo, s14
	s_delay_alu instid0(VALU_DEP_1)
	v_cmp_eq_f32_e64 s12, s12, v16
	v_cmp_ne_u32_e32 vcc_lo, 1, v2
	s_cbranch_vccz .LBB299_69
.LBB299_341:
                                        ; implicit-def: $sgpr13
	s_cbranch_execz .LBB299_90
; %bb.342:
	s_and_b32 s14, s10, 0xff
	s_delay_alu instid0(SALU_CYCLE_1)
	s_cmp_lt_i32 s14, 0x80
	s_cbranch_scc1 .LBB299_350
; %bb.343:
	s_and_b32 s13, 0xffff, s14
	s_mov_b32 s15, -1
	s_cmp_eq_u32 s13, 0x80
	s_cbranch_scc0 .LBB299_345
; %bb.344:
	s_mov_b32 s15, 0
.LBB299_345:
	s_mov_b32 s13, 0x7f800001
	s_branch .LBB299_352
.LBB299_346:
	s_mov_b32 s13, -1
	s_mov_b32 s15, exec_lo
	v_cmpx_eq_u16_e32 0x80, v17
; %bb.347:
	s_xor_b32 s13, exec_lo, -1
; %bb.348:
	s_or_b32 exec_lo, exec_lo, s15
	s_delay_alu instid0(SALU_CYCLE_1)
	s_and_b32 s13, s13, exec_lo
                                        ; implicit-def: $vgpr17
	s_or_saveexec_b32 s14, s14
	v_mov_b32_e32 v16, 0x7f800001
	s_xor_b32 exec_lo, exec_lo, s14
	s_cbranch_execz .LBB299_338
.LBB299_349:
	v_cmp_ne_u16_e32 vcc_lo, 0, v17
	v_mov_b32_e32 v16, 0
	s_and_not1_b32 s13, s13, exec_lo
	s_and_b32 s15, vcc_lo, exec_lo
	s_delay_alu instid0(SALU_CYCLE_1)
	s_or_b32 s13, s13, s15
	s_or_b32 exec_lo, exec_lo, s14
	s_and_saveexec_b32 s14, s13
	s_cbranch_execnz .LBB299_339
	s_branch .LBB299_340
.LBB299_350:
	s_mov_b32 s15, 0
	s_mov_b32 s13, 0x7f800001
	s_cbranch_execz .LBB299_352
; %bb.351:
	s_and_b32 s13, 0xffff, s14
	s_delay_alu instid0(SALU_CYCLE_1)
	s_cmp_lg_u32 s13, 0
	s_mov_b32 s13, 0
	s_cselect_b32 s15, -1, 0
.LBB299_352:
	s_delay_alu instid0(SALU_CYCLE_1)
	s_and_not1_b32 vcc_lo, exec_lo, s15
	s_cbranch_vccnz .LBB299_354
; %bb.353:
	s_mov_b32 s13, s3
.LBB299_354:
	s_mov_b32 s14, 0
	s_mov_b32 s15, exec_lo
	v_cmpx_lt_i16_e32 0x7f, v14
	s_xor_b32 s15, exec_lo, s15
	s_cbranch_execnz .LBB299_364
; %bb.355:
	s_or_saveexec_b32 s15, s15
	v_mov_b32_e32 v15, 0x7f800001
	s_xor_b32 exec_lo, exec_lo, s15
	s_cbranch_execnz .LBB299_367
.LBB299_356:
	s_or_b32 exec_lo, exec_lo, s15
	s_and_saveexec_b32 s15, s14
	s_cbranch_execz .LBB299_358
.LBB299_357:
	v_and_b32_e32 v15, 0xffff, v14
	s_delay_alu instid0(VALU_DEP_1) | instskip(SKIP_1) | instid1(VALU_DEP_2)
	v_and_b32_e32 v16, 7, v15
	v_bfe_u32 v19, v15, 3, 4
	v_clz_i32_u32_e32 v17, v16
	s_delay_alu instid0(VALU_DEP_2) | instskip(NEXT) | instid1(VALU_DEP_2)
	v_cmp_eq_u32_e32 vcc_lo, 0, v19
	v_min_u32_e32 v17, 32, v17
	s_delay_alu instid0(VALU_DEP_1) | instskip(NEXT) | instid1(VALU_DEP_1)
	v_subrev_nc_u32_e32 v18, 28, v17
	v_dual_lshlrev_b32 v15, v18, v15 :: v_dual_sub_nc_u32 v17, 29, v17
	s_delay_alu instid0(VALU_DEP_1) | instskip(NEXT) | instid1(VALU_DEP_1)
	v_dual_lshlrev_b32 v14, 24, v14 :: v_dual_bitop2_b32 v15, 7, v15 bitop3:0x40
	v_dual_cndmask_b32 v17, v19, v17, vcc_lo :: v_dual_cndmask_b32 v15, v16, v15, vcc_lo
	s_delay_alu instid0(VALU_DEP_2) | instskip(NEXT) | instid1(VALU_DEP_2)
	v_and_b32_e32 v14, 0x80000000, v14
	v_lshl_add_u32 v16, v17, 23, 0x3b800000
	s_delay_alu instid0(VALU_DEP_3) | instskip(NEXT) | instid1(VALU_DEP_1)
	v_lshlrev_b32_e32 v15, 20, v15
	v_or3_b32 v15, v14, v16, v15
.LBB299_358:
	s_or_b32 exec_lo, exec_lo, s15
	s_delay_alu instid0(VALU_DEP_1)
	v_cmp_eq_f32_e64 s13, s13, v15
	v_cmp_ne_u32_e32 vcc_lo, 1, v2
	s_cbranch_vccz .LBB299_91
.LBB299_359:
                                        ; implicit-def: $sgpr14
	s_cbranch_execz .LBB299_108
; %bb.360:
	s_and_b32 s15, s10, 0xff
	s_delay_alu instid0(SALU_CYCLE_1)
	s_cmp_lt_i32 s15, 0x80
	s_cbranch_scc1 .LBB299_368
; %bb.361:
	s_and_b32 s14, 0xffff, s15
	s_mov_b32 s16, -1
	s_cmp_eq_u32 s14, 0x80
	s_cbranch_scc0 .LBB299_363
; %bb.362:
	s_mov_b32 s16, 0
.LBB299_363:
	s_mov_b32 s14, 0x7f800001
	s_branch .LBB299_370
.LBB299_364:
	s_mov_b32 s14, -1
	s_mov_b32 s16, exec_lo
	v_cmpx_eq_u16_e32 0x80, v14
; %bb.365:
	s_xor_b32 s14, exec_lo, -1
; %bb.366:
	s_or_b32 exec_lo, exec_lo, s16
	s_delay_alu instid0(SALU_CYCLE_1)
	s_and_b32 s14, s14, exec_lo
	s_or_saveexec_b32 s15, s15
	v_mov_b32_e32 v15, 0x7f800001
	s_xor_b32 exec_lo, exec_lo, s15
	s_cbranch_execz .LBB299_356
.LBB299_367:
	v_cmp_ne_u16_e32 vcc_lo, 0, v14
	v_mov_b32_e32 v15, 0
	s_and_not1_b32 s14, s14, exec_lo
	s_and_b32 s16, vcc_lo, exec_lo
	s_delay_alu instid0(SALU_CYCLE_1)
	s_or_b32 s14, s14, s16
	s_or_b32 exec_lo, exec_lo, s15
	s_and_saveexec_b32 s15, s14
	s_cbranch_execnz .LBB299_357
	s_branch .LBB299_358
.LBB299_368:
	s_mov_b32 s16, 0
	s_mov_b32 s14, 0x7f800001
	s_cbranch_execz .LBB299_370
; %bb.369:
	s_and_b32 s14, 0xffff, s15
	s_delay_alu instid0(SALU_CYCLE_1)
	s_cmp_lg_u32 s14, 0
	s_mov_b32 s14, 0
	s_cselect_b32 s16, -1, 0
.LBB299_370:
	s_delay_alu instid0(SALU_CYCLE_1)
	s_and_not1_b32 vcc_lo, exec_lo, s16
	s_cbranch_vccnz .LBB299_372
; %bb.371:
	s_mov_b32 s14, s3
.LBB299_372:
	v_and_b32_e32 v15, 0xff, v3
	s_mov_b32 s15, 0
	s_mov_b32 s16, exec_lo
	s_delay_alu instid0(VALU_DEP_1)
	v_cmpx_lt_i16_e32 0x7f, v15
	s_xor_b32 s16, exec_lo, s16
	s_cbranch_execnz .LBB299_382
; %bb.373:
	s_or_saveexec_b32 s16, s16
	v_mov_b32_e32 v14, 0x7f800001
	s_xor_b32 exec_lo, exec_lo, s16
	s_cbranch_execnz .LBB299_385
.LBB299_374:
	s_or_b32 exec_lo, exec_lo, s16
	s_and_saveexec_b32 s16, s15
	s_cbranch_execz .LBB299_376
.LBB299_375:
	v_and_b32_e32 v14, 7, v3
	v_lshrrev_b16 v16, 3, v3
	s_delay_alu instid0(VALU_DEP_2) | instskip(NEXT) | instid1(VALU_DEP_1)
	v_clz_i32_u32_e32 v15, v14
	v_min_u32_e32 v15, 32, v15
	s_delay_alu instid0(VALU_DEP_3) | instskip(NEXT) | instid1(VALU_DEP_2)
	v_and_b32_e32 v16, 15, v16
	v_subrev_nc_u32_e32 v17, 28, v15
	v_sub_nc_u32_e32 v15, 29, v15
	s_delay_alu instid0(VALU_DEP_3) | instskip(NEXT) | instid1(VALU_DEP_3)
	v_cmp_eq_u32_e32 vcc_lo, 0, v16
	v_dual_lshlrev_b32 v17, v17, v3 :: v_dual_lshlrev_b32 v3, 24, v3
	s_delay_alu instid0(VALU_DEP_1) | instskip(NEXT) | instid1(VALU_DEP_2)
	v_dual_cndmask_b32 v15, v16, v15, vcc_lo :: v_dual_bitop2_b32 v17, 7, v17 bitop3:0x40
	v_and_b32_e32 v3, 0x80000000, v3
	s_delay_alu instid0(VALU_DEP_2) | instskip(NEXT) | instid1(VALU_DEP_3)
	v_cndmask_b32_e32 v14, v14, v17, vcc_lo
	v_lshl_add_u32 v15, v15, 23, 0x3b800000
	s_delay_alu instid0(VALU_DEP_2) | instskip(NEXT) | instid1(VALU_DEP_1)
	v_lshlrev_b32_e32 v14, 20, v14
	v_or3_b32 v14, v3, v15, v14
.LBB299_376:
	s_or_b32 exec_lo, exec_lo, s16
	s_delay_alu instid0(VALU_DEP_1)
	v_cmp_eq_f32_e64 s14, s14, v14
	v_cmp_ne_u32_e32 vcc_lo, 1, v2
	s_cbranch_vccz .LBB299_109
.LBB299_377:
                                        ; implicit-def: $sgpr15
	s_cbranch_execz .LBB299_126
; %bb.378:
	s_and_b32 s16, s10, 0xff
	s_delay_alu instid0(SALU_CYCLE_1)
	s_cmp_lt_i32 s16, 0x80
	s_cbranch_scc1 .LBB299_386
; %bb.379:
	s_and_b32 s15, 0xffff, s16
	s_mov_b32 s17, -1
	s_cmp_eq_u32 s15, 0x80
	s_cbranch_scc0 .LBB299_381
; %bb.380:
	s_mov_b32 s17, 0
.LBB299_381:
	s_mov_b32 s15, 0x7f800001
	s_branch .LBB299_388
.LBB299_382:
	s_mov_b32 s15, -1
	s_mov_b32 s17, exec_lo
	v_cmpx_eq_u16_e32 0x80, v15
; %bb.383:
	s_xor_b32 s15, exec_lo, -1
; %bb.384:
	s_or_b32 exec_lo, exec_lo, s17
	s_delay_alu instid0(SALU_CYCLE_1)
	s_and_b32 s15, s15, exec_lo
                                        ; implicit-def: $vgpr15
	s_or_saveexec_b32 s16, s16
	v_mov_b32_e32 v14, 0x7f800001
	s_xor_b32 exec_lo, exec_lo, s16
	s_cbranch_execz .LBB299_374
.LBB299_385:
	v_cmp_ne_u16_e32 vcc_lo, 0, v15
	v_mov_b32_e32 v14, 0
	s_and_not1_b32 s15, s15, exec_lo
	s_and_b32 s17, vcc_lo, exec_lo
	s_delay_alu instid0(SALU_CYCLE_1)
	s_or_b32 s15, s15, s17
	s_or_b32 exec_lo, exec_lo, s16
	s_and_saveexec_b32 s16, s15
	s_cbranch_execnz .LBB299_375
	s_branch .LBB299_376
.LBB299_386:
	s_mov_b32 s17, 0
	s_mov_b32 s15, 0x7f800001
	s_cbranch_execz .LBB299_388
; %bb.387:
	s_and_b32 s15, 0xffff, s16
	s_delay_alu instid0(SALU_CYCLE_1)
	s_cmp_lg_u32 s15, 0
	s_mov_b32 s15, 0
	s_cselect_b32 s17, -1, 0
.LBB299_388:
	s_delay_alu instid0(SALU_CYCLE_1)
	s_and_not1_b32 vcc_lo, exec_lo, s17
	s_cbranch_vccnz .LBB299_390
; %bb.389:
	s_mov_b32 s15, s3
.LBB299_390:
	v_and_b32_e32 v14, 0xff, v13
	s_mov_b32 s16, 0
	s_mov_b32 s17, exec_lo
	s_delay_alu instid0(VALU_DEP_1)
	v_cmpx_lt_i16_e32 0x7f, v14
	s_xor_b32 s17, exec_lo, s17
	s_cbranch_execnz .LBB299_400
; %bb.391:
	s_or_saveexec_b32 s17, s17
	v_mov_b32_e32 v3, 0x7f800001
	s_xor_b32 exec_lo, exec_lo, s17
	s_cbranch_execnz .LBB299_403
.LBB299_392:
	s_or_b32 exec_lo, exec_lo, s17
	s_and_saveexec_b32 s17, s16
	s_cbranch_execz .LBB299_394
.LBB299_393:
	v_and_b32_e32 v3, 7, v13
	v_lshrrev_b16 v15, 3, v13
	s_delay_alu instid0(VALU_DEP_2) | instskip(NEXT) | instid1(VALU_DEP_1)
	v_clz_i32_u32_e32 v14, v3
	v_min_u32_e32 v14, 32, v14
	s_delay_alu instid0(VALU_DEP_3) | instskip(NEXT) | instid1(VALU_DEP_2)
	v_and_b32_e32 v15, 15, v15
	v_subrev_nc_u32_e32 v16, 28, v14
	v_sub_nc_u32_e32 v14, 29, v14
	s_delay_alu instid0(VALU_DEP_3) | instskip(NEXT) | instid1(VALU_DEP_3)
	v_cmp_eq_u32_e32 vcc_lo, 0, v15
	v_dual_lshlrev_b32 v16, v16, v13 :: v_dual_lshlrev_b32 v13, 24, v13
	s_delay_alu instid0(VALU_DEP_1) | instskip(NEXT) | instid1(VALU_DEP_2)
	v_and_b32_e32 v16, 7, v16
	v_and_b32_e32 v13, 0x80000000, v13
	s_delay_alu instid0(VALU_DEP_2) | instskip(NEXT) | instid1(VALU_DEP_1)
	v_cndmask_b32_e32 v3, v3, v16, vcc_lo
	v_dual_cndmask_b32 v14, v15, v14 :: v_dual_lshlrev_b32 v3, 20, v3
	s_delay_alu instid0(VALU_DEP_1) | instskip(NEXT) | instid1(VALU_DEP_1)
	v_lshl_add_u32 v14, v14, 23, 0x3b800000
	v_or3_b32 v3, v13, v14, v3
.LBB299_394:
	s_or_b32 exec_lo, exec_lo, s17
	s_delay_alu instid0(VALU_DEP_1)
	v_cmp_eq_f32_e64 s15, s15, v3
	v_cmp_ne_u32_e32 vcc_lo, 1, v2
	s_cbranch_vccz .LBB299_127
.LBB299_395:
                                        ; implicit-def: $sgpr16
	s_cbranch_execz .LBB299_144
; %bb.396:
	s_and_b32 s17, s10, 0xff
	s_delay_alu instid0(SALU_CYCLE_1)
	s_cmp_lt_i32 s17, 0x80
	s_cbranch_scc1 .LBB299_404
; %bb.397:
	s_and_b32 s16, 0xffff, s17
	s_mov_b32 s18, -1
	s_cmp_eq_u32 s16, 0x80
	s_cbranch_scc0 .LBB299_399
; %bb.398:
	s_mov_b32 s18, 0
.LBB299_399:
	s_mov_b32 s16, 0x7f800001
	s_branch .LBB299_406
.LBB299_400:
	s_mov_b32 s16, -1
	s_mov_b32 s18, exec_lo
	v_cmpx_eq_u16_e32 0x80, v14
; %bb.401:
	s_xor_b32 s16, exec_lo, -1
; %bb.402:
	s_or_b32 exec_lo, exec_lo, s18
	s_delay_alu instid0(SALU_CYCLE_1)
	s_and_b32 s16, s16, exec_lo
                                        ; implicit-def: $vgpr14
	s_or_saveexec_b32 s17, s17
	v_mov_b32_e32 v3, 0x7f800001
	s_xor_b32 exec_lo, exec_lo, s17
	s_cbranch_execz .LBB299_392
.LBB299_403:
	v_cmp_ne_u16_e32 vcc_lo, 0, v14
	v_mov_b32_e32 v3, 0
	s_and_not1_b32 s16, s16, exec_lo
	s_and_b32 s18, vcc_lo, exec_lo
	s_delay_alu instid0(SALU_CYCLE_1)
	s_or_b32 s16, s16, s18
	s_or_b32 exec_lo, exec_lo, s17
	s_and_saveexec_b32 s17, s16
	s_cbranch_execnz .LBB299_393
	s_branch .LBB299_394
.LBB299_404:
	s_mov_b32 s18, 0
	s_mov_b32 s16, 0x7f800001
	s_cbranch_execz .LBB299_406
; %bb.405:
	s_and_b32 s16, 0xffff, s17
	s_delay_alu instid0(SALU_CYCLE_1)
	s_cmp_lg_u32 s16, 0
	s_mov_b32 s16, 0
	s_cselect_b32 s18, -1, 0
.LBB299_406:
	s_delay_alu instid0(SALU_CYCLE_1)
	s_and_not1_b32 vcc_lo, exec_lo, s18
	s_cbranch_vccnz .LBB299_408
; %bb.407:
	s_mov_b32 s16, s3
.LBB299_408:
	v_and_b32_e32 v13, 0xff, v12
	s_mov_b32 s17, 0
	s_mov_b32 s18, exec_lo
	s_delay_alu instid0(VALU_DEP_1)
	v_cmpx_lt_i16_e32 0x7f, v13
	s_xor_b32 s18, exec_lo, s18
	s_cbranch_execnz .LBB299_418
; %bb.409:
	s_or_saveexec_b32 s18, s18
	v_mov_b32_e32 v3, 0x7f800001
	s_xor_b32 exec_lo, exec_lo, s18
	s_cbranch_execnz .LBB299_421
.LBB299_410:
	s_or_b32 exec_lo, exec_lo, s18
	s_and_saveexec_b32 s18, s17
	s_cbranch_execz .LBB299_412
.LBB299_411:
	v_and_b32_e32 v3, 7, v12
	v_lshrrev_b16 v14, 3, v12
	s_delay_alu instid0(VALU_DEP_2) | instskip(NEXT) | instid1(VALU_DEP_1)
	v_clz_i32_u32_e32 v13, v3
	v_min_u32_e32 v13, 32, v13
	s_delay_alu instid0(VALU_DEP_3) | instskip(NEXT) | instid1(VALU_DEP_2)
	v_and_b32_e32 v14, 15, v14
	v_subrev_nc_u32_e32 v15, 28, v13
	v_sub_nc_u32_e32 v13, 29, v13
	s_delay_alu instid0(VALU_DEP_3) | instskip(NEXT) | instid1(VALU_DEP_3)
	v_cmp_eq_u32_e32 vcc_lo, 0, v14
	v_dual_lshlrev_b32 v15, v15, v12 :: v_dual_lshlrev_b32 v12, 24, v12
	s_delay_alu instid0(VALU_DEP_1) | instskip(NEXT) | instid1(VALU_DEP_2)
	v_dual_cndmask_b32 v13, v14, v13, vcc_lo :: v_dual_bitop2_b32 v15, 7, v15 bitop3:0x40
	v_and_b32_e32 v12, 0x80000000, v12
	s_delay_alu instid0(VALU_DEP_2) | instskip(NEXT) | instid1(VALU_DEP_3)
	v_cndmask_b32_e32 v3, v3, v15, vcc_lo
	v_lshl_add_u32 v13, v13, 23, 0x3b800000
	s_delay_alu instid0(VALU_DEP_2) | instskip(NEXT) | instid1(VALU_DEP_1)
	v_lshlrev_b32_e32 v3, 20, v3
	v_or3_b32 v3, v12, v13, v3
.LBB299_412:
	s_or_b32 exec_lo, exec_lo, s18
	s_delay_alu instid0(VALU_DEP_1)
	v_cmp_eq_f32_e64 s16, s16, v3
	v_cmp_ne_u32_e32 vcc_lo, 1, v2
	s_cbranch_vccz .LBB299_145
.LBB299_413:
                                        ; implicit-def: $sgpr17
	s_cbranch_execz .LBB299_162
; %bb.414:
	s_and_b32 s18, s10, 0xff
	s_delay_alu instid0(SALU_CYCLE_1)
	s_cmp_lt_i32 s18, 0x80
	s_cbranch_scc1 .LBB299_422
; %bb.415:
	s_and_b32 s17, 0xffff, s18
	s_mov_b32 s19, -1
	s_cmp_eq_u32 s17, 0x80
	s_cbranch_scc0 .LBB299_417
; %bb.416:
	s_mov_b32 s19, 0
.LBB299_417:
	s_mov_b32 s17, 0x7f800001
	s_branch .LBB299_424
.LBB299_418:
	s_mov_b32 s17, -1
	s_mov_b32 s19, exec_lo
	v_cmpx_eq_u16_e32 0x80, v13
; %bb.419:
	s_xor_b32 s17, exec_lo, -1
; %bb.420:
	s_or_b32 exec_lo, exec_lo, s19
	s_delay_alu instid0(SALU_CYCLE_1)
	s_and_b32 s17, s17, exec_lo
                                        ; implicit-def: $vgpr13
	s_or_saveexec_b32 s18, s18
	v_mov_b32_e32 v3, 0x7f800001
	s_xor_b32 exec_lo, exec_lo, s18
	s_cbranch_execz .LBB299_410
.LBB299_421:
	v_cmp_ne_u16_e32 vcc_lo, 0, v13
	v_mov_b32_e32 v3, 0
	s_and_not1_b32 s17, s17, exec_lo
	s_and_b32 s19, vcc_lo, exec_lo
	s_delay_alu instid0(SALU_CYCLE_1)
	s_or_b32 s17, s17, s19
	s_or_b32 exec_lo, exec_lo, s18
	s_and_saveexec_b32 s18, s17
	s_cbranch_execnz .LBB299_411
	s_branch .LBB299_412
.LBB299_422:
	s_mov_b32 s19, 0
	s_mov_b32 s17, 0x7f800001
	s_cbranch_execz .LBB299_424
; %bb.423:
	s_and_b32 s17, 0xffff, s18
	s_delay_alu instid0(SALU_CYCLE_1)
	s_cmp_lg_u32 s17, 0
	s_mov_b32 s17, 0
	s_cselect_b32 s19, -1, 0
.LBB299_424:
	s_delay_alu instid0(SALU_CYCLE_1)
	s_and_not1_b32 vcc_lo, exec_lo, s19
	s_cbranch_vccnz .LBB299_426
; %bb.425:
	s_mov_b32 s17, s3
.LBB299_426:
	s_mov_b32 s18, 0
	s_mov_b32 s19, exec_lo
	v_cmpx_lt_i16_e32 0x7f, v11
	s_xor_b32 s19, exec_lo, s19
	s_cbranch_execnz .LBB299_436
; %bb.427:
	s_or_saveexec_b32 s19, s19
	v_mov_b32_e32 v3, 0x7f800001
	s_xor_b32 exec_lo, exec_lo, s19
	s_cbranch_execnz .LBB299_439
.LBB299_428:
	s_or_b32 exec_lo, exec_lo, s19
	s_and_saveexec_b32 s19, s18
	s_cbranch_execz .LBB299_430
.LBB299_429:
	v_and_b32_e32 v3, 0xffff, v11
	s_delay_alu instid0(VALU_DEP_1) | instskip(SKIP_1) | instid1(VALU_DEP_2)
	v_and_b32_e32 v12, 7, v3
	v_bfe_u32 v15, v3, 3, 4
	v_clz_i32_u32_e32 v13, v12
	s_delay_alu instid0(VALU_DEP_2) | instskip(NEXT) | instid1(VALU_DEP_2)
	v_cmp_eq_u32_e32 vcc_lo, 0, v15
	v_min_u32_e32 v13, 32, v13
	s_delay_alu instid0(VALU_DEP_1) | instskip(NEXT) | instid1(VALU_DEP_1)
	v_subrev_nc_u32_e32 v14, 28, v13
	v_dual_lshlrev_b32 v3, v14, v3 :: v_dual_sub_nc_u32 v13, 29, v13
	s_delay_alu instid0(VALU_DEP_1) | instskip(NEXT) | instid1(VALU_DEP_2)
	v_and_b32_e32 v3, 7, v3
	v_dual_lshlrev_b32 v11, 24, v11 :: v_dual_cndmask_b32 v13, v15, v13, vcc_lo
	s_delay_alu instid0(VALU_DEP_2) | instskip(NEXT) | instid1(VALU_DEP_2)
	v_cndmask_b32_e32 v3, v12, v3, vcc_lo
	v_and_b32_e32 v11, 0x80000000, v11
	s_delay_alu instid0(VALU_DEP_3) | instskip(NEXT) | instid1(VALU_DEP_3)
	v_lshl_add_u32 v12, v13, 23, 0x3b800000
	v_lshlrev_b32_e32 v3, 20, v3
	s_delay_alu instid0(VALU_DEP_1)
	v_or3_b32 v3, v11, v12, v3
.LBB299_430:
	s_or_b32 exec_lo, exec_lo, s19
	s_delay_alu instid0(VALU_DEP_1)
	v_cmp_eq_f32_e64 s17, s17, v3
	v_cmp_ne_u32_e32 vcc_lo, 1, v2
	s_cbranch_vccz .LBB299_163
.LBB299_431:
                                        ; implicit-def: $sgpr18
	s_cbranch_execz .LBB299_180
; %bb.432:
	s_and_b32 s19, s10, 0xff
	s_delay_alu instid0(SALU_CYCLE_1)
	s_cmp_lt_i32 s19, 0x80
	s_cbranch_scc1 .LBB299_440
; %bb.433:
	s_and_b32 s18, 0xffff, s19
	s_mov_b32 s20, -1
	s_cmp_eq_u32 s18, 0x80
	s_cbranch_scc0 .LBB299_435
; %bb.434:
	s_mov_b32 s20, 0
.LBB299_435:
	s_mov_b32 s18, 0x7f800001
	s_branch .LBB299_442
.LBB299_436:
	s_mov_b32 s18, -1
	s_mov_b32 s20, exec_lo
	v_cmpx_eq_u16_e32 0x80, v11
; %bb.437:
	s_xor_b32 s18, exec_lo, -1
; %bb.438:
	s_or_b32 exec_lo, exec_lo, s20
	s_delay_alu instid0(SALU_CYCLE_1)
	s_and_b32 s18, s18, exec_lo
	s_or_saveexec_b32 s19, s19
	v_mov_b32_e32 v3, 0x7f800001
	s_xor_b32 exec_lo, exec_lo, s19
	s_cbranch_execz .LBB299_428
.LBB299_439:
	v_cmp_ne_u16_e32 vcc_lo, 0, v11
	v_mov_b32_e32 v3, 0
	s_and_not1_b32 s18, s18, exec_lo
	s_and_b32 s20, vcc_lo, exec_lo
	s_delay_alu instid0(SALU_CYCLE_1)
	s_or_b32 s18, s18, s20
	s_or_b32 exec_lo, exec_lo, s19
	s_and_saveexec_b32 s19, s18
	s_cbranch_execnz .LBB299_429
	s_branch .LBB299_430
.LBB299_440:
	s_mov_b32 s20, 0
	s_mov_b32 s18, 0x7f800001
	s_cbranch_execz .LBB299_442
; %bb.441:
	s_and_b32 s18, 0xffff, s19
	s_delay_alu instid0(SALU_CYCLE_1)
	s_cmp_lg_u32 s18, 0
	s_mov_b32 s18, 0
	s_cselect_b32 s20, -1, 0
.LBB299_442:
	s_delay_alu instid0(SALU_CYCLE_1)
	s_and_not1_b32 vcc_lo, exec_lo, s20
	s_cbranch_vccnz .LBB299_444
; %bb.443:
	s_mov_b32 s18, s3
.LBB299_444:
	v_and_b32_e32 v11, 0xff, v4
	s_mov_b32 s19, 0
	s_mov_b32 s20, exec_lo
	s_delay_alu instid0(VALU_DEP_1)
	v_cmpx_lt_i16_e32 0x7f, v11
	s_xor_b32 s20, exec_lo, s20
	s_cbranch_execnz .LBB299_454
; %bb.445:
	s_or_saveexec_b32 s20, s20
	v_mov_b32_e32 v3, 0x7f800001
	s_xor_b32 exec_lo, exec_lo, s20
	s_cbranch_execnz .LBB299_457
.LBB299_446:
	s_or_b32 exec_lo, exec_lo, s20
	s_and_saveexec_b32 s20, s19
	s_cbranch_execz .LBB299_448
.LBB299_447:
	v_and_b32_e32 v3, 7, v4
	v_lshrrev_b16 v12, 3, v4
	s_delay_alu instid0(VALU_DEP_2) | instskip(NEXT) | instid1(VALU_DEP_1)
	v_clz_i32_u32_e32 v11, v3
	v_min_u32_e32 v11, 32, v11
	s_delay_alu instid0(VALU_DEP_3) | instskip(NEXT) | instid1(VALU_DEP_2)
	v_and_b32_e32 v12, 15, v12
	v_subrev_nc_u32_e32 v13, 28, v11
	v_sub_nc_u32_e32 v11, 29, v11
	s_delay_alu instid0(VALU_DEP_3) | instskip(NEXT) | instid1(VALU_DEP_3)
	v_cmp_eq_u32_e32 vcc_lo, 0, v12
	v_dual_lshlrev_b32 v13, v13, v4 :: v_dual_lshlrev_b32 v4, 24, v4
	s_delay_alu instid0(VALU_DEP_1) | instskip(NEXT) | instid1(VALU_DEP_2)
	v_dual_cndmask_b32 v11, v12, v11, vcc_lo :: v_dual_bitop2_b32 v13, 7, v13 bitop3:0x40
	v_and_b32_e32 v4, 0x80000000, v4
	s_delay_alu instid0(VALU_DEP_2) | instskip(NEXT) | instid1(VALU_DEP_3)
	v_cndmask_b32_e32 v3, v3, v13, vcc_lo
	v_lshl_add_u32 v11, v11, 23, 0x3b800000
	s_delay_alu instid0(VALU_DEP_2) | instskip(NEXT) | instid1(VALU_DEP_1)
	v_lshlrev_b32_e32 v3, 20, v3
	v_or3_b32 v3, v4, v11, v3
.LBB299_448:
	s_or_b32 exec_lo, exec_lo, s20
	s_delay_alu instid0(VALU_DEP_1)
	v_cmp_eq_f32_e64 s18, s18, v3
	v_cmp_ne_u32_e32 vcc_lo, 1, v2
	s_cbranch_vccz .LBB299_181
.LBB299_449:
                                        ; implicit-def: $sgpr19
	s_cbranch_execz .LBB299_198
; %bb.450:
	s_and_b32 s20, s10, 0xff
	s_delay_alu instid0(SALU_CYCLE_1)
	s_cmp_lt_i32 s20, 0x80
	s_cbranch_scc1 .LBB299_458
; %bb.451:
	s_and_b32 s19, 0xffff, s20
	s_mov_b32 s21, -1
	s_cmp_eq_u32 s19, 0x80
	s_cbranch_scc0 .LBB299_453
; %bb.452:
	s_mov_b32 s21, 0
.LBB299_453:
	s_mov_b32 s19, 0x7f800001
	s_branch .LBB299_460
.LBB299_454:
	s_mov_b32 s19, -1
	s_mov_b32 s21, exec_lo
	v_cmpx_eq_u16_e32 0x80, v11
; %bb.455:
	s_xor_b32 s19, exec_lo, -1
; %bb.456:
	s_or_b32 exec_lo, exec_lo, s21
	s_delay_alu instid0(SALU_CYCLE_1)
	s_and_b32 s19, s19, exec_lo
                                        ; implicit-def: $vgpr11
	s_or_saveexec_b32 s20, s20
	v_mov_b32_e32 v3, 0x7f800001
	s_xor_b32 exec_lo, exec_lo, s20
	s_cbranch_execz .LBB299_446
.LBB299_457:
	v_cmp_ne_u16_e32 vcc_lo, 0, v11
	v_mov_b32_e32 v3, 0
	s_and_not1_b32 s19, s19, exec_lo
	s_and_b32 s21, vcc_lo, exec_lo
	s_delay_alu instid0(SALU_CYCLE_1)
	s_or_b32 s19, s19, s21
	s_or_b32 exec_lo, exec_lo, s20
	s_and_saveexec_b32 s20, s19
	s_cbranch_execnz .LBB299_447
	s_branch .LBB299_448
.LBB299_458:
	s_mov_b32 s21, 0
	s_mov_b32 s19, 0x7f800001
	s_cbranch_execz .LBB299_460
; %bb.459:
	s_and_b32 s19, 0xffff, s20
	s_delay_alu instid0(SALU_CYCLE_1)
	s_cmp_lg_u32 s19, 0
	s_mov_b32 s19, 0
	s_cselect_b32 s21, -1, 0
.LBB299_460:
	s_delay_alu instid0(SALU_CYCLE_1)
	s_and_not1_b32 vcc_lo, exec_lo, s21
	s_cbranch_vccnz .LBB299_462
; %bb.461:
	s_mov_b32 s19, s3
.LBB299_462:
	v_and_b32_e32 v4, 0xff, v10
	s_mov_b32 s20, 0
	s_mov_b32 s21, exec_lo
	s_delay_alu instid0(VALU_DEP_1)
	v_cmpx_lt_i16_e32 0x7f, v4
	s_xor_b32 s21, exec_lo, s21
	s_cbranch_execnz .LBB299_472
; %bb.463:
	s_or_saveexec_b32 s21, s21
	v_mov_b32_e32 v3, 0x7f800001
	s_xor_b32 exec_lo, exec_lo, s21
	s_cbranch_execnz .LBB299_475
.LBB299_464:
	s_or_b32 exec_lo, exec_lo, s21
	s_and_saveexec_b32 s21, s20
	s_cbranch_execz .LBB299_466
.LBB299_465:
	v_and_b32_e32 v3, 7, v10
	v_lshrrev_b16 v11, 3, v10
	s_delay_alu instid0(VALU_DEP_2) | instskip(NEXT) | instid1(VALU_DEP_1)
	v_clz_i32_u32_e32 v4, v3
	v_min_u32_e32 v4, 32, v4
	s_delay_alu instid0(VALU_DEP_3) | instskip(NEXT) | instid1(VALU_DEP_2)
	v_and_b32_e32 v11, 15, v11
	v_subrev_nc_u32_e32 v12, 28, v4
	v_sub_nc_u32_e32 v4, 29, v4
	s_delay_alu instid0(VALU_DEP_3) | instskip(NEXT) | instid1(VALU_DEP_3)
	v_cmp_eq_u32_e32 vcc_lo, 0, v11
	v_dual_lshlrev_b32 v12, v12, v10 :: v_dual_lshlrev_b32 v10, 24, v10
	s_delay_alu instid0(VALU_DEP_1) | instskip(NEXT) | instid1(VALU_DEP_2)
	v_and_b32_e32 v12, 7, v12
	v_and_b32_e32 v10, 0x80000000, v10
	s_delay_alu instid0(VALU_DEP_2) | instskip(NEXT) | instid1(VALU_DEP_1)
	v_cndmask_b32_e32 v3, v3, v12, vcc_lo
	v_dual_cndmask_b32 v4, v11, v4 :: v_dual_lshlrev_b32 v3, 20, v3
	s_delay_alu instid0(VALU_DEP_1) | instskip(NEXT) | instid1(VALU_DEP_1)
	v_lshl_add_u32 v4, v4, 23, 0x3b800000
	v_or3_b32 v3, v10, v4, v3
.LBB299_466:
	s_or_b32 exec_lo, exec_lo, s21
	s_delay_alu instid0(VALU_DEP_1)
	v_cmp_eq_f32_e64 s19, s19, v3
	v_cmp_ne_u32_e32 vcc_lo, 1, v2
	s_cbranch_vccz .LBB299_199
.LBB299_467:
                                        ; implicit-def: $sgpr20
	s_cbranch_execz .LBB299_216
; %bb.468:
	s_and_b32 s21, s10, 0xff
	s_delay_alu instid0(SALU_CYCLE_1)
	s_cmp_lt_i32 s21, 0x80
	s_cbranch_scc1 .LBB299_476
; %bb.469:
	s_and_b32 s20, 0xffff, s21
	s_mov_b32 s22, -1
	s_cmp_eq_u32 s20, 0x80
	s_cbranch_scc0 .LBB299_471
; %bb.470:
	s_mov_b32 s22, 0
.LBB299_471:
	s_mov_b32 s20, 0x7f800001
	s_branch .LBB299_478
.LBB299_472:
	s_mov_b32 s20, -1
	s_mov_b32 s22, exec_lo
	v_cmpx_eq_u16_e32 0x80, v4
; %bb.473:
	s_xor_b32 s20, exec_lo, -1
; %bb.474:
	s_or_b32 exec_lo, exec_lo, s22
	s_delay_alu instid0(SALU_CYCLE_1)
	s_and_b32 s20, s20, exec_lo
                                        ; implicit-def: $vgpr4
	s_or_saveexec_b32 s21, s21
	v_mov_b32_e32 v3, 0x7f800001
	s_xor_b32 exec_lo, exec_lo, s21
	s_cbranch_execz .LBB299_464
.LBB299_475:
	v_cmp_ne_u16_e32 vcc_lo, 0, v4
	v_mov_b32_e32 v3, 0
	s_and_not1_b32 s20, s20, exec_lo
	s_and_b32 s22, vcc_lo, exec_lo
	s_delay_alu instid0(SALU_CYCLE_1)
	s_or_b32 s20, s20, s22
	s_or_b32 exec_lo, exec_lo, s21
	s_and_saveexec_b32 s21, s20
	s_cbranch_execnz .LBB299_465
	s_branch .LBB299_466
.LBB299_476:
	s_mov_b32 s22, 0
	s_mov_b32 s20, 0x7f800001
	s_cbranch_execz .LBB299_478
; %bb.477:
	s_and_b32 s20, 0xffff, s21
	s_delay_alu instid0(SALU_CYCLE_1)
	s_cmp_lg_u32 s20, 0
	s_mov_b32 s20, 0
	s_cselect_b32 s22, -1, 0
.LBB299_478:
	s_delay_alu instid0(SALU_CYCLE_1)
	s_and_not1_b32 vcc_lo, exec_lo, s22
	s_cbranch_vccnz .LBB299_480
; %bb.479:
	s_mov_b32 s20, s3
.LBB299_480:
	v_and_b32_e32 v4, 0xff, v9
	s_mov_b32 s21, 0
	s_mov_b32 s22, exec_lo
	s_delay_alu instid0(VALU_DEP_1)
	v_cmpx_lt_i16_e32 0x7f, v4
	s_xor_b32 s22, exec_lo, s22
	s_cbranch_execnz .LBB299_490
; %bb.481:
	s_or_saveexec_b32 s22, s22
	v_mov_b32_e32 v3, 0x7f800001
	s_xor_b32 exec_lo, exec_lo, s22
	s_cbranch_execnz .LBB299_493
.LBB299_482:
	s_or_b32 exec_lo, exec_lo, s22
	s_and_saveexec_b32 s22, s21
	s_cbranch_execz .LBB299_484
.LBB299_483:
	v_and_b32_e32 v3, 7, v9
	v_lshrrev_b16 v10, 3, v9
	s_delay_alu instid0(VALU_DEP_2) | instskip(NEXT) | instid1(VALU_DEP_1)
	v_clz_i32_u32_e32 v4, v3
	v_min_u32_e32 v4, 32, v4
	s_delay_alu instid0(VALU_DEP_3) | instskip(NEXT) | instid1(VALU_DEP_2)
	v_and_b32_e32 v10, 15, v10
	v_subrev_nc_u32_e32 v11, 28, v4
	v_sub_nc_u32_e32 v4, 29, v4
	s_delay_alu instid0(VALU_DEP_3) | instskip(NEXT) | instid1(VALU_DEP_3)
	v_cmp_eq_u32_e32 vcc_lo, 0, v10
	v_dual_lshlrev_b32 v11, v11, v9 :: v_dual_lshlrev_b32 v9, 24, v9
	s_delay_alu instid0(VALU_DEP_1) | instskip(NEXT) | instid1(VALU_DEP_2)
	v_dual_cndmask_b32 v4, v10, v4, vcc_lo :: v_dual_bitop2_b32 v11, 7, v11 bitop3:0x40
	v_and_b32_e32 v9, 0x80000000, v9
	s_delay_alu instid0(VALU_DEP_2) | instskip(NEXT) | instid1(VALU_DEP_3)
	v_cndmask_b32_e32 v3, v3, v11, vcc_lo
	v_lshl_add_u32 v4, v4, 23, 0x3b800000
	s_delay_alu instid0(VALU_DEP_2) | instskip(NEXT) | instid1(VALU_DEP_1)
	v_lshlrev_b32_e32 v3, 20, v3
	v_or3_b32 v3, v9, v4, v3
.LBB299_484:
	s_or_b32 exec_lo, exec_lo, s22
	s_delay_alu instid0(VALU_DEP_1)
	v_cmp_eq_f32_e64 s20, s20, v3
	v_cmp_ne_u32_e32 vcc_lo, 1, v2
	s_cbranch_vccz .LBB299_217
.LBB299_485:
                                        ; implicit-def: $sgpr21
	s_cbranch_execz .LBB299_234
; %bb.486:
	s_and_b32 s22, s10, 0xff
	s_delay_alu instid0(SALU_CYCLE_1)
	s_cmp_lt_i32 s22, 0x80
	s_cbranch_scc1 .LBB299_494
; %bb.487:
	s_and_b32 s21, 0xffff, s22
	s_mov_b32 s23, -1
	s_cmp_eq_u32 s21, 0x80
	s_cbranch_scc0 .LBB299_489
; %bb.488:
	s_mov_b32 s23, 0
.LBB299_489:
	s_mov_b32 s21, 0x7f800001
	s_branch .LBB299_496
.LBB299_490:
	s_mov_b32 s21, -1
	s_mov_b32 s23, exec_lo
	v_cmpx_eq_u16_e32 0x80, v4
; %bb.491:
	s_xor_b32 s21, exec_lo, -1
; %bb.492:
	s_or_b32 exec_lo, exec_lo, s23
	s_delay_alu instid0(SALU_CYCLE_1)
	s_and_b32 s21, s21, exec_lo
                                        ; implicit-def: $vgpr4
	s_or_saveexec_b32 s22, s22
	v_mov_b32_e32 v3, 0x7f800001
	s_xor_b32 exec_lo, exec_lo, s22
	s_cbranch_execz .LBB299_482
.LBB299_493:
	v_cmp_ne_u16_e32 vcc_lo, 0, v4
	v_mov_b32_e32 v3, 0
	s_and_not1_b32 s21, s21, exec_lo
	s_and_b32 s23, vcc_lo, exec_lo
	s_delay_alu instid0(SALU_CYCLE_1)
	s_or_b32 s21, s21, s23
	s_or_b32 exec_lo, exec_lo, s22
	s_and_saveexec_b32 s22, s21
	s_cbranch_execnz .LBB299_483
	s_branch .LBB299_484
.LBB299_494:
	s_mov_b32 s23, 0
	s_mov_b32 s21, 0x7f800001
	s_cbranch_execz .LBB299_496
; %bb.495:
	s_and_b32 s21, 0xffff, s22
	s_delay_alu instid0(SALU_CYCLE_1)
	s_cmp_lg_u32 s21, 0
	s_mov_b32 s21, 0
	s_cselect_b32 s23, -1, 0
.LBB299_496:
	s_delay_alu instid0(SALU_CYCLE_1)
	s_and_not1_b32 vcc_lo, exec_lo, s23
	s_cbranch_vccnz .LBB299_498
; %bb.497:
	s_mov_b32 s21, s3
.LBB299_498:
	s_mov_b32 s22, 0
	s_mov_b32 s23, exec_lo
	v_cmpx_lt_i16_e32 0x7f, v8
	s_xor_b32 s23, exec_lo, s23
	s_cbranch_execnz .LBB299_508
; %bb.499:
	s_or_saveexec_b32 s23, s23
	v_mov_b32_e32 v3, 0x7f800001
	s_xor_b32 exec_lo, exec_lo, s23
	s_cbranch_execnz .LBB299_511
.LBB299_500:
	s_or_b32 exec_lo, exec_lo, s23
	s_and_saveexec_b32 s23, s22
	s_cbranch_execz .LBB299_502
.LBB299_501:
	v_and_b32_e32 v3, 0xffff, v8
	s_delay_alu instid0(VALU_DEP_1) | instskip(SKIP_1) | instid1(VALU_DEP_2)
	v_and_b32_e32 v4, 7, v3
	v_bfe_u32 v11, v3, 3, 4
	v_clz_i32_u32_e32 v9, v4
	s_delay_alu instid0(VALU_DEP_2) | instskip(NEXT) | instid1(VALU_DEP_2)
	v_cmp_eq_u32_e32 vcc_lo, 0, v11
	v_min_u32_e32 v9, 32, v9
	s_delay_alu instid0(VALU_DEP_1) | instskip(NEXT) | instid1(VALU_DEP_1)
	v_subrev_nc_u32_e32 v10, 28, v9
	v_dual_lshlrev_b32 v3, v10, v3 :: v_dual_sub_nc_u32 v9, 29, v9
	s_delay_alu instid0(VALU_DEP_1) | instskip(NEXT) | instid1(VALU_DEP_1)
	v_dual_lshlrev_b32 v8, 24, v8 :: v_dual_bitop2_b32 v3, 7, v3 bitop3:0x40
	v_dual_cndmask_b32 v9, v11, v9, vcc_lo :: v_dual_cndmask_b32 v3, v4, v3, vcc_lo
	s_delay_alu instid0(VALU_DEP_2) | instskip(NEXT) | instid1(VALU_DEP_2)
	v_and_b32_e32 v4, 0x80000000, v8
	v_lshl_add_u32 v8, v9, 23, 0x3b800000
	s_delay_alu instid0(VALU_DEP_3) | instskip(NEXT) | instid1(VALU_DEP_1)
	v_lshlrev_b32_e32 v3, 20, v3
	v_or3_b32 v3, v4, v8, v3
.LBB299_502:
	s_or_b32 exec_lo, exec_lo, s23
	s_delay_alu instid0(VALU_DEP_1)
	v_cmp_eq_f32_e64 s21, s21, v3
	v_cmp_ne_u32_e32 vcc_lo, 1, v2
	s_cbranch_vccz .LBB299_235
.LBB299_503:
                                        ; implicit-def: $sgpr22
	s_cbranch_execz .LBB299_252
; %bb.504:
	s_and_b32 s23, s10, 0xff
	s_delay_alu instid0(SALU_CYCLE_1)
	s_cmp_lt_i32 s23, 0x80
	s_cbranch_scc1 .LBB299_512
; %bb.505:
	s_and_b32 s22, 0xffff, s23
	s_mov_b32 s24, -1
	s_cmp_eq_u32 s22, 0x80
	s_cbranch_scc0 .LBB299_507
; %bb.506:
	s_mov_b32 s24, 0
.LBB299_507:
	s_mov_b32 s22, 0x7f800001
	s_branch .LBB299_514
.LBB299_508:
	s_mov_b32 s22, -1
	s_mov_b32 s24, exec_lo
	v_cmpx_eq_u16_e32 0x80, v8
; %bb.509:
	s_xor_b32 s22, exec_lo, -1
; %bb.510:
	s_or_b32 exec_lo, exec_lo, s24
	s_delay_alu instid0(SALU_CYCLE_1)
	s_and_b32 s22, s22, exec_lo
	s_or_saveexec_b32 s23, s23
	v_mov_b32_e32 v3, 0x7f800001
	s_xor_b32 exec_lo, exec_lo, s23
	s_cbranch_execz .LBB299_500
.LBB299_511:
	v_cmp_ne_u16_e32 vcc_lo, 0, v8
	v_mov_b32_e32 v3, 0
	s_and_not1_b32 s22, s22, exec_lo
	s_and_b32 s24, vcc_lo, exec_lo
	s_delay_alu instid0(SALU_CYCLE_1)
	s_or_b32 s22, s22, s24
	s_or_b32 exec_lo, exec_lo, s23
	s_and_saveexec_b32 s23, s22
	s_cbranch_execnz .LBB299_501
	s_branch .LBB299_502
.LBB299_512:
	s_mov_b32 s24, 0
	s_mov_b32 s22, 0x7f800001
	s_cbranch_execz .LBB299_514
; %bb.513:
	s_and_b32 s22, 0xffff, s23
	s_delay_alu instid0(SALU_CYCLE_1)
	s_cmp_lg_u32 s22, 0
	s_mov_b32 s22, 0
	s_cselect_b32 s24, -1, 0
.LBB299_514:
	s_delay_alu instid0(SALU_CYCLE_1)
	s_and_not1_b32 vcc_lo, exec_lo, s24
	s_cbranch_vccnz .LBB299_516
; %bb.515:
	s_mov_b32 s22, s3
.LBB299_516:
	v_and_b32_e32 v4, 0xff, v5
	s_mov_b32 s23, 0
	s_mov_b32 s24, exec_lo
	s_delay_alu instid0(VALU_DEP_1)
	v_cmpx_lt_i16_e32 0x7f, v4
	s_xor_b32 s24, exec_lo, s24
	s_cbranch_execnz .LBB299_526
; %bb.517:
	s_or_saveexec_b32 s24, s24
	v_mov_b32_e32 v3, 0x7f800001
	s_xor_b32 exec_lo, exec_lo, s24
	s_cbranch_execnz .LBB299_529
.LBB299_518:
	s_or_b32 exec_lo, exec_lo, s24
	s_and_saveexec_b32 s24, s23
	s_cbranch_execz .LBB299_520
.LBB299_519:
	v_and_b32_e32 v3, 7, v5
	v_lshrrev_b16 v8, 3, v5
	s_delay_alu instid0(VALU_DEP_2) | instskip(NEXT) | instid1(VALU_DEP_2)
	v_clz_i32_u32_e32 v4, v3
	v_and_b32_e32 v8, 15, v8
	s_delay_alu instid0(VALU_DEP_2) | instskip(NEXT) | instid1(VALU_DEP_1)
	v_min_u32_e32 v4, 32, v4
	v_subrev_nc_u32_e32 v9, 28, v4
	s_delay_alu instid0(VALU_DEP_1) | instskip(SKIP_2) | instid1(VALU_DEP_3)
	v_dual_lshlrev_b32 v9, v9, v5 :: v_dual_sub_nc_u32 v4, 29, v4
	v_lshlrev_b32_e32 v5, 24, v5
	v_cmp_eq_u32_e32 vcc_lo, 0, v8
	v_and_b32_e32 v9, 7, v9
	s_delay_alu instid0(VALU_DEP_3) | instskip(NEXT) | instid1(VALU_DEP_2)
	v_and_b32_e32 v5, 0x80000000, v5
	v_dual_cndmask_b32 v4, v8, v4 :: v_dual_cndmask_b32 v3, v3, v9
	s_delay_alu instid0(VALU_DEP_1) | instskip(NEXT) | instid1(VALU_DEP_2)
	v_lshl_add_u32 v4, v4, 23, 0x3b800000
	v_lshlrev_b32_e32 v3, 20, v3
	s_delay_alu instid0(VALU_DEP_1)
	v_or3_b32 v3, v5, v4, v3
.LBB299_520:
	s_or_b32 exec_lo, exec_lo, s24
	s_delay_alu instid0(VALU_DEP_1)
	v_cmp_eq_f32_e64 s22, s22, v3
	v_cmp_ne_u32_e32 vcc_lo, 1, v2
	s_cbranch_vccz .LBB299_253
.LBB299_521:
                                        ; implicit-def: $sgpr23
	s_cbranch_execz .LBB299_270
; %bb.522:
	s_and_b32 s24, s10, 0xff
	s_delay_alu instid0(SALU_CYCLE_1)
	s_cmp_lt_i32 s24, 0x80
	s_cbranch_scc1 .LBB299_530
; %bb.523:
	s_and_b32 s23, 0xffff, s24
	s_mov_b32 s25, -1
	s_cmp_eq_u32 s23, 0x80
	s_cbranch_scc0 .LBB299_525
; %bb.524:
	s_mov_b32 s25, 0
.LBB299_525:
	s_mov_b32 s23, 0x7f800001
	s_branch .LBB299_532
.LBB299_526:
	s_mov_b32 s23, -1
	s_mov_b32 s25, exec_lo
	v_cmpx_eq_u16_e32 0x80, v4
; %bb.527:
	s_xor_b32 s23, exec_lo, -1
; %bb.528:
	s_or_b32 exec_lo, exec_lo, s25
	s_delay_alu instid0(SALU_CYCLE_1)
	s_and_b32 s23, s23, exec_lo
                                        ; implicit-def: $vgpr4
	s_or_saveexec_b32 s24, s24
	v_mov_b32_e32 v3, 0x7f800001
	s_xor_b32 exec_lo, exec_lo, s24
	s_cbranch_execz .LBB299_518
.LBB299_529:
	v_cmp_ne_u16_e32 vcc_lo, 0, v4
	v_mov_b32_e32 v3, 0
	s_and_not1_b32 s23, s23, exec_lo
	s_and_b32 s25, vcc_lo, exec_lo
	s_delay_alu instid0(SALU_CYCLE_1)
	s_or_b32 s23, s23, s25
	s_or_b32 exec_lo, exec_lo, s24
	s_and_saveexec_b32 s24, s23
	s_cbranch_execnz .LBB299_519
	s_branch .LBB299_520
.LBB299_530:
	s_mov_b32 s25, 0
	s_mov_b32 s23, 0x7f800001
	s_cbranch_execz .LBB299_532
; %bb.531:
	s_and_b32 s23, 0xffff, s24
	s_delay_alu instid0(SALU_CYCLE_1)
	s_cmp_lg_u32 s23, 0
	s_mov_b32 s23, 0
	s_cselect_b32 s25, -1, 0
.LBB299_532:
	s_delay_alu instid0(SALU_CYCLE_1)
	s_and_not1_b32 vcc_lo, exec_lo, s25
	s_cbranch_vccnz .LBB299_534
; %bb.533:
	s_mov_b32 s23, s3
.LBB299_534:
	v_and_b32_e32 v4, 0xff, v7
	s_mov_b32 s24, 0
	s_mov_b32 s25, exec_lo
	s_delay_alu instid0(VALU_DEP_1)
	v_cmpx_lt_i16_e32 0x7f, v4
	s_xor_b32 s25, exec_lo, s25
	s_cbranch_execnz .LBB299_544
; %bb.535:
	s_or_saveexec_b32 s25, s25
	v_mov_b32_e32 v3, 0x7f800001
	s_xor_b32 exec_lo, exec_lo, s25
	s_cbranch_execnz .LBB299_547
.LBB299_536:
	s_or_b32 exec_lo, exec_lo, s25
	s_and_saveexec_b32 s25, s24
	s_cbranch_execz .LBB299_538
.LBB299_537:
	v_and_b32_e32 v3, 7, v7
	v_lshrrev_b16 v5, 3, v7
	s_delay_alu instid0(VALU_DEP_2) | instskip(NEXT) | instid1(VALU_DEP_1)
	v_clz_i32_u32_e32 v4, v3
	v_min_u32_e32 v4, 32, v4
	s_delay_alu instid0(VALU_DEP_3) | instskip(NEXT) | instid1(VALU_DEP_2)
	v_and_b32_e32 v5, 15, v5
	v_subrev_nc_u32_e32 v8, 28, v4
	v_sub_nc_u32_e32 v4, 29, v4
	s_delay_alu instid0(VALU_DEP_3) | instskip(NEXT) | instid1(VALU_DEP_3)
	v_cmp_eq_u32_e32 vcc_lo, 0, v5
	v_dual_lshlrev_b32 v8, v8, v7 :: v_dual_lshlrev_b32 v7, 24, v7
	s_delay_alu instid0(VALU_DEP_1) | instskip(NEXT) | instid1(VALU_DEP_1)
	v_and_b32_e32 v8, 7, v8
	v_cndmask_b32_e32 v3, v3, v8, vcc_lo
	v_cndmask_b32_e32 v4, v5, v4, vcc_lo
	s_delay_alu instid0(VALU_DEP_4) | instskip(NEXT) | instid1(VALU_DEP_3)
	v_and_b32_e32 v5, 0x80000000, v7
	v_lshlrev_b32_e32 v3, 20, v3
	s_delay_alu instid0(VALU_DEP_3) | instskip(NEXT) | instid1(VALU_DEP_1)
	v_lshl_add_u32 v4, v4, 23, 0x3b800000
	v_or3_b32 v3, v5, v4, v3
.LBB299_538:
	s_or_b32 exec_lo, exec_lo, s25
	s_delay_alu instid0(VALU_DEP_1)
	v_cmp_eq_f32_e64 s23, s23, v3
	v_cmp_ne_u32_e32 vcc_lo, 1, v2
	s_cbranch_vccz .LBB299_271
.LBB299_539:
                                        ; implicit-def: $sgpr24
	s_cbranch_execz .LBB299_288
; %bb.540:
	s_and_b32 s25, s10, 0xff
	s_delay_alu instid0(SALU_CYCLE_1)
	s_cmp_lt_i32 s25, 0x80
	s_cbranch_scc1 .LBB299_548
; %bb.541:
	s_and_b32 s24, 0xffff, s25
	s_mov_b32 s26, -1
	s_cmp_eq_u32 s24, 0x80
	s_cbranch_scc0 .LBB299_543
; %bb.542:
	s_mov_b32 s26, 0
.LBB299_543:
	s_mov_b32 s24, 0x7f800001
	s_branch .LBB299_550
.LBB299_544:
	s_mov_b32 s24, -1
	s_mov_b32 s26, exec_lo
	v_cmpx_eq_u16_e32 0x80, v4
; %bb.545:
	s_xor_b32 s24, exec_lo, -1
; %bb.546:
	s_or_b32 exec_lo, exec_lo, s26
	s_delay_alu instid0(SALU_CYCLE_1)
	s_and_b32 s24, s24, exec_lo
                                        ; implicit-def: $vgpr4
	s_or_saveexec_b32 s25, s25
	v_mov_b32_e32 v3, 0x7f800001
	s_xor_b32 exec_lo, exec_lo, s25
	s_cbranch_execz .LBB299_536
.LBB299_547:
	v_cmp_ne_u16_e32 vcc_lo, 0, v4
	v_mov_b32_e32 v3, 0
	s_and_not1_b32 s24, s24, exec_lo
	s_and_b32 s26, vcc_lo, exec_lo
	s_delay_alu instid0(SALU_CYCLE_1)
	s_or_b32 s24, s24, s26
	s_or_b32 exec_lo, exec_lo, s25
	s_and_saveexec_b32 s25, s24
	s_cbranch_execnz .LBB299_537
	s_branch .LBB299_538
.LBB299_548:
	s_mov_b32 s26, 0
	s_mov_b32 s24, 0x7f800001
	s_cbranch_execz .LBB299_550
; %bb.549:
	s_and_b32 s24, 0xffff, s25
	s_delay_alu instid0(SALU_CYCLE_1)
	s_cmp_lg_u32 s24, 0
	s_mov_b32 s24, 0
	s_cselect_b32 s26, -1, 0
.LBB299_550:
	s_delay_alu instid0(SALU_CYCLE_1)
	s_and_not1_b32 vcc_lo, exec_lo, s26
	s_cbranch_vccnz .LBB299_552
; %bb.551:
	s_mov_b32 s24, s3
.LBB299_552:
	v_and_b32_e32 v4, 0xff, v6
	s_mov_b32 s25, 0
	s_mov_b32 s26, exec_lo
	s_delay_alu instid0(VALU_DEP_1)
	v_cmpx_lt_i16_e32 0x7f, v4
	s_xor_b32 s26, exec_lo, s26
	s_cbranch_execnz .LBB299_562
; %bb.553:
	s_or_saveexec_b32 s26, s26
	v_mov_b32_e32 v3, 0x7f800001
	s_xor_b32 exec_lo, exec_lo, s26
	s_cbranch_execnz .LBB299_565
.LBB299_554:
	s_or_b32 exec_lo, exec_lo, s26
	s_and_saveexec_b32 s26, s25
	s_cbranch_execz .LBB299_556
.LBB299_555:
	v_and_b32_e32 v3, 7, v6
	v_lshrrev_b16 v5, 3, v6
	s_delay_alu instid0(VALU_DEP_2) | instskip(NEXT) | instid1(VALU_DEP_1)
	v_clz_i32_u32_e32 v4, v3
	v_min_u32_e32 v4, 32, v4
	s_delay_alu instid0(VALU_DEP_3) | instskip(NEXT) | instid1(VALU_DEP_2)
	v_and_b32_e32 v5, 15, v5
	v_subrev_nc_u32_e32 v7, 28, v4
	v_sub_nc_u32_e32 v4, 29, v4
	s_delay_alu instid0(VALU_DEP_3) | instskip(NEXT) | instid1(VALU_DEP_3)
	v_cmp_eq_u32_e32 vcc_lo, 0, v5
	v_dual_lshlrev_b32 v7, v7, v6 :: v_dual_lshlrev_b32 v6, 24, v6
	s_delay_alu instid0(VALU_DEP_1) | instskip(NEXT) | instid1(VALU_DEP_2)
	v_dual_cndmask_b32 v4, v5, v4, vcc_lo :: v_dual_bitop2_b32 v7, 7, v7 bitop3:0x40
	v_and_b32_e32 v5, 0x80000000, v6
	s_delay_alu instid0(VALU_DEP_2) | instskip(NEXT) | instid1(VALU_DEP_3)
	v_cndmask_b32_e32 v3, v3, v7, vcc_lo
	v_lshl_add_u32 v4, v4, 23, 0x3b800000
	s_delay_alu instid0(VALU_DEP_2) | instskip(NEXT) | instid1(VALU_DEP_1)
	v_lshlrev_b32_e32 v3, 20, v3
	v_or3_b32 v3, v5, v4, v3
.LBB299_556:
	s_or_b32 exec_lo, exec_lo, s26
	s_delay_alu instid0(VALU_DEP_1)
	v_cmp_eq_f32_e64 s24, s24, v3
	v_cmp_ne_u32_e32 vcc_lo, 1, v2
	s_cbranch_vccz .LBB299_289
.LBB299_557:
                                        ; implicit-def: $sgpr25
	s_cbranch_execz .LBB299_575
; %bb.558:
	s_and_b32 s26, s10, 0xff
	s_delay_alu instid0(SALU_CYCLE_1)
	s_cmp_lt_i32 s26, 0x80
	s_cbranch_scc1 .LBB299_566
; %bb.559:
	s_and_b32 s25, 0xffff, s26
	s_mov_b32 s27, -1
	s_cmp_eq_u32 s25, 0x80
	s_cbranch_scc0 .LBB299_561
; %bb.560:
	s_mov_b32 s27, 0
.LBB299_561:
	s_mov_b32 s25, 0x7f800001
	s_branch .LBB299_568
.LBB299_562:
	s_mov_b32 s25, -1
	s_mov_b32 s27, exec_lo
	v_cmpx_eq_u16_e32 0x80, v4
; %bb.563:
	s_xor_b32 s25, exec_lo, -1
; %bb.564:
	s_or_b32 exec_lo, exec_lo, s27
	s_delay_alu instid0(SALU_CYCLE_1)
	s_and_b32 s25, s25, exec_lo
                                        ; implicit-def: $vgpr4
	s_or_saveexec_b32 s26, s26
	v_mov_b32_e32 v3, 0x7f800001
	s_xor_b32 exec_lo, exec_lo, s26
	s_cbranch_execz .LBB299_554
.LBB299_565:
	v_cmp_ne_u16_e32 vcc_lo, 0, v4
	v_mov_b32_e32 v3, 0
	s_and_not1_b32 s25, s25, exec_lo
	s_and_b32 s27, vcc_lo, exec_lo
	s_delay_alu instid0(SALU_CYCLE_1)
	s_or_b32 s25, s25, s27
	s_or_b32 exec_lo, exec_lo, s26
	s_and_saveexec_b32 s26, s25
	s_cbranch_execnz .LBB299_555
	s_branch .LBB299_556
.LBB299_566:
	s_mov_b32 s27, 0
	s_mov_b32 s25, 0x7f800001
	s_cbranch_execz .LBB299_568
; %bb.567:
	s_and_b32 s25, 0xffff, s26
	s_delay_alu instid0(SALU_CYCLE_1)
	s_cmp_lg_u32 s25, 0
	s_mov_b32 s25, 0
	s_cselect_b32 s27, -1, 0
.LBB299_568:
	s_delay_alu instid0(SALU_CYCLE_1)
	s_and_not1_b32 vcc_lo, exec_lo, s27
	s_cbranch_vccnz .LBB299_570
; %bb.569:
	s_mov_b32 s25, s3
.LBB299_570:
	s_mov_b32 s3, 0
	s_mov_b32 s26, exec_lo
	v_cmpx_lt_i16_e32 0x7f, v1
	s_xor_b32 s26, exec_lo, s26
	s_cbranch_execnz .LBB299_577
; %bb.571:
	s_or_saveexec_b32 s26, s26
	v_mov_b32_e32 v2, 0x7f800001
	s_xor_b32 exec_lo, exec_lo, s26
	s_cbranch_execnz .LBB299_580
.LBB299_572:
	s_or_b32 exec_lo, exec_lo, s26
	s_and_saveexec_b32 s26, s3
	s_cbranch_execz .LBB299_574
.LBB299_573:
	v_and_b32_e32 v2, 0xffff, v1
	s_delay_alu instid0(VALU_DEP_1) | instskip(SKIP_1) | instid1(VALU_DEP_2)
	v_and_b32_e32 v3, 7, v2
	v_bfe_u32 v6, v2, 3, 4
	v_clz_i32_u32_e32 v4, v3
	s_delay_alu instid0(VALU_DEP_2) | instskip(NEXT) | instid1(VALU_DEP_2)
	v_cmp_eq_u32_e32 vcc_lo, 0, v6
	v_min_u32_e32 v4, 32, v4
	s_delay_alu instid0(VALU_DEP_1) | instskip(NEXT) | instid1(VALU_DEP_1)
	v_subrev_nc_u32_e32 v5, 28, v4
	v_dual_lshlrev_b32 v2, v5, v2 :: v_dual_sub_nc_u32 v4, 29, v4
	s_delay_alu instid0(VALU_DEP_1) | instskip(NEXT) | instid1(VALU_DEP_1)
	v_dual_lshlrev_b32 v1, 24, v1 :: v_dual_bitop2_b32 v2, 7, v2 bitop3:0x40
	v_dual_cndmask_b32 v4, v6, v4, vcc_lo :: v_dual_cndmask_b32 v2, v3, v2, vcc_lo
	s_delay_alu instid0(VALU_DEP_2) | instskip(NEXT) | instid1(VALU_DEP_2)
	v_and_b32_e32 v1, 0x80000000, v1
	v_lshl_add_u32 v3, v4, 23, 0x3b800000
	s_delay_alu instid0(VALU_DEP_3) | instskip(NEXT) | instid1(VALU_DEP_1)
	v_lshlrev_b32_e32 v2, 20, v2
	v_or3_b32 v2, v1, v3, v2
.LBB299_574:
	s_or_b32 exec_lo, exec_lo, s26
	s_delay_alu instid0(VALU_DEP_1)
	v_cmp_eq_f32_e64 s25, s25, v2
.LBB299_575:
	v_cndmask_b32_e64 v1, 0, 1, s15
	v_cndmask_b32_e64 v2, 0, 1, s17
	;; [unrolled: 1-line block ×5, first 2 shown]
	v_lshlrev_b16 v1, 8, v1
	v_lshlrev_b16 v2, 8, v2
	v_cndmask_b32_e64 v6, 0, 1, s8
	v_lshlrev_b16 v4, 8, v4
	v_cndmask_b32_e64 v7, 0, 1, s25
	v_cndmask_b32_e64 v8, 0, 1, s19
	v_or_b32_e32 v2, v5, v2
	v_or_b32_e32 v1, v3, v1
	;; [unrolled: 1-line block ×3, first 2 shown]
	v_cndmask_b32_e64 v4, 0, 1, s13
	v_cndmask_b32_e64 v5, 0, 1, s23
	;; [unrolled: 1-line block ×4, first 2 shown]
	v_and_b32_e32 v6, 0xffff, v3
	v_lshlrev_b16 v3, 8, v4
	v_cndmask_b32_e64 v4, 0, 1, s12
	v_lshlrev_b16 v5, 8, v5
	v_lshlrev_b16 v7, 8, v7
	v_cndmask_b32_e64 v11, 0, 1, s24
	v_lshlrev_b16 v8, 8, v8
	v_cndmask_b32_e64 v12, 0, 1, s18
	;; [unrolled: 2-line block ×3, first 2 shown]
	v_or_b32_e32 v3, v4, v3
	v_or_b32_e32 v4, v9, v5
	;; [unrolled: 1-line block ×5, first 2 shown]
	s_add_nc_u64 s[12:13], s[4:5], s[0:1]
	v_and_b32_e32 v4, 0xffff, v4
	v_lshlrev_b32_e32 v5, 16, v5
	v_and_b32_e32 v7, 0xffff, v7
	v_dual_lshlrev_b32 v8, 16, v8 :: v_dual_lshlrev_b32 v9, 16, v3
	v_lshlrev_b32_e32 v2, 16, v2
	v_and_b32_e32 v1, 0xffff, v1
	v_or_b32_e32 v5, v4, v5
	s_delay_alu instid0(VALU_DEP_4) | instskip(NEXT) | instid1(VALU_DEP_3)
	v_or_b32_e32 v4, v7, v8
	v_or_b32_e32 v3, v1, v2
	;; [unrolled: 1-line block ×3, first 2 shown]
	global_store_b128 v0, v[2:5], s[12:13] scale_offset
	s_branch .LBB299_2
.LBB299_576:
	s_wait_xcnt 0x0
	v_dual_mov_b32 v31, v0 :: v_dual_mov_b32 v0, s9
	v_dual_mov_b32 v1, s10 :: v_dual_mov_b32 v2, s4
	;; [unrolled: 1-line block ×4, first 2 shown]
	s_get_pc_i64 s[0:1]
	s_add_nc_u64 s[0:1], s[0:1], _ZN2at6native25elementwise_kernel_helperILb0ENS0_13AUnaryFunctorIN3c1015Float8_e4m3fnuzES4_bNS0_12_GLOBAL__N_116CompareEqFunctorIS4_EEEENS0_6memory8policies11unroll_baseILi256ESt5arrayIPcLm2EE23TrivialOffsetCalculatorILi1EjESG_NS9_15LoadWithoutCastENS9_16StoreWithoutCastELi16ELi1EEEEEvT0_T1_@rel64+4
	s_delay_alu instid0(SALU_CYCLE_1)
	s_swap_pc_i64 s[30:31], s[0:1]
	s_endpgm
.LBB299_577:
	s_mov_b32 s3, -1
	s_mov_b32 s27, exec_lo
	v_cmpx_eq_u16_e32 0x80, v1
; %bb.578:
	s_xor_b32 s3, exec_lo, -1
; %bb.579:
	s_or_b32 exec_lo, exec_lo, s27
	s_delay_alu instid0(SALU_CYCLE_1)
	s_and_b32 s3, s3, exec_lo
	s_or_saveexec_b32 s26, s26
	v_mov_b32_e32 v2, 0x7f800001
	s_xor_b32 exec_lo, exec_lo, s26
	s_cbranch_execz .LBB299_572
.LBB299_580:
	v_cmp_ne_u16_e32 vcc_lo, 0, v1
	v_mov_b32_e32 v2, 0
	s_and_not1_b32 s3, s3, exec_lo
	s_and_b32 s27, vcc_lo, exec_lo
	s_delay_alu instid0(SALU_CYCLE_1)
	s_or_b32 s3, s3, s27
	s_or_b32 exec_lo, exec_lo, s26
	s_and_saveexec_b32 s26, s3
	s_cbranch_execnz .LBB299_573
	s_branch .LBB299_574
	.section	.rodata,"a",@progbits
	.p2align	6, 0x0
	.amdhsa_kernel _ZN2at6native29vectorized_elementwise_kernelILi16ENS0_13AUnaryFunctorIN3c1015Float8_e4m3fnuzES4_bNS0_12_GLOBAL__N_116CompareEqFunctorIS4_EEEESt5arrayIPcLm2EEEEviT0_T1_
		.amdhsa_group_segment_fixed_size 0
		.amdhsa_private_segment_fixed_size 0
		.amdhsa_kernarg_size 32
		.amdhsa_user_sgpr_count 2
		.amdhsa_user_sgpr_dispatch_ptr 0
		.amdhsa_user_sgpr_queue_ptr 0
		.amdhsa_user_sgpr_kernarg_segment_ptr 1
		.amdhsa_user_sgpr_dispatch_id 0
		.amdhsa_user_sgpr_kernarg_preload_length 0
		.amdhsa_user_sgpr_kernarg_preload_offset 0
		.amdhsa_user_sgpr_private_segment_size 0
		.amdhsa_wavefront_size32 1
		.amdhsa_uses_dynamic_stack 0
		.amdhsa_enable_private_segment 0
		.amdhsa_system_sgpr_workgroup_id_x 1
		.amdhsa_system_sgpr_workgroup_id_y 0
		.amdhsa_system_sgpr_workgroup_id_z 0
		.amdhsa_system_sgpr_workgroup_info 0
		.amdhsa_system_vgpr_workitem_id 0
		.amdhsa_next_free_vgpr 32
		.amdhsa_next_free_sgpr 33
		.amdhsa_named_barrier_count 0
		.amdhsa_reserve_vcc 1
		.amdhsa_float_round_mode_32 0
		.amdhsa_float_round_mode_16_64 0
		.amdhsa_float_denorm_mode_32 3
		.amdhsa_float_denorm_mode_16_64 3
		.amdhsa_fp16_overflow 0
		.amdhsa_memory_ordered 1
		.amdhsa_forward_progress 1
		.amdhsa_inst_pref_size 112
		.amdhsa_round_robin_scheduling 0
		.amdhsa_exception_fp_ieee_invalid_op 0
		.amdhsa_exception_fp_denorm_src 0
		.amdhsa_exception_fp_ieee_div_zero 0
		.amdhsa_exception_fp_ieee_overflow 0
		.amdhsa_exception_fp_ieee_underflow 0
		.amdhsa_exception_fp_ieee_inexact 0
		.amdhsa_exception_int_div_zero 0
	.end_amdhsa_kernel
	.section	.text._ZN2at6native29vectorized_elementwise_kernelILi16ENS0_13AUnaryFunctorIN3c1015Float8_e4m3fnuzES4_bNS0_12_GLOBAL__N_116CompareEqFunctorIS4_EEEESt5arrayIPcLm2EEEEviT0_T1_,"axG",@progbits,_ZN2at6native29vectorized_elementwise_kernelILi16ENS0_13AUnaryFunctorIN3c1015Float8_e4m3fnuzES4_bNS0_12_GLOBAL__N_116CompareEqFunctorIS4_EEEESt5arrayIPcLm2EEEEviT0_T1_,comdat
.Lfunc_end299:
	.size	_ZN2at6native29vectorized_elementwise_kernelILi16ENS0_13AUnaryFunctorIN3c1015Float8_e4m3fnuzES4_bNS0_12_GLOBAL__N_116CompareEqFunctorIS4_EEEESt5arrayIPcLm2EEEEviT0_T1_, .Lfunc_end299-_ZN2at6native29vectorized_elementwise_kernelILi16ENS0_13AUnaryFunctorIN3c1015Float8_e4m3fnuzES4_bNS0_12_GLOBAL__N_116CompareEqFunctorIS4_EEEESt5arrayIPcLm2EEEEviT0_T1_
                                        ; -- End function
	.set _ZN2at6native29vectorized_elementwise_kernelILi16ENS0_13AUnaryFunctorIN3c1015Float8_e4m3fnuzES4_bNS0_12_GLOBAL__N_116CompareEqFunctorIS4_EEEESt5arrayIPcLm2EEEEviT0_T1_.num_vgpr, max(32, .L_ZN2at6native25elementwise_kernel_helperILb0ENS0_13AUnaryFunctorIN3c1015Float8_e4m3fnuzES4_bNS0_12_GLOBAL__N_116CompareEqFunctorIS4_EEEENS0_6memory8policies11unroll_baseILi256ESt5arrayIPcLm2EE23TrivialOffsetCalculatorILi1EjESG_NS9_15LoadWithoutCastENS9_16StoreWithoutCastELi16ELi1EEEEEvT0_T1_.num_vgpr)
	.set _ZN2at6native29vectorized_elementwise_kernelILi16ENS0_13AUnaryFunctorIN3c1015Float8_e4m3fnuzES4_bNS0_12_GLOBAL__N_116CompareEqFunctorIS4_EEEESt5arrayIPcLm2EEEEviT0_T1_.num_agpr, max(0, .L_ZN2at6native25elementwise_kernel_helperILb0ENS0_13AUnaryFunctorIN3c1015Float8_e4m3fnuzES4_bNS0_12_GLOBAL__N_116CompareEqFunctorIS4_EEEENS0_6memory8policies11unroll_baseILi256ESt5arrayIPcLm2EE23TrivialOffsetCalculatorILi1EjESG_NS9_15LoadWithoutCastENS9_16StoreWithoutCastELi16ELi1EEEEEvT0_T1_.num_agpr)
	.set _ZN2at6native29vectorized_elementwise_kernelILi16ENS0_13AUnaryFunctorIN3c1015Float8_e4m3fnuzES4_bNS0_12_GLOBAL__N_116CompareEqFunctorIS4_EEEESt5arrayIPcLm2EEEEviT0_T1_.numbered_sgpr, max(33, .L_ZN2at6native25elementwise_kernel_helperILb0ENS0_13AUnaryFunctorIN3c1015Float8_e4m3fnuzES4_bNS0_12_GLOBAL__N_116CompareEqFunctorIS4_EEEENS0_6memory8policies11unroll_baseILi256ESt5arrayIPcLm2EE23TrivialOffsetCalculatorILi1EjESG_NS9_15LoadWithoutCastENS9_16StoreWithoutCastELi16ELi1EEEEEvT0_T1_.numbered_sgpr)
	.set _ZN2at6native29vectorized_elementwise_kernelILi16ENS0_13AUnaryFunctorIN3c1015Float8_e4m3fnuzES4_bNS0_12_GLOBAL__N_116CompareEqFunctorIS4_EEEESt5arrayIPcLm2EEEEviT0_T1_.num_named_barrier, max(0, .L_ZN2at6native25elementwise_kernel_helperILb0ENS0_13AUnaryFunctorIN3c1015Float8_e4m3fnuzES4_bNS0_12_GLOBAL__N_116CompareEqFunctorIS4_EEEENS0_6memory8policies11unroll_baseILi256ESt5arrayIPcLm2EE23TrivialOffsetCalculatorILi1EjESG_NS9_15LoadWithoutCastENS9_16StoreWithoutCastELi16ELi1EEEEEvT0_T1_.num_named_barrier)
	.set _ZN2at6native29vectorized_elementwise_kernelILi16ENS0_13AUnaryFunctorIN3c1015Float8_e4m3fnuzES4_bNS0_12_GLOBAL__N_116CompareEqFunctorIS4_EEEESt5arrayIPcLm2EEEEviT0_T1_.private_seg_size, 0+max(.L_ZN2at6native25elementwise_kernel_helperILb0ENS0_13AUnaryFunctorIN3c1015Float8_e4m3fnuzES4_bNS0_12_GLOBAL__N_116CompareEqFunctorIS4_EEEENS0_6memory8policies11unroll_baseILi256ESt5arrayIPcLm2EE23TrivialOffsetCalculatorILi1EjESG_NS9_15LoadWithoutCastENS9_16StoreWithoutCastELi16ELi1EEEEEvT0_T1_.private_seg_size)
	.set _ZN2at6native29vectorized_elementwise_kernelILi16ENS0_13AUnaryFunctorIN3c1015Float8_e4m3fnuzES4_bNS0_12_GLOBAL__N_116CompareEqFunctorIS4_EEEESt5arrayIPcLm2EEEEviT0_T1_.uses_vcc, or(1, .L_ZN2at6native25elementwise_kernel_helperILb0ENS0_13AUnaryFunctorIN3c1015Float8_e4m3fnuzES4_bNS0_12_GLOBAL__N_116CompareEqFunctorIS4_EEEENS0_6memory8policies11unroll_baseILi256ESt5arrayIPcLm2EE23TrivialOffsetCalculatorILi1EjESG_NS9_15LoadWithoutCastENS9_16StoreWithoutCastELi16ELi1EEEEEvT0_T1_.uses_vcc)
	.set _ZN2at6native29vectorized_elementwise_kernelILi16ENS0_13AUnaryFunctorIN3c1015Float8_e4m3fnuzES4_bNS0_12_GLOBAL__N_116CompareEqFunctorIS4_EEEESt5arrayIPcLm2EEEEviT0_T1_.uses_flat_scratch, or(0, .L_ZN2at6native25elementwise_kernel_helperILb0ENS0_13AUnaryFunctorIN3c1015Float8_e4m3fnuzES4_bNS0_12_GLOBAL__N_116CompareEqFunctorIS4_EEEENS0_6memory8policies11unroll_baseILi256ESt5arrayIPcLm2EE23TrivialOffsetCalculatorILi1EjESG_NS9_15LoadWithoutCastENS9_16StoreWithoutCastELi16ELi1EEEEEvT0_T1_.uses_flat_scratch)
	.set _ZN2at6native29vectorized_elementwise_kernelILi16ENS0_13AUnaryFunctorIN3c1015Float8_e4m3fnuzES4_bNS0_12_GLOBAL__N_116CompareEqFunctorIS4_EEEESt5arrayIPcLm2EEEEviT0_T1_.has_dyn_sized_stack, or(0, .L_ZN2at6native25elementwise_kernel_helperILb0ENS0_13AUnaryFunctorIN3c1015Float8_e4m3fnuzES4_bNS0_12_GLOBAL__N_116CompareEqFunctorIS4_EEEENS0_6memory8policies11unroll_baseILi256ESt5arrayIPcLm2EE23TrivialOffsetCalculatorILi1EjESG_NS9_15LoadWithoutCastENS9_16StoreWithoutCastELi16ELi1EEEEEvT0_T1_.has_dyn_sized_stack)
	.set _ZN2at6native29vectorized_elementwise_kernelILi16ENS0_13AUnaryFunctorIN3c1015Float8_e4m3fnuzES4_bNS0_12_GLOBAL__N_116CompareEqFunctorIS4_EEEESt5arrayIPcLm2EEEEviT0_T1_.has_recursion, or(0, .L_ZN2at6native25elementwise_kernel_helperILb0ENS0_13AUnaryFunctorIN3c1015Float8_e4m3fnuzES4_bNS0_12_GLOBAL__N_116CompareEqFunctorIS4_EEEENS0_6memory8policies11unroll_baseILi256ESt5arrayIPcLm2EE23TrivialOffsetCalculatorILi1EjESG_NS9_15LoadWithoutCastENS9_16StoreWithoutCastELi16ELi1EEEEEvT0_T1_.has_recursion)
	.set _ZN2at6native29vectorized_elementwise_kernelILi16ENS0_13AUnaryFunctorIN3c1015Float8_e4m3fnuzES4_bNS0_12_GLOBAL__N_116CompareEqFunctorIS4_EEEESt5arrayIPcLm2EEEEviT0_T1_.has_indirect_call, or(0, .L_ZN2at6native25elementwise_kernel_helperILb0ENS0_13AUnaryFunctorIN3c1015Float8_e4m3fnuzES4_bNS0_12_GLOBAL__N_116CompareEqFunctorIS4_EEEENS0_6memory8policies11unroll_baseILi256ESt5arrayIPcLm2EE23TrivialOffsetCalculatorILi1EjESG_NS9_15LoadWithoutCastENS9_16StoreWithoutCastELi16ELi1EEEEEvT0_T1_.has_indirect_call)
	.section	.AMDGPU.csdata,"",@progbits
; Kernel info:
; codeLenInByte = 14240
; TotalNumSgprs: 35
; NumVgprs: 32
; ScratchSize: 0
; MemoryBound: 0
; FloatMode: 240
; IeeeMode: 1
; LDSByteSize: 0 bytes/workgroup (compile time only)
; SGPRBlocks: 0
; VGPRBlocks: 1
; NumSGPRsForWavesPerEU: 35
; NumVGPRsForWavesPerEU: 32
; NamedBarCnt: 0
; Occupancy: 16
; WaveLimiterHint : 0
; COMPUTE_PGM_RSRC2:SCRATCH_EN: 0
; COMPUTE_PGM_RSRC2:USER_SGPR: 2
; COMPUTE_PGM_RSRC2:TRAP_HANDLER: 0
; COMPUTE_PGM_RSRC2:TGID_X_EN: 1
; COMPUTE_PGM_RSRC2:TGID_Y_EN: 0
; COMPUTE_PGM_RSRC2:TGID_Z_EN: 0
; COMPUTE_PGM_RSRC2:TIDIG_COMP_CNT: 0
	.section	.text._ZN2at6native29vectorized_elementwise_kernelILi8ENS0_13AUnaryFunctorIN3c1015Float8_e4m3fnuzES4_bNS0_12_GLOBAL__N_116CompareEqFunctorIS4_EEEESt5arrayIPcLm2EEEEviT0_T1_,"axG",@progbits,_ZN2at6native29vectorized_elementwise_kernelILi8ENS0_13AUnaryFunctorIN3c1015Float8_e4m3fnuzES4_bNS0_12_GLOBAL__N_116CompareEqFunctorIS4_EEEESt5arrayIPcLm2EEEEviT0_T1_,comdat
	.globl	_ZN2at6native29vectorized_elementwise_kernelILi8ENS0_13AUnaryFunctorIN3c1015Float8_e4m3fnuzES4_bNS0_12_GLOBAL__N_116CompareEqFunctorIS4_EEEESt5arrayIPcLm2EEEEviT0_T1_ ; -- Begin function _ZN2at6native29vectorized_elementwise_kernelILi8ENS0_13AUnaryFunctorIN3c1015Float8_e4m3fnuzES4_bNS0_12_GLOBAL__N_116CompareEqFunctorIS4_EEEESt5arrayIPcLm2EEEEviT0_T1_
	.p2align	8
	.type	_ZN2at6native29vectorized_elementwise_kernelILi8ENS0_13AUnaryFunctorIN3c1015Float8_e4m3fnuzES4_bNS0_12_GLOBAL__N_116CompareEqFunctorIS4_EEEESt5arrayIPcLm2EEEEviT0_T1_,@function
_ZN2at6native29vectorized_elementwise_kernelILi8ENS0_13AUnaryFunctorIN3c1015Float8_e4m3fnuzES4_bNS0_12_GLOBAL__N_116CompareEqFunctorIS4_EEEESt5arrayIPcLm2EEEEviT0_T1_: ; @_ZN2at6native29vectorized_elementwise_kernelILi8ENS0_13AUnaryFunctorIN3c1015Float8_e4m3fnuzES4_bNS0_12_GLOBAL__N_116CompareEqFunctorIS4_EEEESt5arrayIPcLm2EEEEviT0_T1_
; %bb.0:
	s_clause 0x1
	s_load_b96 s[8:10], s[0:1], 0x0
	s_load_b128 s[4:7], s[0:1], 0x10
	s_wait_xcnt 0x0
	s_bfe_u32 s0, ttmp6, 0x4000c
	s_and_b32 s1, ttmp6, 15
	s_add_co_i32 s0, s0, 1
	s_getreg_b32 s2, hwreg(HW_REG_IB_STS2, 6, 4)
	s_mul_i32 s0, ttmp9, s0
	s_mov_b32 s32, 0
	s_add_co_i32 s1, s1, s0
	s_cmp_eq_u32 s2, 0
	s_cselect_b32 s0, ttmp9, s1
	s_mov_b32 s1, -1
	s_lshl_b32 s0, s0, 12
	s_wait_kmcnt 0x0
	s_sub_co_i32 s2, s8, s0
	s_delay_alu instid0(SALU_CYCLE_1)
	s_cmp_gt_i32 s2, 0xfff
	s_cbranch_scc1 .LBB300_3
; %bb.1:
	s_and_b32 vcc_lo, exec_lo, s1
	s_cbranch_vccnz .LBB300_576
.LBB300_2:
	s_sendmsg sendmsg(MSG_DEALLOC_VGPRS)
	s_endpgm
.LBB300_3:
	s_ashr_i32 s1, s0, 31
	s_cmp_lg_u32 s9, 0
	s_add_nc_u64 s[12:13], s[6:7], s[0:1]
	s_cselect_b32 s11, -1, 0
	s_clause 0x1
	global_load_b64 v[4:5], v0, s[12:13] scale_offset
	global_load_b64 v[2:3], v0, s[12:13] offset:2048 scale_offset
	s_and_b32 s3, s10, 7
	s_wait_xcnt 0x0
	s_bfe_u32 s13, s10, 0x40003
	s_clz_i32_u32 s8, s3
	s_delay_alu instid0(SALU_CYCLE_1) | instskip(NEXT) | instid1(SALU_CYCLE_1)
	s_min_u32 s8, s8, 32
	s_sub_co_i32 s12, s8, 28
	s_sub_co_i32 s8, 29, s8
	s_lshl_b32 s12, s10, s12
	s_delay_alu instid0(SALU_CYCLE_1)
	s_and_b32 s12, s12, 7
	s_cmp_eq_u32 s13, 0
	s_cselect_b32 s8, s8, s13
	s_cselect_b32 s3, s12, s3
	s_lshl_b32 s12, s10, 24
	s_lshl_b32 s8, s8, 23
	s_and_b32 s12, s12, 0x80000000
	s_add_co_i32 s8, s8, 0x3b800000
	s_lshl_b32 s3, s3, 20
	s_or_b32 s8, s12, s8
	s_and_b32 vcc_lo, exec_lo, s11
	s_or_b32 s3, s8, s3
	s_cbranch_vccz .LBB300_8
; %bb.4:
	s_and_b32 s12, s10, 0xff
	s_delay_alu instid0(SALU_CYCLE_1)
	s_cmp_lt_i32 s12, 0x80
	s_cbranch_scc1 .LBB300_14
; %bb.5:
	s_and_b32 s8, 0xffff, s12
	s_mov_b32 s13, -1
	s_cmp_eq_u32 s8, 0x80
	s_cbranch_scc0 .LBB300_7
; %bb.6:
	s_mov_b32 s13, 0
.LBB300_7:
	s_mov_b32 s8, 0x7f800001
	s_branch .LBB300_16
.LBB300_8:
                                        ; implicit-def: $sgpr8
	s_cbranch_execnz .LBB300_23
.LBB300_9:
	v_cndmask_b32_e64 v1, 0, 1, s11
	s_wait_loadcnt 0x1
	v_lshrrev_b32_e32 v6, 8, v4
	s_and_not1_b32 vcc_lo, exec_lo, s11
	s_cbranch_vccnz .LBB300_305
.LBB300_10:
	s_and_b32 s12, s10, 0xff
	s_delay_alu instid0(SALU_CYCLE_1)
	s_cmp_lt_i32 s12, 0x80
	s_cbranch_scc1 .LBB300_27
; %bb.11:
	s_and_b32 s11, 0xffff, s12
	s_mov_b32 s13, -1
	s_cmp_eq_u32 s11, 0x80
	s_cbranch_scc0 .LBB300_13
; %bb.12:
	s_mov_b32 s13, 0
.LBB300_13:
	s_mov_b32 s11, 0x7f800001
	s_branch .LBB300_29
.LBB300_14:
	s_mov_b32 s13, 0
	s_mov_b32 s8, 0x7f800001
	s_cbranch_execz .LBB300_16
; %bb.15:
	s_and_b32 s8, 0xffff, s12
	s_delay_alu instid0(SALU_CYCLE_1)
	s_cmp_lg_u32 s8, 0
	s_mov_b32 s8, 0
	s_cselect_b32 s13, -1, 0
.LBB300_16:
	s_delay_alu instid0(SALU_CYCLE_1)
	s_and_not1_b32 vcc_lo, exec_lo, s13
	s_cbranch_vccnz .LBB300_18
; %bb.17:
	s_mov_b32 s8, s3
.LBB300_18:
	s_wait_loadcnt 0x1
	v_and_b32_e32 v6, 0xff, v4
	s_mov_b32 s12, 0
	s_mov_b32 s13, exec_lo
	s_delay_alu instid0(VALU_DEP_1)
	v_cmpx_lt_i16_e32 0x7f, v6
	s_xor_b32 s13, exec_lo, s13
	s_cbranch_execnz .LBB300_41
; %bb.19:
	s_or_saveexec_b32 s13, s13
	v_mov_b32_e32 v1, 0x7f800001
	s_xor_b32 exec_lo, exec_lo, s13
	s_cbranch_execnz .LBB300_44
.LBB300_20:
	s_or_b32 exec_lo, exec_lo, s13
	s_and_saveexec_b32 s13, s12
	s_cbranch_execz .LBB300_22
.LBB300_21:
	v_and_b32_e32 v1, 7, v4
	v_bfe_u32 v8, v4, 3, 4
	s_delay_alu instid0(VALU_DEP_2) | instskip(NEXT) | instid1(VALU_DEP_2)
	v_clz_i32_u32_e32 v6, v1
	v_cmp_eq_u32_e32 vcc_lo, 0, v8
	s_delay_alu instid0(VALU_DEP_2) | instskip(NEXT) | instid1(VALU_DEP_1)
	v_min_u32_e32 v6, 32, v6
	v_subrev_nc_u32_e32 v7, 28, v6
	s_delay_alu instid0(VALU_DEP_1) | instskip(NEXT) | instid1(VALU_DEP_1)
	v_dual_lshlrev_b32 v7, v7, v4 :: v_dual_sub_nc_u32 v6, 29, v6
	v_dual_lshlrev_b32 v9, 24, v4 :: v_dual_bitop2_b32 v7, 7, v7 bitop3:0x40
	s_delay_alu instid0(VALU_DEP_1) | instskip(NEXT) | instid1(VALU_DEP_2)
	v_dual_cndmask_b32 v6, v8, v6 :: v_dual_cndmask_b32 v1, v1, v7
	v_and_b32_e32 v7, 0x80000000, v9
	s_delay_alu instid0(VALU_DEP_2) | instskip(NEXT) | instid1(VALU_DEP_3)
	v_lshl_add_u32 v6, v6, 23, 0x3b800000
	v_lshlrev_b32_e32 v1, 20, v1
	s_delay_alu instid0(VALU_DEP_1)
	v_or3_b32 v1, v7, v6, v1
.LBB300_22:
	s_or_b32 exec_lo, exec_lo, s13
	s_delay_alu instid0(VALU_DEP_1)
	v_cmp_neq_f32_e64 s8, s8, v1
	s_branch .LBB300_9
.LBB300_23:
	s_and_b32 s12, s10, 0xff
	s_delay_alu instid0(SALU_CYCLE_1)
	s_cmp_lt_i32 s12, 0x80
	s_cbranch_scc1 .LBB300_296
; %bb.24:
	s_and_b32 s8, 0xffff, s12
	s_mov_b32 s13, -1
	s_cmp_eq_u32 s8, 0x80
	s_cbranch_scc0 .LBB300_26
; %bb.25:
	s_mov_b32 s13, 0
.LBB300_26:
	s_mov_b32 s8, 0x7f800001
	s_branch .LBB300_298
.LBB300_27:
	s_mov_b32 s13, 0
	s_mov_b32 s11, 0x7f800001
	s_cbranch_execz .LBB300_29
; %bb.28:
	s_and_b32 s11, 0xffff, s12
	s_delay_alu instid0(SALU_CYCLE_1)
	s_cmp_lg_u32 s11, 0
	s_mov_b32 s11, 0
	s_cselect_b32 s13, -1, 0
.LBB300_29:
	s_delay_alu instid0(SALU_CYCLE_1)
	s_and_not1_b32 vcc_lo, exec_lo, s13
	s_cbranch_vccnz .LBB300_31
; %bb.30:
	s_mov_b32 s11, s3
.LBB300_31:
	v_and_b32_e32 v8, 0xff, v6
	s_mov_b32 s12, 0
	s_mov_b32 s13, exec_lo
	s_delay_alu instid0(VALU_DEP_1)
	v_cmpx_lt_i16_e32 0x7f, v8
	s_xor_b32 s13, exec_lo, s13
	s_cbranch_execnz .LBB300_45
; %bb.32:
	s_or_saveexec_b32 s13, s13
	v_mov_b32_e32 v7, 0x7f800001
	s_xor_b32 exec_lo, exec_lo, s13
	s_cbranch_execnz .LBB300_48
.LBB300_33:
	s_or_b32 exec_lo, exec_lo, s13
	s_and_saveexec_b32 s13, s12
	s_cbranch_execz .LBB300_35
.LBB300_34:
	v_bfe_u32 v7, v4, 8, 3
	v_bfe_u32 v10, v4, 11, 4
	v_lshlrev_b32_e32 v11, 24, v6
	s_delay_alu instid0(VALU_DEP_3) | instskip(NEXT) | instid1(VALU_DEP_3)
	v_clz_i32_u32_e32 v8, v7
	v_cmp_eq_u32_e32 vcc_lo, 0, v10
	s_delay_alu instid0(VALU_DEP_2) | instskip(NEXT) | instid1(VALU_DEP_1)
	v_min_u32_e32 v8, 32, v8
	v_subrev_nc_u32_e32 v9, 28, v8
	s_delay_alu instid0(VALU_DEP_1) | instskip(NEXT) | instid1(VALU_DEP_1)
	v_dual_sub_nc_u32 v8, 29, v8 :: v_dual_lshlrev_b32 v9, v9, v6
	v_dual_cndmask_b32 v8, v10, v8, vcc_lo :: v_dual_bitop2_b32 v9, 7, v9 bitop3:0x40
	s_delay_alu instid0(VALU_DEP_1) | instskip(SKIP_1) | instid1(VALU_DEP_3)
	v_cndmask_b32_e32 v7, v7, v9, vcc_lo
	v_and_b32_e32 v9, 0x80000000, v11
	v_lshl_add_u32 v8, v8, 23, 0x3b800000
	s_delay_alu instid0(VALU_DEP_3) | instskip(NEXT) | instid1(VALU_DEP_1)
	v_lshlrev_b32_e32 v7, 20, v7
	v_or3_b32 v7, v9, v8, v7
.LBB300_35:
	s_or_b32 exec_lo, exec_lo, s13
	s_delay_alu instid0(VALU_DEP_1)
	v_cmp_neq_f32_e64 s11, s11, v7
.LBB300_36:
	v_cmp_ne_u32_e32 vcc_lo, 1, v1
	v_lshrrev_b32_e32 v6, 16, v4
	s_cbranch_vccnz .LBB300_323
.LBB300_37:
	s_and_b32 s13, s10, 0xff
	s_delay_alu instid0(SALU_CYCLE_1)
	s_cmp_lt_i32 s13, 0x80
	s_cbranch_scc1 .LBB300_49
; %bb.38:
	s_and_b32 s12, 0xffff, s13
	s_mov_b32 s14, -1
	s_cmp_eq_u32 s12, 0x80
	s_cbranch_scc0 .LBB300_40
; %bb.39:
	s_mov_b32 s14, 0
.LBB300_40:
	s_mov_b32 s12, 0x7f800001
	s_branch .LBB300_51
.LBB300_41:
	s_mov_b32 s12, -1
	s_mov_b32 s14, exec_lo
	v_cmpx_eq_u16_e32 0x80, v6
; %bb.42:
	s_xor_b32 s12, exec_lo, -1
; %bb.43:
	s_or_b32 exec_lo, exec_lo, s14
	s_delay_alu instid0(SALU_CYCLE_1)
	s_and_b32 s12, s12, exec_lo
                                        ; implicit-def: $vgpr6
	s_or_saveexec_b32 s13, s13
	v_mov_b32_e32 v1, 0x7f800001
	s_xor_b32 exec_lo, exec_lo, s13
	s_cbranch_execz .LBB300_20
.LBB300_44:
	v_cmp_ne_u16_e32 vcc_lo, 0, v6
	v_mov_b32_e32 v1, 0
	s_and_not1_b32 s12, s12, exec_lo
	s_and_b32 s14, vcc_lo, exec_lo
	s_delay_alu instid0(SALU_CYCLE_1)
	s_or_b32 s12, s12, s14
	s_or_b32 exec_lo, exec_lo, s13
	s_and_saveexec_b32 s13, s12
	s_cbranch_execnz .LBB300_21
	s_branch .LBB300_22
.LBB300_45:
	s_mov_b32 s12, -1
	s_mov_b32 s14, exec_lo
	v_cmpx_eq_u16_e32 0x80, v8
; %bb.46:
	s_xor_b32 s12, exec_lo, -1
; %bb.47:
	s_or_b32 exec_lo, exec_lo, s14
	s_delay_alu instid0(SALU_CYCLE_1)
	s_and_b32 s12, s12, exec_lo
                                        ; implicit-def: $vgpr8
	s_or_saveexec_b32 s13, s13
	v_mov_b32_e32 v7, 0x7f800001
	s_xor_b32 exec_lo, exec_lo, s13
	s_cbranch_execz .LBB300_33
.LBB300_48:
	v_cmp_ne_u16_e32 vcc_lo, 0, v8
	v_mov_b32_e32 v7, 0
	s_and_not1_b32 s12, s12, exec_lo
	s_and_b32 s14, vcc_lo, exec_lo
	s_delay_alu instid0(SALU_CYCLE_1)
	s_or_b32 s12, s12, s14
	s_or_b32 exec_lo, exec_lo, s13
	s_and_saveexec_b32 s13, s12
	s_cbranch_execnz .LBB300_34
	s_branch .LBB300_35
.LBB300_49:
	s_mov_b32 s14, 0
	s_mov_b32 s12, 0x7f800001
	s_cbranch_execz .LBB300_51
; %bb.50:
	s_and_b32 s12, 0xffff, s13
	s_delay_alu instid0(SALU_CYCLE_1)
	s_cmp_lg_u32 s12, 0
	s_mov_b32 s12, 0
	s_cselect_b32 s14, -1, 0
.LBB300_51:
	s_delay_alu instid0(SALU_CYCLE_1)
	s_and_not1_b32 vcc_lo, exec_lo, s14
	s_cbranch_vccnz .LBB300_53
; %bb.52:
	s_mov_b32 s12, s3
.LBB300_53:
	v_and_b32_e32 v8, 0xff, v6
	s_mov_b32 s13, 0
	s_mov_b32 s14, exec_lo
	s_delay_alu instid0(VALU_DEP_1)
	v_cmpx_lt_i16_e32 0x7f, v8
	s_xor_b32 s14, exec_lo, s14
	s_cbranch_execnz .LBB300_63
; %bb.54:
	s_or_saveexec_b32 s14, s14
	v_mov_b32_e32 v7, 0x7f800001
	s_xor_b32 exec_lo, exec_lo, s14
	s_cbranch_execnz .LBB300_66
.LBB300_55:
	s_or_b32 exec_lo, exec_lo, s14
	s_and_saveexec_b32 s14, s13
	s_cbranch_execz .LBB300_57
.LBB300_56:
	v_bfe_u32 v7, v4, 16, 3
	v_bfe_u32 v10, v4, 19, 4
	v_lshlrev_b32_e32 v11, 24, v6
	s_delay_alu instid0(VALU_DEP_3) | instskip(NEXT) | instid1(VALU_DEP_3)
	v_clz_i32_u32_e32 v8, v7
	v_cmp_eq_u32_e32 vcc_lo, 0, v10
	s_delay_alu instid0(VALU_DEP_2) | instskip(NEXT) | instid1(VALU_DEP_1)
	v_min_u32_e32 v8, 32, v8
	v_subrev_nc_u32_e32 v9, 28, v8
	s_delay_alu instid0(VALU_DEP_1) | instskip(NEXT) | instid1(VALU_DEP_1)
	v_dual_sub_nc_u32 v8, 29, v8 :: v_dual_lshlrev_b32 v9, v9, v6
	v_dual_cndmask_b32 v8, v10, v8, vcc_lo :: v_dual_bitop2_b32 v9, 7, v9 bitop3:0x40
	s_delay_alu instid0(VALU_DEP_1) | instskip(SKIP_1) | instid1(VALU_DEP_3)
	v_cndmask_b32_e32 v7, v7, v9, vcc_lo
	v_and_b32_e32 v9, 0x80000000, v11
	v_lshl_add_u32 v8, v8, 23, 0x3b800000
	s_delay_alu instid0(VALU_DEP_3) | instskip(NEXT) | instid1(VALU_DEP_1)
	v_lshlrev_b32_e32 v7, 20, v7
	v_or3_b32 v7, v9, v8, v7
.LBB300_57:
	s_or_b32 exec_lo, exec_lo, s14
	s_delay_alu instid0(VALU_DEP_1)
	v_cmp_neq_f32_e64 s12, s12, v7
.LBB300_58:
	v_cmp_ne_u32_e32 vcc_lo, 1, v1
	v_lshrrev_b32_e32 v6, 24, v4
	s_cbranch_vccnz .LBB300_341
.LBB300_59:
	s_and_b32 s14, s10, 0xff
	s_delay_alu instid0(SALU_CYCLE_1)
	s_cmp_lt_i32 s14, 0x80
	s_cbranch_scc1 .LBB300_67
; %bb.60:
	s_and_b32 s13, 0xffff, s14
	s_mov_b32 s15, -1
	s_cmp_eq_u32 s13, 0x80
	s_cbranch_scc0 .LBB300_62
; %bb.61:
	s_mov_b32 s15, 0
.LBB300_62:
	s_mov_b32 s13, 0x7f800001
	s_branch .LBB300_69
.LBB300_63:
	s_mov_b32 s13, -1
	s_mov_b32 s15, exec_lo
	v_cmpx_eq_u16_e32 0x80, v8
; %bb.64:
	s_xor_b32 s13, exec_lo, -1
; %bb.65:
	s_or_b32 exec_lo, exec_lo, s15
	s_delay_alu instid0(SALU_CYCLE_1)
	s_and_b32 s13, s13, exec_lo
                                        ; implicit-def: $vgpr8
	s_or_saveexec_b32 s14, s14
	v_mov_b32_e32 v7, 0x7f800001
	s_xor_b32 exec_lo, exec_lo, s14
	s_cbranch_execz .LBB300_55
.LBB300_66:
	v_cmp_ne_u16_e32 vcc_lo, 0, v8
	v_mov_b32_e32 v7, 0
	s_and_not1_b32 s13, s13, exec_lo
	s_and_b32 s15, vcc_lo, exec_lo
	s_delay_alu instid0(SALU_CYCLE_1)
	s_or_b32 s13, s13, s15
	s_or_b32 exec_lo, exec_lo, s14
	s_and_saveexec_b32 s14, s13
	s_cbranch_execnz .LBB300_56
	s_branch .LBB300_57
.LBB300_67:
	s_mov_b32 s15, 0
	s_mov_b32 s13, 0x7f800001
	s_cbranch_execz .LBB300_69
; %bb.68:
	s_and_b32 s13, 0xffff, s14
	s_delay_alu instid0(SALU_CYCLE_1)
	s_cmp_lg_u32 s13, 0
	s_mov_b32 s13, 0
	s_cselect_b32 s15, -1, 0
.LBB300_69:
	s_delay_alu instid0(SALU_CYCLE_1)
	s_and_not1_b32 vcc_lo, exec_lo, s15
	s_cbranch_vccnz .LBB300_71
; %bb.70:
	s_mov_b32 s13, s3
.LBB300_71:
	s_mov_b32 s14, 0
	s_mov_b32 s15, exec_lo
	v_cmpx_lt_i16_e32 0x7f, v6
	s_xor_b32 s15, exec_lo, s15
	s_cbranch_execnz .LBB300_81
; %bb.72:
	s_or_saveexec_b32 s15, s15
	v_mov_b32_e32 v7, 0x7f800001
	s_xor_b32 exec_lo, exec_lo, s15
	s_cbranch_execnz .LBB300_84
.LBB300_73:
	s_or_b32 exec_lo, exec_lo, s15
	s_and_saveexec_b32 s15, s14
	s_cbranch_execz .LBB300_75
.LBB300_74:
	v_bfe_u32 v7, v4, 24, 3
	v_bfe_u32 v10, v4, 27, 4
	s_delay_alu instid0(VALU_DEP_2) | instskip(NEXT) | instid1(VALU_DEP_2)
	v_clz_i32_u32_e32 v8, v7
	v_cmp_eq_u32_e32 vcc_lo, 0, v10
	s_delay_alu instid0(VALU_DEP_2) | instskip(NEXT) | instid1(VALU_DEP_1)
	v_min_u32_e32 v8, 32, v8
	v_subrev_nc_u32_e32 v9, 28, v8
	s_delay_alu instid0(VALU_DEP_1) | instskip(NEXT) | instid1(VALU_DEP_1)
	v_dual_sub_nc_u32 v8, 29, v8 :: v_dual_lshlrev_b32 v9, v9, v6
	v_dual_cndmask_b32 v8, v10, v8, vcc_lo :: v_dual_bitop2_b32 v9, 7, v9 bitop3:0x40
	s_delay_alu instid0(VALU_DEP_1) | instskip(NEXT) | instid1(VALU_DEP_2)
	v_lshl_add_u32 v8, v8, 23, 0x3b800000
	v_cndmask_b32_e32 v7, v7, v9, vcc_lo
	v_and_b32_e32 v9, 0x80000000, v4
	s_delay_alu instid0(VALU_DEP_2) | instskip(NEXT) | instid1(VALU_DEP_1)
	v_lshlrev_b32_e32 v7, 20, v7
	v_or3_b32 v7, v9, v8, v7
.LBB300_75:
	s_or_b32 exec_lo, exec_lo, s15
	s_delay_alu instid0(VALU_DEP_1)
	v_cmp_neq_f32_e64 s13, s13, v7
.LBB300_76:
	v_cmp_ne_u32_e32 vcc_lo, 1, v1
	s_cbranch_vccnz .LBB300_359
.LBB300_77:
	s_and_b32 s15, s10, 0xff
	s_delay_alu instid0(SALU_CYCLE_1)
	s_cmp_lt_i32 s15, 0x80
	s_cbranch_scc1 .LBB300_85
; %bb.78:
	s_and_b32 s14, 0xffff, s15
	s_mov_b32 s16, -1
	s_cmp_eq_u32 s14, 0x80
	s_cbranch_scc0 .LBB300_80
; %bb.79:
	s_mov_b32 s16, 0
.LBB300_80:
	s_mov_b32 s14, 0x7f800001
	s_branch .LBB300_87
.LBB300_81:
	s_mov_b32 s14, -1
	s_mov_b32 s16, exec_lo
	v_cmpx_eq_u16_e32 0x80, v6
; %bb.82:
	s_xor_b32 s14, exec_lo, -1
; %bb.83:
	s_or_b32 exec_lo, exec_lo, s16
	s_delay_alu instid0(SALU_CYCLE_1)
	s_and_b32 s14, s14, exec_lo
	s_or_saveexec_b32 s15, s15
	v_mov_b32_e32 v7, 0x7f800001
	s_xor_b32 exec_lo, exec_lo, s15
	s_cbranch_execz .LBB300_73
.LBB300_84:
	v_cmp_ne_u16_e32 vcc_lo, 0, v6
	v_mov_b32_e32 v7, 0
	s_and_not1_b32 s14, s14, exec_lo
	s_and_b32 s16, vcc_lo, exec_lo
	s_delay_alu instid0(SALU_CYCLE_1)
	s_or_b32 s14, s14, s16
	s_or_b32 exec_lo, exec_lo, s15
	s_and_saveexec_b32 s15, s14
	s_cbranch_execnz .LBB300_74
	s_branch .LBB300_75
.LBB300_85:
	s_mov_b32 s16, 0
	s_mov_b32 s14, 0x7f800001
	s_cbranch_execz .LBB300_87
; %bb.86:
	s_and_b32 s14, 0xffff, s15
	s_delay_alu instid0(SALU_CYCLE_1)
	s_cmp_lg_u32 s14, 0
	s_mov_b32 s14, 0
	s_cselect_b32 s16, -1, 0
.LBB300_87:
	s_delay_alu instid0(SALU_CYCLE_1)
	s_and_not1_b32 vcc_lo, exec_lo, s16
	s_cbranch_vccnz .LBB300_89
; %bb.88:
	s_mov_b32 s14, s3
.LBB300_89:
	v_and_b32_e32 v6, 0xff, v5
	s_mov_b32 s15, 0
	s_mov_b32 s16, exec_lo
	s_delay_alu instid0(VALU_DEP_1)
	v_cmpx_lt_i16_e32 0x7f, v6
	s_xor_b32 s16, exec_lo, s16
	s_cbranch_execnz .LBB300_99
; %bb.90:
	s_or_saveexec_b32 s16, s16
	v_mov_b32_e32 v4, 0x7f800001
	s_xor_b32 exec_lo, exec_lo, s16
	s_cbranch_execnz .LBB300_102
.LBB300_91:
	s_or_b32 exec_lo, exec_lo, s16
	s_and_saveexec_b32 s16, s15
	s_cbranch_execz .LBB300_93
.LBB300_92:
	v_and_b32_e32 v4, 7, v5
	v_bfe_u32 v8, v5, 3, 4
	s_delay_alu instid0(VALU_DEP_2) | instskip(NEXT) | instid1(VALU_DEP_2)
	v_clz_i32_u32_e32 v6, v4
	v_cmp_eq_u32_e32 vcc_lo, 0, v8
	s_delay_alu instid0(VALU_DEP_2) | instskip(NEXT) | instid1(VALU_DEP_1)
	v_min_u32_e32 v6, 32, v6
	v_subrev_nc_u32_e32 v7, 28, v6
	s_delay_alu instid0(VALU_DEP_1) | instskip(NEXT) | instid1(VALU_DEP_1)
	v_dual_lshlrev_b32 v7, v7, v5 :: v_dual_sub_nc_u32 v6, 29, v6
	v_dual_lshlrev_b32 v9, 24, v5 :: v_dual_bitop2_b32 v7, 7, v7 bitop3:0x40
	s_delay_alu instid0(VALU_DEP_2) | instskip(NEXT) | instid1(VALU_DEP_2)
	v_cndmask_b32_e32 v6, v8, v6, vcc_lo
	v_cndmask_b32_e32 v4, v4, v7, vcc_lo
	s_delay_alu instid0(VALU_DEP_3) | instskip(NEXT) | instid1(VALU_DEP_3)
	v_and_b32_e32 v7, 0x80000000, v9
	v_lshl_add_u32 v6, v6, 23, 0x3b800000
	s_delay_alu instid0(VALU_DEP_3) | instskip(NEXT) | instid1(VALU_DEP_1)
	v_lshlrev_b32_e32 v4, 20, v4
	v_or3_b32 v4, v7, v6, v4
.LBB300_93:
	s_or_b32 exec_lo, exec_lo, s16
	s_delay_alu instid0(VALU_DEP_1)
	v_cmp_neq_f32_e64 s14, s14, v4
.LBB300_94:
	v_cmp_ne_u32_e32 vcc_lo, 1, v1
	v_lshrrev_b32_e32 v4, 8, v5
	s_cbranch_vccnz .LBB300_377
.LBB300_95:
	s_and_b32 s16, s10, 0xff
	s_delay_alu instid0(SALU_CYCLE_1)
	s_cmp_lt_i32 s16, 0x80
	s_cbranch_scc1 .LBB300_103
; %bb.96:
	s_and_b32 s15, 0xffff, s16
	s_mov_b32 s17, -1
	s_cmp_eq_u32 s15, 0x80
	s_cbranch_scc0 .LBB300_98
; %bb.97:
	s_mov_b32 s17, 0
.LBB300_98:
	s_mov_b32 s15, 0x7f800001
	s_branch .LBB300_105
.LBB300_99:
	s_mov_b32 s15, -1
	s_mov_b32 s17, exec_lo
	v_cmpx_eq_u16_e32 0x80, v6
; %bb.100:
	s_xor_b32 s15, exec_lo, -1
; %bb.101:
	s_or_b32 exec_lo, exec_lo, s17
	s_delay_alu instid0(SALU_CYCLE_1)
	s_and_b32 s15, s15, exec_lo
                                        ; implicit-def: $vgpr6
	s_or_saveexec_b32 s16, s16
	v_mov_b32_e32 v4, 0x7f800001
	s_xor_b32 exec_lo, exec_lo, s16
	s_cbranch_execz .LBB300_91
.LBB300_102:
	v_cmp_ne_u16_e32 vcc_lo, 0, v6
	v_mov_b32_e32 v4, 0
	s_and_not1_b32 s15, s15, exec_lo
	s_and_b32 s17, vcc_lo, exec_lo
	s_delay_alu instid0(SALU_CYCLE_1)
	s_or_b32 s15, s15, s17
	s_or_b32 exec_lo, exec_lo, s16
	s_and_saveexec_b32 s16, s15
	s_cbranch_execnz .LBB300_92
	s_branch .LBB300_93
.LBB300_103:
	s_mov_b32 s17, 0
	s_mov_b32 s15, 0x7f800001
	s_cbranch_execz .LBB300_105
; %bb.104:
	s_and_b32 s15, 0xffff, s16
	s_delay_alu instid0(SALU_CYCLE_1)
	s_cmp_lg_u32 s15, 0
	s_mov_b32 s15, 0
	s_cselect_b32 s17, -1, 0
.LBB300_105:
	s_delay_alu instid0(SALU_CYCLE_1)
	s_and_not1_b32 vcc_lo, exec_lo, s17
	s_cbranch_vccnz .LBB300_107
; %bb.106:
	s_mov_b32 s15, s3
.LBB300_107:
	v_and_b32_e32 v7, 0xff, v4
	s_mov_b32 s16, 0
	s_mov_b32 s17, exec_lo
	s_delay_alu instid0(VALU_DEP_1)
	v_cmpx_lt_i16_e32 0x7f, v7
	s_xor_b32 s17, exec_lo, s17
	s_cbranch_execnz .LBB300_117
; %bb.108:
	s_or_saveexec_b32 s17, s17
	v_mov_b32_e32 v6, 0x7f800001
	s_xor_b32 exec_lo, exec_lo, s17
	s_cbranch_execnz .LBB300_120
.LBB300_109:
	s_or_b32 exec_lo, exec_lo, s17
	s_and_saveexec_b32 s17, s16
	s_cbranch_execz .LBB300_111
.LBB300_110:
	v_bfe_u32 v6, v5, 8, 3
	v_bfe_u32 v9, v5, 11, 4
	s_delay_alu instid0(VALU_DEP_2) | instskip(NEXT) | instid1(VALU_DEP_2)
	v_clz_i32_u32_e32 v7, v6
	v_cmp_eq_u32_e32 vcc_lo, 0, v9
	s_delay_alu instid0(VALU_DEP_2) | instskip(NEXT) | instid1(VALU_DEP_1)
	v_min_u32_e32 v7, 32, v7
	v_subrev_nc_u32_e32 v8, 28, v7
	s_delay_alu instid0(VALU_DEP_1) | instskip(NEXT) | instid1(VALU_DEP_1)
	v_dual_sub_nc_u32 v7, 29, v7 :: v_dual_lshlrev_b32 v8, v8, v4
	v_dual_cndmask_b32 v7, v9, v7, vcc_lo :: v_dual_bitop2_b32 v8, 7, v8 bitop3:0x40
	s_delay_alu instid0(VALU_DEP_1) | instskip(NEXT) | instid1(VALU_DEP_2)
	v_lshl_add_u32 v7, v7, 23, 0x3b800000
	v_cndmask_b32_e32 v6, v6, v8, vcc_lo
	s_delay_alu instid0(VALU_DEP_1) | instskip(NEXT) | instid1(VALU_DEP_1)
	v_dual_lshlrev_b32 v10, 24, v4 :: v_dual_lshlrev_b32 v6, 20, v6
	v_and_b32_e32 v8, 0x80000000, v10
	s_delay_alu instid0(VALU_DEP_1)
	v_or3_b32 v6, v8, v7, v6
.LBB300_111:
	s_or_b32 exec_lo, exec_lo, s17
	s_delay_alu instid0(VALU_DEP_1)
	v_cmp_neq_f32_e64 s15, s15, v6
.LBB300_112:
	v_cmp_ne_u32_e32 vcc_lo, 1, v1
	v_lshrrev_b32_e32 v4, 16, v5
	s_cbranch_vccnz .LBB300_395
.LBB300_113:
	s_and_b32 s17, s10, 0xff
	s_delay_alu instid0(SALU_CYCLE_1)
	s_cmp_lt_i32 s17, 0x80
	s_cbranch_scc1 .LBB300_121
; %bb.114:
	s_and_b32 s16, 0xffff, s17
	s_mov_b32 s18, -1
	s_cmp_eq_u32 s16, 0x80
	s_cbranch_scc0 .LBB300_116
; %bb.115:
	s_mov_b32 s18, 0
.LBB300_116:
	s_mov_b32 s16, 0x7f800001
	s_branch .LBB300_123
.LBB300_117:
	s_mov_b32 s16, -1
	s_mov_b32 s18, exec_lo
	v_cmpx_eq_u16_e32 0x80, v7
; %bb.118:
	s_xor_b32 s16, exec_lo, -1
; %bb.119:
	s_or_b32 exec_lo, exec_lo, s18
	s_delay_alu instid0(SALU_CYCLE_1)
	s_and_b32 s16, s16, exec_lo
                                        ; implicit-def: $vgpr7
	s_or_saveexec_b32 s17, s17
	v_mov_b32_e32 v6, 0x7f800001
	s_xor_b32 exec_lo, exec_lo, s17
	s_cbranch_execz .LBB300_109
.LBB300_120:
	v_cmp_ne_u16_e32 vcc_lo, 0, v7
	v_mov_b32_e32 v6, 0
	s_and_not1_b32 s16, s16, exec_lo
	s_and_b32 s18, vcc_lo, exec_lo
	s_delay_alu instid0(SALU_CYCLE_1)
	s_or_b32 s16, s16, s18
	s_or_b32 exec_lo, exec_lo, s17
	s_and_saveexec_b32 s17, s16
	s_cbranch_execnz .LBB300_110
	s_branch .LBB300_111
.LBB300_121:
	s_mov_b32 s18, 0
	s_mov_b32 s16, 0x7f800001
	s_cbranch_execz .LBB300_123
; %bb.122:
	s_and_b32 s16, 0xffff, s17
	s_delay_alu instid0(SALU_CYCLE_1)
	s_cmp_lg_u32 s16, 0
	s_mov_b32 s16, 0
	s_cselect_b32 s18, -1, 0
.LBB300_123:
	s_delay_alu instid0(SALU_CYCLE_1)
	s_and_not1_b32 vcc_lo, exec_lo, s18
	s_cbranch_vccnz .LBB300_125
; %bb.124:
	s_mov_b32 s16, s3
.LBB300_125:
	v_and_b32_e32 v7, 0xff, v4
	s_mov_b32 s17, 0
	s_mov_b32 s18, exec_lo
	s_delay_alu instid0(VALU_DEP_1)
	v_cmpx_lt_i16_e32 0x7f, v7
	s_xor_b32 s18, exec_lo, s18
	s_cbranch_execnz .LBB300_135
; %bb.126:
	s_or_saveexec_b32 s18, s18
	v_mov_b32_e32 v6, 0x7f800001
	s_xor_b32 exec_lo, exec_lo, s18
	s_cbranch_execnz .LBB300_138
.LBB300_127:
	s_or_b32 exec_lo, exec_lo, s18
	s_and_saveexec_b32 s18, s17
	s_cbranch_execz .LBB300_129
.LBB300_128:
	v_bfe_u32 v6, v5, 16, 3
	v_bfe_u32 v9, v5, 19, 4
	s_delay_alu instid0(VALU_DEP_2) | instskip(NEXT) | instid1(VALU_DEP_2)
	v_clz_i32_u32_e32 v7, v6
	v_cmp_eq_u32_e32 vcc_lo, 0, v9
	s_delay_alu instid0(VALU_DEP_2) | instskip(NEXT) | instid1(VALU_DEP_1)
	v_min_u32_e32 v7, 32, v7
	v_subrev_nc_u32_e32 v8, 28, v7
	s_delay_alu instid0(VALU_DEP_1) | instskip(NEXT) | instid1(VALU_DEP_1)
	v_dual_sub_nc_u32 v7, 29, v7 :: v_dual_lshlrev_b32 v8, v8, v4
	v_dual_cndmask_b32 v7, v9, v7, vcc_lo :: v_dual_bitop2_b32 v8, 7, v8 bitop3:0x40
	s_delay_alu instid0(VALU_DEP_1) | instskip(NEXT) | instid1(VALU_DEP_2)
	v_lshl_add_u32 v7, v7, 23, 0x3b800000
	v_cndmask_b32_e32 v6, v6, v8, vcc_lo
	s_delay_alu instid0(VALU_DEP_1) | instskip(NEXT) | instid1(VALU_DEP_1)
	v_dual_lshlrev_b32 v10, 24, v4 :: v_dual_lshlrev_b32 v6, 20, v6
	v_and_b32_e32 v8, 0x80000000, v10
	s_delay_alu instid0(VALU_DEP_1)
	v_or3_b32 v6, v8, v7, v6
.LBB300_129:
	s_or_b32 exec_lo, exec_lo, s18
	s_delay_alu instid0(VALU_DEP_1)
	v_cmp_neq_f32_e64 s16, s16, v6
.LBB300_130:
	v_cmp_ne_u32_e32 vcc_lo, 1, v1
	v_lshrrev_b32_e32 v4, 24, v5
	s_cbranch_vccnz .LBB300_413
.LBB300_131:
	s_and_b32 s18, s10, 0xff
	s_delay_alu instid0(SALU_CYCLE_1)
	s_cmp_lt_i32 s18, 0x80
	s_cbranch_scc1 .LBB300_139
; %bb.132:
	s_and_b32 s17, 0xffff, s18
	s_mov_b32 s19, -1
	s_cmp_eq_u32 s17, 0x80
	s_cbranch_scc0 .LBB300_134
; %bb.133:
	s_mov_b32 s19, 0
.LBB300_134:
	s_mov_b32 s17, 0x7f800001
	s_branch .LBB300_141
.LBB300_135:
	s_mov_b32 s17, -1
	s_mov_b32 s19, exec_lo
	v_cmpx_eq_u16_e32 0x80, v7
; %bb.136:
	s_xor_b32 s17, exec_lo, -1
; %bb.137:
	s_or_b32 exec_lo, exec_lo, s19
	s_delay_alu instid0(SALU_CYCLE_1)
	s_and_b32 s17, s17, exec_lo
                                        ; implicit-def: $vgpr7
	s_or_saveexec_b32 s18, s18
	v_mov_b32_e32 v6, 0x7f800001
	s_xor_b32 exec_lo, exec_lo, s18
	s_cbranch_execz .LBB300_127
.LBB300_138:
	v_cmp_ne_u16_e32 vcc_lo, 0, v7
	v_mov_b32_e32 v6, 0
	s_and_not1_b32 s17, s17, exec_lo
	s_and_b32 s19, vcc_lo, exec_lo
	s_delay_alu instid0(SALU_CYCLE_1)
	s_or_b32 s17, s17, s19
	s_or_b32 exec_lo, exec_lo, s18
	s_and_saveexec_b32 s18, s17
	s_cbranch_execnz .LBB300_128
	s_branch .LBB300_129
.LBB300_139:
	s_mov_b32 s19, 0
	s_mov_b32 s17, 0x7f800001
	s_cbranch_execz .LBB300_141
; %bb.140:
	s_and_b32 s17, 0xffff, s18
	s_delay_alu instid0(SALU_CYCLE_1)
	s_cmp_lg_u32 s17, 0
	s_mov_b32 s17, 0
	s_cselect_b32 s19, -1, 0
.LBB300_141:
	s_delay_alu instid0(SALU_CYCLE_1)
	s_and_not1_b32 vcc_lo, exec_lo, s19
	s_cbranch_vccnz .LBB300_143
; %bb.142:
	s_mov_b32 s17, s3
.LBB300_143:
	s_mov_b32 s18, 0
	s_mov_b32 s19, exec_lo
	v_cmpx_lt_i16_e32 0x7f, v4
	s_xor_b32 s19, exec_lo, s19
	s_cbranch_execnz .LBB300_153
; %bb.144:
	s_or_saveexec_b32 s19, s19
	v_mov_b32_e32 v6, 0x7f800001
	s_xor_b32 exec_lo, exec_lo, s19
	s_cbranch_execnz .LBB300_156
.LBB300_145:
	s_or_b32 exec_lo, exec_lo, s19
	s_and_saveexec_b32 s19, s18
	s_cbranch_execz .LBB300_147
.LBB300_146:
	v_bfe_u32 v6, v5, 24, 3
	v_bfe_u32 v9, v5, 27, 4
	s_delay_alu instid0(VALU_DEP_2) | instskip(NEXT) | instid1(VALU_DEP_2)
	v_clz_i32_u32_e32 v7, v6
	v_cmp_eq_u32_e32 vcc_lo, 0, v9
	s_delay_alu instid0(VALU_DEP_2) | instskip(NEXT) | instid1(VALU_DEP_1)
	v_min_u32_e32 v7, 32, v7
	v_subrev_nc_u32_e32 v8, 28, v7
	s_delay_alu instid0(VALU_DEP_1) | instskip(NEXT) | instid1(VALU_DEP_1)
	v_dual_sub_nc_u32 v7, 29, v7 :: v_dual_lshlrev_b32 v8, v8, v4
	v_dual_cndmask_b32 v7, v9, v7, vcc_lo :: v_dual_bitop2_b32 v8, 7, v8 bitop3:0x40
	s_delay_alu instid0(VALU_DEP_1) | instskip(NEXT) | instid1(VALU_DEP_2)
	v_lshl_add_u32 v7, v7, 23, 0x3b800000
	v_cndmask_b32_e32 v6, v6, v8, vcc_lo
	v_and_b32_e32 v8, 0x80000000, v5
	s_delay_alu instid0(VALU_DEP_2) | instskip(NEXT) | instid1(VALU_DEP_1)
	v_lshlrev_b32_e32 v6, 20, v6
	v_or3_b32 v6, v8, v7, v6
.LBB300_147:
	s_or_b32 exec_lo, exec_lo, s19
	s_delay_alu instid0(VALU_DEP_1)
	v_cmp_neq_f32_e64 s17, s17, v6
.LBB300_148:
	v_cmp_ne_u32_e32 vcc_lo, 1, v1
	s_cbranch_vccnz .LBB300_431
.LBB300_149:
	s_and_b32 s19, s10, 0xff
	s_delay_alu instid0(SALU_CYCLE_1)
	s_cmp_lt_i32 s19, 0x80
	s_cbranch_scc1 .LBB300_157
; %bb.150:
	s_and_b32 s18, 0xffff, s19
	s_mov_b32 s20, -1
	s_cmp_eq_u32 s18, 0x80
	s_cbranch_scc0 .LBB300_152
; %bb.151:
	s_mov_b32 s20, 0
.LBB300_152:
	s_mov_b32 s18, 0x7f800001
	s_branch .LBB300_159
.LBB300_153:
	s_mov_b32 s18, -1
	s_mov_b32 s20, exec_lo
	v_cmpx_eq_u16_e32 0x80, v4
; %bb.154:
	s_xor_b32 s18, exec_lo, -1
; %bb.155:
	s_or_b32 exec_lo, exec_lo, s20
	s_delay_alu instid0(SALU_CYCLE_1)
	s_and_b32 s18, s18, exec_lo
	s_or_saveexec_b32 s19, s19
	v_mov_b32_e32 v6, 0x7f800001
	s_xor_b32 exec_lo, exec_lo, s19
	s_cbranch_execz .LBB300_145
.LBB300_156:
	v_cmp_ne_u16_e32 vcc_lo, 0, v4
	v_mov_b32_e32 v6, 0
	s_and_not1_b32 s18, s18, exec_lo
	s_and_b32 s20, vcc_lo, exec_lo
	s_delay_alu instid0(SALU_CYCLE_1)
	s_or_b32 s18, s18, s20
	s_or_b32 exec_lo, exec_lo, s19
	s_and_saveexec_b32 s19, s18
	s_cbranch_execnz .LBB300_146
	s_branch .LBB300_147
.LBB300_157:
	s_mov_b32 s20, 0
	s_mov_b32 s18, 0x7f800001
	s_cbranch_execz .LBB300_159
; %bb.158:
	s_and_b32 s18, 0xffff, s19
	s_delay_alu instid0(SALU_CYCLE_1)
	s_cmp_lg_u32 s18, 0
	s_mov_b32 s18, 0
	s_cselect_b32 s20, -1, 0
.LBB300_159:
	s_delay_alu instid0(SALU_CYCLE_1)
	s_and_not1_b32 vcc_lo, exec_lo, s20
	s_cbranch_vccnz .LBB300_161
; %bb.160:
	s_mov_b32 s18, s3
.LBB300_161:
	s_wait_loadcnt 0x0
	v_and_b32_e32 v5, 0xff, v2
	s_mov_b32 s19, 0
	s_mov_b32 s20, exec_lo
	s_delay_alu instid0(VALU_DEP_1)
	v_cmpx_lt_i16_e32 0x7f, v5
	s_xor_b32 s20, exec_lo, s20
	s_cbranch_execnz .LBB300_171
; %bb.162:
	s_or_saveexec_b32 s20, s20
	v_mov_b32_e32 v4, 0x7f800001
	s_xor_b32 exec_lo, exec_lo, s20
	s_cbranch_execnz .LBB300_174
.LBB300_163:
	s_or_b32 exec_lo, exec_lo, s20
	s_and_saveexec_b32 s20, s19
	s_cbranch_execz .LBB300_165
.LBB300_164:
	v_and_b32_e32 v4, 7, v2
	v_bfe_u32 v7, v2, 3, 4
	s_delay_alu instid0(VALU_DEP_2) | instskip(NEXT) | instid1(VALU_DEP_2)
	v_clz_i32_u32_e32 v5, v4
	v_cmp_eq_u32_e32 vcc_lo, 0, v7
	s_delay_alu instid0(VALU_DEP_2) | instskip(NEXT) | instid1(VALU_DEP_1)
	v_min_u32_e32 v5, 32, v5
	v_subrev_nc_u32_e32 v6, 28, v5
	s_delay_alu instid0(VALU_DEP_1) | instskip(NEXT) | instid1(VALU_DEP_1)
	v_dual_lshlrev_b32 v6, v6, v2 :: v_dual_sub_nc_u32 v5, 29, v5
	v_and_b32_e32 v6, 7, v6
	s_delay_alu instid0(VALU_DEP_2) | instskip(NEXT) | instid1(VALU_DEP_2)
	v_dual_cndmask_b32 v5, v7, v5 :: v_dual_lshlrev_b32 v8, 24, v2
	v_cndmask_b32_e32 v4, v4, v6, vcc_lo
	s_delay_alu instid0(VALU_DEP_2) | instskip(NEXT) | instid1(VALU_DEP_3)
	v_and_b32_e32 v6, 0x80000000, v8
	v_lshl_add_u32 v5, v5, 23, 0x3b800000
	s_delay_alu instid0(VALU_DEP_3) | instskip(NEXT) | instid1(VALU_DEP_1)
	v_lshlrev_b32_e32 v4, 20, v4
	v_or3_b32 v4, v6, v5, v4
.LBB300_165:
	s_or_b32 exec_lo, exec_lo, s20
	s_delay_alu instid0(VALU_DEP_1)
	v_cmp_neq_f32_e64 s18, s18, v4
.LBB300_166:
	v_cmp_ne_u32_e32 vcc_lo, 1, v1
	s_wait_loadcnt 0x0
	v_lshrrev_b32_e32 v4, 8, v2
	s_cbranch_vccnz .LBB300_449
.LBB300_167:
	s_and_b32 s20, s10, 0xff
	s_delay_alu instid0(SALU_CYCLE_1)
	s_cmp_lt_i32 s20, 0x80
	s_cbranch_scc1 .LBB300_175
; %bb.168:
	s_and_b32 s19, 0xffff, s20
	s_mov_b32 s21, -1
	s_cmp_eq_u32 s19, 0x80
	s_cbranch_scc0 .LBB300_170
; %bb.169:
	s_mov_b32 s21, 0
.LBB300_170:
	s_mov_b32 s19, 0x7f800001
	s_branch .LBB300_177
.LBB300_171:
	s_mov_b32 s19, -1
	s_mov_b32 s21, exec_lo
	v_cmpx_eq_u16_e32 0x80, v5
; %bb.172:
	s_xor_b32 s19, exec_lo, -1
; %bb.173:
	s_or_b32 exec_lo, exec_lo, s21
	s_delay_alu instid0(SALU_CYCLE_1)
	s_and_b32 s19, s19, exec_lo
                                        ; implicit-def: $vgpr5
	s_or_saveexec_b32 s20, s20
	v_mov_b32_e32 v4, 0x7f800001
	s_xor_b32 exec_lo, exec_lo, s20
	s_cbranch_execz .LBB300_163
.LBB300_174:
	v_cmp_ne_u16_e32 vcc_lo, 0, v5
	v_mov_b32_e32 v4, 0
	s_and_not1_b32 s19, s19, exec_lo
	s_and_b32 s21, vcc_lo, exec_lo
	s_delay_alu instid0(SALU_CYCLE_1)
	s_or_b32 s19, s19, s21
	s_or_b32 exec_lo, exec_lo, s20
	s_and_saveexec_b32 s20, s19
	s_cbranch_execnz .LBB300_164
	s_branch .LBB300_165
.LBB300_175:
	s_mov_b32 s21, 0
	s_mov_b32 s19, 0x7f800001
	s_cbranch_execz .LBB300_177
; %bb.176:
	s_and_b32 s19, 0xffff, s20
	s_delay_alu instid0(SALU_CYCLE_1)
	s_cmp_lg_u32 s19, 0
	s_mov_b32 s19, 0
	s_cselect_b32 s21, -1, 0
.LBB300_177:
	s_delay_alu instid0(SALU_CYCLE_1)
	s_and_not1_b32 vcc_lo, exec_lo, s21
	s_cbranch_vccnz .LBB300_179
; %bb.178:
	s_mov_b32 s19, s3
.LBB300_179:
	v_and_b32_e32 v6, 0xff, v4
	s_mov_b32 s20, 0
	s_mov_b32 s21, exec_lo
	s_delay_alu instid0(VALU_DEP_1)
	v_cmpx_lt_i16_e32 0x7f, v6
	s_xor_b32 s21, exec_lo, s21
	s_cbranch_execnz .LBB300_189
; %bb.180:
	s_or_saveexec_b32 s21, s21
	v_mov_b32_e32 v5, 0x7f800001
	s_xor_b32 exec_lo, exec_lo, s21
	s_cbranch_execnz .LBB300_192
.LBB300_181:
	s_or_b32 exec_lo, exec_lo, s21
	s_and_saveexec_b32 s21, s20
	s_cbranch_execz .LBB300_183
.LBB300_182:
	v_bfe_u32 v5, v2, 8, 3
	v_bfe_u32 v8, v2, 11, 4
	v_lshlrev_b32_e32 v9, 24, v4
	s_delay_alu instid0(VALU_DEP_3) | instskip(NEXT) | instid1(VALU_DEP_3)
	v_clz_i32_u32_e32 v6, v5
	v_cmp_eq_u32_e32 vcc_lo, 0, v8
	s_delay_alu instid0(VALU_DEP_2) | instskip(NEXT) | instid1(VALU_DEP_1)
	v_min_u32_e32 v6, 32, v6
	v_subrev_nc_u32_e32 v7, 28, v6
	s_delay_alu instid0(VALU_DEP_1) | instskip(NEXT) | instid1(VALU_DEP_1)
	v_dual_sub_nc_u32 v6, 29, v6 :: v_dual_lshlrev_b32 v7, v7, v4
	v_dual_cndmask_b32 v6, v8, v6, vcc_lo :: v_dual_bitop2_b32 v7, 7, v7 bitop3:0x40
	s_delay_alu instid0(VALU_DEP_1) | instskip(SKIP_1) | instid1(VALU_DEP_3)
	v_cndmask_b32_e32 v5, v5, v7, vcc_lo
	v_and_b32_e32 v7, 0x80000000, v9
	v_lshl_add_u32 v6, v6, 23, 0x3b800000
	s_delay_alu instid0(VALU_DEP_3) | instskip(NEXT) | instid1(VALU_DEP_1)
	v_lshlrev_b32_e32 v5, 20, v5
	v_or3_b32 v5, v7, v6, v5
.LBB300_183:
	s_or_b32 exec_lo, exec_lo, s21
	s_delay_alu instid0(VALU_DEP_1)
	v_cmp_neq_f32_e64 s19, s19, v5
.LBB300_184:
	v_cmp_ne_u32_e32 vcc_lo, 1, v1
	v_lshrrev_b32_e32 v4, 16, v2
	s_cbranch_vccnz .LBB300_467
.LBB300_185:
	s_and_b32 s21, s10, 0xff
	s_delay_alu instid0(SALU_CYCLE_1)
	s_cmp_lt_i32 s21, 0x80
	s_cbranch_scc1 .LBB300_193
; %bb.186:
	s_and_b32 s20, 0xffff, s21
	s_mov_b32 s22, -1
	s_cmp_eq_u32 s20, 0x80
	s_cbranch_scc0 .LBB300_188
; %bb.187:
	s_mov_b32 s22, 0
.LBB300_188:
	s_mov_b32 s20, 0x7f800001
	s_branch .LBB300_195
.LBB300_189:
	s_mov_b32 s20, -1
	s_mov_b32 s22, exec_lo
	v_cmpx_eq_u16_e32 0x80, v6
; %bb.190:
	s_xor_b32 s20, exec_lo, -1
; %bb.191:
	s_or_b32 exec_lo, exec_lo, s22
	s_delay_alu instid0(SALU_CYCLE_1)
	s_and_b32 s20, s20, exec_lo
                                        ; implicit-def: $vgpr6
	s_or_saveexec_b32 s21, s21
	v_mov_b32_e32 v5, 0x7f800001
	s_xor_b32 exec_lo, exec_lo, s21
	s_cbranch_execz .LBB300_181
.LBB300_192:
	v_cmp_ne_u16_e32 vcc_lo, 0, v6
	v_mov_b32_e32 v5, 0
	s_and_not1_b32 s20, s20, exec_lo
	s_and_b32 s22, vcc_lo, exec_lo
	s_delay_alu instid0(SALU_CYCLE_1)
	s_or_b32 s20, s20, s22
	s_or_b32 exec_lo, exec_lo, s21
	s_and_saveexec_b32 s21, s20
	s_cbranch_execnz .LBB300_182
	s_branch .LBB300_183
.LBB300_193:
	s_mov_b32 s22, 0
	s_mov_b32 s20, 0x7f800001
	s_cbranch_execz .LBB300_195
; %bb.194:
	s_and_b32 s20, 0xffff, s21
	s_delay_alu instid0(SALU_CYCLE_1)
	s_cmp_lg_u32 s20, 0
	s_mov_b32 s20, 0
	s_cselect_b32 s22, -1, 0
.LBB300_195:
	s_delay_alu instid0(SALU_CYCLE_1)
	s_and_not1_b32 vcc_lo, exec_lo, s22
	s_cbranch_vccnz .LBB300_197
; %bb.196:
	s_mov_b32 s20, s3
.LBB300_197:
	v_and_b32_e32 v6, 0xff, v4
	s_mov_b32 s21, 0
	s_mov_b32 s22, exec_lo
	s_delay_alu instid0(VALU_DEP_1)
	v_cmpx_lt_i16_e32 0x7f, v6
	s_xor_b32 s22, exec_lo, s22
	s_cbranch_execnz .LBB300_207
; %bb.198:
	s_or_saveexec_b32 s22, s22
	v_mov_b32_e32 v5, 0x7f800001
	s_xor_b32 exec_lo, exec_lo, s22
	s_cbranch_execnz .LBB300_210
.LBB300_199:
	s_or_b32 exec_lo, exec_lo, s22
	s_and_saveexec_b32 s22, s21
	s_cbranch_execz .LBB300_201
.LBB300_200:
	v_bfe_u32 v5, v2, 16, 3
	v_bfe_u32 v8, v2, 19, 4
	v_lshlrev_b32_e32 v9, 24, v4
	s_delay_alu instid0(VALU_DEP_3) | instskip(NEXT) | instid1(VALU_DEP_3)
	v_clz_i32_u32_e32 v6, v5
	v_cmp_eq_u32_e32 vcc_lo, 0, v8
	s_delay_alu instid0(VALU_DEP_2) | instskip(NEXT) | instid1(VALU_DEP_1)
	v_min_u32_e32 v6, 32, v6
	v_subrev_nc_u32_e32 v7, 28, v6
	s_delay_alu instid0(VALU_DEP_1) | instskip(NEXT) | instid1(VALU_DEP_1)
	v_dual_sub_nc_u32 v6, 29, v6 :: v_dual_lshlrev_b32 v7, v7, v4
	v_dual_cndmask_b32 v6, v8, v6, vcc_lo :: v_dual_bitop2_b32 v7, 7, v7 bitop3:0x40
	s_delay_alu instid0(VALU_DEP_1) | instskip(SKIP_1) | instid1(VALU_DEP_3)
	v_cndmask_b32_e32 v5, v5, v7, vcc_lo
	v_and_b32_e32 v7, 0x80000000, v9
	v_lshl_add_u32 v6, v6, 23, 0x3b800000
	s_delay_alu instid0(VALU_DEP_3) | instskip(NEXT) | instid1(VALU_DEP_1)
	v_lshlrev_b32_e32 v5, 20, v5
	v_or3_b32 v5, v7, v6, v5
.LBB300_201:
	s_or_b32 exec_lo, exec_lo, s22
	s_delay_alu instid0(VALU_DEP_1)
	v_cmp_neq_f32_e64 s20, s20, v5
.LBB300_202:
	v_cmp_ne_u32_e32 vcc_lo, 1, v1
	v_lshrrev_b32_e32 v4, 24, v2
	s_cbranch_vccnz .LBB300_485
.LBB300_203:
	s_and_b32 s22, s10, 0xff
	s_delay_alu instid0(SALU_CYCLE_1)
	s_cmp_lt_i32 s22, 0x80
	s_cbranch_scc1 .LBB300_211
; %bb.204:
	s_and_b32 s21, 0xffff, s22
	s_mov_b32 s23, -1
	s_cmp_eq_u32 s21, 0x80
	s_cbranch_scc0 .LBB300_206
; %bb.205:
	s_mov_b32 s23, 0
.LBB300_206:
	s_mov_b32 s21, 0x7f800001
	s_branch .LBB300_213
.LBB300_207:
	s_mov_b32 s21, -1
	s_mov_b32 s23, exec_lo
	v_cmpx_eq_u16_e32 0x80, v6
; %bb.208:
	s_xor_b32 s21, exec_lo, -1
; %bb.209:
	s_or_b32 exec_lo, exec_lo, s23
	s_delay_alu instid0(SALU_CYCLE_1)
	s_and_b32 s21, s21, exec_lo
                                        ; implicit-def: $vgpr6
	s_or_saveexec_b32 s22, s22
	v_mov_b32_e32 v5, 0x7f800001
	s_xor_b32 exec_lo, exec_lo, s22
	s_cbranch_execz .LBB300_199
.LBB300_210:
	v_cmp_ne_u16_e32 vcc_lo, 0, v6
	v_mov_b32_e32 v5, 0
	s_and_not1_b32 s21, s21, exec_lo
	s_and_b32 s23, vcc_lo, exec_lo
	s_delay_alu instid0(SALU_CYCLE_1)
	s_or_b32 s21, s21, s23
	s_or_b32 exec_lo, exec_lo, s22
	s_and_saveexec_b32 s22, s21
	s_cbranch_execnz .LBB300_200
	s_branch .LBB300_201
.LBB300_211:
	s_mov_b32 s23, 0
	s_mov_b32 s21, 0x7f800001
	s_cbranch_execz .LBB300_213
; %bb.212:
	s_and_b32 s21, 0xffff, s22
	s_delay_alu instid0(SALU_CYCLE_1)
	s_cmp_lg_u32 s21, 0
	s_mov_b32 s21, 0
	s_cselect_b32 s23, -1, 0
.LBB300_213:
	s_delay_alu instid0(SALU_CYCLE_1)
	s_and_not1_b32 vcc_lo, exec_lo, s23
	s_cbranch_vccnz .LBB300_215
; %bb.214:
	s_mov_b32 s21, s3
.LBB300_215:
	s_mov_b32 s22, 0
	s_mov_b32 s23, exec_lo
	v_cmpx_lt_i16_e32 0x7f, v4
	s_xor_b32 s23, exec_lo, s23
	s_cbranch_execnz .LBB300_225
; %bb.216:
	s_or_saveexec_b32 s23, s23
	v_mov_b32_e32 v5, 0x7f800001
	s_xor_b32 exec_lo, exec_lo, s23
	s_cbranch_execnz .LBB300_228
.LBB300_217:
	s_or_b32 exec_lo, exec_lo, s23
	s_and_saveexec_b32 s23, s22
	s_cbranch_execz .LBB300_219
.LBB300_218:
	v_bfe_u32 v5, v2, 24, 3
	v_bfe_u32 v8, v2, 27, 4
	s_delay_alu instid0(VALU_DEP_2) | instskip(NEXT) | instid1(VALU_DEP_2)
	v_clz_i32_u32_e32 v6, v5
	v_cmp_eq_u32_e32 vcc_lo, 0, v8
	s_delay_alu instid0(VALU_DEP_2) | instskip(NEXT) | instid1(VALU_DEP_1)
	v_min_u32_e32 v6, 32, v6
	v_subrev_nc_u32_e32 v7, 28, v6
	s_delay_alu instid0(VALU_DEP_1) | instskip(NEXT) | instid1(VALU_DEP_1)
	v_dual_sub_nc_u32 v6, 29, v6 :: v_dual_lshlrev_b32 v7, v7, v4
	v_dual_cndmask_b32 v6, v8, v6, vcc_lo :: v_dual_bitop2_b32 v7, 7, v7 bitop3:0x40
	s_delay_alu instid0(VALU_DEP_1) | instskip(NEXT) | instid1(VALU_DEP_2)
	v_lshl_add_u32 v6, v6, 23, 0x3b800000
	v_cndmask_b32_e32 v5, v5, v7, vcc_lo
	v_and_b32_e32 v7, 0x80000000, v2
	s_delay_alu instid0(VALU_DEP_2) | instskip(NEXT) | instid1(VALU_DEP_1)
	v_lshlrev_b32_e32 v5, 20, v5
	v_or3_b32 v5, v7, v6, v5
.LBB300_219:
	s_or_b32 exec_lo, exec_lo, s23
	s_delay_alu instid0(VALU_DEP_1)
	v_cmp_neq_f32_e64 s21, s21, v5
.LBB300_220:
	v_cmp_ne_u32_e32 vcc_lo, 1, v1
	s_cbranch_vccnz .LBB300_503
.LBB300_221:
	s_and_b32 s23, s10, 0xff
	s_delay_alu instid0(SALU_CYCLE_1)
	s_cmp_lt_i32 s23, 0x80
	s_cbranch_scc1 .LBB300_229
; %bb.222:
	s_and_b32 s22, 0xffff, s23
	s_mov_b32 s24, -1
	s_cmp_eq_u32 s22, 0x80
	s_cbranch_scc0 .LBB300_224
; %bb.223:
	s_mov_b32 s24, 0
.LBB300_224:
	s_mov_b32 s22, 0x7f800001
	s_branch .LBB300_231
.LBB300_225:
	s_mov_b32 s22, -1
	s_mov_b32 s24, exec_lo
	v_cmpx_eq_u16_e32 0x80, v4
; %bb.226:
	s_xor_b32 s22, exec_lo, -1
; %bb.227:
	s_or_b32 exec_lo, exec_lo, s24
	s_delay_alu instid0(SALU_CYCLE_1)
	s_and_b32 s22, s22, exec_lo
	s_or_saveexec_b32 s23, s23
	v_mov_b32_e32 v5, 0x7f800001
	s_xor_b32 exec_lo, exec_lo, s23
	s_cbranch_execz .LBB300_217
.LBB300_228:
	v_cmp_ne_u16_e32 vcc_lo, 0, v4
	v_mov_b32_e32 v5, 0
	s_and_not1_b32 s22, s22, exec_lo
	s_and_b32 s24, vcc_lo, exec_lo
	s_delay_alu instid0(SALU_CYCLE_1)
	s_or_b32 s22, s22, s24
	s_or_b32 exec_lo, exec_lo, s23
	s_and_saveexec_b32 s23, s22
	s_cbranch_execnz .LBB300_218
	s_branch .LBB300_219
.LBB300_229:
	s_mov_b32 s24, 0
	s_mov_b32 s22, 0x7f800001
	s_cbranch_execz .LBB300_231
; %bb.230:
	s_and_b32 s22, 0xffff, s23
	s_delay_alu instid0(SALU_CYCLE_1)
	s_cmp_lg_u32 s22, 0
	s_mov_b32 s22, 0
	s_cselect_b32 s24, -1, 0
.LBB300_231:
	s_delay_alu instid0(SALU_CYCLE_1)
	s_and_not1_b32 vcc_lo, exec_lo, s24
	s_cbranch_vccnz .LBB300_233
; %bb.232:
	s_mov_b32 s22, s3
.LBB300_233:
	v_and_b32_e32 v4, 0xff, v3
	s_mov_b32 s23, 0
	s_mov_b32 s24, exec_lo
	s_delay_alu instid0(VALU_DEP_1)
	v_cmpx_lt_i16_e32 0x7f, v4
	s_xor_b32 s24, exec_lo, s24
	s_cbranch_execnz .LBB300_243
; %bb.234:
	s_or_saveexec_b32 s24, s24
	v_mov_b32_e32 v2, 0x7f800001
	s_xor_b32 exec_lo, exec_lo, s24
	s_cbranch_execnz .LBB300_246
.LBB300_235:
	s_or_b32 exec_lo, exec_lo, s24
	s_and_saveexec_b32 s24, s23
	s_cbranch_execz .LBB300_237
.LBB300_236:
	v_and_b32_e32 v2, 7, v3
	v_bfe_u32 v6, v3, 3, 4
	s_delay_alu instid0(VALU_DEP_2) | instskip(NEXT) | instid1(VALU_DEP_2)
	v_clz_i32_u32_e32 v4, v2
	v_cmp_eq_u32_e32 vcc_lo, 0, v6
	s_delay_alu instid0(VALU_DEP_2) | instskip(NEXT) | instid1(VALU_DEP_1)
	v_min_u32_e32 v4, 32, v4
	v_subrev_nc_u32_e32 v5, 28, v4
	s_delay_alu instid0(VALU_DEP_1) | instskip(NEXT) | instid1(VALU_DEP_1)
	v_dual_lshlrev_b32 v5, v5, v3 :: v_dual_sub_nc_u32 v4, 29, v4
	v_dual_lshlrev_b32 v7, 24, v3 :: v_dual_bitop2_b32 v5, 7, v5 bitop3:0x40
	s_delay_alu instid0(VALU_DEP_2) | instskip(NEXT) | instid1(VALU_DEP_2)
	v_cndmask_b32_e32 v4, v6, v4, vcc_lo
	v_cndmask_b32_e32 v2, v2, v5, vcc_lo
	s_delay_alu instid0(VALU_DEP_3) | instskip(NEXT) | instid1(VALU_DEP_3)
	v_and_b32_e32 v5, 0x80000000, v7
	v_lshl_add_u32 v4, v4, 23, 0x3b800000
	s_delay_alu instid0(VALU_DEP_3) | instskip(NEXT) | instid1(VALU_DEP_1)
	v_lshlrev_b32_e32 v2, 20, v2
	v_or3_b32 v2, v5, v4, v2
.LBB300_237:
	s_or_b32 exec_lo, exec_lo, s24
	s_delay_alu instid0(VALU_DEP_1)
	v_cmp_neq_f32_e64 s22, s22, v2
.LBB300_238:
	v_cmp_ne_u32_e32 vcc_lo, 1, v1
	v_lshrrev_b32_e32 v2, 8, v3
	s_cbranch_vccnz .LBB300_521
.LBB300_239:
	s_and_b32 s24, s10, 0xff
	s_delay_alu instid0(SALU_CYCLE_1)
	s_cmp_lt_i32 s24, 0x80
	s_cbranch_scc1 .LBB300_247
; %bb.240:
	s_and_b32 s23, 0xffff, s24
	s_mov_b32 s25, -1
	s_cmp_eq_u32 s23, 0x80
	s_cbranch_scc0 .LBB300_242
; %bb.241:
	s_mov_b32 s25, 0
.LBB300_242:
	s_mov_b32 s23, 0x7f800001
	s_branch .LBB300_249
.LBB300_243:
	s_mov_b32 s23, -1
	s_mov_b32 s25, exec_lo
	v_cmpx_eq_u16_e32 0x80, v4
; %bb.244:
	s_xor_b32 s23, exec_lo, -1
; %bb.245:
	s_or_b32 exec_lo, exec_lo, s25
	s_delay_alu instid0(SALU_CYCLE_1)
	s_and_b32 s23, s23, exec_lo
                                        ; implicit-def: $vgpr4
	s_or_saveexec_b32 s24, s24
	v_mov_b32_e32 v2, 0x7f800001
	s_xor_b32 exec_lo, exec_lo, s24
	s_cbranch_execz .LBB300_235
.LBB300_246:
	v_cmp_ne_u16_e32 vcc_lo, 0, v4
	v_mov_b32_e32 v2, 0
	s_and_not1_b32 s23, s23, exec_lo
	s_and_b32 s25, vcc_lo, exec_lo
	s_delay_alu instid0(SALU_CYCLE_1)
	s_or_b32 s23, s23, s25
	s_or_b32 exec_lo, exec_lo, s24
	s_and_saveexec_b32 s24, s23
	s_cbranch_execnz .LBB300_236
	s_branch .LBB300_237
.LBB300_247:
	s_mov_b32 s25, 0
	s_mov_b32 s23, 0x7f800001
	s_cbranch_execz .LBB300_249
; %bb.248:
	s_and_b32 s23, 0xffff, s24
	s_delay_alu instid0(SALU_CYCLE_1)
	s_cmp_lg_u32 s23, 0
	s_mov_b32 s23, 0
	s_cselect_b32 s25, -1, 0
.LBB300_249:
	s_delay_alu instid0(SALU_CYCLE_1)
	s_and_not1_b32 vcc_lo, exec_lo, s25
	s_cbranch_vccnz .LBB300_251
; %bb.250:
	s_mov_b32 s23, s3
.LBB300_251:
	v_and_b32_e32 v5, 0xff, v2
	s_mov_b32 s24, 0
	s_mov_b32 s25, exec_lo
	s_delay_alu instid0(VALU_DEP_1)
	v_cmpx_lt_i16_e32 0x7f, v5
	s_xor_b32 s25, exec_lo, s25
	s_cbranch_execnz .LBB300_261
; %bb.252:
	s_or_saveexec_b32 s25, s25
	v_mov_b32_e32 v4, 0x7f800001
	s_xor_b32 exec_lo, exec_lo, s25
	s_cbranch_execnz .LBB300_264
.LBB300_253:
	s_or_b32 exec_lo, exec_lo, s25
	s_and_saveexec_b32 s25, s24
	s_cbranch_execz .LBB300_255
.LBB300_254:
	v_bfe_u32 v4, v3, 8, 3
	v_bfe_u32 v7, v3, 11, 4
	s_delay_alu instid0(VALU_DEP_2) | instskip(NEXT) | instid1(VALU_DEP_2)
	v_clz_i32_u32_e32 v5, v4
	v_cmp_eq_u32_e32 vcc_lo, 0, v7
	s_delay_alu instid0(VALU_DEP_2) | instskip(NEXT) | instid1(VALU_DEP_1)
	v_min_u32_e32 v5, 32, v5
	v_subrev_nc_u32_e32 v6, 28, v5
	s_delay_alu instid0(VALU_DEP_1) | instskip(NEXT) | instid1(VALU_DEP_1)
	v_dual_sub_nc_u32 v5, 29, v5 :: v_dual_lshlrev_b32 v6, v6, v2
	v_dual_cndmask_b32 v5, v7, v5, vcc_lo :: v_dual_bitop2_b32 v6, 7, v6 bitop3:0x40
	s_delay_alu instid0(VALU_DEP_1) | instskip(NEXT) | instid1(VALU_DEP_2)
	v_lshl_add_u32 v5, v5, 23, 0x3b800000
	v_cndmask_b32_e32 v4, v4, v6, vcc_lo
	s_delay_alu instid0(VALU_DEP_1) | instskip(NEXT) | instid1(VALU_DEP_1)
	v_dual_lshlrev_b32 v8, 24, v2 :: v_dual_lshlrev_b32 v4, 20, v4
	v_and_b32_e32 v6, 0x80000000, v8
	s_delay_alu instid0(VALU_DEP_1)
	v_or3_b32 v4, v6, v5, v4
.LBB300_255:
	s_or_b32 exec_lo, exec_lo, s25
	s_delay_alu instid0(VALU_DEP_1)
	v_cmp_neq_f32_e64 s23, s23, v4
.LBB300_256:
	v_cmp_ne_u32_e32 vcc_lo, 1, v1
	v_lshrrev_b32_e32 v2, 16, v3
	s_cbranch_vccnz .LBB300_539
.LBB300_257:
	s_and_b32 s25, s10, 0xff
	s_delay_alu instid0(SALU_CYCLE_1)
	s_cmp_lt_i32 s25, 0x80
	s_cbranch_scc1 .LBB300_265
; %bb.258:
	s_and_b32 s24, 0xffff, s25
	s_mov_b32 s26, -1
	s_cmp_eq_u32 s24, 0x80
	s_cbranch_scc0 .LBB300_260
; %bb.259:
	s_mov_b32 s26, 0
.LBB300_260:
	s_mov_b32 s24, 0x7f800001
	s_branch .LBB300_267
.LBB300_261:
	s_mov_b32 s24, -1
	s_mov_b32 s26, exec_lo
	v_cmpx_eq_u16_e32 0x80, v5
; %bb.262:
	s_xor_b32 s24, exec_lo, -1
; %bb.263:
	s_or_b32 exec_lo, exec_lo, s26
	s_delay_alu instid0(SALU_CYCLE_1)
	s_and_b32 s24, s24, exec_lo
                                        ; implicit-def: $vgpr5
	s_or_saveexec_b32 s25, s25
	v_mov_b32_e32 v4, 0x7f800001
	s_xor_b32 exec_lo, exec_lo, s25
	s_cbranch_execz .LBB300_253
.LBB300_264:
	v_cmp_ne_u16_e32 vcc_lo, 0, v5
	v_mov_b32_e32 v4, 0
	s_and_not1_b32 s24, s24, exec_lo
	s_and_b32 s26, vcc_lo, exec_lo
	s_delay_alu instid0(SALU_CYCLE_1)
	s_or_b32 s24, s24, s26
	s_or_b32 exec_lo, exec_lo, s25
	s_and_saveexec_b32 s25, s24
	s_cbranch_execnz .LBB300_254
	s_branch .LBB300_255
.LBB300_265:
	s_mov_b32 s26, 0
	s_mov_b32 s24, 0x7f800001
	s_cbranch_execz .LBB300_267
; %bb.266:
	s_and_b32 s24, 0xffff, s25
	s_delay_alu instid0(SALU_CYCLE_1)
	s_cmp_lg_u32 s24, 0
	s_mov_b32 s24, 0
	s_cselect_b32 s26, -1, 0
.LBB300_267:
	s_delay_alu instid0(SALU_CYCLE_1)
	s_and_not1_b32 vcc_lo, exec_lo, s26
	s_cbranch_vccnz .LBB300_269
; %bb.268:
	s_mov_b32 s24, s3
.LBB300_269:
	v_and_b32_e32 v5, 0xff, v2
	s_mov_b32 s25, 0
	s_mov_b32 s26, exec_lo
	s_delay_alu instid0(VALU_DEP_1)
	v_cmpx_lt_i16_e32 0x7f, v5
	s_xor_b32 s26, exec_lo, s26
	s_cbranch_execnz .LBB300_279
; %bb.270:
	s_or_saveexec_b32 s26, s26
	v_mov_b32_e32 v4, 0x7f800001
	s_xor_b32 exec_lo, exec_lo, s26
	s_cbranch_execnz .LBB300_282
.LBB300_271:
	s_or_b32 exec_lo, exec_lo, s26
	s_and_saveexec_b32 s26, s25
	s_cbranch_execz .LBB300_273
.LBB300_272:
	v_bfe_u32 v4, v3, 16, 3
	v_bfe_u32 v7, v3, 19, 4
	s_delay_alu instid0(VALU_DEP_2) | instskip(NEXT) | instid1(VALU_DEP_2)
	v_clz_i32_u32_e32 v5, v4
	v_cmp_eq_u32_e32 vcc_lo, 0, v7
	s_delay_alu instid0(VALU_DEP_2) | instskip(NEXT) | instid1(VALU_DEP_1)
	v_min_u32_e32 v5, 32, v5
	v_subrev_nc_u32_e32 v6, 28, v5
	s_delay_alu instid0(VALU_DEP_1) | instskip(NEXT) | instid1(VALU_DEP_1)
	v_dual_sub_nc_u32 v5, 29, v5 :: v_dual_lshlrev_b32 v6, v6, v2
	v_dual_cndmask_b32 v5, v7, v5, vcc_lo :: v_dual_bitop2_b32 v6, 7, v6 bitop3:0x40
	s_delay_alu instid0(VALU_DEP_1) | instskip(NEXT) | instid1(VALU_DEP_2)
	v_lshl_add_u32 v5, v5, 23, 0x3b800000
	v_cndmask_b32_e32 v4, v4, v6, vcc_lo
	s_delay_alu instid0(VALU_DEP_1) | instskip(NEXT) | instid1(VALU_DEP_1)
	v_dual_lshlrev_b32 v8, 24, v2 :: v_dual_lshlrev_b32 v4, 20, v4
	v_and_b32_e32 v6, 0x80000000, v8
	s_delay_alu instid0(VALU_DEP_1)
	v_or3_b32 v4, v6, v5, v4
.LBB300_273:
	s_or_b32 exec_lo, exec_lo, s26
	s_delay_alu instid0(VALU_DEP_1)
	v_cmp_neq_f32_e64 s24, s24, v4
.LBB300_274:
	v_cmp_ne_u32_e32 vcc_lo, 1, v1
	v_lshrrev_b32_e32 v1, 24, v3
	s_cbranch_vccnz .LBB300_557
.LBB300_275:
	s_and_b32 s26, s10, 0xff
	s_delay_alu instid0(SALU_CYCLE_1)
	s_cmp_lt_i32 s26, 0x80
	s_cbranch_scc1 .LBB300_283
; %bb.276:
	s_and_b32 s25, 0xffff, s26
	s_mov_b32 s27, -1
	s_cmp_eq_u32 s25, 0x80
	s_cbranch_scc0 .LBB300_278
; %bb.277:
	s_mov_b32 s27, 0
.LBB300_278:
	s_mov_b32 s25, 0x7f800001
	s_branch .LBB300_285
.LBB300_279:
	s_mov_b32 s25, -1
	s_mov_b32 s27, exec_lo
	v_cmpx_eq_u16_e32 0x80, v5
; %bb.280:
	s_xor_b32 s25, exec_lo, -1
; %bb.281:
	s_or_b32 exec_lo, exec_lo, s27
	s_delay_alu instid0(SALU_CYCLE_1)
	s_and_b32 s25, s25, exec_lo
                                        ; implicit-def: $vgpr5
	s_or_saveexec_b32 s26, s26
	v_mov_b32_e32 v4, 0x7f800001
	s_xor_b32 exec_lo, exec_lo, s26
	s_cbranch_execz .LBB300_271
.LBB300_282:
	v_cmp_ne_u16_e32 vcc_lo, 0, v5
	v_mov_b32_e32 v4, 0
	s_and_not1_b32 s25, s25, exec_lo
	s_and_b32 s27, vcc_lo, exec_lo
	s_delay_alu instid0(SALU_CYCLE_1)
	s_or_b32 s25, s25, s27
	s_or_b32 exec_lo, exec_lo, s26
	s_and_saveexec_b32 s26, s25
	s_cbranch_execnz .LBB300_272
	s_branch .LBB300_273
.LBB300_283:
	s_mov_b32 s27, 0
	s_mov_b32 s25, 0x7f800001
	s_cbranch_execz .LBB300_285
; %bb.284:
	s_and_b32 s25, 0xffff, s26
	s_delay_alu instid0(SALU_CYCLE_1)
	s_cmp_lg_u32 s25, 0
	s_mov_b32 s25, 0
	s_cselect_b32 s27, -1, 0
.LBB300_285:
	s_delay_alu instid0(SALU_CYCLE_1)
	s_and_not1_b32 vcc_lo, exec_lo, s27
	s_cbranch_vccnz .LBB300_287
; %bb.286:
	s_mov_b32 s25, s3
.LBB300_287:
	s_mov_b32 s26, 0
	s_mov_b32 s27, exec_lo
	v_cmpx_lt_i16_e32 0x7f, v1
	s_xor_b32 s27, exec_lo, s27
	s_cbranch_execnz .LBB300_292
; %bb.288:
	s_or_saveexec_b32 s27, s27
	v_mov_b32_e32 v2, 0x7f800001
	s_xor_b32 exec_lo, exec_lo, s27
	s_cbranch_execnz .LBB300_295
.LBB300_289:
	s_or_b32 exec_lo, exec_lo, s27
	s_and_saveexec_b32 s27, s26
	s_cbranch_execz .LBB300_291
.LBB300_290:
	v_bfe_u32 v2, v3, 24, 3
	v_bfe_u32 v6, v3, 27, 4
	s_delay_alu instid0(VALU_DEP_2) | instskip(NEXT) | instid1(VALU_DEP_2)
	v_clz_i32_u32_e32 v4, v2
	v_cmp_eq_u32_e32 vcc_lo, 0, v6
	s_delay_alu instid0(VALU_DEP_2) | instskip(NEXT) | instid1(VALU_DEP_1)
	v_min_u32_e32 v4, 32, v4
	v_subrev_nc_u32_e32 v5, 28, v4
	s_delay_alu instid0(VALU_DEP_1) | instskip(NEXT) | instid1(VALU_DEP_1)
	v_dual_sub_nc_u32 v4, 29, v4 :: v_dual_lshlrev_b32 v5, v5, v1
	v_dual_cndmask_b32 v4, v6, v4, vcc_lo :: v_dual_bitop2_b32 v5, 7, v5 bitop3:0x40
	s_delay_alu instid0(VALU_DEP_1) | instskip(NEXT) | instid1(VALU_DEP_2)
	v_lshl_add_u32 v4, v4, 23, 0x3b800000
	v_cndmask_b32_e32 v2, v2, v5, vcc_lo
	v_and_b32_e32 v5, 0x80000000, v3
	s_delay_alu instid0(VALU_DEP_2) | instskip(NEXT) | instid1(VALU_DEP_1)
	v_lshlrev_b32_e32 v2, 20, v2
	v_or3_b32 v2, v5, v4, v2
.LBB300_291:
	s_or_b32 exec_lo, exec_lo, s27
	s_delay_alu instid0(VALU_DEP_1)
	v_cmp_neq_f32_e64 s25, s25, v2
	s_branch .LBB300_575
.LBB300_292:
	s_mov_b32 s26, -1
	s_mov_b32 s28, exec_lo
	v_cmpx_eq_u16_e32 0x80, v1
; %bb.293:
	s_xor_b32 s26, exec_lo, -1
; %bb.294:
	s_or_b32 exec_lo, exec_lo, s28
	s_delay_alu instid0(SALU_CYCLE_1)
	s_and_b32 s26, s26, exec_lo
	s_or_saveexec_b32 s27, s27
	v_mov_b32_e32 v2, 0x7f800001
	s_xor_b32 exec_lo, exec_lo, s27
	s_cbranch_execz .LBB300_289
.LBB300_295:
	v_cmp_ne_u16_e32 vcc_lo, 0, v1
	v_mov_b32_e32 v2, 0
	s_and_not1_b32 s26, s26, exec_lo
	s_and_b32 s28, vcc_lo, exec_lo
	s_delay_alu instid0(SALU_CYCLE_1)
	s_or_b32 s26, s26, s28
	s_or_b32 exec_lo, exec_lo, s27
	s_and_saveexec_b32 s27, s26
	s_cbranch_execnz .LBB300_290
	s_branch .LBB300_291
.LBB300_296:
	s_mov_b32 s13, 0
	s_mov_b32 s8, 0x7f800001
	s_cbranch_execz .LBB300_298
; %bb.297:
	s_and_b32 s8, 0xffff, s12
	s_delay_alu instid0(SALU_CYCLE_1)
	s_cmp_lg_u32 s8, 0
	s_mov_b32 s8, 0
	s_cselect_b32 s13, -1, 0
.LBB300_298:
	s_delay_alu instid0(SALU_CYCLE_1)
	s_and_not1_b32 vcc_lo, exec_lo, s13
	s_cbranch_vccnz .LBB300_300
; %bb.299:
	s_mov_b32 s8, s3
.LBB300_300:
	s_wait_loadcnt 0x1
	v_and_b32_e32 v6, 0xff, v4
	s_mov_b32 s12, 0
	s_mov_b32 s13, exec_lo
	s_delay_alu instid0(VALU_DEP_1)
	v_cmpx_lt_i16_e32 0x7f, v6
	s_xor_b32 s13, exec_lo, s13
	s_cbranch_execnz .LBB300_310
; %bb.301:
	s_or_saveexec_b32 s13, s13
	v_mov_b32_e32 v1, 0x7f800001
	s_xor_b32 exec_lo, exec_lo, s13
	s_cbranch_execnz .LBB300_313
.LBB300_302:
	s_or_b32 exec_lo, exec_lo, s13
	s_and_saveexec_b32 s13, s12
	s_cbranch_execz .LBB300_304
.LBB300_303:
	v_and_b32_e32 v1, 7, v4
	v_bfe_u32 v8, v4, 3, 4
	s_delay_alu instid0(VALU_DEP_2) | instskip(NEXT) | instid1(VALU_DEP_2)
	v_clz_i32_u32_e32 v6, v1
	v_cmp_eq_u32_e32 vcc_lo, 0, v8
	s_delay_alu instid0(VALU_DEP_2) | instskip(NEXT) | instid1(VALU_DEP_1)
	v_min_u32_e32 v6, 32, v6
	v_subrev_nc_u32_e32 v7, 28, v6
	s_delay_alu instid0(VALU_DEP_1) | instskip(NEXT) | instid1(VALU_DEP_1)
	v_dual_lshlrev_b32 v7, v7, v4 :: v_dual_sub_nc_u32 v6, 29, v6
	v_dual_lshlrev_b32 v9, 24, v4 :: v_dual_bitop2_b32 v7, 7, v7 bitop3:0x40
	s_delay_alu instid0(VALU_DEP_1) | instskip(NEXT) | instid1(VALU_DEP_2)
	v_dual_cndmask_b32 v6, v8, v6 :: v_dual_cndmask_b32 v1, v1, v7
	v_and_b32_e32 v7, 0x80000000, v9
	s_delay_alu instid0(VALU_DEP_2) | instskip(NEXT) | instid1(VALU_DEP_3)
	v_lshl_add_u32 v6, v6, 23, 0x3b800000
	v_lshlrev_b32_e32 v1, 20, v1
	s_delay_alu instid0(VALU_DEP_1)
	v_or3_b32 v1, v7, v6, v1
.LBB300_304:
	s_or_b32 exec_lo, exec_lo, s13
	s_delay_alu instid0(VALU_DEP_1)
	v_cmp_eq_f32_e64 s8, s8, v1
	v_cndmask_b32_e64 v1, 0, 1, s11
	v_lshrrev_b32_e32 v6, 8, v4
	s_and_not1_b32 vcc_lo, exec_lo, s11
	s_cbranch_vccz .LBB300_10
.LBB300_305:
                                        ; implicit-def: $sgpr11
	s_cbranch_execz .LBB300_36
; %bb.306:
	s_and_b32 s12, s10, 0xff
	s_delay_alu instid0(SALU_CYCLE_1)
	s_cmp_lt_i32 s12, 0x80
	s_cbranch_scc1 .LBB300_314
; %bb.307:
	s_and_b32 s11, 0xffff, s12
	s_mov_b32 s13, -1
	s_cmp_eq_u32 s11, 0x80
	s_cbranch_scc0 .LBB300_309
; %bb.308:
	s_mov_b32 s13, 0
.LBB300_309:
	s_mov_b32 s11, 0x7f800001
	s_branch .LBB300_316
.LBB300_310:
	s_mov_b32 s12, -1
	s_mov_b32 s14, exec_lo
	v_cmpx_eq_u16_e32 0x80, v6
; %bb.311:
	s_xor_b32 s12, exec_lo, -1
; %bb.312:
	s_or_b32 exec_lo, exec_lo, s14
	s_delay_alu instid0(SALU_CYCLE_1)
	s_and_b32 s12, s12, exec_lo
                                        ; implicit-def: $vgpr6
	s_or_saveexec_b32 s13, s13
	v_mov_b32_e32 v1, 0x7f800001
	s_xor_b32 exec_lo, exec_lo, s13
	s_cbranch_execz .LBB300_302
.LBB300_313:
	v_cmp_ne_u16_e32 vcc_lo, 0, v6
	v_mov_b32_e32 v1, 0
	s_and_not1_b32 s12, s12, exec_lo
	s_and_b32 s14, vcc_lo, exec_lo
	s_delay_alu instid0(SALU_CYCLE_1)
	s_or_b32 s12, s12, s14
	s_or_b32 exec_lo, exec_lo, s13
	s_and_saveexec_b32 s13, s12
	s_cbranch_execnz .LBB300_303
	s_branch .LBB300_304
.LBB300_314:
	s_mov_b32 s13, 0
	s_mov_b32 s11, 0x7f800001
	s_cbranch_execz .LBB300_316
; %bb.315:
	s_and_b32 s11, 0xffff, s12
	s_delay_alu instid0(SALU_CYCLE_1)
	s_cmp_lg_u32 s11, 0
	s_mov_b32 s11, 0
	s_cselect_b32 s13, -1, 0
.LBB300_316:
	s_delay_alu instid0(SALU_CYCLE_1)
	s_and_not1_b32 vcc_lo, exec_lo, s13
	s_cbranch_vccnz .LBB300_318
; %bb.317:
	s_mov_b32 s11, s3
.LBB300_318:
	v_and_b32_e32 v8, 0xff, v6
	s_mov_b32 s12, 0
	s_mov_b32 s13, exec_lo
	s_delay_alu instid0(VALU_DEP_1)
	v_cmpx_lt_i16_e32 0x7f, v8
	s_xor_b32 s13, exec_lo, s13
	s_cbranch_execnz .LBB300_328
; %bb.319:
	s_or_saveexec_b32 s13, s13
	v_mov_b32_e32 v7, 0x7f800001
	s_xor_b32 exec_lo, exec_lo, s13
	s_cbranch_execnz .LBB300_331
.LBB300_320:
	s_or_b32 exec_lo, exec_lo, s13
	s_and_saveexec_b32 s13, s12
	s_cbranch_execz .LBB300_322
.LBB300_321:
	v_bfe_u32 v7, v4, 8, 3
	v_bfe_u32 v10, v4, 11, 4
	s_delay_alu instid0(VALU_DEP_2) | instskip(NEXT) | instid1(VALU_DEP_2)
	v_clz_i32_u32_e32 v8, v7
	v_cmp_eq_u32_e32 vcc_lo, 0, v10
	s_delay_alu instid0(VALU_DEP_2) | instskip(NEXT) | instid1(VALU_DEP_1)
	v_min_u32_e32 v8, 32, v8
	v_subrev_nc_u32_e32 v9, 28, v8
	s_delay_alu instid0(VALU_DEP_1) | instskip(NEXT) | instid1(VALU_DEP_1)
	v_dual_sub_nc_u32 v8, 29, v8 :: v_dual_lshlrev_b32 v9, v9, v6
	v_dual_lshlrev_b32 v6, 24, v6 :: v_dual_bitop2_b32 v9, 7, v9 bitop3:0x40
	s_delay_alu instid0(VALU_DEP_2) | instskip(NEXT) | instid1(VALU_DEP_2)
	v_cndmask_b32_e32 v8, v10, v8, vcc_lo
	v_and_b32_e32 v6, 0x80000000, v6
	s_delay_alu instid0(VALU_DEP_3) | instskip(NEXT) | instid1(VALU_DEP_3)
	v_cndmask_b32_e32 v7, v7, v9, vcc_lo
	v_lshl_add_u32 v8, v8, 23, 0x3b800000
	s_delay_alu instid0(VALU_DEP_2) | instskip(NEXT) | instid1(VALU_DEP_1)
	v_lshlrev_b32_e32 v7, 20, v7
	v_or3_b32 v7, v6, v8, v7
.LBB300_322:
	s_or_b32 exec_lo, exec_lo, s13
	s_delay_alu instid0(VALU_DEP_1)
	v_cmp_eq_f32_e64 s11, s11, v7
	v_cmp_ne_u32_e32 vcc_lo, 1, v1
	v_lshrrev_b32_e32 v6, 16, v4
	s_cbranch_vccz .LBB300_37
.LBB300_323:
                                        ; implicit-def: $sgpr12
	s_cbranch_execz .LBB300_58
; %bb.324:
	s_and_b32 s13, s10, 0xff
	s_delay_alu instid0(SALU_CYCLE_1)
	s_cmp_lt_i32 s13, 0x80
	s_cbranch_scc1 .LBB300_332
; %bb.325:
	s_and_b32 s12, 0xffff, s13
	s_mov_b32 s14, -1
	s_cmp_eq_u32 s12, 0x80
	s_cbranch_scc0 .LBB300_327
; %bb.326:
	s_mov_b32 s14, 0
.LBB300_327:
	s_mov_b32 s12, 0x7f800001
	s_branch .LBB300_334
.LBB300_328:
	s_mov_b32 s12, -1
	s_mov_b32 s14, exec_lo
	v_cmpx_eq_u16_e32 0x80, v8
; %bb.329:
	s_xor_b32 s12, exec_lo, -1
; %bb.330:
	s_or_b32 exec_lo, exec_lo, s14
	s_delay_alu instid0(SALU_CYCLE_1)
	s_and_b32 s12, s12, exec_lo
                                        ; implicit-def: $vgpr8
	s_or_saveexec_b32 s13, s13
	v_mov_b32_e32 v7, 0x7f800001
	s_xor_b32 exec_lo, exec_lo, s13
	s_cbranch_execz .LBB300_320
.LBB300_331:
	v_cmp_ne_u16_e32 vcc_lo, 0, v8
	v_mov_b32_e32 v7, 0
	s_and_not1_b32 s12, s12, exec_lo
	s_and_b32 s14, vcc_lo, exec_lo
	s_delay_alu instid0(SALU_CYCLE_1)
	s_or_b32 s12, s12, s14
	s_or_b32 exec_lo, exec_lo, s13
	s_and_saveexec_b32 s13, s12
	s_cbranch_execnz .LBB300_321
	s_branch .LBB300_322
.LBB300_332:
	s_mov_b32 s14, 0
	s_mov_b32 s12, 0x7f800001
	s_cbranch_execz .LBB300_334
; %bb.333:
	s_and_b32 s12, 0xffff, s13
	s_delay_alu instid0(SALU_CYCLE_1)
	s_cmp_lg_u32 s12, 0
	s_mov_b32 s12, 0
	s_cselect_b32 s14, -1, 0
.LBB300_334:
	s_delay_alu instid0(SALU_CYCLE_1)
	s_and_not1_b32 vcc_lo, exec_lo, s14
	s_cbranch_vccnz .LBB300_336
; %bb.335:
	s_mov_b32 s12, s3
.LBB300_336:
	v_and_b32_e32 v8, 0xff, v6
	s_mov_b32 s13, 0
	s_mov_b32 s14, exec_lo
	s_delay_alu instid0(VALU_DEP_1)
	v_cmpx_lt_i16_e32 0x7f, v8
	s_xor_b32 s14, exec_lo, s14
	s_cbranch_execnz .LBB300_346
; %bb.337:
	s_or_saveexec_b32 s14, s14
	v_mov_b32_e32 v7, 0x7f800001
	s_xor_b32 exec_lo, exec_lo, s14
	s_cbranch_execnz .LBB300_349
.LBB300_338:
	s_or_b32 exec_lo, exec_lo, s14
	s_and_saveexec_b32 s14, s13
	s_cbranch_execz .LBB300_340
.LBB300_339:
	v_bfe_u32 v7, v4, 16, 3
	v_bfe_u32 v10, v4, 19, 4
	s_delay_alu instid0(VALU_DEP_2) | instskip(NEXT) | instid1(VALU_DEP_2)
	v_clz_i32_u32_e32 v8, v7
	v_cmp_eq_u32_e32 vcc_lo, 0, v10
	s_delay_alu instid0(VALU_DEP_2) | instskip(NEXT) | instid1(VALU_DEP_1)
	v_min_u32_e32 v8, 32, v8
	v_subrev_nc_u32_e32 v9, 28, v8
	s_delay_alu instid0(VALU_DEP_1) | instskip(NEXT) | instid1(VALU_DEP_1)
	v_dual_sub_nc_u32 v8, 29, v8 :: v_dual_lshlrev_b32 v9, v9, v6
	v_dual_lshlrev_b32 v6, 24, v6 :: v_dual_bitop2_b32 v9, 7, v9 bitop3:0x40
	s_delay_alu instid0(VALU_DEP_2) | instskip(NEXT) | instid1(VALU_DEP_2)
	v_cndmask_b32_e32 v8, v10, v8, vcc_lo
	v_and_b32_e32 v6, 0x80000000, v6
	s_delay_alu instid0(VALU_DEP_3) | instskip(NEXT) | instid1(VALU_DEP_3)
	v_cndmask_b32_e32 v7, v7, v9, vcc_lo
	v_lshl_add_u32 v8, v8, 23, 0x3b800000
	s_delay_alu instid0(VALU_DEP_2) | instskip(NEXT) | instid1(VALU_DEP_1)
	v_lshlrev_b32_e32 v7, 20, v7
	v_or3_b32 v7, v6, v8, v7
.LBB300_340:
	s_or_b32 exec_lo, exec_lo, s14
	s_delay_alu instid0(VALU_DEP_1)
	v_cmp_eq_f32_e64 s12, s12, v7
	v_cmp_ne_u32_e32 vcc_lo, 1, v1
	v_lshrrev_b32_e32 v6, 24, v4
	s_cbranch_vccz .LBB300_59
.LBB300_341:
                                        ; implicit-def: $sgpr13
	s_cbranch_execz .LBB300_76
; %bb.342:
	s_and_b32 s14, s10, 0xff
	s_delay_alu instid0(SALU_CYCLE_1)
	s_cmp_lt_i32 s14, 0x80
	s_cbranch_scc1 .LBB300_350
; %bb.343:
	s_and_b32 s13, 0xffff, s14
	s_mov_b32 s15, -1
	s_cmp_eq_u32 s13, 0x80
	s_cbranch_scc0 .LBB300_345
; %bb.344:
	s_mov_b32 s15, 0
.LBB300_345:
	s_mov_b32 s13, 0x7f800001
	s_branch .LBB300_352
.LBB300_346:
	s_mov_b32 s13, -1
	s_mov_b32 s15, exec_lo
	v_cmpx_eq_u16_e32 0x80, v8
; %bb.347:
	s_xor_b32 s13, exec_lo, -1
; %bb.348:
	s_or_b32 exec_lo, exec_lo, s15
	s_delay_alu instid0(SALU_CYCLE_1)
	s_and_b32 s13, s13, exec_lo
                                        ; implicit-def: $vgpr8
	s_or_saveexec_b32 s14, s14
	v_mov_b32_e32 v7, 0x7f800001
	s_xor_b32 exec_lo, exec_lo, s14
	s_cbranch_execz .LBB300_338
.LBB300_349:
	v_cmp_ne_u16_e32 vcc_lo, 0, v8
	v_mov_b32_e32 v7, 0
	s_and_not1_b32 s13, s13, exec_lo
	s_and_b32 s15, vcc_lo, exec_lo
	s_delay_alu instid0(SALU_CYCLE_1)
	s_or_b32 s13, s13, s15
	s_or_b32 exec_lo, exec_lo, s14
	s_and_saveexec_b32 s14, s13
	s_cbranch_execnz .LBB300_339
	s_branch .LBB300_340
.LBB300_350:
	s_mov_b32 s15, 0
	s_mov_b32 s13, 0x7f800001
	s_cbranch_execz .LBB300_352
; %bb.351:
	s_and_b32 s13, 0xffff, s14
	s_delay_alu instid0(SALU_CYCLE_1)
	s_cmp_lg_u32 s13, 0
	s_mov_b32 s13, 0
	s_cselect_b32 s15, -1, 0
.LBB300_352:
	s_delay_alu instid0(SALU_CYCLE_1)
	s_and_not1_b32 vcc_lo, exec_lo, s15
	s_cbranch_vccnz .LBB300_354
; %bb.353:
	s_mov_b32 s13, s3
.LBB300_354:
	s_mov_b32 s14, 0
	s_mov_b32 s15, exec_lo
	v_cmpx_lt_i16_e32 0x7f, v6
	s_xor_b32 s15, exec_lo, s15
	s_cbranch_execnz .LBB300_364
; %bb.355:
	s_or_saveexec_b32 s15, s15
	v_mov_b32_e32 v7, 0x7f800001
	s_xor_b32 exec_lo, exec_lo, s15
	s_cbranch_execnz .LBB300_367
.LBB300_356:
	s_or_b32 exec_lo, exec_lo, s15
	s_and_saveexec_b32 s15, s14
	s_cbranch_execz .LBB300_358
.LBB300_357:
	v_bfe_u32 v7, v4, 24, 3
	s_delay_alu instid0(VALU_DEP_1) | instskip(NEXT) | instid1(VALU_DEP_1)
	v_clz_i32_u32_e32 v8, v7
	v_min_u32_e32 v8, 32, v8
	s_delay_alu instid0(VALU_DEP_1) | instskip(NEXT) | instid1(VALU_DEP_1)
	v_subrev_nc_u32_e32 v9, 28, v8
	v_dual_sub_nc_u32 v8, 29, v8 :: v_dual_lshlrev_b32 v6, v9, v6
	v_bfe_u32 v9, v4, 27, 4
	v_and_b32_e32 v4, 0x80000000, v4
	s_delay_alu instid0(VALU_DEP_2) | instskip(NEXT) | instid1(VALU_DEP_4)
	v_cmp_eq_u32_e32 vcc_lo, 0, v9
	v_dual_cndmask_b32 v8, v9, v8, vcc_lo :: v_dual_bitop2_b32 v6, 7, v6 bitop3:0x40
	s_delay_alu instid0(VALU_DEP_1) | instskip(NEXT) | instid1(VALU_DEP_2)
	v_cndmask_b32_e32 v6, v7, v6, vcc_lo
	v_lshl_add_u32 v7, v8, 23, 0x3b800000
	s_delay_alu instid0(VALU_DEP_2) | instskip(NEXT) | instid1(VALU_DEP_1)
	v_lshlrev_b32_e32 v6, 20, v6
	v_or3_b32 v7, v4, v7, v6
.LBB300_358:
	s_or_b32 exec_lo, exec_lo, s15
	s_delay_alu instid0(VALU_DEP_1)
	v_cmp_eq_f32_e64 s13, s13, v7
	v_cmp_ne_u32_e32 vcc_lo, 1, v1
	s_cbranch_vccz .LBB300_77
.LBB300_359:
                                        ; implicit-def: $sgpr14
	s_cbranch_execz .LBB300_94
; %bb.360:
	s_and_b32 s15, s10, 0xff
	s_delay_alu instid0(SALU_CYCLE_1)
	s_cmp_lt_i32 s15, 0x80
	s_cbranch_scc1 .LBB300_368
; %bb.361:
	s_and_b32 s14, 0xffff, s15
	s_mov_b32 s16, -1
	s_cmp_eq_u32 s14, 0x80
	s_cbranch_scc0 .LBB300_363
; %bb.362:
	s_mov_b32 s16, 0
.LBB300_363:
	s_mov_b32 s14, 0x7f800001
	s_branch .LBB300_370
.LBB300_364:
	s_mov_b32 s14, -1
	s_mov_b32 s16, exec_lo
	v_cmpx_eq_u16_e32 0x80, v6
; %bb.365:
	s_xor_b32 s14, exec_lo, -1
; %bb.366:
	s_or_b32 exec_lo, exec_lo, s16
	s_delay_alu instid0(SALU_CYCLE_1)
	s_and_b32 s14, s14, exec_lo
	s_or_saveexec_b32 s15, s15
	v_mov_b32_e32 v7, 0x7f800001
	s_xor_b32 exec_lo, exec_lo, s15
	s_cbranch_execz .LBB300_356
.LBB300_367:
	v_cmp_ne_u16_e32 vcc_lo, 0, v6
	v_mov_b32_e32 v7, 0
	s_and_not1_b32 s14, s14, exec_lo
	s_and_b32 s16, vcc_lo, exec_lo
	s_delay_alu instid0(SALU_CYCLE_1)
	s_or_b32 s14, s14, s16
	s_or_b32 exec_lo, exec_lo, s15
	s_and_saveexec_b32 s15, s14
	s_cbranch_execnz .LBB300_357
	s_branch .LBB300_358
.LBB300_368:
	s_mov_b32 s16, 0
	s_mov_b32 s14, 0x7f800001
	s_cbranch_execz .LBB300_370
; %bb.369:
	s_and_b32 s14, 0xffff, s15
	s_delay_alu instid0(SALU_CYCLE_1)
	s_cmp_lg_u32 s14, 0
	s_mov_b32 s14, 0
	s_cselect_b32 s16, -1, 0
.LBB300_370:
	s_delay_alu instid0(SALU_CYCLE_1)
	s_and_not1_b32 vcc_lo, exec_lo, s16
	s_cbranch_vccnz .LBB300_372
; %bb.371:
	s_mov_b32 s14, s3
.LBB300_372:
	v_and_b32_e32 v6, 0xff, v5
	s_mov_b32 s15, 0
	s_mov_b32 s16, exec_lo
	s_delay_alu instid0(VALU_DEP_1)
	v_cmpx_lt_i16_e32 0x7f, v6
	s_xor_b32 s16, exec_lo, s16
	s_cbranch_execnz .LBB300_382
; %bb.373:
	s_or_saveexec_b32 s16, s16
	v_mov_b32_e32 v4, 0x7f800001
	s_xor_b32 exec_lo, exec_lo, s16
	s_cbranch_execnz .LBB300_385
.LBB300_374:
	s_or_b32 exec_lo, exec_lo, s16
	s_and_saveexec_b32 s16, s15
	s_cbranch_execz .LBB300_376
.LBB300_375:
	v_and_b32_e32 v4, 7, v5
	v_bfe_u32 v8, v5, 3, 4
	s_delay_alu instid0(VALU_DEP_2) | instskip(NEXT) | instid1(VALU_DEP_2)
	v_clz_i32_u32_e32 v6, v4
	v_cmp_eq_u32_e32 vcc_lo, 0, v8
	s_delay_alu instid0(VALU_DEP_2) | instskip(NEXT) | instid1(VALU_DEP_1)
	v_min_u32_e32 v6, 32, v6
	v_subrev_nc_u32_e32 v7, 28, v6
	s_delay_alu instid0(VALU_DEP_1) | instskip(NEXT) | instid1(VALU_DEP_1)
	v_dual_lshlrev_b32 v7, v7, v5 :: v_dual_sub_nc_u32 v6, 29, v6
	v_dual_lshlrev_b32 v9, 24, v5 :: v_dual_bitop2_b32 v7, 7, v7 bitop3:0x40
	s_delay_alu instid0(VALU_DEP_2) | instskip(NEXT) | instid1(VALU_DEP_2)
	v_cndmask_b32_e32 v6, v8, v6, vcc_lo
	v_cndmask_b32_e32 v4, v4, v7, vcc_lo
	s_delay_alu instid0(VALU_DEP_3) | instskip(NEXT) | instid1(VALU_DEP_3)
	v_and_b32_e32 v7, 0x80000000, v9
	v_lshl_add_u32 v6, v6, 23, 0x3b800000
	s_delay_alu instid0(VALU_DEP_3) | instskip(NEXT) | instid1(VALU_DEP_1)
	v_lshlrev_b32_e32 v4, 20, v4
	v_or3_b32 v4, v7, v6, v4
.LBB300_376:
	s_or_b32 exec_lo, exec_lo, s16
	s_delay_alu instid0(VALU_DEP_1)
	v_cmp_eq_f32_e64 s14, s14, v4
	v_cmp_ne_u32_e32 vcc_lo, 1, v1
	v_lshrrev_b32_e32 v4, 8, v5
	s_cbranch_vccz .LBB300_95
.LBB300_377:
                                        ; implicit-def: $sgpr15
	s_cbranch_execz .LBB300_112
; %bb.378:
	s_and_b32 s16, s10, 0xff
	s_delay_alu instid0(SALU_CYCLE_1)
	s_cmp_lt_i32 s16, 0x80
	s_cbranch_scc1 .LBB300_386
; %bb.379:
	s_and_b32 s15, 0xffff, s16
	s_mov_b32 s17, -1
	s_cmp_eq_u32 s15, 0x80
	s_cbranch_scc0 .LBB300_381
; %bb.380:
	s_mov_b32 s17, 0
.LBB300_381:
	s_mov_b32 s15, 0x7f800001
	s_branch .LBB300_388
.LBB300_382:
	s_mov_b32 s15, -1
	s_mov_b32 s17, exec_lo
	v_cmpx_eq_u16_e32 0x80, v6
; %bb.383:
	s_xor_b32 s15, exec_lo, -1
; %bb.384:
	s_or_b32 exec_lo, exec_lo, s17
	s_delay_alu instid0(SALU_CYCLE_1)
	s_and_b32 s15, s15, exec_lo
                                        ; implicit-def: $vgpr6
	s_or_saveexec_b32 s16, s16
	v_mov_b32_e32 v4, 0x7f800001
	s_xor_b32 exec_lo, exec_lo, s16
	s_cbranch_execz .LBB300_374
.LBB300_385:
	v_cmp_ne_u16_e32 vcc_lo, 0, v6
	v_mov_b32_e32 v4, 0
	s_and_not1_b32 s15, s15, exec_lo
	s_and_b32 s17, vcc_lo, exec_lo
	s_delay_alu instid0(SALU_CYCLE_1)
	s_or_b32 s15, s15, s17
	s_or_b32 exec_lo, exec_lo, s16
	s_and_saveexec_b32 s16, s15
	s_cbranch_execnz .LBB300_375
	s_branch .LBB300_376
.LBB300_386:
	s_mov_b32 s17, 0
	s_mov_b32 s15, 0x7f800001
	s_cbranch_execz .LBB300_388
; %bb.387:
	s_and_b32 s15, 0xffff, s16
	s_delay_alu instid0(SALU_CYCLE_1)
	s_cmp_lg_u32 s15, 0
	s_mov_b32 s15, 0
	s_cselect_b32 s17, -1, 0
.LBB300_388:
	s_delay_alu instid0(SALU_CYCLE_1)
	s_and_not1_b32 vcc_lo, exec_lo, s17
	s_cbranch_vccnz .LBB300_390
; %bb.389:
	s_mov_b32 s15, s3
.LBB300_390:
	v_and_b32_e32 v7, 0xff, v4
	s_mov_b32 s16, 0
	s_mov_b32 s17, exec_lo
	s_delay_alu instid0(VALU_DEP_1)
	v_cmpx_lt_i16_e32 0x7f, v7
	s_xor_b32 s17, exec_lo, s17
	s_cbranch_execnz .LBB300_400
; %bb.391:
	s_or_saveexec_b32 s17, s17
	v_mov_b32_e32 v6, 0x7f800001
	s_xor_b32 exec_lo, exec_lo, s17
	s_cbranch_execnz .LBB300_403
.LBB300_392:
	s_or_b32 exec_lo, exec_lo, s17
	s_and_saveexec_b32 s17, s16
	s_cbranch_execz .LBB300_394
.LBB300_393:
	v_bfe_u32 v6, v5, 8, 3
	v_bfe_u32 v9, v5, 11, 4
	s_delay_alu instid0(VALU_DEP_2) | instskip(NEXT) | instid1(VALU_DEP_2)
	v_clz_i32_u32_e32 v7, v6
	v_cmp_eq_u32_e32 vcc_lo, 0, v9
	s_delay_alu instid0(VALU_DEP_2) | instskip(NEXT) | instid1(VALU_DEP_1)
	v_min_u32_e32 v7, 32, v7
	v_subrev_nc_u32_e32 v8, 28, v7
	s_delay_alu instid0(VALU_DEP_1) | instskip(NEXT) | instid1(VALU_DEP_1)
	v_dual_sub_nc_u32 v7, 29, v7 :: v_dual_lshlrev_b32 v8, v8, v4
	v_dual_cndmask_b32 v7, v9, v7, vcc_lo :: v_dual_bitop2_b32 v8, 7, v8 bitop3:0x40
	s_delay_alu instid0(VALU_DEP_1) | instskip(NEXT) | instid1(VALU_DEP_2)
	v_lshl_add_u32 v7, v7, 23, 0x3b800000
	v_cndmask_b32_e32 v6, v6, v8, vcc_lo
	s_delay_alu instid0(VALU_DEP_1) | instskip(NEXT) | instid1(VALU_DEP_1)
	v_dual_lshlrev_b32 v4, 24, v4 :: v_dual_lshlrev_b32 v6, 20, v6
	v_and_b32_e32 v4, 0x80000000, v4
	s_delay_alu instid0(VALU_DEP_1)
	v_or3_b32 v6, v4, v7, v6
.LBB300_394:
	s_or_b32 exec_lo, exec_lo, s17
	s_delay_alu instid0(VALU_DEP_1)
	v_cmp_eq_f32_e64 s15, s15, v6
	v_cmp_ne_u32_e32 vcc_lo, 1, v1
	v_lshrrev_b32_e32 v4, 16, v5
	s_cbranch_vccz .LBB300_113
.LBB300_395:
                                        ; implicit-def: $sgpr16
	s_cbranch_execz .LBB300_130
; %bb.396:
	s_and_b32 s17, s10, 0xff
	s_delay_alu instid0(SALU_CYCLE_1)
	s_cmp_lt_i32 s17, 0x80
	s_cbranch_scc1 .LBB300_404
; %bb.397:
	s_and_b32 s16, 0xffff, s17
	s_mov_b32 s18, -1
	s_cmp_eq_u32 s16, 0x80
	s_cbranch_scc0 .LBB300_399
; %bb.398:
	s_mov_b32 s18, 0
.LBB300_399:
	s_mov_b32 s16, 0x7f800001
	s_branch .LBB300_406
.LBB300_400:
	s_mov_b32 s16, -1
	s_mov_b32 s18, exec_lo
	v_cmpx_eq_u16_e32 0x80, v7
; %bb.401:
	s_xor_b32 s16, exec_lo, -1
; %bb.402:
	s_or_b32 exec_lo, exec_lo, s18
	s_delay_alu instid0(SALU_CYCLE_1)
	s_and_b32 s16, s16, exec_lo
                                        ; implicit-def: $vgpr7
	s_or_saveexec_b32 s17, s17
	v_mov_b32_e32 v6, 0x7f800001
	s_xor_b32 exec_lo, exec_lo, s17
	s_cbranch_execz .LBB300_392
.LBB300_403:
	v_cmp_ne_u16_e32 vcc_lo, 0, v7
	v_mov_b32_e32 v6, 0
	s_and_not1_b32 s16, s16, exec_lo
	s_and_b32 s18, vcc_lo, exec_lo
	s_delay_alu instid0(SALU_CYCLE_1)
	s_or_b32 s16, s16, s18
	s_or_b32 exec_lo, exec_lo, s17
	s_and_saveexec_b32 s17, s16
	s_cbranch_execnz .LBB300_393
	s_branch .LBB300_394
.LBB300_404:
	s_mov_b32 s18, 0
	s_mov_b32 s16, 0x7f800001
	s_cbranch_execz .LBB300_406
; %bb.405:
	s_and_b32 s16, 0xffff, s17
	s_delay_alu instid0(SALU_CYCLE_1)
	s_cmp_lg_u32 s16, 0
	s_mov_b32 s16, 0
	s_cselect_b32 s18, -1, 0
.LBB300_406:
	s_delay_alu instid0(SALU_CYCLE_1)
	s_and_not1_b32 vcc_lo, exec_lo, s18
	s_cbranch_vccnz .LBB300_408
; %bb.407:
	s_mov_b32 s16, s3
.LBB300_408:
	v_and_b32_e32 v7, 0xff, v4
	s_mov_b32 s17, 0
	s_mov_b32 s18, exec_lo
	s_delay_alu instid0(VALU_DEP_1)
	v_cmpx_lt_i16_e32 0x7f, v7
	s_xor_b32 s18, exec_lo, s18
	s_cbranch_execnz .LBB300_418
; %bb.409:
	s_or_saveexec_b32 s18, s18
	v_mov_b32_e32 v6, 0x7f800001
	s_xor_b32 exec_lo, exec_lo, s18
	s_cbranch_execnz .LBB300_421
.LBB300_410:
	s_or_b32 exec_lo, exec_lo, s18
	s_and_saveexec_b32 s18, s17
	s_cbranch_execz .LBB300_412
.LBB300_411:
	v_bfe_u32 v6, v5, 16, 3
	v_bfe_u32 v9, v5, 19, 4
	s_delay_alu instid0(VALU_DEP_2) | instskip(NEXT) | instid1(VALU_DEP_2)
	v_clz_i32_u32_e32 v7, v6
	v_cmp_eq_u32_e32 vcc_lo, 0, v9
	s_delay_alu instid0(VALU_DEP_2) | instskip(NEXT) | instid1(VALU_DEP_1)
	v_min_u32_e32 v7, 32, v7
	v_subrev_nc_u32_e32 v8, 28, v7
	s_delay_alu instid0(VALU_DEP_1) | instskip(NEXT) | instid1(VALU_DEP_1)
	v_dual_sub_nc_u32 v7, 29, v7 :: v_dual_lshlrev_b32 v8, v8, v4
	v_dual_cndmask_b32 v7, v9, v7, vcc_lo :: v_dual_bitop2_b32 v8, 7, v8 bitop3:0x40
	s_delay_alu instid0(VALU_DEP_1) | instskip(NEXT) | instid1(VALU_DEP_2)
	v_lshl_add_u32 v7, v7, 23, 0x3b800000
	v_cndmask_b32_e32 v6, v6, v8, vcc_lo
	s_delay_alu instid0(VALU_DEP_1) | instskip(NEXT) | instid1(VALU_DEP_1)
	v_dual_lshlrev_b32 v4, 24, v4 :: v_dual_lshlrev_b32 v6, 20, v6
	v_and_b32_e32 v4, 0x80000000, v4
	s_delay_alu instid0(VALU_DEP_1)
	v_or3_b32 v6, v4, v7, v6
.LBB300_412:
	s_or_b32 exec_lo, exec_lo, s18
	s_delay_alu instid0(VALU_DEP_1)
	v_cmp_eq_f32_e64 s16, s16, v6
	v_cmp_ne_u32_e32 vcc_lo, 1, v1
	v_lshrrev_b32_e32 v4, 24, v5
	s_cbranch_vccz .LBB300_131
.LBB300_413:
                                        ; implicit-def: $sgpr17
	s_cbranch_execz .LBB300_148
; %bb.414:
	s_and_b32 s18, s10, 0xff
	s_delay_alu instid0(SALU_CYCLE_1)
	s_cmp_lt_i32 s18, 0x80
	s_cbranch_scc1 .LBB300_422
; %bb.415:
	s_and_b32 s17, 0xffff, s18
	s_mov_b32 s19, -1
	s_cmp_eq_u32 s17, 0x80
	s_cbranch_scc0 .LBB300_417
; %bb.416:
	s_mov_b32 s19, 0
.LBB300_417:
	s_mov_b32 s17, 0x7f800001
	s_branch .LBB300_424
.LBB300_418:
	s_mov_b32 s17, -1
	s_mov_b32 s19, exec_lo
	v_cmpx_eq_u16_e32 0x80, v7
; %bb.419:
	s_xor_b32 s17, exec_lo, -1
; %bb.420:
	s_or_b32 exec_lo, exec_lo, s19
	s_delay_alu instid0(SALU_CYCLE_1)
	s_and_b32 s17, s17, exec_lo
                                        ; implicit-def: $vgpr7
	s_or_saveexec_b32 s18, s18
	v_mov_b32_e32 v6, 0x7f800001
	s_xor_b32 exec_lo, exec_lo, s18
	s_cbranch_execz .LBB300_410
.LBB300_421:
	v_cmp_ne_u16_e32 vcc_lo, 0, v7
	v_mov_b32_e32 v6, 0
	s_and_not1_b32 s17, s17, exec_lo
	s_and_b32 s19, vcc_lo, exec_lo
	s_delay_alu instid0(SALU_CYCLE_1)
	s_or_b32 s17, s17, s19
	s_or_b32 exec_lo, exec_lo, s18
	s_and_saveexec_b32 s18, s17
	s_cbranch_execnz .LBB300_411
	s_branch .LBB300_412
.LBB300_422:
	s_mov_b32 s19, 0
	s_mov_b32 s17, 0x7f800001
	s_cbranch_execz .LBB300_424
; %bb.423:
	s_and_b32 s17, 0xffff, s18
	s_delay_alu instid0(SALU_CYCLE_1)
	s_cmp_lg_u32 s17, 0
	s_mov_b32 s17, 0
	s_cselect_b32 s19, -1, 0
.LBB300_424:
	s_delay_alu instid0(SALU_CYCLE_1)
	s_and_not1_b32 vcc_lo, exec_lo, s19
	s_cbranch_vccnz .LBB300_426
; %bb.425:
	s_mov_b32 s17, s3
.LBB300_426:
	s_mov_b32 s18, 0
	s_mov_b32 s19, exec_lo
	v_cmpx_lt_i16_e32 0x7f, v4
	s_xor_b32 s19, exec_lo, s19
	s_cbranch_execnz .LBB300_436
; %bb.427:
	s_or_saveexec_b32 s19, s19
	v_mov_b32_e32 v6, 0x7f800001
	s_xor_b32 exec_lo, exec_lo, s19
	s_cbranch_execnz .LBB300_439
.LBB300_428:
	s_or_b32 exec_lo, exec_lo, s19
	s_and_saveexec_b32 s19, s18
	s_cbranch_execz .LBB300_430
.LBB300_429:
	v_bfe_u32 v6, v5, 24, 3
	s_delay_alu instid0(VALU_DEP_1) | instskip(NEXT) | instid1(VALU_DEP_1)
	v_clz_i32_u32_e32 v7, v6
	v_min_u32_e32 v7, 32, v7
	s_delay_alu instid0(VALU_DEP_1) | instskip(NEXT) | instid1(VALU_DEP_1)
	v_subrev_nc_u32_e32 v8, 28, v7
	v_dual_sub_nc_u32 v7, 29, v7 :: v_dual_lshlrev_b32 v4, v8, v4
	v_bfe_u32 v8, v5, 27, 4
	v_and_b32_e32 v5, 0x80000000, v5
	s_delay_alu instid0(VALU_DEP_2) | instskip(NEXT) | instid1(VALU_DEP_4)
	v_cmp_eq_u32_e32 vcc_lo, 0, v8
	v_dual_cndmask_b32 v7, v8, v7, vcc_lo :: v_dual_bitop2_b32 v4, 7, v4 bitop3:0x40
	s_delay_alu instid0(VALU_DEP_1) | instskip(NEXT) | instid1(VALU_DEP_2)
	v_cndmask_b32_e32 v4, v6, v4, vcc_lo
	v_lshl_add_u32 v6, v7, 23, 0x3b800000
	s_delay_alu instid0(VALU_DEP_2) | instskip(NEXT) | instid1(VALU_DEP_1)
	v_lshlrev_b32_e32 v4, 20, v4
	v_or3_b32 v6, v5, v6, v4
.LBB300_430:
	s_or_b32 exec_lo, exec_lo, s19
	s_delay_alu instid0(VALU_DEP_1)
	v_cmp_eq_f32_e64 s17, s17, v6
	v_cmp_ne_u32_e32 vcc_lo, 1, v1
	s_cbranch_vccz .LBB300_149
.LBB300_431:
                                        ; implicit-def: $sgpr18
	s_cbranch_execz .LBB300_166
; %bb.432:
	s_and_b32 s19, s10, 0xff
	s_delay_alu instid0(SALU_CYCLE_1)
	s_cmp_lt_i32 s19, 0x80
	s_cbranch_scc1 .LBB300_440
; %bb.433:
	s_and_b32 s18, 0xffff, s19
	s_mov_b32 s20, -1
	s_cmp_eq_u32 s18, 0x80
	s_cbranch_scc0 .LBB300_435
; %bb.434:
	s_mov_b32 s20, 0
.LBB300_435:
	s_mov_b32 s18, 0x7f800001
	s_branch .LBB300_442
.LBB300_436:
	s_mov_b32 s18, -1
	s_mov_b32 s20, exec_lo
	v_cmpx_eq_u16_e32 0x80, v4
; %bb.437:
	s_xor_b32 s18, exec_lo, -1
; %bb.438:
	s_or_b32 exec_lo, exec_lo, s20
	s_delay_alu instid0(SALU_CYCLE_1)
	s_and_b32 s18, s18, exec_lo
	s_or_saveexec_b32 s19, s19
	v_mov_b32_e32 v6, 0x7f800001
	s_xor_b32 exec_lo, exec_lo, s19
	s_cbranch_execz .LBB300_428
.LBB300_439:
	v_cmp_ne_u16_e32 vcc_lo, 0, v4
	v_mov_b32_e32 v6, 0
	s_and_not1_b32 s18, s18, exec_lo
	s_and_b32 s20, vcc_lo, exec_lo
	s_delay_alu instid0(SALU_CYCLE_1)
	s_or_b32 s18, s18, s20
	s_or_b32 exec_lo, exec_lo, s19
	s_and_saveexec_b32 s19, s18
	s_cbranch_execnz .LBB300_429
	s_branch .LBB300_430
.LBB300_440:
	s_mov_b32 s20, 0
	s_mov_b32 s18, 0x7f800001
	s_cbranch_execz .LBB300_442
; %bb.441:
	s_and_b32 s18, 0xffff, s19
	s_delay_alu instid0(SALU_CYCLE_1)
	s_cmp_lg_u32 s18, 0
	s_mov_b32 s18, 0
	s_cselect_b32 s20, -1, 0
.LBB300_442:
	s_delay_alu instid0(SALU_CYCLE_1)
	s_and_not1_b32 vcc_lo, exec_lo, s20
	s_cbranch_vccnz .LBB300_444
; %bb.443:
	s_mov_b32 s18, s3
.LBB300_444:
	s_wait_loadcnt 0x0
	v_and_b32_e32 v5, 0xff, v2
	s_mov_b32 s19, 0
	s_mov_b32 s20, exec_lo
	s_delay_alu instid0(VALU_DEP_1)
	v_cmpx_lt_i16_e32 0x7f, v5
	s_xor_b32 s20, exec_lo, s20
	s_cbranch_execnz .LBB300_454
; %bb.445:
	s_or_saveexec_b32 s20, s20
	v_mov_b32_e32 v4, 0x7f800001
	s_xor_b32 exec_lo, exec_lo, s20
	s_cbranch_execnz .LBB300_457
.LBB300_446:
	s_or_b32 exec_lo, exec_lo, s20
	s_and_saveexec_b32 s20, s19
	s_cbranch_execz .LBB300_448
.LBB300_447:
	v_and_b32_e32 v4, 7, v2
	v_bfe_u32 v7, v2, 3, 4
	s_delay_alu instid0(VALU_DEP_2) | instskip(NEXT) | instid1(VALU_DEP_2)
	v_clz_i32_u32_e32 v5, v4
	v_cmp_eq_u32_e32 vcc_lo, 0, v7
	s_delay_alu instid0(VALU_DEP_2) | instskip(NEXT) | instid1(VALU_DEP_1)
	v_min_u32_e32 v5, 32, v5
	v_subrev_nc_u32_e32 v6, 28, v5
	s_delay_alu instid0(VALU_DEP_1) | instskip(NEXT) | instid1(VALU_DEP_1)
	v_dual_lshlrev_b32 v6, v6, v2 :: v_dual_sub_nc_u32 v5, 29, v5
	v_and_b32_e32 v6, 7, v6
	s_delay_alu instid0(VALU_DEP_2) | instskip(NEXT) | instid1(VALU_DEP_2)
	v_dual_cndmask_b32 v5, v7, v5 :: v_dual_lshlrev_b32 v8, 24, v2
	v_cndmask_b32_e32 v4, v4, v6, vcc_lo
	s_delay_alu instid0(VALU_DEP_2) | instskip(NEXT) | instid1(VALU_DEP_3)
	v_and_b32_e32 v6, 0x80000000, v8
	v_lshl_add_u32 v5, v5, 23, 0x3b800000
	s_delay_alu instid0(VALU_DEP_3) | instskip(NEXT) | instid1(VALU_DEP_1)
	v_lshlrev_b32_e32 v4, 20, v4
	v_or3_b32 v4, v6, v5, v4
.LBB300_448:
	s_or_b32 exec_lo, exec_lo, s20
	s_delay_alu instid0(VALU_DEP_1)
	v_cmp_eq_f32_e64 s18, s18, v4
	v_cmp_ne_u32_e32 vcc_lo, 1, v1
	v_lshrrev_b32_e32 v4, 8, v2
	s_cbranch_vccz .LBB300_167
.LBB300_449:
                                        ; implicit-def: $sgpr19
	s_cbranch_execz .LBB300_184
; %bb.450:
	s_and_b32 s20, s10, 0xff
	s_delay_alu instid0(SALU_CYCLE_1)
	s_cmp_lt_i32 s20, 0x80
	s_cbranch_scc1 .LBB300_458
; %bb.451:
	s_and_b32 s19, 0xffff, s20
	s_mov_b32 s21, -1
	s_cmp_eq_u32 s19, 0x80
	s_cbranch_scc0 .LBB300_453
; %bb.452:
	s_mov_b32 s21, 0
.LBB300_453:
	s_mov_b32 s19, 0x7f800001
	s_branch .LBB300_460
.LBB300_454:
	s_mov_b32 s19, -1
	s_mov_b32 s21, exec_lo
	v_cmpx_eq_u16_e32 0x80, v5
; %bb.455:
	s_xor_b32 s19, exec_lo, -1
; %bb.456:
	s_or_b32 exec_lo, exec_lo, s21
	s_delay_alu instid0(SALU_CYCLE_1)
	s_and_b32 s19, s19, exec_lo
                                        ; implicit-def: $vgpr5
	s_or_saveexec_b32 s20, s20
	v_mov_b32_e32 v4, 0x7f800001
	s_xor_b32 exec_lo, exec_lo, s20
	s_cbranch_execz .LBB300_446
.LBB300_457:
	v_cmp_ne_u16_e32 vcc_lo, 0, v5
	v_mov_b32_e32 v4, 0
	s_and_not1_b32 s19, s19, exec_lo
	s_and_b32 s21, vcc_lo, exec_lo
	s_delay_alu instid0(SALU_CYCLE_1)
	s_or_b32 s19, s19, s21
	s_or_b32 exec_lo, exec_lo, s20
	s_and_saveexec_b32 s20, s19
	s_cbranch_execnz .LBB300_447
	s_branch .LBB300_448
.LBB300_458:
	s_mov_b32 s21, 0
	s_mov_b32 s19, 0x7f800001
	s_cbranch_execz .LBB300_460
; %bb.459:
	s_and_b32 s19, 0xffff, s20
	s_delay_alu instid0(SALU_CYCLE_1)
	s_cmp_lg_u32 s19, 0
	s_mov_b32 s19, 0
	s_cselect_b32 s21, -1, 0
.LBB300_460:
	s_delay_alu instid0(SALU_CYCLE_1)
	s_and_not1_b32 vcc_lo, exec_lo, s21
	s_cbranch_vccnz .LBB300_462
; %bb.461:
	s_mov_b32 s19, s3
.LBB300_462:
	v_and_b32_e32 v6, 0xff, v4
	s_mov_b32 s20, 0
	s_mov_b32 s21, exec_lo
	s_delay_alu instid0(VALU_DEP_1)
	v_cmpx_lt_i16_e32 0x7f, v6
	s_xor_b32 s21, exec_lo, s21
	s_cbranch_execnz .LBB300_472
; %bb.463:
	s_or_saveexec_b32 s21, s21
	v_mov_b32_e32 v5, 0x7f800001
	s_xor_b32 exec_lo, exec_lo, s21
	s_cbranch_execnz .LBB300_475
.LBB300_464:
	s_or_b32 exec_lo, exec_lo, s21
	s_and_saveexec_b32 s21, s20
	s_cbranch_execz .LBB300_466
.LBB300_465:
	v_bfe_u32 v5, v2, 8, 3
	v_bfe_u32 v8, v2, 11, 4
	s_delay_alu instid0(VALU_DEP_2) | instskip(NEXT) | instid1(VALU_DEP_2)
	v_clz_i32_u32_e32 v6, v5
	v_cmp_eq_u32_e32 vcc_lo, 0, v8
	s_delay_alu instid0(VALU_DEP_2) | instskip(NEXT) | instid1(VALU_DEP_1)
	v_min_u32_e32 v6, 32, v6
	v_subrev_nc_u32_e32 v7, 28, v6
	s_delay_alu instid0(VALU_DEP_1) | instskip(NEXT) | instid1(VALU_DEP_1)
	v_dual_sub_nc_u32 v6, 29, v6 :: v_dual_lshlrev_b32 v7, v7, v4
	v_dual_lshlrev_b32 v4, 24, v4 :: v_dual_bitop2_b32 v7, 7, v7 bitop3:0x40
	s_delay_alu instid0(VALU_DEP_2) | instskip(NEXT) | instid1(VALU_DEP_2)
	v_cndmask_b32_e32 v6, v8, v6, vcc_lo
	v_and_b32_e32 v4, 0x80000000, v4
	s_delay_alu instid0(VALU_DEP_3) | instskip(NEXT) | instid1(VALU_DEP_3)
	v_cndmask_b32_e32 v5, v5, v7, vcc_lo
	v_lshl_add_u32 v6, v6, 23, 0x3b800000
	s_delay_alu instid0(VALU_DEP_2) | instskip(NEXT) | instid1(VALU_DEP_1)
	v_lshlrev_b32_e32 v5, 20, v5
	v_or3_b32 v5, v4, v6, v5
.LBB300_466:
	s_or_b32 exec_lo, exec_lo, s21
	s_delay_alu instid0(VALU_DEP_1)
	v_cmp_eq_f32_e64 s19, s19, v5
	v_cmp_ne_u32_e32 vcc_lo, 1, v1
	v_lshrrev_b32_e32 v4, 16, v2
	s_cbranch_vccz .LBB300_185
.LBB300_467:
                                        ; implicit-def: $sgpr20
	s_cbranch_execz .LBB300_202
; %bb.468:
	s_and_b32 s21, s10, 0xff
	s_delay_alu instid0(SALU_CYCLE_1)
	s_cmp_lt_i32 s21, 0x80
	s_cbranch_scc1 .LBB300_476
; %bb.469:
	s_and_b32 s20, 0xffff, s21
	s_mov_b32 s22, -1
	s_cmp_eq_u32 s20, 0x80
	s_cbranch_scc0 .LBB300_471
; %bb.470:
	s_mov_b32 s22, 0
.LBB300_471:
	s_mov_b32 s20, 0x7f800001
	s_branch .LBB300_478
.LBB300_472:
	s_mov_b32 s20, -1
	s_mov_b32 s22, exec_lo
	v_cmpx_eq_u16_e32 0x80, v6
; %bb.473:
	s_xor_b32 s20, exec_lo, -1
; %bb.474:
	s_or_b32 exec_lo, exec_lo, s22
	s_delay_alu instid0(SALU_CYCLE_1)
	s_and_b32 s20, s20, exec_lo
                                        ; implicit-def: $vgpr6
	s_or_saveexec_b32 s21, s21
	v_mov_b32_e32 v5, 0x7f800001
	s_xor_b32 exec_lo, exec_lo, s21
	s_cbranch_execz .LBB300_464
.LBB300_475:
	v_cmp_ne_u16_e32 vcc_lo, 0, v6
	v_mov_b32_e32 v5, 0
	s_and_not1_b32 s20, s20, exec_lo
	s_and_b32 s22, vcc_lo, exec_lo
	s_delay_alu instid0(SALU_CYCLE_1)
	s_or_b32 s20, s20, s22
	s_or_b32 exec_lo, exec_lo, s21
	s_and_saveexec_b32 s21, s20
	s_cbranch_execnz .LBB300_465
	s_branch .LBB300_466
.LBB300_476:
	s_mov_b32 s22, 0
	s_mov_b32 s20, 0x7f800001
	s_cbranch_execz .LBB300_478
; %bb.477:
	s_and_b32 s20, 0xffff, s21
	s_delay_alu instid0(SALU_CYCLE_1)
	s_cmp_lg_u32 s20, 0
	s_mov_b32 s20, 0
	s_cselect_b32 s22, -1, 0
.LBB300_478:
	s_delay_alu instid0(SALU_CYCLE_1)
	s_and_not1_b32 vcc_lo, exec_lo, s22
	s_cbranch_vccnz .LBB300_480
; %bb.479:
	s_mov_b32 s20, s3
.LBB300_480:
	v_and_b32_e32 v6, 0xff, v4
	s_mov_b32 s21, 0
	s_mov_b32 s22, exec_lo
	s_delay_alu instid0(VALU_DEP_1)
	v_cmpx_lt_i16_e32 0x7f, v6
	s_xor_b32 s22, exec_lo, s22
	s_cbranch_execnz .LBB300_490
; %bb.481:
	s_or_saveexec_b32 s22, s22
	v_mov_b32_e32 v5, 0x7f800001
	s_xor_b32 exec_lo, exec_lo, s22
	s_cbranch_execnz .LBB300_493
.LBB300_482:
	s_or_b32 exec_lo, exec_lo, s22
	s_and_saveexec_b32 s22, s21
	s_cbranch_execz .LBB300_484
.LBB300_483:
	v_bfe_u32 v5, v2, 16, 3
	v_bfe_u32 v8, v2, 19, 4
	s_delay_alu instid0(VALU_DEP_2) | instskip(NEXT) | instid1(VALU_DEP_2)
	v_clz_i32_u32_e32 v6, v5
	v_cmp_eq_u32_e32 vcc_lo, 0, v8
	s_delay_alu instid0(VALU_DEP_2) | instskip(NEXT) | instid1(VALU_DEP_1)
	v_min_u32_e32 v6, 32, v6
	v_subrev_nc_u32_e32 v7, 28, v6
	s_delay_alu instid0(VALU_DEP_1) | instskip(NEXT) | instid1(VALU_DEP_1)
	v_dual_sub_nc_u32 v6, 29, v6 :: v_dual_lshlrev_b32 v7, v7, v4
	v_dual_lshlrev_b32 v4, 24, v4 :: v_dual_bitop2_b32 v7, 7, v7 bitop3:0x40
	s_delay_alu instid0(VALU_DEP_2) | instskip(NEXT) | instid1(VALU_DEP_2)
	v_cndmask_b32_e32 v6, v8, v6, vcc_lo
	v_and_b32_e32 v4, 0x80000000, v4
	s_delay_alu instid0(VALU_DEP_3) | instskip(NEXT) | instid1(VALU_DEP_3)
	v_cndmask_b32_e32 v5, v5, v7, vcc_lo
	v_lshl_add_u32 v6, v6, 23, 0x3b800000
	s_delay_alu instid0(VALU_DEP_2) | instskip(NEXT) | instid1(VALU_DEP_1)
	v_lshlrev_b32_e32 v5, 20, v5
	v_or3_b32 v5, v4, v6, v5
.LBB300_484:
	s_or_b32 exec_lo, exec_lo, s22
	s_delay_alu instid0(VALU_DEP_1)
	v_cmp_eq_f32_e64 s20, s20, v5
	v_cmp_ne_u32_e32 vcc_lo, 1, v1
	v_lshrrev_b32_e32 v4, 24, v2
	s_cbranch_vccz .LBB300_203
.LBB300_485:
                                        ; implicit-def: $sgpr21
	s_cbranch_execz .LBB300_220
; %bb.486:
	s_and_b32 s22, s10, 0xff
	s_delay_alu instid0(SALU_CYCLE_1)
	s_cmp_lt_i32 s22, 0x80
	s_cbranch_scc1 .LBB300_494
; %bb.487:
	s_and_b32 s21, 0xffff, s22
	s_mov_b32 s23, -1
	s_cmp_eq_u32 s21, 0x80
	s_cbranch_scc0 .LBB300_489
; %bb.488:
	s_mov_b32 s23, 0
.LBB300_489:
	s_mov_b32 s21, 0x7f800001
	s_branch .LBB300_496
.LBB300_490:
	s_mov_b32 s21, -1
	s_mov_b32 s23, exec_lo
	v_cmpx_eq_u16_e32 0x80, v6
; %bb.491:
	s_xor_b32 s21, exec_lo, -1
; %bb.492:
	s_or_b32 exec_lo, exec_lo, s23
	s_delay_alu instid0(SALU_CYCLE_1)
	s_and_b32 s21, s21, exec_lo
                                        ; implicit-def: $vgpr6
	s_or_saveexec_b32 s22, s22
	v_mov_b32_e32 v5, 0x7f800001
	s_xor_b32 exec_lo, exec_lo, s22
	s_cbranch_execz .LBB300_482
.LBB300_493:
	v_cmp_ne_u16_e32 vcc_lo, 0, v6
	v_mov_b32_e32 v5, 0
	s_and_not1_b32 s21, s21, exec_lo
	s_and_b32 s23, vcc_lo, exec_lo
	s_delay_alu instid0(SALU_CYCLE_1)
	s_or_b32 s21, s21, s23
	s_or_b32 exec_lo, exec_lo, s22
	s_and_saveexec_b32 s22, s21
	s_cbranch_execnz .LBB300_483
	s_branch .LBB300_484
.LBB300_494:
	s_mov_b32 s23, 0
	s_mov_b32 s21, 0x7f800001
	s_cbranch_execz .LBB300_496
; %bb.495:
	s_and_b32 s21, 0xffff, s22
	s_delay_alu instid0(SALU_CYCLE_1)
	s_cmp_lg_u32 s21, 0
	s_mov_b32 s21, 0
	s_cselect_b32 s23, -1, 0
.LBB300_496:
	s_delay_alu instid0(SALU_CYCLE_1)
	s_and_not1_b32 vcc_lo, exec_lo, s23
	s_cbranch_vccnz .LBB300_498
; %bb.497:
	s_mov_b32 s21, s3
.LBB300_498:
	s_mov_b32 s22, 0
	s_mov_b32 s23, exec_lo
	v_cmpx_lt_i16_e32 0x7f, v4
	s_xor_b32 s23, exec_lo, s23
	s_cbranch_execnz .LBB300_508
; %bb.499:
	s_or_saveexec_b32 s23, s23
	v_mov_b32_e32 v5, 0x7f800001
	s_xor_b32 exec_lo, exec_lo, s23
	s_cbranch_execnz .LBB300_511
.LBB300_500:
	s_or_b32 exec_lo, exec_lo, s23
	s_and_saveexec_b32 s23, s22
	s_cbranch_execz .LBB300_502
.LBB300_501:
	v_bfe_u32 v5, v2, 24, 3
	s_delay_alu instid0(VALU_DEP_1) | instskip(NEXT) | instid1(VALU_DEP_1)
	v_clz_i32_u32_e32 v6, v5
	v_min_u32_e32 v6, 32, v6
	s_delay_alu instid0(VALU_DEP_1) | instskip(NEXT) | instid1(VALU_DEP_1)
	v_subrev_nc_u32_e32 v7, 28, v6
	v_dual_sub_nc_u32 v6, 29, v6 :: v_dual_lshlrev_b32 v4, v7, v4
	v_bfe_u32 v7, v2, 27, 4
	v_and_b32_e32 v2, 0x80000000, v2
	s_delay_alu instid0(VALU_DEP_2) | instskip(NEXT) | instid1(VALU_DEP_4)
	v_cmp_eq_u32_e32 vcc_lo, 0, v7
	v_dual_cndmask_b32 v6, v7, v6, vcc_lo :: v_dual_bitop2_b32 v4, 7, v4 bitop3:0x40
	s_delay_alu instid0(VALU_DEP_1) | instskip(NEXT) | instid1(VALU_DEP_2)
	v_cndmask_b32_e32 v4, v5, v4, vcc_lo
	v_lshl_add_u32 v5, v6, 23, 0x3b800000
	s_delay_alu instid0(VALU_DEP_2) | instskip(NEXT) | instid1(VALU_DEP_1)
	v_lshlrev_b32_e32 v4, 20, v4
	v_or3_b32 v5, v2, v5, v4
.LBB300_502:
	s_or_b32 exec_lo, exec_lo, s23
	s_delay_alu instid0(VALU_DEP_1)
	v_cmp_eq_f32_e64 s21, s21, v5
	v_cmp_ne_u32_e32 vcc_lo, 1, v1
	s_cbranch_vccz .LBB300_221
.LBB300_503:
                                        ; implicit-def: $sgpr22
	s_cbranch_execz .LBB300_238
; %bb.504:
	s_and_b32 s23, s10, 0xff
	s_delay_alu instid0(SALU_CYCLE_1)
	s_cmp_lt_i32 s23, 0x80
	s_cbranch_scc1 .LBB300_512
; %bb.505:
	s_and_b32 s22, 0xffff, s23
	s_mov_b32 s24, -1
	s_cmp_eq_u32 s22, 0x80
	s_cbranch_scc0 .LBB300_507
; %bb.506:
	s_mov_b32 s24, 0
.LBB300_507:
	s_mov_b32 s22, 0x7f800001
	s_branch .LBB300_514
.LBB300_508:
	s_mov_b32 s22, -1
	s_mov_b32 s24, exec_lo
	v_cmpx_eq_u16_e32 0x80, v4
; %bb.509:
	s_xor_b32 s22, exec_lo, -1
; %bb.510:
	s_or_b32 exec_lo, exec_lo, s24
	s_delay_alu instid0(SALU_CYCLE_1)
	s_and_b32 s22, s22, exec_lo
	s_or_saveexec_b32 s23, s23
	v_mov_b32_e32 v5, 0x7f800001
	s_xor_b32 exec_lo, exec_lo, s23
	s_cbranch_execz .LBB300_500
.LBB300_511:
	v_cmp_ne_u16_e32 vcc_lo, 0, v4
	v_mov_b32_e32 v5, 0
	s_and_not1_b32 s22, s22, exec_lo
	s_and_b32 s24, vcc_lo, exec_lo
	s_delay_alu instid0(SALU_CYCLE_1)
	s_or_b32 s22, s22, s24
	s_or_b32 exec_lo, exec_lo, s23
	s_and_saveexec_b32 s23, s22
	s_cbranch_execnz .LBB300_501
	s_branch .LBB300_502
.LBB300_512:
	s_mov_b32 s24, 0
	s_mov_b32 s22, 0x7f800001
	s_cbranch_execz .LBB300_514
; %bb.513:
	s_and_b32 s22, 0xffff, s23
	s_delay_alu instid0(SALU_CYCLE_1)
	s_cmp_lg_u32 s22, 0
	s_mov_b32 s22, 0
	s_cselect_b32 s24, -1, 0
.LBB300_514:
	s_delay_alu instid0(SALU_CYCLE_1)
	s_and_not1_b32 vcc_lo, exec_lo, s24
	s_cbranch_vccnz .LBB300_516
; %bb.515:
	s_mov_b32 s22, s3
.LBB300_516:
	v_and_b32_e32 v4, 0xff, v3
	s_mov_b32 s23, 0
	s_mov_b32 s24, exec_lo
	s_delay_alu instid0(VALU_DEP_1)
	v_cmpx_lt_i16_e32 0x7f, v4
	s_xor_b32 s24, exec_lo, s24
	s_cbranch_execnz .LBB300_526
; %bb.517:
	s_or_saveexec_b32 s24, s24
	v_mov_b32_e32 v2, 0x7f800001
	s_xor_b32 exec_lo, exec_lo, s24
	s_cbranch_execnz .LBB300_529
.LBB300_518:
	s_or_b32 exec_lo, exec_lo, s24
	s_and_saveexec_b32 s24, s23
	s_cbranch_execz .LBB300_520
.LBB300_519:
	v_and_b32_e32 v2, 7, v3
	v_bfe_u32 v6, v3, 3, 4
	s_delay_alu instid0(VALU_DEP_2) | instskip(NEXT) | instid1(VALU_DEP_2)
	v_clz_i32_u32_e32 v4, v2
	v_cmp_eq_u32_e32 vcc_lo, 0, v6
	s_delay_alu instid0(VALU_DEP_2) | instskip(NEXT) | instid1(VALU_DEP_1)
	v_min_u32_e32 v4, 32, v4
	v_subrev_nc_u32_e32 v5, 28, v4
	s_delay_alu instid0(VALU_DEP_1) | instskip(NEXT) | instid1(VALU_DEP_1)
	v_dual_lshlrev_b32 v5, v5, v3 :: v_dual_sub_nc_u32 v4, 29, v4
	v_dual_lshlrev_b32 v7, 24, v3 :: v_dual_bitop2_b32 v5, 7, v5 bitop3:0x40
	s_delay_alu instid0(VALU_DEP_2) | instskip(NEXT) | instid1(VALU_DEP_2)
	v_cndmask_b32_e32 v4, v6, v4, vcc_lo
	v_cndmask_b32_e32 v2, v2, v5, vcc_lo
	s_delay_alu instid0(VALU_DEP_3) | instskip(NEXT) | instid1(VALU_DEP_3)
	v_and_b32_e32 v5, 0x80000000, v7
	v_lshl_add_u32 v4, v4, 23, 0x3b800000
	s_delay_alu instid0(VALU_DEP_3) | instskip(NEXT) | instid1(VALU_DEP_1)
	v_lshlrev_b32_e32 v2, 20, v2
	v_or3_b32 v2, v5, v4, v2
.LBB300_520:
	s_or_b32 exec_lo, exec_lo, s24
	s_delay_alu instid0(VALU_DEP_1)
	v_cmp_eq_f32_e64 s22, s22, v2
	v_cmp_ne_u32_e32 vcc_lo, 1, v1
	v_lshrrev_b32_e32 v2, 8, v3
	s_cbranch_vccz .LBB300_239
.LBB300_521:
                                        ; implicit-def: $sgpr23
	s_cbranch_execz .LBB300_256
; %bb.522:
	s_and_b32 s24, s10, 0xff
	s_delay_alu instid0(SALU_CYCLE_1)
	s_cmp_lt_i32 s24, 0x80
	s_cbranch_scc1 .LBB300_530
; %bb.523:
	s_and_b32 s23, 0xffff, s24
	s_mov_b32 s25, -1
	s_cmp_eq_u32 s23, 0x80
	s_cbranch_scc0 .LBB300_525
; %bb.524:
	s_mov_b32 s25, 0
.LBB300_525:
	s_mov_b32 s23, 0x7f800001
	s_branch .LBB300_532
.LBB300_526:
	s_mov_b32 s23, -1
	s_mov_b32 s25, exec_lo
	v_cmpx_eq_u16_e32 0x80, v4
; %bb.527:
	s_xor_b32 s23, exec_lo, -1
; %bb.528:
	s_or_b32 exec_lo, exec_lo, s25
	s_delay_alu instid0(SALU_CYCLE_1)
	s_and_b32 s23, s23, exec_lo
                                        ; implicit-def: $vgpr4
	s_or_saveexec_b32 s24, s24
	v_mov_b32_e32 v2, 0x7f800001
	s_xor_b32 exec_lo, exec_lo, s24
	s_cbranch_execz .LBB300_518
.LBB300_529:
	v_cmp_ne_u16_e32 vcc_lo, 0, v4
	v_mov_b32_e32 v2, 0
	s_and_not1_b32 s23, s23, exec_lo
	s_and_b32 s25, vcc_lo, exec_lo
	s_delay_alu instid0(SALU_CYCLE_1)
	s_or_b32 s23, s23, s25
	s_or_b32 exec_lo, exec_lo, s24
	s_and_saveexec_b32 s24, s23
	s_cbranch_execnz .LBB300_519
	s_branch .LBB300_520
.LBB300_530:
	s_mov_b32 s25, 0
	s_mov_b32 s23, 0x7f800001
	s_cbranch_execz .LBB300_532
; %bb.531:
	s_and_b32 s23, 0xffff, s24
	s_delay_alu instid0(SALU_CYCLE_1)
	s_cmp_lg_u32 s23, 0
	s_mov_b32 s23, 0
	s_cselect_b32 s25, -1, 0
.LBB300_532:
	s_delay_alu instid0(SALU_CYCLE_1)
	s_and_not1_b32 vcc_lo, exec_lo, s25
	s_cbranch_vccnz .LBB300_534
; %bb.533:
	s_mov_b32 s23, s3
.LBB300_534:
	v_and_b32_e32 v5, 0xff, v2
	s_mov_b32 s24, 0
	s_mov_b32 s25, exec_lo
	s_delay_alu instid0(VALU_DEP_1)
	v_cmpx_lt_i16_e32 0x7f, v5
	s_xor_b32 s25, exec_lo, s25
	s_cbranch_execnz .LBB300_544
; %bb.535:
	s_or_saveexec_b32 s25, s25
	v_mov_b32_e32 v4, 0x7f800001
	s_xor_b32 exec_lo, exec_lo, s25
	s_cbranch_execnz .LBB300_547
.LBB300_536:
	s_or_b32 exec_lo, exec_lo, s25
	s_and_saveexec_b32 s25, s24
	s_cbranch_execz .LBB300_538
.LBB300_537:
	v_bfe_u32 v4, v3, 8, 3
	v_bfe_u32 v7, v3, 11, 4
	s_delay_alu instid0(VALU_DEP_2) | instskip(NEXT) | instid1(VALU_DEP_2)
	v_clz_i32_u32_e32 v5, v4
	v_cmp_eq_u32_e32 vcc_lo, 0, v7
	s_delay_alu instid0(VALU_DEP_2) | instskip(NEXT) | instid1(VALU_DEP_1)
	v_min_u32_e32 v5, 32, v5
	v_subrev_nc_u32_e32 v6, 28, v5
	s_delay_alu instid0(VALU_DEP_1) | instskip(NEXT) | instid1(VALU_DEP_1)
	v_dual_sub_nc_u32 v5, 29, v5 :: v_dual_lshlrev_b32 v6, v6, v2
	v_dual_cndmask_b32 v5, v7, v5, vcc_lo :: v_dual_bitop2_b32 v6, 7, v6 bitop3:0x40
	s_delay_alu instid0(VALU_DEP_1) | instskip(NEXT) | instid1(VALU_DEP_2)
	v_lshl_add_u32 v5, v5, 23, 0x3b800000
	v_cndmask_b32_e32 v4, v4, v6, vcc_lo
	s_delay_alu instid0(VALU_DEP_1) | instskip(NEXT) | instid1(VALU_DEP_1)
	v_dual_lshlrev_b32 v2, 24, v2 :: v_dual_lshlrev_b32 v4, 20, v4
	v_and_b32_e32 v2, 0x80000000, v2
	s_delay_alu instid0(VALU_DEP_1)
	v_or3_b32 v4, v2, v5, v4
.LBB300_538:
	s_or_b32 exec_lo, exec_lo, s25
	s_delay_alu instid0(VALU_DEP_1)
	v_cmp_eq_f32_e64 s23, s23, v4
	v_cmp_ne_u32_e32 vcc_lo, 1, v1
	v_lshrrev_b32_e32 v2, 16, v3
	s_cbranch_vccz .LBB300_257
.LBB300_539:
                                        ; implicit-def: $sgpr24
	s_cbranch_execz .LBB300_274
; %bb.540:
	s_and_b32 s25, s10, 0xff
	s_delay_alu instid0(SALU_CYCLE_1)
	s_cmp_lt_i32 s25, 0x80
	s_cbranch_scc1 .LBB300_548
; %bb.541:
	s_and_b32 s24, 0xffff, s25
	s_mov_b32 s26, -1
	s_cmp_eq_u32 s24, 0x80
	s_cbranch_scc0 .LBB300_543
; %bb.542:
	s_mov_b32 s26, 0
.LBB300_543:
	s_mov_b32 s24, 0x7f800001
	s_branch .LBB300_550
.LBB300_544:
	s_mov_b32 s24, -1
	s_mov_b32 s26, exec_lo
	v_cmpx_eq_u16_e32 0x80, v5
; %bb.545:
	s_xor_b32 s24, exec_lo, -1
; %bb.546:
	s_or_b32 exec_lo, exec_lo, s26
	s_delay_alu instid0(SALU_CYCLE_1)
	s_and_b32 s24, s24, exec_lo
                                        ; implicit-def: $vgpr5
	s_or_saveexec_b32 s25, s25
	v_mov_b32_e32 v4, 0x7f800001
	s_xor_b32 exec_lo, exec_lo, s25
	s_cbranch_execz .LBB300_536
.LBB300_547:
	v_cmp_ne_u16_e32 vcc_lo, 0, v5
	v_mov_b32_e32 v4, 0
	s_and_not1_b32 s24, s24, exec_lo
	s_and_b32 s26, vcc_lo, exec_lo
	s_delay_alu instid0(SALU_CYCLE_1)
	s_or_b32 s24, s24, s26
	s_or_b32 exec_lo, exec_lo, s25
	s_and_saveexec_b32 s25, s24
	s_cbranch_execnz .LBB300_537
	s_branch .LBB300_538
.LBB300_548:
	s_mov_b32 s26, 0
	s_mov_b32 s24, 0x7f800001
	s_cbranch_execz .LBB300_550
; %bb.549:
	s_and_b32 s24, 0xffff, s25
	s_delay_alu instid0(SALU_CYCLE_1)
	s_cmp_lg_u32 s24, 0
	s_mov_b32 s24, 0
	s_cselect_b32 s26, -1, 0
.LBB300_550:
	s_delay_alu instid0(SALU_CYCLE_1)
	s_and_not1_b32 vcc_lo, exec_lo, s26
	s_cbranch_vccnz .LBB300_552
; %bb.551:
	s_mov_b32 s24, s3
.LBB300_552:
	v_and_b32_e32 v5, 0xff, v2
	s_mov_b32 s25, 0
	s_mov_b32 s26, exec_lo
	s_delay_alu instid0(VALU_DEP_1)
	v_cmpx_lt_i16_e32 0x7f, v5
	s_xor_b32 s26, exec_lo, s26
	s_cbranch_execnz .LBB300_562
; %bb.553:
	s_or_saveexec_b32 s26, s26
	v_mov_b32_e32 v4, 0x7f800001
	s_xor_b32 exec_lo, exec_lo, s26
	s_cbranch_execnz .LBB300_565
.LBB300_554:
	s_or_b32 exec_lo, exec_lo, s26
	s_and_saveexec_b32 s26, s25
	s_cbranch_execz .LBB300_556
.LBB300_555:
	v_bfe_u32 v4, v3, 16, 3
	v_bfe_u32 v7, v3, 19, 4
	s_delay_alu instid0(VALU_DEP_2) | instskip(NEXT) | instid1(VALU_DEP_2)
	v_clz_i32_u32_e32 v5, v4
	v_cmp_eq_u32_e32 vcc_lo, 0, v7
	s_delay_alu instid0(VALU_DEP_2) | instskip(NEXT) | instid1(VALU_DEP_1)
	v_min_u32_e32 v5, 32, v5
	v_subrev_nc_u32_e32 v6, 28, v5
	s_delay_alu instid0(VALU_DEP_1) | instskip(NEXT) | instid1(VALU_DEP_1)
	v_dual_sub_nc_u32 v5, 29, v5 :: v_dual_lshlrev_b32 v6, v6, v2
	v_dual_cndmask_b32 v5, v7, v5, vcc_lo :: v_dual_bitop2_b32 v6, 7, v6 bitop3:0x40
	s_delay_alu instid0(VALU_DEP_1) | instskip(NEXT) | instid1(VALU_DEP_2)
	v_lshl_add_u32 v5, v5, 23, 0x3b800000
	v_cndmask_b32_e32 v4, v4, v6, vcc_lo
	s_delay_alu instid0(VALU_DEP_1) | instskip(NEXT) | instid1(VALU_DEP_1)
	v_dual_lshlrev_b32 v2, 24, v2 :: v_dual_lshlrev_b32 v4, 20, v4
	v_and_b32_e32 v2, 0x80000000, v2
	s_delay_alu instid0(VALU_DEP_1)
	v_or3_b32 v4, v2, v5, v4
.LBB300_556:
	s_or_b32 exec_lo, exec_lo, s26
	s_delay_alu instid0(VALU_DEP_1)
	v_cmp_eq_f32_e64 s24, s24, v4
	v_cmp_ne_u32_e32 vcc_lo, 1, v1
	v_lshrrev_b32_e32 v1, 24, v3
	s_cbranch_vccz .LBB300_275
.LBB300_557:
                                        ; implicit-def: $sgpr25
	s_cbranch_execz .LBB300_575
; %bb.558:
	s_and_b32 s26, s10, 0xff
	s_delay_alu instid0(SALU_CYCLE_1)
	s_cmp_lt_i32 s26, 0x80
	s_cbranch_scc1 .LBB300_566
; %bb.559:
	s_and_b32 s25, 0xffff, s26
	s_mov_b32 s27, -1
	s_cmp_eq_u32 s25, 0x80
	s_cbranch_scc0 .LBB300_561
; %bb.560:
	s_mov_b32 s27, 0
.LBB300_561:
	s_mov_b32 s25, 0x7f800001
	s_branch .LBB300_568
.LBB300_562:
	s_mov_b32 s25, -1
	s_mov_b32 s27, exec_lo
	v_cmpx_eq_u16_e32 0x80, v5
; %bb.563:
	s_xor_b32 s25, exec_lo, -1
; %bb.564:
	s_or_b32 exec_lo, exec_lo, s27
	s_delay_alu instid0(SALU_CYCLE_1)
	s_and_b32 s25, s25, exec_lo
                                        ; implicit-def: $vgpr5
	s_or_saveexec_b32 s26, s26
	v_mov_b32_e32 v4, 0x7f800001
	s_xor_b32 exec_lo, exec_lo, s26
	s_cbranch_execz .LBB300_554
.LBB300_565:
	v_cmp_ne_u16_e32 vcc_lo, 0, v5
	v_mov_b32_e32 v4, 0
	s_and_not1_b32 s25, s25, exec_lo
	s_and_b32 s27, vcc_lo, exec_lo
	s_delay_alu instid0(SALU_CYCLE_1)
	s_or_b32 s25, s25, s27
	s_or_b32 exec_lo, exec_lo, s26
	s_and_saveexec_b32 s26, s25
	s_cbranch_execnz .LBB300_555
	s_branch .LBB300_556
.LBB300_566:
	s_mov_b32 s27, 0
	s_mov_b32 s25, 0x7f800001
	s_cbranch_execz .LBB300_568
; %bb.567:
	s_and_b32 s25, 0xffff, s26
	s_delay_alu instid0(SALU_CYCLE_1)
	s_cmp_lg_u32 s25, 0
	s_mov_b32 s25, 0
	s_cselect_b32 s27, -1, 0
.LBB300_568:
	s_delay_alu instid0(SALU_CYCLE_1)
	s_and_not1_b32 vcc_lo, exec_lo, s27
	s_cbranch_vccnz .LBB300_570
; %bb.569:
	s_mov_b32 s25, s3
.LBB300_570:
	s_mov_b32 s3, 0
	s_mov_b32 s26, exec_lo
	v_cmpx_lt_i16_e32 0x7f, v1
	s_xor_b32 s26, exec_lo, s26
	s_cbranch_execnz .LBB300_577
; %bb.571:
	s_or_saveexec_b32 s26, s26
	v_mov_b32_e32 v2, 0x7f800001
	s_xor_b32 exec_lo, exec_lo, s26
	s_cbranch_execnz .LBB300_580
.LBB300_572:
	s_or_b32 exec_lo, exec_lo, s26
	s_and_saveexec_b32 s26, s3
	s_cbranch_execz .LBB300_574
.LBB300_573:
	v_bfe_u32 v2, v3, 24, 3
	s_delay_alu instid0(VALU_DEP_1) | instskip(NEXT) | instid1(VALU_DEP_1)
	v_clz_i32_u32_e32 v4, v2
	v_min_u32_e32 v4, 32, v4
	s_delay_alu instid0(VALU_DEP_1) | instskip(NEXT) | instid1(VALU_DEP_1)
	v_subrev_nc_u32_e32 v5, 28, v4
	v_dual_sub_nc_u32 v4, 29, v4 :: v_dual_lshlrev_b32 v1, v5, v1
	v_bfe_u32 v5, v3, 27, 4
	s_delay_alu instid0(VALU_DEP_1) | instskip(NEXT) | instid1(VALU_DEP_3)
	v_cmp_eq_u32_e32 vcc_lo, 0, v5
	v_dual_cndmask_b32 v4, v5, v4, vcc_lo :: v_dual_bitop2_b32 v1, 7, v1 bitop3:0x40
	s_delay_alu instid0(VALU_DEP_1) | instskip(SKIP_1) | instid1(VALU_DEP_3)
	v_cndmask_b32_e32 v1, v2, v1, vcc_lo
	v_and_b32_e32 v2, 0x80000000, v3
	v_lshl_add_u32 v3, v4, 23, 0x3b800000
	s_delay_alu instid0(VALU_DEP_3) | instskip(NEXT) | instid1(VALU_DEP_1)
	v_lshlrev_b32_e32 v1, 20, v1
	v_or3_b32 v2, v2, v3, v1
.LBB300_574:
	s_or_b32 exec_lo, exec_lo, s26
	s_delay_alu instid0(VALU_DEP_1)
	v_cmp_eq_f32_e64 s25, s25, v2
.LBB300_575:
	v_cndmask_b32_e64 v1, 0, 1, s11
	v_cndmask_b32_e64 v2, 0, 1, s13
	;; [unrolled: 1-line block ×5, first 2 shown]
	v_lshlrev_b16 v1, 8, v1
	v_lshlrev_b16 v2, 8, v2
	v_cndmask_b32_e64 v6, 0, 1, s14
	v_lshlrev_b16 v4, 8, v4
	v_cndmask_b32_e64 v7, 0, 1, s21
	v_cndmask_b32_e64 v8, 0, 1, s23
	v_or_b32_e32 v2, v5, v2
	v_or_b32_e32 v1, v3, v1
	;; [unrolled: 1-line block ×3, first 2 shown]
	v_cndmask_b32_e64 v4, 0, 1, s17
	v_cndmask_b32_e64 v5, 0, 1, s19
	;; [unrolled: 1-line block ×4, first 2 shown]
	v_lshlrev_b16 v7, 8, v7
	v_lshlrev_b16 v4, 8, v4
	v_cndmask_b32_e64 v11, 0, 1, s20
	v_lshlrev_b16 v5, 8, v5
	v_cndmask_b32_e64 v9, 0, 1, s18
	;; [unrolled: 2-line block ×4, first 2 shown]
	v_or_b32_e32 v4, v6, v4
	v_or_b32_e32 v6, v11, v7
	v_or_b32_e32 v7, v12, v8
	s_add_nc_u64 s[12:13], s[4:5], s[0:1]
	v_or_b32_e32 v8, v13, v10
	v_dual_lshlrev_b32 v4, 16, v4 :: v_dual_bitop2_b32 v5, v9, v5 bitop3:0x54
	v_lshlrev_b32_e32 v2, 16, v2
	v_and_b32_e32 v1, 0xffff, v1
	v_lshlrev_b32_e32 v6, 16, v6
	v_and_b32_e32 v3, 0xffff, v3
	v_and_b32_e32 v7, 0xffff, v7
	v_lshlrev_b32_e32 v8, 16, v8
	v_and_b32_e32 v5, 0xffff, v5
	v_or_b32_e32 v2, v1, v2
	v_or_b32_e32 v3, v3, v4
	s_delay_alu instid0(VALU_DEP_3)
	v_or_b32_e32 v4, v5, v6
	v_or_b32_e32 v5, v7, v8
	s_clause 0x1
	global_store_b64 v0, v[2:3], s[12:13] scale_offset
	global_store_b64 v0, v[4:5], s[12:13] offset:2048 scale_offset
	s_branch .LBB300_2
.LBB300_576:
	s_wait_xcnt 0x0
	v_dual_mov_b32 v31, v0 :: v_dual_mov_b32 v0, s9
	v_dual_mov_b32 v1, s10 :: v_dual_mov_b32 v2, s4
	;; [unrolled: 1-line block ×4, first 2 shown]
	s_get_pc_i64 s[0:1]
	s_add_nc_u64 s[0:1], s[0:1], _ZN2at6native25elementwise_kernel_helperILb0ENS0_13AUnaryFunctorIN3c1015Float8_e4m3fnuzES4_bNS0_12_GLOBAL__N_116CompareEqFunctorIS4_EEEENS0_6memory8policies11unroll_baseILi256ESt5arrayIPcLm2EE23TrivialOffsetCalculatorILi1EjESG_NS9_15LoadWithoutCastENS9_16StoreWithoutCastELi16ELi1EEEEEvT0_T1_@rel64+4
	s_delay_alu instid0(SALU_CYCLE_1)
	s_swap_pc_i64 s[30:31], s[0:1]
	s_endpgm
.LBB300_577:
	s_mov_b32 s3, -1
	s_mov_b32 s27, exec_lo
	v_cmpx_eq_u16_e32 0x80, v1
; %bb.578:
	s_xor_b32 s3, exec_lo, -1
; %bb.579:
	s_or_b32 exec_lo, exec_lo, s27
	s_delay_alu instid0(SALU_CYCLE_1)
	s_and_b32 s3, s3, exec_lo
	s_or_saveexec_b32 s26, s26
	v_mov_b32_e32 v2, 0x7f800001
	s_xor_b32 exec_lo, exec_lo, s26
	s_cbranch_execz .LBB300_572
.LBB300_580:
	v_cmp_ne_u16_e32 vcc_lo, 0, v1
	v_mov_b32_e32 v2, 0
	s_and_not1_b32 s3, s3, exec_lo
	s_and_b32 s27, vcc_lo, exec_lo
	s_delay_alu instid0(SALU_CYCLE_1)
	s_or_b32 s3, s3, s27
	s_or_b32 exec_lo, exec_lo, s26
	s_and_saveexec_b32 s26, s3
	s_cbranch_execnz .LBB300_573
	s_branch .LBB300_574
	.section	.rodata,"a",@progbits
	.p2align	6, 0x0
	.amdhsa_kernel _ZN2at6native29vectorized_elementwise_kernelILi8ENS0_13AUnaryFunctorIN3c1015Float8_e4m3fnuzES4_bNS0_12_GLOBAL__N_116CompareEqFunctorIS4_EEEESt5arrayIPcLm2EEEEviT0_T1_
		.amdhsa_group_segment_fixed_size 0
		.amdhsa_private_segment_fixed_size 0
		.amdhsa_kernarg_size 32
		.amdhsa_user_sgpr_count 2
		.amdhsa_user_sgpr_dispatch_ptr 0
		.amdhsa_user_sgpr_queue_ptr 0
		.amdhsa_user_sgpr_kernarg_segment_ptr 1
		.amdhsa_user_sgpr_dispatch_id 0
		.amdhsa_user_sgpr_kernarg_preload_length 0
		.amdhsa_user_sgpr_kernarg_preload_offset 0
		.amdhsa_user_sgpr_private_segment_size 0
		.amdhsa_wavefront_size32 1
		.amdhsa_uses_dynamic_stack 0
		.amdhsa_enable_private_segment 0
		.amdhsa_system_sgpr_workgroup_id_x 1
		.amdhsa_system_sgpr_workgroup_id_y 0
		.amdhsa_system_sgpr_workgroup_id_z 0
		.amdhsa_system_sgpr_workgroup_info 0
		.amdhsa_system_vgpr_workitem_id 0
		.amdhsa_next_free_vgpr 32
		.amdhsa_next_free_sgpr 33
		.amdhsa_named_barrier_count 0
		.amdhsa_reserve_vcc 1
		.amdhsa_float_round_mode_32 0
		.amdhsa_float_round_mode_16_64 0
		.amdhsa_float_denorm_mode_32 3
		.amdhsa_float_denorm_mode_16_64 3
		.amdhsa_fp16_overflow 0
		.amdhsa_memory_ordered 1
		.amdhsa_forward_progress 1
		.amdhsa_inst_pref_size 112
		.amdhsa_round_robin_scheduling 0
		.amdhsa_exception_fp_ieee_invalid_op 0
		.amdhsa_exception_fp_denorm_src 0
		.amdhsa_exception_fp_ieee_div_zero 0
		.amdhsa_exception_fp_ieee_overflow 0
		.amdhsa_exception_fp_ieee_underflow 0
		.amdhsa_exception_fp_ieee_inexact 0
		.amdhsa_exception_int_div_zero 0
	.end_amdhsa_kernel
	.section	.text._ZN2at6native29vectorized_elementwise_kernelILi8ENS0_13AUnaryFunctorIN3c1015Float8_e4m3fnuzES4_bNS0_12_GLOBAL__N_116CompareEqFunctorIS4_EEEESt5arrayIPcLm2EEEEviT0_T1_,"axG",@progbits,_ZN2at6native29vectorized_elementwise_kernelILi8ENS0_13AUnaryFunctorIN3c1015Float8_e4m3fnuzES4_bNS0_12_GLOBAL__N_116CompareEqFunctorIS4_EEEESt5arrayIPcLm2EEEEviT0_T1_,comdat
.Lfunc_end300:
	.size	_ZN2at6native29vectorized_elementwise_kernelILi8ENS0_13AUnaryFunctorIN3c1015Float8_e4m3fnuzES4_bNS0_12_GLOBAL__N_116CompareEqFunctorIS4_EEEESt5arrayIPcLm2EEEEviT0_T1_, .Lfunc_end300-_ZN2at6native29vectorized_elementwise_kernelILi8ENS0_13AUnaryFunctorIN3c1015Float8_e4m3fnuzES4_bNS0_12_GLOBAL__N_116CompareEqFunctorIS4_EEEESt5arrayIPcLm2EEEEviT0_T1_
                                        ; -- End function
	.set _ZN2at6native29vectorized_elementwise_kernelILi8ENS0_13AUnaryFunctorIN3c1015Float8_e4m3fnuzES4_bNS0_12_GLOBAL__N_116CompareEqFunctorIS4_EEEESt5arrayIPcLm2EEEEviT0_T1_.num_vgpr, max(32, .L_ZN2at6native25elementwise_kernel_helperILb0ENS0_13AUnaryFunctorIN3c1015Float8_e4m3fnuzES4_bNS0_12_GLOBAL__N_116CompareEqFunctorIS4_EEEENS0_6memory8policies11unroll_baseILi256ESt5arrayIPcLm2EE23TrivialOffsetCalculatorILi1EjESG_NS9_15LoadWithoutCastENS9_16StoreWithoutCastELi16ELi1EEEEEvT0_T1_.num_vgpr)
	.set _ZN2at6native29vectorized_elementwise_kernelILi8ENS0_13AUnaryFunctorIN3c1015Float8_e4m3fnuzES4_bNS0_12_GLOBAL__N_116CompareEqFunctorIS4_EEEESt5arrayIPcLm2EEEEviT0_T1_.num_agpr, max(0, .L_ZN2at6native25elementwise_kernel_helperILb0ENS0_13AUnaryFunctorIN3c1015Float8_e4m3fnuzES4_bNS0_12_GLOBAL__N_116CompareEqFunctorIS4_EEEENS0_6memory8policies11unroll_baseILi256ESt5arrayIPcLm2EE23TrivialOffsetCalculatorILi1EjESG_NS9_15LoadWithoutCastENS9_16StoreWithoutCastELi16ELi1EEEEEvT0_T1_.num_agpr)
	.set _ZN2at6native29vectorized_elementwise_kernelILi8ENS0_13AUnaryFunctorIN3c1015Float8_e4m3fnuzES4_bNS0_12_GLOBAL__N_116CompareEqFunctorIS4_EEEESt5arrayIPcLm2EEEEviT0_T1_.numbered_sgpr, max(33, .L_ZN2at6native25elementwise_kernel_helperILb0ENS0_13AUnaryFunctorIN3c1015Float8_e4m3fnuzES4_bNS0_12_GLOBAL__N_116CompareEqFunctorIS4_EEEENS0_6memory8policies11unroll_baseILi256ESt5arrayIPcLm2EE23TrivialOffsetCalculatorILi1EjESG_NS9_15LoadWithoutCastENS9_16StoreWithoutCastELi16ELi1EEEEEvT0_T1_.numbered_sgpr)
	.set _ZN2at6native29vectorized_elementwise_kernelILi8ENS0_13AUnaryFunctorIN3c1015Float8_e4m3fnuzES4_bNS0_12_GLOBAL__N_116CompareEqFunctorIS4_EEEESt5arrayIPcLm2EEEEviT0_T1_.num_named_barrier, max(0, .L_ZN2at6native25elementwise_kernel_helperILb0ENS0_13AUnaryFunctorIN3c1015Float8_e4m3fnuzES4_bNS0_12_GLOBAL__N_116CompareEqFunctorIS4_EEEENS0_6memory8policies11unroll_baseILi256ESt5arrayIPcLm2EE23TrivialOffsetCalculatorILi1EjESG_NS9_15LoadWithoutCastENS9_16StoreWithoutCastELi16ELi1EEEEEvT0_T1_.num_named_barrier)
	.set _ZN2at6native29vectorized_elementwise_kernelILi8ENS0_13AUnaryFunctorIN3c1015Float8_e4m3fnuzES4_bNS0_12_GLOBAL__N_116CompareEqFunctorIS4_EEEESt5arrayIPcLm2EEEEviT0_T1_.private_seg_size, 0+max(.L_ZN2at6native25elementwise_kernel_helperILb0ENS0_13AUnaryFunctorIN3c1015Float8_e4m3fnuzES4_bNS0_12_GLOBAL__N_116CompareEqFunctorIS4_EEEENS0_6memory8policies11unroll_baseILi256ESt5arrayIPcLm2EE23TrivialOffsetCalculatorILi1EjESG_NS9_15LoadWithoutCastENS9_16StoreWithoutCastELi16ELi1EEEEEvT0_T1_.private_seg_size)
	.set _ZN2at6native29vectorized_elementwise_kernelILi8ENS0_13AUnaryFunctorIN3c1015Float8_e4m3fnuzES4_bNS0_12_GLOBAL__N_116CompareEqFunctorIS4_EEEESt5arrayIPcLm2EEEEviT0_T1_.uses_vcc, or(1, .L_ZN2at6native25elementwise_kernel_helperILb0ENS0_13AUnaryFunctorIN3c1015Float8_e4m3fnuzES4_bNS0_12_GLOBAL__N_116CompareEqFunctorIS4_EEEENS0_6memory8policies11unroll_baseILi256ESt5arrayIPcLm2EE23TrivialOffsetCalculatorILi1EjESG_NS9_15LoadWithoutCastENS9_16StoreWithoutCastELi16ELi1EEEEEvT0_T1_.uses_vcc)
	.set _ZN2at6native29vectorized_elementwise_kernelILi8ENS0_13AUnaryFunctorIN3c1015Float8_e4m3fnuzES4_bNS0_12_GLOBAL__N_116CompareEqFunctorIS4_EEEESt5arrayIPcLm2EEEEviT0_T1_.uses_flat_scratch, or(0, .L_ZN2at6native25elementwise_kernel_helperILb0ENS0_13AUnaryFunctorIN3c1015Float8_e4m3fnuzES4_bNS0_12_GLOBAL__N_116CompareEqFunctorIS4_EEEENS0_6memory8policies11unroll_baseILi256ESt5arrayIPcLm2EE23TrivialOffsetCalculatorILi1EjESG_NS9_15LoadWithoutCastENS9_16StoreWithoutCastELi16ELi1EEEEEvT0_T1_.uses_flat_scratch)
	.set _ZN2at6native29vectorized_elementwise_kernelILi8ENS0_13AUnaryFunctorIN3c1015Float8_e4m3fnuzES4_bNS0_12_GLOBAL__N_116CompareEqFunctorIS4_EEEESt5arrayIPcLm2EEEEviT0_T1_.has_dyn_sized_stack, or(0, .L_ZN2at6native25elementwise_kernel_helperILb0ENS0_13AUnaryFunctorIN3c1015Float8_e4m3fnuzES4_bNS0_12_GLOBAL__N_116CompareEqFunctorIS4_EEEENS0_6memory8policies11unroll_baseILi256ESt5arrayIPcLm2EE23TrivialOffsetCalculatorILi1EjESG_NS9_15LoadWithoutCastENS9_16StoreWithoutCastELi16ELi1EEEEEvT0_T1_.has_dyn_sized_stack)
	.set _ZN2at6native29vectorized_elementwise_kernelILi8ENS0_13AUnaryFunctorIN3c1015Float8_e4m3fnuzES4_bNS0_12_GLOBAL__N_116CompareEqFunctorIS4_EEEESt5arrayIPcLm2EEEEviT0_T1_.has_recursion, or(0, .L_ZN2at6native25elementwise_kernel_helperILb0ENS0_13AUnaryFunctorIN3c1015Float8_e4m3fnuzES4_bNS0_12_GLOBAL__N_116CompareEqFunctorIS4_EEEENS0_6memory8policies11unroll_baseILi256ESt5arrayIPcLm2EE23TrivialOffsetCalculatorILi1EjESG_NS9_15LoadWithoutCastENS9_16StoreWithoutCastELi16ELi1EEEEEvT0_T1_.has_recursion)
	.set _ZN2at6native29vectorized_elementwise_kernelILi8ENS0_13AUnaryFunctorIN3c1015Float8_e4m3fnuzES4_bNS0_12_GLOBAL__N_116CompareEqFunctorIS4_EEEESt5arrayIPcLm2EEEEviT0_T1_.has_indirect_call, or(0, .L_ZN2at6native25elementwise_kernel_helperILb0ENS0_13AUnaryFunctorIN3c1015Float8_e4m3fnuzES4_bNS0_12_GLOBAL__N_116CompareEqFunctorIS4_EEEENS0_6memory8policies11unroll_baseILi256ESt5arrayIPcLm2EE23TrivialOffsetCalculatorILi1EjESG_NS9_15LoadWithoutCastENS9_16StoreWithoutCastELi16ELi1EEEEEvT0_T1_.has_indirect_call)
	.section	.AMDGPU.csdata,"",@progbits
; Kernel info:
; codeLenInByte = 14232
; TotalNumSgprs: 35
; NumVgprs: 32
; ScratchSize: 0
; MemoryBound: 0
; FloatMode: 240
; IeeeMode: 1
; LDSByteSize: 0 bytes/workgroup (compile time only)
; SGPRBlocks: 0
; VGPRBlocks: 1
; NumSGPRsForWavesPerEU: 35
; NumVGPRsForWavesPerEU: 32
; NamedBarCnt: 0
; Occupancy: 16
; WaveLimiterHint : 1
; COMPUTE_PGM_RSRC2:SCRATCH_EN: 0
; COMPUTE_PGM_RSRC2:USER_SGPR: 2
; COMPUTE_PGM_RSRC2:TRAP_HANDLER: 0
; COMPUTE_PGM_RSRC2:TGID_X_EN: 1
; COMPUTE_PGM_RSRC2:TGID_Y_EN: 0
; COMPUTE_PGM_RSRC2:TGID_Z_EN: 0
; COMPUTE_PGM_RSRC2:TIDIG_COMP_CNT: 0
	.section	.text._ZN2at6native29vectorized_elementwise_kernelILi4ENS0_13AUnaryFunctorIN3c1015Float8_e4m3fnuzES4_bNS0_12_GLOBAL__N_116CompareEqFunctorIS4_EEEESt5arrayIPcLm2EEEEviT0_T1_,"axG",@progbits,_ZN2at6native29vectorized_elementwise_kernelILi4ENS0_13AUnaryFunctorIN3c1015Float8_e4m3fnuzES4_bNS0_12_GLOBAL__N_116CompareEqFunctorIS4_EEEESt5arrayIPcLm2EEEEviT0_T1_,comdat
	.globl	_ZN2at6native29vectorized_elementwise_kernelILi4ENS0_13AUnaryFunctorIN3c1015Float8_e4m3fnuzES4_bNS0_12_GLOBAL__N_116CompareEqFunctorIS4_EEEESt5arrayIPcLm2EEEEviT0_T1_ ; -- Begin function _ZN2at6native29vectorized_elementwise_kernelILi4ENS0_13AUnaryFunctorIN3c1015Float8_e4m3fnuzES4_bNS0_12_GLOBAL__N_116CompareEqFunctorIS4_EEEESt5arrayIPcLm2EEEEviT0_T1_
	.p2align	8
	.type	_ZN2at6native29vectorized_elementwise_kernelILi4ENS0_13AUnaryFunctorIN3c1015Float8_e4m3fnuzES4_bNS0_12_GLOBAL__N_116CompareEqFunctorIS4_EEEESt5arrayIPcLm2EEEEviT0_T1_,@function
_ZN2at6native29vectorized_elementwise_kernelILi4ENS0_13AUnaryFunctorIN3c1015Float8_e4m3fnuzES4_bNS0_12_GLOBAL__N_116CompareEqFunctorIS4_EEEESt5arrayIPcLm2EEEEviT0_T1_: ; @_ZN2at6native29vectorized_elementwise_kernelILi4ENS0_13AUnaryFunctorIN3c1015Float8_e4m3fnuzES4_bNS0_12_GLOBAL__N_116CompareEqFunctorIS4_EEEESt5arrayIPcLm2EEEEviT0_T1_
; %bb.0:
	s_clause 0x1
	s_load_b96 s[8:10], s[0:1], 0x0
	s_load_b128 s[4:7], s[0:1], 0x10
	s_wait_xcnt 0x0
	s_bfe_u32 s0, ttmp6, 0x4000c
	s_and_b32 s1, ttmp6, 15
	s_add_co_i32 s0, s0, 1
	s_getreg_b32 s2, hwreg(HW_REG_IB_STS2, 6, 4)
	s_mul_i32 s0, ttmp9, s0
	s_mov_b32 s32, 0
	s_add_co_i32 s1, s1, s0
	s_cmp_eq_u32 s2, 0
	s_cselect_b32 s0, ttmp9, s1
	s_mov_b32 s1, -1
	s_lshl_b32 s0, s0, 12
	s_wait_kmcnt 0x0
	s_sub_co_i32 s2, s8, s0
	s_delay_alu instid0(SALU_CYCLE_1)
	s_cmp_gt_i32 s2, 0xfff
	s_cbranch_scc1 .LBB301_3
; %bb.1:
	s_and_b32 vcc_lo, exec_lo, s1
	s_cbranch_vccnz .LBB301_576
.LBB301_2:
	s_sendmsg sendmsg(MSG_DEALLOC_VGPRS)
	s_endpgm
.LBB301_3:
	s_ashr_i32 s1, s0, 31
	s_cmp_lg_u32 s9, 0
	s_add_nc_u64 s[12:13], s[6:7], s[0:1]
	s_cselect_b32 s11, -1, 0
	s_clause 0x3
	global_load_b32 v5, v0, s[12:13] scale_offset
	global_load_b32 v4, v0, s[12:13] offset:1024 scale_offset
	global_load_b32 v3, v0, s[12:13] offset:2048 scale_offset
	;; [unrolled: 1-line block ×3, first 2 shown]
	s_and_b32 s3, s10, 7
	s_wait_xcnt 0x0
	s_bfe_u32 s13, s10, 0x40003
	s_clz_i32_u32 s8, s3
	s_delay_alu instid0(SALU_CYCLE_1) | instskip(NEXT) | instid1(SALU_CYCLE_1)
	s_min_u32 s8, s8, 32
	s_sub_co_i32 s12, s8, 28
	s_sub_co_i32 s8, 29, s8
	s_lshl_b32 s12, s10, s12
	s_delay_alu instid0(SALU_CYCLE_1)
	s_and_b32 s12, s12, 7
	s_cmp_eq_u32 s13, 0
	s_cselect_b32 s8, s8, s13
	s_cselect_b32 s3, s12, s3
	s_lshl_b32 s12, s10, 24
	s_lshl_b32 s8, s8, 23
	s_and_b32 s12, s12, 0x80000000
	s_add_co_i32 s8, s8, 0x3b800000
	s_lshl_b32 s3, s3, 20
	s_or_b32 s8, s12, s8
	s_and_b32 vcc_lo, exec_lo, s11
	s_or_b32 s3, s8, s3
	s_cbranch_vccz .LBB301_8
; %bb.4:
	s_and_b32 s12, s10, 0xff
	s_delay_alu instid0(SALU_CYCLE_1)
	s_cmp_lt_i32 s12, 0x80
	s_cbranch_scc1 .LBB301_14
; %bb.5:
	s_and_b32 s8, 0xffff, s12
	s_mov_b32 s13, -1
	s_cmp_eq_u32 s8, 0x80
	s_cbranch_scc0 .LBB301_7
; %bb.6:
	s_mov_b32 s13, 0
.LBB301_7:
	s_mov_b32 s8, 0x7f800001
	s_branch .LBB301_16
.LBB301_8:
                                        ; implicit-def: $sgpr8
	s_cbranch_execnz .LBB301_23
.LBB301_9:
	v_cndmask_b32_e64 v2, 0, 1, s11
	s_wait_loadcnt 0x3
	v_lshrrev_b32_e32 v6, 8, v5
	s_and_not1_b32 vcc_lo, exec_lo, s11
	s_cbranch_vccnz .LBB301_305
.LBB301_10:
	s_and_b32 s12, s10, 0xff
	s_delay_alu instid0(SALU_CYCLE_1)
	s_cmp_lt_i32 s12, 0x80
	s_cbranch_scc1 .LBB301_27
; %bb.11:
	s_and_b32 s11, 0xffff, s12
	s_mov_b32 s13, -1
	s_cmp_eq_u32 s11, 0x80
	s_cbranch_scc0 .LBB301_13
; %bb.12:
	s_mov_b32 s13, 0
.LBB301_13:
	s_mov_b32 s11, 0x7f800001
	s_branch .LBB301_29
.LBB301_14:
	s_mov_b32 s13, 0
	s_mov_b32 s8, 0x7f800001
	s_cbranch_execz .LBB301_16
; %bb.15:
	s_and_b32 s8, 0xffff, s12
	s_delay_alu instid0(SALU_CYCLE_1)
	s_cmp_lg_u32 s8, 0
	s_mov_b32 s8, 0
	s_cselect_b32 s13, -1, 0
.LBB301_16:
	s_delay_alu instid0(SALU_CYCLE_1)
	s_and_not1_b32 vcc_lo, exec_lo, s13
	s_cbranch_vccnz .LBB301_18
; %bb.17:
	s_mov_b32 s8, s3
.LBB301_18:
	s_wait_loadcnt 0x3
	v_and_b32_e32 v6, 0xff, v5
	s_mov_b32 s12, 0
	s_mov_b32 s13, exec_lo
	s_delay_alu instid0(VALU_DEP_1)
	v_cmpx_lt_i16_e32 0x7f, v6
	s_xor_b32 s13, exec_lo, s13
	s_cbranch_execnz .LBB301_41
; %bb.19:
	s_or_saveexec_b32 s13, s13
	v_mov_b32_e32 v2, 0x7f800001
	s_xor_b32 exec_lo, exec_lo, s13
	s_cbranch_execnz .LBB301_44
.LBB301_20:
	s_or_b32 exec_lo, exec_lo, s13
	s_and_saveexec_b32 s13, s12
	s_cbranch_execz .LBB301_22
.LBB301_21:
	v_and_b32_e32 v2, 7, v5
	v_bfe_u32 v8, v5, 3, 4
	s_delay_alu instid0(VALU_DEP_2) | instskip(NEXT) | instid1(VALU_DEP_2)
	v_clz_i32_u32_e32 v6, v2
	v_cmp_eq_u32_e32 vcc_lo, 0, v8
	s_delay_alu instid0(VALU_DEP_2) | instskip(NEXT) | instid1(VALU_DEP_1)
	v_min_u32_e32 v6, 32, v6
	v_subrev_nc_u32_e32 v7, 28, v6
	s_delay_alu instid0(VALU_DEP_1) | instskip(NEXT) | instid1(VALU_DEP_1)
	v_dual_lshlrev_b32 v7, v7, v5 :: v_dual_sub_nc_u32 v6, 29, v6
	v_dual_lshlrev_b32 v9, 24, v5 :: v_dual_bitop2_b32 v7, 7, v7 bitop3:0x40
	s_delay_alu instid0(VALU_DEP_1) | instskip(NEXT) | instid1(VALU_DEP_2)
	v_dual_cndmask_b32 v6, v8, v6, vcc_lo :: v_dual_cndmask_b32 v2, v2, v7, vcc_lo
	v_and_b32_e32 v7, 0x80000000, v9
	s_delay_alu instid0(VALU_DEP_2) | instskip(NEXT) | instid1(VALU_DEP_3)
	v_lshl_add_u32 v6, v6, 23, 0x3b800000
	v_lshlrev_b32_e32 v2, 20, v2
	s_delay_alu instid0(VALU_DEP_1)
	v_or3_b32 v2, v7, v6, v2
.LBB301_22:
	s_or_b32 exec_lo, exec_lo, s13
	s_delay_alu instid0(VALU_DEP_1)
	v_cmp_neq_f32_e64 s8, s8, v2
	s_branch .LBB301_9
.LBB301_23:
	s_and_b32 s12, s10, 0xff
	s_delay_alu instid0(SALU_CYCLE_1)
	s_cmp_lt_i32 s12, 0x80
	s_cbranch_scc1 .LBB301_296
; %bb.24:
	s_and_b32 s8, 0xffff, s12
	s_mov_b32 s13, -1
	s_cmp_eq_u32 s8, 0x80
	s_cbranch_scc0 .LBB301_26
; %bb.25:
	s_mov_b32 s13, 0
.LBB301_26:
	s_mov_b32 s8, 0x7f800001
	s_branch .LBB301_298
.LBB301_27:
	s_mov_b32 s13, 0
	s_mov_b32 s11, 0x7f800001
	s_cbranch_execz .LBB301_29
; %bb.28:
	s_and_b32 s11, 0xffff, s12
	s_delay_alu instid0(SALU_CYCLE_1)
	s_cmp_lg_u32 s11, 0
	s_mov_b32 s11, 0
	s_cselect_b32 s13, -1, 0
.LBB301_29:
	s_delay_alu instid0(SALU_CYCLE_1)
	s_and_not1_b32 vcc_lo, exec_lo, s13
	s_cbranch_vccnz .LBB301_31
; %bb.30:
	s_mov_b32 s11, s3
.LBB301_31:
	v_and_b32_e32 v8, 0xff, v6
	s_mov_b32 s12, 0
	s_mov_b32 s13, exec_lo
	s_delay_alu instid0(VALU_DEP_1)
	v_cmpx_lt_i16_e32 0x7f, v8
	s_xor_b32 s13, exec_lo, s13
	s_cbranch_execnz .LBB301_45
; %bb.32:
	s_or_saveexec_b32 s13, s13
	v_mov_b32_e32 v7, 0x7f800001
	s_xor_b32 exec_lo, exec_lo, s13
	s_cbranch_execnz .LBB301_48
.LBB301_33:
	s_or_b32 exec_lo, exec_lo, s13
	s_and_saveexec_b32 s13, s12
	s_cbranch_execz .LBB301_35
.LBB301_34:
	v_bfe_u32 v7, v5, 8, 3
	v_bfe_u32 v10, v5, 11, 4
	v_lshlrev_b32_e32 v11, 24, v6
	s_delay_alu instid0(VALU_DEP_3) | instskip(NEXT) | instid1(VALU_DEP_3)
	v_clz_i32_u32_e32 v8, v7
	v_cmp_eq_u32_e32 vcc_lo, 0, v10
	s_delay_alu instid0(VALU_DEP_2) | instskip(NEXT) | instid1(VALU_DEP_1)
	v_min_u32_e32 v8, 32, v8
	v_subrev_nc_u32_e32 v9, 28, v8
	s_delay_alu instid0(VALU_DEP_1) | instskip(NEXT) | instid1(VALU_DEP_1)
	v_dual_sub_nc_u32 v8, 29, v8 :: v_dual_lshlrev_b32 v9, v9, v6
	v_dual_cndmask_b32 v8, v10, v8, vcc_lo :: v_dual_bitop2_b32 v9, 7, v9 bitop3:0x40
	s_delay_alu instid0(VALU_DEP_1) | instskip(SKIP_1) | instid1(VALU_DEP_3)
	v_cndmask_b32_e32 v7, v7, v9, vcc_lo
	v_and_b32_e32 v9, 0x80000000, v11
	v_lshl_add_u32 v8, v8, 23, 0x3b800000
	s_delay_alu instid0(VALU_DEP_3) | instskip(NEXT) | instid1(VALU_DEP_1)
	v_lshlrev_b32_e32 v7, 20, v7
	v_or3_b32 v7, v9, v8, v7
.LBB301_35:
	s_or_b32 exec_lo, exec_lo, s13
	s_delay_alu instid0(VALU_DEP_1)
	v_cmp_neq_f32_e64 s11, s11, v7
.LBB301_36:
	v_cmp_ne_u32_e32 vcc_lo, 1, v2
	v_lshrrev_b32_e32 v6, 16, v5
	s_cbranch_vccnz .LBB301_323
.LBB301_37:
	s_and_b32 s13, s10, 0xff
	s_delay_alu instid0(SALU_CYCLE_1)
	s_cmp_lt_i32 s13, 0x80
	s_cbranch_scc1 .LBB301_49
; %bb.38:
	s_and_b32 s12, 0xffff, s13
	s_mov_b32 s14, -1
	s_cmp_eq_u32 s12, 0x80
	s_cbranch_scc0 .LBB301_40
; %bb.39:
	s_mov_b32 s14, 0
.LBB301_40:
	s_mov_b32 s12, 0x7f800001
	s_branch .LBB301_51
.LBB301_41:
	s_mov_b32 s12, -1
	s_mov_b32 s14, exec_lo
	v_cmpx_eq_u16_e32 0x80, v6
; %bb.42:
	s_xor_b32 s12, exec_lo, -1
; %bb.43:
	s_or_b32 exec_lo, exec_lo, s14
	s_delay_alu instid0(SALU_CYCLE_1)
	s_and_b32 s12, s12, exec_lo
                                        ; implicit-def: $vgpr6
	s_or_saveexec_b32 s13, s13
	v_mov_b32_e32 v2, 0x7f800001
	s_xor_b32 exec_lo, exec_lo, s13
	s_cbranch_execz .LBB301_20
.LBB301_44:
	v_cmp_ne_u16_e32 vcc_lo, 0, v6
	v_mov_b32_e32 v2, 0
	s_and_not1_b32 s12, s12, exec_lo
	s_and_b32 s14, vcc_lo, exec_lo
	s_delay_alu instid0(SALU_CYCLE_1)
	s_or_b32 s12, s12, s14
	s_or_b32 exec_lo, exec_lo, s13
	s_and_saveexec_b32 s13, s12
	s_cbranch_execnz .LBB301_21
	s_branch .LBB301_22
.LBB301_45:
	s_mov_b32 s12, -1
	s_mov_b32 s14, exec_lo
	v_cmpx_eq_u16_e32 0x80, v8
; %bb.46:
	s_xor_b32 s12, exec_lo, -1
; %bb.47:
	s_or_b32 exec_lo, exec_lo, s14
	s_delay_alu instid0(SALU_CYCLE_1)
	s_and_b32 s12, s12, exec_lo
                                        ; implicit-def: $vgpr8
	s_or_saveexec_b32 s13, s13
	v_mov_b32_e32 v7, 0x7f800001
	s_xor_b32 exec_lo, exec_lo, s13
	s_cbranch_execz .LBB301_33
.LBB301_48:
	v_cmp_ne_u16_e32 vcc_lo, 0, v8
	v_mov_b32_e32 v7, 0
	s_and_not1_b32 s12, s12, exec_lo
	s_and_b32 s14, vcc_lo, exec_lo
	s_delay_alu instid0(SALU_CYCLE_1)
	s_or_b32 s12, s12, s14
	s_or_b32 exec_lo, exec_lo, s13
	s_and_saveexec_b32 s13, s12
	s_cbranch_execnz .LBB301_34
	s_branch .LBB301_35
.LBB301_49:
	s_mov_b32 s14, 0
	s_mov_b32 s12, 0x7f800001
	s_cbranch_execz .LBB301_51
; %bb.50:
	s_and_b32 s12, 0xffff, s13
	s_delay_alu instid0(SALU_CYCLE_1)
	s_cmp_lg_u32 s12, 0
	s_mov_b32 s12, 0
	s_cselect_b32 s14, -1, 0
.LBB301_51:
	s_delay_alu instid0(SALU_CYCLE_1)
	s_and_not1_b32 vcc_lo, exec_lo, s14
	s_cbranch_vccnz .LBB301_53
; %bb.52:
	s_mov_b32 s12, s3
.LBB301_53:
	v_and_b32_e32 v8, 0xff, v6
	s_mov_b32 s13, 0
	s_mov_b32 s14, exec_lo
	s_delay_alu instid0(VALU_DEP_1)
	v_cmpx_lt_i16_e32 0x7f, v8
	s_xor_b32 s14, exec_lo, s14
	s_cbranch_execnz .LBB301_63
; %bb.54:
	s_or_saveexec_b32 s14, s14
	v_mov_b32_e32 v7, 0x7f800001
	s_xor_b32 exec_lo, exec_lo, s14
	s_cbranch_execnz .LBB301_66
.LBB301_55:
	s_or_b32 exec_lo, exec_lo, s14
	s_and_saveexec_b32 s14, s13
	s_cbranch_execz .LBB301_57
.LBB301_56:
	v_bfe_u32 v7, v5, 16, 3
	v_bfe_u32 v10, v5, 19, 4
	v_lshlrev_b32_e32 v11, 24, v6
	s_delay_alu instid0(VALU_DEP_3) | instskip(NEXT) | instid1(VALU_DEP_3)
	v_clz_i32_u32_e32 v8, v7
	v_cmp_eq_u32_e32 vcc_lo, 0, v10
	s_delay_alu instid0(VALU_DEP_2) | instskip(NEXT) | instid1(VALU_DEP_1)
	v_min_u32_e32 v8, 32, v8
	v_subrev_nc_u32_e32 v9, 28, v8
	s_delay_alu instid0(VALU_DEP_1) | instskip(NEXT) | instid1(VALU_DEP_1)
	v_dual_sub_nc_u32 v8, 29, v8 :: v_dual_lshlrev_b32 v9, v9, v6
	v_dual_cndmask_b32 v8, v10, v8, vcc_lo :: v_dual_bitop2_b32 v9, 7, v9 bitop3:0x40
	s_delay_alu instid0(VALU_DEP_1) | instskip(SKIP_1) | instid1(VALU_DEP_3)
	v_cndmask_b32_e32 v7, v7, v9, vcc_lo
	v_and_b32_e32 v9, 0x80000000, v11
	v_lshl_add_u32 v8, v8, 23, 0x3b800000
	s_delay_alu instid0(VALU_DEP_3) | instskip(NEXT) | instid1(VALU_DEP_1)
	v_lshlrev_b32_e32 v7, 20, v7
	v_or3_b32 v7, v9, v8, v7
.LBB301_57:
	s_or_b32 exec_lo, exec_lo, s14
	s_delay_alu instid0(VALU_DEP_1)
	v_cmp_neq_f32_e64 s12, s12, v7
.LBB301_58:
	v_cmp_ne_u32_e32 vcc_lo, 1, v2
	v_lshrrev_b32_e32 v6, 24, v5
	s_cbranch_vccnz .LBB301_341
.LBB301_59:
	s_and_b32 s14, s10, 0xff
	s_delay_alu instid0(SALU_CYCLE_1)
	s_cmp_lt_i32 s14, 0x80
	s_cbranch_scc1 .LBB301_67
; %bb.60:
	s_and_b32 s13, 0xffff, s14
	s_mov_b32 s15, -1
	s_cmp_eq_u32 s13, 0x80
	s_cbranch_scc0 .LBB301_62
; %bb.61:
	s_mov_b32 s15, 0
.LBB301_62:
	s_mov_b32 s13, 0x7f800001
	s_branch .LBB301_69
.LBB301_63:
	s_mov_b32 s13, -1
	s_mov_b32 s15, exec_lo
	v_cmpx_eq_u16_e32 0x80, v8
; %bb.64:
	s_xor_b32 s13, exec_lo, -1
; %bb.65:
	s_or_b32 exec_lo, exec_lo, s15
	s_delay_alu instid0(SALU_CYCLE_1)
	s_and_b32 s13, s13, exec_lo
                                        ; implicit-def: $vgpr8
	s_or_saveexec_b32 s14, s14
	v_mov_b32_e32 v7, 0x7f800001
	s_xor_b32 exec_lo, exec_lo, s14
	s_cbranch_execz .LBB301_55
.LBB301_66:
	v_cmp_ne_u16_e32 vcc_lo, 0, v8
	v_mov_b32_e32 v7, 0
	s_and_not1_b32 s13, s13, exec_lo
	s_and_b32 s15, vcc_lo, exec_lo
	s_delay_alu instid0(SALU_CYCLE_1)
	s_or_b32 s13, s13, s15
	s_or_b32 exec_lo, exec_lo, s14
	s_and_saveexec_b32 s14, s13
	s_cbranch_execnz .LBB301_56
	s_branch .LBB301_57
.LBB301_67:
	s_mov_b32 s15, 0
	s_mov_b32 s13, 0x7f800001
	s_cbranch_execz .LBB301_69
; %bb.68:
	s_and_b32 s13, 0xffff, s14
	s_delay_alu instid0(SALU_CYCLE_1)
	s_cmp_lg_u32 s13, 0
	s_mov_b32 s13, 0
	s_cselect_b32 s15, -1, 0
.LBB301_69:
	s_delay_alu instid0(SALU_CYCLE_1)
	s_and_not1_b32 vcc_lo, exec_lo, s15
	s_cbranch_vccnz .LBB301_71
; %bb.70:
	s_mov_b32 s13, s3
.LBB301_71:
	s_mov_b32 s14, 0
	s_mov_b32 s15, exec_lo
	v_cmpx_lt_i16_e32 0x7f, v6
	s_xor_b32 s15, exec_lo, s15
	s_cbranch_execnz .LBB301_81
; %bb.72:
	s_or_saveexec_b32 s15, s15
	v_mov_b32_e32 v7, 0x7f800001
	s_xor_b32 exec_lo, exec_lo, s15
	s_cbranch_execnz .LBB301_84
.LBB301_73:
	s_or_b32 exec_lo, exec_lo, s15
	s_and_saveexec_b32 s15, s14
	s_cbranch_execz .LBB301_75
.LBB301_74:
	v_bfe_u32 v7, v5, 24, 3
	v_bfe_u32 v10, v5, 27, 4
	s_delay_alu instid0(VALU_DEP_2) | instskip(NEXT) | instid1(VALU_DEP_2)
	v_clz_i32_u32_e32 v8, v7
	v_cmp_eq_u32_e32 vcc_lo, 0, v10
	s_delay_alu instid0(VALU_DEP_2) | instskip(NEXT) | instid1(VALU_DEP_1)
	v_min_u32_e32 v8, 32, v8
	v_subrev_nc_u32_e32 v9, 28, v8
	s_delay_alu instid0(VALU_DEP_1) | instskip(NEXT) | instid1(VALU_DEP_1)
	v_dual_sub_nc_u32 v8, 29, v8 :: v_dual_lshlrev_b32 v9, v9, v6
	v_dual_cndmask_b32 v8, v10, v8, vcc_lo :: v_dual_bitop2_b32 v9, 7, v9 bitop3:0x40
	s_delay_alu instid0(VALU_DEP_1) | instskip(NEXT) | instid1(VALU_DEP_2)
	v_lshl_add_u32 v8, v8, 23, 0x3b800000
	v_cndmask_b32_e32 v7, v7, v9, vcc_lo
	v_and_b32_e32 v9, 0x80000000, v5
	s_delay_alu instid0(VALU_DEP_2) | instskip(NEXT) | instid1(VALU_DEP_1)
	v_lshlrev_b32_e32 v7, 20, v7
	v_or3_b32 v7, v9, v8, v7
.LBB301_75:
	s_or_b32 exec_lo, exec_lo, s15
	s_delay_alu instid0(VALU_DEP_1)
	v_cmp_neq_f32_e64 s13, s13, v7
.LBB301_76:
	v_cmp_ne_u32_e32 vcc_lo, 1, v2
	s_cbranch_vccnz .LBB301_359
.LBB301_77:
	s_and_b32 s15, s10, 0xff
	s_delay_alu instid0(SALU_CYCLE_1)
	s_cmp_lt_i32 s15, 0x80
	s_cbranch_scc1 .LBB301_85
; %bb.78:
	s_and_b32 s14, 0xffff, s15
	s_mov_b32 s16, -1
	s_cmp_eq_u32 s14, 0x80
	s_cbranch_scc0 .LBB301_80
; %bb.79:
	s_mov_b32 s16, 0
.LBB301_80:
	s_mov_b32 s14, 0x7f800001
	s_branch .LBB301_87
.LBB301_81:
	s_mov_b32 s14, -1
	s_mov_b32 s16, exec_lo
	v_cmpx_eq_u16_e32 0x80, v6
; %bb.82:
	s_xor_b32 s14, exec_lo, -1
; %bb.83:
	s_or_b32 exec_lo, exec_lo, s16
	s_delay_alu instid0(SALU_CYCLE_1)
	s_and_b32 s14, s14, exec_lo
	s_or_saveexec_b32 s15, s15
	v_mov_b32_e32 v7, 0x7f800001
	s_xor_b32 exec_lo, exec_lo, s15
	s_cbranch_execz .LBB301_73
.LBB301_84:
	v_cmp_ne_u16_e32 vcc_lo, 0, v6
	v_mov_b32_e32 v7, 0
	s_and_not1_b32 s14, s14, exec_lo
	s_and_b32 s16, vcc_lo, exec_lo
	s_delay_alu instid0(SALU_CYCLE_1)
	s_or_b32 s14, s14, s16
	s_or_b32 exec_lo, exec_lo, s15
	s_and_saveexec_b32 s15, s14
	s_cbranch_execnz .LBB301_74
	s_branch .LBB301_75
.LBB301_85:
	s_mov_b32 s16, 0
	s_mov_b32 s14, 0x7f800001
	s_cbranch_execz .LBB301_87
; %bb.86:
	s_and_b32 s14, 0xffff, s15
	s_delay_alu instid0(SALU_CYCLE_1)
	s_cmp_lg_u32 s14, 0
	s_mov_b32 s14, 0
	s_cselect_b32 s16, -1, 0
.LBB301_87:
	s_delay_alu instid0(SALU_CYCLE_1)
	s_and_not1_b32 vcc_lo, exec_lo, s16
	s_cbranch_vccnz .LBB301_89
; %bb.88:
	s_mov_b32 s14, s3
.LBB301_89:
	s_wait_loadcnt 0x2
	v_and_b32_e32 v6, 0xff, v4
	s_mov_b32 s15, 0
	s_mov_b32 s16, exec_lo
	s_delay_alu instid0(VALU_DEP_1)
	v_cmpx_lt_i16_e32 0x7f, v6
	s_xor_b32 s16, exec_lo, s16
	s_cbranch_execnz .LBB301_99
; %bb.90:
	s_or_saveexec_b32 s16, s16
	v_mov_b32_e32 v5, 0x7f800001
	s_xor_b32 exec_lo, exec_lo, s16
	s_cbranch_execnz .LBB301_102
.LBB301_91:
	s_or_b32 exec_lo, exec_lo, s16
	s_and_saveexec_b32 s16, s15
	s_cbranch_execz .LBB301_93
.LBB301_92:
	v_and_b32_e32 v5, 7, v4
	v_bfe_u32 v8, v4, 3, 4
	s_delay_alu instid0(VALU_DEP_2) | instskip(NEXT) | instid1(VALU_DEP_2)
	v_clz_i32_u32_e32 v6, v5
	v_cmp_eq_u32_e32 vcc_lo, 0, v8
	s_delay_alu instid0(VALU_DEP_2) | instskip(NEXT) | instid1(VALU_DEP_1)
	v_min_u32_e32 v6, 32, v6
	v_subrev_nc_u32_e32 v7, 28, v6
	s_delay_alu instid0(VALU_DEP_1) | instskip(NEXT) | instid1(VALU_DEP_1)
	v_dual_lshlrev_b32 v7, v7, v4 :: v_dual_sub_nc_u32 v6, 29, v6
	v_dual_lshlrev_b32 v9, 24, v4 :: v_dual_bitop2_b32 v7, 7, v7 bitop3:0x40
	s_delay_alu instid0(VALU_DEP_1) | instskip(NEXT) | instid1(VALU_DEP_2)
	v_dual_cndmask_b32 v6, v8, v6 :: v_dual_cndmask_b32 v5, v5, v7
	v_and_b32_e32 v7, 0x80000000, v9
	s_delay_alu instid0(VALU_DEP_2) | instskip(NEXT) | instid1(VALU_DEP_3)
	v_lshl_add_u32 v6, v6, 23, 0x3b800000
	v_lshlrev_b32_e32 v5, 20, v5
	s_delay_alu instid0(VALU_DEP_1)
	v_or3_b32 v5, v7, v6, v5
.LBB301_93:
	s_or_b32 exec_lo, exec_lo, s16
	s_delay_alu instid0(VALU_DEP_1)
	v_cmp_neq_f32_e64 s14, s14, v5
.LBB301_94:
	v_cmp_ne_u32_e32 vcc_lo, 1, v2
	s_wait_loadcnt 0x2
	v_lshrrev_b32_e32 v5, 8, v4
	s_cbranch_vccnz .LBB301_377
.LBB301_95:
	s_and_b32 s16, s10, 0xff
	s_delay_alu instid0(SALU_CYCLE_1)
	s_cmp_lt_i32 s16, 0x80
	s_cbranch_scc1 .LBB301_103
; %bb.96:
	s_and_b32 s15, 0xffff, s16
	s_mov_b32 s17, -1
	s_cmp_eq_u32 s15, 0x80
	s_cbranch_scc0 .LBB301_98
; %bb.97:
	s_mov_b32 s17, 0
.LBB301_98:
	s_mov_b32 s15, 0x7f800001
	s_branch .LBB301_105
.LBB301_99:
	s_mov_b32 s15, -1
	s_mov_b32 s17, exec_lo
	v_cmpx_eq_u16_e32 0x80, v6
; %bb.100:
	s_xor_b32 s15, exec_lo, -1
; %bb.101:
	s_or_b32 exec_lo, exec_lo, s17
	s_delay_alu instid0(SALU_CYCLE_1)
	s_and_b32 s15, s15, exec_lo
                                        ; implicit-def: $vgpr6
	s_or_saveexec_b32 s16, s16
	v_mov_b32_e32 v5, 0x7f800001
	s_xor_b32 exec_lo, exec_lo, s16
	s_cbranch_execz .LBB301_91
.LBB301_102:
	v_cmp_ne_u16_e32 vcc_lo, 0, v6
	v_mov_b32_e32 v5, 0
	s_and_not1_b32 s15, s15, exec_lo
	s_and_b32 s17, vcc_lo, exec_lo
	s_delay_alu instid0(SALU_CYCLE_1)
	s_or_b32 s15, s15, s17
	s_or_b32 exec_lo, exec_lo, s16
	s_and_saveexec_b32 s16, s15
	s_cbranch_execnz .LBB301_92
	s_branch .LBB301_93
.LBB301_103:
	s_mov_b32 s17, 0
	s_mov_b32 s15, 0x7f800001
	s_cbranch_execz .LBB301_105
; %bb.104:
	s_and_b32 s15, 0xffff, s16
	s_delay_alu instid0(SALU_CYCLE_1)
	s_cmp_lg_u32 s15, 0
	s_mov_b32 s15, 0
	s_cselect_b32 s17, -1, 0
.LBB301_105:
	s_delay_alu instid0(SALU_CYCLE_1)
	s_and_not1_b32 vcc_lo, exec_lo, s17
	s_cbranch_vccnz .LBB301_107
; %bb.106:
	s_mov_b32 s15, s3
.LBB301_107:
	v_and_b32_e32 v7, 0xff, v5
	s_mov_b32 s16, 0
	s_mov_b32 s17, exec_lo
	s_delay_alu instid0(VALU_DEP_1)
	v_cmpx_lt_i16_e32 0x7f, v7
	s_xor_b32 s17, exec_lo, s17
	s_cbranch_execnz .LBB301_117
; %bb.108:
	s_or_saveexec_b32 s17, s17
	v_mov_b32_e32 v6, 0x7f800001
	s_xor_b32 exec_lo, exec_lo, s17
	s_cbranch_execnz .LBB301_120
.LBB301_109:
	s_or_b32 exec_lo, exec_lo, s17
	s_and_saveexec_b32 s17, s16
	s_cbranch_execz .LBB301_111
.LBB301_110:
	v_bfe_u32 v6, v4, 8, 3
	v_bfe_u32 v9, v4, 11, 4
	v_lshlrev_b32_e32 v10, 24, v5
	s_delay_alu instid0(VALU_DEP_3) | instskip(NEXT) | instid1(VALU_DEP_3)
	v_clz_i32_u32_e32 v7, v6
	v_cmp_eq_u32_e32 vcc_lo, 0, v9
	s_delay_alu instid0(VALU_DEP_2) | instskip(NEXT) | instid1(VALU_DEP_1)
	v_min_u32_e32 v7, 32, v7
	v_subrev_nc_u32_e32 v8, 28, v7
	s_delay_alu instid0(VALU_DEP_1) | instskip(NEXT) | instid1(VALU_DEP_1)
	v_dual_sub_nc_u32 v7, 29, v7 :: v_dual_lshlrev_b32 v8, v8, v5
	v_dual_cndmask_b32 v7, v9, v7, vcc_lo :: v_dual_bitop2_b32 v8, 7, v8 bitop3:0x40
	s_delay_alu instid0(VALU_DEP_1) | instskip(SKIP_1) | instid1(VALU_DEP_3)
	v_cndmask_b32_e32 v6, v6, v8, vcc_lo
	v_and_b32_e32 v8, 0x80000000, v10
	v_lshl_add_u32 v7, v7, 23, 0x3b800000
	s_delay_alu instid0(VALU_DEP_3) | instskip(NEXT) | instid1(VALU_DEP_1)
	v_lshlrev_b32_e32 v6, 20, v6
	v_or3_b32 v6, v8, v7, v6
.LBB301_111:
	s_or_b32 exec_lo, exec_lo, s17
	s_delay_alu instid0(VALU_DEP_1)
	v_cmp_neq_f32_e64 s15, s15, v6
.LBB301_112:
	v_cmp_ne_u32_e32 vcc_lo, 1, v2
	v_lshrrev_b32_e32 v5, 16, v4
	s_cbranch_vccnz .LBB301_395
.LBB301_113:
	s_and_b32 s17, s10, 0xff
	s_delay_alu instid0(SALU_CYCLE_1)
	s_cmp_lt_i32 s17, 0x80
	s_cbranch_scc1 .LBB301_121
; %bb.114:
	s_and_b32 s16, 0xffff, s17
	s_mov_b32 s18, -1
	s_cmp_eq_u32 s16, 0x80
	s_cbranch_scc0 .LBB301_116
; %bb.115:
	s_mov_b32 s18, 0
.LBB301_116:
	s_mov_b32 s16, 0x7f800001
	s_branch .LBB301_123
.LBB301_117:
	s_mov_b32 s16, -1
	s_mov_b32 s18, exec_lo
	v_cmpx_eq_u16_e32 0x80, v7
; %bb.118:
	s_xor_b32 s16, exec_lo, -1
; %bb.119:
	s_or_b32 exec_lo, exec_lo, s18
	s_delay_alu instid0(SALU_CYCLE_1)
	s_and_b32 s16, s16, exec_lo
                                        ; implicit-def: $vgpr7
	s_or_saveexec_b32 s17, s17
	v_mov_b32_e32 v6, 0x7f800001
	s_xor_b32 exec_lo, exec_lo, s17
	s_cbranch_execz .LBB301_109
.LBB301_120:
	v_cmp_ne_u16_e32 vcc_lo, 0, v7
	v_mov_b32_e32 v6, 0
	s_and_not1_b32 s16, s16, exec_lo
	s_and_b32 s18, vcc_lo, exec_lo
	s_delay_alu instid0(SALU_CYCLE_1)
	s_or_b32 s16, s16, s18
	s_or_b32 exec_lo, exec_lo, s17
	s_and_saveexec_b32 s17, s16
	s_cbranch_execnz .LBB301_110
	s_branch .LBB301_111
.LBB301_121:
	s_mov_b32 s18, 0
	s_mov_b32 s16, 0x7f800001
	s_cbranch_execz .LBB301_123
; %bb.122:
	s_and_b32 s16, 0xffff, s17
	s_delay_alu instid0(SALU_CYCLE_1)
	s_cmp_lg_u32 s16, 0
	s_mov_b32 s16, 0
	s_cselect_b32 s18, -1, 0
.LBB301_123:
	s_delay_alu instid0(SALU_CYCLE_1)
	s_and_not1_b32 vcc_lo, exec_lo, s18
	s_cbranch_vccnz .LBB301_125
; %bb.124:
	s_mov_b32 s16, s3
.LBB301_125:
	v_and_b32_e32 v7, 0xff, v5
	s_mov_b32 s17, 0
	s_mov_b32 s18, exec_lo
	s_delay_alu instid0(VALU_DEP_1)
	v_cmpx_lt_i16_e32 0x7f, v7
	s_xor_b32 s18, exec_lo, s18
	s_cbranch_execnz .LBB301_135
; %bb.126:
	s_or_saveexec_b32 s18, s18
	v_mov_b32_e32 v6, 0x7f800001
	s_xor_b32 exec_lo, exec_lo, s18
	s_cbranch_execnz .LBB301_138
.LBB301_127:
	s_or_b32 exec_lo, exec_lo, s18
	s_and_saveexec_b32 s18, s17
	s_cbranch_execz .LBB301_129
.LBB301_128:
	v_bfe_u32 v6, v4, 16, 3
	v_bfe_u32 v9, v4, 19, 4
	v_lshlrev_b32_e32 v10, 24, v5
	s_delay_alu instid0(VALU_DEP_3) | instskip(NEXT) | instid1(VALU_DEP_3)
	v_clz_i32_u32_e32 v7, v6
	v_cmp_eq_u32_e32 vcc_lo, 0, v9
	s_delay_alu instid0(VALU_DEP_2) | instskip(NEXT) | instid1(VALU_DEP_1)
	v_min_u32_e32 v7, 32, v7
	v_subrev_nc_u32_e32 v8, 28, v7
	s_delay_alu instid0(VALU_DEP_1) | instskip(NEXT) | instid1(VALU_DEP_1)
	v_dual_sub_nc_u32 v7, 29, v7 :: v_dual_lshlrev_b32 v8, v8, v5
	v_dual_cndmask_b32 v7, v9, v7, vcc_lo :: v_dual_bitop2_b32 v8, 7, v8 bitop3:0x40
	s_delay_alu instid0(VALU_DEP_1) | instskip(SKIP_1) | instid1(VALU_DEP_3)
	v_cndmask_b32_e32 v6, v6, v8, vcc_lo
	v_and_b32_e32 v8, 0x80000000, v10
	v_lshl_add_u32 v7, v7, 23, 0x3b800000
	s_delay_alu instid0(VALU_DEP_3) | instskip(NEXT) | instid1(VALU_DEP_1)
	v_lshlrev_b32_e32 v6, 20, v6
	v_or3_b32 v6, v8, v7, v6
.LBB301_129:
	s_or_b32 exec_lo, exec_lo, s18
	s_delay_alu instid0(VALU_DEP_1)
	v_cmp_neq_f32_e64 s16, s16, v6
.LBB301_130:
	v_cmp_ne_u32_e32 vcc_lo, 1, v2
	v_lshrrev_b32_e32 v5, 24, v4
	s_cbranch_vccnz .LBB301_413
.LBB301_131:
	s_and_b32 s18, s10, 0xff
	s_delay_alu instid0(SALU_CYCLE_1)
	s_cmp_lt_i32 s18, 0x80
	s_cbranch_scc1 .LBB301_139
; %bb.132:
	s_and_b32 s17, 0xffff, s18
	s_mov_b32 s19, -1
	s_cmp_eq_u32 s17, 0x80
	s_cbranch_scc0 .LBB301_134
; %bb.133:
	s_mov_b32 s19, 0
.LBB301_134:
	s_mov_b32 s17, 0x7f800001
	s_branch .LBB301_141
.LBB301_135:
	s_mov_b32 s17, -1
	s_mov_b32 s19, exec_lo
	v_cmpx_eq_u16_e32 0x80, v7
; %bb.136:
	s_xor_b32 s17, exec_lo, -1
; %bb.137:
	s_or_b32 exec_lo, exec_lo, s19
	s_delay_alu instid0(SALU_CYCLE_1)
	s_and_b32 s17, s17, exec_lo
                                        ; implicit-def: $vgpr7
	s_or_saveexec_b32 s18, s18
	v_mov_b32_e32 v6, 0x7f800001
	s_xor_b32 exec_lo, exec_lo, s18
	s_cbranch_execz .LBB301_127
.LBB301_138:
	v_cmp_ne_u16_e32 vcc_lo, 0, v7
	v_mov_b32_e32 v6, 0
	s_and_not1_b32 s17, s17, exec_lo
	s_and_b32 s19, vcc_lo, exec_lo
	s_delay_alu instid0(SALU_CYCLE_1)
	s_or_b32 s17, s17, s19
	s_or_b32 exec_lo, exec_lo, s18
	s_and_saveexec_b32 s18, s17
	s_cbranch_execnz .LBB301_128
	s_branch .LBB301_129
.LBB301_139:
	s_mov_b32 s19, 0
	s_mov_b32 s17, 0x7f800001
	s_cbranch_execz .LBB301_141
; %bb.140:
	s_and_b32 s17, 0xffff, s18
	s_delay_alu instid0(SALU_CYCLE_1)
	s_cmp_lg_u32 s17, 0
	s_mov_b32 s17, 0
	s_cselect_b32 s19, -1, 0
.LBB301_141:
	s_delay_alu instid0(SALU_CYCLE_1)
	s_and_not1_b32 vcc_lo, exec_lo, s19
	s_cbranch_vccnz .LBB301_143
; %bb.142:
	s_mov_b32 s17, s3
.LBB301_143:
	s_mov_b32 s18, 0
	s_mov_b32 s19, exec_lo
	v_cmpx_lt_i16_e32 0x7f, v5
	s_xor_b32 s19, exec_lo, s19
	s_cbranch_execnz .LBB301_153
; %bb.144:
	s_or_saveexec_b32 s19, s19
	v_mov_b32_e32 v6, 0x7f800001
	s_xor_b32 exec_lo, exec_lo, s19
	s_cbranch_execnz .LBB301_156
.LBB301_145:
	s_or_b32 exec_lo, exec_lo, s19
	s_and_saveexec_b32 s19, s18
	s_cbranch_execz .LBB301_147
.LBB301_146:
	v_bfe_u32 v6, v4, 24, 3
	v_bfe_u32 v9, v4, 27, 4
	s_delay_alu instid0(VALU_DEP_2) | instskip(NEXT) | instid1(VALU_DEP_2)
	v_clz_i32_u32_e32 v7, v6
	v_cmp_eq_u32_e32 vcc_lo, 0, v9
	s_delay_alu instid0(VALU_DEP_2) | instskip(NEXT) | instid1(VALU_DEP_1)
	v_min_u32_e32 v7, 32, v7
	v_subrev_nc_u32_e32 v8, 28, v7
	s_delay_alu instid0(VALU_DEP_1) | instskip(NEXT) | instid1(VALU_DEP_1)
	v_dual_sub_nc_u32 v7, 29, v7 :: v_dual_lshlrev_b32 v8, v8, v5
	v_dual_cndmask_b32 v7, v9, v7, vcc_lo :: v_dual_bitop2_b32 v8, 7, v8 bitop3:0x40
	s_delay_alu instid0(VALU_DEP_1) | instskip(NEXT) | instid1(VALU_DEP_2)
	v_lshl_add_u32 v7, v7, 23, 0x3b800000
	v_cndmask_b32_e32 v6, v6, v8, vcc_lo
	v_and_b32_e32 v8, 0x80000000, v4
	s_delay_alu instid0(VALU_DEP_2) | instskip(NEXT) | instid1(VALU_DEP_1)
	v_lshlrev_b32_e32 v6, 20, v6
	v_or3_b32 v6, v8, v7, v6
.LBB301_147:
	s_or_b32 exec_lo, exec_lo, s19
	s_delay_alu instid0(VALU_DEP_1)
	v_cmp_neq_f32_e64 s17, s17, v6
.LBB301_148:
	v_cmp_ne_u32_e32 vcc_lo, 1, v2
	s_cbranch_vccnz .LBB301_431
.LBB301_149:
	s_and_b32 s19, s10, 0xff
	s_delay_alu instid0(SALU_CYCLE_1)
	s_cmp_lt_i32 s19, 0x80
	s_cbranch_scc1 .LBB301_157
; %bb.150:
	s_and_b32 s18, 0xffff, s19
	s_mov_b32 s20, -1
	s_cmp_eq_u32 s18, 0x80
	s_cbranch_scc0 .LBB301_152
; %bb.151:
	s_mov_b32 s20, 0
.LBB301_152:
	s_mov_b32 s18, 0x7f800001
	s_branch .LBB301_159
.LBB301_153:
	s_mov_b32 s18, -1
	s_mov_b32 s20, exec_lo
	v_cmpx_eq_u16_e32 0x80, v5
; %bb.154:
	s_xor_b32 s18, exec_lo, -1
; %bb.155:
	s_or_b32 exec_lo, exec_lo, s20
	s_delay_alu instid0(SALU_CYCLE_1)
	s_and_b32 s18, s18, exec_lo
	s_or_saveexec_b32 s19, s19
	v_mov_b32_e32 v6, 0x7f800001
	s_xor_b32 exec_lo, exec_lo, s19
	s_cbranch_execz .LBB301_145
.LBB301_156:
	v_cmp_ne_u16_e32 vcc_lo, 0, v5
	v_mov_b32_e32 v6, 0
	s_and_not1_b32 s18, s18, exec_lo
	s_and_b32 s20, vcc_lo, exec_lo
	s_delay_alu instid0(SALU_CYCLE_1)
	s_or_b32 s18, s18, s20
	s_or_b32 exec_lo, exec_lo, s19
	s_and_saveexec_b32 s19, s18
	s_cbranch_execnz .LBB301_146
	s_branch .LBB301_147
.LBB301_157:
	s_mov_b32 s20, 0
	s_mov_b32 s18, 0x7f800001
	s_cbranch_execz .LBB301_159
; %bb.158:
	s_and_b32 s18, 0xffff, s19
	s_delay_alu instid0(SALU_CYCLE_1)
	s_cmp_lg_u32 s18, 0
	s_mov_b32 s18, 0
	s_cselect_b32 s20, -1, 0
.LBB301_159:
	s_delay_alu instid0(SALU_CYCLE_1)
	s_and_not1_b32 vcc_lo, exec_lo, s20
	s_cbranch_vccnz .LBB301_161
; %bb.160:
	s_mov_b32 s18, s3
.LBB301_161:
	s_wait_loadcnt 0x1
	v_and_b32_e32 v5, 0xff, v3
	s_mov_b32 s19, 0
	s_mov_b32 s20, exec_lo
	s_delay_alu instid0(VALU_DEP_1)
	v_cmpx_lt_i16_e32 0x7f, v5
	s_xor_b32 s20, exec_lo, s20
	s_cbranch_execnz .LBB301_171
; %bb.162:
	s_or_saveexec_b32 s20, s20
	v_mov_b32_e32 v4, 0x7f800001
	s_xor_b32 exec_lo, exec_lo, s20
	s_cbranch_execnz .LBB301_174
.LBB301_163:
	s_or_b32 exec_lo, exec_lo, s20
	s_and_saveexec_b32 s20, s19
	s_cbranch_execz .LBB301_165
.LBB301_164:
	v_and_b32_e32 v4, 7, v3
	v_bfe_u32 v7, v3, 3, 4
	s_delay_alu instid0(VALU_DEP_2) | instskip(NEXT) | instid1(VALU_DEP_2)
	v_clz_i32_u32_e32 v5, v4
	v_cmp_eq_u32_e32 vcc_lo, 0, v7
	s_delay_alu instid0(VALU_DEP_2) | instskip(NEXT) | instid1(VALU_DEP_1)
	v_min_u32_e32 v5, 32, v5
	v_subrev_nc_u32_e32 v6, 28, v5
	s_delay_alu instid0(VALU_DEP_1) | instskip(NEXT) | instid1(VALU_DEP_1)
	v_dual_lshlrev_b32 v6, v6, v3 :: v_dual_sub_nc_u32 v5, 29, v5
	v_dual_lshlrev_b32 v8, 24, v3 :: v_dual_bitop2_b32 v6, 7, v6 bitop3:0x40
	s_delay_alu instid0(VALU_DEP_1) | instskip(NEXT) | instid1(VALU_DEP_2)
	v_dual_cndmask_b32 v5, v7, v5 :: v_dual_cndmask_b32 v4, v4, v6
	v_and_b32_e32 v6, 0x80000000, v8
	s_delay_alu instid0(VALU_DEP_2) | instskip(NEXT) | instid1(VALU_DEP_3)
	v_lshl_add_u32 v5, v5, 23, 0x3b800000
	v_lshlrev_b32_e32 v4, 20, v4
	s_delay_alu instid0(VALU_DEP_1)
	v_or3_b32 v4, v6, v5, v4
.LBB301_165:
	s_or_b32 exec_lo, exec_lo, s20
	s_delay_alu instid0(VALU_DEP_1)
	v_cmp_neq_f32_e64 s18, s18, v4
.LBB301_166:
	v_cmp_ne_u32_e32 vcc_lo, 1, v2
	s_wait_loadcnt 0x1
	v_lshrrev_b32_e32 v4, 8, v3
	s_cbranch_vccnz .LBB301_449
.LBB301_167:
	s_and_b32 s20, s10, 0xff
	s_delay_alu instid0(SALU_CYCLE_1)
	s_cmp_lt_i32 s20, 0x80
	s_cbranch_scc1 .LBB301_175
; %bb.168:
	s_and_b32 s19, 0xffff, s20
	s_mov_b32 s21, -1
	s_cmp_eq_u32 s19, 0x80
	s_cbranch_scc0 .LBB301_170
; %bb.169:
	s_mov_b32 s21, 0
.LBB301_170:
	s_mov_b32 s19, 0x7f800001
	s_branch .LBB301_177
.LBB301_171:
	s_mov_b32 s19, -1
	s_mov_b32 s21, exec_lo
	v_cmpx_eq_u16_e32 0x80, v5
; %bb.172:
	s_xor_b32 s19, exec_lo, -1
; %bb.173:
	s_or_b32 exec_lo, exec_lo, s21
	s_delay_alu instid0(SALU_CYCLE_1)
	s_and_b32 s19, s19, exec_lo
                                        ; implicit-def: $vgpr5
	s_or_saveexec_b32 s20, s20
	v_mov_b32_e32 v4, 0x7f800001
	s_xor_b32 exec_lo, exec_lo, s20
	s_cbranch_execz .LBB301_163
.LBB301_174:
	v_cmp_ne_u16_e32 vcc_lo, 0, v5
	v_mov_b32_e32 v4, 0
	s_and_not1_b32 s19, s19, exec_lo
	s_and_b32 s21, vcc_lo, exec_lo
	s_delay_alu instid0(SALU_CYCLE_1)
	s_or_b32 s19, s19, s21
	s_or_b32 exec_lo, exec_lo, s20
	s_and_saveexec_b32 s20, s19
	s_cbranch_execnz .LBB301_164
	s_branch .LBB301_165
.LBB301_175:
	s_mov_b32 s21, 0
	s_mov_b32 s19, 0x7f800001
	s_cbranch_execz .LBB301_177
; %bb.176:
	s_and_b32 s19, 0xffff, s20
	s_delay_alu instid0(SALU_CYCLE_1)
	s_cmp_lg_u32 s19, 0
	s_mov_b32 s19, 0
	s_cselect_b32 s21, -1, 0
.LBB301_177:
	s_delay_alu instid0(SALU_CYCLE_1)
	s_and_not1_b32 vcc_lo, exec_lo, s21
	s_cbranch_vccnz .LBB301_179
; %bb.178:
	s_mov_b32 s19, s3
.LBB301_179:
	v_and_b32_e32 v6, 0xff, v4
	s_mov_b32 s20, 0
	s_mov_b32 s21, exec_lo
	s_delay_alu instid0(VALU_DEP_1)
	v_cmpx_lt_i16_e32 0x7f, v6
	s_xor_b32 s21, exec_lo, s21
	s_cbranch_execnz .LBB301_189
; %bb.180:
	s_or_saveexec_b32 s21, s21
	v_mov_b32_e32 v5, 0x7f800001
	s_xor_b32 exec_lo, exec_lo, s21
	s_cbranch_execnz .LBB301_192
.LBB301_181:
	s_or_b32 exec_lo, exec_lo, s21
	s_and_saveexec_b32 s21, s20
	s_cbranch_execz .LBB301_183
.LBB301_182:
	v_bfe_u32 v5, v3, 8, 3
	v_bfe_u32 v8, v3, 11, 4
	v_lshlrev_b32_e32 v9, 24, v4
	s_delay_alu instid0(VALU_DEP_3) | instskip(NEXT) | instid1(VALU_DEP_3)
	v_clz_i32_u32_e32 v6, v5
	v_cmp_eq_u32_e32 vcc_lo, 0, v8
	s_delay_alu instid0(VALU_DEP_2) | instskip(NEXT) | instid1(VALU_DEP_1)
	v_min_u32_e32 v6, 32, v6
	v_subrev_nc_u32_e32 v7, 28, v6
	s_delay_alu instid0(VALU_DEP_1) | instskip(NEXT) | instid1(VALU_DEP_1)
	v_dual_sub_nc_u32 v6, 29, v6 :: v_dual_lshlrev_b32 v7, v7, v4
	v_dual_cndmask_b32 v6, v8, v6, vcc_lo :: v_dual_bitop2_b32 v7, 7, v7 bitop3:0x40
	s_delay_alu instid0(VALU_DEP_1) | instskip(SKIP_1) | instid1(VALU_DEP_3)
	v_cndmask_b32_e32 v5, v5, v7, vcc_lo
	v_and_b32_e32 v7, 0x80000000, v9
	v_lshl_add_u32 v6, v6, 23, 0x3b800000
	s_delay_alu instid0(VALU_DEP_3) | instskip(NEXT) | instid1(VALU_DEP_1)
	v_lshlrev_b32_e32 v5, 20, v5
	v_or3_b32 v5, v7, v6, v5
.LBB301_183:
	s_or_b32 exec_lo, exec_lo, s21
	s_delay_alu instid0(VALU_DEP_1)
	v_cmp_neq_f32_e64 s19, s19, v5
.LBB301_184:
	v_cmp_ne_u32_e32 vcc_lo, 1, v2
	v_lshrrev_b32_e32 v4, 16, v3
	s_cbranch_vccnz .LBB301_467
.LBB301_185:
	s_and_b32 s21, s10, 0xff
	s_delay_alu instid0(SALU_CYCLE_1)
	s_cmp_lt_i32 s21, 0x80
	s_cbranch_scc1 .LBB301_193
; %bb.186:
	s_and_b32 s20, 0xffff, s21
	s_mov_b32 s22, -1
	s_cmp_eq_u32 s20, 0x80
	s_cbranch_scc0 .LBB301_188
; %bb.187:
	s_mov_b32 s22, 0
.LBB301_188:
	s_mov_b32 s20, 0x7f800001
	s_branch .LBB301_195
.LBB301_189:
	s_mov_b32 s20, -1
	s_mov_b32 s22, exec_lo
	v_cmpx_eq_u16_e32 0x80, v6
; %bb.190:
	s_xor_b32 s20, exec_lo, -1
; %bb.191:
	s_or_b32 exec_lo, exec_lo, s22
	s_delay_alu instid0(SALU_CYCLE_1)
	s_and_b32 s20, s20, exec_lo
                                        ; implicit-def: $vgpr6
	s_or_saveexec_b32 s21, s21
	v_mov_b32_e32 v5, 0x7f800001
	s_xor_b32 exec_lo, exec_lo, s21
	s_cbranch_execz .LBB301_181
.LBB301_192:
	v_cmp_ne_u16_e32 vcc_lo, 0, v6
	v_mov_b32_e32 v5, 0
	s_and_not1_b32 s20, s20, exec_lo
	s_and_b32 s22, vcc_lo, exec_lo
	s_delay_alu instid0(SALU_CYCLE_1)
	s_or_b32 s20, s20, s22
	s_or_b32 exec_lo, exec_lo, s21
	s_and_saveexec_b32 s21, s20
	s_cbranch_execnz .LBB301_182
	s_branch .LBB301_183
.LBB301_193:
	s_mov_b32 s22, 0
	s_mov_b32 s20, 0x7f800001
	s_cbranch_execz .LBB301_195
; %bb.194:
	s_and_b32 s20, 0xffff, s21
	s_delay_alu instid0(SALU_CYCLE_1)
	s_cmp_lg_u32 s20, 0
	s_mov_b32 s20, 0
	s_cselect_b32 s22, -1, 0
.LBB301_195:
	s_delay_alu instid0(SALU_CYCLE_1)
	s_and_not1_b32 vcc_lo, exec_lo, s22
	s_cbranch_vccnz .LBB301_197
; %bb.196:
	s_mov_b32 s20, s3
.LBB301_197:
	v_and_b32_e32 v6, 0xff, v4
	s_mov_b32 s21, 0
	s_mov_b32 s22, exec_lo
	s_delay_alu instid0(VALU_DEP_1)
	v_cmpx_lt_i16_e32 0x7f, v6
	s_xor_b32 s22, exec_lo, s22
	s_cbranch_execnz .LBB301_207
; %bb.198:
	s_or_saveexec_b32 s22, s22
	v_mov_b32_e32 v5, 0x7f800001
	s_xor_b32 exec_lo, exec_lo, s22
	s_cbranch_execnz .LBB301_210
.LBB301_199:
	s_or_b32 exec_lo, exec_lo, s22
	s_and_saveexec_b32 s22, s21
	s_cbranch_execz .LBB301_201
.LBB301_200:
	v_bfe_u32 v5, v3, 16, 3
	v_bfe_u32 v8, v3, 19, 4
	v_lshlrev_b32_e32 v9, 24, v4
	s_delay_alu instid0(VALU_DEP_3) | instskip(NEXT) | instid1(VALU_DEP_3)
	v_clz_i32_u32_e32 v6, v5
	v_cmp_eq_u32_e32 vcc_lo, 0, v8
	s_delay_alu instid0(VALU_DEP_2) | instskip(NEXT) | instid1(VALU_DEP_1)
	v_min_u32_e32 v6, 32, v6
	v_subrev_nc_u32_e32 v7, 28, v6
	s_delay_alu instid0(VALU_DEP_1) | instskip(NEXT) | instid1(VALU_DEP_1)
	v_dual_sub_nc_u32 v6, 29, v6 :: v_dual_lshlrev_b32 v7, v7, v4
	v_dual_cndmask_b32 v6, v8, v6, vcc_lo :: v_dual_bitop2_b32 v7, 7, v7 bitop3:0x40
	s_delay_alu instid0(VALU_DEP_1) | instskip(SKIP_1) | instid1(VALU_DEP_3)
	v_cndmask_b32_e32 v5, v5, v7, vcc_lo
	v_and_b32_e32 v7, 0x80000000, v9
	v_lshl_add_u32 v6, v6, 23, 0x3b800000
	s_delay_alu instid0(VALU_DEP_3) | instskip(NEXT) | instid1(VALU_DEP_1)
	v_lshlrev_b32_e32 v5, 20, v5
	v_or3_b32 v5, v7, v6, v5
.LBB301_201:
	s_or_b32 exec_lo, exec_lo, s22
	s_delay_alu instid0(VALU_DEP_1)
	v_cmp_neq_f32_e64 s20, s20, v5
.LBB301_202:
	v_cmp_ne_u32_e32 vcc_lo, 1, v2
	v_lshrrev_b32_e32 v4, 24, v3
	s_cbranch_vccnz .LBB301_485
.LBB301_203:
	s_and_b32 s22, s10, 0xff
	s_delay_alu instid0(SALU_CYCLE_1)
	s_cmp_lt_i32 s22, 0x80
	s_cbranch_scc1 .LBB301_211
; %bb.204:
	s_and_b32 s21, 0xffff, s22
	s_mov_b32 s23, -1
	s_cmp_eq_u32 s21, 0x80
	s_cbranch_scc0 .LBB301_206
; %bb.205:
	s_mov_b32 s23, 0
.LBB301_206:
	s_mov_b32 s21, 0x7f800001
	s_branch .LBB301_213
.LBB301_207:
	s_mov_b32 s21, -1
	s_mov_b32 s23, exec_lo
	v_cmpx_eq_u16_e32 0x80, v6
; %bb.208:
	s_xor_b32 s21, exec_lo, -1
; %bb.209:
	s_or_b32 exec_lo, exec_lo, s23
	s_delay_alu instid0(SALU_CYCLE_1)
	s_and_b32 s21, s21, exec_lo
                                        ; implicit-def: $vgpr6
	s_or_saveexec_b32 s22, s22
	v_mov_b32_e32 v5, 0x7f800001
	s_xor_b32 exec_lo, exec_lo, s22
	s_cbranch_execz .LBB301_199
.LBB301_210:
	v_cmp_ne_u16_e32 vcc_lo, 0, v6
	v_mov_b32_e32 v5, 0
	s_and_not1_b32 s21, s21, exec_lo
	s_and_b32 s23, vcc_lo, exec_lo
	s_delay_alu instid0(SALU_CYCLE_1)
	s_or_b32 s21, s21, s23
	s_or_b32 exec_lo, exec_lo, s22
	s_and_saveexec_b32 s22, s21
	s_cbranch_execnz .LBB301_200
	s_branch .LBB301_201
.LBB301_211:
	s_mov_b32 s23, 0
	s_mov_b32 s21, 0x7f800001
	s_cbranch_execz .LBB301_213
; %bb.212:
	s_and_b32 s21, 0xffff, s22
	s_delay_alu instid0(SALU_CYCLE_1)
	s_cmp_lg_u32 s21, 0
	s_mov_b32 s21, 0
	s_cselect_b32 s23, -1, 0
.LBB301_213:
	s_delay_alu instid0(SALU_CYCLE_1)
	s_and_not1_b32 vcc_lo, exec_lo, s23
	s_cbranch_vccnz .LBB301_215
; %bb.214:
	s_mov_b32 s21, s3
.LBB301_215:
	s_mov_b32 s22, 0
	s_mov_b32 s23, exec_lo
	v_cmpx_lt_i16_e32 0x7f, v4
	s_xor_b32 s23, exec_lo, s23
	s_cbranch_execnz .LBB301_225
; %bb.216:
	s_or_saveexec_b32 s23, s23
	v_mov_b32_e32 v5, 0x7f800001
	s_xor_b32 exec_lo, exec_lo, s23
	s_cbranch_execnz .LBB301_228
.LBB301_217:
	s_or_b32 exec_lo, exec_lo, s23
	s_and_saveexec_b32 s23, s22
	s_cbranch_execz .LBB301_219
.LBB301_218:
	v_bfe_u32 v5, v3, 24, 3
	v_bfe_u32 v8, v3, 27, 4
	s_delay_alu instid0(VALU_DEP_2) | instskip(NEXT) | instid1(VALU_DEP_2)
	v_clz_i32_u32_e32 v6, v5
	v_cmp_eq_u32_e32 vcc_lo, 0, v8
	s_delay_alu instid0(VALU_DEP_2) | instskip(NEXT) | instid1(VALU_DEP_1)
	v_min_u32_e32 v6, 32, v6
	v_subrev_nc_u32_e32 v7, 28, v6
	s_delay_alu instid0(VALU_DEP_1) | instskip(NEXT) | instid1(VALU_DEP_1)
	v_dual_sub_nc_u32 v6, 29, v6 :: v_dual_lshlrev_b32 v7, v7, v4
	v_dual_cndmask_b32 v6, v8, v6, vcc_lo :: v_dual_bitop2_b32 v7, 7, v7 bitop3:0x40
	s_delay_alu instid0(VALU_DEP_1) | instskip(NEXT) | instid1(VALU_DEP_2)
	v_lshl_add_u32 v6, v6, 23, 0x3b800000
	v_cndmask_b32_e32 v5, v5, v7, vcc_lo
	v_and_b32_e32 v7, 0x80000000, v3
	s_delay_alu instid0(VALU_DEP_2) | instskip(NEXT) | instid1(VALU_DEP_1)
	v_lshlrev_b32_e32 v5, 20, v5
	v_or3_b32 v5, v7, v6, v5
.LBB301_219:
	s_or_b32 exec_lo, exec_lo, s23
	s_delay_alu instid0(VALU_DEP_1)
	v_cmp_neq_f32_e64 s21, s21, v5
.LBB301_220:
	v_cmp_ne_u32_e32 vcc_lo, 1, v2
	s_cbranch_vccnz .LBB301_503
.LBB301_221:
	s_and_b32 s23, s10, 0xff
	s_delay_alu instid0(SALU_CYCLE_1)
	s_cmp_lt_i32 s23, 0x80
	s_cbranch_scc1 .LBB301_229
; %bb.222:
	s_and_b32 s22, 0xffff, s23
	s_mov_b32 s24, -1
	s_cmp_eq_u32 s22, 0x80
	s_cbranch_scc0 .LBB301_224
; %bb.223:
	s_mov_b32 s24, 0
.LBB301_224:
	s_mov_b32 s22, 0x7f800001
	s_branch .LBB301_231
.LBB301_225:
	s_mov_b32 s22, -1
	s_mov_b32 s24, exec_lo
	v_cmpx_eq_u16_e32 0x80, v4
; %bb.226:
	s_xor_b32 s22, exec_lo, -1
; %bb.227:
	s_or_b32 exec_lo, exec_lo, s24
	s_delay_alu instid0(SALU_CYCLE_1)
	s_and_b32 s22, s22, exec_lo
	s_or_saveexec_b32 s23, s23
	v_mov_b32_e32 v5, 0x7f800001
	s_xor_b32 exec_lo, exec_lo, s23
	s_cbranch_execz .LBB301_217
.LBB301_228:
	v_cmp_ne_u16_e32 vcc_lo, 0, v4
	v_mov_b32_e32 v5, 0
	s_and_not1_b32 s22, s22, exec_lo
	s_and_b32 s24, vcc_lo, exec_lo
	s_delay_alu instid0(SALU_CYCLE_1)
	s_or_b32 s22, s22, s24
	s_or_b32 exec_lo, exec_lo, s23
	s_and_saveexec_b32 s23, s22
	s_cbranch_execnz .LBB301_218
	s_branch .LBB301_219
.LBB301_229:
	s_mov_b32 s24, 0
	s_mov_b32 s22, 0x7f800001
	s_cbranch_execz .LBB301_231
; %bb.230:
	s_and_b32 s22, 0xffff, s23
	s_delay_alu instid0(SALU_CYCLE_1)
	s_cmp_lg_u32 s22, 0
	s_mov_b32 s22, 0
	s_cselect_b32 s24, -1, 0
.LBB301_231:
	s_delay_alu instid0(SALU_CYCLE_1)
	s_and_not1_b32 vcc_lo, exec_lo, s24
	s_cbranch_vccnz .LBB301_233
; %bb.232:
	s_mov_b32 s22, s3
.LBB301_233:
	s_wait_loadcnt 0x0
	v_and_b32_e32 v4, 0xff, v1
	s_mov_b32 s23, 0
	s_mov_b32 s24, exec_lo
	s_delay_alu instid0(VALU_DEP_1)
	v_cmpx_lt_i16_e32 0x7f, v4
	s_xor_b32 s24, exec_lo, s24
	s_cbranch_execnz .LBB301_243
; %bb.234:
	s_or_saveexec_b32 s24, s24
	v_mov_b32_e32 v3, 0x7f800001
	s_xor_b32 exec_lo, exec_lo, s24
	s_cbranch_execnz .LBB301_246
.LBB301_235:
	s_or_b32 exec_lo, exec_lo, s24
	s_and_saveexec_b32 s24, s23
	s_cbranch_execz .LBB301_237
.LBB301_236:
	v_and_b32_e32 v3, 7, v1
	v_bfe_u32 v6, v1, 3, 4
	s_delay_alu instid0(VALU_DEP_2) | instskip(NEXT) | instid1(VALU_DEP_2)
	v_clz_i32_u32_e32 v4, v3
	v_cmp_eq_u32_e32 vcc_lo, 0, v6
	s_delay_alu instid0(VALU_DEP_2) | instskip(NEXT) | instid1(VALU_DEP_1)
	v_min_u32_e32 v4, 32, v4
	v_subrev_nc_u32_e32 v5, 28, v4
	s_delay_alu instid0(VALU_DEP_1) | instskip(NEXT) | instid1(VALU_DEP_1)
	v_dual_lshlrev_b32 v5, v5, v1 :: v_dual_sub_nc_u32 v4, 29, v4
	v_and_b32_e32 v5, 7, v5
	s_delay_alu instid0(VALU_DEP_2) | instskip(NEXT) | instid1(VALU_DEP_2)
	v_dual_cndmask_b32 v4, v6, v4 :: v_dual_lshlrev_b32 v7, 24, v1
	v_cndmask_b32_e32 v3, v3, v5, vcc_lo
	s_delay_alu instid0(VALU_DEP_2) | instskip(NEXT) | instid1(VALU_DEP_3)
	v_and_b32_e32 v5, 0x80000000, v7
	v_lshl_add_u32 v4, v4, 23, 0x3b800000
	s_delay_alu instid0(VALU_DEP_3) | instskip(NEXT) | instid1(VALU_DEP_1)
	v_lshlrev_b32_e32 v3, 20, v3
	v_or3_b32 v3, v5, v4, v3
.LBB301_237:
	s_or_b32 exec_lo, exec_lo, s24
	s_delay_alu instid0(VALU_DEP_1)
	v_cmp_neq_f32_e64 s22, s22, v3
.LBB301_238:
	v_cmp_ne_u32_e32 vcc_lo, 1, v2
	s_wait_loadcnt 0x0
	v_lshrrev_b32_e32 v3, 8, v1
	s_cbranch_vccnz .LBB301_521
.LBB301_239:
	s_and_b32 s24, s10, 0xff
	s_delay_alu instid0(SALU_CYCLE_1)
	s_cmp_lt_i32 s24, 0x80
	s_cbranch_scc1 .LBB301_247
; %bb.240:
	s_and_b32 s23, 0xffff, s24
	s_mov_b32 s25, -1
	s_cmp_eq_u32 s23, 0x80
	s_cbranch_scc0 .LBB301_242
; %bb.241:
	s_mov_b32 s25, 0
.LBB301_242:
	s_mov_b32 s23, 0x7f800001
	s_branch .LBB301_249
.LBB301_243:
	s_mov_b32 s23, -1
	s_mov_b32 s25, exec_lo
	v_cmpx_eq_u16_e32 0x80, v4
; %bb.244:
	s_xor_b32 s23, exec_lo, -1
; %bb.245:
	s_or_b32 exec_lo, exec_lo, s25
	s_delay_alu instid0(SALU_CYCLE_1)
	s_and_b32 s23, s23, exec_lo
                                        ; implicit-def: $vgpr4
	s_or_saveexec_b32 s24, s24
	v_mov_b32_e32 v3, 0x7f800001
	s_xor_b32 exec_lo, exec_lo, s24
	s_cbranch_execz .LBB301_235
.LBB301_246:
	v_cmp_ne_u16_e32 vcc_lo, 0, v4
	v_mov_b32_e32 v3, 0
	s_and_not1_b32 s23, s23, exec_lo
	s_and_b32 s25, vcc_lo, exec_lo
	s_delay_alu instid0(SALU_CYCLE_1)
	s_or_b32 s23, s23, s25
	s_or_b32 exec_lo, exec_lo, s24
	s_and_saveexec_b32 s24, s23
	s_cbranch_execnz .LBB301_236
	s_branch .LBB301_237
.LBB301_247:
	s_mov_b32 s25, 0
	s_mov_b32 s23, 0x7f800001
	s_cbranch_execz .LBB301_249
; %bb.248:
	s_and_b32 s23, 0xffff, s24
	s_delay_alu instid0(SALU_CYCLE_1)
	s_cmp_lg_u32 s23, 0
	s_mov_b32 s23, 0
	s_cselect_b32 s25, -1, 0
.LBB301_249:
	s_delay_alu instid0(SALU_CYCLE_1)
	s_and_not1_b32 vcc_lo, exec_lo, s25
	s_cbranch_vccnz .LBB301_251
; %bb.250:
	s_mov_b32 s23, s3
.LBB301_251:
	v_and_b32_e32 v5, 0xff, v3
	s_mov_b32 s24, 0
	s_mov_b32 s25, exec_lo
	s_delay_alu instid0(VALU_DEP_1)
	v_cmpx_lt_i16_e32 0x7f, v5
	s_xor_b32 s25, exec_lo, s25
	s_cbranch_execnz .LBB301_261
; %bb.252:
	s_or_saveexec_b32 s25, s25
	v_mov_b32_e32 v4, 0x7f800001
	s_xor_b32 exec_lo, exec_lo, s25
	s_cbranch_execnz .LBB301_264
.LBB301_253:
	s_or_b32 exec_lo, exec_lo, s25
	s_and_saveexec_b32 s25, s24
	s_cbranch_execz .LBB301_255
.LBB301_254:
	v_bfe_u32 v4, v1, 8, 3
	v_bfe_u32 v7, v1, 11, 4
	v_lshlrev_b32_e32 v8, 24, v3
	s_delay_alu instid0(VALU_DEP_3) | instskip(NEXT) | instid1(VALU_DEP_3)
	v_clz_i32_u32_e32 v5, v4
	v_cmp_eq_u32_e32 vcc_lo, 0, v7
	s_delay_alu instid0(VALU_DEP_2) | instskip(NEXT) | instid1(VALU_DEP_1)
	v_min_u32_e32 v5, 32, v5
	v_subrev_nc_u32_e32 v6, 28, v5
	s_delay_alu instid0(VALU_DEP_1) | instskip(NEXT) | instid1(VALU_DEP_1)
	v_dual_sub_nc_u32 v5, 29, v5 :: v_dual_lshlrev_b32 v6, v6, v3
	v_dual_cndmask_b32 v5, v7, v5, vcc_lo :: v_dual_bitop2_b32 v6, 7, v6 bitop3:0x40
	s_delay_alu instid0(VALU_DEP_1) | instskip(SKIP_1) | instid1(VALU_DEP_3)
	v_cndmask_b32_e32 v4, v4, v6, vcc_lo
	v_and_b32_e32 v6, 0x80000000, v8
	v_lshl_add_u32 v5, v5, 23, 0x3b800000
	s_delay_alu instid0(VALU_DEP_3) | instskip(NEXT) | instid1(VALU_DEP_1)
	v_lshlrev_b32_e32 v4, 20, v4
	v_or3_b32 v4, v6, v5, v4
.LBB301_255:
	s_or_b32 exec_lo, exec_lo, s25
	s_delay_alu instid0(VALU_DEP_1)
	v_cmp_neq_f32_e64 s23, s23, v4
.LBB301_256:
	v_cmp_ne_u32_e32 vcc_lo, 1, v2
	v_lshrrev_b32_e32 v3, 16, v1
	s_cbranch_vccnz .LBB301_539
.LBB301_257:
	s_and_b32 s25, s10, 0xff
	s_delay_alu instid0(SALU_CYCLE_1)
	s_cmp_lt_i32 s25, 0x80
	s_cbranch_scc1 .LBB301_265
; %bb.258:
	s_and_b32 s24, 0xffff, s25
	s_mov_b32 s26, -1
	s_cmp_eq_u32 s24, 0x80
	s_cbranch_scc0 .LBB301_260
; %bb.259:
	s_mov_b32 s26, 0
.LBB301_260:
	s_mov_b32 s24, 0x7f800001
	s_branch .LBB301_267
.LBB301_261:
	s_mov_b32 s24, -1
	s_mov_b32 s26, exec_lo
	v_cmpx_eq_u16_e32 0x80, v5
; %bb.262:
	s_xor_b32 s24, exec_lo, -1
; %bb.263:
	s_or_b32 exec_lo, exec_lo, s26
	s_delay_alu instid0(SALU_CYCLE_1)
	s_and_b32 s24, s24, exec_lo
                                        ; implicit-def: $vgpr5
	s_or_saveexec_b32 s25, s25
	v_mov_b32_e32 v4, 0x7f800001
	s_xor_b32 exec_lo, exec_lo, s25
	s_cbranch_execz .LBB301_253
.LBB301_264:
	v_cmp_ne_u16_e32 vcc_lo, 0, v5
	v_mov_b32_e32 v4, 0
	s_and_not1_b32 s24, s24, exec_lo
	s_and_b32 s26, vcc_lo, exec_lo
	s_delay_alu instid0(SALU_CYCLE_1)
	s_or_b32 s24, s24, s26
	s_or_b32 exec_lo, exec_lo, s25
	s_and_saveexec_b32 s25, s24
	s_cbranch_execnz .LBB301_254
	s_branch .LBB301_255
.LBB301_265:
	s_mov_b32 s26, 0
	s_mov_b32 s24, 0x7f800001
	s_cbranch_execz .LBB301_267
; %bb.266:
	s_and_b32 s24, 0xffff, s25
	s_delay_alu instid0(SALU_CYCLE_1)
	s_cmp_lg_u32 s24, 0
	s_mov_b32 s24, 0
	s_cselect_b32 s26, -1, 0
.LBB301_267:
	s_delay_alu instid0(SALU_CYCLE_1)
	s_and_not1_b32 vcc_lo, exec_lo, s26
	s_cbranch_vccnz .LBB301_269
; %bb.268:
	s_mov_b32 s24, s3
.LBB301_269:
	v_and_b32_e32 v5, 0xff, v3
	s_mov_b32 s25, 0
	s_mov_b32 s26, exec_lo
	s_delay_alu instid0(VALU_DEP_1)
	v_cmpx_lt_i16_e32 0x7f, v5
	s_xor_b32 s26, exec_lo, s26
	s_cbranch_execnz .LBB301_279
; %bb.270:
	s_or_saveexec_b32 s26, s26
	v_mov_b32_e32 v4, 0x7f800001
	s_xor_b32 exec_lo, exec_lo, s26
	s_cbranch_execnz .LBB301_282
.LBB301_271:
	s_or_b32 exec_lo, exec_lo, s26
	s_and_saveexec_b32 s26, s25
	s_cbranch_execz .LBB301_273
.LBB301_272:
	v_bfe_u32 v4, v1, 16, 3
	v_bfe_u32 v7, v1, 19, 4
	v_lshlrev_b32_e32 v8, 24, v3
	s_delay_alu instid0(VALU_DEP_3) | instskip(NEXT) | instid1(VALU_DEP_3)
	v_clz_i32_u32_e32 v5, v4
	v_cmp_eq_u32_e32 vcc_lo, 0, v7
	s_delay_alu instid0(VALU_DEP_2) | instskip(NEXT) | instid1(VALU_DEP_1)
	v_min_u32_e32 v5, 32, v5
	v_subrev_nc_u32_e32 v6, 28, v5
	s_delay_alu instid0(VALU_DEP_1) | instskip(NEXT) | instid1(VALU_DEP_1)
	v_dual_sub_nc_u32 v5, 29, v5 :: v_dual_lshlrev_b32 v6, v6, v3
	v_dual_cndmask_b32 v5, v7, v5, vcc_lo :: v_dual_bitop2_b32 v6, 7, v6 bitop3:0x40
	s_delay_alu instid0(VALU_DEP_1) | instskip(SKIP_1) | instid1(VALU_DEP_3)
	v_cndmask_b32_e32 v4, v4, v6, vcc_lo
	v_and_b32_e32 v6, 0x80000000, v8
	v_lshl_add_u32 v5, v5, 23, 0x3b800000
	s_delay_alu instid0(VALU_DEP_3) | instskip(NEXT) | instid1(VALU_DEP_1)
	v_lshlrev_b32_e32 v4, 20, v4
	v_or3_b32 v4, v6, v5, v4
.LBB301_273:
	s_or_b32 exec_lo, exec_lo, s26
	s_delay_alu instid0(VALU_DEP_1)
	v_cmp_neq_f32_e64 s24, s24, v4
.LBB301_274:
	v_cmp_ne_u32_e32 vcc_lo, 1, v2
	v_lshrrev_b32_e32 v2, 24, v1
	s_cbranch_vccnz .LBB301_557
.LBB301_275:
	s_and_b32 s26, s10, 0xff
	s_delay_alu instid0(SALU_CYCLE_1)
	s_cmp_lt_i32 s26, 0x80
	s_cbranch_scc1 .LBB301_283
; %bb.276:
	s_and_b32 s25, 0xffff, s26
	s_mov_b32 s27, -1
	s_cmp_eq_u32 s25, 0x80
	s_cbranch_scc0 .LBB301_278
; %bb.277:
	s_mov_b32 s27, 0
.LBB301_278:
	s_mov_b32 s25, 0x7f800001
	s_branch .LBB301_285
.LBB301_279:
	s_mov_b32 s25, -1
	s_mov_b32 s27, exec_lo
	v_cmpx_eq_u16_e32 0x80, v5
; %bb.280:
	s_xor_b32 s25, exec_lo, -1
; %bb.281:
	s_or_b32 exec_lo, exec_lo, s27
	s_delay_alu instid0(SALU_CYCLE_1)
	s_and_b32 s25, s25, exec_lo
                                        ; implicit-def: $vgpr5
	s_or_saveexec_b32 s26, s26
	v_mov_b32_e32 v4, 0x7f800001
	s_xor_b32 exec_lo, exec_lo, s26
	s_cbranch_execz .LBB301_271
.LBB301_282:
	v_cmp_ne_u16_e32 vcc_lo, 0, v5
	v_mov_b32_e32 v4, 0
	s_and_not1_b32 s25, s25, exec_lo
	s_and_b32 s27, vcc_lo, exec_lo
	s_delay_alu instid0(SALU_CYCLE_1)
	s_or_b32 s25, s25, s27
	s_or_b32 exec_lo, exec_lo, s26
	s_and_saveexec_b32 s26, s25
	s_cbranch_execnz .LBB301_272
	s_branch .LBB301_273
.LBB301_283:
	s_mov_b32 s27, 0
	s_mov_b32 s25, 0x7f800001
	s_cbranch_execz .LBB301_285
; %bb.284:
	s_and_b32 s25, 0xffff, s26
	s_delay_alu instid0(SALU_CYCLE_1)
	s_cmp_lg_u32 s25, 0
	s_mov_b32 s25, 0
	s_cselect_b32 s27, -1, 0
.LBB301_285:
	s_delay_alu instid0(SALU_CYCLE_1)
	s_and_not1_b32 vcc_lo, exec_lo, s27
	s_cbranch_vccnz .LBB301_287
; %bb.286:
	s_mov_b32 s25, s3
.LBB301_287:
	s_mov_b32 s26, 0
	s_mov_b32 s27, exec_lo
	v_cmpx_lt_i16_e32 0x7f, v2
	s_xor_b32 s27, exec_lo, s27
	s_cbranch_execnz .LBB301_292
; %bb.288:
	s_or_saveexec_b32 s27, s27
	v_mov_b32_e32 v3, 0x7f800001
	s_xor_b32 exec_lo, exec_lo, s27
	s_cbranch_execnz .LBB301_295
.LBB301_289:
	s_or_b32 exec_lo, exec_lo, s27
	s_and_saveexec_b32 s27, s26
	s_cbranch_execz .LBB301_291
.LBB301_290:
	v_bfe_u32 v3, v1, 24, 3
	v_bfe_u32 v6, v1, 27, 4
	s_delay_alu instid0(VALU_DEP_2) | instskip(NEXT) | instid1(VALU_DEP_2)
	v_clz_i32_u32_e32 v4, v3
	v_cmp_eq_u32_e32 vcc_lo, 0, v6
	s_delay_alu instid0(VALU_DEP_2) | instskip(NEXT) | instid1(VALU_DEP_1)
	v_min_u32_e32 v4, 32, v4
	v_subrev_nc_u32_e32 v5, 28, v4
	s_delay_alu instid0(VALU_DEP_1) | instskip(NEXT) | instid1(VALU_DEP_1)
	v_dual_sub_nc_u32 v4, 29, v4 :: v_dual_lshlrev_b32 v5, v5, v2
	v_dual_cndmask_b32 v4, v6, v4, vcc_lo :: v_dual_bitop2_b32 v5, 7, v5 bitop3:0x40
	s_delay_alu instid0(VALU_DEP_1) | instskip(NEXT) | instid1(VALU_DEP_2)
	v_lshl_add_u32 v4, v4, 23, 0x3b800000
	v_cndmask_b32_e32 v3, v3, v5, vcc_lo
	v_and_b32_e32 v5, 0x80000000, v1
	s_delay_alu instid0(VALU_DEP_2) | instskip(NEXT) | instid1(VALU_DEP_1)
	v_lshlrev_b32_e32 v3, 20, v3
	v_or3_b32 v3, v5, v4, v3
.LBB301_291:
	s_or_b32 exec_lo, exec_lo, s27
	s_delay_alu instid0(VALU_DEP_1)
	v_cmp_neq_f32_e64 s25, s25, v3
	s_branch .LBB301_575
.LBB301_292:
	s_mov_b32 s26, -1
	s_mov_b32 s28, exec_lo
	v_cmpx_eq_u16_e32 0x80, v2
; %bb.293:
	s_xor_b32 s26, exec_lo, -1
; %bb.294:
	s_or_b32 exec_lo, exec_lo, s28
	s_delay_alu instid0(SALU_CYCLE_1)
	s_and_b32 s26, s26, exec_lo
	s_or_saveexec_b32 s27, s27
	v_mov_b32_e32 v3, 0x7f800001
	s_xor_b32 exec_lo, exec_lo, s27
	s_cbranch_execz .LBB301_289
.LBB301_295:
	v_cmp_ne_u16_e32 vcc_lo, 0, v2
	v_mov_b32_e32 v3, 0
	s_and_not1_b32 s26, s26, exec_lo
	s_and_b32 s28, vcc_lo, exec_lo
	s_delay_alu instid0(SALU_CYCLE_1)
	s_or_b32 s26, s26, s28
	s_or_b32 exec_lo, exec_lo, s27
	s_and_saveexec_b32 s27, s26
	s_cbranch_execnz .LBB301_290
	s_branch .LBB301_291
.LBB301_296:
	s_mov_b32 s13, 0
	s_mov_b32 s8, 0x7f800001
	s_cbranch_execz .LBB301_298
; %bb.297:
	s_and_b32 s8, 0xffff, s12
	s_delay_alu instid0(SALU_CYCLE_1)
	s_cmp_lg_u32 s8, 0
	s_mov_b32 s8, 0
	s_cselect_b32 s13, -1, 0
.LBB301_298:
	s_delay_alu instid0(SALU_CYCLE_1)
	s_and_not1_b32 vcc_lo, exec_lo, s13
	s_cbranch_vccnz .LBB301_300
; %bb.299:
	s_mov_b32 s8, s3
.LBB301_300:
	s_wait_loadcnt 0x3
	v_and_b32_e32 v6, 0xff, v5
	s_mov_b32 s12, 0
	s_mov_b32 s13, exec_lo
	s_delay_alu instid0(VALU_DEP_1)
	v_cmpx_lt_i16_e32 0x7f, v6
	s_xor_b32 s13, exec_lo, s13
	s_cbranch_execnz .LBB301_310
; %bb.301:
	s_or_saveexec_b32 s13, s13
	v_mov_b32_e32 v2, 0x7f800001
	s_xor_b32 exec_lo, exec_lo, s13
	s_cbranch_execnz .LBB301_313
.LBB301_302:
	s_or_b32 exec_lo, exec_lo, s13
	s_and_saveexec_b32 s13, s12
	s_cbranch_execz .LBB301_304
.LBB301_303:
	v_and_b32_e32 v2, 7, v5
	v_bfe_u32 v8, v5, 3, 4
	s_delay_alu instid0(VALU_DEP_2) | instskip(NEXT) | instid1(VALU_DEP_2)
	v_clz_i32_u32_e32 v6, v2
	v_cmp_eq_u32_e32 vcc_lo, 0, v8
	s_delay_alu instid0(VALU_DEP_2) | instskip(NEXT) | instid1(VALU_DEP_1)
	v_min_u32_e32 v6, 32, v6
	v_subrev_nc_u32_e32 v7, 28, v6
	s_delay_alu instid0(VALU_DEP_1) | instskip(NEXT) | instid1(VALU_DEP_1)
	v_dual_lshlrev_b32 v7, v7, v5 :: v_dual_sub_nc_u32 v6, 29, v6
	v_dual_lshlrev_b32 v9, 24, v5 :: v_dual_bitop2_b32 v7, 7, v7 bitop3:0x40
	s_delay_alu instid0(VALU_DEP_1) | instskip(NEXT) | instid1(VALU_DEP_2)
	v_dual_cndmask_b32 v6, v8, v6, vcc_lo :: v_dual_cndmask_b32 v2, v2, v7, vcc_lo
	v_and_b32_e32 v7, 0x80000000, v9
	s_delay_alu instid0(VALU_DEP_2) | instskip(NEXT) | instid1(VALU_DEP_3)
	v_lshl_add_u32 v6, v6, 23, 0x3b800000
	v_lshlrev_b32_e32 v2, 20, v2
	s_delay_alu instid0(VALU_DEP_1)
	v_or3_b32 v2, v7, v6, v2
.LBB301_304:
	s_or_b32 exec_lo, exec_lo, s13
	s_delay_alu instid0(VALU_DEP_1)
	v_cmp_eq_f32_e64 s8, s8, v2
	v_cndmask_b32_e64 v2, 0, 1, s11
	v_lshrrev_b32_e32 v6, 8, v5
	s_and_not1_b32 vcc_lo, exec_lo, s11
	s_cbranch_vccz .LBB301_10
.LBB301_305:
                                        ; implicit-def: $sgpr11
	s_cbranch_execz .LBB301_36
; %bb.306:
	s_and_b32 s12, s10, 0xff
	s_delay_alu instid0(SALU_CYCLE_1)
	s_cmp_lt_i32 s12, 0x80
	s_cbranch_scc1 .LBB301_314
; %bb.307:
	s_and_b32 s11, 0xffff, s12
	s_mov_b32 s13, -1
	s_cmp_eq_u32 s11, 0x80
	s_cbranch_scc0 .LBB301_309
; %bb.308:
	s_mov_b32 s13, 0
.LBB301_309:
	s_mov_b32 s11, 0x7f800001
	s_branch .LBB301_316
.LBB301_310:
	s_mov_b32 s12, -1
	s_mov_b32 s14, exec_lo
	v_cmpx_eq_u16_e32 0x80, v6
; %bb.311:
	s_xor_b32 s12, exec_lo, -1
; %bb.312:
	s_or_b32 exec_lo, exec_lo, s14
	s_delay_alu instid0(SALU_CYCLE_1)
	s_and_b32 s12, s12, exec_lo
                                        ; implicit-def: $vgpr6
	s_or_saveexec_b32 s13, s13
	v_mov_b32_e32 v2, 0x7f800001
	s_xor_b32 exec_lo, exec_lo, s13
	s_cbranch_execz .LBB301_302
.LBB301_313:
	v_cmp_ne_u16_e32 vcc_lo, 0, v6
	v_mov_b32_e32 v2, 0
	s_and_not1_b32 s12, s12, exec_lo
	s_and_b32 s14, vcc_lo, exec_lo
	s_delay_alu instid0(SALU_CYCLE_1)
	s_or_b32 s12, s12, s14
	s_or_b32 exec_lo, exec_lo, s13
	s_and_saveexec_b32 s13, s12
	s_cbranch_execnz .LBB301_303
	s_branch .LBB301_304
.LBB301_314:
	s_mov_b32 s13, 0
	s_mov_b32 s11, 0x7f800001
	s_cbranch_execz .LBB301_316
; %bb.315:
	s_and_b32 s11, 0xffff, s12
	s_delay_alu instid0(SALU_CYCLE_1)
	s_cmp_lg_u32 s11, 0
	s_mov_b32 s11, 0
	s_cselect_b32 s13, -1, 0
.LBB301_316:
	s_delay_alu instid0(SALU_CYCLE_1)
	s_and_not1_b32 vcc_lo, exec_lo, s13
	s_cbranch_vccnz .LBB301_318
; %bb.317:
	s_mov_b32 s11, s3
.LBB301_318:
	v_and_b32_e32 v8, 0xff, v6
	s_mov_b32 s12, 0
	s_mov_b32 s13, exec_lo
	s_delay_alu instid0(VALU_DEP_1)
	v_cmpx_lt_i16_e32 0x7f, v8
	s_xor_b32 s13, exec_lo, s13
	s_cbranch_execnz .LBB301_328
; %bb.319:
	s_or_saveexec_b32 s13, s13
	v_mov_b32_e32 v7, 0x7f800001
	s_xor_b32 exec_lo, exec_lo, s13
	s_cbranch_execnz .LBB301_331
.LBB301_320:
	s_or_b32 exec_lo, exec_lo, s13
	s_and_saveexec_b32 s13, s12
	s_cbranch_execz .LBB301_322
.LBB301_321:
	v_bfe_u32 v7, v5, 8, 3
	v_bfe_u32 v10, v5, 11, 4
	s_delay_alu instid0(VALU_DEP_2) | instskip(NEXT) | instid1(VALU_DEP_2)
	v_clz_i32_u32_e32 v8, v7
	v_cmp_eq_u32_e32 vcc_lo, 0, v10
	s_delay_alu instid0(VALU_DEP_2) | instskip(NEXT) | instid1(VALU_DEP_1)
	v_min_u32_e32 v8, 32, v8
	v_subrev_nc_u32_e32 v9, 28, v8
	s_delay_alu instid0(VALU_DEP_1) | instskip(NEXT) | instid1(VALU_DEP_1)
	v_dual_sub_nc_u32 v8, 29, v8 :: v_dual_lshlrev_b32 v9, v9, v6
	v_dual_lshlrev_b32 v6, 24, v6 :: v_dual_bitop2_b32 v9, 7, v9 bitop3:0x40
	s_delay_alu instid0(VALU_DEP_2) | instskip(NEXT) | instid1(VALU_DEP_2)
	v_cndmask_b32_e32 v8, v10, v8, vcc_lo
	v_and_b32_e32 v6, 0x80000000, v6
	s_delay_alu instid0(VALU_DEP_3) | instskip(NEXT) | instid1(VALU_DEP_3)
	v_cndmask_b32_e32 v7, v7, v9, vcc_lo
	v_lshl_add_u32 v8, v8, 23, 0x3b800000
	s_delay_alu instid0(VALU_DEP_2) | instskip(NEXT) | instid1(VALU_DEP_1)
	v_lshlrev_b32_e32 v7, 20, v7
	v_or3_b32 v7, v6, v8, v7
.LBB301_322:
	s_or_b32 exec_lo, exec_lo, s13
	s_delay_alu instid0(VALU_DEP_1)
	v_cmp_eq_f32_e64 s11, s11, v7
	v_cmp_ne_u32_e32 vcc_lo, 1, v2
	v_lshrrev_b32_e32 v6, 16, v5
	s_cbranch_vccz .LBB301_37
.LBB301_323:
                                        ; implicit-def: $sgpr12
	s_cbranch_execz .LBB301_58
; %bb.324:
	s_and_b32 s13, s10, 0xff
	s_delay_alu instid0(SALU_CYCLE_1)
	s_cmp_lt_i32 s13, 0x80
	s_cbranch_scc1 .LBB301_332
; %bb.325:
	s_and_b32 s12, 0xffff, s13
	s_mov_b32 s14, -1
	s_cmp_eq_u32 s12, 0x80
	s_cbranch_scc0 .LBB301_327
; %bb.326:
	s_mov_b32 s14, 0
.LBB301_327:
	s_mov_b32 s12, 0x7f800001
	s_branch .LBB301_334
.LBB301_328:
	s_mov_b32 s12, -1
	s_mov_b32 s14, exec_lo
	v_cmpx_eq_u16_e32 0x80, v8
; %bb.329:
	s_xor_b32 s12, exec_lo, -1
; %bb.330:
	s_or_b32 exec_lo, exec_lo, s14
	s_delay_alu instid0(SALU_CYCLE_1)
	s_and_b32 s12, s12, exec_lo
                                        ; implicit-def: $vgpr8
	s_or_saveexec_b32 s13, s13
	v_mov_b32_e32 v7, 0x7f800001
	s_xor_b32 exec_lo, exec_lo, s13
	s_cbranch_execz .LBB301_320
.LBB301_331:
	v_cmp_ne_u16_e32 vcc_lo, 0, v8
	v_mov_b32_e32 v7, 0
	s_and_not1_b32 s12, s12, exec_lo
	s_and_b32 s14, vcc_lo, exec_lo
	s_delay_alu instid0(SALU_CYCLE_1)
	s_or_b32 s12, s12, s14
	s_or_b32 exec_lo, exec_lo, s13
	s_and_saveexec_b32 s13, s12
	s_cbranch_execnz .LBB301_321
	s_branch .LBB301_322
.LBB301_332:
	s_mov_b32 s14, 0
	s_mov_b32 s12, 0x7f800001
	s_cbranch_execz .LBB301_334
; %bb.333:
	s_and_b32 s12, 0xffff, s13
	s_delay_alu instid0(SALU_CYCLE_1)
	s_cmp_lg_u32 s12, 0
	s_mov_b32 s12, 0
	s_cselect_b32 s14, -1, 0
.LBB301_334:
	s_delay_alu instid0(SALU_CYCLE_1)
	s_and_not1_b32 vcc_lo, exec_lo, s14
	s_cbranch_vccnz .LBB301_336
; %bb.335:
	s_mov_b32 s12, s3
.LBB301_336:
	v_and_b32_e32 v8, 0xff, v6
	s_mov_b32 s13, 0
	s_mov_b32 s14, exec_lo
	s_delay_alu instid0(VALU_DEP_1)
	v_cmpx_lt_i16_e32 0x7f, v8
	s_xor_b32 s14, exec_lo, s14
	s_cbranch_execnz .LBB301_346
; %bb.337:
	s_or_saveexec_b32 s14, s14
	v_mov_b32_e32 v7, 0x7f800001
	s_xor_b32 exec_lo, exec_lo, s14
	s_cbranch_execnz .LBB301_349
.LBB301_338:
	s_or_b32 exec_lo, exec_lo, s14
	s_and_saveexec_b32 s14, s13
	s_cbranch_execz .LBB301_340
.LBB301_339:
	v_bfe_u32 v7, v5, 16, 3
	v_bfe_u32 v10, v5, 19, 4
	s_delay_alu instid0(VALU_DEP_2) | instskip(NEXT) | instid1(VALU_DEP_2)
	v_clz_i32_u32_e32 v8, v7
	v_cmp_eq_u32_e32 vcc_lo, 0, v10
	s_delay_alu instid0(VALU_DEP_2) | instskip(NEXT) | instid1(VALU_DEP_1)
	v_min_u32_e32 v8, 32, v8
	v_subrev_nc_u32_e32 v9, 28, v8
	s_delay_alu instid0(VALU_DEP_1) | instskip(NEXT) | instid1(VALU_DEP_1)
	v_dual_sub_nc_u32 v8, 29, v8 :: v_dual_lshlrev_b32 v9, v9, v6
	v_dual_lshlrev_b32 v6, 24, v6 :: v_dual_bitop2_b32 v9, 7, v9 bitop3:0x40
	s_delay_alu instid0(VALU_DEP_2) | instskip(NEXT) | instid1(VALU_DEP_2)
	v_cndmask_b32_e32 v8, v10, v8, vcc_lo
	v_and_b32_e32 v6, 0x80000000, v6
	s_delay_alu instid0(VALU_DEP_3) | instskip(NEXT) | instid1(VALU_DEP_3)
	v_cndmask_b32_e32 v7, v7, v9, vcc_lo
	v_lshl_add_u32 v8, v8, 23, 0x3b800000
	s_delay_alu instid0(VALU_DEP_2) | instskip(NEXT) | instid1(VALU_DEP_1)
	v_lshlrev_b32_e32 v7, 20, v7
	v_or3_b32 v7, v6, v8, v7
.LBB301_340:
	s_or_b32 exec_lo, exec_lo, s14
	s_delay_alu instid0(VALU_DEP_1)
	v_cmp_eq_f32_e64 s12, s12, v7
	v_cmp_ne_u32_e32 vcc_lo, 1, v2
	v_lshrrev_b32_e32 v6, 24, v5
	s_cbranch_vccz .LBB301_59
.LBB301_341:
                                        ; implicit-def: $sgpr13
	s_cbranch_execz .LBB301_76
; %bb.342:
	s_and_b32 s14, s10, 0xff
	s_delay_alu instid0(SALU_CYCLE_1)
	s_cmp_lt_i32 s14, 0x80
	s_cbranch_scc1 .LBB301_350
; %bb.343:
	s_and_b32 s13, 0xffff, s14
	s_mov_b32 s15, -1
	s_cmp_eq_u32 s13, 0x80
	s_cbranch_scc0 .LBB301_345
; %bb.344:
	s_mov_b32 s15, 0
.LBB301_345:
	s_mov_b32 s13, 0x7f800001
	s_branch .LBB301_352
.LBB301_346:
	s_mov_b32 s13, -1
	s_mov_b32 s15, exec_lo
	v_cmpx_eq_u16_e32 0x80, v8
; %bb.347:
	s_xor_b32 s13, exec_lo, -1
; %bb.348:
	s_or_b32 exec_lo, exec_lo, s15
	s_delay_alu instid0(SALU_CYCLE_1)
	s_and_b32 s13, s13, exec_lo
                                        ; implicit-def: $vgpr8
	s_or_saveexec_b32 s14, s14
	v_mov_b32_e32 v7, 0x7f800001
	s_xor_b32 exec_lo, exec_lo, s14
	s_cbranch_execz .LBB301_338
.LBB301_349:
	v_cmp_ne_u16_e32 vcc_lo, 0, v8
	v_mov_b32_e32 v7, 0
	s_and_not1_b32 s13, s13, exec_lo
	s_and_b32 s15, vcc_lo, exec_lo
	s_delay_alu instid0(SALU_CYCLE_1)
	s_or_b32 s13, s13, s15
	s_or_b32 exec_lo, exec_lo, s14
	s_and_saveexec_b32 s14, s13
	s_cbranch_execnz .LBB301_339
	s_branch .LBB301_340
.LBB301_350:
	s_mov_b32 s15, 0
	s_mov_b32 s13, 0x7f800001
	s_cbranch_execz .LBB301_352
; %bb.351:
	s_and_b32 s13, 0xffff, s14
	s_delay_alu instid0(SALU_CYCLE_1)
	s_cmp_lg_u32 s13, 0
	s_mov_b32 s13, 0
	s_cselect_b32 s15, -1, 0
.LBB301_352:
	s_delay_alu instid0(SALU_CYCLE_1)
	s_and_not1_b32 vcc_lo, exec_lo, s15
	s_cbranch_vccnz .LBB301_354
; %bb.353:
	s_mov_b32 s13, s3
.LBB301_354:
	s_mov_b32 s14, 0
	s_mov_b32 s15, exec_lo
	v_cmpx_lt_i16_e32 0x7f, v6
	s_xor_b32 s15, exec_lo, s15
	s_cbranch_execnz .LBB301_364
; %bb.355:
	s_or_saveexec_b32 s15, s15
	v_mov_b32_e32 v7, 0x7f800001
	s_xor_b32 exec_lo, exec_lo, s15
	s_cbranch_execnz .LBB301_367
.LBB301_356:
	s_or_b32 exec_lo, exec_lo, s15
	s_and_saveexec_b32 s15, s14
	s_cbranch_execz .LBB301_358
.LBB301_357:
	v_bfe_u32 v7, v5, 24, 3
	s_delay_alu instid0(VALU_DEP_1) | instskip(NEXT) | instid1(VALU_DEP_1)
	v_clz_i32_u32_e32 v8, v7
	v_min_u32_e32 v8, 32, v8
	s_delay_alu instid0(VALU_DEP_1) | instskip(NEXT) | instid1(VALU_DEP_1)
	v_subrev_nc_u32_e32 v9, 28, v8
	v_dual_sub_nc_u32 v8, 29, v8 :: v_dual_lshlrev_b32 v6, v9, v6
	v_bfe_u32 v9, v5, 27, 4
	v_and_b32_e32 v5, 0x80000000, v5
	s_delay_alu instid0(VALU_DEP_2) | instskip(NEXT) | instid1(VALU_DEP_4)
	v_cmp_eq_u32_e32 vcc_lo, 0, v9
	v_dual_cndmask_b32 v8, v9, v8, vcc_lo :: v_dual_bitop2_b32 v6, 7, v6 bitop3:0x40
	s_delay_alu instid0(VALU_DEP_1) | instskip(NEXT) | instid1(VALU_DEP_2)
	v_cndmask_b32_e32 v6, v7, v6, vcc_lo
	v_lshl_add_u32 v7, v8, 23, 0x3b800000
	s_delay_alu instid0(VALU_DEP_2) | instskip(NEXT) | instid1(VALU_DEP_1)
	v_lshlrev_b32_e32 v6, 20, v6
	v_or3_b32 v7, v5, v7, v6
.LBB301_358:
	s_or_b32 exec_lo, exec_lo, s15
	s_delay_alu instid0(VALU_DEP_1)
	v_cmp_eq_f32_e64 s13, s13, v7
	v_cmp_ne_u32_e32 vcc_lo, 1, v2
	s_cbranch_vccz .LBB301_77
.LBB301_359:
                                        ; implicit-def: $sgpr14
	s_cbranch_execz .LBB301_94
; %bb.360:
	s_and_b32 s15, s10, 0xff
	s_delay_alu instid0(SALU_CYCLE_1)
	s_cmp_lt_i32 s15, 0x80
	s_cbranch_scc1 .LBB301_368
; %bb.361:
	s_and_b32 s14, 0xffff, s15
	s_mov_b32 s16, -1
	s_cmp_eq_u32 s14, 0x80
	s_cbranch_scc0 .LBB301_363
; %bb.362:
	s_mov_b32 s16, 0
.LBB301_363:
	s_mov_b32 s14, 0x7f800001
	s_branch .LBB301_370
.LBB301_364:
	s_mov_b32 s14, -1
	s_mov_b32 s16, exec_lo
	v_cmpx_eq_u16_e32 0x80, v6
; %bb.365:
	s_xor_b32 s14, exec_lo, -1
; %bb.366:
	s_or_b32 exec_lo, exec_lo, s16
	s_delay_alu instid0(SALU_CYCLE_1)
	s_and_b32 s14, s14, exec_lo
	s_or_saveexec_b32 s15, s15
	v_mov_b32_e32 v7, 0x7f800001
	s_xor_b32 exec_lo, exec_lo, s15
	s_cbranch_execz .LBB301_356
.LBB301_367:
	v_cmp_ne_u16_e32 vcc_lo, 0, v6
	v_mov_b32_e32 v7, 0
	s_and_not1_b32 s14, s14, exec_lo
	s_and_b32 s16, vcc_lo, exec_lo
	s_delay_alu instid0(SALU_CYCLE_1)
	s_or_b32 s14, s14, s16
	s_or_b32 exec_lo, exec_lo, s15
	s_and_saveexec_b32 s15, s14
	s_cbranch_execnz .LBB301_357
	s_branch .LBB301_358
.LBB301_368:
	s_mov_b32 s16, 0
	s_mov_b32 s14, 0x7f800001
	s_cbranch_execz .LBB301_370
; %bb.369:
	s_and_b32 s14, 0xffff, s15
	s_delay_alu instid0(SALU_CYCLE_1)
	s_cmp_lg_u32 s14, 0
	s_mov_b32 s14, 0
	s_cselect_b32 s16, -1, 0
.LBB301_370:
	s_delay_alu instid0(SALU_CYCLE_1)
	s_and_not1_b32 vcc_lo, exec_lo, s16
	s_cbranch_vccnz .LBB301_372
; %bb.371:
	s_mov_b32 s14, s3
.LBB301_372:
	s_wait_loadcnt 0x2
	v_and_b32_e32 v6, 0xff, v4
	s_mov_b32 s15, 0
	s_mov_b32 s16, exec_lo
	s_delay_alu instid0(VALU_DEP_1)
	v_cmpx_lt_i16_e32 0x7f, v6
	s_xor_b32 s16, exec_lo, s16
	s_cbranch_execnz .LBB301_382
; %bb.373:
	s_or_saveexec_b32 s16, s16
	v_mov_b32_e32 v5, 0x7f800001
	s_xor_b32 exec_lo, exec_lo, s16
	s_cbranch_execnz .LBB301_385
.LBB301_374:
	s_or_b32 exec_lo, exec_lo, s16
	s_and_saveexec_b32 s16, s15
	s_cbranch_execz .LBB301_376
.LBB301_375:
	v_and_b32_e32 v5, 7, v4
	v_bfe_u32 v8, v4, 3, 4
	s_delay_alu instid0(VALU_DEP_2) | instskip(NEXT) | instid1(VALU_DEP_2)
	v_clz_i32_u32_e32 v6, v5
	v_cmp_eq_u32_e32 vcc_lo, 0, v8
	s_delay_alu instid0(VALU_DEP_2) | instskip(NEXT) | instid1(VALU_DEP_1)
	v_min_u32_e32 v6, 32, v6
	v_subrev_nc_u32_e32 v7, 28, v6
	s_delay_alu instid0(VALU_DEP_1) | instskip(NEXT) | instid1(VALU_DEP_1)
	v_dual_lshlrev_b32 v7, v7, v4 :: v_dual_sub_nc_u32 v6, 29, v6
	v_dual_lshlrev_b32 v9, 24, v4 :: v_dual_bitop2_b32 v7, 7, v7 bitop3:0x40
	s_delay_alu instid0(VALU_DEP_1) | instskip(NEXT) | instid1(VALU_DEP_2)
	v_dual_cndmask_b32 v6, v8, v6 :: v_dual_cndmask_b32 v5, v5, v7
	v_and_b32_e32 v7, 0x80000000, v9
	s_delay_alu instid0(VALU_DEP_2) | instskip(NEXT) | instid1(VALU_DEP_3)
	v_lshl_add_u32 v6, v6, 23, 0x3b800000
	v_lshlrev_b32_e32 v5, 20, v5
	s_delay_alu instid0(VALU_DEP_1)
	v_or3_b32 v5, v7, v6, v5
.LBB301_376:
	s_or_b32 exec_lo, exec_lo, s16
	s_delay_alu instid0(VALU_DEP_1)
	v_cmp_eq_f32_e64 s14, s14, v5
	v_cmp_ne_u32_e32 vcc_lo, 1, v2
	v_lshrrev_b32_e32 v5, 8, v4
	s_cbranch_vccz .LBB301_95
.LBB301_377:
                                        ; implicit-def: $sgpr15
	s_cbranch_execz .LBB301_112
; %bb.378:
	s_and_b32 s16, s10, 0xff
	s_delay_alu instid0(SALU_CYCLE_1)
	s_cmp_lt_i32 s16, 0x80
	s_cbranch_scc1 .LBB301_386
; %bb.379:
	s_and_b32 s15, 0xffff, s16
	s_mov_b32 s17, -1
	s_cmp_eq_u32 s15, 0x80
	s_cbranch_scc0 .LBB301_381
; %bb.380:
	s_mov_b32 s17, 0
.LBB301_381:
	s_mov_b32 s15, 0x7f800001
	s_branch .LBB301_388
.LBB301_382:
	s_mov_b32 s15, -1
	s_mov_b32 s17, exec_lo
	v_cmpx_eq_u16_e32 0x80, v6
; %bb.383:
	s_xor_b32 s15, exec_lo, -1
; %bb.384:
	s_or_b32 exec_lo, exec_lo, s17
	s_delay_alu instid0(SALU_CYCLE_1)
	s_and_b32 s15, s15, exec_lo
                                        ; implicit-def: $vgpr6
	s_or_saveexec_b32 s16, s16
	v_mov_b32_e32 v5, 0x7f800001
	s_xor_b32 exec_lo, exec_lo, s16
	s_cbranch_execz .LBB301_374
.LBB301_385:
	v_cmp_ne_u16_e32 vcc_lo, 0, v6
	v_mov_b32_e32 v5, 0
	s_and_not1_b32 s15, s15, exec_lo
	s_and_b32 s17, vcc_lo, exec_lo
	s_delay_alu instid0(SALU_CYCLE_1)
	s_or_b32 s15, s15, s17
	s_or_b32 exec_lo, exec_lo, s16
	s_and_saveexec_b32 s16, s15
	s_cbranch_execnz .LBB301_375
	s_branch .LBB301_376
.LBB301_386:
	s_mov_b32 s17, 0
	s_mov_b32 s15, 0x7f800001
	s_cbranch_execz .LBB301_388
; %bb.387:
	s_and_b32 s15, 0xffff, s16
	s_delay_alu instid0(SALU_CYCLE_1)
	s_cmp_lg_u32 s15, 0
	s_mov_b32 s15, 0
	s_cselect_b32 s17, -1, 0
.LBB301_388:
	s_delay_alu instid0(SALU_CYCLE_1)
	s_and_not1_b32 vcc_lo, exec_lo, s17
	s_cbranch_vccnz .LBB301_390
; %bb.389:
	s_mov_b32 s15, s3
.LBB301_390:
	v_and_b32_e32 v7, 0xff, v5
	s_mov_b32 s16, 0
	s_mov_b32 s17, exec_lo
	s_delay_alu instid0(VALU_DEP_1)
	v_cmpx_lt_i16_e32 0x7f, v7
	s_xor_b32 s17, exec_lo, s17
	s_cbranch_execnz .LBB301_400
; %bb.391:
	s_or_saveexec_b32 s17, s17
	v_mov_b32_e32 v6, 0x7f800001
	s_xor_b32 exec_lo, exec_lo, s17
	s_cbranch_execnz .LBB301_403
.LBB301_392:
	s_or_b32 exec_lo, exec_lo, s17
	s_and_saveexec_b32 s17, s16
	s_cbranch_execz .LBB301_394
.LBB301_393:
	v_bfe_u32 v6, v4, 8, 3
	v_bfe_u32 v9, v4, 11, 4
	s_delay_alu instid0(VALU_DEP_2) | instskip(NEXT) | instid1(VALU_DEP_2)
	v_clz_i32_u32_e32 v7, v6
	v_cmp_eq_u32_e32 vcc_lo, 0, v9
	s_delay_alu instid0(VALU_DEP_2) | instskip(NEXT) | instid1(VALU_DEP_1)
	v_min_u32_e32 v7, 32, v7
	v_subrev_nc_u32_e32 v8, 28, v7
	s_delay_alu instid0(VALU_DEP_1) | instskip(NEXT) | instid1(VALU_DEP_1)
	v_dual_sub_nc_u32 v7, 29, v7 :: v_dual_lshlrev_b32 v8, v8, v5
	v_dual_lshlrev_b32 v5, 24, v5 :: v_dual_bitop2_b32 v8, 7, v8 bitop3:0x40
	s_delay_alu instid0(VALU_DEP_2) | instskip(NEXT) | instid1(VALU_DEP_2)
	v_cndmask_b32_e32 v7, v9, v7, vcc_lo
	v_and_b32_e32 v5, 0x80000000, v5
	s_delay_alu instid0(VALU_DEP_3) | instskip(NEXT) | instid1(VALU_DEP_3)
	v_cndmask_b32_e32 v6, v6, v8, vcc_lo
	v_lshl_add_u32 v7, v7, 23, 0x3b800000
	s_delay_alu instid0(VALU_DEP_2) | instskip(NEXT) | instid1(VALU_DEP_1)
	v_lshlrev_b32_e32 v6, 20, v6
	v_or3_b32 v6, v5, v7, v6
.LBB301_394:
	s_or_b32 exec_lo, exec_lo, s17
	s_delay_alu instid0(VALU_DEP_1)
	v_cmp_eq_f32_e64 s15, s15, v6
	v_cmp_ne_u32_e32 vcc_lo, 1, v2
	v_lshrrev_b32_e32 v5, 16, v4
	s_cbranch_vccz .LBB301_113
.LBB301_395:
                                        ; implicit-def: $sgpr16
	s_cbranch_execz .LBB301_130
; %bb.396:
	s_and_b32 s17, s10, 0xff
	s_delay_alu instid0(SALU_CYCLE_1)
	s_cmp_lt_i32 s17, 0x80
	s_cbranch_scc1 .LBB301_404
; %bb.397:
	s_and_b32 s16, 0xffff, s17
	s_mov_b32 s18, -1
	s_cmp_eq_u32 s16, 0x80
	s_cbranch_scc0 .LBB301_399
; %bb.398:
	s_mov_b32 s18, 0
.LBB301_399:
	s_mov_b32 s16, 0x7f800001
	s_branch .LBB301_406
.LBB301_400:
	s_mov_b32 s16, -1
	s_mov_b32 s18, exec_lo
	v_cmpx_eq_u16_e32 0x80, v7
; %bb.401:
	s_xor_b32 s16, exec_lo, -1
; %bb.402:
	s_or_b32 exec_lo, exec_lo, s18
	s_delay_alu instid0(SALU_CYCLE_1)
	s_and_b32 s16, s16, exec_lo
                                        ; implicit-def: $vgpr7
	s_or_saveexec_b32 s17, s17
	v_mov_b32_e32 v6, 0x7f800001
	s_xor_b32 exec_lo, exec_lo, s17
	s_cbranch_execz .LBB301_392
.LBB301_403:
	v_cmp_ne_u16_e32 vcc_lo, 0, v7
	v_mov_b32_e32 v6, 0
	s_and_not1_b32 s16, s16, exec_lo
	s_and_b32 s18, vcc_lo, exec_lo
	s_delay_alu instid0(SALU_CYCLE_1)
	s_or_b32 s16, s16, s18
	s_or_b32 exec_lo, exec_lo, s17
	s_and_saveexec_b32 s17, s16
	s_cbranch_execnz .LBB301_393
	s_branch .LBB301_394
.LBB301_404:
	s_mov_b32 s18, 0
	s_mov_b32 s16, 0x7f800001
	s_cbranch_execz .LBB301_406
; %bb.405:
	s_and_b32 s16, 0xffff, s17
	s_delay_alu instid0(SALU_CYCLE_1)
	s_cmp_lg_u32 s16, 0
	s_mov_b32 s16, 0
	s_cselect_b32 s18, -1, 0
.LBB301_406:
	s_delay_alu instid0(SALU_CYCLE_1)
	s_and_not1_b32 vcc_lo, exec_lo, s18
	s_cbranch_vccnz .LBB301_408
; %bb.407:
	s_mov_b32 s16, s3
.LBB301_408:
	v_and_b32_e32 v7, 0xff, v5
	s_mov_b32 s17, 0
	s_mov_b32 s18, exec_lo
	s_delay_alu instid0(VALU_DEP_1)
	v_cmpx_lt_i16_e32 0x7f, v7
	s_xor_b32 s18, exec_lo, s18
	s_cbranch_execnz .LBB301_418
; %bb.409:
	s_or_saveexec_b32 s18, s18
	v_mov_b32_e32 v6, 0x7f800001
	s_xor_b32 exec_lo, exec_lo, s18
	s_cbranch_execnz .LBB301_421
.LBB301_410:
	s_or_b32 exec_lo, exec_lo, s18
	s_and_saveexec_b32 s18, s17
	s_cbranch_execz .LBB301_412
.LBB301_411:
	v_bfe_u32 v6, v4, 16, 3
	v_bfe_u32 v9, v4, 19, 4
	s_delay_alu instid0(VALU_DEP_2) | instskip(NEXT) | instid1(VALU_DEP_2)
	v_clz_i32_u32_e32 v7, v6
	v_cmp_eq_u32_e32 vcc_lo, 0, v9
	s_delay_alu instid0(VALU_DEP_2) | instskip(NEXT) | instid1(VALU_DEP_1)
	v_min_u32_e32 v7, 32, v7
	v_subrev_nc_u32_e32 v8, 28, v7
	s_delay_alu instid0(VALU_DEP_1) | instskip(NEXT) | instid1(VALU_DEP_1)
	v_dual_sub_nc_u32 v7, 29, v7 :: v_dual_lshlrev_b32 v8, v8, v5
	v_dual_lshlrev_b32 v5, 24, v5 :: v_dual_bitop2_b32 v8, 7, v8 bitop3:0x40
	s_delay_alu instid0(VALU_DEP_2) | instskip(NEXT) | instid1(VALU_DEP_2)
	v_cndmask_b32_e32 v7, v9, v7, vcc_lo
	v_and_b32_e32 v5, 0x80000000, v5
	s_delay_alu instid0(VALU_DEP_3) | instskip(NEXT) | instid1(VALU_DEP_3)
	v_cndmask_b32_e32 v6, v6, v8, vcc_lo
	v_lshl_add_u32 v7, v7, 23, 0x3b800000
	s_delay_alu instid0(VALU_DEP_2) | instskip(NEXT) | instid1(VALU_DEP_1)
	v_lshlrev_b32_e32 v6, 20, v6
	v_or3_b32 v6, v5, v7, v6
.LBB301_412:
	s_or_b32 exec_lo, exec_lo, s18
	s_delay_alu instid0(VALU_DEP_1)
	v_cmp_eq_f32_e64 s16, s16, v6
	v_cmp_ne_u32_e32 vcc_lo, 1, v2
	v_lshrrev_b32_e32 v5, 24, v4
	s_cbranch_vccz .LBB301_131
.LBB301_413:
                                        ; implicit-def: $sgpr17
	s_cbranch_execz .LBB301_148
; %bb.414:
	s_and_b32 s18, s10, 0xff
	s_delay_alu instid0(SALU_CYCLE_1)
	s_cmp_lt_i32 s18, 0x80
	s_cbranch_scc1 .LBB301_422
; %bb.415:
	s_and_b32 s17, 0xffff, s18
	s_mov_b32 s19, -1
	s_cmp_eq_u32 s17, 0x80
	s_cbranch_scc0 .LBB301_417
; %bb.416:
	s_mov_b32 s19, 0
.LBB301_417:
	s_mov_b32 s17, 0x7f800001
	s_branch .LBB301_424
.LBB301_418:
	s_mov_b32 s17, -1
	s_mov_b32 s19, exec_lo
	v_cmpx_eq_u16_e32 0x80, v7
; %bb.419:
	s_xor_b32 s17, exec_lo, -1
; %bb.420:
	s_or_b32 exec_lo, exec_lo, s19
	s_delay_alu instid0(SALU_CYCLE_1)
	s_and_b32 s17, s17, exec_lo
                                        ; implicit-def: $vgpr7
	s_or_saveexec_b32 s18, s18
	v_mov_b32_e32 v6, 0x7f800001
	s_xor_b32 exec_lo, exec_lo, s18
	s_cbranch_execz .LBB301_410
.LBB301_421:
	v_cmp_ne_u16_e32 vcc_lo, 0, v7
	v_mov_b32_e32 v6, 0
	s_and_not1_b32 s17, s17, exec_lo
	s_and_b32 s19, vcc_lo, exec_lo
	s_delay_alu instid0(SALU_CYCLE_1)
	s_or_b32 s17, s17, s19
	s_or_b32 exec_lo, exec_lo, s18
	s_and_saveexec_b32 s18, s17
	s_cbranch_execnz .LBB301_411
	s_branch .LBB301_412
.LBB301_422:
	s_mov_b32 s19, 0
	s_mov_b32 s17, 0x7f800001
	s_cbranch_execz .LBB301_424
; %bb.423:
	s_and_b32 s17, 0xffff, s18
	s_delay_alu instid0(SALU_CYCLE_1)
	s_cmp_lg_u32 s17, 0
	s_mov_b32 s17, 0
	s_cselect_b32 s19, -1, 0
.LBB301_424:
	s_delay_alu instid0(SALU_CYCLE_1)
	s_and_not1_b32 vcc_lo, exec_lo, s19
	s_cbranch_vccnz .LBB301_426
; %bb.425:
	s_mov_b32 s17, s3
.LBB301_426:
	s_mov_b32 s18, 0
	s_mov_b32 s19, exec_lo
	v_cmpx_lt_i16_e32 0x7f, v5
	s_xor_b32 s19, exec_lo, s19
	s_cbranch_execnz .LBB301_436
; %bb.427:
	s_or_saveexec_b32 s19, s19
	v_mov_b32_e32 v6, 0x7f800001
	s_xor_b32 exec_lo, exec_lo, s19
	s_cbranch_execnz .LBB301_439
.LBB301_428:
	s_or_b32 exec_lo, exec_lo, s19
	s_and_saveexec_b32 s19, s18
	s_cbranch_execz .LBB301_430
.LBB301_429:
	v_bfe_u32 v6, v4, 24, 3
	s_delay_alu instid0(VALU_DEP_1) | instskip(NEXT) | instid1(VALU_DEP_1)
	v_clz_i32_u32_e32 v7, v6
	v_min_u32_e32 v7, 32, v7
	s_delay_alu instid0(VALU_DEP_1) | instskip(NEXT) | instid1(VALU_DEP_1)
	v_subrev_nc_u32_e32 v8, 28, v7
	v_dual_sub_nc_u32 v7, 29, v7 :: v_dual_lshlrev_b32 v5, v8, v5
	v_bfe_u32 v8, v4, 27, 4
	v_and_b32_e32 v4, 0x80000000, v4
	s_delay_alu instid0(VALU_DEP_2) | instskip(NEXT) | instid1(VALU_DEP_4)
	v_cmp_eq_u32_e32 vcc_lo, 0, v8
	v_dual_cndmask_b32 v7, v8, v7, vcc_lo :: v_dual_bitop2_b32 v5, 7, v5 bitop3:0x40
	s_delay_alu instid0(VALU_DEP_1) | instskip(NEXT) | instid1(VALU_DEP_2)
	v_cndmask_b32_e32 v5, v6, v5, vcc_lo
	v_lshl_add_u32 v6, v7, 23, 0x3b800000
	s_delay_alu instid0(VALU_DEP_2) | instskip(NEXT) | instid1(VALU_DEP_1)
	v_lshlrev_b32_e32 v5, 20, v5
	v_or3_b32 v6, v4, v6, v5
.LBB301_430:
	s_or_b32 exec_lo, exec_lo, s19
	s_delay_alu instid0(VALU_DEP_1)
	v_cmp_eq_f32_e64 s17, s17, v6
	v_cmp_ne_u32_e32 vcc_lo, 1, v2
	s_cbranch_vccz .LBB301_149
.LBB301_431:
                                        ; implicit-def: $sgpr18
	s_cbranch_execz .LBB301_166
; %bb.432:
	s_and_b32 s19, s10, 0xff
	s_delay_alu instid0(SALU_CYCLE_1)
	s_cmp_lt_i32 s19, 0x80
	s_cbranch_scc1 .LBB301_440
; %bb.433:
	s_and_b32 s18, 0xffff, s19
	s_mov_b32 s20, -1
	s_cmp_eq_u32 s18, 0x80
	s_cbranch_scc0 .LBB301_435
; %bb.434:
	s_mov_b32 s20, 0
.LBB301_435:
	s_mov_b32 s18, 0x7f800001
	s_branch .LBB301_442
.LBB301_436:
	s_mov_b32 s18, -1
	s_mov_b32 s20, exec_lo
	v_cmpx_eq_u16_e32 0x80, v5
; %bb.437:
	s_xor_b32 s18, exec_lo, -1
; %bb.438:
	s_or_b32 exec_lo, exec_lo, s20
	s_delay_alu instid0(SALU_CYCLE_1)
	s_and_b32 s18, s18, exec_lo
	s_or_saveexec_b32 s19, s19
	v_mov_b32_e32 v6, 0x7f800001
	s_xor_b32 exec_lo, exec_lo, s19
	s_cbranch_execz .LBB301_428
.LBB301_439:
	v_cmp_ne_u16_e32 vcc_lo, 0, v5
	v_mov_b32_e32 v6, 0
	s_and_not1_b32 s18, s18, exec_lo
	s_and_b32 s20, vcc_lo, exec_lo
	s_delay_alu instid0(SALU_CYCLE_1)
	s_or_b32 s18, s18, s20
	s_or_b32 exec_lo, exec_lo, s19
	s_and_saveexec_b32 s19, s18
	s_cbranch_execnz .LBB301_429
	s_branch .LBB301_430
.LBB301_440:
	s_mov_b32 s20, 0
	s_mov_b32 s18, 0x7f800001
	s_cbranch_execz .LBB301_442
; %bb.441:
	s_and_b32 s18, 0xffff, s19
	s_delay_alu instid0(SALU_CYCLE_1)
	s_cmp_lg_u32 s18, 0
	s_mov_b32 s18, 0
	s_cselect_b32 s20, -1, 0
.LBB301_442:
	s_delay_alu instid0(SALU_CYCLE_1)
	s_and_not1_b32 vcc_lo, exec_lo, s20
	s_cbranch_vccnz .LBB301_444
; %bb.443:
	s_mov_b32 s18, s3
.LBB301_444:
	s_wait_loadcnt 0x1
	v_and_b32_e32 v5, 0xff, v3
	s_mov_b32 s19, 0
	s_mov_b32 s20, exec_lo
	s_delay_alu instid0(VALU_DEP_1)
	v_cmpx_lt_i16_e32 0x7f, v5
	s_xor_b32 s20, exec_lo, s20
	s_cbranch_execnz .LBB301_454
; %bb.445:
	s_or_saveexec_b32 s20, s20
	v_mov_b32_e32 v4, 0x7f800001
	s_xor_b32 exec_lo, exec_lo, s20
	s_cbranch_execnz .LBB301_457
.LBB301_446:
	s_or_b32 exec_lo, exec_lo, s20
	s_and_saveexec_b32 s20, s19
	s_cbranch_execz .LBB301_448
.LBB301_447:
	v_and_b32_e32 v4, 7, v3
	v_bfe_u32 v7, v3, 3, 4
	s_delay_alu instid0(VALU_DEP_2) | instskip(NEXT) | instid1(VALU_DEP_2)
	v_clz_i32_u32_e32 v5, v4
	v_cmp_eq_u32_e32 vcc_lo, 0, v7
	s_delay_alu instid0(VALU_DEP_2) | instskip(NEXT) | instid1(VALU_DEP_1)
	v_min_u32_e32 v5, 32, v5
	v_subrev_nc_u32_e32 v6, 28, v5
	s_delay_alu instid0(VALU_DEP_1) | instskip(NEXT) | instid1(VALU_DEP_1)
	v_dual_lshlrev_b32 v6, v6, v3 :: v_dual_sub_nc_u32 v5, 29, v5
	v_dual_lshlrev_b32 v8, 24, v3 :: v_dual_bitop2_b32 v6, 7, v6 bitop3:0x40
	s_delay_alu instid0(VALU_DEP_1) | instskip(NEXT) | instid1(VALU_DEP_2)
	v_dual_cndmask_b32 v5, v7, v5 :: v_dual_cndmask_b32 v4, v4, v6
	v_and_b32_e32 v6, 0x80000000, v8
	s_delay_alu instid0(VALU_DEP_2) | instskip(NEXT) | instid1(VALU_DEP_3)
	v_lshl_add_u32 v5, v5, 23, 0x3b800000
	v_lshlrev_b32_e32 v4, 20, v4
	s_delay_alu instid0(VALU_DEP_1)
	v_or3_b32 v4, v6, v5, v4
.LBB301_448:
	s_or_b32 exec_lo, exec_lo, s20
	s_delay_alu instid0(VALU_DEP_1)
	v_cmp_eq_f32_e64 s18, s18, v4
	v_cmp_ne_u32_e32 vcc_lo, 1, v2
	v_lshrrev_b32_e32 v4, 8, v3
	s_cbranch_vccz .LBB301_167
.LBB301_449:
                                        ; implicit-def: $sgpr19
	s_cbranch_execz .LBB301_184
; %bb.450:
	s_and_b32 s20, s10, 0xff
	s_delay_alu instid0(SALU_CYCLE_1)
	s_cmp_lt_i32 s20, 0x80
	s_cbranch_scc1 .LBB301_458
; %bb.451:
	s_and_b32 s19, 0xffff, s20
	s_mov_b32 s21, -1
	s_cmp_eq_u32 s19, 0x80
	s_cbranch_scc0 .LBB301_453
; %bb.452:
	s_mov_b32 s21, 0
.LBB301_453:
	s_mov_b32 s19, 0x7f800001
	s_branch .LBB301_460
.LBB301_454:
	s_mov_b32 s19, -1
	s_mov_b32 s21, exec_lo
	v_cmpx_eq_u16_e32 0x80, v5
; %bb.455:
	s_xor_b32 s19, exec_lo, -1
; %bb.456:
	s_or_b32 exec_lo, exec_lo, s21
	s_delay_alu instid0(SALU_CYCLE_1)
	s_and_b32 s19, s19, exec_lo
                                        ; implicit-def: $vgpr5
	s_or_saveexec_b32 s20, s20
	v_mov_b32_e32 v4, 0x7f800001
	s_xor_b32 exec_lo, exec_lo, s20
	s_cbranch_execz .LBB301_446
.LBB301_457:
	v_cmp_ne_u16_e32 vcc_lo, 0, v5
	v_mov_b32_e32 v4, 0
	s_and_not1_b32 s19, s19, exec_lo
	s_and_b32 s21, vcc_lo, exec_lo
	s_delay_alu instid0(SALU_CYCLE_1)
	s_or_b32 s19, s19, s21
	s_or_b32 exec_lo, exec_lo, s20
	s_and_saveexec_b32 s20, s19
	s_cbranch_execnz .LBB301_447
	s_branch .LBB301_448
.LBB301_458:
	s_mov_b32 s21, 0
	s_mov_b32 s19, 0x7f800001
	s_cbranch_execz .LBB301_460
; %bb.459:
	s_and_b32 s19, 0xffff, s20
	s_delay_alu instid0(SALU_CYCLE_1)
	s_cmp_lg_u32 s19, 0
	s_mov_b32 s19, 0
	s_cselect_b32 s21, -1, 0
.LBB301_460:
	s_delay_alu instid0(SALU_CYCLE_1)
	s_and_not1_b32 vcc_lo, exec_lo, s21
	s_cbranch_vccnz .LBB301_462
; %bb.461:
	s_mov_b32 s19, s3
.LBB301_462:
	v_and_b32_e32 v6, 0xff, v4
	s_mov_b32 s20, 0
	s_mov_b32 s21, exec_lo
	s_delay_alu instid0(VALU_DEP_1)
	v_cmpx_lt_i16_e32 0x7f, v6
	s_xor_b32 s21, exec_lo, s21
	s_cbranch_execnz .LBB301_472
; %bb.463:
	s_or_saveexec_b32 s21, s21
	v_mov_b32_e32 v5, 0x7f800001
	s_xor_b32 exec_lo, exec_lo, s21
	s_cbranch_execnz .LBB301_475
.LBB301_464:
	s_or_b32 exec_lo, exec_lo, s21
	s_and_saveexec_b32 s21, s20
	s_cbranch_execz .LBB301_466
.LBB301_465:
	v_bfe_u32 v5, v3, 8, 3
	v_bfe_u32 v8, v3, 11, 4
	s_delay_alu instid0(VALU_DEP_2) | instskip(NEXT) | instid1(VALU_DEP_2)
	v_clz_i32_u32_e32 v6, v5
	v_cmp_eq_u32_e32 vcc_lo, 0, v8
	s_delay_alu instid0(VALU_DEP_2) | instskip(NEXT) | instid1(VALU_DEP_1)
	v_min_u32_e32 v6, 32, v6
	v_subrev_nc_u32_e32 v7, 28, v6
	s_delay_alu instid0(VALU_DEP_1) | instskip(NEXT) | instid1(VALU_DEP_1)
	v_dual_sub_nc_u32 v6, 29, v6 :: v_dual_lshlrev_b32 v7, v7, v4
	v_dual_lshlrev_b32 v4, 24, v4 :: v_dual_bitop2_b32 v7, 7, v7 bitop3:0x40
	s_delay_alu instid0(VALU_DEP_2) | instskip(NEXT) | instid1(VALU_DEP_2)
	v_cndmask_b32_e32 v6, v8, v6, vcc_lo
	v_and_b32_e32 v4, 0x80000000, v4
	s_delay_alu instid0(VALU_DEP_3) | instskip(NEXT) | instid1(VALU_DEP_3)
	v_cndmask_b32_e32 v5, v5, v7, vcc_lo
	v_lshl_add_u32 v6, v6, 23, 0x3b800000
	s_delay_alu instid0(VALU_DEP_2) | instskip(NEXT) | instid1(VALU_DEP_1)
	v_lshlrev_b32_e32 v5, 20, v5
	v_or3_b32 v5, v4, v6, v5
.LBB301_466:
	s_or_b32 exec_lo, exec_lo, s21
	s_delay_alu instid0(VALU_DEP_1)
	v_cmp_eq_f32_e64 s19, s19, v5
	v_cmp_ne_u32_e32 vcc_lo, 1, v2
	v_lshrrev_b32_e32 v4, 16, v3
	s_cbranch_vccz .LBB301_185
.LBB301_467:
                                        ; implicit-def: $sgpr20
	s_cbranch_execz .LBB301_202
; %bb.468:
	s_and_b32 s21, s10, 0xff
	s_delay_alu instid0(SALU_CYCLE_1)
	s_cmp_lt_i32 s21, 0x80
	s_cbranch_scc1 .LBB301_476
; %bb.469:
	s_and_b32 s20, 0xffff, s21
	s_mov_b32 s22, -1
	s_cmp_eq_u32 s20, 0x80
	s_cbranch_scc0 .LBB301_471
; %bb.470:
	s_mov_b32 s22, 0
.LBB301_471:
	s_mov_b32 s20, 0x7f800001
	s_branch .LBB301_478
.LBB301_472:
	s_mov_b32 s20, -1
	s_mov_b32 s22, exec_lo
	v_cmpx_eq_u16_e32 0x80, v6
; %bb.473:
	s_xor_b32 s20, exec_lo, -1
; %bb.474:
	s_or_b32 exec_lo, exec_lo, s22
	s_delay_alu instid0(SALU_CYCLE_1)
	s_and_b32 s20, s20, exec_lo
                                        ; implicit-def: $vgpr6
	s_or_saveexec_b32 s21, s21
	v_mov_b32_e32 v5, 0x7f800001
	s_xor_b32 exec_lo, exec_lo, s21
	s_cbranch_execz .LBB301_464
.LBB301_475:
	v_cmp_ne_u16_e32 vcc_lo, 0, v6
	v_mov_b32_e32 v5, 0
	s_and_not1_b32 s20, s20, exec_lo
	s_and_b32 s22, vcc_lo, exec_lo
	s_delay_alu instid0(SALU_CYCLE_1)
	s_or_b32 s20, s20, s22
	s_or_b32 exec_lo, exec_lo, s21
	s_and_saveexec_b32 s21, s20
	s_cbranch_execnz .LBB301_465
	s_branch .LBB301_466
.LBB301_476:
	s_mov_b32 s22, 0
	s_mov_b32 s20, 0x7f800001
	s_cbranch_execz .LBB301_478
; %bb.477:
	s_and_b32 s20, 0xffff, s21
	s_delay_alu instid0(SALU_CYCLE_1)
	s_cmp_lg_u32 s20, 0
	s_mov_b32 s20, 0
	s_cselect_b32 s22, -1, 0
.LBB301_478:
	s_delay_alu instid0(SALU_CYCLE_1)
	s_and_not1_b32 vcc_lo, exec_lo, s22
	s_cbranch_vccnz .LBB301_480
; %bb.479:
	s_mov_b32 s20, s3
.LBB301_480:
	v_and_b32_e32 v6, 0xff, v4
	s_mov_b32 s21, 0
	s_mov_b32 s22, exec_lo
	s_delay_alu instid0(VALU_DEP_1)
	v_cmpx_lt_i16_e32 0x7f, v6
	s_xor_b32 s22, exec_lo, s22
	s_cbranch_execnz .LBB301_490
; %bb.481:
	s_or_saveexec_b32 s22, s22
	v_mov_b32_e32 v5, 0x7f800001
	s_xor_b32 exec_lo, exec_lo, s22
	s_cbranch_execnz .LBB301_493
.LBB301_482:
	s_or_b32 exec_lo, exec_lo, s22
	s_and_saveexec_b32 s22, s21
	s_cbranch_execz .LBB301_484
.LBB301_483:
	v_bfe_u32 v5, v3, 16, 3
	v_bfe_u32 v8, v3, 19, 4
	s_delay_alu instid0(VALU_DEP_2) | instskip(NEXT) | instid1(VALU_DEP_2)
	v_clz_i32_u32_e32 v6, v5
	v_cmp_eq_u32_e32 vcc_lo, 0, v8
	s_delay_alu instid0(VALU_DEP_2) | instskip(NEXT) | instid1(VALU_DEP_1)
	v_min_u32_e32 v6, 32, v6
	v_subrev_nc_u32_e32 v7, 28, v6
	s_delay_alu instid0(VALU_DEP_1) | instskip(NEXT) | instid1(VALU_DEP_1)
	v_dual_sub_nc_u32 v6, 29, v6 :: v_dual_lshlrev_b32 v7, v7, v4
	v_dual_lshlrev_b32 v4, 24, v4 :: v_dual_bitop2_b32 v7, 7, v7 bitop3:0x40
	s_delay_alu instid0(VALU_DEP_2) | instskip(NEXT) | instid1(VALU_DEP_2)
	v_cndmask_b32_e32 v6, v8, v6, vcc_lo
	v_and_b32_e32 v4, 0x80000000, v4
	s_delay_alu instid0(VALU_DEP_3) | instskip(NEXT) | instid1(VALU_DEP_3)
	v_cndmask_b32_e32 v5, v5, v7, vcc_lo
	v_lshl_add_u32 v6, v6, 23, 0x3b800000
	s_delay_alu instid0(VALU_DEP_2) | instskip(NEXT) | instid1(VALU_DEP_1)
	v_lshlrev_b32_e32 v5, 20, v5
	v_or3_b32 v5, v4, v6, v5
.LBB301_484:
	s_or_b32 exec_lo, exec_lo, s22
	s_delay_alu instid0(VALU_DEP_1)
	v_cmp_eq_f32_e64 s20, s20, v5
	v_cmp_ne_u32_e32 vcc_lo, 1, v2
	v_lshrrev_b32_e32 v4, 24, v3
	s_cbranch_vccz .LBB301_203
.LBB301_485:
                                        ; implicit-def: $sgpr21
	s_cbranch_execz .LBB301_220
; %bb.486:
	s_and_b32 s22, s10, 0xff
	s_delay_alu instid0(SALU_CYCLE_1)
	s_cmp_lt_i32 s22, 0x80
	s_cbranch_scc1 .LBB301_494
; %bb.487:
	s_and_b32 s21, 0xffff, s22
	s_mov_b32 s23, -1
	s_cmp_eq_u32 s21, 0x80
	s_cbranch_scc0 .LBB301_489
; %bb.488:
	s_mov_b32 s23, 0
.LBB301_489:
	s_mov_b32 s21, 0x7f800001
	s_branch .LBB301_496
.LBB301_490:
	s_mov_b32 s21, -1
	s_mov_b32 s23, exec_lo
	v_cmpx_eq_u16_e32 0x80, v6
; %bb.491:
	s_xor_b32 s21, exec_lo, -1
; %bb.492:
	s_or_b32 exec_lo, exec_lo, s23
	s_delay_alu instid0(SALU_CYCLE_1)
	s_and_b32 s21, s21, exec_lo
                                        ; implicit-def: $vgpr6
	s_or_saveexec_b32 s22, s22
	v_mov_b32_e32 v5, 0x7f800001
	s_xor_b32 exec_lo, exec_lo, s22
	s_cbranch_execz .LBB301_482
.LBB301_493:
	v_cmp_ne_u16_e32 vcc_lo, 0, v6
	v_mov_b32_e32 v5, 0
	s_and_not1_b32 s21, s21, exec_lo
	s_and_b32 s23, vcc_lo, exec_lo
	s_delay_alu instid0(SALU_CYCLE_1)
	s_or_b32 s21, s21, s23
	s_or_b32 exec_lo, exec_lo, s22
	s_and_saveexec_b32 s22, s21
	s_cbranch_execnz .LBB301_483
	s_branch .LBB301_484
.LBB301_494:
	s_mov_b32 s23, 0
	s_mov_b32 s21, 0x7f800001
	s_cbranch_execz .LBB301_496
; %bb.495:
	s_and_b32 s21, 0xffff, s22
	s_delay_alu instid0(SALU_CYCLE_1)
	s_cmp_lg_u32 s21, 0
	s_mov_b32 s21, 0
	s_cselect_b32 s23, -1, 0
.LBB301_496:
	s_delay_alu instid0(SALU_CYCLE_1)
	s_and_not1_b32 vcc_lo, exec_lo, s23
	s_cbranch_vccnz .LBB301_498
; %bb.497:
	s_mov_b32 s21, s3
.LBB301_498:
	s_mov_b32 s22, 0
	s_mov_b32 s23, exec_lo
	v_cmpx_lt_i16_e32 0x7f, v4
	s_xor_b32 s23, exec_lo, s23
	s_cbranch_execnz .LBB301_508
; %bb.499:
	s_or_saveexec_b32 s23, s23
	v_mov_b32_e32 v5, 0x7f800001
	s_xor_b32 exec_lo, exec_lo, s23
	s_cbranch_execnz .LBB301_511
.LBB301_500:
	s_or_b32 exec_lo, exec_lo, s23
	s_and_saveexec_b32 s23, s22
	s_cbranch_execz .LBB301_502
.LBB301_501:
	v_bfe_u32 v5, v3, 24, 3
	s_delay_alu instid0(VALU_DEP_1) | instskip(NEXT) | instid1(VALU_DEP_1)
	v_clz_i32_u32_e32 v6, v5
	v_min_u32_e32 v6, 32, v6
	s_delay_alu instid0(VALU_DEP_1) | instskip(NEXT) | instid1(VALU_DEP_1)
	v_subrev_nc_u32_e32 v7, 28, v6
	v_dual_sub_nc_u32 v6, 29, v6 :: v_dual_lshlrev_b32 v4, v7, v4
	v_bfe_u32 v7, v3, 27, 4
	v_and_b32_e32 v3, 0x80000000, v3
	s_delay_alu instid0(VALU_DEP_2) | instskip(NEXT) | instid1(VALU_DEP_4)
	v_cmp_eq_u32_e32 vcc_lo, 0, v7
	v_dual_cndmask_b32 v6, v7, v6, vcc_lo :: v_dual_bitop2_b32 v4, 7, v4 bitop3:0x40
	s_delay_alu instid0(VALU_DEP_1) | instskip(NEXT) | instid1(VALU_DEP_2)
	v_cndmask_b32_e32 v4, v5, v4, vcc_lo
	v_lshl_add_u32 v5, v6, 23, 0x3b800000
	s_delay_alu instid0(VALU_DEP_2) | instskip(NEXT) | instid1(VALU_DEP_1)
	v_lshlrev_b32_e32 v4, 20, v4
	v_or3_b32 v5, v3, v5, v4
.LBB301_502:
	s_or_b32 exec_lo, exec_lo, s23
	s_delay_alu instid0(VALU_DEP_1)
	v_cmp_eq_f32_e64 s21, s21, v5
	v_cmp_ne_u32_e32 vcc_lo, 1, v2
	s_cbranch_vccz .LBB301_221
.LBB301_503:
                                        ; implicit-def: $sgpr22
	s_cbranch_execz .LBB301_238
; %bb.504:
	s_and_b32 s23, s10, 0xff
	s_delay_alu instid0(SALU_CYCLE_1)
	s_cmp_lt_i32 s23, 0x80
	s_cbranch_scc1 .LBB301_512
; %bb.505:
	s_and_b32 s22, 0xffff, s23
	s_mov_b32 s24, -1
	s_cmp_eq_u32 s22, 0x80
	s_cbranch_scc0 .LBB301_507
; %bb.506:
	s_mov_b32 s24, 0
.LBB301_507:
	s_mov_b32 s22, 0x7f800001
	s_branch .LBB301_514
.LBB301_508:
	s_mov_b32 s22, -1
	s_mov_b32 s24, exec_lo
	v_cmpx_eq_u16_e32 0x80, v4
; %bb.509:
	s_xor_b32 s22, exec_lo, -1
; %bb.510:
	s_or_b32 exec_lo, exec_lo, s24
	s_delay_alu instid0(SALU_CYCLE_1)
	s_and_b32 s22, s22, exec_lo
	s_or_saveexec_b32 s23, s23
	v_mov_b32_e32 v5, 0x7f800001
	s_xor_b32 exec_lo, exec_lo, s23
	s_cbranch_execz .LBB301_500
.LBB301_511:
	v_cmp_ne_u16_e32 vcc_lo, 0, v4
	v_mov_b32_e32 v5, 0
	s_and_not1_b32 s22, s22, exec_lo
	s_and_b32 s24, vcc_lo, exec_lo
	s_delay_alu instid0(SALU_CYCLE_1)
	s_or_b32 s22, s22, s24
	s_or_b32 exec_lo, exec_lo, s23
	s_and_saveexec_b32 s23, s22
	s_cbranch_execnz .LBB301_501
	s_branch .LBB301_502
.LBB301_512:
	s_mov_b32 s24, 0
	s_mov_b32 s22, 0x7f800001
	s_cbranch_execz .LBB301_514
; %bb.513:
	s_and_b32 s22, 0xffff, s23
	s_delay_alu instid0(SALU_CYCLE_1)
	s_cmp_lg_u32 s22, 0
	s_mov_b32 s22, 0
	s_cselect_b32 s24, -1, 0
.LBB301_514:
	s_delay_alu instid0(SALU_CYCLE_1)
	s_and_not1_b32 vcc_lo, exec_lo, s24
	s_cbranch_vccnz .LBB301_516
; %bb.515:
	s_mov_b32 s22, s3
.LBB301_516:
	s_wait_loadcnt 0x0
	v_and_b32_e32 v4, 0xff, v1
	s_mov_b32 s23, 0
	s_mov_b32 s24, exec_lo
	s_delay_alu instid0(VALU_DEP_1)
	v_cmpx_lt_i16_e32 0x7f, v4
	s_xor_b32 s24, exec_lo, s24
	s_cbranch_execnz .LBB301_526
; %bb.517:
	s_or_saveexec_b32 s24, s24
	v_mov_b32_e32 v3, 0x7f800001
	s_xor_b32 exec_lo, exec_lo, s24
	s_cbranch_execnz .LBB301_529
.LBB301_518:
	s_or_b32 exec_lo, exec_lo, s24
	s_and_saveexec_b32 s24, s23
	s_cbranch_execz .LBB301_520
.LBB301_519:
	v_and_b32_e32 v3, 7, v1
	v_bfe_u32 v6, v1, 3, 4
	s_delay_alu instid0(VALU_DEP_2) | instskip(NEXT) | instid1(VALU_DEP_2)
	v_clz_i32_u32_e32 v4, v3
	v_cmp_eq_u32_e32 vcc_lo, 0, v6
	s_delay_alu instid0(VALU_DEP_2) | instskip(NEXT) | instid1(VALU_DEP_1)
	v_min_u32_e32 v4, 32, v4
	v_subrev_nc_u32_e32 v5, 28, v4
	s_delay_alu instid0(VALU_DEP_1) | instskip(NEXT) | instid1(VALU_DEP_1)
	v_dual_lshlrev_b32 v5, v5, v1 :: v_dual_sub_nc_u32 v4, 29, v4
	v_and_b32_e32 v5, 7, v5
	s_delay_alu instid0(VALU_DEP_2) | instskip(NEXT) | instid1(VALU_DEP_2)
	v_dual_cndmask_b32 v4, v6, v4 :: v_dual_lshlrev_b32 v7, 24, v1
	v_cndmask_b32_e32 v3, v3, v5, vcc_lo
	s_delay_alu instid0(VALU_DEP_2) | instskip(NEXT) | instid1(VALU_DEP_3)
	v_and_b32_e32 v5, 0x80000000, v7
	v_lshl_add_u32 v4, v4, 23, 0x3b800000
	s_delay_alu instid0(VALU_DEP_3) | instskip(NEXT) | instid1(VALU_DEP_1)
	v_lshlrev_b32_e32 v3, 20, v3
	v_or3_b32 v3, v5, v4, v3
.LBB301_520:
	s_or_b32 exec_lo, exec_lo, s24
	s_delay_alu instid0(VALU_DEP_1)
	v_cmp_eq_f32_e64 s22, s22, v3
	v_cmp_ne_u32_e32 vcc_lo, 1, v2
	v_lshrrev_b32_e32 v3, 8, v1
	s_cbranch_vccz .LBB301_239
.LBB301_521:
                                        ; implicit-def: $sgpr23
	s_cbranch_execz .LBB301_256
; %bb.522:
	s_and_b32 s24, s10, 0xff
	s_delay_alu instid0(SALU_CYCLE_1)
	s_cmp_lt_i32 s24, 0x80
	s_cbranch_scc1 .LBB301_530
; %bb.523:
	s_and_b32 s23, 0xffff, s24
	s_mov_b32 s25, -1
	s_cmp_eq_u32 s23, 0x80
	s_cbranch_scc0 .LBB301_525
; %bb.524:
	s_mov_b32 s25, 0
.LBB301_525:
	s_mov_b32 s23, 0x7f800001
	s_branch .LBB301_532
.LBB301_526:
	s_mov_b32 s23, -1
	s_mov_b32 s25, exec_lo
	v_cmpx_eq_u16_e32 0x80, v4
; %bb.527:
	s_xor_b32 s23, exec_lo, -1
; %bb.528:
	s_or_b32 exec_lo, exec_lo, s25
	s_delay_alu instid0(SALU_CYCLE_1)
	s_and_b32 s23, s23, exec_lo
                                        ; implicit-def: $vgpr4
	s_or_saveexec_b32 s24, s24
	v_mov_b32_e32 v3, 0x7f800001
	s_xor_b32 exec_lo, exec_lo, s24
	s_cbranch_execz .LBB301_518
.LBB301_529:
	v_cmp_ne_u16_e32 vcc_lo, 0, v4
	v_mov_b32_e32 v3, 0
	s_and_not1_b32 s23, s23, exec_lo
	s_and_b32 s25, vcc_lo, exec_lo
	s_delay_alu instid0(SALU_CYCLE_1)
	s_or_b32 s23, s23, s25
	s_or_b32 exec_lo, exec_lo, s24
	s_and_saveexec_b32 s24, s23
	s_cbranch_execnz .LBB301_519
	s_branch .LBB301_520
.LBB301_530:
	s_mov_b32 s25, 0
	s_mov_b32 s23, 0x7f800001
	s_cbranch_execz .LBB301_532
; %bb.531:
	s_and_b32 s23, 0xffff, s24
	s_delay_alu instid0(SALU_CYCLE_1)
	s_cmp_lg_u32 s23, 0
	s_mov_b32 s23, 0
	s_cselect_b32 s25, -1, 0
.LBB301_532:
	s_delay_alu instid0(SALU_CYCLE_1)
	s_and_not1_b32 vcc_lo, exec_lo, s25
	s_cbranch_vccnz .LBB301_534
; %bb.533:
	s_mov_b32 s23, s3
.LBB301_534:
	v_and_b32_e32 v5, 0xff, v3
	s_mov_b32 s24, 0
	s_mov_b32 s25, exec_lo
	s_delay_alu instid0(VALU_DEP_1)
	v_cmpx_lt_i16_e32 0x7f, v5
	s_xor_b32 s25, exec_lo, s25
	s_cbranch_execnz .LBB301_544
; %bb.535:
	s_or_saveexec_b32 s25, s25
	v_mov_b32_e32 v4, 0x7f800001
	s_xor_b32 exec_lo, exec_lo, s25
	s_cbranch_execnz .LBB301_547
.LBB301_536:
	s_or_b32 exec_lo, exec_lo, s25
	s_and_saveexec_b32 s25, s24
	s_cbranch_execz .LBB301_538
.LBB301_537:
	v_bfe_u32 v4, v1, 8, 3
	v_bfe_u32 v7, v1, 11, 4
	s_delay_alu instid0(VALU_DEP_2) | instskip(NEXT) | instid1(VALU_DEP_2)
	v_clz_i32_u32_e32 v5, v4
	v_cmp_eq_u32_e32 vcc_lo, 0, v7
	s_delay_alu instid0(VALU_DEP_2) | instskip(NEXT) | instid1(VALU_DEP_1)
	v_min_u32_e32 v5, 32, v5
	v_subrev_nc_u32_e32 v6, 28, v5
	s_delay_alu instid0(VALU_DEP_1) | instskip(NEXT) | instid1(VALU_DEP_1)
	v_dual_sub_nc_u32 v5, 29, v5 :: v_dual_lshlrev_b32 v6, v6, v3
	v_dual_lshlrev_b32 v3, 24, v3 :: v_dual_bitop2_b32 v6, 7, v6 bitop3:0x40
	s_delay_alu instid0(VALU_DEP_2) | instskip(NEXT) | instid1(VALU_DEP_2)
	v_cndmask_b32_e32 v5, v7, v5, vcc_lo
	v_and_b32_e32 v3, 0x80000000, v3
	s_delay_alu instid0(VALU_DEP_3) | instskip(NEXT) | instid1(VALU_DEP_3)
	v_cndmask_b32_e32 v4, v4, v6, vcc_lo
	v_lshl_add_u32 v5, v5, 23, 0x3b800000
	s_delay_alu instid0(VALU_DEP_2) | instskip(NEXT) | instid1(VALU_DEP_1)
	v_lshlrev_b32_e32 v4, 20, v4
	v_or3_b32 v4, v3, v5, v4
.LBB301_538:
	s_or_b32 exec_lo, exec_lo, s25
	s_delay_alu instid0(VALU_DEP_1)
	v_cmp_eq_f32_e64 s23, s23, v4
	v_cmp_ne_u32_e32 vcc_lo, 1, v2
	v_lshrrev_b32_e32 v3, 16, v1
	s_cbranch_vccz .LBB301_257
.LBB301_539:
                                        ; implicit-def: $sgpr24
	s_cbranch_execz .LBB301_274
; %bb.540:
	s_and_b32 s25, s10, 0xff
	s_delay_alu instid0(SALU_CYCLE_1)
	s_cmp_lt_i32 s25, 0x80
	s_cbranch_scc1 .LBB301_548
; %bb.541:
	s_and_b32 s24, 0xffff, s25
	s_mov_b32 s26, -1
	s_cmp_eq_u32 s24, 0x80
	s_cbranch_scc0 .LBB301_543
; %bb.542:
	s_mov_b32 s26, 0
.LBB301_543:
	s_mov_b32 s24, 0x7f800001
	s_branch .LBB301_550
.LBB301_544:
	s_mov_b32 s24, -1
	s_mov_b32 s26, exec_lo
	v_cmpx_eq_u16_e32 0x80, v5
; %bb.545:
	s_xor_b32 s24, exec_lo, -1
; %bb.546:
	s_or_b32 exec_lo, exec_lo, s26
	s_delay_alu instid0(SALU_CYCLE_1)
	s_and_b32 s24, s24, exec_lo
                                        ; implicit-def: $vgpr5
	s_or_saveexec_b32 s25, s25
	v_mov_b32_e32 v4, 0x7f800001
	s_xor_b32 exec_lo, exec_lo, s25
	s_cbranch_execz .LBB301_536
.LBB301_547:
	v_cmp_ne_u16_e32 vcc_lo, 0, v5
	v_mov_b32_e32 v4, 0
	s_and_not1_b32 s24, s24, exec_lo
	s_and_b32 s26, vcc_lo, exec_lo
	s_delay_alu instid0(SALU_CYCLE_1)
	s_or_b32 s24, s24, s26
	s_or_b32 exec_lo, exec_lo, s25
	s_and_saveexec_b32 s25, s24
	s_cbranch_execnz .LBB301_537
	s_branch .LBB301_538
.LBB301_548:
	s_mov_b32 s26, 0
	s_mov_b32 s24, 0x7f800001
	s_cbranch_execz .LBB301_550
; %bb.549:
	s_and_b32 s24, 0xffff, s25
	s_delay_alu instid0(SALU_CYCLE_1)
	s_cmp_lg_u32 s24, 0
	s_mov_b32 s24, 0
	s_cselect_b32 s26, -1, 0
.LBB301_550:
	s_delay_alu instid0(SALU_CYCLE_1)
	s_and_not1_b32 vcc_lo, exec_lo, s26
	s_cbranch_vccnz .LBB301_552
; %bb.551:
	s_mov_b32 s24, s3
.LBB301_552:
	v_and_b32_e32 v5, 0xff, v3
	s_mov_b32 s25, 0
	s_mov_b32 s26, exec_lo
	s_delay_alu instid0(VALU_DEP_1)
	v_cmpx_lt_i16_e32 0x7f, v5
	s_xor_b32 s26, exec_lo, s26
	s_cbranch_execnz .LBB301_562
; %bb.553:
	s_or_saveexec_b32 s26, s26
	v_mov_b32_e32 v4, 0x7f800001
	s_xor_b32 exec_lo, exec_lo, s26
	s_cbranch_execnz .LBB301_565
.LBB301_554:
	s_or_b32 exec_lo, exec_lo, s26
	s_and_saveexec_b32 s26, s25
	s_cbranch_execz .LBB301_556
.LBB301_555:
	v_bfe_u32 v4, v1, 16, 3
	v_bfe_u32 v7, v1, 19, 4
	s_delay_alu instid0(VALU_DEP_2) | instskip(NEXT) | instid1(VALU_DEP_2)
	v_clz_i32_u32_e32 v5, v4
	v_cmp_eq_u32_e32 vcc_lo, 0, v7
	s_delay_alu instid0(VALU_DEP_2) | instskip(NEXT) | instid1(VALU_DEP_1)
	v_min_u32_e32 v5, 32, v5
	v_subrev_nc_u32_e32 v6, 28, v5
	s_delay_alu instid0(VALU_DEP_1) | instskip(NEXT) | instid1(VALU_DEP_1)
	v_dual_sub_nc_u32 v5, 29, v5 :: v_dual_lshlrev_b32 v6, v6, v3
	v_dual_lshlrev_b32 v3, 24, v3 :: v_dual_bitop2_b32 v6, 7, v6 bitop3:0x40
	s_delay_alu instid0(VALU_DEP_2) | instskip(NEXT) | instid1(VALU_DEP_2)
	v_cndmask_b32_e32 v5, v7, v5, vcc_lo
	v_and_b32_e32 v3, 0x80000000, v3
	s_delay_alu instid0(VALU_DEP_3) | instskip(NEXT) | instid1(VALU_DEP_3)
	v_cndmask_b32_e32 v4, v4, v6, vcc_lo
	v_lshl_add_u32 v5, v5, 23, 0x3b800000
	s_delay_alu instid0(VALU_DEP_2) | instskip(NEXT) | instid1(VALU_DEP_1)
	v_lshlrev_b32_e32 v4, 20, v4
	v_or3_b32 v4, v3, v5, v4
.LBB301_556:
	s_or_b32 exec_lo, exec_lo, s26
	s_delay_alu instid0(VALU_DEP_1)
	v_cmp_eq_f32_e64 s24, s24, v4
	v_cmp_ne_u32_e32 vcc_lo, 1, v2
	v_lshrrev_b32_e32 v2, 24, v1
	s_cbranch_vccz .LBB301_275
.LBB301_557:
                                        ; implicit-def: $sgpr25
	s_cbranch_execz .LBB301_575
; %bb.558:
	s_and_b32 s26, s10, 0xff
	s_delay_alu instid0(SALU_CYCLE_1)
	s_cmp_lt_i32 s26, 0x80
	s_cbranch_scc1 .LBB301_566
; %bb.559:
	s_and_b32 s25, 0xffff, s26
	s_mov_b32 s27, -1
	s_cmp_eq_u32 s25, 0x80
	s_cbranch_scc0 .LBB301_561
; %bb.560:
	s_mov_b32 s27, 0
.LBB301_561:
	s_mov_b32 s25, 0x7f800001
	s_branch .LBB301_568
.LBB301_562:
	s_mov_b32 s25, -1
	s_mov_b32 s27, exec_lo
	v_cmpx_eq_u16_e32 0x80, v5
; %bb.563:
	s_xor_b32 s25, exec_lo, -1
; %bb.564:
	s_or_b32 exec_lo, exec_lo, s27
	s_delay_alu instid0(SALU_CYCLE_1)
	s_and_b32 s25, s25, exec_lo
                                        ; implicit-def: $vgpr5
	s_or_saveexec_b32 s26, s26
	v_mov_b32_e32 v4, 0x7f800001
	s_xor_b32 exec_lo, exec_lo, s26
	s_cbranch_execz .LBB301_554
.LBB301_565:
	v_cmp_ne_u16_e32 vcc_lo, 0, v5
	v_mov_b32_e32 v4, 0
	s_and_not1_b32 s25, s25, exec_lo
	s_and_b32 s27, vcc_lo, exec_lo
	s_delay_alu instid0(SALU_CYCLE_1)
	s_or_b32 s25, s25, s27
	s_or_b32 exec_lo, exec_lo, s26
	s_and_saveexec_b32 s26, s25
	s_cbranch_execnz .LBB301_555
	s_branch .LBB301_556
.LBB301_566:
	s_mov_b32 s27, 0
	s_mov_b32 s25, 0x7f800001
	s_cbranch_execz .LBB301_568
; %bb.567:
	s_and_b32 s25, 0xffff, s26
	s_delay_alu instid0(SALU_CYCLE_1)
	s_cmp_lg_u32 s25, 0
	s_mov_b32 s25, 0
	s_cselect_b32 s27, -1, 0
.LBB301_568:
	s_delay_alu instid0(SALU_CYCLE_1)
	s_and_not1_b32 vcc_lo, exec_lo, s27
	s_cbranch_vccnz .LBB301_570
; %bb.569:
	s_mov_b32 s25, s3
.LBB301_570:
	s_mov_b32 s3, 0
	s_mov_b32 s26, exec_lo
	v_cmpx_lt_i16_e32 0x7f, v2
	s_xor_b32 s26, exec_lo, s26
	s_cbranch_execnz .LBB301_577
; %bb.571:
	s_or_saveexec_b32 s26, s26
	v_mov_b32_e32 v3, 0x7f800001
	s_xor_b32 exec_lo, exec_lo, s26
	s_cbranch_execnz .LBB301_580
.LBB301_572:
	s_or_b32 exec_lo, exec_lo, s26
	s_and_saveexec_b32 s26, s3
	s_cbranch_execz .LBB301_574
.LBB301_573:
	v_bfe_u32 v3, v1, 24, 3
	s_delay_alu instid0(VALU_DEP_1) | instskip(NEXT) | instid1(VALU_DEP_1)
	v_clz_i32_u32_e32 v4, v3
	v_min_u32_e32 v4, 32, v4
	s_delay_alu instid0(VALU_DEP_1) | instskip(NEXT) | instid1(VALU_DEP_1)
	v_subrev_nc_u32_e32 v5, 28, v4
	v_dual_sub_nc_u32 v4, 29, v4 :: v_dual_lshlrev_b32 v2, v5, v2
	v_bfe_u32 v5, v1, 27, 4
	v_and_b32_e32 v1, 0x80000000, v1
	s_delay_alu instid0(VALU_DEP_2) | instskip(NEXT) | instid1(VALU_DEP_4)
	v_cmp_eq_u32_e32 vcc_lo, 0, v5
	v_dual_cndmask_b32 v4, v5, v4, vcc_lo :: v_dual_bitop2_b32 v2, 7, v2 bitop3:0x40
	s_delay_alu instid0(VALU_DEP_1) | instskip(NEXT) | instid1(VALU_DEP_2)
	v_cndmask_b32_e32 v2, v3, v2, vcc_lo
	v_lshl_add_u32 v3, v4, 23, 0x3b800000
	s_delay_alu instid0(VALU_DEP_2) | instskip(NEXT) | instid1(VALU_DEP_1)
	v_lshlrev_b32_e32 v2, 20, v2
	v_or3_b32 v3, v1, v3, v2
.LBB301_574:
	s_or_b32 exec_lo, exec_lo, s26
	s_delay_alu instid0(VALU_DEP_1)
	v_cmp_eq_f32_e64 s25, s25, v3
.LBB301_575:
	v_cndmask_b32_e64 v1, 0, 1, s11
	v_cndmask_b32_e64 v2, 0, 1, s13
	;; [unrolled: 1-line block ×5, first 2 shown]
	v_lshlrev_b16 v1, 8, v1
	v_lshlrev_b16 v2, 8, v2
	v_cndmask_b32_e64 v6, 0, 1, s14
	v_lshlrev_b16 v4, 8, v4
	v_cndmask_b32_e64 v7, 0, 1, s21
	v_cndmask_b32_e64 v8, 0, 1, s23
	v_or_b32_e32 v2, v5, v2
	v_or_b32_e32 v1, v3, v1
	v_or_b32_e32 v3, v6, v4
	v_cndmask_b32_e64 v4, 0, 1, s17
	v_cndmask_b32_e64 v5, 0, 1, s19
	;; [unrolled: 1-line block ×4, first 2 shown]
	v_lshlrev_b16 v7, 8, v7
	v_lshlrev_b16 v4, 8, v4
	v_cndmask_b32_e64 v11, 0, 1, s20
	v_lshlrev_b16 v5, 8, v5
	v_cndmask_b32_e64 v9, 0, 1, s18
	;; [unrolled: 2-line block ×4, first 2 shown]
	v_or_b32_e32 v4, v6, v4
	v_or_b32_e32 v6, v11, v7
	;; [unrolled: 1-line block ×3, first 2 shown]
	s_add_nc_u64 s[12:13], s[4:5], s[0:1]
	v_or_b32_e32 v8, v13, v10
	v_dual_lshlrev_b32 v4, 16, v4 :: v_dual_bitop2_b32 v5, v9, v5 bitop3:0x54
	v_lshlrev_b32_e32 v2, 16, v2
	v_and_b32_e32 v1, 0xffff, v1
	v_lshlrev_b32_e32 v6, 16, v6
	v_and_b32_e32 v3, 0xffff, v3
	;; [unrolled: 2-line block ×3, first 2 shown]
	v_and_b32_e32 v7, 0xffff, v7
	v_or_b32_e32 v1, v1, v2
	v_or_b32_e32 v2, v3, v4
	s_delay_alu instid0(VALU_DEP_4) | instskip(NEXT) | instid1(VALU_DEP_4)
	v_or_b32_e32 v3, v5, v6
	v_or_b32_e32 v4, v7, v8
	s_clause 0x3
	global_store_b32 v0, v1, s[12:13] scale_offset
	global_store_b32 v0, v2, s[12:13] offset:1024 scale_offset
	global_store_b32 v0, v3, s[12:13] offset:2048 scale_offset
	;; [unrolled: 1-line block ×3, first 2 shown]
	s_branch .LBB301_2
.LBB301_576:
	s_wait_xcnt 0x0
	v_dual_mov_b32 v31, v0 :: v_dual_mov_b32 v0, s9
	v_dual_mov_b32 v1, s10 :: v_dual_mov_b32 v2, s4
	;; [unrolled: 1-line block ×4, first 2 shown]
	s_get_pc_i64 s[0:1]
	s_add_nc_u64 s[0:1], s[0:1], _ZN2at6native25elementwise_kernel_helperILb0ENS0_13AUnaryFunctorIN3c1015Float8_e4m3fnuzES4_bNS0_12_GLOBAL__N_116CompareEqFunctorIS4_EEEENS0_6memory8policies11unroll_baseILi256ESt5arrayIPcLm2EE23TrivialOffsetCalculatorILi1EjESG_NS9_15LoadWithoutCastENS9_16StoreWithoutCastELi16ELi1EEEEEvT0_T1_@rel64+4
	s_delay_alu instid0(SALU_CYCLE_1)
	s_swap_pc_i64 s[30:31], s[0:1]
	s_endpgm
.LBB301_577:
	s_mov_b32 s3, -1
	s_mov_b32 s27, exec_lo
	v_cmpx_eq_u16_e32 0x80, v2
; %bb.578:
	s_xor_b32 s3, exec_lo, -1
; %bb.579:
	s_or_b32 exec_lo, exec_lo, s27
	s_delay_alu instid0(SALU_CYCLE_1)
	s_and_b32 s3, s3, exec_lo
	s_or_saveexec_b32 s26, s26
	v_mov_b32_e32 v3, 0x7f800001
	s_xor_b32 exec_lo, exec_lo, s26
	s_cbranch_execz .LBB301_572
.LBB301_580:
	v_cmp_ne_u16_e32 vcc_lo, 0, v2
	v_mov_b32_e32 v3, 0
	s_and_not1_b32 s3, s3, exec_lo
	s_and_b32 s27, vcc_lo, exec_lo
	s_delay_alu instid0(SALU_CYCLE_1)
	s_or_b32 s3, s3, s27
	s_or_b32 exec_lo, exec_lo, s26
	s_and_saveexec_b32 s26, s3
	s_cbranch_execnz .LBB301_573
	s_branch .LBB301_574
	.section	.rodata,"a",@progbits
	.p2align	6, 0x0
	.amdhsa_kernel _ZN2at6native29vectorized_elementwise_kernelILi4ENS0_13AUnaryFunctorIN3c1015Float8_e4m3fnuzES4_bNS0_12_GLOBAL__N_116CompareEqFunctorIS4_EEEESt5arrayIPcLm2EEEEviT0_T1_
		.amdhsa_group_segment_fixed_size 0
		.amdhsa_private_segment_fixed_size 0
		.amdhsa_kernarg_size 32
		.amdhsa_user_sgpr_count 2
		.amdhsa_user_sgpr_dispatch_ptr 0
		.amdhsa_user_sgpr_queue_ptr 0
		.amdhsa_user_sgpr_kernarg_segment_ptr 1
		.amdhsa_user_sgpr_dispatch_id 0
		.amdhsa_user_sgpr_kernarg_preload_length 0
		.amdhsa_user_sgpr_kernarg_preload_offset 0
		.amdhsa_user_sgpr_private_segment_size 0
		.amdhsa_wavefront_size32 1
		.amdhsa_uses_dynamic_stack 0
		.amdhsa_enable_private_segment 0
		.amdhsa_system_sgpr_workgroup_id_x 1
		.amdhsa_system_sgpr_workgroup_id_y 0
		.amdhsa_system_sgpr_workgroup_id_z 0
		.amdhsa_system_sgpr_workgroup_info 0
		.amdhsa_system_vgpr_workitem_id 0
		.amdhsa_next_free_vgpr 32
		.amdhsa_next_free_sgpr 33
		.amdhsa_named_barrier_count 0
		.amdhsa_reserve_vcc 1
		.amdhsa_float_round_mode_32 0
		.amdhsa_float_round_mode_16_64 0
		.amdhsa_float_denorm_mode_32 3
		.amdhsa_float_denorm_mode_16_64 3
		.amdhsa_fp16_overflow 0
		.amdhsa_memory_ordered 1
		.amdhsa_forward_progress 1
		.amdhsa_inst_pref_size 112
		.amdhsa_round_robin_scheduling 0
		.amdhsa_exception_fp_ieee_invalid_op 0
		.amdhsa_exception_fp_denorm_src 0
		.amdhsa_exception_fp_ieee_div_zero 0
		.amdhsa_exception_fp_ieee_overflow 0
		.amdhsa_exception_fp_ieee_underflow 0
		.amdhsa_exception_fp_ieee_inexact 0
		.amdhsa_exception_int_div_zero 0
	.end_amdhsa_kernel
	.section	.text._ZN2at6native29vectorized_elementwise_kernelILi4ENS0_13AUnaryFunctorIN3c1015Float8_e4m3fnuzES4_bNS0_12_GLOBAL__N_116CompareEqFunctorIS4_EEEESt5arrayIPcLm2EEEEviT0_T1_,"axG",@progbits,_ZN2at6native29vectorized_elementwise_kernelILi4ENS0_13AUnaryFunctorIN3c1015Float8_e4m3fnuzES4_bNS0_12_GLOBAL__N_116CompareEqFunctorIS4_EEEESt5arrayIPcLm2EEEEviT0_T1_,comdat
.Lfunc_end301:
	.size	_ZN2at6native29vectorized_elementwise_kernelILi4ENS0_13AUnaryFunctorIN3c1015Float8_e4m3fnuzES4_bNS0_12_GLOBAL__N_116CompareEqFunctorIS4_EEEESt5arrayIPcLm2EEEEviT0_T1_, .Lfunc_end301-_ZN2at6native29vectorized_elementwise_kernelILi4ENS0_13AUnaryFunctorIN3c1015Float8_e4m3fnuzES4_bNS0_12_GLOBAL__N_116CompareEqFunctorIS4_EEEESt5arrayIPcLm2EEEEviT0_T1_
                                        ; -- End function
	.set _ZN2at6native29vectorized_elementwise_kernelILi4ENS0_13AUnaryFunctorIN3c1015Float8_e4m3fnuzES4_bNS0_12_GLOBAL__N_116CompareEqFunctorIS4_EEEESt5arrayIPcLm2EEEEviT0_T1_.num_vgpr, max(32, .L_ZN2at6native25elementwise_kernel_helperILb0ENS0_13AUnaryFunctorIN3c1015Float8_e4m3fnuzES4_bNS0_12_GLOBAL__N_116CompareEqFunctorIS4_EEEENS0_6memory8policies11unroll_baseILi256ESt5arrayIPcLm2EE23TrivialOffsetCalculatorILi1EjESG_NS9_15LoadWithoutCastENS9_16StoreWithoutCastELi16ELi1EEEEEvT0_T1_.num_vgpr)
	.set _ZN2at6native29vectorized_elementwise_kernelILi4ENS0_13AUnaryFunctorIN3c1015Float8_e4m3fnuzES4_bNS0_12_GLOBAL__N_116CompareEqFunctorIS4_EEEESt5arrayIPcLm2EEEEviT0_T1_.num_agpr, max(0, .L_ZN2at6native25elementwise_kernel_helperILb0ENS0_13AUnaryFunctorIN3c1015Float8_e4m3fnuzES4_bNS0_12_GLOBAL__N_116CompareEqFunctorIS4_EEEENS0_6memory8policies11unroll_baseILi256ESt5arrayIPcLm2EE23TrivialOffsetCalculatorILi1EjESG_NS9_15LoadWithoutCastENS9_16StoreWithoutCastELi16ELi1EEEEEvT0_T1_.num_agpr)
	.set _ZN2at6native29vectorized_elementwise_kernelILi4ENS0_13AUnaryFunctorIN3c1015Float8_e4m3fnuzES4_bNS0_12_GLOBAL__N_116CompareEqFunctorIS4_EEEESt5arrayIPcLm2EEEEviT0_T1_.numbered_sgpr, max(33, .L_ZN2at6native25elementwise_kernel_helperILb0ENS0_13AUnaryFunctorIN3c1015Float8_e4m3fnuzES4_bNS0_12_GLOBAL__N_116CompareEqFunctorIS4_EEEENS0_6memory8policies11unroll_baseILi256ESt5arrayIPcLm2EE23TrivialOffsetCalculatorILi1EjESG_NS9_15LoadWithoutCastENS9_16StoreWithoutCastELi16ELi1EEEEEvT0_T1_.numbered_sgpr)
	.set _ZN2at6native29vectorized_elementwise_kernelILi4ENS0_13AUnaryFunctorIN3c1015Float8_e4m3fnuzES4_bNS0_12_GLOBAL__N_116CompareEqFunctorIS4_EEEESt5arrayIPcLm2EEEEviT0_T1_.num_named_barrier, max(0, .L_ZN2at6native25elementwise_kernel_helperILb0ENS0_13AUnaryFunctorIN3c1015Float8_e4m3fnuzES4_bNS0_12_GLOBAL__N_116CompareEqFunctorIS4_EEEENS0_6memory8policies11unroll_baseILi256ESt5arrayIPcLm2EE23TrivialOffsetCalculatorILi1EjESG_NS9_15LoadWithoutCastENS9_16StoreWithoutCastELi16ELi1EEEEEvT0_T1_.num_named_barrier)
	.set _ZN2at6native29vectorized_elementwise_kernelILi4ENS0_13AUnaryFunctorIN3c1015Float8_e4m3fnuzES4_bNS0_12_GLOBAL__N_116CompareEqFunctorIS4_EEEESt5arrayIPcLm2EEEEviT0_T1_.private_seg_size, 0+max(.L_ZN2at6native25elementwise_kernel_helperILb0ENS0_13AUnaryFunctorIN3c1015Float8_e4m3fnuzES4_bNS0_12_GLOBAL__N_116CompareEqFunctorIS4_EEEENS0_6memory8policies11unroll_baseILi256ESt5arrayIPcLm2EE23TrivialOffsetCalculatorILi1EjESG_NS9_15LoadWithoutCastENS9_16StoreWithoutCastELi16ELi1EEEEEvT0_T1_.private_seg_size)
	.set _ZN2at6native29vectorized_elementwise_kernelILi4ENS0_13AUnaryFunctorIN3c1015Float8_e4m3fnuzES4_bNS0_12_GLOBAL__N_116CompareEqFunctorIS4_EEEESt5arrayIPcLm2EEEEviT0_T1_.uses_vcc, or(1, .L_ZN2at6native25elementwise_kernel_helperILb0ENS0_13AUnaryFunctorIN3c1015Float8_e4m3fnuzES4_bNS0_12_GLOBAL__N_116CompareEqFunctorIS4_EEEENS0_6memory8policies11unroll_baseILi256ESt5arrayIPcLm2EE23TrivialOffsetCalculatorILi1EjESG_NS9_15LoadWithoutCastENS9_16StoreWithoutCastELi16ELi1EEEEEvT0_T1_.uses_vcc)
	.set _ZN2at6native29vectorized_elementwise_kernelILi4ENS0_13AUnaryFunctorIN3c1015Float8_e4m3fnuzES4_bNS0_12_GLOBAL__N_116CompareEqFunctorIS4_EEEESt5arrayIPcLm2EEEEviT0_T1_.uses_flat_scratch, or(0, .L_ZN2at6native25elementwise_kernel_helperILb0ENS0_13AUnaryFunctorIN3c1015Float8_e4m3fnuzES4_bNS0_12_GLOBAL__N_116CompareEqFunctorIS4_EEEENS0_6memory8policies11unroll_baseILi256ESt5arrayIPcLm2EE23TrivialOffsetCalculatorILi1EjESG_NS9_15LoadWithoutCastENS9_16StoreWithoutCastELi16ELi1EEEEEvT0_T1_.uses_flat_scratch)
	.set _ZN2at6native29vectorized_elementwise_kernelILi4ENS0_13AUnaryFunctorIN3c1015Float8_e4m3fnuzES4_bNS0_12_GLOBAL__N_116CompareEqFunctorIS4_EEEESt5arrayIPcLm2EEEEviT0_T1_.has_dyn_sized_stack, or(0, .L_ZN2at6native25elementwise_kernel_helperILb0ENS0_13AUnaryFunctorIN3c1015Float8_e4m3fnuzES4_bNS0_12_GLOBAL__N_116CompareEqFunctorIS4_EEEENS0_6memory8policies11unroll_baseILi256ESt5arrayIPcLm2EE23TrivialOffsetCalculatorILi1EjESG_NS9_15LoadWithoutCastENS9_16StoreWithoutCastELi16ELi1EEEEEvT0_T1_.has_dyn_sized_stack)
	.set _ZN2at6native29vectorized_elementwise_kernelILi4ENS0_13AUnaryFunctorIN3c1015Float8_e4m3fnuzES4_bNS0_12_GLOBAL__N_116CompareEqFunctorIS4_EEEESt5arrayIPcLm2EEEEviT0_T1_.has_recursion, or(0, .L_ZN2at6native25elementwise_kernel_helperILb0ENS0_13AUnaryFunctorIN3c1015Float8_e4m3fnuzES4_bNS0_12_GLOBAL__N_116CompareEqFunctorIS4_EEEENS0_6memory8policies11unroll_baseILi256ESt5arrayIPcLm2EE23TrivialOffsetCalculatorILi1EjESG_NS9_15LoadWithoutCastENS9_16StoreWithoutCastELi16ELi1EEEEEvT0_T1_.has_recursion)
	.set _ZN2at6native29vectorized_elementwise_kernelILi4ENS0_13AUnaryFunctorIN3c1015Float8_e4m3fnuzES4_bNS0_12_GLOBAL__N_116CompareEqFunctorIS4_EEEESt5arrayIPcLm2EEEEviT0_T1_.has_indirect_call, or(0, .L_ZN2at6native25elementwise_kernel_helperILb0ENS0_13AUnaryFunctorIN3c1015Float8_e4m3fnuzES4_bNS0_12_GLOBAL__N_116CompareEqFunctorIS4_EEEENS0_6memory8policies11unroll_baseILi256ESt5arrayIPcLm2EE23TrivialOffsetCalculatorILi1EjESG_NS9_15LoadWithoutCastENS9_16StoreWithoutCastELi16ELi1EEEEEvT0_T1_.has_indirect_call)
	.section	.AMDGPU.csdata,"",@progbits
; Kernel info:
; codeLenInByte = 14264
; TotalNumSgprs: 35
; NumVgprs: 32
; ScratchSize: 0
; MemoryBound: 0
; FloatMode: 240
; IeeeMode: 1
; LDSByteSize: 0 bytes/workgroup (compile time only)
; SGPRBlocks: 0
; VGPRBlocks: 1
; NumSGPRsForWavesPerEU: 35
; NumVGPRsForWavesPerEU: 32
; NamedBarCnt: 0
; Occupancy: 16
; WaveLimiterHint : 1
; COMPUTE_PGM_RSRC2:SCRATCH_EN: 0
; COMPUTE_PGM_RSRC2:USER_SGPR: 2
; COMPUTE_PGM_RSRC2:TRAP_HANDLER: 0
; COMPUTE_PGM_RSRC2:TGID_X_EN: 1
; COMPUTE_PGM_RSRC2:TGID_Y_EN: 0
; COMPUTE_PGM_RSRC2:TGID_Z_EN: 0
; COMPUTE_PGM_RSRC2:TIDIG_COMP_CNT: 0
	.section	.text._ZN2at6native29vectorized_elementwise_kernelILi2ENS0_13AUnaryFunctorIN3c1015Float8_e4m3fnuzES4_bNS0_12_GLOBAL__N_116CompareEqFunctorIS4_EEEESt5arrayIPcLm2EEEEviT0_T1_,"axG",@progbits,_ZN2at6native29vectorized_elementwise_kernelILi2ENS0_13AUnaryFunctorIN3c1015Float8_e4m3fnuzES4_bNS0_12_GLOBAL__N_116CompareEqFunctorIS4_EEEESt5arrayIPcLm2EEEEviT0_T1_,comdat
	.globl	_ZN2at6native29vectorized_elementwise_kernelILi2ENS0_13AUnaryFunctorIN3c1015Float8_e4m3fnuzES4_bNS0_12_GLOBAL__N_116CompareEqFunctorIS4_EEEESt5arrayIPcLm2EEEEviT0_T1_ ; -- Begin function _ZN2at6native29vectorized_elementwise_kernelILi2ENS0_13AUnaryFunctorIN3c1015Float8_e4m3fnuzES4_bNS0_12_GLOBAL__N_116CompareEqFunctorIS4_EEEESt5arrayIPcLm2EEEEviT0_T1_
	.p2align	8
	.type	_ZN2at6native29vectorized_elementwise_kernelILi2ENS0_13AUnaryFunctorIN3c1015Float8_e4m3fnuzES4_bNS0_12_GLOBAL__N_116CompareEqFunctorIS4_EEEESt5arrayIPcLm2EEEEviT0_T1_,@function
_ZN2at6native29vectorized_elementwise_kernelILi2ENS0_13AUnaryFunctorIN3c1015Float8_e4m3fnuzES4_bNS0_12_GLOBAL__N_116CompareEqFunctorIS4_EEEESt5arrayIPcLm2EEEEviT0_T1_: ; @_ZN2at6native29vectorized_elementwise_kernelILi2ENS0_13AUnaryFunctorIN3c1015Float8_e4m3fnuzES4_bNS0_12_GLOBAL__N_116CompareEqFunctorIS4_EEEESt5arrayIPcLm2EEEEviT0_T1_
; %bb.0:
	s_clause 0x1
	s_load_b96 s[8:10], s[0:1], 0x0
	s_load_b128 s[4:7], s[0:1], 0x10
	s_wait_xcnt 0x0
	s_bfe_u32 s0, ttmp6, 0x4000c
	s_and_b32 s1, ttmp6, 15
	s_add_co_i32 s0, s0, 1
	s_getreg_b32 s2, hwreg(HW_REG_IB_STS2, 6, 4)
	s_mul_i32 s0, ttmp9, s0
	s_mov_b32 s32, 0
	s_add_co_i32 s1, s1, s0
	s_cmp_eq_u32 s2, 0
	s_cselect_b32 s0, ttmp9, s1
	s_mov_b32 s1, -1
	s_lshl_b32 s0, s0, 12
	s_wait_kmcnt 0x0
	s_sub_co_i32 s2, s8, s0
	s_delay_alu instid0(SALU_CYCLE_1)
	s_cmp_gt_i32 s2, 0xfff
	s_cbranch_scc1 .LBB302_3
; %bb.1:
	s_and_b32 vcc_lo, exec_lo, s1
	s_cbranch_vccnz .LBB302_576
.LBB302_2:
	s_sendmsg sendmsg(MSG_DEALLOC_VGPRS)
	s_endpgm
.LBB302_3:
	s_ashr_i32 s1, s0, 31
	s_cmp_lg_u32 s9, 0
	s_add_nc_u64 s[12:13], s[6:7], s[0:1]
	s_cselect_b32 s11, -1, 0
	s_clause 0x7
	global_load_u16 v9, v0, s[12:13] scale_offset
	global_load_u16 v8, v0, s[12:13] offset:512 scale_offset
	global_load_u16 v7, v0, s[12:13] offset:1024 scale_offset
	;; [unrolled: 1-line block ×7, first 2 shown]
	s_and_b32 s3, s10, 7
	s_wait_xcnt 0x0
	s_bfe_u32 s13, s10, 0x40003
	s_clz_i32_u32 s8, s3
	s_delay_alu instid0(SALU_CYCLE_1) | instskip(NEXT) | instid1(SALU_CYCLE_1)
	s_min_u32 s8, s8, 32
	s_sub_co_i32 s12, s8, 28
	s_sub_co_i32 s8, 29, s8
	s_lshl_b32 s12, s10, s12
	s_delay_alu instid0(SALU_CYCLE_1)
	s_and_b32 s12, s12, 7
	s_cmp_eq_u32 s13, 0
	s_cselect_b32 s8, s8, s13
	s_cselect_b32 s3, s12, s3
	s_lshl_b32 s12, s10, 24
	s_lshl_b32 s8, s8, 23
	s_and_b32 s12, s12, 0x80000000
	s_add_co_i32 s8, s8, 0x3b800000
	s_lshl_b32 s3, s3, 20
	s_or_b32 s8, s12, s8
	s_and_b32 vcc_lo, exec_lo, s11
	s_or_b32 s3, s8, s3
	s_cbranch_vccz .LBB302_8
; %bb.4:
	s_and_b32 s12, s10, 0xff
	s_delay_alu instid0(SALU_CYCLE_1)
	s_cmp_lt_i32 s12, 0x80
	s_cbranch_scc1 .LBB302_14
; %bb.5:
	s_and_b32 s8, 0xffff, s12
	s_mov_b32 s13, -1
	s_cmp_eq_u32 s8, 0x80
	s_cbranch_scc0 .LBB302_7
; %bb.6:
	s_mov_b32 s13, 0
.LBB302_7:
	s_mov_b32 s8, 0x7f800001
	s_branch .LBB302_16
.LBB302_8:
                                        ; implicit-def: $sgpr8
	s_cbranch_execnz .LBB302_23
.LBB302_9:
	v_cndmask_b32_e64 v3, 0, 1, s11
	s_wait_loadcnt 0x7
	v_lshrrev_b16 v10, 8, v9
	s_and_not1_b32 vcc_lo, exec_lo, s11
	s_cbranch_vccnz .LBB302_305
.LBB302_10:
	s_and_b32 s12, s10, 0xff
	s_delay_alu instid0(SALU_CYCLE_1)
	s_cmp_lt_i32 s12, 0x80
	s_cbranch_scc1 .LBB302_27
; %bb.11:
	s_and_b32 s11, 0xffff, s12
	s_mov_b32 s13, -1
	s_cmp_eq_u32 s11, 0x80
	s_cbranch_scc0 .LBB302_13
; %bb.12:
	s_mov_b32 s13, 0
.LBB302_13:
	s_mov_b32 s11, 0x7f800001
	s_branch .LBB302_29
.LBB302_14:
	s_mov_b32 s13, 0
	s_mov_b32 s8, 0x7f800001
	s_cbranch_execz .LBB302_16
; %bb.15:
	s_and_b32 s8, 0xffff, s12
	s_delay_alu instid0(SALU_CYCLE_1)
	s_cmp_lg_u32 s8, 0
	s_mov_b32 s8, 0
	s_cselect_b32 s13, -1, 0
.LBB302_16:
	s_delay_alu instid0(SALU_CYCLE_1)
	s_and_not1_b32 vcc_lo, exec_lo, s13
	s_cbranch_vccnz .LBB302_18
; %bb.17:
	s_mov_b32 s8, s3
.LBB302_18:
	s_wait_loadcnt 0x7
	v_and_b32_e32 v3, 0xff, v9
	s_mov_b32 s12, 0
	s_mov_b32 s13, exec_lo
	s_delay_alu instid0(VALU_DEP_1)
	v_cmpx_lt_i16_e32 0x7f, v3
	s_xor_b32 s13, exec_lo, s13
	s_cbranch_execnz .LBB302_41
; %bb.19:
	s_or_saveexec_b32 s13, s13
	v_mov_b32_e32 v10, 0x7f800001
	s_xor_b32 exec_lo, exec_lo, s13
	s_cbranch_execnz .LBB302_44
.LBB302_20:
	s_or_b32 exec_lo, exec_lo, s13
	s_and_saveexec_b32 s13, s12
	s_cbranch_execz .LBB302_22
.LBB302_21:
	v_and_b32_e32 v3, 0xffff, v3
	s_delay_alu instid0(VALU_DEP_1) | instskip(SKIP_1) | instid1(VALU_DEP_2)
	v_and_b32_e32 v10, 7, v3
	v_bfe_u32 v13, v3, 3, 4
	v_clz_i32_u32_e32 v11, v10
	s_delay_alu instid0(VALU_DEP_2) | instskip(NEXT) | instid1(VALU_DEP_2)
	v_cmp_eq_u32_e32 vcc_lo, 0, v13
	v_min_u32_e32 v11, 32, v11
	s_delay_alu instid0(VALU_DEP_1) | instskip(SKIP_1) | instid1(VALU_DEP_2)
	v_subrev_nc_u32_e32 v12, 28, v11
	v_sub_nc_u32_e32 v11, 29, v11
	v_dual_lshlrev_b32 v3, v12, v3 :: v_dual_lshlrev_b32 v12, 24, v9
	s_delay_alu instid0(VALU_DEP_2) | instskip(NEXT) | instid1(VALU_DEP_2)
	v_cndmask_b32_e32 v11, v13, v11, vcc_lo
	v_and_b32_e32 v3, 7, v3
	s_delay_alu instid0(VALU_DEP_2) | instskip(NEXT) | instid1(VALU_DEP_2)
	v_lshl_add_u32 v11, v11, 23, 0x3b800000
	v_cndmask_b32_e32 v3, v10, v3, vcc_lo
	v_and_b32_e32 v10, 0x80000000, v12
	s_delay_alu instid0(VALU_DEP_2) | instskip(NEXT) | instid1(VALU_DEP_1)
	v_lshlrev_b32_e32 v3, 20, v3
	v_or3_b32 v10, v10, v11, v3
.LBB302_22:
	s_or_b32 exec_lo, exec_lo, s13
	s_delay_alu instid0(VALU_DEP_1)
	v_cmp_neq_f32_e64 s8, s8, v10
	s_branch .LBB302_9
.LBB302_23:
	s_and_b32 s12, s10, 0xff
	s_delay_alu instid0(SALU_CYCLE_1)
	s_cmp_lt_i32 s12, 0x80
	s_cbranch_scc1 .LBB302_296
; %bb.24:
	s_and_b32 s8, 0xffff, s12
	s_mov_b32 s13, -1
	s_cmp_eq_u32 s8, 0x80
	s_cbranch_scc0 .LBB302_26
; %bb.25:
	s_mov_b32 s13, 0
.LBB302_26:
	s_mov_b32 s8, 0x7f800001
	s_branch .LBB302_298
.LBB302_27:
	s_mov_b32 s13, 0
	s_mov_b32 s11, 0x7f800001
	s_cbranch_execz .LBB302_29
; %bb.28:
	s_and_b32 s11, 0xffff, s12
	s_delay_alu instid0(SALU_CYCLE_1)
	s_cmp_lg_u32 s11, 0
	s_mov_b32 s11, 0
	s_cselect_b32 s13, -1, 0
.LBB302_29:
	s_delay_alu instid0(SALU_CYCLE_1)
	s_and_not1_b32 vcc_lo, exec_lo, s13
	s_cbranch_vccnz .LBB302_31
; %bb.30:
	s_mov_b32 s11, s3
.LBB302_31:
	s_mov_b32 s12, 0
	s_mov_b32 s13, exec_lo
	v_cmpx_lt_i16_e32 0x7f, v10
	s_xor_b32 s13, exec_lo, s13
	s_cbranch_execnz .LBB302_45
; %bb.32:
	s_or_saveexec_b32 s13, s13
	v_mov_b32_e32 v11, 0x7f800001
	s_xor_b32 exec_lo, exec_lo, s13
	s_cbranch_execnz .LBB302_48
.LBB302_33:
	s_or_b32 exec_lo, exec_lo, s13
	s_and_saveexec_b32 s13, s12
	s_cbranch_execz .LBB302_35
.LBB302_34:
	v_and_b32_e32 v11, 0xffff, v10
	s_delay_alu instid0(VALU_DEP_1) | instskip(SKIP_1) | instid1(VALU_DEP_2)
	v_and_b32_e32 v12, 7, v11
	v_bfe_u32 v15, v11, 3, 4
	v_clz_i32_u32_e32 v13, v12
	s_delay_alu instid0(VALU_DEP_2) | instskip(NEXT) | instid1(VALU_DEP_2)
	v_cmp_eq_u32_e32 vcc_lo, 0, v15
	v_min_u32_e32 v13, 32, v13
	s_delay_alu instid0(VALU_DEP_1) | instskip(NEXT) | instid1(VALU_DEP_1)
	v_subrev_nc_u32_e32 v14, 28, v13
	v_dual_lshlrev_b32 v11, v14, v11 :: v_dual_sub_nc_u32 v13, 29, v13
	s_delay_alu instid0(VALU_DEP_1) | instskip(NEXT) | instid1(VALU_DEP_1)
	v_dual_lshlrev_b32 v14, 16, v9 :: v_dual_bitop2_b32 v11, 7, v11 bitop3:0x40
	v_dual_cndmask_b32 v11, v12, v11, vcc_lo :: v_dual_cndmask_b32 v13, v15, v13, vcc_lo
	s_delay_alu instid0(VALU_DEP_2) | instskip(NEXT) | instid1(VALU_DEP_2)
	v_and_b32_e32 v12, 0x80000000, v14
	v_lshlrev_b32_e32 v11, 20, v11
	s_delay_alu instid0(VALU_DEP_3) | instskip(NEXT) | instid1(VALU_DEP_1)
	v_lshl_add_u32 v13, v13, 23, 0x3b800000
	v_or3_b32 v11, v12, v13, v11
.LBB302_35:
	s_or_b32 exec_lo, exec_lo, s13
	s_delay_alu instid0(VALU_DEP_1)
	v_cmp_neq_f32_e64 s11, s11, v11
.LBB302_36:
	v_cmp_ne_u32_e32 vcc_lo, 1, v3
	s_cbranch_vccnz .LBB302_323
.LBB302_37:
	s_and_b32 s13, s10, 0xff
	s_delay_alu instid0(SALU_CYCLE_1)
	s_cmp_lt_i32 s13, 0x80
	s_cbranch_scc1 .LBB302_49
; %bb.38:
	s_and_b32 s12, 0xffff, s13
	s_mov_b32 s14, -1
	s_cmp_eq_u32 s12, 0x80
	s_cbranch_scc0 .LBB302_40
; %bb.39:
	s_mov_b32 s14, 0
.LBB302_40:
	s_mov_b32 s12, 0x7f800001
	s_branch .LBB302_51
.LBB302_41:
	s_mov_b32 s12, -1
	s_mov_b32 s14, exec_lo
	v_cmpx_eq_u16_e32 0x80, v3
; %bb.42:
	s_xor_b32 s12, exec_lo, -1
; %bb.43:
	s_or_b32 exec_lo, exec_lo, s14
	s_delay_alu instid0(SALU_CYCLE_1)
	s_and_b32 s12, s12, exec_lo
	s_or_saveexec_b32 s13, s13
	v_mov_b32_e32 v10, 0x7f800001
	s_xor_b32 exec_lo, exec_lo, s13
	s_cbranch_execz .LBB302_20
.LBB302_44:
	v_cmp_ne_u16_e32 vcc_lo, 0, v3
	v_mov_b32_e32 v10, 0
	s_and_not1_b32 s12, s12, exec_lo
	s_and_b32 s14, vcc_lo, exec_lo
	s_delay_alu instid0(SALU_CYCLE_1)
	s_or_b32 s12, s12, s14
	s_or_b32 exec_lo, exec_lo, s13
	s_and_saveexec_b32 s13, s12
	s_cbranch_execnz .LBB302_21
	s_branch .LBB302_22
.LBB302_45:
	s_mov_b32 s12, -1
	s_mov_b32 s14, exec_lo
	v_cmpx_eq_u16_e32 0x80, v10
; %bb.46:
	s_xor_b32 s12, exec_lo, -1
; %bb.47:
	s_or_b32 exec_lo, exec_lo, s14
	s_delay_alu instid0(SALU_CYCLE_1)
	s_and_b32 s12, s12, exec_lo
	s_or_saveexec_b32 s13, s13
	v_mov_b32_e32 v11, 0x7f800001
	s_xor_b32 exec_lo, exec_lo, s13
	s_cbranch_execz .LBB302_33
.LBB302_48:
	v_cmp_ne_u16_e32 vcc_lo, 0, v10
	v_mov_b32_e32 v11, 0
	s_and_not1_b32 s12, s12, exec_lo
	s_and_b32 s14, vcc_lo, exec_lo
	s_delay_alu instid0(SALU_CYCLE_1)
	s_or_b32 s12, s12, s14
	s_or_b32 exec_lo, exec_lo, s13
	s_and_saveexec_b32 s13, s12
	s_cbranch_execnz .LBB302_34
	s_branch .LBB302_35
.LBB302_49:
	s_mov_b32 s14, 0
	s_mov_b32 s12, 0x7f800001
	s_cbranch_execz .LBB302_51
; %bb.50:
	s_and_b32 s12, 0xffff, s13
	s_delay_alu instid0(SALU_CYCLE_1)
	s_cmp_lg_u32 s12, 0
	s_mov_b32 s12, 0
	s_cselect_b32 s14, -1, 0
.LBB302_51:
	s_delay_alu instid0(SALU_CYCLE_1)
	s_and_not1_b32 vcc_lo, exec_lo, s14
	s_cbranch_vccnz .LBB302_53
; %bb.52:
	s_mov_b32 s12, s3
.LBB302_53:
	s_wait_loadcnt 0x6
	v_and_b32_e32 v9, 0xff, v8
	s_mov_b32 s13, 0
	s_mov_b32 s14, exec_lo
	s_delay_alu instid0(VALU_DEP_1)
	v_cmpx_lt_i16_e32 0x7f, v9
	s_xor_b32 s14, exec_lo, s14
	s_cbranch_execnz .LBB302_63
; %bb.54:
	s_or_saveexec_b32 s14, s14
	v_mov_b32_e32 v10, 0x7f800001
	s_xor_b32 exec_lo, exec_lo, s14
	s_cbranch_execnz .LBB302_66
.LBB302_55:
	s_or_b32 exec_lo, exec_lo, s14
	s_and_saveexec_b32 s14, s13
	s_cbranch_execz .LBB302_57
.LBB302_56:
	v_and_b32_e32 v9, 0xffff, v9
	s_delay_alu instid0(VALU_DEP_1) | instskip(SKIP_1) | instid1(VALU_DEP_2)
	v_and_b32_e32 v10, 7, v9
	v_bfe_u32 v13, v9, 3, 4
	v_clz_i32_u32_e32 v11, v10
	s_delay_alu instid0(VALU_DEP_2) | instskip(NEXT) | instid1(VALU_DEP_2)
	v_cmp_eq_u32_e32 vcc_lo, 0, v13
	v_min_u32_e32 v11, 32, v11
	s_delay_alu instid0(VALU_DEP_1) | instskip(NEXT) | instid1(VALU_DEP_1)
	v_subrev_nc_u32_e32 v12, 28, v11
	v_dual_lshlrev_b32 v9, v12, v9 :: v_dual_sub_nc_u32 v11, 29, v11
	s_delay_alu instid0(VALU_DEP_1) | instskip(NEXT) | instid1(VALU_DEP_1)
	v_dual_lshlrev_b32 v12, 24, v8 :: v_dual_bitop2_b32 v9, 7, v9 bitop3:0x40
	v_dual_cndmask_b32 v11, v13, v11, vcc_lo :: v_dual_cndmask_b32 v9, v10, v9, vcc_lo
	s_delay_alu instid0(VALU_DEP_2) | instskip(NEXT) | instid1(VALU_DEP_2)
	v_and_b32_e32 v10, 0x80000000, v12
	v_lshl_add_u32 v11, v11, 23, 0x3b800000
	s_delay_alu instid0(VALU_DEP_3) | instskip(NEXT) | instid1(VALU_DEP_1)
	v_lshlrev_b32_e32 v9, 20, v9
	v_or3_b32 v10, v10, v11, v9
.LBB302_57:
	s_or_b32 exec_lo, exec_lo, s14
	s_delay_alu instid0(VALU_DEP_1)
	v_cmp_neq_f32_e64 s12, s12, v10
.LBB302_58:
	v_cmp_ne_u32_e32 vcc_lo, 1, v3
	s_wait_loadcnt 0x6
	v_lshrrev_b16 v9, 8, v8
	s_cbranch_vccnz .LBB302_341
.LBB302_59:
	s_and_b32 s14, s10, 0xff
	s_delay_alu instid0(SALU_CYCLE_1)
	s_cmp_lt_i32 s14, 0x80
	s_cbranch_scc1 .LBB302_67
; %bb.60:
	s_and_b32 s13, 0xffff, s14
	s_mov_b32 s15, -1
	s_cmp_eq_u32 s13, 0x80
	s_cbranch_scc0 .LBB302_62
; %bb.61:
	s_mov_b32 s15, 0
.LBB302_62:
	s_mov_b32 s13, 0x7f800001
	s_branch .LBB302_69
.LBB302_63:
	s_mov_b32 s13, -1
	s_mov_b32 s15, exec_lo
	v_cmpx_eq_u16_e32 0x80, v9
; %bb.64:
	s_xor_b32 s13, exec_lo, -1
; %bb.65:
	s_or_b32 exec_lo, exec_lo, s15
	s_delay_alu instid0(SALU_CYCLE_1)
	s_and_b32 s13, s13, exec_lo
	s_or_saveexec_b32 s14, s14
	v_mov_b32_e32 v10, 0x7f800001
	s_xor_b32 exec_lo, exec_lo, s14
	s_cbranch_execz .LBB302_55
.LBB302_66:
	v_cmp_ne_u16_e32 vcc_lo, 0, v9
	v_mov_b32_e32 v10, 0
	s_and_not1_b32 s13, s13, exec_lo
	s_and_b32 s15, vcc_lo, exec_lo
	s_delay_alu instid0(SALU_CYCLE_1)
	s_or_b32 s13, s13, s15
	s_or_b32 exec_lo, exec_lo, s14
	s_and_saveexec_b32 s14, s13
	s_cbranch_execnz .LBB302_56
	s_branch .LBB302_57
.LBB302_67:
	s_mov_b32 s15, 0
	s_mov_b32 s13, 0x7f800001
	s_cbranch_execz .LBB302_69
; %bb.68:
	s_and_b32 s13, 0xffff, s14
	s_delay_alu instid0(SALU_CYCLE_1)
	s_cmp_lg_u32 s13, 0
	s_mov_b32 s13, 0
	s_cselect_b32 s15, -1, 0
.LBB302_69:
	s_delay_alu instid0(SALU_CYCLE_1)
	s_and_not1_b32 vcc_lo, exec_lo, s15
	s_cbranch_vccnz .LBB302_71
; %bb.70:
	s_mov_b32 s13, s3
.LBB302_71:
	s_mov_b32 s14, 0
	s_mov_b32 s15, exec_lo
	v_cmpx_lt_i16_e32 0x7f, v9
	s_xor_b32 s15, exec_lo, s15
	s_cbranch_execnz .LBB302_81
; %bb.72:
	s_or_saveexec_b32 s15, s15
	v_mov_b32_e32 v10, 0x7f800001
	s_xor_b32 exec_lo, exec_lo, s15
	s_cbranch_execnz .LBB302_84
.LBB302_73:
	s_or_b32 exec_lo, exec_lo, s15
	s_and_saveexec_b32 s15, s14
	s_cbranch_execz .LBB302_75
.LBB302_74:
	v_and_b32_e32 v10, 0xffff, v9
	s_delay_alu instid0(VALU_DEP_1) | instskip(SKIP_1) | instid1(VALU_DEP_2)
	v_and_b32_e32 v11, 7, v10
	v_bfe_u32 v14, v10, 3, 4
	v_clz_i32_u32_e32 v12, v11
	s_delay_alu instid0(VALU_DEP_2) | instskip(NEXT) | instid1(VALU_DEP_2)
	v_cmp_eq_u32_e32 vcc_lo, 0, v14
	v_min_u32_e32 v12, 32, v12
	s_delay_alu instid0(VALU_DEP_1) | instskip(NEXT) | instid1(VALU_DEP_1)
	v_subrev_nc_u32_e32 v13, 28, v12
	v_dual_lshlrev_b32 v10, v13, v10 :: v_dual_sub_nc_u32 v12, 29, v12
	s_delay_alu instid0(VALU_DEP_1) | instskip(NEXT) | instid1(VALU_DEP_1)
	v_dual_lshlrev_b32 v13, 16, v8 :: v_dual_bitop2_b32 v10, 7, v10 bitop3:0x40
	v_dual_cndmask_b32 v10, v11, v10, vcc_lo :: v_dual_cndmask_b32 v12, v14, v12, vcc_lo
	s_delay_alu instid0(VALU_DEP_2) | instskip(NEXT) | instid1(VALU_DEP_2)
	v_and_b32_e32 v11, 0x80000000, v13
	v_lshlrev_b32_e32 v10, 20, v10
	s_delay_alu instid0(VALU_DEP_3) | instskip(NEXT) | instid1(VALU_DEP_1)
	v_lshl_add_u32 v12, v12, 23, 0x3b800000
	v_or3_b32 v10, v11, v12, v10
.LBB302_75:
	s_or_b32 exec_lo, exec_lo, s15
	s_delay_alu instid0(VALU_DEP_1)
	v_cmp_neq_f32_e64 s13, s13, v10
.LBB302_76:
	v_cmp_ne_u32_e32 vcc_lo, 1, v3
	s_cbranch_vccnz .LBB302_359
.LBB302_77:
	s_and_b32 s15, s10, 0xff
	s_delay_alu instid0(SALU_CYCLE_1)
	s_cmp_lt_i32 s15, 0x80
	s_cbranch_scc1 .LBB302_85
; %bb.78:
	s_and_b32 s14, 0xffff, s15
	s_mov_b32 s16, -1
	s_cmp_eq_u32 s14, 0x80
	s_cbranch_scc0 .LBB302_80
; %bb.79:
	s_mov_b32 s16, 0
.LBB302_80:
	s_mov_b32 s14, 0x7f800001
	s_branch .LBB302_87
.LBB302_81:
	s_mov_b32 s14, -1
	s_mov_b32 s16, exec_lo
	v_cmpx_eq_u16_e32 0x80, v9
; %bb.82:
	s_xor_b32 s14, exec_lo, -1
; %bb.83:
	s_or_b32 exec_lo, exec_lo, s16
	s_delay_alu instid0(SALU_CYCLE_1)
	s_and_b32 s14, s14, exec_lo
	s_or_saveexec_b32 s15, s15
	v_mov_b32_e32 v10, 0x7f800001
	s_xor_b32 exec_lo, exec_lo, s15
	s_cbranch_execz .LBB302_73
.LBB302_84:
	v_cmp_ne_u16_e32 vcc_lo, 0, v9
	v_mov_b32_e32 v10, 0
	s_and_not1_b32 s14, s14, exec_lo
	s_and_b32 s16, vcc_lo, exec_lo
	s_delay_alu instid0(SALU_CYCLE_1)
	s_or_b32 s14, s14, s16
	s_or_b32 exec_lo, exec_lo, s15
	s_and_saveexec_b32 s15, s14
	s_cbranch_execnz .LBB302_74
	s_branch .LBB302_75
.LBB302_85:
	s_mov_b32 s16, 0
	s_mov_b32 s14, 0x7f800001
	s_cbranch_execz .LBB302_87
; %bb.86:
	s_and_b32 s14, 0xffff, s15
	s_delay_alu instid0(SALU_CYCLE_1)
	s_cmp_lg_u32 s14, 0
	s_mov_b32 s14, 0
	s_cselect_b32 s16, -1, 0
.LBB302_87:
	s_delay_alu instid0(SALU_CYCLE_1)
	s_and_not1_b32 vcc_lo, exec_lo, s16
	s_cbranch_vccnz .LBB302_89
; %bb.88:
	s_mov_b32 s14, s3
.LBB302_89:
	s_wait_loadcnt 0x5
	v_and_b32_e32 v8, 0xff, v7
	s_mov_b32 s15, 0
	s_mov_b32 s16, exec_lo
	s_delay_alu instid0(VALU_DEP_1)
	v_cmpx_lt_i16_e32 0x7f, v8
	s_xor_b32 s16, exec_lo, s16
	s_cbranch_execnz .LBB302_99
; %bb.90:
	s_or_saveexec_b32 s16, s16
	v_mov_b32_e32 v9, 0x7f800001
	s_xor_b32 exec_lo, exec_lo, s16
	s_cbranch_execnz .LBB302_102
.LBB302_91:
	s_or_b32 exec_lo, exec_lo, s16
	s_and_saveexec_b32 s16, s15
	s_cbranch_execz .LBB302_93
.LBB302_92:
	v_and_b32_e32 v8, 0xffff, v8
	s_delay_alu instid0(VALU_DEP_1) | instskip(SKIP_1) | instid1(VALU_DEP_2)
	v_and_b32_e32 v9, 7, v8
	v_bfe_u32 v12, v8, 3, 4
	v_clz_i32_u32_e32 v10, v9
	s_delay_alu instid0(VALU_DEP_2) | instskip(NEXT) | instid1(VALU_DEP_2)
	v_cmp_eq_u32_e32 vcc_lo, 0, v12
	v_min_u32_e32 v10, 32, v10
	s_delay_alu instid0(VALU_DEP_1) | instskip(NEXT) | instid1(VALU_DEP_1)
	v_subrev_nc_u32_e32 v11, 28, v10
	v_dual_lshlrev_b32 v8, v11, v8 :: v_dual_sub_nc_u32 v10, 29, v10
	s_delay_alu instid0(VALU_DEP_1) | instskip(NEXT) | instid1(VALU_DEP_1)
	v_dual_lshlrev_b32 v11, 24, v7 :: v_dual_bitop2_b32 v8, 7, v8 bitop3:0x40
	v_dual_cndmask_b32 v10, v12, v10, vcc_lo :: v_dual_cndmask_b32 v8, v9, v8, vcc_lo
	s_delay_alu instid0(VALU_DEP_2) | instskip(NEXT) | instid1(VALU_DEP_2)
	v_and_b32_e32 v9, 0x80000000, v11
	v_lshl_add_u32 v10, v10, 23, 0x3b800000
	s_delay_alu instid0(VALU_DEP_3) | instskip(NEXT) | instid1(VALU_DEP_1)
	v_lshlrev_b32_e32 v8, 20, v8
	v_or3_b32 v9, v9, v10, v8
.LBB302_93:
	s_or_b32 exec_lo, exec_lo, s16
	s_delay_alu instid0(VALU_DEP_1)
	v_cmp_neq_f32_e64 s14, s14, v9
.LBB302_94:
	v_cmp_ne_u32_e32 vcc_lo, 1, v3
	s_wait_loadcnt 0x5
	v_lshrrev_b16 v8, 8, v7
	s_cbranch_vccnz .LBB302_377
.LBB302_95:
	s_and_b32 s16, s10, 0xff
	s_delay_alu instid0(SALU_CYCLE_1)
	s_cmp_lt_i32 s16, 0x80
	s_cbranch_scc1 .LBB302_103
; %bb.96:
	s_and_b32 s15, 0xffff, s16
	s_mov_b32 s17, -1
	s_cmp_eq_u32 s15, 0x80
	s_cbranch_scc0 .LBB302_98
; %bb.97:
	s_mov_b32 s17, 0
.LBB302_98:
	s_mov_b32 s15, 0x7f800001
	s_branch .LBB302_105
.LBB302_99:
	s_mov_b32 s15, -1
	s_mov_b32 s17, exec_lo
	v_cmpx_eq_u16_e32 0x80, v8
; %bb.100:
	s_xor_b32 s15, exec_lo, -1
; %bb.101:
	s_or_b32 exec_lo, exec_lo, s17
	s_delay_alu instid0(SALU_CYCLE_1)
	s_and_b32 s15, s15, exec_lo
	s_or_saveexec_b32 s16, s16
	v_mov_b32_e32 v9, 0x7f800001
	s_xor_b32 exec_lo, exec_lo, s16
	s_cbranch_execz .LBB302_91
.LBB302_102:
	v_cmp_ne_u16_e32 vcc_lo, 0, v8
	v_mov_b32_e32 v9, 0
	s_and_not1_b32 s15, s15, exec_lo
	s_and_b32 s17, vcc_lo, exec_lo
	s_delay_alu instid0(SALU_CYCLE_1)
	s_or_b32 s15, s15, s17
	s_or_b32 exec_lo, exec_lo, s16
	s_and_saveexec_b32 s16, s15
	s_cbranch_execnz .LBB302_92
	s_branch .LBB302_93
.LBB302_103:
	s_mov_b32 s17, 0
	s_mov_b32 s15, 0x7f800001
	s_cbranch_execz .LBB302_105
; %bb.104:
	s_and_b32 s15, 0xffff, s16
	s_delay_alu instid0(SALU_CYCLE_1)
	s_cmp_lg_u32 s15, 0
	s_mov_b32 s15, 0
	s_cselect_b32 s17, -1, 0
.LBB302_105:
	s_delay_alu instid0(SALU_CYCLE_1)
	s_and_not1_b32 vcc_lo, exec_lo, s17
	s_cbranch_vccnz .LBB302_107
; %bb.106:
	s_mov_b32 s15, s3
.LBB302_107:
	s_mov_b32 s16, 0
	s_mov_b32 s17, exec_lo
	v_cmpx_lt_i16_e32 0x7f, v8
	s_xor_b32 s17, exec_lo, s17
	s_cbranch_execnz .LBB302_117
; %bb.108:
	s_or_saveexec_b32 s17, s17
	v_mov_b32_e32 v9, 0x7f800001
	s_xor_b32 exec_lo, exec_lo, s17
	s_cbranch_execnz .LBB302_120
.LBB302_109:
	s_or_b32 exec_lo, exec_lo, s17
	s_and_saveexec_b32 s17, s16
	s_cbranch_execz .LBB302_111
.LBB302_110:
	v_and_b32_e32 v9, 0xffff, v8
	s_delay_alu instid0(VALU_DEP_1) | instskip(SKIP_1) | instid1(VALU_DEP_2)
	v_and_b32_e32 v10, 7, v9
	v_bfe_u32 v13, v9, 3, 4
	v_clz_i32_u32_e32 v11, v10
	s_delay_alu instid0(VALU_DEP_2) | instskip(NEXT) | instid1(VALU_DEP_2)
	v_cmp_eq_u32_e32 vcc_lo, 0, v13
	v_min_u32_e32 v11, 32, v11
	s_delay_alu instid0(VALU_DEP_1) | instskip(NEXT) | instid1(VALU_DEP_1)
	v_subrev_nc_u32_e32 v12, 28, v11
	v_dual_lshlrev_b32 v9, v12, v9 :: v_dual_sub_nc_u32 v11, 29, v11
	s_delay_alu instid0(VALU_DEP_1) | instskip(NEXT) | instid1(VALU_DEP_1)
	v_dual_lshlrev_b32 v12, 16, v7 :: v_dual_bitop2_b32 v9, 7, v9 bitop3:0x40
	v_dual_cndmask_b32 v9, v10, v9, vcc_lo :: v_dual_cndmask_b32 v11, v13, v11, vcc_lo
	s_delay_alu instid0(VALU_DEP_2) | instskip(NEXT) | instid1(VALU_DEP_2)
	v_and_b32_e32 v10, 0x80000000, v12
	v_lshlrev_b32_e32 v9, 20, v9
	s_delay_alu instid0(VALU_DEP_3) | instskip(NEXT) | instid1(VALU_DEP_1)
	v_lshl_add_u32 v11, v11, 23, 0x3b800000
	v_or3_b32 v9, v10, v11, v9
.LBB302_111:
	s_or_b32 exec_lo, exec_lo, s17
	s_delay_alu instid0(VALU_DEP_1)
	v_cmp_neq_f32_e64 s15, s15, v9
.LBB302_112:
	v_cmp_ne_u32_e32 vcc_lo, 1, v3
	s_cbranch_vccnz .LBB302_395
.LBB302_113:
	s_and_b32 s17, s10, 0xff
	s_delay_alu instid0(SALU_CYCLE_1)
	s_cmp_lt_i32 s17, 0x80
	s_cbranch_scc1 .LBB302_121
; %bb.114:
	s_and_b32 s16, 0xffff, s17
	s_mov_b32 s18, -1
	s_cmp_eq_u32 s16, 0x80
	s_cbranch_scc0 .LBB302_116
; %bb.115:
	s_mov_b32 s18, 0
.LBB302_116:
	s_mov_b32 s16, 0x7f800001
	s_branch .LBB302_123
.LBB302_117:
	s_mov_b32 s16, -1
	s_mov_b32 s18, exec_lo
	v_cmpx_eq_u16_e32 0x80, v8
; %bb.118:
	s_xor_b32 s16, exec_lo, -1
; %bb.119:
	s_or_b32 exec_lo, exec_lo, s18
	s_delay_alu instid0(SALU_CYCLE_1)
	s_and_b32 s16, s16, exec_lo
	s_or_saveexec_b32 s17, s17
	v_mov_b32_e32 v9, 0x7f800001
	s_xor_b32 exec_lo, exec_lo, s17
	s_cbranch_execz .LBB302_109
.LBB302_120:
	v_cmp_ne_u16_e32 vcc_lo, 0, v8
	v_mov_b32_e32 v9, 0
	s_and_not1_b32 s16, s16, exec_lo
	s_and_b32 s18, vcc_lo, exec_lo
	s_delay_alu instid0(SALU_CYCLE_1)
	s_or_b32 s16, s16, s18
	s_or_b32 exec_lo, exec_lo, s17
	s_and_saveexec_b32 s17, s16
	s_cbranch_execnz .LBB302_110
	s_branch .LBB302_111
.LBB302_121:
	s_mov_b32 s18, 0
	s_mov_b32 s16, 0x7f800001
	s_cbranch_execz .LBB302_123
; %bb.122:
	s_and_b32 s16, 0xffff, s17
	s_delay_alu instid0(SALU_CYCLE_1)
	s_cmp_lg_u32 s16, 0
	s_mov_b32 s16, 0
	s_cselect_b32 s18, -1, 0
.LBB302_123:
	s_delay_alu instid0(SALU_CYCLE_1)
	s_and_not1_b32 vcc_lo, exec_lo, s18
	s_cbranch_vccnz .LBB302_125
; %bb.124:
	s_mov_b32 s16, s3
.LBB302_125:
	s_wait_loadcnt 0x4
	v_and_b32_e32 v7, 0xff, v6
	s_mov_b32 s17, 0
	s_mov_b32 s18, exec_lo
	s_delay_alu instid0(VALU_DEP_1)
	v_cmpx_lt_i16_e32 0x7f, v7
	s_xor_b32 s18, exec_lo, s18
	s_cbranch_execnz .LBB302_135
; %bb.126:
	s_or_saveexec_b32 s18, s18
	v_mov_b32_e32 v8, 0x7f800001
	s_xor_b32 exec_lo, exec_lo, s18
	s_cbranch_execnz .LBB302_138
.LBB302_127:
	s_or_b32 exec_lo, exec_lo, s18
	s_and_saveexec_b32 s18, s17
	s_cbranch_execz .LBB302_129
.LBB302_128:
	v_and_b32_e32 v7, 0xffff, v7
	s_delay_alu instid0(VALU_DEP_1) | instskip(SKIP_1) | instid1(VALU_DEP_2)
	v_and_b32_e32 v8, 7, v7
	v_bfe_u32 v11, v7, 3, 4
	v_clz_i32_u32_e32 v9, v8
	s_delay_alu instid0(VALU_DEP_2) | instskip(NEXT) | instid1(VALU_DEP_2)
	v_cmp_eq_u32_e32 vcc_lo, 0, v11
	v_min_u32_e32 v9, 32, v9
	s_delay_alu instid0(VALU_DEP_1) | instskip(NEXT) | instid1(VALU_DEP_1)
	v_subrev_nc_u32_e32 v10, 28, v9
	v_dual_lshlrev_b32 v7, v10, v7 :: v_dual_sub_nc_u32 v9, 29, v9
	s_delay_alu instid0(VALU_DEP_1) | instskip(NEXT) | instid1(VALU_DEP_1)
	v_dual_lshlrev_b32 v10, 24, v6 :: v_dual_bitop2_b32 v7, 7, v7 bitop3:0x40
	v_dual_cndmask_b32 v9, v11, v9, vcc_lo :: v_dual_cndmask_b32 v7, v8, v7, vcc_lo
	s_delay_alu instid0(VALU_DEP_2) | instskip(NEXT) | instid1(VALU_DEP_2)
	v_and_b32_e32 v8, 0x80000000, v10
	v_lshl_add_u32 v9, v9, 23, 0x3b800000
	s_delay_alu instid0(VALU_DEP_3) | instskip(NEXT) | instid1(VALU_DEP_1)
	v_lshlrev_b32_e32 v7, 20, v7
	v_or3_b32 v8, v8, v9, v7
.LBB302_129:
	s_or_b32 exec_lo, exec_lo, s18
	s_delay_alu instid0(VALU_DEP_1)
	v_cmp_neq_f32_e64 s16, s16, v8
.LBB302_130:
	v_cmp_ne_u32_e32 vcc_lo, 1, v3
	s_wait_loadcnt 0x4
	v_lshrrev_b16 v7, 8, v6
	s_cbranch_vccnz .LBB302_413
.LBB302_131:
	s_and_b32 s18, s10, 0xff
	s_delay_alu instid0(SALU_CYCLE_1)
	s_cmp_lt_i32 s18, 0x80
	s_cbranch_scc1 .LBB302_139
; %bb.132:
	s_and_b32 s17, 0xffff, s18
	s_mov_b32 s19, -1
	s_cmp_eq_u32 s17, 0x80
	s_cbranch_scc0 .LBB302_134
; %bb.133:
	s_mov_b32 s19, 0
.LBB302_134:
	s_mov_b32 s17, 0x7f800001
	s_branch .LBB302_141
.LBB302_135:
	s_mov_b32 s17, -1
	s_mov_b32 s19, exec_lo
	v_cmpx_eq_u16_e32 0x80, v7
; %bb.136:
	s_xor_b32 s17, exec_lo, -1
; %bb.137:
	s_or_b32 exec_lo, exec_lo, s19
	s_delay_alu instid0(SALU_CYCLE_1)
	s_and_b32 s17, s17, exec_lo
	s_or_saveexec_b32 s18, s18
	v_mov_b32_e32 v8, 0x7f800001
	s_xor_b32 exec_lo, exec_lo, s18
	s_cbranch_execz .LBB302_127
.LBB302_138:
	v_cmp_ne_u16_e32 vcc_lo, 0, v7
	v_mov_b32_e32 v8, 0
	s_and_not1_b32 s17, s17, exec_lo
	s_and_b32 s19, vcc_lo, exec_lo
	s_delay_alu instid0(SALU_CYCLE_1)
	s_or_b32 s17, s17, s19
	s_or_b32 exec_lo, exec_lo, s18
	s_and_saveexec_b32 s18, s17
	s_cbranch_execnz .LBB302_128
	s_branch .LBB302_129
.LBB302_139:
	s_mov_b32 s19, 0
	s_mov_b32 s17, 0x7f800001
	s_cbranch_execz .LBB302_141
; %bb.140:
	s_and_b32 s17, 0xffff, s18
	s_delay_alu instid0(SALU_CYCLE_1)
	s_cmp_lg_u32 s17, 0
	s_mov_b32 s17, 0
	s_cselect_b32 s19, -1, 0
.LBB302_141:
	s_delay_alu instid0(SALU_CYCLE_1)
	s_and_not1_b32 vcc_lo, exec_lo, s19
	s_cbranch_vccnz .LBB302_143
; %bb.142:
	s_mov_b32 s17, s3
.LBB302_143:
	s_mov_b32 s18, 0
	s_mov_b32 s19, exec_lo
	v_cmpx_lt_i16_e32 0x7f, v7
	s_xor_b32 s19, exec_lo, s19
	s_cbranch_execnz .LBB302_153
; %bb.144:
	s_or_saveexec_b32 s19, s19
	v_mov_b32_e32 v8, 0x7f800001
	s_xor_b32 exec_lo, exec_lo, s19
	s_cbranch_execnz .LBB302_156
.LBB302_145:
	s_or_b32 exec_lo, exec_lo, s19
	s_and_saveexec_b32 s19, s18
	s_cbranch_execz .LBB302_147
.LBB302_146:
	v_and_b32_e32 v8, 0xffff, v7
	s_delay_alu instid0(VALU_DEP_1) | instskip(SKIP_1) | instid1(VALU_DEP_2)
	v_and_b32_e32 v9, 7, v8
	v_bfe_u32 v12, v8, 3, 4
	v_clz_i32_u32_e32 v10, v9
	s_delay_alu instid0(VALU_DEP_2) | instskip(NEXT) | instid1(VALU_DEP_2)
	v_cmp_eq_u32_e32 vcc_lo, 0, v12
	v_min_u32_e32 v10, 32, v10
	s_delay_alu instid0(VALU_DEP_1) | instskip(NEXT) | instid1(VALU_DEP_1)
	v_subrev_nc_u32_e32 v11, 28, v10
	v_dual_lshlrev_b32 v8, v11, v8 :: v_dual_sub_nc_u32 v10, 29, v10
	s_delay_alu instid0(VALU_DEP_1) | instskip(NEXT) | instid1(VALU_DEP_1)
	v_dual_lshlrev_b32 v11, 16, v6 :: v_dual_bitop2_b32 v8, 7, v8 bitop3:0x40
	v_dual_cndmask_b32 v8, v9, v8, vcc_lo :: v_dual_cndmask_b32 v10, v12, v10, vcc_lo
	s_delay_alu instid0(VALU_DEP_2) | instskip(NEXT) | instid1(VALU_DEP_2)
	v_and_b32_e32 v9, 0x80000000, v11
	v_lshlrev_b32_e32 v8, 20, v8
	s_delay_alu instid0(VALU_DEP_3) | instskip(NEXT) | instid1(VALU_DEP_1)
	v_lshl_add_u32 v10, v10, 23, 0x3b800000
	v_or3_b32 v8, v9, v10, v8
.LBB302_147:
	s_or_b32 exec_lo, exec_lo, s19
	s_delay_alu instid0(VALU_DEP_1)
	v_cmp_neq_f32_e64 s17, s17, v8
.LBB302_148:
	v_cmp_ne_u32_e32 vcc_lo, 1, v3
	s_cbranch_vccnz .LBB302_431
.LBB302_149:
	s_and_b32 s19, s10, 0xff
	s_delay_alu instid0(SALU_CYCLE_1)
	s_cmp_lt_i32 s19, 0x80
	s_cbranch_scc1 .LBB302_157
; %bb.150:
	s_and_b32 s18, 0xffff, s19
	s_mov_b32 s20, -1
	s_cmp_eq_u32 s18, 0x80
	s_cbranch_scc0 .LBB302_152
; %bb.151:
	s_mov_b32 s20, 0
.LBB302_152:
	s_mov_b32 s18, 0x7f800001
	s_branch .LBB302_159
.LBB302_153:
	s_mov_b32 s18, -1
	s_mov_b32 s20, exec_lo
	v_cmpx_eq_u16_e32 0x80, v7
; %bb.154:
	s_xor_b32 s18, exec_lo, -1
; %bb.155:
	s_or_b32 exec_lo, exec_lo, s20
	s_delay_alu instid0(SALU_CYCLE_1)
	s_and_b32 s18, s18, exec_lo
	s_or_saveexec_b32 s19, s19
	v_mov_b32_e32 v8, 0x7f800001
	s_xor_b32 exec_lo, exec_lo, s19
	s_cbranch_execz .LBB302_145
.LBB302_156:
	v_cmp_ne_u16_e32 vcc_lo, 0, v7
	v_mov_b32_e32 v8, 0
	s_and_not1_b32 s18, s18, exec_lo
	s_and_b32 s20, vcc_lo, exec_lo
	s_delay_alu instid0(SALU_CYCLE_1)
	s_or_b32 s18, s18, s20
	s_or_b32 exec_lo, exec_lo, s19
	s_and_saveexec_b32 s19, s18
	s_cbranch_execnz .LBB302_146
	s_branch .LBB302_147
.LBB302_157:
	s_mov_b32 s20, 0
	s_mov_b32 s18, 0x7f800001
	s_cbranch_execz .LBB302_159
; %bb.158:
	s_and_b32 s18, 0xffff, s19
	s_delay_alu instid0(SALU_CYCLE_1)
	s_cmp_lg_u32 s18, 0
	s_mov_b32 s18, 0
	s_cselect_b32 s20, -1, 0
.LBB302_159:
	s_delay_alu instid0(SALU_CYCLE_1)
	s_and_not1_b32 vcc_lo, exec_lo, s20
	s_cbranch_vccnz .LBB302_161
; %bb.160:
	s_mov_b32 s18, s3
.LBB302_161:
	s_wait_loadcnt 0x3
	v_and_b32_e32 v6, 0xff, v5
	s_mov_b32 s19, 0
	s_mov_b32 s20, exec_lo
	s_delay_alu instid0(VALU_DEP_1)
	v_cmpx_lt_i16_e32 0x7f, v6
	s_xor_b32 s20, exec_lo, s20
	s_cbranch_execnz .LBB302_171
; %bb.162:
	s_or_saveexec_b32 s20, s20
	v_mov_b32_e32 v7, 0x7f800001
	s_xor_b32 exec_lo, exec_lo, s20
	s_cbranch_execnz .LBB302_174
.LBB302_163:
	s_or_b32 exec_lo, exec_lo, s20
	s_and_saveexec_b32 s20, s19
	s_cbranch_execz .LBB302_165
.LBB302_164:
	v_and_b32_e32 v6, 0xffff, v6
	s_delay_alu instid0(VALU_DEP_1) | instskip(SKIP_1) | instid1(VALU_DEP_2)
	v_and_b32_e32 v7, 7, v6
	v_bfe_u32 v10, v6, 3, 4
	v_clz_i32_u32_e32 v8, v7
	s_delay_alu instid0(VALU_DEP_2) | instskip(NEXT) | instid1(VALU_DEP_2)
	v_cmp_eq_u32_e32 vcc_lo, 0, v10
	v_min_u32_e32 v8, 32, v8
	s_delay_alu instid0(VALU_DEP_1) | instskip(NEXT) | instid1(VALU_DEP_1)
	v_subrev_nc_u32_e32 v9, 28, v8
	v_dual_lshlrev_b32 v6, v9, v6 :: v_dual_sub_nc_u32 v8, 29, v8
	s_delay_alu instid0(VALU_DEP_1) | instskip(NEXT) | instid1(VALU_DEP_1)
	v_dual_lshlrev_b32 v9, 24, v5 :: v_dual_bitop2_b32 v6, 7, v6 bitop3:0x40
	v_dual_cndmask_b32 v8, v10, v8, vcc_lo :: v_dual_cndmask_b32 v6, v7, v6, vcc_lo
	s_delay_alu instid0(VALU_DEP_2) | instskip(NEXT) | instid1(VALU_DEP_2)
	v_and_b32_e32 v7, 0x80000000, v9
	v_lshl_add_u32 v8, v8, 23, 0x3b800000
	s_delay_alu instid0(VALU_DEP_3) | instskip(NEXT) | instid1(VALU_DEP_1)
	v_lshlrev_b32_e32 v6, 20, v6
	v_or3_b32 v7, v7, v8, v6
.LBB302_165:
	s_or_b32 exec_lo, exec_lo, s20
	s_delay_alu instid0(VALU_DEP_1)
	v_cmp_neq_f32_e64 s18, s18, v7
.LBB302_166:
	v_cmp_ne_u32_e32 vcc_lo, 1, v3
	s_wait_loadcnt 0x3
	v_lshrrev_b16 v6, 8, v5
	s_cbranch_vccnz .LBB302_449
.LBB302_167:
	s_and_b32 s20, s10, 0xff
	s_delay_alu instid0(SALU_CYCLE_1)
	s_cmp_lt_i32 s20, 0x80
	s_cbranch_scc1 .LBB302_175
; %bb.168:
	s_and_b32 s19, 0xffff, s20
	s_mov_b32 s21, -1
	s_cmp_eq_u32 s19, 0x80
	s_cbranch_scc0 .LBB302_170
; %bb.169:
	s_mov_b32 s21, 0
.LBB302_170:
	s_mov_b32 s19, 0x7f800001
	s_branch .LBB302_177
.LBB302_171:
	s_mov_b32 s19, -1
	s_mov_b32 s21, exec_lo
	v_cmpx_eq_u16_e32 0x80, v6
; %bb.172:
	s_xor_b32 s19, exec_lo, -1
; %bb.173:
	s_or_b32 exec_lo, exec_lo, s21
	s_delay_alu instid0(SALU_CYCLE_1)
	s_and_b32 s19, s19, exec_lo
	s_or_saveexec_b32 s20, s20
	v_mov_b32_e32 v7, 0x7f800001
	s_xor_b32 exec_lo, exec_lo, s20
	s_cbranch_execz .LBB302_163
.LBB302_174:
	v_cmp_ne_u16_e32 vcc_lo, 0, v6
	v_mov_b32_e32 v7, 0
	s_and_not1_b32 s19, s19, exec_lo
	s_and_b32 s21, vcc_lo, exec_lo
	s_delay_alu instid0(SALU_CYCLE_1)
	s_or_b32 s19, s19, s21
	s_or_b32 exec_lo, exec_lo, s20
	s_and_saveexec_b32 s20, s19
	s_cbranch_execnz .LBB302_164
	s_branch .LBB302_165
.LBB302_175:
	s_mov_b32 s21, 0
	s_mov_b32 s19, 0x7f800001
	s_cbranch_execz .LBB302_177
; %bb.176:
	s_and_b32 s19, 0xffff, s20
	s_delay_alu instid0(SALU_CYCLE_1)
	s_cmp_lg_u32 s19, 0
	s_mov_b32 s19, 0
	s_cselect_b32 s21, -1, 0
.LBB302_177:
	s_delay_alu instid0(SALU_CYCLE_1)
	s_and_not1_b32 vcc_lo, exec_lo, s21
	s_cbranch_vccnz .LBB302_179
; %bb.178:
	s_mov_b32 s19, s3
.LBB302_179:
	s_mov_b32 s20, 0
	s_mov_b32 s21, exec_lo
	v_cmpx_lt_i16_e32 0x7f, v6
	s_xor_b32 s21, exec_lo, s21
	s_cbranch_execnz .LBB302_189
; %bb.180:
	s_or_saveexec_b32 s21, s21
	v_mov_b32_e32 v7, 0x7f800001
	s_xor_b32 exec_lo, exec_lo, s21
	s_cbranch_execnz .LBB302_192
.LBB302_181:
	s_or_b32 exec_lo, exec_lo, s21
	s_and_saveexec_b32 s21, s20
	s_cbranch_execz .LBB302_183
.LBB302_182:
	v_and_b32_e32 v7, 0xffff, v6
	s_delay_alu instid0(VALU_DEP_1) | instskip(SKIP_1) | instid1(VALU_DEP_2)
	v_and_b32_e32 v8, 7, v7
	v_bfe_u32 v11, v7, 3, 4
	v_clz_i32_u32_e32 v9, v8
	s_delay_alu instid0(VALU_DEP_2) | instskip(NEXT) | instid1(VALU_DEP_2)
	v_cmp_eq_u32_e32 vcc_lo, 0, v11
	v_min_u32_e32 v9, 32, v9
	s_delay_alu instid0(VALU_DEP_1) | instskip(NEXT) | instid1(VALU_DEP_1)
	v_subrev_nc_u32_e32 v10, 28, v9
	v_dual_lshlrev_b32 v7, v10, v7 :: v_dual_sub_nc_u32 v9, 29, v9
	s_delay_alu instid0(VALU_DEP_1) | instskip(NEXT) | instid1(VALU_DEP_1)
	v_dual_lshlrev_b32 v10, 16, v5 :: v_dual_bitop2_b32 v7, 7, v7 bitop3:0x40
	v_dual_cndmask_b32 v7, v8, v7, vcc_lo :: v_dual_cndmask_b32 v9, v11, v9, vcc_lo
	s_delay_alu instid0(VALU_DEP_2) | instskip(NEXT) | instid1(VALU_DEP_2)
	v_and_b32_e32 v8, 0x80000000, v10
	v_lshlrev_b32_e32 v7, 20, v7
	s_delay_alu instid0(VALU_DEP_3) | instskip(NEXT) | instid1(VALU_DEP_1)
	v_lshl_add_u32 v9, v9, 23, 0x3b800000
	v_or3_b32 v7, v8, v9, v7
.LBB302_183:
	s_or_b32 exec_lo, exec_lo, s21
	s_delay_alu instid0(VALU_DEP_1)
	v_cmp_neq_f32_e64 s19, s19, v7
.LBB302_184:
	v_cmp_ne_u32_e32 vcc_lo, 1, v3
	s_cbranch_vccnz .LBB302_467
.LBB302_185:
	s_and_b32 s21, s10, 0xff
	s_delay_alu instid0(SALU_CYCLE_1)
	s_cmp_lt_i32 s21, 0x80
	s_cbranch_scc1 .LBB302_193
; %bb.186:
	s_and_b32 s20, 0xffff, s21
	s_mov_b32 s22, -1
	s_cmp_eq_u32 s20, 0x80
	s_cbranch_scc0 .LBB302_188
; %bb.187:
	s_mov_b32 s22, 0
.LBB302_188:
	s_mov_b32 s20, 0x7f800001
	s_branch .LBB302_195
.LBB302_189:
	s_mov_b32 s20, -1
	s_mov_b32 s22, exec_lo
	v_cmpx_eq_u16_e32 0x80, v6
; %bb.190:
	s_xor_b32 s20, exec_lo, -1
; %bb.191:
	s_or_b32 exec_lo, exec_lo, s22
	s_delay_alu instid0(SALU_CYCLE_1)
	s_and_b32 s20, s20, exec_lo
	s_or_saveexec_b32 s21, s21
	v_mov_b32_e32 v7, 0x7f800001
	s_xor_b32 exec_lo, exec_lo, s21
	s_cbranch_execz .LBB302_181
.LBB302_192:
	v_cmp_ne_u16_e32 vcc_lo, 0, v6
	v_mov_b32_e32 v7, 0
	s_and_not1_b32 s20, s20, exec_lo
	s_and_b32 s22, vcc_lo, exec_lo
	s_delay_alu instid0(SALU_CYCLE_1)
	s_or_b32 s20, s20, s22
	s_or_b32 exec_lo, exec_lo, s21
	s_and_saveexec_b32 s21, s20
	s_cbranch_execnz .LBB302_182
	s_branch .LBB302_183
.LBB302_193:
	s_mov_b32 s22, 0
	s_mov_b32 s20, 0x7f800001
	s_cbranch_execz .LBB302_195
; %bb.194:
	s_and_b32 s20, 0xffff, s21
	s_delay_alu instid0(SALU_CYCLE_1)
	s_cmp_lg_u32 s20, 0
	s_mov_b32 s20, 0
	s_cselect_b32 s22, -1, 0
.LBB302_195:
	s_delay_alu instid0(SALU_CYCLE_1)
	s_and_not1_b32 vcc_lo, exec_lo, s22
	s_cbranch_vccnz .LBB302_197
; %bb.196:
	s_mov_b32 s20, s3
.LBB302_197:
	s_wait_loadcnt 0x2
	v_and_b32_e32 v5, 0xff, v4
	s_mov_b32 s21, 0
	s_mov_b32 s22, exec_lo
	s_delay_alu instid0(VALU_DEP_1)
	v_cmpx_lt_i16_e32 0x7f, v5
	s_xor_b32 s22, exec_lo, s22
	s_cbranch_execnz .LBB302_207
; %bb.198:
	s_or_saveexec_b32 s22, s22
	v_mov_b32_e32 v6, 0x7f800001
	s_xor_b32 exec_lo, exec_lo, s22
	s_cbranch_execnz .LBB302_210
.LBB302_199:
	s_or_b32 exec_lo, exec_lo, s22
	s_and_saveexec_b32 s22, s21
	s_cbranch_execz .LBB302_201
.LBB302_200:
	v_and_b32_e32 v5, 0xffff, v5
	s_delay_alu instid0(VALU_DEP_1) | instskip(SKIP_1) | instid1(VALU_DEP_2)
	v_and_b32_e32 v6, 7, v5
	v_bfe_u32 v9, v5, 3, 4
	v_clz_i32_u32_e32 v7, v6
	s_delay_alu instid0(VALU_DEP_2) | instskip(NEXT) | instid1(VALU_DEP_2)
	v_cmp_eq_u32_e32 vcc_lo, 0, v9
	v_min_u32_e32 v7, 32, v7
	s_delay_alu instid0(VALU_DEP_1) | instskip(NEXT) | instid1(VALU_DEP_1)
	v_subrev_nc_u32_e32 v8, 28, v7
	v_dual_lshlrev_b32 v5, v8, v5 :: v_dual_sub_nc_u32 v7, 29, v7
	s_delay_alu instid0(VALU_DEP_1) | instskip(NEXT) | instid1(VALU_DEP_1)
	v_dual_lshlrev_b32 v8, 24, v4 :: v_dual_bitop2_b32 v5, 7, v5 bitop3:0x40
	v_dual_cndmask_b32 v7, v9, v7, vcc_lo :: v_dual_cndmask_b32 v5, v6, v5, vcc_lo
	s_delay_alu instid0(VALU_DEP_2) | instskip(NEXT) | instid1(VALU_DEP_2)
	v_and_b32_e32 v6, 0x80000000, v8
	v_lshl_add_u32 v7, v7, 23, 0x3b800000
	s_delay_alu instid0(VALU_DEP_3) | instskip(NEXT) | instid1(VALU_DEP_1)
	v_lshlrev_b32_e32 v5, 20, v5
	v_or3_b32 v6, v6, v7, v5
.LBB302_201:
	s_or_b32 exec_lo, exec_lo, s22
	s_delay_alu instid0(VALU_DEP_1)
	v_cmp_neq_f32_e64 s20, s20, v6
.LBB302_202:
	v_cmp_ne_u32_e32 vcc_lo, 1, v3
	s_wait_loadcnt 0x2
	v_lshrrev_b16 v5, 8, v4
	s_cbranch_vccnz .LBB302_485
.LBB302_203:
	s_and_b32 s22, s10, 0xff
	s_delay_alu instid0(SALU_CYCLE_1)
	s_cmp_lt_i32 s22, 0x80
	s_cbranch_scc1 .LBB302_211
; %bb.204:
	s_and_b32 s21, 0xffff, s22
	s_mov_b32 s23, -1
	s_cmp_eq_u32 s21, 0x80
	s_cbranch_scc0 .LBB302_206
; %bb.205:
	s_mov_b32 s23, 0
.LBB302_206:
	s_mov_b32 s21, 0x7f800001
	s_branch .LBB302_213
.LBB302_207:
	s_mov_b32 s21, -1
	s_mov_b32 s23, exec_lo
	v_cmpx_eq_u16_e32 0x80, v5
; %bb.208:
	s_xor_b32 s21, exec_lo, -1
; %bb.209:
	s_or_b32 exec_lo, exec_lo, s23
	s_delay_alu instid0(SALU_CYCLE_1)
	s_and_b32 s21, s21, exec_lo
	s_or_saveexec_b32 s22, s22
	v_mov_b32_e32 v6, 0x7f800001
	s_xor_b32 exec_lo, exec_lo, s22
	s_cbranch_execz .LBB302_199
.LBB302_210:
	v_cmp_ne_u16_e32 vcc_lo, 0, v5
	v_mov_b32_e32 v6, 0
	s_and_not1_b32 s21, s21, exec_lo
	s_and_b32 s23, vcc_lo, exec_lo
	s_delay_alu instid0(SALU_CYCLE_1)
	s_or_b32 s21, s21, s23
	s_or_b32 exec_lo, exec_lo, s22
	s_and_saveexec_b32 s22, s21
	s_cbranch_execnz .LBB302_200
	s_branch .LBB302_201
.LBB302_211:
	s_mov_b32 s23, 0
	s_mov_b32 s21, 0x7f800001
	s_cbranch_execz .LBB302_213
; %bb.212:
	s_and_b32 s21, 0xffff, s22
	s_delay_alu instid0(SALU_CYCLE_1)
	s_cmp_lg_u32 s21, 0
	s_mov_b32 s21, 0
	s_cselect_b32 s23, -1, 0
.LBB302_213:
	s_delay_alu instid0(SALU_CYCLE_1)
	s_and_not1_b32 vcc_lo, exec_lo, s23
	s_cbranch_vccnz .LBB302_215
; %bb.214:
	s_mov_b32 s21, s3
.LBB302_215:
	s_mov_b32 s22, 0
	s_mov_b32 s23, exec_lo
	v_cmpx_lt_i16_e32 0x7f, v5
	s_xor_b32 s23, exec_lo, s23
	s_cbranch_execnz .LBB302_225
; %bb.216:
	s_or_saveexec_b32 s23, s23
	v_mov_b32_e32 v6, 0x7f800001
	s_xor_b32 exec_lo, exec_lo, s23
	s_cbranch_execnz .LBB302_228
.LBB302_217:
	s_or_b32 exec_lo, exec_lo, s23
	s_and_saveexec_b32 s23, s22
	s_cbranch_execz .LBB302_219
.LBB302_218:
	v_and_b32_e32 v6, 0xffff, v5
	s_delay_alu instid0(VALU_DEP_1) | instskip(SKIP_1) | instid1(VALU_DEP_2)
	v_and_b32_e32 v7, 7, v6
	v_bfe_u32 v10, v6, 3, 4
	v_clz_i32_u32_e32 v8, v7
	s_delay_alu instid0(VALU_DEP_2) | instskip(NEXT) | instid1(VALU_DEP_2)
	v_cmp_eq_u32_e32 vcc_lo, 0, v10
	v_min_u32_e32 v8, 32, v8
	s_delay_alu instid0(VALU_DEP_1) | instskip(NEXT) | instid1(VALU_DEP_1)
	v_subrev_nc_u32_e32 v9, 28, v8
	v_dual_lshlrev_b32 v6, v9, v6 :: v_dual_sub_nc_u32 v8, 29, v8
	s_delay_alu instid0(VALU_DEP_1) | instskip(NEXT) | instid1(VALU_DEP_1)
	v_dual_lshlrev_b32 v9, 16, v4 :: v_dual_bitop2_b32 v6, 7, v6 bitop3:0x40
	v_dual_cndmask_b32 v6, v7, v6, vcc_lo :: v_dual_cndmask_b32 v8, v10, v8, vcc_lo
	s_delay_alu instid0(VALU_DEP_2) | instskip(NEXT) | instid1(VALU_DEP_2)
	v_and_b32_e32 v7, 0x80000000, v9
	v_lshlrev_b32_e32 v6, 20, v6
	s_delay_alu instid0(VALU_DEP_3) | instskip(NEXT) | instid1(VALU_DEP_1)
	v_lshl_add_u32 v8, v8, 23, 0x3b800000
	v_or3_b32 v6, v7, v8, v6
.LBB302_219:
	s_or_b32 exec_lo, exec_lo, s23
	s_delay_alu instid0(VALU_DEP_1)
	v_cmp_neq_f32_e64 s21, s21, v6
.LBB302_220:
	v_cmp_ne_u32_e32 vcc_lo, 1, v3
	s_cbranch_vccnz .LBB302_503
.LBB302_221:
	s_and_b32 s23, s10, 0xff
	s_delay_alu instid0(SALU_CYCLE_1)
	s_cmp_lt_i32 s23, 0x80
	s_cbranch_scc1 .LBB302_229
; %bb.222:
	s_and_b32 s22, 0xffff, s23
	s_mov_b32 s24, -1
	s_cmp_eq_u32 s22, 0x80
	s_cbranch_scc0 .LBB302_224
; %bb.223:
	s_mov_b32 s24, 0
.LBB302_224:
	s_mov_b32 s22, 0x7f800001
	s_branch .LBB302_231
.LBB302_225:
	s_mov_b32 s22, -1
	s_mov_b32 s24, exec_lo
	v_cmpx_eq_u16_e32 0x80, v5
; %bb.226:
	s_xor_b32 s22, exec_lo, -1
; %bb.227:
	s_or_b32 exec_lo, exec_lo, s24
	s_delay_alu instid0(SALU_CYCLE_1)
	s_and_b32 s22, s22, exec_lo
	s_or_saveexec_b32 s23, s23
	v_mov_b32_e32 v6, 0x7f800001
	s_xor_b32 exec_lo, exec_lo, s23
	s_cbranch_execz .LBB302_217
.LBB302_228:
	v_cmp_ne_u16_e32 vcc_lo, 0, v5
	v_mov_b32_e32 v6, 0
	s_and_not1_b32 s22, s22, exec_lo
	s_and_b32 s24, vcc_lo, exec_lo
	s_delay_alu instid0(SALU_CYCLE_1)
	s_or_b32 s22, s22, s24
	s_or_b32 exec_lo, exec_lo, s23
	s_and_saveexec_b32 s23, s22
	s_cbranch_execnz .LBB302_218
	s_branch .LBB302_219
.LBB302_229:
	s_mov_b32 s24, 0
	s_mov_b32 s22, 0x7f800001
	s_cbranch_execz .LBB302_231
; %bb.230:
	s_and_b32 s22, 0xffff, s23
	s_delay_alu instid0(SALU_CYCLE_1)
	s_cmp_lg_u32 s22, 0
	s_mov_b32 s22, 0
	s_cselect_b32 s24, -1, 0
.LBB302_231:
	s_delay_alu instid0(SALU_CYCLE_1)
	s_and_not1_b32 vcc_lo, exec_lo, s24
	s_cbranch_vccnz .LBB302_233
; %bb.232:
	s_mov_b32 s22, s3
.LBB302_233:
	s_wait_loadcnt 0x1
	v_and_b32_e32 v4, 0xff, v2
	s_mov_b32 s23, 0
	s_mov_b32 s24, exec_lo
	s_delay_alu instid0(VALU_DEP_1)
	v_cmpx_lt_i16_e32 0x7f, v4
	s_xor_b32 s24, exec_lo, s24
	s_cbranch_execnz .LBB302_243
; %bb.234:
	s_or_saveexec_b32 s24, s24
	v_mov_b32_e32 v5, 0x7f800001
	s_xor_b32 exec_lo, exec_lo, s24
	s_cbranch_execnz .LBB302_246
.LBB302_235:
	s_or_b32 exec_lo, exec_lo, s24
	s_and_saveexec_b32 s24, s23
	s_cbranch_execz .LBB302_237
.LBB302_236:
	v_and_b32_e32 v4, 0xffff, v4
	s_delay_alu instid0(VALU_DEP_1) | instskip(SKIP_1) | instid1(VALU_DEP_2)
	v_and_b32_e32 v5, 7, v4
	v_bfe_u32 v8, v4, 3, 4
	v_clz_i32_u32_e32 v6, v5
	s_delay_alu instid0(VALU_DEP_2) | instskip(NEXT) | instid1(VALU_DEP_2)
	v_cmp_eq_u32_e32 vcc_lo, 0, v8
	v_min_u32_e32 v6, 32, v6
	s_delay_alu instid0(VALU_DEP_1) | instskip(NEXT) | instid1(VALU_DEP_1)
	v_subrev_nc_u32_e32 v7, 28, v6
	v_dual_lshlrev_b32 v4, v7, v4 :: v_dual_sub_nc_u32 v6, 29, v6
	s_delay_alu instid0(VALU_DEP_1) | instskip(NEXT) | instid1(VALU_DEP_1)
	v_dual_lshlrev_b32 v7, 24, v2 :: v_dual_bitop2_b32 v4, 7, v4 bitop3:0x40
	v_dual_cndmask_b32 v4, v5, v4, vcc_lo :: v_dual_cndmask_b32 v6, v8, v6, vcc_lo
	s_delay_alu instid0(VALU_DEP_2) | instskip(NEXT) | instid1(VALU_DEP_2)
	v_and_b32_e32 v5, 0x80000000, v7
	v_lshlrev_b32_e32 v4, 20, v4
	s_delay_alu instid0(VALU_DEP_3) | instskip(NEXT) | instid1(VALU_DEP_1)
	v_lshl_add_u32 v6, v6, 23, 0x3b800000
	v_or3_b32 v5, v5, v6, v4
.LBB302_237:
	s_or_b32 exec_lo, exec_lo, s24
	s_delay_alu instid0(VALU_DEP_1)
	v_cmp_neq_f32_e64 s22, s22, v5
.LBB302_238:
	v_cmp_ne_u32_e32 vcc_lo, 1, v3
	s_wait_loadcnt 0x1
	v_lshrrev_b16 v4, 8, v2
	s_cbranch_vccnz .LBB302_521
.LBB302_239:
	s_and_b32 s24, s10, 0xff
	s_delay_alu instid0(SALU_CYCLE_1)
	s_cmp_lt_i32 s24, 0x80
	s_cbranch_scc1 .LBB302_247
; %bb.240:
	s_and_b32 s23, 0xffff, s24
	s_mov_b32 s25, -1
	s_cmp_eq_u32 s23, 0x80
	s_cbranch_scc0 .LBB302_242
; %bb.241:
	s_mov_b32 s25, 0
.LBB302_242:
	s_mov_b32 s23, 0x7f800001
	s_branch .LBB302_249
.LBB302_243:
	s_mov_b32 s23, -1
	s_mov_b32 s25, exec_lo
	v_cmpx_eq_u16_e32 0x80, v4
; %bb.244:
	s_xor_b32 s23, exec_lo, -1
; %bb.245:
	s_or_b32 exec_lo, exec_lo, s25
	s_delay_alu instid0(SALU_CYCLE_1)
	s_and_b32 s23, s23, exec_lo
	s_or_saveexec_b32 s24, s24
	v_mov_b32_e32 v5, 0x7f800001
	s_xor_b32 exec_lo, exec_lo, s24
	s_cbranch_execz .LBB302_235
.LBB302_246:
	v_cmp_ne_u16_e32 vcc_lo, 0, v4
	v_mov_b32_e32 v5, 0
	s_and_not1_b32 s23, s23, exec_lo
	s_and_b32 s25, vcc_lo, exec_lo
	s_delay_alu instid0(SALU_CYCLE_1)
	s_or_b32 s23, s23, s25
	s_or_b32 exec_lo, exec_lo, s24
	s_and_saveexec_b32 s24, s23
	s_cbranch_execnz .LBB302_236
	s_branch .LBB302_237
.LBB302_247:
	s_mov_b32 s25, 0
	s_mov_b32 s23, 0x7f800001
	s_cbranch_execz .LBB302_249
; %bb.248:
	s_and_b32 s23, 0xffff, s24
	s_delay_alu instid0(SALU_CYCLE_1)
	s_cmp_lg_u32 s23, 0
	s_mov_b32 s23, 0
	s_cselect_b32 s25, -1, 0
.LBB302_249:
	s_delay_alu instid0(SALU_CYCLE_1)
	s_and_not1_b32 vcc_lo, exec_lo, s25
	s_cbranch_vccnz .LBB302_251
; %bb.250:
	s_mov_b32 s23, s3
.LBB302_251:
	s_mov_b32 s24, 0
	s_mov_b32 s25, exec_lo
	v_cmpx_lt_i16_e32 0x7f, v4
	s_xor_b32 s25, exec_lo, s25
	s_cbranch_execnz .LBB302_261
; %bb.252:
	s_or_saveexec_b32 s25, s25
	v_mov_b32_e32 v5, 0x7f800001
	s_xor_b32 exec_lo, exec_lo, s25
	s_cbranch_execnz .LBB302_264
.LBB302_253:
	s_or_b32 exec_lo, exec_lo, s25
	s_and_saveexec_b32 s25, s24
	s_cbranch_execz .LBB302_255
.LBB302_254:
	v_and_b32_e32 v5, 0xffff, v4
	s_delay_alu instid0(VALU_DEP_1) | instskip(SKIP_1) | instid1(VALU_DEP_2)
	v_and_b32_e32 v6, 7, v5
	v_bfe_u32 v9, v5, 3, 4
	v_clz_i32_u32_e32 v7, v6
	s_delay_alu instid0(VALU_DEP_2) | instskip(NEXT) | instid1(VALU_DEP_2)
	v_cmp_eq_u32_e32 vcc_lo, 0, v9
	v_min_u32_e32 v7, 32, v7
	s_delay_alu instid0(VALU_DEP_1) | instskip(NEXT) | instid1(VALU_DEP_1)
	v_subrev_nc_u32_e32 v8, 28, v7
	v_dual_lshlrev_b32 v5, v8, v5 :: v_dual_sub_nc_u32 v7, 29, v7
	s_delay_alu instid0(VALU_DEP_1) | instskip(NEXT) | instid1(VALU_DEP_1)
	v_dual_lshlrev_b32 v8, 16, v2 :: v_dual_bitop2_b32 v5, 7, v5 bitop3:0x40
	v_dual_cndmask_b32 v7, v9, v7, vcc_lo :: v_dual_cndmask_b32 v5, v6, v5, vcc_lo
	s_delay_alu instid0(VALU_DEP_2) | instskip(NEXT) | instid1(VALU_DEP_2)
	v_and_b32_e32 v6, 0x80000000, v8
	v_lshl_add_u32 v7, v7, 23, 0x3b800000
	s_delay_alu instid0(VALU_DEP_3) | instskip(NEXT) | instid1(VALU_DEP_1)
	v_lshlrev_b32_e32 v5, 20, v5
	v_or3_b32 v5, v6, v7, v5
.LBB302_255:
	s_or_b32 exec_lo, exec_lo, s25
	s_delay_alu instid0(VALU_DEP_1)
	v_cmp_neq_f32_e64 s23, s23, v5
.LBB302_256:
	v_cmp_ne_u32_e32 vcc_lo, 1, v3
	s_cbranch_vccnz .LBB302_539
.LBB302_257:
	s_and_b32 s25, s10, 0xff
	s_delay_alu instid0(SALU_CYCLE_1)
	s_cmp_lt_i32 s25, 0x80
	s_cbranch_scc1 .LBB302_265
; %bb.258:
	s_and_b32 s24, 0xffff, s25
	s_mov_b32 s26, -1
	s_cmp_eq_u32 s24, 0x80
	s_cbranch_scc0 .LBB302_260
; %bb.259:
	s_mov_b32 s26, 0
.LBB302_260:
	s_mov_b32 s24, 0x7f800001
	s_branch .LBB302_267
.LBB302_261:
	s_mov_b32 s24, -1
	s_mov_b32 s26, exec_lo
	v_cmpx_eq_u16_e32 0x80, v4
; %bb.262:
	s_xor_b32 s24, exec_lo, -1
; %bb.263:
	s_or_b32 exec_lo, exec_lo, s26
	s_delay_alu instid0(SALU_CYCLE_1)
	s_and_b32 s24, s24, exec_lo
	s_or_saveexec_b32 s25, s25
	v_mov_b32_e32 v5, 0x7f800001
	s_xor_b32 exec_lo, exec_lo, s25
	s_cbranch_execz .LBB302_253
.LBB302_264:
	v_cmp_ne_u16_e32 vcc_lo, 0, v4
	v_mov_b32_e32 v5, 0
	s_and_not1_b32 s24, s24, exec_lo
	s_and_b32 s26, vcc_lo, exec_lo
	s_delay_alu instid0(SALU_CYCLE_1)
	s_or_b32 s24, s24, s26
	s_or_b32 exec_lo, exec_lo, s25
	s_and_saveexec_b32 s25, s24
	s_cbranch_execnz .LBB302_254
	s_branch .LBB302_255
.LBB302_265:
	s_mov_b32 s26, 0
	s_mov_b32 s24, 0x7f800001
	s_cbranch_execz .LBB302_267
; %bb.266:
	s_and_b32 s24, 0xffff, s25
	s_delay_alu instid0(SALU_CYCLE_1)
	s_cmp_lg_u32 s24, 0
	s_mov_b32 s24, 0
	s_cselect_b32 s26, -1, 0
.LBB302_267:
	s_delay_alu instid0(SALU_CYCLE_1)
	s_and_not1_b32 vcc_lo, exec_lo, s26
	s_cbranch_vccnz .LBB302_269
; %bb.268:
	s_mov_b32 s24, s3
.LBB302_269:
	s_wait_loadcnt 0x0
	v_and_b32_e32 v2, 0xff, v1
	s_mov_b32 s25, 0
	s_mov_b32 s26, exec_lo
	s_delay_alu instid0(VALU_DEP_1)
	v_cmpx_lt_i16_e32 0x7f, v2
	s_xor_b32 s26, exec_lo, s26
	s_cbranch_execnz .LBB302_279
; %bb.270:
	s_or_saveexec_b32 s26, s26
	v_mov_b32_e32 v4, 0x7f800001
	s_xor_b32 exec_lo, exec_lo, s26
	s_cbranch_execnz .LBB302_282
.LBB302_271:
	s_or_b32 exec_lo, exec_lo, s26
	s_and_saveexec_b32 s26, s25
	s_cbranch_execz .LBB302_273
.LBB302_272:
	v_and_b32_e32 v2, 0xffff, v2
	s_delay_alu instid0(VALU_DEP_1) | instskip(SKIP_1) | instid1(VALU_DEP_2)
	v_and_b32_e32 v4, 7, v2
	v_bfe_u32 v7, v2, 3, 4
	v_clz_i32_u32_e32 v5, v4
	s_delay_alu instid0(VALU_DEP_2) | instskip(NEXT) | instid1(VALU_DEP_2)
	v_cmp_eq_u32_e32 vcc_lo, 0, v7
	v_min_u32_e32 v5, 32, v5
	s_delay_alu instid0(VALU_DEP_1) | instskip(NEXT) | instid1(VALU_DEP_1)
	v_subrev_nc_u32_e32 v6, 28, v5
	v_dual_lshlrev_b32 v2, v6, v2 :: v_dual_sub_nc_u32 v5, 29, v5
	s_delay_alu instid0(VALU_DEP_1) | instskip(NEXT) | instid1(VALU_DEP_1)
	v_dual_lshlrev_b32 v6, 24, v1 :: v_dual_bitop2_b32 v2, 7, v2 bitop3:0x40
	v_dual_cndmask_b32 v2, v4, v2 :: v_dual_cndmask_b32 v5, v7, v5
	s_delay_alu instid0(VALU_DEP_2) | instskip(NEXT) | instid1(VALU_DEP_2)
	v_and_b32_e32 v4, 0x80000000, v6
	v_lshlrev_b32_e32 v2, 20, v2
	s_delay_alu instid0(VALU_DEP_3) | instskip(NEXT) | instid1(VALU_DEP_1)
	v_lshl_add_u32 v5, v5, 23, 0x3b800000
	v_or3_b32 v4, v4, v5, v2
.LBB302_273:
	s_or_b32 exec_lo, exec_lo, s26
	s_delay_alu instid0(VALU_DEP_1)
	v_cmp_neq_f32_e64 s24, s24, v4
.LBB302_274:
	v_cmp_ne_u32_e32 vcc_lo, 1, v3
	s_wait_loadcnt 0x0
	v_lshrrev_b16 v2, 8, v1
	s_cbranch_vccnz .LBB302_557
.LBB302_275:
	s_and_b32 s26, s10, 0xff
	s_delay_alu instid0(SALU_CYCLE_1)
	s_cmp_lt_i32 s26, 0x80
	s_cbranch_scc1 .LBB302_283
; %bb.276:
	s_and_b32 s25, 0xffff, s26
	s_mov_b32 s27, -1
	s_cmp_eq_u32 s25, 0x80
	s_cbranch_scc0 .LBB302_278
; %bb.277:
	s_mov_b32 s27, 0
.LBB302_278:
	s_mov_b32 s25, 0x7f800001
	s_branch .LBB302_285
.LBB302_279:
	s_mov_b32 s25, -1
	s_mov_b32 s27, exec_lo
	v_cmpx_eq_u16_e32 0x80, v2
; %bb.280:
	s_xor_b32 s25, exec_lo, -1
; %bb.281:
	s_or_b32 exec_lo, exec_lo, s27
	s_delay_alu instid0(SALU_CYCLE_1)
	s_and_b32 s25, s25, exec_lo
	s_or_saveexec_b32 s26, s26
	v_mov_b32_e32 v4, 0x7f800001
	s_xor_b32 exec_lo, exec_lo, s26
	s_cbranch_execz .LBB302_271
.LBB302_282:
	v_cmp_ne_u16_e32 vcc_lo, 0, v2
	v_mov_b32_e32 v4, 0
	s_and_not1_b32 s25, s25, exec_lo
	s_and_b32 s27, vcc_lo, exec_lo
	s_delay_alu instid0(SALU_CYCLE_1)
	s_or_b32 s25, s25, s27
	s_or_b32 exec_lo, exec_lo, s26
	s_and_saveexec_b32 s26, s25
	s_cbranch_execnz .LBB302_272
	s_branch .LBB302_273
.LBB302_283:
	s_mov_b32 s27, 0
	s_mov_b32 s25, 0x7f800001
	s_cbranch_execz .LBB302_285
; %bb.284:
	s_and_b32 s25, 0xffff, s26
	s_delay_alu instid0(SALU_CYCLE_1)
	s_cmp_lg_u32 s25, 0
	s_mov_b32 s25, 0
	s_cselect_b32 s27, -1, 0
.LBB302_285:
	s_delay_alu instid0(SALU_CYCLE_1)
	s_and_not1_b32 vcc_lo, exec_lo, s27
	s_cbranch_vccnz .LBB302_287
; %bb.286:
	s_mov_b32 s25, s3
.LBB302_287:
	s_mov_b32 s26, 0
	s_mov_b32 s27, exec_lo
	v_cmpx_lt_i16_e32 0x7f, v2
	s_xor_b32 s27, exec_lo, s27
	s_cbranch_execnz .LBB302_292
; %bb.288:
	s_or_saveexec_b32 s27, s27
	v_mov_b32_e32 v3, 0x7f800001
	s_xor_b32 exec_lo, exec_lo, s27
	s_cbranch_execnz .LBB302_295
.LBB302_289:
	s_or_b32 exec_lo, exec_lo, s27
	s_and_saveexec_b32 s27, s26
	s_cbranch_execz .LBB302_291
.LBB302_290:
	v_and_b32_e32 v3, 0xffff, v2
	s_delay_alu instid0(VALU_DEP_1) | instskip(SKIP_1) | instid1(VALU_DEP_2)
	v_and_b32_e32 v4, 7, v3
	v_bfe_u32 v7, v3, 3, 4
	v_clz_i32_u32_e32 v5, v4
	s_delay_alu instid0(VALU_DEP_2) | instskip(NEXT) | instid1(VALU_DEP_2)
	v_cmp_eq_u32_e32 vcc_lo, 0, v7
	v_min_u32_e32 v5, 32, v5
	s_delay_alu instid0(VALU_DEP_1) | instskip(NEXT) | instid1(VALU_DEP_1)
	v_subrev_nc_u32_e32 v6, 28, v5
	v_dual_lshlrev_b32 v3, v6, v3 :: v_dual_sub_nc_u32 v5, 29, v5
	s_delay_alu instid0(VALU_DEP_1) | instskip(NEXT) | instid1(VALU_DEP_1)
	v_dual_lshlrev_b32 v6, 16, v1 :: v_dual_bitop2_b32 v3, 7, v3 bitop3:0x40
	v_dual_cndmask_b32 v3, v4, v3, vcc_lo :: v_dual_cndmask_b32 v5, v7, v5, vcc_lo
	s_delay_alu instid0(VALU_DEP_2) | instskip(NEXT) | instid1(VALU_DEP_2)
	v_and_b32_e32 v4, 0x80000000, v6
	v_lshlrev_b32_e32 v3, 20, v3
	s_delay_alu instid0(VALU_DEP_3) | instskip(NEXT) | instid1(VALU_DEP_1)
	v_lshl_add_u32 v5, v5, 23, 0x3b800000
	v_or3_b32 v3, v4, v5, v3
.LBB302_291:
	s_or_b32 exec_lo, exec_lo, s27
	s_delay_alu instid0(VALU_DEP_1)
	v_cmp_neq_f32_e64 s25, s25, v3
	s_branch .LBB302_575
.LBB302_292:
	s_mov_b32 s26, -1
	s_mov_b32 s28, exec_lo
	v_cmpx_eq_u16_e32 0x80, v2
; %bb.293:
	s_xor_b32 s26, exec_lo, -1
; %bb.294:
	s_or_b32 exec_lo, exec_lo, s28
	s_delay_alu instid0(SALU_CYCLE_1)
	s_and_b32 s26, s26, exec_lo
	s_or_saveexec_b32 s27, s27
	v_mov_b32_e32 v3, 0x7f800001
	s_xor_b32 exec_lo, exec_lo, s27
	s_cbranch_execz .LBB302_289
.LBB302_295:
	v_cmp_ne_u16_e32 vcc_lo, 0, v2
	v_mov_b32_e32 v3, 0
	s_and_not1_b32 s26, s26, exec_lo
	s_and_b32 s28, vcc_lo, exec_lo
	s_delay_alu instid0(SALU_CYCLE_1)
	s_or_b32 s26, s26, s28
	s_or_b32 exec_lo, exec_lo, s27
	s_and_saveexec_b32 s27, s26
	s_cbranch_execnz .LBB302_290
	s_branch .LBB302_291
.LBB302_296:
	s_mov_b32 s13, 0
	s_mov_b32 s8, 0x7f800001
	s_cbranch_execz .LBB302_298
; %bb.297:
	s_and_b32 s8, 0xffff, s12
	s_delay_alu instid0(SALU_CYCLE_1)
	s_cmp_lg_u32 s8, 0
	s_mov_b32 s8, 0
	s_cselect_b32 s13, -1, 0
.LBB302_298:
	s_delay_alu instid0(SALU_CYCLE_1)
	s_and_not1_b32 vcc_lo, exec_lo, s13
	s_cbranch_vccnz .LBB302_300
; %bb.299:
	s_mov_b32 s8, s3
.LBB302_300:
	s_wait_loadcnt 0x7
	v_and_b32_e32 v3, 0xff, v9
	s_mov_b32 s12, 0
	s_mov_b32 s13, exec_lo
	s_delay_alu instid0(VALU_DEP_1)
	v_cmpx_lt_i16_e32 0x7f, v3
	s_xor_b32 s13, exec_lo, s13
	s_cbranch_execnz .LBB302_310
; %bb.301:
	s_or_saveexec_b32 s13, s13
	v_mov_b32_e32 v10, 0x7f800001
	s_xor_b32 exec_lo, exec_lo, s13
	s_cbranch_execnz .LBB302_313
.LBB302_302:
	s_or_b32 exec_lo, exec_lo, s13
	s_and_saveexec_b32 s13, s12
	s_cbranch_execz .LBB302_304
.LBB302_303:
	v_and_b32_e32 v3, 0xffff, v3
	s_delay_alu instid0(VALU_DEP_1) | instskip(SKIP_1) | instid1(VALU_DEP_2)
	v_and_b32_e32 v10, 7, v3
	v_bfe_u32 v13, v3, 3, 4
	v_clz_i32_u32_e32 v11, v10
	s_delay_alu instid0(VALU_DEP_2) | instskip(NEXT) | instid1(VALU_DEP_2)
	v_cmp_eq_u32_e32 vcc_lo, 0, v13
	v_min_u32_e32 v11, 32, v11
	s_delay_alu instid0(VALU_DEP_1) | instskip(SKIP_1) | instid1(VALU_DEP_2)
	v_subrev_nc_u32_e32 v12, 28, v11
	v_sub_nc_u32_e32 v11, 29, v11
	v_dual_lshlrev_b32 v3, v12, v3 :: v_dual_lshlrev_b32 v12, 24, v9
	s_delay_alu instid0(VALU_DEP_2) | instskip(NEXT) | instid1(VALU_DEP_2)
	v_cndmask_b32_e32 v11, v13, v11, vcc_lo
	v_and_b32_e32 v3, 7, v3
	s_delay_alu instid0(VALU_DEP_2) | instskip(NEXT) | instid1(VALU_DEP_2)
	v_lshl_add_u32 v11, v11, 23, 0x3b800000
	v_cndmask_b32_e32 v3, v10, v3, vcc_lo
	v_and_b32_e32 v10, 0x80000000, v12
	s_delay_alu instid0(VALU_DEP_2) | instskip(NEXT) | instid1(VALU_DEP_1)
	v_lshlrev_b32_e32 v3, 20, v3
	v_or3_b32 v10, v10, v11, v3
.LBB302_304:
	s_or_b32 exec_lo, exec_lo, s13
	s_delay_alu instid0(VALU_DEP_1)
	v_cmp_eq_f32_e64 s8, s8, v10
	v_cndmask_b32_e64 v3, 0, 1, s11
	v_lshrrev_b16 v10, 8, v9
	s_and_not1_b32 vcc_lo, exec_lo, s11
	s_cbranch_vccz .LBB302_10
.LBB302_305:
                                        ; implicit-def: $sgpr11
	s_cbranch_execz .LBB302_36
; %bb.306:
	s_and_b32 s12, s10, 0xff
	s_delay_alu instid0(SALU_CYCLE_1)
	s_cmp_lt_i32 s12, 0x80
	s_cbranch_scc1 .LBB302_314
; %bb.307:
	s_and_b32 s11, 0xffff, s12
	s_mov_b32 s13, -1
	s_cmp_eq_u32 s11, 0x80
	s_cbranch_scc0 .LBB302_309
; %bb.308:
	s_mov_b32 s13, 0
.LBB302_309:
	s_mov_b32 s11, 0x7f800001
	s_branch .LBB302_316
.LBB302_310:
	s_mov_b32 s12, -1
	s_mov_b32 s14, exec_lo
	v_cmpx_eq_u16_e32 0x80, v3
; %bb.311:
	s_xor_b32 s12, exec_lo, -1
; %bb.312:
	s_or_b32 exec_lo, exec_lo, s14
	s_delay_alu instid0(SALU_CYCLE_1)
	s_and_b32 s12, s12, exec_lo
	s_or_saveexec_b32 s13, s13
	v_mov_b32_e32 v10, 0x7f800001
	s_xor_b32 exec_lo, exec_lo, s13
	s_cbranch_execz .LBB302_302
.LBB302_313:
	v_cmp_ne_u16_e32 vcc_lo, 0, v3
	v_mov_b32_e32 v10, 0
	s_and_not1_b32 s12, s12, exec_lo
	s_and_b32 s14, vcc_lo, exec_lo
	s_delay_alu instid0(SALU_CYCLE_1)
	s_or_b32 s12, s12, s14
	s_or_b32 exec_lo, exec_lo, s13
	s_and_saveexec_b32 s13, s12
	s_cbranch_execnz .LBB302_303
	s_branch .LBB302_304
.LBB302_314:
	s_mov_b32 s13, 0
	s_mov_b32 s11, 0x7f800001
	s_cbranch_execz .LBB302_316
; %bb.315:
	s_and_b32 s11, 0xffff, s12
	s_delay_alu instid0(SALU_CYCLE_1)
	s_cmp_lg_u32 s11, 0
	s_mov_b32 s11, 0
	s_cselect_b32 s13, -1, 0
.LBB302_316:
	s_delay_alu instid0(SALU_CYCLE_1)
	s_and_not1_b32 vcc_lo, exec_lo, s13
	s_cbranch_vccnz .LBB302_318
; %bb.317:
	s_mov_b32 s11, s3
.LBB302_318:
	s_mov_b32 s12, 0
	s_mov_b32 s13, exec_lo
	v_cmpx_lt_i16_e32 0x7f, v10
	s_xor_b32 s13, exec_lo, s13
	s_cbranch_execnz .LBB302_328
; %bb.319:
	s_or_saveexec_b32 s13, s13
	v_mov_b32_e32 v11, 0x7f800001
	s_xor_b32 exec_lo, exec_lo, s13
	s_cbranch_execnz .LBB302_331
.LBB302_320:
	s_or_b32 exec_lo, exec_lo, s13
	s_and_saveexec_b32 s13, s12
	s_cbranch_execz .LBB302_322
.LBB302_321:
	v_and_b32_e32 v10, 0xffff, v10
	s_delay_alu instid0(VALU_DEP_1) | instskip(SKIP_1) | instid1(VALU_DEP_2)
	v_and_b32_e32 v11, 7, v10
	v_bfe_u32 v14, v10, 3, 4
	v_clz_i32_u32_e32 v12, v11
	s_delay_alu instid0(VALU_DEP_2) | instskip(NEXT) | instid1(VALU_DEP_2)
	v_cmp_eq_u32_e32 vcc_lo, 0, v14
	v_min_u32_e32 v12, 32, v12
	s_delay_alu instid0(VALU_DEP_1) | instskip(NEXT) | instid1(VALU_DEP_1)
	v_subrev_nc_u32_e32 v13, 28, v12
	v_dual_lshlrev_b32 v10, v13, v10 :: v_dual_sub_nc_u32 v12, 29, v12
	s_delay_alu instid0(VALU_DEP_1) | instskip(NEXT) | instid1(VALU_DEP_1)
	v_dual_lshlrev_b32 v9, 16, v9 :: v_dual_bitop2_b32 v10, 7, v10 bitop3:0x40
	v_dual_cndmask_b32 v12, v14, v12, vcc_lo :: v_dual_cndmask_b32 v10, v11, v10, vcc_lo
	s_delay_alu instid0(VALU_DEP_2) | instskip(NEXT) | instid1(VALU_DEP_2)
	v_and_b32_e32 v9, 0x80000000, v9
	v_lshl_add_u32 v11, v12, 23, 0x3b800000
	s_delay_alu instid0(VALU_DEP_3) | instskip(NEXT) | instid1(VALU_DEP_1)
	v_lshlrev_b32_e32 v10, 20, v10
	v_or3_b32 v11, v9, v11, v10
.LBB302_322:
	s_or_b32 exec_lo, exec_lo, s13
	s_delay_alu instid0(VALU_DEP_1)
	v_cmp_eq_f32_e64 s11, s11, v11
	v_cmp_ne_u32_e32 vcc_lo, 1, v3
	s_cbranch_vccz .LBB302_37
.LBB302_323:
                                        ; implicit-def: $sgpr12
	s_cbranch_execz .LBB302_58
; %bb.324:
	s_and_b32 s13, s10, 0xff
	s_delay_alu instid0(SALU_CYCLE_1)
	s_cmp_lt_i32 s13, 0x80
	s_cbranch_scc1 .LBB302_332
; %bb.325:
	s_and_b32 s12, 0xffff, s13
	s_mov_b32 s14, -1
	s_cmp_eq_u32 s12, 0x80
	s_cbranch_scc0 .LBB302_327
; %bb.326:
	s_mov_b32 s14, 0
.LBB302_327:
	s_mov_b32 s12, 0x7f800001
	s_branch .LBB302_334
.LBB302_328:
	s_mov_b32 s12, -1
	s_mov_b32 s14, exec_lo
	v_cmpx_eq_u16_e32 0x80, v10
; %bb.329:
	s_xor_b32 s12, exec_lo, -1
; %bb.330:
	s_or_b32 exec_lo, exec_lo, s14
	s_delay_alu instid0(SALU_CYCLE_1)
	s_and_b32 s12, s12, exec_lo
	s_or_saveexec_b32 s13, s13
	v_mov_b32_e32 v11, 0x7f800001
	s_xor_b32 exec_lo, exec_lo, s13
	s_cbranch_execz .LBB302_320
.LBB302_331:
	v_cmp_ne_u16_e32 vcc_lo, 0, v10
	v_mov_b32_e32 v11, 0
	s_and_not1_b32 s12, s12, exec_lo
	s_and_b32 s14, vcc_lo, exec_lo
	s_delay_alu instid0(SALU_CYCLE_1)
	s_or_b32 s12, s12, s14
	s_or_b32 exec_lo, exec_lo, s13
	s_and_saveexec_b32 s13, s12
	s_cbranch_execnz .LBB302_321
	s_branch .LBB302_322
.LBB302_332:
	s_mov_b32 s14, 0
	s_mov_b32 s12, 0x7f800001
	s_cbranch_execz .LBB302_334
; %bb.333:
	s_and_b32 s12, 0xffff, s13
	s_delay_alu instid0(SALU_CYCLE_1)
	s_cmp_lg_u32 s12, 0
	s_mov_b32 s12, 0
	s_cselect_b32 s14, -1, 0
.LBB302_334:
	s_delay_alu instid0(SALU_CYCLE_1)
	s_and_not1_b32 vcc_lo, exec_lo, s14
	s_cbranch_vccnz .LBB302_336
; %bb.335:
	s_mov_b32 s12, s3
.LBB302_336:
	s_wait_loadcnt 0x6
	v_and_b32_e32 v9, 0xff, v8
	s_mov_b32 s13, 0
	s_mov_b32 s14, exec_lo
	s_delay_alu instid0(VALU_DEP_1)
	v_cmpx_lt_i16_e32 0x7f, v9
	s_xor_b32 s14, exec_lo, s14
	s_cbranch_execnz .LBB302_346
; %bb.337:
	s_or_saveexec_b32 s14, s14
	v_mov_b32_e32 v10, 0x7f800001
	s_xor_b32 exec_lo, exec_lo, s14
	s_cbranch_execnz .LBB302_349
.LBB302_338:
	s_or_b32 exec_lo, exec_lo, s14
	s_and_saveexec_b32 s14, s13
	s_cbranch_execz .LBB302_340
.LBB302_339:
	v_and_b32_e32 v9, 0xffff, v9
	s_delay_alu instid0(VALU_DEP_1) | instskip(SKIP_1) | instid1(VALU_DEP_2)
	v_and_b32_e32 v10, 7, v9
	v_bfe_u32 v13, v9, 3, 4
	v_clz_i32_u32_e32 v11, v10
	s_delay_alu instid0(VALU_DEP_2) | instskip(NEXT) | instid1(VALU_DEP_2)
	v_cmp_eq_u32_e32 vcc_lo, 0, v13
	v_min_u32_e32 v11, 32, v11
	s_delay_alu instid0(VALU_DEP_1) | instskip(NEXT) | instid1(VALU_DEP_1)
	v_subrev_nc_u32_e32 v12, 28, v11
	v_dual_lshlrev_b32 v9, v12, v9 :: v_dual_sub_nc_u32 v11, 29, v11
	s_delay_alu instid0(VALU_DEP_1) | instskip(NEXT) | instid1(VALU_DEP_1)
	v_dual_lshlrev_b32 v12, 24, v8 :: v_dual_bitop2_b32 v9, 7, v9 bitop3:0x40
	v_dual_cndmask_b32 v11, v13, v11, vcc_lo :: v_dual_cndmask_b32 v9, v10, v9, vcc_lo
	s_delay_alu instid0(VALU_DEP_2) | instskip(NEXT) | instid1(VALU_DEP_2)
	v_and_b32_e32 v10, 0x80000000, v12
	v_lshl_add_u32 v11, v11, 23, 0x3b800000
	s_delay_alu instid0(VALU_DEP_3) | instskip(NEXT) | instid1(VALU_DEP_1)
	v_lshlrev_b32_e32 v9, 20, v9
	v_or3_b32 v10, v10, v11, v9
.LBB302_340:
	s_or_b32 exec_lo, exec_lo, s14
	s_delay_alu instid0(VALU_DEP_1)
	v_cmp_eq_f32_e64 s12, s12, v10
	v_cmp_ne_u32_e32 vcc_lo, 1, v3
	v_lshrrev_b16 v9, 8, v8
	s_cbranch_vccz .LBB302_59
.LBB302_341:
                                        ; implicit-def: $sgpr13
	s_cbranch_execz .LBB302_76
; %bb.342:
	s_and_b32 s14, s10, 0xff
	s_delay_alu instid0(SALU_CYCLE_1)
	s_cmp_lt_i32 s14, 0x80
	s_cbranch_scc1 .LBB302_350
; %bb.343:
	s_and_b32 s13, 0xffff, s14
	s_mov_b32 s15, -1
	s_cmp_eq_u32 s13, 0x80
	s_cbranch_scc0 .LBB302_345
; %bb.344:
	s_mov_b32 s15, 0
.LBB302_345:
	s_mov_b32 s13, 0x7f800001
	s_branch .LBB302_352
.LBB302_346:
	s_mov_b32 s13, -1
	s_mov_b32 s15, exec_lo
	v_cmpx_eq_u16_e32 0x80, v9
; %bb.347:
	s_xor_b32 s13, exec_lo, -1
; %bb.348:
	s_or_b32 exec_lo, exec_lo, s15
	s_delay_alu instid0(SALU_CYCLE_1)
	s_and_b32 s13, s13, exec_lo
	s_or_saveexec_b32 s14, s14
	v_mov_b32_e32 v10, 0x7f800001
	s_xor_b32 exec_lo, exec_lo, s14
	s_cbranch_execz .LBB302_338
.LBB302_349:
	v_cmp_ne_u16_e32 vcc_lo, 0, v9
	v_mov_b32_e32 v10, 0
	s_and_not1_b32 s13, s13, exec_lo
	s_and_b32 s15, vcc_lo, exec_lo
	s_delay_alu instid0(SALU_CYCLE_1)
	s_or_b32 s13, s13, s15
	s_or_b32 exec_lo, exec_lo, s14
	s_and_saveexec_b32 s14, s13
	s_cbranch_execnz .LBB302_339
	s_branch .LBB302_340
.LBB302_350:
	s_mov_b32 s15, 0
	s_mov_b32 s13, 0x7f800001
	s_cbranch_execz .LBB302_352
; %bb.351:
	s_and_b32 s13, 0xffff, s14
	s_delay_alu instid0(SALU_CYCLE_1)
	s_cmp_lg_u32 s13, 0
	s_mov_b32 s13, 0
	s_cselect_b32 s15, -1, 0
.LBB302_352:
	s_delay_alu instid0(SALU_CYCLE_1)
	s_and_not1_b32 vcc_lo, exec_lo, s15
	s_cbranch_vccnz .LBB302_354
; %bb.353:
	s_mov_b32 s13, s3
.LBB302_354:
	s_mov_b32 s14, 0
	s_mov_b32 s15, exec_lo
	v_cmpx_lt_i16_e32 0x7f, v9
	s_xor_b32 s15, exec_lo, s15
	s_cbranch_execnz .LBB302_364
; %bb.355:
	s_or_saveexec_b32 s15, s15
	v_mov_b32_e32 v10, 0x7f800001
	s_xor_b32 exec_lo, exec_lo, s15
	s_cbranch_execnz .LBB302_367
.LBB302_356:
	s_or_b32 exec_lo, exec_lo, s15
	s_and_saveexec_b32 s15, s14
	s_cbranch_execz .LBB302_358
.LBB302_357:
	v_and_b32_e32 v9, 0xffff, v9
	s_delay_alu instid0(VALU_DEP_1) | instskip(SKIP_1) | instid1(VALU_DEP_2)
	v_and_b32_e32 v10, 7, v9
	v_bfe_u32 v13, v9, 3, 4
	v_clz_i32_u32_e32 v11, v10
	s_delay_alu instid0(VALU_DEP_2) | instskip(NEXT) | instid1(VALU_DEP_2)
	v_cmp_eq_u32_e32 vcc_lo, 0, v13
	v_min_u32_e32 v11, 32, v11
	s_delay_alu instid0(VALU_DEP_1) | instskip(NEXT) | instid1(VALU_DEP_1)
	v_subrev_nc_u32_e32 v12, 28, v11
	v_dual_lshlrev_b32 v9, v12, v9 :: v_dual_sub_nc_u32 v11, 29, v11
	s_delay_alu instid0(VALU_DEP_1) | instskip(NEXT) | instid1(VALU_DEP_1)
	v_dual_lshlrev_b32 v8, 16, v8 :: v_dual_bitop2_b32 v9, 7, v9 bitop3:0x40
	v_dual_cndmask_b32 v11, v13, v11, vcc_lo :: v_dual_cndmask_b32 v9, v10, v9, vcc_lo
	s_delay_alu instid0(VALU_DEP_2) | instskip(NEXT) | instid1(VALU_DEP_2)
	v_and_b32_e32 v8, 0x80000000, v8
	v_lshl_add_u32 v10, v11, 23, 0x3b800000
	s_delay_alu instid0(VALU_DEP_3) | instskip(NEXT) | instid1(VALU_DEP_1)
	v_lshlrev_b32_e32 v9, 20, v9
	v_or3_b32 v10, v8, v10, v9
.LBB302_358:
	s_or_b32 exec_lo, exec_lo, s15
	s_delay_alu instid0(VALU_DEP_1)
	v_cmp_eq_f32_e64 s13, s13, v10
	v_cmp_ne_u32_e32 vcc_lo, 1, v3
	s_cbranch_vccz .LBB302_77
.LBB302_359:
                                        ; implicit-def: $sgpr14
	s_cbranch_execz .LBB302_94
; %bb.360:
	s_and_b32 s15, s10, 0xff
	s_delay_alu instid0(SALU_CYCLE_1)
	s_cmp_lt_i32 s15, 0x80
	s_cbranch_scc1 .LBB302_368
; %bb.361:
	s_and_b32 s14, 0xffff, s15
	s_mov_b32 s16, -1
	s_cmp_eq_u32 s14, 0x80
	s_cbranch_scc0 .LBB302_363
; %bb.362:
	s_mov_b32 s16, 0
.LBB302_363:
	s_mov_b32 s14, 0x7f800001
	s_branch .LBB302_370
.LBB302_364:
	s_mov_b32 s14, -1
	s_mov_b32 s16, exec_lo
	v_cmpx_eq_u16_e32 0x80, v9
; %bb.365:
	s_xor_b32 s14, exec_lo, -1
; %bb.366:
	s_or_b32 exec_lo, exec_lo, s16
	s_delay_alu instid0(SALU_CYCLE_1)
	s_and_b32 s14, s14, exec_lo
	s_or_saveexec_b32 s15, s15
	v_mov_b32_e32 v10, 0x7f800001
	s_xor_b32 exec_lo, exec_lo, s15
	s_cbranch_execz .LBB302_356
.LBB302_367:
	v_cmp_ne_u16_e32 vcc_lo, 0, v9
	v_mov_b32_e32 v10, 0
	s_and_not1_b32 s14, s14, exec_lo
	s_and_b32 s16, vcc_lo, exec_lo
	s_delay_alu instid0(SALU_CYCLE_1)
	s_or_b32 s14, s14, s16
	s_or_b32 exec_lo, exec_lo, s15
	s_and_saveexec_b32 s15, s14
	s_cbranch_execnz .LBB302_357
	s_branch .LBB302_358
.LBB302_368:
	s_mov_b32 s16, 0
	s_mov_b32 s14, 0x7f800001
	s_cbranch_execz .LBB302_370
; %bb.369:
	s_and_b32 s14, 0xffff, s15
	s_delay_alu instid0(SALU_CYCLE_1)
	s_cmp_lg_u32 s14, 0
	s_mov_b32 s14, 0
	s_cselect_b32 s16, -1, 0
.LBB302_370:
	s_delay_alu instid0(SALU_CYCLE_1)
	s_and_not1_b32 vcc_lo, exec_lo, s16
	s_cbranch_vccnz .LBB302_372
; %bb.371:
	s_mov_b32 s14, s3
.LBB302_372:
	s_wait_loadcnt 0x5
	v_and_b32_e32 v8, 0xff, v7
	s_mov_b32 s15, 0
	s_mov_b32 s16, exec_lo
	s_delay_alu instid0(VALU_DEP_1)
	v_cmpx_lt_i16_e32 0x7f, v8
	s_xor_b32 s16, exec_lo, s16
	s_cbranch_execnz .LBB302_382
; %bb.373:
	s_or_saveexec_b32 s16, s16
	v_mov_b32_e32 v9, 0x7f800001
	s_xor_b32 exec_lo, exec_lo, s16
	s_cbranch_execnz .LBB302_385
.LBB302_374:
	s_or_b32 exec_lo, exec_lo, s16
	s_and_saveexec_b32 s16, s15
	s_cbranch_execz .LBB302_376
.LBB302_375:
	v_and_b32_e32 v8, 0xffff, v8
	s_delay_alu instid0(VALU_DEP_1) | instskip(SKIP_1) | instid1(VALU_DEP_2)
	v_and_b32_e32 v9, 7, v8
	v_bfe_u32 v12, v8, 3, 4
	v_clz_i32_u32_e32 v10, v9
	s_delay_alu instid0(VALU_DEP_2) | instskip(NEXT) | instid1(VALU_DEP_2)
	v_cmp_eq_u32_e32 vcc_lo, 0, v12
	v_min_u32_e32 v10, 32, v10
	s_delay_alu instid0(VALU_DEP_1) | instskip(NEXT) | instid1(VALU_DEP_1)
	v_subrev_nc_u32_e32 v11, 28, v10
	v_dual_lshlrev_b32 v8, v11, v8 :: v_dual_sub_nc_u32 v10, 29, v10
	s_delay_alu instid0(VALU_DEP_1) | instskip(NEXT) | instid1(VALU_DEP_1)
	v_dual_lshlrev_b32 v11, 24, v7 :: v_dual_bitop2_b32 v8, 7, v8 bitop3:0x40
	v_dual_cndmask_b32 v10, v12, v10, vcc_lo :: v_dual_cndmask_b32 v8, v9, v8, vcc_lo
	s_delay_alu instid0(VALU_DEP_2) | instskip(NEXT) | instid1(VALU_DEP_2)
	v_and_b32_e32 v9, 0x80000000, v11
	v_lshl_add_u32 v10, v10, 23, 0x3b800000
	s_delay_alu instid0(VALU_DEP_3) | instskip(NEXT) | instid1(VALU_DEP_1)
	v_lshlrev_b32_e32 v8, 20, v8
	v_or3_b32 v9, v9, v10, v8
.LBB302_376:
	s_or_b32 exec_lo, exec_lo, s16
	s_delay_alu instid0(VALU_DEP_1)
	v_cmp_eq_f32_e64 s14, s14, v9
	v_cmp_ne_u32_e32 vcc_lo, 1, v3
	v_lshrrev_b16 v8, 8, v7
	s_cbranch_vccz .LBB302_95
.LBB302_377:
                                        ; implicit-def: $sgpr15
	s_cbranch_execz .LBB302_112
; %bb.378:
	s_and_b32 s16, s10, 0xff
	s_delay_alu instid0(SALU_CYCLE_1)
	s_cmp_lt_i32 s16, 0x80
	s_cbranch_scc1 .LBB302_386
; %bb.379:
	s_and_b32 s15, 0xffff, s16
	s_mov_b32 s17, -1
	s_cmp_eq_u32 s15, 0x80
	s_cbranch_scc0 .LBB302_381
; %bb.380:
	s_mov_b32 s17, 0
.LBB302_381:
	s_mov_b32 s15, 0x7f800001
	s_branch .LBB302_388
.LBB302_382:
	s_mov_b32 s15, -1
	s_mov_b32 s17, exec_lo
	v_cmpx_eq_u16_e32 0x80, v8
; %bb.383:
	s_xor_b32 s15, exec_lo, -1
; %bb.384:
	s_or_b32 exec_lo, exec_lo, s17
	s_delay_alu instid0(SALU_CYCLE_1)
	s_and_b32 s15, s15, exec_lo
	s_or_saveexec_b32 s16, s16
	v_mov_b32_e32 v9, 0x7f800001
	s_xor_b32 exec_lo, exec_lo, s16
	s_cbranch_execz .LBB302_374
.LBB302_385:
	v_cmp_ne_u16_e32 vcc_lo, 0, v8
	v_mov_b32_e32 v9, 0
	s_and_not1_b32 s15, s15, exec_lo
	s_and_b32 s17, vcc_lo, exec_lo
	s_delay_alu instid0(SALU_CYCLE_1)
	s_or_b32 s15, s15, s17
	s_or_b32 exec_lo, exec_lo, s16
	s_and_saveexec_b32 s16, s15
	s_cbranch_execnz .LBB302_375
	s_branch .LBB302_376
.LBB302_386:
	s_mov_b32 s17, 0
	s_mov_b32 s15, 0x7f800001
	s_cbranch_execz .LBB302_388
; %bb.387:
	s_and_b32 s15, 0xffff, s16
	s_delay_alu instid0(SALU_CYCLE_1)
	s_cmp_lg_u32 s15, 0
	s_mov_b32 s15, 0
	s_cselect_b32 s17, -1, 0
.LBB302_388:
	s_delay_alu instid0(SALU_CYCLE_1)
	s_and_not1_b32 vcc_lo, exec_lo, s17
	s_cbranch_vccnz .LBB302_390
; %bb.389:
	s_mov_b32 s15, s3
.LBB302_390:
	s_mov_b32 s16, 0
	s_mov_b32 s17, exec_lo
	v_cmpx_lt_i16_e32 0x7f, v8
	s_xor_b32 s17, exec_lo, s17
	s_cbranch_execnz .LBB302_400
; %bb.391:
	s_or_saveexec_b32 s17, s17
	v_mov_b32_e32 v9, 0x7f800001
	s_xor_b32 exec_lo, exec_lo, s17
	s_cbranch_execnz .LBB302_403
.LBB302_392:
	s_or_b32 exec_lo, exec_lo, s17
	s_and_saveexec_b32 s17, s16
	s_cbranch_execz .LBB302_394
.LBB302_393:
	v_and_b32_e32 v8, 0xffff, v8
	s_delay_alu instid0(VALU_DEP_1) | instskip(SKIP_1) | instid1(VALU_DEP_2)
	v_and_b32_e32 v9, 7, v8
	v_bfe_u32 v12, v8, 3, 4
	v_clz_i32_u32_e32 v10, v9
	s_delay_alu instid0(VALU_DEP_2) | instskip(NEXT) | instid1(VALU_DEP_2)
	v_cmp_eq_u32_e32 vcc_lo, 0, v12
	v_min_u32_e32 v10, 32, v10
	s_delay_alu instid0(VALU_DEP_1) | instskip(NEXT) | instid1(VALU_DEP_1)
	v_subrev_nc_u32_e32 v11, 28, v10
	v_dual_lshlrev_b32 v8, v11, v8 :: v_dual_sub_nc_u32 v10, 29, v10
	s_delay_alu instid0(VALU_DEP_1) | instskip(NEXT) | instid1(VALU_DEP_1)
	v_dual_lshlrev_b32 v7, 16, v7 :: v_dual_bitop2_b32 v8, 7, v8 bitop3:0x40
	v_dual_cndmask_b32 v10, v12, v10, vcc_lo :: v_dual_cndmask_b32 v8, v9, v8, vcc_lo
	s_delay_alu instid0(VALU_DEP_2) | instskip(NEXT) | instid1(VALU_DEP_2)
	v_and_b32_e32 v7, 0x80000000, v7
	v_lshl_add_u32 v9, v10, 23, 0x3b800000
	s_delay_alu instid0(VALU_DEP_3) | instskip(NEXT) | instid1(VALU_DEP_1)
	v_lshlrev_b32_e32 v8, 20, v8
	v_or3_b32 v9, v7, v9, v8
.LBB302_394:
	s_or_b32 exec_lo, exec_lo, s17
	s_delay_alu instid0(VALU_DEP_1)
	v_cmp_eq_f32_e64 s15, s15, v9
	v_cmp_ne_u32_e32 vcc_lo, 1, v3
	s_cbranch_vccz .LBB302_113
.LBB302_395:
                                        ; implicit-def: $sgpr16
	s_cbranch_execz .LBB302_130
; %bb.396:
	s_and_b32 s17, s10, 0xff
	s_delay_alu instid0(SALU_CYCLE_1)
	s_cmp_lt_i32 s17, 0x80
	s_cbranch_scc1 .LBB302_404
; %bb.397:
	s_and_b32 s16, 0xffff, s17
	s_mov_b32 s18, -1
	s_cmp_eq_u32 s16, 0x80
	s_cbranch_scc0 .LBB302_399
; %bb.398:
	s_mov_b32 s18, 0
.LBB302_399:
	s_mov_b32 s16, 0x7f800001
	s_branch .LBB302_406
.LBB302_400:
	s_mov_b32 s16, -1
	s_mov_b32 s18, exec_lo
	v_cmpx_eq_u16_e32 0x80, v8
; %bb.401:
	s_xor_b32 s16, exec_lo, -1
; %bb.402:
	s_or_b32 exec_lo, exec_lo, s18
	s_delay_alu instid0(SALU_CYCLE_1)
	s_and_b32 s16, s16, exec_lo
	s_or_saveexec_b32 s17, s17
	v_mov_b32_e32 v9, 0x7f800001
	s_xor_b32 exec_lo, exec_lo, s17
	s_cbranch_execz .LBB302_392
.LBB302_403:
	v_cmp_ne_u16_e32 vcc_lo, 0, v8
	v_mov_b32_e32 v9, 0
	s_and_not1_b32 s16, s16, exec_lo
	s_and_b32 s18, vcc_lo, exec_lo
	s_delay_alu instid0(SALU_CYCLE_1)
	s_or_b32 s16, s16, s18
	s_or_b32 exec_lo, exec_lo, s17
	s_and_saveexec_b32 s17, s16
	s_cbranch_execnz .LBB302_393
	s_branch .LBB302_394
.LBB302_404:
	s_mov_b32 s18, 0
	s_mov_b32 s16, 0x7f800001
	s_cbranch_execz .LBB302_406
; %bb.405:
	s_and_b32 s16, 0xffff, s17
	s_delay_alu instid0(SALU_CYCLE_1)
	s_cmp_lg_u32 s16, 0
	s_mov_b32 s16, 0
	s_cselect_b32 s18, -1, 0
.LBB302_406:
	s_delay_alu instid0(SALU_CYCLE_1)
	s_and_not1_b32 vcc_lo, exec_lo, s18
	s_cbranch_vccnz .LBB302_408
; %bb.407:
	s_mov_b32 s16, s3
.LBB302_408:
	s_wait_loadcnt 0x4
	v_and_b32_e32 v7, 0xff, v6
	s_mov_b32 s17, 0
	s_mov_b32 s18, exec_lo
	s_delay_alu instid0(VALU_DEP_1)
	v_cmpx_lt_i16_e32 0x7f, v7
	s_xor_b32 s18, exec_lo, s18
	s_cbranch_execnz .LBB302_418
; %bb.409:
	s_or_saveexec_b32 s18, s18
	v_mov_b32_e32 v8, 0x7f800001
	s_xor_b32 exec_lo, exec_lo, s18
	s_cbranch_execnz .LBB302_421
.LBB302_410:
	s_or_b32 exec_lo, exec_lo, s18
	s_and_saveexec_b32 s18, s17
	s_cbranch_execz .LBB302_412
.LBB302_411:
	v_and_b32_e32 v7, 0xffff, v7
	s_delay_alu instid0(VALU_DEP_1) | instskip(SKIP_1) | instid1(VALU_DEP_2)
	v_and_b32_e32 v8, 7, v7
	v_bfe_u32 v11, v7, 3, 4
	v_clz_i32_u32_e32 v9, v8
	s_delay_alu instid0(VALU_DEP_2) | instskip(NEXT) | instid1(VALU_DEP_2)
	v_cmp_eq_u32_e32 vcc_lo, 0, v11
	v_min_u32_e32 v9, 32, v9
	s_delay_alu instid0(VALU_DEP_1) | instskip(NEXT) | instid1(VALU_DEP_1)
	v_subrev_nc_u32_e32 v10, 28, v9
	v_dual_lshlrev_b32 v7, v10, v7 :: v_dual_sub_nc_u32 v9, 29, v9
	s_delay_alu instid0(VALU_DEP_1) | instskip(NEXT) | instid1(VALU_DEP_1)
	v_dual_lshlrev_b32 v10, 24, v6 :: v_dual_bitop2_b32 v7, 7, v7 bitop3:0x40
	v_dual_cndmask_b32 v9, v11, v9, vcc_lo :: v_dual_cndmask_b32 v7, v8, v7, vcc_lo
	s_delay_alu instid0(VALU_DEP_2) | instskip(NEXT) | instid1(VALU_DEP_2)
	v_and_b32_e32 v8, 0x80000000, v10
	v_lshl_add_u32 v9, v9, 23, 0x3b800000
	s_delay_alu instid0(VALU_DEP_3) | instskip(NEXT) | instid1(VALU_DEP_1)
	v_lshlrev_b32_e32 v7, 20, v7
	v_or3_b32 v8, v8, v9, v7
.LBB302_412:
	s_or_b32 exec_lo, exec_lo, s18
	s_delay_alu instid0(VALU_DEP_1)
	v_cmp_eq_f32_e64 s16, s16, v8
	v_cmp_ne_u32_e32 vcc_lo, 1, v3
	v_lshrrev_b16 v7, 8, v6
	s_cbranch_vccz .LBB302_131
.LBB302_413:
                                        ; implicit-def: $sgpr17
	s_cbranch_execz .LBB302_148
; %bb.414:
	s_and_b32 s18, s10, 0xff
	s_delay_alu instid0(SALU_CYCLE_1)
	s_cmp_lt_i32 s18, 0x80
	s_cbranch_scc1 .LBB302_422
; %bb.415:
	s_and_b32 s17, 0xffff, s18
	s_mov_b32 s19, -1
	s_cmp_eq_u32 s17, 0x80
	s_cbranch_scc0 .LBB302_417
; %bb.416:
	s_mov_b32 s19, 0
.LBB302_417:
	s_mov_b32 s17, 0x7f800001
	s_branch .LBB302_424
.LBB302_418:
	s_mov_b32 s17, -1
	s_mov_b32 s19, exec_lo
	v_cmpx_eq_u16_e32 0x80, v7
; %bb.419:
	s_xor_b32 s17, exec_lo, -1
; %bb.420:
	s_or_b32 exec_lo, exec_lo, s19
	s_delay_alu instid0(SALU_CYCLE_1)
	s_and_b32 s17, s17, exec_lo
	s_or_saveexec_b32 s18, s18
	v_mov_b32_e32 v8, 0x7f800001
	s_xor_b32 exec_lo, exec_lo, s18
	s_cbranch_execz .LBB302_410
.LBB302_421:
	v_cmp_ne_u16_e32 vcc_lo, 0, v7
	v_mov_b32_e32 v8, 0
	s_and_not1_b32 s17, s17, exec_lo
	s_and_b32 s19, vcc_lo, exec_lo
	s_delay_alu instid0(SALU_CYCLE_1)
	s_or_b32 s17, s17, s19
	s_or_b32 exec_lo, exec_lo, s18
	s_and_saveexec_b32 s18, s17
	s_cbranch_execnz .LBB302_411
	s_branch .LBB302_412
.LBB302_422:
	s_mov_b32 s19, 0
	s_mov_b32 s17, 0x7f800001
	s_cbranch_execz .LBB302_424
; %bb.423:
	s_and_b32 s17, 0xffff, s18
	s_delay_alu instid0(SALU_CYCLE_1)
	s_cmp_lg_u32 s17, 0
	s_mov_b32 s17, 0
	s_cselect_b32 s19, -1, 0
.LBB302_424:
	s_delay_alu instid0(SALU_CYCLE_1)
	s_and_not1_b32 vcc_lo, exec_lo, s19
	s_cbranch_vccnz .LBB302_426
; %bb.425:
	s_mov_b32 s17, s3
.LBB302_426:
	s_mov_b32 s18, 0
	s_mov_b32 s19, exec_lo
	v_cmpx_lt_i16_e32 0x7f, v7
	s_xor_b32 s19, exec_lo, s19
	s_cbranch_execnz .LBB302_436
; %bb.427:
	s_or_saveexec_b32 s19, s19
	v_mov_b32_e32 v8, 0x7f800001
	s_xor_b32 exec_lo, exec_lo, s19
	s_cbranch_execnz .LBB302_439
.LBB302_428:
	s_or_b32 exec_lo, exec_lo, s19
	s_and_saveexec_b32 s19, s18
	s_cbranch_execz .LBB302_430
.LBB302_429:
	v_and_b32_e32 v7, 0xffff, v7
	s_delay_alu instid0(VALU_DEP_1) | instskip(SKIP_1) | instid1(VALU_DEP_2)
	v_and_b32_e32 v8, 7, v7
	v_bfe_u32 v11, v7, 3, 4
	v_clz_i32_u32_e32 v9, v8
	s_delay_alu instid0(VALU_DEP_2) | instskip(NEXT) | instid1(VALU_DEP_2)
	v_cmp_eq_u32_e32 vcc_lo, 0, v11
	v_min_u32_e32 v9, 32, v9
	s_delay_alu instid0(VALU_DEP_1) | instskip(NEXT) | instid1(VALU_DEP_1)
	v_subrev_nc_u32_e32 v10, 28, v9
	v_dual_lshlrev_b32 v7, v10, v7 :: v_dual_sub_nc_u32 v9, 29, v9
	s_delay_alu instid0(VALU_DEP_1) | instskip(NEXT) | instid1(VALU_DEP_1)
	v_dual_lshlrev_b32 v6, 16, v6 :: v_dual_bitop2_b32 v7, 7, v7 bitop3:0x40
	v_dual_cndmask_b32 v9, v11, v9, vcc_lo :: v_dual_cndmask_b32 v7, v8, v7, vcc_lo
	s_delay_alu instid0(VALU_DEP_2) | instskip(NEXT) | instid1(VALU_DEP_2)
	v_and_b32_e32 v6, 0x80000000, v6
	v_lshl_add_u32 v8, v9, 23, 0x3b800000
	s_delay_alu instid0(VALU_DEP_3) | instskip(NEXT) | instid1(VALU_DEP_1)
	v_lshlrev_b32_e32 v7, 20, v7
	v_or3_b32 v8, v6, v8, v7
.LBB302_430:
	s_or_b32 exec_lo, exec_lo, s19
	s_delay_alu instid0(VALU_DEP_1)
	v_cmp_eq_f32_e64 s17, s17, v8
	v_cmp_ne_u32_e32 vcc_lo, 1, v3
	s_cbranch_vccz .LBB302_149
.LBB302_431:
                                        ; implicit-def: $sgpr18
	s_cbranch_execz .LBB302_166
; %bb.432:
	s_and_b32 s19, s10, 0xff
	s_delay_alu instid0(SALU_CYCLE_1)
	s_cmp_lt_i32 s19, 0x80
	s_cbranch_scc1 .LBB302_440
; %bb.433:
	s_and_b32 s18, 0xffff, s19
	s_mov_b32 s20, -1
	s_cmp_eq_u32 s18, 0x80
	s_cbranch_scc0 .LBB302_435
; %bb.434:
	s_mov_b32 s20, 0
.LBB302_435:
	s_mov_b32 s18, 0x7f800001
	s_branch .LBB302_442
.LBB302_436:
	s_mov_b32 s18, -1
	s_mov_b32 s20, exec_lo
	v_cmpx_eq_u16_e32 0x80, v7
; %bb.437:
	s_xor_b32 s18, exec_lo, -1
; %bb.438:
	s_or_b32 exec_lo, exec_lo, s20
	s_delay_alu instid0(SALU_CYCLE_1)
	s_and_b32 s18, s18, exec_lo
	s_or_saveexec_b32 s19, s19
	v_mov_b32_e32 v8, 0x7f800001
	s_xor_b32 exec_lo, exec_lo, s19
	s_cbranch_execz .LBB302_428
.LBB302_439:
	v_cmp_ne_u16_e32 vcc_lo, 0, v7
	v_mov_b32_e32 v8, 0
	s_and_not1_b32 s18, s18, exec_lo
	s_and_b32 s20, vcc_lo, exec_lo
	s_delay_alu instid0(SALU_CYCLE_1)
	s_or_b32 s18, s18, s20
	s_or_b32 exec_lo, exec_lo, s19
	s_and_saveexec_b32 s19, s18
	s_cbranch_execnz .LBB302_429
	s_branch .LBB302_430
.LBB302_440:
	s_mov_b32 s20, 0
	s_mov_b32 s18, 0x7f800001
	s_cbranch_execz .LBB302_442
; %bb.441:
	s_and_b32 s18, 0xffff, s19
	s_delay_alu instid0(SALU_CYCLE_1)
	s_cmp_lg_u32 s18, 0
	s_mov_b32 s18, 0
	s_cselect_b32 s20, -1, 0
.LBB302_442:
	s_delay_alu instid0(SALU_CYCLE_1)
	s_and_not1_b32 vcc_lo, exec_lo, s20
	s_cbranch_vccnz .LBB302_444
; %bb.443:
	s_mov_b32 s18, s3
.LBB302_444:
	s_wait_loadcnt 0x3
	v_and_b32_e32 v6, 0xff, v5
	s_mov_b32 s19, 0
	s_mov_b32 s20, exec_lo
	s_delay_alu instid0(VALU_DEP_1)
	v_cmpx_lt_i16_e32 0x7f, v6
	s_xor_b32 s20, exec_lo, s20
	s_cbranch_execnz .LBB302_454
; %bb.445:
	s_or_saveexec_b32 s20, s20
	v_mov_b32_e32 v7, 0x7f800001
	s_xor_b32 exec_lo, exec_lo, s20
	s_cbranch_execnz .LBB302_457
.LBB302_446:
	s_or_b32 exec_lo, exec_lo, s20
	s_and_saveexec_b32 s20, s19
	s_cbranch_execz .LBB302_448
.LBB302_447:
	v_and_b32_e32 v6, 0xffff, v6
	s_delay_alu instid0(VALU_DEP_1) | instskip(SKIP_1) | instid1(VALU_DEP_2)
	v_and_b32_e32 v7, 7, v6
	v_bfe_u32 v10, v6, 3, 4
	v_clz_i32_u32_e32 v8, v7
	s_delay_alu instid0(VALU_DEP_2) | instskip(NEXT) | instid1(VALU_DEP_2)
	v_cmp_eq_u32_e32 vcc_lo, 0, v10
	v_min_u32_e32 v8, 32, v8
	s_delay_alu instid0(VALU_DEP_1) | instskip(NEXT) | instid1(VALU_DEP_1)
	v_subrev_nc_u32_e32 v9, 28, v8
	v_dual_lshlrev_b32 v6, v9, v6 :: v_dual_sub_nc_u32 v8, 29, v8
	s_delay_alu instid0(VALU_DEP_1) | instskip(NEXT) | instid1(VALU_DEP_1)
	v_dual_lshlrev_b32 v9, 24, v5 :: v_dual_bitop2_b32 v6, 7, v6 bitop3:0x40
	v_dual_cndmask_b32 v8, v10, v8, vcc_lo :: v_dual_cndmask_b32 v6, v7, v6, vcc_lo
	s_delay_alu instid0(VALU_DEP_2) | instskip(NEXT) | instid1(VALU_DEP_2)
	v_and_b32_e32 v7, 0x80000000, v9
	v_lshl_add_u32 v8, v8, 23, 0x3b800000
	s_delay_alu instid0(VALU_DEP_3) | instskip(NEXT) | instid1(VALU_DEP_1)
	v_lshlrev_b32_e32 v6, 20, v6
	v_or3_b32 v7, v7, v8, v6
.LBB302_448:
	s_or_b32 exec_lo, exec_lo, s20
	s_delay_alu instid0(VALU_DEP_1)
	v_cmp_eq_f32_e64 s18, s18, v7
	v_cmp_ne_u32_e32 vcc_lo, 1, v3
	v_lshrrev_b16 v6, 8, v5
	s_cbranch_vccz .LBB302_167
.LBB302_449:
                                        ; implicit-def: $sgpr19
	s_cbranch_execz .LBB302_184
; %bb.450:
	s_and_b32 s20, s10, 0xff
	s_delay_alu instid0(SALU_CYCLE_1)
	s_cmp_lt_i32 s20, 0x80
	s_cbranch_scc1 .LBB302_458
; %bb.451:
	s_and_b32 s19, 0xffff, s20
	s_mov_b32 s21, -1
	s_cmp_eq_u32 s19, 0x80
	s_cbranch_scc0 .LBB302_453
; %bb.452:
	s_mov_b32 s21, 0
.LBB302_453:
	s_mov_b32 s19, 0x7f800001
	s_branch .LBB302_460
.LBB302_454:
	s_mov_b32 s19, -1
	s_mov_b32 s21, exec_lo
	v_cmpx_eq_u16_e32 0x80, v6
; %bb.455:
	s_xor_b32 s19, exec_lo, -1
; %bb.456:
	s_or_b32 exec_lo, exec_lo, s21
	s_delay_alu instid0(SALU_CYCLE_1)
	s_and_b32 s19, s19, exec_lo
	s_or_saveexec_b32 s20, s20
	v_mov_b32_e32 v7, 0x7f800001
	s_xor_b32 exec_lo, exec_lo, s20
	s_cbranch_execz .LBB302_446
.LBB302_457:
	v_cmp_ne_u16_e32 vcc_lo, 0, v6
	v_mov_b32_e32 v7, 0
	s_and_not1_b32 s19, s19, exec_lo
	s_and_b32 s21, vcc_lo, exec_lo
	s_delay_alu instid0(SALU_CYCLE_1)
	s_or_b32 s19, s19, s21
	s_or_b32 exec_lo, exec_lo, s20
	s_and_saveexec_b32 s20, s19
	s_cbranch_execnz .LBB302_447
	s_branch .LBB302_448
.LBB302_458:
	s_mov_b32 s21, 0
	s_mov_b32 s19, 0x7f800001
	s_cbranch_execz .LBB302_460
; %bb.459:
	s_and_b32 s19, 0xffff, s20
	s_delay_alu instid0(SALU_CYCLE_1)
	s_cmp_lg_u32 s19, 0
	s_mov_b32 s19, 0
	s_cselect_b32 s21, -1, 0
.LBB302_460:
	s_delay_alu instid0(SALU_CYCLE_1)
	s_and_not1_b32 vcc_lo, exec_lo, s21
	s_cbranch_vccnz .LBB302_462
; %bb.461:
	s_mov_b32 s19, s3
.LBB302_462:
	s_mov_b32 s20, 0
	s_mov_b32 s21, exec_lo
	v_cmpx_lt_i16_e32 0x7f, v6
	s_xor_b32 s21, exec_lo, s21
	s_cbranch_execnz .LBB302_472
; %bb.463:
	s_or_saveexec_b32 s21, s21
	v_mov_b32_e32 v7, 0x7f800001
	s_xor_b32 exec_lo, exec_lo, s21
	s_cbranch_execnz .LBB302_475
.LBB302_464:
	s_or_b32 exec_lo, exec_lo, s21
	s_and_saveexec_b32 s21, s20
	s_cbranch_execz .LBB302_466
.LBB302_465:
	v_and_b32_e32 v6, 0xffff, v6
	s_delay_alu instid0(VALU_DEP_1) | instskip(SKIP_1) | instid1(VALU_DEP_2)
	v_and_b32_e32 v7, 7, v6
	v_bfe_u32 v10, v6, 3, 4
	v_clz_i32_u32_e32 v8, v7
	s_delay_alu instid0(VALU_DEP_2) | instskip(NEXT) | instid1(VALU_DEP_2)
	v_cmp_eq_u32_e32 vcc_lo, 0, v10
	v_min_u32_e32 v8, 32, v8
	s_delay_alu instid0(VALU_DEP_1) | instskip(NEXT) | instid1(VALU_DEP_1)
	v_subrev_nc_u32_e32 v9, 28, v8
	v_dual_lshlrev_b32 v6, v9, v6 :: v_dual_sub_nc_u32 v8, 29, v8
	s_delay_alu instid0(VALU_DEP_1) | instskip(NEXT) | instid1(VALU_DEP_1)
	v_dual_lshlrev_b32 v5, 16, v5 :: v_dual_bitop2_b32 v6, 7, v6 bitop3:0x40
	v_dual_cndmask_b32 v8, v10, v8, vcc_lo :: v_dual_cndmask_b32 v6, v7, v6, vcc_lo
	s_delay_alu instid0(VALU_DEP_2) | instskip(NEXT) | instid1(VALU_DEP_2)
	v_and_b32_e32 v5, 0x80000000, v5
	v_lshl_add_u32 v7, v8, 23, 0x3b800000
	s_delay_alu instid0(VALU_DEP_3) | instskip(NEXT) | instid1(VALU_DEP_1)
	v_lshlrev_b32_e32 v6, 20, v6
	v_or3_b32 v7, v5, v7, v6
.LBB302_466:
	s_or_b32 exec_lo, exec_lo, s21
	s_delay_alu instid0(VALU_DEP_1)
	v_cmp_eq_f32_e64 s19, s19, v7
	v_cmp_ne_u32_e32 vcc_lo, 1, v3
	s_cbranch_vccz .LBB302_185
.LBB302_467:
                                        ; implicit-def: $sgpr20
	s_cbranch_execz .LBB302_202
; %bb.468:
	s_and_b32 s21, s10, 0xff
	s_delay_alu instid0(SALU_CYCLE_1)
	s_cmp_lt_i32 s21, 0x80
	s_cbranch_scc1 .LBB302_476
; %bb.469:
	s_and_b32 s20, 0xffff, s21
	s_mov_b32 s22, -1
	s_cmp_eq_u32 s20, 0x80
	s_cbranch_scc0 .LBB302_471
; %bb.470:
	s_mov_b32 s22, 0
.LBB302_471:
	s_mov_b32 s20, 0x7f800001
	s_branch .LBB302_478
.LBB302_472:
	s_mov_b32 s20, -1
	s_mov_b32 s22, exec_lo
	v_cmpx_eq_u16_e32 0x80, v6
; %bb.473:
	s_xor_b32 s20, exec_lo, -1
; %bb.474:
	s_or_b32 exec_lo, exec_lo, s22
	s_delay_alu instid0(SALU_CYCLE_1)
	s_and_b32 s20, s20, exec_lo
	s_or_saveexec_b32 s21, s21
	v_mov_b32_e32 v7, 0x7f800001
	s_xor_b32 exec_lo, exec_lo, s21
	s_cbranch_execz .LBB302_464
.LBB302_475:
	v_cmp_ne_u16_e32 vcc_lo, 0, v6
	v_mov_b32_e32 v7, 0
	s_and_not1_b32 s20, s20, exec_lo
	s_and_b32 s22, vcc_lo, exec_lo
	s_delay_alu instid0(SALU_CYCLE_1)
	s_or_b32 s20, s20, s22
	s_or_b32 exec_lo, exec_lo, s21
	s_and_saveexec_b32 s21, s20
	s_cbranch_execnz .LBB302_465
	s_branch .LBB302_466
.LBB302_476:
	s_mov_b32 s22, 0
	s_mov_b32 s20, 0x7f800001
	s_cbranch_execz .LBB302_478
; %bb.477:
	s_and_b32 s20, 0xffff, s21
	s_delay_alu instid0(SALU_CYCLE_1)
	s_cmp_lg_u32 s20, 0
	s_mov_b32 s20, 0
	s_cselect_b32 s22, -1, 0
.LBB302_478:
	s_delay_alu instid0(SALU_CYCLE_1)
	s_and_not1_b32 vcc_lo, exec_lo, s22
	s_cbranch_vccnz .LBB302_480
; %bb.479:
	s_mov_b32 s20, s3
.LBB302_480:
	s_wait_loadcnt 0x2
	v_and_b32_e32 v5, 0xff, v4
	s_mov_b32 s21, 0
	s_mov_b32 s22, exec_lo
	s_delay_alu instid0(VALU_DEP_1)
	v_cmpx_lt_i16_e32 0x7f, v5
	s_xor_b32 s22, exec_lo, s22
	s_cbranch_execnz .LBB302_490
; %bb.481:
	s_or_saveexec_b32 s22, s22
	v_mov_b32_e32 v6, 0x7f800001
	s_xor_b32 exec_lo, exec_lo, s22
	s_cbranch_execnz .LBB302_493
.LBB302_482:
	s_or_b32 exec_lo, exec_lo, s22
	s_and_saveexec_b32 s22, s21
	s_cbranch_execz .LBB302_484
.LBB302_483:
	v_and_b32_e32 v5, 0xffff, v5
	s_delay_alu instid0(VALU_DEP_1) | instskip(SKIP_1) | instid1(VALU_DEP_2)
	v_and_b32_e32 v6, 7, v5
	v_bfe_u32 v9, v5, 3, 4
	v_clz_i32_u32_e32 v7, v6
	s_delay_alu instid0(VALU_DEP_2) | instskip(NEXT) | instid1(VALU_DEP_2)
	v_cmp_eq_u32_e32 vcc_lo, 0, v9
	v_min_u32_e32 v7, 32, v7
	s_delay_alu instid0(VALU_DEP_1) | instskip(NEXT) | instid1(VALU_DEP_1)
	v_subrev_nc_u32_e32 v8, 28, v7
	v_dual_lshlrev_b32 v5, v8, v5 :: v_dual_sub_nc_u32 v7, 29, v7
	s_delay_alu instid0(VALU_DEP_1) | instskip(NEXT) | instid1(VALU_DEP_1)
	v_dual_lshlrev_b32 v8, 24, v4 :: v_dual_bitop2_b32 v5, 7, v5 bitop3:0x40
	v_dual_cndmask_b32 v7, v9, v7, vcc_lo :: v_dual_cndmask_b32 v5, v6, v5, vcc_lo
	s_delay_alu instid0(VALU_DEP_2) | instskip(NEXT) | instid1(VALU_DEP_2)
	v_and_b32_e32 v6, 0x80000000, v8
	v_lshl_add_u32 v7, v7, 23, 0x3b800000
	s_delay_alu instid0(VALU_DEP_3) | instskip(NEXT) | instid1(VALU_DEP_1)
	v_lshlrev_b32_e32 v5, 20, v5
	v_or3_b32 v6, v6, v7, v5
.LBB302_484:
	s_or_b32 exec_lo, exec_lo, s22
	s_delay_alu instid0(VALU_DEP_1)
	v_cmp_eq_f32_e64 s20, s20, v6
	v_cmp_ne_u32_e32 vcc_lo, 1, v3
	v_lshrrev_b16 v5, 8, v4
	s_cbranch_vccz .LBB302_203
.LBB302_485:
                                        ; implicit-def: $sgpr21
	s_cbranch_execz .LBB302_220
; %bb.486:
	s_and_b32 s22, s10, 0xff
	s_delay_alu instid0(SALU_CYCLE_1)
	s_cmp_lt_i32 s22, 0x80
	s_cbranch_scc1 .LBB302_494
; %bb.487:
	s_and_b32 s21, 0xffff, s22
	s_mov_b32 s23, -1
	s_cmp_eq_u32 s21, 0x80
	s_cbranch_scc0 .LBB302_489
; %bb.488:
	s_mov_b32 s23, 0
.LBB302_489:
	s_mov_b32 s21, 0x7f800001
	s_branch .LBB302_496
.LBB302_490:
	s_mov_b32 s21, -1
	s_mov_b32 s23, exec_lo
	v_cmpx_eq_u16_e32 0x80, v5
; %bb.491:
	s_xor_b32 s21, exec_lo, -1
; %bb.492:
	s_or_b32 exec_lo, exec_lo, s23
	s_delay_alu instid0(SALU_CYCLE_1)
	s_and_b32 s21, s21, exec_lo
	s_or_saveexec_b32 s22, s22
	v_mov_b32_e32 v6, 0x7f800001
	s_xor_b32 exec_lo, exec_lo, s22
	s_cbranch_execz .LBB302_482
.LBB302_493:
	v_cmp_ne_u16_e32 vcc_lo, 0, v5
	v_mov_b32_e32 v6, 0
	s_and_not1_b32 s21, s21, exec_lo
	s_and_b32 s23, vcc_lo, exec_lo
	s_delay_alu instid0(SALU_CYCLE_1)
	s_or_b32 s21, s21, s23
	s_or_b32 exec_lo, exec_lo, s22
	s_and_saveexec_b32 s22, s21
	s_cbranch_execnz .LBB302_483
	s_branch .LBB302_484
.LBB302_494:
	s_mov_b32 s23, 0
	s_mov_b32 s21, 0x7f800001
	s_cbranch_execz .LBB302_496
; %bb.495:
	s_and_b32 s21, 0xffff, s22
	s_delay_alu instid0(SALU_CYCLE_1)
	s_cmp_lg_u32 s21, 0
	s_mov_b32 s21, 0
	s_cselect_b32 s23, -1, 0
.LBB302_496:
	s_delay_alu instid0(SALU_CYCLE_1)
	s_and_not1_b32 vcc_lo, exec_lo, s23
	s_cbranch_vccnz .LBB302_498
; %bb.497:
	s_mov_b32 s21, s3
.LBB302_498:
	s_mov_b32 s22, 0
	s_mov_b32 s23, exec_lo
	v_cmpx_lt_i16_e32 0x7f, v5
	s_xor_b32 s23, exec_lo, s23
	s_cbranch_execnz .LBB302_508
; %bb.499:
	s_or_saveexec_b32 s23, s23
	v_mov_b32_e32 v6, 0x7f800001
	s_xor_b32 exec_lo, exec_lo, s23
	s_cbranch_execnz .LBB302_511
.LBB302_500:
	s_or_b32 exec_lo, exec_lo, s23
	s_and_saveexec_b32 s23, s22
	s_cbranch_execz .LBB302_502
.LBB302_501:
	v_and_b32_e32 v5, 0xffff, v5
	s_delay_alu instid0(VALU_DEP_1) | instskip(SKIP_1) | instid1(VALU_DEP_2)
	v_and_b32_e32 v6, 7, v5
	v_bfe_u32 v9, v5, 3, 4
	v_clz_i32_u32_e32 v7, v6
	s_delay_alu instid0(VALU_DEP_2) | instskip(NEXT) | instid1(VALU_DEP_2)
	v_cmp_eq_u32_e32 vcc_lo, 0, v9
	v_min_u32_e32 v7, 32, v7
	s_delay_alu instid0(VALU_DEP_1) | instskip(NEXT) | instid1(VALU_DEP_1)
	v_subrev_nc_u32_e32 v8, 28, v7
	v_dual_lshlrev_b32 v5, v8, v5 :: v_dual_sub_nc_u32 v7, 29, v7
	s_delay_alu instid0(VALU_DEP_1) | instskip(NEXT) | instid1(VALU_DEP_1)
	v_dual_lshlrev_b32 v4, 16, v4 :: v_dual_bitop2_b32 v5, 7, v5 bitop3:0x40
	v_dual_cndmask_b32 v7, v9, v7, vcc_lo :: v_dual_cndmask_b32 v5, v6, v5, vcc_lo
	s_delay_alu instid0(VALU_DEP_2) | instskip(NEXT) | instid1(VALU_DEP_2)
	v_and_b32_e32 v4, 0x80000000, v4
	v_lshl_add_u32 v6, v7, 23, 0x3b800000
	s_delay_alu instid0(VALU_DEP_3) | instskip(NEXT) | instid1(VALU_DEP_1)
	v_lshlrev_b32_e32 v5, 20, v5
	v_or3_b32 v6, v4, v6, v5
.LBB302_502:
	s_or_b32 exec_lo, exec_lo, s23
	s_delay_alu instid0(VALU_DEP_1)
	v_cmp_eq_f32_e64 s21, s21, v6
	v_cmp_ne_u32_e32 vcc_lo, 1, v3
	s_cbranch_vccz .LBB302_221
.LBB302_503:
                                        ; implicit-def: $sgpr22
	s_cbranch_execz .LBB302_238
; %bb.504:
	s_and_b32 s23, s10, 0xff
	s_delay_alu instid0(SALU_CYCLE_1)
	s_cmp_lt_i32 s23, 0x80
	s_cbranch_scc1 .LBB302_512
; %bb.505:
	s_and_b32 s22, 0xffff, s23
	s_mov_b32 s24, -1
	s_cmp_eq_u32 s22, 0x80
	s_cbranch_scc0 .LBB302_507
; %bb.506:
	s_mov_b32 s24, 0
.LBB302_507:
	s_mov_b32 s22, 0x7f800001
	s_branch .LBB302_514
.LBB302_508:
	s_mov_b32 s22, -1
	s_mov_b32 s24, exec_lo
	v_cmpx_eq_u16_e32 0x80, v5
; %bb.509:
	s_xor_b32 s22, exec_lo, -1
; %bb.510:
	s_or_b32 exec_lo, exec_lo, s24
	s_delay_alu instid0(SALU_CYCLE_1)
	s_and_b32 s22, s22, exec_lo
	s_or_saveexec_b32 s23, s23
	v_mov_b32_e32 v6, 0x7f800001
	s_xor_b32 exec_lo, exec_lo, s23
	s_cbranch_execz .LBB302_500
.LBB302_511:
	v_cmp_ne_u16_e32 vcc_lo, 0, v5
	v_mov_b32_e32 v6, 0
	s_and_not1_b32 s22, s22, exec_lo
	s_and_b32 s24, vcc_lo, exec_lo
	s_delay_alu instid0(SALU_CYCLE_1)
	s_or_b32 s22, s22, s24
	s_or_b32 exec_lo, exec_lo, s23
	s_and_saveexec_b32 s23, s22
	s_cbranch_execnz .LBB302_501
	s_branch .LBB302_502
.LBB302_512:
	s_mov_b32 s24, 0
	s_mov_b32 s22, 0x7f800001
	s_cbranch_execz .LBB302_514
; %bb.513:
	s_and_b32 s22, 0xffff, s23
	s_delay_alu instid0(SALU_CYCLE_1)
	s_cmp_lg_u32 s22, 0
	s_mov_b32 s22, 0
	s_cselect_b32 s24, -1, 0
.LBB302_514:
	s_delay_alu instid0(SALU_CYCLE_1)
	s_and_not1_b32 vcc_lo, exec_lo, s24
	s_cbranch_vccnz .LBB302_516
; %bb.515:
	s_mov_b32 s22, s3
.LBB302_516:
	s_wait_loadcnt 0x1
	v_and_b32_e32 v4, 0xff, v2
	s_mov_b32 s23, 0
	s_mov_b32 s24, exec_lo
	s_delay_alu instid0(VALU_DEP_1)
	v_cmpx_lt_i16_e32 0x7f, v4
	s_xor_b32 s24, exec_lo, s24
	s_cbranch_execnz .LBB302_526
; %bb.517:
	s_or_saveexec_b32 s24, s24
	v_mov_b32_e32 v5, 0x7f800001
	s_xor_b32 exec_lo, exec_lo, s24
	s_cbranch_execnz .LBB302_529
.LBB302_518:
	s_or_b32 exec_lo, exec_lo, s24
	s_and_saveexec_b32 s24, s23
	s_cbranch_execz .LBB302_520
.LBB302_519:
	v_and_b32_e32 v4, 0xffff, v4
	s_delay_alu instid0(VALU_DEP_1) | instskip(SKIP_1) | instid1(VALU_DEP_2)
	v_and_b32_e32 v5, 7, v4
	v_bfe_u32 v8, v4, 3, 4
	v_clz_i32_u32_e32 v6, v5
	s_delay_alu instid0(VALU_DEP_2) | instskip(NEXT) | instid1(VALU_DEP_2)
	v_cmp_eq_u32_e32 vcc_lo, 0, v8
	v_min_u32_e32 v6, 32, v6
	s_delay_alu instid0(VALU_DEP_1) | instskip(NEXT) | instid1(VALU_DEP_1)
	v_subrev_nc_u32_e32 v7, 28, v6
	v_dual_lshlrev_b32 v4, v7, v4 :: v_dual_sub_nc_u32 v6, 29, v6
	s_delay_alu instid0(VALU_DEP_1) | instskip(NEXT) | instid1(VALU_DEP_1)
	v_dual_lshlrev_b32 v7, 24, v2 :: v_dual_bitop2_b32 v4, 7, v4 bitop3:0x40
	v_dual_cndmask_b32 v4, v5, v4, vcc_lo :: v_dual_cndmask_b32 v6, v8, v6, vcc_lo
	s_delay_alu instid0(VALU_DEP_2) | instskip(NEXT) | instid1(VALU_DEP_2)
	v_and_b32_e32 v5, 0x80000000, v7
	v_lshlrev_b32_e32 v4, 20, v4
	s_delay_alu instid0(VALU_DEP_3) | instskip(NEXT) | instid1(VALU_DEP_1)
	v_lshl_add_u32 v6, v6, 23, 0x3b800000
	v_or3_b32 v5, v5, v6, v4
.LBB302_520:
	s_or_b32 exec_lo, exec_lo, s24
	s_delay_alu instid0(VALU_DEP_1)
	v_cmp_eq_f32_e64 s22, s22, v5
	v_cmp_ne_u32_e32 vcc_lo, 1, v3
	v_lshrrev_b16 v4, 8, v2
	s_cbranch_vccz .LBB302_239
.LBB302_521:
                                        ; implicit-def: $sgpr23
	s_cbranch_execz .LBB302_256
; %bb.522:
	s_and_b32 s24, s10, 0xff
	s_delay_alu instid0(SALU_CYCLE_1)
	s_cmp_lt_i32 s24, 0x80
	s_cbranch_scc1 .LBB302_530
; %bb.523:
	s_and_b32 s23, 0xffff, s24
	s_mov_b32 s25, -1
	s_cmp_eq_u32 s23, 0x80
	s_cbranch_scc0 .LBB302_525
; %bb.524:
	s_mov_b32 s25, 0
.LBB302_525:
	s_mov_b32 s23, 0x7f800001
	s_branch .LBB302_532
.LBB302_526:
	s_mov_b32 s23, -1
	s_mov_b32 s25, exec_lo
	v_cmpx_eq_u16_e32 0x80, v4
; %bb.527:
	s_xor_b32 s23, exec_lo, -1
; %bb.528:
	s_or_b32 exec_lo, exec_lo, s25
	s_delay_alu instid0(SALU_CYCLE_1)
	s_and_b32 s23, s23, exec_lo
	s_or_saveexec_b32 s24, s24
	v_mov_b32_e32 v5, 0x7f800001
	s_xor_b32 exec_lo, exec_lo, s24
	s_cbranch_execz .LBB302_518
.LBB302_529:
	v_cmp_ne_u16_e32 vcc_lo, 0, v4
	v_mov_b32_e32 v5, 0
	s_and_not1_b32 s23, s23, exec_lo
	s_and_b32 s25, vcc_lo, exec_lo
	s_delay_alu instid0(SALU_CYCLE_1)
	s_or_b32 s23, s23, s25
	s_or_b32 exec_lo, exec_lo, s24
	s_and_saveexec_b32 s24, s23
	s_cbranch_execnz .LBB302_519
	s_branch .LBB302_520
.LBB302_530:
	s_mov_b32 s25, 0
	s_mov_b32 s23, 0x7f800001
	s_cbranch_execz .LBB302_532
; %bb.531:
	s_and_b32 s23, 0xffff, s24
	s_delay_alu instid0(SALU_CYCLE_1)
	s_cmp_lg_u32 s23, 0
	s_mov_b32 s23, 0
	s_cselect_b32 s25, -1, 0
.LBB302_532:
	s_delay_alu instid0(SALU_CYCLE_1)
	s_and_not1_b32 vcc_lo, exec_lo, s25
	s_cbranch_vccnz .LBB302_534
; %bb.533:
	s_mov_b32 s23, s3
.LBB302_534:
	s_mov_b32 s24, 0
	s_mov_b32 s25, exec_lo
	v_cmpx_lt_i16_e32 0x7f, v4
	s_xor_b32 s25, exec_lo, s25
	s_cbranch_execnz .LBB302_544
; %bb.535:
	s_or_saveexec_b32 s25, s25
	v_mov_b32_e32 v5, 0x7f800001
	s_xor_b32 exec_lo, exec_lo, s25
	s_cbranch_execnz .LBB302_547
.LBB302_536:
	s_or_b32 exec_lo, exec_lo, s25
	s_and_saveexec_b32 s25, s24
	s_cbranch_execz .LBB302_538
.LBB302_537:
	v_and_b32_e32 v4, 0xffff, v4
	s_delay_alu instid0(VALU_DEP_1) | instskip(SKIP_1) | instid1(VALU_DEP_2)
	v_and_b32_e32 v5, 7, v4
	v_bfe_u32 v8, v4, 3, 4
	v_clz_i32_u32_e32 v6, v5
	s_delay_alu instid0(VALU_DEP_2) | instskip(NEXT) | instid1(VALU_DEP_2)
	v_cmp_eq_u32_e32 vcc_lo, 0, v8
	v_min_u32_e32 v6, 32, v6
	s_delay_alu instid0(VALU_DEP_1) | instskip(NEXT) | instid1(VALU_DEP_1)
	v_subrev_nc_u32_e32 v7, 28, v6
	v_dual_lshlrev_b32 v4, v7, v4 :: v_dual_sub_nc_u32 v6, 29, v6
	s_delay_alu instid0(VALU_DEP_1) | instskip(NEXT) | instid1(VALU_DEP_1)
	v_dual_lshlrev_b32 v2, 16, v2 :: v_dual_bitop2_b32 v4, 7, v4 bitop3:0x40
	v_dual_cndmask_b32 v4, v5, v4, vcc_lo :: v_dual_cndmask_b32 v6, v8, v6, vcc_lo
	s_delay_alu instid0(VALU_DEP_2) | instskip(NEXT) | instid1(VALU_DEP_2)
	v_and_b32_e32 v2, 0x80000000, v2
	v_lshlrev_b32_e32 v4, 20, v4
	s_delay_alu instid0(VALU_DEP_3) | instskip(NEXT) | instid1(VALU_DEP_1)
	v_lshl_add_u32 v5, v6, 23, 0x3b800000
	v_or3_b32 v5, v2, v5, v4
.LBB302_538:
	s_or_b32 exec_lo, exec_lo, s25
	s_delay_alu instid0(VALU_DEP_1)
	v_cmp_eq_f32_e64 s23, s23, v5
	v_cmp_ne_u32_e32 vcc_lo, 1, v3
	s_cbranch_vccz .LBB302_257
.LBB302_539:
                                        ; implicit-def: $sgpr24
	s_cbranch_execz .LBB302_274
; %bb.540:
	s_and_b32 s25, s10, 0xff
	s_delay_alu instid0(SALU_CYCLE_1)
	s_cmp_lt_i32 s25, 0x80
	s_cbranch_scc1 .LBB302_548
; %bb.541:
	s_and_b32 s24, 0xffff, s25
	s_mov_b32 s26, -1
	s_cmp_eq_u32 s24, 0x80
	s_cbranch_scc0 .LBB302_543
; %bb.542:
	s_mov_b32 s26, 0
.LBB302_543:
	s_mov_b32 s24, 0x7f800001
	s_branch .LBB302_550
.LBB302_544:
	s_mov_b32 s24, -1
	s_mov_b32 s26, exec_lo
	v_cmpx_eq_u16_e32 0x80, v4
; %bb.545:
	s_xor_b32 s24, exec_lo, -1
; %bb.546:
	s_or_b32 exec_lo, exec_lo, s26
	s_delay_alu instid0(SALU_CYCLE_1)
	s_and_b32 s24, s24, exec_lo
	s_or_saveexec_b32 s25, s25
	v_mov_b32_e32 v5, 0x7f800001
	s_xor_b32 exec_lo, exec_lo, s25
	s_cbranch_execz .LBB302_536
.LBB302_547:
	v_cmp_ne_u16_e32 vcc_lo, 0, v4
	v_mov_b32_e32 v5, 0
	s_and_not1_b32 s24, s24, exec_lo
	s_and_b32 s26, vcc_lo, exec_lo
	s_delay_alu instid0(SALU_CYCLE_1)
	s_or_b32 s24, s24, s26
	s_or_b32 exec_lo, exec_lo, s25
	s_and_saveexec_b32 s25, s24
	s_cbranch_execnz .LBB302_537
	s_branch .LBB302_538
.LBB302_548:
	s_mov_b32 s26, 0
	s_mov_b32 s24, 0x7f800001
	s_cbranch_execz .LBB302_550
; %bb.549:
	s_and_b32 s24, 0xffff, s25
	s_delay_alu instid0(SALU_CYCLE_1)
	s_cmp_lg_u32 s24, 0
	s_mov_b32 s24, 0
	s_cselect_b32 s26, -1, 0
.LBB302_550:
	s_delay_alu instid0(SALU_CYCLE_1)
	s_and_not1_b32 vcc_lo, exec_lo, s26
	s_cbranch_vccnz .LBB302_552
; %bb.551:
	s_mov_b32 s24, s3
.LBB302_552:
	s_wait_loadcnt 0x0
	v_and_b32_e32 v2, 0xff, v1
	s_mov_b32 s25, 0
	s_mov_b32 s26, exec_lo
	s_delay_alu instid0(VALU_DEP_1)
	v_cmpx_lt_i16_e32 0x7f, v2
	s_xor_b32 s26, exec_lo, s26
	s_cbranch_execnz .LBB302_562
; %bb.553:
	s_or_saveexec_b32 s26, s26
	v_mov_b32_e32 v4, 0x7f800001
	s_xor_b32 exec_lo, exec_lo, s26
	s_cbranch_execnz .LBB302_565
.LBB302_554:
	s_or_b32 exec_lo, exec_lo, s26
	s_and_saveexec_b32 s26, s25
	s_cbranch_execz .LBB302_556
.LBB302_555:
	v_and_b32_e32 v2, 0xffff, v2
	s_delay_alu instid0(VALU_DEP_1) | instskip(SKIP_1) | instid1(VALU_DEP_2)
	v_and_b32_e32 v4, 7, v2
	v_bfe_u32 v7, v2, 3, 4
	v_clz_i32_u32_e32 v5, v4
	s_delay_alu instid0(VALU_DEP_2) | instskip(NEXT) | instid1(VALU_DEP_2)
	v_cmp_eq_u32_e32 vcc_lo, 0, v7
	v_min_u32_e32 v5, 32, v5
	s_delay_alu instid0(VALU_DEP_1) | instskip(NEXT) | instid1(VALU_DEP_1)
	v_subrev_nc_u32_e32 v6, 28, v5
	v_dual_lshlrev_b32 v2, v6, v2 :: v_dual_sub_nc_u32 v5, 29, v5
	s_delay_alu instid0(VALU_DEP_1) | instskip(NEXT) | instid1(VALU_DEP_1)
	v_dual_lshlrev_b32 v6, 24, v1 :: v_dual_bitop2_b32 v2, 7, v2 bitop3:0x40
	v_dual_cndmask_b32 v2, v4, v2 :: v_dual_cndmask_b32 v5, v7, v5
	s_delay_alu instid0(VALU_DEP_2) | instskip(NEXT) | instid1(VALU_DEP_2)
	v_and_b32_e32 v4, 0x80000000, v6
	v_lshlrev_b32_e32 v2, 20, v2
	s_delay_alu instid0(VALU_DEP_3) | instskip(NEXT) | instid1(VALU_DEP_1)
	v_lshl_add_u32 v5, v5, 23, 0x3b800000
	v_or3_b32 v4, v4, v5, v2
.LBB302_556:
	s_or_b32 exec_lo, exec_lo, s26
	s_delay_alu instid0(VALU_DEP_1)
	v_cmp_eq_f32_e64 s24, s24, v4
	v_cmp_ne_u32_e32 vcc_lo, 1, v3
	v_lshrrev_b16 v2, 8, v1
	s_cbranch_vccz .LBB302_275
.LBB302_557:
                                        ; implicit-def: $sgpr25
	s_cbranch_execz .LBB302_575
; %bb.558:
	s_and_b32 s26, s10, 0xff
	s_delay_alu instid0(SALU_CYCLE_1)
	s_cmp_lt_i32 s26, 0x80
	s_cbranch_scc1 .LBB302_566
; %bb.559:
	s_and_b32 s25, 0xffff, s26
	s_mov_b32 s27, -1
	s_cmp_eq_u32 s25, 0x80
	s_cbranch_scc0 .LBB302_561
; %bb.560:
	s_mov_b32 s27, 0
.LBB302_561:
	s_mov_b32 s25, 0x7f800001
	s_branch .LBB302_568
.LBB302_562:
	s_mov_b32 s25, -1
	s_mov_b32 s27, exec_lo
	v_cmpx_eq_u16_e32 0x80, v2
; %bb.563:
	s_xor_b32 s25, exec_lo, -1
; %bb.564:
	s_or_b32 exec_lo, exec_lo, s27
	s_delay_alu instid0(SALU_CYCLE_1)
	s_and_b32 s25, s25, exec_lo
	s_or_saveexec_b32 s26, s26
	v_mov_b32_e32 v4, 0x7f800001
	s_xor_b32 exec_lo, exec_lo, s26
	s_cbranch_execz .LBB302_554
.LBB302_565:
	v_cmp_ne_u16_e32 vcc_lo, 0, v2
	v_mov_b32_e32 v4, 0
	s_and_not1_b32 s25, s25, exec_lo
	s_and_b32 s27, vcc_lo, exec_lo
	s_delay_alu instid0(SALU_CYCLE_1)
	s_or_b32 s25, s25, s27
	s_or_b32 exec_lo, exec_lo, s26
	s_and_saveexec_b32 s26, s25
	s_cbranch_execnz .LBB302_555
	s_branch .LBB302_556
.LBB302_566:
	s_mov_b32 s27, 0
	s_mov_b32 s25, 0x7f800001
	s_cbranch_execz .LBB302_568
; %bb.567:
	s_and_b32 s25, 0xffff, s26
	s_delay_alu instid0(SALU_CYCLE_1)
	s_cmp_lg_u32 s25, 0
	s_mov_b32 s25, 0
	s_cselect_b32 s27, -1, 0
.LBB302_568:
	s_delay_alu instid0(SALU_CYCLE_1)
	s_and_not1_b32 vcc_lo, exec_lo, s27
	s_cbranch_vccnz .LBB302_570
; %bb.569:
	s_mov_b32 s25, s3
.LBB302_570:
	s_mov_b32 s3, 0
	s_mov_b32 s26, exec_lo
	v_cmpx_lt_i16_e32 0x7f, v2
	s_xor_b32 s26, exec_lo, s26
	s_cbranch_execnz .LBB302_577
; %bb.571:
	s_or_saveexec_b32 s26, s26
	v_mov_b32_e32 v3, 0x7f800001
	s_xor_b32 exec_lo, exec_lo, s26
	s_cbranch_execnz .LBB302_580
.LBB302_572:
	s_or_b32 exec_lo, exec_lo, s26
	s_and_saveexec_b32 s26, s3
	s_cbranch_execz .LBB302_574
.LBB302_573:
	v_and_b32_e32 v2, 0xffff, v2
	s_delay_alu instid0(VALU_DEP_1) | instskip(SKIP_1) | instid1(VALU_DEP_2)
	v_and_b32_e32 v3, 7, v2
	v_bfe_u32 v6, v2, 3, 4
	v_clz_i32_u32_e32 v4, v3
	s_delay_alu instid0(VALU_DEP_2) | instskip(NEXT) | instid1(VALU_DEP_2)
	v_cmp_eq_u32_e32 vcc_lo, 0, v6
	v_min_u32_e32 v4, 32, v4
	s_delay_alu instid0(VALU_DEP_1) | instskip(NEXT) | instid1(VALU_DEP_1)
	v_subrev_nc_u32_e32 v5, 28, v4
	v_dual_lshlrev_b32 v2, v5, v2 :: v_dual_sub_nc_u32 v4, 29, v4
	s_delay_alu instid0(VALU_DEP_1) | instskip(NEXT) | instid1(VALU_DEP_1)
	v_dual_lshlrev_b32 v1, 16, v1 :: v_dual_bitop2_b32 v2, 7, v2 bitop3:0x40
	v_dual_cndmask_b32 v4, v6, v4, vcc_lo :: v_dual_cndmask_b32 v2, v3, v2, vcc_lo
	s_delay_alu instid0(VALU_DEP_2) | instskip(NEXT) | instid1(VALU_DEP_2)
	v_and_b32_e32 v1, 0x80000000, v1
	v_lshl_add_u32 v3, v4, 23, 0x3b800000
	s_delay_alu instid0(VALU_DEP_3) | instskip(NEXT) | instid1(VALU_DEP_1)
	v_lshlrev_b32_e32 v2, 20, v2
	v_or3_b32 v3, v1, v3, v2
.LBB302_574:
	s_or_b32 exec_lo, exec_lo, s26
	s_delay_alu instid0(VALU_DEP_1)
	v_cmp_eq_f32_e64 s25, s25, v3
.LBB302_575:
	v_cndmask_b32_e64 v2, 0, 1, s11
	v_cndmask_b32_e64 v1, 0, 1, s13
	;; [unrolled: 1-line block ×5, first 2 shown]
	v_lshlrev_b16 v2, 8, v2
	v_cndmask_b32_e64 v3, 0, 1, s12
	v_lshlrev_b16 v1, 8, v1
	v_cndmask_b32_e64 v6, 0, 1, s16
	v_lshlrev_b16 v4, 8, v4
	v_or_b32_e32 v2, v5, v2
	v_lshlrev_b16 v5, 8, v7
	v_cndmask_b32_e64 v7, 0, 1, s19
	v_or_b32_e32 v1, v3, v1
	v_cndmask_b32_e64 v3, 0, 1, s21
	v_cndmask_b32_e64 v8, 0, 1, s25
	;; [unrolled: 1-line block ×3, first 2 shown]
	v_or_b32_e32 v4, v6, v4
	v_cndmask_b32_e64 v6, 0, 1, s14
	v_lshlrev_b16 v7, 8, v7
	v_cndmask_b32_e64 v11, 0, 1, s18
	v_lshlrev_b16 v3, 8, v3
	;; [unrolled: 2-line block ×4, first 2 shown]
	v_cndmask_b32_e64 v13, 0, 1, s22
	v_or_b32_e32 v5, v6, v5
	s_add_nc_u64 s[12:13], s[4:5], s[0:1]
	v_or_b32_e32 v6, v11, v7
	v_or_b32_e32 v3, v9, v3
	;; [unrolled: 1-line block ×4, first 2 shown]
	s_clause 0x7
	global_store_b16 v0, v2, s[12:13] scale_offset
	global_store_b16 v0, v1, s[12:13] offset:512 scale_offset
	global_store_b16 v0, v5, s[12:13] offset:1024 scale_offset
	;; [unrolled: 1-line block ×7, first 2 shown]
	s_branch .LBB302_2
.LBB302_576:
	s_wait_xcnt 0x0
	v_dual_mov_b32 v31, v0 :: v_dual_mov_b32 v0, s9
	v_dual_mov_b32 v1, s10 :: v_dual_mov_b32 v2, s4
	;; [unrolled: 1-line block ×4, first 2 shown]
	s_get_pc_i64 s[0:1]
	s_add_nc_u64 s[0:1], s[0:1], _ZN2at6native25elementwise_kernel_helperILb0ENS0_13AUnaryFunctorIN3c1015Float8_e4m3fnuzES4_bNS0_12_GLOBAL__N_116CompareEqFunctorIS4_EEEENS0_6memory8policies11unroll_baseILi256ESt5arrayIPcLm2EE23TrivialOffsetCalculatorILi1EjESG_NS9_15LoadWithoutCastENS9_16StoreWithoutCastELi16ELi1EEEEEvT0_T1_@rel64+4
	s_delay_alu instid0(SALU_CYCLE_1)
	s_swap_pc_i64 s[30:31], s[0:1]
	s_endpgm
.LBB302_577:
	s_mov_b32 s3, -1
	s_mov_b32 s27, exec_lo
	v_cmpx_eq_u16_e32 0x80, v2
; %bb.578:
	s_xor_b32 s3, exec_lo, -1
; %bb.579:
	s_or_b32 exec_lo, exec_lo, s27
	s_delay_alu instid0(SALU_CYCLE_1)
	s_and_b32 s3, s3, exec_lo
	s_or_saveexec_b32 s26, s26
	v_mov_b32_e32 v3, 0x7f800001
	s_xor_b32 exec_lo, exec_lo, s26
	s_cbranch_execz .LBB302_572
.LBB302_580:
	v_cmp_ne_u16_e32 vcc_lo, 0, v2
	v_mov_b32_e32 v3, 0
	s_and_not1_b32 s3, s3, exec_lo
	s_and_b32 s27, vcc_lo, exec_lo
	s_delay_alu instid0(SALU_CYCLE_1)
	s_or_b32 s3, s3, s27
	s_or_b32 exec_lo, exec_lo, s26
	s_and_saveexec_b32 s26, s3
	s_cbranch_execnz .LBB302_573
	s_branch .LBB302_574
	.section	.rodata,"a",@progbits
	.p2align	6, 0x0
	.amdhsa_kernel _ZN2at6native29vectorized_elementwise_kernelILi2ENS0_13AUnaryFunctorIN3c1015Float8_e4m3fnuzES4_bNS0_12_GLOBAL__N_116CompareEqFunctorIS4_EEEESt5arrayIPcLm2EEEEviT0_T1_
		.amdhsa_group_segment_fixed_size 0
		.amdhsa_private_segment_fixed_size 0
		.amdhsa_kernarg_size 32
		.amdhsa_user_sgpr_count 2
		.amdhsa_user_sgpr_dispatch_ptr 0
		.amdhsa_user_sgpr_queue_ptr 0
		.amdhsa_user_sgpr_kernarg_segment_ptr 1
		.amdhsa_user_sgpr_dispatch_id 0
		.amdhsa_user_sgpr_kernarg_preload_length 0
		.amdhsa_user_sgpr_kernarg_preload_offset 0
		.amdhsa_user_sgpr_private_segment_size 0
		.amdhsa_wavefront_size32 1
		.amdhsa_uses_dynamic_stack 0
		.amdhsa_enable_private_segment 0
		.amdhsa_system_sgpr_workgroup_id_x 1
		.amdhsa_system_sgpr_workgroup_id_y 0
		.amdhsa_system_sgpr_workgroup_id_z 0
		.amdhsa_system_sgpr_workgroup_info 0
		.amdhsa_system_vgpr_workitem_id 0
		.amdhsa_next_free_vgpr 32
		.amdhsa_next_free_sgpr 33
		.amdhsa_named_barrier_count 0
		.amdhsa_reserve_vcc 1
		.amdhsa_float_round_mode_32 0
		.amdhsa_float_round_mode_16_64 0
		.amdhsa_float_denorm_mode_32 3
		.amdhsa_float_denorm_mode_16_64 3
		.amdhsa_fp16_overflow 0
		.amdhsa_memory_ordered 1
		.amdhsa_forward_progress 1
		.amdhsa_inst_pref_size 115
		.amdhsa_round_robin_scheduling 0
		.amdhsa_exception_fp_ieee_invalid_op 0
		.amdhsa_exception_fp_denorm_src 0
		.amdhsa_exception_fp_ieee_div_zero 0
		.amdhsa_exception_fp_ieee_overflow 0
		.amdhsa_exception_fp_ieee_underflow 0
		.amdhsa_exception_fp_ieee_inexact 0
		.amdhsa_exception_int_div_zero 0
	.end_amdhsa_kernel
	.section	.text._ZN2at6native29vectorized_elementwise_kernelILi2ENS0_13AUnaryFunctorIN3c1015Float8_e4m3fnuzES4_bNS0_12_GLOBAL__N_116CompareEqFunctorIS4_EEEESt5arrayIPcLm2EEEEviT0_T1_,"axG",@progbits,_ZN2at6native29vectorized_elementwise_kernelILi2ENS0_13AUnaryFunctorIN3c1015Float8_e4m3fnuzES4_bNS0_12_GLOBAL__N_116CompareEqFunctorIS4_EEEESt5arrayIPcLm2EEEEviT0_T1_,comdat
.Lfunc_end302:
	.size	_ZN2at6native29vectorized_elementwise_kernelILi2ENS0_13AUnaryFunctorIN3c1015Float8_e4m3fnuzES4_bNS0_12_GLOBAL__N_116CompareEqFunctorIS4_EEEESt5arrayIPcLm2EEEEviT0_T1_, .Lfunc_end302-_ZN2at6native29vectorized_elementwise_kernelILi2ENS0_13AUnaryFunctorIN3c1015Float8_e4m3fnuzES4_bNS0_12_GLOBAL__N_116CompareEqFunctorIS4_EEEESt5arrayIPcLm2EEEEviT0_T1_
                                        ; -- End function
	.set _ZN2at6native29vectorized_elementwise_kernelILi2ENS0_13AUnaryFunctorIN3c1015Float8_e4m3fnuzES4_bNS0_12_GLOBAL__N_116CompareEqFunctorIS4_EEEESt5arrayIPcLm2EEEEviT0_T1_.num_vgpr, max(32, .L_ZN2at6native25elementwise_kernel_helperILb0ENS0_13AUnaryFunctorIN3c1015Float8_e4m3fnuzES4_bNS0_12_GLOBAL__N_116CompareEqFunctorIS4_EEEENS0_6memory8policies11unroll_baseILi256ESt5arrayIPcLm2EE23TrivialOffsetCalculatorILi1EjESG_NS9_15LoadWithoutCastENS9_16StoreWithoutCastELi16ELi1EEEEEvT0_T1_.num_vgpr)
	.set _ZN2at6native29vectorized_elementwise_kernelILi2ENS0_13AUnaryFunctorIN3c1015Float8_e4m3fnuzES4_bNS0_12_GLOBAL__N_116CompareEqFunctorIS4_EEEESt5arrayIPcLm2EEEEviT0_T1_.num_agpr, max(0, .L_ZN2at6native25elementwise_kernel_helperILb0ENS0_13AUnaryFunctorIN3c1015Float8_e4m3fnuzES4_bNS0_12_GLOBAL__N_116CompareEqFunctorIS4_EEEENS0_6memory8policies11unroll_baseILi256ESt5arrayIPcLm2EE23TrivialOffsetCalculatorILi1EjESG_NS9_15LoadWithoutCastENS9_16StoreWithoutCastELi16ELi1EEEEEvT0_T1_.num_agpr)
	.set _ZN2at6native29vectorized_elementwise_kernelILi2ENS0_13AUnaryFunctorIN3c1015Float8_e4m3fnuzES4_bNS0_12_GLOBAL__N_116CompareEqFunctorIS4_EEEESt5arrayIPcLm2EEEEviT0_T1_.numbered_sgpr, max(33, .L_ZN2at6native25elementwise_kernel_helperILb0ENS0_13AUnaryFunctorIN3c1015Float8_e4m3fnuzES4_bNS0_12_GLOBAL__N_116CompareEqFunctorIS4_EEEENS0_6memory8policies11unroll_baseILi256ESt5arrayIPcLm2EE23TrivialOffsetCalculatorILi1EjESG_NS9_15LoadWithoutCastENS9_16StoreWithoutCastELi16ELi1EEEEEvT0_T1_.numbered_sgpr)
	.set _ZN2at6native29vectorized_elementwise_kernelILi2ENS0_13AUnaryFunctorIN3c1015Float8_e4m3fnuzES4_bNS0_12_GLOBAL__N_116CompareEqFunctorIS4_EEEESt5arrayIPcLm2EEEEviT0_T1_.num_named_barrier, max(0, .L_ZN2at6native25elementwise_kernel_helperILb0ENS0_13AUnaryFunctorIN3c1015Float8_e4m3fnuzES4_bNS0_12_GLOBAL__N_116CompareEqFunctorIS4_EEEENS0_6memory8policies11unroll_baseILi256ESt5arrayIPcLm2EE23TrivialOffsetCalculatorILi1EjESG_NS9_15LoadWithoutCastENS9_16StoreWithoutCastELi16ELi1EEEEEvT0_T1_.num_named_barrier)
	.set _ZN2at6native29vectorized_elementwise_kernelILi2ENS0_13AUnaryFunctorIN3c1015Float8_e4m3fnuzES4_bNS0_12_GLOBAL__N_116CompareEqFunctorIS4_EEEESt5arrayIPcLm2EEEEviT0_T1_.private_seg_size, 0+max(.L_ZN2at6native25elementwise_kernel_helperILb0ENS0_13AUnaryFunctorIN3c1015Float8_e4m3fnuzES4_bNS0_12_GLOBAL__N_116CompareEqFunctorIS4_EEEENS0_6memory8policies11unroll_baseILi256ESt5arrayIPcLm2EE23TrivialOffsetCalculatorILi1EjESG_NS9_15LoadWithoutCastENS9_16StoreWithoutCastELi16ELi1EEEEEvT0_T1_.private_seg_size)
	.set _ZN2at6native29vectorized_elementwise_kernelILi2ENS0_13AUnaryFunctorIN3c1015Float8_e4m3fnuzES4_bNS0_12_GLOBAL__N_116CompareEqFunctorIS4_EEEESt5arrayIPcLm2EEEEviT0_T1_.uses_vcc, or(1, .L_ZN2at6native25elementwise_kernel_helperILb0ENS0_13AUnaryFunctorIN3c1015Float8_e4m3fnuzES4_bNS0_12_GLOBAL__N_116CompareEqFunctorIS4_EEEENS0_6memory8policies11unroll_baseILi256ESt5arrayIPcLm2EE23TrivialOffsetCalculatorILi1EjESG_NS9_15LoadWithoutCastENS9_16StoreWithoutCastELi16ELi1EEEEEvT0_T1_.uses_vcc)
	.set _ZN2at6native29vectorized_elementwise_kernelILi2ENS0_13AUnaryFunctorIN3c1015Float8_e4m3fnuzES4_bNS0_12_GLOBAL__N_116CompareEqFunctorIS4_EEEESt5arrayIPcLm2EEEEviT0_T1_.uses_flat_scratch, or(0, .L_ZN2at6native25elementwise_kernel_helperILb0ENS0_13AUnaryFunctorIN3c1015Float8_e4m3fnuzES4_bNS0_12_GLOBAL__N_116CompareEqFunctorIS4_EEEENS0_6memory8policies11unroll_baseILi256ESt5arrayIPcLm2EE23TrivialOffsetCalculatorILi1EjESG_NS9_15LoadWithoutCastENS9_16StoreWithoutCastELi16ELi1EEEEEvT0_T1_.uses_flat_scratch)
	.set _ZN2at6native29vectorized_elementwise_kernelILi2ENS0_13AUnaryFunctorIN3c1015Float8_e4m3fnuzES4_bNS0_12_GLOBAL__N_116CompareEqFunctorIS4_EEEESt5arrayIPcLm2EEEEviT0_T1_.has_dyn_sized_stack, or(0, .L_ZN2at6native25elementwise_kernel_helperILb0ENS0_13AUnaryFunctorIN3c1015Float8_e4m3fnuzES4_bNS0_12_GLOBAL__N_116CompareEqFunctorIS4_EEEENS0_6memory8policies11unroll_baseILi256ESt5arrayIPcLm2EE23TrivialOffsetCalculatorILi1EjESG_NS9_15LoadWithoutCastENS9_16StoreWithoutCastELi16ELi1EEEEEvT0_T1_.has_dyn_sized_stack)
	.set _ZN2at6native29vectorized_elementwise_kernelILi2ENS0_13AUnaryFunctorIN3c1015Float8_e4m3fnuzES4_bNS0_12_GLOBAL__N_116CompareEqFunctorIS4_EEEESt5arrayIPcLm2EEEEviT0_T1_.has_recursion, or(0, .L_ZN2at6native25elementwise_kernel_helperILb0ENS0_13AUnaryFunctorIN3c1015Float8_e4m3fnuzES4_bNS0_12_GLOBAL__N_116CompareEqFunctorIS4_EEEENS0_6memory8policies11unroll_baseILi256ESt5arrayIPcLm2EE23TrivialOffsetCalculatorILi1EjESG_NS9_15LoadWithoutCastENS9_16StoreWithoutCastELi16ELi1EEEEEvT0_T1_.has_recursion)
	.set _ZN2at6native29vectorized_elementwise_kernelILi2ENS0_13AUnaryFunctorIN3c1015Float8_e4m3fnuzES4_bNS0_12_GLOBAL__N_116CompareEqFunctorIS4_EEEESt5arrayIPcLm2EEEEviT0_T1_.has_indirect_call, or(0, .L_ZN2at6native25elementwise_kernel_helperILb0ENS0_13AUnaryFunctorIN3c1015Float8_e4m3fnuzES4_bNS0_12_GLOBAL__N_116CompareEqFunctorIS4_EEEENS0_6memory8policies11unroll_baseILi256ESt5arrayIPcLm2EE23TrivialOffsetCalculatorILi1EjESG_NS9_15LoadWithoutCastENS9_16StoreWithoutCastELi16ELi1EEEEEvT0_T1_.has_indirect_call)
	.section	.AMDGPU.csdata,"",@progbits
; Kernel info:
; codeLenInByte = 14632
; TotalNumSgprs: 35
; NumVgprs: 32
; ScratchSize: 0
; MemoryBound: 0
; FloatMode: 240
; IeeeMode: 1
; LDSByteSize: 0 bytes/workgroup (compile time only)
; SGPRBlocks: 0
; VGPRBlocks: 1
; NumSGPRsForWavesPerEU: 35
; NumVGPRsForWavesPerEU: 32
; NamedBarCnt: 0
; Occupancy: 16
; WaveLimiterHint : 1
; COMPUTE_PGM_RSRC2:SCRATCH_EN: 0
; COMPUTE_PGM_RSRC2:USER_SGPR: 2
; COMPUTE_PGM_RSRC2:TRAP_HANDLER: 0
; COMPUTE_PGM_RSRC2:TGID_X_EN: 1
; COMPUTE_PGM_RSRC2:TGID_Y_EN: 0
; COMPUTE_PGM_RSRC2:TGID_Z_EN: 0
; COMPUTE_PGM_RSRC2:TIDIG_COMP_CNT: 0
	.section	.text._ZN2at6native27unrolled_elementwise_kernelINS0_13AUnaryFunctorIN3c1015Float8_e4m3fnuzES4_bNS0_12_GLOBAL__N_116CompareEqFunctorIS4_EEEESt5arrayIPcLm2EELi4E23TrivialOffsetCalculatorILi1EjESD_NS0_6memory15LoadWithoutCastENSE_16StoreWithoutCastEEEviT_T0_T2_T3_T4_T5_,"axG",@progbits,_ZN2at6native27unrolled_elementwise_kernelINS0_13AUnaryFunctorIN3c1015Float8_e4m3fnuzES4_bNS0_12_GLOBAL__N_116CompareEqFunctorIS4_EEEESt5arrayIPcLm2EELi4E23TrivialOffsetCalculatorILi1EjESD_NS0_6memory15LoadWithoutCastENSE_16StoreWithoutCastEEEviT_T0_T2_T3_T4_T5_,comdat
	.globl	_ZN2at6native27unrolled_elementwise_kernelINS0_13AUnaryFunctorIN3c1015Float8_e4m3fnuzES4_bNS0_12_GLOBAL__N_116CompareEqFunctorIS4_EEEESt5arrayIPcLm2EELi4E23TrivialOffsetCalculatorILi1EjESD_NS0_6memory15LoadWithoutCastENSE_16StoreWithoutCastEEEviT_T0_T2_T3_T4_T5_ ; -- Begin function _ZN2at6native27unrolled_elementwise_kernelINS0_13AUnaryFunctorIN3c1015Float8_e4m3fnuzES4_bNS0_12_GLOBAL__N_116CompareEqFunctorIS4_EEEESt5arrayIPcLm2EELi4E23TrivialOffsetCalculatorILi1EjESD_NS0_6memory15LoadWithoutCastENSE_16StoreWithoutCastEEEviT_T0_T2_T3_T4_T5_
	.p2align	8
	.type	_ZN2at6native27unrolled_elementwise_kernelINS0_13AUnaryFunctorIN3c1015Float8_e4m3fnuzES4_bNS0_12_GLOBAL__N_116CompareEqFunctorIS4_EEEESt5arrayIPcLm2EELi4E23TrivialOffsetCalculatorILi1EjESD_NS0_6memory15LoadWithoutCastENSE_16StoreWithoutCastEEEviT_T0_T2_T3_T4_T5_,@function
_ZN2at6native27unrolled_elementwise_kernelINS0_13AUnaryFunctorIN3c1015Float8_e4m3fnuzES4_bNS0_12_GLOBAL__N_116CompareEqFunctorIS4_EEEESt5arrayIPcLm2EELi4E23TrivialOffsetCalculatorILi1EjESD_NS0_6memory15LoadWithoutCastENSE_16StoreWithoutCastEEEviT_T0_T2_T3_T4_T5_: ; @_ZN2at6native27unrolled_elementwise_kernelINS0_13AUnaryFunctorIN3c1015Float8_e4m3fnuzES4_bNS0_12_GLOBAL__N_116CompareEqFunctorIS4_EEEESt5arrayIPcLm2EELi4E23TrivialOffsetCalculatorILi1EjESD_NS0_6memory15LoadWithoutCastENSE_16StoreWithoutCastEEEviT_T0_T2_T3_T4_T5_
; %bb.0:
	s_clause 0x1
	s_load_b96 s[8:10], s[0:1], 0x0
	s_load_b128 s[4:7], s[0:1], 0x10
	s_bfe_u32 s3, ttmp6, 0x4000c
	s_and_b32 s2, ttmp6, 15
	s_add_co_i32 s3, s3, 1
	s_getreg_b32 s11, hwreg(HW_REG_IB_STS2, 6, 4)
	s_wait_xcnt 0x0
	s_mul_i32 s0, ttmp9, s3
	v_dual_mov_b32 v4, 0 :: v_dual_mov_b32 v3, 0
	s_add_co_i32 s2, s2, s0
	s_cmp_eq_u32 s11, 0
	v_dual_mov_b32 v5, 0 :: v_dual_mov_b32 v6, 0
	s_cselect_b32 s0, ttmp9, s2
	v_or_b32_e32 v1, 0x100, v0
	s_lshl_b32 s1, s0, 10
	s_delay_alu instid0(SALU_CYCLE_1) | instskip(SKIP_2) | instid1(SALU_CYCLE_1)
	v_dual_mov_b32 v7, 0 :: v_dual_bitop2_b32 v2, s1, v0 bitop3:0x54
	s_wait_kmcnt 0x0
	s_sub_co_i32 s2, s8, s1
	v_cmp_gt_i32_e64 s0, s2, v0
	s_and_saveexec_b32 s3, s0
	s_cbranch_execz .LBB303_8
; %bb.1:
	global_load_u8 v7, v2, s[6:7]
	v_or_b32_e32 v8, 0x100, v0
	v_dual_mov_b32 v6, 0 :: v_dual_mov_b32 v5, 0
	v_mov_b32_e32 v3, 0
	s_mov_b32 s8, exec_lo
	s_wait_xcnt 0x0
	v_cmpx_gt_u32_e64 s2, v8
	s_cbranch_execz .LBB303_7
; %bb.2:
	v_dual_add_nc_u32 v3, s1, v8 :: v_dual_mov_b32 v5, 0
	v_or_b32_e32 v8, 0x200, v0
	s_mov_b32 s11, exec_lo
	global_load_u8 v6, v3, s[6:7]
	s_wait_xcnt 0x0
	v_mov_b32_e32 v3, 0
	v_cmpx_gt_u32_e64 s2, v8
	s_cbranch_execz .LBB303_6
; %bb.3:
	v_add_nc_u32_e32 v3, s1, v8
	v_or_b32_e32 v8, 0x300, v0
	s_mov_b32 s12, exec_lo
	global_load_u8 v5, v3, s[6:7]
	s_wait_xcnt 0x0
	v_mov_b32_e32 v3, 0
	v_cmpx_gt_u32_e64 s2, v8
	s_cbranch_execz .LBB303_5
; %bb.4:
	v_add_nc_u32_e32 v3, s1, v8
	global_load_u8 v3, v3, s[6:7]
.LBB303_5:
	s_wait_xcnt 0x0
	s_or_b32 exec_lo, exec_lo, s12
.LBB303_6:
	s_delay_alu instid0(SALU_CYCLE_1)
	s_or_b32 exec_lo, exec_lo, s11
.LBB303_7:
	s_delay_alu instid0(SALU_CYCLE_1)
	s_or_b32 exec_lo, exec_lo, s8
.LBB303_8:
	s_delay_alu instid0(SALU_CYCLE_1)
	s_or_b32 exec_lo, exec_lo, s3
	s_cmp_lg_u32 s9, 0
	s_cselect_b32 s6, -1, 0
	s_and_b32 s3, s10, 7
	s_bfe_u32 s9, s10, 0x40003
	s_clz_i32_u32 s7, s3
	s_delay_alu instid0(SALU_CYCLE_1) | instskip(NEXT) | instid1(SALU_CYCLE_1)
	s_min_u32 s7, s7, 32
	s_sub_co_i32 s8, s7, 28
	s_sub_co_i32 s7, 29, s7
	s_lshl_b32 s8, s10, s8
	s_delay_alu instid0(SALU_CYCLE_1)
	s_and_b32 s8, s8, 7
	s_cmp_eq_u32 s9, 0
	s_cselect_b32 s7, s7, s9
	s_cselect_b32 s3, s8, s3
	s_lshl_b32 s8, s10, 24
	s_lshl_b32 s7, s7, 23
	s_and_b32 s8, s8, 0x80000000
	s_add_co_i32 s7, s7, 0x3b800000
	s_lshl_b32 s3, s3, 20
	s_or_b32 s7, s8, s7
	s_delay_alu instid0(SALU_CYCLE_1)
	s_or_b32 s3, s7, s3
	s_and_saveexec_b32 s7, s0
	s_cbranch_execz .LBB303_42
; %bb.9:
	s_and_b32 vcc_lo, exec_lo, s6
	s_cbranch_vccz .LBB303_14
; %bb.10:
	s_and_b32 s9, s10, 0xff
	s_delay_alu instid0(SALU_CYCLE_1)
	s_cmp_lt_i32 s9, 0x80
	s_cbranch_scc1 .LBB303_15
; %bb.11:
	s_and_b32 s8, 0xffff, s9
	s_mov_b32 s11, -1
	s_cmp_eq_u32 s8, 0x80
	s_cbranch_scc0 .LBB303_13
; %bb.12:
	s_mov_b32 s11, 0
.LBB303_13:
	s_mov_b32 s8, 0x7f800001
	s_branch .LBB303_17
.LBB303_14:
                                        ; implicit-def: $sgpr8
	s_cbranch_execnz .LBB303_24
	s_branch .LBB303_41
.LBB303_15:
	s_mov_b32 s11, 0
	s_mov_b32 s8, 0x7f800001
	s_cbranch_execz .LBB303_17
; %bb.16:
	s_and_b32 s8, 0xffff, s9
	s_delay_alu instid0(SALU_CYCLE_1)
	s_cmp_lg_u32 s8, 0
	s_mov_b32 s8, 0
	s_cselect_b32 s11, -1, 0
.LBB303_17:
	s_delay_alu instid0(SALU_CYCLE_1)
	s_and_not1_b32 vcc_lo, exec_lo, s11
	s_cbranch_vccnz .LBB303_19
; %bb.18:
	s_mov_b32 s8, s3
.LBB303_19:
	s_wait_loadcnt 0x0
	v_and_b32_e32 v8, 0xff, v7
	s_mov_b32 s9, 0
	s_mov_b32 s11, exec_lo
	s_delay_alu instid0(VALU_DEP_1)
	v_cmpx_lt_i16_e32 0x7f, v8
	s_xor_b32 s11, exec_lo, s11
	s_cbranch_execnz .LBB303_28
; %bb.20:
	s_or_saveexec_b32 s11, s11
	v_mov_b32_e32 v4, 0x7f800001
	s_xor_b32 exec_lo, exec_lo, s11
	s_cbranch_execnz .LBB303_31
.LBB303_21:
	s_or_b32 exec_lo, exec_lo, s11
	s_and_saveexec_b32 s11, s9
	s_cbranch_execz .LBB303_23
.LBB303_22:
	v_and_b32_e32 v4, 7, v7
	v_lshrrev_b16 v9, 3, v7
	v_lshlrev_b32_e32 v11, 24, v7
	s_delay_alu instid0(VALU_DEP_3) | instskip(NEXT) | instid1(VALU_DEP_1)
	v_clz_i32_u32_e32 v8, v4
	v_min_u32_e32 v8, 32, v8
	s_delay_alu instid0(VALU_DEP_4) | instskip(NEXT) | instid1(VALU_DEP_2)
	v_and_b32_e32 v9, 15, v9
	v_subrev_nc_u32_e32 v10, 28, v8
	v_sub_nc_u32_e32 v8, 29, v8
	s_delay_alu instid0(VALU_DEP_3) | instskip(NEXT) | instid1(VALU_DEP_3)
	v_cmp_eq_u32_e32 vcc_lo, 0, v9
	v_lshlrev_b32_e32 v10, v10, v7
	s_delay_alu instid0(VALU_DEP_1) | instskip(SKIP_1) | instid1(VALU_DEP_2)
	v_dual_cndmask_b32 v8, v9, v8, vcc_lo :: v_dual_bitop2_b32 v10, 7, v10 bitop3:0x40
	v_and_b32_e32 v9, 0x80000000, v11
	v_cndmask_b32_e32 v4, v4, v10, vcc_lo
	s_delay_alu instid0(VALU_DEP_3) | instskip(NEXT) | instid1(VALU_DEP_2)
	v_lshl_add_u32 v8, v8, 23, 0x3b800000
	v_lshlrev_b32_e32 v4, 20, v4
	s_delay_alu instid0(VALU_DEP_1)
	v_or3_b32 v4, v9, v8, v4
.LBB303_23:
	s_or_b32 exec_lo, exec_lo, s11
	s_delay_alu instid0(VALU_DEP_1)
	v_cmp_neq_f32_e64 s8, s8, v4
	s_branch .LBB303_41
.LBB303_24:
	s_and_b32 s9, s10, 0xff
	s_delay_alu instid0(SALU_CYCLE_1)
	s_cmp_lt_i32 s9, 0x80
	s_cbranch_scc1 .LBB303_32
; %bb.25:
	s_and_b32 s8, 0xffff, s9
	s_mov_b32 s11, -1
	s_cmp_eq_u32 s8, 0x80
	s_cbranch_scc0 .LBB303_27
; %bb.26:
	s_mov_b32 s11, 0
.LBB303_27:
	s_mov_b32 s8, 0x7f800001
	s_branch .LBB303_34
.LBB303_28:
	s_mov_b32 s9, -1
	s_mov_b32 s12, exec_lo
	v_cmpx_eq_u16_e32 0x80, v8
; %bb.29:
	s_xor_b32 s9, exec_lo, -1
; %bb.30:
	s_or_b32 exec_lo, exec_lo, s12
	s_delay_alu instid0(SALU_CYCLE_1)
	s_and_b32 s9, s9, exec_lo
                                        ; implicit-def: $vgpr8
	s_or_saveexec_b32 s11, s11
	v_mov_b32_e32 v4, 0x7f800001
	s_xor_b32 exec_lo, exec_lo, s11
	s_cbranch_execz .LBB303_21
.LBB303_31:
	v_cmp_ne_u16_e32 vcc_lo, 0, v8
	v_mov_b32_e32 v4, 0
	s_and_not1_b32 s9, s9, exec_lo
	s_and_b32 s12, vcc_lo, exec_lo
	s_delay_alu instid0(SALU_CYCLE_1)
	s_or_b32 s9, s9, s12
	s_or_b32 exec_lo, exec_lo, s11
	s_and_saveexec_b32 s11, s9
	s_cbranch_execnz .LBB303_22
	s_branch .LBB303_23
.LBB303_32:
	s_mov_b32 s11, 0
	s_mov_b32 s8, 0x7f800001
	s_cbranch_execz .LBB303_34
; %bb.33:
	s_and_b32 s8, 0xffff, s9
	s_delay_alu instid0(SALU_CYCLE_1)
	s_cmp_lg_u32 s8, 0
	s_mov_b32 s8, 0
	s_cselect_b32 s11, -1, 0
.LBB303_34:
	s_delay_alu instid0(SALU_CYCLE_1)
	s_and_not1_b32 vcc_lo, exec_lo, s11
	s_cbranch_vccnz .LBB303_36
; %bb.35:
	s_mov_b32 s8, s3
.LBB303_36:
	s_wait_loadcnt 0x0
	v_and_b32_e32 v8, 0xff, v7
	s_mov_b32 s9, 0
	s_mov_b32 s11, exec_lo
	s_delay_alu instid0(VALU_DEP_1)
	v_cmpx_lt_i16_e32 0x7f, v8
	s_xor_b32 s11, exec_lo, s11
	s_cbranch_execnz .LBB303_66
; %bb.37:
	s_or_saveexec_b32 s11, s11
	v_mov_b32_e32 v4, 0x7f800001
	s_xor_b32 exec_lo, exec_lo, s11
	s_cbranch_execnz .LBB303_69
.LBB303_38:
	s_or_b32 exec_lo, exec_lo, s11
	s_and_saveexec_b32 s11, s9
	s_cbranch_execz .LBB303_40
.LBB303_39:
	v_and_b32_e32 v4, 7, v7
	v_lshrrev_b16 v9, 3, v7
	s_delay_alu instid0(VALU_DEP_2) | instskip(NEXT) | instid1(VALU_DEP_1)
	v_clz_i32_u32_e32 v8, v4
	v_min_u32_e32 v8, 32, v8
	s_delay_alu instid0(VALU_DEP_3) | instskip(NEXT) | instid1(VALU_DEP_2)
	v_and_b32_e32 v9, 15, v9
	v_subrev_nc_u32_e32 v10, 28, v8
	v_sub_nc_u32_e32 v8, 29, v8
	s_delay_alu instid0(VALU_DEP_3) | instskip(NEXT) | instid1(VALU_DEP_3)
	v_cmp_eq_u32_e32 vcc_lo, 0, v9
	v_dual_lshlrev_b32 v10, v10, v7 :: v_dual_lshlrev_b32 v7, 24, v7
	s_delay_alu instid0(VALU_DEP_1) | instskip(NEXT) | instid1(VALU_DEP_2)
	v_dual_cndmask_b32 v8, v9, v8, vcc_lo :: v_dual_bitop2_b32 v10, 7, v10 bitop3:0x40
	v_and_b32_e32 v7, 0x80000000, v7
	s_delay_alu instid0(VALU_DEP_2) | instskip(NEXT) | instid1(VALU_DEP_3)
	v_cndmask_b32_e32 v4, v4, v10, vcc_lo
	v_lshl_add_u32 v8, v8, 23, 0x3b800000
	s_delay_alu instid0(VALU_DEP_2) | instskip(NEXT) | instid1(VALU_DEP_1)
	v_lshlrev_b32_e32 v4, 20, v4
	v_or3_b32 v4, v7, v8, v4
.LBB303_40:
	s_or_b32 exec_lo, exec_lo, s11
	s_delay_alu instid0(VALU_DEP_1)
	v_cmp_eq_f32_e64 s8, s8, v4
.LBB303_41:
	s_delay_alu instid0(VALU_DEP_1)
	v_cndmask_b32_e64 v4, 0, 1, s8
.LBB303_42:
	s_or_b32 exec_lo, exec_lo, s7
	s_wait_loadcnt 0x0
	v_cndmask_b32_e64 v7, 0, 1, s6
	s_mov_b32 s7, exec_lo
	v_cmpx_gt_i32_e64 s2, v1
	s_cbranch_execz .LBB303_80
; %bb.43:
	s_and_not1_b32 vcc_lo, exec_lo, s6
	s_cbranch_vccnz .LBB303_48
; %bb.44:
	s_and_b32 s8, s10, 0xff
	s_delay_alu instid0(SALU_CYCLE_1)
	s_cmp_lt_i32 s8, 0x80
	s_cbranch_scc1 .LBB303_49
; %bb.45:
	s_and_b32 s6, 0xffff, s8
	s_mov_b32 s9, -1
	s_cmp_eq_u32 s6, 0x80
	s_cbranch_scc0 .LBB303_47
; %bb.46:
	s_mov_b32 s9, 0
.LBB303_47:
	s_mov_b32 s6, 0x7f800001
	s_branch .LBB303_51
.LBB303_48:
                                        ; implicit-def: $sgpr6
	s_cbranch_execnz .LBB303_58
	s_branch .LBB303_79
.LBB303_49:
	s_mov_b32 s9, 0
	s_mov_b32 s6, 0x7f800001
	s_cbranch_execz .LBB303_51
; %bb.50:
	s_and_b32 s6, 0xffff, s8
	s_delay_alu instid0(SALU_CYCLE_1)
	s_cmp_lg_u32 s6, 0
	s_mov_b32 s6, 0
	s_cselect_b32 s9, -1, 0
.LBB303_51:
	s_delay_alu instid0(SALU_CYCLE_1)
	s_and_not1_b32 vcc_lo, exec_lo, s9
	s_cbranch_vccnz .LBB303_53
; %bb.52:
	s_mov_b32 s6, s3
.LBB303_53:
	v_and_b32_e32 v9, 0xff, v6
	s_mov_b32 s8, 0
	s_mov_b32 s9, exec_lo
	s_delay_alu instid0(VALU_DEP_1)
	v_cmpx_lt_i16_e32 0x7f, v9
	s_xor_b32 s9, exec_lo, s9
	s_cbranch_execnz .LBB303_62
; %bb.54:
	s_or_saveexec_b32 s9, s9
	v_mov_b32_e32 v8, 0x7f800001
	s_xor_b32 exec_lo, exec_lo, s9
	s_cbranch_execnz .LBB303_65
.LBB303_55:
	s_or_b32 exec_lo, exec_lo, s9
	s_and_saveexec_b32 s9, s8
	s_cbranch_execz .LBB303_57
.LBB303_56:
	v_and_b32_e32 v8, 7, v6
	v_lshrrev_b16 v10, 3, v6
	v_lshlrev_b32_e32 v12, 24, v6
	s_delay_alu instid0(VALU_DEP_3) | instskip(NEXT) | instid1(VALU_DEP_1)
	v_clz_i32_u32_e32 v9, v8
	v_min_u32_e32 v9, 32, v9
	s_delay_alu instid0(VALU_DEP_4) | instskip(NEXT) | instid1(VALU_DEP_2)
	v_and_b32_e32 v10, 15, v10
	v_subrev_nc_u32_e32 v11, 28, v9
	v_sub_nc_u32_e32 v9, 29, v9
	s_delay_alu instid0(VALU_DEP_3) | instskip(NEXT) | instid1(VALU_DEP_3)
	v_cmp_eq_u32_e32 vcc_lo, 0, v10
	v_lshlrev_b32_e32 v11, v11, v6
	s_delay_alu instid0(VALU_DEP_1) | instskip(SKIP_1) | instid1(VALU_DEP_2)
	v_dual_cndmask_b32 v9, v10, v9, vcc_lo :: v_dual_bitop2_b32 v11, 7, v11 bitop3:0x40
	v_and_b32_e32 v10, 0x80000000, v12
	v_cndmask_b32_e32 v8, v8, v11, vcc_lo
	s_delay_alu instid0(VALU_DEP_3) | instskip(NEXT) | instid1(VALU_DEP_2)
	v_lshl_add_u32 v9, v9, 23, 0x3b800000
	v_lshlrev_b32_e32 v8, 20, v8
	s_delay_alu instid0(VALU_DEP_1)
	v_or3_b32 v8, v10, v9, v8
.LBB303_57:
	s_or_b32 exec_lo, exec_lo, s9
	s_delay_alu instid0(VALU_DEP_1)
	v_cmp_neq_f32_e64 s6, s6, v8
	s_branch .LBB303_79
.LBB303_58:
	s_and_b32 s8, s10, 0xff
	s_delay_alu instid0(SALU_CYCLE_1)
	s_cmp_lt_i32 s8, 0x80
	s_cbranch_scc1 .LBB303_70
; %bb.59:
	s_and_b32 s6, 0xffff, s8
	s_mov_b32 s9, -1
	s_cmp_eq_u32 s6, 0x80
	s_cbranch_scc0 .LBB303_61
; %bb.60:
	s_mov_b32 s9, 0
.LBB303_61:
	s_mov_b32 s6, 0x7f800001
	s_branch .LBB303_72
.LBB303_62:
	s_mov_b32 s8, -1
	s_mov_b32 s11, exec_lo
	v_cmpx_eq_u16_e32 0x80, v9
; %bb.63:
	s_xor_b32 s8, exec_lo, -1
; %bb.64:
	s_or_b32 exec_lo, exec_lo, s11
	s_delay_alu instid0(SALU_CYCLE_1)
	s_and_b32 s8, s8, exec_lo
                                        ; implicit-def: $vgpr9
	s_or_saveexec_b32 s9, s9
	v_mov_b32_e32 v8, 0x7f800001
	s_xor_b32 exec_lo, exec_lo, s9
	s_cbranch_execz .LBB303_55
.LBB303_65:
	v_cmp_ne_u16_e32 vcc_lo, 0, v9
	v_mov_b32_e32 v8, 0
	s_and_not1_b32 s8, s8, exec_lo
	s_and_b32 s11, vcc_lo, exec_lo
	s_delay_alu instid0(SALU_CYCLE_1)
	s_or_b32 s8, s8, s11
	s_or_b32 exec_lo, exec_lo, s9
	s_and_saveexec_b32 s9, s8
	s_cbranch_execnz .LBB303_56
	s_branch .LBB303_57
.LBB303_66:
	s_mov_b32 s9, -1
	s_mov_b32 s12, exec_lo
	v_cmpx_eq_u16_e32 0x80, v8
; %bb.67:
	s_xor_b32 s9, exec_lo, -1
; %bb.68:
	s_or_b32 exec_lo, exec_lo, s12
	s_delay_alu instid0(SALU_CYCLE_1)
	s_and_b32 s9, s9, exec_lo
                                        ; implicit-def: $vgpr8
	s_or_saveexec_b32 s11, s11
	v_mov_b32_e32 v4, 0x7f800001
	s_xor_b32 exec_lo, exec_lo, s11
	s_cbranch_execz .LBB303_38
.LBB303_69:
	v_cmp_ne_u16_e32 vcc_lo, 0, v8
	v_mov_b32_e32 v4, 0
	s_and_not1_b32 s9, s9, exec_lo
	s_and_b32 s12, vcc_lo, exec_lo
	s_delay_alu instid0(SALU_CYCLE_1)
	s_or_b32 s9, s9, s12
	s_or_b32 exec_lo, exec_lo, s11
	s_and_saveexec_b32 s11, s9
	s_cbranch_execnz .LBB303_39
	s_branch .LBB303_40
.LBB303_70:
	s_mov_b32 s9, 0
	s_mov_b32 s6, 0x7f800001
	s_cbranch_execz .LBB303_72
; %bb.71:
	s_and_b32 s6, 0xffff, s8
	s_delay_alu instid0(SALU_CYCLE_1)
	s_cmp_lg_u32 s6, 0
	s_mov_b32 s6, 0
	s_cselect_b32 s9, -1, 0
.LBB303_72:
	s_delay_alu instid0(SALU_CYCLE_1)
	s_and_not1_b32 vcc_lo, exec_lo, s9
	s_cbranch_vccnz .LBB303_74
; %bb.73:
	s_mov_b32 s6, s3
.LBB303_74:
	v_and_b32_e32 v9, 0xff, v6
	s_mov_b32 s8, 0
	s_mov_b32 s9, exec_lo
	s_delay_alu instid0(VALU_DEP_1)
	v_cmpx_lt_i16_e32 0x7f, v9
	s_xor_b32 s9, exec_lo, s9
	s_cbranch_execnz .LBB303_104
; %bb.75:
	s_or_saveexec_b32 s9, s9
	v_mov_b32_e32 v8, 0x7f800001
	s_xor_b32 exec_lo, exec_lo, s9
	s_cbranch_execnz .LBB303_107
.LBB303_76:
	s_or_b32 exec_lo, exec_lo, s9
	s_and_saveexec_b32 s9, s8
	s_cbranch_execz .LBB303_78
.LBB303_77:
	v_and_b32_e32 v8, 7, v6
	v_lshrrev_b16 v10, 3, v6
	s_delay_alu instid0(VALU_DEP_2) | instskip(NEXT) | instid1(VALU_DEP_1)
	v_clz_i32_u32_e32 v9, v8
	v_min_u32_e32 v9, 32, v9
	s_delay_alu instid0(VALU_DEP_3) | instskip(NEXT) | instid1(VALU_DEP_2)
	v_and_b32_e32 v10, 15, v10
	v_subrev_nc_u32_e32 v11, 28, v9
	v_sub_nc_u32_e32 v9, 29, v9
	s_delay_alu instid0(VALU_DEP_3) | instskip(NEXT) | instid1(VALU_DEP_3)
	v_cmp_eq_u32_e32 vcc_lo, 0, v10
	v_dual_lshlrev_b32 v11, v11, v6 :: v_dual_lshlrev_b32 v6, 24, v6
	s_delay_alu instid0(VALU_DEP_1) | instskip(NEXT) | instid1(VALU_DEP_2)
	v_dual_cndmask_b32 v9, v10, v9, vcc_lo :: v_dual_bitop2_b32 v11, 7, v11 bitop3:0x40
	v_and_b32_e32 v6, 0x80000000, v6
	s_delay_alu instid0(VALU_DEP_2) | instskip(NEXT) | instid1(VALU_DEP_3)
	v_cndmask_b32_e32 v8, v8, v11, vcc_lo
	v_lshl_add_u32 v9, v9, 23, 0x3b800000
	s_delay_alu instid0(VALU_DEP_2) | instskip(NEXT) | instid1(VALU_DEP_1)
	v_lshlrev_b32_e32 v8, 20, v8
	v_or3_b32 v8, v6, v9, v8
.LBB303_78:
	s_or_b32 exec_lo, exec_lo, s9
	s_delay_alu instid0(VALU_DEP_1)
	v_cmp_eq_f32_e64 s6, s6, v8
.LBB303_79:
	s_delay_alu instid0(VALU_DEP_1) | instskip(NEXT) | instid1(VALU_DEP_1)
	v_cndmask_b32_e64 v6, 0, 1, s6
	v_lshlrev_b16 v6, 8, v6
	s_delay_alu instid0(VALU_DEP_1) | instskip(NEXT) | instid1(VALU_DEP_1)
	v_or_b32_e32 v4, v4, v6
	v_and_b32_e32 v4, 0xffff, v4
.LBB303_80:
	s_or_b32 exec_lo, exec_lo, s7
	v_or_b32_e32 v6, 0x200, v0
	s_mov_b32 s6, exec_lo
	s_delay_alu instid0(VALU_DEP_1)
	v_cmpx_gt_i32_e64 s2, v6
	s_cbranch_execz .LBB303_118
; %bb.81:
	v_cmp_ne_u32_e32 vcc_lo, 1, v7
	s_cbranch_vccnz .LBB303_86
; %bb.82:
	s_and_b32 s8, s10, 0xff
	s_delay_alu instid0(SALU_CYCLE_1)
	s_cmp_lt_i32 s8, 0x80
	s_cbranch_scc1 .LBB303_87
; %bb.83:
	s_and_b32 s7, 0xffff, s8
	s_mov_b32 s9, -1
	s_cmp_eq_u32 s7, 0x80
	s_cbranch_scc0 .LBB303_85
; %bb.84:
	s_mov_b32 s9, 0
.LBB303_85:
	s_mov_b32 s7, 0x7f800001
	s_branch .LBB303_89
.LBB303_86:
                                        ; implicit-def: $sgpr7
	s_cbranch_execnz .LBB303_96
	s_branch .LBB303_117
.LBB303_87:
	s_mov_b32 s9, 0
	s_mov_b32 s7, 0x7f800001
	s_cbranch_execz .LBB303_89
; %bb.88:
	s_and_b32 s7, 0xffff, s8
	s_delay_alu instid0(SALU_CYCLE_1)
	s_cmp_lg_u32 s7, 0
	s_mov_b32 s7, 0
	s_cselect_b32 s9, -1, 0
.LBB303_89:
	s_delay_alu instid0(SALU_CYCLE_1)
	s_and_not1_b32 vcc_lo, exec_lo, s9
	s_cbranch_vccnz .LBB303_91
; %bb.90:
	s_mov_b32 s7, s3
.LBB303_91:
	v_and_b32_e32 v8, 0xff, v5
	s_mov_b32 s8, 0
	s_mov_b32 s9, exec_lo
	s_delay_alu instid0(VALU_DEP_1)
	v_cmpx_lt_i16_e32 0x7f, v8
	s_xor_b32 s9, exec_lo, s9
	s_cbranch_execnz .LBB303_100
; %bb.92:
	s_or_saveexec_b32 s9, s9
	v_mov_b32_e32 v6, 0x7f800001
	s_xor_b32 exec_lo, exec_lo, s9
	s_cbranch_execnz .LBB303_103
.LBB303_93:
	s_or_b32 exec_lo, exec_lo, s9
	s_and_saveexec_b32 s9, s8
	s_cbranch_execz .LBB303_95
.LBB303_94:
	v_and_b32_e32 v6, 7, v5
	v_lshrrev_b16 v9, 3, v5
	v_lshlrev_b32_e32 v11, 24, v5
	s_delay_alu instid0(VALU_DEP_3) | instskip(NEXT) | instid1(VALU_DEP_1)
	v_clz_i32_u32_e32 v8, v6
	v_min_u32_e32 v8, 32, v8
	s_delay_alu instid0(VALU_DEP_4) | instskip(NEXT) | instid1(VALU_DEP_2)
	v_and_b32_e32 v9, 15, v9
	v_subrev_nc_u32_e32 v10, 28, v8
	v_sub_nc_u32_e32 v8, 29, v8
	s_delay_alu instid0(VALU_DEP_3) | instskip(NEXT) | instid1(VALU_DEP_3)
	v_cmp_eq_u32_e32 vcc_lo, 0, v9
	v_lshlrev_b32_e32 v10, v10, v5
	s_delay_alu instid0(VALU_DEP_1) | instskip(SKIP_1) | instid1(VALU_DEP_2)
	v_dual_cndmask_b32 v8, v9, v8, vcc_lo :: v_dual_bitop2_b32 v10, 7, v10 bitop3:0x40
	v_and_b32_e32 v9, 0x80000000, v11
	v_cndmask_b32_e32 v6, v6, v10, vcc_lo
	s_delay_alu instid0(VALU_DEP_3) | instskip(NEXT) | instid1(VALU_DEP_2)
	v_lshl_add_u32 v8, v8, 23, 0x3b800000
	v_lshlrev_b32_e32 v6, 20, v6
	s_delay_alu instid0(VALU_DEP_1)
	v_or3_b32 v6, v9, v8, v6
.LBB303_95:
	s_or_b32 exec_lo, exec_lo, s9
	s_delay_alu instid0(VALU_DEP_1)
	v_cmp_neq_f32_e64 s7, s7, v6
	s_branch .LBB303_117
.LBB303_96:
	s_and_b32 s8, s10, 0xff
	s_delay_alu instid0(SALU_CYCLE_1)
	s_cmp_lt_i32 s8, 0x80
	s_cbranch_scc1 .LBB303_108
; %bb.97:
	s_and_b32 s7, 0xffff, s8
	s_mov_b32 s9, -1
	s_cmp_eq_u32 s7, 0x80
	s_cbranch_scc0 .LBB303_99
; %bb.98:
	s_mov_b32 s9, 0
.LBB303_99:
	s_mov_b32 s7, 0x7f800001
	s_branch .LBB303_110
.LBB303_100:
	s_mov_b32 s8, -1
	s_mov_b32 s11, exec_lo
	v_cmpx_eq_u16_e32 0x80, v8
; %bb.101:
	s_xor_b32 s8, exec_lo, -1
; %bb.102:
	s_or_b32 exec_lo, exec_lo, s11
	s_delay_alu instid0(SALU_CYCLE_1)
	s_and_b32 s8, s8, exec_lo
                                        ; implicit-def: $vgpr8
	s_or_saveexec_b32 s9, s9
	v_mov_b32_e32 v6, 0x7f800001
	s_xor_b32 exec_lo, exec_lo, s9
	s_cbranch_execz .LBB303_93
.LBB303_103:
	v_cmp_ne_u16_e32 vcc_lo, 0, v8
	v_mov_b32_e32 v6, 0
	s_and_not1_b32 s8, s8, exec_lo
	s_and_b32 s11, vcc_lo, exec_lo
	s_delay_alu instid0(SALU_CYCLE_1)
	s_or_b32 s8, s8, s11
	s_or_b32 exec_lo, exec_lo, s9
	s_and_saveexec_b32 s9, s8
	s_cbranch_execnz .LBB303_94
	s_branch .LBB303_95
.LBB303_104:
	s_mov_b32 s8, -1
	s_mov_b32 s11, exec_lo
	v_cmpx_eq_u16_e32 0x80, v9
; %bb.105:
	s_xor_b32 s8, exec_lo, -1
; %bb.106:
	s_or_b32 exec_lo, exec_lo, s11
	s_delay_alu instid0(SALU_CYCLE_1)
	s_and_b32 s8, s8, exec_lo
                                        ; implicit-def: $vgpr9
	s_or_saveexec_b32 s9, s9
	v_mov_b32_e32 v8, 0x7f800001
	s_xor_b32 exec_lo, exec_lo, s9
	s_cbranch_execz .LBB303_76
.LBB303_107:
	v_cmp_ne_u16_e32 vcc_lo, 0, v9
	v_mov_b32_e32 v8, 0
	s_and_not1_b32 s8, s8, exec_lo
	s_and_b32 s11, vcc_lo, exec_lo
	s_delay_alu instid0(SALU_CYCLE_1)
	s_or_b32 s8, s8, s11
	s_or_b32 exec_lo, exec_lo, s9
	s_and_saveexec_b32 s9, s8
	s_cbranch_execnz .LBB303_77
	s_branch .LBB303_78
.LBB303_108:
	s_mov_b32 s9, 0
	s_mov_b32 s7, 0x7f800001
	s_cbranch_execz .LBB303_110
; %bb.109:
	s_and_b32 s7, 0xffff, s8
	s_delay_alu instid0(SALU_CYCLE_1)
	s_cmp_lg_u32 s7, 0
	s_mov_b32 s7, 0
	s_cselect_b32 s9, -1, 0
.LBB303_110:
	s_delay_alu instid0(SALU_CYCLE_1)
	s_and_not1_b32 vcc_lo, exec_lo, s9
	s_cbranch_vccnz .LBB303_112
; %bb.111:
	s_mov_b32 s7, s3
.LBB303_112:
	v_and_b32_e32 v8, 0xff, v5
	s_mov_b32 s8, 0
	s_mov_b32 s9, exec_lo
	s_delay_alu instid0(VALU_DEP_1)
	v_cmpx_lt_i16_e32 0x7f, v8
	s_xor_b32 s9, exec_lo, s9
	s_cbranch_execnz .LBB303_142
; %bb.113:
	s_or_saveexec_b32 s9, s9
	v_mov_b32_e32 v6, 0x7f800001
	s_xor_b32 exec_lo, exec_lo, s9
	s_cbranch_execnz .LBB303_145
.LBB303_114:
	s_or_b32 exec_lo, exec_lo, s9
	s_and_saveexec_b32 s9, s8
	s_cbranch_execz .LBB303_116
.LBB303_115:
	v_and_b32_e32 v6, 7, v5
	v_lshrrev_b16 v9, 3, v5
	s_delay_alu instid0(VALU_DEP_2) | instskip(NEXT) | instid1(VALU_DEP_1)
	v_clz_i32_u32_e32 v8, v6
	v_min_u32_e32 v8, 32, v8
	s_delay_alu instid0(VALU_DEP_3) | instskip(NEXT) | instid1(VALU_DEP_2)
	v_and_b32_e32 v9, 15, v9
	v_subrev_nc_u32_e32 v10, 28, v8
	v_sub_nc_u32_e32 v8, 29, v8
	s_delay_alu instid0(VALU_DEP_3) | instskip(NEXT) | instid1(VALU_DEP_3)
	v_cmp_eq_u32_e32 vcc_lo, 0, v9
	v_dual_lshlrev_b32 v10, v10, v5 :: v_dual_lshlrev_b32 v5, 24, v5
	s_delay_alu instid0(VALU_DEP_1) | instskip(NEXT) | instid1(VALU_DEP_2)
	v_dual_cndmask_b32 v8, v9, v8, vcc_lo :: v_dual_bitop2_b32 v10, 7, v10 bitop3:0x40
	v_and_b32_e32 v5, 0x80000000, v5
	s_delay_alu instid0(VALU_DEP_2) | instskip(NEXT) | instid1(VALU_DEP_3)
	v_cndmask_b32_e32 v6, v6, v10, vcc_lo
	v_lshl_add_u32 v8, v8, 23, 0x3b800000
	s_delay_alu instid0(VALU_DEP_2) | instskip(NEXT) | instid1(VALU_DEP_1)
	v_lshlrev_b32_e32 v6, 20, v6
	v_or3_b32 v6, v5, v8, v6
.LBB303_116:
	s_or_b32 exec_lo, exec_lo, s9
	s_delay_alu instid0(VALU_DEP_1)
	v_cmp_eq_f32_e64 s7, s7, v6
.LBB303_117:
	s_delay_alu instid0(VALU_DEP_1) | instskip(NEXT) | instid1(VALU_DEP_1)
	v_cndmask_b32_e64 v5, 0, 1, s7
	v_lshl_or_b32 v4, v5, 16, v4
.LBB303_118:
	s_or_b32 exec_lo, exec_lo, s6
	v_or_b32_e32 v5, 0x300, v0
	s_mov_b32 s6, exec_lo
	s_delay_alu instid0(VALU_DEP_1)
	v_cmpx_gt_i32_e64 s2, v5
	s_cbranch_execz .LBB303_156
; %bb.119:
	v_cmp_ne_u32_e32 vcc_lo, 1, v7
	s_cbranch_vccnz .LBB303_124
; %bb.120:
	s_and_b32 s8, s10, 0xff
	s_delay_alu instid0(SALU_CYCLE_1)
	s_cmp_lt_i32 s8, 0x80
	s_cbranch_scc1 .LBB303_125
; %bb.121:
	s_and_b32 s7, 0xffff, s8
	s_mov_b32 s9, -1
	s_cmp_eq_u32 s7, 0x80
	s_cbranch_scc0 .LBB303_123
; %bb.122:
	s_mov_b32 s9, 0
.LBB303_123:
	s_mov_b32 s7, 0x7f800001
	s_branch .LBB303_127
.LBB303_124:
                                        ; implicit-def: $sgpr7
	s_cbranch_execnz .LBB303_134
	s_branch .LBB303_155
.LBB303_125:
	s_mov_b32 s9, 0
	s_mov_b32 s7, 0x7f800001
	s_cbranch_execz .LBB303_127
; %bb.126:
	s_and_b32 s7, 0xffff, s8
	s_delay_alu instid0(SALU_CYCLE_1)
	s_cmp_lg_u32 s7, 0
	s_mov_b32 s7, 0
	s_cselect_b32 s9, -1, 0
.LBB303_127:
	s_delay_alu instid0(SALU_CYCLE_1)
	s_and_not1_b32 vcc_lo, exec_lo, s9
	s_cbranch_vccnz .LBB303_129
; %bb.128:
	s_mov_b32 s7, s3
.LBB303_129:
	v_and_b32_e32 v6, 0xff, v3
	s_mov_b32 s8, 0
	s_mov_b32 s9, exec_lo
	s_delay_alu instid0(VALU_DEP_1)
	v_cmpx_lt_i16_e32 0x7f, v6
	s_xor_b32 s9, exec_lo, s9
	s_cbranch_execnz .LBB303_138
; %bb.130:
	s_or_saveexec_b32 s9, s9
	v_mov_b32_e32 v5, 0x7f800001
	s_xor_b32 exec_lo, exec_lo, s9
	s_cbranch_execnz .LBB303_141
.LBB303_131:
	s_or_b32 exec_lo, exec_lo, s9
	s_and_saveexec_b32 s9, s8
	s_cbranch_execz .LBB303_133
.LBB303_132:
	v_and_b32_e32 v5, 7, v3
	v_lshrrev_b16 v7, 3, v3
	v_lshlrev_b32_e32 v9, 24, v3
	s_delay_alu instid0(VALU_DEP_3) | instskip(NEXT) | instid1(VALU_DEP_1)
	v_clz_i32_u32_e32 v6, v5
	v_min_u32_e32 v6, 32, v6
	s_delay_alu instid0(VALU_DEP_4) | instskip(NEXT) | instid1(VALU_DEP_2)
	v_and_b32_e32 v7, 15, v7
	v_subrev_nc_u32_e32 v8, 28, v6
	v_sub_nc_u32_e32 v6, 29, v6
	s_delay_alu instid0(VALU_DEP_3) | instskip(NEXT) | instid1(VALU_DEP_3)
	v_cmp_eq_u32_e32 vcc_lo, 0, v7
	v_lshlrev_b32_e32 v8, v8, v3
	s_delay_alu instid0(VALU_DEP_1) | instskip(SKIP_1) | instid1(VALU_DEP_2)
	v_dual_cndmask_b32 v6, v7, v6, vcc_lo :: v_dual_bitop2_b32 v8, 7, v8 bitop3:0x40
	v_and_b32_e32 v7, 0x80000000, v9
	v_cndmask_b32_e32 v5, v5, v8, vcc_lo
	s_delay_alu instid0(VALU_DEP_3) | instskip(NEXT) | instid1(VALU_DEP_2)
	v_lshl_add_u32 v6, v6, 23, 0x3b800000
	v_lshlrev_b32_e32 v5, 20, v5
	s_delay_alu instid0(VALU_DEP_1)
	v_or3_b32 v5, v7, v6, v5
.LBB303_133:
	s_or_b32 exec_lo, exec_lo, s9
	s_delay_alu instid0(VALU_DEP_1)
	v_cmp_neq_f32_e64 s7, s7, v5
	s_branch .LBB303_155
.LBB303_134:
	s_and_b32 s8, s10, 0xff
	s_delay_alu instid0(SALU_CYCLE_1)
	s_cmp_lt_i32 s8, 0x80
	s_cbranch_scc1 .LBB303_146
; %bb.135:
	s_and_b32 s7, 0xffff, s8
	s_mov_b32 s9, -1
	s_cmp_eq_u32 s7, 0x80
	s_cbranch_scc0 .LBB303_137
; %bb.136:
	s_mov_b32 s9, 0
.LBB303_137:
	s_mov_b32 s7, 0x7f800001
	s_branch .LBB303_148
.LBB303_138:
	s_mov_b32 s8, -1
	s_mov_b32 s11, exec_lo
	v_cmpx_eq_u16_e32 0x80, v6
; %bb.139:
	s_xor_b32 s8, exec_lo, -1
; %bb.140:
	s_or_b32 exec_lo, exec_lo, s11
	s_delay_alu instid0(SALU_CYCLE_1)
	s_and_b32 s8, s8, exec_lo
                                        ; implicit-def: $vgpr6
	s_or_saveexec_b32 s9, s9
	v_mov_b32_e32 v5, 0x7f800001
	s_xor_b32 exec_lo, exec_lo, s9
	s_cbranch_execz .LBB303_131
.LBB303_141:
	v_cmp_ne_u16_e32 vcc_lo, 0, v6
	v_mov_b32_e32 v5, 0
	s_and_not1_b32 s8, s8, exec_lo
	s_and_b32 s11, vcc_lo, exec_lo
	s_delay_alu instid0(SALU_CYCLE_1)
	s_or_b32 s8, s8, s11
	s_or_b32 exec_lo, exec_lo, s9
	s_and_saveexec_b32 s9, s8
	s_cbranch_execnz .LBB303_132
	s_branch .LBB303_133
.LBB303_142:
	s_mov_b32 s8, -1
	s_mov_b32 s11, exec_lo
	v_cmpx_eq_u16_e32 0x80, v8
; %bb.143:
	s_xor_b32 s8, exec_lo, -1
; %bb.144:
	s_or_b32 exec_lo, exec_lo, s11
	s_delay_alu instid0(SALU_CYCLE_1)
	s_and_b32 s8, s8, exec_lo
                                        ; implicit-def: $vgpr8
	s_or_saveexec_b32 s9, s9
	v_mov_b32_e32 v6, 0x7f800001
	s_xor_b32 exec_lo, exec_lo, s9
	s_cbranch_execz .LBB303_114
.LBB303_145:
	v_cmp_ne_u16_e32 vcc_lo, 0, v8
	v_mov_b32_e32 v6, 0
	s_and_not1_b32 s8, s8, exec_lo
	s_and_b32 s11, vcc_lo, exec_lo
	s_delay_alu instid0(SALU_CYCLE_1)
	s_or_b32 s8, s8, s11
	s_or_b32 exec_lo, exec_lo, s9
	s_and_saveexec_b32 s9, s8
	s_cbranch_execnz .LBB303_115
	s_branch .LBB303_116
.LBB303_146:
	s_mov_b32 s9, 0
	s_mov_b32 s7, 0x7f800001
	s_cbranch_execz .LBB303_148
; %bb.147:
	s_and_b32 s7, 0xffff, s8
	s_delay_alu instid0(SALU_CYCLE_1)
	s_cmp_lg_u32 s7, 0
	s_mov_b32 s7, 0
	s_cselect_b32 s9, -1, 0
.LBB303_148:
	s_delay_alu instid0(SALU_CYCLE_1)
	s_and_not1_b32 vcc_lo, exec_lo, s9
	s_cbranch_vccnz .LBB303_150
; %bb.149:
	s_mov_b32 s7, s3
.LBB303_150:
	v_and_b32_e32 v6, 0xff, v3
	s_mov_b32 s3, 0
	s_mov_b32 s8, exec_lo
	s_delay_alu instid0(VALU_DEP_1)
	v_cmpx_lt_i16_e32 0x7f, v6
	s_xor_b32 s8, exec_lo, s8
	s_cbranch_execnz .LBB303_165
; %bb.151:
	s_or_saveexec_b32 s8, s8
	v_mov_b32_e32 v5, 0x7f800001
	s_xor_b32 exec_lo, exec_lo, s8
	s_cbranch_execnz .LBB303_168
.LBB303_152:
	s_or_b32 exec_lo, exec_lo, s8
	s_and_saveexec_b32 s8, s3
	s_cbranch_execz .LBB303_154
.LBB303_153:
	v_and_b32_e32 v5, 7, v3
	v_lshrrev_b16 v7, 3, v3
	s_delay_alu instid0(VALU_DEP_2) | instskip(NEXT) | instid1(VALU_DEP_1)
	v_clz_i32_u32_e32 v6, v5
	v_min_u32_e32 v6, 32, v6
	s_delay_alu instid0(VALU_DEP_3) | instskip(NEXT) | instid1(VALU_DEP_2)
	v_and_b32_e32 v7, 15, v7
	v_subrev_nc_u32_e32 v8, 28, v6
	v_sub_nc_u32_e32 v6, 29, v6
	s_delay_alu instid0(VALU_DEP_3) | instskip(NEXT) | instid1(VALU_DEP_3)
	v_cmp_eq_u32_e32 vcc_lo, 0, v7
	v_dual_lshlrev_b32 v8, v8, v3 :: v_dual_lshlrev_b32 v3, 24, v3
	s_delay_alu instid0(VALU_DEP_1) | instskip(NEXT) | instid1(VALU_DEP_2)
	v_dual_cndmask_b32 v6, v7, v6, vcc_lo :: v_dual_bitop2_b32 v8, 7, v8 bitop3:0x40
	v_and_b32_e32 v3, 0x80000000, v3
	s_delay_alu instid0(VALU_DEP_2) | instskip(NEXT) | instid1(VALU_DEP_3)
	v_cndmask_b32_e32 v5, v5, v8, vcc_lo
	v_lshl_add_u32 v6, v6, 23, 0x3b800000
	s_delay_alu instid0(VALU_DEP_2) | instskip(NEXT) | instid1(VALU_DEP_1)
	v_lshlrev_b32_e32 v5, 20, v5
	v_or3_b32 v5, v3, v6, v5
.LBB303_154:
	s_or_b32 exec_lo, exec_lo, s8
	s_delay_alu instid0(VALU_DEP_1)
	v_cmp_eq_f32_e64 s7, s7, v5
.LBB303_155:
	s_delay_alu instid0(VALU_DEP_1) | instskip(SKIP_1) | instid1(VALU_DEP_2)
	v_cndmask_b32_e64 v3, 0, 1, s7
	v_lshrrev_b32_e32 v5, 16, v4
	v_lshlrev_b16 v3, 8, v3
	s_delay_alu instid0(VALU_DEP_1) | instskip(NEXT) | instid1(VALU_DEP_1)
	v_or_b32_e32 v3, v5, v3
	v_lshlrev_b32_e32 v3, 16, v3
	s_delay_alu instid0(VALU_DEP_1)
	v_and_or_b32 v4, 0xffff, v4, v3
.LBB303_156:
	s_or_b32 exec_lo, exec_lo, s6
	s_and_saveexec_b32 s3, s0
	s_delay_alu instid0(SALU_CYCLE_1)
	s_xor_b32 s0, exec_lo, s3
	s_cbranch_execz .LBB303_158
; %bb.157:
	v_mov_b32_e32 v0, v1
	global_store_b8 v2, v4, s[4:5]
.LBB303_158:
	s_wait_xcnt 0x0
	s_or_b32 exec_lo, exec_lo, s0
	s_delay_alu instid0(SALU_CYCLE_1)
	s_mov_b32 s0, exec_lo
	v_cmpx_gt_i32_e64 s2, v0
	s_cbranch_execnz .LBB303_162
; %bb.159:
	s_or_b32 exec_lo, exec_lo, s0
	s_delay_alu instid0(SALU_CYCLE_1)
	s_mov_b32 s0, exec_lo
	v_cmpx_gt_i32_e64 s2, v0
	s_cbranch_execnz .LBB303_163
.LBB303_160:
	s_or_b32 exec_lo, exec_lo, s0
	s_delay_alu instid0(SALU_CYCLE_1)
	s_mov_b32 s0, exec_lo
	v_cmpx_gt_i32_e64 s2, v0
	s_cbranch_execnz .LBB303_164
.LBB303_161:
	s_endpgm
.LBB303_162:
	v_add_nc_u32_e32 v1, 0x100, v0
	v_add_nc_u32_e32 v2, s1, v0
	s_delay_alu instid0(VALU_DEP_2) | instskip(SKIP_3) | instid1(SALU_CYCLE_1)
	v_dual_mov_b32 v0, v1 :: v_dual_lshrrev_b32 v3, 8, v4
	global_store_b8 v2, v3, s[4:5]
	s_wait_xcnt 0x0
	s_or_b32 exec_lo, exec_lo, s0
	s_mov_b32 s0, exec_lo
	v_cmpx_gt_i32_e64 s2, v0
	s_cbranch_execz .LBB303_160
.LBB303_163:
	v_add_nc_u32_e32 v1, 0x100, v0
	s_delay_alu instid0(VALU_DEP_1) | instskip(SKIP_3) | instid1(SALU_CYCLE_1)
	v_dual_add_nc_u32 v2, s1, v0 :: v_dual_mov_b32 v0, v1
	global_store_d16_hi_b8 v2, v4, s[4:5]
	s_wait_xcnt 0x0
	s_or_b32 exec_lo, exec_lo, s0
	s_mov_b32 s0, exec_lo
	v_cmpx_gt_i32_e64 s2, v0
	s_cbranch_execz .LBB303_161
.LBB303_164:
	v_add_nc_u32_e32 v0, s1, v0
	v_lshrrev_b32_e32 v1, 24, v4
	global_store_b8 v0, v1, s[4:5]
	s_endpgm
.LBB303_165:
	s_mov_b32 s3, -1
	s_mov_b32 s9, exec_lo
	v_cmpx_eq_u16_e32 0x80, v6
; %bb.166:
	s_xor_b32 s3, exec_lo, -1
; %bb.167:
	s_or_b32 exec_lo, exec_lo, s9
	s_delay_alu instid0(SALU_CYCLE_1)
	s_and_b32 s3, s3, exec_lo
                                        ; implicit-def: $vgpr6
	s_or_saveexec_b32 s8, s8
	v_mov_b32_e32 v5, 0x7f800001
	s_xor_b32 exec_lo, exec_lo, s8
	s_cbranch_execz .LBB303_152
.LBB303_168:
	v_cmp_ne_u16_e32 vcc_lo, 0, v6
	v_mov_b32_e32 v5, 0
	s_and_not1_b32 s3, s3, exec_lo
	s_and_b32 s9, vcc_lo, exec_lo
	s_delay_alu instid0(SALU_CYCLE_1)
	s_or_b32 s3, s3, s9
	s_or_b32 exec_lo, exec_lo, s8
	s_and_saveexec_b32 s8, s3
	s_cbranch_execnz .LBB303_153
	s_branch .LBB303_154
	.section	.rodata,"a",@progbits
	.p2align	6, 0x0
	.amdhsa_kernel _ZN2at6native27unrolled_elementwise_kernelINS0_13AUnaryFunctorIN3c1015Float8_e4m3fnuzES4_bNS0_12_GLOBAL__N_116CompareEqFunctorIS4_EEEESt5arrayIPcLm2EELi4E23TrivialOffsetCalculatorILi1EjESD_NS0_6memory15LoadWithoutCastENSE_16StoreWithoutCastEEEviT_T0_T2_T3_T4_T5_
		.amdhsa_group_segment_fixed_size 0
		.amdhsa_private_segment_fixed_size 0
		.amdhsa_kernarg_size 36
		.amdhsa_user_sgpr_count 2
		.amdhsa_user_sgpr_dispatch_ptr 0
		.amdhsa_user_sgpr_queue_ptr 0
		.amdhsa_user_sgpr_kernarg_segment_ptr 1
		.amdhsa_user_sgpr_dispatch_id 0
		.amdhsa_user_sgpr_kernarg_preload_length 0
		.amdhsa_user_sgpr_kernarg_preload_offset 0
		.amdhsa_user_sgpr_private_segment_size 0
		.amdhsa_wavefront_size32 1
		.amdhsa_uses_dynamic_stack 0
		.amdhsa_enable_private_segment 0
		.amdhsa_system_sgpr_workgroup_id_x 1
		.amdhsa_system_sgpr_workgroup_id_y 0
		.amdhsa_system_sgpr_workgroup_id_z 0
		.amdhsa_system_sgpr_workgroup_info 0
		.amdhsa_system_vgpr_workitem_id 0
		.amdhsa_next_free_vgpr 13
		.amdhsa_next_free_sgpr 13
		.amdhsa_named_barrier_count 0
		.amdhsa_reserve_vcc 1
		.amdhsa_float_round_mode_32 0
		.amdhsa_float_round_mode_16_64 0
		.amdhsa_float_denorm_mode_32 3
		.amdhsa_float_denorm_mode_16_64 3
		.amdhsa_fp16_overflow 0
		.amdhsa_memory_ordered 1
		.amdhsa_forward_progress 1
		.amdhsa_inst_pref_size 34
		.amdhsa_round_robin_scheduling 0
		.amdhsa_exception_fp_ieee_invalid_op 0
		.amdhsa_exception_fp_denorm_src 0
		.amdhsa_exception_fp_ieee_div_zero 0
		.amdhsa_exception_fp_ieee_overflow 0
		.amdhsa_exception_fp_ieee_underflow 0
		.amdhsa_exception_fp_ieee_inexact 0
		.amdhsa_exception_int_div_zero 0
	.end_amdhsa_kernel
	.section	.text._ZN2at6native27unrolled_elementwise_kernelINS0_13AUnaryFunctorIN3c1015Float8_e4m3fnuzES4_bNS0_12_GLOBAL__N_116CompareEqFunctorIS4_EEEESt5arrayIPcLm2EELi4E23TrivialOffsetCalculatorILi1EjESD_NS0_6memory15LoadWithoutCastENSE_16StoreWithoutCastEEEviT_T0_T2_T3_T4_T5_,"axG",@progbits,_ZN2at6native27unrolled_elementwise_kernelINS0_13AUnaryFunctorIN3c1015Float8_e4m3fnuzES4_bNS0_12_GLOBAL__N_116CompareEqFunctorIS4_EEEESt5arrayIPcLm2EELi4E23TrivialOffsetCalculatorILi1EjESD_NS0_6memory15LoadWithoutCastENSE_16StoreWithoutCastEEEviT_T0_T2_T3_T4_T5_,comdat
.Lfunc_end303:
	.size	_ZN2at6native27unrolled_elementwise_kernelINS0_13AUnaryFunctorIN3c1015Float8_e4m3fnuzES4_bNS0_12_GLOBAL__N_116CompareEqFunctorIS4_EEEESt5arrayIPcLm2EELi4E23TrivialOffsetCalculatorILi1EjESD_NS0_6memory15LoadWithoutCastENSE_16StoreWithoutCastEEEviT_T0_T2_T3_T4_T5_, .Lfunc_end303-_ZN2at6native27unrolled_elementwise_kernelINS0_13AUnaryFunctorIN3c1015Float8_e4m3fnuzES4_bNS0_12_GLOBAL__N_116CompareEqFunctorIS4_EEEESt5arrayIPcLm2EELi4E23TrivialOffsetCalculatorILi1EjESD_NS0_6memory15LoadWithoutCastENSE_16StoreWithoutCastEEEviT_T0_T2_T3_T4_T5_
                                        ; -- End function
	.set _ZN2at6native27unrolled_elementwise_kernelINS0_13AUnaryFunctorIN3c1015Float8_e4m3fnuzES4_bNS0_12_GLOBAL__N_116CompareEqFunctorIS4_EEEESt5arrayIPcLm2EELi4E23TrivialOffsetCalculatorILi1EjESD_NS0_6memory15LoadWithoutCastENSE_16StoreWithoutCastEEEviT_T0_T2_T3_T4_T5_.num_vgpr, 13
	.set _ZN2at6native27unrolled_elementwise_kernelINS0_13AUnaryFunctorIN3c1015Float8_e4m3fnuzES4_bNS0_12_GLOBAL__N_116CompareEqFunctorIS4_EEEESt5arrayIPcLm2EELi4E23TrivialOffsetCalculatorILi1EjESD_NS0_6memory15LoadWithoutCastENSE_16StoreWithoutCastEEEviT_T0_T2_T3_T4_T5_.num_agpr, 0
	.set _ZN2at6native27unrolled_elementwise_kernelINS0_13AUnaryFunctorIN3c1015Float8_e4m3fnuzES4_bNS0_12_GLOBAL__N_116CompareEqFunctorIS4_EEEESt5arrayIPcLm2EELi4E23TrivialOffsetCalculatorILi1EjESD_NS0_6memory15LoadWithoutCastENSE_16StoreWithoutCastEEEviT_T0_T2_T3_T4_T5_.numbered_sgpr, 13
	.set _ZN2at6native27unrolled_elementwise_kernelINS0_13AUnaryFunctorIN3c1015Float8_e4m3fnuzES4_bNS0_12_GLOBAL__N_116CompareEqFunctorIS4_EEEESt5arrayIPcLm2EELi4E23TrivialOffsetCalculatorILi1EjESD_NS0_6memory15LoadWithoutCastENSE_16StoreWithoutCastEEEviT_T0_T2_T3_T4_T5_.num_named_barrier, 0
	.set _ZN2at6native27unrolled_elementwise_kernelINS0_13AUnaryFunctorIN3c1015Float8_e4m3fnuzES4_bNS0_12_GLOBAL__N_116CompareEqFunctorIS4_EEEESt5arrayIPcLm2EELi4E23TrivialOffsetCalculatorILi1EjESD_NS0_6memory15LoadWithoutCastENSE_16StoreWithoutCastEEEviT_T0_T2_T3_T4_T5_.private_seg_size, 0
	.set _ZN2at6native27unrolled_elementwise_kernelINS0_13AUnaryFunctorIN3c1015Float8_e4m3fnuzES4_bNS0_12_GLOBAL__N_116CompareEqFunctorIS4_EEEESt5arrayIPcLm2EELi4E23TrivialOffsetCalculatorILi1EjESD_NS0_6memory15LoadWithoutCastENSE_16StoreWithoutCastEEEviT_T0_T2_T3_T4_T5_.uses_vcc, 1
	.set _ZN2at6native27unrolled_elementwise_kernelINS0_13AUnaryFunctorIN3c1015Float8_e4m3fnuzES4_bNS0_12_GLOBAL__N_116CompareEqFunctorIS4_EEEESt5arrayIPcLm2EELi4E23TrivialOffsetCalculatorILi1EjESD_NS0_6memory15LoadWithoutCastENSE_16StoreWithoutCastEEEviT_T0_T2_T3_T4_T5_.uses_flat_scratch, 0
	.set _ZN2at6native27unrolled_elementwise_kernelINS0_13AUnaryFunctorIN3c1015Float8_e4m3fnuzES4_bNS0_12_GLOBAL__N_116CompareEqFunctorIS4_EEEESt5arrayIPcLm2EELi4E23TrivialOffsetCalculatorILi1EjESD_NS0_6memory15LoadWithoutCastENSE_16StoreWithoutCastEEEviT_T0_T2_T3_T4_T5_.has_dyn_sized_stack, 0
	.set _ZN2at6native27unrolled_elementwise_kernelINS0_13AUnaryFunctorIN3c1015Float8_e4m3fnuzES4_bNS0_12_GLOBAL__N_116CompareEqFunctorIS4_EEEESt5arrayIPcLm2EELi4E23TrivialOffsetCalculatorILi1EjESD_NS0_6memory15LoadWithoutCastENSE_16StoreWithoutCastEEEviT_T0_T2_T3_T4_T5_.has_recursion, 0
	.set _ZN2at6native27unrolled_elementwise_kernelINS0_13AUnaryFunctorIN3c1015Float8_e4m3fnuzES4_bNS0_12_GLOBAL__N_116CompareEqFunctorIS4_EEEESt5arrayIPcLm2EELi4E23TrivialOffsetCalculatorILi1EjESD_NS0_6memory15LoadWithoutCastENSE_16StoreWithoutCastEEEviT_T0_T2_T3_T4_T5_.has_indirect_call, 0
	.section	.AMDGPU.csdata,"",@progbits
; Kernel info:
; codeLenInByte = 4320
; TotalNumSgprs: 15
; NumVgprs: 13
; ScratchSize: 0
; MemoryBound: 0
; FloatMode: 240
; IeeeMode: 1
; LDSByteSize: 0 bytes/workgroup (compile time only)
; SGPRBlocks: 0
; VGPRBlocks: 0
; NumSGPRsForWavesPerEU: 15
; NumVGPRsForWavesPerEU: 13
; NamedBarCnt: 0
; Occupancy: 16
; WaveLimiterHint : 0
; COMPUTE_PGM_RSRC2:SCRATCH_EN: 0
; COMPUTE_PGM_RSRC2:USER_SGPR: 2
; COMPUTE_PGM_RSRC2:TRAP_HANDLER: 0
; COMPUTE_PGM_RSRC2:TGID_X_EN: 1
; COMPUTE_PGM_RSRC2:TGID_Y_EN: 0
; COMPUTE_PGM_RSRC2:TGID_Z_EN: 0
; COMPUTE_PGM_RSRC2:TIDIG_COMP_CNT: 0
	.section	.text._ZN2at6native32elementwise_kernel_manual_unrollILi128ELi8EZNS0_22gpu_kernel_impl_nocastINS0_13AUnaryFunctorIN3c1015Float8_e4m3fnuzES5_bNS0_12_GLOBAL__N_116CompareEqFunctorIS5_EEEEEEvRNS_18TensorIteratorBaseERKT_EUlibE_EEviT1_,"axG",@progbits,_ZN2at6native32elementwise_kernel_manual_unrollILi128ELi8EZNS0_22gpu_kernel_impl_nocastINS0_13AUnaryFunctorIN3c1015Float8_e4m3fnuzES5_bNS0_12_GLOBAL__N_116CompareEqFunctorIS5_EEEEEEvRNS_18TensorIteratorBaseERKT_EUlibE_EEviT1_,comdat
	.globl	_ZN2at6native32elementwise_kernel_manual_unrollILi128ELi8EZNS0_22gpu_kernel_impl_nocastINS0_13AUnaryFunctorIN3c1015Float8_e4m3fnuzES5_bNS0_12_GLOBAL__N_116CompareEqFunctorIS5_EEEEEEvRNS_18TensorIteratorBaseERKT_EUlibE_EEviT1_ ; -- Begin function _ZN2at6native32elementwise_kernel_manual_unrollILi128ELi8EZNS0_22gpu_kernel_impl_nocastINS0_13AUnaryFunctorIN3c1015Float8_e4m3fnuzES5_bNS0_12_GLOBAL__N_116CompareEqFunctorIS5_EEEEEEvRNS_18TensorIteratorBaseERKT_EUlibE_EEviT1_
	.p2align	8
	.type	_ZN2at6native32elementwise_kernel_manual_unrollILi128ELi8EZNS0_22gpu_kernel_impl_nocastINS0_13AUnaryFunctorIN3c1015Float8_e4m3fnuzES5_bNS0_12_GLOBAL__N_116CompareEqFunctorIS5_EEEEEEvRNS_18TensorIteratorBaseERKT_EUlibE_EEviT1_,@function
_ZN2at6native32elementwise_kernel_manual_unrollILi128ELi8EZNS0_22gpu_kernel_impl_nocastINS0_13AUnaryFunctorIN3c1015Float8_e4m3fnuzES5_bNS0_12_GLOBAL__N_116CompareEqFunctorIS5_EEEEEEvRNS_18TensorIteratorBaseERKT_EUlibE_EEviT1_: ; @_ZN2at6native32elementwise_kernel_manual_unrollILi128ELi8EZNS0_22gpu_kernel_impl_nocastINS0_13AUnaryFunctorIN3c1015Float8_e4m3fnuzES5_bNS0_12_GLOBAL__N_116CompareEqFunctorIS5_EEEEEEvRNS_18TensorIteratorBaseERKT_EUlibE_EEviT1_
; %bb.0:
	s_clause 0x1
	s_load_b32 s30, s[0:1], 0x8
	s_load_b32 s36, s[0:1], 0x0
	s_bfe_u32 s2, ttmp6, 0x4000c
	s_and_b32 s3, ttmp6, 15
	s_add_co_i32 s2, s2, 1
	s_getreg_b32 s4, hwreg(HW_REG_IB_STS2, 6, 4)
	s_mul_i32 s2, ttmp9, s2
	s_add_nc_u64 s[12:13], s[0:1], 8
	s_add_co_i32 s3, s3, s2
	s_cmp_eq_u32 s4, 0
	s_mov_b32 s17, 0
	s_cselect_b32 s2, ttmp9, s3
	s_wait_xcnt 0x0
	s_mov_b32 s0, exec_lo
	v_lshl_or_b32 v0, s2, 10, v0
	s_delay_alu instid0(VALU_DEP_1) | instskip(SKIP_2) | instid1(SALU_CYCLE_1)
	v_or_b32_e32 v16, 0x380, v0
	s_wait_kmcnt 0x0
	s_add_co_i32 s31, s30, -1
	s_cmp_gt_u32 s31, 1
	s_cselect_b32 s33, -1, 0
	v_cmpx_le_i32_e64 s36, v16
	s_xor_b32 s34, exec_lo, s0
	s_cbranch_execz .LBB304_414
; %bb.1:
	s_clause 0x1
	s_load_b64 s[14:15], s[12:13], 0x158
	s_load_b128 s[4:7], s[12:13], 0x4
	s_cmp_lg_u32 s30, 0
	s_load_b64 s[18:19], s[12:13], 0x14
	s_cselect_b32 s38, -1, 0
	s_min_u32 s37, s31, 15
	s_cmp_gt_u32 s30, 1
	s_clause 0x1
	s_load_b128 s[8:11], s[12:13], 0xc4
	s_load_b128 s[0:3], s[12:13], 0x148
	s_cselect_b32 s35, -1, 0
	s_add_nc_u64 s[22:23], s[12:13], 0xc4
	s_wait_kmcnt 0x0
	s_cmp_lg_u32 s14, 0
	s_cselect_b32 s14, -1, 0
	s_and_b32 s21, s15, 7
	s_bfe_u32 s24, s15, 0x40003
	s_clz_i32_u32 s16, s21
	s_delay_alu instid0(SALU_CYCLE_1)
	s_min_u32 s20, s16, 32
	s_mov_b32 s16, s5
	s_sub_co_i32 s5, s20, 28
	s_sub_co_i32 s25, 29, s20
	s_lshl_b32 s5, s15, s5
	s_mov_b32 s20, s18
	s_and_b32 s5, s5, 7
	s_cmp_eq_u32 s24, 0
	s_cselect_b32 s18, s25, s24
	s_cselect_b32 s5, s5, s21
	s_lshl_b32 s21, s15, 24
	s_lshl_b32 s18, s18, 23
	s_and_b32 s21, s21, 0x80000000
	s_add_co_i32 s18, s18, 0x3b800000
	s_lshl_b32 s5, s5, 20
	s_or_b32 s18, s21, s18
	s_mov_b32 s21, s17
	s_or_b32 s5, s18, s5
	s_mov_b32 s18, exec_lo
	v_cmpx_gt_i32_e64 s36, v0
	s_cbranch_execnz .LBB304_9
; %bb.2:
	s_or_b32 exec_lo, exec_lo, s18
	s_delay_alu instid0(SALU_CYCLE_1)
	s_mov_b32 s18, exec_lo
	v_cmpx_gt_i32_e64 s36, v0
	s_cbranch_execnz .LBB304_56
.LBB304_3:
	s_or_b32 exec_lo, exec_lo, s18
	s_delay_alu instid0(SALU_CYCLE_1)
	s_mov_b32 s18, exec_lo
	v_cmpx_gt_i32_e64 s36, v0
	s_cbranch_execnz .LBB304_107
.LBB304_4:
	s_or_b32 exec_lo, exec_lo, s18
	s_delay_alu instid0(SALU_CYCLE_1)
	s_mov_b32 s18, exec_lo
	v_cmpx_gt_i32_e64 s36, v0
	s_cbranch_execnz .LBB304_158
.LBB304_5:
	s_or_b32 exec_lo, exec_lo, s18
	s_delay_alu instid0(SALU_CYCLE_1)
	s_mov_b32 s18, exec_lo
	v_cmpx_gt_i32_e64 s36, v0
	s_cbranch_execnz .LBB304_209
.LBB304_6:
	s_or_b32 exec_lo, exec_lo, s18
	s_delay_alu instid0(SALU_CYCLE_1)
	s_mov_b32 s18, exec_lo
	v_cmpx_gt_i32_e64 s36, v0
	s_cbranch_execnz .LBB304_260
.LBB304_7:
	s_or_b32 exec_lo, exec_lo, s18
	s_delay_alu instid0(SALU_CYCLE_1)
	s_mov_b32 s18, exec_lo
	v_cmpx_gt_i32_e64 s36, v0
	s_cbranch_execnz .LBB304_311
.LBB304_8:
	s_or_b32 exec_lo, exec_lo, s18
	s_delay_alu instid0(SALU_CYCLE_1)
	s_mov_b32 s18, exec_lo
	v_cmpx_gt_i32_e64 s36, v0
	s_cbranch_execnz .LBB304_362
	s_branch .LBB304_413
.LBB304_9:
	s_and_not1_b32 vcc_lo, exec_lo, s33
	s_cbranch_vccnz .LBB304_14
; %bb.10:
	s_and_not1_b32 vcc_lo, exec_lo, s38
	s_cbranch_vccnz .LBB304_15
; %bb.11:
	s_add_co_i32 s25, s37, 1
	s_cmp_eq_u32 s31, 2
	s_cbranch_scc1 .LBB304_16
; %bb.12:
	v_dual_mov_b32 v2, 0 :: v_dual_mov_b32 v3, 0
	v_mov_b32_e32 v1, v0
	s_and_b32 s24, s25, 28
	s_mov_b32 s39, 0
	s_mov_b64 s[26:27], s[12:13]
	s_mov_b64 s[28:29], s[22:23]
.LBB304_13:                             ; =>This Inner Loop Header: Depth=1
	s_clause 0x1
	s_load_b256 s[40:47], s[26:27], 0x4
	s_load_b128 s[56:59], s[26:27], 0x24
	s_load_b256 s[48:55], s[28:29], 0x0
	s_add_co_i32 s39, s39, 4
	s_wait_xcnt 0x0
	s_add_nc_u64 s[26:27], s[26:27], 48
	s_cmp_lg_u32 s24, s39
	s_add_nc_u64 s[28:29], s[28:29], 32
	s_wait_kmcnt 0x0
	v_mul_hi_u32 v4, s41, v1
	s_delay_alu instid0(VALU_DEP_1) | instskip(NEXT) | instid1(VALU_DEP_1)
	v_add_nc_u32_e32 v4, v1, v4
	v_lshrrev_b32_e32 v4, s42, v4
	s_delay_alu instid0(VALU_DEP_1) | instskip(NEXT) | instid1(VALU_DEP_1)
	v_mul_hi_u32 v5, s44, v4
	v_add_nc_u32_e32 v5, v4, v5
	s_delay_alu instid0(VALU_DEP_1) | instskip(NEXT) | instid1(VALU_DEP_1)
	v_lshrrev_b32_e32 v5, s45, v5
	v_mul_hi_u32 v6, s47, v5
	s_delay_alu instid0(VALU_DEP_1) | instskip(SKIP_1) | instid1(VALU_DEP_1)
	v_add_nc_u32_e32 v6, v5, v6
	v_mul_lo_u32 v7, v4, s40
	v_sub_nc_u32_e32 v1, v1, v7
	v_mul_lo_u32 v7, v5, s43
	s_delay_alu instid0(VALU_DEP_4) | instskip(NEXT) | instid1(VALU_DEP_3)
	v_lshrrev_b32_e32 v6, s56, v6
	v_mad_u32 v3, v1, s49, v3
	v_mad_u32 v1, v1, s48, v2
	s_delay_alu instid0(VALU_DEP_4) | instskip(NEXT) | instid1(VALU_DEP_4)
	v_sub_nc_u32_e32 v2, v4, v7
	v_mul_hi_u32 v8, s58, v6
	v_mul_lo_u32 v4, v6, s46
	s_delay_alu instid0(VALU_DEP_3) | instskip(SKIP_1) | instid1(VALU_DEP_4)
	v_mad_u32 v3, v2, s51, v3
	v_mad_u32 v2, v2, s50, v1
	v_add_nc_u32_e32 v7, v6, v8
	s_delay_alu instid0(VALU_DEP_1) | instskip(NEXT) | instid1(VALU_DEP_1)
	v_dual_sub_nc_u32 v4, v5, v4 :: v_dual_lshrrev_b32 v1, s59, v7
	v_mad_u32 v3, v4, s53, v3
	s_delay_alu instid0(VALU_DEP_4) | instskip(NEXT) | instid1(VALU_DEP_3)
	v_mad_u32 v2, v4, s52, v2
	v_mul_lo_u32 v5, v1, s57
	s_delay_alu instid0(VALU_DEP_1) | instskip(NEXT) | instid1(VALU_DEP_1)
	v_sub_nc_u32_e32 v4, v6, v5
	v_mad_u32 v3, v4, s55, v3
	s_delay_alu instid0(VALU_DEP_4)
	v_mad_u32 v2, v4, s54, v2
	s_cbranch_scc1 .LBB304_13
	s_branch .LBB304_17
.LBB304_14:
                                        ; implicit-def: $vgpr3
	s_branch .LBB304_21
.LBB304_15:
	v_dual_mov_b32 v3, 0 :: v_dual_mov_b32 v2, 0
	s_branch .LBB304_20
.LBB304_16:
	v_mov_b64_e32 v[2:3], 0
	v_mov_b32_e32 v1, v0
	s_mov_b32 s24, 0
.LBB304_17:
	s_and_b32 s28, s25, 3
	s_mov_b32 s25, 0
	s_cmp_eq_u32 s28, 0
	s_cbranch_scc1 .LBB304_20
; %bb.18:
	s_lshl_b32 s26, s24, 3
	s_mov_b32 s27, s25
	s_mul_u64 s[40:41], s[24:25], 12
	s_add_nc_u64 s[26:27], s[12:13], s[26:27]
	s_delay_alu instid0(SALU_CYCLE_1)
	s_add_nc_u64 s[24:25], s[26:27], 0xc4
	s_add_nc_u64 s[26:27], s[12:13], s[40:41]
.LBB304_19:                             ; =>This Inner Loop Header: Depth=1
	s_load_b96 s[40:42], s[26:27], 0x4
	s_add_co_i32 s28, s28, -1
	s_wait_xcnt 0x0
	s_add_nc_u64 s[26:27], s[26:27], 12
	s_cmp_lg_u32 s28, 0
	s_wait_kmcnt 0x0
	v_mul_hi_u32 v4, s41, v1
	s_delay_alu instid0(VALU_DEP_1) | instskip(NEXT) | instid1(VALU_DEP_1)
	v_add_nc_u32_e32 v4, v1, v4
	v_lshrrev_b32_e32 v4, s42, v4
	s_load_b64 s[42:43], s[24:25], 0x0
	s_wait_xcnt 0x0
	s_add_nc_u64 s[24:25], s[24:25], 8
	s_delay_alu instid0(VALU_DEP_1) | instskip(NEXT) | instid1(VALU_DEP_1)
	v_mul_lo_u32 v5, v4, s40
	v_sub_nc_u32_e32 v1, v1, v5
	s_wait_kmcnt 0x0
	s_delay_alu instid0(VALU_DEP_1)
	v_mad_u32 v3, v1, s43, v3
	v_mad_u32 v2, v1, s42, v2
	v_mov_b32_e32 v1, v4
	s_cbranch_scc1 .LBB304_19
.LBB304_20:
	s_cbranch_execnz .LBB304_23
.LBB304_21:
	v_mov_b32_e32 v1, 0
	s_and_not1_b32 vcc_lo, exec_lo, s35
	s_delay_alu instid0(VALU_DEP_1) | instskip(NEXT) | instid1(VALU_DEP_1)
	v_mul_u64_e32 v[2:3], s[16:17], v[0:1]
	v_add_nc_u32_e32 v2, v0, v3
	s_delay_alu instid0(VALU_DEP_1) | instskip(NEXT) | instid1(VALU_DEP_1)
	v_lshrrev_b32_e32 v4, s6, v2
	v_mul_lo_u32 v2, v4, s4
	s_delay_alu instid0(VALU_DEP_1) | instskip(NEXT) | instid1(VALU_DEP_1)
	v_sub_nc_u32_e32 v2, v0, v2
	v_mul_lo_u32 v3, v2, s9
	v_mul_lo_u32 v2, v2, s8
	s_cbranch_vccnz .LBB304_23
; %bb.22:
	v_mov_b32_e32 v5, v1
	s_delay_alu instid0(VALU_DEP_1) | instskip(NEXT) | instid1(VALU_DEP_1)
	v_mul_u64_e32 v[6:7], s[20:21], v[4:5]
	v_add_nc_u32_e32 v1, v4, v7
	s_delay_alu instid0(VALU_DEP_1) | instskip(NEXT) | instid1(VALU_DEP_1)
	v_lshrrev_b32_e32 v1, s19, v1
	v_mul_lo_u32 v1, v1, s7
	s_delay_alu instid0(VALU_DEP_1) | instskip(NEXT) | instid1(VALU_DEP_1)
	v_sub_nc_u32_e32 v1, v4, v1
	v_mad_u32 v2, v1, s10, v2
	v_mad_u32 v3, v1, s11, v3
.LBB304_23:
	global_load_u8 v1, v3, s[2:3]
	s_and_b32 vcc_lo, exec_lo, s14
	s_cbranch_vccz .LBB304_28
; %bb.24:
	s_and_b32 s25, s15, 0xff
	s_delay_alu instid0(SALU_CYCLE_1)
	s_cmp_lt_i32 s25, 0x80
	s_cbranch_scc1 .LBB304_29
; %bb.25:
	s_and_b32 s24, 0xffff, s25
	s_mov_b32 s26, -1
	s_cmp_eq_u32 s24, 0x80
	s_cbranch_scc0 .LBB304_27
; %bb.26:
	s_mov_b32 s26, 0
.LBB304_27:
	s_mov_b32 s24, 0x7f800001
	s_branch .LBB304_31
.LBB304_28:
                                        ; implicit-def: $sgpr24
	s_cbranch_execnz .LBB304_38
	s_branch .LBB304_55
.LBB304_29:
	s_mov_b32 s26, 0
	s_mov_b32 s24, 0x7f800001
	s_cbranch_execz .LBB304_31
; %bb.30:
	s_and_b32 s24, 0xffff, s25
	s_delay_alu instid0(SALU_CYCLE_1)
	s_cmp_lg_u32 s24, 0
	s_mov_b32 s24, 0
	s_cselect_b32 s26, -1, 0
.LBB304_31:
	s_delay_alu instid0(SALU_CYCLE_1)
	s_and_not1_b32 vcc_lo, exec_lo, s26
	s_cbranch_vccnz .LBB304_33
; %bb.32:
	s_mov_b32 s24, s5
.LBB304_33:
	s_wait_loadcnt 0x0
	v_and_b32_e32 v4, 0xff, v1
	s_mov_b32 s25, 0
	s_mov_b32 s26, exec_lo
	s_delay_alu instid0(VALU_DEP_1)
	v_cmpx_lt_i16_e32 0x7f, v4
	s_xor_b32 s26, exec_lo, s26
	s_cbranch_execnz .LBB304_42
; %bb.34:
	s_or_saveexec_b32 s26, s26
	v_mov_b32_e32 v3, 0x7f800001
	s_xor_b32 exec_lo, exec_lo, s26
	s_cbranch_execnz .LBB304_45
.LBB304_35:
	s_or_b32 exec_lo, exec_lo, s26
	s_and_saveexec_b32 s26, s25
	s_cbranch_execz .LBB304_37
.LBB304_36:
	v_and_b32_e32 v3, 7, v1
	v_lshrrev_b16 v5, 3, v1
	v_lshlrev_b32_e32 v7, 24, v1
	s_delay_alu instid0(VALU_DEP_3) | instskip(NEXT) | instid1(VALU_DEP_1)
	v_clz_i32_u32_e32 v4, v3
	v_min_u32_e32 v4, 32, v4
	s_delay_alu instid0(VALU_DEP_4) | instskip(NEXT) | instid1(VALU_DEP_2)
	v_and_b32_e32 v5, 15, v5
	v_subrev_nc_u32_e32 v6, 28, v4
	v_sub_nc_u32_e32 v4, 29, v4
	s_delay_alu instid0(VALU_DEP_3) | instskip(NEXT) | instid1(VALU_DEP_3)
	v_cmp_eq_u32_e32 vcc_lo, 0, v5
	v_lshlrev_b32_e32 v6, v6, v1
	s_delay_alu instid0(VALU_DEP_1) | instskip(SKIP_1) | instid1(VALU_DEP_2)
	v_dual_cndmask_b32 v4, v5, v4, vcc_lo :: v_dual_bitop2_b32 v6, 7, v6 bitop3:0x40
	v_and_b32_e32 v5, 0x80000000, v7
	v_cndmask_b32_e32 v3, v3, v6, vcc_lo
	s_delay_alu instid0(VALU_DEP_3) | instskip(NEXT) | instid1(VALU_DEP_2)
	v_lshl_add_u32 v4, v4, 23, 0x3b800000
	v_lshlrev_b32_e32 v3, 20, v3
	s_delay_alu instid0(VALU_DEP_1)
	v_or3_b32 v3, v5, v4, v3
.LBB304_37:
	s_or_b32 exec_lo, exec_lo, s26
	s_delay_alu instid0(VALU_DEP_1)
	v_cmp_neq_f32_e64 s24, s24, v3
	s_branch .LBB304_55
.LBB304_38:
	s_and_b32 s25, s15, 0xff
	s_delay_alu instid0(SALU_CYCLE_1)
	s_cmp_lt_i32 s25, 0x80
	s_cbranch_scc1 .LBB304_46
; %bb.39:
	s_and_b32 s24, 0xffff, s25
	s_mov_b32 s26, -1
	s_cmp_eq_u32 s24, 0x80
	s_cbranch_scc0 .LBB304_41
; %bb.40:
	s_mov_b32 s26, 0
.LBB304_41:
	s_mov_b32 s24, 0x7f800001
	s_branch .LBB304_48
.LBB304_42:
	s_mov_b32 s25, -1
	s_mov_b32 s27, exec_lo
	v_cmpx_eq_u16_e32 0x80, v4
; %bb.43:
	s_xor_b32 s25, exec_lo, -1
; %bb.44:
	s_or_b32 exec_lo, exec_lo, s27
	s_delay_alu instid0(SALU_CYCLE_1)
	s_and_b32 s25, s25, exec_lo
                                        ; implicit-def: $vgpr4
	s_or_saveexec_b32 s26, s26
	v_mov_b32_e32 v3, 0x7f800001
	s_xor_b32 exec_lo, exec_lo, s26
	s_cbranch_execz .LBB304_35
.LBB304_45:
	v_cmp_ne_u16_e32 vcc_lo, 0, v4
	v_mov_b32_e32 v3, 0
	s_and_not1_b32 s25, s25, exec_lo
	s_and_b32 s27, vcc_lo, exec_lo
	s_delay_alu instid0(SALU_CYCLE_1)
	s_or_b32 s25, s25, s27
	s_or_b32 exec_lo, exec_lo, s26
	s_and_saveexec_b32 s26, s25
	s_cbranch_execnz .LBB304_36
	s_branch .LBB304_37
.LBB304_46:
	s_mov_b32 s26, 0
	s_mov_b32 s24, 0x7f800001
	s_cbranch_execz .LBB304_48
; %bb.47:
	s_and_b32 s24, 0xffff, s25
	s_delay_alu instid0(SALU_CYCLE_1)
	s_cmp_lg_u32 s24, 0
	s_mov_b32 s24, 0
	s_cselect_b32 s26, -1, 0
.LBB304_48:
	s_delay_alu instid0(SALU_CYCLE_1)
	s_and_not1_b32 vcc_lo, exec_lo, s26
	s_cbranch_vccnz .LBB304_50
; %bb.49:
	s_mov_b32 s24, s5
.LBB304_50:
	s_wait_loadcnt 0x0
	v_and_b32_e32 v4, 0xff, v1
	s_mov_b32 s25, 0
	s_mov_b32 s26, exec_lo
	s_delay_alu instid0(VALU_DEP_1)
	v_cmpx_lt_i16_e32 0x7f, v4
	s_xor_b32 s26, exec_lo, s26
	s_cbranch_execnz .LBB304_62
; %bb.51:
	s_or_saveexec_b32 s26, s26
	v_mov_b32_e32 v3, 0x7f800001
	s_xor_b32 exec_lo, exec_lo, s26
	s_cbranch_execnz .LBB304_65
.LBB304_52:
	s_or_b32 exec_lo, exec_lo, s26
	s_and_saveexec_b32 s26, s25
	s_cbranch_execz .LBB304_54
.LBB304_53:
	v_and_b32_e32 v3, 7, v1
	v_lshrrev_b16 v5, 3, v1
	s_delay_alu instid0(VALU_DEP_2) | instskip(NEXT) | instid1(VALU_DEP_1)
	v_clz_i32_u32_e32 v4, v3
	v_min_u32_e32 v4, 32, v4
	s_delay_alu instid0(VALU_DEP_3) | instskip(NEXT) | instid1(VALU_DEP_2)
	v_and_b32_e32 v5, 15, v5
	v_subrev_nc_u32_e32 v6, 28, v4
	v_sub_nc_u32_e32 v4, 29, v4
	s_delay_alu instid0(VALU_DEP_3) | instskip(NEXT) | instid1(VALU_DEP_3)
	v_cmp_eq_u32_e32 vcc_lo, 0, v5
	v_dual_lshlrev_b32 v6, v6, v1 :: v_dual_lshlrev_b32 v1, 24, v1
	s_delay_alu instid0(VALU_DEP_1) | instskip(NEXT) | instid1(VALU_DEP_2)
	v_dual_cndmask_b32 v4, v5, v4, vcc_lo :: v_dual_bitop2_b32 v6, 7, v6 bitop3:0x40
	v_and_b32_e32 v1, 0x80000000, v1
	s_delay_alu instid0(VALU_DEP_2) | instskip(NEXT) | instid1(VALU_DEP_3)
	v_cndmask_b32_e32 v3, v3, v6, vcc_lo
	v_lshl_add_u32 v4, v4, 23, 0x3b800000
	s_delay_alu instid0(VALU_DEP_2) | instskip(NEXT) | instid1(VALU_DEP_1)
	v_lshlrev_b32_e32 v3, 20, v3
	v_or3_b32 v3, v1, v4, v3
.LBB304_54:
	s_or_b32 exec_lo, exec_lo, s26
	s_delay_alu instid0(VALU_DEP_1)
	v_cmp_eq_f32_e64 s24, s24, v3
.LBB304_55:
	s_wait_loadcnt 0x0
	s_delay_alu instid0(VALU_DEP_1) | instskip(SKIP_4) | instid1(SALU_CYCLE_1)
	v_cndmask_b32_e64 v1, 0, 1, s24
	v_add_nc_u32_e32 v0, 0x80, v0
	global_store_b8 v2, v1, s[0:1]
	s_wait_xcnt 0x0
	s_or_b32 exec_lo, exec_lo, s18
	s_mov_b32 s18, exec_lo
	v_cmpx_gt_i32_e64 s36, v0
	s_cbranch_execz .LBB304_3
.LBB304_56:
	s_and_not1_b32 vcc_lo, exec_lo, s33
	s_cbranch_vccnz .LBB304_61
; %bb.57:
	s_and_not1_b32 vcc_lo, exec_lo, s38
	s_cbranch_vccnz .LBB304_66
; %bb.58:
	s_add_co_i32 s25, s37, 1
	s_cmp_eq_u32 s31, 2
	s_cbranch_scc1 .LBB304_67
; %bb.59:
	v_dual_mov_b32 v2, 0 :: v_dual_mov_b32 v3, 0
	v_mov_b32_e32 v1, v0
	s_and_b32 s24, s25, 28
	s_mov_b32 s39, 0
	s_mov_b64 s[26:27], s[12:13]
	s_mov_b64 s[28:29], s[22:23]
.LBB304_60:                             ; =>This Inner Loop Header: Depth=1
	s_clause 0x1
	s_load_b256 s[40:47], s[26:27], 0x4
	s_load_b128 s[56:59], s[26:27], 0x24
	s_load_b256 s[48:55], s[28:29], 0x0
	s_add_co_i32 s39, s39, 4
	s_wait_xcnt 0x0
	s_add_nc_u64 s[26:27], s[26:27], 48
	s_cmp_eq_u32 s24, s39
	s_add_nc_u64 s[28:29], s[28:29], 32
	s_wait_kmcnt 0x0
	v_mul_hi_u32 v4, s41, v1
	s_delay_alu instid0(VALU_DEP_1) | instskip(NEXT) | instid1(VALU_DEP_1)
	v_add_nc_u32_e32 v4, v1, v4
	v_lshrrev_b32_e32 v4, s42, v4
	s_delay_alu instid0(VALU_DEP_1) | instskip(NEXT) | instid1(VALU_DEP_1)
	v_mul_hi_u32 v5, s44, v4
	v_add_nc_u32_e32 v5, v4, v5
	s_delay_alu instid0(VALU_DEP_1) | instskip(NEXT) | instid1(VALU_DEP_1)
	v_lshrrev_b32_e32 v5, s45, v5
	v_mul_hi_u32 v6, s47, v5
	s_delay_alu instid0(VALU_DEP_1) | instskip(SKIP_1) | instid1(VALU_DEP_1)
	v_add_nc_u32_e32 v6, v5, v6
	v_mul_lo_u32 v7, v4, s40
	v_sub_nc_u32_e32 v1, v1, v7
	v_mul_lo_u32 v7, v5, s43
	s_delay_alu instid0(VALU_DEP_4) | instskip(NEXT) | instid1(VALU_DEP_3)
	v_lshrrev_b32_e32 v6, s56, v6
	v_mad_u32 v3, v1, s49, v3
	v_mad_u32 v1, v1, s48, v2
	s_delay_alu instid0(VALU_DEP_4) | instskip(NEXT) | instid1(VALU_DEP_4)
	v_sub_nc_u32_e32 v2, v4, v7
	v_mul_hi_u32 v8, s58, v6
	v_mul_lo_u32 v4, v6, s46
	s_delay_alu instid0(VALU_DEP_3) | instskip(SKIP_1) | instid1(VALU_DEP_4)
	v_mad_u32 v3, v2, s51, v3
	v_mad_u32 v2, v2, s50, v1
	v_add_nc_u32_e32 v7, v6, v8
	s_delay_alu instid0(VALU_DEP_1) | instskip(NEXT) | instid1(VALU_DEP_1)
	v_dual_sub_nc_u32 v4, v5, v4 :: v_dual_lshrrev_b32 v1, s59, v7
	v_mad_u32 v3, v4, s53, v3
	s_delay_alu instid0(VALU_DEP_4) | instskip(NEXT) | instid1(VALU_DEP_3)
	v_mad_u32 v2, v4, s52, v2
	v_mul_lo_u32 v5, v1, s57
	s_delay_alu instid0(VALU_DEP_1) | instskip(NEXT) | instid1(VALU_DEP_1)
	v_sub_nc_u32_e32 v4, v6, v5
	v_mad_u32 v3, v4, s55, v3
	s_delay_alu instid0(VALU_DEP_4)
	v_mad_u32 v2, v4, s54, v2
	s_cbranch_scc0 .LBB304_60
	s_branch .LBB304_68
.LBB304_61:
                                        ; implicit-def: $vgpr3
	s_branch .LBB304_72
.LBB304_62:
	s_mov_b32 s25, -1
	s_mov_b32 s27, exec_lo
	v_cmpx_eq_u16_e32 0x80, v4
; %bb.63:
	s_xor_b32 s25, exec_lo, -1
; %bb.64:
	s_or_b32 exec_lo, exec_lo, s27
	s_delay_alu instid0(SALU_CYCLE_1)
	s_and_b32 s25, s25, exec_lo
                                        ; implicit-def: $vgpr4
	s_or_saveexec_b32 s26, s26
	v_mov_b32_e32 v3, 0x7f800001
	s_xor_b32 exec_lo, exec_lo, s26
	s_cbranch_execz .LBB304_52
.LBB304_65:
	v_cmp_ne_u16_e32 vcc_lo, 0, v4
	v_mov_b32_e32 v3, 0
	s_and_not1_b32 s25, s25, exec_lo
	s_and_b32 s27, vcc_lo, exec_lo
	s_delay_alu instid0(SALU_CYCLE_1)
	s_or_b32 s25, s25, s27
	s_or_b32 exec_lo, exec_lo, s26
	s_and_saveexec_b32 s26, s25
	s_cbranch_execnz .LBB304_53
	s_branch .LBB304_54
.LBB304_66:
	v_dual_mov_b32 v3, 0 :: v_dual_mov_b32 v2, 0
	s_branch .LBB304_71
.LBB304_67:
	v_mov_b64_e32 v[2:3], 0
	v_mov_b32_e32 v1, v0
	s_mov_b32 s24, 0
.LBB304_68:
	s_and_b32 s28, s25, 3
	s_mov_b32 s25, 0
	s_cmp_eq_u32 s28, 0
	s_cbranch_scc1 .LBB304_71
; %bb.69:
	s_lshl_b32 s26, s24, 3
	s_mov_b32 s27, s25
	s_mul_u64 s[40:41], s[24:25], 12
	s_add_nc_u64 s[26:27], s[12:13], s[26:27]
	s_delay_alu instid0(SALU_CYCLE_1)
	s_add_nc_u64 s[24:25], s[26:27], 0xc4
	s_add_nc_u64 s[26:27], s[12:13], s[40:41]
.LBB304_70:                             ; =>This Inner Loop Header: Depth=1
	s_load_b96 s[40:42], s[26:27], 0x4
	s_add_co_i32 s28, s28, -1
	s_wait_xcnt 0x0
	s_add_nc_u64 s[26:27], s[26:27], 12
	s_cmp_lg_u32 s28, 0
	s_wait_kmcnt 0x0
	v_mul_hi_u32 v4, s41, v1
	s_delay_alu instid0(VALU_DEP_1) | instskip(NEXT) | instid1(VALU_DEP_1)
	v_add_nc_u32_e32 v4, v1, v4
	v_lshrrev_b32_e32 v4, s42, v4
	s_load_b64 s[42:43], s[24:25], 0x0
	s_wait_xcnt 0x0
	s_add_nc_u64 s[24:25], s[24:25], 8
	s_delay_alu instid0(VALU_DEP_1) | instskip(NEXT) | instid1(VALU_DEP_1)
	v_mul_lo_u32 v5, v4, s40
	v_sub_nc_u32_e32 v1, v1, v5
	s_wait_kmcnt 0x0
	s_delay_alu instid0(VALU_DEP_1)
	v_mad_u32 v3, v1, s43, v3
	v_mad_u32 v2, v1, s42, v2
	v_mov_b32_e32 v1, v4
	s_cbranch_scc1 .LBB304_70
.LBB304_71:
	s_cbranch_execnz .LBB304_74
.LBB304_72:
	v_mov_b32_e32 v1, 0
	s_and_not1_b32 vcc_lo, exec_lo, s35
	s_delay_alu instid0(VALU_DEP_1) | instskip(NEXT) | instid1(VALU_DEP_1)
	v_mul_u64_e32 v[2:3], s[16:17], v[0:1]
	v_add_nc_u32_e32 v2, v0, v3
	s_delay_alu instid0(VALU_DEP_1) | instskip(NEXT) | instid1(VALU_DEP_1)
	v_lshrrev_b32_e32 v4, s6, v2
	v_mul_lo_u32 v2, v4, s4
	s_delay_alu instid0(VALU_DEP_1) | instskip(NEXT) | instid1(VALU_DEP_1)
	v_sub_nc_u32_e32 v2, v0, v2
	v_mul_lo_u32 v3, v2, s9
	v_mul_lo_u32 v2, v2, s8
	s_cbranch_vccnz .LBB304_74
; %bb.73:
	v_mov_b32_e32 v5, v1
	s_delay_alu instid0(VALU_DEP_1) | instskip(NEXT) | instid1(VALU_DEP_1)
	v_mul_u64_e32 v[6:7], s[20:21], v[4:5]
	v_add_nc_u32_e32 v1, v4, v7
	s_delay_alu instid0(VALU_DEP_1) | instskip(NEXT) | instid1(VALU_DEP_1)
	v_lshrrev_b32_e32 v1, s19, v1
	v_mul_lo_u32 v1, v1, s7
	s_delay_alu instid0(VALU_DEP_1) | instskip(NEXT) | instid1(VALU_DEP_1)
	v_sub_nc_u32_e32 v1, v4, v1
	v_mad_u32 v2, v1, s10, v2
	v_mad_u32 v3, v1, s11, v3
.LBB304_74:
	global_load_u8 v1, v3, s[2:3]
	s_and_not1_b32 vcc_lo, exec_lo, s14
	s_cbranch_vccnz .LBB304_79
; %bb.75:
	s_and_b32 s25, s15, 0xff
	s_delay_alu instid0(SALU_CYCLE_1)
	s_cmp_lt_i32 s25, 0x80
	s_cbranch_scc1 .LBB304_80
; %bb.76:
	s_and_b32 s24, 0xffff, s25
	s_mov_b32 s26, -1
	s_cmp_eq_u32 s24, 0x80
	s_cbranch_scc0 .LBB304_78
; %bb.77:
	s_mov_b32 s26, 0
.LBB304_78:
	s_mov_b32 s24, 0x7f800001
	s_branch .LBB304_82
.LBB304_79:
                                        ; implicit-def: $sgpr24
	s_cbranch_execnz .LBB304_89
	s_branch .LBB304_106
.LBB304_80:
	s_mov_b32 s26, 0
	s_mov_b32 s24, 0x7f800001
	s_cbranch_execz .LBB304_82
; %bb.81:
	s_and_b32 s24, 0xffff, s25
	s_delay_alu instid0(SALU_CYCLE_1)
	s_cmp_lg_u32 s24, 0
	s_mov_b32 s24, 0
	s_cselect_b32 s26, -1, 0
.LBB304_82:
	s_delay_alu instid0(SALU_CYCLE_1)
	s_and_not1_b32 vcc_lo, exec_lo, s26
	s_cbranch_vccnz .LBB304_84
; %bb.83:
	s_mov_b32 s24, s5
.LBB304_84:
	s_wait_loadcnt 0x0
	v_and_b32_e32 v4, 0xff, v1
	s_mov_b32 s25, 0
	s_mov_b32 s26, exec_lo
	s_wait_xcnt 0x0
	s_delay_alu instid0(VALU_DEP_1)
	v_cmpx_lt_i16_e32 0x7f, v4
	s_xor_b32 s26, exec_lo, s26
	s_cbranch_execnz .LBB304_93
; %bb.85:
	s_or_saveexec_b32 s26, s26
	v_mov_b32_e32 v3, 0x7f800001
	s_xor_b32 exec_lo, exec_lo, s26
	s_cbranch_execnz .LBB304_96
.LBB304_86:
	s_or_b32 exec_lo, exec_lo, s26
	s_and_saveexec_b32 s26, s25
	s_cbranch_execz .LBB304_88
.LBB304_87:
	v_and_b32_e32 v3, 7, v1
	v_lshrrev_b16 v5, 3, v1
	v_lshlrev_b32_e32 v7, 24, v1
	s_delay_alu instid0(VALU_DEP_3) | instskip(NEXT) | instid1(VALU_DEP_1)
	v_clz_i32_u32_e32 v4, v3
	v_min_u32_e32 v4, 32, v4
	s_delay_alu instid0(VALU_DEP_4) | instskip(NEXT) | instid1(VALU_DEP_2)
	v_and_b32_e32 v5, 15, v5
	v_subrev_nc_u32_e32 v6, 28, v4
	v_sub_nc_u32_e32 v4, 29, v4
	s_delay_alu instid0(VALU_DEP_3) | instskip(NEXT) | instid1(VALU_DEP_3)
	v_cmp_eq_u32_e32 vcc_lo, 0, v5
	v_lshlrev_b32_e32 v6, v6, v1
	s_delay_alu instid0(VALU_DEP_1) | instskip(SKIP_1) | instid1(VALU_DEP_2)
	v_dual_cndmask_b32 v4, v5, v4, vcc_lo :: v_dual_bitop2_b32 v6, 7, v6 bitop3:0x40
	v_and_b32_e32 v5, 0x80000000, v7
	v_cndmask_b32_e32 v3, v3, v6, vcc_lo
	s_delay_alu instid0(VALU_DEP_3) | instskip(NEXT) | instid1(VALU_DEP_2)
	v_lshl_add_u32 v4, v4, 23, 0x3b800000
	v_lshlrev_b32_e32 v3, 20, v3
	s_delay_alu instid0(VALU_DEP_1)
	v_or3_b32 v3, v5, v4, v3
.LBB304_88:
	s_or_b32 exec_lo, exec_lo, s26
	s_delay_alu instid0(VALU_DEP_1)
	v_cmp_neq_f32_e64 s24, s24, v3
	s_branch .LBB304_106
.LBB304_89:
	s_and_b32 s25, s15, 0xff
	s_delay_alu instid0(SALU_CYCLE_1)
	s_cmp_lt_i32 s25, 0x80
	s_cbranch_scc1 .LBB304_97
; %bb.90:
	s_and_b32 s24, 0xffff, s25
	s_mov_b32 s26, -1
	s_cmp_eq_u32 s24, 0x80
	s_cbranch_scc0 .LBB304_92
; %bb.91:
	s_mov_b32 s26, 0
.LBB304_92:
	s_mov_b32 s24, 0x7f800001
	s_branch .LBB304_99
.LBB304_93:
	s_mov_b32 s25, -1
	s_mov_b32 s27, exec_lo
	v_cmpx_eq_u16_e32 0x80, v4
; %bb.94:
	s_xor_b32 s25, exec_lo, -1
; %bb.95:
	s_or_b32 exec_lo, exec_lo, s27
	s_delay_alu instid0(SALU_CYCLE_1)
	s_and_b32 s25, s25, exec_lo
                                        ; implicit-def: $vgpr4
	s_or_saveexec_b32 s26, s26
	v_mov_b32_e32 v3, 0x7f800001
	s_xor_b32 exec_lo, exec_lo, s26
	s_cbranch_execz .LBB304_86
.LBB304_96:
	v_cmp_ne_u16_e32 vcc_lo, 0, v4
	v_mov_b32_e32 v3, 0
	s_and_not1_b32 s25, s25, exec_lo
	s_and_b32 s27, vcc_lo, exec_lo
	s_delay_alu instid0(SALU_CYCLE_1)
	s_or_b32 s25, s25, s27
	s_or_b32 exec_lo, exec_lo, s26
	s_and_saveexec_b32 s26, s25
	s_cbranch_execnz .LBB304_87
	s_branch .LBB304_88
.LBB304_97:
	s_mov_b32 s26, 0
	s_mov_b32 s24, 0x7f800001
	s_cbranch_execz .LBB304_99
; %bb.98:
	s_and_b32 s24, 0xffff, s25
	s_delay_alu instid0(SALU_CYCLE_1)
	s_cmp_lg_u32 s24, 0
	s_mov_b32 s24, 0
	s_cselect_b32 s26, -1, 0
.LBB304_99:
	s_delay_alu instid0(SALU_CYCLE_1)
	s_and_not1_b32 vcc_lo, exec_lo, s26
	s_cbranch_vccnz .LBB304_101
; %bb.100:
	s_mov_b32 s24, s5
.LBB304_101:
	s_wait_loadcnt 0x0
	v_and_b32_e32 v4, 0xff, v1
	s_mov_b32 s25, 0
	s_mov_b32 s26, exec_lo
	s_wait_xcnt 0x0
	s_delay_alu instid0(VALU_DEP_1)
	v_cmpx_lt_i16_e32 0x7f, v4
	s_xor_b32 s26, exec_lo, s26
	s_cbranch_execnz .LBB304_113
; %bb.102:
	s_or_saveexec_b32 s26, s26
	v_mov_b32_e32 v3, 0x7f800001
	s_xor_b32 exec_lo, exec_lo, s26
	s_cbranch_execnz .LBB304_116
.LBB304_103:
	s_or_b32 exec_lo, exec_lo, s26
	s_and_saveexec_b32 s26, s25
	s_cbranch_execz .LBB304_105
.LBB304_104:
	v_and_b32_e32 v3, 7, v1
	v_lshrrev_b16 v5, 3, v1
	s_delay_alu instid0(VALU_DEP_2) | instskip(NEXT) | instid1(VALU_DEP_1)
	v_clz_i32_u32_e32 v4, v3
	v_min_u32_e32 v4, 32, v4
	s_delay_alu instid0(VALU_DEP_3) | instskip(NEXT) | instid1(VALU_DEP_2)
	v_and_b32_e32 v5, 15, v5
	v_subrev_nc_u32_e32 v6, 28, v4
	v_sub_nc_u32_e32 v4, 29, v4
	s_delay_alu instid0(VALU_DEP_3) | instskip(NEXT) | instid1(VALU_DEP_3)
	v_cmp_eq_u32_e32 vcc_lo, 0, v5
	v_dual_lshlrev_b32 v6, v6, v1 :: v_dual_lshlrev_b32 v1, 24, v1
	s_delay_alu instid0(VALU_DEP_1) | instskip(NEXT) | instid1(VALU_DEP_2)
	v_dual_cndmask_b32 v4, v5, v4, vcc_lo :: v_dual_bitop2_b32 v6, 7, v6 bitop3:0x40
	v_and_b32_e32 v1, 0x80000000, v1
	s_delay_alu instid0(VALU_DEP_2) | instskip(NEXT) | instid1(VALU_DEP_3)
	v_cndmask_b32_e32 v3, v3, v6, vcc_lo
	v_lshl_add_u32 v4, v4, 23, 0x3b800000
	s_delay_alu instid0(VALU_DEP_2) | instskip(NEXT) | instid1(VALU_DEP_1)
	v_lshlrev_b32_e32 v3, 20, v3
	v_or3_b32 v3, v1, v4, v3
.LBB304_105:
	s_or_b32 exec_lo, exec_lo, s26
	s_delay_alu instid0(VALU_DEP_1)
	v_cmp_eq_f32_e64 s24, s24, v3
.LBB304_106:
	s_wait_loadcnt 0x0
	s_delay_alu instid0(VALU_DEP_1) | instskip(SKIP_4) | instid1(SALU_CYCLE_1)
	v_cndmask_b32_e64 v1, 0, 1, s24
	v_add_nc_u32_e32 v0, 0x80, v0
	global_store_b8 v2, v1, s[0:1]
	s_wait_xcnt 0x0
	s_or_b32 exec_lo, exec_lo, s18
	s_mov_b32 s18, exec_lo
	v_cmpx_gt_i32_e64 s36, v0
	s_cbranch_execz .LBB304_4
.LBB304_107:
	s_and_not1_b32 vcc_lo, exec_lo, s33
	s_cbranch_vccnz .LBB304_112
; %bb.108:
	s_and_not1_b32 vcc_lo, exec_lo, s38
	s_cbranch_vccnz .LBB304_117
; %bb.109:
	s_add_co_i32 s25, s37, 1
	s_cmp_eq_u32 s31, 2
	s_cbranch_scc1 .LBB304_118
; %bb.110:
	v_dual_mov_b32 v2, 0 :: v_dual_mov_b32 v3, 0
	v_mov_b32_e32 v1, v0
	s_and_b32 s24, s25, 28
	s_mov_b32 s39, 0
	s_mov_b64 s[26:27], s[12:13]
	s_mov_b64 s[28:29], s[22:23]
.LBB304_111:                            ; =>This Inner Loop Header: Depth=1
	s_clause 0x1
	s_load_b256 s[40:47], s[26:27], 0x4
	s_load_b128 s[56:59], s[26:27], 0x24
	s_load_b256 s[48:55], s[28:29], 0x0
	s_add_co_i32 s39, s39, 4
	s_wait_xcnt 0x0
	s_add_nc_u64 s[26:27], s[26:27], 48
	s_cmp_eq_u32 s24, s39
	s_add_nc_u64 s[28:29], s[28:29], 32
	s_wait_kmcnt 0x0
	v_mul_hi_u32 v4, s41, v1
	s_delay_alu instid0(VALU_DEP_1) | instskip(NEXT) | instid1(VALU_DEP_1)
	v_add_nc_u32_e32 v4, v1, v4
	v_lshrrev_b32_e32 v4, s42, v4
	s_delay_alu instid0(VALU_DEP_1) | instskip(NEXT) | instid1(VALU_DEP_1)
	v_mul_hi_u32 v5, s44, v4
	v_add_nc_u32_e32 v5, v4, v5
	s_delay_alu instid0(VALU_DEP_1) | instskip(NEXT) | instid1(VALU_DEP_1)
	v_lshrrev_b32_e32 v5, s45, v5
	v_mul_hi_u32 v6, s47, v5
	s_delay_alu instid0(VALU_DEP_1) | instskip(SKIP_1) | instid1(VALU_DEP_1)
	v_add_nc_u32_e32 v6, v5, v6
	v_mul_lo_u32 v7, v4, s40
	v_sub_nc_u32_e32 v1, v1, v7
	v_mul_lo_u32 v7, v5, s43
	s_delay_alu instid0(VALU_DEP_4) | instskip(NEXT) | instid1(VALU_DEP_3)
	v_lshrrev_b32_e32 v6, s56, v6
	v_mad_u32 v3, v1, s49, v3
	v_mad_u32 v1, v1, s48, v2
	s_delay_alu instid0(VALU_DEP_4) | instskip(NEXT) | instid1(VALU_DEP_4)
	v_sub_nc_u32_e32 v2, v4, v7
	v_mul_hi_u32 v8, s58, v6
	v_mul_lo_u32 v4, v6, s46
	s_delay_alu instid0(VALU_DEP_3) | instskip(SKIP_1) | instid1(VALU_DEP_4)
	v_mad_u32 v3, v2, s51, v3
	v_mad_u32 v2, v2, s50, v1
	v_add_nc_u32_e32 v7, v6, v8
	s_delay_alu instid0(VALU_DEP_1) | instskip(NEXT) | instid1(VALU_DEP_1)
	v_dual_sub_nc_u32 v4, v5, v4 :: v_dual_lshrrev_b32 v1, s59, v7
	v_mad_u32 v3, v4, s53, v3
	s_delay_alu instid0(VALU_DEP_4) | instskip(NEXT) | instid1(VALU_DEP_3)
	v_mad_u32 v2, v4, s52, v2
	v_mul_lo_u32 v5, v1, s57
	s_delay_alu instid0(VALU_DEP_1) | instskip(NEXT) | instid1(VALU_DEP_1)
	v_sub_nc_u32_e32 v4, v6, v5
	v_mad_u32 v3, v4, s55, v3
	s_delay_alu instid0(VALU_DEP_4)
	v_mad_u32 v2, v4, s54, v2
	s_cbranch_scc0 .LBB304_111
	s_branch .LBB304_119
.LBB304_112:
                                        ; implicit-def: $vgpr3
	s_branch .LBB304_123
.LBB304_113:
	s_mov_b32 s25, -1
	s_mov_b32 s27, exec_lo
	v_cmpx_eq_u16_e32 0x80, v4
; %bb.114:
	s_xor_b32 s25, exec_lo, -1
; %bb.115:
	s_or_b32 exec_lo, exec_lo, s27
	s_delay_alu instid0(SALU_CYCLE_1)
	s_and_b32 s25, s25, exec_lo
                                        ; implicit-def: $vgpr4
	s_or_saveexec_b32 s26, s26
	v_mov_b32_e32 v3, 0x7f800001
	s_xor_b32 exec_lo, exec_lo, s26
	s_cbranch_execz .LBB304_103
.LBB304_116:
	v_cmp_ne_u16_e32 vcc_lo, 0, v4
	v_mov_b32_e32 v3, 0
	s_and_not1_b32 s25, s25, exec_lo
	s_and_b32 s27, vcc_lo, exec_lo
	s_delay_alu instid0(SALU_CYCLE_1)
	s_or_b32 s25, s25, s27
	s_or_b32 exec_lo, exec_lo, s26
	s_and_saveexec_b32 s26, s25
	s_cbranch_execnz .LBB304_104
	s_branch .LBB304_105
.LBB304_117:
	v_dual_mov_b32 v3, 0 :: v_dual_mov_b32 v2, 0
	s_branch .LBB304_122
.LBB304_118:
	v_mov_b64_e32 v[2:3], 0
	v_mov_b32_e32 v1, v0
	s_mov_b32 s24, 0
.LBB304_119:
	s_and_b32 s28, s25, 3
	s_mov_b32 s25, 0
	s_cmp_eq_u32 s28, 0
	s_cbranch_scc1 .LBB304_122
; %bb.120:
	s_lshl_b32 s26, s24, 3
	s_mov_b32 s27, s25
	s_mul_u64 s[40:41], s[24:25], 12
	s_add_nc_u64 s[26:27], s[12:13], s[26:27]
	s_delay_alu instid0(SALU_CYCLE_1)
	s_add_nc_u64 s[24:25], s[26:27], 0xc4
	s_add_nc_u64 s[26:27], s[12:13], s[40:41]
.LBB304_121:                            ; =>This Inner Loop Header: Depth=1
	s_load_b96 s[40:42], s[26:27], 0x4
	s_add_co_i32 s28, s28, -1
	s_wait_xcnt 0x0
	s_add_nc_u64 s[26:27], s[26:27], 12
	s_cmp_lg_u32 s28, 0
	s_wait_kmcnt 0x0
	v_mul_hi_u32 v4, s41, v1
	s_delay_alu instid0(VALU_DEP_1) | instskip(NEXT) | instid1(VALU_DEP_1)
	v_add_nc_u32_e32 v4, v1, v4
	v_lshrrev_b32_e32 v4, s42, v4
	s_load_b64 s[42:43], s[24:25], 0x0
	s_wait_xcnt 0x0
	s_add_nc_u64 s[24:25], s[24:25], 8
	s_delay_alu instid0(VALU_DEP_1) | instskip(NEXT) | instid1(VALU_DEP_1)
	v_mul_lo_u32 v5, v4, s40
	v_sub_nc_u32_e32 v1, v1, v5
	s_wait_kmcnt 0x0
	s_delay_alu instid0(VALU_DEP_1)
	v_mad_u32 v3, v1, s43, v3
	v_mad_u32 v2, v1, s42, v2
	v_mov_b32_e32 v1, v4
	s_cbranch_scc1 .LBB304_121
.LBB304_122:
	s_cbranch_execnz .LBB304_125
.LBB304_123:
	v_mov_b32_e32 v1, 0
	s_and_not1_b32 vcc_lo, exec_lo, s35
	s_delay_alu instid0(VALU_DEP_1) | instskip(NEXT) | instid1(VALU_DEP_1)
	v_mul_u64_e32 v[2:3], s[16:17], v[0:1]
	v_add_nc_u32_e32 v2, v0, v3
	s_delay_alu instid0(VALU_DEP_1) | instskip(NEXT) | instid1(VALU_DEP_1)
	v_lshrrev_b32_e32 v4, s6, v2
	v_mul_lo_u32 v2, v4, s4
	s_delay_alu instid0(VALU_DEP_1) | instskip(NEXT) | instid1(VALU_DEP_1)
	v_sub_nc_u32_e32 v2, v0, v2
	v_mul_lo_u32 v3, v2, s9
	v_mul_lo_u32 v2, v2, s8
	s_cbranch_vccnz .LBB304_125
; %bb.124:
	v_mov_b32_e32 v5, v1
	s_delay_alu instid0(VALU_DEP_1) | instskip(NEXT) | instid1(VALU_DEP_1)
	v_mul_u64_e32 v[6:7], s[20:21], v[4:5]
	v_add_nc_u32_e32 v1, v4, v7
	s_delay_alu instid0(VALU_DEP_1) | instskip(NEXT) | instid1(VALU_DEP_1)
	v_lshrrev_b32_e32 v1, s19, v1
	v_mul_lo_u32 v1, v1, s7
	s_delay_alu instid0(VALU_DEP_1) | instskip(NEXT) | instid1(VALU_DEP_1)
	v_sub_nc_u32_e32 v1, v4, v1
	v_mad_u32 v2, v1, s10, v2
	v_mad_u32 v3, v1, s11, v3
.LBB304_125:
	global_load_u8 v1, v3, s[2:3]
	s_and_not1_b32 vcc_lo, exec_lo, s14
	s_cbranch_vccnz .LBB304_130
; %bb.126:
	s_and_b32 s25, s15, 0xff
	s_delay_alu instid0(SALU_CYCLE_1)
	s_cmp_lt_i32 s25, 0x80
	s_cbranch_scc1 .LBB304_131
; %bb.127:
	s_and_b32 s24, 0xffff, s25
	s_mov_b32 s26, -1
	s_cmp_eq_u32 s24, 0x80
	s_cbranch_scc0 .LBB304_129
; %bb.128:
	s_mov_b32 s26, 0
.LBB304_129:
	s_mov_b32 s24, 0x7f800001
	s_branch .LBB304_133
.LBB304_130:
                                        ; implicit-def: $sgpr24
	s_cbranch_execnz .LBB304_140
	s_branch .LBB304_157
.LBB304_131:
	s_mov_b32 s26, 0
	s_mov_b32 s24, 0x7f800001
	s_cbranch_execz .LBB304_133
; %bb.132:
	s_and_b32 s24, 0xffff, s25
	s_delay_alu instid0(SALU_CYCLE_1)
	s_cmp_lg_u32 s24, 0
	s_mov_b32 s24, 0
	s_cselect_b32 s26, -1, 0
.LBB304_133:
	s_delay_alu instid0(SALU_CYCLE_1)
	s_and_not1_b32 vcc_lo, exec_lo, s26
	s_cbranch_vccnz .LBB304_135
; %bb.134:
	s_mov_b32 s24, s5
.LBB304_135:
	s_wait_loadcnt 0x0
	v_and_b32_e32 v4, 0xff, v1
	s_mov_b32 s25, 0
	s_mov_b32 s26, exec_lo
	s_wait_xcnt 0x0
	s_delay_alu instid0(VALU_DEP_1)
	v_cmpx_lt_i16_e32 0x7f, v4
	s_xor_b32 s26, exec_lo, s26
	s_cbranch_execnz .LBB304_144
; %bb.136:
	s_or_saveexec_b32 s26, s26
	v_mov_b32_e32 v3, 0x7f800001
	s_xor_b32 exec_lo, exec_lo, s26
	s_cbranch_execnz .LBB304_147
.LBB304_137:
	s_or_b32 exec_lo, exec_lo, s26
	s_and_saveexec_b32 s26, s25
	s_cbranch_execz .LBB304_139
.LBB304_138:
	v_and_b32_e32 v3, 7, v1
	v_lshrrev_b16 v5, 3, v1
	v_lshlrev_b32_e32 v7, 24, v1
	s_delay_alu instid0(VALU_DEP_3) | instskip(NEXT) | instid1(VALU_DEP_1)
	v_clz_i32_u32_e32 v4, v3
	v_min_u32_e32 v4, 32, v4
	s_delay_alu instid0(VALU_DEP_4) | instskip(NEXT) | instid1(VALU_DEP_2)
	v_and_b32_e32 v5, 15, v5
	v_subrev_nc_u32_e32 v6, 28, v4
	v_sub_nc_u32_e32 v4, 29, v4
	s_delay_alu instid0(VALU_DEP_3) | instskip(NEXT) | instid1(VALU_DEP_3)
	v_cmp_eq_u32_e32 vcc_lo, 0, v5
	v_lshlrev_b32_e32 v6, v6, v1
	s_delay_alu instid0(VALU_DEP_1) | instskip(SKIP_1) | instid1(VALU_DEP_2)
	v_dual_cndmask_b32 v4, v5, v4, vcc_lo :: v_dual_bitop2_b32 v6, 7, v6 bitop3:0x40
	v_and_b32_e32 v5, 0x80000000, v7
	v_cndmask_b32_e32 v3, v3, v6, vcc_lo
	s_delay_alu instid0(VALU_DEP_3) | instskip(NEXT) | instid1(VALU_DEP_2)
	v_lshl_add_u32 v4, v4, 23, 0x3b800000
	v_lshlrev_b32_e32 v3, 20, v3
	s_delay_alu instid0(VALU_DEP_1)
	v_or3_b32 v3, v5, v4, v3
.LBB304_139:
	s_or_b32 exec_lo, exec_lo, s26
	s_delay_alu instid0(VALU_DEP_1)
	v_cmp_neq_f32_e64 s24, s24, v3
	s_branch .LBB304_157
.LBB304_140:
	s_and_b32 s25, s15, 0xff
	s_delay_alu instid0(SALU_CYCLE_1)
	s_cmp_lt_i32 s25, 0x80
	s_cbranch_scc1 .LBB304_148
; %bb.141:
	s_and_b32 s24, 0xffff, s25
	s_mov_b32 s26, -1
	s_cmp_eq_u32 s24, 0x80
	s_cbranch_scc0 .LBB304_143
; %bb.142:
	s_mov_b32 s26, 0
.LBB304_143:
	s_mov_b32 s24, 0x7f800001
	s_branch .LBB304_150
.LBB304_144:
	s_mov_b32 s25, -1
	s_mov_b32 s27, exec_lo
	v_cmpx_eq_u16_e32 0x80, v4
; %bb.145:
	s_xor_b32 s25, exec_lo, -1
; %bb.146:
	s_or_b32 exec_lo, exec_lo, s27
	s_delay_alu instid0(SALU_CYCLE_1)
	s_and_b32 s25, s25, exec_lo
                                        ; implicit-def: $vgpr4
	s_or_saveexec_b32 s26, s26
	v_mov_b32_e32 v3, 0x7f800001
	s_xor_b32 exec_lo, exec_lo, s26
	s_cbranch_execz .LBB304_137
.LBB304_147:
	v_cmp_ne_u16_e32 vcc_lo, 0, v4
	v_mov_b32_e32 v3, 0
	s_and_not1_b32 s25, s25, exec_lo
	s_and_b32 s27, vcc_lo, exec_lo
	s_delay_alu instid0(SALU_CYCLE_1)
	s_or_b32 s25, s25, s27
	s_or_b32 exec_lo, exec_lo, s26
	s_and_saveexec_b32 s26, s25
	s_cbranch_execnz .LBB304_138
	s_branch .LBB304_139
.LBB304_148:
	s_mov_b32 s26, 0
	s_mov_b32 s24, 0x7f800001
	s_cbranch_execz .LBB304_150
; %bb.149:
	s_and_b32 s24, 0xffff, s25
	s_delay_alu instid0(SALU_CYCLE_1)
	s_cmp_lg_u32 s24, 0
	s_mov_b32 s24, 0
	s_cselect_b32 s26, -1, 0
.LBB304_150:
	s_delay_alu instid0(SALU_CYCLE_1)
	s_and_not1_b32 vcc_lo, exec_lo, s26
	s_cbranch_vccnz .LBB304_152
; %bb.151:
	s_mov_b32 s24, s5
.LBB304_152:
	s_wait_loadcnt 0x0
	v_and_b32_e32 v4, 0xff, v1
	s_mov_b32 s25, 0
	s_mov_b32 s26, exec_lo
	s_wait_xcnt 0x0
	s_delay_alu instid0(VALU_DEP_1)
	v_cmpx_lt_i16_e32 0x7f, v4
	s_xor_b32 s26, exec_lo, s26
	s_cbranch_execnz .LBB304_164
; %bb.153:
	s_or_saveexec_b32 s26, s26
	v_mov_b32_e32 v3, 0x7f800001
	s_xor_b32 exec_lo, exec_lo, s26
	s_cbranch_execnz .LBB304_167
.LBB304_154:
	s_or_b32 exec_lo, exec_lo, s26
	s_and_saveexec_b32 s26, s25
	s_cbranch_execz .LBB304_156
.LBB304_155:
	v_and_b32_e32 v3, 7, v1
	v_lshrrev_b16 v5, 3, v1
	s_delay_alu instid0(VALU_DEP_2) | instskip(NEXT) | instid1(VALU_DEP_1)
	v_clz_i32_u32_e32 v4, v3
	v_min_u32_e32 v4, 32, v4
	s_delay_alu instid0(VALU_DEP_3) | instskip(NEXT) | instid1(VALU_DEP_2)
	v_and_b32_e32 v5, 15, v5
	v_subrev_nc_u32_e32 v6, 28, v4
	v_sub_nc_u32_e32 v4, 29, v4
	s_delay_alu instid0(VALU_DEP_3) | instskip(NEXT) | instid1(VALU_DEP_3)
	v_cmp_eq_u32_e32 vcc_lo, 0, v5
	v_dual_lshlrev_b32 v6, v6, v1 :: v_dual_lshlrev_b32 v1, 24, v1
	s_delay_alu instid0(VALU_DEP_1) | instskip(NEXT) | instid1(VALU_DEP_2)
	v_dual_cndmask_b32 v4, v5, v4, vcc_lo :: v_dual_bitop2_b32 v6, 7, v6 bitop3:0x40
	v_and_b32_e32 v1, 0x80000000, v1
	s_delay_alu instid0(VALU_DEP_2) | instskip(NEXT) | instid1(VALU_DEP_3)
	v_cndmask_b32_e32 v3, v3, v6, vcc_lo
	v_lshl_add_u32 v4, v4, 23, 0x3b800000
	s_delay_alu instid0(VALU_DEP_2) | instskip(NEXT) | instid1(VALU_DEP_1)
	v_lshlrev_b32_e32 v3, 20, v3
	v_or3_b32 v3, v1, v4, v3
.LBB304_156:
	s_or_b32 exec_lo, exec_lo, s26
	s_delay_alu instid0(VALU_DEP_1)
	v_cmp_eq_f32_e64 s24, s24, v3
.LBB304_157:
	s_wait_loadcnt 0x0
	s_delay_alu instid0(VALU_DEP_1) | instskip(SKIP_4) | instid1(SALU_CYCLE_1)
	v_cndmask_b32_e64 v1, 0, 1, s24
	v_add_nc_u32_e32 v0, 0x80, v0
	global_store_b8 v2, v1, s[0:1]
	s_wait_xcnt 0x0
	s_or_b32 exec_lo, exec_lo, s18
	s_mov_b32 s18, exec_lo
	v_cmpx_gt_i32_e64 s36, v0
	s_cbranch_execz .LBB304_5
.LBB304_158:
	s_and_not1_b32 vcc_lo, exec_lo, s33
	s_cbranch_vccnz .LBB304_163
; %bb.159:
	s_and_not1_b32 vcc_lo, exec_lo, s38
	s_cbranch_vccnz .LBB304_168
; %bb.160:
	s_add_co_i32 s25, s37, 1
	s_cmp_eq_u32 s31, 2
	s_cbranch_scc1 .LBB304_169
; %bb.161:
	v_dual_mov_b32 v2, 0 :: v_dual_mov_b32 v3, 0
	v_mov_b32_e32 v1, v0
	s_and_b32 s24, s25, 28
	s_mov_b32 s39, 0
	s_mov_b64 s[26:27], s[12:13]
	s_mov_b64 s[28:29], s[22:23]
.LBB304_162:                            ; =>This Inner Loop Header: Depth=1
	s_clause 0x1
	s_load_b256 s[40:47], s[26:27], 0x4
	s_load_b128 s[56:59], s[26:27], 0x24
	s_load_b256 s[48:55], s[28:29], 0x0
	s_add_co_i32 s39, s39, 4
	s_wait_xcnt 0x0
	s_add_nc_u64 s[26:27], s[26:27], 48
	s_cmp_eq_u32 s24, s39
	s_add_nc_u64 s[28:29], s[28:29], 32
	s_wait_kmcnt 0x0
	v_mul_hi_u32 v4, s41, v1
	s_delay_alu instid0(VALU_DEP_1) | instskip(NEXT) | instid1(VALU_DEP_1)
	v_add_nc_u32_e32 v4, v1, v4
	v_lshrrev_b32_e32 v4, s42, v4
	s_delay_alu instid0(VALU_DEP_1) | instskip(NEXT) | instid1(VALU_DEP_1)
	v_mul_hi_u32 v5, s44, v4
	v_add_nc_u32_e32 v5, v4, v5
	s_delay_alu instid0(VALU_DEP_1) | instskip(NEXT) | instid1(VALU_DEP_1)
	v_lshrrev_b32_e32 v5, s45, v5
	v_mul_hi_u32 v6, s47, v5
	s_delay_alu instid0(VALU_DEP_1) | instskip(SKIP_1) | instid1(VALU_DEP_1)
	v_add_nc_u32_e32 v6, v5, v6
	v_mul_lo_u32 v7, v4, s40
	v_sub_nc_u32_e32 v1, v1, v7
	v_mul_lo_u32 v7, v5, s43
	s_delay_alu instid0(VALU_DEP_4) | instskip(NEXT) | instid1(VALU_DEP_3)
	v_lshrrev_b32_e32 v6, s56, v6
	v_mad_u32 v3, v1, s49, v3
	v_mad_u32 v1, v1, s48, v2
	s_delay_alu instid0(VALU_DEP_4) | instskip(NEXT) | instid1(VALU_DEP_4)
	v_sub_nc_u32_e32 v2, v4, v7
	v_mul_hi_u32 v8, s58, v6
	v_mul_lo_u32 v4, v6, s46
	s_delay_alu instid0(VALU_DEP_3) | instskip(SKIP_1) | instid1(VALU_DEP_4)
	v_mad_u32 v3, v2, s51, v3
	v_mad_u32 v2, v2, s50, v1
	v_add_nc_u32_e32 v7, v6, v8
	s_delay_alu instid0(VALU_DEP_1) | instskip(NEXT) | instid1(VALU_DEP_1)
	v_dual_sub_nc_u32 v4, v5, v4 :: v_dual_lshrrev_b32 v1, s59, v7
	v_mad_u32 v3, v4, s53, v3
	s_delay_alu instid0(VALU_DEP_4) | instskip(NEXT) | instid1(VALU_DEP_3)
	v_mad_u32 v2, v4, s52, v2
	v_mul_lo_u32 v5, v1, s57
	s_delay_alu instid0(VALU_DEP_1) | instskip(NEXT) | instid1(VALU_DEP_1)
	v_sub_nc_u32_e32 v4, v6, v5
	v_mad_u32 v3, v4, s55, v3
	s_delay_alu instid0(VALU_DEP_4)
	v_mad_u32 v2, v4, s54, v2
	s_cbranch_scc0 .LBB304_162
	s_branch .LBB304_170
.LBB304_163:
                                        ; implicit-def: $vgpr3
	s_branch .LBB304_174
.LBB304_164:
	s_mov_b32 s25, -1
	s_mov_b32 s27, exec_lo
	v_cmpx_eq_u16_e32 0x80, v4
; %bb.165:
	s_xor_b32 s25, exec_lo, -1
; %bb.166:
	s_or_b32 exec_lo, exec_lo, s27
	s_delay_alu instid0(SALU_CYCLE_1)
	s_and_b32 s25, s25, exec_lo
                                        ; implicit-def: $vgpr4
	s_or_saveexec_b32 s26, s26
	v_mov_b32_e32 v3, 0x7f800001
	s_xor_b32 exec_lo, exec_lo, s26
	s_cbranch_execz .LBB304_154
.LBB304_167:
	v_cmp_ne_u16_e32 vcc_lo, 0, v4
	v_mov_b32_e32 v3, 0
	s_and_not1_b32 s25, s25, exec_lo
	s_and_b32 s27, vcc_lo, exec_lo
	s_delay_alu instid0(SALU_CYCLE_1)
	s_or_b32 s25, s25, s27
	s_or_b32 exec_lo, exec_lo, s26
	s_and_saveexec_b32 s26, s25
	s_cbranch_execnz .LBB304_155
	s_branch .LBB304_156
.LBB304_168:
	v_dual_mov_b32 v3, 0 :: v_dual_mov_b32 v2, 0
	s_branch .LBB304_173
.LBB304_169:
	v_mov_b64_e32 v[2:3], 0
	v_mov_b32_e32 v1, v0
	s_mov_b32 s24, 0
.LBB304_170:
	s_and_b32 s28, s25, 3
	s_mov_b32 s25, 0
	s_cmp_eq_u32 s28, 0
	s_cbranch_scc1 .LBB304_173
; %bb.171:
	s_lshl_b32 s26, s24, 3
	s_mov_b32 s27, s25
	s_mul_u64 s[40:41], s[24:25], 12
	s_add_nc_u64 s[26:27], s[12:13], s[26:27]
	s_delay_alu instid0(SALU_CYCLE_1)
	s_add_nc_u64 s[24:25], s[26:27], 0xc4
	s_add_nc_u64 s[26:27], s[12:13], s[40:41]
.LBB304_172:                            ; =>This Inner Loop Header: Depth=1
	s_load_b96 s[40:42], s[26:27], 0x4
	s_add_co_i32 s28, s28, -1
	s_wait_xcnt 0x0
	s_add_nc_u64 s[26:27], s[26:27], 12
	s_cmp_lg_u32 s28, 0
	s_wait_kmcnt 0x0
	v_mul_hi_u32 v4, s41, v1
	s_delay_alu instid0(VALU_DEP_1) | instskip(NEXT) | instid1(VALU_DEP_1)
	v_add_nc_u32_e32 v4, v1, v4
	v_lshrrev_b32_e32 v4, s42, v4
	s_load_b64 s[42:43], s[24:25], 0x0
	s_wait_xcnt 0x0
	s_add_nc_u64 s[24:25], s[24:25], 8
	s_delay_alu instid0(VALU_DEP_1) | instskip(NEXT) | instid1(VALU_DEP_1)
	v_mul_lo_u32 v5, v4, s40
	v_sub_nc_u32_e32 v1, v1, v5
	s_wait_kmcnt 0x0
	s_delay_alu instid0(VALU_DEP_1)
	v_mad_u32 v3, v1, s43, v3
	v_mad_u32 v2, v1, s42, v2
	v_mov_b32_e32 v1, v4
	s_cbranch_scc1 .LBB304_172
.LBB304_173:
	s_cbranch_execnz .LBB304_176
.LBB304_174:
	v_mov_b32_e32 v1, 0
	s_and_not1_b32 vcc_lo, exec_lo, s35
	s_delay_alu instid0(VALU_DEP_1) | instskip(NEXT) | instid1(VALU_DEP_1)
	v_mul_u64_e32 v[2:3], s[16:17], v[0:1]
	v_add_nc_u32_e32 v2, v0, v3
	s_delay_alu instid0(VALU_DEP_1) | instskip(NEXT) | instid1(VALU_DEP_1)
	v_lshrrev_b32_e32 v4, s6, v2
	v_mul_lo_u32 v2, v4, s4
	s_delay_alu instid0(VALU_DEP_1) | instskip(NEXT) | instid1(VALU_DEP_1)
	v_sub_nc_u32_e32 v2, v0, v2
	v_mul_lo_u32 v3, v2, s9
	v_mul_lo_u32 v2, v2, s8
	s_cbranch_vccnz .LBB304_176
; %bb.175:
	v_mov_b32_e32 v5, v1
	s_delay_alu instid0(VALU_DEP_1) | instskip(NEXT) | instid1(VALU_DEP_1)
	v_mul_u64_e32 v[6:7], s[20:21], v[4:5]
	v_add_nc_u32_e32 v1, v4, v7
	s_delay_alu instid0(VALU_DEP_1) | instskip(NEXT) | instid1(VALU_DEP_1)
	v_lshrrev_b32_e32 v1, s19, v1
	v_mul_lo_u32 v1, v1, s7
	s_delay_alu instid0(VALU_DEP_1) | instskip(NEXT) | instid1(VALU_DEP_1)
	v_sub_nc_u32_e32 v1, v4, v1
	v_mad_u32 v2, v1, s10, v2
	v_mad_u32 v3, v1, s11, v3
.LBB304_176:
	global_load_u8 v1, v3, s[2:3]
	s_and_not1_b32 vcc_lo, exec_lo, s14
	s_cbranch_vccnz .LBB304_181
; %bb.177:
	s_and_b32 s25, s15, 0xff
	s_delay_alu instid0(SALU_CYCLE_1)
	s_cmp_lt_i32 s25, 0x80
	s_cbranch_scc1 .LBB304_182
; %bb.178:
	s_and_b32 s24, 0xffff, s25
	s_mov_b32 s26, -1
	s_cmp_eq_u32 s24, 0x80
	s_cbranch_scc0 .LBB304_180
; %bb.179:
	s_mov_b32 s26, 0
.LBB304_180:
	s_mov_b32 s24, 0x7f800001
	s_branch .LBB304_184
.LBB304_181:
                                        ; implicit-def: $sgpr24
	s_cbranch_execnz .LBB304_191
	s_branch .LBB304_208
.LBB304_182:
	s_mov_b32 s26, 0
	s_mov_b32 s24, 0x7f800001
	s_cbranch_execz .LBB304_184
; %bb.183:
	s_and_b32 s24, 0xffff, s25
	s_delay_alu instid0(SALU_CYCLE_1)
	s_cmp_lg_u32 s24, 0
	s_mov_b32 s24, 0
	s_cselect_b32 s26, -1, 0
.LBB304_184:
	s_delay_alu instid0(SALU_CYCLE_1)
	s_and_not1_b32 vcc_lo, exec_lo, s26
	s_cbranch_vccnz .LBB304_186
; %bb.185:
	s_mov_b32 s24, s5
.LBB304_186:
	s_wait_loadcnt 0x0
	v_and_b32_e32 v4, 0xff, v1
	s_mov_b32 s25, 0
	s_mov_b32 s26, exec_lo
	s_wait_xcnt 0x0
	s_delay_alu instid0(VALU_DEP_1)
	v_cmpx_lt_i16_e32 0x7f, v4
	s_xor_b32 s26, exec_lo, s26
	s_cbranch_execnz .LBB304_195
; %bb.187:
	s_or_saveexec_b32 s26, s26
	v_mov_b32_e32 v3, 0x7f800001
	s_xor_b32 exec_lo, exec_lo, s26
	s_cbranch_execnz .LBB304_198
.LBB304_188:
	s_or_b32 exec_lo, exec_lo, s26
	s_and_saveexec_b32 s26, s25
	s_cbranch_execz .LBB304_190
.LBB304_189:
	v_and_b32_e32 v3, 7, v1
	v_lshrrev_b16 v5, 3, v1
	v_lshlrev_b32_e32 v7, 24, v1
	s_delay_alu instid0(VALU_DEP_3) | instskip(NEXT) | instid1(VALU_DEP_1)
	v_clz_i32_u32_e32 v4, v3
	v_min_u32_e32 v4, 32, v4
	s_delay_alu instid0(VALU_DEP_4) | instskip(NEXT) | instid1(VALU_DEP_2)
	v_and_b32_e32 v5, 15, v5
	v_subrev_nc_u32_e32 v6, 28, v4
	v_sub_nc_u32_e32 v4, 29, v4
	s_delay_alu instid0(VALU_DEP_3) | instskip(NEXT) | instid1(VALU_DEP_3)
	v_cmp_eq_u32_e32 vcc_lo, 0, v5
	v_lshlrev_b32_e32 v6, v6, v1
	s_delay_alu instid0(VALU_DEP_1) | instskip(SKIP_1) | instid1(VALU_DEP_2)
	v_dual_cndmask_b32 v4, v5, v4, vcc_lo :: v_dual_bitop2_b32 v6, 7, v6 bitop3:0x40
	v_and_b32_e32 v5, 0x80000000, v7
	v_cndmask_b32_e32 v3, v3, v6, vcc_lo
	s_delay_alu instid0(VALU_DEP_3) | instskip(NEXT) | instid1(VALU_DEP_2)
	v_lshl_add_u32 v4, v4, 23, 0x3b800000
	v_lshlrev_b32_e32 v3, 20, v3
	s_delay_alu instid0(VALU_DEP_1)
	v_or3_b32 v3, v5, v4, v3
.LBB304_190:
	s_or_b32 exec_lo, exec_lo, s26
	s_delay_alu instid0(VALU_DEP_1)
	v_cmp_neq_f32_e64 s24, s24, v3
	s_branch .LBB304_208
.LBB304_191:
	s_and_b32 s25, s15, 0xff
	s_delay_alu instid0(SALU_CYCLE_1)
	s_cmp_lt_i32 s25, 0x80
	s_cbranch_scc1 .LBB304_199
; %bb.192:
	s_and_b32 s24, 0xffff, s25
	s_mov_b32 s26, -1
	s_cmp_eq_u32 s24, 0x80
	s_cbranch_scc0 .LBB304_194
; %bb.193:
	s_mov_b32 s26, 0
.LBB304_194:
	s_mov_b32 s24, 0x7f800001
	s_branch .LBB304_201
.LBB304_195:
	s_mov_b32 s25, -1
	s_mov_b32 s27, exec_lo
	v_cmpx_eq_u16_e32 0x80, v4
; %bb.196:
	s_xor_b32 s25, exec_lo, -1
; %bb.197:
	s_or_b32 exec_lo, exec_lo, s27
	s_delay_alu instid0(SALU_CYCLE_1)
	s_and_b32 s25, s25, exec_lo
                                        ; implicit-def: $vgpr4
	s_or_saveexec_b32 s26, s26
	v_mov_b32_e32 v3, 0x7f800001
	s_xor_b32 exec_lo, exec_lo, s26
	s_cbranch_execz .LBB304_188
.LBB304_198:
	v_cmp_ne_u16_e32 vcc_lo, 0, v4
	v_mov_b32_e32 v3, 0
	s_and_not1_b32 s25, s25, exec_lo
	s_and_b32 s27, vcc_lo, exec_lo
	s_delay_alu instid0(SALU_CYCLE_1)
	s_or_b32 s25, s25, s27
	s_or_b32 exec_lo, exec_lo, s26
	s_and_saveexec_b32 s26, s25
	s_cbranch_execnz .LBB304_189
	s_branch .LBB304_190
.LBB304_199:
	s_mov_b32 s26, 0
	s_mov_b32 s24, 0x7f800001
	s_cbranch_execz .LBB304_201
; %bb.200:
	s_and_b32 s24, 0xffff, s25
	s_delay_alu instid0(SALU_CYCLE_1)
	s_cmp_lg_u32 s24, 0
	s_mov_b32 s24, 0
	s_cselect_b32 s26, -1, 0
.LBB304_201:
	s_delay_alu instid0(SALU_CYCLE_1)
	s_and_not1_b32 vcc_lo, exec_lo, s26
	s_cbranch_vccnz .LBB304_203
; %bb.202:
	s_mov_b32 s24, s5
.LBB304_203:
	s_wait_loadcnt 0x0
	v_and_b32_e32 v4, 0xff, v1
	s_mov_b32 s25, 0
	s_mov_b32 s26, exec_lo
	s_wait_xcnt 0x0
	s_delay_alu instid0(VALU_DEP_1)
	v_cmpx_lt_i16_e32 0x7f, v4
	s_xor_b32 s26, exec_lo, s26
	s_cbranch_execnz .LBB304_215
; %bb.204:
	s_or_saveexec_b32 s26, s26
	v_mov_b32_e32 v3, 0x7f800001
	s_xor_b32 exec_lo, exec_lo, s26
	s_cbranch_execnz .LBB304_218
.LBB304_205:
	s_or_b32 exec_lo, exec_lo, s26
	s_and_saveexec_b32 s26, s25
	s_cbranch_execz .LBB304_207
.LBB304_206:
	v_and_b32_e32 v3, 7, v1
	v_lshrrev_b16 v5, 3, v1
	s_delay_alu instid0(VALU_DEP_2) | instskip(NEXT) | instid1(VALU_DEP_1)
	v_clz_i32_u32_e32 v4, v3
	v_min_u32_e32 v4, 32, v4
	s_delay_alu instid0(VALU_DEP_3) | instskip(NEXT) | instid1(VALU_DEP_2)
	v_and_b32_e32 v5, 15, v5
	v_subrev_nc_u32_e32 v6, 28, v4
	v_sub_nc_u32_e32 v4, 29, v4
	s_delay_alu instid0(VALU_DEP_3) | instskip(NEXT) | instid1(VALU_DEP_3)
	v_cmp_eq_u32_e32 vcc_lo, 0, v5
	v_dual_lshlrev_b32 v6, v6, v1 :: v_dual_lshlrev_b32 v1, 24, v1
	s_delay_alu instid0(VALU_DEP_1) | instskip(NEXT) | instid1(VALU_DEP_2)
	v_dual_cndmask_b32 v4, v5, v4, vcc_lo :: v_dual_bitop2_b32 v6, 7, v6 bitop3:0x40
	v_and_b32_e32 v1, 0x80000000, v1
	s_delay_alu instid0(VALU_DEP_2) | instskip(NEXT) | instid1(VALU_DEP_3)
	v_cndmask_b32_e32 v3, v3, v6, vcc_lo
	v_lshl_add_u32 v4, v4, 23, 0x3b800000
	s_delay_alu instid0(VALU_DEP_2) | instskip(NEXT) | instid1(VALU_DEP_1)
	v_lshlrev_b32_e32 v3, 20, v3
	v_or3_b32 v3, v1, v4, v3
.LBB304_207:
	s_or_b32 exec_lo, exec_lo, s26
	s_delay_alu instid0(VALU_DEP_1)
	v_cmp_eq_f32_e64 s24, s24, v3
.LBB304_208:
	s_wait_loadcnt 0x0
	s_delay_alu instid0(VALU_DEP_1) | instskip(SKIP_4) | instid1(SALU_CYCLE_1)
	v_cndmask_b32_e64 v1, 0, 1, s24
	v_add_nc_u32_e32 v0, 0x80, v0
	global_store_b8 v2, v1, s[0:1]
	s_wait_xcnt 0x0
	s_or_b32 exec_lo, exec_lo, s18
	s_mov_b32 s18, exec_lo
	v_cmpx_gt_i32_e64 s36, v0
	s_cbranch_execz .LBB304_6
.LBB304_209:
	s_and_not1_b32 vcc_lo, exec_lo, s33
	s_cbranch_vccnz .LBB304_214
; %bb.210:
	s_and_not1_b32 vcc_lo, exec_lo, s38
	s_cbranch_vccnz .LBB304_219
; %bb.211:
	s_add_co_i32 s25, s37, 1
	s_cmp_eq_u32 s31, 2
	s_cbranch_scc1 .LBB304_220
; %bb.212:
	v_dual_mov_b32 v2, 0 :: v_dual_mov_b32 v3, 0
	v_mov_b32_e32 v1, v0
	s_and_b32 s24, s25, 28
	s_mov_b32 s39, 0
	s_mov_b64 s[26:27], s[12:13]
	s_mov_b64 s[28:29], s[22:23]
.LBB304_213:                            ; =>This Inner Loop Header: Depth=1
	s_clause 0x1
	s_load_b256 s[40:47], s[26:27], 0x4
	s_load_b128 s[56:59], s[26:27], 0x24
	s_load_b256 s[48:55], s[28:29], 0x0
	s_add_co_i32 s39, s39, 4
	s_wait_xcnt 0x0
	s_add_nc_u64 s[26:27], s[26:27], 48
	s_cmp_eq_u32 s24, s39
	s_add_nc_u64 s[28:29], s[28:29], 32
	s_wait_kmcnt 0x0
	v_mul_hi_u32 v4, s41, v1
	s_delay_alu instid0(VALU_DEP_1) | instskip(NEXT) | instid1(VALU_DEP_1)
	v_add_nc_u32_e32 v4, v1, v4
	v_lshrrev_b32_e32 v4, s42, v4
	s_delay_alu instid0(VALU_DEP_1) | instskip(NEXT) | instid1(VALU_DEP_1)
	v_mul_hi_u32 v5, s44, v4
	v_add_nc_u32_e32 v5, v4, v5
	s_delay_alu instid0(VALU_DEP_1) | instskip(NEXT) | instid1(VALU_DEP_1)
	v_lshrrev_b32_e32 v5, s45, v5
	v_mul_hi_u32 v6, s47, v5
	s_delay_alu instid0(VALU_DEP_1) | instskip(SKIP_1) | instid1(VALU_DEP_1)
	v_add_nc_u32_e32 v6, v5, v6
	v_mul_lo_u32 v7, v4, s40
	v_sub_nc_u32_e32 v1, v1, v7
	v_mul_lo_u32 v7, v5, s43
	s_delay_alu instid0(VALU_DEP_4) | instskip(NEXT) | instid1(VALU_DEP_3)
	v_lshrrev_b32_e32 v6, s56, v6
	v_mad_u32 v3, v1, s49, v3
	v_mad_u32 v1, v1, s48, v2
	s_delay_alu instid0(VALU_DEP_4) | instskip(NEXT) | instid1(VALU_DEP_4)
	v_sub_nc_u32_e32 v2, v4, v7
	v_mul_hi_u32 v8, s58, v6
	v_mul_lo_u32 v4, v6, s46
	s_delay_alu instid0(VALU_DEP_3) | instskip(SKIP_1) | instid1(VALU_DEP_4)
	v_mad_u32 v3, v2, s51, v3
	v_mad_u32 v2, v2, s50, v1
	v_add_nc_u32_e32 v7, v6, v8
	s_delay_alu instid0(VALU_DEP_1) | instskip(NEXT) | instid1(VALU_DEP_1)
	v_dual_sub_nc_u32 v4, v5, v4 :: v_dual_lshrrev_b32 v1, s59, v7
	v_mad_u32 v3, v4, s53, v3
	s_delay_alu instid0(VALU_DEP_4) | instskip(NEXT) | instid1(VALU_DEP_3)
	v_mad_u32 v2, v4, s52, v2
	v_mul_lo_u32 v5, v1, s57
	s_delay_alu instid0(VALU_DEP_1) | instskip(NEXT) | instid1(VALU_DEP_1)
	v_sub_nc_u32_e32 v4, v6, v5
	v_mad_u32 v3, v4, s55, v3
	s_delay_alu instid0(VALU_DEP_4)
	v_mad_u32 v2, v4, s54, v2
	s_cbranch_scc0 .LBB304_213
	s_branch .LBB304_221
.LBB304_214:
                                        ; implicit-def: $vgpr3
	s_branch .LBB304_225
.LBB304_215:
	s_mov_b32 s25, -1
	s_mov_b32 s27, exec_lo
	v_cmpx_eq_u16_e32 0x80, v4
; %bb.216:
	s_xor_b32 s25, exec_lo, -1
; %bb.217:
	s_or_b32 exec_lo, exec_lo, s27
	s_delay_alu instid0(SALU_CYCLE_1)
	s_and_b32 s25, s25, exec_lo
                                        ; implicit-def: $vgpr4
	s_or_saveexec_b32 s26, s26
	v_mov_b32_e32 v3, 0x7f800001
	s_xor_b32 exec_lo, exec_lo, s26
	s_cbranch_execz .LBB304_205
.LBB304_218:
	v_cmp_ne_u16_e32 vcc_lo, 0, v4
	v_mov_b32_e32 v3, 0
	s_and_not1_b32 s25, s25, exec_lo
	s_and_b32 s27, vcc_lo, exec_lo
	s_delay_alu instid0(SALU_CYCLE_1)
	s_or_b32 s25, s25, s27
	s_or_b32 exec_lo, exec_lo, s26
	s_and_saveexec_b32 s26, s25
	s_cbranch_execnz .LBB304_206
	s_branch .LBB304_207
.LBB304_219:
	v_dual_mov_b32 v3, 0 :: v_dual_mov_b32 v2, 0
	s_branch .LBB304_224
.LBB304_220:
	v_mov_b64_e32 v[2:3], 0
	v_mov_b32_e32 v1, v0
	s_mov_b32 s24, 0
.LBB304_221:
	s_and_b32 s28, s25, 3
	s_mov_b32 s25, 0
	s_cmp_eq_u32 s28, 0
	s_cbranch_scc1 .LBB304_224
; %bb.222:
	s_lshl_b32 s26, s24, 3
	s_mov_b32 s27, s25
	s_mul_u64 s[40:41], s[24:25], 12
	s_add_nc_u64 s[26:27], s[12:13], s[26:27]
	s_delay_alu instid0(SALU_CYCLE_1)
	s_add_nc_u64 s[24:25], s[26:27], 0xc4
	s_add_nc_u64 s[26:27], s[12:13], s[40:41]
.LBB304_223:                            ; =>This Inner Loop Header: Depth=1
	s_load_b96 s[40:42], s[26:27], 0x4
	s_add_co_i32 s28, s28, -1
	s_wait_xcnt 0x0
	s_add_nc_u64 s[26:27], s[26:27], 12
	s_cmp_lg_u32 s28, 0
	s_wait_kmcnt 0x0
	v_mul_hi_u32 v4, s41, v1
	s_delay_alu instid0(VALU_DEP_1) | instskip(NEXT) | instid1(VALU_DEP_1)
	v_add_nc_u32_e32 v4, v1, v4
	v_lshrrev_b32_e32 v4, s42, v4
	s_load_b64 s[42:43], s[24:25], 0x0
	s_wait_xcnt 0x0
	s_add_nc_u64 s[24:25], s[24:25], 8
	s_delay_alu instid0(VALU_DEP_1) | instskip(NEXT) | instid1(VALU_DEP_1)
	v_mul_lo_u32 v5, v4, s40
	v_sub_nc_u32_e32 v1, v1, v5
	s_wait_kmcnt 0x0
	s_delay_alu instid0(VALU_DEP_1)
	v_mad_u32 v3, v1, s43, v3
	v_mad_u32 v2, v1, s42, v2
	v_mov_b32_e32 v1, v4
	s_cbranch_scc1 .LBB304_223
.LBB304_224:
	s_cbranch_execnz .LBB304_227
.LBB304_225:
	v_mov_b32_e32 v1, 0
	s_and_not1_b32 vcc_lo, exec_lo, s35
	s_delay_alu instid0(VALU_DEP_1) | instskip(NEXT) | instid1(VALU_DEP_1)
	v_mul_u64_e32 v[2:3], s[16:17], v[0:1]
	v_add_nc_u32_e32 v2, v0, v3
	s_delay_alu instid0(VALU_DEP_1) | instskip(NEXT) | instid1(VALU_DEP_1)
	v_lshrrev_b32_e32 v4, s6, v2
	v_mul_lo_u32 v2, v4, s4
	s_delay_alu instid0(VALU_DEP_1) | instskip(NEXT) | instid1(VALU_DEP_1)
	v_sub_nc_u32_e32 v2, v0, v2
	v_mul_lo_u32 v3, v2, s9
	v_mul_lo_u32 v2, v2, s8
	s_cbranch_vccnz .LBB304_227
; %bb.226:
	v_mov_b32_e32 v5, v1
	s_delay_alu instid0(VALU_DEP_1) | instskip(NEXT) | instid1(VALU_DEP_1)
	v_mul_u64_e32 v[6:7], s[20:21], v[4:5]
	v_add_nc_u32_e32 v1, v4, v7
	s_delay_alu instid0(VALU_DEP_1) | instskip(NEXT) | instid1(VALU_DEP_1)
	v_lshrrev_b32_e32 v1, s19, v1
	v_mul_lo_u32 v1, v1, s7
	s_delay_alu instid0(VALU_DEP_1) | instskip(NEXT) | instid1(VALU_DEP_1)
	v_sub_nc_u32_e32 v1, v4, v1
	v_mad_u32 v2, v1, s10, v2
	v_mad_u32 v3, v1, s11, v3
.LBB304_227:
	global_load_u8 v1, v3, s[2:3]
	s_and_not1_b32 vcc_lo, exec_lo, s14
	s_cbranch_vccnz .LBB304_232
; %bb.228:
	s_and_b32 s25, s15, 0xff
	s_delay_alu instid0(SALU_CYCLE_1)
	s_cmp_lt_i32 s25, 0x80
	s_cbranch_scc1 .LBB304_233
; %bb.229:
	s_and_b32 s24, 0xffff, s25
	s_mov_b32 s26, -1
	s_cmp_eq_u32 s24, 0x80
	s_cbranch_scc0 .LBB304_231
; %bb.230:
	s_mov_b32 s26, 0
.LBB304_231:
	s_mov_b32 s24, 0x7f800001
	s_branch .LBB304_235
.LBB304_232:
                                        ; implicit-def: $sgpr24
	s_cbranch_execnz .LBB304_242
	s_branch .LBB304_259
.LBB304_233:
	s_mov_b32 s26, 0
	s_mov_b32 s24, 0x7f800001
	s_cbranch_execz .LBB304_235
; %bb.234:
	s_and_b32 s24, 0xffff, s25
	s_delay_alu instid0(SALU_CYCLE_1)
	s_cmp_lg_u32 s24, 0
	s_mov_b32 s24, 0
	s_cselect_b32 s26, -1, 0
.LBB304_235:
	s_delay_alu instid0(SALU_CYCLE_1)
	s_and_not1_b32 vcc_lo, exec_lo, s26
	s_cbranch_vccnz .LBB304_237
; %bb.236:
	s_mov_b32 s24, s5
.LBB304_237:
	s_wait_loadcnt 0x0
	v_and_b32_e32 v4, 0xff, v1
	s_mov_b32 s25, 0
	s_mov_b32 s26, exec_lo
	s_wait_xcnt 0x0
	s_delay_alu instid0(VALU_DEP_1)
	v_cmpx_lt_i16_e32 0x7f, v4
	s_xor_b32 s26, exec_lo, s26
	s_cbranch_execnz .LBB304_246
; %bb.238:
	s_or_saveexec_b32 s26, s26
	v_mov_b32_e32 v3, 0x7f800001
	s_xor_b32 exec_lo, exec_lo, s26
	s_cbranch_execnz .LBB304_249
.LBB304_239:
	s_or_b32 exec_lo, exec_lo, s26
	s_and_saveexec_b32 s26, s25
	s_cbranch_execz .LBB304_241
.LBB304_240:
	v_and_b32_e32 v3, 7, v1
	v_lshrrev_b16 v5, 3, v1
	v_lshlrev_b32_e32 v7, 24, v1
	s_delay_alu instid0(VALU_DEP_3) | instskip(NEXT) | instid1(VALU_DEP_1)
	v_clz_i32_u32_e32 v4, v3
	v_min_u32_e32 v4, 32, v4
	s_delay_alu instid0(VALU_DEP_4) | instskip(NEXT) | instid1(VALU_DEP_2)
	v_and_b32_e32 v5, 15, v5
	v_subrev_nc_u32_e32 v6, 28, v4
	v_sub_nc_u32_e32 v4, 29, v4
	s_delay_alu instid0(VALU_DEP_3) | instskip(NEXT) | instid1(VALU_DEP_3)
	v_cmp_eq_u32_e32 vcc_lo, 0, v5
	v_lshlrev_b32_e32 v6, v6, v1
	s_delay_alu instid0(VALU_DEP_1) | instskip(SKIP_1) | instid1(VALU_DEP_2)
	v_dual_cndmask_b32 v4, v5, v4, vcc_lo :: v_dual_bitop2_b32 v6, 7, v6 bitop3:0x40
	v_and_b32_e32 v5, 0x80000000, v7
	v_cndmask_b32_e32 v3, v3, v6, vcc_lo
	s_delay_alu instid0(VALU_DEP_3) | instskip(NEXT) | instid1(VALU_DEP_2)
	v_lshl_add_u32 v4, v4, 23, 0x3b800000
	v_lshlrev_b32_e32 v3, 20, v3
	s_delay_alu instid0(VALU_DEP_1)
	v_or3_b32 v3, v5, v4, v3
.LBB304_241:
	s_or_b32 exec_lo, exec_lo, s26
	s_delay_alu instid0(VALU_DEP_1)
	v_cmp_neq_f32_e64 s24, s24, v3
	s_branch .LBB304_259
.LBB304_242:
	s_and_b32 s25, s15, 0xff
	s_delay_alu instid0(SALU_CYCLE_1)
	s_cmp_lt_i32 s25, 0x80
	s_cbranch_scc1 .LBB304_250
; %bb.243:
	s_and_b32 s24, 0xffff, s25
	s_mov_b32 s26, -1
	s_cmp_eq_u32 s24, 0x80
	s_cbranch_scc0 .LBB304_245
; %bb.244:
	s_mov_b32 s26, 0
.LBB304_245:
	s_mov_b32 s24, 0x7f800001
	s_branch .LBB304_252
.LBB304_246:
	s_mov_b32 s25, -1
	s_mov_b32 s27, exec_lo
	v_cmpx_eq_u16_e32 0x80, v4
; %bb.247:
	s_xor_b32 s25, exec_lo, -1
; %bb.248:
	s_or_b32 exec_lo, exec_lo, s27
	s_delay_alu instid0(SALU_CYCLE_1)
	s_and_b32 s25, s25, exec_lo
                                        ; implicit-def: $vgpr4
	s_or_saveexec_b32 s26, s26
	v_mov_b32_e32 v3, 0x7f800001
	s_xor_b32 exec_lo, exec_lo, s26
	s_cbranch_execz .LBB304_239
.LBB304_249:
	v_cmp_ne_u16_e32 vcc_lo, 0, v4
	v_mov_b32_e32 v3, 0
	s_and_not1_b32 s25, s25, exec_lo
	s_and_b32 s27, vcc_lo, exec_lo
	s_delay_alu instid0(SALU_CYCLE_1)
	s_or_b32 s25, s25, s27
	s_or_b32 exec_lo, exec_lo, s26
	s_and_saveexec_b32 s26, s25
	s_cbranch_execnz .LBB304_240
	s_branch .LBB304_241
.LBB304_250:
	s_mov_b32 s26, 0
	s_mov_b32 s24, 0x7f800001
	s_cbranch_execz .LBB304_252
; %bb.251:
	s_and_b32 s24, 0xffff, s25
	s_delay_alu instid0(SALU_CYCLE_1)
	s_cmp_lg_u32 s24, 0
	s_mov_b32 s24, 0
	s_cselect_b32 s26, -1, 0
.LBB304_252:
	s_delay_alu instid0(SALU_CYCLE_1)
	s_and_not1_b32 vcc_lo, exec_lo, s26
	s_cbranch_vccnz .LBB304_254
; %bb.253:
	s_mov_b32 s24, s5
.LBB304_254:
	s_wait_loadcnt 0x0
	v_and_b32_e32 v4, 0xff, v1
	s_mov_b32 s25, 0
	s_mov_b32 s26, exec_lo
	s_wait_xcnt 0x0
	s_delay_alu instid0(VALU_DEP_1)
	v_cmpx_lt_i16_e32 0x7f, v4
	s_xor_b32 s26, exec_lo, s26
	s_cbranch_execnz .LBB304_266
; %bb.255:
	s_or_saveexec_b32 s26, s26
	v_mov_b32_e32 v3, 0x7f800001
	s_xor_b32 exec_lo, exec_lo, s26
	s_cbranch_execnz .LBB304_269
.LBB304_256:
	s_or_b32 exec_lo, exec_lo, s26
	s_and_saveexec_b32 s26, s25
	s_cbranch_execz .LBB304_258
.LBB304_257:
	v_and_b32_e32 v3, 7, v1
	v_lshrrev_b16 v5, 3, v1
	s_delay_alu instid0(VALU_DEP_2) | instskip(NEXT) | instid1(VALU_DEP_1)
	v_clz_i32_u32_e32 v4, v3
	v_min_u32_e32 v4, 32, v4
	s_delay_alu instid0(VALU_DEP_3) | instskip(NEXT) | instid1(VALU_DEP_2)
	v_and_b32_e32 v5, 15, v5
	v_subrev_nc_u32_e32 v6, 28, v4
	v_sub_nc_u32_e32 v4, 29, v4
	s_delay_alu instid0(VALU_DEP_3) | instskip(NEXT) | instid1(VALU_DEP_3)
	v_cmp_eq_u32_e32 vcc_lo, 0, v5
	v_dual_lshlrev_b32 v6, v6, v1 :: v_dual_lshlrev_b32 v1, 24, v1
	s_delay_alu instid0(VALU_DEP_1) | instskip(NEXT) | instid1(VALU_DEP_2)
	v_dual_cndmask_b32 v4, v5, v4, vcc_lo :: v_dual_bitop2_b32 v6, 7, v6 bitop3:0x40
	v_and_b32_e32 v1, 0x80000000, v1
	s_delay_alu instid0(VALU_DEP_2) | instskip(NEXT) | instid1(VALU_DEP_3)
	v_cndmask_b32_e32 v3, v3, v6, vcc_lo
	v_lshl_add_u32 v4, v4, 23, 0x3b800000
	s_delay_alu instid0(VALU_DEP_2) | instskip(NEXT) | instid1(VALU_DEP_1)
	v_lshlrev_b32_e32 v3, 20, v3
	v_or3_b32 v3, v1, v4, v3
.LBB304_258:
	s_or_b32 exec_lo, exec_lo, s26
	s_delay_alu instid0(VALU_DEP_1)
	v_cmp_eq_f32_e64 s24, s24, v3
.LBB304_259:
	s_wait_loadcnt 0x0
	s_delay_alu instid0(VALU_DEP_1) | instskip(SKIP_4) | instid1(SALU_CYCLE_1)
	v_cndmask_b32_e64 v1, 0, 1, s24
	v_add_nc_u32_e32 v0, 0x80, v0
	global_store_b8 v2, v1, s[0:1]
	s_wait_xcnt 0x0
	s_or_b32 exec_lo, exec_lo, s18
	s_mov_b32 s18, exec_lo
	v_cmpx_gt_i32_e64 s36, v0
	s_cbranch_execz .LBB304_7
.LBB304_260:
	s_and_not1_b32 vcc_lo, exec_lo, s33
	s_cbranch_vccnz .LBB304_265
; %bb.261:
	s_and_not1_b32 vcc_lo, exec_lo, s38
	s_cbranch_vccnz .LBB304_270
; %bb.262:
	s_add_co_i32 s25, s37, 1
	s_cmp_eq_u32 s31, 2
	s_cbranch_scc1 .LBB304_271
; %bb.263:
	v_dual_mov_b32 v2, 0 :: v_dual_mov_b32 v3, 0
	v_mov_b32_e32 v1, v0
	s_and_b32 s24, s25, 28
	s_mov_b32 s39, 0
	s_mov_b64 s[26:27], s[12:13]
	s_mov_b64 s[28:29], s[22:23]
.LBB304_264:                            ; =>This Inner Loop Header: Depth=1
	s_clause 0x1
	s_load_b256 s[40:47], s[26:27], 0x4
	s_load_b128 s[56:59], s[26:27], 0x24
	s_load_b256 s[48:55], s[28:29], 0x0
	s_add_co_i32 s39, s39, 4
	s_wait_xcnt 0x0
	s_add_nc_u64 s[26:27], s[26:27], 48
	s_cmp_eq_u32 s24, s39
	s_add_nc_u64 s[28:29], s[28:29], 32
	s_wait_kmcnt 0x0
	v_mul_hi_u32 v4, s41, v1
	s_delay_alu instid0(VALU_DEP_1) | instskip(NEXT) | instid1(VALU_DEP_1)
	v_add_nc_u32_e32 v4, v1, v4
	v_lshrrev_b32_e32 v4, s42, v4
	s_delay_alu instid0(VALU_DEP_1) | instskip(NEXT) | instid1(VALU_DEP_1)
	v_mul_hi_u32 v5, s44, v4
	v_add_nc_u32_e32 v5, v4, v5
	s_delay_alu instid0(VALU_DEP_1) | instskip(NEXT) | instid1(VALU_DEP_1)
	v_lshrrev_b32_e32 v5, s45, v5
	v_mul_hi_u32 v6, s47, v5
	s_delay_alu instid0(VALU_DEP_1) | instskip(SKIP_1) | instid1(VALU_DEP_1)
	v_add_nc_u32_e32 v6, v5, v6
	v_mul_lo_u32 v7, v4, s40
	v_sub_nc_u32_e32 v1, v1, v7
	v_mul_lo_u32 v7, v5, s43
	s_delay_alu instid0(VALU_DEP_4) | instskip(NEXT) | instid1(VALU_DEP_3)
	v_lshrrev_b32_e32 v6, s56, v6
	v_mad_u32 v3, v1, s49, v3
	v_mad_u32 v1, v1, s48, v2
	s_delay_alu instid0(VALU_DEP_4) | instskip(NEXT) | instid1(VALU_DEP_4)
	v_sub_nc_u32_e32 v2, v4, v7
	v_mul_hi_u32 v8, s58, v6
	v_mul_lo_u32 v4, v6, s46
	s_delay_alu instid0(VALU_DEP_3) | instskip(SKIP_1) | instid1(VALU_DEP_4)
	v_mad_u32 v3, v2, s51, v3
	v_mad_u32 v2, v2, s50, v1
	v_add_nc_u32_e32 v7, v6, v8
	s_delay_alu instid0(VALU_DEP_1) | instskip(NEXT) | instid1(VALU_DEP_1)
	v_dual_sub_nc_u32 v4, v5, v4 :: v_dual_lshrrev_b32 v1, s59, v7
	v_mad_u32 v3, v4, s53, v3
	s_delay_alu instid0(VALU_DEP_4) | instskip(NEXT) | instid1(VALU_DEP_3)
	v_mad_u32 v2, v4, s52, v2
	v_mul_lo_u32 v5, v1, s57
	s_delay_alu instid0(VALU_DEP_1) | instskip(NEXT) | instid1(VALU_DEP_1)
	v_sub_nc_u32_e32 v4, v6, v5
	v_mad_u32 v3, v4, s55, v3
	s_delay_alu instid0(VALU_DEP_4)
	v_mad_u32 v2, v4, s54, v2
	s_cbranch_scc0 .LBB304_264
	s_branch .LBB304_272
.LBB304_265:
                                        ; implicit-def: $vgpr3
	s_branch .LBB304_276
.LBB304_266:
	s_mov_b32 s25, -1
	s_mov_b32 s27, exec_lo
	v_cmpx_eq_u16_e32 0x80, v4
; %bb.267:
	s_xor_b32 s25, exec_lo, -1
; %bb.268:
	s_or_b32 exec_lo, exec_lo, s27
	s_delay_alu instid0(SALU_CYCLE_1)
	s_and_b32 s25, s25, exec_lo
                                        ; implicit-def: $vgpr4
	s_or_saveexec_b32 s26, s26
	v_mov_b32_e32 v3, 0x7f800001
	s_xor_b32 exec_lo, exec_lo, s26
	s_cbranch_execz .LBB304_256
.LBB304_269:
	v_cmp_ne_u16_e32 vcc_lo, 0, v4
	v_mov_b32_e32 v3, 0
	s_and_not1_b32 s25, s25, exec_lo
	s_and_b32 s27, vcc_lo, exec_lo
	s_delay_alu instid0(SALU_CYCLE_1)
	s_or_b32 s25, s25, s27
	s_or_b32 exec_lo, exec_lo, s26
	s_and_saveexec_b32 s26, s25
	s_cbranch_execnz .LBB304_257
	s_branch .LBB304_258
.LBB304_270:
	v_dual_mov_b32 v3, 0 :: v_dual_mov_b32 v2, 0
	s_branch .LBB304_275
.LBB304_271:
	v_mov_b64_e32 v[2:3], 0
	v_mov_b32_e32 v1, v0
	s_mov_b32 s24, 0
.LBB304_272:
	s_and_b32 s28, s25, 3
	s_mov_b32 s25, 0
	s_cmp_eq_u32 s28, 0
	s_cbranch_scc1 .LBB304_275
; %bb.273:
	s_lshl_b32 s26, s24, 3
	s_mov_b32 s27, s25
	s_mul_u64 s[40:41], s[24:25], 12
	s_add_nc_u64 s[26:27], s[12:13], s[26:27]
	s_delay_alu instid0(SALU_CYCLE_1)
	s_add_nc_u64 s[24:25], s[26:27], 0xc4
	s_add_nc_u64 s[26:27], s[12:13], s[40:41]
.LBB304_274:                            ; =>This Inner Loop Header: Depth=1
	s_load_b96 s[40:42], s[26:27], 0x4
	s_add_co_i32 s28, s28, -1
	s_wait_xcnt 0x0
	s_add_nc_u64 s[26:27], s[26:27], 12
	s_cmp_lg_u32 s28, 0
	s_wait_kmcnt 0x0
	v_mul_hi_u32 v4, s41, v1
	s_delay_alu instid0(VALU_DEP_1) | instskip(NEXT) | instid1(VALU_DEP_1)
	v_add_nc_u32_e32 v4, v1, v4
	v_lshrrev_b32_e32 v4, s42, v4
	s_load_b64 s[42:43], s[24:25], 0x0
	s_wait_xcnt 0x0
	s_add_nc_u64 s[24:25], s[24:25], 8
	s_delay_alu instid0(VALU_DEP_1) | instskip(NEXT) | instid1(VALU_DEP_1)
	v_mul_lo_u32 v5, v4, s40
	v_sub_nc_u32_e32 v1, v1, v5
	s_wait_kmcnt 0x0
	s_delay_alu instid0(VALU_DEP_1)
	v_mad_u32 v3, v1, s43, v3
	v_mad_u32 v2, v1, s42, v2
	v_mov_b32_e32 v1, v4
	s_cbranch_scc1 .LBB304_274
.LBB304_275:
	s_cbranch_execnz .LBB304_278
.LBB304_276:
	v_mov_b32_e32 v1, 0
	s_and_not1_b32 vcc_lo, exec_lo, s35
	s_delay_alu instid0(VALU_DEP_1) | instskip(NEXT) | instid1(VALU_DEP_1)
	v_mul_u64_e32 v[2:3], s[16:17], v[0:1]
	v_add_nc_u32_e32 v2, v0, v3
	s_delay_alu instid0(VALU_DEP_1) | instskip(NEXT) | instid1(VALU_DEP_1)
	v_lshrrev_b32_e32 v4, s6, v2
	v_mul_lo_u32 v2, v4, s4
	s_delay_alu instid0(VALU_DEP_1) | instskip(NEXT) | instid1(VALU_DEP_1)
	v_sub_nc_u32_e32 v2, v0, v2
	v_mul_lo_u32 v3, v2, s9
	v_mul_lo_u32 v2, v2, s8
	s_cbranch_vccnz .LBB304_278
; %bb.277:
	v_mov_b32_e32 v5, v1
	s_delay_alu instid0(VALU_DEP_1) | instskip(NEXT) | instid1(VALU_DEP_1)
	v_mul_u64_e32 v[6:7], s[20:21], v[4:5]
	v_add_nc_u32_e32 v1, v4, v7
	s_delay_alu instid0(VALU_DEP_1) | instskip(NEXT) | instid1(VALU_DEP_1)
	v_lshrrev_b32_e32 v1, s19, v1
	v_mul_lo_u32 v1, v1, s7
	s_delay_alu instid0(VALU_DEP_1) | instskip(NEXT) | instid1(VALU_DEP_1)
	v_sub_nc_u32_e32 v1, v4, v1
	v_mad_u32 v2, v1, s10, v2
	v_mad_u32 v3, v1, s11, v3
.LBB304_278:
	global_load_u8 v1, v3, s[2:3]
	s_and_not1_b32 vcc_lo, exec_lo, s14
	s_cbranch_vccnz .LBB304_283
; %bb.279:
	s_and_b32 s25, s15, 0xff
	s_delay_alu instid0(SALU_CYCLE_1)
	s_cmp_lt_i32 s25, 0x80
	s_cbranch_scc1 .LBB304_284
; %bb.280:
	s_and_b32 s24, 0xffff, s25
	s_mov_b32 s26, -1
	s_cmp_eq_u32 s24, 0x80
	s_cbranch_scc0 .LBB304_282
; %bb.281:
	s_mov_b32 s26, 0
.LBB304_282:
	s_mov_b32 s24, 0x7f800001
	s_branch .LBB304_286
.LBB304_283:
                                        ; implicit-def: $sgpr24
	s_cbranch_execnz .LBB304_293
	s_branch .LBB304_310
.LBB304_284:
	s_mov_b32 s26, 0
	s_mov_b32 s24, 0x7f800001
	s_cbranch_execz .LBB304_286
; %bb.285:
	s_and_b32 s24, 0xffff, s25
	s_delay_alu instid0(SALU_CYCLE_1)
	s_cmp_lg_u32 s24, 0
	s_mov_b32 s24, 0
	s_cselect_b32 s26, -1, 0
.LBB304_286:
	s_delay_alu instid0(SALU_CYCLE_1)
	s_and_not1_b32 vcc_lo, exec_lo, s26
	s_cbranch_vccnz .LBB304_288
; %bb.287:
	s_mov_b32 s24, s5
.LBB304_288:
	s_wait_loadcnt 0x0
	v_and_b32_e32 v4, 0xff, v1
	s_mov_b32 s25, 0
	s_mov_b32 s26, exec_lo
	s_wait_xcnt 0x0
	s_delay_alu instid0(VALU_DEP_1)
	v_cmpx_lt_i16_e32 0x7f, v4
	s_xor_b32 s26, exec_lo, s26
	s_cbranch_execnz .LBB304_297
; %bb.289:
	s_or_saveexec_b32 s26, s26
	v_mov_b32_e32 v3, 0x7f800001
	s_xor_b32 exec_lo, exec_lo, s26
	s_cbranch_execnz .LBB304_300
.LBB304_290:
	s_or_b32 exec_lo, exec_lo, s26
	s_and_saveexec_b32 s26, s25
	s_cbranch_execz .LBB304_292
.LBB304_291:
	v_and_b32_e32 v3, 7, v1
	v_lshrrev_b16 v5, 3, v1
	v_lshlrev_b32_e32 v7, 24, v1
	s_delay_alu instid0(VALU_DEP_3) | instskip(NEXT) | instid1(VALU_DEP_1)
	v_clz_i32_u32_e32 v4, v3
	v_min_u32_e32 v4, 32, v4
	s_delay_alu instid0(VALU_DEP_4) | instskip(NEXT) | instid1(VALU_DEP_2)
	v_and_b32_e32 v5, 15, v5
	v_subrev_nc_u32_e32 v6, 28, v4
	v_sub_nc_u32_e32 v4, 29, v4
	s_delay_alu instid0(VALU_DEP_3) | instskip(NEXT) | instid1(VALU_DEP_3)
	v_cmp_eq_u32_e32 vcc_lo, 0, v5
	v_lshlrev_b32_e32 v6, v6, v1
	s_delay_alu instid0(VALU_DEP_1) | instskip(SKIP_1) | instid1(VALU_DEP_2)
	v_dual_cndmask_b32 v4, v5, v4, vcc_lo :: v_dual_bitop2_b32 v6, 7, v6 bitop3:0x40
	v_and_b32_e32 v5, 0x80000000, v7
	v_cndmask_b32_e32 v3, v3, v6, vcc_lo
	s_delay_alu instid0(VALU_DEP_3) | instskip(NEXT) | instid1(VALU_DEP_2)
	v_lshl_add_u32 v4, v4, 23, 0x3b800000
	v_lshlrev_b32_e32 v3, 20, v3
	s_delay_alu instid0(VALU_DEP_1)
	v_or3_b32 v3, v5, v4, v3
.LBB304_292:
	s_or_b32 exec_lo, exec_lo, s26
	s_delay_alu instid0(VALU_DEP_1)
	v_cmp_neq_f32_e64 s24, s24, v3
	s_branch .LBB304_310
.LBB304_293:
	s_and_b32 s25, s15, 0xff
	s_delay_alu instid0(SALU_CYCLE_1)
	s_cmp_lt_i32 s25, 0x80
	s_cbranch_scc1 .LBB304_301
; %bb.294:
	s_and_b32 s24, 0xffff, s25
	s_mov_b32 s26, -1
	s_cmp_eq_u32 s24, 0x80
	s_cbranch_scc0 .LBB304_296
; %bb.295:
	s_mov_b32 s26, 0
.LBB304_296:
	s_mov_b32 s24, 0x7f800001
	s_branch .LBB304_303
.LBB304_297:
	s_mov_b32 s25, -1
	s_mov_b32 s27, exec_lo
	v_cmpx_eq_u16_e32 0x80, v4
; %bb.298:
	s_xor_b32 s25, exec_lo, -1
; %bb.299:
	s_or_b32 exec_lo, exec_lo, s27
	s_delay_alu instid0(SALU_CYCLE_1)
	s_and_b32 s25, s25, exec_lo
                                        ; implicit-def: $vgpr4
	s_or_saveexec_b32 s26, s26
	v_mov_b32_e32 v3, 0x7f800001
	s_xor_b32 exec_lo, exec_lo, s26
	s_cbranch_execz .LBB304_290
.LBB304_300:
	v_cmp_ne_u16_e32 vcc_lo, 0, v4
	v_mov_b32_e32 v3, 0
	s_and_not1_b32 s25, s25, exec_lo
	s_and_b32 s27, vcc_lo, exec_lo
	s_delay_alu instid0(SALU_CYCLE_1)
	s_or_b32 s25, s25, s27
	s_or_b32 exec_lo, exec_lo, s26
	s_and_saveexec_b32 s26, s25
	s_cbranch_execnz .LBB304_291
	s_branch .LBB304_292
.LBB304_301:
	s_mov_b32 s26, 0
	s_mov_b32 s24, 0x7f800001
	s_cbranch_execz .LBB304_303
; %bb.302:
	s_and_b32 s24, 0xffff, s25
	s_delay_alu instid0(SALU_CYCLE_1)
	s_cmp_lg_u32 s24, 0
	s_mov_b32 s24, 0
	s_cselect_b32 s26, -1, 0
.LBB304_303:
	s_delay_alu instid0(SALU_CYCLE_1)
	s_and_not1_b32 vcc_lo, exec_lo, s26
	s_cbranch_vccnz .LBB304_305
; %bb.304:
	s_mov_b32 s24, s5
.LBB304_305:
	s_wait_loadcnt 0x0
	v_and_b32_e32 v4, 0xff, v1
	s_mov_b32 s25, 0
	s_mov_b32 s26, exec_lo
	s_wait_xcnt 0x0
	s_delay_alu instid0(VALU_DEP_1)
	v_cmpx_lt_i16_e32 0x7f, v4
	s_xor_b32 s26, exec_lo, s26
	s_cbranch_execnz .LBB304_317
; %bb.306:
	s_or_saveexec_b32 s26, s26
	v_mov_b32_e32 v3, 0x7f800001
	s_xor_b32 exec_lo, exec_lo, s26
	s_cbranch_execnz .LBB304_320
.LBB304_307:
	s_or_b32 exec_lo, exec_lo, s26
	s_and_saveexec_b32 s26, s25
	s_cbranch_execz .LBB304_309
.LBB304_308:
	v_and_b32_e32 v3, 7, v1
	v_lshrrev_b16 v5, 3, v1
	s_delay_alu instid0(VALU_DEP_2) | instskip(NEXT) | instid1(VALU_DEP_1)
	v_clz_i32_u32_e32 v4, v3
	v_min_u32_e32 v4, 32, v4
	s_delay_alu instid0(VALU_DEP_3) | instskip(NEXT) | instid1(VALU_DEP_2)
	v_and_b32_e32 v5, 15, v5
	v_subrev_nc_u32_e32 v6, 28, v4
	v_sub_nc_u32_e32 v4, 29, v4
	s_delay_alu instid0(VALU_DEP_3) | instskip(NEXT) | instid1(VALU_DEP_3)
	v_cmp_eq_u32_e32 vcc_lo, 0, v5
	v_dual_lshlrev_b32 v6, v6, v1 :: v_dual_lshlrev_b32 v1, 24, v1
	s_delay_alu instid0(VALU_DEP_1) | instskip(NEXT) | instid1(VALU_DEP_2)
	v_dual_cndmask_b32 v4, v5, v4, vcc_lo :: v_dual_bitop2_b32 v6, 7, v6 bitop3:0x40
	v_and_b32_e32 v1, 0x80000000, v1
	s_delay_alu instid0(VALU_DEP_2) | instskip(NEXT) | instid1(VALU_DEP_3)
	v_cndmask_b32_e32 v3, v3, v6, vcc_lo
	v_lshl_add_u32 v4, v4, 23, 0x3b800000
	s_delay_alu instid0(VALU_DEP_2) | instskip(NEXT) | instid1(VALU_DEP_1)
	v_lshlrev_b32_e32 v3, 20, v3
	v_or3_b32 v3, v1, v4, v3
.LBB304_309:
	s_or_b32 exec_lo, exec_lo, s26
	s_delay_alu instid0(VALU_DEP_1)
	v_cmp_eq_f32_e64 s24, s24, v3
.LBB304_310:
	s_wait_loadcnt 0x0
	s_delay_alu instid0(VALU_DEP_1) | instskip(SKIP_4) | instid1(SALU_CYCLE_1)
	v_cndmask_b32_e64 v1, 0, 1, s24
	v_add_nc_u32_e32 v0, 0x80, v0
	global_store_b8 v2, v1, s[0:1]
	s_wait_xcnt 0x0
	s_or_b32 exec_lo, exec_lo, s18
	s_mov_b32 s18, exec_lo
	v_cmpx_gt_i32_e64 s36, v0
	s_cbranch_execz .LBB304_8
.LBB304_311:
	s_and_not1_b32 vcc_lo, exec_lo, s33
	s_cbranch_vccnz .LBB304_316
; %bb.312:
	s_and_not1_b32 vcc_lo, exec_lo, s38
	s_cbranch_vccnz .LBB304_321
; %bb.313:
	s_add_co_i32 s25, s37, 1
	s_cmp_eq_u32 s31, 2
	s_cbranch_scc1 .LBB304_322
; %bb.314:
	v_dual_mov_b32 v2, 0 :: v_dual_mov_b32 v3, 0
	v_mov_b32_e32 v1, v0
	s_and_b32 s24, s25, 28
	s_mov_b32 s39, 0
	s_mov_b64 s[26:27], s[12:13]
	s_mov_b64 s[28:29], s[22:23]
.LBB304_315:                            ; =>This Inner Loop Header: Depth=1
	s_clause 0x1
	s_load_b256 s[40:47], s[26:27], 0x4
	s_load_b128 s[56:59], s[26:27], 0x24
	s_load_b256 s[48:55], s[28:29], 0x0
	s_add_co_i32 s39, s39, 4
	s_wait_xcnt 0x0
	s_add_nc_u64 s[26:27], s[26:27], 48
	s_cmp_eq_u32 s24, s39
	s_add_nc_u64 s[28:29], s[28:29], 32
	s_wait_kmcnt 0x0
	v_mul_hi_u32 v4, s41, v1
	s_delay_alu instid0(VALU_DEP_1) | instskip(NEXT) | instid1(VALU_DEP_1)
	v_add_nc_u32_e32 v4, v1, v4
	v_lshrrev_b32_e32 v4, s42, v4
	s_delay_alu instid0(VALU_DEP_1) | instskip(NEXT) | instid1(VALU_DEP_1)
	v_mul_hi_u32 v5, s44, v4
	v_add_nc_u32_e32 v5, v4, v5
	s_delay_alu instid0(VALU_DEP_1) | instskip(NEXT) | instid1(VALU_DEP_1)
	v_lshrrev_b32_e32 v5, s45, v5
	v_mul_hi_u32 v6, s47, v5
	s_delay_alu instid0(VALU_DEP_1) | instskip(SKIP_1) | instid1(VALU_DEP_1)
	v_add_nc_u32_e32 v6, v5, v6
	v_mul_lo_u32 v7, v4, s40
	v_sub_nc_u32_e32 v1, v1, v7
	v_mul_lo_u32 v7, v5, s43
	s_delay_alu instid0(VALU_DEP_4) | instskip(NEXT) | instid1(VALU_DEP_3)
	v_lshrrev_b32_e32 v6, s56, v6
	v_mad_u32 v3, v1, s49, v3
	v_mad_u32 v1, v1, s48, v2
	s_delay_alu instid0(VALU_DEP_4) | instskip(NEXT) | instid1(VALU_DEP_4)
	v_sub_nc_u32_e32 v2, v4, v7
	v_mul_hi_u32 v8, s58, v6
	v_mul_lo_u32 v4, v6, s46
	s_delay_alu instid0(VALU_DEP_3) | instskip(SKIP_1) | instid1(VALU_DEP_4)
	v_mad_u32 v3, v2, s51, v3
	v_mad_u32 v2, v2, s50, v1
	v_add_nc_u32_e32 v7, v6, v8
	s_delay_alu instid0(VALU_DEP_1) | instskip(NEXT) | instid1(VALU_DEP_1)
	v_dual_sub_nc_u32 v4, v5, v4 :: v_dual_lshrrev_b32 v1, s59, v7
	v_mad_u32 v3, v4, s53, v3
	s_delay_alu instid0(VALU_DEP_4) | instskip(NEXT) | instid1(VALU_DEP_3)
	v_mad_u32 v2, v4, s52, v2
	v_mul_lo_u32 v5, v1, s57
	s_delay_alu instid0(VALU_DEP_1) | instskip(NEXT) | instid1(VALU_DEP_1)
	v_sub_nc_u32_e32 v4, v6, v5
	v_mad_u32 v3, v4, s55, v3
	s_delay_alu instid0(VALU_DEP_4)
	v_mad_u32 v2, v4, s54, v2
	s_cbranch_scc0 .LBB304_315
	s_branch .LBB304_323
.LBB304_316:
                                        ; implicit-def: $vgpr3
	s_branch .LBB304_327
.LBB304_317:
	s_mov_b32 s25, -1
	s_mov_b32 s27, exec_lo
	v_cmpx_eq_u16_e32 0x80, v4
; %bb.318:
	s_xor_b32 s25, exec_lo, -1
; %bb.319:
	s_or_b32 exec_lo, exec_lo, s27
	s_delay_alu instid0(SALU_CYCLE_1)
	s_and_b32 s25, s25, exec_lo
                                        ; implicit-def: $vgpr4
	s_or_saveexec_b32 s26, s26
	v_mov_b32_e32 v3, 0x7f800001
	s_xor_b32 exec_lo, exec_lo, s26
	s_cbranch_execz .LBB304_307
.LBB304_320:
	v_cmp_ne_u16_e32 vcc_lo, 0, v4
	v_mov_b32_e32 v3, 0
	s_and_not1_b32 s25, s25, exec_lo
	s_and_b32 s27, vcc_lo, exec_lo
	s_delay_alu instid0(SALU_CYCLE_1)
	s_or_b32 s25, s25, s27
	s_or_b32 exec_lo, exec_lo, s26
	s_and_saveexec_b32 s26, s25
	s_cbranch_execnz .LBB304_308
	s_branch .LBB304_309
.LBB304_321:
	v_dual_mov_b32 v3, 0 :: v_dual_mov_b32 v2, 0
	s_branch .LBB304_326
.LBB304_322:
	v_mov_b64_e32 v[2:3], 0
	v_mov_b32_e32 v1, v0
	s_mov_b32 s24, 0
.LBB304_323:
	s_and_b32 s28, s25, 3
	s_mov_b32 s25, 0
	s_cmp_eq_u32 s28, 0
	s_cbranch_scc1 .LBB304_326
; %bb.324:
	s_lshl_b32 s26, s24, 3
	s_mov_b32 s27, s25
	s_mul_u64 s[40:41], s[24:25], 12
	s_add_nc_u64 s[26:27], s[12:13], s[26:27]
	s_delay_alu instid0(SALU_CYCLE_1)
	s_add_nc_u64 s[24:25], s[26:27], 0xc4
	s_add_nc_u64 s[26:27], s[12:13], s[40:41]
.LBB304_325:                            ; =>This Inner Loop Header: Depth=1
	s_load_b96 s[40:42], s[26:27], 0x4
	s_add_co_i32 s28, s28, -1
	s_wait_xcnt 0x0
	s_add_nc_u64 s[26:27], s[26:27], 12
	s_cmp_lg_u32 s28, 0
	s_wait_kmcnt 0x0
	v_mul_hi_u32 v4, s41, v1
	s_delay_alu instid0(VALU_DEP_1) | instskip(NEXT) | instid1(VALU_DEP_1)
	v_add_nc_u32_e32 v4, v1, v4
	v_lshrrev_b32_e32 v4, s42, v4
	s_load_b64 s[42:43], s[24:25], 0x0
	s_wait_xcnt 0x0
	s_add_nc_u64 s[24:25], s[24:25], 8
	s_delay_alu instid0(VALU_DEP_1) | instskip(NEXT) | instid1(VALU_DEP_1)
	v_mul_lo_u32 v5, v4, s40
	v_sub_nc_u32_e32 v1, v1, v5
	s_wait_kmcnt 0x0
	s_delay_alu instid0(VALU_DEP_1)
	v_mad_u32 v3, v1, s43, v3
	v_mad_u32 v2, v1, s42, v2
	v_mov_b32_e32 v1, v4
	s_cbranch_scc1 .LBB304_325
.LBB304_326:
	s_cbranch_execnz .LBB304_329
.LBB304_327:
	v_mov_b32_e32 v1, 0
	s_and_not1_b32 vcc_lo, exec_lo, s35
	s_delay_alu instid0(VALU_DEP_1) | instskip(NEXT) | instid1(VALU_DEP_1)
	v_mul_u64_e32 v[2:3], s[16:17], v[0:1]
	v_add_nc_u32_e32 v2, v0, v3
	s_delay_alu instid0(VALU_DEP_1) | instskip(NEXT) | instid1(VALU_DEP_1)
	v_lshrrev_b32_e32 v4, s6, v2
	v_mul_lo_u32 v2, v4, s4
	s_delay_alu instid0(VALU_DEP_1) | instskip(NEXT) | instid1(VALU_DEP_1)
	v_sub_nc_u32_e32 v2, v0, v2
	v_mul_lo_u32 v3, v2, s9
	v_mul_lo_u32 v2, v2, s8
	s_cbranch_vccnz .LBB304_329
; %bb.328:
	v_mov_b32_e32 v5, v1
	s_delay_alu instid0(VALU_DEP_1) | instskip(NEXT) | instid1(VALU_DEP_1)
	v_mul_u64_e32 v[6:7], s[20:21], v[4:5]
	v_add_nc_u32_e32 v1, v4, v7
	s_delay_alu instid0(VALU_DEP_1) | instskip(NEXT) | instid1(VALU_DEP_1)
	v_lshrrev_b32_e32 v1, s19, v1
	v_mul_lo_u32 v1, v1, s7
	s_delay_alu instid0(VALU_DEP_1) | instskip(NEXT) | instid1(VALU_DEP_1)
	v_sub_nc_u32_e32 v1, v4, v1
	v_mad_u32 v2, v1, s10, v2
	v_mad_u32 v3, v1, s11, v3
.LBB304_329:
	global_load_u8 v1, v3, s[2:3]
	s_and_not1_b32 vcc_lo, exec_lo, s14
	s_cbranch_vccnz .LBB304_334
; %bb.330:
	s_and_b32 s25, s15, 0xff
	s_delay_alu instid0(SALU_CYCLE_1)
	s_cmp_lt_i32 s25, 0x80
	s_cbranch_scc1 .LBB304_335
; %bb.331:
	s_and_b32 s24, 0xffff, s25
	s_mov_b32 s26, -1
	s_cmp_eq_u32 s24, 0x80
	s_cbranch_scc0 .LBB304_333
; %bb.332:
	s_mov_b32 s26, 0
.LBB304_333:
	s_mov_b32 s24, 0x7f800001
	s_branch .LBB304_337
.LBB304_334:
                                        ; implicit-def: $sgpr24
	s_cbranch_execnz .LBB304_344
	s_branch .LBB304_361
.LBB304_335:
	s_mov_b32 s26, 0
	s_mov_b32 s24, 0x7f800001
	s_cbranch_execz .LBB304_337
; %bb.336:
	s_and_b32 s24, 0xffff, s25
	s_delay_alu instid0(SALU_CYCLE_1)
	s_cmp_lg_u32 s24, 0
	s_mov_b32 s24, 0
	s_cselect_b32 s26, -1, 0
.LBB304_337:
	s_delay_alu instid0(SALU_CYCLE_1)
	s_and_not1_b32 vcc_lo, exec_lo, s26
	s_cbranch_vccnz .LBB304_339
; %bb.338:
	s_mov_b32 s24, s5
.LBB304_339:
	s_wait_loadcnt 0x0
	v_and_b32_e32 v4, 0xff, v1
	s_mov_b32 s25, 0
	s_mov_b32 s26, exec_lo
	s_wait_xcnt 0x0
	s_delay_alu instid0(VALU_DEP_1)
	v_cmpx_lt_i16_e32 0x7f, v4
	s_xor_b32 s26, exec_lo, s26
	s_cbranch_execnz .LBB304_348
; %bb.340:
	s_or_saveexec_b32 s26, s26
	v_mov_b32_e32 v3, 0x7f800001
	s_xor_b32 exec_lo, exec_lo, s26
	s_cbranch_execnz .LBB304_351
.LBB304_341:
	s_or_b32 exec_lo, exec_lo, s26
	s_and_saveexec_b32 s26, s25
	s_cbranch_execz .LBB304_343
.LBB304_342:
	v_and_b32_e32 v3, 7, v1
	v_lshrrev_b16 v5, 3, v1
	v_lshlrev_b32_e32 v7, 24, v1
	s_delay_alu instid0(VALU_DEP_3) | instskip(NEXT) | instid1(VALU_DEP_1)
	v_clz_i32_u32_e32 v4, v3
	v_min_u32_e32 v4, 32, v4
	s_delay_alu instid0(VALU_DEP_4) | instskip(NEXT) | instid1(VALU_DEP_2)
	v_and_b32_e32 v5, 15, v5
	v_subrev_nc_u32_e32 v6, 28, v4
	v_sub_nc_u32_e32 v4, 29, v4
	s_delay_alu instid0(VALU_DEP_3) | instskip(NEXT) | instid1(VALU_DEP_3)
	v_cmp_eq_u32_e32 vcc_lo, 0, v5
	v_lshlrev_b32_e32 v6, v6, v1
	s_delay_alu instid0(VALU_DEP_1) | instskip(SKIP_1) | instid1(VALU_DEP_2)
	v_dual_cndmask_b32 v4, v5, v4, vcc_lo :: v_dual_bitop2_b32 v6, 7, v6 bitop3:0x40
	v_and_b32_e32 v5, 0x80000000, v7
	v_cndmask_b32_e32 v3, v3, v6, vcc_lo
	s_delay_alu instid0(VALU_DEP_3) | instskip(NEXT) | instid1(VALU_DEP_2)
	v_lshl_add_u32 v4, v4, 23, 0x3b800000
	v_lshlrev_b32_e32 v3, 20, v3
	s_delay_alu instid0(VALU_DEP_1)
	v_or3_b32 v3, v5, v4, v3
.LBB304_343:
	s_or_b32 exec_lo, exec_lo, s26
	s_delay_alu instid0(VALU_DEP_1)
	v_cmp_neq_f32_e64 s24, s24, v3
	s_branch .LBB304_361
.LBB304_344:
	s_and_b32 s25, s15, 0xff
	s_delay_alu instid0(SALU_CYCLE_1)
	s_cmp_lt_i32 s25, 0x80
	s_cbranch_scc1 .LBB304_352
; %bb.345:
	s_and_b32 s24, 0xffff, s25
	s_mov_b32 s26, -1
	s_cmp_eq_u32 s24, 0x80
	s_cbranch_scc0 .LBB304_347
; %bb.346:
	s_mov_b32 s26, 0
.LBB304_347:
	s_mov_b32 s24, 0x7f800001
	s_branch .LBB304_354
.LBB304_348:
	s_mov_b32 s25, -1
	s_mov_b32 s27, exec_lo
	v_cmpx_eq_u16_e32 0x80, v4
; %bb.349:
	s_xor_b32 s25, exec_lo, -1
; %bb.350:
	s_or_b32 exec_lo, exec_lo, s27
	s_delay_alu instid0(SALU_CYCLE_1)
	s_and_b32 s25, s25, exec_lo
                                        ; implicit-def: $vgpr4
	s_or_saveexec_b32 s26, s26
	v_mov_b32_e32 v3, 0x7f800001
	s_xor_b32 exec_lo, exec_lo, s26
	s_cbranch_execz .LBB304_341
.LBB304_351:
	v_cmp_ne_u16_e32 vcc_lo, 0, v4
	v_mov_b32_e32 v3, 0
	s_and_not1_b32 s25, s25, exec_lo
	s_and_b32 s27, vcc_lo, exec_lo
	s_delay_alu instid0(SALU_CYCLE_1)
	s_or_b32 s25, s25, s27
	s_or_b32 exec_lo, exec_lo, s26
	s_and_saveexec_b32 s26, s25
	s_cbranch_execnz .LBB304_342
	s_branch .LBB304_343
.LBB304_352:
	s_mov_b32 s26, 0
	s_mov_b32 s24, 0x7f800001
	s_cbranch_execz .LBB304_354
; %bb.353:
	s_and_b32 s24, 0xffff, s25
	s_delay_alu instid0(SALU_CYCLE_1)
	s_cmp_lg_u32 s24, 0
	s_mov_b32 s24, 0
	s_cselect_b32 s26, -1, 0
.LBB304_354:
	s_delay_alu instid0(SALU_CYCLE_1)
	s_and_not1_b32 vcc_lo, exec_lo, s26
	s_cbranch_vccnz .LBB304_356
; %bb.355:
	s_mov_b32 s24, s5
.LBB304_356:
	s_wait_loadcnt 0x0
	v_and_b32_e32 v4, 0xff, v1
	s_mov_b32 s25, 0
	s_mov_b32 s26, exec_lo
	s_wait_xcnt 0x0
	s_delay_alu instid0(VALU_DEP_1)
	v_cmpx_lt_i16_e32 0x7f, v4
	s_xor_b32 s26, exec_lo, s26
	s_cbranch_execnz .LBB304_368
; %bb.357:
	s_or_saveexec_b32 s26, s26
	v_mov_b32_e32 v3, 0x7f800001
	s_xor_b32 exec_lo, exec_lo, s26
	s_cbranch_execnz .LBB304_371
.LBB304_358:
	s_or_b32 exec_lo, exec_lo, s26
	s_and_saveexec_b32 s26, s25
	s_cbranch_execz .LBB304_360
.LBB304_359:
	v_and_b32_e32 v3, 7, v1
	v_lshrrev_b16 v5, 3, v1
	s_delay_alu instid0(VALU_DEP_2) | instskip(NEXT) | instid1(VALU_DEP_1)
	v_clz_i32_u32_e32 v4, v3
	v_min_u32_e32 v4, 32, v4
	s_delay_alu instid0(VALU_DEP_3) | instskip(NEXT) | instid1(VALU_DEP_2)
	v_and_b32_e32 v5, 15, v5
	v_subrev_nc_u32_e32 v6, 28, v4
	v_sub_nc_u32_e32 v4, 29, v4
	s_delay_alu instid0(VALU_DEP_3) | instskip(NEXT) | instid1(VALU_DEP_3)
	v_cmp_eq_u32_e32 vcc_lo, 0, v5
	v_dual_lshlrev_b32 v6, v6, v1 :: v_dual_lshlrev_b32 v1, 24, v1
	s_delay_alu instid0(VALU_DEP_1) | instskip(NEXT) | instid1(VALU_DEP_2)
	v_dual_cndmask_b32 v4, v5, v4, vcc_lo :: v_dual_bitop2_b32 v6, 7, v6 bitop3:0x40
	v_and_b32_e32 v1, 0x80000000, v1
	s_delay_alu instid0(VALU_DEP_2) | instskip(NEXT) | instid1(VALU_DEP_3)
	v_cndmask_b32_e32 v3, v3, v6, vcc_lo
	v_lshl_add_u32 v4, v4, 23, 0x3b800000
	s_delay_alu instid0(VALU_DEP_2) | instskip(NEXT) | instid1(VALU_DEP_1)
	v_lshlrev_b32_e32 v3, 20, v3
	v_or3_b32 v3, v1, v4, v3
.LBB304_360:
	s_or_b32 exec_lo, exec_lo, s26
	s_delay_alu instid0(VALU_DEP_1)
	v_cmp_eq_f32_e64 s24, s24, v3
.LBB304_361:
	s_wait_loadcnt 0x0
	s_delay_alu instid0(VALU_DEP_1) | instskip(SKIP_4) | instid1(SALU_CYCLE_1)
	v_cndmask_b32_e64 v1, 0, 1, s24
	v_add_nc_u32_e32 v0, 0x80, v0
	global_store_b8 v2, v1, s[0:1]
	s_wait_xcnt 0x0
	s_or_b32 exec_lo, exec_lo, s18
	s_mov_b32 s18, exec_lo
	v_cmpx_gt_i32_e64 s36, v0
	s_cbranch_execz .LBB304_413
.LBB304_362:
	s_and_not1_b32 vcc_lo, exec_lo, s33
	s_cbranch_vccnz .LBB304_367
; %bb.363:
	s_and_not1_b32 vcc_lo, exec_lo, s38
	s_cbranch_vccnz .LBB304_372
; %bb.364:
	s_add_co_i32 s37, s37, 1
	s_cmp_eq_u32 s31, 2
	s_cbranch_scc1 .LBB304_373
; %bb.365:
	v_dual_mov_b32 v2, 0 :: v_dual_mov_b32 v3, 0
	v_mov_b32_e32 v1, v0
	s_and_b32 s24, s37, 28
	s_mov_b32 s25, 0
	s_mov_b64 s[26:27], s[12:13]
.LBB304_366:                            ; =>This Inner Loop Header: Depth=1
	s_clause 0x1
	s_load_b256 s[40:47], s[26:27], 0x4
	s_load_b128 s[56:59], s[26:27], 0x24
	s_load_b256 s[48:55], s[22:23], 0x0
	s_add_co_i32 s25, s25, 4
	s_wait_xcnt 0x0
	s_add_nc_u64 s[26:27], s[26:27], 48
	s_cmp_eq_u32 s24, s25
	s_add_nc_u64 s[22:23], s[22:23], 32
	s_wait_kmcnt 0x0
	v_mul_hi_u32 v4, s41, v1
	s_delay_alu instid0(VALU_DEP_1) | instskip(NEXT) | instid1(VALU_DEP_1)
	v_add_nc_u32_e32 v4, v1, v4
	v_lshrrev_b32_e32 v4, s42, v4
	s_delay_alu instid0(VALU_DEP_1) | instskip(NEXT) | instid1(VALU_DEP_1)
	v_mul_hi_u32 v5, s44, v4
	v_add_nc_u32_e32 v5, v4, v5
	s_delay_alu instid0(VALU_DEP_1) | instskip(NEXT) | instid1(VALU_DEP_1)
	v_lshrrev_b32_e32 v5, s45, v5
	v_mul_hi_u32 v6, s47, v5
	s_delay_alu instid0(VALU_DEP_1) | instskip(SKIP_1) | instid1(VALU_DEP_1)
	v_add_nc_u32_e32 v6, v5, v6
	v_mul_lo_u32 v7, v4, s40
	v_sub_nc_u32_e32 v1, v1, v7
	v_mul_lo_u32 v7, v5, s43
	s_delay_alu instid0(VALU_DEP_4) | instskip(NEXT) | instid1(VALU_DEP_3)
	v_lshrrev_b32_e32 v6, s56, v6
	v_mad_u32 v3, v1, s49, v3
	v_mad_u32 v1, v1, s48, v2
	s_delay_alu instid0(VALU_DEP_4) | instskip(NEXT) | instid1(VALU_DEP_4)
	v_sub_nc_u32_e32 v2, v4, v7
	v_mul_hi_u32 v8, s58, v6
	v_mul_lo_u32 v4, v6, s46
	s_delay_alu instid0(VALU_DEP_3) | instskip(SKIP_1) | instid1(VALU_DEP_4)
	v_mad_u32 v3, v2, s51, v3
	v_mad_u32 v2, v2, s50, v1
	v_add_nc_u32_e32 v7, v6, v8
	s_delay_alu instid0(VALU_DEP_1) | instskip(NEXT) | instid1(VALU_DEP_1)
	v_dual_sub_nc_u32 v4, v5, v4 :: v_dual_lshrrev_b32 v1, s59, v7
	v_mad_u32 v3, v4, s53, v3
	s_delay_alu instid0(VALU_DEP_4) | instskip(NEXT) | instid1(VALU_DEP_3)
	v_mad_u32 v2, v4, s52, v2
	v_mul_lo_u32 v5, v1, s57
	s_delay_alu instid0(VALU_DEP_1) | instskip(NEXT) | instid1(VALU_DEP_1)
	v_sub_nc_u32_e32 v4, v6, v5
	v_mad_u32 v3, v4, s55, v3
	s_delay_alu instid0(VALU_DEP_4)
	v_mad_u32 v2, v4, s54, v2
	s_cbranch_scc0 .LBB304_366
	s_branch .LBB304_374
.LBB304_367:
                                        ; implicit-def: $vgpr3
	s_branch .LBB304_378
.LBB304_368:
	s_mov_b32 s25, -1
	s_mov_b32 s27, exec_lo
	v_cmpx_eq_u16_e32 0x80, v4
; %bb.369:
	s_xor_b32 s25, exec_lo, -1
; %bb.370:
	s_or_b32 exec_lo, exec_lo, s27
	s_delay_alu instid0(SALU_CYCLE_1)
	s_and_b32 s25, s25, exec_lo
                                        ; implicit-def: $vgpr4
	s_or_saveexec_b32 s26, s26
	v_mov_b32_e32 v3, 0x7f800001
	s_xor_b32 exec_lo, exec_lo, s26
	s_cbranch_execz .LBB304_358
.LBB304_371:
	v_cmp_ne_u16_e32 vcc_lo, 0, v4
	v_mov_b32_e32 v3, 0
	s_and_not1_b32 s25, s25, exec_lo
	s_and_b32 s27, vcc_lo, exec_lo
	s_delay_alu instid0(SALU_CYCLE_1)
	s_or_b32 s25, s25, s27
	s_or_b32 exec_lo, exec_lo, s26
	s_and_saveexec_b32 s26, s25
	s_cbranch_execnz .LBB304_359
	s_branch .LBB304_360
.LBB304_372:
	v_dual_mov_b32 v3, 0 :: v_dual_mov_b32 v2, 0
	s_branch .LBB304_377
.LBB304_373:
	v_mov_b64_e32 v[2:3], 0
	v_mov_b32_e32 v1, v0
	s_mov_b32 s24, 0
.LBB304_374:
	s_and_b32 s26, s37, 3
	s_mov_b32 s25, 0
	s_cmp_eq_u32 s26, 0
	s_cbranch_scc1 .LBB304_377
; %bb.375:
	s_lshl_b32 s22, s24, 3
	s_mov_b32 s23, s25
	s_mul_u64 s[24:25], s[24:25], 12
	s_add_nc_u64 s[22:23], s[12:13], s[22:23]
	s_add_nc_u64 s[24:25], s[12:13], s[24:25]
	;; [unrolled: 1-line block ×3, first 2 shown]
.LBB304_376:                            ; =>This Inner Loop Header: Depth=1
	s_load_b96 s[36:38], s[24:25], 0x4
	s_load_b64 s[28:29], s[22:23], 0x0
	s_add_co_i32 s26, s26, -1
	s_wait_xcnt 0x0
	s_add_nc_u64 s[24:25], s[24:25], 12
	s_cmp_lg_u32 s26, 0
	s_add_nc_u64 s[22:23], s[22:23], 8
	s_wait_kmcnt 0x0
	v_mul_hi_u32 v4, s37, v1
	s_delay_alu instid0(VALU_DEP_1) | instskip(NEXT) | instid1(VALU_DEP_1)
	v_add_nc_u32_e32 v4, v1, v4
	v_lshrrev_b32_e32 v4, s38, v4
	s_delay_alu instid0(VALU_DEP_1) | instskip(NEXT) | instid1(VALU_DEP_1)
	v_mul_lo_u32 v5, v4, s36
	v_sub_nc_u32_e32 v1, v1, v5
	s_delay_alu instid0(VALU_DEP_1)
	v_mad_u32 v3, v1, s29, v3
	v_mad_u32 v2, v1, s28, v2
	v_mov_b32_e32 v1, v4
	s_cbranch_scc1 .LBB304_376
.LBB304_377:
	s_cbranch_execnz .LBB304_380
.LBB304_378:
	v_mov_b32_e32 v1, 0
	s_and_not1_b32 vcc_lo, exec_lo, s35
	s_delay_alu instid0(VALU_DEP_1) | instskip(NEXT) | instid1(VALU_DEP_1)
	v_mul_u64_e32 v[2:3], s[16:17], v[0:1]
	v_add_nc_u32_e32 v2, v0, v3
	s_delay_alu instid0(VALU_DEP_1) | instskip(NEXT) | instid1(VALU_DEP_1)
	v_lshrrev_b32_e32 v4, s6, v2
	v_mul_lo_u32 v2, v4, s4
	s_delay_alu instid0(VALU_DEP_1) | instskip(NEXT) | instid1(VALU_DEP_1)
	v_sub_nc_u32_e32 v0, v0, v2
	v_mul_lo_u32 v3, v0, s9
	v_mul_lo_u32 v2, v0, s8
	s_cbranch_vccnz .LBB304_380
; %bb.379:
	v_mov_b32_e32 v5, v1
	s_delay_alu instid0(VALU_DEP_1) | instskip(NEXT) | instid1(VALU_DEP_1)
	v_mul_u64_e32 v[0:1], s[20:21], v[4:5]
	v_add_nc_u32_e32 v0, v4, v1
	s_delay_alu instid0(VALU_DEP_1) | instskip(NEXT) | instid1(VALU_DEP_1)
	v_lshrrev_b32_e32 v0, s19, v0
	v_mul_lo_u32 v0, v0, s7
	s_delay_alu instid0(VALU_DEP_1) | instskip(NEXT) | instid1(VALU_DEP_1)
	v_sub_nc_u32_e32 v0, v4, v0
	v_mad_u32 v2, v0, s10, v2
	v_mad_u32 v3, v0, s11, v3
.LBB304_380:
	global_load_u8 v0, v3, s[2:3]
	s_and_not1_b32 vcc_lo, exec_lo, s14
	s_cbranch_vccnz .LBB304_385
; %bb.381:
	s_wait_xcnt 0x0
	s_and_b32 s3, s15, 0xff
	s_delay_alu instid0(SALU_CYCLE_1)
	s_cmp_lt_i32 s3, 0x80
	s_cbranch_scc1 .LBB304_386
; %bb.382:
	s_and_b32 s2, 0xffff, s3
	s_mov_b32 s4, -1
	s_cmp_eq_u32 s2, 0x80
	s_cbranch_scc0 .LBB304_384
; %bb.383:
	s_mov_b32 s4, 0
.LBB304_384:
	s_mov_b32 s2, 0x7f800001
	s_branch .LBB304_388
.LBB304_385:
	s_wait_xcnt 0x0
                                        ; implicit-def: $sgpr2
	s_cbranch_execnz .LBB304_395
	s_branch .LBB304_412
.LBB304_386:
	s_mov_b32 s4, 0
	s_mov_b32 s2, 0x7f800001
	s_cbranch_execz .LBB304_388
; %bb.387:
	s_and_b32 s2, 0xffff, s3
	s_delay_alu instid0(SALU_CYCLE_1)
	s_cmp_lg_u32 s2, 0
	s_mov_b32 s2, 0
	s_cselect_b32 s4, -1, 0
.LBB304_388:
	s_delay_alu instid0(SALU_CYCLE_1)
	s_and_not1_b32 vcc_lo, exec_lo, s4
	s_cbranch_vccnz .LBB304_390
; %bb.389:
	s_mov_b32 s2, s5
.LBB304_390:
	s_wait_loadcnt 0x0
	v_and_b32_e32 v3, 0xff, v0
	s_mov_b32 s3, 0
	s_mov_b32 s4, exec_lo
	s_delay_alu instid0(VALU_DEP_1)
	v_cmpx_lt_i16_e32 0x7f, v3
	s_xor_b32 s4, exec_lo, s4
	s_cbranch_execnz .LBB304_399
; %bb.391:
	s_or_saveexec_b32 s4, s4
	v_mov_b32_e32 v1, 0x7f800001
	s_xor_b32 exec_lo, exec_lo, s4
	s_cbranch_execnz .LBB304_402
.LBB304_392:
	s_or_b32 exec_lo, exec_lo, s4
	s_and_saveexec_b32 s4, s3
	s_cbranch_execz .LBB304_394
.LBB304_393:
	v_and_b32_e32 v1, 7, v0
	v_lshrrev_b16 v4, 3, v0
	v_lshlrev_b32_e32 v6, 24, v0
	s_delay_alu instid0(VALU_DEP_3) | instskip(NEXT) | instid1(VALU_DEP_1)
	v_clz_i32_u32_e32 v3, v1
	v_min_u32_e32 v3, 32, v3
	s_delay_alu instid0(VALU_DEP_4) | instskip(NEXT) | instid1(VALU_DEP_2)
	v_and_b32_e32 v4, 15, v4
	v_subrev_nc_u32_e32 v5, 28, v3
	v_sub_nc_u32_e32 v3, 29, v3
	s_delay_alu instid0(VALU_DEP_3) | instskip(NEXT) | instid1(VALU_DEP_3)
	v_cmp_eq_u32_e32 vcc_lo, 0, v4
	v_lshlrev_b32_e32 v5, v5, v0
	s_delay_alu instid0(VALU_DEP_1) | instskip(SKIP_1) | instid1(VALU_DEP_2)
	v_dual_cndmask_b32 v3, v4, v3, vcc_lo :: v_dual_bitop2_b32 v5, 7, v5 bitop3:0x40
	v_and_b32_e32 v4, 0x80000000, v6
	v_cndmask_b32_e32 v1, v1, v5, vcc_lo
	s_delay_alu instid0(VALU_DEP_3) | instskip(NEXT) | instid1(VALU_DEP_2)
	v_lshl_add_u32 v3, v3, 23, 0x3b800000
	v_lshlrev_b32_e32 v1, 20, v1
	s_delay_alu instid0(VALU_DEP_1)
	v_or3_b32 v1, v4, v3, v1
.LBB304_394:
	s_or_b32 exec_lo, exec_lo, s4
	s_delay_alu instid0(VALU_DEP_1)
	v_cmp_neq_f32_e64 s2, s2, v1
	s_branch .LBB304_412
.LBB304_395:
	s_and_b32 s3, s15, 0xff
	s_delay_alu instid0(SALU_CYCLE_1)
	s_cmp_lt_i32 s3, 0x80
	s_cbranch_scc1 .LBB304_403
; %bb.396:
	s_and_b32 s2, 0xffff, s3
	s_mov_b32 s4, -1
	s_cmp_eq_u32 s2, 0x80
	s_cbranch_scc0 .LBB304_398
; %bb.397:
	s_mov_b32 s4, 0
.LBB304_398:
	s_mov_b32 s2, 0x7f800001
	s_branch .LBB304_405
.LBB304_399:
	s_mov_b32 s3, -1
	s_mov_b32 s6, exec_lo
	v_cmpx_eq_u16_e32 0x80, v3
; %bb.400:
	s_xor_b32 s3, exec_lo, -1
; %bb.401:
	s_or_b32 exec_lo, exec_lo, s6
	s_delay_alu instid0(SALU_CYCLE_1)
	s_and_b32 s3, s3, exec_lo
                                        ; implicit-def: $vgpr3
	s_or_saveexec_b32 s4, s4
	v_mov_b32_e32 v1, 0x7f800001
	s_xor_b32 exec_lo, exec_lo, s4
	s_cbranch_execz .LBB304_392
.LBB304_402:
	v_cmp_ne_u16_e32 vcc_lo, 0, v3
	v_mov_b32_e32 v1, 0
	s_and_not1_b32 s3, s3, exec_lo
	s_and_b32 s6, vcc_lo, exec_lo
	s_delay_alu instid0(SALU_CYCLE_1)
	s_or_b32 s3, s3, s6
	s_or_b32 exec_lo, exec_lo, s4
	s_and_saveexec_b32 s4, s3
	s_cbranch_execnz .LBB304_393
	s_branch .LBB304_394
.LBB304_403:
	s_mov_b32 s4, 0
	s_mov_b32 s2, 0x7f800001
	s_cbranch_execz .LBB304_405
; %bb.404:
	s_and_b32 s2, 0xffff, s3
	s_delay_alu instid0(SALU_CYCLE_1)
	s_cmp_lg_u32 s2, 0
	s_mov_b32 s2, 0
	s_cselect_b32 s4, -1, 0
.LBB304_405:
	s_delay_alu instid0(SALU_CYCLE_1)
	s_and_not1_b32 vcc_lo, exec_lo, s4
	s_cbranch_vccnz .LBB304_407
; %bb.406:
	s_mov_b32 s2, s5
.LBB304_407:
	s_wait_loadcnt 0x0
	v_and_b32_e32 v3, 0xff, v0
	s_mov_b32 s3, 0
	s_mov_b32 s4, exec_lo
	s_delay_alu instid0(VALU_DEP_1)
	v_cmpx_lt_i16_e32 0x7f, v3
	s_xor_b32 s4, exec_lo, s4
	s_cbranch_execnz .LBB304_817
; %bb.408:
	s_or_saveexec_b32 s4, s4
	v_mov_b32_e32 v1, 0x7f800001
	s_xor_b32 exec_lo, exec_lo, s4
	s_cbranch_execnz .LBB304_820
.LBB304_409:
	s_or_b32 exec_lo, exec_lo, s4
	s_and_saveexec_b32 s4, s3
	s_cbranch_execz .LBB304_411
.LBB304_410:
	v_and_b32_e32 v1, 7, v0
	v_lshrrev_b16 v4, 3, v0
	s_delay_alu instid0(VALU_DEP_2) | instskip(NEXT) | instid1(VALU_DEP_1)
	v_clz_i32_u32_e32 v3, v1
	v_min_u32_e32 v3, 32, v3
	s_delay_alu instid0(VALU_DEP_3) | instskip(NEXT) | instid1(VALU_DEP_2)
	v_and_b32_e32 v4, 15, v4
	v_subrev_nc_u32_e32 v5, 28, v3
	v_sub_nc_u32_e32 v3, 29, v3
	s_delay_alu instid0(VALU_DEP_3) | instskip(NEXT) | instid1(VALU_DEP_3)
	v_cmp_eq_u32_e32 vcc_lo, 0, v4
	v_dual_lshlrev_b32 v5, v5, v0 :: v_dual_lshlrev_b32 v0, 24, v0
	s_delay_alu instid0(VALU_DEP_1) | instskip(NEXT) | instid1(VALU_DEP_2)
	v_dual_cndmask_b32 v3, v4, v3, vcc_lo :: v_dual_bitop2_b32 v5, 7, v5 bitop3:0x40
	v_and_b32_e32 v0, 0x80000000, v0
	s_delay_alu instid0(VALU_DEP_2) | instskip(NEXT) | instid1(VALU_DEP_3)
	v_cndmask_b32_e32 v1, v1, v5, vcc_lo
	v_lshl_add_u32 v3, v3, 23, 0x3b800000
	s_delay_alu instid0(VALU_DEP_2) | instskip(NEXT) | instid1(VALU_DEP_1)
	v_lshlrev_b32_e32 v1, 20, v1
	v_or3_b32 v1, v0, v3, v1
.LBB304_411:
	s_or_b32 exec_lo, exec_lo, s4
	s_delay_alu instid0(VALU_DEP_1)
	v_cmp_eq_f32_e64 s2, s2, v1
.LBB304_412:
	s_wait_loadcnt 0x0
	s_delay_alu instid0(VALU_DEP_1)
	v_cndmask_b32_e64 v0, 0, 1, s2
	global_store_b8 v2, v0, s[0:1]
.LBB304_413:
	s_wait_xcnt 0x0
	s_or_b32 exec_lo, exec_lo, s18
                                        ; implicit-def: $vgpr16
                                        ; implicit-def: $vgpr0
.LBB304_414:
	s_and_not1_saveexec_b32 s0, s34
	s_cbranch_execz .LBB304_421
; %bb.415:
	v_cndmask_b32_e64 v14, 0, 1, s33
	s_and_not1_b32 vcc_lo, exec_lo, s33
	s_cbranch_vccnz .LBB304_422
; %bb.416:
	s_cmp_lg_u32 s30, 0
	s_mov_b32 s6, 0
	s_cbranch_scc0 .LBB304_423
; %bb.417:
	s_min_u32 s1, s31, 15
	s_delay_alu instid0(SALU_CYCLE_1)
	s_add_co_i32 s1, s1, 1
	s_cmp_eq_u32 s31, 2
	s_cbranch_scc1 .LBB304_424
; %bb.418:
	v_dual_mov_b32 v2, 0 :: v_dual_mov_b32 v3, 0
	v_mov_b32_e32 v1, v0
	s_and_b32 s0, s1, 28
	s_add_nc_u64 s[2:3], s[12:13], 0xc4
	s_mov_b32 s7, 0
	s_mov_b64 s[4:5], s[12:13]
.LBB304_419:                            ; =>This Inner Loop Header: Depth=1
	s_clause 0x1
	s_load_b256 s[16:23], s[4:5], 0x4
	s_load_b128 s[8:11], s[4:5], 0x24
	s_load_b256 s[36:43], s[2:3], 0x0
	s_add_co_i32 s7, s7, 4
	s_wait_xcnt 0x0
	s_add_nc_u64 s[4:5], s[4:5], 48
	s_cmp_lg_u32 s0, s7
	s_add_nc_u64 s[2:3], s[2:3], 32
	s_wait_kmcnt 0x0
	v_mul_hi_u32 v4, s17, v1
	s_delay_alu instid0(VALU_DEP_1) | instskip(NEXT) | instid1(VALU_DEP_1)
	v_add_nc_u32_e32 v4, v1, v4
	v_lshrrev_b32_e32 v4, s18, v4
	s_delay_alu instid0(VALU_DEP_1) | instskip(NEXT) | instid1(VALU_DEP_1)
	v_mul_hi_u32 v5, s20, v4
	v_add_nc_u32_e32 v5, v4, v5
	s_delay_alu instid0(VALU_DEP_1) | instskip(NEXT) | instid1(VALU_DEP_1)
	v_lshrrev_b32_e32 v5, s21, v5
	v_mul_hi_u32 v6, s23, v5
	s_delay_alu instid0(VALU_DEP_1) | instskip(SKIP_1) | instid1(VALU_DEP_1)
	v_add_nc_u32_e32 v6, v5, v6
	v_mul_lo_u32 v7, v4, s16
	v_sub_nc_u32_e32 v1, v1, v7
	v_mul_lo_u32 v7, v5, s19
	s_delay_alu instid0(VALU_DEP_4) | instskip(NEXT) | instid1(VALU_DEP_3)
	v_lshrrev_b32_e32 v6, s8, v6
	v_mad_u32 v3, v1, s37, v3
	v_mad_u32 v1, v1, s36, v2
	s_delay_alu instid0(VALU_DEP_4) | instskip(NEXT) | instid1(VALU_DEP_4)
	v_sub_nc_u32_e32 v2, v4, v7
	v_mul_hi_u32 v8, s10, v6
	v_mul_lo_u32 v4, v6, s22
	s_delay_alu instid0(VALU_DEP_3) | instskip(SKIP_1) | instid1(VALU_DEP_4)
	v_mad_u32 v3, v2, s39, v3
	v_mad_u32 v2, v2, s38, v1
	v_add_nc_u32_e32 v7, v6, v8
	s_delay_alu instid0(VALU_DEP_1) | instskip(NEXT) | instid1(VALU_DEP_1)
	v_dual_sub_nc_u32 v4, v5, v4 :: v_dual_lshrrev_b32 v1, s11, v7
	v_mad_u32 v3, v4, s41, v3
	s_delay_alu instid0(VALU_DEP_4) | instskip(NEXT) | instid1(VALU_DEP_3)
	v_mad_u32 v2, v4, s40, v2
	v_mul_lo_u32 v5, v1, s9
	s_delay_alu instid0(VALU_DEP_1) | instskip(NEXT) | instid1(VALU_DEP_1)
	v_sub_nc_u32_e32 v4, v6, v5
	v_mad_u32 v3, v4, s43, v3
	s_delay_alu instid0(VALU_DEP_4)
	v_mad_u32 v2, v4, s42, v2
	s_cbranch_scc1 .LBB304_419
; %bb.420:
	s_and_b32 s4, s1, 3
	s_mov_b32 s1, 0
	s_cmp_eq_u32 s4, 0
	s_cbranch_scc0 .LBB304_425
	s_branch .LBB304_427
.LBB304_421:
	s_endpgm
.LBB304_422:
	s_mov_b32 s6, -1
                                        ; implicit-def: $vgpr3
	s_branch .LBB304_427
.LBB304_423:
	v_dual_mov_b32 v3, 0 :: v_dual_mov_b32 v2, 0
	s_branch .LBB304_427
.LBB304_424:
	v_mov_b64_e32 v[2:3], 0
	v_mov_b32_e32 v1, v0
	s_mov_b32 s0, 0
	s_and_b32 s4, s1, 3
	s_mov_b32 s1, 0
	s_cmp_eq_u32 s4, 0
	s_cbranch_scc1 .LBB304_427
.LBB304_425:
	s_lshl_b32 s2, s0, 3
	s_mov_b32 s3, s1
	s_mul_u64 s[8:9], s[0:1], 12
	s_add_nc_u64 s[2:3], s[12:13], s[2:3]
	s_delay_alu instid0(SALU_CYCLE_1)
	s_add_nc_u64 s[0:1], s[2:3], 0xc4
	s_add_nc_u64 s[2:3], s[12:13], s[8:9]
.LBB304_426:                            ; =>This Inner Loop Header: Depth=1
	s_load_b96 s[8:10], s[2:3], 0x4
	s_add_co_i32 s4, s4, -1
	s_wait_xcnt 0x0
	s_add_nc_u64 s[2:3], s[2:3], 12
	s_cmp_lg_u32 s4, 0
	s_wait_kmcnt 0x0
	v_mul_hi_u32 v4, s9, v1
	s_delay_alu instid0(VALU_DEP_1) | instskip(NEXT) | instid1(VALU_DEP_1)
	v_add_nc_u32_e32 v4, v1, v4
	v_lshrrev_b32_e32 v4, s10, v4
	s_load_b64 s[10:11], s[0:1], 0x0
	s_wait_xcnt 0x0
	s_add_nc_u64 s[0:1], s[0:1], 8
	s_delay_alu instid0(VALU_DEP_1) | instskip(NEXT) | instid1(VALU_DEP_1)
	v_mul_lo_u32 v5, v4, s8
	v_sub_nc_u32_e32 v1, v1, v5
	s_wait_kmcnt 0x0
	s_delay_alu instid0(VALU_DEP_1)
	v_mad_u32 v3, v1, s11, v3
	v_mad_u32 v2, v1, s10, v2
	v_mov_b32_e32 v1, v4
	s_cbranch_scc1 .LBB304_426
.LBB304_427:
	s_and_not1_b32 vcc_lo, exec_lo, s6
	s_cbranch_vccnz .LBB304_430
; %bb.428:
	s_clause 0x1
	s_load_b96 s[0:2], s[12:13], 0x4
	s_load_b64 s[4:5], s[12:13], 0xc4
	s_cmp_lt_u32 s30, 2
	s_wait_kmcnt 0x0
	v_mul_hi_u32 v1, s1, v0
	s_delay_alu instid0(VALU_DEP_1) | instskip(NEXT) | instid1(VALU_DEP_1)
	v_add_nc_u32_e32 v1, v0, v1
	v_lshrrev_b32_e32 v1, s2, v1
	s_delay_alu instid0(VALU_DEP_1) | instskip(NEXT) | instid1(VALU_DEP_1)
	v_mul_lo_u32 v2, v1, s0
	v_sub_nc_u32_e32 v2, v0, v2
	s_delay_alu instid0(VALU_DEP_1)
	v_mul_lo_u32 v3, v2, s5
	v_mul_lo_u32 v2, v2, s4
	s_cbranch_scc1 .LBB304_430
; %bb.429:
	s_clause 0x1
	s_load_b96 s[0:2], s[12:13], 0x10
	s_load_b64 s[4:5], s[12:13], 0xcc
	s_wait_kmcnt 0x0
	v_mul_hi_u32 v4, s1, v1
	s_delay_alu instid0(VALU_DEP_1) | instskip(NEXT) | instid1(VALU_DEP_1)
	v_add_nc_u32_e32 v4, v1, v4
	v_lshrrev_b32_e32 v4, s2, v4
	s_delay_alu instid0(VALU_DEP_1) | instskip(NEXT) | instid1(VALU_DEP_1)
	v_mul_lo_u32 v4, v4, s0
	v_sub_nc_u32_e32 v1, v1, v4
	s_delay_alu instid0(VALU_DEP_1)
	v_mad_u32 v2, v1, s4, v2
	v_mad_u32 v3, v1, s5, v3
.LBB304_430:
	v_cmp_ne_u32_e32 vcc_lo, 1, v14
	v_add_nc_u32_e32 v1, 0x80, v0
	s_cbranch_vccnz .LBB304_436
; %bb.431:
	s_cmp_lg_u32 s30, 0
	s_mov_b32 s6, 0
	s_cbranch_scc0 .LBB304_437
; %bb.432:
	s_min_u32 s1, s31, 15
	s_delay_alu instid0(SALU_CYCLE_1)
	s_add_co_i32 s1, s1, 1
	s_cmp_eq_u32 s31, 2
	s_cbranch_scc1 .LBB304_438
; %bb.433:
	v_dual_mov_b32 v4, 0 :: v_dual_mov_b32 v5, 0
	v_mov_b32_e32 v6, v1
	s_and_b32 s0, s1, 28
	s_add_nc_u64 s[2:3], s[12:13], 0xc4
	s_mov_b32 s7, 0
	s_mov_b64 s[4:5], s[12:13]
.LBB304_434:                            ; =>This Inner Loop Header: Depth=1
	s_clause 0x1
	s_load_b256 s[16:23], s[4:5], 0x4
	s_load_b128 s[8:11], s[4:5], 0x24
	s_load_b256 s[36:43], s[2:3], 0x0
	s_add_co_i32 s7, s7, 4
	s_wait_xcnt 0x0
	s_add_nc_u64 s[4:5], s[4:5], 48
	s_cmp_lg_u32 s0, s7
	s_add_nc_u64 s[2:3], s[2:3], 32
	s_wait_kmcnt 0x0
	v_mul_hi_u32 v7, s17, v6
	s_delay_alu instid0(VALU_DEP_1) | instskip(NEXT) | instid1(VALU_DEP_1)
	v_add_nc_u32_e32 v7, v6, v7
	v_lshrrev_b32_e32 v7, s18, v7
	s_delay_alu instid0(VALU_DEP_1) | instskip(NEXT) | instid1(VALU_DEP_1)
	v_mul_hi_u32 v8, s20, v7
	v_add_nc_u32_e32 v8, v7, v8
	s_delay_alu instid0(VALU_DEP_1) | instskip(NEXT) | instid1(VALU_DEP_1)
	v_lshrrev_b32_e32 v8, s21, v8
	v_mul_hi_u32 v9, s23, v8
	s_delay_alu instid0(VALU_DEP_1) | instskip(SKIP_1) | instid1(VALU_DEP_1)
	v_add_nc_u32_e32 v9, v8, v9
	v_mul_lo_u32 v10, v7, s16
	v_sub_nc_u32_e32 v6, v6, v10
	v_mul_lo_u32 v10, v8, s19
	s_delay_alu instid0(VALU_DEP_4) | instskip(NEXT) | instid1(VALU_DEP_3)
	v_lshrrev_b32_e32 v9, s8, v9
	v_mad_u32 v5, v6, s37, v5
	v_mad_u32 v4, v6, s36, v4
	s_delay_alu instid0(VALU_DEP_4) | instskip(NEXT) | instid1(VALU_DEP_4)
	v_sub_nc_u32_e32 v6, v7, v10
	v_mul_hi_u32 v11, s10, v9
	v_mul_lo_u32 v7, v9, s22
	s_delay_alu instid0(VALU_DEP_3) | instskip(SKIP_1) | instid1(VALU_DEP_4)
	v_mad_u32 v5, v6, s39, v5
	v_mad_u32 v4, v6, s38, v4
	v_add_nc_u32_e32 v10, v9, v11
	s_delay_alu instid0(VALU_DEP_1) | instskip(NEXT) | instid1(VALU_DEP_1)
	v_dual_sub_nc_u32 v7, v8, v7 :: v_dual_lshrrev_b32 v6, s11, v10
	v_mad_u32 v5, v7, s41, v5
	s_delay_alu instid0(VALU_DEP_4) | instskip(NEXT) | instid1(VALU_DEP_3)
	v_mad_u32 v4, v7, s40, v4
	v_mul_lo_u32 v8, v6, s9
	s_delay_alu instid0(VALU_DEP_1) | instskip(NEXT) | instid1(VALU_DEP_1)
	v_sub_nc_u32_e32 v7, v9, v8
	v_mad_u32 v5, v7, s43, v5
	s_delay_alu instid0(VALU_DEP_4)
	v_mad_u32 v4, v7, s42, v4
	s_cbranch_scc1 .LBB304_434
; %bb.435:
	s_and_b32 s4, s1, 3
	s_mov_b32 s1, 0
	s_cmp_eq_u32 s4, 0
	s_cbranch_scc0 .LBB304_439
	s_branch .LBB304_441
.LBB304_436:
	s_mov_b32 s6, -1
                                        ; implicit-def: $vgpr5
	s_branch .LBB304_441
.LBB304_437:
	v_dual_mov_b32 v5, 0 :: v_dual_mov_b32 v4, 0
	s_branch .LBB304_441
.LBB304_438:
	v_mov_b64_e32 v[4:5], 0
	v_mov_b32_e32 v6, v1
	s_mov_b32 s0, 0
	s_and_b32 s4, s1, 3
	s_mov_b32 s1, 0
	s_cmp_eq_u32 s4, 0
	s_cbranch_scc1 .LBB304_441
.LBB304_439:
	s_lshl_b32 s2, s0, 3
	s_mov_b32 s3, s1
	s_mul_u64 s[8:9], s[0:1], 12
	s_add_nc_u64 s[2:3], s[12:13], s[2:3]
	s_delay_alu instid0(SALU_CYCLE_1)
	s_add_nc_u64 s[0:1], s[2:3], 0xc4
	s_add_nc_u64 s[2:3], s[12:13], s[8:9]
.LBB304_440:                            ; =>This Inner Loop Header: Depth=1
	s_load_b96 s[8:10], s[2:3], 0x4
	s_add_co_i32 s4, s4, -1
	s_wait_xcnt 0x0
	s_add_nc_u64 s[2:3], s[2:3], 12
	s_cmp_lg_u32 s4, 0
	s_wait_kmcnt 0x0
	v_mul_hi_u32 v7, s9, v6
	s_delay_alu instid0(VALU_DEP_1) | instskip(NEXT) | instid1(VALU_DEP_1)
	v_add_nc_u32_e32 v7, v6, v7
	v_lshrrev_b32_e32 v7, s10, v7
	s_load_b64 s[10:11], s[0:1], 0x0
	s_wait_xcnt 0x0
	s_add_nc_u64 s[0:1], s[0:1], 8
	s_delay_alu instid0(VALU_DEP_1) | instskip(NEXT) | instid1(VALU_DEP_1)
	v_mul_lo_u32 v8, v7, s8
	v_sub_nc_u32_e32 v6, v6, v8
	s_wait_kmcnt 0x0
	s_delay_alu instid0(VALU_DEP_1)
	v_mad_u32 v5, v6, s11, v5
	v_mad_u32 v4, v6, s10, v4
	v_mov_b32_e32 v6, v7
	s_cbranch_scc1 .LBB304_440
.LBB304_441:
	s_and_not1_b32 vcc_lo, exec_lo, s6
	s_cbranch_vccnz .LBB304_444
; %bb.442:
	s_clause 0x1
	s_load_b96 s[0:2], s[12:13], 0x4
	s_load_b64 s[4:5], s[12:13], 0xc4
	s_cmp_lt_u32 s30, 2
	s_wait_kmcnt 0x0
	v_mul_hi_u32 v4, s1, v1
	s_delay_alu instid0(VALU_DEP_1) | instskip(NEXT) | instid1(VALU_DEP_1)
	v_add_nc_u32_e32 v4, v1, v4
	v_lshrrev_b32_e32 v6, s2, v4
	s_delay_alu instid0(VALU_DEP_1) | instskip(NEXT) | instid1(VALU_DEP_1)
	v_mul_lo_u32 v4, v6, s0
	v_sub_nc_u32_e32 v1, v1, v4
	s_delay_alu instid0(VALU_DEP_1)
	v_mul_lo_u32 v5, v1, s5
	v_mul_lo_u32 v4, v1, s4
	s_cbranch_scc1 .LBB304_444
; %bb.443:
	s_clause 0x1
	s_load_b96 s[0:2], s[12:13], 0x10
	s_load_b64 s[4:5], s[12:13], 0xcc
	s_wait_kmcnt 0x0
	v_mul_hi_u32 v1, s1, v6
	s_delay_alu instid0(VALU_DEP_1) | instskip(NEXT) | instid1(VALU_DEP_1)
	v_add_nc_u32_e32 v1, v6, v1
	v_lshrrev_b32_e32 v1, s2, v1
	s_delay_alu instid0(VALU_DEP_1) | instskip(NEXT) | instid1(VALU_DEP_1)
	v_mul_lo_u32 v1, v1, s0
	v_sub_nc_u32_e32 v1, v6, v1
	s_delay_alu instid0(VALU_DEP_1)
	v_mad_u32 v4, v1, s4, v4
	v_mad_u32 v5, v1, s5, v5
.LBB304_444:
	v_cmp_ne_u32_e32 vcc_lo, 1, v14
	v_add_nc_u32_e32 v1, 0x100, v0
	s_cbranch_vccnz .LBB304_450
; %bb.445:
	s_cmp_lg_u32 s30, 0
	s_mov_b32 s6, 0
	s_cbranch_scc0 .LBB304_451
; %bb.446:
	s_min_u32 s1, s31, 15
	s_delay_alu instid0(SALU_CYCLE_1)
	s_add_co_i32 s1, s1, 1
	s_cmp_eq_u32 s31, 2
	s_cbranch_scc1 .LBB304_452
; %bb.447:
	v_dual_mov_b32 v6, 0 :: v_dual_mov_b32 v7, 0
	v_mov_b32_e32 v8, v1
	s_and_b32 s0, s1, 28
	s_add_nc_u64 s[2:3], s[12:13], 0xc4
	s_mov_b32 s7, 0
	s_mov_b64 s[4:5], s[12:13]
.LBB304_448:                            ; =>This Inner Loop Header: Depth=1
	s_clause 0x1
	s_load_b256 s[16:23], s[4:5], 0x4
	s_load_b128 s[8:11], s[4:5], 0x24
	s_load_b256 s[36:43], s[2:3], 0x0
	s_add_co_i32 s7, s7, 4
	s_wait_xcnt 0x0
	s_add_nc_u64 s[4:5], s[4:5], 48
	s_cmp_lg_u32 s0, s7
	s_add_nc_u64 s[2:3], s[2:3], 32
	s_wait_kmcnt 0x0
	v_mul_hi_u32 v9, s17, v8
	s_delay_alu instid0(VALU_DEP_1) | instskip(NEXT) | instid1(VALU_DEP_1)
	v_add_nc_u32_e32 v9, v8, v9
	v_lshrrev_b32_e32 v9, s18, v9
	s_delay_alu instid0(VALU_DEP_1) | instskip(NEXT) | instid1(VALU_DEP_1)
	v_mul_hi_u32 v10, s20, v9
	v_add_nc_u32_e32 v10, v9, v10
	s_delay_alu instid0(VALU_DEP_1) | instskip(NEXT) | instid1(VALU_DEP_1)
	v_lshrrev_b32_e32 v10, s21, v10
	v_mul_hi_u32 v11, s23, v10
	s_delay_alu instid0(VALU_DEP_1) | instskip(SKIP_1) | instid1(VALU_DEP_1)
	v_add_nc_u32_e32 v11, v10, v11
	v_mul_lo_u32 v12, v9, s16
	v_sub_nc_u32_e32 v8, v8, v12
	v_mul_lo_u32 v12, v10, s19
	s_delay_alu instid0(VALU_DEP_4) | instskip(NEXT) | instid1(VALU_DEP_3)
	v_lshrrev_b32_e32 v11, s8, v11
	v_mad_u32 v7, v8, s37, v7
	v_mad_u32 v6, v8, s36, v6
	s_delay_alu instid0(VALU_DEP_4) | instskip(NEXT) | instid1(VALU_DEP_4)
	v_sub_nc_u32_e32 v8, v9, v12
	v_mul_hi_u32 v13, s10, v11
	v_mul_lo_u32 v9, v11, s22
	s_delay_alu instid0(VALU_DEP_3) | instskip(SKIP_1) | instid1(VALU_DEP_4)
	v_mad_u32 v7, v8, s39, v7
	v_mad_u32 v6, v8, s38, v6
	v_add_nc_u32_e32 v12, v11, v13
	s_delay_alu instid0(VALU_DEP_1) | instskip(NEXT) | instid1(VALU_DEP_1)
	v_dual_sub_nc_u32 v9, v10, v9 :: v_dual_lshrrev_b32 v8, s11, v12
	v_mad_u32 v7, v9, s41, v7
	s_delay_alu instid0(VALU_DEP_4) | instskip(NEXT) | instid1(VALU_DEP_3)
	v_mad_u32 v6, v9, s40, v6
	v_mul_lo_u32 v10, v8, s9
	s_delay_alu instid0(VALU_DEP_1) | instskip(NEXT) | instid1(VALU_DEP_1)
	v_sub_nc_u32_e32 v9, v11, v10
	v_mad_u32 v7, v9, s43, v7
	s_delay_alu instid0(VALU_DEP_4)
	v_mad_u32 v6, v9, s42, v6
	s_cbranch_scc1 .LBB304_448
; %bb.449:
	s_and_b32 s4, s1, 3
	s_mov_b32 s1, 0
	s_cmp_eq_u32 s4, 0
	s_cbranch_scc0 .LBB304_453
	s_branch .LBB304_455
.LBB304_450:
	s_mov_b32 s6, -1
                                        ; implicit-def: $vgpr7
	s_branch .LBB304_455
.LBB304_451:
	v_dual_mov_b32 v7, 0 :: v_dual_mov_b32 v6, 0
	s_branch .LBB304_455
.LBB304_452:
	v_mov_b64_e32 v[6:7], 0
	v_mov_b32_e32 v8, v1
	s_mov_b32 s0, 0
	s_and_b32 s4, s1, 3
	s_mov_b32 s1, 0
	s_cmp_eq_u32 s4, 0
	s_cbranch_scc1 .LBB304_455
.LBB304_453:
	s_lshl_b32 s2, s0, 3
	s_mov_b32 s3, s1
	s_mul_u64 s[8:9], s[0:1], 12
	s_add_nc_u64 s[2:3], s[12:13], s[2:3]
	s_delay_alu instid0(SALU_CYCLE_1)
	s_add_nc_u64 s[0:1], s[2:3], 0xc4
	s_add_nc_u64 s[2:3], s[12:13], s[8:9]
.LBB304_454:                            ; =>This Inner Loop Header: Depth=1
	s_load_b96 s[8:10], s[2:3], 0x4
	s_add_co_i32 s4, s4, -1
	s_wait_xcnt 0x0
	s_add_nc_u64 s[2:3], s[2:3], 12
	s_cmp_lg_u32 s4, 0
	s_wait_kmcnt 0x0
	v_mul_hi_u32 v9, s9, v8
	s_delay_alu instid0(VALU_DEP_1) | instskip(NEXT) | instid1(VALU_DEP_1)
	v_add_nc_u32_e32 v9, v8, v9
	v_lshrrev_b32_e32 v9, s10, v9
	s_load_b64 s[10:11], s[0:1], 0x0
	s_wait_xcnt 0x0
	s_add_nc_u64 s[0:1], s[0:1], 8
	s_delay_alu instid0(VALU_DEP_1) | instskip(NEXT) | instid1(VALU_DEP_1)
	v_mul_lo_u32 v10, v9, s8
	v_sub_nc_u32_e32 v8, v8, v10
	s_wait_kmcnt 0x0
	s_delay_alu instid0(VALU_DEP_1)
	v_mad_u32 v7, v8, s11, v7
	v_mad_u32 v6, v8, s10, v6
	v_mov_b32_e32 v8, v9
	s_cbranch_scc1 .LBB304_454
.LBB304_455:
	s_and_not1_b32 vcc_lo, exec_lo, s6
	s_cbranch_vccnz .LBB304_458
; %bb.456:
	s_clause 0x1
	s_load_b96 s[0:2], s[12:13], 0x4
	s_load_b64 s[4:5], s[12:13], 0xc4
	s_cmp_lt_u32 s30, 2
	s_wait_kmcnt 0x0
	v_mul_hi_u32 v6, s1, v1
	s_delay_alu instid0(VALU_DEP_1) | instskip(NEXT) | instid1(VALU_DEP_1)
	v_add_nc_u32_e32 v6, v1, v6
	v_lshrrev_b32_e32 v8, s2, v6
	s_delay_alu instid0(VALU_DEP_1) | instskip(NEXT) | instid1(VALU_DEP_1)
	v_mul_lo_u32 v6, v8, s0
	v_sub_nc_u32_e32 v1, v1, v6
	s_delay_alu instid0(VALU_DEP_1)
	v_mul_lo_u32 v7, v1, s5
	v_mul_lo_u32 v6, v1, s4
	s_cbranch_scc1 .LBB304_458
; %bb.457:
	s_clause 0x1
	s_load_b96 s[0:2], s[12:13], 0x10
	s_load_b64 s[4:5], s[12:13], 0xcc
	s_wait_kmcnt 0x0
	v_mul_hi_u32 v1, s1, v8
	s_delay_alu instid0(VALU_DEP_1) | instskip(NEXT) | instid1(VALU_DEP_1)
	v_add_nc_u32_e32 v1, v8, v1
	v_lshrrev_b32_e32 v1, s2, v1
	s_delay_alu instid0(VALU_DEP_1) | instskip(NEXT) | instid1(VALU_DEP_1)
	v_mul_lo_u32 v1, v1, s0
	v_sub_nc_u32_e32 v1, v8, v1
	s_delay_alu instid0(VALU_DEP_1)
	v_mad_u32 v6, v1, s4, v6
	v_mad_u32 v7, v1, s5, v7
.LBB304_458:
	v_cmp_ne_u32_e32 vcc_lo, 1, v14
	v_add_nc_u32_e32 v1, 0x180, v0
	s_cbranch_vccnz .LBB304_464
; %bb.459:
	s_cmp_lg_u32 s30, 0
	s_mov_b32 s6, 0
	s_cbranch_scc0 .LBB304_465
; %bb.460:
	s_min_u32 s1, s31, 15
	s_delay_alu instid0(SALU_CYCLE_1)
	s_add_co_i32 s1, s1, 1
	s_cmp_eq_u32 s31, 2
	s_cbranch_scc1 .LBB304_466
; %bb.461:
	v_dual_mov_b32 v8, 0 :: v_dual_mov_b32 v9, 0
	v_mov_b32_e32 v10, v1
	s_and_b32 s0, s1, 28
	s_add_nc_u64 s[2:3], s[12:13], 0xc4
	s_mov_b32 s7, 0
	s_mov_b64 s[4:5], s[12:13]
.LBB304_462:                            ; =>This Inner Loop Header: Depth=1
	s_clause 0x1
	s_load_b256 s[16:23], s[4:5], 0x4
	s_load_b128 s[8:11], s[4:5], 0x24
	s_load_b256 s[36:43], s[2:3], 0x0
	s_add_co_i32 s7, s7, 4
	s_wait_xcnt 0x0
	s_add_nc_u64 s[4:5], s[4:5], 48
	s_cmp_lg_u32 s0, s7
	s_add_nc_u64 s[2:3], s[2:3], 32
	s_wait_kmcnt 0x0
	v_mul_hi_u32 v11, s17, v10
	s_delay_alu instid0(VALU_DEP_1) | instskip(NEXT) | instid1(VALU_DEP_1)
	v_add_nc_u32_e32 v11, v10, v11
	v_lshrrev_b32_e32 v11, s18, v11
	s_delay_alu instid0(VALU_DEP_1) | instskip(NEXT) | instid1(VALU_DEP_1)
	v_mul_hi_u32 v12, s20, v11
	v_add_nc_u32_e32 v12, v11, v12
	s_delay_alu instid0(VALU_DEP_1) | instskip(NEXT) | instid1(VALU_DEP_1)
	v_lshrrev_b32_e32 v12, s21, v12
	v_mul_hi_u32 v13, s23, v12
	s_delay_alu instid0(VALU_DEP_1) | instskip(SKIP_1) | instid1(VALU_DEP_1)
	v_add_nc_u32_e32 v13, v12, v13
	v_mul_lo_u32 v15, v11, s16
	v_sub_nc_u32_e32 v10, v10, v15
	v_mul_lo_u32 v15, v12, s19
	s_delay_alu instid0(VALU_DEP_4) | instskip(NEXT) | instid1(VALU_DEP_3)
	v_lshrrev_b32_e32 v13, s8, v13
	v_mad_u32 v9, v10, s37, v9
	v_mad_u32 v8, v10, s36, v8
	s_delay_alu instid0(VALU_DEP_4) | instskip(NEXT) | instid1(VALU_DEP_4)
	v_sub_nc_u32_e32 v10, v11, v15
	v_mul_hi_u32 v17, s10, v13
	v_mul_lo_u32 v11, v13, s22
	s_delay_alu instid0(VALU_DEP_3) | instskip(SKIP_1) | instid1(VALU_DEP_3)
	v_mad_u32 v9, v10, s39, v9
	v_mad_u32 v8, v10, s38, v8
	v_dual_add_nc_u32 v15, v13, v17 :: v_dual_sub_nc_u32 v11, v12, v11
	s_delay_alu instid0(VALU_DEP_1) | instskip(NEXT) | instid1(VALU_DEP_2)
	v_lshrrev_b32_e32 v10, s11, v15
	v_mad_u32 v9, v11, s41, v9
	s_delay_alu instid0(VALU_DEP_4) | instskip(NEXT) | instid1(VALU_DEP_3)
	v_mad_u32 v8, v11, s40, v8
	v_mul_lo_u32 v12, v10, s9
	s_delay_alu instid0(VALU_DEP_1) | instskip(NEXT) | instid1(VALU_DEP_1)
	v_sub_nc_u32_e32 v11, v13, v12
	v_mad_u32 v9, v11, s43, v9
	s_delay_alu instid0(VALU_DEP_4)
	v_mad_u32 v8, v11, s42, v8
	s_cbranch_scc1 .LBB304_462
; %bb.463:
	s_and_b32 s4, s1, 3
	s_mov_b32 s1, 0
	s_cmp_eq_u32 s4, 0
	s_cbranch_scc0 .LBB304_467
	s_branch .LBB304_469
.LBB304_464:
	s_mov_b32 s6, -1
                                        ; implicit-def: $vgpr9
	s_branch .LBB304_469
.LBB304_465:
	v_dual_mov_b32 v9, 0 :: v_dual_mov_b32 v8, 0
	s_branch .LBB304_469
.LBB304_466:
	v_mov_b64_e32 v[8:9], 0
	v_mov_b32_e32 v10, v1
	s_mov_b32 s0, 0
	s_and_b32 s4, s1, 3
	s_mov_b32 s1, 0
	s_cmp_eq_u32 s4, 0
	s_cbranch_scc1 .LBB304_469
.LBB304_467:
	s_lshl_b32 s2, s0, 3
	s_mov_b32 s3, s1
	s_mul_u64 s[8:9], s[0:1], 12
	s_add_nc_u64 s[2:3], s[12:13], s[2:3]
	s_delay_alu instid0(SALU_CYCLE_1)
	s_add_nc_u64 s[0:1], s[2:3], 0xc4
	s_add_nc_u64 s[2:3], s[12:13], s[8:9]
.LBB304_468:                            ; =>This Inner Loop Header: Depth=1
	s_load_b96 s[8:10], s[2:3], 0x4
	s_add_co_i32 s4, s4, -1
	s_wait_xcnt 0x0
	s_add_nc_u64 s[2:3], s[2:3], 12
	s_cmp_lg_u32 s4, 0
	s_wait_kmcnt 0x0
	v_mul_hi_u32 v11, s9, v10
	s_delay_alu instid0(VALU_DEP_1) | instskip(NEXT) | instid1(VALU_DEP_1)
	v_add_nc_u32_e32 v11, v10, v11
	v_lshrrev_b32_e32 v11, s10, v11
	s_load_b64 s[10:11], s[0:1], 0x0
	s_wait_xcnt 0x0
	s_add_nc_u64 s[0:1], s[0:1], 8
	s_delay_alu instid0(VALU_DEP_1) | instskip(NEXT) | instid1(VALU_DEP_1)
	v_mul_lo_u32 v12, v11, s8
	v_sub_nc_u32_e32 v10, v10, v12
	s_wait_kmcnt 0x0
	s_delay_alu instid0(VALU_DEP_1)
	v_mad_u32 v9, v10, s11, v9
	v_mad_u32 v8, v10, s10, v8
	v_mov_b32_e32 v10, v11
	s_cbranch_scc1 .LBB304_468
.LBB304_469:
	s_and_not1_b32 vcc_lo, exec_lo, s6
	s_cbranch_vccnz .LBB304_472
; %bb.470:
	s_clause 0x1
	s_load_b96 s[0:2], s[12:13], 0x4
	s_load_b64 s[4:5], s[12:13], 0xc4
	s_cmp_lt_u32 s30, 2
	s_wait_kmcnt 0x0
	v_mul_hi_u32 v8, s1, v1
	s_delay_alu instid0(VALU_DEP_1) | instskip(NEXT) | instid1(VALU_DEP_1)
	v_add_nc_u32_e32 v8, v1, v8
	v_lshrrev_b32_e32 v10, s2, v8
	s_delay_alu instid0(VALU_DEP_1) | instskip(NEXT) | instid1(VALU_DEP_1)
	v_mul_lo_u32 v8, v10, s0
	v_sub_nc_u32_e32 v1, v1, v8
	s_delay_alu instid0(VALU_DEP_1)
	v_mul_lo_u32 v9, v1, s5
	v_mul_lo_u32 v8, v1, s4
	s_cbranch_scc1 .LBB304_472
; %bb.471:
	s_clause 0x1
	s_load_b96 s[0:2], s[12:13], 0x10
	s_load_b64 s[4:5], s[12:13], 0xcc
	s_wait_kmcnt 0x0
	v_mul_hi_u32 v1, s1, v10
	s_delay_alu instid0(VALU_DEP_1) | instskip(NEXT) | instid1(VALU_DEP_1)
	v_add_nc_u32_e32 v1, v10, v1
	v_lshrrev_b32_e32 v1, s2, v1
	s_delay_alu instid0(VALU_DEP_1) | instskip(NEXT) | instid1(VALU_DEP_1)
	v_mul_lo_u32 v1, v1, s0
	v_sub_nc_u32_e32 v1, v10, v1
	s_delay_alu instid0(VALU_DEP_1)
	v_mad_u32 v8, v1, s4, v8
	v_mad_u32 v9, v1, s5, v9
.LBB304_472:
	v_cmp_ne_u32_e32 vcc_lo, 1, v14
	v_add_nc_u32_e32 v1, 0x200, v0
	s_cbranch_vccnz .LBB304_478
; %bb.473:
	s_cmp_lg_u32 s30, 0
	s_mov_b32 s6, 0
	s_cbranch_scc0 .LBB304_479
; %bb.474:
	s_min_u32 s1, s31, 15
	s_delay_alu instid0(SALU_CYCLE_1)
	s_add_co_i32 s1, s1, 1
	s_cmp_eq_u32 s31, 2
	s_cbranch_scc1 .LBB304_480
; %bb.475:
	v_dual_mov_b32 v10, 0 :: v_dual_mov_b32 v11, 0
	v_mov_b32_e32 v12, v1
	s_and_b32 s0, s1, 28
	s_add_nc_u64 s[2:3], s[12:13], 0xc4
	s_mov_b32 s7, 0
	s_mov_b64 s[4:5], s[12:13]
.LBB304_476:                            ; =>This Inner Loop Header: Depth=1
	s_clause 0x1
	s_load_b256 s[16:23], s[4:5], 0x4
	s_load_b128 s[8:11], s[4:5], 0x24
	s_load_b256 s[36:43], s[2:3], 0x0
	s_add_co_i32 s7, s7, 4
	s_wait_xcnt 0x0
	s_add_nc_u64 s[4:5], s[4:5], 48
	s_cmp_lg_u32 s0, s7
	s_add_nc_u64 s[2:3], s[2:3], 32
	s_wait_kmcnt 0x0
	v_mul_hi_u32 v13, s17, v12
	s_delay_alu instid0(VALU_DEP_1) | instskip(NEXT) | instid1(VALU_DEP_1)
	v_add_nc_u32_e32 v13, v12, v13
	v_lshrrev_b32_e32 v13, s18, v13
	s_delay_alu instid0(VALU_DEP_1) | instskip(NEXT) | instid1(VALU_DEP_1)
	v_mul_lo_u32 v18, v13, s16
	v_sub_nc_u32_e32 v12, v12, v18
	v_mul_hi_u32 v15, s20, v13
	s_delay_alu instid0(VALU_DEP_2) | instskip(SKIP_1) | instid1(VALU_DEP_3)
	v_mad_u32 v11, v12, s37, v11
	v_mad_u32 v10, v12, s36, v10
	v_add_nc_u32_e32 v15, v13, v15
	s_delay_alu instid0(VALU_DEP_1) | instskip(NEXT) | instid1(VALU_DEP_1)
	v_lshrrev_b32_e32 v15, s21, v15
	v_mul_hi_u32 v17, s23, v15
	v_mul_lo_u32 v18, v15, s19
	s_delay_alu instid0(VALU_DEP_1) | instskip(NEXT) | instid1(VALU_DEP_1)
	v_dual_add_nc_u32 v17, v15, v17 :: v_dual_sub_nc_u32 v12, v13, v18
	v_lshrrev_b32_e32 v17, s8, v17
	s_delay_alu instid0(VALU_DEP_2) | instskip(SKIP_1) | instid1(VALU_DEP_3)
	v_mad_u32 v11, v12, s39, v11
	v_mad_u32 v10, v12, s38, v10
	v_mul_hi_u32 v19, s10, v17
	v_mul_lo_u32 v13, v17, s22
	s_delay_alu instid0(VALU_DEP_1) | instskip(NEXT) | instid1(VALU_DEP_1)
	v_dual_add_nc_u32 v18, v17, v19 :: v_dual_sub_nc_u32 v13, v15, v13
	v_lshrrev_b32_e32 v12, s11, v18
	s_delay_alu instid0(VALU_DEP_2) | instskip(SKIP_1) | instid1(VALU_DEP_3)
	v_mad_u32 v11, v13, s41, v11
	v_mad_u32 v10, v13, s40, v10
	v_mul_lo_u32 v15, v12, s9
	s_delay_alu instid0(VALU_DEP_1) | instskip(NEXT) | instid1(VALU_DEP_1)
	v_sub_nc_u32_e32 v13, v17, v15
	v_mad_u32 v11, v13, s43, v11
	s_delay_alu instid0(VALU_DEP_4)
	v_mad_u32 v10, v13, s42, v10
	s_cbranch_scc1 .LBB304_476
; %bb.477:
	s_and_b32 s4, s1, 3
	s_mov_b32 s1, 0
	s_cmp_eq_u32 s4, 0
	s_cbranch_scc0 .LBB304_481
	s_branch .LBB304_483
.LBB304_478:
	s_mov_b32 s6, -1
                                        ; implicit-def: $vgpr11
	s_branch .LBB304_483
.LBB304_479:
	v_dual_mov_b32 v11, 0 :: v_dual_mov_b32 v10, 0
	s_branch .LBB304_483
.LBB304_480:
	v_mov_b64_e32 v[10:11], 0
	v_mov_b32_e32 v12, v1
	s_mov_b32 s0, 0
	s_and_b32 s4, s1, 3
	s_mov_b32 s1, 0
	s_cmp_eq_u32 s4, 0
	s_cbranch_scc1 .LBB304_483
.LBB304_481:
	s_lshl_b32 s2, s0, 3
	s_mov_b32 s3, s1
	s_mul_u64 s[8:9], s[0:1], 12
	s_add_nc_u64 s[2:3], s[12:13], s[2:3]
	s_delay_alu instid0(SALU_CYCLE_1)
	s_add_nc_u64 s[0:1], s[2:3], 0xc4
	s_add_nc_u64 s[2:3], s[12:13], s[8:9]
.LBB304_482:                            ; =>This Inner Loop Header: Depth=1
	s_load_b96 s[8:10], s[2:3], 0x4
	s_add_co_i32 s4, s4, -1
	s_wait_xcnt 0x0
	s_add_nc_u64 s[2:3], s[2:3], 12
	s_cmp_lg_u32 s4, 0
	s_wait_kmcnt 0x0
	v_mul_hi_u32 v13, s9, v12
	s_delay_alu instid0(VALU_DEP_1) | instskip(NEXT) | instid1(VALU_DEP_1)
	v_add_nc_u32_e32 v13, v12, v13
	v_lshrrev_b32_e32 v13, s10, v13
	s_load_b64 s[10:11], s[0:1], 0x0
	s_wait_xcnt 0x0
	s_add_nc_u64 s[0:1], s[0:1], 8
	s_delay_alu instid0(VALU_DEP_1) | instskip(NEXT) | instid1(VALU_DEP_1)
	v_mul_lo_u32 v15, v13, s8
	v_sub_nc_u32_e32 v12, v12, v15
	s_wait_kmcnt 0x0
	s_delay_alu instid0(VALU_DEP_1)
	v_mad_u32 v11, v12, s11, v11
	v_mad_u32 v10, v12, s10, v10
	v_mov_b32_e32 v12, v13
	s_cbranch_scc1 .LBB304_482
.LBB304_483:
	s_and_not1_b32 vcc_lo, exec_lo, s6
	s_cbranch_vccnz .LBB304_486
; %bb.484:
	s_clause 0x1
	s_load_b96 s[0:2], s[12:13], 0x4
	s_load_b64 s[4:5], s[12:13], 0xc4
	s_cmp_lt_u32 s30, 2
	s_wait_kmcnt 0x0
	v_mul_hi_u32 v10, s1, v1
	s_delay_alu instid0(VALU_DEP_1) | instskip(NEXT) | instid1(VALU_DEP_1)
	v_add_nc_u32_e32 v10, v1, v10
	v_lshrrev_b32_e32 v12, s2, v10
	s_delay_alu instid0(VALU_DEP_1) | instskip(NEXT) | instid1(VALU_DEP_1)
	v_mul_lo_u32 v10, v12, s0
	v_sub_nc_u32_e32 v1, v1, v10
	s_delay_alu instid0(VALU_DEP_1)
	v_mul_lo_u32 v11, v1, s5
	v_mul_lo_u32 v10, v1, s4
	s_cbranch_scc1 .LBB304_486
; %bb.485:
	s_clause 0x1
	s_load_b96 s[0:2], s[12:13], 0x10
	s_load_b64 s[4:5], s[12:13], 0xcc
	s_wait_kmcnt 0x0
	v_mul_hi_u32 v1, s1, v12
	s_delay_alu instid0(VALU_DEP_1) | instskip(NEXT) | instid1(VALU_DEP_1)
	v_add_nc_u32_e32 v1, v12, v1
	v_lshrrev_b32_e32 v1, s2, v1
	s_delay_alu instid0(VALU_DEP_1) | instskip(NEXT) | instid1(VALU_DEP_1)
	v_mul_lo_u32 v1, v1, s0
	v_sub_nc_u32_e32 v1, v12, v1
	s_delay_alu instid0(VALU_DEP_1)
	v_mad_u32 v10, v1, s4, v10
	v_mad_u32 v11, v1, s5, v11
.LBB304_486:
	v_cmp_ne_u32_e32 vcc_lo, 1, v14
	v_add_nc_u32_e32 v1, 0x280, v0
	s_cbranch_vccnz .LBB304_492
; %bb.487:
	s_cmp_lg_u32 s30, 0
	s_mov_b32 s6, 0
	s_cbranch_scc0 .LBB304_493
; %bb.488:
	s_min_u32 s1, s31, 15
	s_delay_alu instid0(SALU_CYCLE_1)
	s_add_co_i32 s1, s1, 1
	s_cmp_eq_u32 s31, 2
	s_cbranch_scc1 .LBB304_494
; %bb.489:
	v_dual_mov_b32 v12, 0 :: v_dual_mov_b32 v13, 0
	v_mov_b32_e32 v15, v1
	s_and_b32 s0, s1, 28
	s_add_nc_u64 s[2:3], s[12:13], 0xc4
	s_mov_b32 s7, 0
	s_mov_b64 s[4:5], s[12:13]
.LBB304_490:                            ; =>This Inner Loop Header: Depth=1
	s_clause 0x1
	s_load_b256 s[16:23], s[4:5], 0x4
	s_load_b128 s[8:11], s[4:5], 0x24
	s_load_b256 s[36:43], s[2:3], 0x0
	s_add_co_i32 s7, s7, 4
	s_wait_xcnt 0x0
	s_add_nc_u64 s[4:5], s[4:5], 48
	s_cmp_lg_u32 s0, s7
	s_add_nc_u64 s[2:3], s[2:3], 32
	s_wait_kmcnt 0x0
	v_mul_hi_u32 v17, s17, v15
	s_delay_alu instid0(VALU_DEP_1) | instskip(NEXT) | instid1(VALU_DEP_1)
	v_add_nc_u32_e32 v17, v15, v17
	v_lshrrev_b32_e32 v17, s18, v17
	s_delay_alu instid0(VALU_DEP_1) | instskip(NEXT) | instid1(VALU_DEP_1)
	v_mul_hi_u32 v18, s20, v17
	v_add_nc_u32_e32 v18, v17, v18
	s_delay_alu instid0(VALU_DEP_1) | instskip(NEXT) | instid1(VALU_DEP_1)
	v_lshrrev_b32_e32 v18, s21, v18
	v_mul_hi_u32 v19, s23, v18
	s_delay_alu instid0(VALU_DEP_1) | instskip(SKIP_1) | instid1(VALU_DEP_1)
	v_add_nc_u32_e32 v19, v18, v19
	v_mul_lo_u32 v20, v17, s16
	v_sub_nc_u32_e32 v15, v15, v20
	v_mul_lo_u32 v20, v18, s19
	s_delay_alu instid0(VALU_DEP_4) | instskip(NEXT) | instid1(VALU_DEP_3)
	v_lshrrev_b32_e32 v19, s8, v19
	v_mad_u32 v13, v15, s37, v13
	v_mad_u32 v12, v15, s36, v12
	s_delay_alu instid0(VALU_DEP_4) | instskip(NEXT) | instid1(VALU_DEP_4)
	v_sub_nc_u32_e32 v15, v17, v20
	v_mul_hi_u32 v21, s10, v19
	v_mul_lo_u32 v17, v19, s22
	s_delay_alu instid0(VALU_DEP_3) | instskip(SKIP_1) | instid1(VALU_DEP_4)
	v_mad_u32 v13, v15, s39, v13
	v_mad_u32 v12, v15, s38, v12
	v_add_nc_u32_e32 v20, v19, v21
	s_delay_alu instid0(VALU_DEP_1) | instskip(NEXT) | instid1(VALU_DEP_1)
	v_dual_sub_nc_u32 v17, v18, v17 :: v_dual_lshrrev_b32 v15, s11, v20
	v_mad_u32 v13, v17, s41, v13
	s_delay_alu instid0(VALU_DEP_4) | instskip(NEXT) | instid1(VALU_DEP_3)
	v_mad_u32 v12, v17, s40, v12
	v_mul_lo_u32 v18, v15, s9
	s_delay_alu instid0(VALU_DEP_1) | instskip(NEXT) | instid1(VALU_DEP_1)
	v_sub_nc_u32_e32 v17, v19, v18
	v_mad_u32 v13, v17, s43, v13
	s_delay_alu instid0(VALU_DEP_4)
	v_mad_u32 v12, v17, s42, v12
	s_cbranch_scc1 .LBB304_490
; %bb.491:
	s_and_b32 s4, s1, 3
	s_mov_b32 s1, 0
	s_cmp_eq_u32 s4, 0
	s_cbranch_scc0 .LBB304_495
	s_branch .LBB304_497
.LBB304_492:
	s_mov_b32 s6, -1
                                        ; implicit-def: $vgpr13
	s_branch .LBB304_497
.LBB304_493:
	v_dual_mov_b32 v13, 0 :: v_dual_mov_b32 v12, 0
	s_branch .LBB304_497
.LBB304_494:
	v_mov_b64_e32 v[12:13], 0
	v_mov_b32_e32 v15, v1
	s_mov_b32 s0, 0
	s_and_b32 s4, s1, 3
	s_mov_b32 s1, 0
	s_cmp_eq_u32 s4, 0
	s_cbranch_scc1 .LBB304_497
.LBB304_495:
	s_lshl_b32 s2, s0, 3
	s_mov_b32 s3, s1
	s_mul_u64 s[8:9], s[0:1], 12
	s_add_nc_u64 s[2:3], s[12:13], s[2:3]
	s_delay_alu instid0(SALU_CYCLE_1)
	s_add_nc_u64 s[0:1], s[2:3], 0xc4
	s_add_nc_u64 s[2:3], s[12:13], s[8:9]
.LBB304_496:                            ; =>This Inner Loop Header: Depth=1
	s_load_b96 s[8:10], s[2:3], 0x4
	s_add_co_i32 s4, s4, -1
	s_wait_xcnt 0x0
	s_add_nc_u64 s[2:3], s[2:3], 12
	s_cmp_lg_u32 s4, 0
	s_wait_kmcnt 0x0
	v_mul_hi_u32 v17, s9, v15
	s_delay_alu instid0(VALU_DEP_1) | instskip(NEXT) | instid1(VALU_DEP_1)
	v_add_nc_u32_e32 v17, v15, v17
	v_lshrrev_b32_e32 v17, s10, v17
	s_load_b64 s[10:11], s[0:1], 0x0
	s_wait_xcnt 0x0
	s_add_nc_u64 s[0:1], s[0:1], 8
	s_delay_alu instid0(VALU_DEP_1) | instskip(NEXT) | instid1(VALU_DEP_1)
	v_mul_lo_u32 v18, v17, s8
	v_sub_nc_u32_e32 v15, v15, v18
	s_wait_kmcnt 0x0
	s_delay_alu instid0(VALU_DEP_1)
	v_mad_u32 v13, v15, s11, v13
	v_mad_u32 v12, v15, s10, v12
	v_mov_b32_e32 v15, v17
	s_cbranch_scc1 .LBB304_496
.LBB304_497:
	s_and_not1_b32 vcc_lo, exec_lo, s6
	s_cbranch_vccnz .LBB304_500
; %bb.498:
	s_clause 0x1
	s_load_b96 s[0:2], s[12:13], 0x4
	s_load_b64 s[4:5], s[12:13], 0xc4
	s_cmp_lt_u32 s30, 2
	s_wait_kmcnt 0x0
	v_mul_hi_u32 v12, s1, v1
	s_delay_alu instid0(VALU_DEP_1) | instskip(NEXT) | instid1(VALU_DEP_1)
	v_add_nc_u32_e32 v12, v1, v12
	v_lshrrev_b32_e32 v15, s2, v12
	s_delay_alu instid0(VALU_DEP_1) | instskip(NEXT) | instid1(VALU_DEP_1)
	v_mul_lo_u32 v12, v15, s0
	v_sub_nc_u32_e32 v1, v1, v12
	s_delay_alu instid0(VALU_DEP_1)
	v_mul_lo_u32 v13, v1, s5
	v_mul_lo_u32 v12, v1, s4
	s_cbranch_scc1 .LBB304_500
; %bb.499:
	s_clause 0x1
	s_load_b96 s[0:2], s[12:13], 0x10
	s_load_b64 s[4:5], s[12:13], 0xcc
	s_wait_kmcnt 0x0
	v_mul_hi_u32 v1, s1, v15
	s_delay_alu instid0(VALU_DEP_1) | instskip(NEXT) | instid1(VALU_DEP_1)
	v_add_nc_u32_e32 v1, v15, v1
	v_lshrrev_b32_e32 v1, s2, v1
	s_delay_alu instid0(VALU_DEP_1) | instskip(NEXT) | instid1(VALU_DEP_1)
	v_mul_lo_u32 v1, v1, s0
	v_sub_nc_u32_e32 v1, v15, v1
	s_delay_alu instid0(VALU_DEP_1)
	v_mad_u32 v12, v1, s4, v12
	v_mad_u32 v13, v1, s5, v13
.LBB304_500:
	v_cmp_ne_u32_e32 vcc_lo, 1, v14
	v_add_nc_u32_e32 v15, 0x300, v0
	s_cbranch_vccnz .LBB304_506
; %bb.501:
	s_cmp_lg_u32 s30, 0
	s_mov_b32 s6, 0
	s_cbranch_scc0 .LBB304_507
; %bb.502:
	s_min_u32 s1, s31, 15
	s_delay_alu instid0(SALU_CYCLE_1)
	s_add_co_i32 s1, s1, 1
	s_cmp_eq_u32 s31, 2
	s_cbranch_scc1 .LBB304_508
; %bb.503:
	v_dual_mov_b32 v0, 0 :: v_dual_mov_b32 v1, 0
	v_mov_b32_e32 v17, v15
	s_and_b32 s0, s1, 28
	s_add_nc_u64 s[2:3], s[12:13], 0xc4
	s_mov_b32 s7, 0
	s_mov_b64 s[4:5], s[12:13]
.LBB304_504:                            ; =>This Inner Loop Header: Depth=1
	s_clause 0x1
	s_load_b256 s[16:23], s[4:5], 0x4
	s_load_b128 s[8:11], s[4:5], 0x24
	s_load_b256 s[36:43], s[2:3], 0x0
	s_add_co_i32 s7, s7, 4
	s_wait_xcnt 0x0
	s_add_nc_u64 s[4:5], s[4:5], 48
	s_cmp_lg_u32 s0, s7
	s_add_nc_u64 s[2:3], s[2:3], 32
	s_wait_kmcnt 0x0
	v_mul_hi_u32 v18, s17, v17
	s_delay_alu instid0(VALU_DEP_1) | instskip(NEXT) | instid1(VALU_DEP_1)
	v_add_nc_u32_e32 v18, v17, v18
	v_lshrrev_b32_e32 v18, s18, v18
	s_delay_alu instid0(VALU_DEP_1) | instskip(NEXT) | instid1(VALU_DEP_1)
	v_mul_hi_u32 v19, s20, v18
	v_add_nc_u32_e32 v19, v18, v19
	s_delay_alu instid0(VALU_DEP_1) | instskip(NEXT) | instid1(VALU_DEP_1)
	v_lshrrev_b32_e32 v19, s21, v19
	v_mul_hi_u32 v20, s23, v19
	s_delay_alu instid0(VALU_DEP_1) | instskip(SKIP_1) | instid1(VALU_DEP_1)
	v_add_nc_u32_e32 v20, v19, v20
	v_mul_lo_u32 v21, v18, s16
	v_sub_nc_u32_e32 v17, v17, v21
	v_mul_lo_u32 v21, v19, s19
	s_delay_alu instid0(VALU_DEP_4) | instskip(NEXT) | instid1(VALU_DEP_3)
	v_lshrrev_b32_e32 v20, s8, v20
	v_mad_u32 v1, v17, s37, v1
	v_mad_u32 v0, v17, s36, v0
	s_delay_alu instid0(VALU_DEP_4) | instskip(NEXT) | instid1(VALU_DEP_4)
	v_sub_nc_u32_e32 v17, v18, v21
	v_mul_hi_u32 v22, s10, v20
	v_mul_lo_u32 v18, v20, s22
	s_delay_alu instid0(VALU_DEP_3) | instskip(SKIP_1) | instid1(VALU_DEP_4)
	v_mad_u32 v1, v17, s39, v1
	v_mad_u32 v0, v17, s38, v0
	v_add_nc_u32_e32 v21, v20, v22
	s_delay_alu instid0(VALU_DEP_1) | instskip(NEXT) | instid1(VALU_DEP_1)
	v_dual_sub_nc_u32 v18, v19, v18 :: v_dual_lshrrev_b32 v17, s11, v21
	v_mad_u32 v1, v18, s41, v1
	s_delay_alu instid0(VALU_DEP_4) | instskip(NEXT) | instid1(VALU_DEP_3)
	v_mad_u32 v0, v18, s40, v0
	v_mul_lo_u32 v19, v17, s9
	s_delay_alu instid0(VALU_DEP_1) | instskip(NEXT) | instid1(VALU_DEP_1)
	v_sub_nc_u32_e32 v18, v20, v19
	v_mad_u32 v1, v18, s43, v1
	s_delay_alu instid0(VALU_DEP_4)
	v_mad_u32 v0, v18, s42, v0
	s_cbranch_scc1 .LBB304_504
; %bb.505:
	s_and_b32 s4, s1, 3
	s_mov_b32 s1, 0
	s_cmp_eq_u32 s4, 0
	s_cbranch_scc0 .LBB304_509
	s_branch .LBB304_511
.LBB304_506:
	s_mov_b32 s6, -1
                                        ; implicit-def: $vgpr1
	s_branch .LBB304_511
.LBB304_507:
	v_dual_mov_b32 v1, 0 :: v_dual_mov_b32 v0, 0
	s_branch .LBB304_511
.LBB304_508:
	v_mov_b64_e32 v[0:1], 0
	v_mov_b32_e32 v17, v15
	s_mov_b32 s0, 0
	s_and_b32 s4, s1, 3
	s_mov_b32 s1, 0
	s_cmp_eq_u32 s4, 0
	s_cbranch_scc1 .LBB304_511
.LBB304_509:
	s_lshl_b32 s2, s0, 3
	s_mov_b32 s3, s1
	s_mul_u64 s[8:9], s[0:1], 12
	s_add_nc_u64 s[2:3], s[12:13], s[2:3]
	s_delay_alu instid0(SALU_CYCLE_1)
	s_add_nc_u64 s[0:1], s[2:3], 0xc4
	s_add_nc_u64 s[2:3], s[12:13], s[8:9]
.LBB304_510:                            ; =>This Inner Loop Header: Depth=1
	s_load_b96 s[8:10], s[2:3], 0x4
	s_add_co_i32 s4, s4, -1
	s_wait_xcnt 0x0
	s_add_nc_u64 s[2:3], s[2:3], 12
	s_cmp_lg_u32 s4, 0
	s_wait_kmcnt 0x0
	v_mul_hi_u32 v18, s9, v17
	s_delay_alu instid0(VALU_DEP_1) | instskip(NEXT) | instid1(VALU_DEP_1)
	v_add_nc_u32_e32 v18, v17, v18
	v_lshrrev_b32_e32 v18, s10, v18
	s_load_b64 s[10:11], s[0:1], 0x0
	s_wait_xcnt 0x0
	s_add_nc_u64 s[0:1], s[0:1], 8
	s_delay_alu instid0(VALU_DEP_1) | instskip(NEXT) | instid1(VALU_DEP_1)
	v_mul_lo_u32 v19, v18, s8
	v_sub_nc_u32_e32 v17, v17, v19
	s_wait_kmcnt 0x0
	s_delay_alu instid0(VALU_DEP_1)
	v_mad_u32 v1, v17, s11, v1
	v_mad_u32 v0, v17, s10, v0
	v_mov_b32_e32 v17, v18
	s_cbranch_scc1 .LBB304_510
.LBB304_511:
	s_and_not1_b32 vcc_lo, exec_lo, s6
	s_cbranch_vccnz .LBB304_514
; %bb.512:
	s_clause 0x1
	s_load_b96 s[0:2], s[12:13], 0x4
	s_load_b64 s[4:5], s[12:13], 0xc4
	s_cmp_lt_u32 s30, 2
	s_wait_kmcnt 0x0
	v_mul_hi_u32 v0, s1, v15
	s_delay_alu instid0(VALU_DEP_1) | instskip(NEXT) | instid1(VALU_DEP_1)
	v_add_nc_u32_e32 v0, v15, v0
	v_lshrrev_b32_e32 v17, s2, v0
	s_delay_alu instid0(VALU_DEP_1) | instskip(NEXT) | instid1(VALU_DEP_1)
	v_mul_lo_u32 v0, v17, s0
	v_sub_nc_u32_e32 v0, v15, v0
	s_delay_alu instid0(VALU_DEP_1)
	v_mul_lo_u32 v1, v0, s5
	v_mul_lo_u32 v0, v0, s4
	s_cbranch_scc1 .LBB304_514
; %bb.513:
	s_clause 0x1
	s_load_b96 s[0:2], s[12:13], 0x10
	s_load_b64 s[4:5], s[12:13], 0xcc
	s_wait_kmcnt 0x0
	v_mul_hi_u32 v15, s1, v17
	s_delay_alu instid0(VALU_DEP_1) | instskip(NEXT) | instid1(VALU_DEP_1)
	v_add_nc_u32_e32 v15, v17, v15
	v_lshrrev_b32_e32 v15, s2, v15
	s_delay_alu instid0(VALU_DEP_1) | instskip(NEXT) | instid1(VALU_DEP_1)
	v_mul_lo_u32 v15, v15, s0
	v_sub_nc_u32_e32 v15, v17, v15
	s_delay_alu instid0(VALU_DEP_1)
	v_mad_u32 v0, v15, s4, v0
	v_mad_u32 v1, v15, s5, v1
.LBB304_514:
	v_cmp_ne_u32_e32 vcc_lo, 1, v14
	s_cbranch_vccnz .LBB304_520
; %bb.515:
	s_cmp_lg_u32 s30, 0
	s_mov_b32 s6, 0
	s_cbranch_scc0 .LBB304_521
; %bb.516:
	s_min_u32 s1, s31, 15
	s_delay_alu instid0(SALU_CYCLE_1)
	s_add_co_i32 s1, s1, 1
	s_cmp_eq_u32 s31, 2
	s_cbranch_scc1 .LBB304_522
; %bb.517:
	v_dual_mov_b32 v14, 0 :: v_dual_mov_b32 v15, 0
	v_mov_b32_e32 v17, v16
	s_and_b32 s0, s1, 28
	s_add_nc_u64 s[2:3], s[12:13], 0xc4
	s_mov_b32 s7, 0
	s_mov_b64 s[4:5], s[12:13]
.LBB304_518:                            ; =>This Inner Loop Header: Depth=1
	s_clause 0x1
	s_load_b256 s[16:23], s[4:5], 0x4
	s_load_b128 s[8:11], s[4:5], 0x24
	s_load_b256 s[36:43], s[2:3], 0x0
	s_add_co_i32 s7, s7, 4
	s_wait_xcnt 0x0
	s_add_nc_u64 s[4:5], s[4:5], 48
	s_cmp_lg_u32 s0, s7
	s_add_nc_u64 s[2:3], s[2:3], 32
	s_wait_kmcnt 0x0
	v_mul_hi_u32 v18, s17, v17
	s_delay_alu instid0(VALU_DEP_1) | instskip(NEXT) | instid1(VALU_DEP_1)
	v_add_nc_u32_e32 v18, v17, v18
	v_lshrrev_b32_e32 v18, s18, v18
	s_delay_alu instid0(VALU_DEP_1) | instskip(NEXT) | instid1(VALU_DEP_1)
	v_mul_hi_u32 v19, s20, v18
	v_add_nc_u32_e32 v19, v18, v19
	s_delay_alu instid0(VALU_DEP_1) | instskip(NEXT) | instid1(VALU_DEP_1)
	v_lshrrev_b32_e32 v19, s21, v19
	v_mul_hi_u32 v20, s23, v19
	s_delay_alu instid0(VALU_DEP_1) | instskip(SKIP_1) | instid1(VALU_DEP_1)
	v_add_nc_u32_e32 v20, v19, v20
	v_mul_lo_u32 v21, v18, s16
	v_sub_nc_u32_e32 v17, v17, v21
	v_mul_lo_u32 v21, v19, s19
	s_delay_alu instid0(VALU_DEP_4) | instskip(NEXT) | instid1(VALU_DEP_3)
	v_lshrrev_b32_e32 v20, s8, v20
	v_mad_u32 v15, v17, s37, v15
	v_mad_u32 v14, v17, s36, v14
	s_delay_alu instid0(VALU_DEP_4) | instskip(NEXT) | instid1(VALU_DEP_4)
	v_sub_nc_u32_e32 v17, v18, v21
	v_mul_hi_u32 v22, s10, v20
	v_mul_lo_u32 v18, v20, s22
	s_delay_alu instid0(VALU_DEP_3) | instskip(SKIP_1) | instid1(VALU_DEP_4)
	v_mad_u32 v15, v17, s39, v15
	v_mad_u32 v14, v17, s38, v14
	v_add_nc_u32_e32 v21, v20, v22
	s_delay_alu instid0(VALU_DEP_1) | instskip(NEXT) | instid1(VALU_DEP_1)
	v_dual_sub_nc_u32 v18, v19, v18 :: v_dual_lshrrev_b32 v17, s11, v21
	v_mad_u32 v15, v18, s41, v15
	s_delay_alu instid0(VALU_DEP_4) | instskip(NEXT) | instid1(VALU_DEP_3)
	v_mad_u32 v14, v18, s40, v14
	v_mul_lo_u32 v19, v17, s9
	s_delay_alu instid0(VALU_DEP_1) | instskip(NEXT) | instid1(VALU_DEP_1)
	v_sub_nc_u32_e32 v18, v20, v19
	v_mad_u32 v15, v18, s43, v15
	s_delay_alu instid0(VALU_DEP_4)
	v_mad_u32 v14, v18, s42, v14
	s_cbranch_scc1 .LBB304_518
; %bb.519:
	s_and_b32 s4, s1, 3
	s_mov_b32 s1, 0
	s_cmp_eq_u32 s4, 0
	s_cbranch_scc0 .LBB304_523
	s_branch .LBB304_525
.LBB304_520:
	s_mov_b32 s6, -1
                                        ; implicit-def: $vgpr15
	s_branch .LBB304_525
.LBB304_521:
	v_dual_mov_b32 v15, 0 :: v_dual_mov_b32 v14, 0
	s_branch .LBB304_525
.LBB304_522:
	v_mov_b64_e32 v[14:15], 0
	v_mov_b32_e32 v17, v16
	s_mov_b32 s0, 0
	s_and_b32 s4, s1, 3
	s_mov_b32 s1, 0
	s_cmp_eq_u32 s4, 0
	s_cbranch_scc1 .LBB304_525
.LBB304_523:
	s_lshl_b32 s2, s0, 3
	s_mov_b32 s3, s1
	s_mul_u64 s[8:9], s[0:1], 12
	s_add_nc_u64 s[2:3], s[12:13], s[2:3]
	s_delay_alu instid0(SALU_CYCLE_1)
	s_add_nc_u64 s[0:1], s[2:3], 0xc4
	s_add_nc_u64 s[2:3], s[12:13], s[8:9]
.LBB304_524:                            ; =>This Inner Loop Header: Depth=1
	s_load_b96 s[8:10], s[2:3], 0x4
	s_add_co_i32 s4, s4, -1
	s_wait_xcnt 0x0
	s_add_nc_u64 s[2:3], s[2:3], 12
	s_cmp_lg_u32 s4, 0
	s_wait_kmcnt 0x0
	v_mul_hi_u32 v18, s9, v17
	s_delay_alu instid0(VALU_DEP_1) | instskip(NEXT) | instid1(VALU_DEP_1)
	v_add_nc_u32_e32 v18, v17, v18
	v_lshrrev_b32_e32 v18, s10, v18
	s_load_b64 s[10:11], s[0:1], 0x0
	s_wait_xcnt 0x0
	s_add_nc_u64 s[0:1], s[0:1], 8
	s_delay_alu instid0(VALU_DEP_1) | instskip(NEXT) | instid1(VALU_DEP_1)
	v_mul_lo_u32 v19, v18, s8
	v_sub_nc_u32_e32 v17, v17, v19
	s_wait_kmcnt 0x0
	s_delay_alu instid0(VALU_DEP_1)
	v_mad_u32 v15, v17, s11, v15
	v_mad_u32 v14, v17, s10, v14
	v_mov_b32_e32 v17, v18
	s_cbranch_scc1 .LBB304_524
.LBB304_525:
	s_and_not1_b32 vcc_lo, exec_lo, s6
	s_cbranch_vccnz .LBB304_528
; %bb.526:
	s_clause 0x1
	s_load_b96 s[0:2], s[12:13], 0x4
	s_load_b64 s[4:5], s[12:13], 0xc4
	s_cmp_lt_u32 s30, 2
	s_wait_kmcnt 0x0
	v_mul_hi_u32 v14, s1, v16
	s_delay_alu instid0(VALU_DEP_1) | instskip(NEXT) | instid1(VALU_DEP_1)
	v_add_nc_u32_e32 v14, v16, v14
	v_lshrrev_b32_e32 v17, s2, v14
	s_delay_alu instid0(VALU_DEP_1) | instskip(NEXT) | instid1(VALU_DEP_1)
	v_mul_lo_u32 v14, v17, s0
	v_sub_nc_u32_e32 v14, v16, v14
	s_delay_alu instid0(VALU_DEP_1)
	v_mul_lo_u32 v15, v14, s5
	v_mul_lo_u32 v14, v14, s4
	s_cbranch_scc1 .LBB304_528
; %bb.527:
	s_clause 0x1
	s_load_b96 s[0:2], s[12:13], 0x10
	s_load_b64 s[4:5], s[12:13], 0xcc
	s_wait_kmcnt 0x0
	v_mul_hi_u32 v16, s1, v17
	s_delay_alu instid0(VALU_DEP_1) | instskip(NEXT) | instid1(VALU_DEP_1)
	v_add_nc_u32_e32 v16, v17, v16
	v_lshrrev_b32_e32 v16, s2, v16
	s_delay_alu instid0(VALU_DEP_1) | instskip(NEXT) | instid1(VALU_DEP_1)
	v_mul_lo_u32 v16, v16, s0
	v_sub_nc_u32_e32 v16, v17, v16
	s_delay_alu instid0(VALU_DEP_1)
	v_mad_u32 v14, v16, s4, v14
	v_mad_u32 v15, v16, s5, v15
.LBB304_528:
	s_clause 0x1
	s_load_b128 s[0:3], s[12:13], 0x148
	s_load_b64 s[4:5], s[12:13], 0x158
	s_mov_b32 s7, 0
	s_wait_kmcnt 0x0
	global_load_u8 v3, v3, s[2:3]
	s_cmp_lg_u32 s4, 0
	s_cselect_b32 s6, -1, 0
	s_delay_alu instid0(SALU_CYCLE_1)
	s_and_b32 vcc_lo, exec_lo, s6
	s_cbranch_vccz .LBB304_543
; %bb.529:
	s_and_b32 s8, s5, 0xff
	s_mov_b32 s4, -1
	s_cmp_lt_i32 s8, 0x80
	s_cbranch_scc0 .LBB304_548
; %bb.530:
	s_and_b32 vcc_lo, exec_lo, s4
	s_mov_b32 s4, 0x7f800001
	s_cbranch_vccnz .LBB304_551
.LBB304_531:
	s_and_not1_b32 vcc_lo, exec_lo, s7
	s_cbranch_vccnz .LBB304_533
.LBB304_532:
	s_and_b32 s4, s5, 7
	s_bfe_u32 s10, s5, 0x40003
	s_clz_i32_u32 s7, s4
	s_lshl_b32 s8, s5, 24
	s_min_u32 s7, s7, 32
	s_delay_alu instid0(SALU_CYCLE_1) | instskip(SKIP_2) | instid1(SALU_CYCLE_1)
	s_sub_co_i32 s9, s7, 28
	s_sub_co_i32 s7, 29, s7
	s_lshl_b32 s9, s5, s9
	s_and_b32 s9, s9, 7
	s_cmp_eq_u32 s10, 0
	s_cselect_b32 s7, s7, s10
	s_cselect_b32 s4, s9, s4
	s_lshl_b32 s7, s7, 23
	s_and_b32 s8, s8, 0x80000000
	s_add_co_i32 s7, s7, 0x3b800000
	s_lshl_b32 s4, s4, 20
	s_or_b32 s7, s8, s7
	s_delay_alu instid0(SALU_CYCLE_1)
	s_or_b32 s4, s7, s4
.LBB304_533:
	s_wait_loadcnt 0x0
	v_and_b32_e32 v17, 0xff, v3
	s_mov_b32 s7, 0
	s_mov_b32 s8, exec_lo
	s_wait_xcnt 0x0
	s_delay_alu instid0(VALU_DEP_1)
	v_cmpx_lt_i16_e32 0x7f, v17
	s_xor_b32 s8, exec_lo, s8
	s_cbranch_execnz .LBB304_552
; %bb.534:
	s_or_saveexec_b32 s8, s8
	v_mov_b32_e32 v16, 0x7f800001
	s_xor_b32 exec_lo, exec_lo, s8
	s_cbranch_execnz .LBB304_555
.LBB304_535:
	s_or_b32 exec_lo, exec_lo, s8
	s_and_saveexec_b32 s8, s7
	s_cbranch_execz .LBB304_537
.LBB304_536:
	v_and_b32_e32 v16, 7, v3
	v_lshrrev_b16 v18, 3, v3
	s_delay_alu instid0(VALU_DEP_2) | instskip(NEXT) | instid1(VALU_DEP_1)
	v_clz_i32_u32_e32 v17, v16
	v_min_u32_e32 v17, 32, v17
	s_delay_alu instid0(VALU_DEP_3) | instskip(NEXT) | instid1(VALU_DEP_2)
	v_and_b32_e32 v18, 15, v18
	v_subrev_nc_u32_e32 v19, 28, v17
	v_sub_nc_u32_e32 v17, 29, v17
	s_delay_alu instid0(VALU_DEP_3) | instskip(NEXT) | instid1(VALU_DEP_2)
	v_cmp_eq_u32_e32 vcc_lo, 0, v18
	v_dual_lshlrev_b32 v19, v19, v3 :: v_dual_cndmask_b32 v17, v18, v17, vcc_lo
	s_delay_alu instid0(VALU_DEP_1) | instskip(NEXT) | instid1(VALU_DEP_2)
	v_and_b32_e32 v19, 7, v19
	v_lshl_add_u32 v17, v17, 23, 0x3b800000
	s_delay_alu instid0(VALU_DEP_2) | instskip(NEXT) | instid1(VALU_DEP_1)
	v_cndmask_b32_e32 v16, v16, v19, vcc_lo
	v_dual_lshlrev_b32 v20, 24, v3 :: v_dual_lshlrev_b32 v16, 20, v16
	s_delay_alu instid0(VALU_DEP_1) | instskip(NEXT) | instid1(VALU_DEP_1)
	v_and_b32_e32 v18, 0x80000000, v20
	v_or3_b32 v16, v18, v17, v16
.LBB304_537:
	s_or_b32 exec_lo, exec_lo, s8
	s_delay_alu instid0(VALU_DEP_1)
	v_cmp_neq_f32_e64 s4, s4, v16
.LBB304_538:
	s_wait_loadcnt 0x0
	global_load_u8 v3, v5, s[2:3]
	s_and_b32 vcc_lo, exec_lo, s6
	s_cbranch_vccz .LBB304_686
.LBB304_539:
	s_and_b32 s8, s5, 0xff
	s_delay_alu instid0(SALU_CYCLE_1)
	s_cmp_lt_i32 s8, 0x80
	s_cbranch_scc1 .LBB304_556
; %bb.540:
	s_and_b32 s7, 0xffff, s8
	s_mov_b32 s9, -1
	s_cmp_eq_u32 s7, 0x80
	s_cbranch_scc0 .LBB304_542
; %bb.541:
	s_mov_b32 s9, 0
.LBB304_542:
	s_mov_b32 s7, 0x7f800001
	s_branch .LBB304_558
.LBB304_543:
                                        ; implicit-def: $sgpr4
	s_cbranch_execz .LBB304_538
; %bb.544:
	s_and_b32 s7, s5, 0xff
	s_delay_alu instid0(SALU_CYCLE_1)
	s_cmp_lt_i32 s7, 0x80
	s_cbranch_scc1 .LBB304_677
; %bb.545:
	s_and_b32 s4, 0xffff, s7
	s_mov_b32 s8, -1
	s_cmp_eq_u32 s4, 0x80
	s_cbranch_scc0 .LBB304_547
; %bb.546:
	s_mov_b32 s8, 0
.LBB304_547:
	s_mov_b32 s4, 0x7f800001
	s_branch .LBB304_679
.LBB304_548:
	s_and_b32 s4, 0xffff, s8
	s_mov_b32 s7, -1
	s_cmp_eq_u32 s4, 0x80
	s_cbranch_scc0 .LBB304_550
; %bb.549:
	s_mov_b32 s7, 0
.LBB304_550:
	s_mov_b32 s4, 0x7f800001
	s_branch .LBB304_531
.LBB304_551:
	s_and_b32 s4, 0xffff, s8
	s_delay_alu instid0(SALU_CYCLE_1) | instskip(SKIP_2) | instid1(SALU_CYCLE_1)
	s_cmp_lg_u32 s4, 0
	s_mov_b32 s4, 0
	s_cselect_b32 s7, -1, 0
	s_and_not1_b32 vcc_lo, exec_lo, s7
	s_cbranch_vccz .LBB304_532
	s_branch .LBB304_533
.LBB304_552:
	s_mov_b32 s7, -1
	s_mov_b32 s9, exec_lo
	v_cmpx_eq_u16_e32 0x80, v17
; %bb.553:
	s_xor_b32 s7, exec_lo, -1
; %bb.554:
	s_or_b32 exec_lo, exec_lo, s9
	s_delay_alu instid0(SALU_CYCLE_1)
	s_and_b32 s7, s7, exec_lo
                                        ; implicit-def: $vgpr17
	s_or_saveexec_b32 s8, s8
	v_mov_b32_e32 v16, 0x7f800001
	s_xor_b32 exec_lo, exec_lo, s8
	s_cbranch_execz .LBB304_535
.LBB304_555:
	v_cmp_ne_u16_e32 vcc_lo, 0, v17
	v_mov_b32_e32 v16, 0
	s_and_not1_b32 s7, s7, exec_lo
	s_and_b32 s9, vcc_lo, exec_lo
	s_delay_alu instid0(SALU_CYCLE_1)
	s_or_b32 s7, s7, s9
	s_or_b32 exec_lo, exec_lo, s8
	s_and_saveexec_b32 s8, s7
	s_cbranch_execnz .LBB304_536
	s_branch .LBB304_537
.LBB304_556:
	s_mov_b32 s9, 0
	s_mov_b32 s7, 0x7f800001
	s_cbranch_execz .LBB304_558
; %bb.557:
	s_and_b32 s7, 0xffff, s8
	s_delay_alu instid0(SALU_CYCLE_1)
	s_cmp_lg_u32 s7, 0
	s_mov_b32 s7, 0
	s_cselect_b32 s9, -1, 0
.LBB304_558:
	s_delay_alu instid0(SALU_CYCLE_1)
	s_and_not1_b32 vcc_lo, exec_lo, s9
	s_cbranch_vccnz .LBB304_560
; %bb.559:
	s_and_b32 s7, s5, 7
	s_bfe_u32 s11, s5, 0x40003
	s_clz_i32_u32 s8, s7
	s_lshl_b32 s9, s5, 24
	s_min_u32 s8, s8, 32
	s_delay_alu instid0(SALU_CYCLE_1) | instskip(SKIP_2) | instid1(SALU_CYCLE_1)
	s_sub_co_i32 s10, s8, 28
	s_sub_co_i32 s8, 29, s8
	s_lshl_b32 s10, s5, s10
	s_and_b32 s10, s10, 7
	s_cmp_eq_u32 s11, 0
	s_cselect_b32 s8, s8, s11
	s_cselect_b32 s7, s10, s7
	s_lshl_b32 s8, s8, 23
	s_and_b32 s9, s9, 0x80000000
	s_add_co_i32 s8, s8, 0x3b800000
	s_lshl_b32 s7, s7, 20
	s_or_b32 s8, s9, s8
	s_delay_alu instid0(SALU_CYCLE_1)
	s_or_b32 s7, s8, s7
.LBB304_560:
	s_wait_loadcnt 0x0
	v_and_b32_e32 v16, 0xff, v3
	s_mov_b32 s8, 0
	s_mov_b32 s9, exec_lo
	s_wait_xcnt 0x0
	s_delay_alu instid0(VALU_DEP_1)
	v_cmpx_lt_i16_e32 0x7f, v16
	s_xor_b32 s9, exec_lo, s9
	s_cbranch_execnz .LBB304_570
; %bb.561:
	s_or_saveexec_b32 s9, s9
	v_mov_b32_e32 v5, 0x7f800001
	s_xor_b32 exec_lo, exec_lo, s9
	s_cbranch_execnz .LBB304_573
.LBB304_562:
	s_or_b32 exec_lo, exec_lo, s9
	s_and_saveexec_b32 s9, s8
	s_cbranch_execz .LBB304_564
.LBB304_563:
	v_and_b32_e32 v5, 7, v3
	v_lshrrev_b16 v17, 3, v3
	v_lshlrev_b32_e32 v19, 24, v3
	s_delay_alu instid0(VALU_DEP_3) | instskip(NEXT) | instid1(VALU_DEP_1)
	v_clz_i32_u32_e32 v16, v5
	v_min_u32_e32 v16, 32, v16
	s_delay_alu instid0(VALU_DEP_4) | instskip(NEXT) | instid1(VALU_DEP_2)
	v_and_b32_e32 v17, 15, v17
	v_subrev_nc_u32_e32 v18, 28, v16
	v_sub_nc_u32_e32 v16, 29, v16
	s_delay_alu instid0(VALU_DEP_3) | instskip(NEXT) | instid1(VALU_DEP_3)
	v_cmp_eq_u32_e32 vcc_lo, 0, v17
	v_lshlrev_b32_e32 v18, v18, v3
	s_delay_alu instid0(VALU_DEP_1) | instskip(NEXT) | instid1(VALU_DEP_1)
	v_and_b32_e32 v18, 7, v18
	v_cndmask_b32_e32 v5, v5, v18, vcc_lo
	v_cndmask_b32_e32 v16, v17, v16, vcc_lo
	v_and_b32_e32 v17, 0x80000000, v19
	s_delay_alu instid0(VALU_DEP_3) | instskip(NEXT) | instid1(VALU_DEP_3)
	v_lshlrev_b32_e32 v5, 20, v5
	v_lshl_add_u32 v16, v16, 23, 0x3b800000
	s_delay_alu instid0(VALU_DEP_1)
	v_or3_b32 v5, v17, v16, v5
.LBB304_564:
	s_or_b32 exec_lo, exec_lo, s9
	s_delay_alu instid0(VALU_DEP_1)
	v_cmp_neq_f32_e64 s7, s7, v5
.LBB304_565:
	s_wait_loadcnt 0x0
	global_load_u8 v3, v7, s[2:3]
	s_and_b32 vcc_lo, exec_lo, s6
	s_cbranch_vccz .LBB304_704
.LBB304_566:
	s_and_b32 s9, s5, 0xff
	s_delay_alu instid0(SALU_CYCLE_1)
	s_cmp_lt_i32 s9, 0x80
	s_cbranch_scc1 .LBB304_574
; %bb.567:
	s_and_b32 s8, 0xffff, s9
	s_mov_b32 s10, -1
	s_cmp_eq_u32 s8, 0x80
	s_cbranch_scc0 .LBB304_569
; %bb.568:
	s_mov_b32 s10, 0
.LBB304_569:
	s_mov_b32 s8, 0x7f800001
	s_branch .LBB304_576
.LBB304_570:
	s_mov_b32 s8, -1
	s_mov_b32 s10, exec_lo
	v_cmpx_eq_u16_e32 0x80, v16
; %bb.571:
	s_xor_b32 s8, exec_lo, -1
; %bb.572:
	s_or_b32 exec_lo, exec_lo, s10
	s_delay_alu instid0(SALU_CYCLE_1)
	s_and_b32 s8, s8, exec_lo
                                        ; implicit-def: $vgpr16
	s_or_saveexec_b32 s9, s9
	v_mov_b32_e32 v5, 0x7f800001
	s_xor_b32 exec_lo, exec_lo, s9
	s_cbranch_execz .LBB304_562
.LBB304_573:
	v_cmp_ne_u16_e32 vcc_lo, 0, v16
	v_mov_b32_e32 v5, 0
	s_and_not1_b32 s8, s8, exec_lo
	s_and_b32 s10, vcc_lo, exec_lo
	s_delay_alu instid0(SALU_CYCLE_1)
	s_or_b32 s8, s8, s10
	s_or_b32 exec_lo, exec_lo, s9
	s_and_saveexec_b32 s9, s8
	s_cbranch_execnz .LBB304_563
	s_branch .LBB304_564
.LBB304_574:
	s_mov_b32 s10, 0
	s_mov_b32 s8, 0x7f800001
	s_cbranch_execz .LBB304_576
; %bb.575:
	s_and_b32 s8, 0xffff, s9
	s_delay_alu instid0(SALU_CYCLE_1)
	s_cmp_lg_u32 s8, 0
	s_mov_b32 s8, 0
	s_cselect_b32 s10, -1, 0
.LBB304_576:
	s_delay_alu instid0(SALU_CYCLE_1)
	s_and_not1_b32 vcc_lo, exec_lo, s10
	s_cbranch_vccnz .LBB304_578
; %bb.577:
	s_and_b32 s8, s5, 7
	s_bfe_u32 s12, s5, 0x40003
	s_clz_i32_u32 s9, s8
	s_lshl_b32 s10, s5, 24
	s_min_u32 s9, s9, 32
	s_delay_alu instid0(SALU_CYCLE_1) | instskip(SKIP_2) | instid1(SALU_CYCLE_1)
	s_sub_co_i32 s11, s9, 28
	s_sub_co_i32 s9, 29, s9
	s_lshl_b32 s11, s5, s11
	s_and_b32 s11, s11, 7
	s_cmp_eq_u32 s12, 0
	s_cselect_b32 s9, s9, s12
	s_cselect_b32 s8, s11, s8
	s_lshl_b32 s9, s9, 23
	s_and_b32 s10, s10, 0x80000000
	s_add_co_i32 s9, s9, 0x3b800000
	s_lshl_b32 s8, s8, 20
	s_or_b32 s9, s10, s9
	s_delay_alu instid0(SALU_CYCLE_1)
	s_or_b32 s8, s9, s8
.LBB304_578:
	s_wait_loadcnt 0x0
	v_and_b32_e32 v7, 0xff, v3
	s_mov_b32 s9, 0
	s_mov_b32 s10, exec_lo
	s_delay_alu instid0(VALU_DEP_1)
	v_cmpx_lt_i16_e32 0x7f, v7
	s_xor_b32 s10, exec_lo, s10
	s_cbranch_execnz .LBB304_588
; %bb.579:
	s_or_saveexec_b32 s10, s10
	v_mov_b32_e32 v5, 0x7f800001
	s_xor_b32 exec_lo, exec_lo, s10
	s_cbranch_execnz .LBB304_591
.LBB304_580:
	s_or_b32 exec_lo, exec_lo, s10
	s_and_saveexec_b32 s10, s9
	s_cbranch_execz .LBB304_582
.LBB304_581:
	v_and_b32_e32 v5, 7, v3
	v_lshrrev_b16 v16, 3, v3
	v_lshlrev_b32_e32 v18, 24, v3
	s_delay_alu instid0(VALU_DEP_3) | instskip(NEXT) | instid1(VALU_DEP_1)
	v_clz_i32_u32_e32 v7, v5
	v_min_u32_e32 v7, 32, v7
	s_delay_alu instid0(VALU_DEP_4) | instskip(NEXT) | instid1(VALU_DEP_2)
	v_and_b32_e32 v16, 15, v16
	v_subrev_nc_u32_e32 v17, 28, v7
	v_sub_nc_u32_e32 v7, 29, v7
	s_delay_alu instid0(VALU_DEP_3) | instskip(NEXT) | instid1(VALU_DEP_3)
	v_cmp_eq_u32_e32 vcc_lo, 0, v16
	v_lshlrev_b32_e32 v17, v17, v3
	s_delay_alu instid0(VALU_DEP_1) | instskip(SKIP_1) | instid1(VALU_DEP_2)
	v_dual_cndmask_b32 v7, v16, v7, vcc_lo :: v_dual_bitop2_b32 v17, 7, v17 bitop3:0x40
	v_and_b32_e32 v16, 0x80000000, v18
	v_cndmask_b32_e32 v5, v5, v17, vcc_lo
	s_delay_alu instid0(VALU_DEP_3) | instskip(NEXT) | instid1(VALU_DEP_2)
	v_lshl_add_u32 v7, v7, 23, 0x3b800000
	v_lshlrev_b32_e32 v5, 20, v5
	s_delay_alu instid0(VALU_DEP_1)
	v_or3_b32 v5, v16, v7, v5
.LBB304_582:
	s_or_b32 exec_lo, exec_lo, s10
	s_delay_alu instid0(VALU_DEP_1)
	v_cmp_neq_f32_e64 s8, s8, v5
.LBB304_583:
	s_wait_loadcnt 0x0
	global_load_u8 v3, v9, s[2:3]
	s_and_b32 vcc_lo, exec_lo, s6
	s_cbranch_vccz .LBB304_722
.LBB304_584:
	s_and_b32 s10, s5, 0xff
	s_delay_alu instid0(SALU_CYCLE_1)
	s_cmp_lt_i32 s10, 0x80
	s_cbranch_scc1 .LBB304_592
; %bb.585:
	s_and_b32 s9, 0xffff, s10
	s_mov_b32 s11, -1
	s_cmp_eq_u32 s9, 0x80
	s_cbranch_scc0 .LBB304_587
; %bb.586:
	s_mov_b32 s11, 0
.LBB304_587:
	s_mov_b32 s9, 0x7f800001
	s_branch .LBB304_594
.LBB304_588:
	s_mov_b32 s9, -1
	s_mov_b32 s11, exec_lo
	v_cmpx_eq_u16_e32 0x80, v7
; %bb.589:
	s_xor_b32 s9, exec_lo, -1
; %bb.590:
	s_or_b32 exec_lo, exec_lo, s11
	s_delay_alu instid0(SALU_CYCLE_1)
	s_and_b32 s9, s9, exec_lo
                                        ; implicit-def: $vgpr7
	s_or_saveexec_b32 s10, s10
	v_mov_b32_e32 v5, 0x7f800001
	s_xor_b32 exec_lo, exec_lo, s10
	s_cbranch_execz .LBB304_580
.LBB304_591:
	v_cmp_ne_u16_e32 vcc_lo, 0, v7
	v_mov_b32_e32 v5, 0
	s_and_not1_b32 s9, s9, exec_lo
	s_and_b32 s11, vcc_lo, exec_lo
	s_delay_alu instid0(SALU_CYCLE_1)
	s_or_b32 s9, s9, s11
	s_or_b32 exec_lo, exec_lo, s10
	s_and_saveexec_b32 s10, s9
	s_cbranch_execnz .LBB304_581
	s_branch .LBB304_582
.LBB304_592:
	s_mov_b32 s11, 0
	s_mov_b32 s9, 0x7f800001
	s_cbranch_execz .LBB304_594
; %bb.593:
	s_and_b32 s9, 0xffff, s10
	s_delay_alu instid0(SALU_CYCLE_1)
	s_cmp_lg_u32 s9, 0
	s_mov_b32 s9, 0
	s_cselect_b32 s11, -1, 0
.LBB304_594:
	s_delay_alu instid0(SALU_CYCLE_1)
	s_and_not1_b32 vcc_lo, exec_lo, s11
	s_cbranch_vccnz .LBB304_596
; %bb.595:
	s_and_b32 s9, s5, 7
	s_bfe_u32 s13, s5, 0x40003
	s_clz_i32_u32 s10, s9
	s_lshl_b32 s11, s5, 24
	s_min_u32 s10, s10, 32
	s_delay_alu instid0(SALU_CYCLE_1) | instskip(SKIP_2) | instid1(SALU_CYCLE_1)
	s_sub_co_i32 s12, s10, 28
	s_sub_co_i32 s10, 29, s10
	s_lshl_b32 s12, s5, s12
	s_and_b32 s12, s12, 7
	s_cmp_eq_u32 s13, 0
	s_cselect_b32 s10, s10, s13
	s_cselect_b32 s9, s12, s9
	s_lshl_b32 s10, s10, 23
	s_and_b32 s11, s11, 0x80000000
	s_add_co_i32 s10, s10, 0x3b800000
	s_lshl_b32 s9, s9, 20
	s_or_b32 s10, s11, s10
	s_delay_alu instid0(SALU_CYCLE_1)
	s_or_b32 s9, s10, s9
.LBB304_596:
	s_wait_loadcnt 0x0
	s_wait_xcnt 0x1
	v_and_b32_e32 v7, 0xff, v3
	s_mov_b32 s10, 0
	s_mov_b32 s11, exec_lo
	s_wait_xcnt 0x0
	s_delay_alu instid0(VALU_DEP_1)
	v_cmpx_lt_i16_e32 0x7f, v7
	s_xor_b32 s11, exec_lo, s11
	s_cbranch_execnz .LBB304_606
; %bb.597:
	s_or_saveexec_b32 s11, s11
	v_mov_b32_e32 v5, 0x7f800001
	s_xor_b32 exec_lo, exec_lo, s11
	s_cbranch_execnz .LBB304_609
.LBB304_598:
	s_or_b32 exec_lo, exec_lo, s11
	s_and_saveexec_b32 s11, s10
	s_cbranch_execz .LBB304_600
.LBB304_599:
	v_and_b32_e32 v5, 7, v3
	v_lshrrev_b16 v9, 3, v3
	v_lshlrev_b32_e32 v17, 24, v3
	s_delay_alu instid0(VALU_DEP_3) | instskip(NEXT) | instid1(VALU_DEP_1)
	v_clz_i32_u32_e32 v7, v5
	v_min_u32_e32 v7, 32, v7
	s_delay_alu instid0(VALU_DEP_4) | instskip(NEXT) | instid1(VALU_DEP_2)
	v_and_b32_e32 v9, 15, v9
	v_subrev_nc_u32_e32 v16, 28, v7
	v_sub_nc_u32_e32 v7, 29, v7
	s_delay_alu instid0(VALU_DEP_3) | instskip(NEXT) | instid1(VALU_DEP_3)
	v_cmp_eq_u32_e32 vcc_lo, 0, v9
	v_lshlrev_b32_e32 v16, v16, v3
	s_delay_alu instid0(VALU_DEP_1) | instskip(NEXT) | instid1(VALU_DEP_1)
	v_and_b32_e32 v16, 7, v16
	v_cndmask_b32_e32 v5, v5, v16, vcc_lo
	v_cndmask_b32_e32 v7, v9, v7, vcc_lo
	v_and_b32_e32 v9, 0x80000000, v17
	s_delay_alu instid0(VALU_DEP_3) | instskip(NEXT) | instid1(VALU_DEP_3)
	v_lshlrev_b32_e32 v5, 20, v5
	v_lshl_add_u32 v7, v7, 23, 0x3b800000
	s_delay_alu instid0(VALU_DEP_1)
	v_or3_b32 v5, v9, v7, v5
.LBB304_600:
	s_or_b32 exec_lo, exec_lo, s11
	s_delay_alu instid0(VALU_DEP_1)
	v_cmp_neq_f32_e64 s9, s9, v5
.LBB304_601:
	s_wait_loadcnt 0x0
	global_load_u8 v3, v11, s[2:3]
	s_and_b32 vcc_lo, exec_lo, s6
	s_cbranch_vccz .LBB304_740
.LBB304_602:
	s_and_b32 s11, s5, 0xff
	s_delay_alu instid0(SALU_CYCLE_1)
	s_cmp_lt_i32 s11, 0x80
	s_cbranch_scc1 .LBB304_610
; %bb.603:
	s_and_b32 s10, 0xffff, s11
	s_mov_b32 s12, -1
	s_cmp_eq_u32 s10, 0x80
	s_cbranch_scc0 .LBB304_605
; %bb.604:
	s_mov_b32 s12, 0
.LBB304_605:
	s_mov_b32 s10, 0x7f800001
	s_branch .LBB304_612
.LBB304_606:
	s_mov_b32 s10, -1
	s_mov_b32 s12, exec_lo
	v_cmpx_eq_u16_e32 0x80, v7
; %bb.607:
	s_xor_b32 s10, exec_lo, -1
; %bb.608:
	s_or_b32 exec_lo, exec_lo, s12
	s_delay_alu instid0(SALU_CYCLE_1)
	s_and_b32 s10, s10, exec_lo
                                        ; implicit-def: $vgpr7
	s_or_saveexec_b32 s11, s11
	v_mov_b32_e32 v5, 0x7f800001
	s_xor_b32 exec_lo, exec_lo, s11
	s_cbranch_execz .LBB304_598
.LBB304_609:
	v_cmp_ne_u16_e32 vcc_lo, 0, v7
	v_mov_b32_e32 v5, 0
	s_and_not1_b32 s10, s10, exec_lo
	s_and_b32 s12, vcc_lo, exec_lo
	s_delay_alu instid0(SALU_CYCLE_1)
	s_or_b32 s10, s10, s12
	s_or_b32 exec_lo, exec_lo, s11
	s_and_saveexec_b32 s11, s10
	s_cbranch_execnz .LBB304_599
	s_branch .LBB304_600
.LBB304_610:
	s_mov_b32 s12, 0
	s_mov_b32 s10, 0x7f800001
	s_cbranch_execz .LBB304_612
; %bb.611:
	s_and_b32 s10, 0xffff, s11
	s_delay_alu instid0(SALU_CYCLE_1)
	s_cmp_lg_u32 s10, 0
	s_mov_b32 s10, 0
	s_cselect_b32 s12, -1, 0
.LBB304_612:
	s_delay_alu instid0(SALU_CYCLE_1)
	s_and_not1_b32 vcc_lo, exec_lo, s12
	s_cbranch_vccnz .LBB304_614
; %bb.613:
	s_and_b32 s10, s5, 7
	s_bfe_u32 s14, s5, 0x40003
	s_clz_i32_u32 s11, s10
	s_lshl_b32 s12, s5, 24
	s_min_u32 s11, s11, 32
	s_delay_alu instid0(SALU_CYCLE_1) | instskip(SKIP_2) | instid1(SALU_CYCLE_1)
	s_sub_co_i32 s13, s11, 28
	s_sub_co_i32 s11, 29, s11
	s_lshl_b32 s13, s5, s13
	s_and_b32 s13, s13, 7
	s_cmp_eq_u32 s14, 0
	s_cselect_b32 s11, s11, s14
	s_cselect_b32 s10, s13, s10
	s_lshl_b32 s11, s11, 23
	s_and_b32 s12, s12, 0x80000000
	s_add_co_i32 s11, s11, 0x3b800000
	s_lshl_b32 s10, s10, 20
	s_or_b32 s11, s12, s11
	s_delay_alu instid0(SALU_CYCLE_1)
	s_or_b32 s10, s11, s10
.LBB304_614:
	s_wait_loadcnt 0x0
	s_wait_xcnt 0x2
	v_and_b32_e32 v7, 0xff, v3
	s_mov_b32 s11, 0
	s_mov_b32 s12, exec_lo
	s_wait_xcnt 0x0
	s_delay_alu instid0(VALU_DEP_1)
	v_cmpx_lt_i16_e32 0x7f, v7
	s_xor_b32 s12, exec_lo, s12
	s_cbranch_execnz .LBB304_624
; %bb.615:
	s_or_saveexec_b32 s12, s12
	v_mov_b32_e32 v5, 0x7f800001
	s_xor_b32 exec_lo, exec_lo, s12
	s_cbranch_execnz .LBB304_627
.LBB304_616:
	s_or_b32 exec_lo, exec_lo, s12
	s_and_saveexec_b32 s12, s11
	s_cbranch_execz .LBB304_618
.LBB304_617:
	v_and_b32_e32 v5, 7, v3
	v_lshrrev_b16 v9, 3, v3
	v_lshlrev_b32_e32 v16, 24, v3
	s_delay_alu instid0(VALU_DEP_3) | instskip(NEXT) | instid1(VALU_DEP_1)
	v_clz_i32_u32_e32 v7, v5
	v_min_u32_e32 v7, 32, v7
	s_delay_alu instid0(VALU_DEP_4) | instskip(NEXT) | instid1(VALU_DEP_2)
	v_and_b32_e32 v9, 15, v9
	v_subrev_nc_u32_e32 v11, 28, v7
	v_sub_nc_u32_e32 v7, 29, v7
	s_delay_alu instid0(VALU_DEP_3) | instskip(NEXT) | instid1(VALU_DEP_3)
	v_cmp_eq_u32_e32 vcc_lo, 0, v9
	v_lshlrev_b32_e32 v11, v11, v3
	s_delay_alu instid0(VALU_DEP_3) | instskip(SKIP_1) | instid1(VALU_DEP_3)
	v_cndmask_b32_e32 v7, v9, v7, vcc_lo
	v_and_b32_e32 v9, 0x80000000, v16
	v_and_b32_e32 v11, 7, v11
	s_delay_alu instid0(VALU_DEP_3) | instskip(NEXT) | instid1(VALU_DEP_2)
	v_lshl_add_u32 v7, v7, 23, 0x3b800000
	v_cndmask_b32_e32 v5, v5, v11, vcc_lo
	s_delay_alu instid0(VALU_DEP_1) | instskip(NEXT) | instid1(VALU_DEP_1)
	v_lshlrev_b32_e32 v5, 20, v5
	v_or3_b32 v5, v9, v7, v5
.LBB304_618:
	s_or_b32 exec_lo, exec_lo, s12
	s_delay_alu instid0(VALU_DEP_1)
	v_cmp_neq_f32_e64 s10, s10, v5
.LBB304_619:
	s_wait_loadcnt 0x0
	global_load_u8 v3, v13, s[2:3]
	s_and_b32 vcc_lo, exec_lo, s6
	s_cbranch_vccz .LBB304_758
.LBB304_620:
	s_and_b32 s12, s5, 0xff
	s_delay_alu instid0(SALU_CYCLE_1)
	s_cmp_lt_i32 s12, 0x80
	s_cbranch_scc1 .LBB304_628
; %bb.621:
	s_and_b32 s11, 0xffff, s12
	s_mov_b32 s13, -1
	s_cmp_eq_u32 s11, 0x80
	s_cbranch_scc0 .LBB304_623
; %bb.622:
	s_mov_b32 s13, 0
.LBB304_623:
	s_mov_b32 s11, 0x7f800001
	s_branch .LBB304_630
.LBB304_624:
	s_mov_b32 s11, -1
	s_mov_b32 s13, exec_lo
	v_cmpx_eq_u16_e32 0x80, v7
; %bb.625:
	s_xor_b32 s11, exec_lo, -1
; %bb.626:
	s_or_b32 exec_lo, exec_lo, s13
	s_delay_alu instid0(SALU_CYCLE_1)
	s_and_b32 s11, s11, exec_lo
                                        ; implicit-def: $vgpr7
	s_or_saveexec_b32 s12, s12
	v_mov_b32_e32 v5, 0x7f800001
	s_xor_b32 exec_lo, exec_lo, s12
	s_cbranch_execz .LBB304_616
.LBB304_627:
	v_cmp_ne_u16_e32 vcc_lo, 0, v7
	v_mov_b32_e32 v5, 0
	s_and_not1_b32 s11, s11, exec_lo
	s_and_b32 s13, vcc_lo, exec_lo
	s_delay_alu instid0(SALU_CYCLE_1)
	s_or_b32 s11, s11, s13
	s_or_b32 exec_lo, exec_lo, s12
	s_and_saveexec_b32 s12, s11
	s_cbranch_execnz .LBB304_617
	s_branch .LBB304_618
.LBB304_628:
	s_mov_b32 s13, 0
	s_mov_b32 s11, 0x7f800001
	s_cbranch_execz .LBB304_630
; %bb.629:
	s_and_b32 s11, 0xffff, s12
	s_delay_alu instid0(SALU_CYCLE_1)
	s_cmp_lg_u32 s11, 0
	s_mov_b32 s11, 0
	s_cselect_b32 s13, -1, 0
.LBB304_630:
	s_delay_alu instid0(SALU_CYCLE_1)
	s_and_not1_b32 vcc_lo, exec_lo, s13
	s_cbranch_vccnz .LBB304_632
; %bb.631:
	s_and_b32 s11, s5, 7
	s_bfe_u32 s15, s5, 0x40003
	s_clz_i32_u32 s12, s11
	s_lshl_b32 s13, s5, 24
	s_min_u32 s12, s12, 32
	s_delay_alu instid0(SALU_CYCLE_1) | instskip(SKIP_2) | instid1(SALU_CYCLE_1)
	s_sub_co_i32 s14, s12, 28
	s_sub_co_i32 s12, 29, s12
	s_lshl_b32 s14, s5, s14
	s_and_b32 s14, s14, 7
	s_cmp_eq_u32 s15, 0
	s_cselect_b32 s12, s12, s15
	s_cselect_b32 s11, s14, s11
	s_lshl_b32 s12, s12, 23
	s_and_b32 s13, s13, 0x80000000
	s_add_co_i32 s12, s12, 0x3b800000
	s_lshl_b32 s11, s11, 20
	s_or_b32 s12, s13, s12
	s_delay_alu instid0(SALU_CYCLE_1)
	s_or_b32 s11, s12, s11
.LBB304_632:
	s_wait_loadcnt 0x0
	s_wait_xcnt 0x3
	v_and_b32_e32 v7, 0xff, v3
	s_mov_b32 s12, 0
	s_mov_b32 s13, exec_lo
	s_wait_xcnt 0x0
	s_delay_alu instid0(VALU_DEP_1)
	v_cmpx_lt_i16_e32 0x7f, v7
	s_xor_b32 s13, exec_lo, s13
	s_cbranch_execnz .LBB304_642
; %bb.633:
	s_or_saveexec_b32 s13, s13
	v_mov_b32_e32 v5, 0x7f800001
	s_xor_b32 exec_lo, exec_lo, s13
	s_cbranch_execnz .LBB304_645
.LBB304_634:
	s_or_b32 exec_lo, exec_lo, s13
	s_and_saveexec_b32 s13, s12
	s_cbranch_execz .LBB304_636
.LBB304_635:
	v_and_b32_e32 v5, 7, v3
	v_lshrrev_b16 v9, 3, v3
	v_lshlrev_b32_e32 v13, 24, v3
	s_delay_alu instid0(VALU_DEP_3) | instskip(NEXT) | instid1(VALU_DEP_1)
	v_clz_i32_u32_e32 v7, v5
	v_min_u32_e32 v7, 32, v7
	s_delay_alu instid0(VALU_DEP_4) | instskip(NEXT) | instid1(VALU_DEP_2)
	v_and_b32_e32 v9, 15, v9
	v_subrev_nc_u32_e32 v11, 28, v7
	v_sub_nc_u32_e32 v7, 29, v7
	s_delay_alu instid0(VALU_DEP_3) | instskip(NEXT) | instid1(VALU_DEP_3)
	v_cmp_eq_u32_e32 vcc_lo, 0, v9
	v_lshlrev_b32_e32 v11, v11, v3
	s_delay_alu instid0(VALU_DEP_3) | instskip(SKIP_1) | instid1(VALU_DEP_3)
	v_cndmask_b32_e32 v7, v9, v7, vcc_lo
	v_and_b32_e32 v9, 0x80000000, v13
	v_and_b32_e32 v11, 7, v11
	s_delay_alu instid0(VALU_DEP_3) | instskip(NEXT) | instid1(VALU_DEP_2)
	v_lshl_add_u32 v7, v7, 23, 0x3b800000
	v_cndmask_b32_e32 v5, v5, v11, vcc_lo
	s_delay_alu instid0(VALU_DEP_1) | instskip(NEXT) | instid1(VALU_DEP_1)
	v_lshlrev_b32_e32 v5, 20, v5
	v_or3_b32 v5, v9, v7, v5
.LBB304_636:
	s_or_b32 exec_lo, exec_lo, s13
	s_delay_alu instid0(VALU_DEP_1)
	v_cmp_neq_f32_e64 s11, s11, v5
.LBB304_637:
	global_load_u8 v1, v1, s[2:3]
	s_and_b32 vcc_lo, exec_lo, s6
	s_cbranch_vccz .LBB304_776
.LBB304_638:
	s_and_b32 s13, s5, 0xff
	s_delay_alu instid0(SALU_CYCLE_1)
	s_cmp_lt_i32 s13, 0x80
	s_cbranch_scc1 .LBB304_646
; %bb.639:
	s_and_b32 s12, 0xffff, s13
	s_mov_b32 s14, -1
	s_cmp_eq_u32 s12, 0x80
	s_cbranch_scc0 .LBB304_641
; %bb.640:
	s_mov_b32 s14, 0
.LBB304_641:
	s_mov_b32 s12, 0x7f800001
	s_branch .LBB304_648
.LBB304_642:
	s_mov_b32 s12, -1
	s_mov_b32 s14, exec_lo
	v_cmpx_eq_u16_e32 0x80, v7
; %bb.643:
	s_xor_b32 s12, exec_lo, -1
; %bb.644:
	s_or_b32 exec_lo, exec_lo, s14
	s_delay_alu instid0(SALU_CYCLE_1)
	s_and_b32 s12, s12, exec_lo
                                        ; implicit-def: $vgpr7
	s_or_saveexec_b32 s13, s13
	v_mov_b32_e32 v5, 0x7f800001
	s_xor_b32 exec_lo, exec_lo, s13
	s_cbranch_execz .LBB304_634
.LBB304_645:
	v_cmp_ne_u16_e32 vcc_lo, 0, v7
	v_mov_b32_e32 v5, 0
	s_and_not1_b32 s12, s12, exec_lo
	s_and_b32 s14, vcc_lo, exec_lo
	s_delay_alu instid0(SALU_CYCLE_1)
	s_or_b32 s12, s12, s14
	s_or_b32 exec_lo, exec_lo, s13
	s_and_saveexec_b32 s13, s12
	s_cbranch_execnz .LBB304_635
	s_branch .LBB304_636
.LBB304_646:
	s_mov_b32 s14, 0
	s_mov_b32 s12, 0x7f800001
	s_cbranch_execz .LBB304_648
; %bb.647:
	s_and_b32 s12, 0xffff, s13
	s_delay_alu instid0(SALU_CYCLE_1)
	s_cmp_lg_u32 s12, 0
	s_mov_b32 s12, 0
	s_cselect_b32 s14, -1, 0
.LBB304_648:
	s_delay_alu instid0(SALU_CYCLE_1)
	s_and_not1_b32 vcc_lo, exec_lo, s14
	s_cbranch_vccnz .LBB304_650
; %bb.649:
	s_and_b32 s12, s5, 7
	s_bfe_u32 s16, s5, 0x40003
	s_clz_i32_u32 s13, s12
	s_lshl_b32 s14, s5, 24
	s_min_u32 s13, s13, 32
	s_delay_alu instid0(SALU_CYCLE_1) | instskip(SKIP_2) | instid1(SALU_CYCLE_1)
	s_sub_co_i32 s15, s13, 28
	s_sub_co_i32 s13, 29, s13
	s_lshl_b32 s15, s5, s15
	s_and_b32 s15, s15, 7
	s_cmp_eq_u32 s16, 0
	s_cselect_b32 s13, s13, s16
	s_cselect_b32 s12, s15, s12
	s_lshl_b32 s13, s13, 23
	s_and_b32 s14, s14, 0x80000000
	s_add_co_i32 s13, s13, 0x3b800000
	s_lshl_b32 s12, s12, 20
	s_or_b32 s13, s14, s13
	s_delay_alu instid0(SALU_CYCLE_1)
	s_or_b32 s12, s13, s12
.LBB304_650:
	s_wait_loadcnt 0x0
	s_wait_xcnt 0x5
	v_and_b32_e32 v5, 0xff, v1
	s_mov_b32 s13, 0
	s_mov_b32 s14, exec_lo
	s_wait_xcnt 0x0
	s_delay_alu instid0(VALU_DEP_1)
	v_cmpx_lt_i16_e32 0x7f, v5
	s_xor_b32 s14, exec_lo, s14
	s_cbranch_execnz .LBB304_660
; %bb.651:
	s_or_saveexec_b32 s14, s14
	v_mov_b32_e32 v3, 0x7f800001
	s_xor_b32 exec_lo, exec_lo, s14
	s_cbranch_execnz .LBB304_663
.LBB304_652:
	s_or_b32 exec_lo, exec_lo, s14
	s_and_saveexec_b32 s14, s13
	s_cbranch_execz .LBB304_654
.LBB304_653:
	v_and_b32_e32 v3, 7, v1
	v_lshrrev_b16 v7, 3, v1
	v_lshlrev_b32_e32 v11, 24, v1
	s_delay_alu instid0(VALU_DEP_3) | instskip(NEXT) | instid1(VALU_DEP_1)
	v_clz_i32_u32_e32 v5, v3
	v_min_u32_e32 v5, 32, v5
	s_delay_alu instid0(VALU_DEP_4) | instskip(NEXT) | instid1(VALU_DEP_2)
	v_and_b32_e32 v7, 15, v7
	v_subrev_nc_u32_e32 v9, 28, v5
	v_sub_nc_u32_e32 v5, 29, v5
	s_delay_alu instid0(VALU_DEP_3) | instskip(NEXT) | instid1(VALU_DEP_3)
	v_cmp_eq_u32_e32 vcc_lo, 0, v7
	v_lshlrev_b32_e32 v9, v9, v1
	s_delay_alu instid0(VALU_DEP_3) | instskip(SKIP_1) | instid1(VALU_DEP_3)
	v_cndmask_b32_e32 v5, v7, v5, vcc_lo
	v_and_b32_e32 v7, 0x80000000, v11
	v_and_b32_e32 v9, 7, v9
	s_delay_alu instid0(VALU_DEP_3) | instskip(NEXT) | instid1(VALU_DEP_2)
	v_lshl_add_u32 v5, v5, 23, 0x3b800000
	v_cndmask_b32_e32 v3, v3, v9, vcc_lo
	s_delay_alu instid0(VALU_DEP_1) | instskip(NEXT) | instid1(VALU_DEP_1)
	v_lshlrev_b32_e32 v3, 20, v3
	v_or3_b32 v3, v7, v5, v3
.LBB304_654:
	s_or_b32 exec_lo, exec_lo, s14
	s_delay_alu instid0(VALU_DEP_1)
	v_cmp_neq_f32_e64 s12, s12, v3
.LBB304_655:
	s_wait_loadcnt 0x0
	global_load_u8 v1, v15, s[2:3]
	s_and_b32 vcc_lo, exec_lo, s6
	s_cbranch_vccz .LBB304_794
.LBB304_656:
	s_wait_xcnt 0x0
	s_and_b32 s3, s5, 0xff
	s_delay_alu instid0(SALU_CYCLE_1)
	s_cmp_lt_i32 s3, 0x80
	s_cbranch_scc1 .LBB304_664
; %bb.657:
	s_and_b32 s2, 0xffff, s3
	s_mov_b32 s6, -1
	s_cmp_eq_u32 s2, 0x80
	s_cbranch_scc0 .LBB304_659
; %bb.658:
	s_mov_b32 s6, 0
.LBB304_659:
	s_mov_b32 s2, 0x7f800001
	s_branch .LBB304_666
.LBB304_660:
	s_mov_b32 s13, -1
	s_mov_b32 s15, exec_lo
	v_cmpx_eq_u16_e32 0x80, v5
; %bb.661:
	s_xor_b32 s13, exec_lo, -1
; %bb.662:
	s_or_b32 exec_lo, exec_lo, s15
	s_delay_alu instid0(SALU_CYCLE_1)
	s_and_b32 s13, s13, exec_lo
                                        ; implicit-def: $vgpr5
	s_or_saveexec_b32 s14, s14
	v_mov_b32_e32 v3, 0x7f800001
	s_xor_b32 exec_lo, exec_lo, s14
	s_cbranch_execz .LBB304_652
.LBB304_663:
	v_cmp_ne_u16_e32 vcc_lo, 0, v5
	v_mov_b32_e32 v3, 0
	s_and_not1_b32 s13, s13, exec_lo
	s_and_b32 s15, vcc_lo, exec_lo
	s_delay_alu instid0(SALU_CYCLE_1)
	s_or_b32 s13, s13, s15
	s_or_b32 exec_lo, exec_lo, s14
	s_and_saveexec_b32 s14, s13
	s_cbranch_execnz .LBB304_653
	s_branch .LBB304_654
.LBB304_664:
	s_mov_b32 s6, 0
	s_mov_b32 s2, 0x7f800001
	s_cbranch_execz .LBB304_666
; %bb.665:
	s_and_b32 s2, 0xffff, s3
	s_delay_alu instid0(SALU_CYCLE_1)
	s_cmp_lg_u32 s2, 0
	s_mov_b32 s2, 0
	s_cselect_b32 s6, -1, 0
.LBB304_666:
	s_delay_alu instid0(SALU_CYCLE_1)
	s_and_not1_b32 vcc_lo, exec_lo, s6
	s_cbranch_vccnz .LBB304_668
; %bb.667:
	s_and_b32 s2, s5, 7
	s_bfe_u32 s14, s5, 0x40003
	s_clz_i32_u32 s3, s2
	s_lshl_b32 s6, s5, 24
	s_min_u32 s3, s3, 32
	s_delay_alu instid0(SALU_CYCLE_1) | instskip(SKIP_2) | instid1(SALU_CYCLE_1)
	s_sub_co_i32 s13, s3, 28
	s_sub_co_i32 s3, 29, s3
	s_lshl_b32 s13, s5, s13
	s_and_b32 s13, s13, 7
	s_cmp_eq_u32 s14, 0
	s_cselect_b32 s3, s3, s14
	s_cselect_b32 s2, s13, s2
	s_lshl_b32 s3, s3, 23
	s_and_b32 s6, s6, 0x80000000
	s_add_co_i32 s3, s3, 0x3b800000
	s_lshl_b32 s2, s2, 20
	s_or_b32 s3, s6, s3
	s_delay_alu instid0(SALU_CYCLE_1)
	s_or_b32 s2, s3, s2
.LBB304_668:
	s_wait_loadcnt 0x0
	v_and_b32_e32 v5, 0xff, v1
	s_mov_b32 s3, 0
	s_mov_b32 s6, exec_lo
	s_delay_alu instid0(VALU_DEP_1)
	v_cmpx_lt_i16_e32 0x7f, v5
	s_xor_b32 s6, exec_lo, s6
	s_cbranch_execnz .LBB304_673
; %bb.669:
	s_or_saveexec_b32 s6, s6
	v_mov_b32_e32 v3, 0x7f800001
	s_xor_b32 exec_lo, exec_lo, s6
	s_cbranch_execnz .LBB304_676
.LBB304_670:
	s_or_b32 exec_lo, exec_lo, s6
	s_and_saveexec_b32 s6, s3
	s_cbranch_execz .LBB304_672
.LBB304_671:
	v_and_b32_e32 v3, 7, v1
	v_lshrrev_b16 v7, 3, v1
	v_lshlrev_b32_e32 v11, 24, v1
	s_delay_alu instid0(VALU_DEP_3) | instskip(NEXT) | instid1(VALU_DEP_1)
	v_clz_i32_u32_e32 v5, v3
	v_min_u32_e32 v5, 32, v5
	s_delay_alu instid0(VALU_DEP_4) | instskip(NEXT) | instid1(VALU_DEP_2)
	v_and_b32_e32 v7, 15, v7
	v_subrev_nc_u32_e32 v9, 28, v5
	v_sub_nc_u32_e32 v5, 29, v5
	s_delay_alu instid0(VALU_DEP_3) | instskip(NEXT) | instid1(VALU_DEP_3)
	v_cmp_eq_u32_e32 vcc_lo, 0, v7
	v_lshlrev_b32_e32 v9, v9, v1
	s_delay_alu instid0(VALU_DEP_3) | instskip(SKIP_1) | instid1(VALU_DEP_3)
	v_cndmask_b32_e32 v5, v7, v5, vcc_lo
	v_and_b32_e32 v7, 0x80000000, v11
	v_and_b32_e32 v9, 7, v9
	s_delay_alu instid0(VALU_DEP_3) | instskip(NEXT) | instid1(VALU_DEP_2)
	v_lshl_add_u32 v5, v5, 23, 0x3b800000
	v_cndmask_b32_e32 v3, v3, v9, vcc_lo
	s_delay_alu instid0(VALU_DEP_1) | instskip(NEXT) | instid1(VALU_DEP_1)
	v_lshlrev_b32_e32 v3, 20, v3
	v_or3_b32 v3, v7, v5, v3
.LBB304_672:
	s_or_b32 exec_lo, exec_lo, s6
	s_delay_alu instid0(VALU_DEP_1)
	v_cmp_neq_f32_e64 s2, s2, v3
	s_branch .LBB304_812
.LBB304_673:
	s_mov_b32 s3, -1
	s_mov_b32 s13, exec_lo
	v_cmpx_eq_u16_e32 0x80, v5
; %bb.674:
	s_xor_b32 s3, exec_lo, -1
; %bb.675:
	s_or_b32 exec_lo, exec_lo, s13
	s_delay_alu instid0(SALU_CYCLE_1)
	s_and_b32 s3, s3, exec_lo
                                        ; implicit-def: $vgpr5
	s_or_saveexec_b32 s6, s6
	v_mov_b32_e32 v3, 0x7f800001
	s_xor_b32 exec_lo, exec_lo, s6
	s_cbranch_execz .LBB304_670
.LBB304_676:
	v_cmp_ne_u16_e32 vcc_lo, 0, v5
	v_mov_b32_e32 v3, 0
	s_and_not1_b32 s3, s3, exec_lo
	s_and_b32 s13, vcc_lo, exec_lo
	s_delay_alu instid0(SALU_CYCLE_1)
	s_or_b32 s3, s3, s13
	s_or_b32 exec_lo, exec_lo, s6
	s_and_saveexec_b32 s6, s3
	s_cbranch_execnz .LBB304_671
	s_branch .LBB304_672
.LBB304_677:
	s_mov_b32 s8, 0
	s_mov_b32 s4, 0x7f800001
	s_cbranch_execz .LBB304_679
; %bb.678:
	s_and_b32 s4, 0xffff, s7
	s_delay_alu instid0(SALU_CYCLE_1)
	s_cmp_lg_u32 s4, 0
	s_mov_b32 s4, 0
	s_cselect_b32 s8, -1, 0
.LBB304_679:
	s_delay_alu instid0(SALU_CYCLE_1)
	s_and_not1_b32 vcc_lo, exec_lo, s8
	s_cbranch_vccnz .LBB304_681
; %bb.680:
	s_and_b32 s4, s5, 7
	s_bfe_u32 s10, s5, 0x40003
	s_clz_i32_u32 s7, s4
	s_lshl_b32 s8, s5, 24
	s_min_u32 s7, s7, 32
	s_delay_alu instid0(SALU_CYCLE_1) | instskip(SKIP_2) | instid1(SALU_CYCLE_1)
	s_sub_co_i32 s9, s7, 28
	s_sub_co_i32 s7, 29, s7
	s_lshl_b32 s9, s5, s9
	s_and_b32 s9, s9, 7
	s_cmp_eq_u32 s10, 0
	s_cselect_b32 s7, s7, s10
	s_cselect_b32 s4, s9, s4
	s_lshl_b32 s7, s7, 23
	s_and_b32 s8, s8, 0x80000000
	s_add_co_i32 s7, s7, 0x3b800000
	s_lshl_b32 s4, s4, 20
	s_or_b32 s7, s8, s7
	s_delay_alu instid0(SALU_CYCLE_1)
	s_or_b32 s4, s7, s4
.LBB304_681:
	s_wait_loadcnt 0x0
	v_and_b32_e32 v17, 0xff, v3
	s_mov_b32 s7, 0
	s_mov_b32 s8, exec_lo
	s_wait_xcnt 0x0
	s_delay_alu instid0(VALU_DEP_1)
	v_cmpx_lt_i16_e32 0x7f, v17
	s_xor_b32 s8, exec_lo, s8
	s_cbranch_execnz .LBB304_691
; %bb.682:
	s_or_saveexec_b32 s8, s8
	v_mov_b32_e32 v16, 0x7f800001
	s_xor_b32 exec_lo, exec_lo, s8
	s_cbranch_execnz .LBB304_694
.LBB304_683:
	s_or_b32 exec_lo, exec_lo, s8
	s_and_saveexec_b32 s8, s7
	s_cbranch_execz .LBB304_685
.LBB304_684:
	v_and_b32_e32 v16, 7, v3
	v_lshrrev_b16 v18, 3, v3
	s_delay_alu instid0(VALU_DEP_2) | instskip(NEXT) | instid1(VALU_DEP_1)
	v_clz_i32_u32_e32 v17, v16
	v_min_u32_e32 v17, 32, v17
	s_delay_alu instid0(VALU_DEP_3) | instskip(NEXT) | instid1(VALU_DEP_2)
	v_and_b32_e32 v18, 15, v18
	v_subrev_nc_u32_e32 v19, 28, v17
	v_sub_nc_u32_e32 v17, 29, v17
	s_delay_alu instid0(VALU_DEP_3) | instskip(NEXT) | instid1(VALU_DEP_2)
	v_cmp_eq_u32_e32 vcc_lo, 0, v18
	v_dual_lshlrev_b32 v19, v19, v3 :: v_dual_cndmask_b32 v17, v18, v17, vcc_lo
	s_delay_alu instid0(VALU_DEP_1) | instskip(NEXT) | instid1(VALU_DEP_2)
	v_and_b32_e32 v19, 7, v19
	v_lshl_add_u32 v17, v17, 23, 0x3b800000
	s_delay_alu instid0(VALU_DEP_2) | instskip(NEXT) | instid1(VALU_DEP_1)
	v_cndmask_b32_e32 v16, v16, v19, vcc_lo
	v_dual_lshlrev_b32 v3, 24, v3 :: v_dual_lshlrev_b32 v16, 20, v16
	s_delay_alu instid0(VALU_DEP_1) | instskip(NEXT) | instid1(VALU_DEP_1)
	v_and_b32_e32 v3, 0x80000000, v3
	v_or3_b32 v16, v3, v17, v16
.LBB304_685:
	s_or_b32 exec_lo, exec_lo, s8
	s_delay_alu instid0(VALU_DEP_1)
	v_cmp_eq_f32_e64 s4, s4, v16
	global_load_u8 v3, v5, s[2:3]
	s_and_b32 vcc_lo, exec_lo, s6
	s_cbranch_vccnz .LBB304_539
.LBB304_686:
                                        ; implicit-def: $sgpr7
	s_cbranch_execz .LBB304_565
; %bb.687:
	s_and_b32 s8, s5, 0xff
	s_delay_alu instid0(SALU_CYCLE_1)
	s_cmp_lt_i32 s8, 0x80
	s_cbranch_scc1 .LBB304_695
; %bb.688:
	s_and_b32 s7, 0xffff, s8
	s_mov_b32 s9, -1
	s_cmp_eq_u32 s7, 0x80
	s_cbranch_scc0 .LBB304_690
; %bb.689:
	s_mov_b32 s9, 0
.LBB304_690:
	s_mov_b32 s7, 0x7f800001
	s_branch .LBB304_697
.LBB304_691:
	s_mov_b32 s7, -1
	s_mov_b32 s9, exec_lo
	v_cmpx_eq_u16_e32 0x80, v17
; %bb.692:
	s_xor_b32 s7, exec_lo, -1
; %bb.693:
	s_or_b32 exec_lo, exec_lo, s9
	s_delay_alu instid0(SALU_CYCLE_1)
	s_and_b32 s7, s7, exec_lo
                                        ; implicit-def: $vgpr17
	s_or_saveexec_b32 s8, s8
	v_mov_b32_e32 v16, 0x7f800001
	s_xor_b32 exec_lo, exec_lo, s8
	s_cbranch_execz .LBB304_683
.LBB304_694:
	v_cmp_ne_u16_e32 vcc_lo, 0, v17
	v_mov_b32_e32 v16, 0
	s_and_not1_b32 s7, s7, exec_lo
	s_and_b32 s9, vcc_lo, exec_lo
	s_delay_alu instid0(SALU_CYCLE_1)
	s_or_b32 s7, s7, s9
	s_or_b32 exec_lo, exec_lo, s8
	s_and_saveexec_b32 s8, s7
	s_cbranch_execnz .LBB304_684
	s_branch .LBB304_685
.LBB304_695:
	s_mov_b32 s9, 0
	s_mov_b32 s7, 0x7f800001
	s_cbranch_execz .LBB304_697
; %bb.696:
	s_and_b32 s7, 0xffff, s8
	s_delay_alu instid0(SALU_CYCLE_1)
	s_cmp_lg_u32 s7, 0
	s_mov_b32 s7, 0
	s_cselect_b32 s9, -1, 0
.LBB304_697:
	s_delay_alu instid0(SALU_CYCLE_1)
	s_and_not1_b32 vcc_lo, exec_lo, s9
	s_cbranch_vccnz .LBB304_699
; %bb.698:
	s_and_b32 s7, s5, 7
	s_bfe_u32 s11, s5, 0x40003
	s_clz_i32_u32 s8, s7
	s_lshl_b32 s9, s5, 24
	s_min_u32 s8, s8, 32
	s_delay_alu instid0(SALU_CYCLE_1) | instskip(SKIP_2) | instid1(SALU_CYCLE_1)
	s_sub_co_i32 s10, s8, 28
	s_sub_co_i32 s8, 29, s8
	s_lshl_b32 s10, s5, s10
	s_and_b32 s10, s10, 7
	s_cmp_eq_u32 s11, 0
	s_cselect_b32 s8, s8, s11
	s_cselect_b32 s7, s10, s7
	s_lshl_b32 s8, s8, 23
	s_and_b32 s9, s9, 0x80000000
	s_add_co_i32 s8, s8, 0x3b800000
	s_lshl_b32 s7, s7, 20
	s_or_b32 s8, s9, s8
	s_delay_alu instid0(SALU_CYCLE_1)
	s_or_b32 s7, s8, s7
.LBB304_699:
	s_wait_loadcnt 0x0
	v_and_b32_e32 v16, 0xff, v3
	s_mov_b32 s8, 0
	s_mov_b32 s9, exec_lo
	s_wait_xcnt 0x0
	s_delay_alu instid0(VALU_DEP_1)
	v_cmpx_lt_i16_e32 0x7f, v16
	s_xor_b32 s9, exec_lo, s9
	s_cbranch_execnz .LBB304_709
; %bb.700:
	s_or_saveexec_b32 s9, s9
	v_mov_b32_e32 v5, 0x7f800001
	s_xor_b32 exec_lo, exec_lo, s9
	s_cbranch_execnz .LBB304_712
.LBB304_701:
	s_or_b32 exec_lo, exec_lo, s9
	s_and_saveexec_b32 s9, s8
	s_cbranch_execz .LBB304_703
.LBB304_702:
	v_and_b32_e32 v5, 7, v3
	v_lshrrev_b16 v17, 3, v3
	s_delay_alu instid0(VALU_DEP_2) | instskip(NEXT) | instid1(VALU_DEP_1)
	v_clz_i32_u32_e32 v16, v5
	v_min_u32_e32 v16, 32, v16
	s_delay_alu instid0(VALU_DEP_3) | instskip(NEXT) | instid1(VALU_DEP_2)
	v_and_b32_e32 v17, 15, v17
	v_subrev_nc_u32_e32 v18, 28, v16
	v_sub_nc_u32_e32 v16, 29, v16
	s_delay_alu instid0(VALU_DEP_3) | instskip(NEXT) | instid1(VALU_DEP_3)
	v_cmp_eq_u32_e32 vcc_lo, 0, v17
	v_dual_lshlrev_b32 v18, v18, v3 :: v_dual_lshlrev_b32 v3, 24, v3
	s_delay_alu instid0(VALU_DEP_1) | instskip(NEXT) | instid1(VALU_DEP_2)
	v_and_b32_e32 v18, 7, v18
	v_and_b32_e32 v3, 0x80000000, v3
	s_delay_alu instid0(VALU_DEP_2) | instskip(NEXT) | instid1(VALU_DEP_1)
	v_cndmask_b32_e32 v5, v5, v18, vcc_lo
	v_dual_cndmask_b32 v16, v17, v16 :: v_dual_lshlrev_b32 v5, 20, v5
	s_delay_alu instid0(VALU_DEP_1) | instskip(NEXT) | instid1(VALU_DEP_1)
	v_lshl_add_u32 v16, v16, 23, 0x3b800000
	v_or3_b32 v5, v3, v16, v5
.LBB304_703:
	s_or_b32 exec_lo, exec_lo, s9
	s_delay_alu instid0(VALU_DEP_1)
	v_cmp_eq_f32_e64 s7, s7, v5
	global_load_u8 v3, v7, s[2:3]
	s_and_b32 vcc_lo, exec_lo, s6
	s_cbranch_vccnz .LBB304_566
.LBB304_704:
                                        ; implicit-def: $sgpr8
	s_cbranch_execz .LBB304_583
; %bb.705:
	s_and_b32 s9, s5, 0xff
	s_delay_alu instid0(SALU_CYCLE_1)
	s_cmp_lt_i32 s9, 0x80
	s_cbranch_scc1 .LBB304_713
; %bb.706:
	s_and_b32 s8, 0xffff, s9
	s_mov_b32 s10, -1
	s_cmp_eq_u32 s8, 0x80
	s_cbranch_scc0 .LBB304_708
; %bb.707:
	s_mov_b32 s10, 0
.LBB304_708:
	s_mov_b32 s8, 0x7f800001
	s_branch .LBB304_715
.LBB304_709:
	s_mov_b32 s8, -1
	s_mov_b32 s10, exec_lo
	v_cmpx_eq_u16_e32 0x80, v16
; %bb.710:
	s_xor_b32 s8, exec_lo, -1
; %bb.711:
	s_or_b32 exec_lo, exec_lo, s10
	s_delay_alu instid0(SALU_CYCLE_1)
	s_and_b32 s8, s8, exec_lo
                                        ; implicit-def: $vgpr16
	s_or_saveexec_b32 s9, s9
	v_mov_b32_e32 v5, 0x7f800001
	s_xor_b32 exec_lo, exec_lo, s9
	s_cbranch_execz .LBB304_701
.LBB304_712:
	v_cmp_ne_u16_e32 vcc_lo, 0, v16
	v_mov_b32_e32 v5, 0
	s_and_not1_b32 s8, s8, exec_lo
	s_and_b32 s10, vcc_lo, exec_lo
	s_delay_alu instid0(SALU_CYCLE_1)
	s_or_b32 s8, s8, s10
	s_or_b32 exec_lo, exec_lo, s9
	s_and_saveexec_b32 s9, s8
	s_cbranch_execnz .LBB304_702
	s_branch .LBB304_703
.LBB304_713:
	s_mov_b32 s10, 0
	s_mov_b32 s8, 0x7f800001
	s_cbranch_execz .LBB304_715
; %bb.714:
	s_and_b32 s8, 0xffff, s9
	s_delay_alu instid0(SALU_CYCLE_1)
	s_cmp_lg_u32 s8, 0
	s_mov_b32 s8, 0
	s_cselect_b32 s10, -1, 0
.LBB304_715:
	s_delay_alu instid0(SALU_CYCLE_1)
	s_and_not1_b32 vcc_lo, exec_lo, s10
	s_cbranch_vccnz .LBB304_717
; %bb.716:
	s_and_b32 s8, s5, 7
	s_bfe_u32 s12, s5, 0x40003
	s_clz_i32_u32 s9, s8
	s_lshl_b32 s10, s5, 24
	s_min_u32 s9, s9, 32
	s_delay_alu instid0(SALU_CYCLE_1) | instskip(SKIP_2) | instid1(SALU_CYCLE_1)
	s_sub_co_i32 s11, s9, 28
	s_sub_co_i32 s9, 29, s9
	s_lshl_b32 s11, s5, s11
	s_and_b32 s11, s11, 7
	s_cmp_eq_u32 s12, 0
	s_cselect_b32 s9, s9, s12
	s_cselect_b32 s8, s11, s8
	s_lshl_b32 s9, s9, 23
	s_and_b32 s10, s10, 0x80000000
	s_add_co_i32 s9, s9, 0x3b800000
	s_lshl_b32 s8, s8, 20
	s_or_b32 s9, s10, s9
	s_delay_alu instid0(SALU_CYCLE_1)
	s_or_b32 s8, s9, s8
.LBB304_717:
	s_wait_loadcnt 0x0
	v_and_b32_e32 v7, 0xff, v3
	s_mov_b32 s9, 0
	s_mov_b32 s10, exec_lo
	s_delay_alu instid0(VALU_DEP_1)
	v_cmpx_lt_i16_e32 0x7f, v7
	s_xor_b32 s10, exec_lo, s10
	s_cbranch_execnz .LBB304_727
; %bb.718:
	s_or_saveexec_b32 s10, s10
	v_mov_b32_e32 v5, 0x7f800001
	s_xor_b32 exec_lo, exec_lo, s10
	s_cbranch_execnz .LBB304_730
.LBB304_719:
	s_or_b32 exec_lo, exec_lo, s10
	s_and_saveexec_b32 s10, s9
	s_cbranch_execz .LBB304_721
.LBB304_720:
	v_and_b32_e32 v5, 7, v3
	v_lshrrev_b16 v16, 3, v3
	s_delay_alu instid0(VALU_DEP_2) | instskip(NEXT) | instid1(VALU_DEP_1)
	v_clz_i32_u32_e32 v7, v5
	v_min_u32_e32 v7, 32, v7
	s_delay_alu instid0(VALU_DEP_3) | instskip(NEXT) | instid1(VALU_DEP_2)
	v_and_b32_e32 v16, 15, v16
	v_subrev_nc_u32_e32 v17, 28, v7
	v_sub_nc_u32_e32 v7, 29, v7
	s_delay_alu instid0(VALU_DEP_3) | instskip(NEXT) | instid1(VALU_DEP_3)
	v_cmp_eq_u32_e32 vcc_lo, 0, v16
	v_dual_lshlrev_b32 v17, v17, v3 :: v_dual_lshlrev_b32 v3, 24, v3
	s_delay_alu instid0(VALU_DEP_1) | instskip(NEXT) | instid1(VALU_DEP_2)
	v_dual_cndmask_b32 v7, v16, v7, vcc_lo :: v_dual_bitop2_b32 v17, 7, v17 bitop3:0x40
	v_and_b32_e32 v3, 0x80000000, v3
	s_delay_alu instid0(VALU_DEP_2) | instskip(NEXT) | instid1(VALU_DEP_3)
	v_cndmask_b32_e32 v5, v5, v17, vcc_lo
	v_lshl_add_u32 v7, v7, 23, 0x3b800000
	s_delay_alu instid0(VALU_DEP_2) | instskip(NEXT) | instid1(VALU_DEP_1)
	v_lshlrev_b32_e32 v5, 20, v5
	v_or3_b32 v5, v3, v7, v5
.LBB304_721:
	s_or_b32 exec_lo, exec_lo, s10
	s_delay_alu instid0(VALU_DEP_1)
	v_cmp_eq_f32_e64 s8, s8, v5
	global_load_u8 v3, v9, s[2:3]
	s_and_b32 vcc_lo, exec_lo, s6
	s_cbranch_vccnz .LBB304_584
.LBB304_722:
                                        ; implicit-def: $sgpr9
	s_cbranch_execz .LBB304_601
; %bb.723:
	s_and_b32 s10, s5, 0xff
	s_delay_alu instid0(SALU_CYCLE_1)
	s_cmp_lt_i32 s10, 0x80
	s_cbranch_scc1 .LBB304_731
; %bb.724:
	s_and_b32 s9, 0xffff, s10
	s_mov_b32 s11, -1
	s_cmp_eq_u32 s9, 0x80
	s_cbranch_scc0 .LBB304_726
; %bb.725:
	s_mov_b32 s11, 0
.LBB304_726:
	s_mov_b32 s9, 0x7f800001
	s_branch .LBB304_733
.LBB304_727:
	s_mov_b32 s9, -1
	s_mov_b32 s11, exec_lo
	v_cmpx_eq_u16_e32 0x80, v7
; %bb.728:
	s_xor_b32 s9, exec_lo, -1
; %bb.729:
	s_or_b32 exec_lo, exec_lo, s11
	s_delay_alu instid0(SALU_CYCLE_1)
	s_and_b32 s9, s9, exec_lo
                                        ; implicit-def: $vgpr7
	s_or_saveexec_b32 s10, s10
	v_mov_b32_e32 v5, 0x7f800001
	s_xor_b32 exec_lo, exec_lo, s10
	s_cbranch_execz .LBB304_719
.LBB304_730:
	v_cmp_ne_u16_e32 vcc_lo, 0, v7
	v_mov_b32_e32 v5, 0
	s_and_not1_b32 s9, s9, exec_lo
	s_and_b32 s11, vcc_lo, exec_lo
	s_delay_alu instid0(SALU_CYCLE_1)
	s_or_b32 s9, s9, s11
	s_or_b32 exec_lo, exec_lo, s10
	s_and_saveexec_b32 s10, s9
	s_cbranch_execnz .LBB304_720
	s_branch .LBB304_721
.LBB304_731:
	s_mov_b32 s11, 0
	s_mov_b32 s9, 0x7f800001
	s_cbranch_execz .LBB304_733
; %bb.732:
	s_and_b32 s9, 0xffff, s10
	s_delay_alu instid0(SALU_CYCLE_1)
	s_cmp_lg_u32 s9, 0
	s_mov_b32 s9, 0
	s_cselect_b32 s11, -1, 0
.LBB304_733:
	s_delay_alu instid0(SALU_CYCLE_1)
	s_and_not1_b32 vcc_lo, exec_lo, s11
	s_cbranch_vccnz .LBB304_735
; %bb.734:
	s_and_b32 s9, s5, 7
	s_bfe_u32 s13, s5, 0x40003
	s_clz_i32_u32 s10, s9
	s_lshl_b32 s11, s5, 24
	s_min_u32 s10, s10, 32
	s_delay_alu instid0(SALU_CYCLE_1) | instskip(SKIP_2) | instid1(SALU_CYCLE_1)
	s_sub_co_i32 s12, s10, 28
	s_sub_co_i32 s10, 29, s10
	s_lshl_b32 s12, s5, s12
	s_and_b32 s12, s12, 7
	s_cmp_eq_u32 s13, 0
	s_cselect_b32 s10, s10, s13
	s_cselect_b32 s9, s12, s9
	s_lshl_b32 s10, s10, 23
	s_and_b32 s11, s11, 0x80000000
	s_add_co_i32 s10, s10, 0x3b800000
	s_lshl_b32 s9, s9, 20
	s_or_b32 s10, s11, s10
	s_delay_alu instid0(SALU_CYCLE_1)
	s_or_b32 s9, s10, s9
.LBB304_735:
	s_wait_loadcnt 0x0
	s_wait_xcnt 0x1
	v_and_b32_e32 v7, 0xff, v3
	s_mov_b32 s10, 0
	s_mov_b32 s11, exec_lo
	s_wait_xcnt 0x0
	s_delay_alu instid0(VALU_DEP_1)
	v_cmpx_lt_i16_e32 0x7f, v7
	s_xor_b32 s11, exec_lo, s11
	s_cbranch_execnz .LBB304_745
; %bb.736:
	s_or_saveexec_b32 s11, s11
	v_mov_b32_e32 v5, 0x7f800001
	s_xor_b32 exec_lo, exec_lo, s11
	s_cbranch_execnz .LBB304_748
.LBB304_737:
	s_or_b32 exec_lo, exec_lo, s11
	s_and_saveexec_b32 s11, s10
	s_cbranch_execz .LBB304_739
.LBB304_738:
	v_and_b32_e32 v5, 7, v3
	v_lshrrev_b16 v9, 3, v3
	s_delay_alu instid0(VALU_DEP_2) | instskip(NEXT) | instid1(VALU_DEP_1)
	v_clz_i32_u32_e32 v7, v5
	v_min_u32_e32 v7, 32, v7
	s_delay_alu instid0(VALU_DEP_3) | instskip(NEXT) | instid1(VALU_DEP_2)
	v_and_b32_e32 v9, 15, v9
	v_subrev_nc_u32_e32 v16, 28, v7
	v_sub_nc_u32_e32 v7, 29, v7
	s_delay_alu instid0(VALU_DEP_3) | instskip(NEXT) | instid1(VALU_DEP_3)
	v_cmp_eq_u32_e32 vcc_lo, 0, v9
	v_dual_lshlrev_b32 v16, v16, v3 :: v_dual_lshlrev_b32 v3, 24, v3
	s_delay_alu instid0(VALU_DEP_1) | instskip(NEXT) | instid1(VALU_DEP_2)
	v_and_b32_e32 v16, 7, v16
	v_and_b32_e32 v3, 0x80000000, v3
	s_delay_alu instid0(VALU_DEP_2) | instskip(NEXT) | instid1(VALU_DEP_1)
	v_cndmask_b32_e32 v5, v5, v16, vcc_lo
	v_dual_cndmask_b32 v7, v9, v7, vcc_lo :: v_dual_lshlrev_b32 v5, 20, v5
	s_delay_alu instid0(VALU_DEP_1) | instskip(NEXT) | instid1(VALU_DEP_1)
	v_lshl_add_u32 v7, v7, 23, 0x3b800000
	v_or3_b32 v5, v3, v7, v5
.LBB304_739:
	s_or_b32 exec_lo, exec_lo, s11
	s_delay_alu instid0(VALU_DEP_1)
	v_cmp_eq_f32_e64 s9, s9, v5
	global_load_u8 v3, v11, s[2:3]
	s_and_b32 vcc_lo, exec_lo, s6
	s_cbranch_vccnz .LBB304_602
.LBB304_740:
                                        ; implicit-def: $sgpr10
	s_cbranch_execz .LBB304_619
; %bb.741:
	s_and_b32 s11, s5, 0xff
	s_delay_alu instid0(SALU_CYCLE_1)
	s_cmp_lt_i32 s11, 0x80
	s_cbranch_scc1 .LBB304_749
; %bb.742:
	s_and_b32 s10, 0xffff, s11
	s_mov_b32 s12, -1
	s_cmp_eq_u32 s10, 0x80
	s_cbranch_scc0 .LBB304_744
; %bb.743:
	s_mov_b32 s12, 0
.LBB304_744:
	s_mov_b32 s10, 0x7f800001
	s_branch .LBB304_751
.LBB304_745:
	s_mov_b32 s10, -1
	s_mov_b32 s12, exec_lo
	v_cmpx_eq_u16_e32 0x80, v7
; %bb.746:
	s_xor_b32 s10, exec_lo, -1
; %bb.747:
	s_or_b32 exec_lo, exec_lo, s12
	s_delay_alu instid0(SALU_CYCLE_1)
	s_and_b32 s10, s10, exec_lo
                                        ; implicit-def: $vgpr7
	s_or_saveexec_b32 s11, s11
	v_mov_b32_e32 v5, 0x7f800001
	s_xor_b32 exec_lo, exec_lo, s11
	s_cbranch_execz .LBB304_737
.LBB304_748:
	v_cmp_ne_u16_e32 vcc_lo, 0, v7
	v_mov_b32_e32 v5, 0
	s_and_not1_b32 s10, s10, exec_lo
	s_and_b32 s12, vcc_lo, exec_lo
	s_delay_alu instid0(SALU_CYCLE_1)
	s_or_b32 s10, s10, s12
	s_or_b32 exec_lo, exec_lo, s11
	s_and_saveexec_b32 s11, s10
	s_cbranch_execnz .LBB304_738
	s_branch .LBB304_739
.LBB304_749:
	s_mov_b32 s12, 0
	s_mov_b32 s10, 0x7f800001
	s_cbranch_execz .LBB304_751
; %bb.750:
	s_and_b32 s10, 0xffff, s11
	s_delay_alu instid0(SALU_CYCLE_1)
	s_cmp_lg_u32 s10, 0
	s_mov_b32 s10, 0
	s_cselect_b32 s12, -1, 0
.LBB304_751:
	s_delay_alu instid0(SALU_CYCLE_1)
	s_and_not1_b32 vcc_lo, exec_lo, s12
	s_cbranch_vccnz .LBB304_753
; %bb.752:
	s_and_b32 s10, s5, 7
	s_bfe_u32 s14, s5, 0x40003
	s_clz_i32_u32 s11, s10
	s_lshl_b32 s12, s5, 24
	s_min_u32 s11, s11, 32
	s_delay_alu instid0(SALU_CYCLE_1) | instskip(SKIP_2) | instid1(SALU_CYCLE_1)
	s_sub_co_i32 s13, s11, 28
	s_sub_co_i32 s11, 29, s11
	s_lshl_b32 s13, s5, s13
	s_and_b32 s13, s13, 7
	s_cmp_eq_u32 s14, 0
	s_cselect_b32 s11, s11, s14
	s_cselect_b32 s10, s13, s10
	s_lshl_b32 s11, s11, 23
	s_and_b32 s12, s12, 0x80000000
	s_add_co_i32 s11, s11, 0x3b800000
	s_lshl_b32 s10, s10, 20
	s_or_b32 s11, s12, s11
	s_delay_alu instid0(SALU_CYCLE_1)
	s_or_b32 s10, s11, s10
.LBB304_753:
	s_wait_loadcnt 0x0
	s_wait_xcnt 0x2
	v_and_b32_e32 v7, 0xff, v3
	s_mov_b32 s11, 0
	s_mov_b32 s12, exec_lo
	s_wait_xcnt 0x0
	s_delay_alu instid0(VALU_DEP_1)
	v_cmpx_lt_i16_e32 0x7f, v7
	s_xor_b32 s12, exec_lo, s12
	s_cbranch_execnz .LBB304_763
; %bb.754:
	s_or_saveexec_b32 s12, s12
	v_mov_b32_e32 v5, 0x7f800001
	s_xor_b32 exec_lo, exec_lo, s12
	s_cbranch_execnz .LBB304_766
.LBB304_755:
	s_or_b32 exec_lo, exec_lo, s12
	s_and_saveexec_b32 s12, s11
	s_cbranch_execz .LBB304_757
.LBB304_756:
	v_and_b32_e32 v5, 7, v3
	v_lshrrev_b16 v9, 3, v3
	s_delay_alu instid0(VALU_DEP_2) | instskip(NEXT) | instid1(VALU_DEP_1)
	v_clz_i32_u32_e32 v7, v5
	v_min_u32_e32 v7, 32, v7
	s_delay_alu instid0(VALU_DEP_3) | instskip(NEXT) | instid1(VALU_DEP_2)
	v_and_b32_e32 v9, 15, v9
	v_subrev_nc_u32_e32 v11, 28, v7
	v_sub_nc_u32_e32 v7, 29, v7
	s_delay_alu instid0(VALU_DEP_3) | instskip(NEXT) | instid1(VALU_DEP_3)
	v_cmp_eq_u32_e32 vcc_lo, 0, v9
	v_dual_lshlrev_b32 v11, v11, v3 :: v_dual_lshlrev_b32 v3, 24, v3
	s_delay_alu instid0(VALU_DEP_3) | instskip(NEXT) | instid1(VALU_DEP_2)
	v_cndmask_b32_e32 v7, v9, v7, vcc_lo
	v_and_b32_e32 v11, 7, v11
	s_delay_alu instid0(VALU_DEP_3) | instskip(NEXT) | instid1(VALU_DEP_3)
	v_and_b32_e32 v3, 0x80000000, v3
	v_lshl_add_u32 v7, v7, 23, 0x3b800000
	s_delay_alu instid0(VALU_DEP_3) | instskip(NEXT) | instid1(VALU_DEP_1)
	v_cndmask_b32_e32 v5, v5, v11, vcc_lo
	v_lshlrev_b32_e32 v5, 20, v5
	s_delay_alu instid0(VALU_DEP_1)
	v_or3_b32 v5, v3, v7, v5
.LBB304_757:
	s_or_b32 exec_lo, exec_lo, s12
	s_delay_alu instid0(VALU_DEP_1)
	v_cmp_eq_f32_e64 s10, s10, v5
	global_load_u8 v3, v13, s[2:3]
	s_and_b32 vcc_lo, exec_lo, s6
	s_cbranch_vccnz .LBB304_620
.LBB304_758:
                                        ; implicit-def: $sgpr11
	s_cbranch_execz .LBB304_637
; %bb.759:
	s_and_b32 s12, s5, 0xff
	s_delay_alu instid0(SALU_CYCLE_1)
	s_cmp_lt_i32 s12, 0x80
	s_cbranch_scc1 .LBB304_767
; %bb.760:
	s_and_b32 s11, 0xffff, s12
	s_mov_b32 s13, -1
	s_cmp_eq_u32 s11, 0x80
	s_cbranch_scc0 .LBB304_762
; %bb.761:
	s_mov_b32 s13, 0
.LBB304_762:
	s_mov_b32 s11, 0x7f800001
	s_branch .LBB304_769
.LBB304_763:
	s_mov_b32 s11, -1
	s_mov_b32 s13, exec_lo
	v_cmpx_eq_u16_e32 0x80, v7
; %bb.764:
	s_xor_b32 s11, exec_lo, -1
; %bb.765:
	s_or_b32 exec_lo, exec_lo, s13
	s_delay_alu instid0(SALU_CYCLE_1)
	s_and_b32 s11, s11, exec_lo
                                        ; implicit-def: $vgpr7
	s_or_saveexec_b32 s12, s12
	v_mov_b32_e32 v5, 0x7f800001
	s_xor_b32 exec_lo, exec_lo, s12
	s_cbranch_execz .LBB304_755
.LBB304_766:
	v_cmp_ne_u16_e32 vcc_lo, 0, v7
	v_mov_b32_e32 v5, 0
	s_and_not1_b32 s11, s11, exec_lo
	s_and_b32 s13, vcc_lo, exec_lo
	s_delay_alu instid0(SALU_CYCLE_1)
	s_or_b32 s11, s11, s13
	s_or_b32 exec_lo, exec_lo, s12
	s_and_saveexec_b32 s12, s11
	s_cbranch_execnz .LBB304_756
	s_branch .LBB304_757
.LBB304_767:
	s_mov_b32 s13, 0
	s_mov_b32 s11, 0x7f800001
	s_cbranch_execz .LBB304_769
; %bb.768:
	s_and_b32 s11, 0xffff, s12
	s_delay_alu instid0(SALU_CYCLE_1)
	s_cmp_lg_u32 s11, 0
	s_mov_b32 s11, 0
	s_cselect_b32 s13, -1, 0
.LBB304_769:
	s_delay_alu instid0(SALU_CYCLE_1)
	s_and_not1_b32 vcc_lo, exec_lo, s13
	s_cbranch_vccnz .LBB304_771
; %bb.770:
	s_and_b32 s11, s5, 7
	s_bfe_u32 s15, s5, 0x40003
	s_clz_i32_u32 s12, s11
	s_lshl_b32 s13, s5, 24
	s_min_u32 s12, s12, 32
	s_delay_alu instid0(SALU_CYCLE_1) | instskip(SKIP_2) | instid1(SALU_CYCLE_1)
	s_sub_co_i32 s14, s12, 28
	s_sub_co_i32 s12, 29, s12
	s_lshl_b32 s14, s5, s14
	s_and_b32 s14, s14, 7
	s_cmp_eq_u32 s15, 0
	s_cselect_b32 s12, s12, s15
	s_cselect_b32 s11, s14, s11
	s_lshl_b32 s12, s12, 23
	s_and_b32 s13, s13, 0x80000000
	s_add_co_i32 s12, s12, 0x3b800000
	s_lshl_b32 s11, s11, 20
	s_or_b32 s12, s13, s12
	s_delay_alu instid0(SALU_CYCLE_1)
	s_or_b32 s11, s12, s11
.LBB304_771:
	s_wait_loadcnt 0x0
	s_wait_xcnt 0x3
	v_and_b32_e32 v7, 0xff, v3
	s_mov_b32 s12, 0
	s_mov_b32 s13, exec_lo
	s_wait_xcnt 0x0
	s_delay_alu instid0(VALU_DEP_1)
	v_cmpx_lt_i16_e32 0x7f, v7
	s_xor_b32 s13, exec_lo, s13
	s_cbranch_execnz .LBB304_781
; %bb.772:
	s_or_saveexec_b32 s13, s13
	v_mov_b32_e32 v5, 0x7f800001
	s_xor_b32 exec_lo, exec_lo, s13
	s_cbranch_execnz .LBB304_784
.LBB304_773:
	s_or_b32 exec_lo, exec_lo, s13
	s_and_saveexec_b32 s13, s12
	s_cbranch_execz .LBB304_775
.LBB304_774:
	v_and_b32_e32 v5, 7, v3
	v_lshrrev_b16 v9, 3, v3
	s_delay_alu instid0(VALU_DEP_2) | instskip(NEXT) | instid1(VALU_DEP_1)
	v_clz_i32_u32_e32 v7, v5
	v_min_u32_e32 v7, 32, v7
	s_delay_alu instid0(VALU_DEP_3) | instskip(NEXT) | instid1(VALU_DEP_2)
	v_and_b32_e32 v9, 15, v9
	v_subrev_nc_u32_e32 v11, 28, v7
	v_sub_nc_u32_e32 v7, 29, v7
	s_delay_alu instid0(VALU_DEP_3) | instskip(NEXT) | instid1(VALU_DEP_3)
	v_cmp_eq_u32_e32 vcc_lo, 0, v9
	v_dual_lshlrev_b32 v11, v11, v3 :: v_dual_lshlrev_b32 v3, 24, v3
	s_delay_alu instid0(VALU_DEP_3) | instskip(NEXT) | instid1(VALU_DEP_2)
	v_cndmask_b32_e32 v7, v9, v7, vcc_lo
	v_and_b32_e32 v11, 7, v11
	s_delay_alu instid0(VALU_DEP_3) | instskip(NEXT) | instid1(VALU_DEP_3)
	v_and_b32_e32 v3, 0x80000000, v3
	v_lshl_add_u32 v7, v7, 23, 0x3b800000
	s_delay_alu instid0(VALU_DEP_3) | instskip(NEXT) | instid1(VALU_DEP_1)
	v_cndmask_b32_e32 v5, v5, v11, vcc_lo
	v_lshlrev_b32_e32 v5, 20, v5
	s_delay_alu instid0(VALU_DEP_1)
	v_or3_b32 v5, v3, v7, v5
.LBB304_775:
	s_or_b32 exec_lo, exec_lo, s13
	s_delay_alu instid0(VALU_DEP_1)
	v_cmp_eq_f32_e64 s11, s11, v5
	global_load_u8 v1, v1, s[2:3]
	s_and_b32 vcc_lo, exec_lo, s6
	s_cbranch_vccnz .LBB304_638
.LBB304_776:
                                        ; implicit-def: $sgpr12
	s_cbranch_execz .LBB304_655
; %bb.777:
	s_and_b32 s13, s5, 0xff
	s_delay_alu instid0(SALU_CYCLE_1)
	s_cmp_lt_i32 s13, 0x80
	s_cbranch_scc1 .LBB304_785
; %bb.778:
	s_and_b32 s12, 0xffff, s13
	s_mov_b32 s14, -1
	s_cmp_eq_u32 s12, 0x80
	s_cbranch_scc0 .LBB304_780
; %bb.779:
	s_mov_b32 s14, 0
.LBB304_780:
	s_mov_b32 s12, 0x7f800001
	s_branch .LBB304_787
.LBB304_781:
	s_mov_b32 s12, -1
	s_mov_b32 s14, exec_lo
	v_cmpx_eq_u16_e32 0x80, v7
; %bb.782:
	s_xor_b32 s12, exec_lo, -1
; %bb.783:
	s_or_b32 exec_lo, exec_lo, s14
	s_delay_alu instid0(SALU_CYCLE_1)
	s_and_b32 s12, s12, exec_lo
                                        ; implicit-def: $vgpr7
	s_or_saveexec_b32 s13, s13
	v_mov_b32_e32 v5, 0x7f800001
	s_xor_b32 exec_lo, exec_lo, s13
	s_cbranch_execz .LBB304_773
.LBB304_784:
	v_cmp_ne_u16_e32 vcc_lo, 0, v7
	v_mov_b32_e32 v5, 0
	s_and_not1_b32 s12, s12, exec_lo
	s_and_b32 s14, vcc_lo, exec_lo
	s_delay_alu instid0(SALU_CYCLE_1)
	s_or_b32 s12, s12, s14
	s_or_b32 exec_lo, exec_lo, s13
	s_and_saveexec_b32 s13, s12
	s_cbranch_execnz .LBB304_774
	s_branch .LBB304_775
.LBB304_785:
	s_mov_b32 s14, 0
	s_mov_b32 s12, 0x7f800001
	s_cbranch_execz .LBB304_787
; %bb.786:
	s_and_b32 s12, 0xffff, s13
	s_delay_alu instid0(SALU_CYCLE_1)
	s_cmp_lg_u32 s12, 0
	s_mov_b32 s12, 0
	s_cselect_b32 s14, -1, 0
.LBB304_787:
	s_delay_alu instid0(SALU_CYCLE_1)
	s_and_not1_b32 vcc_lo, exec_lo, s14
	s_cbranch_vccnz .LBB304_789
; %bb.788:
	s_and_b32 s12, s5, 7
	s_bfe_u32 s16, s5, 0x40003
	s_clz_i32_u32 s13, s12
	s_lshl_b32 s14, s5, 24
	s_min_u32 s13, s13, 32
	s_delay_alu instid0(SALU_CYCLE_1) | instskip(SKIP_2) | instid1(SALU_CYCLE_1)
	s_sub_co_i32 s15, s13, 28
	s_sub_co_i32 s13, 29, s13
	s_lshl_b32 s15, s5, s15
	s_and_b32 s15, s15, 7
	s_cmp_eq_u32 s16, 0
	s_cselect_b32 s13, s13, s16
	s_cselect_b32 s12, s15, s12
	s_lshl_b32 s13, s13, 23
	s_and_b32 s14, s14, 0x80000000
	s_add_co_i32 s13, s13, 0x3b800000
	s_lshl_b32 s12, s12, 20
	s_or_b32 s13, s14, s13
	s_delay_alu instid0(SALU_CYCLE_1)
	s_or_b32 s12, s13, s12
.LBB304_789:
	s_wait_loadcnt 0x0
	s_wait_xcnt 0x5
	v_and_b32_e32 v5, 0xff, v1
	s_mov_b32 s13, 0
	s_mov_b32 s14, exec_lo
	s_wait_xcnt 0x0
	s_delay_alu instid0(VALU_DEP_1)
	v_cmpx_lt_i16_e32 0x7f, v5
	s_xor_b32 s14, exec_lo, s14
	s_cbranch_execnz .LBB304_799
; %bb.790:
	s_or_saveexec_b32 s14, s14
	v_mov_b32_e32 v3, 0x7f800001
	s_xor_b32 exec_lo, exec_lo, s14
	s_cbranch_execnz .LBB304_802
.LBB304_791:
	s_or_b32 exec_lo, exec_lo, s14
	s_and_saveexec_b32 s14, s13
	s_cbranch_execz .LBB304_793
.LBB304_792:
	v_and_b32_e32 v3, 7, v1
	v_lshrrev_b16 v7, 3, v1
	s_delay_alu instid0(VALU_DEP_2) | instskip(NEXT) | instid1(VALU_DEP_1)
	v_clz_i32_u32_e32 v5, v3
	v_min_u32_e32 v5, 32, v5
	s_delay_alu instid0(VALU_DEP_3) | instskip(NEXT) | instid1(VALU_DEP_2)
	v_and_b32_e32 v7, 15, v7
	v_subrev_nc_u32_e32 v9, 28, v5
	v_sub_nc_u32_e32 v5, 29, v5
	s_delay_alu instid0(VALU_DEP_3) | instskip(NEXT) | instid1(VALU_DEP_3)
	v_cmp_eq_u32_e32 vcc_lo, 0, v7
	v_dual_lshlrev_b32 v9, v9, v1 :: v_dual_lshlrev_b32 v1, 24, v1
	s_delay_alu instid0(VALU_DEP_3) | instskip(NEXT) | instid1(VALU_DEP_2)
	v_cndmask_b32_e32 v5, v7, v5, vcc_lo
	v_and_b32_e32 v9, 7, v9
	s_delay_alu instid0(VALU_DEP_3) | instskip(NEXT) | instid1(VALU_DEP_3)
	v_and_b32_e32 v1, 0x80000000, v1
	v_lshl_add_u32 v5, v5, 23, 0x3b800000
	s_delay_alu instid0(VALU_DEP_3) | instskip(NEXT) | instid1(VALU_DEP_1)
	v_cndmask_b32_e32 v3, v3, v9, vcc_lo
	v_lshlrev_b32_e32 v3, 20, v3
	s_delay_alu instid0(VALU_DEP_1)
	v_or3_b32 v3, v1, v5, v3
.LBB304_793:
	s_or_b32 exec_lo, exec_lo, s14
	s_delay_alu instid0(VALU_DEP_1)
	v_cmp_eq_f32_e64 s12, s12, v3
	global_load_u8 v1, v15, s[2:3]
	s_and_b32 vcc_lo, exec_lo, s6
	s_cbranch_vccnz .LBB304_656
.LBB304_794:
	s_wait_xcnt 0x0
                                        ; implicit-def: $sgpr2
	s_cbranch_execz .LBB304_812
; %bb.795:
	s_and_b32 s3, s5, 0xff
	s_delay_alu instid0(SALU_CYCLE_1)
	s_cmp_lt_i32 s3, 0x80
	s_cbranch_scc1 .LBB304_803
; %bb.796:
	s_and_b32 s2, 0xffff, s3
	s_mov_b32 s6, -1
	s_cmp_eq_u32 s2, 0x80
	s_cbranch_scc0 .LBB304_798
; %bb.797:
	s_mov_b32 s6, 0
.LBB304_798:
	s_mov_b32 s2, 0x7f800001
	s_branch .LBB304_805
.LBB304_799:
	s_mov_b32 s13, -1
	s_mov_b32 s15, exec_lo
	v_cmpx_eq_u16_e32 0x80, v5
; %bb.800:
	s_xor_b32 s13, exec_lo, -1
; %bb.801:
	s_or_b32 exec_lo, exec_lo, s15
	s_delay_alu instid0(SALU_CYCLE_1)
	s_and_b32 s13, s13, exec_lo
                                        ; implicit-def: $vgpr5
	s_or_saveexec_b32 s14, s14
	v_mov_b32_e32 v3, 0x7f800001
	s_xor_b32 exec_lo, exec_lo, s14
	s_cbranch_execz .LBB304_791
.LBB304_802:
	v_cmp_ne_u16_e32 vcc_lo, 0, v5
	v_mov_b32_e32 v3, 0
	s_and_not1_b32 s13, s13, exec_lo
	s_and_b32 s15, vcc_lo, exec_lo
	s_delay_alu instid0(SALU_CYCLE_1)
	s_or_b32 s13, s13, s15
	s_or_b32 exec_lo, exec_lo, s14
	s_and_saveexec_b32 s14, s13
	s_cbranch_execnz .LBB304_792
	s_branch .LBB304_793
.LBB304_803:
	s_mov_b32 s6, 0
	s_mov_b32 s2, 0x7f800001
	s_cbranch_execz .LBB304_805
; %bb.804:
	s_and_b32 s2, 0xffff, s3
	s_delay_alu instid0(SALU_CYCLE_1)
	s_cmp_lg_u32 s2, 0
	s_mov_b32 s2, 0
	s_cselect_b32 s6, -1, 0
.LBB304_805:
	s_delay_alu instid0(SALU_CYCLE_1)
	s_and_not1_b32 vcc_lo, exec_lo, s6
	s_cbranch_vccnz .LBB304_807
; %bb.806:
	s_and_b32 s2, s5, 7
	s_lshl_b32 s6, s5, 24
	s_clz_i32_u32 s3, s2
	s_bfe_u32 s14, s5, 0x40003
	s_min_u32 s3, s3, 32
	s_delay_alu instid0(SALU_CYCLE_1) | instskip(SKIP_2) | instid1(SALU_CYCLE_1)
	s_sub_co_i32 s13, s3, 28
	s_sub_co_i32 s3, 29, s3
	s_lshl_b32 s5, s5, s13
	s_and_b32 s5, s5, 7
	s_cmp_eq_u32 s14, 0
	s_cselect_b32 s3, s3, s14
	s_cselect_b32 s2, s5, s2
	s_lshl_b32 s3, s3, 23
	s_and_b32 s5, s6, 0x80000000
	s_add_co_i32 s3, s3, 0x3b800000
	s_lshl_b32 s2, s2, 20
	s_or_b32 s3, s5, s3
	s_delay_alu instid0(SALU_CYCLE_1)
	s_or_b32 s2, s3, s2
.LBB304_807:
	s_wait_loadcnt 0x0
	v_and_b32_e32 v5, 0xff, v1
	s_mov_b32 s3, 0
	s_mov_b32 s5, exec_lo
	s_delay_alu instid0(VALU_DEP_1)
	v_cmpx_lt_i16_e32 0x7f, v5
	s_xor_b32 s5, exec_lo, s5
	s_cbranch_execnz .LBB304_813
; %bb.808:
	s_or_saveexec_b32 s5, s5
	v_mov_b32_e32 v3, 0x7f800001
	s_xor_b32 exec_lo, exec_lo, s5
	s_cbranch_execnz .LBB304_816
.LBB304_809:
	s_or_b32 exec_lo, exec_lo, s5
	s_and_saveexec_b32 s5, s3
	s_cbranch_execz .LBB304_811
.LBB304_810:
	v_and_b32_e32 v3, 7, v1
	v_lshrrev_b16 v7, 3, v1
	s_delay_alu instid0(VALU_DEP_2) | instskip(NEXT) | instid1(VALU_DEP_1)
	v_clz_i32_u32_e32 v5, v3
	v_min_u32_e32 v5, 32, v5
	s_delay_alu instid0(VALU_DEP_3) | instskip(NEXT) | instid1(VALU_DEP_2)
	v_and_b32_e32 v7, 15, v7
	v_subrev_nc_u32_e32 v9, 28, v5
	v_sub_nc_u32_e32 v5, 29, v5
	s_delay_alu instid0(VALU_DEP_3) | instskip(NEXT) | instid1(VALU_DEP_3)
	v_cmp_eq_u32_e32 vcc_lo, 0, v7
	v_dual_lshlrev_b32 v9, v9, v1 :: v_dual_lshlrev_b32 v1, 24, v1
	s_delay_alu instid0(VALU_DEP_3) | instskip(NEXT) | instid1(VALU_DEP_2)
	v_cndmask_b32_e32 v5, v7, v5, vcc_lo
	v_and_b32_e32 v9, 7, v9
	s_delay_alu instid0(VALU_DEP_3) | instskip(NEXT) | instid1(VALU_DEP_3)
	v_and_b32_e32 v1, 0x80000000, v1
	v_lshl_add_u32 v5, v5, 23, 0x3b800000
	s_delay_alu instid0(VALU_DEP_3) | instskip(NEXT) | instid1(VALU_DEP_1)
	v_cndmask_b32_e32 v3, v3, v9, vcc_lo
	v_lshlrev_b32_e32 v3, 20, v3
	s_delay_alu instid0(VALU_DEP_1)
	v_or3_b32 v3, v1, v5, v3
.LBB304_811:
	s_or_b32 exec_lo, exec_lo, s5
	s_delay_alu instid0(VALU_DEP_1)
	v_cmp_eq_f32_e64 s2, s2, v3
.LBB304_812:
	v_cndmask_b32_e64 v7, 0, 1, s4
	v_cndmask_b32_e64 v9, 0, 1, s7
	;; [unrolled: 1-line block ×5, first 2 shown]
	s_wait_loadcnt 0x0
	v_cndmask_b32_e64 v1, 0, 1, s12
	v_cndmask_b32_e64 v3, 0, 1, s11
	;; [unrolled: 1-line block ×3, first 2 shown]
	s_clause 0x7
	global_store_b8 v2, v7, s[0:1]
	global_store_b8 v4, v9, s[0:1]
	;; [unrolled: 1-line block ×8, first 2 shown]
	s_endpgm
.LBB304_813:
	s_mov_b32 s3, -1
	s_mov_b32 s6, exec_lo
	v_cmpx_eq_u16_e32 0x80, v5
; %bb.814:
	s_xor_b32 s3, exec_lo, -1
; %bb.815:
	s_or_b32 exec_lo, exec_lo, s6
	s_delay_alu instid0(SALU_CYCLE_1)
	s_and_b32 s3, s3, exec_lo
                                        ; implicit-def: $vgpr5
	s_or_saveexec_b32 s5, s5
	v_mov_b32_e32 v3, 0x7f800001
	s_xor_b32 exec_lo, exec_lo, s5
	s_cbranch_execz .LBB304_809
.LBB304_816:
	v_cmp_ne_u16_e32 vcc_lo, 0, v5
	v_mov_b32_e32 v3, 0
	s_and_not1_b32 s3, s3, exec_lo
	s_and_b32 s6, vcc_lo, exec_lo
	s_delay_alu instid0(SALU_CYCLE_1)
	s_or_b32 s3, s3, s6
	s_or_b32 exec_lo, exec_lo, s5
	s_and_saveexec_b32 s5, s3
	s_cbranch_execnz .LBB304_810
	s_branch .LBB304_811
.LBB304_817:
	s_mov_b32 s3, -1
	s_mov_b32 s5, exec_lo
	v_cmpx_eq_u16_e32 0x80, v3
; %bb.818:
	s_xor_b32 s3, exec_lo, -1
; %bb.819:
	s_or_b32 exec_lo, exec_lo, s5
	s_delay_alu instid0(SALU_CYCLE_1)
	s_and_b32 s3, s3, exec_lo
                                        ; implicit-def: $vgpr3
	s_or_saveexec_b32 s4, s4
	v_mov_b32_e32 v1, 0x7f800001
	s_xor_b32 exec_lo, exec_lo, s4
	s_cbranch_execz .LBB304_409
.LBB304_820:
	v_cmp_ne_u16_e32 vcc_lo, 0, v3
	v_mov_b32_e32 v1, 0
	s_and_not1_b32 s3, s3, exec_lo
	s_and_b32 s5, vcc_lo, exec_lo
	s_delay_alu instid0(SALU_CYCLE_1)
	s_or_b32 s3, s3, s5
	s_or_b32 exec_lo, exec_lo, s4
	s_and_saveexec_b32 s4, s3
	s_cbranch_execnz .LBB304_410
	s_branch .LBB304_411
	.section	.rodata,"a",@progbits
	.p2align	6, 0x0
	.amdhsa_kernel _ZN2at6native32elementwise_kernel_manual_unrollILi128ELi8EZNS0_22gpu_kernel_impl_nocastINS0_13AUnaryFunctorIN3c1015Float8_e4m3fnuzES5_bNS0_12_GLOBAL__N_116CompareEqFunctorIS5_EEEEEEvRNS_18TensorIteratorBaseERKT_EUlibE_EEviT1_
		.amdhsa_group_segment_fixed_size 0
		.amdhsa_private_segment_fixed_size 0
		.amdhsa_kernarg_size 360
		.amdhsa_user_sgpr_count 2
		.amdhsa_user_sgpr_dispatch_ptr 0
		.amdhsa_user_sgpr_queue_ptr 0
		.amdhsa_user_sgpr_kernarg_segment_ptr 1
		.amdhsa_user_sgpr_dispatch_id 0
		.amdhsa_user_sgpr_kernarg_preload_length 0
		.amdhsa_user_sgpr_kernarg_preload_offset 0
		.amdhsa_user_sgpr_private_segment_size 0
		.amdhsa_wavefront_size32 1
		.amdhsa_uses_dynamic_stack 0
		.amdhsa_enable_private_segment 0
		.amdhsa_system_sgpr_workgroup_id_x 1
		.amdhsa_system_sgpr_workgroup_id_y 0
		.amdhsa_system_sgpr_workgroup_id_z 0
		.amdhsa_system_sgpr_workgroup_info 0
		.amdhsa_system_vgpr_workitem_id 0
		.amdhsa_next_free_vgpr 23
		.amdhsa_next_free_sgpr 60
		.amdhsa_named_barrier_count 0
		.amdhsa_reserve_vcc 1
		.amdhsa_float_round_mode_32 0
		.amdhsa_float_round_mode_16_64 0
		.amdhsa_float_denorm_mode_32 3
		.amdhsa_float_denorm_mode_16_64 3
		.amdhsa_fp16_overflow 0
		.amdhsa_memory_ordered 1
		.amdhsa_forward_progress 1
		.amdhsa_inst_pref_size 218
		.amdhsa_round_robin_scheduling 0
		.amdhsa_exception_fp_ieee_invalid_op 0
		.amdhsa_exception_fp_denorm_src 0
		.amdhsa_exception_fp_ieee_div_zero 0
		.amdhsa_exception_fp_ieee_overflow 0
		.amdhsa_exception_fp_ieee_underflow 0
		.amdhsa_exception_fp_ieee_inexact 0
		.amdhsa_exception_int_div_zero 0
	.end_amdhsa_kernel
	.section	.text._ZN2at6native32elementwise_kernel_manual_unrollILi128ELi8EZNS0_22gpu_kernel_impl_nocastINS0_13AUnaryFunctorIN3c1015Float8_e4m3fnuzES5_bNS0_12_GLOBAL__N_116CompareEqFunctorIS5_EEEEEEvRNS_18TensorIteratorBaseERKT_EUlibE_EEviT1_,"axG",@progbits,_ZN2at6native32elementwise_kernel_manual_unrollILi128ELi8EZNS0_22gpu_kernel_impl_nocastINS0_13AUnaryFunctorIN3c1015Float8_e4m3fnuzES5_bNS0_12_GLOBAL__N_116CompareEqFunctorIS5_EEEEEEvRNS_18TensorIteratorBaseERKT_EUlibE_EEviT1_,comdat
.Lfunc_end304:
	.size	_ZN2at6native32elementwise_kernel_manual_unrollILi128ELi8EZNS0_22gpu_kernel_impl_nocastINS0_13AUnaryFunctorIN3c1015Float8_e4m3fnuzES5_bNS0_12_GLOBAL__N_116CompareEqFunctorIS5_EEEEEEvRNS_18TensorIteratorBaseERKT_EUlibE_EEviT1_, .Lfunc_end304-_ZN2at6native32elementwise_kernel_manual_unrollILi128ELi8EZNS0_22gpu_kernel_impl_nocastINS0_13AUnaryFunctorIN3c1015Float8_e4m3fnuzES5_bNS0_12_GLOBAL__N_116CompareEqFunctorIS5_EEEEEEvRNS_18TensorIteratorBaseERKT_EUlibE_EEviT1_
                                        ; -- End function
	.set _ZN2at6native32elementwise_kernel_manual_unrollILi128ELi8EZNS0_22gpu_kernel_impl_nocastINS0_13AUnaryFunctorIN3c1015Float8_e4m3fnuzES5_bNS0_12_GLOBAL__N_116CompareEqFunctorIS5_EEEEEEvRNS_18TensorIteratorBaseERKT_EUlibE_EEviT1_.num_vgpr, 23
	.set _ZN2at6native32elementwise_kernel_manual_unrollILi128ELi8EZNS0_22gpu_kernel_impl_nocastINS0_13AUnaryFunctorIN3c1015Float8_e4m3fnuzES5_bNS0_12_GLOBAL__N_116CompareEqFunctorIS5_EEEEEEvRNS_18TensorIteratorBaseERKT_EUlibE_EEviT1_.num_agpr, 0
	.set _ZN2at6native32elementwise_kernel_manual_unrollILi128ELi8EZNS0_22gpu_kernel_impl_nocastINS0_13AUnaryFunctorIN3c1015Float8_e4m3fnuzES5_bNS0_12_GLOBAL__N_116CompareEqFunctorIS5_EEEEEEvRNS_18TensorIteratorBaseERKT_EUlibE_EEviT1_.numbered_sgpr, 60
	.set _ZN2at6native32elementwise_kernel_manual_unrollILi128ELi8EZNS0_22gpu_kernel_impl_nocastINS0_13AUnaryFunctorIN3c1015Float8_e4m3fnuzES5_bNS0_12_GLOBAL__N_116CompareEqFunctorIS5_EEEEEEvRNS_18TensorIteratorBaseERKT_EUlibE_EEviT1_.num_named_barrier, 0
	.set _ZN2at6native32elementwise_kernel_manual_unrollILi128ELi8EZNS0_22gpu_kernel_impl_nocastINS0_13AUnaryFunctorIN3c1015Float8_e4m3fnuzES5_bNS0_12_GLOBAL__N_116CompareEqFunctorIS5_EEEEEEvRNS_18TensorIteratorBaseERKT_EUlibE_EEviT1_.private_seg_size, 0
	.set _ZN2at6native32elementwise_kernel_manual_unrollILi128ELi8EZNS0_22gpu_kernel_impl_nocastINS0_13AUnaryFunctorIN3c1015Float8_e4m3fnuzES5_bNS0_12_GLOBAL__N_116CompareEqFunctorIS5_EEEEEEvRNS_18TensorIteratorBaseERKT_EUlibE_EEviT1_.uses_vcc, 1
	.set _ZN2at6native32elementwise_kernel_manual_unrollILi128ELi8EZNS0_22gpu_kernel_impl_nocastINS0_13AUnaryFunctorIN3c1015Float8_e4m3fnuzES5_bNS0_12_GLOBAL__N_116CompareEqFunctorIS5_EEEEEEvRNS_18TensorIteratorBaseERKT_EUlibE_EEviT1_.uses_flat_scratch, 0
	.set _ZN2at6native32elementwise_kernel_manual_unrollILi128ELi8EZNS0_22gpu_kernel_impl_nocastINS0_13AUnaryFunctorIN3c1015Float8_e4m3fnuzES5_bNS0_12_GLOBAL__N_116CompareEqFunctorIS5_EEEEEEvRNS_18TensorIteratorBaseERKT_EUlibE_EEviT1_.has_dyn_sized_stack, 0
	.set _ZN2at6native32elementwise_kernel_manual_unrollILi128ELi8EZNS0_22gpu_kernel_impl_nocastINS0_13AUnaryFunctorIN3c1015Float8_e4m3fnuzES5_bNS0_12_GLOBAL__N_116CompareEqFunctorIS5_EEEEEEvRNS_18TensorIteratorBaseERKT_EUlibE_EEviT1_.has_recursion, 0
	.set _ZN2at6native32elementwise_kernel_manual_unrollILi128ELi8EZNS0_22gpu_kernel_impl_nocastINS0_13AUnaryFunctorIN3c1015Float8_e4m3fnuzES5_bNS0_12_GLOBAL__N_116CompareEqFunctorIS5_EEEEEEvRNS_18TensorIteratorBaseERKT_EUlibE_EEviT1_.has_indirect_call, 0
	.section	.AMDGPU.csdata,"",@progbits
; Kernel info:
; codeLenInByte = 27884
; TotalNumSgprs: 62
; NumVgprs: 23
; ScratchSize: 0
; MemoryBound: 0
; FloatMode: 240
; IeeeMode: 1
; LDSByteSize: 0 bytes/workgroup (compile time only)
; SGPRBlocks: 0
; VGPRBlocks: 1
; NumSGPRsForWavesPerEU: 62
; NumVGPRsForWavesPerEU: 23
; NamedBarCnt: 0
; Occupancy: 16
; WaveLimiterHint : 1
; COMPUTE_PGM_RSRC2:SCRATCH_EN: 0
; COMPUTE_PGM_RSRC2:USER_SGPR: 2
; COMPUTE_PGM_RSRC2:TRAP_HANDLER: 0
; COMPUTE_PGM_RSRC2:TGID_X_EN: 1
; COMPUTE_PGM_RSRC2:TGID_Y_EN: 0
; COMPUTE_PGM_RSRC2:TGID_Z_EN: 0
; COMPUTE_PGM_RSRC2:TIDIG_COMP_CNT: 0
	.text
	.p2align	2                               ; -- Begin function _ZN2at6native6invokeINS0_13AUnaryFunctorIN3c1015Float8_e4m3fnuzES4_bNS0_12_GLOBAL__N_116CompareEqFunctorIS4_EEEEi15function_traitsIS8_EEENT1_11result_typeERKT_PrKPcPKT0_PKNS3_10ScalarTypeEi
	.type	_ZN2at6native6invokeINS0_13AUnaryFunctorIN3c1015Float8_e4m3fnuzES4_bNS0_12_GLOBAL__N_116CompareEqFunctorIS4_EEEEi15function_traitsIS8_EEENT1_11result_typeERKT_PrKPcPKT0_PKNS3_10ScalarTypeEi,@function
_ZN2at6native6invokeINS0_13AUnaryFunctorIN3c1015Float8_e4m3fnuzES4_bNS0_12_GLOBAL__N_116CompareEqFunctorIS4_EEEEi15function_traitsIS8_EEENT1_11result_typeERKT_PrKPcPKT0_PKNS3_10ScalarTypeEi: ; @_ZN2at6native6invokeINS0_13AUnaryFunctorIN3c1015Float8_e4m3fnuzES4_bNS0_12_GLOBAL__N_116CompareEqFunctorIS4_EEEEi15function_traitsIS8_EEENT1_11result_typeERKT_PrKPcPKT0_PKNS3_10ScalarTypeEi
; %bb.0:
	s_wait_loadcnt_dscnt 0x0
	s_wait_kmcnt 0x0
	v_mul_lo_u32 v6, v6, v4
	v_and_b32_e32 v5, 0xff, v5
	s_mov_b32 s1, 0
	s_mov_b32 s0, exec_lo
                                        ; implicit-def: $vgpr4
	s_delay_alu instid0(VALU_DEP_2) | instskip(NEXT) | instid1(VALU_DEP_1)
	v_ashrrev_i32_e32 v7, 31, v6
	v_add_nc_u64_e32 v[2:3], v[2:3], v[6:7]
	v_cmpx_lt_i16_e32 10, v5
	s_xor_b32 s0, exec_lo, s0
	s_cbranch_execnz .LBB305_4
; %bb.1:
	s_and_not1_saveexec_b32 s0, s0
	s_cbranch_execnz .LBB305_16
.LBB305_2:
	s_or_b32 exec_lo, exec_lo, s0
                                        ; implicit-def: $sgpr2
	s_and_saveexec_b32 s0, s1
	s_cbranch_execnz .LBB305_123
.LBB305_3:
	s_or_b32 exec_lo, exec_lo, s0
	s_delay_alu instid0(VALU_DEP_1)
	v_cndmask_b32_e64 v0, 0, 1, s2
	s_wait_loadcnt_dscnt 0x0
	s_set_pc_i64 s[30:31]
.LBB305_4:
	s_mov_b32 s2, 0
	s_mov_b32 s4, 0
	s_mov_b32 s3, exec_lo
                                        ; implicit-def: $vgpr4
	v_cmpx_lt_i16_e32 25, v5
	s_xor_b32 s3, exec_lo, s3
	s_cbranch_execnz .LBB305_143
; %bb.5:
	s_and_not1_saveexec_b32 s3, s3
	s_cbranch_execnz .LBB305_200
.LBB305_6:
	s_or_b32 exec_lo, exec_lo, s3
	s_and_saveexec_b32 s3, s4
	s_cbranch_execnz .LBB305_247
.LBB305_7:
	s_or_b32 exec_lo, exec_lo, s3
	s_and_saveexec_b32 s3, s2
	s_delay_alu instid0(SALU_CYCLE_1)
	s_xor_b32 s2, exec_lo, s3
	s_cbranch_execz .LBB305_15
.LBB305_8:
	flat_load_u8 v2, v[2:3]
	s_wait_loadcnt_dscnt 0x101
	v_mov_b32_e32 v4, 0x80
	s_mov_b32 s4, 0
	s_mov_b32 s3, exec_lo
	s_wait_loadcnt_dscnt 0x0
	v_cmp_ne_u16_e32 vcc_lo, 0, v2
	s_wait_xcnt 0x0
	v_cndmask_b32_e64 v3, 0, 1.0, vcc_lo
	s_delay_alu instid0(VALU_DEP_1)
	v_cmpx_gt_u32_e32 0x43800000, v3
	s_cbranch_execz .LBB305_14
; %bb.9:
	s_mov_b32 s5, exec_lo
                                        ; implicit-def: $vgpr2
	v_cmpx_lt_u32_e32 0x3bffffff, v3
	s_xor_b32 s5, exec_lo, s5
	s_cbranch_execnz .LBB305_264
; %bb.10:
	s_and_not1_saveexec_b32 s5, s5
	s_cbranch_execnz .LBB305_265
.LBB305_11:
	s_or_b32 exec_lo, exec_lo, s5
	v_mov_b32_e32 v4, 0
	s_and_saveexec_b32 s5, s4
.LBB305_12:
	v_mov_b32_e32 v4, v2
.LBB305_13:
	s_or_b32 exec_lo, exec_lo, s5
.LBB305_14:
	s_delay_alu instid0(SALU_CYCLE_1) | instskip(NEXT) | instid1(SALU_CYCLE_1)
	s_or_b32 exec_lo, exec_lo, s3
	s_or_b32 s1, s1, exec_lo
.LBB305_15:
	s_or_b32 exec_lo, exec_lo, s2
	s_delay_alu instid0(SALU_CYCLE_1)
	s_and_b32 s1, s1, exec_lo
                                        ; implicit-def: $vgpr5
                                        ; implicit-def: $vgpr2_vgpr3
	s_and_not1_saveexec_b32 s0, s0
	s_cbranch_execz .LBB305_2
.LBB305_16:
	s_mov_b32 s2, exec_lo
                                        ; implicit-def: $vgpr4
	v_cmpx_lt_i16_e32 4, v5
	s_xor_b32 s2, exec_lo, s2
	s_cbranch_execz .LBB305_74
; %bb.17:
	s_mov_b32 s3, exec_lo
                                        ; implicit-def: $vgpr4
	v_cmpx_lt_i16_e32 7, v5
	s_xor_b32 s3, exec_lo, s3
	s_cbranch_execz .LBB305_45
; %bb.18:
	;; [unrolled: 6-line block ×4, first 2 shown]
	flat_load_b64 v[2:3], v[2:3]
	s_wait_loadcnt_dscnt 0x101
	v_mov_b32_e32 v4, 0x80
	s_mov_b32 s6, exec_lo
	s_wait_loadcnt_dscnt 0x0
	v_cvt_f32_f64_e32 v2, v[2:3]
	s_delay_alu instid0(VALU_DEP_1) | instskip(NEXT) | instid1(VALU_DEP_1)
	v_and_b32_e32 v3, 0x7fffffff, v2
	v_cmpx_gt_u32_e32 0x43800000, v3
	s_cbranch_execz .LBB305_26
; %bb.21:
	v_cmp_lt_u32_e32 vcc_lo, 0x3bffffff, v3
	s_mov_b32 s7, 0
                                        ; implicit-def: $vgpr3
	s_and_saveexec_b32 s8, vcc_lo
	s_delay_alu instid0(SALU_CYCLE_1)
	s_xor_b32 s8, exec_lo, s8
	s_cbranch_execnz .LBB305_282
; %bb.22:
	s_and_not1_saveexec_b32 s8, s8
	s_cbranch_execnz .LBB305_283
.LBB305_23:
	s_or_b32 exec_lo, exec_lo, s8
	v_mov_b32_e32 v4, 0
	s_and_saveexec_b32 s8, s7
.LBB305_24:
	v_lshrrev_b32_e32 v2, 24, v2
	s_delay_alu instid0(VALU_DEP_1)
	v_and_or_b32 v4, 0x80, v2, v3
.LBB305_25:
	s_or_b32 exec_lo, exec_lo, s8
.LBB305_26:
	s_delay_alu instid0(SALU_CYCLE_1)
	s_or_b32 exec_lo, exec_lo, s6
                                        ; implicit-def: $vgpr2_vgpr3
.LBB305_27:
	s_and_not1_saveexec_b32 s5, s5
	s_cbranch_execz .LBB305_35
; %bb.28:
	flat_load_b32 v2, v[2:3]
	s_wait_loadcnt_dscnt 0x101
	v_mov_b32_e32 v4, 0x80
	s_mov_b32 s6, exec_lo
	s_wait_loadcnt_dscnt 0x0
	v_and_b32_e32 v3, 0x7fffffff, v2
	s_delay_alu instid0(VALU_DEP_1)
	v_cmpx_gt_u32_e32 0x43800000, v3
	s_cbranch_execz .LBB305_34
; %bb.29:
	v_cmp_lt_u32_e32 vcc_lo, 0x3bffffff, v3
	s_mov_b32 s7, 0
                                        ; implicit-def: $vgpr3
	s_and_saveexec_b32 s8, vcc_lo
	s_delay_alu instid0(SALU_CYCLE_1)
	s_xor_b32 s8, exec_lo, s8
	s_cbranch_execnz .LBB305_284
; %bb.30:
	s_and_not1_saveexec_b32 s8, s8
	s_cbranch_execnz .LBB305_285
.LBB305_31:
	s_or_b32 exec_lo, exec_lo, s8
	v_mov_b32_e32 v4, 0
	s_and_saveexec_b32 s8, s7
.LBB305_32:
	v_lshrrev_b32_e32 v2, 24, v2
	s_delay_alu instid0(VALU_DEP_1)
	v_and_or_b32 v4, 0x80, v2, v3
.LBB305_33:
	s_or_b32 exec_lo, exec_lo, s8
.LBB305_34:
	s_delay_alu instid0(SALU_CYCLE_1)
	s_or_b32 exec_lo, exec_lo, s6
.LBB305_35:
	s_delay_alu instid0(SALU_CYCLE_1)
	s_or_b32 exec_lo, exec_lo, s5
                                        ; implicit-def: $vgpr2_vgpr3
.LBB305_36:
	s_and_not1_saveexec_b32 s4, s4
	s_cbranch_execz .LBB305_44
; %bb.37:
	flat_load_b32 v2, v[2:3]
	s_wait_loadcnt_dscnt 0x101
	v_mov_b32_e32 v4, 0x80
	s_mov_b32 s5, exec_lo
	s_wait_loadcnt_dscnt 0x0
	v_cvt_f32_f16_e32 v2, v2
	s_delay_alu instid0(VALU_DEP_1) | instskip(NEXT) | instid1(VALU_DEP_1)
	v_and_b32_e32 v3, 0x7fffffff, v2
	v_cmpx_gt_u32_e32 0x43800000, v3
	s_cbranch_execz .LBB305_43
; %bb.38:
	v_cmp_lt_u32_e32 vcc_lo, 0x3bffffff, v3
	s_mov_b32 s6, 0
                                        ; implicit-def: $vgpr3
	s_and_saveexec_b32 s7, vcc_lo
	s_delay_alu instid0(SALU_CYCLE_1)
	s_xor_b32 s7, exec_lo, s7
	s_cbranch_execnz .LBB305_266
; %bb.39:
	s_and_not1_saveexec_b32 s7, s7
	s_cbranch_execnz .LBB305_267
.LBB305_40:
	s_or_b32 exec_lo, exec_lo, s7
	v_mov_b32_e32 v4, 0
	s_and_saveexec_b32 s7, s6
.LBB305_41:
	v_lshrrev_b32_e32 v2, 24, v2
	s_delay_alu instid0(VALU_DEP_1)
	v_and_or_b32 v4, 0x80, v2, v3
.LBB305_42:
	s_or_b32 exec_lo, exec_lo, s7
.LBB305_43:
	s_delay_alu instid0(SALU_CYCLE_1)
	s_or_b32 exec_lo, exec_lo, s5
.LBB305_44:
	s_delay_alu instid0(SALU_CYCLE_1)
	s_or_b32 exec_lo, exec_lo, s4
                                        ; implicit-def: $vgpr5
                                        ; implicit-def: $vgpr2_vgpr3
.LBB305_45:
	s_and_not1_saveexec_b32 s3, s3
	s_cbranch_execz .LBB305_73
; %bb.46:
	s_mov_b32 s4, exec_lo
                                        ; implicit-def: $vgpr4
	v_cmpx_lt_i16_e32 5, v5
	s_xor_b32 s4, exec_lo, s4
	s_cbranch_execz .LBB305_64
; %bb.47:
	s_mov_b32 s5, exec_lo
                                        ; implicit-def: $vgpr4
	v_cmpx_lt_i16_e32 6, v5
	s_xor_b32 s5, exec_lo, s5
	s_cbranch_execz .LBB305_55
; %bb.48:
	flat_load_b64 v[2:3], v[2:3]
	s_wait_loadcnt_dscnt 0x101
	v_mov_b32_e32 v4, 0x80
	s_mov_b32 s6, exec_lo
	s_wait_loadcnt_dscnt 0x0
	v_cvt_f32_f64_e32 v2, v[2:3]
	s_delay_alu instid0(VALU_DEP_1) | instskip(NEXT) | instid1(VALU_DEP_1)
	v_and_b32_e32 v3, 0x7fffffff, v2
	v_cmpx_gt_u32_e32 0x43800000, v3
	s_cbranch_execz .LBB305_54
; %bb.49:
	v_cmp_lt_u32_e32 vcc_lo, 0x3bffffff, v3
	s_mov_b32 s7, 0
                                        ; implicit-def: $vgpr3
	s_and_saveexec_b32 s8, vcc_lo
	s_delay_alu instid0(SALU_CYCLE_1)
	s_xor_b32 s8, exec_lo, s8
	s_cbranch_execnz .LBB305_286
; %bb.50:
	s_and_not1_saveexec_b32 s8, s8
	s_cbranch_execnz .LBB305_287
.LBB305_51:
	s_or_b32 exec_lo, exec_lo, s8
	v_mov_b32_e32 v4, 0
	s_and_saveexec_b32 s8, s7
.LBB305_52:
	v_lshrrev_b32_e32 v2, 24, v2
	s_delay_alu instid0(VALU_DEP_1)
	v_and_or_b32 v4, 0x80, v2, v3
.LBB305_53:
	s_or_b32 exec_lo, exec_lo, s8
.LBB305_54:
	s_delay_alu instid0(SALU_CYCLE_1)
	s_or_b32 exec_lo, exec_lo, s6
                                        ; implicit-def: $vgpr2_vgpr3
.LBB305_55:
	s_and_not1_saveexec_b32 s5, s5
	s_cbranch_execz .LBB305_63
; %bb.56:
	flat_load_b32 v2, v[2:3]
	s_wait_loadcnt_dscnt 0x101
	v_mov_b32_e32 v4, 0x80
	s_mov_b32 s6, exec_lo
	s_wait_loadcnt_dscnt 0x0
	v_and_b32_e32 v3, 0x7fffffff, v2
	s_delay_alu instid0(VALU_DEP_1)
	v_cmpx_gt_u32_e32 0x43800000, v3
	s_cbranch_execz .LBB305_62
; %bb.57:
	v_cmp_lt_u32_e32 vcc_lo, 0x3bffffff, v3
	s_mov_b32 s7, 0
                                        ; implicit-def: $vgpr3
	s_and_saveexec_b32 s8, vcc_lo
	s_delay_alu instid0(SALU_CYCLE_1)
	s_xor_b32 s8, exec_lo, s8
	s_cbranch_execnz .LBB305_288
; %bb.58:
	s_and_not1_saveexec_b32 s8, s8
	s_cbranch_execnz .LBB305_289
.LBB305_59:
	s_or_b32 exec_lo, exec_lo, s8
	v_mov_b32_e32 v4, 0
	s_and_saveexec_b32 s8, s7
.LBB305_60:
	v_lshrrev_b32_e32 v2, 24, v2
	s_delay_alu instid0(VALU_DEP_1)
	v_and_or_b32 v4, 0x80, v2, v3
.LBB305_61:
	s_or_b32 exec_lo, exec_lo, s8
.LBB305_62:
	s_delay_alu instid0(SALU_CYCLE_1)
	s_or_b32 exec_lo, exec_lo, s6
.LBB305_63:
	s_delay_alu instid0(SALU_CYCLE_1)
	s_or_b32 exec_lo, exec_lo, s5
                                        ; implicit-def: $vgpr2_vgpr3
.LBB305_64:
	s_and_not1_saveexec_b32 s4, s4
	s_cbranch_execz .LBB305_72
; %bb.65:
	flat_load_u16 v2, v[2:3]
	s_wait_loadcnt_dscnt 0x101
	v_mov_b32_e32 v4, 0x80
	s_mov_b32 s5, exec_lo
	s_wait_loadcnt_dscnt 0x0
	v_cvt_f32_f16_e32 v2, v2
	s_delay_alu instid0(VALU_DEP_1) | instskip(NEXT) | instid1(VALU_DEP_1)
	v_and_b32_e32 v3, 0x7fffffff, v2
	v_cmpx_gt_u32_e32 0x43800000, v3
	s_cbranch_execz .LBB305_71
; %bb.66:
	v_cmp_lt_u32_e32 vcc_lo, 0x3bffffff, v3
	s_mov_b32 s6, 0
                                        ; implicit-def: $vgpr3
	s_and_saveexec_b32 s7, vcc_lo
	s_delay_alu instid0(SALU_CYCLE_1)
	s_xor_b32 s7, exec_lo, s7
	s_cbranch_execnz .LBB305_268
; %bb.67:
	s_and_not1_saveexec_b32 s7, s7
	s_cbranch_execnz .LBB305_269
.LBB305_68:
	s_or_b32 exec_lo, exec_lo, s7
	v_mov_b32_e32 v4, 0
	s_and_saveexec_b32 s7, s6
.LBB305_69:
	v_lshrrev_b32_e32 v2, 24, v2
	s_delay_alu instid0(VALU_DEP_1)
	v_and_or_b32 v4, 0x80, v2, v3
.LBB305_70:
	s_or_b32 exec_lo, exec_lo, s7
.LBB305_71:
	s_delay_alu instid0(SALU_CYCLE_1)
	s_or_b32 exec_lo, exec_lo, s5
.LBB305_72:
	s_delay_alu instid0(SALU_CYCLE_1)
	s_or_b32 exec_lo, exec_lo, s4
.LBB305_73:
	s_delay_alu instid0(SALU_CYCLE_1)
	s_or_b32 exec_lo, exec_lo, s3
                                        ; implicit-def: $vgpr5
                                        ; implicit-def: $vgpr2_vgpr3
.LBB305_74:
	s_and_not1_saveexec_b32 s2, s2
	s_cbranch_execz .LBB305_122
; %bb.75:
	s_mov_b32 s3, exec_lo
                                        ; implicit-def: $vgpr4
	v_cmpx_lt_i16_e32 1, v5
	s_xor_b32 s3, exec_lo, s3
	s_cbranch_execz .LBB305_103
; %bb.76:
	s_mov_b32 s4, exec_lo
                                        ; implicit-def: $vgpr4
	v_cmpx_lt_i16_e32 2, v5
	s_xor_b32 s4, exec_lo, s4
	;; [unrolled: 6-line block ×3, first 2 shown]
	s_cbranch_execz .LBB305_85
; %bb.78:
	flat_load_b64 v[2:3], v[2:3]
	s_mov_b32 s6, exec_lo
	s_wait_loadcnt_dscnt 0x0
	v_xor_b32_e32 v4, v2, v3
	v_cls_i32_e32 v5, v3
	s_delay_alu instid0(VALU_DEP_2) | instskip(NEXT) | instid1(VALU_DEP_1)
	v_ashrrev_i32_e32 v4, 31, v4
	v_add_nc_u32_e32 v4, 32, v4
	s_delay_alu instid0(VALU_DEP_1) | instskip(SKIP_1) | instid1(VALU_DEP_1)
	v_add_min_u32_e64 v4, v5, -1, v4
	s_wait_xcnt 0x0
	v_lshlrev_b64_e32 v[2:3], v4, v[2:3]
	s_delay_alu instid0(VALU_DEP_1) | instskip(NEXT) | instid1(VALU_DEP_1)
	v_min_u32_e32 v2, 1, v2
	v_dual_sub_nc_u32 v3, 32, v4 :: v_dual_bitop2_b32 v2, v3, v2 bitop3:0x54
	v_mov_b32_e32 v4, 0x80
	s_delay_alu instid0(VALU_DEP_2) | instskip(NEXT) | instid1(VALU_DEP_1)
	v_cvt_f32_i32_e32 v2, v2
	v_ldexp_f32 v2, v2, v3
	s_delay_alu instid0(VALU_DEP_1) | instskip(NEXT) | instid1(VALU_DEP_1)
	v_and_b32_e32 v3, 0x7fffffff, v2
	v_cmpx_gt_u32_e32 0x43800000, v3
	s_cbranch_execz .LBB305_84
; %bb.79:
	v_cmp_lt_u32_e32 vcc_lo, 0x3bffffff, v3
	s_mov_b32 s7, 0
                                        ; implicit-def: $vgpr3
	s_and_saveexec_b32 s8, vcc_lo
	s_delay_alu instid0(SALU_CYCLE_1)
	s_xor_b32 s8, exec_lo, s8
	s_cbranch_execnz .LBB305_290
; %bb.80:
	s_and_not1_saveexec_b32 s8, s8
	s_cbranch_execnz .LBB305_291
.LBB305_81:
	s_or_b32 exec_lo, exec_lo, s8
	v_mov_b32_e32 v4, 0
	s_and_saveexec_b32 s8, s7
.LBB305_82:
	v_lshrrev_b32_e32 v2, 24, v2
	s_delay_alu instid0(VALU_DEP_1)
	v_and_or_b32 v4, 0x80, v2, v3
.LBB305_83:
	s_or_b32 exec_lo, exec_lo, s8
.LBB305_84:
	s_delay_alu instid0(SALU_CYCLE_1)
	s_or_b32 exec_lo, exec_lo, s6
                                        ; implicit-def: $vgpr2_vgpr3
.LBB305_85:
	s_and_not1_saveexec_b32 s5, s5
	s_cbranch_execz .LBB305_93
; %bb.86:
	flat_load_b32 v2, v[2:3]
	s_wait_loadcnt_dscnt 0x101
	v_mov_b32_e32 v4, 0x80
	s_mov_b32 s6, exec_lo
	s_wait_loadcnt_dscnt 0x0
	v_cvt_f32_i32_e32 v2, v2
	s_delay_alu instid0(VALU_DEP_1) | instskip(NEXT) | instid1(VALU_DEP_1)
	v_and_b32_e32 v3, 0x7fffffff, v2
	v_cmpx_gt_u32_e32 0x43800000, v3
	s_cbranch_execz .LBB305_92
; %bb.87:
	v_cmp_lt_u32_e32 vcc_lo, 0x3bffffff, v3
	s_mov_b32 s7, 0
                                        ; implicit-def: $vgpr3
	s_and_saveexec_b32 s8, vcc_lo
	s_delay_alu instid0(SALU_CYCLE_1)
	s_xor_b32 s8, exec_lo, s8
	s_cbranch_execnz .LBB305_292
; %bb.88:
	s_and_not1_saveexec_b32 s8, s8
	s_cbranch_execnz .LBB305_293
.LBB305_89:
	s_or_b32 exec_lo, exec_lo, s8
	v_mov_b32_e32 v4, 0
	s_and_saveexec_b32 s8, s7
.LBB305_90:
	v_lshrrev_b32_e32 v2, 24, v2
	s_delay_alu instid0(VALU_DEP_1)
	v_and_or_b32 v4, 0x80, v2, v3
.LBB305_91:
	s_or_b32 exec_lo, exec_lo, s8
.LBB305_92:
	s_delay_alu instid0(SALU_CYCLE_1)
	s_or_b32 exec_lo, exec_lo, s6
.LBB305_93:
	s_delay_alu instid0(SALU_CYCLE_1)
	s_or_b32 exec_lo, exec_lo, s5
                                        ; implicit-def: $vgpr2_vgpr3
.LBB305_94:
	s_and_not1_saveexec_b32 s4, s4
	s_cbranch_execz .LBB305_102
; %bb.95:
	flat_load_i16 v2, v[2:3]
	s_wait_loadcnt_dscnt 0x101
	v_mov_b32_e32 v4, 0x80
	s_mov_b32 s5, exec_lo
	s_wait_loadcnt_dscnt 0x0
	v_cvt_f32_i32_e32 v2, v2
	s_delay_alu instid0(VALU_DEP_1) | instskip(NEXT) | instid1(VALU_DEP_1)
	v_and_b32_e32 v3, 0x7fffffff, v2
	v_cmpx_gt_u32_e32 0x43800000, v3
	s_cbranch_execz .LBB305_101
; %bb.96:
	v_cmp_lt_u32_e32 vcc_lo, 0x3bffffff, v3
	s_mov_b32 s6, 0
                                        ; implicit-def: $vgpr3
	s_and_saveexec_b32 s7, vcc_lo
	s_delay_alu instid0(SALU_CYCLE_1)
	s_xor_b32 s7, exec_lo, s7
	s_cbranch_execnz .LBB305_270
; %bb.97:
	s_and_not1_saveexec_b32 s7, s7
	s_cbranch_execnz .LBB305_271
.LBB305_98:
	s_or_b32 exec_lo, exec_lo, s7
	v_mov_b32_e32 v4, 0
	s_and_saveexec_b32 s7, s6
.LBB305_99:
	v_lshrrev_b32_e32 v2, 24, v2
	s_delay_alu instid0(VALU_DEP_1)
	v_and_or_b32 v4, 0x80, v2, v3
.LBB305_100:
	s_or_b32 exec_lo, exec_lo, s7
.LBB305_101:
	s_delay_alu instid0(SALU_CYCLE_1)
	s_or_b32 exec_lo, exec_lo, s5
.LBB305_102:
	s_delay_alu instid0(SALU_CYCLE_1)
	s_or_b32 exec_lo, exec_lo, s4
                                        ; implicit-def: $vgpr5
                                        ; implicit-def: $vgpr2_vgpr3
.LBB305_103:
	s_and_not1_saveexec_b32 s3, s3
	s_cbranch_execz .LBB305_121
; %bb.104:
	s_mov_b32 s4, exec_lo
                                        ; implicit-def: $vgpr4
	v_cmpx_lt_i16_e32 0, v5
	s_xor_b32 s4, exec_lo, s4
	s_cbranch_execz .LBB305_112
; %bb.105:
	flat_load_i8 v2, v[2:3]
	s_wait_loadcnt_dscnt 0x101
	v_mov_b32_e32 v4, 0x80
	s_mov_b32 s5, exec_lo
	s_wait_loadcnt_dscnt 0x0
	v_cvt_f32_i32_e32 v2, v2
	s_delay_alu instid0(VALU_DEP_1) | instskip(NEXT) | instid1(VALU_DEP_1)
	v_and_b32_e32 v3, 0x7fffffff, v2
	v_cmpx_gt_u32_e32 0x43800000, v3
	s_cbranch_execz .LBB305_111
; %bb.106:
	v_cmp_lt_u32_e32 vcc_lo, 0x3bffffff, v3
	s_mov_b32 s6, 0
                                        ; implicit-def: $vgpr3
	s_and_saveexec_b32 s7, vcc_lo
	s_delay_alu instid0(SALU_CYCLE_1)
	s_xor_b32 s7, exec_lo, s7
	s_cbranch_execnz .LBB305_272
; %bb.107:
	s_and_not1_saveexec_b32 s7, s7
	s_cbranch_execnz .LBB305_273
.LBB305_108:
	s_or_b32 exec_lo, exec_lo, s7
	v_mov_b32_e32 v4, 0
	s_and_saveexec_b32 s7, s6
.LBB305_109:
	v_lshrrev_b32_e32 v2, 24, v2
	s_delay_alu instid0(VALU_DEP_1)
	v_and_or_b32 v4, 0x80, v2, v3
.LBB305_110:
	s_or_b32 exec_lo, exec_lo, s7
.LBB305_111:
	s_delay_alu instid0(SALU_CYCLE_1)
	s_or_b32 exec_lo, exec_lo, s5
                                        ; implicit-def: $vgpr2_vgpr3
.LBB305_112:
	s_and_not1_saveexec_b32 s4, s4
	s_cbranch_execz .LBB305_120
; %bb.113:
	flat_load_u8 v2, v[2:3]
	s_wait_loadcnt_dscnt 0x101
	v_mov_b32_e32 v4, 0x80
	s_mov_b32 s5, exec_lo
	s_wait_loadcnt_dscnt 0x0
	v_cvt_f32_ubyte0_e32 v3, v2
	s_delay_alu instid0(VALU_DEP_1)
	v_cmpx_gt_u32_e32 0x43800000, v3
	s_cbranch_execz .LBB305_119
; %bb.114:
	s_mov_b32 s6, 0
	s_mov_b32 s7, exec_lo
                                        ; implicit-def: $vgpr2
	v_cmpx_lt_u32_e32 0x3bffffff, v3
	s_xor_b32 s7, exec_lo, s7
	s_cbranch_execnz .LBB305_274
; %bb.115:
	s_and_not1_saveexec_b32 s7, s7
	s_cbranch_execnz .LBB305_275
.LBB305_116:
	s_or_b32 exec_lo, exec_lo, s7
	v_mov_b32_e32 v4, 0
	s_and_saveexec_b32 s7, s6
.LBB305_117:
	v_mov_b32_e32 v4, v2
.LBB305_118:
	s_or_b32 exec_lo, exec_lo, s7
.LBB305_119:
	s_delay_alu instid0(SALU_CYCLE_1)
	s_or_b32 exec_lo, exec_lo, s5
.LBB305_120:
	s_delay_alu instid0(SALU_CYCLE_1)
	s_or_b32 exec_lo, exec_lo, s4
.LBB305_121:
	s_delay_alu instid0(SALU_CYCLE_1)
	s_or_b32 exec_lo, exec_lo, s3
.LBB305_122:
	s_delay_alu instid0(SALU_CYCLE_1) | instskip(NEXT) | instid1(SALU_CYCLE_1)
	s_or_b32 exec_lo, exec_lo, s2
	s_or_b32 s1, s1, exec_lo
	s_or_b32 exec_lo, exec_lo, s0
                                        ; implicit-def: $sgpr2
	s_and_saveexec_b32 s0, s1
	s_cbranch_execz .LBB305_3
.LBB305_123:
	s_mov_b32 s1, exec_lo
                                        ; implicit-def: $sgpr2
	v_cmpx_ne_u32_e32 0, v0
	s_xor_b32 s1, exec_lo, s1
	s_cbranch_execz .LBB305_133
; %bb.124:
	v_and_b32_e32 v2, 0xff, v1
	s_mov_b32 s2, 0
	s_mov_b32 s3, exec_lo
	s_delay_alu instid0(VALU_DEP_1)
	v_cmpx_lt_i16_e32 0x7f, v2
	s_xor_b32 s3, exec_lo, s3
	s_cbranch_execnz .LBB305_248
; %bb.125:
	s_or_saveexec_b32 s3, s3
	v_mov_b32_e32 v0, 0x7f800001
	s_xor_b32 exec_lo, exec_lo, s3
	s_cbranch_execnz .LBB305_251
.LBB305_126:
	s_or_b32 exec_lo, exec_lo, s3
	s_and_saveexec_b32 s3, s2
	s_cbranch_execz .LBB305_128
.LBB305_127:
	v_and_b32_e32 v0, 7, v1
	v_lshrrev_b16 v3, 3, v1
	s_delay_alu instid0(VALU_DEP_2) | instskip(NEXT) | instid1(VALU_DEP_1)
	v_clz_i32_u32_e32 v2, v0
	v_min_u32_e32 v2, 32, v2
	s_delay_alu instid0(VALU_DEP_3) | instskip(NEXT) | instid1(VALU_DEP_2)
	v_and_b32_e32 v3, 15, v3
	v_subrev_nc_u32_e32 v5, 28, v2
	v_sub_nc_u32_e32 v2, 29, v2
	s_delay_alu instid0(VALU_DEP_3) | instskip(NEXT) | instid1(VALU_DEP_2)
	v_cmp_eq_u32_e32 vcc_lo, 0, v3
	v_dual_cndmask_b32 v2, v3, v2 :: v_dual_lshlrev_b32 v5, v5, v1
	s_delay_alu instid0(VALU_DEP_1) | instskip(NEXT) | instid1(VALU_DEP_2)
	v_and_b32_e32 v5, 7, v5
	v_lshl_add_u32 v2, v2, 23, 0x3b800000
	s_delay_alu instid0(VALU_DEP_2) | instskip(NEXT) | instid1(VALU_DEP_1)
	v_cndmask_b32_e32 v0, v0, v5, vcc_lo
	v_dual_lshlrev_b32 v1, 24, v1 :: v_dual_lshlrev_b32 v0, 20, v0
	s_delay_alu instid0(VALU_DEP_1) | instskip(NEXT) | instid1(VALU_DEP_1)
	v_and_b32_e32 v1, 0x80000000, v1
	v_or3_b32 v0, v1, v2, v0
.LBB305_128:
	s_or_b32 exec_lo, exec_lo, s3
	s_wait_loadcnt_dscnt 0x0
	v_and_b32_e32 v2, 0xff, v4
	s_mov_b32 s2, 0
	s_mov_b32 s3, exec_lo
	s_delay_alu instid0(VALU_DEP_1)
	v_cmpx_lt_i16_e32 0x7f, v2
	s_xor_b32 s3, exec_lo, s3
	s_cbranch_execnz .LBB305_252
; %bb.129:
	s_or_saveexec_b32 s3, s3
	v_mov_b32_e32 v1, 0x7f800001
	s_xor_b32 exec_lo, exec_lo, s3
	s_cbranch_execnz .LBB305_255
.LBB305_130:
	s_or_b32 exec_lo, exec_lo, s3
	s_and_saveexec_b32 s3, s2
	s_cbranch_execz .LBB305_132
.LBB305_131:
	v_and_b32_e32 v1, 7, v4
	v_lshrrev_b16 v3, 3, v4
	s_delay_alu instid0(VALU_DEP_2) | instskip(NEXT) | instid1(VALU_DEP_1)
	v_clz_i32_u32_e32 v2, v1
	v_min_u32_e32 v2, 32, v2
	s_delay_alu instid0(VALU_DEP_3) | instskip(NEXT) | instid1(VALU_DEP_2)
	v_and_b32_e32 v3, 15, v3
	v_subrev_nc_u32_e32 v5, 28, v2
	v_sub_nc_u32_e32 v2, 29, v2
	s_delay_alu instid0(VALU_DEP_3) | instskip(NEXT) | instid1(VALU_DEP_3)
	v_cmp_eq_u32_e32 vcc_lo, 0, v3
	v_dual_lshlrev_b32 v5, v5, v4 :: v_dual_lshlrev_b32 v4, 24, v4
	s_delay_alu instid0(VALU_DEP_1) | instskip(NEXT) | instid1(VALU_DEP_2)
	v_dual_cndmask_b32 v2, v3, v2, vcc_lo :: v_dual_bitop2_b32 v5, 7, v5 bitop3:0x40
	v_and_b32_e32 v3, 0x80000000, v4
	s_delay_alu instid0(VALU_DEP_2) | instskip(NEXT) | instid1(VALU_DEP_3)
	v_cndmask_b32_e32 v1, v1, v5, vcc_lo
	v_lshl_add_u32 v2, v2, 23, 0x3b800000
	s_delay_alu instid0(VALU_DEP_2) | instskip(NEXT) | instid1(VALU_DEP_1)
	v_lshlrev_b32_e32 v1, 20, v1
	v_or3_b32 v1, v3, v2, v1
.LBB305_132:
	s_or_b32 exec_lo, exec_lo, s3
	s_delay_alu instid0(VALU_DEP_1)
	v_cmp_neq_f32_e64 s2, v0, v1
                                        ; implicit-def: $vgpr4
                                        ; implicit-def: $vgpr1
.LBB305_133:
	s_and_not1_saveexec_b32 s1, s1
	s_cbranch_execz .LBB305_3
; %bb.134:
	v_and_b32_e32 v2, 0xff, v1
	s_mov_b32 s1, 0
	s_mov_b32 s3, exec_lo
	s_delay_alu instid0(VALU_DEP_1)
	v_cmpx_lt_i16_e32 0x7f, v2
	s_xor_b32 s3, exec_lo, s3
	s_cbranch_execnz .LBB305_256
; %bb.135:
	s_or_saveexec_b32 s3, s3
	v_mov_b32_e32 v0, 0x7f800001
	s_xor_b32 exec_lo, exec_lo, s3
	s_cbranch_execnz .LBB305_259
.LBB305_136:
	s_or_b32 exec_lo, exec_lo, s3
	s_and_saveexec_b32 s3, s1
	s_cbranch_execz .LBB305_138
.LBB305_137:
	v_and_b32_e32 v0, 7, v1
	v_lshrrev_b16 v3, 3, v1
	s_delay_alu instid0(VALU_DEP_2) | instskip(NEXT) | instid1(VALU_DEP_1)
	v_clz_i32_u32_e32 v2, v0
	v_min_u32_e32 v2, 32, v2
	s_delay_alu instid0(VALU_DEP_3) | instskip(NEXT) | instid1(VALU_DEP_2)
	v_and_b32_e32 v3, 15, v3
	v_subrev_nc_u32_e32 v5, 28, v2
	v_sub_nc_u32_e32 v2, 29, v2
	s_delay_alu instid0(VALU_DEP_3) | instskip(NEXT) | instid1(VALU_DEP_2)
	v_cmp_eq_u32_e32 vcc_lo, 0, v3
	v_dual_cndmask_b32 v2, v3, v2 :: v_dual_lshlrev_b32 v5, v5, v1
	s_delay_alu instid0(VALU_DEP_1) | instskip(NEXT) | instid1(VALU_DEP_2)
	v_and_b32_e32 v5, 7, v5
	v_lshl_add_u32 v2, v2, 23, 0x3b800000
	s_delay_alu instid0(VALU_DEP_2) | instskip(NEXT) | instid1(VALU_DEP_1)
	v_cndmask_b32_e32 v0, v0, v5, vcc_lo
	v_dual_lshlrev_b32 v1, 24, v1 :: v_dual_lshlrev_b32 v0, 20, v0
	s_delay_alu instid0(VALU_DEP_1) | instskip(NEXT) | instid1(VALU_DEP_1)
	v_and_b32_e32 v1, 0x80000000, v1
	v_or3_b32 v0, v1, v2, v0
.LBB305_138:
	s_or_b32 exec_lo, exec_lo, s3
	s_wait_loadcnt_dscnt 0x0
	v_and_b32_e32 v2, 0xff, v4
	s_mov_b32 s1, 0
	s_mov_b32 s3, exec_lo
	s_delay_alu instid0(VALU_DEP_1)
	v_cmpx_lt_i16_e32 0x7f, v2
	s_xor_b32 s3, exec_lo, s3
	s_cbranch_execnz .LBB305_260
; %bb.139:
	s_or_saveexec_b32 s3, s3
	v_mov_b32_e32 v1, 0x7f800001
	s_xor_b32 exec_lo, exec_lo, s3
	s_cbranch_execnz .LBB305_263
.LBB305_140:
	s_or_b32 exec_lo, exec_lo, s3
	s_and_saveexec_b32 s3, s1
	s_cbranch_execz .LBB305_142
.LBB305_141:
	v_and_b32_e32 v1, 7, v4
	v_lshrrev_b16 v3, 3, v4
	s_delay_alu instid0(VALU_DEP_2) | instskip(NEXT) | instid1(VALU_DEP_1)
	v_clz_i32_u32_e32 v2, v1
	v_min_u32_e32 v2, 32, v2
	s_delay_alu instid0(VALU_DEP_3) | instskip(NEXT) | instid1(VALU_DEP_2)
	v_and_b32_e32 v3, 15, v3
	v_subrev_nc_u32_e32 v5, 28, v2
	v_sub_nc_u32_e32 v2, 29, v2
	s_delay_alu instid0(VALU_DEP_3) | instskip(NEXT) | instid1(VALU_DEP_3)
	v_cmp_eq_u32_e32 vcc_lo, 0, v3
	v_dual_lshlrev_b32 v5, v5, v4 :: v_dual_lshlrev_b32 v4, 24, v4
	s_delay_alu instid0(VALU_DEP_1) | instskip(NEXT) | instid1(VALU_DEP_2)
	v_dual_cndmask_b32 v2, v3, v2, vcc_lo :: v_dual_bitop2_b32 v5, 7, v5 bitop3:0x40
	v_and_b32_e32 v3, 0x80000000, v4
	s_delay_alu instid0(VALU_DEP_2) | instskip(NEXT) | instid1(VALU_DEP_3)
	v_cndmask_b32_e32 v1, v1, v5, vcc_lo
	v_lshl_add_u32 v2, v2, 23, 0x3b800000
	s_delay_alu instid0(VALU_DEP_2) | instskip(NEXT) | instid1(VALU_DEP_1)
	v_lshlrev_b32_e32 v1, 20, v1
	v_or3_b32 v1, v3, v2, v1
.LBB305_142:
	s_or_b32 exec_lo, exec_lo, s3
	s_delay_alu instid0(VALU_DEP_1) | instskip(SKIP_2) | instid1(SALU_CYCLE_1)
	v_cmp_eq_f32_e32 vcc_lo, v0, v1
	s_and_not1_b32 s1, s2, exec_lo
	s_and_b32 s2, vcc_lo, exec_lo
	s_or_b32 s2, s1, s2
	s_or_b32 exec_lo, exec_lo, s0
	v_cndmask_b32_e64 v0, 0, 1, s2
	s_set_pc_i64 s[30:31]
.LBB305_143:
	s_mov_b32 s5, 0
	s_mov_b32 s1, exec_lo
                                        ; implicit-def: $vgpr4
	v_cmpx_lt_i16_e32 28, v5
	s_xor_b32 s1, exec_lo, s1
	s_cbranch_execz .LBB305_177
; %bb.144:
	s_mov_b32 s6, 0
	s_mov_b32 s7, 0
	s_mov_b32 s4, exec_lo
                                        ; implicit-def: $vgpr4
	v_cmpx_lt_i16_e32 43, v5
	s_xor_b32 s4, exec_lo, s4
	s_cbranch_execz .LBB305_166
; %bb.145:
	s_mov_b32 s7, exec_lo
                                        ; implicit-def: $vgpr4
	v_cmpx_lt_i16_e32 45, v5
	s_xor_b32 s7, exec_lo, s7
	s_cbranch_execz .LBB305_155
; %bb.146:
	s_mov_b32 s8, -1
	s_mov_b32 s5, exec_lo
                                        ; implicit-def: $vgpr4
	v_cmpx_eq_u16_e32 46, v5
	s_cbranch_execz .LBB305_154
; %bb.147:
	flat_load_b32 v4, v[2:3]
	s_mov_b32 s6, exec_lo
	s_wait_loadcnt_dscnt 0x0
	v_dual_mov_b32 v4, 0x80 :: v_dual_lshlrev_b32 v5, 16, v4
	s_delay_alu instid0(VALU_DEP_1) | instskip(SKIP_1) | instid1(VALU_DEP_1)
	v_and_b32_e32 v6, 0x7fffffff, v5
	s_wait_xcnt 0x0
	v_cmpx_gt_u32_e32 0x43800000, v6
	s_cbranch_execz .LBB305_153
; %bb.148:
	v_cmp_lt_u32_e32 vcc_lo, 0x3bffffff, v6
	s_mov_b32 s8, 0
                                        ; implicit-def: $vgpr6
	s_and_saveexec_b32 s9, vcc_lo
	s_delay_alu instid0(SALU_CYCLE_1)
	s_xor_b32 s9, exec_lo, s9
	s_cbranch_execnz .LBB305_306
; %bb.149:
	s_and_not1_saveexec_b32 s9, s9
	s_cbranch_execnz .LBB305_307
.LBB305_150:
	s_or_b32 exec_lo, exec_lo, s9
	v_mov_b32_e32 v4, 0
	s_and_saveexec_b32 s9, s8
.LBB305_151:
	v_lshrrev_b32_e32 v4, 24, v5
	s_delay_alu instid0(VALU_DEP_1)
	v_and_or_b32 v4, 0x80, v4, v6
.LBB305_152:
	s_or_b32 exec_lo, exec_lo, s9
.LBB305_153:
	s_delay_alu instid0(SALU_CYCLE_1) | instskip(NEXT) | instid1(SALU_CYCLE_1)
	s_or_b32 exec_lo, exec_lo, s6
	s_mov_b32 s6, exec_lo
	s_xor_b32 s8, exec_lo, -1
.LBB305_154:
	s_or_b32 exec_lo, exec_lo, s5
	s_delay_alu instid0(SALU_CYCLE_1)
	s_and_b32 s6, s6, exec_lo
	s_and_b32 s5, s8, exec_lo
                                        ; implicit-def: $vgpr5
.LBB305_155:
	s_and_not1_saveexec_b32 s7, s7
	s_cbranch_execz .LBB305_165
; %bb.156:
	s_mov_b32 s9, -1
	s_mov_b32 s10, s6
	s_mov_b32 s8, exec_lo
                                        ; implicit-def: $vgpr4
	v_cmpx_eq_u16_e32 44, v5
	s_cbranch_execz .LBB305_164
; %bb.157:
	flat_load_u8 v4, v[2:3]
	s_mov_b32 s10, 0
	s_mov_b32 s9, exec_lo
	s_wait_loadcnt_dscnt 0x0
	v_lshlrev_b32_e32 v5, 23, v4
	v_cmp_ne_u32_e32 vcc_lo, 0xff, v4
	s_delay_alu instid0(VALU_DEP_2) | instskip(SKIP_2) | instid1(VALU_DEP_3)
	v_cndmask_b32_e32 v5, 0x7f800001, v5, vcc_lo
	v_cmp_ne_u32_e32 vcc_lo, 0, v4
	v_mov_b32_e32 v4, 0x80
	v_cndmask_b32_e32 v6, 0x400000, v5, vcc_lo
	s_wait_xcnt 0x0
	s_delay_alu instid0(VALU_DEP_1)
	v_cmpx_gt_u32_e32 0x43800000, v6
	s_cbranch_execz .LBB305_163
; %bb.158:
	s_mov_b32 s11, exec_lo
                                        ; implicit-def: $vgpr5
	v_cmpx_lt_u32_e32 0x3bffffff, v6
	s_xor_b32 s11, exec_lo, s11
	s_cbranch_execnz .LBB305_308
; %bb.159:
	s_and_not1_saveexec_b32 s11, s11
	s_cbranch_execnz .LBB305_309
.LBB305_160:
	s_or_b32 exec_lo, exec_lo, s11
	v_mov_b32_e32 v4, 0
	s_and_saveexec_b32 s11, s10
.LBB305_161:
	v_mov_b32_e32 v4, v5
.LBB305_162:
	s_or_b32 exec_lo, exec_lo, s11
.LBB305_163:
	s_delay_alu instid0(SALU_CYCLE_1) | instskip(NEXT) | instid1(SALU_CYCLE_1)
	s_or_b32 exec_lo, exec_lo, s9
	s_or_b32 s10, s6, exec_lo
	s_xor_b32 s9, exec_lo, -1
.LBB305_164:
	s_or_b32 exec_lo, exec_lo, s8
	s_delay_alu instid0(SALU_CYCLE_1)
	s_and_not1_b32 s6, s6, exec_lo
	s_and_b32 s8, s10, exec_lo
	s_and_not1_b32 s5, s5, exec_lo
	s_and_b32 s9, s9, exec_lo
	s_or_b32 s6, s6, s8
	s_or_b32 s5, s5, s9
.LBB305_165:
	s_or_b32 exec_lo, exec_lo, s7
	s_delay_alu instid0(SALU_CYCLE_1)
	s_and_b32 s7, s6, exec_lo
	s_and_b32 s6, s5, exec_lo
                                        ; implicit-def: $vgpr5
.LBB305_166:
	s_and_not1_saveexec_b32 s4, s4
	s_cbranch_execz .LBB305_176
; %bb.167:
	s_mov_b32 s8, -1
	s_mov_b32 s9, s7
	s_mov_b32 s5, exec_lo
                                        ; implicit-def: $vgpr4
	v_cmpx_eq_u16_e32 29, v5
	s_cbranch_execz .LBB305_175
; %bb.168:
	flat_load_b64 v[4:5], v[2:3]
	s_mov_b32 s8, exec_lo
	s_wait_loadcnt_dscnt 0x0
	v_clz_i32_u32_e32 v6, v5
	s_delay_alu instid0(VALU_DEP_1) | instskip(NEXT) | instid1(VALU_DEP_1)
	v_min_u32_e32 v6, 32, v6
	v_lshlrev_b64_e32 v[4:5], v6, v[4:5]
	s_delay_alu instid0(VALU_DEP_1) | instskip(NEXT) | instid1(VALU_DEP_1)
	v_min_u32_e32 v4, 1, v4
	v_dual_sub_nc_u32 v5, 32, v6 :: v_dual_bitop2_b32 v4, v5, v4 bitop3:0x54
	s_delay_alu instid0(VALU_DEP_1) | instskip(NEXT) | instid1(VALU_DEP_1)
	v_cvt_f32_u32_e32 v4, v4
	v_ldexp_f32 v6, v4, v5
	v_mov_b32_e32 v4, 0x80
	s_wait_xcnt 0x0
	s_delay_alu instid0(VALU_DEP_2)
	v_cmpx_gt_u32_e32 0x43800000, v6
	s_cbranch_execz .LBB305_174
; %bb.169:
	s_mov_b32 s9, 0
	s_mov_b32 s10, exec_lo
                                        ; implicit-def: $vgpr5
	v_cmpx_lt_u32_e32 0x3bffffff, v6
	s_xor_b32 s10, exec_lo, s10
	s_cbranch_execnz .LBB305_294
; %bb.170:
	s_and_not1_saveexec_b32 s10, s10
	s_cbranch_execnz .LBB305_295
.LBB305_171:
	s_or_b32 exec_lo, exec_lo, s10
	v_mov_b32_e32 v4, 0
	s_and_saveexec_b32 s10, s9
.LBB305_172:
	v_mov_b32_e32 v4, v5
.LBB305_173:
	s_or_b32 exec_lo, exec_lo, s10
.LBB305_174:
	s_delay_alu instid0(SALU_CYCLE_1) | instskip(NEXT) | instid1(SALU_CYCLE_1)
	s_or_b32 exec_lo, exec_lo, s8
	s_or_b32 s9, s7, exec_lo
	s_xor_b32 s8, exec_lo, -1
.LBB305_175:
	s_or_b32 exec_lo, exec_lo, s5
	s_delay_alu instid0(SALU_CYCLE_1)
	s_and_not1_b32 s5, s7, exec_lo
	s_and_b32 s7, s9, exec_lo
	s_and_not1_b32 s6, s6, exec_lo
	s_and_b32 s8, s8, exec_lo
	s_or_b32 s7, s5, s7
	s_or_b32 s6, s6, s8
.LBB305_176:
	s_or_b32 exec_lo, exec_lo, s4
	s_delay_alu instid0(SALU_CYCLE_1)
	s_and_b32 s5, s7, exec_lo
	s_and_b32 s4, s6, exec_lo
                                        ; implicit-def: $vgpr5
.LBB305_177:
	s_and_not1_saveexec_b32 s1, s1
	s_cbranch_execz .LBB305_199
; %bb.178:
	s_mov_b32 s6, exec_lo
                                        ; implicit-def: $vgpr4
	v_cmpx_lt_i16_e32 26, v5
	s_xor_b32 s6, exec_lo, s6
	s_cbranch_execz .LBB305_196
; %bb.179:
	s_mov_b32 s7, exec_lo
                                        ; implicit-def: $vgpr4
	v_cmpx_lt_i16_e32 27, v5
	s_xor_b32 s7, exec_lo, s7
	s_cbranch_execz .LBB305_187
; %bb.180:
	flat_load_b32 v4, v[2:3]
	s_mov_b32 s8, exec_lo
	s_wait_loadcnt_dscnt 0x0
	v_cvt_f32_u32_e32 v6, v4
	v_mov_b32_e32 v4, 0x80
	s_wait_xcnt 0x0
	s_delay_alu instid0(VALU_DEP_2)
	v_cmpx_gt_u32_e32 0x43800000, v6
	s_cbranch_execz .LBB305_186
; %bb.181:
	s_mov_b32 s9, 0
	s_mov_b32 s10, exec_lo
                                        ; implicit-def: $vgpr5
	v_cmpx_lt_u32_e32 0x3bffffff, v6
	s_xor_b32 s10, exec_lo, s10
	s_cbranch_execnz .LBB305_296
; %bb.182:
	s_and_not1_saveexec_b32 s10, s10
	s_cbranch_execnz .LBB305_297
.LBB305_183:
	s_or_b32 exec_lo, exec_lo, s10
	v_mov_b32_e32 v4, 0
	s_and_saveexec_b32 s10, s9
.LBB305_184:
	v_mov_b32_e32 v4, v5
.LBB305_185:
	s_or_b32 exec_lo, exec_lo, s10
.LBB305_186:
	s_delay_alu instid0(SALU_CYCLE_1)
	s_or_b32 exec_lo, exec_lo, s8
.LBB305_187:
	s_and_not1_saveexec_b32 s7, s7
	s_cbranch_execz .LBB305_195
; %bb.188:
	flat_load_u16 v4, v[2:3]
	s_mov_b32 s8, exec_lo
	s_wait_loadcnt_dscnt 0x0
	v_cvt_f32_u32_e32 v6, v4
	v_mov_b32_e32 v4, 0x80
	s_wait_xcnt 0x0
	s_delay_alu instid0(VALU_DEP_2)
	v_cmpx_gt_u32_e32 0x43800000, v6
	s_cbranch_execz .LBB305_194
; %bb.189:
	s_mov_b32 s9, 0
	s_mov_b32 s10, exec_lo
                                        ; implicit-def: $vgpr5
	v_cmpx_lt_u32_e32 0x3bffffff, v6
	s_xor_b32 s10, exec_lo, s10
	s_cbranch_execnz .LBB305_298
; %bb.190:
	s_and_not1_saveexec_b32 s10, s10
	s_cbranch_execnz .LBB305_299
.LBB305_191:
	s_or_b32 exec_lo, exec_lo, s10
	v_mov_b32_e32 v4, 0
	s_and_saveexec_b32 s10, s9
.LBB305_192:
	v_mov_b32_e32 v4, v5
.LBB305_193:
	s_or_b32 exec_lo, exec_lo, s10
.LBB305_194:
	s_delay_alu instid0(SALU_CYCLE_1)
	s_or_b32 exec_lo, exec_lo, s8
.LBB305_195:
	s_delay_alu instid0(SALU_CYCLE_1)
	s_or_b32 exec_lo, exec_lo, s7
.LBB305_196:
	s_and_not1_saveexec_b32 s6, s6
	s_cbranch_execz .LBB305_198
; %bb.197:
	flat_load_u8 v4, v[2:3]
.LBB305_198:
	s_wait_xcnt 0x0
	s_or_b32 exec_lo, exec_lo, s6
	s_delay_alu instid0(SALU_CYCLE_1)
	s_or_b32 s5, s5, exec_lo
.LBB305_199:
	s_or_b32 exec_lo, exec_lo, s1
	s_delay_alu instid0(SALU_CYCLE_1)
	s_and_b32 s1, s5, exec_lo
	s_and_b32 s4, s4, exec_lo
                                        ; implicit-def: $vgpr5
	s_and_not1_saveexec_b32 s3, s3
	s_cbranch_execz .LBB305_6
.LBB305_200:
	s_mov_b32 s5, s1
	s_mov_b32 s2, exec_lo
                                        ; implicit-def: $vgpr4
	v_cmpx_lt_i16_e32 22, v5
	s_xor_b32 s2, exec_lo, s2
	s_cbranch_execz .LBB305_232
; %bb.201:
	s_mov_b32 s5, exec_lo
                                        ; implicit-def: $vgpr4
	v_cmpx_lt_i16_e32 23, v5
	s_xor_b32 s5, exec_lo, s5
	s_cbranch_execz .LBB305_223
; %bb.202:
	;; [unrolled: 6-line block ×3, first 2 shown]
	s_wait_loadcnt_dscnt 0x0
	flat_load_u8 v4, v[2:3]
	s_mov_b32 s7, 0
	s_mov_b32 s8, exec_lo
	s_wait_loadcnt_dscnt 0x0
	v_cmpx_lt_i16_e32 0x7f, v4
	s_xor_b32 s8, exec_lo, s8
	s_cbranch_execnz .LBB305_276
; %bb.204:
	s_or_saveexec_b32 s8, s8
	v_mov_b32_e32 v5, 0x7f800001
	s_xor_b32 exec_lo, exec_lo, s8
	s_cbranch_execnz .LBB305_279
.LBB305_205:
	s_or_b32 exec_lo, exec_lo, s8
	s_and_saveexec_b32 s8, s7
	s_cbranch_execz .LBB305_207
.LBB305_206:
	v_and_b32_e32 v5, 0xffff, v4
	s_delay_alu instid0(VALU_DEP_1) | instskip(SKIP_1) | instid1(VALU_DEP_2)
	v_and_b32_e32 v6, 3, v5
	v_bfe_u32 v9, v5, 2, 5
	v_clz_i32_u32_e32 v7, v6
	s_delay_alu instid0(VALU_DEP_2) | instskip(NEXT) | instid1(VALU_DEP_2)
	v_cmp_eq_u32_e32 vcc_lo, 0, v9
	v_min_u32_e32 v7, 32, v7
	s_delay_alu instid0(VALU_DEP_1) | instskip(NEXT) | instid1(VALU_DEP_1)
	v_subrev_nc_u32_e32 v8, 29, v7
	v_dual_lshlrev_b32 v5, v8, v5 :: v_dual_sub_nc_u32 v7, 30, v7
	s_delay_alu instid0(VALU_DEP_1) | instskip(NEXT) | instid1(VALU_DEP_1)
	v_dual_lshlrev_b32 v4, 24, v4 :: v_dual_bitop2_b32 v5, 3, v5 bitop3:0x40
	v_dual_cndmask_b32 v7, v9, v7, vcc_lo :: v_dual_cndmask_b32 v5, v6, v5, vcc_lo
	s_delay_alu instid0(VALU_DEP_2) | instskip(NEXT) | instid1(VALU_DEP_2)
	v_and_b32_e32 v4, 0x80000000, v4
	v_lshl_add_u32 v6, v7, 23, 0x37800000
	s_delay_alu instid0(VALU_DEP_3) | instskip(NEXT) | instid1(VALU_DEP_1)
	v_lshlrev_b32_e32 v5, 21, v5
	v_or3_b32 v5, v4, v6, v5
.LBB305_207:
	s_or_b32 exec_lo, exec_lo, s8
	s_delay_alu instid0(VALU_DEP_1) | instskip(SKIP_2) | instid1(VALU_DEP_2)
	v_and_b32_e32 v6, 0x7fffffff, v5
	v_mov_b32_e32 v4, 0x80
	s_mov_b32 s7, exec_lo
	v_cmpx_gt_u32_e32 0x43800000, v6
	s_cbranch_execz .LBB305_213
; %bb.208:
	v_cmp_lt_u32_e32 vcc_lo, 0x3bffffff, v6
	s_mov_b32 s8, 0
                                        ; implicit-def: $vgpr6
	s_and_saveexec_b32 s9, vcc_lo
	s_delay_alu instid0(SALU_CYCLE_1)
	s_xor_b32 s9, exec_lo, s9
	s_cbranch_execnz .LBB305_300
; %bb.209:
	s_and_not1_saveexec_b32 s9, s9
	s_cbranch_execnz .LBB305_301
.LBB305_210:
	s_or_b32 exec_lo, exec_lo, s9
	v_mov_b32_e32 v4, 0
	s_and_saveexec_b32 s9, s8
.LBB305_211:
	v_lshrrev_b32_e32 v4, 24, v5
	s_delay_alu instid0(VALU_DEP_1)
	v_and_or_b32 v4, 0x80, v4, v6
.LBB305_212:
	s_or_b32 exec_lo, exec_lo, s9
.LBB305_213:
	s_delay_alu instid0(SALU_CYCLE_1)
	s_or_b32 exec_lo, exec_lo, s7
.LBB305_214:
	s_and_not1_saveexec_b32 s6, s6
	s_cbranch_execz .LBB305_222
; %bb.215:
	s_wait_loadcnt_dscnt 0x0
	flat_load_u8 v4, v[2:3]
	s_mov_b32 s8, 0
	s_mov_b32 s7, exec_lo
	s_wait_loadcnt_dscnt 0x0
	v_lshlrev_b32_e32 v4, 24, v4
	s_delay_alu instid0(VALU_DEP_1) | instskip(NEXT) | instid1(VALU_DEP_1)
	v_and_b32_e32 v5, 0x7f000000, v4
	v_clz_i32_u32_e32 v6, v5
	v_cmp_ne_u32_e32 vcc_lo, 0, v5
	v_add_nc_u32_e32 v8, 0x1000000, v5
	s_delay_alu instid0(VALU_DEP_3) | instskip(NEXT) | instid1(VALU_DEP_1)
	v_min_u32_e32 v6, 32, v6
	v_sub_nc_u32_e64 v6, v6, 4 clamp
	s_delay_alu instid0(VALU_DEP_1) | instskip(NEXT) | instid1(VALU_DEP_1)
	v_dual_lshlrev_b32 v7, v6, v5 :: v_dual_lshlrev_b32 v6, 23, v6
	v_lshrrev_b32_e32 v7, 4, v7
	s_delay_alu instid0(VALU_DEP_1) | instskip(NEXT) | instid1(VALU_DEP_1)
	v_dual_sub_nc_u32 v6, v7, v6 :: v_dual_ashrrev_i32 v7, 8, v8
	v_add_nc_u32_e32 v6, 0x3c000000, v6
	s_delay_alu instid0(VALU_DEP_1) | instskip(NEXT) | instid1(VALU_DEP_1)
	v_and_or_b32 v6, 0x7f800000, v7, v6
	v_cndmask_b32_e32 v7, 0, v6, vcc_lo
	s_delay_alu instid0(VALU_DEP_1) | instskip(SKIP_1) | instid1(VALU_DEP_2)
	v_and_or_b32 v5, 0x80000000, v4, v7
	v_mov_b32_e32 v4, 0x80
	v_and_b32_e32 v6, 0x7fffffff, v5
	s_wait_xcnt 0x0
	s_delay_alu instid0(VALU_DEP_1)
	v_cmpx_gt_u32_e32 0x43800000, v6
	s_cbranch_execz .LBB305_221
; %bb.216:
	v_cmp_lt_u32_e32 vcc_lo, 0x3bffffff, v6
                                        ; implicit-def: $vgpr6
	s_and_saveexec_b32 s9, vcc_lo
	s_delay_alu instid0(SALU_CYCLE_1)
	s_xor_b32 s9, exec_lo, s9
	s_cbranch_execnz .LBB305_302
; %bb.217:
	s_and_not1_saveexec_b32 s9, s9
	s_cbranch_execnz .LBB305_303
.LBB305_218:
	s_or_b32 exec_lo, exec_lo, s9
	v_mov_b32_e32 v4, 0
	s_and_saveexec_b32 s9, s8
.LBB305_219:
	v_lshrrev_b32_e32 v4, 24, v5
	s_delay_alu instid0(VALU_DEP_1)
	v_and_or_b32 v4, 0x80, v4, v6
.LBB305_220:
	s_or_b32 exec_lo, exec_lo, s9
.LBB305_221:
	s_delay_alu instid0(SALU_CYCLE_1)
	s_or_b32 exec_lo, exec_lo, s7
.LBB305_222:
	s_delay_alu instid0(SALU_CYCLE_1)
	s_or_b32 exec_lo, exec_lo, s6
.LBB305_223:
	s_and_not1_saveexec_b32 s5, s5
	s_cbranch_execz .LBB305_231
; %bb.224:
	s_wait_loadcnt_dscnt 0x0
	flat_load_u8 v4, v[2:3]
	s_mov_b32 s6, exec_lo
	s_wait_loadcnt_dscnt 0x0
	v_lshlrev_b32_e32 v5, 25, v4
	v_lshlrev_b16 v4, 8, v4
	s_delay_alu instid0(VALU_DEP_1) | instskip(SKIP_1) | instid1(VALU_DEP_2)
	v_and_or_b32 v7, 0x7f00, v4, 0.5
	v_bfe_i32 v4, v4, 0, 16
	v_dual_add_f32 v7, -0.5, v7 :: v_dual_lshrrev_b32 v6, 4, v5
	v_cmp_gt_u32_e32 vcc_lo, 0x8000000, v5
	s_delay_alu instid0(VALU_DEP_2) | instskip(NEXT) | instid1(VALU_DEP_1)
	v_or_b32_e32 v6, 0x70000000, v6
	v_mul_f32_e32 v6, 0x7800000, v6
	s_delay_alu instid0(VALU_DEP_1) | instskip(NEXT) | instid1(VALU_DEP_1)
	v_cndmask_b32_e32 v7, v6, v7, vcc_lo
	v_and_or_b32 v5, 0x80000000, v4, v7
	v_mov_b32_e32 v4, 0x80
	s_delay_alu instid0(VALU_DEP_2) | instskip(SKIP_1) | instid1(VALU_DEP_1)
	v_and_b32_e32 v6, 0x7fffffff, v5
	s_wait_xcnt 0x0
	v_cmpx_gt_u32_e32 0x43800000, v6
	s_cbranch_execz .LBB305_230
; %bb.225:
	v_cmp_lt_u32_e32 vcc_lo, 0x3bffffff, v6
	s_mov_b32 s7, 0
                                        ; implicit-def: $vgpr6
	s_and_saveexec_b32 s8, vcc_lo
	s_delay_alu instid0(SALU_CYCLE_1)
	s_xor_b32 s8, exec_lo, s8
	s_cbranch_execnz .LBB305_280
; %bb.226:
	s_and_not1_saveexec_b32 s8, s8
	s_cbranch_execnz .LBB305_281
.LBB305_227:
	s_or_b32 exec_lo, exec_lo, s8
	v_mov_b32_e32 v4, 0
	s_and_saveexec_b32 s8, s7
.LBB305_228:
	v_lshrrev_b32_e32 v4, 24, v5
	s_delay_alu instid0(VALU_DEP_1)
	v_and_or_b32 v4, 0x80, v4, v6
.LBB305_229:
	s_or_b32 exec_lo, exec_lo, s8
.LBB305_230:
	s_delay_alu instid0(SALU_CYCLE_1)
	s_or_b32 exec_lo, exec_lo, s6
.LBB305_231:
	s_delay_alu instid0(SALU_CYCLE_1) | instskip(NEXT) | instid1(SALU_CYCLE_1)
	s_or_b32 exec_lo, exec_lo, s5
	s_or_b32 s5, s1, exec_lo
                                        ; implicit-def: $vgpr5
.LBB305_232:
	s_or_saveexec_b32 s2, s2
	s_mov_b32 s6, 0
	s_mov_b32 s7, s4
	s_xor_b32 exec_lo, exec_lo, s2
	s_cbranch_execz .LBB305_246
; %bb.233:
	s_mov_b32 s7, s4
	s_mov_b32 s8, s5
	s_mov_b32 s6, exec_lo
                                        ; implicit-def: $vgpr4
	v_cmpx_lt_i16_e32 14, v5
	s_xor_b32 s6, exec_lo, s6
	s_cbranch_execz .LBB305_243
; %bb.234:
	s_mov_b32 s8, -1
	s_mov_b32 s9, s5
	s_mov_b32 s7, exec_lo
                                        ; implicit-def: $vgpr4
	v_cmpx_eq_u16_e32 15, v5
	s_cbranch_execz .LBB305_242
; %bb.235:
	flat_load_u16 v5, v[2:3]
	s_mov_b32 s8, exec_lo
	s_wait_loadcnt_dscnt 0x0
	v_dual_mov_b32 v4, 0x80 :: v_dual_lshlrev_b32 v7, 16, v5
	s_delay_alu instid0(VALU_DEP_1) | instskip(SKIP_1) | instid1(VALU_DEP_1)
	v_and_b32_e32 v6, 0x7fffffff, v7
	s_wait_xcnt 0x0
	v_cmpx_gt_u32_e32 0x43800000, v6
	s_cbranch_execz .LBB305_241
; %bb.236:
	v_cmp_lt_u32_e32 vcc_lo, 0x3bffffff, v6
	s_mov_b32 s9, 0
                                        ; implicit-def: $vgpr6
	s_and_saveexec_b32 s10, vcc_lo
	s_delay_alu instid0(SALU_CYCLE_1)
	s_xor_b32 s10, exec_lo, s10
	s_cbranch_execnz .LBB305_304
; %bb.237:
	s_and_not1_saveexec_b32 s10, s10
	s_cbranch_execnz .LBB305_305
.LBB305_238:
	s_or_b32 exec_lo, exec_lo, s10
	v_mov_b32_e32 v4, 0
	s_and_saveexec_b32 s10, s9
.LBB305_239:
	v_lshrrev_b32_e32 v4, 8, v5
	s_delay_alu instid0(VALU_DEP_1)
	v_and_or_b32 v4, 0x80, v4, v6
.LBB305_240:
	s_or_b32 exec_lo, exec_lo, s10
.LBB305_241:
	s_delay_alu instid0(SALU_CYCLE_1) | instskip(NEXT) | instid1(SALU_CYCLE_1)
	s_or_b32 exec_lo, exec_lo, s8
	s_or_b32 s9, s5, exec_lo
	s_xor_b32 s8, exec_lo, -1
.LBB305_242:
	s_or_b32 exec_lo, exec_lo, s7
	s_delay_alu instid0(SALU_CYCLE_1)
	s_and_not1_b32 s7, s5, exec_lo
	s_and_b32 s9, s9, exec_lo
	s_and_not1_b32 s10, s4, exec_lo
	s_and_b32 s11, s8, exec_lo
	s_or_b32 s8, s7, s9
	s_or_b32 s7, s10, s11
                                        ; implicit-def: $vgpr5
.LBB305_243:
	s_or_saveexec_b32 s6, s6
	s_mov_b32 s9, 0
	s_xor_b32 exec_lo, exec_lo, s6
; %bb.244:
	v_cmp_ne_u16_e32 vcc_lo, 11, v5
	s_and_not1_b32 s7, s7, exec_lo
	s_mov_b32 s9, exec_lo
	s_and_b32 s10, vcc_lo, exec_lo
	s_delay_alu instid0(SALU_CYCLE_1)
	s_or_b32 s7, s7, s10
; %bb.245:
	s_or_b32 exec_lo, exec_lo, s6
	s_delay_alu instid0(SALU_CYCLE_1)
	s_and_not1_b32 s5, s5, exec_lo
	s_and_b32 s6, s8, exec_lo
	s_and_not1_b32 s8, s4, exec_lo
	s_and_b32 s7, s7, exec_lo
	s_or_b32 s5, s5, s6
	s_and_b32 s6, s9, exec_lo
	s_or_b32 s7, s8, s7
.LBB305_246:
	s_or_b32 exec_lo, exec_lo, s2
	s_delay_alu instid0(SALU_CYCLE_1)
	s_and_not1_b32 s1, s1, exec_lo
	s_and_b32 s2, s5, exec_lo
	s_and_not1_b32 s4, s4, exec_lo
	s_and_b32 s5, s7, exec_lo
	s_or_b32 s1, s1, s2
	s_and_b32 s2, s6, exec_lo
	s_or_b32 s4, s4, s5
	s_or_b32 exec_lo, exec_lo, s3
	s_and_saveexec_b32 s3, s4
	s_cbranch_execz .LBB305_7
.LBB305_247:
	s_trap 2
	; divergent unreachable
	s_and_not1_b32 s2, s2, exec_lo
	s_or_b32 exec_lo, exec_lo, s3
	s_and_saveexec_b32 s3, s2
	s_delay_alu instid0(SALU_CYCLE_1)
	s_xor_b32 s2, exec_lo, s3
	s_cbranch_execnz .LBB305_8
	s_branch .LBB305_15
.LBB305_248:
	s_mov_b32 s2, -1
	s_mov_b32 s4, exec_lo
	v_cmpx_eq_u16_e32 0x80, v2
; %bb.249:
	s_xor_b32 s2, exec_lo, -1
; %bb.250:
	s_or_b32 exec_lo, exec_lo, s4
	s_delay_alu instid0(SALU_CYCLE_1)
	s_and_b32 s2, s2, exec_lo
                                        ; implicit-def: $vgpr2
	s_or_saveexec_b32 s3, s3
	v_mov_b32_e32 v0, 0x7f800001
	s_xor_b32 exec_lo, exec_lo, s3
	s_cbranch_execz .LBB305_126
.LBB305_251:
	v_cmp_ne_u16_e32 vcc_lo, 0, v2
	v_mov_b32_e32 v0, 0
	s_and_not1_b32 s2, s2, exec_lo
	s_and_b32 s4, vcc_lo, exec_lo
	s_delay_alu instid0(SALU_CYCLE_1)
	s_or_b32 s2, s2, s4
	s_or_b32 exec_lo, exec_lo, s3
	s_and_saveexec_b32 s3, s2
	s_cbranch_execnz .LBB305_127
	s_branch .LBB305_128
.LBB305_252:
	s_mov_b32 s2, -1
	s_mov_b32 s4, exec_lo
	v_cmpx_eq_u16_e32 0x80, v2
; %bb.253:
	s_xor_b32 s2, exec_lo, -1
; %bb.254:
	s_or_b32 exec_lo, exec_lo, s4
	s_delay_alu instid0(SALU_CYCLE_1)
	s_and_b32 s2, s2, exec_lo
                                        ; implicit-def: $vgpr2
	s_or_saveexec_b32 s3, s3
	v_mov_b32_e32 v1, 0x7f800001
	s_xor_b32 exec_lo, exec_lo, s3
	s_cbranch_execz .LBB305_130
.LBB305_255:
	v_cmp_ne_u16_e32 vcc_lo, 0, v2
	v_mov_b32_e32 v1, 0
	s_and_not1_b32 s2, s2, exec_lo
	s_and_b32 s4, vcc_lo, exec_lo
	s_delay_alu instid0(SALU_CYCLE_1)
	s_or_b32 s2, s2, s4
	s_or_b32 exec_lo, exec_lo, s3
	s_and_saveexec_b32 s3, s2
	s_cbranch_execnz .LBB305_131
	s_branch .LBB305_132
.LBB305_256:
	s_mov_b32 s1, -1
	s_mov_b32 s4, exec_lo
	v_cmpx_eq_u16_e32 0x80, v2
; %bb.257:
	s_xor_b32 s1, exec_lo, -1
; %bb.258:
	s_or_b32 exec_lo, exec_lo, s4
	s_delay_alu instid0(SALU_CYCLE_1)
	s_and_b32 s1, s1, exec_lo
                                        ; implicit-def: $vgpr2
	s_or_saveexec_b32 s3, s3
	v_mov_b32_e32 v0, 0x7f800001
	s_xor_b32 exec_lo, exec_lo, s3
	s_cbranch_execz .LBB305_136
.LBB305_259:
	v_cmp_ne_u16_e32 vcc_lo, 0, v2
	v_mov_b32_e32 v0, 0
	s_and_not1_b32 s1, s1, exec_lo
	s_and_b32 s4, vcc_lo, exec_lo
	s_delay_alu instid0(SALU_CYCLE_1)
	s_or_b32 s1, s1, s4
	s_or_b32 exec_lo, exec_lo, s3
	s_and_saveexec_b32 s3, s1
	s_cbranch_execnz .LBB305_137
	s_branch .LBB305_138
.LBB305_260:
	s_mov_b32 s1, -1
	s_mov_b32 s4, exec_lo
	v_cmpx_eq_u16_e32 0x80, v2
; %bb.261:
	s_xor_b32 s1, exec_lo, -1
; %bb.262:
	s_or_b32 exec_lo, exec_lo, s4
	s_delay_alu instid0(SALU_CYCLE_1)
	s_and_b32 s1, s1, exec_lo
                                        ; implicit-def: $vgpr2
	s_or_saveexec_b32 s3, s3
	v_mov_b32_e32 v1, 0x7f800001
	s_xor_b32 exec_lo, exec_lo, s3
	s_cbranch_execz .LBB305_140
.LBB305_263:
	v_cmp_ne_u16_e32 vcc_lo, 0, v2
	v_mov_b32_e32 v1, 0
	s_and_not1_b32 s1, s1, exec_lo
	s_and_b32 s4, vcc_lo, exec_lo
	s_delay_alu instid0(SALU_CYCLE_1)
	s_or_b32 s1, s1, s4
	s_or_b32 exec_lo, exec_lo, s3
	s_and_saveexec_b32 s3, s1
	s_cbranch_execnz .LBB305_141
	s_branch .LBB305_142
.LBB305_264:
	v_bfe_u32 v2, v3, 20, 1
	s_mov_b32 s4, exec_lo
	s_delay_alu instid0(VALU_DEP_1) | instskip(NEXT) | instid1(VALU_DEP_1)
	v_add3_u32 v2, v3, v2, 0x487ffff
                                        ; implicit-def: $vgpr3
	v_lshrrev_b32_e32 v2, 20, v2
	s_and_not1_saveexec_b32 s5, s5
	s_cbranch_execz .LBB305_11
.LBB305_265:
	v_add_f32_e32 v2, 0x46000000, v3
	s_and_not1_b32 s4, s4, exec_lo
	s_delay_alu instid0(VALU_DEP_1) | instskip(NEXT) | instid1(VALU_DEP_1)
	v_and_b32_e32 v2, 0xff, v2
	v_cmp_ne_u32_e32 vcc_lo, 0, v2
	s_and_b32 s6, vcc_lo, exec_lo
	s_delay_alu instid0(SALU_CYCLE_1)
	s_or_b32 s4, s4, s6
	s_or_b32 exec_lo, exec_lo, s5
	v_mov_b32_e32 v4, 0
	s_and_saveexec_b32 s5, s4
	s_cbranch_execnz .LBB305_12
	s_branch .LBB305_13
.LBB305_266:
	v_bfe_u32 v3, v2, 20, 1
	s_mov_b32 s6, exec_lo
	s_delay_alu instid0(VALU_DEP_1) | instskip(NEXT) | instid1(VALU_DEP_1)
	v_add3_u32 v3, v2, v3, 0x487ffff
	v_lshrrev_b32_e32 v3, 20, v3
	s_and_not1_saveexec_b32 s7, s7
	s_cbranch_execz .LBB305_40
.LBB305_267:
	v_add_f32_e64 v3, 0x46000000, |v2|
	s_and_not1_b32 s6, s6, exec_lo
	s_delay_alu instid0(VALU_DEP_1) | instskip(NEXT) | instid1(VALU_DEP_1)
	v_and_b32_e32 v3, 0xff, v3
	v_cmp_ne_u32_e32 vcc_lo, 0, v3
	s_and_b32 s8, vcc_lo, exec_lo
	s_delay_alu instid0(SALU_CYCLE_1)
	s_or_b32 s6, s6, s8
	s_or_b32 exec_lo, exec_lo, s7
	v_mov_b32_e32 v4, 0
	s_and_saveexec_b32 s7, s6
	s_cbranch_execnz .LBB305_41
	s_branch .LBB305_42
.LBB305_268:
	v_bfe_u32 v3, v2, 20, 1
	s_mov_b32 s6, exec_lo
	s_delay_alu instid0(VALU_DEP_1) | instskip(NEXT) | instid1(VALU_DEP_1)
	v_add3_u32 v3, v2, v3, 0x487ffff
	v_lshrrev_b32_e32 v3, 20, v3
	s_and_not1_saveexec_b32 s7, s7
	s_cbranch_execz .LBB305_68
.LBB305_269:
	v_add_f32_e64 v3, 0x46000000, |v2|
	s_and_not1_b32 s6, s6, exec_lo
	s_delay_alu instid0(VALU_DEP_1) | instskip(NEXT) | instid1(VALU_DEP_1)
	v_and_b32_e32 v3, 0xff, v3
	v_cmp_ne_u32_e32 vcc_lo, 0, v3
	s_and_b32 s8, vcc_lo, exec_lo
	s_delay_alu instid0(SALU_CYCLE_1)
	s_or_b32 s6, s6, s8
	s_or_b32 exec_lo, exec_lo, s7
	v_mov_b32_e32 v4, 0
	s_and_saveexec_b32 s7, s6
	s_cbranch_execnz .LBB305_69
	s_branch .LBB305_70
.LBB305_270:
	v_bfe_u32 v3, v2, 20, 1
	s_mov_b32 s6, exec_lo
	s_delay_alu instid0(VALU_DEP_1) | instskip(NEXT) | instid1(VALU_DEP_1)
	v_add3_u32 v3, v2, v3, 0x487ffff
	v_lshrrev_b32_e32 v3, 20, v3
	s_and_not1_saveexec_b32 s7, s7
	s_cbranch_execz .LBB305_98
.LBB305_271:
	v_add_f32_e64 v3, 0x46000000, |v2|
	s_and_not1_b32 s6, s6, exec_lo
	s_delay_alu instid0(VALU_DEP_1) | instskip(NEXT) | instid1(VALU_DEP_1)
	v_and_b32_e32 v3, 0xff, v3
	v_cmp_ne_u32_e32 vcc_lo, 0, v3
	s_and_b32 s8, vcc_lo, exec_lo
	s_delay_alu instid0(SALU_CYCLE_1)
	s_or_b32 s6, s6, s8
	s_or_b32 exec_lo, exec_lo, s7
	v_mov_b32_e32 v4, 0
	s_and_saveexec_b32 s7, s6
	s_cbranch_execnz .LBB305_99
	s_branch .LBB305_100
.LBB305_272:
	v_bfe_u32 v3, v2, 20, 1
	s_mov_b32 s6, exec_lo
	s_delay_alu instid0(VALU_DEP_1) | instskip(NEXT) | instid1(VALU_DEP_1)
	v_add3_u32 v3, v2, v3, 0x487ffff
	v_lshrrev_b32_e32 v3, 20, v3
	s_and_not1_saveexec_b32 s7, s7
	s_cbranch_execz .LBB305_108
.LBB305_273:
	v_add_f32_e64 v3, 0x46000000, |v2|
	s_and_not1_b32 s6, s6, exec_lo
	s_delay_alu instid0(VALU_DEP_1) | instskip(NEXT) | instid1(VALU_DEP_1)
	v_and_b32_e32 v3, 0xff, v3
	v_cmp_ne_u32_e32 vcc_lo, 0, v3
	s_and_b32 s8, vcc_lo, exec_lo
	s_delay_alu instid0(SALU_CYCLE_1)
	s_or_b32 s6, s6, s8
	s_or_b32 exec_lo, exec_lo, s7
	v_mov_b32_e32 v4, 0
	s_and_saveexec_b32 s7, s6
	s_cbranch_execnz .LBB305_109
	s_branch .LBB305_110
.LBB305_274:
	v_bfe_u32 v2, v3, 20, 1
	s_mov_b32 s6, exec_lo
	s_delay_alu instid0(VALU_DEP_1) | instskip(NEXT) | instid1(VALU_DEP_1)
	v_add3_u32 v2, v3, v2, 0x487ffff
                                        ; implicit-def: $vgpr3
	v_lshrrev_b32_e32 v2, 20, v2
	s_and_not1_saveexec_b32 s7, s7
	s_cbranch_execz .LBB305_116
.LBB305_275:
	v_add_f32_e32 v2, 0x46000000, v3
	s_and_not1_b32 s6, s6, exec_lo
	s_delay_alu instid0(VALU_DEP_1) | instskip(NEXT) | instid1(VALU_DEP_1)
	v_and_b32_e32 v2, 0xff, v2
	v_cmp_ne_u32_e32 vcc_lo, 0, v2
	s_and_b32 s8, vcc_lo, exec_lo
	s_delay_alu instid0(SALU_CYCLE_1)
	s_or_b32 s6, s6, s8
	s_or_b32 exec_lo, exec_lo, s7
	v_mov_b32_e32 v4, 0
	s_and_saveexec_b32 s7, s6
	s_cbranch_execnz .LBB305_117
	s_branch .LBB305_118
.LBB305_276:
	s_mov_b32 s7, -1
	s_mov_b32 s9, exec_lo
	v_cmpx_eq_u16_e32 0x80, v4
; %bb.277:
	s_xor_b32 s7, exec_lo, -1
; %bb.278:
	s_or_b32 exec_lo, exec_lo, s9
	s_delay_alu instid0(SALU_CYCLE_1)
	s_and_b32 s7, s7, exec_lo
	s_or_saveexec_b32 s8, s8
	v_mov_b32_e32 v5, 0x7f800001
	s_xor_b32 exec_lo, exec_lo, s8
	s_cbranch_execz .LBB305_205
.LBB305_279:
	v_cmp_ne_u16_e32 vcc_lo, 0, v4
	v_mov_b32_e32 v5, 0
	s_and_not1_b32 s7, s7, exec_lo
	s_and_b32 s9, vcc_lo, exec_lo
	s_delay_alu instid0(SALU_CYCLE_1)
	s_or_b32 s7, s7, s9
	s_or_b32 exec_lo, exec_lo, s8
	s_and_saveexec_b32 s8, s7
	s_cbranch_execnz .LBB305_206
	s_branch .LBB305_207
.LBB305_280:
	v_bfe_u32 v4, v7, 20, 1
	s_mov_b32 s7, exec_lo
	s_delay_alu instid0(VALU_DEP_1) | instskip(NEXT) | instid1(VALU_DEP_1)
	v_add3_u32 v4, v5, v4, 0x487ffff
	v_lshrrev_b32_e32 v6, 20, v4
	s_and_not1_saveexec_b32 s8, s8
	s_cbranch_execz .LBB305_227
.LBB305_281:
	v_add_f32_e64 v4, 0x46000000, |v5|
	s_and_not1_b32 s7, s7, exec_lo
	s_delay_alu instid0(VALU_DEP_1) | instskip(NEXT) | instid1(VALU_DEP_1)
	v_and_b32_e32 v6, 0xff, v4
	v_cmp_ne_u32_e32 vcc_lo, 0, v6
	s_and_b32 s9, vcc_lo, exec_lo
	s_delay_alu instid0(SALU_CYCLE_1)
	s_or_b32 s7, s7, s9
	s_or_b32 exec_lo, exec_lo, s8
	v_mov_b32_e32 v4, 0
	s_and_saveexec_b32 s8, s7
	s_cbranch_execnz .LBB305_228
	s_branch .LBB305_229
.LBB305_282:
	v_bfe_u32 v3, v2, 20, 1
	s_mov_b32 s7, exec_lo
	s_delay_alu instid0(VALU_DEP_1) | instskip(NEXT) | instid1(VALU_DEP_1)
	v_add3_u32 v3, v2, v3, 0x487ffff
	v_lshrrev_b32_e32 v3, 20, v3
	s_and_not1_saveexec_b32 s8, s8
	s_cbranch_execz .LBB305_23
.LBB305_283:
	v_add_f32_e64 v3, 0x46000000, |v2|
	s_and_not1_b32 s7, s7, exec_lo
	s_delay_alu instid0(VALU_DEP_1) | instskip(NEXT) | instid1(VALU_DEP_1)
	v_and_b32_e32 v3, 0xff, v3
	v_cmp_ne_u32_e32 vcc_lo, 0, v3
	s_and_b32 s9, vcc_lo, exec_lo
	s_delay_alu instid0(SALU_CYCLE_1)
	s_or_b32 s7, s7, s9
	s_or_b32 exec_lo, exec_lo, s8
	v_mov_b32_e32 v4, 0
	s_and_saveexec_b32 s8, s7
	s_cbranch_execnz .LBB305_24
	s_branch .LBB305_25
.LBB305_284:
	v_bfe_u32 v3, v2, 20, 1
	s_mov_b32 s7, exec_lo
	s_delay_alu instid0(VALU_DEP_1) | instskip(NEXT) | instid1(VALU_DEP_1)
	v_add3_u32 v3, v2, v3, 0x487ffff
	v_lshrrev_b32_e32 v3, 20, v3
	s_and_not1_saveexec_b32 s8, s8
	s_cbranch_execz .LBB305_31
.LBB305_285:
	v_add_f32_e64 v3, 0x46000000, |v2|
	s_and_not1_b32 s7, s7, exec_lo
	s_delay_alu instid0(VALU_DEP_1) | instskip(NEXT) | instid1(VALU_DEP_1)
	v_and_b32_e32 v3, 0xff, v3
	v_cmp_ne_u32_e32 vcc_lo, 0, v3
	s_and_b32 s9, vcc_lo, exec_lo
	s_delay_alu instid0(SALU_CYCLE_1)
	s_or_b32 s7, s7, s9
	s_or_b32 exec_lo, exec_lo, s8
	v_mov_b32_e32 v4, 0
	s_and_saveexec_b32 s8, s7
	s_cbranch_execnz .LBB305_32
	s_branch .LBB305_33
.LBB305_286:
	v_bfe_u32 v3, v2, 20, 1
	s_mov_b32 s7, exec_lo
	s_delay_alu instid0(VALU_DEP_1) | instskip(NEXT) | instid1(VALU_DEP_1)
	v_add3_u32 v3, v2, v3, 0x487ffff
	v_lshrrev_b32_e32 v3, 20, v3
	s_and_not1_saveexec_b32 s8, s8
	s_cbranch_execz .LBB305_51
.LBB305_287:
	v_add_f32_e64 v3, 0x46000000, |v2|
	s_and_not1_b32 s7, s7, exec_lo
	s_delay_alu instid0(VALU_DEP_1) | instskip(NEXT) | instid1(VALU_DEP_1)
	v_and_b32_e32 v3, 0xff, v3
	v_cmp_ne_u32_e32 vcc_lo, 0, v3
	s_and_b32 s9, vcc_lo, exec_lo
	s_delay_alu instid0(SALU_CYCLE_1)
	s_or_b32 s7, s7, s9
	s_or_b32 exec_lo, exec_lo, s8
	v_mov_b32_e32 v4, 0
	s_and_saveexec_b32 s8, s7
	s_cbranch_execnz .LBB305_52
	s_branch .LBB305_53
.LBB305_288:
	v_bfe_u32 v3, v2, 20, 1
	s_mov_b32 s7, exec_lo
	s_delay_alu instid0(VALU_DEP_1) | instskip(NEXT) | instid1(VALU_DEP_1)
	v_add3_u32 v3, v2, v3, 0x487ffff
	v_lshrrev_b32_e32 v3, 20, v3
	s_and_not1_saveexec_b32 s8, s8
	s_cbranch_execz .LBB305_59
.LBB305_289:
	v_add_f32_e64 v3, 0x46000000, |v2|
	s_and_not1_b32 s7, s7, exec_lo
	s_delay_alu instid0(VALU_DEP_1) | instskip(NEXT) | instid1(VALU_DEP_1)
	v_and_b32_e32 v3, 0xff, v3
	v_cmp_ne_u32_e32 vcc_lo, 0, v3
	s_and_b32 s9, vcc_lo, exec_lo
	s_delay_alu instid0(SALU_CYCLE_1)
	s_or_b32 s7, s7, s9
	s_or_b32 exec_lo, exec_lo, s8
	v_mov_b32_e32 v4, 0
	s_and_saveexec_b32 s8, s7
	s_cbranch_execnz .LBB305_60
	s_branch .LBB305_61
.LBB305_290:
	v_bfe_u32 v3, v2, 20, 1
	s_mov_b32 s7, exec_lo
	s_delay_alu instid0(VALU_DEP_1) | instskip(NEXT) | instid1(VALU_DEP_1)
	v_add3_u32 v3, v2, v3, 0x487ffff
	v_lshrrev_b32_e32 v3, 20, v3
	s_and_not1_saveexec_b32 s8, s8
	s_cbranch_execz .LBB305_81
.LBB305_291:
	v_add_f32_e64 v3, 0x46000000, |v2|
	s_and_not1_b32 s7, s7, exec_lo
	s_delay_alu instid0(VALU_DEP_1) | instskip(NEXT) | instid1(VALU_DEP_1)
	v_and_b32_e32 v3, 0xff, v3
	v_cmp_ne_u32_e32 vcc_lo, 0, v3
	s_and_b32 s9, vcc_lo, exec_lo
	s_delay_alu instid0(SALU_CYCLE_1)
	s_or_b32 s7, s7, s9
	s_or_b32 exec_lo, exec_lo, s8
	v_mov_b32_e32 v4, 0
	s_and_saveexec_b32 s8, s7
	s_cbranch_execnz .LBB305_82
	s_branch .LBB305_83
.LBB305_292:
	v_bfe_u32 v3, v2, 20, 1
	s_mov_b32 s7, exec_lo
	s_delay_alu instid0(VALU_DEP_1) | instskip(NEXT) | instid1(VALU_DEP_1)
	v_add3_u32 v3, v2, v3, 0x487ffff
	v_lshrrev_b32_e32 v3, 20, v3
	s_and_not1_saveexec_b32 s8, s8
	s_cbranch_execz .LBB305_89
.LBB305_293:
	v_add_f32_e64 v3, 0x46000000, |v2|
	s_and_not1_b32 s7, s7, exec_lo
	s_delay_alu instid0(VALU_DEP_1) | instskip(NEXT) | instid1(VALU_DEP_1)
	v_and_b32_e32 v3, 0xff, v3
	v_cmp_ne_u32_e32 vcc_lo, 0, v3
	s_and_b32 s9, vcc_lo, exec_lo
	s_delay_alu instid0(SALU_CYCLE_1)
	s_or_b32 s7, s7, s9
	s_or_b32 exec_lo, exec_lo, s8
	v_mov_b32_e32 v4, 0
	s_and_saveexec_b32 s8, s7
	s_cbranch_execnz .LBB305_90
	s_branch .LBB305_91
.LBB305_294:
	v_bfe_u32 v4, v6, 20, 1
	s_mov_b32 s9, exec_lo
	s_delay_alu instid0(VALU_DEP_1) | instskip(NEXT) | instid1(VALU_DEP_1)
	v_add3_u32 v4, v6, v4, 0x487ffff
                                        ; implicit-def: $vgpr6
	v_lshrrev_b32_e32 v5, 20, v4
	s_and_not1_saveexec_b32 s10, s10
	s_cbranch_execz .LBB305_171
.LBB305_295:
	v_add_f32_e32 v4, 0x46000000, v6
	s_and_not1_b32 s9, s9, exec_lo
	s_delay_alu instid0(VALU_DEP_1) | instskip(NEXT) | instid1(VALU_DEP_1)
	v_and_b32_e32 v5, 0xff, v4
	v_cmp_ne_u32_e32 vcc_lo, 0, v5
	s_and_b32 s11, vcc_lo, exec_lo
	s_delay_alu instid0(SALU_CYCLE_1)
	s_or_b32 s9, s9, s11
	s_or_b32 exec_lo, exec_lo, s10
	v_mov_b32_e32 v4, 0
	s_and_saveexec_b32 s10, s9
	s_cbranch_execnz .LBB305_172
	s_branch .LBB305_173
.LBB305_296:
	v_bfe_u32 v4, v6, 20, 1
	s_mov_b32 s9, exec_lo
	s_delay_alu instid0(VALU_DEP_1) | instskip(NEXT) | instid1(VALU_DEP_1)
	v_add3_u32 v4, v6, v4, 0x487ffff
                                        ; implicit-def: $vgpr6
	v_lshrrev_b32_e32 v5, 20, v4
	s_and_not1_saveexec_b32 s10, s10
	s_cbranch_execz .LBB305_183
.LBB305_297:
	v_add_f32_e32 v4, 0x46000000, v6
	s_and_not1_b32 s9, s9, exec_lo
	s_delay_alu instid0(VALU_DEP_1) | instskip(NEXT) | instid1(VALU_DEP_1)
	v_and_b32_e32 v5, 0xff, v4
	v_cmp_ne_u32_e32 vcc_lo, 0, v5
	s_and_b32 s11, vcc_lo, exec_lo
	s_delay_alu instid0(SALU_CYCLE_1)
	s_or_b32 s9, s9, s11
	s_or_b32 exec_lo, exec_lo, s10
	v_mov_b32_e32 v4, 0
	s_and_saveexec_b32 s10, s9
	s_cbranch_execnz .LBB305_184
	s_branch .LBB305_185
.LBB305_298:
	v_bfe_u32 v4, v6, 20, 1
	s_mov_b32 s9, exec_lo
	s_delay_alu instid0(VALU_DEP_1) | instskip(NEXT) | instid1(VALU_DEP_1)
	v_add3_u32 v4, v6, v4, 0x487ffff
                                        ; implicit-def: $vgpr6
	v_lshrrev_b32_e32 v5, 20, v4
	s_and_not1_saveexec_b32 s10, s10
	s_cbranch_execz .LBB305_191
.LBB305_299:
	v_add_f32_e32 v4, 0x46000000, v6
	s_and_not1_b32 s9, s9, exec_lo
	s_delay_alu instid0(VALU_DEP_1) | instskip(NEXT) | instid1(VALU_DEP_1)
	v_and_b32_e32 v5, 0xff, v4
	v_cmp_ne_u32_e32 vcc_lo, 0, v5
	s_and_b32 s11, vcc_lo, exec_lo
	s_delay_alu instid0(SALU_CYCLE_1)
	s_or_b32 s9, s9, s11
	s_or_b32 exec_lo, exec_lo, s10
	v_mov_b32_e32 v4, 0
	s_and_saveexec_b32 s10, s9
	s_cbranch_execnz .LBB305_192
	s_branch .LBB305_193
.LBB305_300:
	v_bfe_u32 v4, v5, 20, 1
	s_mov_b32 s8, exec_lo
	s_delay_alu instid0(VALU_DEP_1) | instskip(NEXT) | instid1(VALU_DEP_1)
	v_add3_u32 v4, v5, v4, 0x487ffff
	v_lshrrev_b32_e32 v6, 20, v4
	s_and_not1_saveexec_b32 s9, s9
	s_cbranch_execz .LBB305_210
.LBB305_301:
	v_add_f32_e64 v4, 0x46000000, |v5|
	s_and_not1_b32 s8, s8, exec_lo
	s_delay_alu instid0(VALU_DEP_1) | instskip(NEXT) | instid1(VALU_DEP_1)
	v_and_b32_e32 v6, 0xff, v4
	v_cmp_ne_u32_e32 vcc_lo, 0, v6
	s_and_b32 s10, vcc_lo, exec_lo
	s_delay_alu instid0(SALU_CYCLE_1)
	s_or_b32 s8, s8, s10
	s_or_b32 exec_lo, exec_lo, s9
	v_mov_b32_e32 v4, 0
	s_and_saveexec_b32 s9, s8
	s_cbranch_execnz .LBB305_211
	s_branch .LBB305_212
.LBB305_302:
	v_bfe_u32 v4, v7, 20, 1
	s_mov_b32 s8, exec_lo
	s_delay_alu instid0(VALU_DEP_1) | instskip(NEXT) | instid1(VALU_DEP_1)
	v_add3_u32 v4, v5, v4, 0x487ffff
	v_lshrrev_b32_e32 v6, 20, v4
	s_and_not1_saveexec_b32 s9, s9
	s_cbranch_execz .LBB305_218
.LBB305_303:
	v_add_f32_e64 v4, 0x46000000, |v5|
	s_and_not1_b32 s8, s8, exec_lo
	s_delay_alu instid0(VALU_DEP_1) | instskip(NEXT) | instid1(VALU_DEP_1)
	v_and_b32_e32 v6, 0xff, v4
	v_cmp_ne_u32_e32 vcc_lo, 0, v6
	s_and_b32 s10, vcc_lo, exec_lo
	s_delay_alu instid0(SALU_CYCLE_1)
	s_or_b32 s8, s8, s10
	s_or_b32 exec_lo, exec_lo, s9
	v_mov_b32_e32 v4, 0
	s_and_saveexec_b32 s9, s8
	s_cbranch_execnz .LBB305_219
	s_branch .LBB305_220
.LBB305_304:
	v_bfe_u32 v4, v5, 4, 1
	s_mov_b32 s9, exec_lo
	s_delay_alu instid0(VALU_DEP_1) | instskip(NEXT) | instid1(VALU_DEP_1)
	v_add3_u32 v4, v7, v4, 0x487ffff
                                        ; implicit-def: $vgpr7
	v_lshrrev_b32_e32 v6, 20, v4
	s_and_not1_saveexec_b32 s10, s10
	s_cbranch_execz .LBB305_238
.LBB305_305:
	v_add_f32_e64 v4, 0x46000000, |v7|
	s_and_not1_b32 s9, s9, exec_lo
	s_delay_alu instid0(VALU_DEP_1) | instskip(NEXT) | instid1(VALU_DEP_1)
	v_and_b32_e32 v6, 0xff, v4
	v_cmp_ne_u32_e32 vcc_lo, 0, v6
	s_and_b32 s11, vcc_lo, exec_lo
	s_delay_alu instid0(SALU_CYCLE_1)
	s_or_b32 s9, s9, s11
	s_or_b32 exec_lo, exec_lo, s10
	v_mov_b32_e32 v4, 0
	s_and_saveexec_b32 s10, s9
	s_cbranch_execnz .LBB305_239
	s_branch .LBB305_240
.LBB305_306:
	v_bfe_u32 v4, v5, 20, 1
	s_mov_b32 s8, exec_lo
	s_delay_alu instid0(VALU_DEP_1) | instskip(NEXT) | instid1(VALU_DEP_1)
	v_add3_u32 v4, v5, v4, 0x487ffff
	v_lshrrev_b32_e32 v6, 20, v4
	s_and_not1_saveexec_b32 s9, s9
	s_cbranch_execz .LBB305_150
.LBB305_307:
	v_add_f32_e64 v4, 0x46000000, |v5|
	s_and_not1_b32 s8, s8, exec_lo
	s_delay_alu instid0(VALU_DEP_1) | instskip(NEXT) | instid1(VALU_DEP_1)
	v_and_b32_e32 v6, 0xff, v4
	v_cmp_ne_u32_e32 vcc_lo, 0, v6
	s_and_b32 s10, vcc_lo, exec_lo
	s_delay_alu instid0(SALU_CYCLE_1)
	s_or_b32 s8, s8, s10
	s_or_b32 exec_lo, exec_lo, s9
	v_mov_b32_e32 v4, 0
	s_and_saveexec_b32 s9, s8
	s_cbranch_execnz .LBB305_151
	s_branch .LBB305_152
.LBB305_308:
	v_bfe_u32 v4, v6, 20, 1
	s_mov_b32 s10, exec_lo
	s_delay_alu instid0(VALU_DEP_1) | instskip(NEXT) | instid1(VALU_DEP_1)
	v_add3_u32 v4, v6, v4, 0x487ffff
                                        ; implicit-def: $vgpr6
	v_lshrrev_b32_e32 v5, 20, v4
	s_and_not1_saveexec_b32 s11, s11
	s_cbranch_execz .LBB305_160
.LBB305_309:
	v_add_f32_e32 v4, 0x46000000, v6
	s_and_not1_b32 s10, s10, exec_lo
	s_delay_alu instid0(VALU_DEP_1) | instskip(NEXT) | instid1(VALU_DEP_1)
	v_and_b32_e32 v5, 0xff, v4
	v_cmp_ne_u32_e32 vcc_lo, 0, v5
	s_and_b32 s12, vcc_lo, exec_lo
	s_delay_alu instid0(SALU_CYCLE_1)
	s_or_b32 s10, s10, s12
	s_or_b32 exec_lo, exec_lo, s11
	v_mov_b32_e32 v4, 0
	s_and_saveexec_b32 s11, s10
	s_cbranch_execnz .LBB305_161
	s_branch .LBB305_162
.Lfunc_end305:
	.size	_ZN2at6native6invokeINS0_13AUnaryFunctorIN3c1015Float8_e4m3fnuzES4_bNS0_12_GLOBAL__N_116CompareEqFunctorIS4_EEEEi15function_traitsIS8_EEENT1_11result_typeERKT_PrKPcPKT0_PKNS3_10ScalarTypeEi, .Lfunc_end305-_ZN2at6native6invokeINS0_13AUnaryFunctorIN3c1015Float8_e4m3fnuzES4_bNS0_12_GLOBAL__N_116CompareEqFunctorIS4_EEEEi15function_traitsIS8_EEENT1_11result_typeERKT_PrKPcPKT0_PKNS3_10ScalarTypeEi
                                        ; -- End function
	.set .L_ZN2at6native6invokeINS0_13AUnaryFunctorIN3c1015Float8_e4m3fnuzES4_bNS0_12_GLOBAL__N_116CompareEqFunctorIS4_EEEEi15function_traitsIS8_EEENT1_11result_typeERKT_PrKPcPKT0_PKNS3_10ScalarTypeEi.num_vgpr, 10
	.set .L_ZN2at6native6invokeINS0_13AUnaryFunctorIN3c1015Float8_e4m3fnuzES4_bNS0_12_GLOBAL__N_116CompareEqFunctorIS4_EEEEi15function_traitsIS8_EEENT1_11result_typeERKT_PrKPcPKT0_PKNS3_10ScalarTypeEi.num_agpr, 0
	.set .L_ZN2at6native6invokeINS0_13AUnaryFunctorIN3c1015Float8_e4m3fnuzES4_bNS0_12_GLOBAL__N_116CompareEqFunctorIS4_EEEEi15function_traitsIS8_EEENT1_11result_typeERKT_PrKPcPKT0_PKNS3_10ScalarTypeEi.numbered_sgpr, 32
	.set .L_ZN2at6native6invokeINS0_13AUnaryFunctorIN3c1015Float8_e4m3fnuzES4_bNS0_12_GLOBAL__N_116CompareEqFunctorIS4_EEEEi15function_traitsIS8_EEENT1_11result_typeERKT_PrKPcPKT0_PKNS3_10ScalarTypeEi.num_named_barrier, 0
	.set .L_ZN2at6native6invokeINS0_13AUnaryFunctorIN3c1015Float8_e4m3fnuzES4_bNS0_12_GLOBAL__N_116CompareEqFunctorIS4_EEEEi15function_traitsIS8_EEENT1_11result_typeERKT_PrKPcPKT0_PKNS3_10ScalarTypeEi.private_seg_size, 0
	.set .L_ZN2at6native6invokeINS0_13AUnaryFunctorIN3c1015Float8_e4m3fnuzES4_bNS0_12_GLOBAL__N_116CompareEqFunctorIS4_EEEEi15function_traitsIS8_EEENT1_11result_typeERKT_PrKPcPKT0_PKNS3_10ScalarTypeEi.uses_vcc, 1
	.set .L_ZN2at6native6invokeINS0_13AUnaryFunctorIN3c1015Float8_e4m3fnuzES4_bNS0_12_GLOBAL__N_116CompareEqFunctorIS4_EEEEi15function_traitsIS8_EEENT1_11result_typeERKT_PrKPcPKT0_PKNS3_10ScalarTypeEi.uses_flat_scratch, 0
	.set .L_ZN2at6native6invokeINS0_13AUnaryFunctorIN3c1015Float8_e4m3fnuzES4_bNS0_12_GLOBAL__N_116CompareEqFunctorIS4_EEEEi15function_traitsIS8_EEENT1_11result_typeERKT_PrKPcPKT0_PKNS3_10ScalarTypeEi.has_dyn_sized_stack, 0
	.set .L_ZN2at6native6invokeINS0_13AUnaryFunctorIN3c1015Float8_e4m3fnuzES4_bNS0_12_GLOBAL__N_116CompareEqFunctorIS4_EEEEi15function_traitsIS8_EEENT1_11result_typeERKT_PrKPcPKT0_PKNS3_10ScalarTypeEi.has_recursion, 0
	.set .L_ZN2at6native6invokeINS0_13AUnaryFunctorIN3c1015Float8_e4m3fnuzES4_bNS0_12_GLOBAL__N_116CompareEqFunctorIS4_EEEEi15function_traitsIS8_EEENT1_11result_typeERKT_PrKPcPKT0_PKNS3_10ScalarTypeEi.has_indirect_call, 0
	.section	.AMDGPU.csdata,"",@progbits
; Function info:
; codeLenInByte = 8040
; TotalNumSgprs: 34
; NumVgprs: 10
; ScratchSize: 0
; MemoryBound: 0
	.section	.text._ZN2at6native32elementwise_kernel_manual_unrollILi128ELi4EZNS0_15gpu_kernel_implINS0_13AUnaryFunctorIN3c1015Float8_e4m3fnuzES5_bNS0_12_GLOBAL__N_116CompareEqFunctorIS5_EEEEEEvRNS_18TensorIteratorBaseERKT_EUlibE_EEviT1_,"axG",@progbits,_ZN2at6native32elementwise_kernel_manual_unrollILi128ELi4EZNS0_15gpu_kernel_implINS0_13AUnaryFunctorIN3c1015Float8_e4m3fnuzES5_bNS0_12_GLOBAL__N_116CompareEqFunctorIS5_EEEEEEvRNS_18TensorIteratorBaseERKT_EUlibE_EEviT1_,comdat
	.globl	_ZN2at6native32elementwise_kernel_manual_unrollILi128ELi4EZNS0_15gpu_kernel_implINS0_13AUnaryFunctorIN3c1015Float8_e4m3fnuzES5_bNS0_12_GLOBAL__N_116CompareEqFunctorIS5_EEEEEEvRNS_18TensorIteratorBaseERKT_EUlibE_EEviT1_ ; -- Begin function _ZN2at6native32elementwise_kernel_manual_unrollILi128ELi4EZNS0_15gpu_kernel_implINS0_13AUnaryFunctorIN3c1015Float8_e4m3fnuzES5_bNS0_12_GLOBAL__N_116CompareEqFunctorIS5_EEEEEEvRNS_18TensorIteratorBaseERKT_EUlibE_EEviT1_
	.p2align	8
	.type	_ZN2at6native32elementwise_kernel_manual_unrollILi128ELi4EZNS0_15gpu_kernel_implINS0_13AUnaryFunctorIN3c1015Float8_e4m3fnuzES5_bNS0_12_GLOBAL__N_116CompareEqFunctorIS5_EEEEEEvRNS_18TensorIteratorBaseERKT_EUlibE_EEviT1_,@function
_ZN2at6native32elementwise_kernel_manual_unrollILi128ELi4EZNS0_15gpu_kernel_implINS0_13AUnaryFunctorIN3c1015Float8_e4m3fnuzES5_bNS0_12_GLOBAL__N_116CompareEqFunctorIS5_EEEEEEvRNS_18TensorIteratorBaseERKT_EUlibE_EEviT1_: ; @_ZN2at6native32elementwise_kernel_manual_unrollILi128ELi4EZNS0_15gpu_kernel_implINS0_13AUnaryFunctorIN3c1015Float8_e4m3fnuzES5_bNS0_12_GLOBAL__N_116CompareEqFunctorIS5_EEEEEEvRNS_18TensorIteratorBaseERKT_EUlibE_EEviT1_
; %bb.0:
	s_load_b32 s24, s[0:1], 0x28
	s_bfe_u32 s3, ttmp6, 0x4000c
	s_clause 0x1
	s_load_b32 s15, s[0:1], 0x0
	s_load_b256 s[16:23], s[0:1], 0x8
	s_add_co_i32 s3, s3, 1
	s_and_b32 s2, ttmp6, 15
	s_wait_xcnt 0x0
	s_mul_i32 s0, ttmp9, s3
	s_getreg_b32 s4, hwreg(HW_REG_IB_STS2, 6, 4)
	s_add_co_i32 s2, s2, s0
	s_mov_b32 s13, 0
	s_mov_b32 s26, 0
	;; [unrolled: 1-line block ×3, first 2 shown]
	s_wait_kmcnt 0x0
	s_bfe_u32 s25, s24, 0x80008
	s_cmp_eq_u32 s4, 0
	s_cselect_b32 s0, ttmp9, s2
	s_delay_alu instid0(SALU_CYCLE_1) | instskip(SKIP_1) | instid1(VALU_DEP_1)
	v_lshl_or_b32 v10, s0, 9, v0
	s_mov_b32 s0, exec_lo
	v_or_b32_e32 v11, 0x180, v10
	s_delay_alu instid0(VALU_DEP_1)
	v_cmpx_le_i32_e64 s15, v11
	s_xor_b32 s14, exec_lo, s0
	s_cbranch_execz .LBB306_512
; %bb.1:
	s_mov_b32 s0, -1
	s_mov_b32 s28, 0
	s_mov_b32 s27, exec_lo
	v_cmpx_gt_i32_e64 s15, v10
	s_cbranch_execz .LBB306_124
; %bb.2:
	v_dual_mov_b32 v0, s22 :: v_dual_mov_b32 v1, s23
	v_dual_mov_b32 v2, s18 :: v_dual_mov_b32 v3, s19
	;; [unrolled: 1-line block ×3, first 2 shown]
	v_mov_b32_e32 v6, v10
	s_get_pc_i64 s[0:1]
	s_add_nc_u64 s[0:1], s[0:1], _ZN2at6native6invokeINS0_13AUnaryFunctorIN3c1015Float8_e4m3fnuzES4_bNS0_12_GLOBAL__N_116CompareEqFunctorIS4_EEEEi15function_traitsIS8_EEENT1_11result_typeERKT_PrKPcPKT0_PKNS3_10ScalarTypeEi@rel64+4
	s_delay_alu instid0(SALU_CYCLE_1) | instskip(SKIP_2) | instid1(SALU_CYCLE_1)
	s_swap_pc_i64 s[30:31], s[0:1]
	v_and_b32_e32 v0, 1, v0
	s_and_b32 s2, s24, 0xff
	s_cmp_lt_i32 s2, 11
	s_delay_alu instid0(VALU_DEP_1) | instskip(SKIP_1) | instid1(VALU_DEP_1)
	v_cmp_eq_u32_e64 s0, 1, v0
	v_mul_lo_u32 v0, v10, s20
	v_ashrrev_i32_e32 v1, 31, v0
	s_delay_alu instid0(VALU_DEP_1)
	v_add_nc_u64_e32 v[0:1], s[16:17], v[0:1]
	s_cbranch_scc1 .LBB306_9
; %bb.3:
	s_and_b32 s3, 0xffff, s2
	s_delay_alu instid0(SALU_CYCLE_1)
	s_cmp_gt_i32 s3, 25
	s_cbranch_scc0 .LBB306_12
; %bb.4:
	s_cmp_gt_i32 s3, 28
	s_cbranch_scc0 .LBB306_13
; %bb.5:
	;; [unrolled: 3-line block ×4, first 2 shown]
	s_mov_b32 s5, 0
	s_mov_b32 s1, -1
	s_cmp_eq_u32 s3, 46
	s_mov_b32 s4, 0
	s_cbranch_scc0 .LBB306_16
; %bb.8:
	v_cndmask_b32_e64 v2, 0, 1.0, s0
	s_mov_b32 s4, -1
	s_mov_b32 s1, 0
	s_delay_alu instid0(VALU_DEP_1) | instskip(NEXT) | instid1(VALU_DEP_1)
	v_bfe_u32 v3, v2, 16, 1
	v_add3_u32 v2, v2, v3, 0x7fff
	s_delay_alu instid0(VALU_DEP_1)
	v_lshrrev_b32_e32 v2, 16, v2
	global_store_b32 v[0:1], v2, off
	s_branch .LBB306_16
.LBB306_9:
	s_mov_b32 s1, 0
	s_mov_b32 s4, 0
	s_cbranch_execnz .LBB306_84
.LBB306_10:
	s_and_not1_b32 vcc_lo, exec_lo, s4
	s_cbranch_vccnz .LBB306_122
.LBB306_11:
	v_add_nc_u32_e32 v10, 0x80, v10
	s_mov_b32 s0, -1
	s_branch .LBB306_123
.LBB306_12:
	s_mov_b32 s1, 0
	s_mov_b32 s4, 0
	s_cbranch_execnz .LBB306_43
	s_branch .LBB306_83
.LBB306_13:
	s_mov_b32 s5, -1
	s_mov_b32 s1, 0
	s_mov_b32 s4, 0
	s_branch .LBB306_26
.LBB306_14:
	s_mov_b32 s5, -1
	s_mov_b32 s1, 0
	s_mov_b32 s4, 0
	s_branch .LBB306_22
.LBB306_15:
	s_mov_b32 s5, -1
	s_mov_b32 s1, 0
	s_mov_b32 s4, 0
.LBB306_16:
	s_and_b32 vcc_lo, exec_lo, s5
	s_cbranch_vccz .LBB306_21
; %bb.17:
	s_cmp_eq_u32 s3, 44
	s_mov_b32 s1, -1
	s_cbranch_scc0 .LBB306_21
; %bb.18:
	v_cndmask_b32_e64 v4, 0, 1.0, s0
	s_mov_b32 s4, exec_lo
	s_wait_xcnt 0x0
	s_delay_alu instid0(VALU_DEP_1) | instskip(NEXT) | instid1(VALU_DEP_1)
	v_dual_mov_b32 v3, 0xff :: v_dual_lshrrev_b32 v2, 23, v4
	v_cmpx_ne_u32_e32 0xff, v2
; %bb.19:
	v_and_b32_e32 v3, 0x400000, v4
	v_and_or_b32 v4, 0x3fffff, v4, v2
	s_delay_alu instid0(VALU_DEP_2) | instskip(NEXT) | instid1(VALU_DEP_2)
	v_cmp_ne_u32_e32 vcc_lo, 0, v3
	v_cmp_ne_u32_e64 s1, 0, v4
	s_and_b32 s1, vcc_lo, s1
	s_delay_alu instid0(SALU_CYCLE_1) | instskip(NEXT) | instid1(VALU_DEP_1)
	v_cndmask_b32_e64 v3, 0, 1, s1
	v_add_nc_u32_e32 v3, v2, v3
; %bb.20:
	s_or_b32 exec_lo, exec_lo, s4
	s_mov_b32 s4, -1
	s_mov_b32 s1, 0
	global_store_b8 v[0:1], v3, off
.LBB306_21:
	s_mov_b32 s5, 0
.LBB306_22:
	s_delay_alu instid0(SALU_CYCLE_1)
	s_and_b32 vcc_lo, exec_lo, s5
	s_cbranch_vccz .LBB306_25
; %bb.23:
	s_cmp_eq_u32 s3, 29
	s_mov_b32 s1, -1
	s_cbranch_scc0 .LBB306_25
; %bb.24:
	s_mov_b32 s1, 0
	s_wait_xcnt 0x0
	v_cndmask_b32_e64 v2, 0, 1, s0
	v_mov_b32_e32 v3, s1
	s_mov_b32 s4, -1
	s_mov_b32 s5, 0
	global_store_b64 v[0:1], v[2:3], off
	s_branch .LBB306_26
.LBB306_25:
	s_mov_b32 s5, 0
.LBB306_26:
	s_delay_alu instid0(SALU_CYCLE_1)
	s_and_b32 vcc_lo, exec_lo, s5
	s_cbranch_vccz .LBB306_42
; %bb.27:
	s_cmp_lt_i32 s3, 27
	s_mov_b32 s4, -1
	s_cbranch_scc1 .LBB306_33
; %bb.28:
	s_cmp_gt_i32 s3, 27
	s_cbranch_scc0 .LBB306_30
; %bb.29:
	s_wait_xcnt 0x0
	v_cndmask_b32_e64 v2, 0, 1, s0
	s_mov_b32 s4, 0
	global_store_b32 v[0:1], v2, off
.LBB306_30:
	s_and_not1_b32 vcc_lo, exec_lo, s4
	s_cbranch_vccnz .LBB306_32
; %bb.31:
	s_wait_xcnt 0x0
	v_cndmask_b32_e64 v2, 0, 1, s0
	global_store_b16 v[0:1], v2, off
.LBB306_32:
	s_mov_b32 s4, 0
.LBB306_33:
	s_delay_alu instid0(SALU_CYCLE_1)
	s_and_not1_b32 vcc_lo, exec_lo, s4
	s_cbranch_vccnz .LBB306_41
; %bb.34:
	s_wait_xcnt 0x0
	v_cndmask_b32_e64 v3, 0, 1.0, s0
	v_mov_b32_e32 v4, 0x80
	s_mov_b32 s4, exec_lo
	s_delay_alu instid0(VALU_DEP_2)
	v_cmpx_gt_u32_e32 0x43800000, v3
	s_cbranch_execz .LBB306_40
; %bb.35:
	s_mov_b32 s5, 0
	s_mov_b32 s6, exec_lo
                                        ; implicit-def: $vgpr2
	v_cmpx_lt_u32_e32 0x3bffffff, v3
	s_xor_b32 s6, exec_lo, s6
	s_cbranch_execz .LBB306_141
; %bb.36:
	v_bfe_u32 v2, v3, 20, 1
	s_mov_b32 s5, exec_lo
	s_delay_alu instid0(VALU_DEP_1) | instskip(NEXT) | instid1(VALU_DEP_1)
	v_add3_u32 v2, v3, v2, 0x487ffff
                                        ; implicit-def: $vgpr3
	v_lshrrev_b32_e32 v2, 20, v2
	s_and_not1_saveexec_b32 s6, s6
	s_cbranch_execnz .LBB306_142
.LBB306_37:
	s_or_b32 exec_lo, exec_lo, s6
	v_mov_b32_e32 v4, 0
	s_and_saveexec_b32 s6, s5
.LBB306_38:
	v_mov_b32_e32 v4, v2
.LBB306_39:
	s_or_b32 exec_lo, exec_lo, s6
.LBB306_40:
	s_delay_alu instid0(SALU_CYCLE_1)
	s_or_b32 exec_lo, exec_lo, s4
	global_store_b8 v[0:1], v4, off
.LBB306_41:
	s_mov_b32 s4, -1
.LBB306_42:
	s_branch .LBB306_83
.LBB306_43:
	s_cmp_gt_i32 s3, 22
	s_mov_b32 s5, -1
	s_cbranch_scc0 .LBB306_75
; %bb.44:
	s_cmp_lt_i32 s3, 24
	s_mov_b32 s4, -1
	s_cbranch_scc1 .LBB306_64
; %bb.45:
	s_cmp_gt_i32 s3, 24
	s_cbranch_scc0 .LBB306_53
; %bb.46:
	s_wait_xcnt 0x0
	v_cndmask_b32_e64 v3, 0, 1.0, s0
	v_mov_b32_e32 v4, 0x80
	s_mov_b32 s4, exec_lo
	s_delay_alu instid0(VALU_DEP_2)
	v_cmpx_gt_u32_e32 0x47800000, v3
	s_cbranch_execz .LBB306_52
; %bb.47:
	s_mov_b32 s5, 0
	s_mov_b32 s6, exec_lo
                                        ; implicit-def: $vgpr2
	v_cmpx_lt_u32_e32 0x37ffffff, v3
	s_xor_b32 s6, exec_lo, s6
	s_cbranch_execz .LBB306_144
; %bb.48:
	v_bfe_u32 v2, v3, 21, 1
	s_mov_b32 s5, exec_lo
	s_delay_alu instid0(VALU_DEP_1) | instskip(NEXT) | instid1(VALU_DEP_1)
	v_add3_u32 v2, v3, v2, 0x88fffff
                                        ; implicit-def: $vgpr3
	v_lshrrev_b32_e32 v2, 21, v2
	s_and_not1_saveexec_b32 s6, s6
	s_cbranch_execnz .LBB306_145
.LBB306_49:
	s_or_b32 exec_lo, exec_lo, s6
	v_mov_b32_e32 v4, 0
	s_and_saveexec_b32 s6, s5
.LBB306_50:
	v_mov_b32_e32 v4, v2
.LBB306_51:
	s_or_b32 exec_lo, exec_lo, s6
.LBB306_52:
	s_delay_alu instid0(SALU_CYCLE_1)
	s_or_b32 exec_lo, exec_lo, s4
	s_mov_b32 s4, 0
	global_store_b8 v[0:1], v4, off
.LBB306_53:
	s_and_b32 vcc_lo, exec_lo, s4
	s_cbranch_vccz .LBB306_63
; %bb.54:
	s_wait_xcnt 0x0
	v_cndmask_b32_e64 v3, 0, 1.0, s0
	s_mov_b32 s4, exec_lo
                                        ; implicit-def: $vgpr2
	s_delay_alu instid0(VALU_DEP_1)
	v_cmpx_gt_u32_e32 0x43f00000, v3
	s_xor_b32 s4, exec_lo, s4
	s_cbranch_execz .LBB306_60
; %bb.55:
	s_mov_b32 s5, exec_lo
                                        ; implicit-def: $vgpr2
	v_cmpx_lt_u32_e32 0x3c7fffff, v3
	s_xor_b32 s5, exec_lo, s5
; %bb.56:
	v_bfe_u32 v2, v3, 20, 1
	s_delay_alu instid0(VALU_DEP_1) | instskip(NEXT) | instid1(VALU_DEP_1)
	v_add3_u32 v2, v3, v2, 0x407ffff
	v_and_b32_e32 v3, 0xff00000, v2
	v_lshrrev_b32_e32 v2, 20, v2
	s_delay_alu instid0(VALU_DEP_2) | instskip(NEXT) | instid1(VALU_DEP_2)
	v_cmp_ne_u32_e32 vcc_lo, 0x7f00000, v3
                                        ; implicit-def: $vgpr3
	v_cndmask_b32_e32 v2, 0x7e, v2, vcc_lo
; %bb.57:
	s_and_not1_saveexec_b32 s5, s5
; %bb.58:
	v_add_f32_e32 v2, 0x46800000, v3
; %bb.59:
	s_or_b32 exec_lo, exec_lo, s5
                                        ; implicit-def: $vgpr3
.LBB306_60:
	s_and_not1_saveexec_b32 s4, s4
; %bb.61:
	v_mov_b32_e32 v2, 0x7f
	v_cmp_lt_u32_e32 vcc_lo, 0x7f800000, v3
	s_delay_alu instid0(VALU_DEP_2)
	v_cndmask_b32_e32 v2, 0x7e, v2, vcc_lo
; %bb.62:
	s_or_b32 exec_lo, exec_lo, s4
	global_store_b8 v[0:1], v2, off
.LBB306_63:
	s_mov_b32 s4, 0
.LBB306_64:
	s_delay_alu instid0(SALU_CYCLE_1)
	s_and_not1_b32 vcc_lo, exec_lo, s4
	s_cbranch_vccnz .LBB306_74
; %bb.65:
	s_wait_xcnt 0x0
	v_cndmask_b32_e64 v3, 0, 1.0, s0
	s_mov_b32 s4, exec_lo
                                        ; implicit-def: $vgpr2
	s_delay_alu instid0(VALU_DEP_1)
	v_cmpx_gt_u32_e32 0x47800000, v3
	s_xor_b32 s4, exec_lo, s4
	s_cbranch_execz .LBB306_71
; %bb.66:
	s_mov_b32 s5, exec_lo
                                        ; implicit-def: $vgpr2
	v_cmpx_lt_u32_e32 0x387fffff, v3
	s_xor_b32 s5, exec_lo, s5
; %bb.67:
	v_bfe_u32 v2, v3, 21, 1
	s_delay_alu instid0(VALU_DEP_1) | instskip(NEXT) | instid1(VALU_DEP_1)
	v_add3_u32 v2, v3, v2, 0x80fffff
                                        ; implicit-def: $vgpr3
	v_lshrrev_b32_e32 v2, 21, v2
; %bb.68:
	s_and_not1_saveexec_b32 s5, s5
; %bb.69:
	v_add_f32_e32 v2, 0x43000000, v3
; %bb.70:
	s_or_b32 exec_lo, exec_lo, s5
                                        ; implicit-def: $vgpr3
.LBB306_71:
	s_and_not1_saveexec_b32 s4, s4
; %bb.72:
	v_mov_b32_e32 v2, 0x7f
	v_cmp_lt_u32_e32 vcc_lo, 0x7f800000, v3
	s_delay_alu instid0(VALU_DEP_2)
	v_cndmask_b32_e32 v2, 0x7c, v2, vcc_lo
; %bb.73:
	s_or_b32 exec_lo, exec_lo, s4
	global_store_b8 v[0:1], v2, off
.LBB306_74:
	s_mov_b32 s5, 0
	s_mov_b32 s4, -1
.LBB306_75:
	s_and_not1_b32 vcc_lo, exec_lo, s5
	s_cbranch_vccnz .LBB306_83
; %bb.76:
	s_cmp_gt_i32 s3, 14
	s_mov_b32 s5, -1
	s_cbranch_scc0 .LBB306_80
; %bb.77:
	s_cmp_eq_u32 s3, 15
	s_mov_b32 s1, -1
	s_cbranch_scc0 .LBB306_79
; %bb.78:
	s_wait_xcnt 0x0
	v_cndmask_b32_e64 v2, 0, 1.0, s0
	s_mov_b32 s4, -1
	s_mov_b32 s1, 0
	s_delay_alu instid0(VALU_DEP_1) | instskip(NEXT) | instid1(VALU_DEP_1)
	v_bfe_u32 v3, v2, 16, 1
	v_add3_u32 v2, v2, v3, 0x7fff
	global_store_d16_hi_b16 v[0:1], v2, off
.LBB306_79:
	s_mov_b32 s5, 0
.LBB306_80:
	s_delay_alu instid0(SALU_CYCLE_1)
	s_and_b32 vcc_lo, exec_lo, s5
	s_cbranch_vccz .LBB306_83
; %bb.81:
	s_cmp_eq_u32 s3, 11
	s_mov_b32 s1, -1
	s_cbranch_scc0 .LBB306_83
; %bb.82:
	s_wait_xcnt 0x0
	v_cndmask_b32_e64 v2, 0, 1, s0
	s_mov_b32 s4, -1
	s_mov_b32 s1, 0
	global_store_b8 v[0:1], v2, off
.LBB306_83:
	s_branch .LBB306_10
.LBB306_84:
	s_and_b32 s2, 0xffff, s2
	s_mov_b32 s3, -1
	s_cmp_lt_i32 s2, 5
	s_cbranch_scc1 .LBB306_105
; %bb.85:
	s_cmp_lt_i32 s2, 8
	s_cbranch_scc1 .LBB306_95
; %bb.86:
	s_cmp_lt_i32 s2, 9
	s_cbranch_scc1 .LBB306_92
; %bb.87:
	s_cmp_gt_i32 s2, 9
	s_cbranch_scc0 .LBB306_89
; %bb.88:
	s_wait_xcnt 0x0
	v_cndmask_b32_e64 v2, 0, 1, s0
	v_mov_b32_e32 v4, 0
	s_mov_b32 s3, 0
	s_delay_alu instid0(VALU_DEP_2) | instskip(NEXT) | instid1(VALU_DEP_2)
	v_cvt_f64_u32_e32 v[2:3], v2
	v_mov_b32_e32 v5, v4
	global_store_b128 v[0:1], v[2:5], off
.LBB306_89:
	s_and_not1_b32 vcc_lo, exec_lo, s3
	s_cbranch_vccnz .LBB306_91
; %bb.90:
	s_wait_xcnt 0x0
	v_cndmask_b32_e64 v2, 0, 1.0, s0
	v_mov_b32_e32 v3, 0
	global_store_b64 v[0:1], v[2:3], off
.LBB306_91:
	s_mov_b32 s3, 0
.LBB306_92:
	s_delay_alu instid0(SALU_CYCLE_1)
	s_and_not1_b32 vcc_lo, exec_lo, s3
	s_cbranch_vccnz .LBB306_94
; %bb.93:
	s_wait_xcnt 0x0
	v_cndmask_b32_e64 v2, 0, 1.0, s0
	s_delay_alu instid0(VALU_DEP_1) | instskip(NEXT) | instid1(VALU_DEP_1)
	v_cvt_f16_f32_e32 v2, v2
	v_and_b32_e32 v2, 0xffff, v2
	global_store_b32 v[0:1], v2, off
.LBB306_94:
	s_mov_b32 s3, 0
.LBB306_95:
	s_delay_alu instid0(SALU_CYCLE_1)
	s_and_not1_b32 vcc_lo, exec_lo, s3
	s_cbranch_vccnz .LBB306_104
; %bb.96:
	s_cmp_lt_i32 s2, 6
	s_mov_b32 s3, -1
	s_cbranch_scc1 .LBB306_102
; %bb.97:
	s_cmp_gt_i32 s2, 6
	s_cbranch_scc0 .LBB306_99
; %bb.98:
	s_wait_xcnt 0x0
	v_cndmask_b32_e64 v2, 0, 1, s0
	s_mov_b32 s3, 0
	s_delay_alu instid0(VALU_DEP_1)
	v_cvt_f64_u32_e32 v[2:3], v2
	global_store_b64 v[0:1], v[2:3], off
.LBB306_99:
	s_and_not1_b32 vcc_lo, exec_lo, s3
	s_cbranch_vccnz .LBB306_101
; %bb.100:
	s_wait_xcnt 0x0
	v_cndmask_b32_e64 v2, 0, 1.0, s0
	global_store_b32 v[0:1], v2, off
.LBB306_101:
	s_mov_b32 s3, 0
.LBB306_102:
	s_delay_alu instid0(SALU_CYCLE_1)
	s_and_not1_b32 vcc_lo, exec_lo, s3
	s_cbranch_vccnz .LBB306_104
; %bb.103:
	s_wait_xcnt 0x0
	v_cndmask_b32_e64 v2, 0, 1.0, s0
	s_delay_alu instid0(VALU_DEP_1)
	v_cvt_f16_f32_e32 v2, v2
	global_store_b16 v[0:1], v2, off
.LBB306_104:
	s_mov_b32 s3, 0
.LBB306_105:
	s_delay_alu instid0(SALU_CYCLE_1)
	s_and_not1_b32 vcc_lo, exec_lo, s3
	s_cbranch_vccnz .LBB306_121
; %bb.106:
	s_cmp_lt_i32 s2, 2
	s_mov_b32 s3, -1
	s_cbranch_scc1 .LBB306_116
; %bb.107:
	s_cmp_lt_i32 s2, 3
	s_cbranch_scc1 .LBB306_113
; %bb.108:
	s_cmp_gt_i32 s2, 3
	s_cbranch_scc0 .LBB306_110
; %bb.109:
	s_mov_b32 s3, 0
	s_wait_xcnt 0x0
	v_cndmask_b32_e64 v2, 0, 1, s0
	v_mov_b32_e32 v3, s3
	global_store_b64 v[0:1], v[2:3], off
.LBB306_110:
	s_and_not1_b32 vcc_lo, exec_lo, s3
	s_cbranch_vccnz .LBB306_112
; %bb.111:
	s_wait_xcnt 0x0
	v_cndmask_b32_e64 v2, 0, 1, s0
	global_store_b32 v[0:1], v2, off
.LBB306_112:
	s_mov_b32 s3, 0
.LBB306_113:
	s_delay_alu instid0(SALU_CYCLE_1)
	s_and_not1_b32 vcc_lo, exec_lo, s3
	s_cbranch_vccnz .LBB306_115
; %bb.114:
	s_wait_xcnt 0x0
	v_cndmask_b32_e64 v2, 0, 1, s0
	global_store_b16 v[0:1], v2, off
.LBB306_115:
	s_mov_b32 s3, 0
.LBB306_116:
	s_delay_alu instid0(SALU_CYCLE_1)
	s_and_not1_b32 vcc_lo, exec_lo, s3
	s_cbranch_vccnz .LBB306_121
; %bb.117:
	s_wait_xcnt 0x0
	v_cndmask_b32_e64 v2, 0, 1, s0
	s_cmp_gt_i32 s2, 0
	s_mov_b32 s0, -1
	s_cbranch_scc0 .LBB306_119
; %bb.118:
	s_mov_b32 s0, 0
	global_store_b8 v[0:1], v2, off
.LBB306_119:
	s_and_not1_b32 vcc_lo, exec_lo, s0
	s_cbranch_vccnz .LBB306_121
; %bb.120:
	global_store_b8 v[0:1], v2, off
.LBB306_121:
	s_branch .LBB306_11
.LBB306_122:
	s_mov_b32 s0, 0
                                        ; implicit-def: $vgpr10
.LBB306_123:
	s_and_b32 s26, s1, exec_lo
	s_or_not1_b32 s0, s0, exec_lo
.LBB306_124:
	s_wait_xcnt 0x0
	s_or_b32 exec_lo, exec_lo, s27
	s_mov_b32 s3, 0
                                        ; implicit-def: $sgpr1
                                        ; implicit-def: $sgpr2
                                        ; implicit-def: $vgpr0_vgpr1
	s_and_saveexec_b32 s27, s0
	s_cbranch_execz .LBB306_133
; %bb.125:
	s_mov_b32 s4, -1
	s_mov_b32 s28, s26
	s_mov_b32 s29, exec_lo
	v_cmpx_gt_i32_e64 s15, v10
	s_cbranch_execz .LBB306_256
; %bb.126:
	v_dual_mov_b32 v0, s22 :: v_dual_mov_b32 v1, s23
	v_dual_mov_b32 v2, s18 :: v_dual_mov_b32 v3, s19
	;; [unrolled: 1-line block ×3, first 2 shown]
	v_mov_b32_e32 v6, v10
	s_get_pc_i64 s[0:1]
	s_add_nc_u64 s[0:1], s[0:1], _ZN2at6native6invokeINS0_13AUnaryFunctorIN3c1015Float8_e4m3fnuzES4_bNS0_12_GLOBAL__N_116CompareEqFunctorIS4_EEEEi15function_traitsIS8_EEENT1_11result_typeERKT_PrKPcPKT0_PKNS3_10ScalarTypeEi@rel64+4
	s_delay_alu instid0(SALU_CYCLE_1) | instskip(SKIP_2) | instid1(SALU_CYCLE_1)
	s_swap_pc_i64 s[30:31], s[0:1]
	v_and_b32_e32 v0, 1, v0
	s_and_b32 s2, s24, 0xff
	s_cmp_lt_i32 s2, 11
	s_delay_alu instid0(VALU_DEP_1) | instskip(SKIP_1) | instid1(VALU_DEP_1)
	v_cmp_eq_u32_e64 s0, 1, v0
	v_mul_lo_u32 v0, v10, s20
	v_ashrrev_i32_e32 v1, 31, v0
	s_delay_alu instid0(VALU_DEP_1)
	v_add_nc_u64_e32 v[0:1], s[16:17], v[0:1]
	s_cbranch_scc1 .LBB306_136
; %bb.127:
	s_and_b32 s3, 0xffff, s2
	s_delay_alu instid0(SALU_CYCLE_1)
	s_cmp_gt_i32 s3, 25
	s_cbranch_scc0 .LBB306_139
; %bb.128:
	s_cmp_gt_i32 s3, 28
	s_cbranch_scc0 .LBB306_140
; %bb.129:
	s_cmp_gt_i32 s3, 43
	s_cbranch_scc0 .LBB306_143
; %bb.130:
	s_cmp_gt_i32 s3, 45
	s_cbranch_scc0 .LBB306_146
; %bb.131:
	s_mov_b32 s5, 0
	s_mov_b32 s1, -1
	s_cmp_eq_u32 s3, 46
	s_mov_b32 s4, 0
	s_cbranch_scc0 .LBB306_147
; %bb.132:
	v_cndmask_b32_e64 v2, 0, 1.0, s0
	s_mov_b32 s4, -1
	s_mov_b32 s1, 0
	s_delay_alu instid0(VALU_DEP_1) | instskip(NEXT) | instid1(VALU_DEP_1)
	v_bfe_u32 v3, v2, 16, 1
	v_add3_u32 v2, v2, v3, 0x7fff
	s_delay_alu instid0(VALU_DEP_1)
	v_lshrrev_b32_e32 v2, 16, v2
	global_store_b32 v[0:1], v2, off
	s_branch .LBB306_147
.LBB306_133:
	s_or_b32 exec_lo, exec_lo, s27
	s_mov_b32 s0, 0
	s_and_saveexec_b32 s4, s26
	s_cbranch_execnz .LBB306_472
.LBB306_134:
	s_or_b32 exec_lo, exec_lo, s4
	s_and_saveexec_b32 s4, s28
	s_delay_alu instid0(SALU_CYCLE_1)
	s_xor_b32 s4, exec_lo, s4
	s_cbranch_execz .LBB306_473
.LBB306_135:
	v_cndmask_b32_e64 v2, 0, 1, s1
	global_store_b8 v[0:1], v2, off
	s_wait_xcnt 0x0
	s_or_b32 exec_lo, exec_lo, s4
	s_and_saveexec_b32 s4, s3
	s_delay_alu instid0(SALU_CYCLE_1)
	s_xor_b32 s3, exec_lo, s4
	s_cbranch_execz .LBB306_511
	s_branch .LBB306_474
.LBB306_136:
	s_mov_b32 s4, 0
	s_mov_b32 s1, s26
	s_cbranch_execnz .LBB306_216
.LBB306_137:
	s_and_not1_b32 vcc_lo, exec_lo, s4
	s_cbranch_vccnz .LBB306_254
.LBB306_138:
	v_add_nc_u32_e32 v10, 0x80, v10
	s_mov_b32 s0, -1
	s_branch .LBB306_255
.LBB306_139:
	s_mov_b32 s5, -1
	s_mov_b32 s4, 0
	s_mov_b32 s1, s26
	s_branch .LBB306_174
.LBB306_140:
	s_mov_b32 s5, -1
	s_mov_b32 s4, 0
	s_mov_b32 s1, s26
	s_branch .LBB306_157
.LBB306_141:
	s_and_not1_saveexec_b32 s6, s6
	s_cbranch_execz .LBB306_37
.LBB306_142:
	v_add_f32_e32 v2, 0x46000000, v3
	s_and_not1_b32 s5, s5, exec_lo
	s_delay_alu instid0(VALU_DEP_1) | instskip(NEXT) | instid1(VALU_DEP_1)
	v_and_b32_e32 v2, 0xff, v2
	v_cmp_ne_u32_e32 vcc_lo, 0, v2
	s_and_b32 s7, vcc_lo, exec_lo
	s_delay_alu instid0(SALU_CYCLE_1)
	s_or_b32 s5, s5, s7
	s_or_b32 exec_lo, exec_lo, s6
	v_mov_b32_e32 v4, 0
	s_and_saveexec_b32 s6, s5
	s_cbranch_execnz .LBB306_38
	s_branch .LBB306_39
.LBB306_143:
	s_mov_b32 s5, -1
	s_mov_b32 s4, 0
	s_mov_b32 s1, s26
	s_branch .LBB306_153
.LBB306_144:
	s_and_not1_saveexec_b32 s6, s6
	s_cbranch_execz .LBB306_49
.LBB306_145:
	v_add_f32_e32 v2, 0x42800000, v3
	s_and_not1_b32 s5, s5, exec_lo
	s_delay_alu instid0(VALU_DEP_1) | instskip(NEXT) | instid1(VALU_DEP_1)
	v_and_b32_e32 v2, 0xff, v2
	v_cmp_ne_u32_e32 vcc_lo, 0, v2
	s_and_b32 s7, vcc_lo, exec_lo
	s_delay_alu instid0(SALU_CYCLE_1)
	s_or_b32 s5, s5, s7
	s_or_b32 exec_lo, exec_lo, s6
	v_mov_b32_e32 v4, 0
	s_and_saveexec_b32 s6, s5
	s_cbranch_execnz .LBB306_50
	s_branch .LBB306_51
.LBB306_146:
	s_mov_b32 s5, -1
	s_mov_b32 s4, 0
	s_mov_b32 s1, s26
.LBB306_147:
	s_and_b32 vcc_lo, exec_lo, s5
	s_cbranch_vccz .LBB306_152
; %bb.148:
	s_cmp_eq_u32 s3, 44
	s_mov_b32 s1, -1
	s_cbranch_scc0 .LBB306_152
; %bb.149:
	v_cndmask_b32_e64 v4, 0, 1.0, s0
	s_mov_b32 s4, exec_lo
	s_wait_xcnt 0x0
	s_delay_alu instid0(VALU_DEP_1) | instskip(NEXT) | instid1(VALU_DEP_1)
	v_dual_mov_b32 v3, 0xff :: v_dual_lshrrev_b32 v2, 23, v4
	v_cmpx_ne_u32_e32 0xff, v2
; %bb.150:
	v_and_b32_e32 v3, 0x400000, v4
	v_and_or_b32 v4, 0x3fffff, v4, v2
	s_delay_alu instid0(VALU_DEP_2) | instskip(NEXT) | instid1(VALU_DEP_2)
	v_cmp_ne_u32_e32 vcc_lo, 0, v3
	v_cmp_ne_u32_e64 s1, 0, v4
	s_and_b32 s1, vcc_lo, s1
	s_delay_alu instid0(SALU_CYCLE_1) | instskip(NEXT) | instid1(VALU_DEP_1)
	v_cndmask_b32_e64 v3, 0, 1, s1
	v_add_nc_u32_e32 v3, v2, v3
; %bb.151:
	s_or_b32 exec_lo, exec_lo, s4
	s_mov_b32 s4, -1
	s_mov_b32 s1, 0
	global_store_b8 v[0:1], v3, off
.LBB306_152:
	s_mov_b32 s5, 0
.LBB306_153:
	s_delay_alu instid0(SALU_CYCLE_1)
	s_and_b32 vcc_lo, exec_lo, s5
	s_cbranch_vccz .LBB306_156
; %bb.154:
	s_cmp_eq_u32 s3, 29
	s_mov_b32 s1, -1
	s_cbranch_scc0 .LBB306_156
; %bb.155:
	s_mov_b32 s1, 0
	s_wait_xcnt 0x0
	v_cndmask_b32_e64 v2, 0, 1, s0
	v_mov_b32_e32 v3, s1
	s_mov_b32 s4, -1
	s_mov_b32 s5, 0
	global_store_b64 v[0:1], v[2:3], off
	s_branch .LBB306_157
.LBB306_156:
	s_mov_b32 s5, 0
.LBB306_157:
	s_delay_alu instid0(SALU_CYCLE_1)
	s_and_b32 vcc_lo, exec_lo, s5
	s_cbranch_vccz .LBB306_173
; %bb.158:
	s_cmp_lt_i32 s3, 27
	s_mov_b32 s4, -1
	s_cbranch_scc1 .LBB306_164
; %bb.159:
	s_cmp_gt_i32 s3, 27
	s_cbranch_scc0 .LBB306_161
; %bb.160:
	s_wait_xcnt 0x0
	v_cndmask_b32_e64 v2, 0, 1, s0
	s_mov_b32 s4, 0
	global_store_b32 v[0:1], v2, off
.LBB306_161:
	s_and_not1_b32 vcc_lo, exec_lo, s4
	s_cbranch_vccnz .LBB306_163
; %bb.162:
	s_wait_xcnt 0x0
	v_cndmask_b32_e64 v2, 0, 1, s0
	global_store_b16 v[0:1], v2, off
.LBB306_163:
	s_mov_b32 s4, 0
.LBB306_164:
	s_delay_alu instid0(SALU_CYCLE_1)
	s_and_not1_b32 vcc_lo, exec_lo, s4
	s_cbranch_vccnz .LBB306_172
; %bb.165:
	s_wait_xcnt 0x0
	v_cndmask_b32_e64 v3, 0, 1.0, s0
	v_mov_b32_e32 v4, 0x80
	s_mov_b32 s4, exec_lo
	s_delay_alu instid0(VALU_DEP_2)
	v_cmpx_gt_u32_e32 0x43800000, v3
	s_cbranch_execz .LBB306_171
; %bb.166:
	s_mov_b32 s5, 0
	s_mov_b32 s6, exec_lo
                                        ; implicit-def: $vgpr2
	v_cmpx_lt_u32_e32 0x3bffffff, v3
	s_xor_b32 s6, exec_lo, s6
	s_cbranch_execz .LBB306_268
; %bb.167:
	v_bfe_u32 v2, v3, 20, 1
	s_mov_b32 s5, exec_lo
	s_delay_alu instid0(VALU_DEP_1) | instskip(NEXT) | instid1(VALU_DEP_1)
	v_add3_u32 v2, v3, v2, 0x487ffff
                                        ; implicit-def: $vgpr3
	v_lshrrev_b32_e32 v2, 20, v2
	s_and_not1_saveexec_b32 s6, s6
	s_cbranch_execnz .LBB306_269
.LBB306_168:
	s_or_b32 exec_lo, exec_lo, s6
	v_mov_b32_e32 v4, 0
	s_and_saveexec_b32 s6, s5
.LBB306_169:
	v_mov_b32_e32 v4, v2
.LBB306_170:
	s_or_b32 exec_lo, exec_lo, s6
.LBB306_171:
	s_delay_alu instid0(SALU_CYCLE_1)
	s_or_b32 exec_lo, exec_lo, s4
	global_store_b8 v[0:1], v4, off
.LBB306_172:
	s_mov_b32 s4, -1
.LBB306_173:
	s_mov_b32 s5, 0
.LBB306_174:
	s_delay_alu instid0(SALU_CYCLE_1)
	s_and_b32 vcc_lo, exec_lo, s5
	s_cbranch_vccz .LBB306_215
; %bb.175:
	s_cmp_gt_i32 s3, 22
	s_mov_b32 s5, -1
	s_cbranch_scc0 .LBB306_207
; %bb.176:
	s_cmp_lt_i32 s3, 24
	s_mov_b32 s4, -1
	s_cbranch_scc1 .LBB306_196
; %bb.177:
	s_cmp_gt_i32 s3, 24
	s_cbranch_scc0 .LBB306_185
; %bb.178:
	s_wait_xcnt 0x0
	v_cndmask_b32_e64 v3, 0, 1.0, s0
	v_mov_b32_e32 v4, 0x80
	s_mov_b32 s4, exec_lo
	s_delay_alu instid0(VALU_DEP_2)
	v_cmpx_gt_u32_e32 0x47800000, v3
	s_cbranch_execz .LBB306_184
; %bb.179:
	s_mov_b32 s5, 0
	s_mov_b32 s6, exec_lo
                                        ; implicit-def: $vgpr2
	v_cmpx_lt_u32_e32 0x37ffffff, v3
	s_xor_b32 s6, exec_lo, s6
	s_cbranch_execz .LBB306_271
; %bb.180:
	v_bfe_u32 v2, v3, 21, 1
	s_mov_b32 s5, exec_lo
	s_delay_alu instid0(VALU_DEP_1) | instskip(NEXT) | instid1(VALU_DEP_1)
	v_add3_u32 v2, v3, v2, 0x88fffff
                                        ; implicit-def: $vgpr3
	v_lshrrev_b32_e32 v2, 21, v2
	s_and_not1_saveexec_b32 s6, s6
	s_cbranch_execnz .LBB306_272
.LBB306_181:
	s_or_b32 exec_lo, exec_lo, s6
	v_mov_b32_e32 v4, 0
	s_and_saveexec_b32 s6, s5
.LBB306_182:
	v_mov_b32_e32 v4, v2
.LBB306_183:
	s_or_b32 exec_lo, exec_lo, s6
.LBB306_184:
	s_delay_alu instid0(SALU_CYCLE_1)
	s_or_b32 exec_lo, exec_lo, s4
	s_mov_b32 s4, 0
	global_store_b8 v[0:1], v4, off
.LBB306_185:
	s_and_b32 vcc_lo, exec_lo, s4
	s_cbranch_vccz .LBB306_195
; %bb.186:
	s_wait_xcnt 0x0
	v_cndmask_b32_e64 v3, 0, 1.0, s0
	s_mov_b32 s4, exec_lo
                                        ; implicit-def: $vgpr2
	s_delay_alu instid0(VALU_DEP_1)
	v_cmpx_gt_u32_e32 0x43f00000, v3
	s_xor_b32 s4, exec_lo, s4
	s_cbranch_execz .LBB306_192
; %bb.187:
	s_mov_b32 s5, exec_lo
                                        ; implicit-def: $vgpr2
	v_cmpx_lt_u32_e32 0x3c7fffff, v3
	s_xor_b32 s5, exec_lo, s5
; %bb.188:
	v_bfe_u32 v2, v3, 20, 1
	s_delay_alu instid0(VALU_DEP_1) | instskip(NEXT) | instid1(VALU_DEP_1)
	v_add3_u32 v2, v3, v2, 0x407ffff
	v_and_b32_e32 v3, 0xff00000, v2
	v_lshrrev_b32_e32 v2, 20, v2
	s_delay_alu instid0(VALU_DEP_2) | instskip(NEXT) | instid1(VALU_DEP_2)
	v_cmp_ne_u32_e32 vcc_lo, 0x7f00000, v3
                                        ; implicit-def: $vgpr3
	v_cndmask_b32_e32 v2, 0x7e, v2, vcc_lo
; %bb.189:
	s_and_not1_saveexec_b32 s5, s5
; %bb.190:
	v_add_f32_e32 v2, 0x46800000, v3
; %bb.191:
	s_or_b32 exec_lo, exec_lo, s5
                                        ; implicit-def: $vgpr3
.LBB306_192:
	s_and_not1_saveexec_b32 s4, s4
; %bb.193:
	v_mov_b32_e32 v2, 0x7f
	v_cmp_lt_u32_e32 vcc_lo, 0x7f800000, v3
	s_delay_alu instid0(VALU_DEP_2)
	v_cndmask_b32_e32 v2, 0x7e, v2, vcc_lo
; %bb.194:
	s_or_b32 exec_lo, exec_lo, s4
	global_store_b8 v[0:1], v2, off
.LBB306_195:
	s_mov_b32 s4, 0
.LBB306_196:
	s_delay_alu instid0(SALU_CYCLE_1)
	s_and_not1_b32 vcc_lo, exec_lo, s4
	s_cbranch_vccnz .LBB306_206
; %bb.197:
	s_wait_xcnt 0x0
	v_cndmask_b32_e64 v3, 0, 1.0, s0
	s_mov_b32 s4, exec_lo
                                        ; implicit-def: $vgpr2
	s_delay_alu instid0(VALU_DEP_1)
	v_cmpx_gt_u32_e32 0x47800000, v3
	s_xor_b32 s4, exec_lo, s4
	s_cbranch_execz .LBB306_203
; %bb.198:
	s_mov_b32 s5, exec_lo
                                        ; implicit-def: $vgpr2
	v_cmpx_lt_u32_e32 0x387fffff, v3
	s_xor_b32 s5, exec_lo, s5
; %bb.199:
	v_bfe_u32 v2, v3, 21, 1
	s_delay_alu instid0(VALU_DEP_1) | instskip(NEXT) | instid1(VALU_DEP_1)
	v_add3_u32 v2, v3, v2, 0x80fffff
                                        ; implicit-def: $vgpr3
	v_lshrrev_b32_e32 v2, 21, v2
; %bb.200:
	s_and_not1_saveexec_b32 s5, s5
; %bb.201:
	v_add_f32_e32 v2, 0x43000000, v3
; %bb.202:
	s_or_b32 exec_lo, exec_lo, s5
                                        ; implicit-def: $vgpr3
.LBB306_203:
	s_and_not1_saveexec_b32 s4, s4
; %bb.204:
	v_mov_b32_e32 v2, 0x7f
	v_cmp_lt_u32_e32 vcc_lo, 0x7f800000, v3
	s_delay_alu instid0(VALU_DEP_2)
	v_cndmask_b32_e32 v2, 0x7c, v2, vcc_lo
; %bb.205:
	s_or_b32 exec_lo, exec_lo, s4
	global_store_b8 v[0:1], v2, off
.LBB306_206:
	s_mov_b32 s5, 0
	s_mov_b32 s4, -1
.LBB306_207:
	s_and_not1_b32 vcc_lo, exec_lo, s5
	s_cbranch_vccnz .LBB306_215
; %bb.208:
	s_cmp_gt_i32 s3, 14
	s_mov_b32 s5, -1
	s_cbranch_scc0 .LBB306_212
; %bb.209:
	s_cmp_eq_u32 s3, 15
	s_mov_b32 s1, -1
	s_cbranch_scc0 .LBB306_211
; %bb.210:
	s_wait_xcnt 0x0
	v_cndmask_b32_e64 v2, 0, 1.0, s0
	s_mov_b32 s4, -1
	s_mov_b32 s1, 0
	s_delay_alu instid0(VALU_DEP_1) | instskip(NEXT) | instid1(VALU_DEP_1)
	v_bfe_u32 v3, v2, 16, 1
	v_add3_u32 v2, v2, v3, 0x7fff
	global_store_d16_hi_b16 v[0:1], v2, off
.LBB306_211:
	s_mov_b32 s5, 0
.LBB306_212:
	s_delay_alu instid0(SALU_CYCLE_1)
	s_and_b32 vcc_lo, exec_lo, s5
	s_cbranch_vccz .LBB306_215
; %bb.213:
	s_cmp_eq_u32 s3, 11
	s_mov_b32 s1, -1
	s_cbranch_scc0 .LBB306_215
; %bb.214:
	s_wait_xcnt 0x0
	v_cndmask_b32_e64 v2, 0, 1, s0
	s_mov_b32 s4, -1
	s_mov_b32 s1, 0
	global_store_b8 v[0:1], v2, off
.LBB306_215:
	s_branch .LBB306_137
.LBB306_216:
	s_and_b32 s2, 0xffff, s2
	s_mov_b32 s3, -1
	s_cmp_lt_i32 s2, 5
	s_cbranch_scc1 .LBB306_237
; %bb.217:
	s_cmp_lt_i32 s2, 8
	s_cbranch_scc1 .LBB306_227
; %bb.218:
	s_cmp_lt_i32 s2, 9
	s_cbranch_scc1 .LBB306_224
; %bb.219:
	s_cmp_gt_i32 s2, 9
	s_cbranch_scc0 .LBB306_221
; %bb.220:
	s_wait_xcnt 0x0
	v_cndmask_b32_e64 v2, 0, 1, s0
	v_mov_b32_e32 v4, 0
	s_mov_b32 s3, 0
	s_delay_alu instid0(VALU_DEP_2) | instskip(NEXT) | instid1(VALU_DEP_2)
	v_cvt_f64_u32_e32 v[2:3], v2
	v_mov_b32_e32 v5, v4
	global_store_b128 v[0:1], v[2:5], off
.LBB306_221:
	s_and_not1_b32 vcc_lo, exec_lo, s3
	s_cbranch_vccnz .LBB306_223
; %bb.222:
	s_wait_xcnt 0x0
	v_cndmask_b32_e64 v2, 0, 1.0, s0
	v_mov_b32_e32 v3, 0
	global_store_b64 v[0:1], v[2:3], off
.LBB306_223:
	s_mov_b32 s3, 0
.LBB306_224:
	s_delay_alu instid0(SALU_CYCLE_1)
	s_and_not1_b32 vcc_lo, exec_lo, s3
	s_cbranch_vccnz .LBB306_226
; %bb.225:
	s_wait_xcnt 0x0
	v_cndmask_b32_e64 v2, 0, 1.0, s0
	s_delay_alu instid0(VALU_DEP_1) | instskip(NEXT) | instid1(VALU_DEP_1)
	v_cvt_f16_f32_e32 v2, v2
	v_and_b32_e32 v2, 0xffff, v2
	global_store_b32 v[0:1], v2, off
.LBB306_226:
	s_mov_b32 s3, 0
.LBB306_227:
	s_delay_alu instid0(SALU_CYCLE_1)
	s_and_not1_b32 vcc_lo, exec_lo, s3
	s_cbranch_vccnz .LBB306_236
; %bb.228:
	s_cmp_lt_i32 s2, 6
	s_mov_b32 s3, -1
	s_cbranch_scc1 .LBB306_234
; %bb.229:
	s_cmp_gt_i32 s2, 6
	s_cbranch_scc0 .LBB306_231
; %bb.230:
	s_wait_xcnt 0x0
	v_cndmask_b32_e64 v2, 0, 1, s0
	s_mov_b32 s3, 0
	s_delay_alu instid0(VALU_DEP_1)
	v_cvt_f64_u32_e32 v[2:3], v2
	global_store_b64 v[0:1], v[2:3], off
.LBB306_231:
	s_and_not1_b32 vcc_lo, exec_lo, s3
	s_cbranch_vccnz .LBB306_233
; %bb.232:
	s_wait_xcnt 0x0
	v_cndmask_b32_e64 v2, 0, 1.0, s0
	global_store_b32 v[0:1], v2, off
.LBB306_233:
	s_mov_b32 s3, 0
.LBB306_234:
	s_delay_alu instid0(SALU_CYCLE_1)
	s_and_not1_b32 vcc_lo, exec_lo, s3
	s_cbranch_vccnz .LBB306_236
; %bb.235:
	s_wait_xcnt 0x0
	v_cndmask_b32_e64 v2, 0, 1.0, s0
	s_delay_alu instid0(VALU_DEP_1)
	v_cvt_f16_f32_e32 v2, v2
	global_store_b16 v[0:1], v2, off
.LBB306_236:
	s_mov_b32 s3, 0
.LBB306_237:
	s_delay_alu instid0(SALU_CYCLE_1)
	s_and_not1_b32 vcc_lo, exec_lo, s3
	s_cbranch_vccnz .LBB306_253
; %bb.238:
	s_cmp_lt_i32 s2, 2
	s_mov_b32 s3, -1
	s_cbranch_scc1 .LBB306_248
; %bb.239:
	s_cmp_lt_i32 s2, 3
	s_cbranch_scc1 .LBB306_245
; %bb.240:
	s_cmp_gt_i32 s2, 3
	s_cbranch_scc0 .LBB306_242
; %bb.241:
	s_mov_b32 s3, 0
	s_wait_xcnt 0x0
	v_cndmask_b32_e64 v2, 0, 1, s0
	v_mov_b32_e32 v3, s3
	global_store_b64 v[0:1], v[2:3], off
.LBB306_242:
	s_and_not1_b32 vcc_lo, exec_lo, s3
	s_cbranch_vccnz .LBB306_244
; %bb.243:
	s_wait_xcnt 0x0
	v_cndmask_b32_e64 v2, 0, 1, s0
	global_store_b32 v[0:1], v2, off
.LBB306_244:
	s_mov_b32 s3, 0
.LBB306_245:
	s_delay_alu instid0(SALU_CYCLE_1)
	s_and_not1_b32 vcc_lo, exec_lo, s3
	s_cbranch_vccnz .LBB306_247
; %bb.246:
	s_wait_xcnt 0x0
	v_cndmask_b32_e64 v2, 0, 1, s0
	global_store_b16 v[0:1], v2, off
.LBB306_247:
	s_mov_b32 s3, 0
.LBB306_248:
	s_delay_alu instid0(SALU_CYCLE_1)
	s_and_not1_b32 vcc_lo, exec_lo, s3
	s_cbranch_vccnz .LBB306_253
; %bb.249:
	s_wait_xcnt 0x0
	v_cndmask_b32_e64 v2, 0, 1, s0
	s_cmp_gt_i32 s2, 0
	s_mov_b32 s0, -1
	s_cbranch_scc0 .LBB306_251
; %bb.250:
	s_mov_b32 s0, 0
	global_store_b8 v[0:1], v2, off
.LBB306_251:
	s_and_not1_b32 vcc_lo, exec_lo, s0
	s_cbranch_vccnz .LBB306_253
; %bb.252:
	global_store_b8 v[0:1], v2, off
.LBB306_253:
	s_branch .LBB306_138
.LBB306_254:
	s_mov_b32 s0, 0
                                        ; implicit-def: $vgpr10
.LBB306_255:
	s_and_not1_b32 s2, s26, exec_lo
	s_and_b32 s1, s1, exec_lo
	s_or_not1_b32 s4, s0, exec_lo
	s_or_b32 s28, s2, s1
.LBB306_256:
	s_wait_xcnt 0x0
	s_or_b32 exec_lo, exec_lo, s29
	s_mov_b32 s0, 0
	s_mov_b32 s3, 0
                                        ; implicit-def: $sgpr1
                                        ; implicit-def: $sgpr2
                                        ; implicit-def: $vgpr0_vgpr1
	s_and_saveexec_b32 s29, s4
	s_cbranch_execz .LBB306_471
; %bb.257:
	s_mov_b32 s4, -1
	s_mov_b32 s34, s28
	s_mov_b32 s33, exec_lo
	v_cmpx_gt_i32_e64 s15, v10
	s_cbranch_execz .LBB306_386
; %bb.258:
	v_dual_mov_b32 v0, s22 :: v_dual_mov_b32 v1, s23
	v_dual_mov_b32 v2, s18 :: v_dual_mov_b32 v3, s19
	;; [unrolled: 1-line block ×3, first 2 shown]
	v_mov_b32_e32 v6, v10
	s_get_pc_i64 s[0:1]
	s_add_nc_u64 s[0:1], s[0:1], _ZN2at6native6invokeINS0_13AUnaryFunctorIN3c1015Float8_e4m3fnuzES4_bNS0_12_GLOBAL__N_116CompareEqFunctorIS4_EEEEi15function_traitsIS8_EEENT1_11result_typeERKT_PrKPcPKT0_PKNS3_10ScalarTypeEi@rel64+4
	s_delay_alu instid0(SALU_CYCLE_1) | instskip(SKIP_2) | instid1(SALU_CYCLE_1)
	s_swap_pc_i64 s[30:31], s[0:1]
	v_and_b32_e32 v0, 1, v0
	s_and_b32 s2, s24, 0xff
	s_cmp_lt_i32 s2, 11
	s_delay_alu instid0(VALU_DEP_1) | instskip(SKIP_1) | instid1(VALU_DEP_1)
	v_cmp_eq_u32_e64 s0, 1, v0
	v_mul_lo_u32 v0, v10, s20
	v_ashrrev_i32_e32 v1, 31, v0
	s_delay_alu instid0(VALU_DEP_1)
	v_add_nc_u64_e32 v[0:1], s[16:17], v[0:1]
	s_cbranch_scc1 .LBB306_265
; %bb.259:
	s_and_b32 s3, 0xffff, s2
	s_delay_alu instid0(SALU_CYCLE_1)
	s_cmp_gt_i32 s3, 25
	s_cbranch_scc0 .LBB306_266
; %bb.260:
	s_cmp_gt_i32 s3, 28
	s_cbranch_scc0 .LBB306_267
; %bb.261:
	;; [unrolled: 3-line block ×4, first 2 shown]
	s_mov_b32 s5, 0
	s_mov_b32 s1, -1
	s_cmp_eq_u32 s3, 46
	s_mov_b32 s4, 0
	s_cbranch_scc0 .LBB306_274
; %bb.264:
	v_cndmask_b32_e64 v2, 0, 1.0, s0
	s_mov_b32 s4, -1
	s_mov_b32 s1, 0
	s_delay_alu instid0(VALU_DEP_1) | instskip(NEXT) | instid1(VALU_DEP_1)
	v_bfe_u32 v3, v2, 16, 1
	v_add3_u32 v2, v2, v3, 0x7fff
	s_delay_alu instid0(VALU_DEP_1)
	v_lshrrev_b32_e32 v2, 16, v2
	global_store_b32 v[0:1], v2, off
	s_branch .LBB306_274
.LBB306_265:
	s_mov_b32 s3, -1
	s_mov_b32 s4, 0
	s_mov_b32 s1, s28
	s_branch .LBB306_343
.LBB306_266:
	s_mov_b32 s5, -1
	s_mov_b32 s4, 0
	s_mov_b32 s1, s28
	s_branch .LBB306_301
.LBB306_267:
	s_mov_b32 s5, -1
	s_mov_b32 s4, 0
	s_mov_b32 s1, s28
	s_branch .LBB306_284
.LBB306_268:
	s_and_not1_saveexec_b32 s6, s6
	s_cbranch_execz .LBB306_168
.LBB306_269:
	v_add_f32_e32 v2, 0x46000000, v3
	s_and_not1_b32 s5, s5, exec_lo
	s_delay_alu instid0(VALU_DEP_1) | instskip(NEXT) | instid1(VALU_DEP_1)
	v_and_b32_e32 v2, 0xff, v2
	v_cmp_ne_u32_e32 vcc_lo, 0, v2
	s_and_b32 s7, vcc_lo, exec_lo
	s_delay_alu instid0(SALU_CYCLE_1)
	s_or_b32 s5, s5, s7
	s_or_b32 exec_lo, exec_lo, s6
	v_mov_b32_e32 v4, 0
	s_and_saveexec_b32 s6, s5
	s_cbranch_execnz .LBB306_169
	s_branch .LBB306_170
.LBB306_270:
	s_mov_b32 s5, -1
	s_mov_b32 s4, 0
	s_mov_b32 s1, s28
	s_branch .LBB306_280
.LBB306_271:
	s_and_not1_saveexec_b32 s6, s6
	s_cbranch_execz .LBB306_181
.LBB306_272:
	v_add_f32_e32 v2, 0x42800000, v3
	s_and_not1_b32 s5, s5, exec_lo
	s_delay_alu instid0(VALU_DEP_1) | instskip(NEXT) | instid1(VALU_DEP_1)
	v_and_b32_e32 v2, 0xff, v2
	v_cmp_ne_u32_e32 vcc_lo, 0, v2
	s_and_b32 s7, vcc_lo, exec_lo
	s_delay_alu instid0(SALU_CYCLE_1)
	s_or_b32 s5, s5, s7
	s_or_b32 exec_lo, exec_lo, s6
	v_mov_b32_e32 v4, 0
	s_and_saveexec_b32 s6, s5
	s_cbranch_execnz .LBB306_182
	s_branch .LBB306_183
.LBB306_273:
	s_mov_b32 s5, -1
	s_mov_b32 s4, 0
	s_mov_b32 s1, s28
.LBB306_274:
	s_and_b32 vcc_lo, exec_lo, s5
	s_cbranch_vccz .LBB306_279
; %bb.275:
	s_cmp_eq_u32 s3, 44
	s_mov_b32 s1, -1
	s_cbranch_scc0 .LBB306_279
; %bb.276:
	v_cndmask_b32_e64 v4, 0, 1.0, s0
	s_mov_b32 s4, exec_lo
	s_wait_xcnt 0x0
	s_delay_alu instid0(VALU_DEP_1) | instskip(NEXT) | instid1(VALU_DEP_1)
	v_dual_mov_b32 v3, 0xff :: v_dual_lshrrev_b32 v2, 23, v4
	v_cmpx_ne_u32_e32 0xff, v2
; %bb.277:
	v_and_b32_e32 v3, 0x400000, v4
	v_and_or_b32 v4, 0x3fffff, v4, v2
	s_delay_alu instid0(VALU_DEP_2) | instskip(NEXT) | instid1(VALU_DEP_2)
	v_cmp_ne_u32_e32 vcc_lo, 0, v3
	v_cmp_ne_u32_e64 s1, 0, v4
	s_and_b32 s1, vcc_lo, s1
	s_delay_alu instid0(SALU_CYCLE_1) | instskip(NEXT) | instid1(VALU_DEP_1)
	v_cndmask_b32_e64 v3, 0, 1, s1
	v_add_nc_u32_e32 v3, v2, v3
; %bb.278:
	s_or_b32 exec_lo, exec_lo, s4
	s_mov_b32 s4, -1
	s_mov_b32 s1, 0
	global_store_b8 v[0:1], v3, off
.LBB306_279:
	s_mov_b32 s5, 0
.LBB306_280:
	s_delay_alu instid0(SALU_CYCLE_1)
	s_and_b32 vcc_lo, exec_lo, s5
	s_cbranch_vccz .LBB306_283
; %bb.281:
	s_cmp_eq_u32 s3, 29
	s_mov_b32 s1, -1
	s_cbranch_scc0 .LBB306_283
; %bb.282:
	s_mov_b32 s1, 0
	s_wait_xcnt 0x0
	v_cndmask_b32_e64 v2, 0, 1, s0
	v_mov_b32_e32 v3, s1
	s_mov_b32 s4, -1
	s_mov_b32 s5, 0
	global_store_b64 v[0:1], v[2:3], off
	s_branch .LBB306_284
.LBB306_283:
	s_mov_b32 s5, 0
.LBB306_284:
	s_delay_alu instid0(SALU_CYCLE_1)
	s_and_b32 vcc_lo, exec_lo, s5
	s_cbranch_vccz .LBB306_300
; %bb.285:
	s_cmp_lt_i32 s3, 27
	s_mov_b32 s4, -1
	s_cbranch_scc1 .LBB306_291
; %bb.286:
	s_cmp_gt_i32 s3, 27
	s_cbranch_scc0 .LBB306_288
; %bb.287:
	s_wait_xcnt 0x0
	v_cndmask_b32_e64 v2, 0, 1, s0
	s_mov_b32 s4, 0
	global_store_b32 v[0:1], v2, off
.LBB306_288:
	s_and_not1_b32 vcc_lo, exec_lo, s4
	s_cbranch_vccnz .LBB306_290
; %bb.289:
	s_wait_xcnt 0x0
	v_cndmask_b32_e64 v2, 0, 1, s0
	global_store_b16 v[0:1], v2, off
.LBB306_290:
	s_mov_b32 s4, 0
.LBB306_291:
	s_delay_alu instid0(SALU_CYCLE_1)
	s_and_not1_b32 vcc_lo, exec_lo, s4
	s_cbranch_vccnz .LBB306_299
; %bb.292:
	s_wait_xcnt 0x0
	v_cndmask_b32_e64 v3, 0, 1.0, s0
	v_mov_b32_e32 v4, 0x80
	s_mov_b32 s4, exec_lo
	s_delay_alu instid0(VALU_DEP_2)
	v_cmpx_gt_u32_e32 0x43800000, v3
	s_cbranch_execz .LBB306_298
; %bb.293:
	s_mov_b32 s5, 0
	s_mov_b32 s6, exec_lo
                                        ; implicit-def: $vgpr2
	v_cmpx_lt_u32_e32 0x3bffffff, v3
	s_xor_b32 s6, exec_lo, s6
	s_cbranch_execz .LBB306_396
; %bb.294:
	v_bfe_u32 v2, v3, 20, 1
	s_mov_b32 s5, exec_lo
	s_delay_alu instid0(VALU_DEP_1) | instskip(NEXT) | instid1(VALU_DEP_1)
	v_add3_u32 v2, v3, v2, 0x487ffff
                                        ; implicit-def: $vgpr3
	v_lshrrev_b32_e32 v2, 20, v2
	s_and_not1_saveexec_b32 s6, s6
	s_cbranch_execnz .LBB306_397
.LBB306_295:
	s_or_b32 exec_lo, exec_lo, s6
	v_mov_b32_e32 v4, 0
	s_and_saveexec_b32 s6, s5
.LBB306_296:
	v_mov_b32_e32 v4, v2
.LBB306_297:
	s_or_b32 exec_lo, exec_lo, s6
.LBB306_298:
	s_delay_alu instid0(SALU_CYCLE_1)
	s_or_b32 exec_lo, exec_lo, s4
	global_store_b8 v[0:1], v4, off
.LBB306_299:
	s_mov_b32 s4, -1
.LBB306_300:
	s_mov_b32 s5, 0
.LBB306_301:
	s_delay_alu instid0(SALU_CYCLE_1)
	s_and_b32 vcc_lo, exec_lo, s5
	s_cbranch_vccz .LBB306_342
; %bb.302:
	s_cmp_gt_i32 s3, 22
	s_mov_b32 s5, -1
	s_cbranch_scc0 .LBB306_334
; %bb.303:
	s_cmp_lt_i32 s3, 24
	s_mov_b32 s4, -1
	s_cbranch_scc1 .LBB306_323
; %bb.304:
	s_cmp_gt_i32 s3, 24
	s_cbranch_scc0 .LBB306_312
; %bb.305:
	s_wait_xcnt 0x0
	v_cndmask_b32_e64 v3, 0, 1.0, s0
	v_mov_b32_e32 v4, 0x80
	s_mov_b32 s4, exec_lo
	s_delay_alu instid0(VALU_DEP_2)
	v_cmpx_gt_u32_e32 0x47800000, v3
	s_cbranch_execz .LBB306_311
; %bb.306:
	s_mov_b32 s5, 0
	s_mov_b32 s6, exec_lo
                                        ; implicit-def: $vgpr2
	v_cmpx_lt_u32_e32 0x37ffffff, v3
	s_xor_b32 s6, exec_lo, s6
	s_cbranch_execz .LBB306_398
; %bb.307:
	v_bfe_u32 v2, v3, 21, 1
	s_mov_b32 s5, exec_lo
	s_delay_alu instid0(VALU_DEP_1) | instskip(NEXT) | instid1(VALU_DEP_1)
	v_add3_u32 v2, v3, v2, 0x88fffff
                                        ; implicit-def: $vgpr3
	v_lshrrev_b32_e32 v2, 21, v2
	s_and_not1_saveexec_b32 s6, s6
	s_cbranch_execnz .LBB306_399
.LBB306_308:
	s_or_b32 exec_lo, exec_lo, s6
	v_mov_b32_e32 v4, 0
	s_and_saveexec_b32 s6, s5
.LBB306_309:
	v_mov_b32_e32 v4, v2
.LBB306_310:
	s_or_b32 exec_lo, exec_lo, s6
.LBB306_311:
	s_delay_alu instid0(SALU_CYCLE_1)
	s_or_b32 exec_lo, exec_lo, s4
	s_mov_b32 s4, 0
	global_store_b8 v[0:1], v4, off
.LBB306_312:
	s_and_b32 vcc_lo, exec_lo, s4
	s_cbranch_vccz .LBB306_322
; %bb.313:
	s_wait_xcnt 0x0
	v_cndmask_b32_e64 v3, 0, 1.0, s0
	s_mov_b32 s4, exec_lo
                                        ; implicit-def: $vgpr2
	s_delay_alu instid0(VALU_DEP_1)
	v_cmpx_gt_u32_e32 0x43f00000, v3
	s_xor_b32 s4, exec_lo, s4
	s_cbranch_execz .LBB306_319
; %bb.314:
	s_mov_b32 s5, exec_lo
                                        ; implicit-def: $vgpr2
	v_cmpx_lt_u32_e32 0x3c7fffff, v3
	s_xor_b32 s5, exec_lo, s5
; %bb.315:
	v_bfe_u32 v2, v3, 20, 1
	s_delay_alu instid0(VALU_DEP_1) | instskip(NEXT) | instid1(VALU_DEP_1)
	v_add3_u32 v2, v3, v2, 0x407ffff
	v_and_b32_e32 v3, 0xff00000, v2
	v_lshrrev_b32_e32 v2, 20, v2
	s_delay_alu instid0(VALU_DEP_2) | instskip(NEXT) | instid1(VALU_DEP_2)
	v_cmp_ne_u32_e32 vcc_lo, 0x7f00000, v3
                                        ; implicit-def: $vgpr3
	v_cndmask_b32_e32 v2, 0x7e, v2, vcc_lo
; %bb.316:
	s_and_not1_saveexec_b32 s5, s5
; %bb.317:
	v_add_f32_e32 v2, 0x46800000, v3
; %bb.318:
	s_or_b32 exec_lo, exec_lo, s5
                                        ; implicit-def: $vgpr3
.LBB306_319:
	s_and_not1_saveexec_b32 s4, s4
; %bb.320:
	v_mov_b32_e32 v2, 0x7f
	v_cmp_lt_u32_e32 vcc_lo, 0x7f800000, v3
	s_delay_alu instid0(VALU_DEP_2)
	v_cndmask_b32_e32 v2, 0x7e, v2, vcc_lo
; %bb.321:
	s_or_b32 exec_lo, exec_lo, s4
	global_store_b8 v[0:1], v2, off
.LBB306_322:
	s_mov_b32 s4, 0
.LBB306_323:
	s_delay_alu instid0(SALU_CYCLE_1)
	s_and_not1_b32 vcc_lo, exec_lo, s4
	s_cbranch_vccnz .LBB306_333
; %bb.324:
	s_wait_xcnt 0x0
	v_cndmask_b32_e64 v3, 0, 1.0, s0
	s_mov_b32 s4, exec_lo
                                        ; implicit-def: $vgpr2
	s_delay_alu instid0(VALU_DEP_1)
	v_cmpx_gt_u32_e32 0x47800000, v3
	s_xor_b32 s4, exec_lo, s4
	s_cbranch_execz .LBB306_330
; %bb.325:
	s_mov_b32 s5, exec_lo
                                        ; implicit-def: $vgpr2
	v_cmpx_lt_u32_e32 0x387fffff, v3
	s_xor_b32 s5, exec_lo, s5
; %bb.326:
	v_bfe_u32 v2, v3, 21, 1
	s_delay_alu instid0(VALU_DEP_1) | instskip(NEXT) | instid1(VALU_DEP_1)
	v_add3_u32 v2, v3, v2, 0x80fffff
                                        ; implicit-def: $vgpr3
	v_lshrrev_b32_e32 v2, 21, v2
; %bb.327:
	s_and_not1_saveexec_b32 s5, s5
; %bb.328:
	v_add_f32_e32 v2, 0x43000000, v3
; %bb.329:
	s_or_b32 exec_lo, exec_lo, s5
                                        ; implicit-def: $vgpr3
.LBB306_330:
	s_and_not1_saveexec_b32 s4, s4
; %bb.331:
	v_mov_b32_e32 v2, 0x7f
	v_cmp_lt_u32_e32 vcc_lo, 0x7f800000, v3
	s_delay_alu instid0(VALU_DEP_2)
	v_cndmask_b32_e32 v2, 0x7c, v2, vcc_lo
; %bb.332:
	s_or_b32 exec_lo, exec_lo, s4
	global_store_b8 v[0:1], v2, off
.LBB306_333:
	s_mov_b32 s5, 0
	s_mov_b32 s4, -1
.LBB306_334:
	s_and_not1_b32 vcc_lo, exec_lo, s5
	s_cbranch_vccnz .LBB306_342
; %bb.335:
	s_cmp_gt_i32 s3, 14
	s_mov_b32 s5, -1
	s_cbranch_scc0 .LBB306_339
; %bb.336:
	s_cmp_eq_u32 s3, 15
	s_mov_b32 s1, -1
	s_cbranch_scc0 .LBB306_338
; %bb.337:
	s_wait_xcnt 0x0
	v_cndmask_b32_e64 v2, 0, 1.0, s0
	s_mov_b32 s4, -1
	s_mov_b32 s1, 0
	s_delay_alu instid0(VALU_DEP_1) | instskip(NEXT) | instid1(VALU_DEP_1)
	v_bfe_u32 v3, v2, 16, 1
	v_add3_u32 v2, v2, v3, 0x7fff
	global_store_d16_hi_b16 v[0:1], v2, off
.LBB306_338:
	s_mov_b32 s5, 0
.LBB306_339:
	s_delay_alu instid0(SALU_CYCLE_1)
	s_and_b32 vcc_lo, exec_lo, s5
	s_cbranch_vccz .LBB306_342
; %bb.340:
	s_cmp_eq_u32 s3, 11
	s_mov_b32 s1, -1
	s_cbranch_scc0 .LBB306_342
; %bb.341:
	s_wait_xcnt 0x0
	v_cndmask_b32_e64 v2, 0, 1, s0
	s_mov_b32 s4, -1
	s_mov_b32 s1, 0
	global_store_b8 v[0:1], v2, off
.LBB306_342:
	s_mov_b32 s3, 0
.LBB306_343:
	s_delay_alu instid0(SALU_CYCLE_1)
	s_and_b32 vcc_lo, exec_lo, s3
	s_cbranch_vccz .LBB306_382
; %bb.344:
	s_and_b32 s2, 0xffff, s2
	s_mov_b32 s3, -1
	s_cmp_lt_i32 s2, 5
	s_cbranch_scc1 .LBB306_365
; %bb.345:
	s_cmp_lt_i32 s2, 8
	s_cbranch_scc1 .LBB306_355
; %bb.346:
	;; [unrolled: 3-line block ×3, first 2 shown]
	s_cmp_gt_i32 s2, 9
	s_cbranch_scc0 .LBB306_349
; %bb.348:
	s_wait_xcnt 0x0
	v_cndmask_b32_e64 v2, 0, 1, s0
	v_mov_b32_e32 v4, 0
	s_mov_b32 s3, 0
	s_delay_alu instid0(VALU_DEP_2) | instskip(NEXT) | instid1(VALU_DEP_2)
	v_cvt_f64_u32_e32 v[2:3], v2
	v_mov_b32_e32 v5, v4
	global_store_b128 v[0:1], v[2:5], off
.LBB306_349:
	s_and_not1_b32 vcc_lo, exec_lo, s3
	s_cbranch_vccnz .LBB306_351
; %bb.350:
	s_wait_xcnt 0x0
	v_cndmask_b32_e64 v2, 0, 1.0, s0
	v_mov_b32_e32 v3, 0
	global_store_b64 v[0:1], v[2:3], off
.LBB306_351:
	s_mov_b32 s3, 0
.LBB306_352:
	s_delay_alu instid0(SALU_CYCLE_1)
	s_and_not1_b32 vcc_lo, exec_lo, s3
	s_cbranch_vccnz .LBB306_354
; %bb.353:
	s_wait_xcnt 0x0
	v_cndmask_b32_e64 v2, 0, 1.0, s0
	s_delay_alu instid0(VALU_DEP_1) | instskip(NEXT) | instid1(VALU_DEP_1)
	v_cvt_f16_f32_e32 v2, v2
	v_and_b32_e32 v2, 0xffff, v2
	global_store_b32 v[0:1], v2, off
.LBB306_354:
	s_mov_b32 s3, 0
.LBB306_355:
	s_delay_alu instid0(SALU_CYCLE_1)
	s_and_not1_b32 vcc_lo, exec_lo, s3
	s_cbranch_vccnz .LBB306_364
; %bb.356:
	s_cmp_lt_i32 s2, 6
	s_mov_b32 s3, -1
	s_cbranch_scc1 .LBB306_362
; %bb.357:
	s_cmp_gt_i32 s2, 6
	s_cbranch_scc0 .LBB306_359
; %bb.358:
	s_wait_xcnt 0x0
	v_cndmask_b32_e64 v2, 0, 1, s0
	s_mov_b32 s3, 0
	s_delay_alu instid0(VALU_DEP_1)
	v_cvt_f64_u32_e32 v[2:3], v2
	global_store_b64 v[0:1], v[2:3], off
.LBB306_359:
	s_and_not1_b32 vcc_lo, exec_lo, s3
	s_cbranch_vccnz .LBB306_361
; %bb.360:
	s_wait_xcnt 0x0
	v_cndmask_b32_e64 v2, 0, 1.0, s0
	global_store_b32 v[0:1], v2, off
.LBB306_361:
	s_mov_b32 s3, 0
.LBB306_362:
	s_delay_alu instid0(SALU_CYCLE_1)
	s_and_not1_b32 vcc_lo, exec_lo, s3
	s_cbranch_vccnz .LBB306_364
; %bb.363:
	s_wait_xcnt 0x0
	v_cndmask_b32_e64 v2, 0, 1.0, s0
	s_delay_alu instid0(VALU_DEP_1)
	v_cvt_f16_f32_e32 v2, v2
	global_store_b16 v[0:1], v2, off
.LBB306_364:
	s_mov_b32 s3, 0
.LBB306_365:
	s_delay_alu instid0(SALU_CYCLE_1)
	s_and_not1_b32 vcc_lo, exec_lo, s3
	s_cbranch_vccnz .LBB306_381
; %bb.366:
	s_cmp_lt_i32 s2, 2
	s_mov_b32 s3, -1
	s_cbranch_scc1 .LBB306_376
; %bb.367:
	s_cmp_lt_i32 s2, 3
	s_cbranch_scc1 .LBB306_373
; %bb.368:
	s_cmp_gt_i32 s2, 3
	s_cbranch_scc0 .LBB306_370
; %bb.369:
	s_mov_b32 s3, 0
	s_wait_xcnt 0x0
	v_cndmask_b32_e64 v2, 0, 1, s0
	v_mov_b32_e32 v3, s3
	global_store_b64 v[0:1], v[2:3], off
.LBB306_370:
	s_and_not1_b32 vcc_lo, exec_lo, s3
	s_cbranch_vccnz .LBB306_372
; %bb.371:
	s_wait_xcnt 0x0
	v_cndmask_b32_e64 v2, 0, 1, s0
	global_store_b32 v[0:1], v2, off
.LBB306_372:
	s_mov_b32 s3, 0
.LBB306_373:
	s_delay_alu instid0(SALU_CYCLE_1)
	s_and_not1_b32 vcc_lo, exec_lo, s3
	s_cbranch_vccnz .LBB306_375
; %bb.374:
	s_wait_xcnt 0x0
	v_cndmask_b32_e64 v2, 0, 1, s0
	global_store_b16 v[0:1], v2, off
.LBB306_375:
	s_mov_b32 s3, 0
.LBB306_376:
	s_delay_alu instid0(SALU_CYCLE_1)
	s_and_not1_b32 vcc_lo, exec_lo, s3
	s_cbranch_vccnz .LBB306_381
; %bb.377:
	s_wait_xcnt 0x0
	v_cndmask_b32_e64 v2, 0, 1, s0
	s_cmp_gt_i32 s2, 0
	s_mov_b32 s0, -1
	s_cbranch_scc0 .LBB306_379
; %bb.378:
	s_mov_b32 s0, 0
	global_store_b8 v[0:1], v2, off
.LBB306_379:
	s_and_not1_b32 vcc_lo, exec_lo, s0
	s_cbranch_vccnz .LBB306_381
; %bb.380:
	global_store_b8 v[0:1], v2, off
.LBB306_381:
	s_mov_b32 s4, -1
.LBB306_382:
	s_delay_alu instid0(SALU_CYCLE_1)
	s_and_not1_b32 vcc_lo, exec_lo, s4
	s_cbranch_vccnz .LBB306_384
; %bb.383:
	v_add_nc_u32_e32 v10, 0x80, v10
	s_mov_b32 s0, -1
	s_branch .LBB306_385
.LBB306_384:
	s_mov_b32 s0, 0
                                        ; implicit-def: $vgpr10
.LBB306_385:
	s_and_not1_b32 s2, s28, exec_lo
	s_and_b32 s1, s1, exec_lo
	s_or_not1_b32 s4, s0, exec_lo
	s_or_b32 s34, s2, s1
.LBB306_386:
	s_wait_xcnt 0x0
	s_or_b32 exec_lo, exec_lo, s33
	s_mov_b32 s0, 0
	s_mov_b32 s3, 0
                                        ; implicit-def: $sgpr1
                                        ; implicit-def: $sgpr2
                                        ; implicit-def: $vgpr0_vgpr1
	s_and_saveexec_b32 s33, s4
	s_cbranch_execz .LBB306_470
; %bb.387:
	v_cmp_gt_i32_e32 vcc_lo, s15, v10
	s_mov_b32 s4, s34
                                        ; implicit-def: $sgpr1
                                        ; implicit-def: $sgpr2
                                        ; implicit-def: $vgpr0_vgpr1
	s_and_saveexec_b32 s15, vcc_lo
	s_cbranch_execz .LBB306_469
; %bb.388:
	v_dual_mov_b32 v0, s22 :: v_dual_mov_b32 v1, s23
	v_dual_mov_b32 v2, s18 :: v_dual_mov_b32 v3, s19
	;; [unrolled: 1-line block ×3, first 2 shown]
	v_mov_b32_e32 v6, v10
	s_get_pc_i64 s[0:1]
	s_add_nc_u64 s[0:1], s[0:1], _ZN2at6native6invokeINS0_13AUnaryFunctorIN3c1015Float8_e4m3fnuzES4_bNS0_12_GLOBAL__N_116CompareEqFunctorIS4_EEEEi15function_traitsIS8_EEENT1_11result_typeERKT_PrKPcPKT0_PKNS3_10ScalarTypeEi@rel64+4
	s_delay_alu instid0(SALU_CYCLE_1) | instskip(SKIP_2) | instid1(SALU_CYCLE_1)
	s_swap_pc_i64 s[30:31], s[0:1]
	v_and_b32_e32 v0, 1, v0
	s_and_b32 s2, s24, 0xff
	s_cmp_lt_i32 s2, 11
	s_delay_alu instid0(VALU_DEP_1) | instskip(SKIP_1) | instid1(VALU_DEP_1)
	v_cmp_eq_u32_e64 s1, 1, v0
	v_mul_lo_u32 v0, v10, s20
	v_ashrrev_i32_e32 v1, 31, v0
	s_delay_alu instid0(VALU_DEP_1)
	v_add_nc_u64_e32 v[0:1], s[16:17], v[0:1]
	s_cbranch_scc1 .LBB306_395
; %bb.389:
	s_and_b32 s3, 0xffff, s2
	s_mov_b32 s4, -1
	s_cmp_gt_i32 s3, 25
	s_mov_b32 s0, s34
	s_cbranch_scc0 .LBB306_427
; %bb.390:
	s_cmp_gt_i32 s3, 28
	s_mov_b32 s0, s34
	s_cbranch_scc0 .LBB306_411
; %bb.391:
	;; [unrolled: 4-line block ×4, first 2 shown]
	s_cmp_eq_u32 s3, 46
	s_mov_b32 s0, -1
	s_cbranch_scc0 .LBB306_400
; %bb.394:
	v_cndmask_b32_e64 v2, 0, 1.0, s1
	s_mov_b32 s0, 0
	s_mov_b32 s4, 0
	s_delay_alu instid0(VALU_DEP_1) | instskip(NEXT) | instid1(VALU_DEP_1)
	v_bfe_u32 v3, v2, 16, 1
	v_add3_u32 v2, v2, v3, 0x7fff
	s_delay_alu instid0(VALU_DEP_1)
	v_lshrrev_b32_e32 v2, 16, v2
	global_store_b32 v[0:1], v2, off
	s_branch .LBB306_401
.LBB306_395:
	s_mov_b32 s5, 0
	s_mov_b32 s4, -1
	s_mov_b32 s0, s34
	s_branch .LBB306_468
.LBB306_396:
	s_and_not1_saveexec_b32 s6, s6
	s_cbranch_execz .LBB306_295
.LBB306_397:
	v_add_f32_e32 v2, 0x46000000, v3
	s_and_not1_b32 s5, s5, exec_lo
	s_delay_alu instid0(VALU_DEP_1) | instskip(NEXT) | instid1(VALU_DEP_1)
	v_and_b32_e32 v2, 0xff, v2
	v_cmp_ne_u32_e32 vcc_lo, 0, v2
	s_and_b32 s7, vcc_lo, exec_lo
	s_delay_alu instid0(SALU_CYCLE_1)
	s_or_b32 s5, s5, s7
	s_or_b32 exec_lo, exec_lo, s6
	v_mov_b32_e32 v4, 0
	s_and_saveexec_b32 s6, s5
	s_cbranch_execnz .LBB306_296
	s_branch .LBB306_297
.LBB306_398:
	s_and_not1_saveexec_b32 s6, s6
	s_cbranch_execz .LBB306_308
.LBB306_399:
	v_add_f32_e32 v2, 0x42800000, v3
	s_and_not1_b32 s5, s5, exec_lo
	s_delay_alu instid0(VALU_DEP_1) | instskip(NEXT) | instid1(VALU_DEP_1)
	v_and_b32_e32 v2, 0xff, v2
	v_cmp_ne_u32_e32 vcc_lo, 0, v2
	s_and_b32 s7, vcc_lo, exec_lo
	s_delay_alu instid0(SALU_CYCLE_1)
	s_or_b32 s5, s5, s7
	s_or_b32 exec_lo, exec_lo, s6
	v_mov_b32_e32 v4, 0
	s_and_saveexec_b32 s6, s5
	s_cbranch_execnz .LBB306_309
	s_branch .LBB306_310
.LBB306_400:
	s_mov_b32 s4, 0
.LBB306_401:
	s_delay_alu instid0(SALU_CYCLE_1)
	s_and_b32 vcc_lo, exec_lo, s4
	s_cbranch_vccz .LBB306_406
; %bb.402:
	s_cmp_eq_u32 s3, 44
	s_mov_b32 s0, -1
	s_cbranch_scc0 .LBB306_406
; %bb.403:
	v_cndmask_b32_e64 v4, 0, 1.0, s1
	s_mov_b32 s4, exec_lo
	s_wait_xcnt 0x0
	s_delay_alu instid0(VALU_DEP_1) | instskip(NEXT) | instid1(VALU_DEP_1)
	v_dual_mov_b32 v3, 0xff :: v_dual_lshrrev_b32 v2, 23, v4
	v_cmpx_ne_u32_e32 0xff, v2
; %bb.404:
	v_and_b32_e32 v3, 0x400000, v4
	v_and_or_b32 v4, 0x3fffff, v4, v2
	s_delay_alu instid0(VALU_DEP_2) | instskip(NEXT) | instid1(VALU_DEP_2)
	v_cmp_ne_u32_e32 vcc_lo, 0, v3
	v_cmp_ne_u32_e64 s0, 0, v4
	s_and_b32 s0, vcc_lo, s0
	s_delay_alu instid0(SALU_CYCLE_1) | instskip(NEXT) | instid1(VALU_DEP_1)
	v_cndmask_b32_e64 v3, 0, 1, s0
	v_add_nc_u32_e32 v3, v2, v3
; %bb.405:
	s_or_b32 exec_lo, exec_lo, s4
	s_mov_b32 s0, 0
	global_store_b8 v[0:1], v3, off
.LBB306_406:
	s_mov_b32 s4, 0
.LBB306_407:
	s_delay_alu instid0(SALU_CYCLE_1)
	s_and_b32 vcc_lo, exec_lo, s4
	s_cbranch_vccz .LBB306_410
; %bb.408:
	s_cmp_eq_u32 s3, 29
	s_mov_b32 s0, -1
	s_cbranch_scc0 .LBB306_410
; %bb.409:
	s_mov_b32 s0, 0
	s_wait_xcnt 0x0
	v_cndmask_b32_e64 v2, 0, 1, s1
	v_mov_b32_e32 v3, s0
	s_mov_b32 s4, 0
	global_store_b64 v[0:1], v[2:3], off
	s_branch .LBB306_411
.LBB306_410:
	s_mov_b32 s4, 0
.LBB306_411:
	s_delay_alu instid0(SALU_CYCLE_1)
	s_and_b32 vcc_lo, exec_lo, s4
	s_cbranch_vccz .LBB306_426
; %bb.412:
	s_cmp_lt_i32 s3, 27
	s_mov_b32 s4, -1
	s_cbranch_scc1 .LBB306_418
; %bb.413:
	s_wait_xcnt 0x0
	v_cndmask_b32_e64 v2, 0, 1, s1
	s_cmp_gt_i32 s3, 27
	s_cbranch_scc0 .LBB306_415
; %bb.414:
	s_mov_b32 s4, 0
	global_store_b32 v[0:1], v2, off
.LBB306_415:
	s_and_not1_b32 vcc_lo, exec_lo, s4
	s_cbranch_vccnz .LBB306_417
; %bb.416:
	global_store_b16 v[0:1], v2, off
.LBB306_417:
	s_mov_b32 s4, 0
.LBB306_418:
	s_delay_alu instid0(SALU_CYCLE_1)
	s_and_not1_b32 vcc_lo, exec_lo, s4
	s_cbranch_vccnz .LBB306_426
; %bb.419:
	s_wait_xcnt 0x0
	v_cndmask_b32_e64 v3, 0, 1.0, s1
	v_mov_b32_e32 v4, 0x80
	s_mov_b32 s4, exec_lo
	s_delay_alu instid0(VALU_DEP_2)
	v_cmpx_gt_u32_e32 0x43800000, v3
	s_cbranch_execz .LBB306_425
; %bb.420:
	s_mov_b32 s5, 0
	s_mov_b32 s6, exec_lo
                                        ; implicit-def: $vgpr2
	v_cmpx_lt_u32_e32 0x3bffffff, v3
	s_xor_b32 s6, exec_lo, s6
	s_cbranch_execz .LBB306_1007
; %bb.421:
	v_bfe_u32 v2, v3, 20, 1
	s_mov_b32 s5, exec_lo
	s_delay_alu instid0(VALU_DEP_1) | instskip(NEXT) | instid1(VALU_DEP_1)
	v_add3_u32 v2, v3, v2, 0x487ffff
                                        ; implicit-def: $vgpr3
	v_lshrrev_b32_e32 v2, 20, v2
	s_and_not1_saveexec_b32 s6, s6
	s_cbranch_execnz .LBB306_1008
.LBB306_422:
	s_or_b32 exec_lo, exec_lo, s6
	v_mov_b32_e32 v4, 0
	s_and_saveexec_b32 s6, s5
.LBB306_423:
	v_mov_b32_e32 v4, v2
.LBB306_424:
	s_or_b32 exec_lo, exec_lo, s6
.LBB306_425:
	s_delay_alu instid0(SALU_CYCLE_1)
	s_or_b32 exec_lo, exec_lo, s4
	global_store_b8 v[0:1], v4, off
.LBB306_426:
	s_mov_b32 s4, 0
.LBB306_427:
	s_delay_alu instid0(SALU_CYCLE_1)
	s_and_b32 vcc_lo, exec_lo, s4
	s_mov_b32 s4, 0
	s_cbranch_vccz .LBB306_467
; %bb.428:
	s_cmp_gt_i32 s3, 22
	s_mov_b32 s5, -1
	s_cbranch_scc0 .LBB306_460
; %bb.429:
	s_cmp_lt_i32 s3, 24
	s_cbranch_scc1 .LBB306_449
; %bb.430:
	s_cmp_gt_i32 s3, 24
	s_cbranch_scc0 .LBB306_438
; %bb.431:
	s_wait_xcnt 0x0
	v_cndmask_b32_e64 v3, 0, 1.0, s1
	v_mov_b32_e32 v4, 0x80
	s_mov_b32 s5, exec_lo
	s_delay_alu instid0(VALU_DEP_2)
	v_cmpx_gt_u32_e32 0x47800000, v3
	s_cbranch_execz .LBB306_437
; %bb.432:
	s_mov_b32 s6, 0
	s_mov_b32 s7, exec_lo
                                        ; implicit-def: $vgpr2
	v_cmpx_lt_u32_e32 0x37ffffff, v3
	s_xor_b32 s7, exec_lo, s7
	s_cbranch_execz .LBB306_1011
; %bb.433:
	v_bfe_u32 v2, v3, 21, 1
	s_mov_b32 s6, exec_lo
	s_delay_alu instid0(VALU_DEP_1) | instskip(NEXT) | instid1(VALU_DEP_1)
	v_add3_u32 v2, v3, v2, 0x88fffff
                                        ; implicit-def: $vgpr3
	v_lshrrev_b32_e32 v2, 21, v2
	s_and_not1_saveexec_b32 s7, s7
	s_cbranch_execnz .LBB306_1012
.LBB306_434:
	s_or_b32 exec_lo, exec_lo, s7
	v_mov_b32_e32 v4, 0
	s_and_saveexec_b32 s7, s6
.LBB306_435:
	v_mov_b32_e32 v4, v2
.LBB306_436:
	s_or_b32 exec_lo, exec_lo, s7
.LBB306_437:
	s_delay_alu instid0(SALU_CYCLE_1)
	s_or_b32 exec_lo, exec_lo, s5
	s_mov_b32 s5, 0
	global_store_b8 v[0:1], v4, off
.LBB306_438:
	s_and_b32 vcc_lo, exec_lo, s5
	s_cbranch_vccz .LBB306_448
; %bb.439:
	s_wait_xcnt 0x0
	v_cndmask_b32_e64 v3, 0, 1.0, s1
	s_mov_b32 s5, exec_lo
                                        ; implicit-def: $vgpr2
	s_delay_alu instid0(VALU_DEP_1)
	v_cmpx_gt_u32_e32 0x43f00000, v3
	s_xor_b32 s5, exec_lo, s5
	s_cbranch_execz .LBB306_445
; %bb.440:
	s_mov_b32 s6, exec_lo
                                        ; implicit-def: $vgpr2
	v_cmpx_lt_u32_e32 0x3c7fffff, v3
	s_xor_b32 s6, exec_lo, s6
; %bb.441:
	v_bfe_u32 v2, v3, 20, 1
	s_delay_alu instid0(VALU_DEP_1) | instskip(NEXT) | instid1(VALU_DEP_1)
	v_add3_u32 v2, v3, v2, 0x407ffff
	v_and_b32_e32 v3, 0xff00000, v2
	v_lshrrev_b32_e32 v2, 20, v2
	s_delay_alu instid0(VALU_DEP_2) | instskip(NEXT) | instid1(VALU_DEP_2)
	v_cmp_ne_u32_e32 vcc_lo, 0x7f00000, v3
                                        ; implicit-def: $vgpr3
	v_cndmask_b32_e32 v2, 0x7e, v2, vcc_lo
; %bb.442:
	s_and_not1_saveexec_b32 s6, s6
; %bb.443:
	v_add_f32_e32 v2, 0x46800000, v3
; %bb.444:
	s_or_b32 exec_lo, exec_lo, s6
                                        ; implicit-def: $vgpr3
.LBB306_445:
	s_and_not1_saveexec_b32 s5, s5
; %bb.446:
	v_mov_b32_e32 v2, 0x7f
	v_cmp_lt_u32_e32 vcc_lo, 0x7f800000, v3
	s_delay_alu instid0(VALU_DEP_2)
	v_cndmask_b32_e32 v2, 0x7e, v2, vcc_lo
; %bb.447:
	s_or_b32 exec_lo, exec_lo, s5
	global_store_b8 v[0:1], v2, off
.LBB306_448:
	s_mov_b32 s5, 0
.LBB306_449:
	s_delay_alu instid0(SALU_CYCLE_1)
	s_and_not1_b32 vcc_lo, exec_lo, s5
	s_cbranch_vccnz .LBB306_459
; %bb.450:
	s_wait_xcnt 0x0
	v_cndmask_b32_e64 v3, 0, 1.0, s1
	s_mov_b32 s5, exec_lo
                                        ; implicit-def: $vgpr2
	s_delay_alu instid0(VALU_DEP_1)
	v_cmpx_gt_u32_e32 0x47800000, v3
	s_xor_b32 s5, exec_lo, s5
	s_cbranch_execz .LBB306_456
; %bb.451:
	s_mov_b32 s6, exec_lo
                                        ; implicit-def: $vgpr2
	v_cmpx_lt_u32_e32 0x387fffff, v3
	s_xor_b32 s6, exec_lo, s6
; %bb.452:
	v_bfe_u32 v2, v3, 21, 1
	s_delay_alu instid0(VALU_DEP_1) | instskip(NEXT) | instid1(VALU_DEP_1)
	v_add3_u32 v2, v3, v2, 0x80fffff
                                        ; implicit-def: $vgpr3
	v_lshrrev_b32_e32 v2, 21, v2
; %bb.453:
	s_and_not1_saveexec_b32 s6, s6
; %bb.454:
	v_add_f32_e32 v2, 0x43000000, v3
; %bb.455:
	s_or_b32 exec_lo, exec_lo, s6
                                        ; implicit-def: $vgpr3
.LBB306_456:
	s_and_not1_saveexec_b32 s5, s5
; %bb.457:
	v_mov_b32_e32 v2, 0x7f
	v_cmp_lt_u32_e32 vcc_lo, 0x7f800000, v3
	s_delay_alu instid0(VALU_DEP_2)
	v_cndmask_b32_e32 v2, 0x7c, v2, vcc_lo
; %bb.458:
	s_or_b32 exec_lo, exec_lo, s5
	global_store_b8 v[0:1], v2, off
.LBB306_459:
	s_mov_b32 s5, 0
.LBB306_460:
	s_delay_alu instid0(SALU_CYCLE_1)
	s_and_not1_b32 vcc_lo, exec_lo, s5
	s_mov_b32 s5, 0
	s_cbranch_vccnz .LBB306_468
; %bb.461:
	s_cmp_gt_i32 s3, 14
	s_mov_b32 s5, -1
	s_cbranch_scc0 .LBB306_465
; %bb.462:
	s_cmp_eq_u32 s3, 15
	s_mov_b32 s0, -1
	s_cbranch_scc0 .LBB306_464
; %bb.463:
	s_wait_xcnt 0x0
	v_cndmask_b32_e64 v2, 0, 1.0, s1
	s_mov_b32 s0, 0
	s_delay_alu instid0(VALU_DEP_1) | instskip(NEXT) | instid1(VALU_DEP_1)
	v_bfe_u32 v3, v2, 16, 1
	v_add3_u32 v2, v2, v3, 0x7fff
	global_store_d16_hi_b16 v[0:1], v2, off
.LBB306_464:
	s_mov_b32 s5, 0
.LBB306_465:
	s_delay_alu instid0(SALU_CYCLE_1)
	s_and_b32 vcc_lo, exec_lo, s5
	s_mov_b32 s5, 0
	s_cbranch_vccz .LBB306_468
; %bb.466:
	s_cmp_lg_u32 s3, 11
	s_mov_b32 s5, -1
	s_cselect_b32 s3, -1, 0
	s_and_not1_b32 s0, s0, exec_lo
	s_and_b32 s3, s3, exec_lo
	s_delay_alu instid0(SALU_CYCLE_1)
	s_or_b32 s0, s0, s3
	s_branch .LBB306_468
.LBB306_467:
	s_mov_b32 s5, 0
.LBB306_468:
	s_and_b32 s3, s4, exec_lo
	s_and_not1_b32 s4, s34, exec_lo
	s_and_b32 s6, s0, exec_lo
	s_and_b32 s0, s5, exec_lo
	s_or_b32 s4, s4, s6
.LBB306_469:
	s_wait_xcnt 0x0
	s_or_b32 exec_lo, exec_lo, s15
	s_delay_alu instid0(SALU_CYCLE_1)
	s_and_not1_b32 s5, s34, exec_lo
	s_and_b32 s4, s4, exec_lo
	s_and_b32 s3, s3, exec_lo
	;; [unrolled: 1-line block ×3, first 2 shown]
	s_or_b32 s34, s5, s4
.LBB306_470:
	s_or_b32 exec_lo, exec_lo, s33
	s_delay_alu instid0(SALU_CYCLE_1)
	s_and_not1_b32 s4, s28, exec_lo
	s_and_b32 s5, s34, exec_lo
	s_and_b32 s3, s3, exec_lo
	s_and_b32 s0, s0, exec_lo
	s_or_b32 s28, s4, s5
.LBB306_471:
	s_or_b32 exec_lo, exec_lo, s29
	s_delay_alu instid0(SALU_CYCLE_1)
	s_and_not1_b32 s4, s26, exec_lo
	s_and_b32 s5, s28, exec_lo
	s_and_b32 s3, s3, exec_lo
	s_and_b32 s28, s0, exec_lo
	s_or_b32 s26, s4, s5
	s_or_b32 exec_lo, exec_lo, s27
	s_mov_b32 s0, 0
	s_and_saveexec_b32 s4, s26
	s_cbranch_execz .LBB306_134
.LBB306_472:
	s_mov_b32 s0, exec_lo
	s_and_not1_b32 s28, s28, exec_lo
	s_trap 2
	s_or_b32 exec_lo, exec_lo, s4
	s_and_saveexec_b32 s4, s28
	s_delay_alu instid0(SALU_CYCLE_1)
	s_xor_b32 s4, exec_lo, s4
	s_cbranch_execnz .LBB306_135
.LBB306_473:
	s_or_b32 exec_lo, exec_lo, s4
	s_and_saveexec_b32 s4, s3
	s_delay_alu instid0(SALU_CYCLE_1)
	s_xor_b32 s3, exec_lo, s4
	s_cbranch_execz .LBB306_511
.LBB306_474:
	s_sext_i32_i16 s5, s2
	s_mov_b32 s4, -1
	s_cmp_lt_i32 s5, 5
	s_cbranch_scc1 .LBB306_495
; %bb.475:
	s_cmp_lt_i32 s5, 8
	s_cbranch_scc1 .LBB306_485
; %bb.476:
	;; [unrolled: 3-line block ×3, first 2 shown]
	s_cmp_gt_i32 s5, 9
	s_cbranch_scc0 .LBB306_479
; %bb.478:
	v_cndmask_b32_e64 v2, 0, 1, s1
	v_mov_b32_e32 v4, 0
	s_mov_b32 s4, 0
	s_delay_alu instid0(VALU_DEP_2) | instskip(NEXT) | instid1(VALU_DEP_2)
	v_cvt_f64_u32_e32 v[2:3], v2
	v_mov_b32_e32 v5, v4
	global_store_b128 v[0:1], v[2:5], off
.LBB306_479:
	s_and_not1_b32 vcc_lo, exec_lo, s4
	s_cbranch_vccnz .LBB306_481
; %bb.480:
	s_wait_xcnt 0x0
	v_cndmask_b32_e64 v2, 0, 1.0, s1
	v_mov_b32_e32 v3, 0
	global_store_b64 v[0:1], v[2:3], off
.LBB306_481:
	s_mov_b32 s4, 0
.LBB306_482:
	s_delay_alu instid0(SALU_CYCLE_1)
	s_and_not1_b32 vcc_lo, exec_lo, s4
	s_cbranch_vccnz .LBB306_484
; %bb.483:
	s_wait_xcnt 0x0
	v_cndmask_b32_e64 v2, 0, 1.0, s1
	s_delay_alu instid0(VALU_DEP_1) | instskip(NEXT) | instid1(VALU_DEP_1)
	v_cvt_f16_f32_e32 v2, v2
	v_and_b32_e32 v2, 0xffff, v2
	global_store_b32 v[0:1], v2, off
.LBB306_484:
	s_mov_b32 s4, 0
.LBB306_485:
	s_delay_alu instid0(SALU_CYCLE_1)
	s_and_not1_b32 vcc_lo, exec_lo, s4
	s_cbranch_vccnz .LBB306_494
; %bb.486:
	s_sext_i32_i16 s5, s2
	s_mov_b32 s4, -1
	s_cmp_lt_i32 s5, 6
	s_cbranch_scc1 .LBB306_492
; %bb.487:
	s_cmp_gt_i32 s5, 6
	s_cbranch_scc0 .LBB306_489
; %bb.488:
	s_wait_xcnt 0x0
	v_cndmask_b32_e64 v2, 0, 1, s1
	s_mov_b32 s4, 0
	s_delay_alu instid0(VALU_DEP_1)
	v_cvt_f64_u32_e32 v[2:3], v2
	global_store_b64 v[0:1], v[2:3], off
.LBB306_489:
	s_and_not1_b32 vcc_lo, exec_lo, s4
	s_cbranch_vccnz .LBB306_491
; %bb.490:
	s_wait_xcnt 0x0
	v_cndmask_b32_e64 v2, 0, 1.0, s1
	global_store_b32 v[0:1], v2, off
.LBB306_491:
	s_mov_b32 s4, 0
.LBB306_492:
	s_delay_alu instid0(SALU_CYCLE_1)
	s_and_not1_b32 vcc_lo, exec_lo, s4
	s_cbranch_vccnz .LBB306_494
; %bb.493:
	s_wait_xcnt 0x0
	v_cndmask_b32_e64 v2, 0, 1.0, s1
	s_delay_alu instid0(VALU_DEP_1)
	v_cvt_f16_f32_e32 v2, v2
	global_store_b16 v[0:1], v2, off
.LBB306_494:
	s_mov_b32 s4, 0
.LBB306_495:
	s_delay_alu instid0(SALU_CYCLE_1)
	s_and_not1_b32 vcc_lo, exec_lo, s4
	s_cbranch_vccnz .LBB306_511
; %bb.496:
	s_sext_i32_i16 s5, s2
	s_mov_b32 s4, -1
	s_cmp_lt_i32 s5, 2
	s_cbranch_scc1 .LBB306_506
; %bb.497:
	s_cmp_lt_i32 s5, 3
	s_cbranch_scc1 .LBB306_503
; %bb.498:
	s_cmp_gt_i32 s5, 3
	s_cbranch_scc0 .LBB306_500
; %bb.499:
	s_mov_b32 s4, 0
	s_wait_xcnt 0x0
	v_cndmask_b32_e64 v2, 0, 1, s1
	v_mov_b32_e32 v3, s4
	global_store_b64 v[0:1], v[2:3], off
.LBB306_500:
	s_and_not1_b32 vcc_lo, exec_lo, s4
	s_cbranch_vccnz .LBB306_502
; %bb.501:
	s_wait_xcnt 0x0
	v_cndmask_b32_e64 v2, 0, 1, s1
	global_store_b32 v[0:1], v2, off
.LBB306_502:
	s_mov_b32 s4, 0
.LBB306_503:
	s_delay_alu instid0(SALU_CYCLE_1)
	s_and_not1_b32 vcc_lo, exec_lo, s4
	s_cbranch_vccnz .LBB306_505
; %bb.504:
	s_wait_xcnt 0x0
	v_cndmask_b32_e64 v2, 0, 1, s1
	global_store_b16 v[0:1], v2, off
.LBB306_505:
	s_mov_b32 s4, 0
.LBB306_506:
	s_delay_alu instid0(SALU_CYCLE_1)
	s_and_not1_b32 vcc_lo, exec_lo, s4
	s_cbranch_vccnz .LBB306_511
; %bb.507:
	s_wait_xcnt 0x0
	v_cndmask_b32_e64 v2, 0, 1, s1
	s_sext_i32_i16 s2, s2
	s_mov_b32 s1, -1
	s_cmp_gt_i32 s2, 0
	s_cbranch_scc0 .LBB306_509
; %bb.508:
	s_mov_b32 s1, 0
	global_store_b8 v[0:1], v2, off
.LBB306_509:
	s_and_not1_b32 vcc_lo, exec_lo, s1
	s_cbranch_vccnz .LBB306_511
; %bb.510:
	global_store_b8 v[0:1], v2, off
.LBB306_511:
	s_wait_xcnt 0x0
	s_or_b32 exec_lo, exec_lo, s3
	s_delay_alu instid0(SALU_CYCLE_1)
	s_and_b32 s26, s0, exec_lo
                                        ; implicit-def: $vgpr10
                                        ; implicit-def: $vgpr11
.LBB306_512:
	s_or_saveexec_b32 s27, s14
	s_mov_b32 s0, 0
                                        ; implicit-def: $sgpr1
                                        ; implicit-def: $sgpr2
                                        ; implicit-def: $vgpr0_vgpr1
	s_xor_b32 exec_lo, exec_lo, s27
	s_cbranch_execz .LBB306_945
; %bb.513:
	v_dual_mov_b32 v1, s23 :: v_dual_add_nc_u32 v12, 0x80, v10
	v_dual_mov_b32 v0, s22 :: v_dual_add_nc_u32 v13, 0x100, v10
	v_dual_mov_b32 v2, s18 :: v_dual_mov_b32 v3, s19
	v_dual_mov_b32 v4, s21 :: v_dual_mov_b32 v5, s25
	v_mov_b32_e32 v6, v10
	s_get_pc_i64 s[28:29]
	s_add_nc_u64 s[28:29], s[28:29], _ZN2at6native6invokeINS0_13AUnaryFunctorIN3c1015Float8_e4m3fnuzES4_bNS0_12_GLOBAL__N_116CompareEqFunctorIS4_EEEEi15function_traitsIS8_EEENT1_11result_typeERKT_PrKPcPKT0_PKNS3_10ScalarTypeEi@rel64+4
	s_delay_alu instid0(SALU_CYCLE_1) | instskip(SKIP_3) | instid1(VALU_DEP_3)
	s_swap_pc_i64 s[30:31], s[28:29]
	v_dual_mov_b32 v1, s23 :: v_dual_bitop2_b32 v0, 1, v0 bitop3:0x40
	v_dual_mov_b32 v3, s19 :: v_dual_mov_b32 v4, s21
	v_dual_mov_b32 v5, s25 :: v_dual_mov_b32 v6, v12
	v_cmp_eq_u32_e64 s15, 1, v0
	v_dual_mov_b32 v0, s22 :: v_dual_mov_b32 v2, s18
	s_swap_pc_i64 s[30:31], s[28:29]
	s_delay_alu instid0(VALU_DEP_1) | instskip(SKIP_2) | instid1(VALU_DEP_3)
	v_dual_mov_b32 v1, s23 :: v_dual_bitop2_b32 v0, 1, v0 bitop3:0x40
	v_dual_mov_b32 v3, s19 :: v_dual_mov_b32 v4, s21
	v_dual_mov_b32 v5, s25 :: v_dual_mov_b32 v6, v13
	v_cmp_eq_u32_e64 s14, 1, v0
	v_dual_mov_b32 v0, s22 :: v_dual_mov_b32 v2, s18
	s_swap_pc_i64 s[30:31], s[28:29]
	s_delay_alu instid0(VALU_DEP_1) | instskip(SKIP_2) | instid1(VALU_DEP_3)
	v_dual_mov_b32 v1, s23 :: v_dual_bitop2_b32 v0, 1, v0 bitop3:0x40
	v_dual_mov_b32 v3, s19 :: v_dual_mov_b32 v4, s21
	v_dual_mov_b32 v5, s25 :: v_dual_mov_b32 v6, v11
	v_cmp_eq_u32_e64 s13, 1, v0
	v_dual_mov_b32 v0, s22 :: v_dual_mov_b32 v2, s18
	s_swap_pc_i64 s[30:31], s[28:29]
	s_delay_alu instid0(VALU_DEP_1) | instskip(SKIP_1) | instid1(SALU_CYCLE_1)
	v_and_b32_e32 v0, 1, v0
	s_and_b32 s2, s24, 0xff
	s_cmp_lt_i32 s2, 11
	s_delay_alu instid0(VALU_DEP_1) | instskip(SKIP_1) | instid1(VALU_DEP_1)
	v_cmp_eq_u32_e64 s1, 1, v0
	v_mul_lo_u32 v0, s20, v10
	v_ashrrev_i32_e32 v1, 31, v0
	s_delay_alu instid0(VALU_DEP_1)
	v_add_nc_u64_e32 v[2:3], s[16:17], v[0:1]
	s_cbranch_scc1 .LBB306_592
; %bb.514:
	s_and_b32 s3, 0xffff, s2
	s_mov_b32 s6, -1
	s_mov_b32 s4, 0
	s_cmp_gt_i32 s3, 25
	s_mov_b32 s5, 0
	s_mov_b32 s0, 0
	s_cbranch_scc0 .LBB306_547
; %bb.515:
	s_cmp_gt_i32 s3, 28
	s_cbranch_scc0 .LBB306_530
; %bb.516:
	s_cmp_gt_i32 s3, 43
	;; [unrolled: 3-line block ×3, first 2 shown]
	s_cbranch_scc0 .LBB306_520
; %bb.518:
	s_mov_b32 s0, -1
	s_mov_b32 s6, 0
	s_cmp_eq_u32 s3, 46
	s_cbranch_scc0 .LBB306_520
; %bb.519:
	v_cndmask_b32_e64 v1, 0, 1.0, s15
	s_mov_b32 s0, 0
	s_mov_b32 s5, -1
	s_delay_alu instid0(VALU_DEP_1) | instskip(NEXT) | instid1(VALU_DEP_1)
	v_bfe_u32 v4, v1, 16, 1
	v_add3_u32 v1, v1, v4, 0x7fff
	s_delay_alu instid0(VALU_DEP_1)
	v_lshrrev_b32_e32 v1, 16, v1
	global_store_b32 v[2:3], v1, off
.LBB306_520:
	s_and_b32 vcc_lo, exec_lo, s6
	s_cbranch_vccz .LBB306_525
; %bb.521:
	s_cmp_eq_u32 s3, 44
	s_mov_b32 s0, -1
	s_cbranch_scc0 .LBB306_525
; %bb.522:
	v_cndmask_b32_e64 v5, 0, 1.0, s15
	s_mov_b32 s5, exec_lo
	s_wait_xcnt 0x0
	s_delay_alu instid0(VALU_DEP_1) | instskip(NEXT) | instid1(VALU_DEP_1)
	v_dual_mov_b32 v4, 0xff :: v_dual_lshrrev_b32 v1, 23, v5
	v_cmpx_ne_u32_e32 0xff, v1
; %bb.523:
	v_and_b32_e32 v4, 0x400000, v5
	v_and_or_b32 v5, 0x3fffff, v5, v1
	s_delay_alu instid0(VALU_DEP_2) | instskip(NEXT) | instid1(VALU_DEP_2)
	v_cmp_ne_u32_e32 vcc_lo, 0, v4
	v_cmp_ne_u32_e64 s0, 0, v5
	s_and_b32 s0, vcc_lo, s0
	s_delay_alu instid0(SALU_CYCLE_1) | instskip(NEXT) | instid1(VALU_DEP_1)
	v_cndmask_b32_e64 v4, 0, 1, s0
	v_add_nc_u32_e32 v4, v1, v4
; %bb.524:
	s_or_b32 exec_lo, exec_lo, s5
	s_mov_b32 s0, 0
	s_mov_b32 s5, -1
	global_store_b8 v[2:3], v4, off
.LBB306_525:
	s_mov_b32 s6, 0
.LBB306_526:
	s_delay_alu instid0(SALU_CYCLE_1)
	s_and_b32 vcc_lo, exec_lo, s6
	s_cbranch_vccz .LBB306_529
; %bb.527:
	s_cmp_eq_u32 s3, 29
	s_mov_b32 s0, -1
	s_cbranch_scc0 .LBB306_529
; %bb.528:
	s_mov_b32 s0, 0
	s_wait_xcnt 0x0
	v_cndmask_b32_e64 v4, 0, 1, s15
	v_mov_b32_e32 v5, s0
	s_mov_b32 s5, -1
	global_store_b64 v[2:3], v[4:5], off
.LBB306_529:
	s_mov_b32 s6, 0
.LBB306_530:
	s_delay_alu instid0(SALU_CYCLE_1)
	s_and_b32 vcc_lo, exec_lo, s6
	s_cbranch_vccz .LBB306_546
; %bb.531:
	s_cmp_lt_i32 s3, 27
	s_mov_b32 s5, -1
	s_cbranch_scc1 .LBB306_537
; %bb.532:
	s_cmp_gt_i32 s3, 27
	s_cbranch_scc0 .LBB306_534
; %bb.533:
	s_wait_xcnt 0x0
	v_cndmask_b32_e64 v1, 0, 1, s15
	s_mov_b32 s5, 0
	global_store_b32 v[2:3], v1, off
.LBB306_534:
	s_and_not1_b32 vcc_lo, exec_lo, s5
	s_cbranch_vccnz .LBB306_536
; %bb.535:
	s_wait_xcnt 0x0
	v_cndmask_b32_e64 v1, 0, 1, s15
	global_store_b16 v[2:3], v1, off
.LBB306_536:
	s_mov_b32 s5, 0
.LBB306_537:
	s_delay_alu instid0(SALU_CYCLE_1)
	s_and_not1_b32 vcc_lo, exec_lo, s5
	s_cbranch_vccnz .LBB306_545
; %bb.538:
	s_wait_xcnt 0x0
	v_cndmask_b32_e64 v4, 0, 1.0, s15
	v_mov_b32_e32 v5, 0x80
	s_mov_b32 s5, exec_lo
	s_delay_alu instid0(VALU_DEP_2)
	v_cmpx_gt_u32_e32 0x43800000, v4
	s_cbranch_execz .LBB306_544
; %bb.539:
	s_mov_b32 s6, 0
	s_mov_b32 s7, exec_lo
                                        ; implicit-def: $vgpr1
	v_cmpx_lt_u32_e32 0x3bffffff, v4
	s_xor_b32 s7, exec_lo, s7
	s_cbranch_execz .LBB306_989
; %bb.540:
	v_bfe_u32 v1, v4, 20, 1
	s_mov_b32 s6, exec_lo
	s_delay_alu instid0(VALU_DEP_1) | instskip(NEXT) | instid1(VALU_DEP_1)
	v_add3_u32 v1, v4, v1, 0x487ffff
                                        ; implicit-def: $vgpr4
	v_lshrrev_b32_e32 v1, 20, v1
	s_and_not1_saveexec_b32 s7, s7
	s_cbranch_execnz .LBB306_990
.LBB306_541:
	s_or_b32 exec_lo, exec_lo, s7
	v_mov_b32_e32 v5, 0
	s_and_saveexec_b32 s7, s6
.LBB306_542:
	v_mov_b32_e32 v5, v1
.LBB306_543:
	s_or_b32 exec_lo, exec_lo, s7
.LBB306_544:
	s_delay_alu instid0(SALU_CYCLE_1)
	s_or_b32 exec_lo, exec_lo, s5
	global_store_b8 v[2:3], v5, off
.LBB306_545:
	s_mov_b32 s5, -1
.LBB306_546:
	s_mov_b32 s6, 0
.LBB306_547:
	s_delay_alu instid0(SALU_CYCLE_1)
	s_and_b32 vcc_lo, exec_lo, s6
	s_cbranch_vccz .LBB306_587
; %bb.548:
	s_cmp_gt_i32 s3, 22
	s_mov_b32 s4, -1
	s_cbranch_scc0 .LBB306_580
; %bb.549:
	s_cmp_lt_i32 s3, 24
	s_cbranch_scc1 .LBB306_569
; %bb.550:
	s_cmp_gt_i32 s3, 24
	s_cbranch_scc0 .LBB306_558
; %bb.551:
	s_wait_xcnt 0x0
	v_cndmask_b32_e64 v4, 0, 1.0, s15
	v_mov_b32_e32 v5, 0x80
	s_mov_b32 s4, exec_lo
	s_delay_alu instid0(VALU_DEP_2)
	v_cmpx_gt_u32_e32 0x47800000, v4
	s_cbranch_execz .LBB306_557
; %bb.552:
	s_mov_b32 s5, 0
	s_mov_b32 s6, exec_lo
                                        ; implicit-def: $vgpr1
	v_cmpx_lt_u32_e32 0x37ffffff, v4
	s_xor_b32 s6, exec_lo, s6
	s_cbranch_execz .LBB306_992
; %bb.553:
	v_bfe_u32 v1, v4, 21, 1
	s_mov_b32 s5, exec_lo
	s_delay_alu instid0(VALU_DEP_1) | instskip(NEXT) | instid1(VALU_DEP_1)
	v_add3_u32 v1, v4, v1, 0x88fffff
                                        ; implicit-def: $vgpr4
	v_lshrrev_b32_e32 v1, 21, v1
	s_and_not1_saveexec_b32 s6, s6
	s_cbranch_execnz .LBB306_993
.LBB306_554:
	s_or_b32 exec_lo, exec_lo, s6
	v_mov_b32_e32 v5, 0
	s_and_saveexec_b32 s6, s5
.LBB306_555:
	v_mov_b32_e32 v5, v1
.LBB306_556:
	s_or_b32 exec_lo, exec_lo, s6
.LBB306_557:
	s_delay_alu instid0(SALU_CYCLE_1)
	s_or_b32 exec_lo, exec_lo, s4
	s_mov_b32 s4, 0
	global_store_b8 v[2:3], v5, off
.LBB306_558:
	s_and_b32 vcc_lo, exec_lo, s4
	s_cbranch_vccz .LBB306_568
; %bb.559:
	s_wait_xcnt 0x0
	v_cndmask_b32_e64 v4, 0, 1.0, s15
	s_mov_b32 s4, exec_lo
                                        ; implicit-def: $vgpr1
	s_delay_alu instid0(VALU_DEP_1)
	v_cmpx_gt_u32_e32 0x43f00000, v4
	s_xor_b32 s4, exec_lo, s4
	s_cbranch_execz .LBB306_565
; %bb.560:
	s_mov_b32 s5, exec_lo
                                        ; implicit-def: $vgpr1
	v_cmpx_lt_u32_e32 0x3c7fffff, v4
	s_xor_b32 s5, exec_lo, s5
; %bb.561:
	v_bfe_u32 v1, v4, 20, 1
	s_delay_alu instid0(VALU_DEP_1) | instskip(NEXT) | instid1(VALU_DEP_1)
	v_add3_u32 v1, v4, v1, 0x407ffff
	v_and_b32_e32 v4, 0xff00000, v1
	v_lshrrev_b32_e32 v1, 20, v1
	s_delay_alu instid0(VALU_DEP_2) | instskip(NEXT) | instid1(VALU_DEP_2)
	v_cmp_ne_u32_e32 vcc_lo, 0x7f00000, v4
                                        ; implicit-def: $vgpr4
	v_cndmask_b32_e32 v1, 0x7e, v1, vcc_lo
; %bb.562:
	s_and_not1_saveexec_b32 s5, s5
; %bb.563:
	v_add_f32_e32 v1, 0x46800000, v4
; %bb.564:
	s_or_b32 exec_lo, exec_lo, s5
                                        ; implicit-def: $vgpr4
.LBB306_565:
	s_and_not1_saveexec_b32 s4, s4
; %bb.566:
	v_mov_b32_e32 v1, 0x7f
	v_cmp_lt_u32_e32 vcc_lo, 0x7f800000, v4
	s_delay_alu instid0(VALU_DEP_2)
	v_cndmask_b32_e32 v1, 0x7e, v1, vcc_lo
; %bb.567:
	s_or_b32 exec_lo, exec_lo, s4
	global_store_b8 v[2:3], v1, off
.LBB306_568:
	s_mov_b32 s4, 0
.LBB306_569:
	s_delay_alu instid0(SALU_CYCLE_1)
	s_and_not1_b32 vcc_lo, exec_lo, s4
	s_cbranch_vccnz .LBB306_579
; %bb.570:
	s_wait_xcnt 0x0
	v_cndmask_b32_e64 v4, 0, 1.0, s15
	s_mov_b32 s4, exec_lo
                                        ; implicit-def: $vgpr1
	s_delay_alu instid0(VALU_DEP_1)
	v_cmpx_gt_u32_e32 0x47800000, v4
	s_xor_b32 s4, exec_lo, s4
	s_cbranch_execz .LBB306_576
; %bb.571:
	s_mov_b32 s5, exec_lo
                                        ; implicit-def: $vgpr1
	v_cmpx_lt_u32_e32 0x387fffff, v4
	s_xor_b32 s5, exec_lo, s5
; %bb.572:
	v_bfe_u32 v1, v4, 21, 1
	s_delay_alu instid0(VALU_DEP_1) | instskip(NEXT) | instid1(VALU_DEP_1)
	v_add3_u32 v1, v4, v1, 0x80fffff
                                        ; implicit-def: $vgpr4
	v_lshrrev_b32_e32 v1, 21, v1
; %bb.573:
	s_and_not1_saveexec_b32 s5, s5
; %bb.574:
	v_add_f32_e32 v1, 0x43000000, v4
; %bb.575:
	s_or_b32 exec_lo, exec_lo, s5
                                        ; implicit-def: $vgpr4
.LBB306_576:
	s_and_not1_saveexec_b32 s4, s4
; %bb.577:
	v_mov_b32_e32 v1, 0x7f
	v_cmp_lt_u32_e32 vcc_lo, 0x7f800000, v4
	s_delay_alu instid0(VALU_DEP_2)
	v_cndmask_b32_e32 v1, 0x7c, v1, vcc_lo
; %bb.578:
	s_or_b32 exec_lo, exec_lo, s4
	global_store_b8 v[2:3], v1, off
.LBB306_579:
	s_mov_b32 s4, 0
	s_mov_b32 s5, -1
.LBB306_580:
	s_and_not1_b32 vcc_lo, exec_lo, s4
	s_mov_b32 s4, 0
	s_cbranch_vccnz .LBB306_587
; %bb.581:
	s_cmp_gt_i32 s3, 14
	s_mov_b32 s4, -1
	s_cbranch_scc0 .LBB306_585
; %bb.582:
	s_cmp_eq_u32 s3, 15
	s_mov_b32 s0, -1
	s_cbranch_scc0 .LBB306_584
; %bb.583:
	s_wait_xcnt 0x0
	v_cndmask_b32_e64 v1, 0, 1.0, s15
	s_mov_b32 s0, 0
	s_mov_b32 s5, -1
	s_delay_alu instid0(VALU_DEP_1) | instskip(NEXT) | instid1(VALU_DEP_1)
	v_bfe_u32 v4, v1, 16, 1
	v_add3_u32 v1, v1, v4, 0x7fff
	global_store_d16_hi_b16 v[2:3], v1, off
.LBB306_584:
	s_mov_b32 s4, 0
.LBB306_585:
	s_delay_alu instid0(SALU_CYCLE_1)
	s_and_b32 vcc_lo, exec_lo, s4
	s_mov_b32 s4, 0
	s_cbranch_vccz .LBB306_587
; %bb.586:
	s_cmp_lg_u32 s3, 11
	s_mov_b32 s4, -1
	s_cselect_b32 s0, -1, 0
.LBB306_587:
	s_delay_alu instid0(SALU_CYCLE_1)
	s_and_b32 vcc_lo, exec_lo, s0
	s_mov_b32 s3, s26
	s_cbranch_vccnz .LBB306_991
; %bb.588:
	s_and_not1_b32 vcc_lo, exec_lo, s4
	s_cbranch_vccnz .LBB306_590
.LBB306_589:
	s_wait_xcnt 0x0
	v_cndmask_b32_e64 v1, 0, 1, s15
	s_mov_b32 s5, -1
	global_store_b8 v[2:3], v1, off
.LBB306_590:
.LBB306_591:
	s_and_not1_b32 vcc_lo, exec_lo, s5
	s_cbranch_vccz .LBB306_631
	s_branch .LBB306_943
.LBB306_592:
	s_mov_b32 s5, 0
	s_mov_b32 s3, s26
	s_cbranch_execz .LBB306_591
; %bb.593:
	s_and_b32 s0, 0xffff, s2
	s_mov_b32 s4, -1
	s_cmp_lt_i32 s0, 5
	s_cbranch_scc1 .LBB306_614
; %bb.594:
	s_cmp_lt_i32 s0, 8
	s_cbranch_scc1 .LBB306_604
; %bb.595:
	s_cmp_lt_i32 s0, 9
	s_cbranch_scc1 .LBB306_601
; %bb.596:
	s_cmp_gt_i32 s0, 9
	s_cbranch_scc0 .LBB306_598
; %bb.597:
	s_wait_xcnt 0x0
	v_cndmask_b32_e64 v1, 0, 1, s15
	v_mov_b32_e32 v6, 0
	s_mov_b32 s4, 0
	s_delay_alu instid0(VALU_DEP_2) | instskip(NEXT) | instid1(VALU_DEP_2)
	v_cvt_f64_u32_e32 v[4:5], v1
	v_mov_b32_e32 v7, v6
	global_store_b128 v[2:3], v[4:7], off
.LBB306_598:
	s_and_not1_b32 vcc_lo, exec_lo, s4
	s_cbranch_vccnz .LBB306_600
; %bb.599:
	s_wait_xcnt 0x0
	v_cndmask_b32_e64 v4, 0, 1.0, s15
	v_mov_b32_e32 v5, 0
	global_store_b64 v[2:3], v[4:5], off
.LBB306_600:
	s_mov_b32 s4, 0
.LBB306_601:
	s_delay_alu instid0(SALU_CYCLE_1)
	s_and_not1_b32 vcc_lo, exec_lo, s4
	s_cbranch_vccnz .LBB306_603
; %bb.602:
	s_wait_xcnt 0x0
	v_cndmask_b32_e64 v1, 0, 1.0, s15
	s_delay_alu instid0(VALU_DEP_1) | instskip(NEXT) | instid1(VALU_DEP_1)
	v_cvt_f16_f32_e32 v1, v1
	v_and_b32_e32 v1, 0xffff, v1
	global_store_b32 v[2:3], v1, off
.LBB306_603:
	s_mov_b32 s4, 0
.LBB306_604:
	s_delay_alu instid0(SALU_CYCLE_1)
	s_and_not1_b32 vcc_lo, exec_lo, s4
	s_cbranch_vccnz .LBB306_613
; %bb.605:
	s_cmp_lt_i32 s0, 6
	s_mov_b32 s4, -1
	s_cbranch_scc1 .LBB306_611
; %bb.606:
	s_cmp_gt_i32 s0, 6
	s_cbranch_scc0 .LBB306_608
; %bb.607:
	s_wait_xcnt 0x0
	v_cndmask_b32_e64 v1, 0, 1, s15
	s_mov_b32 s4, 0
	s_delay_alu instid0(VALU_DEP_1)
	v_cvt_f64_u32_e32 v[4:5], v1
	global_store_b64 v[2:3], v[4:5], off
.LBB306_608:
	s_and_not1_b32 vcc_lo, exec_lo, s4
	s_cbranch_vccnz .LBB306_610
; %bb.609:
	s_wait_xcnt 0x0
	v_cndmask_b32_e64 v1, 0, 1.0, s15
	global_store_b32 v[2:3], v1, off
.LBB306_610:
	s_mov_b32 s4, 0
.LBB306_611:
	s_delay_alu instid0(SALU_CYCLE_1)
	s_and_not1_b32 vcc_lo, exec_lo, s4
	s_cbranch_vccnz .LBB306_613
; %bb.612:
	s_wait_xcnt 0x0
	v_cndmask_b32_e64 v1, 0, 1.0, s15
	s_delay_alu instid0(VALU_DEP_1)
	v_cvt_f16_f32_e32 v1, v1
	global_store_b16 v[2:3], v1, off
.LBB306_613:
	s_mov_b32 s4, 0
.LBB306_614:
	s_delay_alu instid0(SALU_CYCLE_1)
	s_and_not1_b32 vcc_lo, exec_lo, s4
	s_cbranch_vccnz .LBB306_630
; %bb.615:
	s_cmp_lt_i32 s0, 2
	s_mov_b32 s4, -1
	s_cbranch_scc1 .LBB306_625
; %bb.616:
	s_cmp_lt_i32 s0, 3
	s_cbranch_scc1 .LBB306_622
; %bb.617:
	s_cmp_gt_i32 s0, 3
	s_cbranch_scc0 .LBB306_619
; %bb.618:
	s_mov_b32 s4, 0
	s_wait_xcnt 0x0
	v_cndmask_b32_e64 v4, 0, 1, s15
	v_mov_b32_e32 v5, s4
	global_store_b64 v[2:3], v[4:5], off
.LBB306_619:
	s_and_not1_b32 vcc_lo, exec_lo, s4
	s_cbranch_vccnz .LBB306_621
; %bb.620:
	s_wait_xcnt 0x0
	v_cndmask_b32_e64 v1, 0, 1, s15
	global_store_b32 v[2:3], v1, off
.LBB306_621:
	s_mov_b32 s4, 0
.LBB306_622:
	s_delay_alu instid0(SALU_CYCLE_1)
	s_and_not1_b32 vcc_lo, exec_lo, s4
	s_cbranch_vccnz .LBB306_624
; %bb.623:
	s_wait_xcnt 0x0
	v_cndmask_b32_e64 v1, 0, 1, s15
	global_store_b16 v[2:3], v1, off
.LBB306_624:
	s_mov_b32 s4, 0
.LBB306_625:
	s_delay_alu instid0(SALU_CYCLE_1)
	s_and_not1_b32 vcc_lo, exec_lo, s4
	s_cbranch_vccnz .LBB306_630
; %bb.626:
	s_wait_xcnt 0x0
	v_cndmask_b32_e64 v1, 0, 1, s15
	s_cmp_gt_i32 s0, 0
	s_mov_b32 s0, -1
	s_cbranch_scc0 .LBB306_628
; %bb.627:
	s_mov_b32 s0, 0
	global_store_b8 v[2:3], v1, off
.LBB306_628:
	s_and_not1_b32 vcc_lo, exec_lo, s0
	s_cbranch_vccnz .LBB306_630
; %bb.629:
	global_store_b8 v[2:3], v1, off
.LBB306_630:
.LBB306_631:
	s_lshl_b32 s4, s20, 7
	s_cmp_lt_i32 s2, 11
	v_add_nc_u32_e32 v0, s4, v0
	s_wait_xcnt 0x0
	s_delay_alu instid0(VALU_DEP_1) | instskip(NEXT) | instid1(VALU_DEP_1)
	v_ashrrev_i32_e32 v1, 31, v0
	v_add_nc_u64_e32 v[2:3], s[16:17], v[0:1]
	s_cbranch_scc1 .LBB306_710
; %bb.632:
	s_and_b32 s5, 0xffff, s2
	s_mov_b32 s8, -1
	s_mov_b32 s6, 0
	s_cmp_gt_i32 s5, 25
	s_mov_b32 s7, 0
	s_mov_b32 s0, 0
	s_cbranch_scc0 .LBB306_665
; %bb.633:
	s_cmp_gt_i32 s5, 28
	s_cbranch_scc0 .LBB306_648
; %bb.634:
	s_cmp_gt_i32 s5, 43
	;; [unrolled: 3-line block ×3, first 2 shown]
	s_cbranch_scc0 .LBB306_638
; %bb.636:
	s_mov_b32 s0, -1
	s_mov_b32 s8, 0
	s_cmp_eq_u32 s5, 46
	s_cbranch_scc0 .LBB306_638
; %bb.637:
	v_cndmask_b32_e64 v1, 0, 1.0, s14
	s_mov_b32 s0, 0
	s_mov_b32 s7, -1
	s_delay_alu instid0(VALU_DEP_1) | instskip(NEXT) | instid1(VALU_DEP_1)
	v_bfe_u32 v4, v1, 16, 1
	v_add3_u32 v1, v1, v4, 0x7fff
	s_delay_alu instid0(VALU_DEP_1)
	v_lshrrev_b32_e32 v1, 16, v1
	global_store_b32 v[2:3], v1, off
.LBB306_638:
	s_and_b32 vcc_lo, exec_lo, s8
	s_cbranch_vccz .LBB306_643
; %bb.639:
	s_cmp_eq_u32 s5, 44
	s_mov_b32 s0, -1
	s_cbranch_scc0 .LBB306_643
; %bb.640:
	v_cndmask_b32_e64 v5, 0, 1.0, s14
	s_mov_b32 s7, exec_lo
	s_wait_xcnt 0x0
	s_delay_alu instid0(VALU_DEP_1) | instskip(NEXT) | instid1(VALU_DEP_1)
	v_dual_mov_b32 v4, 0xff :: v_dual_lshrrev_b32 v1, 23, v5
	v_cmpx_ne_u32_e32 0xff, v1
; %bb.641:
	v_and_b32_e32 v4, 0x400000, v5
	v_and_or_b32 v5, 0x3fffff, v5, v1
	s_delay_alu instid0(VALU_DEP_2) | instskip(NEXT) | instid1(VALU_DEP_2)
	v_cmp_ne_u32_e32 vcc_lo, 0, v4
	v_cmp_ne_u32_e64 s0, 0, v5
	s_and_b32 s0, vcc_lo, s0
	s_delay_alu instid0(SALU_CYCLE_1) | instskip(NEXT) | instid1(VALU_DEP_1)
	v_cndmask_b32_e64 v4, 0, 1, s0
	v_add_nc_u32_e32 v4, v1, v4
; %bb.642:
	s_or_b32 exec_lo, exec_lo, s7
	s_mov_b32 s0, 0
	s_mov_b32 s7, -1
	global_store_b8 v[2:3], v4, off
.LBB306_643:
	s_mov_b32 s8, 0
.LBB306_644:
	s_delay_alu instid0(SALU_CYCLE_1)
	s_and_b32 vcc_lo, exec_lo, s8
	s_cbranch_vccz .LBB306_647
; %bb.645:
	s_cmp_eq_u32 s5, 29
	s_mov_b32 s0, -1
	s_cbranch_scc0 .LBB306_647
; %bb.646:
	s_mov_b32 s0, 0
	s_wait_xcnt 0x0
	v_cndmask_b32_e64 v4, 0, 1, s14
	v_mov_b32_e32 v5, s0
	s_mov_b32 s7, -1
	global_store_b64 v[2:3], v[4:5], off
.LBB306_647:
	s_mov_b32 s8, 0
.LBB306_648:
	s_delay_alu instid0(SALU_CYCLE_1)
	s_and_b32 vcc_lo, exec_lo, s8
	s_cbranch_vccz .LBB306_664
; %bb.649:
	s_cmp_lt_i32 s5, 27
	s_mov_b32 s7, -1
	s_cbranch_scc1 .LBB306_655
; %bb.650:
	s_cmp_gt_i32 s5, 27
	s_cbranch_scc0 .LBB306_652
; %bb.651:
	s_wait_xcnt 0x0
	v_cndmask_b32_e64 v1, 0, 1, s14
	s_mov_b32 s7, 0
	global_store_b32 v[2:3], v1, off
.LBB306_652:
	s_and_not1_b32 vcc_lo, exec_lo, s7
	s_cbranch_vccnz .LBB306_654
; %bb.653:
	s_wait_xcnt 0x0
	v_cndmask_b32_e64 v1, 0, 1, s14
	global_store_b16 v[2:3], v1, off
.LBB306_654:
	s_mov_b32 s7, 0
.LBB306_655:
	s_delay_alu instid0(SALU_CYCLE_1)
	s_and_not1_b32 vcc_lo, exec_lo, s7
	s_cbranch_vccnz .LBB306_663
; %bb.656:
	s_wait_xcnt 0x0
	v_cndmask_b32_e64 v4, 0, 1.0, s14
	v_mov_b32_e32 v5, 0x80
	s_mov_b32 s7, exec_lo
	s_delay_alu instid0(VALU_DEP_2)
	v_cmpx_gt_u32_e32 0x43800000, v4
	s_cbranch_execz .LBB306_662
; %bb.657:
	s_mov_b32 s8, 0
	s_mov_b32 s9, exec_lo
                                        ; implicit-def: $vgpr1
	v_cmpx_lt_u32_e32 0x3bffffff, v4
	s_xor_b32 s9, exec_lo, s9
	s_cbranch_execz .LBB306_994
; %bb.658:
	v_bfe_u32 v1, v4, 20, 1
	s_mov_b32 s8, exec_lo
	s_delay_alu instid0(VALU_DEP_1) | instskip(NEXT) | instid1(VALU_DEP_1)
	v_add3_u32 v1, v4, v1, 0x487ffff
                                        ; implicit-def: $vgpr4
	v_lshrrev_b32_e32 v1, 20, v1
	s_and_not1_saveexec_b32 s9, s9
	s_cbranch_execnz .LBB306_995
.LBB306_659:
	s_or_b32 exec_lo, exec_lo, s9
	v_mov_b32_e32 v5, 0
	s_and_saveexec_b32 s9, s8
.LBB306_660:
	v_mov_b32_e32 v5, v1
.LBB306_661:
	s_or_b32 exec_lo, exec_lo, s9
.LBB306_662:
	s_delay_alu instid0(SALU_CYCLE_1)
	s_or_b32 exec_lo, exec_lo, s7
	global_store_b8 v[2:3], v5, off
.LBB306_663:
	s_mov_b32 s7, -1
.LBB306_664:
	s_mov_b32 s8, 0
.LBB306_665:
	s_delay_alu instid0(SALU_CYCLE_1)
	s_and_b32 vcc_lo, exec_lo, s8
	s_cbranch_vccz .LBB306_705
; %bb.666:
	s_cmp_gt_i32 s5, 22
	s_mov_b32 s6, -1
	s_cbranch_scc0 .LBB306_698
; %bb.667:
	s_cmp_lt_i32 s5, 24
	s_cbranch_scc1 .LBB306_687
; %bb.668:
	s_cmp_gt_i32 s5, 24
	s_cbranch_scc0 .LBB306_676
; %bb.669:
	s_wait_xcnt 0x0
	v_cndmask_b32_e64 v4, 0, 1.0, s14
	v_mov_b32_e32 v5, 0x80
	s_mov_b32 s6, exec_lo
	s_delay_alu instid0(VALU_DEP_2)
	v_cmpx_gt_u32_e32 0x47800000, v4
	s_cbranch_execz .LBB306_675
; %bb.670:
	s_mov_b32 s7, 0
	s_mov_b32 s8, exec_lo
                                        ; implicit-def: $vgpr1
	v_cmpx_lt_u32_e32 0x37ffffff, v4
	s_xor_b32 s8, exec_lo, s8
	s_cbranch_execz .LBB306_997
; %bb.671:
	v_bfe_u32 v1, v4, 21, 1
	s_mov_b32 s7, exec_lo
	s_delay_alu instid0(VALU_DEP_1) | instskip(NEXT) | instid1(VALU_DEP_1)
	v_add3_u32 v1, v4, v1, 0x88fffff
                                        ; implicit-def: $vgpr4
	v_lshrrev_b32_e32 v1, 21, v1
	s_and_not1_saveexec_b32 s8, s8
	s_cbranch_execnz .LBB306_998
.LBB306_672:
	s_or_b32 exec_lo, exec_lo, s8
	v_mov_b32_e32 v5, 0
	s_and_saveexec_b32 s8, s7
.LBB306_673:
	v_mov_b32_e32 v5, v1
.LBB306_674:
	s_or_b32 exec_lo, exec_lo, s8
.LBB306_675:
	s_delay_alu instid0(SALU_CYCLE_1)
	s_or_b32 exec_lo, exec_lo, s6
	s_mov_b32 s6, 0
	global_store_b8 v[2:3], v5, off
.LBB306_676:
	s_and_b32 vcc_lo, exec_lo, s6
	s_cbranch_vccz .LBB306_686
; %bb.677:
	s_wait_xcnt 0x0
	v_cndmask_b32_e64 v4, 0, 1.0, s14
	s_mov_b32 s6, exec_lo
                                        ; implicit-def: $vgpr1
	s_delay_alu instid0(VALU_DEP_1)
	v_cmpx_gt_u32_e32 0x43f00000, v4
	s_xor_b32 s6, exec_lo, s6
	s_cbranch_execz .LBB306_683
; %bb.678:
	s_mov_b32 s7, exec_lo
                                        ; implicit-def: $vgpr1
	v_cmpx_lt_u32_e32 0x3c7fffff, v4
	s_xor_b32 s7, exec_lo, s7
; %bb.679:
	v_bfe_u32 v1, v4, 20, 1
	s_delay_alu instid0(VALU_DEP_1) | instskip(NEXT) | instid1(VALU_DEP_1)
	v_add3_u32 v1, v4, v1, 0x407ffff
	v_and_b32_e32 v4, 0xff00000, v1
	v_lshrrev_b32_e32 v1, 20, v1
	s_delay_alu instid0(VALU_DEP_2) | instskip(NEXT) | instid1(VALU_DEP_2)
	v_cmp_ne_u32_e32 vcc_lo, 0x7f00000, v4
                                        ; implicit-def: $vgpr4
	v_cndmask_b32_e32 v1, 0x7e, v1, vcc_lo
; %bb.680:
	s_and_not1_saveexec_b32 s7, s7
; %bb.681:
	v_add_f32_e32 v1, 0x46800000, v4
; %bb.682:
	s_or_b32 exec_lo, exec_lo, s7
                                        ; implicit-def: $vgpr4
.LBB306_683:
	s_and_not1_saveexec_b32 s6, s6
; %bb.684:
	v_mov_b32_e32 v1, 0x7f
	v_cmp_lt_u32_e32 vcc_lo, 0x7f800000, v4
	s_delay_alu instid0(VALU_DEP_2)
	v_cndmask_b32_e32 v1, 0x7e, v1, vcc_lo
; %bb.685:
	s_or_b32 exec_lo, exec_lo, s6
	global_store_b8 v[2:3], v1, off
.LBB306_686:
	s_mov_b32 s6, 0
.LBB306_687:
	s_delay_alu instid0(SALU_CYCLE_1)
	s_and_not1_b32 vcc_lo, exec_lo, s6
	s_cbranch_vccnz .LBB306_697
; %bb.688:
	s_wait_xcnt 0x0
	v_cndmask_b32_e64 v4, 0, 1.0, s14
	s_mov_b32 s6, exec_lo
                                        ; implicit-def: $vgpr1
	s_delay_alu instid0(VALU_DEP_1)
	v_cmpx_gt_u32_e32 0x47800000, v4
	s_xor_b32 s6, exec_lo, s6
	s_cbranch_execz .LBB306_694
; %bb.689:
	s_mov_b32 s7, exec_lo
                                        ; implicit-def: $vgpr1
	v_cmpx_lt_u32_e32 0x387fffff, v4
	s_xor_b32 s7, exec_lo, s7
; %bb.690:
	v_bfe_u32 v1, v4, 21, 1
	s_delay_alu instid0(VALU_DEP_1) | instskip(NEXT) | instid1(VALU_DEP_1)
	v_add3_u32 v1, v4, v1, 0x80fffff
                                        ; implicit-def: $vgpr4
	v_lshrrev_b32_e32 v1, 21, v1
; %bb.691:
	s_and_not1_saveexec_b32 s7, s7
; %bb.692:
	v_add_f32_e32 v1, 0x43000000, v4
; %bb.693:
	s_or_b32 exec_lo, exec_lo, s7
                                        ; implicit-def: $vgpr4
.LBB306_694:
	s_and_not1_saveexec_b32 s6, s6
; %bb.695:
	v_mov_b32_e32 v1, 0x7f
	v_cmp_lt_u32_e32 vcc_lo, 0x7f800000, v4
	s_delay_alu instid0(VALU_DEP_2)
	v_cndmask_b32_e32 v1, 0x7c, v1, vcc_lo
; %bb.696:
	s_or_b32 exec_lo, exec_lo, s6
	global_store_b8 v[2:3], v1, off
.LBB306_697:
	s_mov_b32 s6, 0
	s_mov_b32 s7, -1
.LBB306_698:
	s_and_not1_b32 vcc_lo, exec_lo, s6
	s_mov_b32 s6, 0
	s_cbranch_vccnz .LBB306_705
; %bb.699:
	s_cmp_gt_i32 s5, 14
	s_mov_b32 s6, -1
	s_cbranch_scc0 .LBB306_703
; %bb.700:
	s_cmp_eq_u32 s5, 15
	s_mov_b32 s0, -1
	s_cbranch_scc0 .LBB306_702
; %bb.701:
	s_wait_xcnt 0x0
	v_cndmask_b32_e64 v1, 0, 1.0, s14
	s_mov_b32 s0, 0
	s_mov_b32 s7, -1
	s_delay_alu instid0(VALU_DEP_1) | instskip(NEXT) | instid1(VALU_DEP_1)
	v_bfe_u32 v4, v1, 16, 1
	v_add3_u32 v1, v1, v4, 0x7fff
	global_store_d16_hi_b16 v[2:3], v1, off
.LBB306_702:
	s_mov_b32 s6, 0
.LBB306_703:
	s_delay_alu instid0(SALU_CYCLE_1)
	s_and_b32 vcc_lo, exec_lo, s6
	s_mov_b32 s6, 0
	s_cbranch_vccz .LBB306_705
; %bb.704:
	s_cmp_lg_u32 s5, 11
	s_mov_b32 s6, -1
	s_cselect_b32 s0, -1, 0
.LBB306_705:
	s_delay_alu instid0(SALU_CYCLE_1)
	s_and_b32 vcc_lo, exec_lo, s0
	s_cbranch_vccnz .LBB306_996
; %bb.706:
	s_and_not1_b32 vcc_lo, exec_lo, s6
	s_cbranch_vccnz .LBB306_708
.LBB306_707:
	s_wait_xcnt 0x0
	v_cndmask_b32_e64 v1, 0, 1, s14
	s_mov_b32 s7, -1
	global_store_b8 v[2:3], v1, off
.LBB306_708:
.LBB306_709:
	s_and_not1_b32 vcc_lo, exec_lo, s7
	s_cbranch_vccz .LBB306_749
	s_branch .LBB306_943
.LBB306_710:
	s_mov_b32 s7, 0
	s_cbranch_execz .LBB306_709
; %bb.711:
	s_and_b32 s0, 0xffff, s2
	s_mov_b32 s5, -1
	s_cmp_lt_i32 s0, 5
	s_cbranch_scc1 .LBB306_732
; %bb.712:
	s_cmp_lt_i32 s0, 8
	s_cbranch_scc1 .LBB306_722
; %bb.713:
	;; [unrolled: 3-line block ×3, first 2 shown]
	s_cmp_gt_i32 s0, 9
	s_cbranch_scc0 .LBB306_716
; %bb.715:
	s_wait_xcnt 0x0
	v_cndmask_b32_e64 v1, 0, 1, s14
	v_mov_b32_e32 v6, 0
	s_mov_b32 s5, 0
	s_delay_alu instid0(VALU_DEP_2) | instskip(NEXT) | instid1(VALU_DEP_2)
	v_cvt_f64_u32_e32 v[4:5], v1
	v_mov_b32_e32 v7, v6
	global_store_b128 v[2:3], v[4:7], off
.LBB306_716:
	s_and_not1_b32 vcc_lo, exec_lo, s5
	s_cbranch_vccnz .LBB306_718
; %bb.717:
	s_wait_xcnt 0x0
	v_cndmask_b32_e64 v4, 0, 1.0, s14
	v_mov_b32_e32 v5, 0
	global_store_b64 v[2:3], v[4:5], off
.LBB306_718:
	s_mov_b32 s5, 0
.LBB306_719:
	s_delay_alu instid0(SALU_CYCLE_1)
	s_and_not1_b32 vcc_lo, exec_lo, s5
	s_cbranch_vccnz .LBB306_721
; %bb.720:
	s_wait_xcnt 0x0
	v_cndmask_b32_e64 v1, 0, 1.0, s14
	s_delay_alu instid0(VALU_DEP_1) | instskip(NEXT) | instid1(VALU_DEP_1)
	v_cvt_f16_f32_e32 v1, v1
	v_and_b32_e32 v1, 0xffff, v1
	global_store_b32 v[2:3], v1, off
.LBB306_721:
	s_mov_b32 s5, 0
.LBB306_722:
	s_delay_alu instid0(SALU_CYCLE_1)
	s_and_not1_b32 vcc_lo, exec_lo, s5
	s_cbranch_vccnz .LBB306_731
; %bb.723:
	s_cmp_lt_i32 s0, 6
	s_mov_b32 s5, -1
	s_cbranch_scc1 .LBB306_729
; %bb.724:
	s_cmp_gt_i32 s0, 6
	s_cbranch_scc0 .LBB306_726
; %bb.725:
	s_wait_xcnt 0x0
	v_cndmask_b32_e64 v1, 0, 1, s14
	s_mov_b32 s5, 0
	s_delay_alu instid0(VALU_DEP_1)
	v_cvt_f64_u32_e32 v[4:5], v1
	global_store_b64 v[2:3], v[4:5], off
.LBB306_726:
	s_and_not1_b32 vcc_lo, exec_lo, s5
	s_cbranch_vccnz .LBB306_728
; %bb.727:
	s_wait_xcnt 0x0
	v_cndmask_b32_e64 v1, 0, 1.0, s14
	global_store_b32 v[2:3], v1, off
.LBB306_728:
	s_mov_b32 s5, 0
.LBB306_729:
	s_delay_alu instid0(SALU_CYCLE_1)
	s_and_not1_b32 vcc_lo, exec_lo, s5
	s_cbranch_vccnz .LBB306_731
; %bb.730:
	s_wait_xcnt 0x0
	v_cndmask_b32_e64 v1, 0, 1.0, s14
	s_delay_alu instid0(VALU_DEP_1)
	v_cvt_f16_f32_e32 v1, v1
	global_store_b16 v[2:3], v1, off
.LBB306_731:
	s_mov_b32 s5, 0
.LBB306_732:
	s_delay_alu instid0(SALU_CYCLE_1)
	s_and_not1_b32 vcc_lo, exec_lo, s5
	s_cbranch_vccnz .LBB306_748
; %bb.733:
	s_cmp_lt_i32 s0, 2
	s_mov_b32 s5, -1
	s_cbranch_scc1 .LBB306_743
; %bb.734:
	s_cmp_lt_i32 s0, 3
	s_cbranch_scc1 .LBB306_740
; %bb.735:
	s_cmp_gt_i32 s0, 3
	s_cbranch_scc0 .LBB306_737
; %bb.736:
	s_mov_b32 s5, 0
	s_wait_xcnt 0x0
	v_cndmask_b32_e64 v4, 0, 1, s14
	v_mov_b32_e32 v5, s5
	global_store_b64 v[2:3], v[4:5], off
.LBB306_737:
	s_and_not1_b32 vcc_lo, exec_lo, s5
	s_cbranch_vccnz .LBB306_739
; %bb.738:
	s_wait_xcnt 0x0
	v_cndmask_b32_e64 v1, 0, 1, s14
	global_store_b32 v[2:3], v1, off
.LBB306_739:
	s_mov_b32 s5, 0
.LBB306_740:
	s_delay_alu instid0(SALU_CYCLE_1)
	s_and_not1_b32 vcc_lo, exec_lo, s5
	s_cbranch_vccnz .LBB306_742
; %bb.741:
	s_wait_xcnt 0x0
	v_cndmask_b32_e64 v1, 0, 1, s14
	global_store_b16 v[2:3], v1, off
.LBB306_742:
	s_mov_b32 s5, 0
.LBB306_743:
	s_delay_alu instid0(SALU_CYCLE_1)
	s_and_not1_b32 vcc_lo, exec_lo, s5
	s_cbranch_vccnz .LBB306_748
; %bb.744:
	s_wait_xcnt 0x0
	v_cndmask_b32_e64 v1, 0, 1, s14
	s_cmp_gt_i32 s0, 0
	s_mov_b32 s0, -1
	s_cbranch_scc0 .LBB306_746
; %bb.745:
	s_mov_b32 s0, 0
	global_store_b8 v[2:3], v1, off
.LBB306_746:
	s_and_not1_b32 vcc_lo, exec_lo, s0
	s_cbranch_vccnz .LBB306_748
; %bb.747:
	global_store_b8 v[2:3], v1, off
.LBB306_748:
.LBB306_749:
	v_add_nc_u32_e32 v0, s4, v0
	s_cmp_lt_i32 s2, 11
	s_wait_xcnt 0x0
	s_delay_alu instid0(VALU_DEP_1) | instskip(NEXT) | instid1(VALU_DEP_1)
	v_ashrrev_i32_e32 v1, 31, v0
	v_add_nc_u64_e32 v[2:3], s[16:17], v[0:1]
	s_cbranch_scc1 .LBB306_904
; %bb.750:
	s_and_b32 s5, 0xffff, s2
	s_mov_b32 s8, -1
	s_mov_b32 s6, 0
	s_cmp_gt_i32 s5, 25
	s_mov_b32 s7, 0
	s_mov_b32 s0, 0
	s_cbranch_scc0 .LBB306_783
; %bb.751:
	s_cmp_gt_i32 s5, 28
	s_cbranch_scc0 .LBB306_766
; %bb.752:
	s_cmp_gt_i32 s5, 43
	;; [unrolled: 3-line block ×3, first 2 shown]
	s_cbranch_scc0 .LBB306_756
; %bb.754:
	s_mov_b32 s0, -1
	s_mov_b32 s8, 0
	s_cmp_eq_u32 s5, 46
	s_cbranch_scc0 .LBB306_756
; %bb.755:
	v_cndmask_b32_e64 v1, 0, 1.0, s13
	s_mov_b32 s0, 0
	s_mov_b32 s7, -1
	s_delay_alu instid0(VALU_DEP_1) | instskip(NEXT) | instid1(VALU_DEP_1)
	v_bfe_u32 v4, v1, 16, 1
	v_add3_u32 v1, v1, v4, 0x7fff
	s_delay_alu instid0(VALU_DEP_1)
	v_lshrrev_b32_e32 v1, 16, v1
	global_store_b32 v[2:3], v1, off
.LBB306_756:
	s_and_b32 vcc_lo, exec_lo, s8
	s_cbranch_vccz .LBB306_761
; %bb.757:
	s_cmp_eq_u32 s5, 44
	s_mov_b32 s0, -1
	s_cbranch_scc0 .LBB306_761
; %bb.758:
	v_cndmask_b32_e64 v5, 0, 1.0, s13
	s_mov_b32 s7, exec_lo
	s_wait_xcnt 0x0
	s_delay_alu instid0(VALU_DEP_1) | instskip(NEXT) | instid1(VALU_DEP_1)
	v_dual_mov_b32 v4, 0xff :: v_dual_lshrrev_b32 v1, 23, v5
	v_cmpx_ne_u32_e32 0xff, v1
; %bb.759:
	v_and_b32_e32 v4, 0x400000, v5
	v_and_or_b32 v5, 0x3fffff, v5, v1
	s_delay_alu instid0(VALU_DEP_2) | instskip(NEXT) | instid1(VALU_DEP_2)
	v_cmp_ne_u32_e32 vcc_lo, 0, v4
	v_cmp_ne_u32_e64 s0, 0, v5
	s_and_b32 s0, vcc_lo, s0
	s_delay_alu instid0(SALU_CYCLE_1) | instskip(NEXT) | instid1(VALU_DEP_1)
	v_cndmask_b32_e64 v4, 0, 1, s0
	v_add_nc_u32_e32 v4, v1, v4
; %bb.760:
	s_or_b32 exec_lo, exec_lo, s7
	s_mov_b32 s0, 0
	s_mov_b32 s7, -1
	global_store_b8 v[2:3], v4, off
.LBB306_761:
	s_mov_b32 s8, 0
.LBB306_762:
	s_delay_alu instid0(SALU_CYCLE_1)
	s_and_b32 vcc_lo, exec_lo, s8
	s_cbranch_vccz .LBB306_765
; %bb.763:
	s_cmp_eq_u32 s5, 29
	s_mov_b32 s0, -1
	s_cbranch_scc0 .LBB306_765
; %bb.764:
	s_mov_b32 s0, 0
	s_wait_xcnt 0x0
	v_cndmask_b32_e64 v4, 0, 1, s13
	v_mov_b32_e32 v5, s0
	s_mov_b32 s7, -1
	global_store_b64 v[2:3], v[4:5], off
.LBB306_765:
	s_mov_b32 s8, 0
.LBB306_766:
	s_delay_alu instid0(SALU_CYCLE_1)
	s_and_b32 vcc_lo, exec_lo, s8
	s_cbranch_vccz .LBB306_782
; %bb.767:
	s_cmp_lt_i32 s5, 27
	s_mov_b32 s7, -1
	s_cbranch_scc1 .LBB306_773
; %bb.768:
	s_cmp_gt_i32 s5, 27
	s_cbranch_scc0 .LBB306_770
; %bb.769:
	s_wait_xcnt 0x0
	v_cndmask_b32_e64 v1, 0, 1, s13
	s_mov_b32 s7, 0
	global_store_b32 v[2:3], v1, off
.LBB306_770:
	s_and_not1_b32 vcc_lo, exec_lo, s7
	s_cbranch_vccnz .LBB306_772
; %bb.771:
	s_wait_xcnt 0x0
	v_cndmask_b32_e64 v1, 0, 1, s13
	global_store_b16 v[2:3], v1, off
.LBB306_772:
	s_mov_b32 s7, 0
.LBB306_773:
	s_delay_alu instid0(SALU_CYCLE_1)
	s_and_not1_b32 vcc_lo, exec_lo, s7
	s_cbranch_vccnz .LBB306_781
; %bb.774:
	s_wait_xcnt 0x0
	v_cndmask_b32_e64 v4, 0, 1.0, s13
	v_mov_b32_e32 v5, 0x80
	s_mov_b32 s7, exec_lo
	s_delay_alu instid0(VALU_DEP_2)
	v_cmpx_gt_u32_e32 0x43800000, v4
	s_cbranch_execz .LBB306_780
; %bb.775:
	s_mov_b32 s8, 0
	s_mov_b32 s9, exec_lo
                                        ; implicit-def: $vgpr1
	v_cmpx_lt_u32_e32 0x3bffffff, v4
	s_xor_b32 s9, exec_lo, s9
	s_cbranch_execz .LBB306_999
; %bb.776:
	v_bfe_u32 v1, v4, 20, 1
	s_mov_b32 s8, exec_lo
	s_delay_alu instid0(VALU_DEP_1) | instskip(NEXT) | instid1(VALU_DEP_1)
	v_add3_u32 v1, v4, v1, 0x487ffff
                                        ; implicit-def: $vgpr4
	v_lshrrev_b32_e32 v1, 20, v1
	s_and_not1_saveexec_b32 s9, s9
	s_cbranch_execnz .LBB306_1000
.LBB306_777:
	s_or_b32 exec_lo, exec_lo, s9
	v_mov_b32_e32 v5, 0
	s_and_saveexec_b32 s9, s8
.LBB306_778:
	v_mov_b32_e32 v5, v1
.LBB306_779:
	s_or_b32 exec_lo, exec_lo, s9
.LBB306_780:
	s_delay_alu instid0(SALU_CYCLE_1)
	s_or_b32 exec_lo, exec_lo, s7
	global_store_b8 v[2:3], v5, off
.LBB306_781:
	s_mov_b32 s7, -1
.LBB306_782:
	s_mov_b32 s8, 0
.LBB306_783:
	s_delay_alu instid0(SALU_CYCLE_1)
	s_and_b32 vcc_lo, exec_lo, s8
	s_cbranch_vccz .LBB306_823
; %bb.784:
	s_cmp_gt_i32 s5, 22
	s_mov_b32 s6, -1
	s_cbranch_scc0 .LBB306_816
; %bb.785:
	s_cmp_lt_i32 s5, 24
	s_cbranch_scc1 .LBB306_805
; %bb.786:
	s_cmp_gt_i32 s5, 24
	s_cbranch_scc0 .LBB306_794
; %bb.787:
	s_wait_xcnt 0x0
	v_cndmask_b32_e64 v4, 0, 1.0, s13
	v_mov_b32_e32 v5, 0x80
	s_mov_b32 s6, exec_lo
	s_delay_alu instid0(VALU_DEP_2)
	v_cmpx_gt_u32_e32 0x47800000, v4
	s_cbranch_execz .LBB306_793
; %bb.788:
	s_mov_b32 s7, 0
	s_mov_b32 s8, exec_lo
                                        ; implicit-def: $vgpr1
	v_cmpx_lt_u32_e32 0x37ffffff, v4
	s_xor_b32 s8, exec_lo, s8
	s_cbranch_execz .LBB306_1002
; %bb.789:
	v_bfe_u32 v1, v4, 21, 1
	s_mov_b32 s7, exec_lo
	s_delay_alu instid0(VALU_DEP_1) | instskip(NEXT) | instid1(VALU_DEP_1)
	v_add3_u32 v1, v4, v1, 0x88fffff
                                        ; implicit-def: $vgpr4
	v_lshrrev_b32_e32 v1, 21, v1
	s_and_not1_saveexec_b32 s8, s8
	s_cbranch_execnz .LBB306_1003
.LBB306_790:
	s_or_b32 exec_lo, exec_lo, s8
	v_mov_b32_e32 v5, 0
	s_and_saveexec_b32 s8, s7
.LBB306_791:
	v_mov_b32_e32 v5, v1
.LBB306_792:
	s_or_b32 exec_lo, exec_lo, s8
.LBB306_793:
	s_delay_alu instid0(SALU_CYCLE_1)
	s_or_b32 exec_lo, exec_lo, s6
	s_mov_b32 s6, 0
	global_store_b8 v[2:3], v5, off
.LBB306_794:
	s_and_b32 vcc_lo, exec_lo, s6
	s_cbranch_vccz .LBB306_804
; %bb.795:
	s_wait_xcnt 0x0
	v_cndmask_b32_e64 v4, 0, 1.0, s13
	s_mov_b32 s6, exec_lo
                                        ; implicit-def: $vgpr1
	s_delay_alu instid0(VALU_DEP_1)
	v_cmpx_gt_u32_e32 0x43f00000, v4
	s_xor_b32 s6, exec_lo, s6
	s_cbranch_execz .LBB306_801
; %bb.796:
	s_mov_b32 s7, exec_lo
                                        ; implicit-def: $vgpr1
	v_cmpx_lt_u32_e32 0x3c7fffff, v4
	s_xor_b32 s7, exec_lo, s7
; %bb.797:
	v_bfe_u32 v1, v4, 20, 1
	s_delay_alu instid0(VALU_DEP_1) | instskip(NEXT) | instid1(VALU_DEP_1)
	v_add3_u32 v1, v4, v1, 0x407ffff
	v_and_b32_e32 v4, 0xff00000, v1
	v_lshrrev_b32_e32 v1, 20, v1
	s_delay_alu instid0(VALU_DEP_2) | instskip(NEXT) | instid1(VALU_DEP_2)
	v_cmp_ne_u32_e32 vcc_lo, 0x7f00000, v4
                                        ; implicit-def: $vgpr4
	v_cndmask_b32_e32 v1, 0x7e, v1, vcc_lo
; %bb.798:
	s_and_not1_saveexec_b32 s7, s7
; %bb.799:
	v_add_f32_e32 v1, 0x46800000, v4
; %bb.800:
	s_or_b32 exec_lo, exec_lo, s7
                                        ; implicit-def: $vgpr4
.LBB306_801:
	s_and_not1_saveexec_b32 s6, s6
; %bb.802:
	v_mov_b32_e32 v1, 0x7f
	v_cmp_lt_u32_e32 vcc_lo, 0x7f800000, v4
	s_delay_alu instid0(VALU_DEP_2)
	v_cndmask_b32_e32 v1, 0x7e, v1, vcc_lo
; %bb.803:
	s_or_b32 exec_lo, exec_lo, s6
	global_store_b8 v[2:3], v1, off
.LBB306_804:
	s_mov_b32 s6, 0
.LBB306_805:
	s_delay_alu instid0(SALU_CYCLE_1)
	s_and_not1_b32 vcc_lo, exec_lo, s6
	s_cbranch_vccnz .LBB306_815
; %bb.806:
	s_wait_xcnt 0x0
	v_cndmask_b32_e64 v4, 0, 1.0, s13
	s_mov_b32 s6, exec_lo
                                        ; implicit-def: $vgpr1
	s_delay_alu instid0(VALU_DEP_1)
	v_cmpx_gt_u32_e32 0x47800000, v4
	s_xor_b32 s6, exec_lo, s6
	s_cbranch_execz .LBB306_812
; %bb.807:
	s_mov_b32 s7, exec_lo
                                        ; implicit-def: $vgpr1
	v_cmpx_lt_u32_e32 0x387fffff, v4
	s_xor_b32 s7, exec_lo, s7
; %bb.808:
	v_bfe_u32 v1, v4, 21, 1
	s_delay_alu instid0(VALU_DEP_1) | instskip(NEXT) | instid1(VALU_DEP_1)
	v_add3_u32 v1, v4, v1, 0x80fffff
                                        ; implicit-def: $vgpr4
	v_lshrrev_b32_e32 v1, 21, v1
; %bb.809:
	s_and_not1_saveexec_b32 s7, s7
; %bb.810:
	v_add_f32_e32 v1, 0x43000000, v4
; %bb.811:
	s_or_b32 exec_lo, exec_lo, s7
                                        ; implicit-def: $vgpr4
.LBB306_812:
	s_and_not1_saveexec_b32 s6, s6
; %bb.813:
	v_mov_b32_e32 v1, 0x7f
	v_cmp_lt_u32_e32 vcc_lo, 0x7f800000, v4
	s_delay_alu instid0(VALU_DEP_2)
	v_cndmask_b32_e32 v1, 0x7c, v1, vcc_lo
; %bb.814:
	s_or_b32 exec_lo, exec_lo, s6
	global_store_b8 v[2:3], v1, off
.LBB306_815:
	s_mov_b32 s6, 0
	s_mov_b32 s7, -1
.LBB306_816:
	s_and_not1_b32 vcc_lo, exec_lo, s6
	s_mov_b32 s6, 0
	s_cbranch_vccnz .LBB306_823
; %bb.817:
	s_cmp_gt_i32 s5, 14
	s_mov_b32 s6, -1
	s_cbranch_scc0 .LBB306_821
; %bb.818:
	s_cmp_eq_u32 s5, 15
	s_mov_b32 s0, -1
	s_cbranch_scc0 .LBB306_820
; %bb.819:
	s_wait_xcnt 0x0
	v_cndmask_b32_e64 v1, 0, 1.0, s13
	s_mov_b32 s0, 0
	s_mov_b32 s7, -1
	s_delay_alu instid0(VALU_DEP_1) | instskip(NEXT) | instid1(VALU_DEP_1)
	v_bfe_u32 v4, v1, 16, 1
	v_add3_u32 v1, v1, v4, 0x7fff
	global_store_d16_hi_b16 v[2:3], v1, off
.LBB306_820:
	s_mov_b32 s6, 0
.LBB306_821:
	s_delay_alu instid0(SALU_CYCLE_1)
	s_and_b32 vcc_lo, exec_lo, s6
	s_mov_b32 s6, 0
	s_cbranch_vccz .LBB306_823
; %bb.822:
	s_cmp_lg_u32 s5, 11
	s_mov_b32 s6, -1
	s_cselect_b32 s0, -1, 0
.LBB306_823:
	s_delay_alu instid0(SALU_CYCLE_1)
	s_and_b32 vcc_lo, exec_lo, s0
	s_cbranch_vccnz .LBB306_1001
; %bb.824:
	s_and_not1_b32 vcc_lo, exec_lo, s6
	s_cbranch_vccnz .LBB306_826
.LBB306_825:
	s_wait_xcnt 0x0
	v_cndmask_b32_e64 v1, 0, 1, s13
	s_mov_b32 s7, -1
	global_store_b8 v[2:3], v1, off
.LBB306_826:
.LBB306_827:
	s_and_not1_b32 vcc_lo, exec_lo, s7
	s_cbranch_vccnz .LBB306_943
.LBB306_828:
	v_add_nc_u32_e32 v0, s4, v0
	s_cmp_lt_i32 s2, 11
	s_wait_xcnt 0x0
	s_delay_alu instid0(VALU_DEP_1) | instskip(NEXT) | instid1(VALU_DEP_1)
	v_ashrrev_i32_e32 v1, 31, v0
	v_add_nc_u64_e32 v[0:1], s[16:17], v[0:1]
	s_cbranch_scc1 .LBB306_988
; %bb.829:
	s_and_b32 s4, 0xffff, s2
	s_mov_b32 s6, -1
	s_mov_b32 s5, 0
	s_cmp_gt_i32 s4, 25
	s_mov_b32 s0, 0
	s_cbranch_scc0 .LBB306_862
; %bb.830:
	s_cmp_gt_i32 s4, 28
	s_cbranch_scc0 .LBB306_846
; %bb.831:
	s_cmp_gt_i32 s4, 43
	;; [unrolled: 3-line block ×3, first 2 shown]
	s_cbranch_scc0 .LBB306_836
; %bb.833:
	s_cmp_eq_u32 s4, 46
	s_mov_b32 s0, -1
	s_cbranch_scc0 .LBB306_835
; %bb.834:
	v_cndmask_b32_e64 v2, 0, 1.0, s1
	s_mov_b32 s0, 0
	s_delay_alu instid0(VALU_DEP_1) | instskip(NEXT) | instid1(VALU_DEP_1)
	v_bfe_u32 v3, v2, 16, 1
	v_add3_u32 v2, v2, v3, 0x7fff
	s_delay_alu instid0(VALU_DEP_1)
	v_lshrrev_b32_e32 v2, 16, v2
	global_store_b32 v[0:1], v2, off
.LBB306_835:
	s_mov_b32 s6, 0
.LBB306_836:
	s_delay_alu instid0(SALU_CYCLE_1)
	s_and_b32 vcc_lo, exec_lo, s6
	s_cbranch_vccz .LBB306_841
; %bb.837:
	s_cmp_eq_u32 s4, 44
	s_mov_b32 s0, -1
	s_cbranch_scc0 .LBB306_841
; %bb.838:
	v_cndmask_b32_e64 v4, 0, 1.0, s1
	s_mov_b32 s6, exec_lo
	s_wait_xcnt 0x0
	s_delay_alu instid0(VALU_DEP_1) | instskip(NEXT) | instid1(VALU_DEP_1)
	v_dual_mov_b32 v3, 0xff :: v_dual_lshrrev_b32 v2, 23, v4
	v_cmpx_ne_u32_e32 0xff, v2
; %bb.839:
	v_and_b32_e32 v3, 0x400000, v4
	v_and_or_b32 v4, 0x3fffff, v4, v2
	s_delay_alu instid0(VALU_DEP_2) | instskip(NEXT) | instid1(VALU_DEP_2)
	v_cmp_ne_u32_e32 vcc_lo, 0, v3
	v_cmp_ne_u32_e64 s0, 0, v4
	s_and_b32 s0, vcc_lo, s0
	s_delay_alu instid0(SALU_CYCLE_1) | instskip(NEXT) | instid1(VALU_DEP_1)
	v_cndmask_b32_e64 v3, 0, 1, s0
	v_add_nc_u32_e32 v3, v2, v3
; %bb.840:
	s_or_b32 exec_lo, exec_lo, s6
	s_mov_b32 s0, 0
	global_store_b8 v[0:1], v3, off
.LBB306_841:
	s_mov_b32 s6, 0
.LBB306_842:
	s_delay_alu instid0(SALU_CYCLE_1)
	s_and_b32 vcc_lo, exec_lo, s6
	s_cbranch_vccz .LBB306_845
; %bb.843:
	s_cmp_eq_u32 s4, 29
	s_mov_b32 s0, -1
	s_cbranch_scc0 .LBB306_845
; %bb.844:
	s_mov_b32 s0, 0
	s_wait_xcnt 0x0
	v_cndmask_b32_e64 v2, 0, 1, s1
	v_mov_b32_e32 v3, s0
	global_store_b64 v[0:1], v[2:3], off
.LBB306_845:
	s_mov_b32 s6, 0
.LBB306_846:
	s_delay_alu instid0(SALU_CYCLE_1)
	s_and_b32 vcc_lo, exec_lo, s6
	s_cbranch_vccz .LBB306_861
; %bb.847:
	s_cmp_lt_i32 s4, 27
	s_mov_b32 s6, -1
	s_cbranch_scc1 .LBB306_853
; %bb.848:
	s_wait_xcnt 0x0
	v_cndmask_b32_e64 v2, 0, 1, s1
	s_cmp_gt_i32 s4, 27
	s_cbranch_scc0 .LBB306_850
; %bb.849:
	s_mov_b32 s6, 0
	global_store_b32 v[0:1], v2, off
.LBB306_850:
	s_and_not1_b32 vcc_lo, exec_lo, s6
	s_cbranch_vccnz .LBB306_852
; %bb.851:
	global_store_b16 v[0:1], v2, off
.LBB306_852:
	s_mov_b32 s6, 0
.LBB306_853:
	s_delay_alu instid0(SALU_CYCLE_1)
	s_and_not1_b32 vcc_lo, exec_lo, s6
	s_cbranch_vccnz .LBB306_861
; %bb.854:
	s_wait_xcnt 0x0
	v_cndmask_b32_e64 v3, 0, 1.0, s1
	v_mov_b32_e32 v4, 0x80
	s_mov_b32 s6, exec_lo
	s_delay_alu instid0(VALU_DEP_2)
	v_cmpx_gt_u32_e32 0x43800000, v3
	s_cbranch_execz .LBB306_860
; %bb.855:
	s_mov_b32 s7, 0
	s_mov_b32 s8, exec_lo
                                        ; implicit-def: $vgpr2
	v_cmpx_lt_u32_e32 0x3bffffff, v3
	s_xor_b32 s8, exec_lo, s8
	s_cbranch_execz .LBB306_1004
; %bb.856:
	v_bfe_u32 v2, v3, 20, 1
	s_mov_b32 s7, exec_lo
	s_delay_alu instid0(VALU_DEP_1) | instskip(NEXT) | instid1(VALU_DEP_1)
	v_add3_u32 v2, v3, v2, 0x487ffff
                                        ; implicit-def: $vgpr3
	v_lshrrev_b32_e32 v2, 20, v2
	s_and_not1_saveexec_b32 s8, s8
	s_cbranch_execnz .LBB306_1005
.LBB306_857:
	s_or_b32 exec_lo, exec_lo, s8
	v_mov_b32_e32 v4, 0
	s_and_saveexec_b32 s8, s7
.LBB306_858:
	v_mov_b32_e32 v4, v2
.LBB306_859:
	s_or_b32 exec_lo, exec_lo, s8
.LBB306_860:
	s_delay_alu instid0(SALU_CYCLE_1)
	s_or_b32 exec_lo, exec_lo, s6
	global_store_b8 v[0:1], v4, off
.LBB306_861:
	s_mov_b32 s6, 0
.LBB306_862:
	s_delay_alu instid0(SALU_CYCLE_1)
	s_and_b32 vcc_lo, exec_lo, s6
	s_cbranch_vccz .LBB306_902
; %bb.863:
	s_cmp_gt_i32 s4, 22
	s_mov_b32 s5, -1
	s_cbranch_scc0 .LBB306_895
; %bb.864:
	s_cmp_lt_i32 s4, 24
	s_cbranch_scc1 .LBB306_884
; %bb.865:
	s_cmp_gt_i32 s4, 24
	s_cbranch_scc0 .LBB306_873
; %bb.866:
	s_wait_xcnt 0x0
	v_cndmask_b32_e64 v3, 0, 1.0, s1
	v_mov_b32_e32 v4, 0x80
	s_mov_b32 s5, exec_lo
	s_delay_alu instid0(VALU_DEP_2)
	v_cmpx_gt_u32_e32 0x47800000, v3
	s_cbranch_execz .LBB306_872
; %bb.867:
	s_mov_b32 s6, 0
	s_mov_b32 s7, exec_lo
                                        ; implicit-def: $vgpr2
	v_cmpx_lt_u32_e32 0x37ffffff, v3
	s_xor_b32 s7, exec_lo, s7
	s_cbranch_execz .LBB306_1009
; %bb.868:
	v_bfe_u32 v2, v3, 21, 1
	s_mov_b32 s6, exec_lo
	s_delay_alu instid0(VALU_DEP_1) | instskip(NEXT) | instid1(VALU_DEP_1)
	v_add3_u32 v2, v3, v2, 0x88fffff
                                        ; implicit-def: $vgpr3
	v_lshrrev_b32_e32 v2, 21, v2
	s_and_not1_saveexec_b32 s7, s7
	s_cbranch_execnz .LBB306_1010
.LBB306_869:
	s_or_b32 exec_lo, exec_lo, s7
	v_mov_b32_e32 v4, 0
	s_and_saveexec_b32 s7, s6
.LBB306_870:
	v_mov_b32_e32 v4, v2
.LBB306_871:
	s_or_b32 exec_lo, exec_lo, s7
.LBB306_872:
	s_delay_alu instid0(SALU_CYCLE_1)
	s_or_b32 exec_lo, exec_lo, s5
	s_mov_b32 s5, 0
	global_store_b8 v[0:1], v4, off
.LBB306_873:
	s_and_b32 vcc_lo, exec_lo, s5
	s_cbranch_vccz .LBB306_883
; %bb.874:
	s_wait_xcnt 0x0
	v_cndmask_b32_e64 v3, 0, 1.0, s1
	s_mov_b32 s5, exec_lo
                                        ; implicit-def: $vgpr2
	s_delay_alu instid0(VALU_DEP_1)
	v_cmpx_gt_u32_e32 0x43f00000, v3
	s_xor_b32 s5, exec_lo, s5
	s_cbranch_execz .LBB306_880
; %bb.875:
	s_mov_b32 s6, exec_lo
                                        ; implicit-def: $vgpr2
	v_cmpx_lt_u32_e32 0x3c7fffff, v3
	s_xor_b32 s6, exec_lo, s6
; %bb.876:
	v_bfe_u32 v2, v3, 20, 1
	s_delay_alu instid0(VALU_DEP_1) | instskip(NEXT) | instid1(VALU_DEP_1)
	v_add3_u32 v2, v3, v2, 0x407ffff
	v_and_b32_e32 v3, 0xff00000, v2
	v_lshrrev_b32_e32 v2, 20, v2
	s_delay_alu instid0(VALU_DEP_2) | instskip(NEXT) | instid1(VALU_DEP_2)
	v_cmp_ne_u32_e32 vcc_lo, 0x7f00000, v3
                                        ; implicit-def: $vgpr3
	v_cndmask_b32_e32 v2, 0x7e, v2, vcc_lo
; %bb.877:
	s_and_not1_saveexec_b32 s6, s6
; %bb.878:
	v_add_f32_e32 v2, 0x46800000, v3
; %bb.879:
	s_or_b32 exec_lo, exec_lo, s6
                                        ; implicit-def: $vgpr3
.LBB306_880:
	s_and_not1_saveexec_b32 s5, s5
; %bb.881:
	v_mov_b32_e32 v2, 0x7f
	v_cmp_lt_u32_e32 vcc_lo, 0x7f800000, v3
	s_delay_alu instid0(VALU_DEP_2)
	v_cndmask_b32_e32 v2, 0x7e, v2, vcc_lo
; %bb.882:
	s_or_b32 exec_lo, exec_lo, s5
	global_store_b8 v[0:1], v2, off
.LBB306_883:
	s_mov_b32 s5, 0
.LBB306_884:
	s_delay_alu instid0(SALU_CYCLE_1)
	s_and_not1_b32 vcc_lo, exec_lo, s5
	s_cbranch_vccnz .LBB306_894
; %bb.885:
	s_wait_xcnt 0x0
	v_cndmask_b32_e64 v3, 0, 1.0, s1
	s_mov_b32 s5, exec_lo
                                        ; implicit-def: $vgpr2
	s_delay_alu instid0(VALU_DEP_1)
	v_cmpx_gt_u32_e32 0x47800000, v3
	s_xor_b32 s5, exec_lo, s5
	s_cbranch_execz .LBB306_891
; %bb.886:
	s_mov_b32 s6, exec_lo
                                        ; implicit-def: $vgpr2
	v_cmpx_lt_u32_e32 0x387fffff, v3
	s_xor_b32 s6, exec_lo, s6
; %bb.887:
	v_bfe_u32 v2, v3, 21, 1
	s_delay_alu instid0(VALU_DEP_1) | instskip(NEXT) | instid1(VALU_DEP_1)
	v_add3_u32 v2, v3, v2, 0x80fffff
                                        ; implicit-def: $vgpr3
	v_lshrrev_b32_e32 v2, 21, v2
; %bb.888:
	s_and_not1_saveexec_b32 s6, s6
; %bb.889:
	v_add_f32_e32 v2, 0x43000000, v3
; %bb.890:
	s_or_b32 exec_lo, exec_lo, s6
                                        ; implicit-def: $vgpr3
.LBB306_891:
	s_and_not1_saveexec_b32 s5, s5
; %bb.892:
	v_mov_b32_e32 v2, 0x7f
	v_cmp_lt_u32_e32 vcc_lo, 0x7f800000, v3
	s_delay_alu instid0(VALU_DEP_2)
	v_cndmask_b32_e32 v2, 0x7c, v2, vcc_lo
; %bb.893:
	s_or_b32 exec_lo, exec_lo, s5
	global_store_b8 v[0:1], v2, off
.LBB306_894:
	s_mov_b32 s5, 0
.LBB306_895:
	s_delay_alu instid0(SALU_CYCLE_1)
	s_and_not1_b32 vcc_lo, exec_lo, s5
	s_mov_b32 s5, 0
	s_cbranch_vccnz .LBB306_902
; %bb.896:
	s_cmp_gt_i32 s4, 14
	s_mov_b32 s5, -1
	s_cbranch_scc0 .LBB306_900
; %bb.897:
	s_cmp_eq_u32 s4, 15
	s_mov_b32 s0, -1
	s_cbranch_scc0 .LBB306_899
; %bb.898:
	s_wait_xcnt 0x0
	v_cndmask_b32_e64 v2, 0, 1.0, s1
	s_mov_b32 s0, 0
	s_delay_alu instid0(VALU_DEP_1) | instskip(NEXT) | instid1(VALU_DEP_1)
	v_bfe_u32 v3, v2, 16, 1
	v_add3_u32 v2, v2, v3, 0x7fff
	global_store_d16_hi_b16 v[0:1], v2, off
.LBB306_899:
	s_mov_b32 s5, 0
.LBB306_900:
	s_delay_alu instid0(SALU_CYCLE_1)
	s_and_b32 vcc_lo, exec_lo, s5
	s_mov_b32 s5, 0
	s_cbranch_vccz .LBB306_902
; %bb.901:
	s_cmp_lg_u32 s4, 11
	s_mov_b32 s5, -1
	s_cselect_b32 s0, -1, 0
.LBB306_902:
	s_delay_alu instid0(SALU_CYCLE_1)
	s_and_b32 vcc_lo, exec_lo, s0
	s_cbranch_vccnz .LBB306_1006
.LBB306_903:
	s_mov_b32 s0, 0
	s_branch .LBB306_944
.LBB306_904:
	s_mov_b32 s7, 0
	s_cbranch_execz .LBB306_827
; %bb.905:
	s_and_b32 s0, 0xffff, s2
	s_mov_b32 s5, -1
	s_cmp_lt_i32 s0, 5
	s_cbranch_scc1 .LBB306_926
; %bb.906:
	s_cmp_lt_i32 s0, 8
	s_cbranch_scc1 .LBB306_916
; %bb.907:
	s_cmp_lt_i32 s0, 9
	s_cbranch_scc1 .LBB306_913
; %bb.908:
	s_cmp_gt_i32 s0, 9
	s_cbranch_scc0 .LBB306_910
; %bb.909:
	s_wait_xcnt 0x0
	v_cndmask_b32_e64 v1, 0, 1, s13
	v_mov_b32_e32 v6, 0
	s_mov_b32 s5, 0
	s_delay_alu instid0(VALU_DEP_2) | instskip(NEXT) | instid1(VALU_DEP_2)
	v_cvt_f64_u32_e32 v[4:5], v1
	v_mov_b32_e32 v7, v6
	global_store_b128 v[2:3], v[4:7], off
.LBB306_910:
	s_and_not1_b32 vcc_lo, exec_lo, s5
	s_cbranch_vccnz .LBB306_912
; %bb.911:
	s_wait_xcnt 0x0
	v_cndmask_b32_e64 v4, 0, 1.0, s13
	v_mov_b32_e32 v5, 0
	global_store_b64 v[2:3], v[4:5], off
.LBB306_912:
	s_mov_b32 s5, 0
.LBB306_913:
	s_delay_alu instid0(SALU_CYCLE_1)
	s_and_not1_b32 vcc_lo, exec_lo, s5
	s_cbranch_vccnz .LBB306_915
; %bb.914:
	s_wait_xcnt 0x0
	v_cndmask_b32_e64 v1, 0, 1.0, s13
	s_delay_alu instid0(VALU_DEP_1) | instskip(NEXT) | instid1(VALU_DEP_1)
	v_cvt_f16_f32_e32 v1, v1
	v_and_b32_e32 v1, 0xffff, v1
	global_store_b32 v[2:3], v1, off
.LBB306_915:
	s_mov_b32 s5, 0
.LBB306_916:
	s_delay_alu instid0(SALU_CYCLE_1)
	s_and_not1_b32 vcc_lo, exec_lo, s5
	s_cbranch_vccnz .LBB306_925
; %bb.917:
	s_cmp_lt_i32 s0, 6
	s_mov_b32 s5, -1
	s_cbranch_scc1 .LBB306_923
; %bb.918:
	s_cmp_gt_i32 s0, 6
	s_cbranch_scc0 .LBB306_920
; %bb.919:
	s_wait_xcnt 0x0
	v_cndmask_b32_e64 v1, 0, 1, s13
	s_mov_b32 s5, 0
	s_delay_alu instid0(VALU_DEP_1)
	v_cvt_f64_u32_e32 v[4:5], v1
	global_store_b64 v[2:3], v[4:5], off
.LBB306_920:
	s_and_not1_b32 vcc_lo, exec_lo, s5
	s_cbranch_vccnz .LBB306_922
; %bb.921:
	s_wait_xcnt 0x0
	v_cndmask_b32_e64 v1, 0, 1.0, s13
	global_store_b32 v[2:3], v1, off
.LBB306_922:
	s_mov_b32 s5, 0
.LBB306_923:
	s_delay_alu instid0(SALU_CYCLE_1)
	s_and_not1_b32 vcc_lo, exec_lo, s5
	s_cbranch_vccnz .LBB306_925
; %bb.924:
	s_wait_xcnt 0x0
	v_cndmask_b32_e64 v1, 0, 1.0, s13
	s_delay_alu instid0(VALU_DEP_1)
	v_cvt_f16_f32_e32 v1, v1
	global_store_b16 v[2:3], v1, off
.LBB306_925:
	s_mov_b32 s5, 0
.LBB306_926:
	s_delay_alu instid0(SALU_CYCLE_1)
	s_and_not1_b32 vcc_lo, exec_lo, s5
	s_cbranch_vccnz .LBB306_942
; %bb.927:
	s_cmp_lt_i32 s0, 2
	s_mov_b32 s5, -1
	s_cbranch_scc1 .LBB306_937
; %bb.928:
	s_cmp_lt_i32 s0, 3
	s_cbranch_scc1 .LBB306_934
; %bb.929:
	s_cmp_gt_i32 s0, 3
	s_cbranch_scc0 .LBB306_931
; %bb.930:
	s_mov_b32 s5, 0
	s_wait_xcnt 0x0
	v_cndmask_b32_e64 v4, 0, 1, s13
	v_mov_b32_e32 v5, s5
	global_store_b64 v[2:3], v[4:5], off
.LBB306_931:
	s_and_not1_b32 vcc_lo, exec_lo, s5
	s_cbranch_vccnz .LBB306_933
; %bb.932:
	s_wait_xcnt 0x0
	v_cndmask_b32_e64 v1, 0, 1, s13
	global_store_b32 v[2:3], v1, off
.LBB306_933:
	s_mov_b32 s5, 0
.LBB306_934:
	s_delay_alu instid0(SALU_CYCLE_1)
	s_and_not1_b32 vcc_lo, exec_lo, s5
	s_cbranch_vccnz .LBB306_936
; %bb.935:
	s_wait_xcnt 0x0
	v_cndmask_b32_e64 v1, 0, 1, s13
	global_store_b16 v[2:3], v1, off
.LBB306_936:
	s_mov_b32 s5, 0
.LBB306_937:
	s_delay_alu instid0(SALU_CYCLE_1)
	s_and_not1_b32 vcc_lo, exec_lo, s5
	s_cbranch_vccnz .LBB306_942
; %bb.938:
	s_wait_xcnt 0x0
	v_cndmask_b32_e64 v1, 0, 1, s13
	s_cmp_gt_i32 s0, 0
	s_mov_b32 s0, -1
	s_cbranch_scc0 .LBB306_940
; %bb.939:
	s_mov_b32 s0, 0
	global_store_b8 v[2:3], v1, off
.LBB306_940:
	s_and_not1_b32 vcc_lo, exec_lo, s0
	s_cbranch_vccnz .LBB306_942
; %bb.941:
	global_store_b8 v[2:3], v1, off
.LBB306_942:
	s_branch .LBB306_828
.LBB306_943:
	s_mov_b32 s0, 0
	s_mov_b32 s5, 0
                                        ; implicit-def: $sgpr2
                                        ; implicit-def: $vgpr0_vgpr1
.LBB306_944:
	s_and_not1_b32 s4, s26, exec_lo
	s_and_b32 s3, s3, exec_lo
	s_and_b32 s0, s0, exec_lo
	;; [unrolled: 1-line block ×3, first 2 shown]
	s_or_b32 s26, s4, s3
.LBB306_945:
	s_wait_xcnt 0x0
	s_or_b32 exec_lo, exec_lo, s27
	s_and_saveexec_b32 s3, s26
	s_cbranch_execz .LBB306_948
; %bb.946:
	; divergent unreachable
	s_or_b32 exec_lo, exec_lo, s3
	s_and_saveexec_b32 s3, s13
	s_delay_alu instid0(SALU_CYCLE_1)
	s_xor_b32 s3, exec_lo, s3
	s_cbranch_execnz .LBB306_949
.LBB306_947:
	s_or_b32 exec_lo, exec_lo, s3
	s_and_saveexec_b32 s3, s0
	s_cbranch_execnz .LBB306_950
	s_branch .LBB306_987
.LBB306_948:
	s_or_b32 exec_lo, exec_lo, s3
	s_and_saveexec_b32 s3, s13
	s_delay_alu instid0(SALU_CYCLE_1)
	s_xor_b32 s3, exec_lo, s3
	s_cbranch_execz .LBB306_947
.LBB306_949:
	v_cndmask_b32_e64 v2, 0, 1, s1
	global_store_b8 v[0:1], v2, off
	s_wait_xcnt 0x0
	s_or_b32 exec_lo, exec_lo, s3
	s_and_saveexec_b32 s3, s0
	s_cbranch_execz .LBB306_987
.LBB306_950:
	s_sext_i32_i16 s3, s2
	s_mov_b32 s0, -1
	s_cmp_lt_i32 s3, 5
	s_cbranch_scc1 .LBB306_971
; %bb.951:
	s_cmp_lt_i32 s3, 8
	s_cbranch_scc1 .LBB306_961
; %bb.952:
	;; [unrolled: 3-line block ×3, first 2 shown]
	s_cmp_gt_i32 s3, 9
	s_cbranch_scc0 .LBB306_955
; %bb.954:
	v_cndmask_b32_e64 v2, 0, 1, s1
	v_mov_b32_e32 v4, 0
	s_mov_b32 s0, 0
	s_delay_alu instid0(VALU_DEP_2) | instskip(NEXT) | instid1(VALU_DEP_2)
	v_cvt_f64_u32_e32 v[2:3], v2
	v_mov_b32_e32 v5, v4
	global_store_b128 v[0:1], v[2:5], off
.LBB306_955:
	s_and_not1_b32 vcc_lo, exec_lo, s0
	s_cbranch_vccnz .LBB306_957
; %bb.956:
	s_wait_xcnt 0x0
	v_cndmask_b32_e64 v2, 0, 1.0, s1
	v_mov_b32_e32 v3, 0
	global_store_b64 v[0:1], v[2:3], off
.LBB306_957:
	s_mov_b32 s0, 0
.LBB306_958:
	s_delay_alu instid0(SALU_CYCLE_1)
	s_and_not1_b32 vcc_lo, exec_lo, s0
	s_cbranch_vccnz .LBB306_960
; %bb.959:
	s_wait_xcnt 0x0
	v_cndmask_b32_e64 v2, 0, 1.0, s1
	s_delay_alu instid0(VALU_DEP_1) | instskip(NEXT) | instid1(VALU_DEP_1)
	v_cvt_f16_f32_e32 v2, v2
	v_and_b32_e32 v2, 0xffff, v2
	global_store_b32 v[0:1], v2, off
.LBB306_960:
	s_mov_b32 s0, 0
.LBB306_961:
	s_delay_alu instid0(SALU_CYCLE_1)
	s_and_not1_b32 vcc_lo, exec_lo, s0
	s_cbranch_vccnz .LBB306_970
; %bb.962:
	s_sext_i32_i16 s3, s2
	s_mov_b32 s0, -1
	s_cmp_lt_i32 s3, 6
	s_cbranch_scc1 .LBB306_968
; %bb.963:
	s_cmp_gt_i32 s3, 6
	s_cbranch_scc0 .LBB306_965
; %bb.964:
	s_wait_xcnt 0x0
	v_cndmask_b32_e64 v2, 0, 1, s1
	s_mov_b32 s0, 0
	s_delay_alu instid0(VALU_DEP_1)
	v_cvt_f64_u32_e32 v[2:3], v2
	global_store_b64 v[0:1], v[2:3], off
.LBB306_965:
	s_and_not1_b32 vcc_lo, exec_lo, s0
	s_cbranch_vccnz .LBB306_967
; %bb.966:
	s_wait_xcnt 0x0
	v_cndmask_b32_e64 v2, 0, 1.0, s1
	global_store_b32 v[0:1], v2, off
.LBB306_967:
	s_mov_b32 s0, 0
.LBB306_968:
	s_delay_alu instid0(SALU_CYCLE_1)
	s_and_not1_b32 vcc_lo, exec_lo, s0
	s_cbranch_vccnz .LBB306_970
; %bb.969:
	s_wait_xcnt 0x0
	v_cndmask_b32_e64 v2, 0, 1.0, s1
	s_delay_alu instid0(VALU_DEP_1)
	v_cvt_f16_f32_e32 v2, v2
	global_store_b16 v[0:1], v2, off
.LBB306_970:
	s_mov_b32 s0, 0
.LBB306_971:
	s_delay_alu instid0(SALU_CYCLE_1)
	s_and_not1_b32 vcc_lo, exec_lo, s0
	s_cbranch_vccnz .LBB306_987
; %bb.972:
	s_sext_i32_i16 s3, s2
	s_mov_b32 s0, -1
	s_cmp_lt_i32 s3, 2
	s_cbranch_scc1 .LBB306_982
; %bb.973:
	s_cmp_lt_i32 s3, 3
	s_cbranch_scc1 .LBB306_979
; %bb.974:
	s_cmp_gt_i32 s3, 3
	s_cbranch_scc0 .LBB306_976
; %bb.975:
	s_mov_b32 s0, 0
	s_wait_xcnt 0x0
	v_cndmask_b32_e64 v2, 0, 1, s1
	v_mov_b32_e32 v3, s0
	global_store_b64 v[0:1], v[2:3], off
.LBB306_976:
	s_and_not1_b32 vcc_lo, exec_lo, s0
	s_cbranch_vccnz .LBB306_978
; %bb.977:
	s_wait_xcnt 0x0
	v_cndmask_b32_e64 v2, 0, 1, s1
	global_store_b32 v[0:1], v2, off
.LBB306_978:
	s_mov_b32 s0, 0
.LBB306_979:
	s_delay_alu instid0(SALU_CYCLE_1)
	s_and_not1_b32 vcc_lo, exec_lo, s0
	s_cbranch_vccnz .LBB306_981
; %bb.980:
	s_wait_xcnt 0x0
	v_cndmask_b32_e64 v2, 0, 1, s1
	global_store_b16 v[0:1], v2, off
.LBB306_981:
	s_mov_b32 s0, 0
.LBB306_982:
	s_delay_alu instid0(SALU_CYCLE_1)
	s_and_not1_b32 vcc_lo, exec_lo, s0
	s_cbranch_vccnz .LBB306_987
; %bb.983:
	s_wait_xcnt 0x0
	v_cndmask_b32_e64 v2, 0, 1, s1
	s_sext_i32_i16 s0, s2
	s_delay_alu instid0(SALU_CYCLE_1)
	s_cmp_gt_i32 s0, 0
	s_mov_b32 s0, -1
	s_cbranch_scc0 .LBB306_985
; %bb.984:
	s_mov_b32 s0, 0
	global_store_b8 v[0:1], v2, off
.LBB306_985:
	s_and_not1_b32 vcc_lo, exec_lo, s0
	s_cbranch_vccnz .LBB306_987
; %bb.986:
	global_store_b8 v[0:1], v2, off
	s_endpgm
.LBB306_987:
	s_endpgm
.LBB306_988:
	s_mov_b32 s5, 0
	s_mov_b32 s0, -1
	s_branch .LBB306_944
.LBB306_989:
	s_and_not1_saveexec_b32 s7, s7
	s_cbranch_execz .LBB306_541
.LBB306_990:
	v_add_f32_e32 v1, 0x46000000, v4
	s_and_not1_b32 s6, s6, exec_lo
	s_delay_alu instid0(VALU_DEP_1) | instskip(NEXT) | instid1(VALU_DEP_1)
	v_and_b32_e32 v1, 0xff, v1
	v_cmp_ne_u32_e32 vcc_lo, 0, v1
	s_and_b32 s8, vcc_lo, exec_lo
	s_delay_alu instid0(SALU_CYCLE_1)
	s_or_b32 s6, s6, s8
	s_or_b32 exec_lo, exec_lo, s7
	v_mov_b32_e32 v5, 0
	s_and_saveexec_b32 s7, s6
	s_cbranch_execnz .LBB306_542
	s_branch .LBB306_543
.LBB306_991:
	s_or_b32 s3, s26, exec_lo
	s_trap 2
	s_cbranch_execz .LBB306_589
	s_branch .LBB306_590
.LBB306_992:
	s_and_not1_saveexec_b32 s6, s6
	s_cbranch_execz .LBB306_554
.LBB306_993:
	v_add_f32_e32 v1, 0x42800000, v4
	s_and_not1_b32 s5, s5, exec_lo
	s_delay_alu instid0(VALU_DEP_1) | instskip(NEXT) | instid1(VALU_DEP_1)
	v_and_b32_e32 v1, 0xff, v1
	v_cmp_ne_u32_e32 vcc_lo, 0, v1
	s_and_b32 s7, vcc_lo, exec_lo
	s_delay_alu instid0(SALU_CYCLE_1)
	s_or_b32 s5, s5, s7
	s_or_b32 exec_lo, exec_lo, s6
	v_mov_b32_e32 v5, 0
	s_and_saveexec_b32 s6, s5
	s_cbranch_execnz .LBB306_555
	s_branch .LBB306_556
.LBB306_994:
	s_and_not1_saveexec_b32 s9, s9
	s_cbranch_execz .LBB306_659
.LBB306_995:
	v_add_f32_e32 v1, 0x46000000, v4
	s_and_not1_b32 s8, s8, exec_lo
	s_delay_alu instid0(VALU_DEP_1) | instskip(NEXT) | instid1(VALU_DEP_1)
	v_and_b32_e32 v1, 0xff, v1
	v_cmp_ne_u32_e32 vcc_lo, 0, v1
	s_and_b32 s10, vcc_lo, exec_lo
	s_delay_alu instid0(SALU_CYCLE_1)
	s_or_b32 s8, s8, s10
	s_or_b32 exec_lo, exec_lo, s9
	v_mov_b32_e32 v5, 0
	s_and_saveexec_b32 s9, s8
	s_cbranch_execnz .LBB306_660
	s_branch .LBB306_661
.LBB306_996:
	s_or_b32 s3, s3, exec_lo
	s_trap 2
	s_cbranch_execz .LBB306_707
	s_branch .LBB306_708
.LBB306_997:
	s_and_not1_saveexec_b32 s8, s8
	s_cbranch_execz .LBB306_672
.LBB306_998:
	v_add_f32_e32 v1, 0x42800000, v4
	s_and_not1_b32 s7, s7, exec_lo
	s_delay_alu instid0(VALU_DEP_1) | instskip(NEXT) | instid1(VALU_DEP_1)
	v_and_b32_e32 v1, 0xff, v1
	v_cmp_ne_u32_e32 vcc_lo, 0, v1
	s_and_b32 s9, vcc_lo, exec_lo
	s_delay_alu instid0(SALU_CYCLE_1)
	s_or_b32 s7, s7, s9
	s_or_b32 exec_lo, exec_lo, s8
	v_mov_b32_e32 v5, 0
	s_and_saveexec_b32 s8, s7
	s_cbranch_execnz .LBB306_673
	s_branch .LBB306_674
.LBB306_999:
	s_and_not1_saveexec_b32 s9, s9
	s_cbranch_execz .LBB306_777
.LBB306_1000:
	v_add_f32_e32 v1, 0x46000000, v4
	s_and_not1_b32 s8, s8, exec_lo
	s_delay_alu instid0(VALU_DEP_1) | instskip(NEXT) | instid1(VALU_DEP_1)
	v_and_b32_e32 v1, 0xff, v1
	v_cmp_ne_u32_e32 vcc_lo, 0, v1
	s_and_b32 s10, vcc_lo, exec_lo
	s_delay_alu instid0(SALU_CYCLE_1)
	s_or_b32 s8, s8, s10
	s_or_b32 exec_lo, exec_lo, s9
	v_mov_b32_e32 v5, 0
	s_and_saveexec_b32 s9, s8
	s_cbranch_execnz .LBB306_778
	s_branch .LBB306_779
.LBB306_1001:
	s_or_b32 s3, s3, exec_lo
	s_trap 2
	s_cbranch_execz .LBB306_825
	s_branch .LBB306_826
.LBB306_1002:
	s_and_not1_saveexec_b32 s8, s8
	s_cbranch_execz .LBB306_790
.LBB306_1003:
	v_add_f32_e32 v1, 0x42800000, v4
	s_and_not1_b32 s7, s7, exec_lo
	s_delay_alu instid0(VALU_DEP_1) | instskip(NEXT) | instid1(VALU_DEP_1)
	v_and_b32_e32 v1, 0xff, v1
	v_cmp_ne_u32_e32 vcc_lo, 0, v1
	s_and_b32 s9, vcc_lo, exec_lo
	s_delay_alu instid0(SALU_CYCLE_1)
	s_or_b32 s7, s7, s9
	s_or_b32 exec_lo, exec_lo, s8
	v_mov_b32_e32 v5, 0
	s_and_saveexec_b32 s8, s7
	s_cbranch_execnz .LBB306_791
	s_branch .LBB306_792
.LBB306_1004:
	s_and_not1_saveexec_b32 s8, s8
	s_cbranch_execz .LBB306_857
.LBB306_1005:
	v_add_f32_e32 v2, 0x46000000, v3
	s_and_not1_b32 s7, s7, exec_lo
	s_delay_alu instid0(VALU_DEP_1) | instskip(NEXT) | instid1(VALU_DEP_1)
	v_and_b32_e32 v2, 0xff, v2
	v_cmp_ne_u32_e32 vcc_lo, 0, v2
	s_and_b32 s9, vcc_lo, exec_lo
	s_delay_alu instid0(SALU_CYCLE_1)
	s_or_b32 s7, s7, s9
	s_or_b32 exec_lo, exec_lo, s8
	v_mov_b32_e32 v4, 0
	s_and_saveexec_b32 s8, s7
	s_cbranch_execnz .LBB306_858
	s_branch .LBB306_859
.LBB306_1006:
	s_mov_b32 s5, 0
	s_or_b32 s3, s3, exec_lo
	s_trap 2
	s_branch .LBB306_903
.LBB306_1007:
	s_and_not1_saveexec_b32 s6, s6
	s_cbranch_execz .LBB306_422
.LBB306_1008:
	v_add_f32_e32 v2, 0x46000000, v3
	s_and_not1_b32 s5, s5, exec_lo
	s_delay_alu instid0(VALU_DEP_1) | instskip(NEXT) | instid1(VALU_DEP_1)
	v_and_b32_e32 v2, 0xff, v2
	v_cmp_ne_u32_e32 vcc_lo, 0, v2
	s_and_b32 s7, vcc_lo, exec_lo
	s_delay_alu instid0(SALU_CYCLE_1)
	s_or_b32 s5, s5, s7
	s_or_b32 exec_lo, exec_lo, s6
	v_mov_b32_e32 v4, 0
	s_and_saveexec_b32 s6, s5
	s_cbranch_execnz .LBB306_423
	s_branch .LBB306_424
.LBB306_1009:
	s_and_not1_saveexec_b32 s7, s7
	s_cbranch_execz .LBB306_869
.LBB306_1010:
	v_add_f32_e32 v2, 0x42800000, v3
	s_and_not1_b32 s6, s6, exec_lo
	s_delay_alu instid0(VALU_DEP_1) | instskip(NEXT) | instid1(VALU_DEP_1)
	v_and_b32_e32 v2, 0xff, v2
	v_cmp_ne_u32_e32 vcc_lo, 0, v2
	s_and_b32 s8, vcc_lo, exec_lo
	s_delay_alu instid0(SALU_CYCLE_1)
	s_or_b32 s6, s6, s8
	s_or_b32 exec_lo, exec_lo, s7
	v_mov_b32_e32 v4, 0
	s_and_saveexec_b32 s7, s6
	s_cbranch_execnz .LBB306_870
	s_branch .LBB306_871
.LBB306_1011:
	s_and_not1_saveexec_b32 s7, s7
	s_cbranch_execz .LBB306_434
.LBB306_1012:
	v_add_f32_e32 v2, 0x42800000, v3
	s_and_not1_b32 s6, s6, exec_lo
	s_delay_alu instid0(VALU_DEP_1) | instskip(NEXT) | instid1(VALU_DEP_1)
	v_and_b32_e32 v2, 0xff, v2
	v_cmp_ne_u32_e32 vcc_lo, 0, v2
	s_and_b32 s8, vcc_lo, exec_lo
	s_delay_alu instid0(SALU_CYCLE_1)
	s_or_b32 s6, s6, s8
	s_or_b32 exec_lo, exec_lo, s7
	v_mov_b32_e32 v4, 0
	s_and_saveexec_b32 s7, s6
	s_cbranch_execnz .LBB306_435
	s_branch .LBB306_436
	.section	.rodata,"a",@progbits
	.p2align	6, 0x0
	.amdhsa_kernel _ZN2at6native32elementwise_kernel_manual_unrollILi128ELi4EZNS0_15gpu_kernel_implINS0_13AUnaryFunctorIN3c1015Float8_e4m3fnuzES5_bNS0_12_GLOBAL__N_116CompareEqFunctorIS5_EEEEEEvRNS_18TensorIteratorBaseERKT_EUlibE_EEviT1_
		.amdhsa_group_segment_fixed_size 0
		.amdhsa_private_segment_fixed_size 0
		.amdhsa_kernarg_size 48
		.amdhsa_user_sgpr_count 2
		.amdhsa_user_sgpr_dispatch_ptr 0
		.amdhsa_user_sgpr_queue_ptr 0
		.amdhsa_user_sgpr_kernarg_segment_ptr 1
		.amdhsa_user_sgpr_dispatch_id 0
		.amdhsa_user_sgpr_kernarg_preload_length 0
		.amdhsa_user_sgpr_kernarg_preload_offset 0
		.amdhsa_user_sgpr_private_segment_size 0
		.amdhsa_wavefront_size32 1
		.amdhsa_uses_dynamic_stack 0
		.amdhsa_enable_private_segment 0
		.amdhsa_system_sgpr_workgroup_id_x 1
		.amdhsa_system_sgpr_workgroup_id_y 0
		.amdhsa_system_sgpr_workgroup_id_z 0
		.amdhsa_system_sgpr_workgroup_info 0
		.amdhsa_system_vgpr_workitem_id 0
		.amdhsa_next_free_vgpr 14
		.amdhsa_next_free_sgpr 35
		.amdhsa_named_barrier_count 0
		.amdhsa_reserve_vcc 1
		.amdhsa_float_round_mode_32 0
		.amdhsa_float_round_mode_16_64 0
		.amdhsa_float_denorm_mode_32 3
		.amdhsa_float_denorm_mode_16_64 3
		.amdhsa_fp16_overflow 0
		.amdhsa_memory_ordered 1
		.amdhsa_forward_progress 1
		.amdhsa_inst_pref_size 141
		.amdhsa_round_robin_scheduling 0
		.amdhsa_exception_fp_ieee_invalid_op 0
		.amdhsa_exception_fp_denorm_src 0
		.amdhsa_exception_fp_ieee_div_zero 0
		.amdhsa_exception_fp_ieee_overflow 0
		.amdhsa_exception_fp_ieee_underflow 0
		.amdhsa_exception_fp_ieee_inexact 0
		.amdhsa_exception_int_div_zero 0
	.end_amdhsa_kernel
	.section	.text._ZN2at6native32elementwise_kernel_manual_unrollILi128ELi4EZNS0_15gpu_kernel_implINS0_13AUnaryFunctorIN3c1015Float8_e4m3fnuzES5_bNS0_12_GLOBAL__N_116CompareEqFunctorIS5_EEEEEEvRNS_18TensorIteratorBaseERKT_EUlibE_EEviT1_,"axG",@progbits,_ZN2at6native32elementwise_kernel_manual_unrollILi128ELi4EZNS0_15gpu_kernel_implINS0_13AUnaryFunctorIN3c1015Float8_e4m3fnuzES5_bNS0_12_GLOBAL__N_116CompareEqFunctorIS5_EEEEEEvRNS_18TensorIteratorBaseERKT_EUlibE_EEviT1_,comdat
.Lfunc_end306:
	.size	_ZN2at6native32elementwise_kernel_manual_unrollILi128ELi4EZNS0_15gpu_kernel_implINS0_13AUnaryFunctorIN3c1015Float8_e4m3fnuzES5_bNS0_12_GLOBAL__N_116CompareEqFunctorIS5_EEEEEEvRNS_18TensorIteratorBaseERKT_EUlibE_EEviT1_, .Lfunc_end306-_ZN2at6native32elementwise_kernel_manual_unrollILi128ELi4EZNS0_15gpu_kernel_implINS0_13AUnaryFunctorIN3c1015Float8_e4m3fnuzES5_bNS0_12_GLOBAL__N_116CompareEqFunctorIS5_EEEEEEvRNS_18TensorIteratorBaseERKT_EUlibE_EEviT1_
                                        ; -- End function
	.set _ZN2at6native32elementwise_kernel_manual_unrollILi128ELi4EZNS0_15gpu_kernel_implINS0_13AUnaryFunctorIN3c1015Float8_e4m3fnuzES5_bNS0_12_GLOBAL__N_116CompareEqFunctorIS5_EEEEEEvRNS_18TensorIteratorBaseERKT_EUlibE_EEviT1_.num_vgpr, max(14, .L_ZN2at6native6invokeINS0_13AUnaryFunctorIN3c1015Float8_e4m3fnuzES4_bNS0_12_GLOBAL__N_116CompareEqFunctorIS4_EEEEi15function_traitsIS8_EEENT1_11result_typeERKT_PrKPcPKT0_PKNS3_10ScalarTypeEi.num_vgpr)
	.set _ZN2at6native32elementwise_kernel_manual_unrollILi128ELi4EZNS0_15gpu_kernel_implINS0_13AUnaryFunctorIN3c1015Float8_e4m3fnuzES5_bNS0_12_GLOBAL__N_116CompareEqFunctorIS5_EEEEEEvRNS_18TensorIteratorBaseERKT_EUlibE_EEviT1_.num_agpr, max(0, .L_ZN2at6native6invokeINS0_13AUnaryFunctorIN3c1015Float8_e4m3fnuzES4_bNS0_12_GLOBAL__N_116CompareEqFunctorIS4_EEEEi15function_traitsIS8_EEENT1_11result_typeERKT_PrKPcPKT0_PKNS3_10ScalarTypeEi.num_agpr)
	.set _ZN2at6native32elementwise_kernel_manual_unrollILi128ELi4EZNS0_15gpu_kernel_implINS0_13AUnaryFunctorIN3c1015Float8_e4m3fnuzES5_bNS0_12_GLOBAL__N_116CompareEqFunctorIS5_EEEEEEvRNS_18TensorIteratorBaseERKT_EUlibE_EEviT1_.numbered_sgpr, max(35, .L_ZN2at6native6invokeINS0_13AUnaryFunctorIN3c1015Float8_e4m3fnuzES4_bNS0_12_GLOBAL__N_116CompareEqFunctorIS4_EEEEi15function_traitsIS8_EEENT1_11result_typeERKT_PrKPcPKT0_PKNS3_10ScalarTypeEi.numbered_sgpr)
	.set _ZN2at6native32elementwise_kernel_manual_unrollILi128ELi4EZNS0_15gpu_kernel_implINS0_13AUnaryFunctorIN3c1015Float8_e4m3fnuzES5_bNS0_12_GLOBAL__N_116CompareEqFunctorIS5_EEEEEEvRNS_18TensorIteratorBaseERKT_EUlibE_EEviT1_.num_named_barrier, max(0, .L_ZN2at6native6invokeINS0_13AUnaryFunctorIN3c1015Float8_e4m3fnuzES4_bNS0_12_GLOBAL__N_116CompareEqFunctorIS4_EEEEi15function_traitsIS8_EEENT1_11result_typeERKT_PrKPcPKT0_PKNS3_10ScalarTypeEi.num_named_barrier)
	.set _ZN2at6native32elementwise_kernel_manual_unrollILi128ELi4EZNS0_15gpu_kernel_implINS0_13AUnaryFunctorIN3c1015Float8_e4m3fnuzES5_bNS0_12_GLOBAL__N_116CompareEqFunctorIS5_EEEEEEvRNS_18TensorIteratorBaseERKT_EUlibE_EEviT1_.private_seg_size, 0+max(.L_ZN2at6native6invokeINS0_13AUnaryFunctorIN3c1015Float8_e4m3fnuzES4_bNS0_12_GLOBAL__N_116CompareEqFunctorIS4_EEEEi15function_traitsIS8_EEENT1_11result_typeERKT_PrKPcPKT0_PKNS3_10ScalarTypeEi.private_seg_size)
	.set _ZN2at6native32elementwise_kernel_manual_unrollILi128ELi4EZNS0_15gpu_kernel_implINS0_13AUnaryFunctorIN3c1015Float8_e4m3fnuzES5_bNS0_12_GLOBAL__N_116CompareEqFunctorIS5_EEEEEEvRNS_18TensorIteratorBaseERKT_EUlibE_EEviT1_.uses_vcc, or(1, .L_ZN2at6native6invokeINS0_13AUnaryFunctorIN3c1015Float8_e4m3fnuzES4_bNS0_12_GLOBAL__N_116CompareEqFunctorIS4_EEEEi15function_traitsIS8_EEENT1_11result_typeERKT_PrKPcPKT0_PKNS3_10ScalarTypeEi.uses_vcc)
	.set _ZN2at6native32elementwise_kernel_manual_unrollILi128ELi4EZNS0_15gpu_kernel_implINS0_13AUnaryFunctorIN3c1015Float8_e4m3fnuzES5_bNS0_12_GLOBAL__N_116CompareEqFunctorIS5_EEEEEEvRNS_18TensorIteratorBaseERKT_EUlibE_EEviT1_.uses_flat_scratch, or(0, .L_ZN2at6native6invokeINS0_13AUnaryFunctorIN3c1015Float8_e4m3fnuzES4_bNS0_12_GLOBAL__N_116CompareEqFunctorIS4_EEEEi15function_traitsIS8_EEENT1_11result_typeERKT_PrKPcPKT0_PKNS3_10ScalarTypeEi.uses_flat_scratch)
	.set _ZN2at6native32elementwise_kernel_manual_unrollILi128ELi4EZNS0_15gpu_kernel_implINS0_13AUnaryFunctorIN3c1015Float8_e4m3fnuzES5_bNS0_12_GLOBAL__N_116CompareEqFunctorIS5_EEEEEEvRNS_18TensorIteratorBaseERKT_EUlibE_EEviT1_.has_dyn_sized_stack, or(0, .L_ZN2at6native6invokeINS0_13AUnaryFunctorIN3c1015Float8_e4m3fnuzES4_bNS0_12_GLOBAL__N_116CompareEqFunctorIS4_EEEEi15function_traitsIS8_EEENT1_11result_typeERKT_PrKPcPKT0_PKNS3_10ScalarTypeEi.has_dyn_sized_stack)
	.set _ZN2at6native32elementwise_kernel_manual_unrollILi128ELi4EZNS0_15gpu_kernel_implINS0_13AUnaryFunctorIN3c1015Float8_e4m3fnuzES5_bNS0_12_GLOBAL__N_116CompareEqFunctorIS5_EEEEEEvRNS_18TensorIteratorBaseERKT_EUlibE_EEviT1_.has_recursion, or(0, .L_ZN2at6native6invokeINS0_13AUnaryFunctorIN3c1015Float8_e4m3fnuzES4_bNS0_12_GLOBAL__N_116CompareEqFunctorIS4_EEEEi15function_traitsIS8_EEENT1_11result_typeERKT_PrKPcPKT0_PKNS3_10ScalarTypeEi.has_recursion)
	.set _ZN2at6native32elementwise_kernel_manual_unrollILi128ELi4EZNS0_15gpu_kernel_implINS0_13AUnaryFunctorIN3c1015Float8_e4m3fnuzES5_bNS0_12_GLOBAL__N_116CompareEqFunctorIS5_EEEEEEvRNS_18TensorIteratorBaseERKT_EUlibE_EEviT1_.has_indirect_call, or(0, .L_ZN2at6native6invokeINS0_13AUnaryFunctorIN3c1015Float8_e4m3fnuzES4_bNS0_12_GLOBAL__N_116CompareEqFunctorIS4_EEEEi15function_traitsIS8_EEENT1_11result_typeERKT_PrKPcPKT0_PKNS3_10ScalarTypeEi.has_indirect_call)
	.section	.AMDGPU.csdata,"",@progbits
; Kernel info:
; codeLenInByte = 17928
; TotalNumSgprs: 37
; NumVgprs: 14
; ScratchSize: 0
; MemoryBound: 0
; FloatMode: 240
; IeeeMode: 1
; LDSByteSize: 0 bytes/workgroup (compile time only)
; SGPRBlocks: 0
; VGPRBlocks: 0
; NumSGPRsForWavesPerEU: 37
; NumVGPRsForWavesPerEU: 14
; NamedBarCnt: 0
; Occupancy: 16
; WaveLimiterHint : 0
; COMPUTE_PGM_RSRC2:SCRATCH_EN: 0
; COMPUTE_PGM_RSRC2:USER_SGPR: 2
; COMPUTE_PGM_RSRC2:TRAP_HANDLER: 0
; COMPUTE_PGM_RSRC2:TGID_X_EN: 1
; COMPUTE_PGM_RSRC2:TGID_Y_EN: 0
; COMPUTE_PGM_RSRC2:TGID_Z_EN: 0
; COMPUTE_PGM_RSRC2:TIDIG_COMP_CNT: 0
	.text
	.p2align	2                               ; -- Begin function _ZN2at6native6invokeINS0_13AUnaryFunctorIN3c1015Float8_e4m3fnuzES4_bNS0_12_GLOBAL__N_116CompareEqFunctorIS4_EEEEj15function_traitsIS8_EEENT1_11result_typeERKT_PrKPcPKT0_PKNS3_10ScalarTypeEi
	.type	_ZN2at6native6invokeINS0_13AUnaryFunctorIN3c1015Float8_e4m3fnuzES4_bNS0_12_GLOBAL__N_116CompareEqFunctorIS4_EEEEj15function_traitsIS8_EEENT1_11result_typeERKT_PrKPcPKT0_PKNS3_10ScalarTypeEi,@function
_ZN2at6native6invokeINS0_13AUnaryFunctorIN3c1015Float8_e4m3fnuzES4_bNS0_12_GLOBAL__N_116CompareEqFunctorIS4_EEEEj15function_traitsIS8_EEENT1_11result_typeERKT_PrKPcPKT0_PKNS3_10ScalarTypeEi: ; @_ZN2at6native6invokeINS0_13AUnaryFunctorIN3c1015Float8_e4m3fnuzES4_bNS0_12_GLOBAL__N_116CompareEqFunctorIS4_EEEEj15function_traitsIS8_EEENT1_11result_typeERKT_PrKPcPKT0_PKNS3_10ScalarTypeEi
; %bb.0:
	s_wait_loadcnt_dscnt 0x0
	s_wait_kmcnt 0x0
	v_dual_mov_b32 v6, v5 :: v_dual_mov_b32 v5, 0
	s_mov_b32 s1, 0
	s_mov_b32 s0, exec_lo
	s_delay_alu instid0(VALU_DEP_1) | instskip(NEXT) | instid1(VALU_DEP_2)
	v_and_b32_e32 v6, 0xff, v6
	v_add_nc_u64_e32 v[2:3], v[2:3], v[4:5]
                                        ; implicit-def: $vgpr4
	s_delay_alu instid0(VALU_DEP_2)
	v_cmpx_lt_i16_e32 10, v6
	s_xor_b32 s0, exec_lo, s0
	s_cbranch_execnz .LBB307_4
; %bb.1:
	s_and_not1_saveexec_b32 s0, s0
	s_cbranch_execnz .LBB307_16
.LBB307_2:
	s_or_b32 exec_lo, exec_lo, s0
                                        ; implicit-def: $sgpr2
	s_and_saveexec_b32 s0, s1
	s_cbranch_execnz .LBB307_123
.LBB307_3:
	s_or_b32 exec_lo, exec_lo, s0
	s_delay_alu instid0(VALU_DEP_1)
	v_cndmask_b32_e64 v0, 0, 1, s2
	s_wait_loadcnt_dscnt 0x0
	s_set_pc_i64 s[30:31]
.LBB307_4:
	s_mov_b32 s2, 0
	s_mov_b32 s4, 0
	s_mov_b32 s3, exec_lo
                                        ; implicit-def: $vgpr4
	v_cmpx_lt_i16_e32 25, v6
	s_xor_b32 s3, exec_lo, s3
	s_cbranch_execnz .LBB307_143
; %bb.5:
	s_and_not1_saveexec_b32 s3, s3
	s_cbranch_execnz .LBB307_200
.LBB307_6:
	s_or_b32 exec_lo, exec_lo, s3
	s_and_saveexec_b32 s3, s4
	s_cbranch_execnz .LBB307_247
.LBB307_7:
	s_or_b32 exec_lo, exec_lo, s3
	s_and_saveexec_b32 s3, s2
	s_delay_alu instid0(SALU_CYCLE_1)
	s_xor_b32 s2, exec_lo, s3
	s_cbranch_execz .LBB307_15
.LBB307_8:
	flat_load_u8 v2, v[2:3]
	s_wait_loadcnt_dscnt 0x101
	v_mov_b32_e32 v4, 0x80
	s_mov_b32 s4, 0
	s_mov_b32 s3, exec_lo
	s_wait_loadcnt_dscnt 0x0
	v_cmp_ne_u16_e32 vcc_lo, 0, v2
	s_wait_xcnt 0x0
	v_cndmask_b32_e64 v3, 0, 1.0, vcc_lo
	s_delay_alu instid0(VALU_DEP_1)
	v_cmpx_gt_u32_e32 0x43800000, v3
	s_cbranch_execz .LBB307_14
; %bb.9:
	s_mov_b32 s5, exec_lo
                                        ; implicit-def: $vgpr2
	v_cmpx_lt_u32_e32 0x3bffffff, v3
	s_xor_b32 s5, exec_lo, s5
	s_cbranch_execnz .LBB307_264
; %bb.10:
	s_and_not1_saveexec_b32 s5, s5
	s_cbranch_execnz .LBB307_265
.LBB307_11:
	s_or_b32 exec_lo, exec_lo, s5
	v_mov_b32_e32 v4, 0
	s_and_saveexec_b32 s5, s4
.LBB307_12:
	v_mov_b32_e32 v4, v2
.LBB307_13:
	s_or_b32 exec_lo, exec_lo, s5
.LBB307_14:
	s_delay_alu instid0(SALU_CYCLE_1) | instskip(NEXT) | instid1(SALU_CYCLE_1)
	s_or_b32 exec_lo, exec_lo, s3
	s_or_b32 s1, s1, exec_lo
.LBB307_15:
	s_or_b32 exec_lo, exec_lo, s2
	s_delay_alu instid0(SALU_CYCLE_1)
	s_and_b32 s1, s1, exec_lo
                                        ; implicit-def: $vgpr6
                                        ; implicit-def: $vgpr2_vgpr3
	s_and_not1_saveexec_b32 s0, s0
	s_cbranch_execz .LBB307_2
.LBB307_16:
	s_mov_b32 s2, exec_lo
                                        ; implicit-def: $vgpr4
	v_cmpx_lt_i16_e32 4, v6
	s_xor_b32 s2, exec_lo, s2
	s_cbranch_execz .LBB307_74
; %bb.17:
	s_mov_b32 s3, exec_lo
                                        ; implicit-def: $vgpr4
	v_cmpx_lt_i16_e32 7, v6
	s_xor_b32 s3, exec_lo, s3
	s_cbranch_execz .LBB307_45
; %bb.18:
	;; [unrolled: 6-line block ×4, first 2 shown]
	flat_load_b64 v[2:3], v[2:3]
	s_wait_loadcnt_dscnt 0x101
	v_mov_b32_e32 v4, 0x80
	s_mov_b32 s6, exec_lo
	s_wait_loadcnt_dscnt 0x0
	v_cvt_f32_f64_e32 v2, v[2:3]
	s_delay_alu instid0(VALU_DEP_1) | instskip(NEXT) | instid1(VALU_DEP_1)
	v_and_b32_e32 v3, 0x7fffffff, v2
	v_cmpx_gt_u32_e32 0x43800000, v3
	s_cbranch_execz .LBB307_26
; %bb.21:
	v_cmp_lt_u32_e32 vcc_lo, 0x3bffffff, v3
	s_mov_b32 s7, 0
                                        ; implicit-def: $vgpr3
	s_and_saveexec_b32 s8, vcc_lo
	s_delay_alu instid0(SALU_CYCLE_1)
	s_xor_b32 s8, exec_lo, s8
	s_cbranch_execnz .LBB307_282
; %bb.22:
	s_and_not1_saveexec_b32 s8, s8
	s_cbranch_execnz .LBB307_283
.LBB307_23:
	s_or_b32 exec_lo, exec_lo, s8
	v_mov_b32_e32 v4, 0
	s_and_saveexec_b32 s8, s7
.LBB307_24:
	v_lshrrev_b32_e32 v2, 24, v2
	s_delay_alu instid0(VALU_DEP_1)
	v_and_or_b32 v4, 0x80, v2, v3
.LBB307_25:
	s_or_b32 exec_lo, exec_lo, s8
.LBB307_26:
	s_delay_alu instid0(SALU_CYCLE_1)
	s_or_b32 exec_lo, exec_lo, s6
                                        ; implicit-def: $vgpr2_vgpr3
.LBB307_27:
	s_and_not1_saveexec_b32 s5, s5
	s_cbranch_execz .LBB307_35
; %bb.28:
	flat_load_b32 v2, v[2:3]
	s_wait_loadcnt_dscnt 0x101
	v_mov_b32_e32 v4, 0x80
	s_mov_b32 s6, exec_lo
	s_wait_loadcnt_dscnt 0x0
	v_and_b32_e32 v3, 0x7fffffff, v2
	s_delay_alu instid0(VALU_DEP_1)
	v_cmpx_gt_u32_e32 0x43800000, v3
	s_cbranch_execz .LBB307_34
; %bb.29:
	v_cmp_lt_u32_e32 vcc_lo, 0x3bffffff, v3
	s_mov_b32 s7, 0
                                        ; implicit-def: $vgpr3
	s_and_saveexec_b32 s8, vcc_lo
	s_delay_alu instid0(SALU_CYCLE_1)
	s_xor_b32 s8, exec_lo, s8
	s_cbranch_execnz .LBB307_284
; %bb.30:
	s_and_not1_saveexec_b32 s8, s8
	s_cbranch_execnz .LBB307_285
.LBB307_31:
	s_or_b32 exec_lo, exec_lo, s8
	v_mov_b32_e32 v4, 0
	s_and_saveexec_b32 s8, s7
.LBB307_32:
	v_lshrrev_b32_e32 v2, 24, v2
	s_delay_alu instid0(VALU_DEP_1)
	v_and_or_b32 v4, 0x80, v2, v3
.LBB307_33:
	s_or_b32 exec_lo, exec_lo, s8
.LBB307_34:
	s_delay_alu instid0(SALU_CYCLE_1)
	s_or_b32 exec_lo, exec_lo, s6
.LBB307_35:
	s_delay_alu instid0(SALU_CYCLE_1)
	s_or_b32 exec_lo, exec_lo, s5
                                        ; implicit-def: $vgpr2_vgpr3
.LBB307_36:
	s_and_not1_saveexec_b32 s4, s4
	s_cbranch_execz .LBB307_44
; %bb.37:
	flat_load_b32 v2, v[2:3]
	s_wait_loadcnt_dscnt 0x101
	v_mov_b32_e32 v4, 0x80
	s_mov_b32 s5, exec_lo
	s_wait_loadcnt_dscnt 0x0
	v_cvt_f32_f16_e32 v2, v2
	s_delay_alu instid0(VALU_DEP_1) | instskip(NEXT) | instid1(VALU_DEP_1)
	v_and_b32_e32 v3, 0x7fffffff, v2
	v_cmpx_gt_u32_e32 0x43800000, v3
	s_cbranch_execz .LBB307_43
; %bb.38:
	v_cmp_lt_u32_e32 vcc_lo, 0x3bffffff, v3
	s_mov_b32 s6, 0
                                        ; implicit-def: $vgpr3
	s_and_saveexec_b32 s7, vcc_lo
	s_delay_alu instid0(SALU_CYCLE_1)
	s_xor_b32 s7, exec_lo, s7
	s_cbranch_execnz .LBB307_266
; %bb.39:
	s_and_not1_saveexec_b32 s7, s7
	s_cbranch_execnz .LBB307_267
.LBB307_40:
	s_or_b32 exec_lo, exec_lo, s7
	v_mov_b32_e32 v4, 0
	s_and_saveexec_b32 s7, s6
.LBB307_41:
	v_lshrrev_b32_e32 v2, 24, v2
	s_delay_alu instid0(VALU_DEP_1)
	v_and_or_b32 v4, 0x80, v2, v3
.LBB307_42:
	s_or_b32 exec_lo, exec_lo, s7
.LBB307_43:
	s_delay_alu instid0(SALU_CYCLE_1)
	s_or_b32 exec_lo, exec_lo, s5
.LBB307_44:
	s_delay_alu instid0(SALU_CYCLE_1)
	s_or_b32 exec_lo, exec_lo, s4
                                        ; implicit-def: $vgpr6
                                        ; implicit-def: $vgpr2_vgpr3
.LBB307_45:
	s_and_not1_saveexec_b32 s3, s3
	s_cbranch_execz .LBB307_73
; %bb.46:
	s_mov_b32 s4, exec_lo
                                        ; implicit-def: $vgpr4
	v_cmpx_lt_i16_e32 5, v6
	s_xor_b32 s4, exec_lo, s4
	s_cbranch_execz .LBB307_64
; %bb.47:
	s_mov_b32 s5, exec_lo
                                        ; implicit-def: $vgpr4
	v_cmpx_lt_i16_e32 6, v6
	s_xor_b32 s5, exec_lo, s5
	s_cbranch_execz .LBB307_55
; %bb.48:
	flat_load_b64 v[2:3], v[2:3]
	s_wait_loadcnt_dscnt 0x101
	v_mov_b32_e32 v4, 0x80
	s_mov_b32 s6, exec_lo
	s_wait_loadcnt_dscnt 0x0
	v_cvt_f32_f64_e32 v2, v[2:3]
	s_delay_alu instid0(VALU_DEP_1) | instskip(NEXT) | instid1(VALU_DEP_1)
	v_and_b32_e32 v3, 0x7fffffff, v2
	v_cmpx_gt_u32_e32 0x43800000, v3
	s_cbranch_execz .LBB307_54
; %bb.49:
	v_cmp_lt_u32_e32 vcc_lo, 0x3bffffff, v3
	s_mov_b32 s7, 0
                                        ; implicit-def: $vgpr3
	s_and_saveexec_b32 s8, vcc_lo
	s_delay_alu instid0(SALU_CYCLE_1)
	s_xor_b32 s8, exec_lo, s8
	s_cbranch_execnz .LBB307_286
; %bb.50:
	s_and_not1_saveexec_b32 s8, s8
	s_cbranch_execnz .LBB307_287
.LBB307_51:
	s_or_b32 exec_lo, exec_lo, s8
	v_mov_b32_e32 v4, 0
	s_and_saveexec_b32 s8, s7
.LBB307_52:
	v_lshrrev_b32_e32 v2, 24, v2
	s_delay_alu instid0(VALU_DEP_1)
	v_and_or_b32 v4, 0x80, v2, v3
.LBB307_53:
	s_or_b32 exec_lo, exec_lo, s8
.LBB307_54:
	s_delay_alu instid0(SALU_CYCLE_1)
	s_or_b32 exec_lo, exec_lo, s6
                                        ; implicit-def: $vgpr2_vgpr3
.LBB307_55:
	s_and_not1_saveexec_b32 s5, s5
	s_cbranch_execz .LBB307_63
; %bb.56:
	flat_load_b32 v2, v[2:3]
	s_wait_loadcnt_dscnt 0x101
	v_mov_b32_e32 v4, 0x80
	s_mov_b32 s6, exec_lo
	s_wait_loadcnt_dscnt 0x0
	v_and_b32_e32 v3, 0x7fffffff, v2
	s_delay_alu instid0(VALU_DEP_1)
	v_cmpx_gt_u32_e32 0x43800000, v3
	s_cbranch_execz .LBB307_62
; %bb.57:
	v_cmp_lt_u32_e32 vcc_lo, 0x3bffffff, v3
	s_mov_b32 s7, 0
                                        ; implicit-def: $vgpr3
	s_and_saveexec_b32 s8, vcc_lo
	s_delay_alu instid0(SALU_CYCLE_1)
	s_xor_b32 s8, exec_lo, s8
	s_cbranch_execnz .LBB307_288
; %bb.58:
	s_and_not1_saveexec_b32 s8, s8
	s_cbranch_execnz .LBB307_289
.LBB307_59:
	s_or_b32 exec_lo, exec_lo, s8
	v_mov_b32_e32 v4, 0
	s_and_saveexec_b32 s8, s7
.LBB307_60:
	v_lshrrev_b32_e32 v2, 24, v2
	s_delay_alu instid0(VALU_DEP_1)
	v_and_or_b32 v4, 0x80, v2, v3
.LBB307_61:
	s_or_b32 exec_lo, exec_lo, s8
.LBB307_62:
	s_delay_alu instid0(SALU_CYCLE_1)
	s_or_b32 exec_lo, exec_lo, s6
.LBB307_63:
	s_delay_alu instid0(SALU_CYCLE_1)
	s_or_b32 exec_lo, exec_lo, s5
                                        ; implicit-def: $vgpr2_vgpr3
.LBB307_64:
	s_and_not1_saveexec_b32 s4, s4
	s_cbranch_execz .LBB307_72
; %bb.65:
	flat_load_u16 v2, v[2:3]
	s_wait_loadcnt_dscnt 0x101
	v_mov_b32_e32 v4, 0x80
	s_mov_b32 s5, exec_lo
	s_wait_loadcnt_dscnt 0x0
	v_cvt_f32_f16_e32 v2, v2
	s_delay_alu instid0(VALU_DEP_1) | instskip(NEXT) | instid1(VALU_DEP_1)
	v_and_b32_e32 v3, 0x7fffffff, v2
	v_cmpx_gt_u32_e32 0x43800000, v3
	s_cbranch_execz .LBB307_71
; %bb.66:
	v_cmp_lt_u32_e32 vcc_lo, 0x3bffffff, v3
	s_mov_b32 s6, 0
                                        ; implicit-def: $vgpr3
	s_and_saveexec_b32 s7, vcc_lo
	s_delay_alu instid0(SALU_CYCLE_1)
	s_xor_b32 s7, exec_lo, s7
	s_cbranch_execnz .LBB307_268
; %bb.67:
	s_and_not1_saveexec_b32 s7, s7
	s_cbranch_execnz .LBB307_269
.LBB307_68:
	s_or_b32 exec_lo, exec_lo, s7
	v_mov_b32_e32 v4, 0
	s_and_saveexec_b32 s7, s6
.LBB307_69:
	v_lshrrev_b32_e32 v2, 24, v2
	s_delay_alu instid0(VALU_DEP_1)
	v_and_or_b32 v4, 0x80, v2, v3
.LBB307_70:
	s_or_b32 exec_lo, exec_lo, s7
.LBB307_71:
	s_delay_alu instid0(SALU_CYCLE_1)
	s_or_b32 exec_lo, exec_lo, s5
.LBB307_72:
	s_delay_alu instid0(SALU_CYCLE_1)
	s_or_b32 exec_lo, exec_lo, s4
.LBB307_73:
	s_delay_alu instid0(SALU_CYCLE_1)
	s_or_b32 exec_lo, exec_lo, s3
                                        ; implicit-def: $vgpr6
                                        ; implicit-def: $vgpr2_vgpr3
.LBB307_74:
	s_and_not1_saveexec_b32 s2, s2
	s_cbranch_execz .LBB307_122
; %bb.75:
	s_mov_b32 s3, exec_lo
                                        ; implicit-def: $vgpr4
	v_cmpx_lt_i16_e32 1, v6
	s_xor_b32 s3, exec_lo, s3
	s_cbranch_execz .LBB307_103
; %bb.76:
	s_mov_b32 s4, exec_lo
                                        ; implicit-def: $vgpr4
	v_cmpx_lt_i16_e32 2, v6
	s_xor_b32 s4, exec_lo, s4
	;; [unrolled: 6-line block ×3, first 2 shown]
	s_cbranch_execz .LBB307_85
; %bb.78:
	flat_load_b64 v[2:3], v[2:3]
	s_mov_b32 s6, exec_lo
	s_wait_loadcnt_dscnt 0x0
	v_xor_b32_e32 v4, v2, v3
	v_cls_i32_e32 v5, v3
	s_delay_alu instid0(VALU_DEP_2) | instskip(NEXT) | instid1(VALU_DEP_1)
	v_ashrrev_i32_e32 v4, 31, v4
	v_add_nc_u32_e32 v4, 32, v4
	s_delay_alu instid0(VALU_DEP_1) | instskip(SKIP_1) | instid1(VALU_DEP_1)
	v_add_min_u32_e64 v4, v5, -1, v4
	s_wait_xcnt 0x0
	v_lshlrev_b64_e32 v[2:3], v4, v[2:3]
	s_delay_alu instid0(VALU_DEP_1) | instskip(NEXT) | instid1(VALU_DEP_1)
	v_min_u32_e32 v2, 1, v2
	v_dual_sub_nc_u32 v3, 32, v4 :: v_dual_bitop2_b32 v2, v3, v2 bitop3:0x54
	v_mov_b32_e32 v4, 0x80
	s_delay_alu instid0(VALU_DEP_2) | instskip(NEXT) | instid1(VALU_DEP_1)
	v_cvt_f32_i32_e32 v2, v2
	v_ldexp_f32 v2, v2, v3
	s_delay_alu instid0(VALU_DEP_1) | instskip(NEXT) | instid1(VALU_DEP_1)
	v_and_b32_e32 v3, 0x7fffffff, v2
	v_cmpx_gt_u32_e32 0x43800000, v3
	s_cbranch_execz .LBB307_84
; %bb.79:
	v_cmp_lt_u32_e32 vcc_lo, 0x3bffffff, v3
	s_mov_b32 s7, 0
                                        ; implicit-def: $vgpr3
	s_and_saveexec_b32 s8, vcc_lo
	s_delay_alu instid0(SALU_CYCLE_1)
	s_xor_b32 s8, exec_lo, s8
	s_cbranch_execnz .LBB307_290
; %bb.80:
	s_and_not1_saveexec_b32 s8, s8
	s_cbranch_execnz .LBB307_291
.LBB307_81:
	s_or_b32 exec_lo, exec_lo, s8
	v_mov_b32_e32 v4, 0
	s_and_saveexec_b32 s8, s7
.LBB307_82:
	v_lshrrev_b32_e32 v2, 24, v2
	s_delay_alu instid0(VALU_DEP_1)
	v_and_or_b32 v4, 0x80, v2, v3
.LBB307_83:
	s_or_b32 exec_lo, exec_lo, s8
.LBB307_84:
	s_delay_alu instid0(SALU_CYCLE_1)
	s_or_b32 exec_lo, exec_lo, s6
                                        ; implicit-def: $vgpr2_vgpr3
.LBB307_85:
	s_and_not1_saveexec_b32 s5, s5
	s_cbranch_execz .LBB307_93
; %bb.86:
	flat_load_b32 v2, v[2:3]
	s_wait_loadcnt_dscnt 0x101
	v_mov_b32_e32 v4, 0x80
	s_mov_b32 s6, exec_lo
	s_wait_loadcnt_dscnt 0x0
	v_cvt_f32_i32_e32 v2, v2
	s_delay_alu instid0(VALU_DEP_1) | instskip(NEXT) | instid1(VALU_DEP_1)
	v_and_b32_e32 v3, 0x7fffffff, v2
	v_cmpx_gt_u32_e32 0x43800000, v3
	s_cbranch_execz .LBB307_92
; %bb.87:
	v_cmp_lt_u32_e32 vcc_lo, 0x3bffffff, v3
	s_mov_b32 s7, 0
                                        ; implicit-def: $vgpr3
	s_and_saveexec_b32 s8, vcc_lo
	s_delay_alu instid0(SALU_CYCLE_1)
	s_xor_b32 s8, exec_lo, s8
	s_cbranch_execnz .LBB307_292
; %bb.88:
	s_and_not1_saveexec_b32 s8, s8
	s_cbranch_execnz .LBB307_293
.LBB307_89:
	s_or_b32 exec_lo, exec_lo, s8
	v_mov_b32_e32 v4, 0
	s_and_saveexec_b32 s8, s7
.LBB307_90:
	v_lshrrev_b32_e32 v2, 24, v2
	s_delay_alu instid0(VALU_DEP_1)
	v_and_or_b32 v4, 0x80, v2, v3
.LBB307_91:
	s_or_b32 exec_lo, exec_lo, s8
.LBB307_92:
	s_delay_alu instid0(SALU_CYCLE_1)
	s_or_b32 exec_lo, exec_lo, s6
.LBB307_93:
	s_delay_alu instid0(SALU_CYCLE_1)
	s_or_b32 exec_lo, exec_lo, s5
                                        ; implicit-def: $vgpr2_vgpr3
.LBB307_94:
	s_and_not1_saveexec_b32 s4, s4
	s_cbranch_execz .LBB307_102
; %bb.95:
	flat_load_i16 v2, v[2:3]
	s_wait_loadcnt_dscnt 0x101
	v_mov_b32_e32 v4, 0x80
	s_mov_b32 s5, exec_lo
	s_wait_loadcnt_dscnt 0x0
	v_cvt_f32_i32_e32 v2, v2
	s_delay_alu instid0(VALU_DEP_1) | instskip(NEXT) | instid1(VALU_DEP_1)
	v_and_b32_e32 v3, 0x7fffffff, v2
	v_cmpx_gt_u32_e32 0x43800000, v3
	s_cbranch_execz .LBB307_101
; %bb.96:
	v_cmp_lt_u32_e32 vcc_lo, 0x3bffffff, v3
	s_mov_b32 s6, 0
                                        ; implicit-def: $vgpr3
	s_and_saveexec_b32 s7, vcc_lo
	s_delay_alu instid0(SALU_CYCLE_1)
	s_xor_b32 s7, exec_lo, s7
	s_cbranch_execnz .LBB307_270
; %bb.97:
	s_and_not1_saveexec_b32 s7, s7
	s_cbranch_execnz .LBB307_271
.LBB307_98:
	s_or_b32 exec_lo, exec_lo, s7
	v_mov_b32_e32 v4, 0
	s_and_saveexec_b32 s7, s6
.LBB307_99:
	v_lshrrev_b32_e32 v2, 24, v2
	s_delay_alu instid0(VALU_DEP_1)
	v_and_or_b32 v4, 0x80, v2, v3
.LBB307_100:
	s_or_b32 exec_lo, exec_lo, s7
.LBB307_101:
	s_delay_alu instid0(SALU_CYCLE_1)
	s_or_b32 exec_lo, exec_lo, s5
.LBB307_102:
	s_delay_alu instid0(SALU_CYCLE_1)
	s_or_b32 exec_lo, exec_lo, s4
                                        ; implicit-def: $vgpr6
                                        ; implicit-def: $vgpr2_vgpr3
.LBB307_103:
	s_and_not1_saveexec_b32 s3, s3
	s_cbranch_execz .LBB307_121
; %bb.104:
	s_mov_b32 s4, exec_lo
                                        ; implicit-def: $vgpr4
	v_cmpx_lt_i16_e32 0, v6
	s_xor_b32 s4, exec_lo, s4
	s_cbranch_execz .LBB307_112
; %bb.105:
	flat_load_i8 v2, v[2:3]
	s_wait_loadcnt_dscnt 0x101
	v_mov_b32_e32 v4, 0x80
	s_mov_b32 s5, exec_lo
	s_wait_loadcnt_dscnt 0x0
	v_cvt_f32_i32_e32 v2, v2
	s_delay_alu instid0(VALU_DEP_1) | instskip(NEXT) | instid1(VALU_DEP_1)
	v_and_b32_e32 v3, 0x7fffffff, v2
	v_cmpx_gt_u32_e32 0x43800000, v3
	s_cbranch_execz .LBB307_111
; %bb.106:
	v_cmp_lt_u32_e32 vcc_lo, 0x3bffffff, v3
	s_mov_b32 s6, 0
                                        ; implicit-def: $vgpr3
	s_and_saveexec_b32 s7, vcc_lo
	s_delay_alu instid0(SALU_CYCLE_1)
	s_xor_b32 s7, exec_lo, s7
	s_cbranch_execnz .LBB307_272
; %bb.107:
	s_and_not1_saveexec_b32 s7, s7
	s_cbranch_execnz .LBB307_273
.LBB307_108:
	s_or_b32 exec_lo, exec_lo, s7
	v_mov_b32_e32 v4, 0
	s_and_saveexec_b32 s7, s6
.LBB307_109:
	v_lshrrev_b32_e32 v2, 24, v2
	s_delay_alu instid0(VALU_DEP_1)
	v_and_or_b32 v4, 0x80, v2, v3
.LBB307_110:
	s_or_b32 exec_lo, exec_lo, s7
.LBB307_111:
	s_delay_alu instid0(SALU_CYCLE_1)
	s_or_b32 exec_lo, exec_lo, s5
                                        ; implicit-def: $vgpr2_vgpr3
.LBB307_112:
	s_and_not1_saveexec_b32 s4, s4
	s_cbranch_execz .LBB307_120
; %bb.113:
	flat_load_u8 v2, v[2:3]
	s_wait_loadcnt_dscnt 0x101
	v_mov_b32_e32 v4, 0x80
	s_mov_b32 s5, exec_lo
	s_wait_loadcnt_dscnt 0x0
	v_cvt_f32_ubyte0_e32 v3, v2
	s_delay_alu instid0(VALU_DEP_1)
	v_cmpx_gt_u32_e32 0x43800000, v3
	s_cbranch_execz .LBB307_119
; %bb.114:
	s_mov_b32 s6, 0
	s_mov_b32 s7, exec_lo
                                        ; implicit-def: $vgpr2
	v_cmpx_lt_u32_e32 0x3bffffff, v3
	s_xor_b32 s7, exec_lo, s7
	s_cbranch_execnz .LBB307_274
; %bb.115:
	s_and_not1_saveexec_b32 s7, s7
	s_cbranch_execnz .LBB307_275
.LBB307_116:
	s_or_b32 exec_lo, exec_lo, s7
	v_mov_b32_e32 v4, 0
	s_and_saveexec_b32 s7, s6
.LBB307_117:
	v_mov_b32_e32 v4, v2
.LBB307_118:
	s_or_b32 exec_lo, exec_lo, s7
.LBB307_119:
	s_delay_alu instid0(SALU_CYCLE_1)
	s_or_b32 exec_lo, exec_lo, s5
.LBB307_120:
	s_delay_alu instid0(SALU_CYCLE_1)
	s_or_b32 exec_lo, exec_lo, s4
.LBB307_121:
	s_delay_alu instid0(SALU_CYCLE_1)
	s_or_b32 exec_lo, exec_lo, s3
.LBB307_122:
	s_delay_alu instid0(SALU_CYCLE_1) | instskip(NEXT) | instid1(SALU_CYCLE_1)
	s_or_b32 exec_lo, exec_lo, s2
	s_or_b32 s1, s1, exec_lo
	s_or_b32 exec_lo, exec_lo, s0
                                        ; implicit-def: $sgpr2
	s_and_saveexec_b32 s0, s1
	s_cbranch_execz .LBB307_3
.LBB307_123:
	s_mov_b32 s1, exec_lo
                                        ; implicit-def: $sgpr2
	v_cmpx_ne_u32_e32 0, v0
	s_xor_b32 s1, exec_lo, s1
	s_cbranch_execz .LBB307_133
; %bb.124:
	v_and_b32_e32 v2, 0xff, v1
	s_mov_b32 s2, 0
	s_mov_b32 s3, exec_lo
	s_delay_alu instid0(VALU_DEP_1)
	v_cmpx_lt_i16_e32 0x7f, v2
	s_xor_b32 s3, exec_lo, s3
	s_cbranch_execnz .LBB307_248
; %bb.125:
	s_or_saveexec_b32 s3, s3
	v_mov_b32_e32 v0, 0x7f800001
	s_xor_b32 exec_lo, exec_lo, s3
	s_cbranch_execnz .LBB307_251
.LBB307_126:
	s_or_b32 exec_lo, exec_lo, s3
	s_and_saveexec_b32 s3, s2
	s_cbranch_execz .LBB307_128
.LBB307_127:
	v_and_b32_e32 v0, 7, v1
	v_lshrrev_b16 v3, 3, v1
	s_delay_alu instid0(VALU_DEP_2) | instskip(NEXT) | instid1(VALU_DEP_1)
	v_clz_i32_u32_e32 v2, v0
	v_min_u32_e32 v2, 32, v2
	s_delay_alu instid0(VALU_DEP_3) | instskip(NEXT) | instid1(VALU_DEP_2)
	v_and_b32_e32 v3, 15, v3
	v_subrev_nc_u32_e32 v5, 28, v2
	v_sub_nc_u32_e32 v2, 29, v2
	s_delay_alu instid0(VALU_DEP_3) | instskip(NEXT) | instid1(VALU_DEP_2)
	v_cmp_eq_u32_e32 vcc_lo, 0, v3
	v_dual_cndmask_b32 v2, v3, v2 :: v_dual_lshlrev_b32 v5, v5, v1
	s_delay_alu instid0(VALU_DEP_1) | instskip(NEXT) | instid1(VALU_DEP_2)
	v_and_b32_e32 v5, 7, v5
	v_lshl_add_u32 v2, v2, 23, 0x3b800000
	s_delay_alu instid0(VALU_DEP_2) | instskip(NEXT) | instid1(VALU_DEP_1)
	v_cndmask_b32_e32 v0, v0, v5, vcc_lo
	v_dual_lshlrev_b32 v1, 24, v1 :: v_dual_lshlrev_b32 v0, 20, v0
	s_delay_alu instid0(VALU_DEP_1) | instskip(NEXT) | instid1(VALU_DEP_1)
	v_and_b32_e32 v1, 0x80000000, v1
	v_or3_b32 v0, v1, v2, v0
.LBB307_128:
	s_or_b32 exec_lo, exec_lo, s3
	s_wait_loadcnt_dscnt 0x0
	v_and_b32_e32 v2, 0xff, v4
	s_mov_b32 s2, 0
	s_mov_b32 s3, exec_lo
	s_delay_alu instid0(VALU_DEP_1)
	v_cmpx_lt_i16_e32 0x7f, v2
	s_xor_b32 s3, exec_lo, s3
	s_cbranch_execnz .LBB307_252
; %bb.129:
	s_or_saveexec_b32 s3, s3
	v_mov_b32_e32 v1, 0x7f800001
	s_xor_b32 exec_lo, exec_lo, s3
	s_cbranch_execnz .LBB307_255
.LBB307_130:
	s_or_b32 exec_lo, exec_lo, s3
	s_and_saveexec_b32 s3, s2
	s_cbranch_execz .LBB307_132
.LBB307_131:
	v_and_b32_e32 v1, 7, v4
	v_lshrrev_b16 v3, 3, v4
	s_delay_alu instid0(VALU_DEP_2) | instskip(NEXT) | instid1(VALU_DEP_1)
	v_clz_i32_u32_e32 v2, v1
	v_min_u32_e32 v2, 32, v2
	s_delay_alu instid0(VALU_DEP_3) | instskip(NEXT) | instid1(VALU_DEP_2)
	v_and_b32_e32 v3, 15, v3
	v_subrev_nc_u32_e32 v5, 28, v2
	v_sub_nc_u32_e32 v2, 29, v2
	s_delay_alu instid0(VALU_DEP_3) | instskip(NEXT) | instid1(VALU_DEP_3)
	v_cmp_eq_u32_e32 vcc_lo, 0, v3
	v_dual_lshlrev_b32 v5, v5, v4 :: v_dual_lshlrev_b32 v4, 24, v4
	s_delay_alu instid0(VALU_DEP_1) | instskip(NEXT) | instid1(VALU_DEP_2)
	v_dual_cndmask_b32 v2, v3, v2, vcc_lo :: v_dual_bitop2_b32 v5, 7, v5 bitop3:0x40
	v_and_b32_e32 v3, 0x80000000, v4
	s_delay_alu instid0(VALU_DEP_2) | instskip(NEXT) | instid1(VALU_DEP_3)
	v_cndmask_b32_e32 v1, v1, v5, vcc_lo
	v_lshl_add_u32 v2, v2, 23, 0x3b800000
	s_delay_alu instid0(VALU_DEP_2) | instskip(NEXT) | instid1(VALU_DEP_1)
	v_lshlrev_b32_e32 v1, 20, v1
	v_or3_b32 v1, v3, v2, v1
.LBB307_132:
	s_or_b32 exec_lo, exec_lo, s3
	s_delay_alu instid0(VALU_DEP_1)
	v_cmp_neq_f32_e64 s2, v0, v1
                                        ; implicit-def: $vgpr4
                                        ; implicit-def: $vgpr1
.LBB307_133:
	s_and_not1_saveexec_b32 s1, s1
	s_cbranch_execz .LBB307_3
; %bb.134:
	v_and_b32_e32 v2, 0xff, v1
	s_mov_b32 s1, 0
	s_mov_b32 s3, exec_lo
	s_delay_alu instid0(VALU_DEP_1)
	v_cmpx_lt_i16_e32 0x7f, v2
	s_xor_b32 s3, exec_lo, s3
	s_cbranch_execnz .LBB307_256
; %bb.135:
	s_or_saveexec_b32 s3, s3
	v_mov_b32_e32 v0, 0x7f800001
	s_xor_b32 exec_lo, exec_lo, s3
	s_cbranch_execnz .LBB307_259
.LBB307_136:
	s_or_b32 exec_lo, exec_lo, s3
	s_and_saveexec_b32 s3, s1
	s_cbranch_execz .LBB307_138
.LBB307_137:
	v_and_b32_e32 v0, 7, v1
	v_lshrrev_b16 v3, 3, v1
	s_delay_alu instid0(VALU_DEP_2) | instskip(NEXT) | instid1(VALU_DEP_1)
	v_clz_i32_u32_e32 v2, v0
	v_min_u32_e32 v2, 32, v2
	s_delay_alu instid0(VALU_DEP_3) | instskip(NEXT) | instid1(VALU_DEP_2)
	v_and_b32_e32 v3, 15, v3
	v_subrev_nc_u32_e32 v5, 28, v2
	v_sub_nc_u32_e32 v2, 29, v2
	s_delay_alu instid0(VALU_DEP_3) | instskip(NEXT) | instid1(VALU_DEP_2)
	v_cmp_eq_u32_e32 vcc_lo, 0, v3
	v_dual_cndmask_b32 v2, v3, v2 :: v_dual_lshlrev_b32 v5, v5, v1
	s_delay_alu instid0(VALU_DEP_1) | instskip(NEXT) | instid1(VALU_DEP_2)
	v_and_b32_e32 v5, 7, v5
	v_lshl_add_u32 v2, v2, 23, 0x3b800000
	s_delay_alu instid0(VALU_DEP_2) | instskip(NEXT) | instid1(VALU_DEP_1)
	v_cndmask_b32_e32 v0, v0, v5, vcc_lo
	v_dual_lshlrev_b32 v1, 24, v1 :: v_dual_lshlrev_b32 v0, 20, v0
	s_delay_alu instid0(VALU_DEP_1) | instskip(NEXT) | instid1(VALU_DEP_1)
	v_and_b32_e32 v1, 0x80000000, v1
	v_or3_b32 v0, v1, v2, v0
.LBB307_138:
	s_or_b32 exec_lo, exec_lo, s3
	s_wait_loadcnt_dscnt 0x0
	v_and_b32_e32 v2, 0xff, v4
	s_mov_b32 s1, 0
	s_mov_b32 s3, exec_lo
	s_delay_alu instid0(VALU_DEP_1)
	v_cmpx_lt_i16_e32 0x7f, v2
	s_xor_b32 s3, exec_lo, s3
	s_cbranch_execnz .LBB307_260
; %bb.139:
	s_or_saveexec_b32 s3, s3
	v_mov_b32_e32 v1, 0x7f800001
	s_xor_b32 exec_lo, exec_lo, s3
	s_cbranch_execnz .LBB307_263
.LBB307_140:
	s_or_b32 exec_lo, exec_lo, s3
	s_and_saveexec_b32 s3, s1
	s_cbranch_execz .LBB307_142
.LBB307_141:
	v_and_b32_e32 v1, 7, v4
	v_lshrrev_b16 v3, 3, v4
	s_delay_alu instid0(VALU_DEP_2) | instskip(NEXT) | instid1(VALU_DEP_1)
	v_clz_i32_u32_e32 v2, v1
	v_min_u32_e32 v2, 32, v2
	s_delay_alu instid0(VALU_DEP_3) | instskip(NEXT) | instid1(VALU_DEP_2)
	v_and_b32_e32 v3, 15, v3
	v_subrev_nc_u32_e32 v5, 28, v2
	v_sub_nc_u32_e32 v2, 29, v2
	s_delay_alu instid0(VALU_DEP_3) | instskip(NEXT) | instid1(VALU_DEP_3)
	v_cmp_eq_u32_e32 vcc_lo, 0, v3
	v_dual_lshlrev_b32 v5, v5, v4 :: v_dual_lshlrev_b32 v4, 24, v4
	s_delay_alu instid0(VALU_DEP_1) | instskip(NEXT) | instid1(VALU_DEP_2)
	v_dual_cndmask_b32 v2, v3, v2, vcc_lo :: v_dual_bitop2_b32 v5, 7, v5 bitop3:0x40
	v_and_b32_e32 v3, 0x80000000, v4
	s_delay_alu instid0(VALU_DEP_2) | instskip(NEXT) | instid1(VALU_DEP_3)
	v_cndmask_b32_e32 v1, v1, v5, vcc_lo
	v_lshl_add_u32 v2, v2, 23, 0x3b800000
	s_delay_alu instid0(VALU_DEP_2) | instskip(NEXT) | instid1(VALU_DEP_1)
	v_lshlrev_b32_e32 v1, 20, v1
	v_or3_b32 v1, v3, v2, v1
.LBB307_142:
	s_or_b32 exec_lo, exec_lo, s3
	s_delay_alu instid0(VALU_DEP_1) | instskip(SKIP_2) | instid1(SALU_CYCLE_1)
	v_cmp_eq_f32_e32 vcc_lo, v0, v1
	s_and_not1_b32 s1, s2, exec_lo
	s_and_b32 s2, vcc_lo, exec_lo
	s_or_b32 s2, s1, s2
	s_or_b32 exec_lo, exec_lo, s0
	v_cndmask_b32_e64 v0, 0, 1, s2
	s_set_pc_i64 s[30:31]
.LBB307_143:
	s_mov_b32 s5, 0
	s_mov_b32 s1, exec_lo
                                        ; implicit-def: $vgpr4
	v_cmpx_lt_i16_e32 28, v6
	s_xor_b32 s1, exec_lo, s1
	s_cbranch_execz .LBB307_177
; %bb.144:
	s_mov_b32 s6, 0
	s_mov_b32 s7, 0
	s_mov_b32 s4, exec_lo
                                        ; implicit-def: $vgpr4
	v_cmpx_lt_i16_e32 43, v6
	s_xor_b32 s4, exec_lo, s4
	s_cbranch_execz .LBB307_166
; %bb.145:
	s_mov_b32 s7, exec_lo
                                        ; implicit-def: $vgpr4
	v_cmpx_lt_i16_e32 45, v6
	s_xor_b32 s7, exec_lo, s7
	s_cbranch_execz .LBB307_155
; %bb.146:
	s_mov_b32 s8, -1
	s_mov_b32 s5, exec_lo
                                        ; implicit-def: $vgpr4
	v_cmpx_eq_u16_e32 46, v6
	s_cbranch_execz .LBB307_154
; %bb.147:
	flat_load_b32 v4, v[2:3]
	s_mov_b32 s6, exec_lo
	s_wait_loadcnt_dscnt 0x0
	v_dual_mov_b32 v4, 0x80 :: v_dual_lshlrev_b32 v5, 16, v4
	s_delay_alu instid0(VALU_DEP_1) | instskip(SKIP_1) | instid1(VALU_DEP_1)
	v_and_b32_e32 v6, 0x7fffffff, v5
	s_wait_xcnt 0x0
	v_cmpx_gt_u32_e32 0x43800000, v6
	s_cbranch_execz .LBB307_153
; %bb.148:
	v_cmp_lt_u32_e32 vcc_lo, 0x3bffffff, v6
	s_mov_b32 s8, 0
                                        ; implicit-def: $vgpr6
	s_and_saveexec_b32 s9, vcc_lo
	s_delay_alu instid0(SALU_CYCLE_1)
	s_xor_b32 s9, exec_lo, s9
	s_cbranch_execnz .LBB307_306
; %bb.149:
	s_and_not1_saveexec_b32 s9, s9
	s_cbranch_execnz .LBB307_307
.LBB307_150:
	s_or_b32 exec_lo, exec_lo, s9
	v_mov_b32_e32 v4, 0
	s_and_saveexec_b32 s9, s8
.LBB307_151:
	v_lshrrev_b32_e32 v4, 24, v5
	s_delay_alu instid0(VALU_DEP_1)
	v_and_or_b32 v4, 0x80, v4, v6
.LBB307_152:
	s_or_b32 exec_lo, exec_lo, s9
.LBB307_153:
	s_delay_alu instid0(SALU_CYCLE_1) | instskip(NEXT) | instid1(SALU_CYCLE_1)
	s_or_b32 exec_lo, exec_lo, s6
	s_mov_b32 s6, exec_lo
	s_xor_b32 s8, exec_lo, -1
.LBB307_154:
	s_or_b32 exec_lo, exec_lo, s5
	s_delay_alu instid0(SALU_CYCLE_1)
	s_and_b32 s6, s6, exec_lo
	s_and_b32 s5, s8, exec_lo
                                        ; implicit-def: $vgpr6
.LBB307_155:
	s_and_not1_saveexec_b32 s7, s7
	s_cbranch_execz .LBB307_165
; %bb.156:
	s_mov_b32 s9, -1
	s_mov_b32 s10, s6
	s_mov_b32 s8, exec_lo
                                        ; implicit-def: $vgpr4
	v_cmpx_eq_u16_e32 44, v6
	s_cbranch_execz .LBB307_164
; %bb.157:
	flat_load_u8 v4, v[2:3]
	s_mov_b32 s10, 0
	s_mov_b32 s9, exec_lo
	s_wait_loadcnt_dscnt 0x0
	v_lshlrev_b32_e32 v5, 23, v4
	v_cmp_ne_u32_e32 vcc_lo, 0xff, v4
	s_delay_alu instid0(VALU_DEP_2) | instskip(SKIP_2) | instid1(VALU_DEP_3)
	v_cndmask_b32_e32 v5, 0x7f800001, v5, vcc_lo
	v_cmp_ne_u32_e32 vcc_lo, 0, v4
	v_mov_b32_e32 v4, 0x80
	v_cndmask_b32_e32 v6, 0x400000, v5, vcc_lo
	s_wait_xcnt 0x0
	s_delay_alu instid0(VALU_DEP_1)
	v_cmpx_gt_u32_e32 0x43800000, v6
	s_cbranch_execz .LBB307_163
; %bb.158:
	s_mov_b32 s11, exec_lo
                                        ; implicit-def: $vgpr5
	v_cmpx_lt_u32_e32 0x3bffffff, v6
	s_xor_b32 s11, exec_lo, s11
	s_cbranch_execnz .LBB307_308
; %bb.159:
	s_and_not1_saveexec_b32 s11, s11
	s_cbranch_execnz .LBB307_309
.LBB307_160:
	s_or_b32 exec_lo, exec_lo, s11
	v_mov_b32_e32 v4, 0
	s_and_saveexec_b32 s11, s10
.LBB307_161:
	v_mov_b32_e32 v4, v5
.LBB307_162:
	s_or_b32 exec_lo, exec_lo, s11
.LBB307_163:
	s_delay_alu instid0(SALU_CYCLE_1) | instskip(NEXT) | instid1(SALU_CYCLE_1)
	s_or_b32 exec_lo, exec_lo, s9
	s_or_b32 s10, s6, exec_lo
	s_xor_b32 s9, exec_lo, -1
.LBB307_164:
	s_or_b32 exec_lo, exec_lo, s8
	s_delay_alu instid0(SALU_CYCLE_1)
	s_and_not1_b32 s6, s6, exec_lo
	s_and_b32 s8, s10, exec_lo
	s_and_not1_b32 s5, s5, exec_lo
	s_and_b32 s9, s9, exec_lo
	s_or_b32 s6, s6, s8
	s_or_b32 s5, s5, s9
.LBB307_165:
	s_or_b32 exec_lo, exec_lo, s7
	s_delay_alu instid0(SALU_CYCLE_1)
	s_and_b32 s7, s6, exec_lo
	s_and_b32 s6, s5, exec_lo
                                        ; implicit-def: $vgpr6
.LBB307_166:
	s_and_not1_saveexec_b32 s4, s4
	s_cbranch_execz .LBB307_176
; %bb.167:
	s_mov_b32 s8, -1
	s_mov_b32 s9, s7
	s_mov_b32 s5, exec_lo
                                        ; implicit-def: $vgpr4
	v_cmpx_eq_u16_e32 29, v6
	s_cbranch_execz .LBB307_175
; %bb.168:
	flat_load_b64 v[4:5], v[2:3]
	s_mov_b32 s8, exec_lo
	s_wait_loadcnt_dscnt 0x0
	v_clz_i32_u32_e32 v6, v5
	s_delay_alu instid0(VALU_DEP_1) | instskip(NEXT) | instid1(VALU_DEP_1)
	v_min_u32_e32 v6, 32, v6
	v_lshlrev_b64_e32 v[4:5], v6, v[4:5]
	s_delay_alu instid0(VALU_DEP_1) | instskip(NEXT) | instid1(VALU_DEP_1)
	v_min_u32_e32 v4, 1, v4
	v_dual_sub_nc_u32 v5, 32, v6 :: v_dual_bitop2_b32 v4, v5, v4 bitop3:0x54
	s_delay_alu instid0(VALU_DEP_1) | instskip(NEXT) | instid1(VALU_DEP_1)
	v_cvt_f32_u32_e32 v4, v4
	v_ldexp_f32 v6, v4, v5
	v_mov_b32_e32 v4, 0x80
	s_wait_xcnt 0x0
	s_delay_alu instid0(VALU_DEP_2)
	v_cmpx_gt_u32_e32 0x43800000, v6
	s_cbranch_execz .LBB307_174
; %bb.169:
	s_mov_b32 s9, 0
	s_mov_b32 s10, exec_lo
                                        ; implicit-def: $vgpr5
	v_cmpx_lt_u32_e32 0x3bffffff, v6
	s_xor_b32 s10, exec_lo, s10
	s_cbranch_execnz .LBB307_294
; %bb.170:
	s_and_not1_saveexec_b32 s10, s10
	s_cbranch_execnz .LBB307_295
.LBB307_171:
	s_or_b32 exec_lo, exec_lo, s10
	v_mov_b32_e32 v4, 0
	s_and_saveexec_b32 s10, s9
.LBB307_172:
	v_mov_b32_e32 v4, v5
.LBB307_173:
	s_or_b32 exec_lo, exec_lo, s10
.LBB307_174:
	s_delay_alu instid0(SALU_CYCLE_1) | instskip(NEXT) | instid1(SALU_CYCLE_1)
	s_or_b32 exec_lo, exec_lo, s8
	s_or_b32 s9, s7, exec_lo
	s_xor_b32 s8, exec_lo, -1
.LBB307_175:
	s_or_b32 exec_lo, exec_lo, s5
	s_delay_alu instid0(SALU_CYCLE_1)
	s_and_not1_b32 s5, s7, exec_lo
	s_and_b32 s7, s9, exec_lo
	s_and_not1_b32 s6, s6, exec_lo
	s_and_b32 s8, s8, exec_lo
	s_or_b32 s7, s5, s7
	s_or_b32 s6, s6, s8
.LBB307_176:
	s_or_b32 exec_lo, exec_lo, s4
	s_delay_alu instid0(SALU_CYCLE_1)
	s_and_b32 s5, s7, exec_lo
	s_and_b32 s4, s6, exec_lo
                                        ; implicit-def: $vgpr6
.LBB307_177:
	s_and_not1_saveexec_b32 s1, s1
	s_cbranch_execz .LBB307_199
; %bb.178:
	s_mov_b32 s6, exec_lo
                                        ; implicit-def: $vgpr4
	v_cmpx_lt_i16_e32 26, v6
	s_xor_b32 s6, exec_lo, s6
	s_cbranch_execz .LBB307_196
; %bb.179:
	s_mov_b32 s7, exec_lo
                                        ; implicit-def: $vgpr4
	v_cmpx_lt_i16_e32 27, v6
	s_xor_b32 s7, exec_lo, s7
	s_cbranch_execz .LBB307_187
; %bb.180:
	flat_load_b32 v4, v[2:3]
	s_mov_b32 s8, exec_lo
	s_wait_loadcnt_dscnt 0x0
	v_cvt_f32_u32_e32 v6, v4
	v_mov_b32_e32 v4, 0x80
	s_wait_xcnt 0x0
	s_delay_alu instid0(VALU_DEP_2)
	v_cmpx_gt_u32_e32 0x43800000, v6
	s_cbranch_execz .LBB307_186
; %bb.181:
	s_mov_b32 s9, 0
	s_mov_b32 s10, exec_lo
                                        ; implicit-def: $vgpr5
	v_cmpx_lt_u32_e32 0x3bffffff, v6
	s_xor_b32 s10, exec_lo, s10
	s_cbranch_execnz .LBB307_296
; %bb.182:
	s_and_not1_saveexec_b32 s10, s10
	s_cbranch_execnz .LBB307_297
.LBB307_183:
	s_or_b32 exec_lo, exec_lo, s10
	v_mov_b32_e32 v4, 0
	s_and_saveexec_b32 s10, s9
.LBB307_184:
	v_mov_b32_e32 v4, v5
.LBB307_185:
	s_or_b32 exec_lo, exec_lo, s10
.LBB307_186:
	s_delay_alu instid0(SALU_CYCLE_1)
	s_or_b32 exec_lo, exec_lo, s8
.LBB307_187:
	s_and_not1_saveexec_b32 s7, s7
	s_cbranch_execz .LBB307_195
; %bb.188:
	flat_load_u16 v4, v[2:3]
	s_mov_b32 s8, exec_lo
	s_wait_loadcnt_dscnt 0x0
	v_cvt_f32_u32_e32 v6, v4
	v_mov_b32_e32 v4, 0x80
	s_wait_xcnt 0x0
	s_delay_alu instid0(VALU_DEP_2)
	v_cmpx_gt_u32_e32 0x43800000, v6
	s_cbranch_execz .LBB307_194
; %bb.189:
	s_mov_b32 s9, 0
	s_mov_b32 s10, exec_lo
                                        ; implicit-def: $vgpr5
	v_cmpx_lt_u32_e32 0x3bffffff, v6
	s_xor_b32 s10, exec_lo, s10
	s_cbranch_execnz .LBB307_298
; %bb.190:
	s_and_not1_saveexec_b32 s10, s10
	s_cbranch_execnz .LBB307_299
.LBB307_191:
	s_or_b32 exec_lo, exec_lo, s10
	v_mov_b32_e32 v4, 0
	s_and_saveexec_b32 s10, s9
.LBB307_192:
	v_mov_b32_e32 v4, v5
.LBB307_193:
	s_or_b32 exec_lo, exec_lo, s10
.LBB307_194:
	s_delay_alu instid0(SALU_CYCLE_1)
	s_or_b32 exec_lo, exec_lo, s8
.LBB307_195:
	s_delay_alu instid0(SALU_CYCLE_1)
	s_or_b32 exec_lo, exec_lo, s7
.LBB307_196:
	s_and_not1_saveexec_b32 s6, s6
	s_cbranch_execz .LBB307_198
; %bb.197:
	flat_load_u8 v4, v[2:3]
.LBB307_198:
	s_wait_xcnt 0x0
	s_or_b32 exec_lo, exec_lo, s6
	s_delay_alu instid0(SALU_CYCLE_1)
	s_or_b32 s5, s5, exec_lo
.LBB307_199:
	s_or_b32 exec_lo, exec_lo, s1
	s_delay_alu instid0(SALU_CYCLE_1)
	s_and_b32 s1, s5, exec_lo
	s_and_b32 s4, s4, exec_lo
                                        ; implicit-def: $vgpr6
	s_and_not1_saveexec_b32 s3, s3
	s_cbranch_execz .LBB307_6
.LBB307_200:
	s_mov_b32 s5, s1
	s_mov_b32 s2, exec_lo
                                        ; implicit-def: $vgpr4
	v_cmpx_lt_i16_e32 22, v6
	s_xor_b32 s2, exec_lo, s2
	s_cbranch_execz .LBB307_232
; %bb.201:
	s_mov_b32 s5, exec_lo
                                        ; implicit-def: $vgpr4
	v_cmpx_lt_i16_e32 23, v6
	s_xor_b32 s5, exec_lo, s5
	s_cbranch_execz .LBB307_223
; %bb.202:
	;; [unrolled: 6-line block ×3, first 2 shown]
	s_wait_loadcnt_dscnt 0x0
	flat_load_u8 v4, v[2:3]
	s_mov_b32 s7, 0
	s_mov_b32 s8, exec_lo
	s_wait_loadcnt_dscnt 0x0
	v_cmpx_lt_i16_e32 0x7f, v4
	s_xor_b32 s8, exec_lo, s8
	s_cbranch_execnz .LBB307_276
; %bb.204:
	s_or_saveexec_b32 s8, s8
	v_mov_b32_e32 v5, 0x7f800001
	s_xor_b32 exec_lo, exec_lo, s8
	s_cbranch_execnz .LBB307_279
.LBB307_205:
	s_or_b32 exec_lo, exec_lo, s8
	s_and_saveexec_b32 s8, s7
	s_cbranch_execz .LBB307_207
.LBB307_206:
	v_and_b32_e32 v5, 0xffff, v4
	s_delay_alu instid0(VALU_DEP_1) | instskip(SKIP_1) | instid1(VALU_DEP_2)
	v_and_b32_e32 v6, 3, v5
	v_bfe_u32 v9, v5, 2, 5
	v_clz_i32_u32_e32 v7, v6
	s_delay_alu instid0(VALU_DEP_2) | instskip(NEXT) | instid1(VALU_DEP_2)
	v_cmp_eq_u32_e32 vcc_lo, 0, v9
	v_min_u32_e32 v7, 32, v7
	s_delay_alu instid0(VALU_DEP_1) | instskip(NEXT) | instid1(VALU_DEP_1)
	v_subrev_nc_u32_e32 v8, 29, v7
	v_dual_lshlrev_b32 v5, v8, v5 :: v_dual_sub_nc_u32 v7, 30, v7
	s_delay_alu instid0(VALU_DEP_1) | instskip(NEXT) | instid1(VALU_DEP_1)
	v_dual_lshlrev_b32 v4, 24, v4 :: v_dual_bitop2_b32 v5, 3, v5 bitop3:0x40
	v_dual_cndmask_b32 v7, v9, v7, vcc_lo :: v_dual_cndmask_b32 v5, v6, v5, vcc_lo
	s_delay_alu instid0(VALU_DEP_2) | instskip(NEXT) | instid1(VALU_DEP_2)
	v_and_b32_e32 v4, 0x80000000, v4
	v_lshl_add_u32 v6, v7, 23, 0x37800000
	s_delay_alu instid0(VALU_DEP_3) | instskip(NEXT) | instid1(VALU_DEP_1)
	v_lshlrev_b32_e32 v5, 21, v5
	v_or3_b32 v5, v4, v6, v5
.LBB307_207:
	s_or_b32 exec_lo, exec_lo, s8
	s_delay_alu instid0(VALU_DEP_1) | instskip(SKIP_2) | instid1(VALU_DEP_2)
	v_and_b32_e32 v6, 0x7fffffff, v5
	v_mov_b32_e32 v4, 0x80
	s_mov_b32 s7, exec_lo
	v_cmpx_gt_u32_e32 0x43800000, v6
	s_cbranch_execz .LBB307_213
; %bb.208:
	v_cmp_lt_u32_e32 vcc_lo, 0x3bffffff, v6
	s_mov_b32 s8, 0
                                        ; implicit-def: $vgpr6
	s_and_saveexec_b32 s9, vcc_lo
	s_delay_alu instid0(SALU_CYCLE_1)
	s_xor_b32 s9, exec_lo, s9
	s_cbranch_execnz .LBB307_300
; %bb.209:
	s_and_not1_saveexec_b32 s9, s9
	s_cbranch_execnz .LBB307_301
.LBB307_210:
	s_or_b32 exec_lo, exec_lo, s9
	v_mov_b32_e32 v4, 0
	s_and_saveexec_b32 s9, s8
.LBB307_211:
	v_lshrrev_b32_e32 v4, 24, v5
	s_delay_alu instid0(VALU_DEP_1)
	v_and_or_b32 v4, 0x80, v4, v6
.LBB307_212:
	s_or_b32 exec_lo, exec_lo, s9
.LBB307_213:
	s_delay_alu instid0(SALU_CYCLE_1)
	s_or_b32 exec_lo, exec_lo, s7
.LBB307_214:
	s_and_not1_saveexec_b32 s6, s6
	s_cbranch_execz .LBB307_222
; %bb.215:
	s_wait_loadcnt_dscnt 0x0
	flat_load_u8 v4, v[2:3]
	s_mov_b32 s8, 0
	s_mov_b32 s7, exec_lo
	s_wait_loadcnt_dscnt 0x0
	v_lshlrev_b32_e32 v4, 24, v4
	s_delay_alu instid0(VALU_DEP_1) | instskip(NEXT) | instid1(VALU_DEP_1)
	v_and_b32_e32 v5, 0x7f000000, v4
	v_clz_i32_u32_e32 v6, v5
	v_cmp_ne_u32_e32 vcc_lo, 0, v5
	v_add_nc_u32_e32 v8, 0x1000000, v5
	s_delay_alu instid0(VALU_DEP_3) | instskip(NEXT) | instid1(VALU_DEP_1)
	v_min_u32_e32 v6, 32, v6
	v_sub_nc_u32_e64 v6, v6, 4 clamp
	s_delay_alu instid0(VALU_DEP_1) | instskip(NEXT) | instid1(VALU_DEP_1)
	v_dual_lshlrev_b32 v7, v6, v5 :: v_dual_lshlrev_b32 v6, 23, v6
	v_lshrrev_b32_e32 v7, 4, v7
	s_delay_alu instid0(VALU_DEP_1) | instskip(NEXT) | instid1(VALU_DEP_1)
	v_dual_sub_nc_u32 v6, v7, v6 :: v_dual_ashrrev_i32 v7, 8, v8
	v_add_nc_u32_e32 v6, 0x3c000000, v6
	s_delay_alu instid0(VALU_DEP_1) | instskip(NEXT) | instid1(VALU_DEP_1)
	v_and_or_b32 v6, 0x7f800000, v7, v6
	v_cndmask_b32_e32 v7, 0, v6, vcc_lo
	s_delay_alu instid0(VALU_DEP_1) | instskip(SKIP_1) | instid1(VALU_DEP_2)
	v_and_or_b32 v5, 0x80000000, v4, v7
	v_mov_b32_e32 v4, 0x80
	v_and_b32_e32 v6, 0x7fffffff, v5
	s_wait_xcnt 0x0
	s_delay_alu instid0(VALU_DEP_1)
	v_cmpx_gt_u32_e32 0x43800000, v6
	s_cbranch_execz .LBB307_221
; %bb.216:
	v_cmp_lt_u32_e32 vcc_lo, 0x3bffffff, v6
                                        ; implicit-def: $vgpr6
	s_and_saveexec_b32 s9, vcc_lo
	s_delay_alu instid0(SALU_CYCLE_1)
	s_xor_b32 s9, exec_lo, s9
	s_cbranch_execnz .LBB307_302
; %bb.217:
	s_and_not1_saveexec_b32 s9, s9
	s_cbranch_execnz .LBB307_303
.LBB307_218:
	s_or_b32 exec_lo, exec_lo, s9
	v_mov_b32_e32 v4, 0
	s_and_saveexec_b32 s9, s8
.LBB307_219:
	v_lshrrev_b32_e32 v4, 24, v5
	s_delay_alu instid0(VALU_DEP_1)
	v_and_or_b32 v4, 0x80, v4, v6
.LBB307_220:
	s_or_b32 exec_lo, exec_lo, s9
.LBB307_221:
	s_delay_alu instid0(SALU_CYCLE_1)
	s_or_b32 exec_lo, exec_lo, s7
.LBB307_222:
	s_delay_alu instid0(SALU_CYCLE_1)
	s_or_b32 exec_lo, exec_lo, s6
.LBB307_223:
	s_and_not1_saveexec_b32 s5, s5
	s_cbranch_execz .LBB307_231
; %bb.224:
	s_wait_loadcnt_dscnt 0x0
	flat_load_u8 v4, v[2:3]
	s_mov_b32 s6, exec_lo
	s_wait_loadcnt_dscnt 0x0
	v_lshlrev_b32_e32 v5, 25, v4
	v_lshlrev_b16 v4, 8, v4
	s_delay_alu instid0(VALU_DEP_1) | instskip(SKIP_1) | instid1(VALU_DEP_2)
	v_and_or_b32 v7, 0x7f00, v4, 0.5
	v_bfe_i32 v4, v4, 0, 16
	v_dual_add_f32 v7, -0.5, v7 :: v_dual_lshrrev_b32 v6, 4, v5
	v_cmp_gt_u32_e32 vcc_lo, 0x8000000, v5
	s_delay_alu instid0(VALU_DEP_2) | instskip(NEXT) | instid1(VALU_DEP_1)
	v_or_b32_e32 v6, 0x70000000, v6
	v_mul_f32_e32 v6, 0x7800000, v6
	s_delay_alu instid0(VALU_DEP_1) | instskip(NEXT) | instid1(VALU_DEP_1)
	v_cndmask_b32_e32 v7, v6, v7, vcc_lo
	v_and_or_b32 v5, 0x80000000, v4, v7
	v_mov_b32_e32 v4, 0x80
	s_delay_alu instid0(VALU_DEP_2) | instskip(SKIP_1) | instid1(VALU_DEP_1)
	v_and_b32_e32 v6, 0x7fffffff, v5
	s_wait_xcnt 0x0
	v_cmpx_gt_u32_e32 0x43800000, v6
	s_cbranch_execz .LBB307_230
; %bb.225:
	v_cmp_lt_u32_e32 vcc_lo, 0x3bffffff, v6
	s_mov_b32 s7, 0
                                        ; implicit-def: $vgpr6
	s_and_saveexec_b32 s8, vcc_lo
	s_delay_alu instid0(SALU_CYCLE_1)
	s_xor_b32 s8, exec_lo, s8
	s_cbranch_execnz .LBB307_280
; %bb.226:
	s_and_not1_saveexec_b32 s8, s8
	s_cbranch_execnz .LBB307_281
.LBB307_227:
	s_or_b32 exec_lo, exec_lo, s8
	v_mov_b32_e32 v4, 0
	s_and_saveexec_b32 s8, s7
.LBB307_228:
	v_lshrrev_b32_e32 v4, 24, v5
	s_delay_alu instid0(VALU_DEP_1)
	v_and_or_b32 v4, 0x80, v4, v6
.LBB307_229:
	s_or_b32 exec_lo, exec_lo, s8
.LBB307_230:
	s_delay_alu instid0(SALU_CYCLE_1)
	s_or_b32 exec_lo, exec_lo, s6
.LBB307_231:
	s_delay_alu instid0(SALU_CYCLE_1) | instskip(NEXT) | instid1(SALU_CYCLE_1)
	s_or_b32 exec_lo, exec_lo, s5
	s_or_b32 s5, s1, exec_lo
                                        ; implicit-def: $vgpr6
.LBB307_232:
	s_or_saveexec_b32 s2, s2
	s_mov_b32 s6, 0
	s_mov_b32 s7, s4
	s_xor_b32 exec_lo, exec_lo, s2
	s_cbranch_execz .LBB307_246
; %bb.233:
	s_mov_b32 s7, s4
	s_mov_b32 s8, s5
	s_mov_b32 s6, exec_lo
                                        ; implicit-def: $vgpr4
	v_cmpx_lt_i16_e32 14, v6
	s_xor_b32 s6, exec_lo, s6
	s_cbranch_execz .LBB307_243
; %bb.234:
	s_mov_b32 s8, -1
	s_mov_b32 s9, s5
	s_mov_b32 s7, exec_lo
                                        ; implicit-def: $vgpr4
	v_cmpx_eq_u16_e32 15, v6
	s_cbranch_execz .LBB307_242
; %bb.235:
	flat_load_u16 v5, v[2:3]
	s_mov_b32 s8, exec_lo
	s_wait_loadcnt_dscnt 0x0
	v_dual_mov_b32 v4, 0x80 :: v_dual_lshlrev_b32 v7, 16, v5
	s_delay_alu instid0(VALU_DEP_1) | instskip(SKIP_1) | instid1(VALU_DEP_1)
	v_and_b32_e32 v6, 0x7fffffff, v7
	s_wait_xcnt 0x0
	v_cmpx_gt_u32_e32 0x43800000, v6
	s_cbranch_execz .LBB307_241
; %bb.236:
	v_cmp_lt_u32_e32 vcc_lo, 0x3bffffff, v6
	s_mov_b32 s9, 0
                                        ; implicit-def: $vgpr6
	s_and_saveexec_b32 s10, vcc_lo
	s_delay_alu instid0(SALU_CYCLE_1)
	s_xor_b32 s10, exec_lo, s10
	s_cbranch_execnz .LBB307_304
; %bb.237:
	s_and_not1_saveexec_b32 s10, s10
	s_cbranch_execnz .LBB307_305
.LBB307_238:
	s_or_b32 exec_lo, exec_lo, s10
	v_mov_b32_e32 v4, 0
	s_and_saveexec_b32 s10, s9
.LBB307_239:
	v_lshrrev_b32_e32 v4, 8, v5
	s_delay_alu instid0(VALU_DEP_1)
	v_and_or_b32 v4, 0x80, v4, v6
.LBB307_240:
	s_or_b32 exec_lo, exec_lo, s10
.LBB307_241:
	s_delay_alu instid0(SALU_CYCLE_1) | instskip(NEXT) | instid1(SALU_CYCLE_1)
	s_or_b32 exec_lo, exec_lo, s8
	s_or_b32 s9, s5, exec_lo
	s_xor_b32 s8, exec_lo, -1
.LBB307_242:
	s_or_b32 exec_lo, exec_lo, s7
	s_delay_alu instid0(SALU_CYCLE_1)
	s_and_not1_b32 s7, s5, exec_lo
	s_and_b32 s9, s9, exec_lo
	s_and_not1_b32 s10, s4, exec_lo
	s_and_b32 s11, s8, exec_lo
	s_or_b32 s8, s7, s9
	s_or_b32 s7, s10, s11
                                        ; implicit-def: $vgpr6
.LBB307_243:
	s_or_saveexec_b32 s6, s6
	s_mov_b32 s9, 0
	s_xor_b32 exec_lo, exec_lo, s6
; %bb.244:
	v_cmp_ne_u16_e32 vcc_lo, 11, v6
	s_and_not1_b32 s7, s7, exec_lo
	s_mov_b32 s9, exec_lo
	s_and_b32 s10, vcc_lo, exec_lo
	s_delay_alu instid0(SALU_CYCLE_1)
	s_or_b32 s7, s7, s10
; %bb.245:
	s_or_b32 exec_lo, exec_lo, s6
	s_delay_alu instid0(SALU_CYCLE_1)
	s_and_not1_b32 s5, s5, exec_lo
	s_and_b32 s6, s8, exec_lo
	s_and_not1_b32 s8, s4, exec_lo
	s_and_b32 s7, s7, exec_lo
	s_or_b32 s5, s5, s6
	s_and_b32 s6, s9, exec_lo
	s_or_b32 s7, s8, s7
.LBB307_246:
	s_or_b32 exec_lo, exec_lo, s2
	s_delay_alu instid0(SALU_CYCLE_1)
	s_and_not1_b32 s1, s1, exec_lo
	s_and_b32 s2, s5, exec_lo
	s_and_not1_b32 s4, s4, exec_lo
	s_and_b32 s5, s7, exec_lo
	s_or_b32 s1, s1, s2
	s_and_b32 s2, s6, exec_lo
	s_or_b32 s4, s4, s5
	s_or_b32 exec_lo, exec_lo, s3
	s_and_saveexec_b32 s3, s4
	s_cbranch_execz .LBB307_7
.LBB307_247:
	s_trap 2
	; divergent unreachable
	s_and_not1_b32 s2, s2, exec_lo
	s_or_b32 exec_lo, exec_lo, s3
	s_and_saveexec_b32 s3, s2
	s_delay_alu instid0(SALU_CYCLE_1)
	s_xor_b32 s2, exec_lo, s3
	s_cbranch_execnz .LBB307_8
	s_branch .LBB307_15
.LBB307_248:
	s_mov_b32 s2, -1
	s_mov_b32 s4, exec_lo
	v_cmpx_eq_u16_e32 0x80, v2
; %bb.249:
	s_xor_b32 s2, exec_lo, -1
; %bb.250:
	s_or_b32 exec_lo, exec_lo, s4
	s_delay_alu instid0(SALU_CYCLE_1)
	s_and_b32 s2, s2, exec_lo
                                        ; implicit-def: $vgpr2
	s_or_saveexec_b32 s3, s3
	v_mov_b32_e32 v0, 0x7f800001
	s_xor_b32 exec_lo, exec_lo, s3
	s_cbranch_execz .LBB307_126
.LBB307_251:
	v_cmp_ne_u16_e32 vcc_lo, 0, v2
	v_mov_b32_e32 v0, 0
	s_and_not1_b32 s2, s2, exec_lo
	s_and_b32 s4, vcc_lo, exec_lo
	s_delay_alu instid0(SALU_CYCLE_1)
	s_or_b32 s2, s2, s4
	s_or_b32 exec_lo, exec_lo, s3
	s_and_saveexec_b32 s3, s2
	s_cbranch_execnz .LBB307_127
	s_branch .LBB307_128
.LBB307_252:
	s_mov_b32 s2, -1
	s_mov_b32 s4, exec_lo
	v_cmpx_eq_u16_e32 0x80, v2
; %bb.253:
	s_xor_b32 s2, exec_lo, -1
; %bb.254:
	s_or_b32 exec_lo, exec_lo, s4
	s_delay_alu instid0(SALU_CYCLE_1)
	s_and_b32 s2, s2, exec_lo
                                        ; implicit-def: $vgpr2
	s_or_saveexec_b32 s3, s3
	v_mov_b32_e32 v1, 0x7f800001
	s_xor_b32 exec_lo, exec_lo, s3
	s_cbranch_execz .LBB307_130
.LBB307_255:
	v_cmp_ne_u16_e32 vcc_lo, 0, v2
	v_mov_b32_e32 v1, 0
	s_and_not1_b32 s2, s2, exec_lo
	s_and_b32 s4, vcc_lo, exec_lo
	s_delay_alu instid0(SALU_CYCLE_1)
	s_or_b32 s2, s2, s4
	s_or_b32 exec_lo, exec_lo, s3
	s_and_saveexec_b32 s3, s2
	s_cbranch_execnz .LBB307_131
	s_branch .LBB307_132
.LBB307_256:
	s_mov_b32 s1, -1
	s_mov_b32 s4, exec_lo
	v_cmpx_eq_u16_e32 0x80, v2
; %bb.257:
	s_xor_b32 s1, exec_lo, -1
; %bb.258:
	s_or_b32 exec_lo, exec_lo, s4
	s_delay_alu instid0(SALU_CYCLE_1)
	s_and_b32 s1, s1, exec_lo
                                        ; implicit-def: $vgpr2
	s_or_saveexec_b32 s3, s3
	v_mov_b32_e32 v0, 0x7f800001
	s_xor_b32 exec_lo, exec_lo, s3
	s_cbranch_execz .LBB307_136
.LBB307_259:
	v_cmp_ne_u16_e32 vcc_lo, 0, v2
	v_mov_b32_e32 v0, 0
	s_and_not1_b32 s1, s1, exec_lo
	s_and_b32 s4, vcc_lo, exec_lo
	s_delay_alu instid0(SALU_CYCLE_1)
	s_or_b32 s1, s1, s4
	s_or_b32 exec_lo, exec_lo, s3
	s_and_saveexec_b32 s3, s1
	s_cbranch_execnz .LBB307_137
	s_branch .LBB307_138
.LBB307_260:
	s_mov_b32 s1, -1
	s_mov_b32 s4, exec_lo
	v_cmpx_eq_u16_e32 0x80, v2
; %bb.261:
	s_xor_b32 s1, exec_lo, -1
; %bb.262:
	s_or_b32 exec_lo, exec_lo, s4
	s_delay_alu instid0(SALU_CYCLE_1)
	s_and_b32 s1, s1, exec_lo
                                        ; implicit-def: $vgpr2
	s_or_saveexec_b32 s3, s3
	v_mov_b32_e32 v1, 0x7f800001
	s_xor_b32 exec_lo, exec_lo, s3
	s_cbranch_execz .LBB307_140
.LBB307_263:
	v_cmp_ne_u16_e32 vcc_lo, 0, v2
	v_mov_b32_e32 v1, 0
	s_and_not1_b32 s1, s1, exec_lo
	s_and_b32 s4, vcc_lo, exec_lo
	s_delay_alu instid0(SALU_CYCLE_1)
	s_or_b32 s1, s1, s4
	s_or_b32 exec_lo, exec_lo, s3
	s_and_saveexec_b32 s3, s1
	s_cbranch_execnz .LBB307_141
	s_branch .LBB307_142
.LBB307_264:
	v_bfe_u32 v2, v3, 20, 1
	s_mov_b32 s4, exec_lo
	s_delay_alu instid0(VALU_DEP_1) | instskip(NEXT) | instid1(VALU_DEP_1)
	v_add3_u32 v2, v3, v2, 0x487ffff
                                        ; implicit-def: $vgpr3
	v_lshrrev_b32_e32 v2, 20, v2
	s_and_not1_saveexec_b32 s5, s5
	s_cbranch_execz .LBB307_11
.LBB307_265:
	v_add_f32_e32 v2, 0x46000000, v3
	s_and_not1_b32 s4, s4, exec_lo
	s_delay_alu instid0(VALU_DEP_1) | instskip(NEXT) | instid1(VALU_DEP_1)
	v_and_b32_e32 v2, 0xff, v2
	v_cmp_ne_u32_e32 vcc_lo, 0, v2
	s_and_b32 s6, vcc_lo, exec_lo
	s_delay_alu instid0(SALU_CYCLE_1)
	s_or_b32 s4, s4, s6
	s_or_b32 exec_lo, exec_lo, s5
	v_mov_b32_e32 v4, 0
	s_and_saveexec_b32 s5, s4
	s_cbranch_execnz .LBB307_12
	s_branch .LBB307_13
.LBB307_266:
	v_bfe_u32 v3, v2, 20, 1
	s_mov_b32 s6, exec_lo
	s_delay_alu instid0(VALU_DEP_1) | instskip(NEXT) | instid1(VALU_DEP_1)
	v_add3_u32 v3, v2, v3, 0x487ffff
	v_lshrrev_b32_e32 v3, 20, v3
	s_and_not1_saveexec_b32 s7, s7
	s_cbranch_execz .LBB307_40
.LBB307_267:
	v_add_f32_e64 v3, 0x46000000, |v2|
	s_and_not1_b32 s6, s6, exec_lo
	s_delay_alu instid0(VALU_DEP_1) | instskip(NEXT) | instid1(VALU_DEP_1)
	v_and_b32_e32 v3, 0xff, v3
	v_cmp_ne_u32_e32 vcc_lo, 0, v3
	s_and_b32 s8, vcc_lo, exec_lo
	s_delay_alu instid0(SALU_CYCLE_1)
	s_or_b32 s6, s6, s8
	s_or_b32 exec_lo, exec_lo, s7
	v_mov_b32_e32 v4, 0
	s_and_saveexec_b32 s7, s6
	s_cbranch_execnz .LBB307_41
	s_branch .LBB307_42
.LBB307_268:
	v_bfe_u32 v3, v2, 20, 1
	s_mov_b32 s6, exec_lo
	s_delay_alu instid0(VALU_DEP_1) | instskip(NEXT) | instid1(VALU_DEP_1)
	v_add3_u32 v3, v2, v3, 0x487ffff
	v_lshrrev_b32_e32 v3, 20, v3
	s_and_not1_saveexec_b32 s7, s7
	s_cbranch_execz .LBB307_68
.LBB307_269:
	v_add_f32_e64 v3, 0x46000000, |v2|
	s_and_not1_b32 s6, s6, exec_lo
	s_delay_alu instid0(VALU_DEP_1) | instskip(NEXT) | instid1(VALU_DEP_1)
	v_and_b32_e32 v3, 0xff, v3
	v_cmp_ne_u32_e32 vcc_lo, 0, v3
	s_and_b32 s8, vcc_lo, exec_lo
	s_delay_alu instid0(SALU_CYCLE_1)
	s_or_b32 s6, s6, s8
	s_or_b32 exec_lo, exec_lo, s7
	v_mov_b32_e32 v4, 0
	s_and_saveexec_b32 s7, s6
	s_cbranch_execnz .LBB307_69
	s_branch .LBB307_70
.LBB307_270:
	v_bfe_u32 v3, v2, 20, 1
	s_mov_b32 s6, exec_lo
	s_delay_alu instid0(VALU_DEP_1) | instskip(NEXT) | instid1(VALU_DEP_1)
	v_add3_u32 v3, v2, v3, 0x487ffff
	v_lshrrev_b32_e32 v3, 20, v3
	s_and_not1_saveexec_b32 s7, s7
	s_cbranch_execz .LBB307_98
.LBB307_271:
	v_add_f32_e64 v3, 0x46000000, |v2|
	s_and_not1_b32 s6, s6, exec_lo
	s_delay_alu instid0(VALU_DEP_1) | instskip(NEXT) | instid1(VALU_DEP_1)
	v_and_b32_e32 v3, 0xff, v3
	v_cmp_ne_u32_e32 vcc_lo, 0, v3
	s_and_b32 s8, vcc_lo, exec_lo
	s_delay_alu instid0(SALU_CYCLE_1)
	s_or_b32 s6, s6, s8
	s_or_b32 exec_lo, exec_lo, s7
	v_mov_b32_e32 v4, 0
	s_and_saveexec_b32 s7, s6
	s_cbranch_execnz .LBB307_99
	s_branch .LBB307_100
.LBB307_272:
	v_bfe_u32 v3, v2, 20, 1
	s_mov_b32 s6, exec_lo
	s_delay_alu instid0(VALU_DEP_1) | instskip(NEXT) | instid1(VALU_DEP_1)
	v_add3_u32 v3, v2, v3, 0x487ffff
	v_lshrrev_b32_e32 v3, 20, v3
	s_and_not1_saveexec_b32 s7, s7
	s_cbranch_execz .LBB307_108
.LBB307_273:
	v_add_f32_e64 v3, 0x46000000, |v2|
	s_and_not1_b32 s6, s6, exec_lo
	s_delay_alu instid0(VALU_DEP_1) | instskip(NEXT) | instid1(VALU_DEP_1)
	v_and_b32_e32 v3, 0xff, v3
	v_cmp_ne_u32_e32 vcc_lo, 0, v3
	s_and_b32 s8, vcc_lo, exec_lo
	s_delay_alu instid0(SALU_CYCLE_1)
	s_or_b32 s6, s6, s8
	s_or_b32 exec_lo, exec_lo, s7
	v_mov_b32_e32 v4, 0
	s_and_saveexec_b32 s7, s6
	s_cbranch_execnz .LBB307_109
	s_branch .LBB307_110
.LBB307_274:
	v_bfe_u32 v2, v3, 20, 1
	s_mov_b32 s6, exec_lo
	s_delay_alu instid0(VALU_DEP_1) | instskip(NEXT) | instid1(VALU_DEP_1)
	v_add3_u32 v2, v3, v2, 0x487ffff
                                        ; implicit-def: $vgpr3
	v_lshrrev_b32_e32 v2, 20, v2
	s_and_not1_saveexec_b32 s7, s7
	s_cbranch_execz .LBB307_116
.LBB307_275:
	v_add_f32_e32 v2, 0x46000000, v3
	s_and_not1_b32 s6, s6, exec_lo
	s_delay_alu instid0(VALU_DEP_1) | instskip(NEXT) | instid1(VALU_DEP_1)
	v_and_b32_e32 v2, 0xff, v2
	v_cmp_ne_u32_e32 vcc_lo, 0, v2
	s_and_b32 s8, vcc_lo, exec_lo
	s_delay_alu instid0(SALU_CYCLE_1)
	s_or_b32 s6, s6, s8
	s_or_b32 exec_lo, exec_lo, s7
	v_mov_b32_e32 v4, 0
	s_and_saveexec_b32 s7, s6
	s_cbranch_execnz .LBB307_117
	s_branch .LBB307_118
.LBB307_276:
	s_mov_b32 s7, -1
	s_mov_b32 s9, exec_lo
	v_cmpx_eq_u16_e32 0x80, v4
; %bb.277:
	s_xor_b32 s7, exec_lo, -1
; %bb.278:
	s_or_b32 exec_lo, exec_lo, s9
	s_delay_alu instid0(SALU_CYCLE_1)
	s_and_b32 s7, s7, exec_lo
	s_or_saveexec_b32 s8, s8
	v_mov_b32_e32 v5, 0x7f800001
	s_xor_b32 exec_lo, exec_lo, s8
	s_cbranch_execz .LBB307_205
.LBB307_279:
	v_cmp_ne_u16_e32 vcc_lo, 0, v4
	v_mov_b32_e32 v5, 0
	s_and_not1_b32 s7, s7, exec_lo
	s_and_b32 s9, vcc_lo, exec_lo
	s_delay_alu instid0(SALU_CYCLE_1)
	s_or_b32 s7, s7, s9
	s_or_b32 exec_lo, exec_lo, s8
	s_and_saveexec_b32 s8, s7
	s_cbranch_execnz .LBB307_206
	s_branch .LBB307_207
.LBB307_280:
	v_bfe_u32 v4, v7, 20, 1
	s_mov_b32 s7, exec_lo
	s_delay_alu instid0(VALU_DEP_1) | instskip(NEXT) | instid1(VALU_DEP_1)
	v_add3_u32 v4, v5, v4, 0x487ffff
	v_lshrrev_b32_e32 v6, 20, v4
	s_and_not1_saveexec_b32 s8, s8
	s_cbranch_execz .LBB307_227
.LBB307_281:
	v_add_f32_e64 v4, 0x46000000, |v5|
	s_and_not1_b32 s7, s7, exec_lo
	s_delay_alu instid0(VALU_DEP_1) | instskip(NEXT) | instid1(VALU_DEP_1)
	v_and_b32_e32 v6, 0xff, v4
	v_cmp_ne_u32_e32 vcc_lo, 0, v6
	s_and_b32 s9, vcc_lo, exec_lo
	s_delay_alu instid0(SALU_CYCLE_1)
	s_or_b32 s7, s7, s9
	s_or_b32 exec_lo, exec_lo, s8
	v_mov_b32_e32 v4, 0
	s_and_saveexec_b32 s8, s7
	s_cbranch_execnz .LBB307_228
	s_branch .LBB307_229
.LBB307_282:
	v_bfe_u32 v3, v2, 20, 1
	s_mov_b32 s7, exec_lo
	s_delay_alu instid0(VALU_DEP_1) | instskip(NEXT) | instid1(VALU_DEP_1)
	v_add3_u32 v3, v2, v3, 0x487ffff
	v_lshrrev_b32_e32 v3, 20, v3
	s_and_not1_saveexec_b32 s8, s8
	s_cbranch_execz .LBB307_23
.LBB307_283:
	v_add_f32_e64 v3, 0x46000000, |v2|
	s_and_not1_b32 s7, s7, exec_lo
	s_delay_alu instid0(VALU_DEP_1) | instskip(NEXT) | instid1(VALU_DEP_1)
	v_and_b32_e32 v3, 0xff, v3
	v_cmp_ne_u32_e32 vcc_lo, 0, v3
	s_and_b32 s9, vcc_lo, exec_lo
	s_delay_alu instid0(SALU_CYCLE_1)
	s_or_b32 s7, s7, s9
	s_or_b32 exec_lo, exec_lo, s8
	v_mov_b32_e32 v4, 0
	s_and_saveexec_b32 s8, s7
	s_cbranch_execnz .LBB307_24
	s_branch .LBB307_25
.LBB307_284:
	v_bfe_u32 v3, v2, 20, 1
	s_mov_b32 s7, exec_lo
	s_delay_alu instid0(VALU_DEP_1) | instskip(NEXT) | instid1(VALU_DEP_1)
	v_add3_u32 v3, v2, v3, 0x487ffff
	v_lshrrev_b32_e32 v3, 20, v3
	s_and_not1_saveexec_b32 s8, s8
	s_cbranch_execz .LBB307_31
.LBB307_285:
	v_add_f32_e64 v3, 0x46000000, |v2|
	s_and_not1_b32 s7, s7, exec_lo
	s_delay_alu instid0(VALU_DEP_1) | instskip(NEXT) | instid1(VALU_DEP_1)
	v_and_b32_e32 v3, 0xff, v3
	v_cmp_ne_u32_e32 vcc_lo, 0, v3
	s_and_b32 s9, vcc_lo, exec_lo
	s_delay_alu instid0(SALU_CYCLE_1)
	s_or_b32 s7, s7, s9
	s_or_b32 exec_lo, exec_lo, s8
	v_mov_b32_e32 v4, 0
	s_and_saveexec_b32 s8, s7
	s_cbranch_execnz .LBB307_32
	s_branch .LBB307_33
.LBB307_286:
	v_bfe_u32 v3, v2, 20, 1
	s_mov_b32 s7, exec_lo
	s_delay_alu instid0(VALU_DEP_1) | instskip(NEXT) | instid1(VALU_DEP_1)
	v_add3_u32 v3, v2, v3, 0x487ffff
	v_lshrrev_b32_e32 v3, 20, v3
	s_and_not1_saveexec_b32 s8, s8
	s_cbranch_execz .LBB307_51
.LBB307_287:
	v_add_f32_e64 v3, 0x46000000, |v2|
	s_and_not1_b32 s7, s7, exec_lo
	s_delay_alu instid0(VALU_DEP_1) | instskip(NEXT) | instid1(VALU_DEP_1)
	v_and_b32_e32 v3, 0xff, v3
	v_cmp_ne_u32_e32 vcc_lo, 0, v3
	s_and_b32 s9, vcc_lo, exec_lo
	s_delay_alu instid0(SALU_CYCLE_1)
	s_or_b32 s7, s7, s9
	s_or_b32 exec_lo, exec_lo, s8
	v_mov_b32_e32 v4, 0
	s_and_saveexec_b32 s8, s7
	s_cbranch_execnz .LBB307_52
	s_branch .LBB307_53
.LBB307_288:
	v_bfe_u32 v3, v2, 20, 1
	s_mov_b32 s7, exec_lo
	s_delay_alu instid0(VALU_DEP_1) | instskip(NEXT) | instid1(VALU_DEP_1)
	v_add3_u32 v3, v2, v3, 0x487ffff
	v_lshrrev_b32_e32 v3, 20, v3
	s_and_not1_saveexec_b32 s8, s8
	s_cbranch_execz .LBB307_59
.LBB307_289:
	v_add_f32_e64 v3, 0x46000000, |v2|
	s_and_not1_b32 s7, s7, exec_lo
	s_delay_alu instid0(VALU_DEP_1) | instskip(NEXT) | instid1(VALU_DEP_1)
	v_and_b32_e32 v3, 0xff, v3
	v_cmp_ne_u32_e32 vcc_lo, 0, v3
	s_and_b32 s9, vcc_lo, exec_lo
	s_delay_alu instid0(SALU_CYCLE_1)
	s_or_b32 s7, s7, s9
	s_or_b32 exec_lo, exec_lo, s8
	v_mov_b32_e32 v4, 0
	s_and_saveexec_b32 s8, s7
	s_cbranch_execnz .LBB307_60
	s_branch .LBB307_61
.LBB307_290:
	v_bfe_u32 v3, v2, 20, 1
	s_mov_b32 s7, exec_lo
	s_delay_alu instid0(VALU_DEP_1) | instskip(NEXT) | instid1(VALU_DEP_1)
	v_add3_u32 v3, v2, v3, 0x487ffff
	v_lshrrev_b32_e32 v3, 20, v3
	s_and_not1_saveexec_b32 s8, s8
	s_cbranch_execz .LBB307_81
.LBB307_291:
	v_add_f32_e64 v3, 0x46000000, |v2|
	s_and_not1_b32 s7, s7, exec_lo
	s_delay_alu instid0(VALU_DEP_1) | instskip(NEXT) | instid1(VALU_DEP_1)
	v_and_b32_e32 v3, 0xff, v3
	v_cmp_ne_u32_e32 vcc_lo, 0, v3
	s_and_b32 s9, vcc_lo, exec_lo
	s_delay_alu instid0(SALU_CYCLE_1)
	s_or_b32 s7, s7, s9
	s_or_b32 exec_lo, exec_lo, s8
	v_mov_b32_e32 v4, 0
	s_and_saveexec_b32 s8, s7
	s_cbranch_execnz .LBB307_82
	s_branch .LBB307_83
.LBB307_292:
	v_bfe_u32 v3, v2, 20, 1
	s_mov_b32 s7, exec_lo
	s_delay_alu instid0(VALU_DEP_1) | instskip(NEXT) | instid1(VALU_DEP_1)
	v_add3_u32 v3, v2, v3, 0x487ffff
	v_lshrrev_b32_e32 v3, 20, v3
	s_and_not1_saveexec_b32 s8, s8
	s_cbranch_execz .LBB307_89
.LBB307_293:
	v_add_f32_e64 v3, 0x46000000, |v2|
	s_and_not1_b32 s7, s7, exec_lo
	s_delay_alu instid0(VALU_DEP_1) | instskip(NEXT) | instid1(VALU_DEP_1)
	v_and_b32_e32 v3, 0xff, v3
	v_cmp_ne_u32_e32 vcc_lo, 0, v3
	s_and_b32 s9, vcc_lo, exec_lo
	s_delay_alu instid0(SALU_CYCLE_1)
	s_or_b32 s7, s7, s9
	s_or_b32 exec_lo, exec_lo, s8
	v_mov_b32_e32 v4, 0
	s_and_saveexec_b32 s8, s7
	s_cbranch_execnz .LBB307_90
	s_branch .LBB307_91
.LBB307_294:
	v_bfe_u32 v4, v6, 20, 1
	s_mov_b32 s9, exec_lo
	s_delay_alu instid0(VALU_DEP_1) | instskip(NEXT) | instid1(VALU_DEP_1)
	v_add3_u32 v4, v6, v4, 0x487ffff
                                        ; implicit-def: $vgpr6
	v_lshrrev_b32_e32 v5, 20, v4
	s_and_not1_saveexec_b32 s10, s10
	s_cbranch_execz .LBB307_171
.LBB307_295:
	v_add_f32_e32 v4, 0x46000000, v6
	s_and_not1_b32 s9, s9, exec_lo
	s_delay_alu instid0(VALU_DEP_1) | instskip(NEXT) | instid1(VALU_DEP_1)
	v_and_b32_e32 v5, 0xff, v4
	v_cmp_ne_u32_e32 vcc_lo, 0, v5
	s_and_b32 s11, vcc_lo, exec_lo
	s_delay_alu instid0(SALU_CYCLE_1)
	s_or_b32 s9, s9, s11
	s_or_b32 exec_lo, exec_lo, s10
	v_mov_b32_e32 v4, 0
	s_and_saveexec_b32 s10, s9
	s_cbranch_execnz .LBB307_172
	s_branch .LBB307_173
.LBB307_296:
	v_bfe_u32 v4, v6, 20, 1
	s_mov_b32 s9, exec_lo
	s_delay_alu instid0(VALU_DEP_1) | instskip(NEXT) | instid1(VALU_DEP_1)
	v_add3_u32 v4, v6, v4, 0x487ffff
                                        ; implicit-def: $vgpr6
	v_lshrrev_b32_e32 v5, 20, v4
	s_and_not1_saveexec_b32 s10, s10
	s_cbranch_execz .LBB307_183
.LBB307_297:
	v_add_f32_e32 v4, 0x46000000, v6
	s_and_not1_b32 s9, s9, exec_lo
	s_delay_alu instid0(VALU_DEP_1) | instskip(NEXT) | instid1(VALU_DEP_1)
	v_and_b32_e32 v5, 0xff, v4
	v_cmp_ne_u32_e32 vcc_lo, 0, v5
	s_and_b32 s11, vcc_lo, exec_lo
	s_delay_alu instid0(SALU_CYCLE_1)
	s_or_b32 s9, s9, s11
	s_or_b32 exec_lo, exec_lo, s10
	v_mov_b32_e32 v4, 0
	s_and_saveexec_b32 s10, s9
	s_cbranch_execnz .LBB307_184
	s_branch .LBB307_185
.LBB307_298:
	v_bfe_u32 v4, v6, 20, 1
	s_mov_b32 s9, exec_lo
	s_delay_alu instid0(VALU_DEP_1) | instskip(NEXT) | instid1(VALU_DEP_1)
	v_add3_u32 v4, v6, v4, 0x487ffff
                                        ; implicit-def: $vgpr6
	v_lshrrev_b32_e32 v5, 20, v4
	s_and_not1_saveexec_b32 s10, s10
	s_cbranch_execz .LBB307_191
.LBB307_299:
	v_add_f32_e32 v4, 0x46000000, v6
	s_and_not1_b32 s9, s9, exec_lo
	s_delay_alu instid0(VALU_DEP_1) | instskip(NEXT) | instid1(VALU_DEP_1)
	v_and_b32_e32 v5, 0xff, v4
	v_cmp_ne_u32_e32 vcc_lo, 0, v5
	s_and_b32 s11, vcc_lo, exec_lo
	s_delay_alu instid0(SALU_CYCLE_1)
	s_or_b32 s9, s9, s11
	s_or_b32 exec_lo, exec_lo, s10
	v_mov_b32_e32 v4, 0
	s_and_saveexec_b32 s10, s9
	s_cbranch_execnz .LBB307_192
	s_branch .LBB307_193
.LBB307_300:
	v_bfe_u32 v4, v5, 20, 1
	s_mov_b32 s8, exec_lo
	s_delay_alu instid0(VALU_DEP_1) | instskip(NEXT) | instid1(VALU_DEP_1)
	v_add3_u32 v4, v5, v4, 0x487ffff
	v_lshrrev_b32_e32 v6, 20, v4
	s_and_not1_saveexec_b32 s9, s9
	s_cbranch_execz .LBB307_210
.LBB307_301:
	v_add_f32_e64 v4, 0x46000000, |v5|
	s_and_not1_b32 s8, s8, exec_lo
	s_delay_alu instid0(VALU_DEP_1) | instskip(NEXT) | instid1(VALU_DEP_1)
	v_and_b32_e32 v6, 0xff, v4
	v_cmp_ne_u32_e32 vcc_lo, 0, v6
	s_and_b32 s10, vcc_lo, exec_lo
	s_delay_alu instid0(SALU_CYCLE_1)
	s_or_b32 s8, s8, s10
	s_or_b32 exec_lo, exec_lo, s9
	v_mov_b32_e32 v4, 0
	s_and_saveexec_b32 s9, s8
	s_cbranch_execnz .LBB307_211
	s_branch .LBB307_212
.LBB307_302:
	v_bfe_u32 v4, v7, 20, 1
	s_mov_b32 s8, exec_lo
	s_delay_alu instid0(VALU_DEP_1) | instskip(NEXT) | instid1(VALU_DEP_1)
	v_add3_u32 v4, v5, v4, 0x487ffff
	v_lshrrev_b32_e32 v6, 20, v4
	s_and_not1_saveexec_b32 s9, s9
	s_cbranch_execz .LBB307_218
.LBB307_303:
	v_add_f32_e64 v4, 0x46000000, |v5|
	s_and_not1_b32 s8, s8, exec_lo
	s_delay_alu instid0(VALU_DEP_1) | instskip(NEXT) | instid1(VALU_DEP_1)
	v_and_b32_e32 v6, 0xff, v4
	v_cmp_ne_u32_e32 vcc_lo, 0, v6
	s_and_b32 s10, vcc_lo, exec_lo
	s_delay_alu instid0(SALU_CYCLE_1)
	s_or_b32 s8, s8, s10
	s_or_b32 exec_lo, exec_lo, s9
	v_mov_b32_e32 v4, 0
	s_and_saveexec_b32 s9, s8
	s_cbranch_execnz .LBB307_219
	s_branch .LBB307_220
.LBB307_304:
	v_bfe_u32 v4, v5, 4, 1
	s_mov_b32 s9, exec_lo
	s_delay_alu instid0(VALU_DEP_1) | instskip(NEXT) | instid1(VALU_DEP_1)
	v_add3_u32 v4, v7, v4, 0x487ffff
                                        ; implicit-def: $vgpr7
	v_lshrrev_b32_e32 v6, 20, v4
	s_and_not1_saveexec_b32 s10, s10
	s_cbranch_execz .LBB307_238
.LBB307_305:
	v_add_f32_e64 v4, 0x46000000, |v7|
	s_and_not1_b32 s9, s9, exec_lo
	s_delay_alu instid0(VALU_DEP_1) | instskip(NEXT) | instid1(VALU_DEP_1)
	v_and_b32_e32 v6, 0xff, v4
	v_cmp_ne_u32_e32 vcc_lo, 0, v6
	s_and_b32 s11, vcc_lo, exec_lo
	s_delay_alu instid0(SALU_CYCLE_1)
	s_or_b32 s9, s9, s11
	s_or_b32 exec_lo, exec_lo, s10
	v_mov_b32_e32 v4, 0
	s_and_saveexec_b32 s10, s9
	s_cbranch_execnz .LBB307_239
	s_branch .LBB307_240
.LBB307_306:
	v_bfe_u32 v4, v5, 20, 1
	s_mov_b32 s8, exec_lo
	s_delay_alu instid0(VALU_DEP_1) | instskip(NEXT) | instid1(VALU_DEP_1)
	v_add3_u32 v4, v5, v4, 0x487ffff
	v_lshrrev_b32_e32 v6, 20, v4
	s_and_not1_saveexec_b32 s9, s9
	s_cbranch_execz .LBB307_150
.LBB307_307:
	v_add_f32_e64 v4, 0x46000000, |v5|
	s_and_not1_b32 s8, s8, exec_lo
	s_delay_alu instid0(VALU_DEP_1) | instskip(NEXT) | instid1(VALU_DEP_1)
	v_and_b32_e32 v6, 0xff, v4
	v_cmp_ne_u32_e32 vcc_lo, 0, v6
	s_and_b32 s10, vcc_lo, exec_lo
	s_delay_alu instid0(SALU_CYCLE_1)
	s_or_b32 s8, s8, s10
	s_or_b32 exec_lo, exec_lo, s9
	v_mov_b32_e32 v4, 0
	s_and_saveexec_b32 s9, s8
	s_cbranch_execnz .LBB307_151
	s_branch .LBB307_152
.LBB307_308:
	v_bfe_u32 v4, v6, 20, 1
	s_mov_b32 s10, exec_lo
	s_delay_alu instid0(VALU_DEP_1) | instskip(NEXT) | instid1(VALU_DEP_1)
	v_add3_u32 v4, v6, v4, 0x487ffff
                                        ; implicit-def: $vgpr6
	v_lshrrev_b32_e32 v5, 20, v4
	s_and_not1_saveexec_b32 s11, s11
	s_cbranch_execz .LBB307_160
.LBB307_309:
	v_add_f32_e32 v4, 0x46000000, v6
	s_and_not1_b32 s10, s10, exec_lo
	s_delay_alu instid0(VALU_DEP_1) | instskip(NEXT) | instid1(VALU_DEP_1)
	v_and_b32_e32 v5, 0xff, v4
	v_cmp_ne_u32_e32 vcc_lo, 0, v5
	s_and_b32 s12, vcc_lo, exec_lo
	s_delay_alu instid0(SALU_CYCLE_1)
	s_or_b32 s10, s10, s12
	s_or_b32 exec_lo, exec_lo, s11
	v_mov_b32_e32 v4, 0
	s_and_saveexec_b32 s11, s10
	s_cbranch_execnz .LBB307_161
	s_branch .LBB307_162
.Lfunc_end307:
	.size	_ZN2at6native6invokeINS0_13AUnaryFunctorIN3c1015Float8_e4m3fnuzES4_bNS0_12_GLOBAL__N_116CompareEqFunctorIS4_EEEEj15function_traitsIS8_EEENT1_11result_typeERKT_PrKPcPKT0_PKNS3_10ScalarTypeEi, .Lfunc_end307-_ZN2at6native6invokeINS0_13AUnaryFunctorIN3c1015Float8_e4m3fnuzES4_bNS0_12_GLOBAL__N_116CompareEqFunctorIS4_EEEEj15function_traitsIS8_EEENT1_11result_typeERKT_PrKPcPKT0_PKNS3_10ScalarTypeEi
                                        ; -- End function
	.set .L_ZN2at6native6invokeINS0_13AUnaryFunctorIN3c1015Float8_e4m3fnuzES4_bNS0_12_GLOBAL__N_116CompareEqFunctorIS4_EEEEj15function_traitsIS8_EEENT1_11result_typeERKT_PrKPcPKT0_PKNS3_10ScalarTypeEi.num_vgpr, 10
	.set .L_ZN2at6native6invokeINS0_13AUnaryFunctorIN3c1015Float8_e4m3fnuzES4_bNS0_12_GLOBAL__N_116CompareEqFunctorIS4_EEEEj15function_traitsIS8_EEENT1_11result_typeERKT_PrKPcPKT0_PKNS3_10ScalarTypeEi.num_agpr, 0
	.set .L_ZN2at6native6invokeINS0_13AUnaryFunctorIN3c1015Float8_e4m3fnuzES4_bNS0_12_GLOBAL__N_116CompareEqFunctorIS4_EEEEj15function_traitsIS8_EEENT1_11result_typeERKT_PrKPcPKT0_PKNS3_10ScalarTypeEi.numbered_sgpr, 32
	.set .L_ZN2at6native6invokeINS0_13AUnaryFunctorIN3c1015Float8_e4m3fnuzES4_bNS0_12_GLOBAL__N_116CompareEqFunctorIS4_EEEEj15function_traitsIS8_EEENT1_11result_typeERKT_PrKPcPKT0_PKNS3_10ScalarTypeEi.num_named_barrier, 0
	.set .L_ZN2at6native6invokeINS0_13AUnaryFunctorIN3c1015Float8_e4m3fnuzES4_bNS0_12_GLOBAL__N_116CompareEqFunctorIS4_EEEEj15function_traitsIS8_EEENT1_11result_typeERKT_PrKPcPKT0_PKNS3_10ScalarTypeEi.private_seg_size, 0
	.set .L_ZN2at6native6invokeINS0_13AUnaryFunctorIN3c1015Float8_e4m3fnuzES4_bNS0_12_GLOBAL__N_116CompareEqFunctorIS4_EEEEj15function_traitsIS8_EEENT1_11result_typeERKT_PrKPcPKT0_PKNS3_10ScalarTypeEi.uses_vcc, 1
	.set .L_ZN2at6native6invokeINS0_13AUnaryFunctorIN3c1015Float8_e4m3fnuzES4_bNS0_12_GLOBAL__N_116CompareEqFunctorIS4_EEEEj15function_traitsIS8_EEENT1_11result_typeERKT_PrKPcPKT0_PKNS3_10ScalarTypeEi.uses_flat_scratch, 0
	.set .L_ZN2at6native6invokeINS0_13AUnaryFunctorIN3c1015Float8_e4m3fnuzES4_bNS0_12_GLOBAL__N_116CompareEqFunctorIS4_EEEEj15function_traitsIS8_EEENT1_11result_typeERKT_PrKPcPKT0_PKNS3_10ScalarTypeEi.has_dyn_sized_stack, 0
	.set .L_ZN2at6native6invokeINS0_13AUnaryFunctorIN3c1015Float8_e4m3fnuzES4_bNS0_12_GLOBAL__N_116CompareEqFunctorIS4_EEEEj15function_traitsIS8_EEENT1_11result_typeERKT_PrKPcPKT0_PKNS3_10ScalarTypeEi.has_recursion, 0
	.set .L_ZN2at6native6invokeINS0_13AUnaryFunctorIN3c1015Float8_e4m3fnuzES4_bNS0_12_GLOBAL__N_116CompareEqFunctorIS4_EEEEj15function_traitsIS8_EEENT1_11result_typeERKT_PrKPcPKT0_PKNS3_10ScalarTypeEi.has_indirect_call, 0
	.section	.AMDGPU.csdata,"",@progbits
; Function info:
; codeLenInByte = 8040
; TotalNumSgprs: 34
; NumVgprs: 10
; ScratchSize: 0
; MemoryBound: 0
	.section	.text._ZN2at6native32elementwise_kernel_manual_unrollILi128ELi4EZNS0_15gpu_kernel_implINS0_13AUnaryFunctorIN3c1015Float8_e4m3fnuzES5_bNS0_12_GLOBAL__N_116CompareEqFunctorIS5_EEEEEEvRNS_18TensorIteratorBaseERKT_EUlibE0_EEviT1_,"axG",@progbits,_ZN2at6native32elementwise_kernel_manual_unrollILi128ELi4EZNS0_15gpu_kernel_implINS0_13AUnaryFunctorIN3c1015Float8_e4m3fnuzES5_bNS0_12_GLOBAL__N_116CompareEqFunctorIS5_EEEEEEvRNS_18TensorIteratorBaseERKT_EUlibE0_EEviT1_,comdat
	.globl	_ZN2at6native32elementwise_kernel_manual_unrollILi128ELi4EZNS0_15gpu_kernel_implINS0_13AUnaryFunctorIN3c1015Float8_e4m3fnuzES5_bNS0_12_GLOBAL__N_116CompareEqFunctorIS5_EEEEEEvRNS_18TensorIteratorBaseERKT_EUlibE0_EEviT1_ ; -- Begin function _ZN2at6native32elementwise_kernel_manual_unrollILi128ELi4EZNS0_15gpu_kernel_implINS0_13AUnaryFunctorIN3c1015Float8_e4m3fnuzES5_bNS0_12_GLOBAL__N_116CompareEqFunctorIS5_EEEEEEvRNS_18TensorIteratorBaseERKT_EUlibE0_EEviT1_
	.p2align	8
	.type	_ZN2at6native32elementwise_kernel_manual_unrollILi128ELi4EZNS0_15gpu_kernel_implINS0_13AUnaryFunctorIN3c1015Float8_e4m3fnuzES5_bNS0_12_GLOBAL__N_116CompareEqFunctorIS5_EEEEEEvRNS_18TensorIteratorBaseERKT_EUlibE0_EEviT1_,@function
_ZN2at6native32elementwise_kernel_manual_unrollILi128ELi4EZNS0_15gpu_kernel_implINS0_13AUnaryFunctorIN3c1015Float8_e4m3fnuzES5_bNS0_12_GLOBAL__N_116CompareEqFunctorIS5_EEEEEEvRNS_18TensorIteratorBaseERKT_EUlibE0_EEviT1_: ; @_ZN2at6native32elementwise_kernel_manual_unrollILi128ELi4EZNS0_15gpu_kernel_implINS0_13AUnaryFunctorIN3c1015Float8_e4m3fnuzES5_bNS0_12_GLOBAL__N_116CompareEqFunctorIS5_EEEEEEvRNS_18TensorIteratorBaseERKT_EUlibE0_EEviT1_
; %bb.0:
	s_clause 0x1
	s_load_b32 s13, s[0:1], 0x8
	s_load_b32 s47, s[0:1], 0x0
	s_bfe_u32 s2, ttmp6, 0x4000c
	s_and_b32 s3, ttmp6, 15
	s_add_co_i32 s2, s2, 1
	s_getreg_b32 s4, hwreg(HW_REG_IB_STS2, 6, 4)
	s_mul_i32 s2, ttmp9, s2
	s_mov_b32 s39, 0
	s_add_co_i32 s3, s3, s2
	s_cmp_eq_u32 s4, 0
	s_add_nc_u64 s[28:29], s[0:1], 8
	s_cselect_b32 s2, ttmp9, s3
	s_mov_b32 s3, -1
	v_lshl_or_b32 v10, s2, 9, v0
	s_mov_b32 s20, 0
	s_mov_b32 s32, 0
	s_wait_xcnt 0x0
	s_mov_b32 s0, exec_lo
	v_or_b32_e32 v2, 0x180, v10
	s_wait_kmcnt 0x0
	s_add_co_i32 s33, s13, -1
	s_delay_alu instid0(SALU_CYCLE_1)
	s_cmp_gt_u32 s33, 1
	s_cselect_b32 s44, -1, 0
	v_cmpx_le_i32_e64 s47, v2
	s_xor_b32 s45, exec_lo, s0
	s_cbranch_execz .LBB308_570
; %bb.1:
	s_clause 0x4
	s_load_b128 s[20:23], s[28:29], 0x4
	s_load_b64 s[34:35], s[28:29], 0x14
	s_load_b96 s[36:38], s[28:29], 0x158
	s_load_b128 s[24:27], s[28:29], 0xc4
	s_load_b128 s[16:19], s[28:29], 0x148
	s_cmp_lg_u32 s13, 0
	s_mov_b32 s15, 0
	s_cselect_b32 s49, -1, 0
	s_min_u32 s48, s33, 15
	s_cmp_gt_u32 s13, 1
	s_add_nc_u64 s[42:43], s[28:29], 0xc4
	s_mov_b32 s41, s15
	s_cselect_b32 s46, -1, 0
	s_mov_b32 s50, exec_lo
	s_wait_kmcnt 0x0
	s_mov_b32 s14, s21
	s_mov_b32 s40, s34
	s_bfe_u32 s21, s38, 0x80008
	s_mov_b32 s34, s15
	v_cmpx_gt_i32_e64 s47, v10
	s_cbranch_execz .LBB308_138
; %bb.2:
	s_and_not1_b32 vcc_lo, exec_lo, s44
	s_cbranch_vccnz .LBB308_7
; %bb.3:
	s_and_not1_b32 vcc_lo, exec_lo, s49
	s_cbranch_vccnz .LBB308_8
; %bb.4:
	s_add_co_i32 s1, s48, 1
	s_cmp_eq_u32 s33, 2
	s_cbranch_scc1 .LBB308_9
; %bb.5:
	v_dual_mov_b32 v12, 0 :: v_dual_mov_b32 v13, 0
	v_mov_b32_e32 v0, v10
	s_and_b32 s0, s1, 28
	s_mov_b32 s6, 0
	s_mov_b64 s[2:3], s[28:29]
	s_mov_b64 s[4:5], s[42:43]
.LBB308_6:                              ; =>This Inner Loop Header: Depth=1
	s_clause 0x1
	s_load_b256 s[52:59], s[2:3], 0x4
	s_load_b128 s[8:11], s[2:3], 0x24
	s_load_b256 s[60:67], s[4:5], 0x0
	s_add_co_i32 s6, s6, 4
	s_wait_xcnt 0x0
	s_add_nc_u64 s[2:3], s[2:3], 48
	s_cmp_lg_u32 s0, s6
	s_add_nc_u64 s[4:5], s[4:5], 32
	s_wait_kmcnt 0x0
	v_mul_hi_u32 v1, s53, v0
	s_delay_alu instid0(VALU_DEP_1) | instskip(NEXT) | instid1(VALU_DEP_1)
	v_add_nc_u32_e32 v1, v0, v1
	v_lshrrev_b32_e32 v1, s54, v1
	s_delay_alu instid0(VALU_DEP_1) | instskip(NEXT) | instid1(VALU_DEP_1)
	v_mul_hi_u32 v2, s56, v1
	v_add_nc_u32_e32 v2, v1, v2
	s_delay_alu instid0(VALU_DEP_1) | instskip(NEXT) | instid1(VALU_DEP_1)
	v_lshrrev_b32_e32 v2, s57, v2
	v_mul_hi_u32 v3, s59, v2
	s_delay_alu instid0(VALU_DEP_1) | instskip(SKIP_1) | instid1(VALU_DEP_1)
	v_add_nc_u32_e32 v3, v2, v3
	v_mul_lo_u32 v4, v1, s52
	v_sub_nc_u32_e32 v0, v0, v4
	v_mul_lo_u32 v4, v2, s55
	s_delay_alu instid0(VALU_DEP_4) | instskip(NEXT) | instid1(VALU_DEP_3)
	v_lshrrev_b32_e32 v3, s8, v3
	v_mad_u32 v6, v0, s61, v13
	v_mad_u32 v0, v0, s60, v12
	s_delay_alu instid0(VALU_DEP_4) | instskip(NEXT) | instid1(VALU_DEP_4)
	v_sub_nc_u32_e32 v1, v1, v4
	v_mul_hi_u32 v5, s10, v3
	v_mul_lo_u32 v4, v3, s58
	s_delay_alu instid0(VALU_DEP_3) | instskip(SKIP_1) | instid1(VALU_DEP_3)
	v_mad_u32 v6, v1, s63, v6
	v_mad_u32 v1, v1, s62, v0
	v_dual_add_nc_u32 v5, v3, v5 :: v_dual_sub_nc_u32 v2, v2, v4
	s_delay_alu instid0(VALU_DEP_1) | instskip(NEXT) | instid1(VALU_DEP_2)
	v_lshrrev_b32_e32 v0, s11, v5
	v_mad_u32 v5, v2, s65, v6
	s_delay_alu instid0(VALU_DEP_4) | instskip(NEXT) | instid1(VALU_DEP_3)
	v_mad_u32 v1, v2, s64, v1
	v_mul_lo_u32 v4, v0, s9
	s_delay_alu instid0(VALU_DEP_1) | instskip(NEXT) | instid1(VALU_DEP_1)
	v_sub_nc_u32_e32 v2, v3, v4
	v_mad_u32 v13, v2, s67, v5
	s_delay_alu instid0(VALU_DEP_4)
	v_mad_u32 v12, v2, s66, v1
	s_cbranch_scc1 .LBB308_6
	s_branch .LBB308_10
.LBB308_7:
                                        ; implicit-def: $vgpr13
	s_branch .LBB308_14
.LBB308_8:
	v_dual_mov_b32 v13, 0 :: v_dual_mov_b32 v12, 0
	s_branch .LBB308_13
.LBB308_9:
	v_mov_b64_e32 v[12:13], 0
	v_mov_b32_e32 v0, v10
	s_mov_b32 s0, 0
.LBB308_10:
	s_and_b32 s4, s1, 3
	s_mov_b32 s1, 0
	s_cmp_eq_u32 s4, 0
	s_cbranch_scc1 .LBB308_13
; %bb.11:
	s_lshl_b32 s2, s0, 3
	s_mov_b32 s3, s1
	s_mul_u64 s[6:7], s[0:1], 12
	s_add_nc_u64 s[2:3], s[28:29], s[2:3]
	s_delay_alu instid0(SALU_CYCLE_1)
	s_add_nc_u64 s[0:1], s[2:3], 0xc4
	s_add_nc_u64 s[2:3], s[28:29], s[6:7]
.LBB308_12:                             ; =>This Inner Loop Header: Depth=1
	s_load_b96 s[8:10], s[2:3], 0x4
	s_load_b64 s[6:7], s[0:1], 0x0
	s_add_co_i32 s4, s4, -1
	s_wait_xcnt 0x0
	s_add_nc_u64 s[2:3], s[2:3], 12
	s_cmp_lg_u32 s4, 0
	s_add_nc_u64 s[0:1], s[0:1], 8
	s_wait_kmcnt 0x0
	v_mul_hi_u32 v1, s9, v0
	s_delay_alu instid0(VALU_DEP_1) | instskip(NEXT) | instid1(VALU_DEP_1)
	v_add_nc_u32_e32 v1, v0, v1
	v_lshrrev_b32_e32 v1, s10, v1
	s_delay_alu instid0(VALU_DEP_1) | instskip(NEXT) | instid1(VALU_DEP_1)
	v_mul_lo_u32 v2, v1, s8
	v_sub_nc_u32_e32 v0, v0, v2
	s_delay_alu instid0(VALU_DEP_1)
	v_mad_u32 v13, v0, s7, v13
	v_mad_u32 v12, v0, s6, v12
	v_mov_b32_e32 v0, v1
	s_cbranch_scc1 .LBB308_12
.LBB308_13:
	s_cbranch_execnz .LBB308_16
.LBB308_14:
	v_mov_b32_e32 v11, 0
	s_and_not1_b32 vcc_lo, exec_lo, s46
	s_delay_alu instid0(VALU_DEP_1) | instskip(NEXT) | instid1(VALU_DEP_1)
	v_mul_u64_e32 v[0:1], s[14:15], v[10:11]
	v_add_nc_u32_e32 v0, v10, v1
	s_delay_alu instid0(VALU_DEP_1) | instskip(NEXT) | instid1(VALU_DEP_1)
	v_lshrrev_b32_e32 v0, s22, v0
	v_mul_lo_u32 v1, v0, s20
	s_delay_alu instid0(VALU_DEP_1) | instskip(NEXT) | instid1(VALU_DEP_1)
	v_sub_nc_u32_e32 v1, v10, v1
	v_mul_lo_u32 v13, v1, s25
	v_mul_lo_u32 v12, v1, s24
	s_cbranch_vccnz .LBB308_16
; %bb.15:
	v_mov_b32_e32 v1, v11
	s_delay_alu instid0(VALU_DEP_1) | instskip(NEXT) | instid1(VALU_DEP_1)
	v_mul_u64_e32 v[2:3], s[40:41], v[0:1]
	v_add_nc_u32_e32 v1, v0, v3
	s_delay_alu instid0(VALU_DEP_1) | instskip(NEXT) | instid1(VALU_DEP_1)
	v_lshrrev_b32_e32 v1, s35, v1
	v_mul_lo_u32 v1, v1, s23
	s_delay_alu instid0(VALU_DEP_1) | instskip(NEXT) | instid1(VALU_DEP_1)
	v_sub_nc_u32_e32 v0, v0, v1
	v_mad_u32 v12, v0, s26, v12
	v_mad_u32 v13, v0, s27, v13
.LBB308_16:
	v_dual_mov_b32 v0, s36 :: v_dual_mov_b32 v1, s37
	v_dual_mov_b32 v2, s18 :: v_dual_mov_b32 v3, s19
	s_delay_alu instid0(VALU_DEP_3) | instskip(SKIP_2) | instid1(SALU_CYCLE_1)
	v_dual_mov_b32 v4, v13 :: v_dual_mov_b32 v5, s21
	s_get_pc_i64 s[0:1]
	s_add_nc_u64 s[0:1], s[0:1], _ZN2at6native6invokeINS0_13AUnaryFunctorIN3c1015Float8_e4m3fnuzES4_bNS0_12_GLOBAL__N_116CompareEqFunctorIS4_EEEEj15function_traitsIS8_EEENT1_11result_typeERKT_PrKPcPKT0_PKNS3_10ScalarTypeEi@rel64+4
	s_swap_pc_i64 s[30:31], s[0:1]
	v_dual_mov_b32 v13, 0 :: v_dual_bitop2_b32 v0, 1, v0 bitop3:0x40
	s_and_b32 s2, s38, 0xff
	s_delay_alu instid0(SALU_CYCLE_1) | instskip(NEXT) | instid1(VALU_DEP_1)
	s_cmp_lt_i32 s2, 11
	v_cmp_eq_u32_e64 s0, 1, v0
	s_delay_alu instid0(VALU_DEP_2)
	v_add_nc_u64_e32 v[0:1], s[16:17], v[12:13]
	s_cbranch_scc1 .LBB308_23
; %bb.17:
	s_and_b32 s3, 0xffff, s2
	s_delay_alu instid0(SALU_CYCLE_1)
	s_cmp_gt_i32 s3, 25
	s_cbranch_scc0 .LBB308_26
; %bb.18:
	s_cmp_gt_i32 s3, 28
	s_cbranch_scc0 .LBB308_27
; %bb.19:
	;; [unrolled: 3-line block ×4, first 2 shown]
	s_mov_b32 s5, 0
	s_mov_b32 s1, -1
	s_cmp_eq_u32 s3, 46
	s_mov_b32 s4, 0
	s_cbranch_scc0 .LBB308_30
; %bb.22:
	v_cndmask_b32_e64 v2, 0, 1.0, s0
	s_mov_b32 s4, -1
	s_mov_b32 s1, 0
	s_delay_alu instid0(VALU_DEP_1) | instskip(NEXT) | instid1(VALU_DEP_1)
	v_bfe_u32 v3, v2, 16, 1
	v_add3_u32 v2, v2, v3, 0x7fff
	s_delay_alu instid0(VALU_DEP_1)
	v_lshrrev_b32_e32 v2, 16, v2
	global_store_b32 v[0:1], v2, off
	s_branch .LBB308_30
.LBB308_23:
	s_mov_b32 s1, 0
	s_mov_b32 s4, 0
	s_cbranch_execnz .LBB308_98
.LBB308_24:
	s_and_not1_b32 vcc_lo, exec_lo, s4
	s_cbranch_vccnz .LBB308_136
.LBB308_25:
	v_add_nc_u32_e32 v10, 0x80, v10
	s_mov_b32 s0, -1
	s_branch .LBB308_137
.LBB308_26:
	s_mov_b32 s1, 0
	s_mov_b32 s4, 0
	s_cbranch_execnz .LBB308_57
	s_branch .LBB308_97
.LBB308_27:
	s_mov_b32 s5, -1
	s_mov_b32 s1, 0
	s_mov_b32 s4, 0
	s_branch .LBB308_40
.LBB308_28:
	s_mov_b32 s5, -1
	s_mov_b32 s1, 0
	s_mov_b32 s4, 0
	s_branch .LBB308_36
.LBB308_29:
	s_mov_b32 s5, -1
	s_mov_b32 s1, 0
	s_mov_b32 s4, 0
.LBB308_30:
	s_and_b32 vcc_lo, exec_lo, s5
	s_cbranch_vccz .LBB308_35
; %bb.31:
	s_cmp_eq_u32 s3, 44
	s_mov_b32 s1, -1
	s_cbranch_scc0 .LBB308_35
; %bb.32:
	v_cndmask_b32_e64 v4, 0, 1.0, s0
	s_mov_b32 s4, exec_lo
	s_wait_xcnt 0x0
	s_delay_alu instid0(VALU_DEP_1) | instskip(NEXT) | instid1(VALU_DEP_1)
	v_dual_mov_b32 v3, 0xff :: v_dual_lshrrev_b32 v2, 23, v4
	v_cmpx_ne_u32_e32 0xff, v2
; %bb.33:
	v_and_b32_e32 v3, 0x400000, v4
	v_and_or_b32 v4, 0x3fffff, v4, v2
	s_delay_alu instid0(VALU_DEP_2) | instskip(NEXT) | instid1(VALU_DEP_2)
	v_cmp_ne_u32_e32 vcc_lo, 0, v3
	v_cmp_ne_u32_e64 s1, 0, v4
	s_and_b32 s1, vcc_lo, s1
	s_delay_alu instid0(SALU_CYCLE_1) | instskip(NEXT) | instid1(VALU_DEP_1)
	v_cndmask_b32_e64 v3, 0, 1, s1
	v_add_nc_u32_e32 v3, v2, v3
; %bb.34:
	s_or_b32 exec_lo, exec_lo, s4
	s_mov_b32 s4, -1
	s_mov_b32 s1, 0
	global_store_b8 v[0:1], v3, off
.LBB308_35:
	s_mov_b32 s5, 0
.LBB308_36:
	s_delay_alu instid0(SALU_CYCLE_1)
	s_and_b32 vcc_lo, exec_lo, s5
	s_cbranch_vccz .LBB308_39
; %bb.37:
	s_cmp_eq_u32 s3, 29
	s_mov_b32 s1, -1
	s_cbranch_scc0 .LBB308_39
; %bb.38:
	s_mov_b32 s1, 0
	s_wait_xcnt 0x0
	v_cndmask_b32_e64 v2, 0, 1, s0
	v_mov_b32_e32 v3, s1
	s_mov_b32 s4, -1
	s_mov_b32 s5, 0
	global_store_b64 v[0:1], v[2:3], off
	s_branch .LBB308_40
.LBB308_39:
	s_mov_b32 s5, 0
.LBB308_40:
	s_delay_alu instid0(SALU_CYCLE_1)
	s_and_b32 vcc_lo, exec_lo, s5
	s_cbranch_vccz .LBB308_56
; %bb.41:
	s_cmp_lt_i32 s3, 27
	s_mov_b32 s4, -1
	s_cbranch_scc1 .LBB308_47
; %bb.42:
	s_cmp_gt_i32 s3, 27
	s_cbranch_scc0 .LBB308_44
; %bb.43:
	s_wait_xcnt 0x0
	v_cndmask_b32_e64 v2, 0, 1, s0
	s_mov_b32 s4, 0
	global_store_b32 v[0:1], v2, off
.LBB308_44:
	s_and_not1_b32 vcc_lo, exec_lo, s4
	s_cbranch_vccnz .LBB308_46
; %bb.45:
	s_wait_xcnt 0x0
	v_cndmask_b32_e64 v2, 0, 1, s0
	global_store_b16 v[0:1], v2, off
.LBB308_46:
	s_mov_b32 s4, 0
.LBB308_47:
	s_delay_alu instid0(SALU_CYCLE_1)
	s_and_not1_b32 vcc_lo, exec_lo, s4
	s_cbranch_vccnz .LBB308_55
; %bb.48:
	s_wait_xcnt 0x0
	v_cndmask_b32_e64 v3, 0, 1.0, s0
	v_mov_b32_e32 v4, 0x80
	s_mov_b32 s4, exec_lo
	s_delay_alu instid0(VALU_DEP_2)
	v_cmpx_gt_u32_e32 0x43800000, v3
	s_cbranch_execz .LBB308_54
; %bb.49:
	s_mov_b32 s5, 0
	s_mov_b32 s6, exec_lo
                                        ; implicit-def: $vgpr2
	v_cmpx_lt_u32_e32 0x3bffffff, v3
	s_xor_b32 s6, exec_lo, s6
	s_cbranch_execz .LBB308_169
; %bb.50:
	v_bfe_u32 v2, v3, 20, 1
	s_mov_b32 s5, exec_lo
	s_delay_alu instid0(VALU_DEP_1) | instskip(NEXT) | instid1(VALU_DEP_1)
	v_add3_u32 v2, v3, v2, 0x487ffff
                                        ; implicit-def: $vgpr3
	v_lshrrev_b32_e32 v2, 20, v2
	s_and_not1_saveexec_b32 s6, s6
	s_cbranch_execnz .LBB308_170
.LBB308_51:
	s_or_b32 exec_lo, exec_lo, s6
	v_mov_b32_e32 v4, 0
	s_and_saveexec_b32 s6, s5
.LBB308_52:
	v_mov_b32_e32 v4, v2
.LBB308_53:
	s_or_b32 exec_lo, exec_lo, s6
.LBB308_54:
	s_delay_alu instid0(SALU_CYCLE_1)
	s_or_b32 exec_lo, exec_lo, s4
	global_store_b8 v[0:1], v4, off
.LBB308_55:
	s_mov_b32 s4, -1
.LBB308_56:
	s_branch .LBB308_97
.LBB308_57:
	s_cmp_gt_i32 s3, 22
	s_mov_b32 s5, -1
	s_cbranch_scc0 .LBB308_89
; %bb.58:
	s_cmp_lt_i32 s3, 24
	s_mov_b32 s4, -1
	s_cbranch_scc1 .LBB308_78
; %bb.59:
	s_cmp_gt_i32 s3, 24
	s_cbranch_scc0 .LBB308_67
; %bb.60:
	s_wait_xcnt 0x0
	v_cndmask_b32_e64 v3, 0, 1.0, s0
	v_mov_b32_e32 v4, 0x80
	s_mov_b32 s4, exec_lo
	s_delay_alu instid0(VALU_DEP_2)
	v_cmpx_gt_u32_e32 0x47800000, v3
	s_cbranch_execz .LBB308_66
; %bb.61:
	s_mov_b32 s5, 0
	s_mov_b32 s6, exec_lo
                                        ; implicit-def: $vgpr2
	v_cmpx_lt_u32_e32 0x37ffffff, v3
	s_xor_b32 s6, exec_lo, s6
	s_cbranch_execz .LBB308_172
; %bb.62:
	v_bfe_u32 v2, v3, 21, 1
	s_mov_b32 s5, exec_lo
	s_delay_alu instid0(VALU_DEP_1) | instskip(NEXT) | instid1(VALU_DEP_1)
	v_add3_u32 v2, v3, v2, 0x88fffff
                                        ; implicit-def: $vgpr3
	v_lshrrev_b32_e32 v2, 21, v2
	s_and_not1_saveexec_b32 s6, s6
	s_cbranch_execnz .LBB308_173
.LBB308_63:
	s_or_b32 exec_lo, exec_lo, s6
	v_mov_b32_e32 v4, 0
	s_and_saveexec_b32 s6, s5
.LBB308_64:
	v_mov_b32_e32 v4, v2
.LBB308_65:
	s_or_b32 exec_lo, exec_lo, s6
.LBB308_66:
	s_delay_alu instid0(SALU_CYCLE_1)
	s_or_b32 exec_lo, exec_lo, s4
	s_mov_b32 s4, 0
	global_store_b8 v[0:1], v4, off
.LBB308_67:
	s_and_b32 vcc_lo, exec_lo, s4
	s_cbranch_vccz .LBB308_77
; %bb.68:
	s_wait_xcnt 0x0
	v_cndmask_b32_e64 v3, 0, 1.0, s0
	s_mov_b32 s4, exec_lo
                                        ; implicit-def: $vgpr2
	s_delay_alu instid0(VALU_DEP_1)
	v_cmpx_gt_u32_e32 0x43f00000, v3
	s_xor_b32 s4, exec_lo, s4
	s_cbranch_execz .LBB308_74
; %bb.69:
	s_mov_b32 s5, exec_lo
                                        ; implicit-def: $vgpr2
	v_cmpx_lt_u32_e32 0x3c7fffff, v3
	s_xor_b32 s5, exec_lo, s5
; %bb.70:
	v_bfe_u32 v2, v3, 20, 1
	s_delay_alu instid0(VALU_DEP_1) | instskip(NEXT) | instid1(VALU_DEP_1)
	v_add3_u32 v2, v3, v2, 0x407ffff
	v_and_b32_e32 v3, 0xff00000, v2
	v_lshrrev_b32_e32 v2, 20, v2
	s_delay_alu instid0(VALU_DEP_2) | instskip(NEXT) | instid1(VALU_DEP_2)
	v_cmp_ne_u32_e32 vcc_lo, 0x7f00000, v3
                                        ; implicit-def: $vgpr3
	v_cndmask_b32_e32 v2, 0x7e, v2, vcc_lo
; %bb.71:
	s_and_not1_saveexec_b32 s5, s5
; %bb.72:
	v_add_f32_e32 v2, 0x46800000, v3
; %bb.73:
	s_or_b32 exec_lo, exec_lo, s5
                                        ; implicit-def: $vgpr3
.LBB308_74:
	s_and_not1_saveexec_b32 s4, s4
; %bb.75:
	v_mov_b32_e32 v2, 0x7f
	v_cmp_lt_u32_e32 vcc_lo, 0x7f800000, v3
	s_delay_alu instid0(VALU_DEP_2)
	v_cndmask_b32_e32 v2, 0x7e, v2, vcc_lo
; %bb.76:
	s_or_b32 exec_lo, exec_lo, s4
	global_store_b8 v[0:1], v2, off
.LBB308_77:
	s_mov_b32 s4, 0
.LBB308_78:
	s_delay_alu instid0(SALU_CYCLE_1)
	s_and_not1_b32 vcc_lo, exec_lo, s4
	s_cbranch_vccnz .LBB308_88
; %bb.79:
	s_wait_xcnt 0x0
	v_cndmask_b32_e64 v3, 0, 1.0, s0
	s_mov_b32 s4, exec_lo
                                        ; implicit-def: $vgpr2
	s_delay_alu instid0(VALU_DEP_1)
	v_cmpx_gt_u32_e32 0x47800000, v3
	s_xor_b32 s4, exec_lo, s4
	s_cbranch_execz .LBB308_85
; %bb.80:
	s_mov_b32 s5, exec_lo
                                        ; implicit-def: $vgpr2
	v_cmpx_lt_u32_e32 0x387fffff, v3
	s_xor_b32 s5, exec_lo, s5
; %bb.81:
	v_bfe_u32 v2, v3, 21, 1
	s_delay_alu instid0(VALU_DEP_1) | instskip(NEXT) | instid1(VALU_DEP_1)
	v_add3_u32 v2, v3, v2, 0x80fffff
                                        ; implicit-def: $vgpr3
	v_lshrrev_b32_e32 v2, 21, v2
; %bb.82:
	s_and_not1_saveexec_b32 s5, s5
; %bb.83:
	v_add_f32_e32 v2, 0x43000000, v3
; %bb.84:
	s_or_b32 exec_lo, exec_lo, s5
                                        ; implicit-def: $vgpr3
.LBB308_85:
	s_and_not1_saveexec_b32 s4, s4
; %bb.86:
	v_mov_b32_e32 v2, 0x7f
	v_cmp_lt_u32_e32 vcc_lo, 0x7f800000, v3
	s_delay_alu instid0(VALU_DEP_2)
	v_cndmask_b32_e32 v2, 0x7c, v2, vcc_lo
; %bb.87:
	s_or_b32 exec_lo, exec_lo, s4
	global_store_b8 v[0:1], v2, off
.LBB308_88:
	s_mov_b32 s5, 0
	s_mov_b32 s4, -1
.LBB308_89:
	s_and_not1_b32 vcc_lo, exec_lo, s5
	s_cbranch_vccnz .LBB308_97
; %bb.90:
	s_cmp_gt_i32 s3, 14
	s_mov_b32 s5, -1
	s_cbranch_scc0 .LBB308_94
; %bb.91:
	s_cmp_eq_u32 s3, 15
	s_mov_b32 s1, -1
	s_cbranch_scc0 .LBB308_93
; %bb.92:
	s_wait_xcnt 0x0
	v_cndmask_b32_e64 v2, 0, 1.0, s0
	s_mov_b32 s4, -1
	s_mov_b32 s1, 0
	s_delay_alu instid0(VALU_DEP_1) | instskip(NEXT) | instid1(VALU_DEP_1)
	v_bfe_u32 v3, v2, 16, 1
	v_add3_u32 v2, v2, v3, 0x7fff
	global_store_d16_hi_b16 v[0:1], v2, off
.LBB308_93:
	s_mov_b32 s5, 0
.LBB308_94:
	s_delay_alu instid0(SALU_CYCLE_1)
	s_and_b32 vcc_lo, exec_lo, s5
	s_cbranch_vccz .LBB308_97
; %bb.95:
	s_cmp_eq_u32 s3, 11
	s_mov_b32 s1, -1
	s_cbranch_scc0 .LBB308_97
; %bb.96:
	s_wait_xcnt 0x0
	v_cndmask_b32_e64 v2, 0, 1, s0
	s_mov_b32 s4, -1
	s_mov_b32 s1, 0
	global_store_b8 v[0:1], v2, off
.LBB308_97:
	s_branch .LBB308_24
.LBB308_98:
	s_and_b32 s2, 0xffff, s2
	s_mov_b32 s3, -1
	s_cmp_lt_i32 s2, 5
	s_cbranch_scc1 .LBB308_119
; %bb.99:
	s_cmp_lt_i32 s2, 8
	s_cbranch_scc1 .LBB308_109
; %bb.100:
	;; [unrolled: 3-line block ×3, first 2 shown]
	s_cmp_gt_i32 s2, 9
	s_cbranch_scc0 .LBB308_103
; %bb.102:
	s_wait_xcnt 0x0
	v_cndmask_b32_e64 v2, 0, 1, s0
	v_mov_b32_e32 v4, 0
	s_mov_b32 s3, 0
	s_delay_alu instid0(VALU_DEP_2) | instskip(NEXT) | instid1(VALU_DEP_2)
	v_cvt_f64_u32_e32 v[2:3], v2
	v_mov_b32_e32 v5, v4
	global_store_b128 v[0:1], v[2:5], off
.LBB308_103:
	s_and_not1_b32 vcc_lo, exec_lo, s3
	s_cbranch_vccnz .LBB308_105
; %bb.104:
	s_wait_xcnt 0x0
	v_cndmask_b32_e64 v2, 0, 1.0, s0
	v_mov_b32_e32 v3, 0
	global_store_b64 v[0:1], v[2:3], off
.LBB308_105:
	s_mov_b32 s3, 0
.LBB308_106:
	s_delay_alu instid0(SALU_CYCLE_1)
	s_and_not1_b32 vcc_lo, exec_lo, s3
	s_cbranch_vccnz .LBB308_108
; %bb.107:
	s_wait_xcnt 0x0
	v_cndmask_b32_e64 v2, 0, 1.0, s0
	s_delay_alu instid0(VALU_DEP_1) | instskip(NEXT) | instid1(VALU_DEP_1)
	v_cvt_f16_f32_e32 v2, v2
	v_and_b32_e32 v2, 0xffff, v2
	global_store_b32 v[0:1], v2, off
.LBB308_108:
	s_mov_b32 s3, 0
.LBB308_109:
	s_delay_alu instid0(SALU_CYCLE_1)
	s_and_not1_b32 vcc_lo, exec_lo, s3
	s_cbranch_vccnz .LBB308_118
; %bb.110:
	s_cmp_lt_i32 s2, 6
	s_mov_b32 s3, -1
	s_cbranch_scc1 .LBB308_116
; %bb.111:
	s_cmp_gt_i32 s2, 6
	s_cbranch_scc0 .LBB308_113
; %bb.112:
	s_wait_xcnt 0x0
	v_cndmask_b32_e64 v2, 0, 1, s0
	s_mov_b32 s3, 0
	s_delay_alu instid0(VALU_DEP_1)
	v_cvt_f64_u32_e32 v[2:3], v2
	global_store_b64 v[0:1], v[2:3], off
.LBB308_113:
	s_and_not1_b32 vcc_lo, exec_lo, s3
	s_cbranch_vccnz .LBB308_115
; %bb.114:
	s_wait_xcnt 0x0
	v_cndmask_b32_e64 v2, 0, 1.0, s0
	global_store_b32 v[0:1], v2, off
.LBB308_115:
	s_mov_b32 s3, 0
.LBB308_116:
	s_delay_alu instid0(SALU_CYCLE_1)
	s_and_not1_b32 vcc_lo, exec_lo, s3
	s_cbranch_vccnz .LBB308_118
; %bb.117:
	s_wait_xcnt 0x0
	v_cndmask_b32_e64 v2, 0, 1.0, s0
	s_delay_alu instid0(VALU_DEP_1)
	v_cvt_f16_f32_e32 v2, v2
	global_store_b16 v[0:1], v2, off
.LBB308_118:
	s_mov_b32 s3, 0
.LBB308_119:
	s_delay_alu instid0(SALU_CYCLE_1)
	s_and_not1_b32 vcc_lo, exec_lo, s3
	s_cbranch_vccnz .LBB308_135
; %bb.120:
	s_cmp_lt_i32 s2, 2
	s_mov_b32 s3, -1
	s_cbranch_scc1 .LBB308_130
; %bb.121:
	s_cmp_lt_i32 s2, 3
	s_cbranch_scc1 .LBB308_127
; %bb.122:
	s_cmp_gt_i32 s2, 3
	s_cbranch_scc0 .LBB308_124
; %bb.123:
	s_mov_b32 s3, 0
	s_wait_xcnt 0x0
	v_cndmask_b32_e64 v2, 0, 1, s0
	v_mov_b32_e32 v3, s3
	global_store_b64 v[0:1], v[2:3], off
.LBB308_124:
	s_and_not1_b32 vcc_lo, exec_lo, s3
	s_cbranch_vccnz .LBB308_126
; %bb.125:
	s_wait_xcnt 0x0
	v_cndmask_b32_e64 v2, 0, 1, s0
	global_store_b32 v[0:1], v2, off
.LBB308_126:
	s_mov_b32 s3, 0
.LBB308_127:
	s_delay_alu instid0(SALU_CYCLE_1)
	s_and_not1_b32 vcc_lo, exec_lo, s3
	s_cbranch_vccnz .LBB308_129
; %bb.128:
	s_wait_xcnt 0x0
	v_cndmask_b32_e64 v2, 0, 1, s0
	global_store_b16 v[0:1], v2, off
.LBB308_129:
	s_mov_b32 s3, 0
.LBB308_130:
	s_delay_alu instid0(SALU_CYCLE_1)
	s_and_not1_b32 vcc_lo, exec_lo, s3
	s_cbranch_vccnz .LBB308_135
; %bb.131:
	s_cmp_gt_i32 s2, 0
	s_mov_b32 s2, -1
	s_cbranch_scc0 .LBB308_133
; %bb.132:
	s_wait_xcnt 0x0
	v_cndmask_b32_e64 v2, 0, 1, s0
	s_mov_b32 s2, 0
	global_store_b8 v[0:1], v2, off
.LBB308_133:
	s_and_not1_b32 vcc_lo, exec_lo, s2
	s_cbranch_vccnz .LBB308_135
; %bb.134:
	s_wait_xcnt 0x0
	v_cndmask_b32_e64 v2, 0, 1, s0
	global_store_b8 v[0:1], v2, off
.LBB308_135:
	s_branch .LBB308_25
.LBB308_136:
	s_mov_b32 s0, 0
                                        ; implicit-def: $vgpr10
.LBB308_137:
	s_and_b32 s34, s1, exec_lo
	s_or_not1_b32 s3, s0, exec_lo
.LBB308_138:
	s_wait_xcnt 0x0
	s_or_b32 exec_lo, exec_lo, s50
	s_mov_b32 s4, 0
                                        ; implicit-def: $sgpr1
                                        ; implicit-def: $sgpr2
                                        ; implicit-def: $vgpr0_vgpr1
	s_and_saveexec_b32 s50, s3
	s_cbranch_execz .LBB308_145
; %bb.139:
	s_mov_b32 s4, -1
	s_mov_b32 s51, s34
	s_mov_b32 s52, exec_lo
	v_cmpx_gt_i32_e64 s47, v10
	s_cbranch_execz .LBB308_284
; %bb.140:
	s_and_not1_b32 vcc_lo, exec_lo, s44
	s_cbranch_vccnz .LBB308_148
; %bb.141:
	s_and_not1_b32 vcc_lo, exec_lo, s49
	s_cbranch_vccnz .LBB308_149
; %bb.142:
	s_add_co_i32 s1, s48, 1
	s_cmp_eq_u32 s33, 2
	s_cbranch_scc1 .LBB308_150
; %bb.143:
	v_dual_mov_b32 v12, 0 :: v_dual_mov_b32 v13, 0
	v_mov_b32_e32 v0, v10
	s_and_b32 s0, s1, 28
	s_mov_b32 s6, 0
	s_mov_b64 s[2:3], s[28:29]
	s_mov_b64 s[4:5], s[42:43]
.LBB308_144:                            ; =>This Inner Loop Header: Depth=1
	s_clause 0x1
	s_load_b256 s[56:63], s[2:3], 0x4
	s_load_b128 s[8:11], s[2:3], 0x24
	s_load_b256 s[64:71], s[4:5], 0x0
	s_add_co_i32 s6, s6, 4
	s_wait_xcnt 0x0
	s_add_nc_u64 s[2:3], s[2:3], 48
	s_cmp_eq_u32 s0, s6
	s_add_nc_u64 s[4:5], s[4:5], 32
	s_wait_kmcnt 0x0
	v_mul_hi_u32 v1, s57, v0
	s_delay_alu instid0(VALU_DEP_1) | instskip(NEXT) | instid1(VALU_DEP_1)
	v_add_nc_u32_e32 v1, v0, v1
	v_lshrrev_b32_e32 v1, s58, v1
	s_delay_alu instid0(VALU_DEP_1) | instskip(NEXT) | instid1(VALU_DEP_1)
	v_mul_hi_u32 v2, s60, v1
	v_add_nc_u32_e32 v2, v1, v2
	s_delay_alu instid0(VALU_DEP_1) | instskip(NEXT) | instid1(VALU_DEP_1)
	v_lshrrev_b32_e32 v2, s61, v2
	v_mul_hi_u32 v3, s63, v2
	s_delay_alu instid0(VALU_DEP_1) | instskip(SKIP_1) | instid1(VALU_DEP_1)
	v_add_nc_u32_e32 v3, v2, v3
	v_mul_lo_u32 v4, v1, s56
	v_sub_nc_u32_e32 v0, v0, v4
	v_mul_lo_u32 v4, v2, s59
	s_delay_alu instid0(VALU_DEP_4) | instskip(NEXT) | instid1(VALU_DEP_3)
	v_lshrrev_b32_e32 v3, s8, v3
	v_mad_u32 v6, v0, s65, v13
	v_mad_u32 v0, v0, s64, v12
	s_delay_alu instid0(VALU_DEP_4) | instskip(NEXT) | instid1(VALU_DEP_4)
	v_sub_nc_u32_e32 v1, v1, v4
	v_mul_hi_u32 v5, s10, v3
	v_mul_lo_u32 v4, v3, s62
	s_delay_alu instid0(VALU_DEP_3) | instskip(SKIP_1) | instid1(VALU_DEP_3)
	v_mad_u32 v6, v1, s67, v6
	v_mad_u32 v1, v1, s66, v0
	v_dual_add_nc_u32 v5, v3, v5 :: v_dual_sub_nc_u32 v2, v2, v4
	s_delay_alu instid0(VALU_DEP_1) | instskip(NEXT) | instid1(VALU_DEP_2)
	v_lshrrev_b32_e32 v0, s11, v5
	v_mad_u32 v5, v2, s69, v6
	s_delay_alu instid0(VALU_DEP_4) | instskip(NEXT) | instid1(VALU_DEP_3)
	v_mad_u32 v1, v2, s68, v1
	v_mul_lo_u32 v4, v0, s9
	s_delay_alu instid0(VALU_DEP_1) | instskip(NEXT) | instid1(VALU_DEP_1)
	v_sub_nc_u32_e32 v2, v3, v4
	v_mad_u32 v13, v2, s71, v5
	s_delay_alu instid0(VALU_DEP_4)
	v_mad_u32 v12, v2, s70, v1
	s_cbranch_scc0 .LBB308_144
	s_branch .LBB308_151
.LBB308_145:
	s_or_b32 exec_lo, exec_lo, s50
	s_mov_b32 s0, 0
	s_and_saveexec_b32 s3, s34
	s_cbranch_execnz .LBB308_530
.LBB308_146:
	s_or_b32 exec_lo, exec_lo, s3
	s_and_saveexec_b32 s3, s15
	s_delay_alu instid0(SALU_CYCLE_1)
	s_xor_b32 s3, exec_lo, s3
	s_cbranch_execz .LBB308_531
.LBB308_147:
	v_cndmask_b32_e64 v2, 0, 1, s1
	global_store_b8 v[0:1], v2, off
	s_wait_xcnt 0x0
	s_or_b32 exec_lo, exec_lo, s3
	s_and_saveexec_b32 s3, s4
	s_delay_alu instid0(SALU_CYCLE_1)
	s_xor_b32 s3, exec_lo, s3
	s_cbranch_execz .LBB308_569
	s_branch .LBB308_532
.LBB308_148:
                                        ; implicit-def: $vgpr13
	s_branch .LBB308_155
.LBB308_149:
	v_dual_mov_b32 v13, 0 :: v_dual_mov_b32 v12, 0
	s_branch .LBB308_154
.LBB308_150:
	v_mov_b64_e32 v[12:13], 0
	v_mov_b32_e32 v0, v10
	s_mov_b32 s0, 0
.LBB308_151:
	s_and_b32 s4, s1, 3
	s_mov_b32 s1, 0
	s_cmp_eq_u32 s4, 0
	s_cbranch_scc1 .LBB308_154
; %bb.152:
	s_lshl_b32 s2, s0, 3
	s_mov_b32 s3, s1
	s_mul_u64 s[6:7], s[0:1], 12
	s_add_nc_u64 s[2:3], s[28:29], s[2:3]
	s_delay_alu instid0(SALU_CYCLE_1)
	s_add_nc_u64 s[0:1], s[2:3], 0xc4
	s_add_nc_u64 s[2:3], s[28:29], s[6:7]
.LBB308_153:                            ; =>This Inner Loop Header: Depth=1
	s_load_b96 s[8:10], s[2:3], 0x4
	s_load_b64 s[6:7], s[0:1], 0x0
	s_add_co_i32 s4, s4, -1
	s_wait_xcnt 0x0
	s_add_nc_u64 s[2:3], s[2:3], 12
	s_cmp_lg_u32 s4, 0
	s_add_nc_u64 s[0:1], s[0:1], 8
	s_wait_kmcnt 0x0
	v_mul_hi_u32 v1, s9, v0
	s_delay_alu instid0(VALU_DEP_1) | instskip(NEXT) | instid1(VALU_DEP_1)
	v_add_nc_u32_e32 v1, v0, v1
	v_lshrrev_b32_e32 v1, s10, v1
	s_delay_alu instid0(VALU_DEP_1) | instskip(NEXT) | instid1(VALU_DEP_1)
	v_mul_lo_u32 v2, v1, s8
	v_sub_nc_u32_e32 v0, v0, v2
	s_delay_alu instid0(VALU_DEP_1)
	v_mad_u32 v13, v0, s7, v13
	v_mad_u32 v12, v0, s6, v12
	v_mov_b32_e32 v0, v1
	s_cbranch_scc1 .LBB308_153
.LBB308_154:
	s_cbranch_execnz .LBB308_157
.LBB308_155:
	v_mov_b32_e32 v11, 0
	s_and_not1_b32 vcc_lo, exec_lo, s46
	s_delay_alu instid0(VALU_DEP_1) | instskip(NEXT) | instid1(VALU_DEP_1)
	v_mul_u64_e32 v[0:1], s[14:15], v[10:11]
	v_add_nc_u32_e32 v0, v10, v1
	s_delay_alu instid0(VALU_DEP_1) | instskip(NEXT) | instid1(VALU_DEP_1)
	v_lshrrev_b32_e32 v0, s22, v0
	v_mul_lo_u32 v1, v0, s20
	s_delay_alu instid0(VALU_DEP_1) | instskip(NEXT) | instid1(VALU_DEP_1)
	v_sub_nc_u32_e32 v1, v10, v1
	v_mul_lo_u32 v13, v1, s25
	v_mul_lo_u32 v12, v1, s24
	s_cbranch_vccnz .LBB308_157
; %bb.156:
	v_mov_b32_e32 v1, v11
	s_delay_alu instid0(VALU_DEP_1) | instskip(NEXT) | instid1(VALU_DEP_1)
	v_mul_u64_e32 v[2:3], s[40:41], v[0:1]
	v_add_nc_u32_e32 v1, v0, v3
	s_delay_alu instid0(VALU_DEP_1) | instskip(NEXT) | instid1(VALU_DEP_1)
	v_lshrrev_b32_e32 v1, s35, v1
	v_mul_lo_u32 v1, v1, s23
	s_delay_alu instid0(VALU_DEP_1) | instskip(NEXT) | instid1(VALU_DEP_1)
	v_sub_nc_u32_e32 v0, v0, v1
	v_mad_u32 v12, v0, s26, v12
	v_mad_u32 v13, v0, s27, v13
.LBB308_157:
	v_dual_mov_b32 v0, s36 :: v_dual_mov_b32 v1, s37
	v_dual_mov_b32 v2, s18 :: v_dual_mov_b32 v3, s19
	s_delay_alu instid0(VALU_DEP_3) | instskip(SKIP_2) | instid1(SALU_CYCLE_1)
	v_dual_mov_b32 v4, v13 :: v_dual_mov_b32 v5, s21
	s_get_pc_i64 s[0:1]
	s_add_nc_u64 s[0:1], s[0:1], _ZN2at6native6invokeINS0_13AUnaryFunctorIN3c1015Float8_e4m3fnuzES4_bNS0_12_GLOBAL__N_116CompareEqFunctorIS4_EEEEj15function_traitsIS8_EEENT1_11result_typeERKT_PrKPcPKT0_PKNS3_10ScalarTypeEi@rel64+4
	s_swap_pc_i64 s[30:31], s[0:1]
	v_dual_mov_b32 v13, 0 :: v_dual_bitop2_b32 v0, 1, v0 bitop3:0x40
	s_and_b32 s2, s38, 0xff
	s_delay_alu instid0(SALU_CYCLE_1) | instskip(NEXT) | instid1(VALU_DEP_1)
	s_cmp_lt_i32 s2, 11
	v_cmp_eq_u32_e64 s0, 1, v0
	s_delay_alu instid0(VALU_DEP_2)
	v_add_nc_u64_e32 v[0:1], s[16:17], v[12:13]
	s_cbranch_scc1 .LBB308_164
; %bb.158:
	s_and_b32 s3, 0xffff, s2
	s_delay_alu instid0(SALU_CYCLE_1)
	s_cmp_gt_i32 s3, 25
	s_cbranch_scc0 .LBB308_167
; %bb.159:
	s_cmp_gt_i32 s3, 28
	s_cbranch_scc0 .LBB308_168
; %bb.160:
	;; [unrolled: 3-line block ×4, first 2 shown]
	s_mov_b32 s5, 0
	s_mov_b32 s1, -1
	s_cmp_eq_u32 s3, 46
	s_mov_b32 s4, 0
	s_cbranch_scc0 .LBB308_175
; %bb.163:
	v_cndmask_b32_e64 v2, 0, 1.0, s0
	s_mov_b32 s4, -1
	s_mov_b32 s1, 0
	s_delay_alu instid0(VALU_DEP_1) | instskip(NEXT) | instid1(VALU_DEP_1)
	v_bfe_u32 v3, v2, 16, 1
	v_add3_u32 v2, v2, v3, 0x7fff
	s_delay_alu instid0(VALU_DEP_1)
	v_lshrrev_b32_e32 v2, 16, v2
	global_store_b32 v[0:1], v2, off
	s_branch .LBB308_175
.LBB308_164:
	s_mov_b32 s4, 0
	s_mov_b32 s1, s34
	s_cbranch_execnz .LBB308_244
.LBB308_165:
	s_and_not1_b32 vcc_lo, exec_lo, s4
	s_cbranch_vccnz .LBB308_282
.LBB308_166:
	v_add_nc_u32_e32 v10, 0x80, v10
	s_mov_b32 s0, -1
	s_branch .LBB308_283
.LBB308_167:
	s_mov_b32 s5, -1
	s_mov_b32 s4, 0
	s_mov_b32 s1, s34
	s_branch .LBB308_202
.LBB308_168:
	s_mov_b32 s5, -1
	s_mov_b32 s4, 0
	s_mov_b32 s1, s34
	s_branch .LBB308_185
.LBB308_169:
	s_and_not1_saveexec_b32 s6, s6
	s_cbranch_execz .LBB308_51
.LBB308_170:
	v_add_f32_e32 v2, 0x46000000, v3
	s_and_not1_b32 s5, s5, exec_lo
	s_delay_alu instid0(VALU_DEP_1) | instskip(NEXT) | instid1(VALU_DEP_1)
	v_and_b32_e32 v2, 0xff, v2
	v_cmp_ne_u32_e32 vcc_lo, 0, v2
	s_and_b32 s7, vcc_lo, exec_lo
	s_delay_alu instid0(SALU_CYCLE_1)
	s_or_b32 s5, s5, s7
	s_or_b32 exec_lo, exec_lo, s6
	v_mov_b32_e32 v4, 0
	s_and_saveexec_b32 s6, s5
	s_cbranch_execnz .LBB308_52
	s_branch .LBB308_53
.LBB308_171:
	s_mov_b32 s5, -1
	s_mov_b32 s4, 0
	s_mov_b32 s1, s34
	s_branch .LBB308_181
.LBB308_172:
	s_and_not1_saveexec_b32 s6, s6
	s_cbranch_execz .LBB308_63
.LBB308_173:
	v_add_f32_e32 v2, 0x42800000, v3
	s_and_not1_b32 s5, s5, exec_lo
	s_delay_alu instid0(VALU_DEP_1) | instskip(NEXT) | instid1(VALU_DEP_1)
	v_and_b32_e32 v2, 0xff, v2
	v_cmp_ne_u32_e32 vcc_lo, 0, v2
	s_and_b32 s7, vcc_lo, exec_lo
	s_delay_alu instid0(SALU_CYCLE_1)
	s_or_b32 s5, s5, s7
	s_or_b32 exec_lo, exec_lo, s6
	v_mov_b32_e32 v4, 0
	s_and_saveexec_b32 s6, s5
	s_cbranch_execnz .LBB308_64
	s_branch .LBB308_65
.LBB308_174:
	s_mov_b32 s5, -1
	s_mov_b32 s4, 0
	s_mov_b32 s1, s34
.LBB308_175:
	s_and_b32 vcc_lo, exec_lo, s5
	s_cbranch_vccz .LBB308_180
; %bb.176:
	s_cmp_eq_u32 s3, 44
	s_mov_b32 s1, -1
	s_cbranch_scc0 .LBB308_180
; %bb.177:
	v_cndmask_b32_e64 v4, 0, 1.0, s0
	s_mov_b32 s4, exec_lo
	s_wait_xcnt 0x0
	s_delay_alu instid0(VALU_DEP_1) | instskip(NEXT) | instid1(VALU_DEP_1)
	v_dual_mov_b32 v3, 0xff :: v_dual_lshrrev_b32 v2, 23, v4
	v_cmpx_ne_u32_e32 0xff, v2
; %bb.178:
	v_and_b32_e32 v3, 0x400000, v4
	v_and_or_b32 v4, 0x3fffff, v4, v2
	s_delay_alu instid0(VALU_DEP_2) | instskip(NEXT) | instid1(VALU_DEP_2)
	v_cmp_ne_u32_e32 vcc_lo, 0, v3
	v_cmp_ne_u32_e64 s1, 0, v4
	s_and_b32 s1, vcc_lo, s1
	s_delay_alu instid0(SALU_CYCLE_1) | instskip(NEXT) | instid1(VALU_DEP_1)
	v_cndmask_b32_e64 v3, 0, 1, s1
	v_add_nc_u32_e32 v3, v2, v3
; %bb.179:
	s_or_b32 exec_lo, exec_lo, s4
	s_mov_b32 s4, -1
	s_mov_b32 s1, 0
	global_store_b8 v[0:1], v3, off
.LBB308_180:
	s_mov_b32 s5, 0
.LBB308_181:
	s_delay_alu instid0(SALU_CYCLE_1)
	s_and_b32 vcc_lo, exec_lo, s5
	s_cbranch_vccz .LBB308_184
; %bb.182:
	s_cmp_eq_u32 s3, 29
	s_mov_b32 s1, -1
	s_cbranch_scc0 .LBB308_184
; %bb.183:
	s_mov_b32 s1, 0
	s_wait_xcnt 0x0
	v_cndmask_b32_e64 v2, 0, 1, s0
	v_mov_b32_e32 v3, s1
	s_mov_b32 s4, -1
	s_mov_b32 s5, 0
	global_store_b64 v[0:1], v[2:3], off
	s_branch .LBB308_185
.LBB308_184:
	s_mov_b32 s5, 0
.LBB308_185:
	s_delay_alu instid0(SALU_CYCLE_1)
	s_and_b32 vcc_lo, exec_lo, s5
	s_cbranch_vccz .LBB308_201
; %bb.186:
	s_cmp_lt_i32 s3, 27
	s_mov_b32 s4, -1
	s_cbranch_scc1 .LBB308_192
; %bb.187:
	s_cmp_gt_i32 s3, 27
	s_cbranch_scc0 .LBB308_189
; %bb.188:
	s_wait_xcnt 0x0
	v_cndmask_b32_e64 v2, 0, 1, s0
	s_mov_b32 s4, 0
	global_store_b32 v[0:1], v2, off
.LBB308_189:
	s_and_not1_b32 vcc_lo, exec_lo, s4
	s_cbranch_vccnz .LBB308_191
; %bb.190:
	s_wait_xcnt 0x0
	v_cndmask_b32_e64 v2, 0, 1, s0
	global_store_b16 v[0:1], v2, off
.LBB308_191:
	s_mov_b32 s4, 0
.LBB308_192:
	s_delay_alu instid0(SALU_CYCLE_1)
	s_and_not1_b32 vcc_lo, exec_lo, s4
	s_cbranch_vccnz .LBB308_200
; %bb.193:
	s_wait_xcnt 0x0
	v_cndmask_b32_e64 v3, 0, 1.0, s0
	v_mov_b32_e32 v4, 0x80
	s_mov_b32 s4, exec_lo
	s_delay_alu instid0(VALU_DEP_2)
	v_cmpx_gt_u32_e32 0x43800000, v3
	s_cbranch_execz .LBB308_199
; %bb.194:
	s_mov_b32 s5, 0
	s_mov_b32 s6, exec_lo
                                        ; implicit-def: $vgpr2
	v_cmpx_lt_u32_e32 0x3bffffff, v3
	s_xor_b32 s6, exec_lo, s6
	s_cbranch_execz .LBB308_311
; %bb.195:
	v_bfe_u32 v2, v3, 20, 1
	s_mov_b32 s5, exec_lo
	s_delay_alu instid0(VALU_DEP_1) | instskip(NEXT) | instid1(VALU_DEP_1)
	v_add3_u32 v2, v3, v2, 0x487ffff
                                        ; implicit-def: $vgpr3
	v_lshrrev_b32_e32 v2, 20, v2
	s_and_not1_saveexec_b32 s6, s6
	s_cbranch_execnz .LBB308_312
.LBB308_196:
	s_or_b32 exec_lo, exec_lo, s6
	v_mov_b32_e32 v4, 0
	s_and_saveexec_b32 s6, s5
.LBB308_197:
	v_mov_b32_e32 v4, v2
.LBB308_198:
	s_or_b32 exec_lo, exec_lo, s6
.LBB308_199:
	s_delay_alu instid0(SALU_CYCLE_1)
	s_or_b32 exec_lo, exec_lo, s4
	global_store_b8 v[0:1], v4, off
.LBB308_200:
	s_mov_b32 s4, -1
.LBB308_201:
	s_mov_b32 s5, 0
.LBB308_202:
	s_delay_alu instid0(SALU_CYCLE_1)
	s_and_b32 vcc_lo, exec_lo, s5
	s_cbranch_vccz .LBB308_243
; %bb.203:
	s_cmp_gt_i32 s3, 22
	s_mov_b32 s5, -1
	s_cbranch_scc0 .LBB308_235
; %bb.204:
	s_cmp_lt_i32 s3, 24
	s_mov_b32 s4, -1
	s_cbranch_scc1 .LBB308_224
; %bb.205:
	s_cmp_gt_i32 s3, 24
	s_cbranch_scc0 .LBB308_213
; %bb.206:
	s_wait_xcnt 0x0
	v_cndmask_b32_e64 v3, 0, 1.0, s0
	v_mov_b32_e32 v4, 0x80
	s_mov_b32 s4, exec_lo
	s_delay_alu instid0(VALU_DEP_2)
	v_cmpx_gt_u32_e32 0x47800000, v3
	s_cbranch_execz .LBB308_212
; %bb.207:
	s_mov_b32 s5, 0
	s_mov_b32 s6, exec_lo
                                        ; implicit-def: $vgpr2
	v_cmpx_lt_u32_e32 0x37ffffff, v3
	s_xor_b32 s6, exec_lo, s6
	s_cbranch_execz .LBB308_314
; %bb.208:
	v_bfe_u32 v2, v3, 21, 1
	s_mov_b32 s5, exec_lo
	s_delay_alu instid0(VALU_DEP_1) | instskip(NEXT) | instid1(VALU_DEP_1)
	v_add3_u32 v2, v3, v2, 0x88fffff
                                        ; implicit-def: $vgpr3
	v_lshrrev_b32_e32 v2, 21, v2
	s_and_not1_saveexec_b32 s6, s6
	s_cbranch_execnz .LBB308_315
.LBB308_209:
	s_or_b32 exec_lo, exec_lo, s6
	v_mov_b32_e32 v4, 0
	s_and_saveexec_b32 s6, s5
.LBB308_210:
	v_mov_b32_e32 v4, v2
.LBB308_211:
	s_or_b32 exec_lo, exec_lo, s6
.LBB308_212:
	s_delay_alu instid0(SALU_CYCLE_1)
	s_or_b32 exec_lo, exec_lo, s4
	s_mov_b32 s4, 0
	global_store_b8 v[0:1], v4, off
.LBB308_213:
	s_and_b32 vcc_lo, exec_lo, s4
	s_cbranch_vccz .LBB308_223
; %bb.214:
	s_wait_xcnt 0x0
	v_cndmask_b32_e64 v3, 0, 1.0, s0
	s_mov_b32 s4, exec_lo
                                        ; implicit-def: $vgpr2
	s_delay_alu instid0(VALU_DEP_1)
	v_cmpx_gt_u32_e32 0x43f00000, v3
	s_xor_b32 s4, exec_lo, s4
	s_cbranch_execz .LBB308_220
; %bb.215:
	s_mov_b32 s5, exec_lo
                                        ; implicit-def: $vgpr2
	v_cmpx_lt_u32_e32 0x3c7fffff, v3
	s_xor_b32 s5, exec_lo, s5
; %bb.216:
	v_bfe_u32 v2, v3, 20, 1
	s_delay_alu instid0(VALU_DEP_1) | instskip(NEXT) | instid1(VALU_DEP_1)
	v_add3_u32 v2, v3, v2, 0x407ffff
	v_and_b32_e32 v3, 0xff00000, v2
	v_lshrrev_b32_e32 v2, 20, v2
	s_delay_alu instid0(VALU_DEP_2) | instskip(NEXT) | instid1(VALU_DEP_2)
	v_cmp_ne_u32_e32 vcc_lo, 0x7f00000, v3
                                        ; implicit-def: $vgpr3
	v_cndmask_b32_e32 v2, 0x7e, v2, vcc_lo
; %bb.217:
	s_and_not1_saveexec_b32 s5, s5
; %bb.218:
	v_add_f32_e32 v2, 0x46800000, v3
; %bb.219:
	s_or_b32 exec_lo, exec_lo, s5
                                        ; implicit-def: $vgpr3
.LBB308_220:
	s_and_not1_saveexec_b32 s4, s4
; %bb.221:
	v_mov_b32_e32 v2, 0x7f
	v_cmp_lt_u32_e32 vcc_lo, 0x7f800000, v3
	s_delay_alu instid0(VALU_DEP_2)
	v_cndmask_b32_e32 v2, 0x7e, v2, vcc_lo
; %bb.222:
	s_or_b32 exec_lo, exec_lo, s4
	global_store_b8 v[0:1], v2, off
.LBB308_223:
	s_mov_b32 s4, 0
.LBB308_224:
	s_delay_alu instid0(SALU_CYCLE_1)
	s_and_not1_b32 vcc_lo, exec_lo, s4
	s_cbranch_vccnz .LBB308_234
; %bb.225:
	s_wait_xcnt 0x0
	v_cndmask_b32_e64 v3, 0, 1.0, s0
	s_mov_b32 s4, exec_lo
                                        ; implicit-def: $vgpr2
	s_delay_alu instid0(VALU_DEP_1)
	v_cmpx_gt_u32_e32 0x47800000, v3
	s_xor_b32 s4, exec_lo, s4
	s_cbranch_execz .LBB308_231
; %bb.226:
	s_mov_b32 s5, exec_lo
                                        ; implicit-def: $vgpr2
	v_cmpx_lt_u32_e32 0x387fffff, v3
	s_xor_b32 s5, exec_lo, s5
; %bb.227:
	v_bfe_u32 v2, v3, 21, 1
	s_delay_alu instid0(VALU_DEP_1) | instskip(NEXT) | instid1(VALU_DEP_1)
	v_add3_u32 v2, v3, v2, 0x80fffff
                                        ; implicit-def: $vgpr3
	v_lshrrev_b32_e32 v2, 21, v2
; %bb.228:
	s_and_not1_saveexec_b32 s5, s5
; %bb.229:
	v_add_f32_e32 v2, 0x43000000, v3
; %bb.230:
	s_or_b32 exec_lo, exec_lo, s5
                                        ; implicit-def: $vgpr3
.LBB308_231:
	s_and_not1_saveexec_b32 s4, s4
; %bb.232:
	v_mov_b32_e32 v2, 0x7f
	v_cmp_lt_u32_e32 vcc_lo, 0x7f800000, v3
	s_delay_alu instid0(VALU_DEP_2)
	v_cndmask_b32_e32 v2, 0x7c, v2, vcc_lo
; %bb.233:
	s_or_b32 exec_lo, exec_lo, s4
	global_store_b8 v[0:1], v2, off
.LBB308_234:
	s_mov_b32 s5, 0
	s_mov_b32 s4, -1
.LBB308_235:
	s_and_not1_b32 vcc_lo, exec_lo, s5
	s_cbranch_vccnz .LBB308_243
; %bb.236:
	s_cmp_gt_i32 s3, 14
	s_mov_b32 s5, -1
	s_cbranch_scc0 .LBB308_240
; %bb.237:
	s_cmp_eq_u32 s3, 15
	s_mov_b32 s1, -1
	s_cbranch_scc0 .LBB308_239
; %bb.238:
	s_wait_xcnt 0x0
	v_cndmask_b32_e64 v2, 0, 1.0, s0
	s_mov_b32 s4, -1
	s_mov_b32 s1, 0
	s_delay_alu instid0(VALU_DEP_1) | instskip(NEXT) | instid1(VALU_DEP_1)
	v_bfe_u32 v3, v2, 16, 1
	v_add3_u32 v2, v2, v3, 0x7fff
	global_store_d16_hi_b16 v[0:1], v2, off
.LBB308_239:
	s_mov_b32 s5, 0
.LBB308_240:
	s_delay_alu instid0(SALU_CYCLE_1)
	s_and_b32 vcc_lo, exec_lo, s5
	s_cbranch_vccz .LBB308_243
; %bb.241:
	s_cmp_eq_u32 s3, 11
	s_mov_b32 s1, -1
	s_cbranch_scc0 .LBB308_243
; %bb.242:
	s_wait_xcnt 0x0
	v_cndmask_b32_e64 v2, 0, 1, s0
	s_mov_b32 s4, -1
	s_mov_b32 s1, 0
	global_store_b8 v[0:1], v2, off
.LBB308_243:
	s_branch .LBB308_165
.LBB308_244:
	s_and_b32 s2, 0xffff, s2
	s_mov_b32 s3, -1
	s_cmp_lt_i32 s2, 5
	s_cbranch_scc1 .LBB308_265
; %bb.245:
	s_cmp_lt_i32 s2, 8
	s_cbranch_scc1 .LBB308_255
; %bb.246:
	;; [unrolled: 3-line block ×3, first 2 shown]
	s_cmp_gt_i32 s2, 9
	s_cbranch_scc0 .LBB308_249
; %bb.248:
	s_wait_xcnt 0x0
	v_cndmask_b32_e64 v2, 0, 1, s0
	v_mov_b32_e32 v4, 0
	s_mov_b32 s3, 0
	s_delay_alu instid0(VALU_DEP_2) | instskip(NEXT) | instid1(VALU_DEP_2)
	v_cvt_f64_u32_e32 v[2:3], v2
	v_mov_b32_e32 v5, v4
	global_store_b128 v[0:1], v[2:5], off
.LBB308_249:
	s_and_not1_b32 vcc_lo, exec_lo, s3
	s_cbranch_vccnz .LBB308_251
; %bb.250:
	s_wait_xcnt 0x0
	v_cndmask_b32_e64 v2, 0, 1.0, s0
	v_mov_b32_e32 v3, 0
	global_store_b64 v[0:1], v[2:3], off
.LBB308_251:
	s_mov_b32 s3, 0
.LBB308_252:
	s_delay_alu instid0(SALU_CYCLE_1)
	s_and_not1_b32 vcc_lo, exec_lo, s3
	s_cbranch_vccnz .LBB308_254
; %bb.253:
	s_wait_xcnt 0x0
	v_cndmask_b32_e64 v2, 0, 1.0, s0
	s_delay_alu instid0(VALU_DEP_1) | instskip(NEXT) | instid1(VALU_DEP_1)
	v_cvt_f16_f32_e32 v2, v2
	v_and_b32_e32 v2, 0xffff, v2
	global_store_b32 v[0:1], v2, off
.LBB308_254:
	s_mov_b32 s3, 0
.LBB308_255:
	s_delay_alu instid0(SALU_CYCLE_1)
	s_and_not1_b32 vcc_lo, exec_lo, s3
	s_cbranch_vccnz .LBB308_264
; %bb.256:
	s_cmp_lt_i32 s2, 6
	s_mov_b32 s3, -1
	s_cbranch_scc1 .LBB308_262
; %bb.257:
	s_cmp_gt_i32 s2, 6
	s_cbranch_scc0 .LBB308_259
; %bb.258:
	s_wait_xcnt 0x0
	v_cndmask_b32_e64 v2, 0, 1, s0
	s_mov_b32 s3, 0
	s_delay_alu instid0(VALU_DEP_1)
	v_cvt_f64_u32_e32 v[2:3], v2
	global_store_b64 v[0:1], v[2:3], off
.LBB308_259:
	s_and_not1_b32 vcc_lo, exec_lo, s3
	s_cbranch_vccnz .LBB308_261
; %bb.260:
	s_wait_xcnt 0x0
	v_cndmask_b32_e64 v2, 0, 1.0, s0
	global_store_b32 v[0:1], v2, off
.LBB308_261:
	s_mov_b32 s3, 0
.LBB308_262:
	s_delay_alu instid0(SALU_CYCLE_1)
	s_and_not1_b32 vcc_lo, exec_lo, s3
	s_cbranch_vccnz .LBB308_264
; %bb.263:
	s_wait_xcnt 0x0
	v_cndmask_b32_e64 v2, 0, 1.0, s0
	s_delay_alu instid0(VALU_DEP_1)
	v_cvt_f16_f32_e32 v2, v2
	global_store_b16 v[0:1], v2, off
.LBB308_264:
	s_mov_b32 s3, 0
.LBB308_265:
	s_delay_alu instid0(SALU_CYCLE_1)
	s_and_not1_b32 vcc_lo, exec_lo, s3
	s_cbranch_vccnz .LBB308_281
; %bb.266:
	s_cmp_lt_i32 s2, 2
	s_mov_b32 s3, -1
	s_cbranch_scc1 .LBB308_276
; %bb.267:
	s_cmp_lt_i32 s2, 3
	s_cbranch_scc1 .LBB308_273
; %bb.268:
	s_cmp_gt_i32 s2, 3
	s_cbranch_scc0 .LBB308_270
; %bb.269:
	s_mov_b32 s3, 0
	s_wait_xcnt 0x0
	v_cndmask_b32_e64 v2, 0, 1, s0
	v_mov_b32_e32 v3, s3
	global_store_b64 v[0:1], v[2:3], off
.LBB308_270:
	s_and_not1_b32 vcc_lo, exec_lo, s3
	s_cbranch_vccnz .LBB308_272
; %bb.271:
	s_wait_xcnt 0x0
	v_cndmask_b32_e64 v2, 0, 1, s0
	global_store_b32 v[0:1], v2, off
.LBB308_272:
	s_mov_b32 s3, 0
.LBB308_273:
	s_delay_alu instid0(SALU_CYCLE_1)
	s_and_not1_b32 vcc_lo, exec_lo, s3
	s_cbranch_vccnz .LBB308_275
; %bb.274:
	s_wait_xcnt 0x0
	v_cndmask_b32_e64 v2, 0, 1, s0
	global_store_b16 v[0:1], v2, off
.LBB308_275:
	s_mov_b32 s3, 0
.LBB308_276:
	s_delay_alu instid0(SALU_CYCLE_1)
	s_and_not1_b32 vcc_lo, exec_lo, s3
	s_cbranch_vccnz .LBB308_281
; %bb.277:
	s_cmp_gt_i32 s2, 0
	s_mov_b32 s2, -1
	s_cbranch_scc0 .LBB308_279
; %bb.278:
	s_wait_xcnt 0x0
	v_cndmask_b32_e64 v2, 0, 1, s0
	s_mov_b32 s2, 0
	global_store_b8 v[0:1], v2, off
.LBB308_279:
	s_and_not1_b32 vcc_lo, exec_lo, s2
	s_cbranch_vccnz .LBB308_281
; %bb.280:
	s_wait_xcnt 0x0
	v_cndmask_b32_e64 v2, 0, 1, s0
	global_store_b8 v[0:1], v2, off
.LBB308_281:
	s_branch .LBB308_166
.LBB308_282:
	s_mov_b32 s0, 0
                                        ; implicit-def: $vgpr10
.LBB308_283:
	s_and_not1_b32 s2, s34, exec_lo
	s_and_b32 s1, s1, exec_lo
	s_or_not1_b32 s4, s0, exec_lo
	s_or_b32 s51, s2, s1
.LBB308_284:
	s_wait_xcnt 0x0
	s_or_b32 exec_lo, exec_lo, s52
	s_mov_b32 s0, 0
	s_mov_b32 s3, 0
                                        ; implicit-def: $sgpr1
                                        ; implicit-def: $sgpr2
                                        ; implicit-def: $vgpr0_vgpr1
	s_and_saveexec_b32 s52, s4
	s_cbranch_execz .LBB308_529
; %bb.285:
	s_mov_b32 s4, -1
	s_mov_b32 s54, s51
	s_mov_b32 s53, exec_lo
	v_cmpx_gt_i32_e64 s47, v10
	s_cbranch_execz .LBB308_429
; %bb.286:
	s_and_not1_b32 vcc_lo, exec_lo, s44
	s_cbranch_vccnz .LBB308_291
; %bb.287:
	s_and_not1_b32 vcc_lo, exec_lo, s49
	s_cbranch_vccnz .LBB308_292
; %bb.288:
	s_add_co_i32 s1, s48, 1
	s_cmp_eq_u32 s33, 2
	s_cbranch_scc1 .LBB308_293
; %bb.289:
	v_dual_mov_b32 v12, 0 :: v_dual_mov_b32 v13, 0
	v_mov_b32_e32 v0, v10
	s_and_b32 s0, s1, 28
	s_mov_b32 s6, 0
	s_mov_b64 s[2:3], s[28:29]
	s_mov_b64 s[4:5], s[42:43]
.LBB308_290:                            ; =>This Inner Loop Header: Depth=1
	s_clause 0x1
	s_load_b256 s[56:63], s[2:3], 0x4
	s_load_b128 s[8:11], s[2:3], 0x24
	s_load_b256 s[64:71], s[4:5], 0x0
	s_add_co_i32 s6, s6, 4
	s_wait_xcnt 0x0
	s_add_nc_u64 s[2:3], s[2:3], 48
	s_cmp_eq_u32 s0, s6
	s_add_nc_u64 s[4:5], s[4:5], 32
	s_wait_kmcnt 0x0
	v_mul_hi_u32 v1, s57, v0
	s_delay_alu instid0(VALU_DEP_1) | instskip(NEXT) | instid1(VALU_DEP_1)
	v_add_nc_u32_e32 v1, v0, v1
	v_lshrrev_b32_e32 v1, s58, v1
	s_delay_alu instid0(VALU_DEP_1) | instskip(NEXT) | instid1(VALU_DEP_1)
	v_mul_hi_u32 v2, s60, v1
	v_add_nc_u32_e32 v2, v1, v2
	s_delay_alu instid0(VALU_DEP_1) | instskip(NEXT) | instid1(VALU_DEP_1)
	v_lshrrev_b32_e32 v2, s61, v2
	v_mul_hi_u32 v3, s63, v2
	s_delay_alu instid0(VALU_DEP_1) | instskip(SKIP_1) | instid1(VALU_DEP_1)
	v_add_nc_u32_e32 v3, v2, v3
	v_mul_lo_u32 v4, v1, s56
	v_sub_nc_u32_e32 v0, v0, v4
	v_mul_lo_u32 v4, v2, s59
	s_delay_alu instid0(VALU_DEP_4) | instskip(NEXT) | instid1(VALU_DEP_3)
	v_lshrrev_b32_e32 v3, s8, v3
	v_mad_u32 v6, v0, s65, v13
	v_mad_u32 v0, v0, s64, v12
	s_delay_alu instid0(VALU_DEP_4) | instskip(NEXT) | instid1(VALU_DEP_4)
	v_sub_nc_u32_e32 v1, v1, v4
	v_mul_hi_u32 v5, s10, v3
	v_mul_lo_u32 v4, v3, s62
	s_delay_alu instid0(VALU_DEP_3) | instskip(SKIP_1) | instid1(VALU_DEP_3)
	v_mad_u32 v6, v1, s67, v6
	v_mad_u32 v1, v1, s66, v0
	v_dual_add_nc_u32 v5, v3, v5 :: v_dual_sub_nc_u32 v2, v2, v4
	s_delay_alu instid0(VALU_DEP_1) | instskip(NEXT) | instid1(VALU_DEP_2)
	v_lshrrev_b32_e32 v0, s11, v5
	v_mad_u32 v5, v2, s69, v6
	s_delay_alu instid0(VALU_DEP_4) | instskip(NEXT) | instid1(VALU_DEP_3)
	v_mad_u32 v1, v2, s68, v1
	v_mul_lo_u32 v4, v0, s9
	s_delay_alu instid0(VALU_DEP_1) | instskip(NEXT) | instid1(VALU_DEP_1)
	v_sub_nc_u32_e32 v2, v3, v4
	v_mad_u32 v13, v2, s71, v5
	s_delay_alu instid0(VALU_DEP_4)
	v_mad_u32 v12, v2, s70, v1
	s_cbranch_scc0 .LBB308_290
	s_branch .LBB308_294
.LBB308_291:
	s_mov_b32 s0, -1
                                        ; implicit-def: $vgpr13
	s_branch .LBB308_298
.LBB308_292:
	v_dual_mov_b32 v13, 0 :: v_dual_mov_b32 v12, 0
	s_branch .LBB308_297
.LBB308_293:
	v_mov_b64_e32 v[12:13], 0
	v_mov_b32_e32 v0, v10
.LBB308_294:
	s_and_b32 s4, s1, 3
	s_mov_b32 s1, 0
	s_cmp_eq_u32 s4, 0
	s_cbranch_scc1 .LBB308_297
; %bb.295:
	s_lshl_b32 s2, s0, 3
	s_mov_b32 s3, s1
	s_mul_u64 s[6:7], s[0:1], 12
	s_add_nc_u64 s[2:3], s[28:29], s[2:3]
	s_delay_alu instid0(SALU_CYCLE_1)
	s_add_nc_u64 s[0:1], s[2:3], 0xc4
	s_add_nc_u64 s[2:3], s[28:29], s[6:7]
.LBB308_296:                            ; =>This Inner Loop Header: Depth=1
	s_load_b96 s[8:10], s[2:3], 0x4
	s_load_b64 s[6:7], s[0:1], 0x0
	s_add_co_i32 s4, s4, -1
	s_wait_xcnt 0x0
	s_add_nc_u64 s[2:3], s[2:3], 12
	s_cmp_lg_u32 s4, 0
	s_add_nc_u64 s[0:1], s[0:1], 8
	s_wait_kmcnt 0x0
	v_mul_hi_u32 v1, s9, v0
	s_delay_alu instid0(VALU_DEP_1) | instskip(NEXT) | instid1(VALU_DEP_1)
	v_add_nc_u32_e32 v1, v0, v1
	v_lshrrev_b32_e32 v1, s10, v1
	s_delay_alu instid0(VALU_DEP_1) | instskip(NEXT) | instid1(VALU_DEP_1)
	v_mul_lo_u32 v2, v1, s8
	v_sub_nc_u32_e32 v0, v0, v2
	s_delay_alu instid0(VALU_DEP_1)
	v_mad_u32 v13, v0, s7, v13
	v_mad_u32 v12, v0, s6, v12
	v_mov_b32_e32 v0, v1
	s_cbranch_scc1 .LBB308_296
.LBB308_297:
	s_mov_b32 s0, 0
.LBB308_298:
	s_delay_alu instid0(SALU_CYCLE_1)
	s_and_not1_b32 vcc_lo, exec_lo, s0
	s_cbranch_vccnz .LBB308_301
; %bb.299:
	v_mov_b32_e32 v11, 0
	s_and_not1_b32 vcc_lo, exec_lo, s46
	s_delay_alu instid0(VALU_DEP_1) | instskip(NEXT) | instid1(VALU_DEP_1)
	v_mul_u64_e32 v[0:1], s[14:15], v[10:11]
	v_add_nc_u32_e32 v0, v10, v1
	s_delay_alu instid0(VALU_DEP_1) | instskip(NEXT) | instid1(VALU_DEP_1)
	v_lshrrev_b32_e32 v0, s22, v0
	v_mul_lo_u32 v1, v0, s20
	s_delay_alu instid0(VALU_DEP_1) | instskip(NEXT) | instid1(VALU_DEP_1)
	v_sub_nc_u32_e32 v1, v10, v1
	v_mul_lo_u32 v13, v1, s25
	v_mul_lo_u32 v12, v1, s24
	s_cbranch_vccnz .LBB308_301
; %bb.300:
	v_mov_b32_e32 v1, v11
	s_delay_alu instid0(VALU_DEP_1) | instskip(NEXT) | instid1(VALU_DEP_1)
	v_mul_u64_e32 v[2:3], s[40:41], v[0:1]
	v_add_nc_u32_e32 v1, v0, v3
	s_delay_alu instid0(VALU_DEP_1) | instskip(NEXT) | instid1(VALU_DEP_1)
	v_lshrrev_b32_e32 v1, s35, v1
	v_mul_lo_u32 v1, v1, s23
	s_delay_alu instid0(VALU_DEP_1) | instskip(NEXT) | instid1(VALU_DEP_1)
	v_sub_nc_u32_e32 v0, v0, v1
	v_mad_u32 v12, v0, s26, v12
	v_mad_u32 v13, v0, s27, v13
.LBB308_301:
	v_dual_mov_b32 v0, s36 :: v_dual_mov_b32 v1, s37
	v_dual_mov_b32 v2, s18 :: v_dual_mov_b32 v3, s19
	s_delay_alu instid0(VALU_DEP_3) | instskip(SKIP_2) | instid1(SALU_CYCLE_1)
	v_dual_mov_b32 v4, v13 :: v_dual_mov_b32 v5, s21
	s_get_pc_i64 s[0:1]
	s_add_nc_u64 s[0:1], s[0:1], _ZN2at6native6invokeINS0_13AUnaryFunctorIN3c1015Float8_e4m3fnuzES4_bNS0_12_GLOBAL__N_116CompareEqFunctorIS4_EEEEj15function_traitsIS8_EEENT1_11result_typeERKT_PrKPcPKT0_PKNS3_10ScalarTypeEi@rel64+4
	s_swap_pc_i64 s[30:31], s[0:1]
	v_dual_mov_b32 v13, 0 :: v_dual_bitop2_b32 v0, 1, v0 bitop3:0x40
	s_and_b32 s2, s38, 0xff
	s_delay_alu instid0(SALU_CYCLE_1) | instskip(NEXT) | instid1(VALU_DEP_1)
	s_cmp_lt_i32 s2, 11
	v_cmp_eq_u32_e64 s0, 1, v0
	s_delay_alu instid0(VALU_DEP_2)
	v_add_nc_u64_e32 v[0:1], s[16:17], v[12:13]
	s_cbranch_scc1 .LBB308_308
; %bb.302:
	s_and_b32 s3, 0xffff, s2
	s_delay_alu instid0(SALU_CYCLE_1)
	s_cmp_gt_i32 s3, 25
	s_cbranch_scc0 .LBB308_309
; %bb.303:
	s_cmp_gt_i32 s3, 28
	s_cbranch_scc0 .LBB308_310
; %bb.304:
	;; [unrolled: 3-line block ×4, first 2 shown]
	s_mov_b32 s5, 0
	s_mov_b32 s1, -1
	s_cmp_eq_u32 s3, 46
	s_mov_b32 s4, 0
	s_cbranch_scc0 .LBB308_317
; %bb.307:
	v_cndmask_b32_e64 v2, 0, 1.0, s0
	s_mov_b32 s4, -1
	s_mov_b32 s1, 0
	s_delay_alu instid0(VALU_DEP_1) | instskip(NEXT) | instid1(VALU_DEP_1)
	v_bfe_u32 v3, v2, 16, 1
	v_add3_u32 v2, v2, v3, 0x7fff
	s_delay_alu instid0(VALU_DEP_1)
	v_lshrrev_b32_e32 v2, 16, v2
	global_store_b32 v[0:1], v2, off
	s_branch .LBB308_317
.LBB308_308:
	s_mov_b32 s3, -1
	s_mov_b32 s4, 0
	s_mov_b32 s1, s51
	s_branch .LBB308_386
.LBB308_309:
	s_mov_b32 s5, -1
	s_mov_b32 s4, 0
	s_mov_b32 s1, s51
	s_branch .LBB308_344
.LBB308_310:
	s_mov_b32 s5, -1
	s_mov_b32 s4, 0
	s_mov_b32 s1, s51
	s_branch .LBB308_327
.LBB308_311:
	s_and_not1_saveexec_b32 s6, s6
	s_cbranch_execz .LBB308_196
.LBB308_312:
	v_add_f32_e32 v2, 0x46000000, v3
	s_and_not1_b32 s5, s5, exec_lo
	s_delay_alu instid0(VALU_DEP_1) | instskip(NEXT) | instid1(VALU_DEP_1)
	v_and_b32_e32 v2, 0xff, v2
	v_cmp_ne_u32_e32 vcc_lo, 0, v2
	s_and_b32 s7, vcc_lo, exec_lo
	s_delay_alu instid0(SALU_CYCLE_1)
	s_or_b32 s5, s5, s7
	s_or_b32 exec_lo, exec_lo, s6
	v_mov_b32_e32 v4, 0
	s_and_saveexec_b32 s6, s5
	s_cbranch_execnz .LBB308_197
	s_branch .LBB308_198
.LBB308_313:
	s_mov_b32 s5, -1
	s_mov_b32 s4, 0
	s_mov_b32 s1, s51
	s_branch .LBB308_323
.LBB308_314:
	s_and_not1_saveexec_b32 s6, s6
	s_cbranch_execz .LBB308_209
.LBB308_315:
	v_add_f32_e32 v2, 0x42800000, v3
	s_and_not1_b32 s5, s5, exec_lo
	s_delay_alu instid0(VALU_DEP_1) | instskip(NEXT) | instid1(VALU_DEP_1)
	v_and_b32_e32 v2, 0xff, v2
	v_cmp_ne_u32_e32 vcc_lo, 0, v2
	s_and_b32 s7, vcc_lo, exec_lo
	s_delay_alu instid0(SALU_CYCLE_1)
	s_or_b32 s5, s5, s7
	s_or_b32 exec_lo, exec_lo, s6
	v_mov_b32_e32 v4, 0
	s_and_saveexec_b32 s6, s5
	s_cbranch_execnz .LBB308_210
	s_branch .LBB308_211
.LBB308_316:
	s_mov_b32 s5, -1
	s_mov_b32 s4, 0
	s_mov_b32 s1, s51
.LBB308_317:
	s_and_b32 vcc_lo, exec_lo, s5
	s_cbranch_vccz .LBB308_322
; %bb.318:
	s_cmp_eq_u32 s3, 44
	s_mov_b32 s1, -1
	s_cbranch_scc0 .LBB308_322
; %bb.319:
	v_cndmask_b32_e64 v4, 0, 1.0, s0
	s_mov_b32 s4, exec_lo
	s_wait_xcnt 0x0
	s_delay_alu instid0(VALU_DEP_1) | instskip(NEXT) | instid1(VALU_DEP_1)
	v_dual_mov_b32 v3, 0xff :: v_dual_lshrrev_b32 v2, 23, v4
	v_cmpx_ne_u32_e32 0xff, v2
; %bb.320:
	v_and_b32_e32 v3, 0x400000, v4
	v_and_or_b32 v4, 0x3fffff, v4, v2
	s_delay_alu instid0(VALU_DEP_2) | instskip(NEXT) | instid1(VALU_DEP_2)
	v_cmp_ne_u32_e32 vcc_lo, 0, v3
	v_cmp_ne_u32_e64 s1, 0, v4
	s_and_b32 s1, vcc_lo, s1
	s_delay_alu instid0(SALU_CYCLE_1) | instskip(NEXT) | instid1(VALU_DEP_1)
	v_cndmask_b32_e64 v3, 0, 1, s1
	v_add_nc_u32_e32 v3, v2, v3
; %bb.321:
	s_or_b32 exec_lo, exec_lo, s4
	s_mov_b32 s4, -1
	s_mov_b32 s1, 0
	global_store_b8 v[0:1], v3, off
.LBB308_322:
	s_mov_b32 s5, 0
.LBB308_323:
	s_delay_alu instid0(SALU_CYCLE_1)
	s_and_b32 vcc_lo, exec_lo, s5
	s_cbranch_vccz .LBB308_326
; %bb.324:
	s_cmp_eq_u32 s3, 29
	s_mov_b32 s1, -1
	s_cbranch_scc0 .LBB308_326
; %bb.325:
	s_mov_b32 s1, 0
	s_wait_xcnt 0x0
	v_cndmask_b32_e64 v2, 0, 1, s0
	v_mov_b32_e32 v3, s1
	s_mov_b32 s4, -1
	s_mov_b32 s5, 0
	global_store_b64 v[0:1], v[2:3], off
	s_branch .LBB308_327
.LBB308_326:
	s_mov_b32 s5, 0
.LBB308_327:
	s_delay_alu instid0(SALU_CYCLE_1)
	s_and_b32 vcc_lo, exec_lo, s5
	s_cbranch_vccz .LBB308_343
; %bb.328:
	s_cmp_lt_i32 s3, 27
	s_mov_b32 s4, -1
	s_cbranch_scc1 .LBB308_334
; %bb.329:
	s_cmp_gt_i32 s3, 27
	s_cbranch_scc0 .LBB308_331
; %bb.330:
	s_wait_xcnt 0x0
	v_cndmask_b32_e64 v2, 0, 1, s0
	s_mov_b32 s4, 0
	global_store_b32 v[0:1], v2, off
.LBB308_331:
	s_and_not1_b32 vcc_lo, exec_lo, s4
	s_cbranch_vccnz .LBB308_333
; %bb.332:
	s_wait_xcnt 0x0
	v_cndmask_b32_e64 v2, 0, 1, s0
	global_store_b16 v[0:1], v2, off
.LBB308_333:
	s_mov_b32 s4, 0
.LBB308_334:
	s_delay_alu instid0(SALU_CYCLE_1)
	s_and_not1_b32 vcc_lo, exec_lo, s4
	s_cbranch_vccnz .LBB308_342
; %bb.335:
	s_wait_xcnt 0x0
	v_cndmask_b32_e64 v3, 0, 1.0, s0
	v_mov_b32_e32 v4, 0x80
	s_mov_b32 s4, exec_lo
	s_delay_alu instid0(VALU_DEP_2)
	v_cmpx_gt_u32_e32 0x43800000, v3
	s_cbranch_execz .LBB308_341
; %bb.336:
	s_mov_b32 s5, 0
	s_mov_b32 s6, exec_lo
                                        ; implicit-def: $vgpr2
	v_cmpx_lt_u32_e32 0x3bffffff, v3
	s_xor_b32 s6, exec_lo, s6
	s_cbranch_execz .LBB308_454
; %bb.337:
	v_bfe_u32 v2, v3, 20, 1
	s_mov_b32 s5, exec_lo
	s_delay_alu instid0(VALU_DEP_1) | instskip(NEXT) | instid1(VALU_DEP_1)
	v_add3_u32 v2, v3, v2, 0x487ffff
                                        ; implicit-def: $vgpr3
	v_lshrrev_b32_e32 v2, 20, v2
	s_and_not1_saveexec_b32 s6, s6
	s_cbranch_execnz .LBB308_455
.LBB308_338:
	s_or_b32 exec_lo, exec_lo, s6
	v_mov_b32_e32 v4, 0
	s_and_saveexec_b32 s6, s5
.LBB308_339:
	v_mov_b32_e32 v4, v2
.LBB308_340:
	s_or_b32 exec_lo, exec_lo, s6
.LBB308_341:
	s_delay_alu instid0(SALU_CYCLE_1)
	s_or_b32 exec_lo, exec_lo, s4
	global_store_b8 v[0:1], v4, off
.LBB308_342:
	s_mov_b32 s4, -1
.LBB308_343:
	s_mov_b32 s5, 0
.LBB308_344:
	s_delay_alu instid0(SALU_CYCLE_1)
	s_and_b32 vcc_lo, exec_lo, s5
	s_cbranch_vccz .LBB308_385
; %bb.345:
	s_cmp_gt_i32 s3, 22
	s_mov_b32 s5, -1
	s_cbranch_scc0 .LBB308_377
; %bb.346:
	s_cmp_lt_i32 s3, 24
	s_mov_b32 s4, -1
	s_cbranch_scc1 .LBB308_366
; %bb.347:
	s_cmp_gt_i32 s3, 24
	s_cbranch_scc0 .LBB308_355
; %bb.348:
	s_wait_xcnt 0x0
	v_cndmask_b32_e64 v3, 0, 1.0, s0
	v_mov_b32_e32 v4, 0x80
	s_mov_b32 s4, exec_lo
	s_delay_alu instid0(VALU_DEP_2)
	v_cmpx_gt_u32_e32 0x47800000, v3
	s_cbranch_execz .LBB308_354
; %bb.349:
	s_mov_b32 s5, 0
	s_mov_b32 s6, exec_lo
                                        ; implicit-def: $vgpr2
	v_cmpx_lt_u32_e32 0x37ffffff, v3
	s_xor_b32 s6, exec_lo, s6
	s_cbranch_execz .LBB308_456
; %bb.350:
	v_bfe_u32 v2, v3, 21, 1
	s_mov_b32 s5, exec_lo
	s_delay_alu instid0(VALU_DEP_1) | instskip(NEXT) | instid1(VALU_DEP_1)
	v_add3_u32 v2, v3, v2, 0x88fffff
                                        ; implicit-def: $vgpr3
	v_lshrrev_b32_e32 v2, 21, v2
	s_and_not1_saveexec_b32 s6, s6
	s_cbranch_execnz .LBB308_457
.LBB308_351:
	s_or_b32 exec_lo, exec_lo, s6
	v_mov_b32_e32 v4, 0
	s_and_saveexec_b32 s6, s5
.LBB308_352:
	v_mov_b32_e32 v4, v2
.LBB308_353:
	s_or_b32 exec_lo, exec_lo, s6
.LBB308_354:
	s_delay_alu instid0(SALU_CYCLE_1)
	s_or_b32 exec_lo, exec_lo, s4
	s_mov_b32 s4, 0
	global_store_b8 v[0:1], v4, off
.LBB308_355:
	s_and_b32 vcc_lo, exec_lo, s4
	s_cbranch_vccz .LBB308_365
; %bb.356:
	s_wait_xcnt 0x0
	v_cndmask_b32_e64 v3, 0, 1.0, s0
	s_mov_b32 s4, exec_lo
                                        ; implicit-def: $vgpr2
	s_delay_alu instid0(VALU_DEP_1)
	v_cmpx_gt_u32_e32 0x43f00000, v3
	s_xor_b32 s4, exec_lo, s4
	s_cbranch_execz .LBB308_362
; %bb.357:
	s_mov_b32 s5, exec_lo
                                        ; implicit-def: $vgpr2
	v_cmpx_lt_u32_e32 0x3c7fffff, v3
	s_xor_b32 s5, exec_lo, s5
; %bb.358:
	v_bfe_u32 v2, v3, 20, 1
	s_delay_alu instid0(VALU_DEP_1) | instskip(NEXT) | instid1(VALU_DEP_1)
	v_add3_u32 v2, v3, v2, 0x407ffff
	v_and_b32_e32 v3, 0xff00000, v2
	v_lshrrev_b32_e32 v2, 20, v2
	s_delay_alu instid0(VALU_DEP_2) | instskip(NEXT) | instid1(VALU_DEP_2)
	v_cmp_ne_u32_e32 vcc_lo, 0x7f00000, v3
                                        ; implicit-def: $vgpr3
	v_cndmask_b32_e32 v2, 0x7e, v2, vcc_lo
; %bb.359:
	s_and_not1_saveexec_b32 s5, s5
; %bb.360:
	v_add_f32_e32 v2, 0x46800000, v3
; %bb.361:
	s_or_b32 exec_lo, exec_lo, s5
                                        ; implicit-def: $vgpr3
.LBB308_362:
	s_and_not1_saveexec_b32 s4, s4
; %bb.363:
	v_mov_b32_e32 v2, 0x7f
	v_cmp_lt_u32_e32 vcc_lo, 0x7f800000, v3
	s_delay_alu instid0(VALU_DEP_2)
	v_cndmask_b32_e32 v2, 0x7e, v2, vcc_lo
; %bb.364:
	s_or_b32 exec_lo, exec_lo, s4
	global_store_b8 v[0:1], v2, off
.LBB308_365:
	s_mov_b32 s4, 0
.LBB308_366:
	s_delay_alu instid0(SALU_CYCLE_1)
	s_and_not1_b32 vcc_lo, exec_lo, s4
	s_cbranch_vccnz .LBB308_376
; %bb.367:
	s_wait_xcnt 0x0
	v_cndmask_b32_e64 v3, 0, 1.0, s0
	s_mov_b32 s4, exec_lo
                                        ; implicit-def: $vgpr2
	s_delay_alu instid0(VALU_DEP_1)
	v_cmpx_gt_u32_e32 0x47800000, v3
	s_xor_b32 s4, exec_lo, s4
	s_cbranch_execz .LBB308_373
; %bb.368:
	s_mov_b32 s5, exec_lo
                                        ; implicit-def: $vgpr2
	v_cmpx_lt_u32_e32 0x387fffff, v3
	s_xor_b32 s5, exec_lo, s5
; %bb.369:
	v_bfe_u32 v2, v3, 21, 1
	s_delay_alu instid0(VALU_DEP_1) | instskip(NEXT) | instid1(VALU_DEP_1)
	v_add3_u32 v2, v3, v2, 0x80fffff
                                        ; implicit-def: $vgpr3
	v_lshrrev_b32_e32 v2, 21, v2
; %bb.370:
	s_and_not1_saveexec_b32 s5, s5
; %bb.371:
	v_add_f32_e32 v2, 0x43000000, v3
; %bb.372:
	s_or_b32 exec_lo, exec_lo, s5
                                        ; implicit-def: $vgpr3
.LBB308_373:
	s_and_not1_saveexec_b32 s4, s4
; %bb.374:
	v_mov_b32_e32 v2, 0x7f
	v_cmp_lt_u32_e32 vcc_lo, 0x7f800000, v3
	s_delay_alu instid0(VALU_DEP_2)
	v_cndmask_b32_e32 v2, 0x7c, v2, vcc_lo
; %bb.375:
	s_or_b32 exec_lo, exec_lo, s4
	global_store_b8 v[0:1], v2, off
.LBB308_376:
	s_mov_b32 s5, 0
	s_mov_b32 s4, -1
.LBB308_377:
	s_and_not1_b32 vcc_lo, exec_lo, s5
	s_cbranch_vccnz .LBB308_385
; %bb.378:
	s_cmp_gt_i32 s3, 14
	s_mov_b32 s5, -1
	s_cbranch_scc0 .LBB308_382
; %bb.379:
	s_cmp_eq_u32 s3, 15
	s_mov_b32 s1, -1
	s_cbranch_scc0 .LBB308_381
; %bb.380:
	s_wait_xcnt 0x0
	v_cndmask_b32_e64 v2, 0, 1.0, s0
	s_mov_b32 s4, -1
	s_mov_b32 s1, 0
	s_delay_alu instid0(VALU_DEP_1) | instskip(NEXT) | instid1(VALU_DEP_1)
	v_bfe_u32 v3, v2, 16, 1
	v_add3_u32 v2, v2, v3, 0x7fff
	global_store_d16_hi_b16 v[0:1], v2, off
.LBB308_381:
	s_mov_b32 s5, 0
.LBB308_382:
	s_delay_alu instid0(SALU_CYCLE_1)
	s_and_b32 vcc_lo, exec_lo, s5
	s_cbranch_vccz .LBB308_385
; %bb.383:
	s_cmp_eq_u32 s3, 11
	s_mov_b32 s1, -1
	s_cbranch_scc0 .LBB308_385
; %bb.384:
	s_wait_xcnt 0x0
	v_cndmask_b32_e64 v2, 0, 1, s0
	s_mov_b32 s4, -1
	s_mov_b32 s1, 0
	global_store_b8 v[0:1], v2, off
.LBB308_385:
	s_mov_b32 s3, 0
.LBB308_386:
	s_delay_alu instid0(SALU_CYCLE_1)
	s_and_b32 vcc_lo, exec_lo, s3
	s_cbranch_vccz .LBB308_425
; %bb.387:
	s_and_b32 s2, 0xffff, s2
	s_mov_b32 s3, -1
	s_cmp_lt_i32 s2, 5
	s_cbranch_scc1 .LBB308_408
; %bb.388:
	s_cmp_lt_i32 s2, 8
	s_cbranch_scc1 .LBB308_398
; %bb.389:
	;; [unrolled: 3-line block ×3, first 2 shown]
	s_cmp_gt_i32 s2, 9
	s_cbranch_scc0 .LBB308_392
; %bb.391:
	s_wait_xcnt 0x0
	v_cndmask_b32_e64 v2, 0, 1, s0
	v_mov_b32_e32 v4, 0
	s_mov_b32 s3, 0
	s_delay_alu instid0(VALU_DEP_2) | instskip(NEXT) | instid1(VALU_DEP_2)
	v_cvt_f64_u32_e32 v[2:3], v2
	v_mov_b32_e32 v5, v4
	global_store_b128 v[0:1], v[2:5], off
.LBB308_392:
	s_and_not1_b32 vcc_lo, exec_lo, s3
	s_cbranch_vccnz .LBB308_394
; %bb.393:
	s_wait_xcnt 0x0
	v_cndmask_b32_e64 v2, 0, 1.0, s0
	v_mov_b32_e32 v3, 0
	global_store_b64 v[0:1], v[2:3], off
.LBB308_394:
	s_mov_b32 s3, 0
.LBB308_395:
	s_delay_alu instid0(SALU_CYCLE_1)
	s_and_not1_b32 vcc_lo, exec_lo, s3
	s_cbranch_vccnz .LBB308_397
; %bb.396:
	s_wait_xcnt 0x0
	v_cndmask_b32_e64 v2, 0, 1.0, s0
	s_delay_alu instid0(VALU_DEP_1) | instskip(NEXT) | instid1(VALU_DEP_1)
	v_cvt_f16_f32_e32 v2, v2
	v_and_b32_e32 v2, 0xffff, v2
	global_store_b32 v[0:1], v2, off
.LBB308_397:
	s_mov_b32 s3, 0
.LBB308_398:
	s_delay_alu instid0(SALU_CYCLE_1)
	s_and_not1_b32 vcc_lo, exec_lo, s3
	s_cbranch_vccnz .LBB308_407
; %bb.399:
	s_cmp_lt_i32 s2, 6
	s_mov_b32 s3, -1
	s_cbranch_scc1 .LBB308_405
; %bb.400:
	s_cmp_gt_i32 s2, 6
	s_cbranch_scc0 .LBB308_402
; %bb.401:
	s_wait_xcnt 0x0
	v_cndmask_b32_e64 v2, 0, 1, s0
	s_mov_b32 s3, 0
	s_delay_alu instid0(VALU_DEP_1)
	v_cvt_f64_u32_e32 v[2:3], v2
	global_store_b64 v[0:1], v[2:3], off
.LBB308_402:
	s_and_not1_b32 vcc_lo, exec_lo, s3
	s_cbranch_vccnz .LBB308_404
; %bb.403:
	s_wait_xcnt 0x0
	v_cndmask_b32_e64 v2, 0, 1.0, s0
	global_store_b32 v[0:1], v2, off
.LBB308_404:
	s_mov_b32 s3, 0
.LBB308_405:
	s_delay_alu instid0(SALU_CYCLE_1)
	s_and_not1_b32 vcc_lo, exec_lo, s3
	s_cbranch_vccnz .LBB308_407
; %bb.406:
	s_wait_xcnt 0x0
	v_cndmask_b32_e64 v2, 0, 1.0, s0
	s_delay_alu instid0(VALU_DEP_1)
	v_cvt_f16_f32_e32 v2, v2
	global_store_b16 v[0:1], v2, off
.LBB308_407:
	s_mov_b32 s3, 0
.LBB308_408:
	s_delay_alu instid0(SALU_CYCLE_1)
	s_and_not1_b32 vcc_lo, exec_lo, s3
	s_cbranch_vccnz .LBB308_424
; %bb.409:
	s_cmp_lt_i32 s2, 2
	s_mov_b32 s3, -1
	s_cbranch_scc1 .LBB308_419
; %bb.410:
	s_cmp_lt_i32 s2, 3
	s_cbranch_scc1 .LBB308_416
; %bb.411:
	s_cmp_gt_i32 s2, 3
	s_cbranch_scc0 .LBB308_413
; %bb.412:
	s_mov_b32 s3, 0
	s_wait_xcnt 0x0
	v_cndmask_b32_e64 v2, 0, 1, s0
	v_mov_b32_e32 v3, s3
	global_store_b64 v[0:1], v[2:3], off
.LBB308_413:
	s_and_not1_b32 vcc_lo, exec_lo, s3
	s_cbranch_vccnz .LBB308_415
; %bb.414:
	s_wait_xcnt 0x0
	v_cndmask_b32_e64 v2, 0, 1, s0
	global_store_b32 v[0:1], v2, off
.LBB308_415:
	s_mov_b32 s3, 0
.LBB308_416:
	s_delay_alu instid0(SALU_CYCLE_1)
	s_and_not1_b32 vcc_lo, exec_lo, s3
	s_cbranch_vccnz .LBB308_418
; %bb.417:
	s_wait_xcnt 0x0
	v_cndmask_b32_e64 v2, 0, 1, s0
	global_store_b16 v[0:1], v2, off
.LBB308_418:
	s_mov_b32 s3, 0
.LBB308_419:
	s_delay_alu instid0(SALU_CYCLE_1)
	s_and_not1_b32 vcc_lo, exec_lo, s3
	s_cbranch_vccnz .LBB308_424
; %bb.420:
	s_wait_xcnt 0x0
	v_cndmask_b32_e64 v2, 0, 1, s0
	s_cmp_gt_i32 s2, 0
	s_mov_b32 s0, -1
	s_cbranch_scc0 .LBB308_422
; %bb.421:
	s_mov_b32 s0, 0
	global_store_b8 v[0:1], v2, off
.LBB308_422:
	s_and_not1_b32 vcc_lo, exec_lo, s0
	s_cbranch_vccnz .LBB308_424
; %bb.423:
	global_store_b8 v[0:1], v2, off
.LBB308_424:
	s_mov_b32 s4, -1
.LBB308_425:
	s_delay_alu instid0(SALU_CYCLE_1)
	s_and_not1_b32 vcc_lo, exec_lo, s4
	s_cbranch_vccnz .LBB308_427
; %bb.426:
	v_add_nc_u32_e32 v10, 0x80, v10
	s_mov_b32 s0, -1
	s_branch .LBB308_428
.LBB308_427:
	s_mov_b32 s0, 0
                                        ; implicit-def: $vgpr10
.LBB308_428:
	s_and_not1_b32 s2, s51, exec_lo
	s_and_b32 s1, s1, exec_lo
	s_or_not1_b32 s4, s0, exec_lo
	s_or_b32 s54, s2, s1
.LBB308_429:
	s_wait_xcnt 0x0
	s_or_b32 exec_lo, exec_lo, s53
	s_mov_b32 s0, 0
	s_mov_b32 s3, 0
                                        ; implicit-def: $sgpr1
                                        ; implicit-def: $sgpr2
                                        ; implicit-def: $vgpr0_vgpr1
	s_and_saveexec_b32 s53, s4
	s_cbranch_execz .LBB308_528
; %bb.430:
	v_cmp_gt_i32_e32 vcc_lo, s47, v10
	s_mov_b32 s4, s54
                                        ; implicit-def: $sgpr1
                                        ; implicit-def: $sgpr2
                                        ; implicit-def: $vgpr0_vgpr1
	s_and_saveexec_b32 s47, vcc_lo
	s_cbranch_execz .LBB308_527
; %bb.431:
	s_and_not1_b32 vcc_lo, exec_lo, s44
	s_cbranch_vccnz .LBB308_436
; %bb.432:
	s_and_not1_b32 vcc_lo, exec_lo, s49
	s_cbranch_vccnz .LBB308_437
; %bb.433:
	s_add_co_i32 s48, s48, 1
	s_cmp_eq_u32 s33, 2
	s_cbranch_scc1 .LBB308_438
; %bb.434:
	v_dual_mov_b32 v12, 0 :: v_dual_mov_b32 v13, 0
	v_mov_b32_e32 v0, v10
	s_and_b32 s0, s48, 28
	s_mov_b32 s1, 0
	s_mov_b64 s[2:3], s[28:29]
.LBB308_435:                            ; =>This Inner Loop Header: Depth=1
	s_clause 0x1
	s_load_b256 s[4:11], s[2:3], 0x4
	s_load_b128 s[64:67], s[2:3], 0x24
	s_load_b256 s[56:63], s[42:43], 0x0
	s_add_co_i32 s1, s1, 4
	s_wait_xcnt 0x0
	s_add_nc_u64 s[2:3], s[2:3], 48
	s_cmp_eq_u32 s0, s1
	s_add_nc_u64 s[42:43], s[42:43], 32
	s_wait_kmcnt 0x0
	v_mul_hi_u32 v1, s5, v0
	s_delay_alu instid0(VALU_DEP_1) | instskip(NEXT) | instid1(VALU_DEP_1)
	v_add_nc_u32_e32 v1, v0, v1
	v_lshrrev_b32_e32 v1, s6, v1
	s_delay_alu instid0(VALU_DEP_1) | instskip(NEXT) | instid1(VALU_DEP_1)
	v_mul_hi_u32 v2, s8, v1
	v_add_nc_u32_e32 v2, v1, v2
	s_delay_alu instid0(VALU_DEP_1) | instskip(NEXT) | instid1(VALU_DEP_1)
	v_lshrrev_b32_e32 v2, s9, v2
	v_mul_hi_u32 v3, s11, v2
	s_delay_alu instid0(VALU_DEP_1) | instskip(SKIP_1) | instid1(VALU_DEP_1)
	v_add_nc_u32_e32 v3, v2, v3
	v_mul_lo_u32 v4, v1, s4
	v_sub_nc_u32_e32 v0, v0, v4
	v_mul_lo_u32 v4, v2, s7
	s_delay_alu instid0(VALU_DEP_4) | instskip(NEXT) | instid1(VALU_DEP_3)
	v_lshrrev_b32_e32 v3, s64, v3
	v_mad_u32 v6, v0, s57, v13
	v_mad_u32 v0, v0, s56, v12
	s_delay_alu instid0(VALU_DEP_4) | instskip(NEXT) | instid1(VALU_DEP_4)
	v_sub_nc_u32_e32 v1, v1, v4
	v_mul_hi_u32 v5, s66, v3
	v_mul_lo_u32 v4, v3, s10
	s_delay_alu instid0(VALU_DEP_3) | instskip(SKIP_1) | instid1(VALU_DEP_3)
	v_mad_u32 v6, v1, s59, v6
	v_mad_u32 v1, v1, s58, v0
	v_dual_add_nc_u32 v5, v3, v5 :: v_dual_sub_nc_u32 v2, v2, v4
	s_delay_alu instid0(VALU_DEP_1) | instskip(NEXT) | instid1(VALU_DEP_2)
	v_lshrrev_b32_e32 v0, s67, v5
	v_mad_u32 v5, v2, s61, v6
	s_delay_alu instid0(VALU_DEP_4) | instskip(NEXT) | instid1(VALU_DEP_3)
	v_mad_u32 v1, v2, s60, v1
	v_mul_lo_u32 v4, v0, s65
	s_delay_alu instid0(VALU_DEP_1) | instskip(NEXT) | instid1(VALU_DEP_1)
	v_sub_nc_u32_e32 v2, v3, v4
	v_mad_u32 v13, v2, s63, v5
	s_delay_alu instid0(VALU_DEP_4)
	v_mad_u32 v12, v2, s62, v1
	s_cbranch_scc0 .LBB308_435
	s_branch .LBB308_439
.LBB308_436:
	s_mov_b32 s0, -1
                                        ; implicit-def: $vgpr13
	s_branch .LBB308_443
.LBB308_437:
	v_dual_mov_b32 v13, 0 :: v_dual_mov_b32 v12, 0
	s_branch .LBB308_442
.LBB308_438:
	v_mov_b64_e32 v[12:13], 0
	v_mov_b32_e32 v0, v10
.LBB308_439:
	s_and_b32 s4, s48, 3
	s_mov_b32 s1, 0
	s_cmp_eq_u32 s4, 0
	s_cbranch_scc1 .LBB308_442
; %bb.440:
	s_lshl_b32 s2, s0, 3
	s_mov_b32 s3, s1
	s_mul_u64 s[6:7], s[0:1], 12
	s_add_nc_u64 s[2:3], s[28:29], s[2:3]
	s_delay_alu instid0(SALU_CYCLE_1)
	s_add_nc_u64 s[0:1], s[2:3], 0xc4
	s_add_nc_u64 s[2:3], s[28:29], s[6:7]
.LBB308_441:                            ; =>This Inner Loop Header: Depth=1
	s_load_b96 s[8:10], s[2:3], 0x4
	s_load_b64 s[6:7], s[0:1], 0x0
	s_add_co_i32 s4, s4, -1
	s_wait_xcnt 0x0
	s_add_nc_u64 s[2:3], s[2:3], 12
	s_cmp_lg_u32 s4, 0
	s_add_nc_u64 s[0:1], s[0:1], 8
	s_wait_kmcnt 0x0
	v_mul_hi_u32 v1, s9, v0
	s_delay_alu instid0(VALU_DEP_1) | instskip(NEXT) | instid1(VALU_DEP_1)
	v_add_nc_u32_e32 v1, v0, v1
	v_lshrrev_b32_e32 v1, s10, v1
	s_delay_alu instid0(VALU_DEP_1) | instskip(NEXT) | instid1(VALU_DEP_1)
	v_mul_lo_u32 v2, v1, s8
	v_sub_nc_u32_e32 v0, v0, v2
	s_delay_alu instid0(VALU_DEP_1)
	v_mad_u32 v13, v0, s7, v13
	v_mad_u32 v12, v0, s6, v12
	v_mov_b32_e32 v0, v1
	s_cbranch_scc1 .LBB308_441
.LBB308_442:
	s_mov_b32 s0, 0
.LBB308_443:
	s_delay_alu instid0(SALU_CYCLE_1)
	s_and_not1_b32 vcc_lo, exec_lo, s0
	s_cbranch_vccnz .LBB308_446
; %bb.444:
	v_mov_b32_e32 v11, 0
	s_and_not1_b32 vcc_lo, exec_lo, s46
	s_delay_alu instid0(VALU_DEP_1) | instskip(NEXT) | instid1(VALU_DEP_1)
	v_mul_u64_e32 v[0:1], s[14:15], v[10:11]
	v_add_nc_u32_e32 v0, v10, v1
	s_delay_alu instid0(VALU_DEP_1) | instskip(NEXT) | instid1(VALU_DEP_1)
	v_lshrrev_b32_e32 v0, s22, v0
	v_mul_lo_u32 v1, v0, s20
	s_delay_alu instid0(VALU_DEP_1) | instskip(NEXT) | instid1(VALU_DEP_1)
	v_sub_nc_u32_e32 v1, v10, v1
	v_mul_lo_u32 v13, v1, s25
	v_mul_lo_u32 v12, v1, s24
	s_cbranch_vccnz .LBB308_446
; %bb.445:
	v_mov_b32_e32 v1, v11
	s_delay_alu instid0(VALU_DEP_1) | instskip(NEXT) | instid1(VALU_DEP_1)
	v_mul_u64_e32 v[2:3], s[40:41], v[0:1]
	v_add_nc_u32_e32 v1, v0, v3
	s_delay_alu instid0(VALU_DEP_1) | instskip(NEXT) | instid1(VALU_DEP_1)
	v_lshrrev_b32_e32 v1, s35, v1
	v_mul_lo_u32 v1, v1, s23
	s_delay_alu instid0(VALU_DEP_1) | instskip(NEXT) | instid1(VALU_DEP_1)
	v_sub_nc_u32_e32 v0, v0, v1
	v_mad_u32 v12, v0, s26, v12
	v_mad_u32 v13, v0, s27, v13
.LBB308_446:
	v_dual_mov_b32 v0, s36 :: v_dual_mov_b32 v1, s37
	v_dual_mov_b32 v2, s18 :: v_dual_mov_b32 v3, s19
	s_delay_alu instid0(VALU_DEP_3) | instskip(SKIP_2) | instid1(SALU_CYCLE_1)
	v_dual_mov_b32 v4, v13 :: v_dual_mov_b32 v5, s21
	s_get_pc_i64 s[0:1]
	s_add_nc_u64 s[0:1], s[0:1], _ZN2at6native6invokeINS0_13AUnaryFunctorIN3c1015Float8_e4m3fnuzES4_bNS0_12_GLOBAL__N_116CompareEqFunctorIS4_EEEEj15function_traitsIS8_EEENT1_11result_typeERKT_PrKPcPKT0_PKNS3_10ScalarTypeEi@rel64+4
	s_swap_pc_i64 s[30:31], s[0:1]
	v_dual_mov_b32 v13, 0 :: v_dual_bitop2_b32 v0, 1, v0 bitop3:0x40
	s_and_b32 s2, s38, 0xff
	s_delay_alu instid0(SALU_CYCLE_1) | instskip(NEXT) | instid1(VALU_DEP_1)
	s_cmp_lt_i32 s2, 11
	v_cmp_eq_u32_e64 s1, 1, v0
	s_delay_alu instid0(VALU_DEP_2)
	v_add_nc_u64_e32 v[0:1], s[16:17], v[12:13]
	s_cbranch_scc1 .LBB308_453
; %bb.447:
	s_and_b32 s3, 0xffff, s2
	s_mov_b32 s4, -1
	s_cmp_gt_i32 s3, 25
	s_mov_b32 s0, s54
	s_cbranch_scc0 .LBB308_485
; %bb.448:
	s_cmp_gt_i32 s3, 28
	s_mov_b32 s0, s54
	s_cbranch_scc0 .LBB308_469
; %bb.449:
	;; [unrolled: 4-line block ×4, first 2 shown]
	s_cmp_eq_u32 s3, 46
	s_mov_b32 s0, -1
	s_cbranch_scc0 .LBB308_458
; %bb.452:
	v_cndmask_b32_e64 v2, 0, 1.0, s1
	s_mov_b32 s0, 0
	s_mov_b32 s4, 0
	s_delay_alu instid0(VALU_DEP_1) | instskip(NEXT) | instid1(VALU_DEP_1)
	v_bfe_u32 v3, v2, 16, 1
	v_add3_u32 v2, v2, v3, 0x7fff
	s_delay_alu instid0(VALU_DEP_1)
	v_lshrrev_b32_e32 v2, 16, v2
	global_store_b32 v[0:1], v2, off
	s_branch .LBB308_459
.LBB308_453:
	s_mov_b32 s5, 0
	s_mov_b32 s4, -1
	s_mov_b32 s0, s54
	s_branch .LBB308_526
.LBB308_454:
	s_and_not1_saveexec_b32 s6, s6
	s_cbranch_execz .LBB308_338
.LBB308_455:
	v_add_f32_e32 v2, 0x46000000, v3
	s_and_not1_b32 s5, s5, exec_lo
	s_delay_alu instid0(VALU_DEP_1) | instskip(NEXT) | instid1(VALU_DEP_1)
	v_and_b32_e32 v2, 0xff, v2
	v_cmp_ne_u32_e32 vcc_lo, 0, v2
	s_and_b32 s7, vcc_lo, exec_lo
	s_delay_alu instid0(SALU_CYCLE_1)
	s_or_b32 s5, s5, s7
	s_or_b32 exec_lo, exec_lo, s6
	v_mov_b32_e32 v4, 0
	s_and_saveexec_b32 s6, s5
	s_cbranch_execnz .LBB308_339
	s_branch .LBB308_340
.LBB308_456:
	s_and_not1_saveexec_b32 s6, s6
	s_cbranch_execz .LBB308_351
.LBB308_457:
	v_add_f32_e32 v2, 0x42800000, v3
	s_and_not1_b32 s5, s5, exec_lo
	s_delay_alu instid0(VALU_DEP_1) | instskip(NEXT) | instid1(VALU_DEP_1)
	v_and_b32_e32 v2, 0xff, v2
	v_cmp_ne_u32_e32 vcc_lo, 0, v2
	s_and_b32 s7, vcc_lo, exec_lo
	s_delay_alu instid0(SALU_CYCLE_1)
	s_or_b32 s5, s5, s7
	s_or_b32 exec_lo, exec_lo, s6
	v_mov_b32_e32 v4, 0
	s_and_saveexec_b32 s6, s5
	s_cbranch_execnz .LBB308_352
	s_branch .LBB308_353
.LBB308_458:
	s_mov_b32 s4, 0
.LBB308_459:
	s_delay_alu instid0(SALU_CYCLE_1)
	s_and_b32 vcc_lo, exec_lo, s4
	s_cbranch_vccz .LBB308_464
; %bb.460:
	s_cmp_eq_u32 s3, 44
	s_mov_b32 s0, -1
	s_cbranch_scc0 .LBB308_464
; %bb.461:
	v_cndmask_b32_e64 v4, 0, 1.0, s1
	s_mov_b32 s4, exec_lo
	s_wait_xcnt 0x0
	s_delay_alu instid0(VALU_DEP_1) | instskip(NEXT) | instid1(VALU_DEP_1)
	v_dual_mov_b32 v3, 0xff :: v_dual_lshrrev_b32 v2, 23, v4
	v_cmpx_ne_u32_e32 0xff, v2
; %bb.462:
	v_and_b32_e32 v3, 0x400000, v4
	v_and_or_b32 v4, 0x3fffff, v4, v2
	s_delay_alu instid0(VALU_DEP_2) | instskip(NEXT) | instid1(VALU_DEP_2)
	v_cmp_ne_u32_e32 vcc_lo, 0, v3
	v_cmp_ne_u32_e64 s0, 0, v4
	s_and_b32 s0, vcc_lo, s0
	s_delay_alu instid0(SALU_CYCLE_1) | instskip(NEXT) | instid1(VALU_DEP_1)
	v_cndmask_b32_e64 v3, 0, 1, s0
	v_add_nc_u32_e32 v3, v2, v3
; %bb.463:
	s_or_b32 exec_lo, exec_lo, s4
	s_mov_b32 s0, 0
	global_store_b8 v[0:1], v3, off
.LBB308_464:
	s_mov_b32 s4, 0
.LBB308_465:
	s_delay_alu instid0(SALU_CYCLE_1)
	s_and_b32 vcc_lo, exec_lo, s4
	s_cbranch_vccz .LBB308_468
; %bb.466:
	s_cmp_eq_u32 s3, 29
	s_mov_b32 s0, -1
	s_cbranch_scc0 .LBB308_468
; %bb.467:
	s_mov_b32 s0, 0
	s_wait_xcnt 0x0
	v_cndmask_b32_e64 v2, 0, 1, s1
	v_mov_b32_e32 v3, s0
	s_mov_b32 s4, 0
	global_store_b64 v[0:1], v[2:3], off
	s_branch .LBB308_469
.LBB308_468:
	s_mov_b32 s4, 0
.LBB308_469:
	s_delay_alu instid0(SALU_CYCLE_1)
	s_and_b32 vcc_lo, exec_lo, s4
	s_cbranch_vccz .LBB308_484
; %bb.470:
	s_cmp_lt_i32 s3, 27
	s_mov_b32 s4, -1
	s_cbranch_scc1 .LBB308_476
; %bb.471:
	s_wait_xcnt 0x0
	v_cndmask_b32_e64 v2, 0, 1, s1
	s_cmp_gt_i32 s3, 27
	s_cbranch_scc0 .LBB308_473
; %bb.472:
	s_mov_b32 s4, 0
	global_store_b32 v[0:1], v2, off
.LBB308_473:
	s_and_not1_b32 vcc_lo, exec_lo, s4
	s_cbranch_vccnz .LBB308_475
; %bb.474:
	global_store_b16 v[0:1], v2, off
.LBB308_475:
	s_mov_b32 s4, 0
.LBB308_476:
	s_delay_alu instid0(SALU_CYCLE_1)
	s_and_not1_b32 vcc_lo, exec_lo, s4
	s_cbranch_vccnz .LBB308_484
; %bb.477:
	s_wait_xcnt 0x0
	v_cndmask_b32_e64 v3, 0, 1.0, s1
	v_mov_b32_e32 v4, 0x80
	s_mov_b32 s4, exec_lo
	s_delay_alu instid0(VALU_DEP_2)
	v_cmpx_gt_u32_e32 0x43800000, v3
	s_cbranch_execz .LBB308_483
; %bb.478:
	s_mov_b32 s5, 0
	s_mov_b32 s6, exec_lo
                                        ; implicit-def: $vgpr2
	v_cmpx_lt_u32_e32 0x3bffffff, v3
	s_xor_b32 s6, exec_lo, s6
	s_cbranch_execz .LBB308_1122
; %bb.479:
	v_bfe_u32 v2, v3, 20, 1
	s_mov_b32 s5, exec_lo
	s_delay_alu instid0(VALU_DEP_1) | instskip(NEXT) | instid1(VALU_DEP_1)
	v_add3_u32 v2, v3, v2, 0x487ffff
                                        ; implicit-def: $vgpr3
	v_lshrrev_b32_e32 v2, 20, v2
	s_and_not1_saveexec_b32 s6, s6
	s_cbranch_execnz .LBB308_1123
.LBB308_480:
	s_or_b32 exec_lo, exec_lo, s6
	v_mov_b32_e32 v4, 0
	s_and_saveexec_b32 s6, s5
.LBB308_481:
	v_mov_b32_e32 v4, v2
.LBB308_482:
	s_or_b32 exec_lo, exec_lo, s6
.LBB308_483:
	s_delay_alu instid0(SALU_CYCLE_1)
	s_or_b32 exec_lo, exec_lo, s4
	global_store_b8 v[0:1], v4, off
.LBB308_484:
	s_mov_b32 s4, 0
.LBB308_485:
	s_delay_alu instid0(SALU_CYCLE_1)
	s_and_b32 vcc_lo, exec_lo, s4
	s_mov_b32 s4, 0
	s_cbranch_vccz .LBB308_525
; %bb.486:
	s_cmp_gt_i32 s3, 22
	s_mov_b32 s5, -1
	s_cbranch_scc0 .LBB308_518
; %bb.487:
	s_cmp_lt_i32 s3, 24
	s_cbranch_scc1 .LBB308_507
; %bb.488:
	s_cmp_gt_i32 s3, 24
	s_cbranch_scc0 .LBB308_496
; %bb.489:
	s_wait_xcnt 0x0
	v_cndmask_b32_e64 v3, 0, 1.0, s1
	v_mov_b32_e32 v4, 0x80
	s_mov_b32 s5, exec_lo
	s_delay_alu instid0(VALU_DEP_2)
	v_cmpx_gt_u32_e32 0x47800000, v3
	s_cbranch_execz .LBB308_495
; %bb.490:
	s_mov_b32 s6, 0
	s_mov_b32 s7, exec_lo
                                        ; implicit-def: $vgpr2
	v_cmpx_lt_u32_e32 0x37ffffff, v3
	s_xor_b32 s7, exec_lo, s7
	s_cbranch_execz .LBB308_1126
; %bb.491:
	v_bfe_u32 v2, v3, 21, 1
	s_mov_b32 s6, exec_lo
	s_delay_alu instid0(VALU_DEP_1) | instskip(NEXT) | instid1(VALU_DEP_1)
	v_add3_u32 v2, v3, v2, 0x88fffff
                                        ; implicit-def: $vgpr3
	v_lshrrev_b32_e32 v2, 21, v2
	s_and_not1_saveexec_b32 s7, s7
	s_cbranch_execnz .LBB308_1127
.LBB308_492:
	s_or_b32 exec_lo, exec_lo, s7
	v_mov_b32_e32 v4, 0
	s_and_saveexec_b32 s7, s6
.LBB308_493:
	v_mov_b32_e32 v4, v2
.LBB308_494:
	s_or_b32 exec_lo, exec_lo, s7
.LBB308_495:
	s_delay_alu instid0(SALU_CYCLE_1)
	s_or_b32 exec_lo, exec_lo, s5
	s_mov_b32 s5, 0
	global_store_b8 v[0:1], v4, off
.LBB308_496:
	s_and_b32 vcc_lo, exec_lo, s5
	s_cbranch_vccz .LBB308_506
; %bb.497:
	s_wait_xcnt 0x0
	v_cndmask_b32_e64 v3, 0, 1.0, s1
	s_mov_b32 s5, exec_lo
                                        ; implicit-def: $vgpr2
	s_delay_alu instid0(VALU_DEP_1)
	v_cmpx_gt_u32_e32 0x43f00000, v3
	s_xor_b32 s5, exec_lo, s5
	s_cbranch_execz .LBB308_503
; %bb.498:
	s_mov_b32 s6, exec_lo
                                        ; implicit-def: $vgpr2
	v_cmpx_lt_u32_e32 0x3c7fffff, v3
	s_xor_b32 s6, exec_lo, s6
; %bb.499:
	v_bfe_u32 v2, v3, 20, 1
	s_delay_alu instid0(VALU_DEP_1) | instskip(NEXT) | instid1(VALU_DEP_1)
	v_add3_u32 v2, v3, v2, 0x407ffff
	v_and_b32_e32 v3, 0xff00000, v2
	v_lshrrev_b32_e32 v2, 20, v2
	s_delay_alu instid0(VALU_DEP_2) | instskip(NEXT) | instid1(VALU_DEP_2)
	v_cmp_ne_u32_e32 vcc_lo, 0x7f00000, v3
                                        ; implicit-def: $vgpr3
	v_cndmask_b32_e32 v2, 0x7e, v2, vcc_lo
; %bb.500:
	s_and_not1_saveexec_b32 s6, s6
; %bb.501:
	v_add_f32_e32 v2, 0x46800000, v3
; %bb.502:
	s_or_b32 exec_lo, exec_lo, s6
                                        ; implicit-def: $vgpr3
.LBB308_503:
	s_and_not1_saveexec_b32 s5, s5
; %bb.504:
	v_mov_b32_e32 v2, 0x7f
	v_cmp_lt_u32_e32 vcc_lo, 0x7f800000, v3
	s_delay_alu instid0(VALU_DEP_2)
	v_cndmask_b32_e32 v2, 0x7e, v2, vcc_lo
; %bb.505:
	s_or_b32 exec_lo, exec_lo, s5
	global_store_b8 v[0:1], v2, off
.LBB308_506:
	s_mov_b32 s5, 0
.LBB308_507:
	s_delay_alu instid0(SALU_CYCLE_1)
	s_and_not1_b32 vcc_lo, exec_lo, s5
	s_cbranch_vccnz .LBB308_517
; %bb.508:
	s_wait_xcnt 0x0
	v_cndmask_b32_e64 v3, 0, 1.0, s1
	s_mov_b32 s5, exec_lo
                                        ; implicit-def: $vgpr2
	s_delay_alu instid0(VALU_DEP_1)
	v_cmpx_gt_u32_e32 0x47800000, v3
	s_xor_b32 s5, exec_lo, s5
	s_cbranch_execz .LBB308_514
; %bb.509:
	s_mov_b32 s6, exec_lo
                                        ; implicit-def: $vgpr2
	v_cmpx_lt_u32_e32 0x387fffff, v3
	s_xor_b32 s6, exec_lo, s6
; %bb.510:
	v_bfe_u32 v2, v3, 21, 1
	s_delay_alu instid0(VALU_DEP_1) | instskip(NEXT) | instid1(VALU_DEP_1)
	v_add3_u32 v2, v3, v2, 0x80fffff
                                        ; implicit-def: $vgpr3
	v_lshrrev_b32_e32 v2, 21, v2
; %bb.511:
	s_and_not1_saveexec_b32 s6, s6
; %bb.512:
	v_add_f32_e32 v2, 0x43000000, v3
; %bb.513:
	s_or_b32 exec_lo, exec_lo, s6
                                        ; implicit-def: $vgpr3
.LBB308_514:
	s_and_not1_saveexec_b32 s5, s5
; %bb.515:
	v_mov_b32_e32 v2, 0x7f
	v_cmp_lt_u32_e32 vcc_lo, 0x7f800000, v3
	s_delay_alu instid0(VALU_DEP_2)
	v_cndmask_b32_e32 v2, 0x7c, v2, vcc_lo
; %bb.516:
	s_or_b32 exec_lo, exec_lo, s5
	global_store_b8 v[0:1], v2, off
.LBB308_517:
	s_mov_b32 s5, 0
.LBB308_518:
	s_delay_alu instid0(SALU_CYCLE_1)
	s_and_not1_b32 vcc_lo, exec_lo, s5
	s_mov_b32 s5, 0
	s_cbranch_vccnz .LBB308_526
; %bb.519:
	s_cmp_gt_i32 s3, 14
	s_mov_b32 s5, -1
	s_cbranch_scc0 .LBB308_523
; %bb.520:
	s_cmp_eq_u32 s3, 15
	s_mov_b32 s0, -1
	s_cbranch_scc0 .LBB308_522
; %bb.521:
	s_wait_xcnt 0x0
	v_cndmask_b32_e64 v2, 0, 1.0, s1
	s_mov_b32 s0, 0
	s_delay_alu instid0(VALU_DEP_1) | instskip(NEXT) | instid1(VALU_DEP_1)
	v_bfe_u32 v3, v2, 16, 1
	v_add3_u32 v2, v2, v3, 0x7fff
	global_store_d16_hi_b16 v[0:1], v2, off
.LBB308_522:
	s_mov_b32 s5, 0
.LBB308_523:
	s_delay_alu instid0(SALU_CYCLE_1)
	s_and_b32 vcc_lo, exec_lo, s5
	s_mov_b32 s5, 0
	s_cbranch_vccz .LBB308_526
; %bb.524:
	s_cmp_lg_u32 s3, 11
	s_mov_b32 s5, -1
	s_cselect_b32 s3, -1, 0
	s_and_not1_b32 s0, s0, exec_lo
	s_and_b32 s3, s3, exec_lo
	s_delay_alu instid0(SALU_CYCLE_1)
	s_or_b32 s0, s0, s3
	s_branch .LBB308_526
.LBB308_525:
	s_mov_b32 s5, 0
.LBB308_526:
	s_and_b32 s3, s4, exec_lo
	s_and_not1_b32 s4, s54, exec_lo
	s_and_b32 s6, s0, exec_lo
	s_and_b32 s0, s5, exec_lo
	s_or_b32 s4, s4, s6
.LBB308_527:
	s_wait_xcnt 0x0
	s_or_b32 exec_lo, exec_lo, s47
	s_delay_alu instid0(SALU_CYCLE_1)
	s_and_not1_b32 s5, s54, exec_lo
	s_and_b32 s4, s4, exec_lo
	s_and_b32 s3, s3, exec_lo
	;; [unrolled: 1-line block ×3, first 2 shown]
	s_or_b32 s54, s5, s4
.LBB308_528:
	s_or_b32 exec_lo, exec_lo, s53
	s_delay_alu instid0(SALU_CYCLE_1)
	s_and_not1_b32 s4, s51, exec_lo
	s_and_b32 s5, s54, exec_lo
	s_and_b32 s3, s3, exec_lo
	;; [unrolled: 1-line block ×3, first 2 shown]
	s_or_b32 s51, s4, s5
.LBB308_529:
	s_or_b32 exec_lo, exec_lo, s52
	s_delay_alu instid0(SALU_CYCLE_1)
	s_and_b32 s4, s3, exec_lo
	s_and_not1_b32 s3, s34, exec_lo
	s_and_b32 s5, s51, exec_lo
	s_and_b32 s15, s0, exec_lo
	s_or_b32 s34, s3, s5
	s_or_b32 exec_lo, exec_lo, s50
	s_mov_b32 s0, 0
	s_and_saveexec_b32 s3, s34
	s_cbranch_execz .LBB308_146
.LBB308_530:
	s_mov_b32 s0, exec_lo
	s_and_not1_b32 s15, s15, exec_lo
	s_trap 2
	s_or_b32 exec_lo, exec_lo, s3
	s_and_saveexec_b32 s3, s15
	s_delay_alu instid0(SALU_CYCLE_1)
	s_xor_b32 s3, exec_lo, s3
	s_cbranch_execnz .LBB308_147
.LBB308_531:
	s_or_b32 exec_lo, exec_lo, s3
	s_and_saveexec_b32 s3, s4
	s_delay_alu instid0(SALU_CYCLE_1)
	s_xor_b32 s3, exec_lo, s3
	s_cbranch_execz .LBB308_569
.LBB308_532:
	s_sext_i32_i16 s5, s2
	s_mov_b32 s4, -1
	s_cmp_lt_i32 s5, 5
	s_cbranch_scc1 .LBB308_553
; %bb.533:
	s_cmp_lt_i32 s5, 8
	s_cbranch_scc1 .LBB308_543
; %bb.534:
	;; [unrolled: 3-line block ×3, first 2 shown]
	s_cmp_gt_i32 s5, 9
	s_cbranch_scc0 .LBB308_537
; %bb.536:
	v_cndmask_b32_e64 v2, 0, 1, s1
	v_mov_b32_e32 v4, 0
	s_mov_b32 s4, 0
	s_delay_alu instid0(VALU_DEP_2) | instskip(NEXT) | instid1(VALU_DEP_2)
	v_cvt_f64_u32_e32 v[2:3], v2
	v_mov_b32_e32 v5, v4
	global_store_b128 v[0:1], v[2:5], off
.LBB308_537:
	s_and_not1_b32 vcc_lo, exec_lo, s4
	s_cbranch_vccnz .LBB308_539
; %bb.538:
	s_wait_xcnt 0x0
	v_cndmask_b32_e64 v2, 0, 1.0, s1
	v_mov_b32_e32 v3, 0
	global_store_b64 v[0:1], v[2:3], off
.LBB308_539:
	s_mov_b32 s4, 0
.LBB308_540:
	s_delay_alu instid0(SALU_CYCLE_1)
	s_and_not1_b32 vcc_lo, exec_lo, s4
	s_cbranch_vccnz .LBB308_542
; %bb.541:
	s_wait_xcnt 0x0
	v_cndmask_b32_e64 v2, 0, 1.0, s1
	s_delay_alu instid0(VALU_DEP_1) | instskip(NEXT) | instid1(VALU_DEP_1)
	v_cvt_f16_f32_e32 v2, v2
	v_and_b32_e32 v2, 0xffff, v2
	global_store_b32 v[0:1], v2, off
.LBB308_542:
	s_mov_b32 s4, 0
.LBB308_543:
	s_delay_alu instid0(SALU_CYCLE_1)
	s_and_not1_b32 vcc_lo, exec_lo, s4
	s_cbranch_vccnz .LBB308_552
; %bb.544:
	s_sext_i32_i16 s5, s2
	s_mov_b32 s4, -1
	s_cmp_lt_i32 s5, 6
	s_cbranch_scc1 .LBB308_550
; %bb.545:
	s_cmp_gt_i32 s5, 6
	s_cbranch_scc0 .LBB308_547
; %bb.546:
	s_wait_xcnt 0x0
	v_cndmask_b32_e64 v2, 0, 1, s1
	s_mov_b32 s4, 0
	s_delay_alu instid0(VALU_DEP_1)
	v_cvt_f64_u32_e32 v[2:3], v2
	global_store_b64 v[0:1], v[2:3], off
.LBB308_547:
	s_and_not1_b32 vcc_lo, exec_lo, s4
	s_cbranch_vccnz .LBB308_549
; %bb.548:
	s_wait_xcnt 0x0
	v_cndmask_b32_e64 v2, 0, 1.0, s1
	global_store_b32 v[0:1], v2, off
.LBB308_549:
	s_mov_b32 s4, 0
.LBB308_550:
	s_delay_alu instid0(SALU_CYCLE_1)
	s_and_not1_b32 vcc_lo, exec_lo, s4
	s_cbranch_vccnz .LBB308_552
; %bb.551:
	s_wait_xcnt 0x0
	v_cndmask_b32_e64 v2, 0, 1.0, s1
	s_delay_alu instid0(VALU_DEP_1)
	v_cvt_f16_f32_e32 v2, v2
	global_store_b16 v[0:1], v2, off
.LBB308_552:
	s_mov_b32 s4, 0
.LBB308_553:
	s_delay_alu instid0(SALU_CYCLE_1)
	s_and_not1_b32 vcc_lo, exec_lo, s4
	s_cbranch_vccnz .LBB308_569
; %bb.554:
	s_sext_i32_i16 s5, s2
	s_mov_b32 s4, -1
	s_cmp_lt_i32 s5, 2
	s_cbranch_scc1 .LBB308_564
; %bb.555:
	s_cmp_lt_i32 s5, 3
	s_cbranch_scc1 .LBB308_561
; %bb.556:
	s_cmp_gt_i32 s5, 3
	s_cbranch_scc0 .LBB308_558
; %bb.557:
	s_mov_b32 s4, 0
	s_wait_xcnt 0x0
	v_cndmask_b32_e64 v2, 0, 1, s1
	v_mov_b32_e32 v3, s4
	global_store_b64 v[0:1], v[2:3], off
.LBB308_558:
	s_and_not1_b32 vcc_lo, exec_lo, s4
	s_cbranch_vccnz .LBB308_560
; %bb.559:
	s_wait_xcnt 0x0
	v_cndmask_b32_e64 v2, 0, 1, s1
	global_store_b32 v[0:1], v2, off
.LBB308_560:
	s_mov_b32 s4, 0
.LBB308_561:
	s_delay_alu instid0(SALU_CYCLE_1)
	s_and_not1_b32 vcc_lo, exec_lo, s4
	s_cbranch_vccnz .LBB308_563
; %bb.562:
	s_wait_xcnt 0x0
	v_cndmask_b32_e64 v2, 0, 1, s1
	global_store_b16 v[0:1], v2, off
.LBB308_563:
	s_mov_b32 s4, 0
.LBB308_564:
	s_delay_alu instid0(SALU_CYCLE_1)
	s_and_not1_b32 vcc_lo, exec_lo, s4
	s_cbranch_vccnz .LBB308_569
; %bb.565:
	s_sext_i32_i16 s2, s2
	s_delay_alu instid0(SALU_CYCLE_1)
	s_cmp_gt_i32 s2, 0
	s_mov_b32 s2, -1
	s_cbranch_scc0 .LBB308_567
; %bb.566:
	s_wait_xcnt 0x0
	v_cndmask_b32_e64 v2, 0, 1, s1
	s_mov_b32 s2, 0
	global_store_b8 v[0:1], v2, off
.LBB308_567:
	s_and_not1_b32 vcc_lo, exec_lo, s2
	s_cbranch_vccnz .LBB308_569
; %bb.568:
	s_wait_xcnt 0x0
	v_cndmask_b32_e64 v2, 0, 1, s1
	global_store_b8 v[0:1], v2, off
.LBB308_569:
	s_wait_xcnt 0x0
	s_or_b32 exec_lo, exec_lo, s3
	s_delay_alu instid0(SALU_CYCLE_1)
	s_and_b32 s20, s0, exec_lo
                                        ; implicit-def: $vgpr2
                                        ; implicit-def: $vgpr10
.LBB308_570:
	s_or_saveexec_b32 s21, s45
	s_mov_b32 s0, 0
                                        ; implicit-def: $sgpr1
                                        ; implicit-def: $sgpr2
                                        ; implicit-def: $vgpr0_vgpr1
	s_xor_b32 exec_lo, exec_lo, s21
	s_cbranch_execz .LBB308_1060
; %bb.571:
	v_cndmask_b32_e64 v0, 0, 1, s44
	s_and_not1_b32 vcc_lo, exec_lo, s44
	s_cbranch_vccnz .LBB308_577
; %bb.572:
	s_cmp_lg_u32 s13, 0
	s_mov_b32 s6, 0
	s_cbranch_scc0 .LBB308_578
; %bb.573:
	s_min_u32 s1, s33, 15
	s_delay_alu instid0(SALU_CYCLE_1)
	s_add_co_i32 s1, s1, 1
	s_cmp_eq_u32 s33, 2
	s_cbranch_scc1 .LBB308_579
; %bb.574:
	v_dual_mov_b32 v18, 0 :: v_dual_mov_b32 v4, 0
	v_mov_b32_e32 v1, v10
	s_and_b32 s0, s1, 28
	s_add_nc_u64 s[2:3], s[28:29], 0xc4
	s_mov_b32 s7, 0
	s_mov_b64 s[4:5], s[28:29]
.LBB308_575:                            ; =>This Inner Loop Header: Depth=1
	s_clause 0x1
	s_load_b256 s[36:43], s[4:5], 0x4
	s_load_b128 s[8:11], s[4:5], 0x24
	s_load_b256 s[44:51], s[2:3], 0x0
	s_add_co_i32 s7, s7, 4
	s_wait_xcnt 0x0
	s_add_nc_u64 s[4:5], s[4:5], 48
	s_cmp_lg_u32 s0, s7
	s_add_nc_u64 s[2:3], s[2:3], 32
	s_wait_kmcnt 0x0
	v_mul_hi_u32 v3, s37, v1
	s_delay_alu instid0(VALU_DEP_1) | instskip(NEXT) | instid1(VALU_DEP_1)
	v_add_nc_u32_e32 v3, v1, v3
	v_lshrrev_b32_e32 v3, s38, v3
	s_delay_alu instid0(VALU_DEP_1) | instskip(NEXT) | instid1(VALU_DEP_1)
	v_mul_hi_u32 v5, s40, v3
	v_add_nc_u32_e32 v5, v3, v5
	s_delay_alu instid0(VALU_DEP_1) | instskip(NEXT) | instid1(VALU_DEP_1)
	v_lshrrev_b32_e32 v5, s41, v5
	v_mul_hi_u32 v6, s43, v5
	s_delay_alu instid0(VALU_DEP_1) | instskip(SKIP_1) | instid1(VALU_DEP_1)
	v_add_nc_u32_e32 v6, v5, v6
	v_mul_lo_u32 v7, v3, s36
	v_sub_nc_u32_e32 v1, v1, v7
	v_mul_lo_u32 v7, v5, s39
	s_delay_alu instid0(VALU_DEP_4) | instskip(NEXT) | instid1(VALU_DEP_3)
	v_lshrrev_b32_e32 v6, s8, v6
	v_mad_u32 v4, v1, s45, v4
	v_mad_u32 v1, v1, s44, v18
	s_delay_alu instid0(VALU_DEP_4) | instskip(NEXT) | instid1(VALU_DEP_4)
	v_sub_nc_u32_e32 v3, v3, v7
	v_mul_hi_u32 v8, s10, v6
	v_mul_lo_u32 v7, v6, s42
	s_delay_alu instid0(VALU_DEP_3) | instskip(SKIP_1) | instid1(VALU_DEP_3)
	v_mad_u32 v4, v3, s47, v4
	v_mad_u32 v3, v3, s46, v1
	v_dual_add_nc_u32 v8, v6, v8 :: v_dual_sub_nc_u32 v5, v5, v7
	s_delay_alu instid0(VALU_DEP_1) | instskip(NEXT) | instid1(VALU_DEP_2)
	v_lshrrev_b32_e32 v1, s11, v8
	v_mad_u32 v4, v5, s49, v4
	s_delay_alu instid0(VALU_DEP_4) | instskip(NEXT) | instid1(VALU_DEP_3)
	v_mad_u32 v3, v5, s48, v3
	v_mul_lo_u32 v7, v1, s9
	s_delay_alu instid0(VALU_DEP_1) | instskip(NEXT) | instid1(VALU_DEP_1)
	v_sub_nc_u32_e32 v5, v6, v7
	v_mad_u32 v4, v5, s51, v4
	s_delay_alu instid0(VALU_DEP_4)
	v_mad_u32 v18, v5, s50, v3
	s_cbranch_scc1 .LBB308_575
; %bb.576:
	s_delay_alu instid0(VALU_DEP_2)
	v_mov_b32_e32 v19, v4
	s_and_b32 s4, s1, 3
	s_mov_b32 s1, 0
	s_cmp_eq_u32 s4, 0
	s_cbranch_scc0 .LBB308_580
	s_branch .LBB308_583
.LBB308_577:
	s_mov_b32 s6, -1
                                        ; implicit-def: $vgpr4
                                        ; implicit-def: $vgpr18
	s_branch .LBB308_583
.LBB308_578:
	v_dual_mov_b32 v4, 0 :: v_dual_mov_b32 v18, 0
	s_branch .LBB308_583
.LBB308_579:
	v_mov_b64_e32 v[18:19], 0
	v_mov_b32_e32 v1, v10
                                        ; implicit-def: $vgpr4
	s_and_b32 s4, s1, 3
	s_mov_b32 s1, 0
	s_cmp_eq_u32 s4, 0
	s_cbranch_scc1 .LBB308_583
.LBB308_580:
	s_lshl_b32 s2, s0, 3
	s_mov_b32 s3, s1
	s_mul_u64 s[8:9], s[0:1], 12
	s_add_nc_u64 s[2:3], s[28:29], s[2:3]
	s_delay_alu instid0(SALU_CYCLE_1)
	s_add_nc_u64 s[0:1], s[2:3], 0xc4
	s_add_nc_u64 s[2:3], s[28:29], s[8:9]
.LBB308_581:                            ; =>This Inner Loop Header: Depth=1
	s_load_b96 s[8:10], s[2:3], 0x4
	s_add_co_i32 s4, s4, -1
	s_wait_xcnt 0x0
	s_add_nc_u64 s[2:3], s[2:3], 12
	s_cmp_lg_u32 s4, 0
	s_wait_kmcnt 0x0
	v_mul_hi_u32 v3, s9, v1
	s_delay_alu instid0(VALU_DEP_1) | instskip(NEXT) | instid1(VALU_DEP_1)
	v_add_nc_u32_e32 v3, v1, v3
	v_lshrrev_b32_e32 v3, s10, v3
	s_load_b64 s[10:11], s[0:1], 0x0
	s_wait_xcnt 0x0
	s_add_nc_u64 s[0:1], s[0:1], 8
	s_delay_alu instid0(VALU_DEP_1) | instskip(NEXT) | instid1(VALU_DEP_1)
	v_mul_lo_u32 v4, v3, s8
	v_sub_nc_u32_e32 v1, v1, v4
	s_wait_kmcnt 0x0
	s_delay_alu instid0(VALU_DEP_1)
	v_mad_u32 v19, v1, s11, v19
	v_mad_u32 v18, v1, s10, v18
	v_mov_b32_e32 v1, v3
	s_cbranch_scc1 .LBB308_581
; %bb.582:
	s_delay_alu instid0(VALU_DEP_3)
	v_mov_b32_e32 v4, v19
.LBB308_583:
	s_and_not1_b32 vcc_lo, exec_lo, s6
	s_cbranch_vccnz .LBB308_586
; %bb.584:
	s_clause 0x1
	s_load_b96 s[0:2], s[28:29], 0x4
	s_load_b64 s[4:5], s[28:29], 0xc4
	s_cmp_lt_u32 s13, 2
	s_wait_kmcnt 0x0
	v_mul_hi_u32 v1, s1, v10
	s_delay_alu instid0(VALU_DEP_1) | instskip(NEXT) | instid1(VALU_DEP_1)
	v_add_nc_u32_e32 v1, v10, v1
	v_lshrrev_b32_e32 v1, s2, v1
	s_delay_alu instid0(VALU_DEP_1) | instskip(NEXT) | instid1(VALU_DEP_1)
	v_mul_lo_u32 v3, v1, s0
	v_sub_nc_u32_e32 v3, v10, v3
	s_delay_alu instid0(VALU_DEP_1)
	v_mul_lo_u32 v4, v3, s5
	v_mul_lo_u32 v18, v3, s4
	s_cbranch_scc1 .LBB308_586
; %bb.585:
	s_clause 0x1
	s_load_b96 s[0:2], s[28:29], 0x10
	s_load_b64 s[4:5], s[28:29], 0xcc
	s_wait_kmcnt 0x0
	v_mul_hi_u32 v3, s1, v1
	s_delay_alu instid0(VALU_DEP_1) | instskip(NEXT) | instid1(VALU_DEP_1)
	v_add_nc_u32_e32 v3, v1, v3
	v_lshrrev_b32_e32 v3, s2, v3
	s_delay_alu instid0(VALU_DEP_1) | instskip(NEXT) | instid1(VALU_DEP_1)
	v_mul_lo_u32 v3, v3, s0
	v_sub_nc_u32_e32 v1, v1, v3
	s_delay_alu instid0(VALU_DEP_1)
	v_mad_u32 v18, v1, s4, v18
	v_mad_u32 v4, v1, s5, v4
.LBB308_586:
	v_cmp_ne_u32_e32 vcc_lo, 1, v0
	v_add_nc_u32_e32 v1, 0x80, v10
	s_cbranch_vccnz .LBB308_592
; %bb.587:
	s_cmp_lg_u32 s13, 0
	s_mov_b32 s6, 0
	s_cbranch_scc0 .LBB308_593
; %bb.588:
	s_min_u32 s1, s33, 15
	s_delay_alu instid0(SALU_CYCLE_1)
	s_add_co_i32 s1, s1, 1
	s_cmp_eq_u32 s33, 2
	s_cbranch_scc1 .LBB308_594
; %bb.589:
	v_dual_mov_b32 v16, 0 :: v_dual_mov_b32 v17, 0
	v_mov_b32_e32 v3, v1
	s_and_b32 s0, s1, 28
	s_add_nc_u64 s[2:3], s[28:29], 0xc4
	s_mov_b32 s7, 0
	s_mov_b64 s[4:5], s[28:29]
.LBB308_590:                            ; =>This Inner Loop Header: Depth=1
	s_clause 0x1
	s_load_b256 s[36:43], s[4:5], 0x4
	s_load_b128 s[8:11], s[4:5], 0x24
	s_load_b256 s[44:51], s[2:3], 0x0
	s_add_co_i32 s7, s7, 4
	s_wait_xcnt 0x0
	s_add_nc_u64 s[4:5], s[4:5], 48
	s_cmp_lg_u32 s0, s7
	s_add_nc_u64 s[2:3], s[2:3], 32
	s_wait_kmcnt 0x0
	v_mul_hi_u32 v5, s37, v3
	s_delay_alu instid0(VALU_DEP_1) | instskip(NEXT) | instid1(VALU_DEP_1)
	v_add_nc_u32_e32 v5, v3, v5
	v_lshrrev_b32_e32 v5, s38, v5
	s_delay_alu instid0(VALU_DEP_1) | instskip(NEXT) | instid1(VALU_DEP_1)
	v_mul_hi_u32 v6, s40, v5
	v_add_nc_u32_e32 v6, v5, v6
	s_delay_alu instid0(VALU_DEP_1) | instskip(NEXT) | instid1(VALU_DEP_1)
	v_lshrrev_b32_e32 v6, s41, v6
	v_mul_hi_u32 v7, s43, v6
	s_delay_alu instid0(VALU_DEP_1) | instskip(SKIP_1) | instid1(VALU_DEP_1)
	v_add_nc_u32_e32 v7, v6, v7
	v_mul_lo_u32 v8, v5, s36
	v_sub_nc_u32_e32 v3, v3, v8
	v_mul_lo_u32 v8, v6, s39
	s_delay_alu instid0(VALU_DEP_4) | instskip(NEXT) | instid1(VALU_DEP_3)
	v_lshrrev_b32_e32 v7, s8, v7
	v_mad_u32 v11, v3, s45, v17
	v_mad_u32 v3, v3, s44, v16
	s_delay_alu instid0(VALU_DEP_4) | instskip(NEXT) | instid1(VALU_DEP_4)
	v_sub_nc_u32_e32 v5, v5, v8
	v_mul_hi_u32 v9, s10, v7
	v_mul_lo_u32 v8, v7, s42
	s_delay_alu instid0(VALU_DEP_3) | instskip(SKIP_1) | instid1(VALU_DEP_3)
	v_mad_u32 v11, v5, s47, v11
	v_mad_u32 v5, v5, s46, v3
	v_dual_add_nc_u32 v9, v7, v9 :: v_dual_sub_nc_u32 v6, v6, v8
	s_delay_alu instid0(VALU_DEP_1) | instskip(NEXT) | instid1(VALU_DEP_2)
	v_lshrrev_b32_e32 v3, s11, v9
	v_mad_u32 v9, v6, s49, v11
	s_delay_alu instid0(VALU_DEP_4) | instskip(NEXT) | instid1(VALU_DEP_3)
	v_mad_u32 v5, v6, s48, v5
	v_mul_lo_u32 v8, v3, s9
	s_delay_alu instid0(VALU_DEP_1) | instskip(NEXT) | instid1(VALU_DEP_1)
	v_sub_nc_u32_e32 v6, v7, v8
	v_mad_u32 v17, v6, s51, v9
	s_delay_alu instid0(VALU_DEP_4)
	v_mad_u32 v16, v6, s50, v5
	s_cbranch_scc1 .LBB308_590
; %bb.591:
	s_and_b32 s4, s1, 3
	s_mov_b32 s1, 0
	s_cmp_eq_u32 s4, 0
	s_cbranch_scc0 .LBB308_595
	s_branch .LBB308_597
.LBB308_592:
	s_mov_b32 s6, -1
                                        ; implicit-def: $vgpr17
	s_branch .LBB308_597
.LBB308_593:
	v_dual_mov_b32 v17, 0 :: v_dual_mov_b32 v16, 0
	s_branch .LBB308_597
.LBB308_594:
	v_mov_b64_e32 v[16:17], 0
	v_mov_b32_e32 v3, v1
	s_mov_b32 s0, 0
	s_and_b32 s4, s1, 3
	s_mov_b32 s1, 0
	s_cmp_eq_u32 s4, 0
	s_cbranch_scc1 .LBB308_597
.LBB308_595:
	s_lshl_b32 s2, s0, 3
	s_mov_b32 s3, s1
	s_mul_u64 s[8:9], s[0:1], 12
	s_add_nc_u64 s[2:3], s[28:29], s[2:3]
	s_delay_alu instid0(SALU_CYCLE_1)
	s_add_nc_u64 s[0:1], s[2:3], 0xc4
	s_add_nc_u64 s[2:3], s[28:29], s[8:9]
.LBB308_596:                            ; =>This Inner Loop Header: Depth=1
	s_load_b96 s[8:10], s[2:3], 0x4
	s_add_co_i32 s4, s4, -1
	s_wait_xcnt 0x0
	s_add_nc_u64 s[2:3], s[2:3], 12
	s_cmp_lg_u32 s4, 0
	s_wait_kmcnt 0x0
	v_mul_hi_u32 v5, s9, v3
	s_delay_alu instid0(VALU_DEP_1) | instskip(NEXT) | instid1(VALU_DEP_1)
	v_add_nc_u32_e32 v5, v3, v5
	v_lshrrev_b32_e32 v5, s10, v5
	s_load_b64 s[10:11], s[0:1], 0x0
	s_wait_xcnt 0x0
	s_add_nc_u64 s[0:1], s[0:1], 8
	s_delay_alu instid0(VALU_DEP_1) | instskip(NEXT) | instid1(VALU_DEP_1)
	v_mul_lo_u32 v6, v5, s8
	v_sub_nc_u32_e32 v3, v3, v6
	s_wait_kmcnt 0x0
	s_delay_alu instid0(VALU_DEP_1)
	v_mad_u32 v17, v3, s11, v17
	v_mad_u32 v16, v3, s10, v16
	v_mov_b32_e32 v3, v5
	s_cbranch_scc1 .LBB308_596
.LBB308_597:
	s_and_not1_b32 vcc_lo, exec_lo, s6
	s_cbranch_vccnz .LBB308_600
; %bb.598:
	s_clause 0x1
	s_load_b96 s[0:2], s[28:29], 0x4
	s_load_b64 s[4:5], s[28:29], 0xc4
	s_cmp_lt_u32 s13, 2
	s_wait_kmcnt 0x0
	v_mul_hi_u32 v3, s1, v1
	s_delay_alu instid0(VALU_DEP_1) | instskip(NEXT) | instid1(VALU_DEP_1)
	v_add_nc_u32_e32 v3, v1, v3
	v_lshrrev_b32_e32 v3, s2, v3
	s_delay_alu instid0(VALU_DEP_1) | instskip(NEXT) | instid1(VALU_DEP_1)
	v_mul_lo_u32 v5, v3, s0
	v_sub_nc_u32_e32 v1, v1, v5
	s_delay_alu instid0(VALU_DEP_1)
	v_mul_lo_u32 v17, v1, s5
	v_mul_lo_u32 v16, v1, s4
	s_cbranch_scc1 .LBB308_600
; %bb.599:
	s_clause 0x1
	s_load_b96 s[0:2], s[28:29], 0x10
	s_load_b64 s[4:5], s[28:29], 0xcc
	s_wait_kmcnt 0x0
	v_mul_hi_u32 v1, s1, v3
	s_delay_alu instid0(VALU_DEP_1) | instskip(NEXT) | instid1(VALU_DEP_1)
	v_add_nc_u32_e32 v1, v3, v1
	v_lshrrev_b32_e32 v1, s2, v1
	s_delay_alu instid0(VALU_DEP_1) | instskip(NEXT) | instid1(VALU_DEP_1)
	v_mul_lo_u32 v1, v1, s0
	v_sub_nc_u32_e32 v1, v3, v1
	s_delay_alu instid0(VALU_DEP_1)
	v_mad_u32 v16, v1, s4, v16
	v_mad_u32 v17, v1, s5, v17
.LBB308_600:
	v_cmp_ne_u32_e32 vcc_lo, 1, v0
	v_add_nc_u32_e32 v1, 0x100, v10
	s_cbranch_vccnz .LBB308_606
; %bb.601:
	s_cmp_lg_u32 s13, 0
	s_mov_b32 s6, 0
	s_cbranch_scc0 .LBB308_607
; %bb.602:
	s_min_u32 s1, s33, 15
	s_delay_alu instid0(SALU_CYCLE_1)
	s_add_co_i32 s1, s1, 1
	s_cmp_eq_u32 s33, 2
	s_cbranch_scc1 .LBB308_608
; %bb.603:
	v_dual_mov_b32 v14, 0 :: v_dual_mov_b32 v15, 0
	v_mov_b32_e32 v3, v1
	s_and_b32 s0, s1, 28
	s_add_nc_u64 s[2:3], s[28:29], 0xc4
	s_mov_b32 s7, 0
	s_mov_b64 s[4:5], s[28:29]
.LBB308_604:                            ; =>This Inner Loop Header: Depth=1
	s_clause 0x1
	s_load_b256 s[36:43], s[4:5], 0x4
	s_load_b128 s[8:11], s[4:5], 0x24
	s_load_b256 s[44:51], s[2:3], 0x0
	s_add_co_i32 s7, s7, 4
	s_wait_xcnt 0x0
	s_add_nc_u64 s[4:5], s[4:5], 48
	s_cmp_lg_u32 s0, s7
	s_add_nc_u64 s[2:3], s[2:3], 32
	s_wait_kmcnt 0x0
	v_mul_hi_u32 v5, s37, v3
	s_delay_alu instid0(VALU_DEP_1) | instskip(NEXT) | instid1(VALU_DEP_1)
	v_add_nc_u32_e32 v5, v3, v5
	v_lshrrev_b32_e32 v5, s38, v5
	s_delay_alu instid0(VALU_DEP_1) | instskip(NEXT) | instid1(VALU_DEP_1)
	v_mul_hi_u32 v6, s40, v5
	v_add_nc_u32_e32 v6, v5, v6
	s_delay_alu instid0(VALU_DEP_1) | instskip(NEXT) | instid1(VALU_DEP_1)
	v_lshrrev_b32_e32 v6, s41, v6
	v_mul_hi_u32 v7, s43, v6
	s_delay_alu instid0(VALU_DEP_1) | instskip(SKIP_1) | instid1(VALU_DEP_1)
	v_add_nc_u32_e32 v7, v6, v7
	v_mul_lo_u32 v8, v5, s36
	v_sub_nc_u32_e32 v3, v3, v8
	v_mul_lo_u32 v8, v6, s39
	s_delay_alu instid0(VALU_DEP_4) | instskip(NEXT) | instid1(VALU_DEP_3)
	v_lshrrev_b32_e32 v7, s8, v7
	v_mad_u32 v10, v3, s45, v15
	v_mad_u32 v3, v3, s44, v14
	s_delay_alu instid0(VALU_DEP_4) | instskip(NEXT) | instid1(VALU_DEP_4)
	v_sub_nc_u32_e32 v5, v5, v8
	v_mul_hi_u32 v9, s10, v7
	v_mul_lo_u32 v8, v7, s42
	s_delay_alu instid0(VALU_DEP_3) | instskip(SKIP_1) | instid1(VALU_DEP_3)
	v_mad_u32 v10, v5, s47, v10
	v_mad_u32 v5, v5, s46, v3
	v_dual_add_nc_u32 v9, v7, v9 :: v_dual_sub_nc_u32 v6, v6, v8
	s_delay_alu instid0(VALU_DEP_1) | instskip(NEXT) | instid1(VALU_DEP_2)
	v_lshrrev_b32_e32 v3, s11, v9
	v_mad_u32 v9, v6, s49, v10
	s_delay_alu instid0(VALU_DEP_4) | instskip(NEXT) | instid1(VALU_DEP_3)
	v_mad_u32 v5, v6, s48, v5
	v_mul_lo_u32 v8, v3, s9
	s_delay_alu instid0(VALU_DEP_1) | instskip(NEXT) | instid1(VALU_DEP_1)
	v_sub_nc_u32_e32 v6, v7, v8
	v_mad_u32 v15, v6, s51, v9
	s_delay_alu instid0(VALU_DEP_4)
	v_mad_u32 v14, v6, s50, v5
	s_cbranch_scc1 .LBB308_604
; %bb.605:
	s_and_b32 s4, s1, 3
	s_mov_b32 s1, 0
	s_cmp_eq_u32 s4, 0
	s_cbranch_scc0 .LBB308_609
	s_branch .LBB308_611
.LBB308_606:
	s_mov_b32 s6, -1
                                        ; implicit-def: $vgpr15
	s_branch .LBB308_611
.LBB308_607:
	v_dual_mov_b32 v15, 0 :: v_dual_mov_b32 v14, 0
	s_branch .LBB308_611
.LBB308_608:
	v_mov_b64_e32 v[14:15], 0
	v_mov_b32_e32 v3, v1
	s_mov_b32 s0, 0
	s_and_b32 s4, s1, 3
	s_mov_b32 s1, 0
	s_cmp_eq_u32 s4, 0
	s_cbranch_scc1 .LBB308_611
.LBB308_609:
	s_lshl_b32 s2, s0, 3
	s_mov_b32 s3, s1
	s_mul_u64 s[8:9], s[0:1], 12
	s_add_nc_u64 s[2:3], s[28:29], s[2:3]
	s_delay_alu instid0(SALU_CYCLE_1)
	s_add_nc_u64 s[0:1], s[2:3], 0xc4
	s_add_nc_u64 s[2:3], s[28:29], s[8:9]
.LBB308_610:                            ; =>This Inner Loop Header: Depth=1
	s_load_b96 s[8:10], s[2:3], 0x4
	s_add_co_i32 s4, s4, -1
	s_wait_xcnt 0x0
	s_add_nc_u64 s[2:3], s[2:3], 12
	s_cmp_lg_u32 s4, 0
	s_wait_kmcnt 0x0
	v_mul_hi_u32 v5, s9, v3
	s_delay_alu instid0(VALU_DEP_1) | instskip(NEXT) | instid1(VALU_DEP_1)
	v_add_nc_u32_e32 v5, v3, v5
	v_lshrrev_b32_e32 v5, s10, v5
	s_load_b64 s[10:11], s[0:1], 0x0
	s_wait_xcnt 0x0
	s_add_nc_u64 s[0:1], s[0:1], 8
	s_delay_alu instid0(VALU_DEP_1) | instskip(NEXT) | instid1(VALU_DEP_1)
	v_mul_lo_u32 v6, v5, s8
	v_sub_nc_u32_e32 v3, v3, v6
	s_wait_kmcnt 0x0
	s_delay_alu instid0(VALU_DEP_1)
	v_mad_u32 v15, v3, s11, v15
	v_mad_u32 v14, v3, s10, v14
	v_mov_b32_e32 v3, v5
	s_cbranch_scc1 .LBB308_610
.LBB308_611:
	s_and_not1_b32 vcc_lo, exec_lo, s6
	s_cbranch_vccnz .LBB308_614
; %bb.612:
	s_clause 0x1
	s_load_b96 s[0:2], s[28:29], 0x4
	s_load_b64 s[4:5], s[28:29], 0xc4
	s_cmp_lt_u32 s13, 2
	s_wait_kmcnt 0x0
	v_mul_hi_u32 v3, s1, v1
	s_delay_alu instid0(VALU_DEP_1) | instskip(NEXT) | instid1(VALU_DEP_1)
	v_add_nc_u32_e32 v3, v1, v3
	v_lshrrev_b32_e32 v3, s2, v3
	s_delay_alu instid0(VALU_DEP_1) | instskip(NEXT) | instid1(VALU_DEP_1)
	v_mul_lo_u32 v5, v3, s0
	v_sub_nc_u32_e32 v1, v1, v5
	s_delay_alu instid0(VALU_DEP_1)
	v_mul_lo_u32 v15, v1, s5
	v_mul_lo_u32 v14, v1, s4
	s_cbranch_scc1 .LBB308_614
; %bb.613:
	s_clause 0x1
	s_load_b96 s[0:2], s[28:29], 0x10
	s_load_b64 s[4:5], s[28:29], 0xcc
	s_wait_kmcnt 0x0
	v_mul_hi_u32 v1, s1, v3
	s_delay_alu instid0(VALU_DEP_1) | instskip(NEXT) | instid1(VALU_DEP_1)
	v_add_nc_u32_e32 v1, v3, v1
	v_lshrrev_b32_e32 v1, s2, v1
	s_delay_alu instid0(VALU_DEP_1) | instskip(NEXT) | instid1(VALU_DEP_1)
	v_mul_lo_u32 v1, v1, s0
	v_sub_nc_u32_e32 v1, v3, v1
	s_delay_alu instid0(VALU_DEP_1)
	v_mad_u32 v14, v1, s4, v14
	v_mad_u32 v15, v1, s5, v15
.LBB308_614:
	v_cmp_ne_u32_e32 vcc_lo, 1, v0
	s_cbranch_vccnz .LBB308_620
; %bb.615:
	s_cmp_lg_u32 s13, 0
	s_mov_b32 s6, 0
	s_cbranch_scc0 .LBB308_621
; %bb.616:
	s_min_u32 s1, s33, 15
	s_delay_alu instid0(SALU_CYCLE_1)
	s_add_co_i32 s1, s1, 1
	s_cmp_eq_u32 s33, 2
	s_cbranch_scc1 .LBB308_622
; %bb.617:
	v_dual_mov_b32 v12, 0 :: v_dual_mov_b32 v13, 0
	v_mov_b32_e32 v0, v2
	s_and_b32 s0, s1, 28
	s_add_nc_u64 s[2:3], s[28:29], 0xc4
	s_mov_b32 s7, 0
	s_mov_b64 s[4:5], s[28:29]
.LBB308_618:                            ; =>This Inner Loop Header: Depth=1
	s_clause 0x1
	s_load_b256 s[36:43], s[4:5], 0x4
	s_load_b128 s[8:11], s[4:5], 0x24
	s_load_b256 s[44:51], s[2:3], 0x0
	s_add_co_i32 s7, s7, 4
	s_wait_xcnt 0x0
	s_add_nc_u64 s[4:5], s[4:5], 48
	s_cmp_lg_u32 s0, s7
	s_add_nc_u64 s[2:3], s[2:3], 32
	s_wait_kmcnt 0x0
	v_mul_hi_u32 v1, s37, v0
	s_delay_alu instid0(VALU_DEP_1) | instskip(NEXT) | instid1(VALU_DEP_1)
	v_add_nc_u32_e32 v1, v0, v1
	v_lshrrev_b32_e32 v1, s38, v1
	s_delay_alu instid0(VALU_DEP_1) | instskip(NEXT) | instid1(VALU_DEP_1)
	v_mul_lo_u32 v6, v1, s36
	v_sub_nc_u32_e32 v0, v0, v6
	v_mul_hi_u32 v3, s40, v1
	s_delay_alu instid0(VALU_DEP_2) | instskip(SKIP_1) | instid1(VALU_DEP_3)
	v_mad_u32 v8, v0, s45, v13
	v_mad_u32 v0, v0, s44, v12
	v_add_nc_u32_e32 v3, v1, v3
	s_delay_alu instid0(VALU_DEP_1) | instskip(NEXT) | instid1(VALU_DEP_1)
	v_lshrrev_b32_e32 v3, s41, v3
	v_mul_hi_u32 v5, s43, v3
	v_mul_lo_u32 v6, v3, s39
	s_delay_alu instid0(VALU_DEP_1) | instskip(NEXT) | instid1(VALU_DEP_1)
	v_dual_add_nc_u32 v5, v3, v5 :: v_dual_sub_nc_u32 v1, v1, v6
	v_lshrrev_b32_e32 v5, s8, v5
	s_delay_alu instid0(VALU_DEP_2) | instskip(SKIP_1) | instid1(VALU_DEP_3)
	v_mad_u32 v8, v1, s47, v8
	v_mad_u32 v1, v1, s46, v0
	v_mul_hi_u32 v7, s10, v5
	v_mul_lo_u32 v6, v5, s42
	s_delay_alu instid0(VALU_DEP_1) | instskip(NEXT) | instid1(VALU_DEP_1)
	v_dual_add_nc_u32 v7, v5, v7 :: v_dual_sub_nc_u32 v3, v3, v6
	v_lshrrev_b32_e32 v0, s11, v7
	s_delay_alu instid0(VALU_DEP_2) | instskip(SKIP_1) | instid1(VALU_DEP_3)
	v_mad_u32 v7, v3, s49, v8
	v_mad_u32 v1, v3, s48, v1
	v_mul_lo_u32 v6, v0, s9
	s_delay_alu instid0(VALU_DEP_1) | instskip(NEXT) | instid1(VALU_DEP_1)
	v_sub_nc_u32_e32 v3, v5, v6
	v_mad_u32 v13, v3, s51, v7
	s_delay_alu instid0(VALU_DEP_4)
	v_mad_u32 v12, v3, s50, v1
	s_cbranch_scc1 .LBB308_618
; %bb.619:
	s_and_b32 s4, s1, 3
	s_mov_b32 s1, 0
	s_cmp_eq_u32 s4, 0
	s_cbranch_scc0 .LBB308_623
	s_branch .LBB308_625
.LBB308_620:
	s_mov_b32 s6, -1
                                        ; implicit-def: $vgpr13
	s_branch .LBB308_625
.LBB308_621:
	v_dual_mov_b32 v13, 0 :: v_dual_mov_b32 v12, 0
	s_branch .LBB308_625
.LBB308_622:
	v_mov_b64_e32 v[12:13], 0
	v_mov_b32_e32 v0, v2
	s_mov_b32 s0, 0
	s_and_b32 s4, s1, 3
	s_mov_b32 s1, 0
	s_cmp_eq_u32 s4, 0
	s_cbranch_scc1 .LBB308_625
.LBB308_623:
	s_lshl_b32 s2, s0, 3
	s_mov_b32 s3, s1
	s_mul_u64 s[8:9], s[0:1], 12
	s_add_nc_u64 s[2:3], s[28:29], s[2:3]
	s_delay_alu instid0(SALU_CYCLE_1)
	s_add_nc_u64 s[0:1], s[2:3], 0xc4
	s_add_nc_u64 s[2:3], s[28:29], s[8:9]
.LBB308_624:                            ; =>This Inner Loop Header: Depth=1
	s_load_b96 s[8:10], s[2:3], 0x4
	s_add_co_i32 s4, s4, -1
	s_wait_xcnt 0x0
	s_add_nc_u64 s[2:3], s[2:3], 12
	s_cmp_lg_u32 s4, 0
	s_wait_kmcnt 0x0
	v_mul_hi_u32 v1, s9, v0
	s_delay_alu instid0(VALU_DEP_1) | instskip(NEXT) | instid1(VALU_DEP_1)
	v_add_nc_u32_e32 v1, v0, v1
	v_lshrrev_b32_e32 v1, s10, v1
	s_load_b64 s[10:11], s[0:1], 0x0
	s_wait_xcnt 0x0
	s_add_nc_u64 s[0:1], s[0:1], 8
	s_delay_alu instid0(VALU_DEP_1) | instskip(NEXT) | instid1(VALU_DEP_1)
	v_mul_lo_u32 v3, v1, s8
	v_sub_nc_u32_e32 v0, v0, v3
	s_wait_kmcnt 0x0
	s_delay_alu instid0(VALU_DEP_1)
	v_mad_u32 v13, v0, s11, v13
	v_mad_u32 v12, v0, s10, v12
	v_mov_b32_e32 v0, v1
	s_cbranch_scc1 .LBB308_624
.LBB308_625:
	s_and_not1_b32 vcc_lo, exec_lo, s6
	s_cbranch_vccnz .LBB308_628
; %bb.626:
	s_clause 0x1
	s_load_b96 s[0:2], s[28:29], 0x4
	s_load_b64 s[4:5], s[28:29], 0xc4
	s_cmp_lt_u32 s13, 2
	s_wait_kmcnt 0x0
	v_mul_hi_u32 v0, s1, v2
	s_delay_alu instid0(VALU_DEP_1) | instskip(NEXT) | instid1(VALU_DEP_1)
	v_add_nc_u32_e32 v0, v2, v0
	v_lshrrev_b32_e32 v0, s2, v0
	s_delay_alu instid0(VALU_DEP_1) | instskip(NEXT) | instid1(VALU_DEP_1)
	v_mul_lo_u32 v1, v0, s0
	v_sub_nc_u32_e32 v1, v2, v1
	s_delay_alu instid0(VALU_DEP_1)
	v_mul_lo_u32 v13, v1, s5
	v_mul_lo_u32 v12, v1, s4
	s_cbranch_scc1 .LBB308_628
; %bb.627:
	s_clause 0x1
	s_load_b96 s[0:2], s[28:29], 0x10
	s_load_b64 s[4:5], s[28:29], 0xcc
	s_wait_kmcnt 0x0
	v_mul_hi_u32 v1, s1, v0
	s_delay_alu instid0(VALU_DEP_1) | instskip(NEXT) | instid1(VALU_DEP_1)
	v_add_nc_u32_e32 v1, v0, v1
	v_lshrrev_b32_e32 v1, s2, v1
	s_delay_alu instid0(VALU_DEP_1) | instskip(NEXT) | instid1(VALU_DEP_1)
	v_mul_lo_u32 v1, v1, s0
	v_sub_nc_u32_e32 v0, v0, v1
	s_delay_alu instid0(VALU_DEP_1)
	v_mad_u32 v12, v0, s4, v12
	v_mad_u32 v13, v0, s5, v13
.LBB308_628:
	s_clause 0x1
	s_load_b64 s[22:23], s[28:29], 0x158
	s_load_b128 s[16:19], s[28:29], 0x148
	v_mov_b32_e32 v19, 0
	s_get_pc_i64 s[24:25]
	s_add_nc_u64 s[24:25], s[24:25], _ZN2at6native6invokeINS0_13AUnaryFunctorIN3c1015Float8_e4m3fnuzES4_bNS0_12_GLOBAL__N_116CompareEqFunctorIS4_EEEEj15function_traitsIS8_EEENT1_11result_typeERKT_PrKPcPKT0_PKNS3_10ScalarTypeEi@rel64+4
	s_wait_kmcnt 0x0
	v_mov_b32_e32 v0, s22
	global_load_u8 v10, v19, s[28:29] offset:353
	v_dual_mov_b32 v1, s23 :: v_dual_mov_b32 v2, s18
	s_wait_loadcnt 0x0
	v_dual_mov_b32 v3, s19 :: v_dual_mov_b32 v5, v10
	s_swap_pc_i64 s[30:31], s[24:25]
	v_dual_mov_b32 v1, s23 :: v_dual_bitop2_b32 v0, 1, v0 bitop3:0x40
	v_dual_mov_b32 v3, s19 :: v_dual_mov_b32 v4, v17
	v_mov_b32_e32 v5, v10
	s_delay_alu instid0(VALU_DEP_3) | instskip(SKIP_2) | instid1(VALU_DEP_1)
	v_cmp_eq_u32_e64 s15, 1, v0
	v_dual_mov_b32 v0, s22 :: v_dual_mov_b32 v2, s18
	s_swap_pc_i64 s[30:31], s[24:25]
	v_dual_mov_b32 v1, s23 :: v_dual_bitop2_b32 v0, 1, v0 bitop3:0x40
	v_dual_mov_b32 v3, s19 :: v_dual_mov_b32 v4, v15
	v_mov_b32_e32 v5, v10
	s_delay_alu instid0(VALU_DEP_3) | instskip(SKIP_2) | instid1(VALU_DEP_1)
	v_cmp_eq_u32_e64 s14, 1, v0
	v_dual_mov_b32 v0, s22 :: v_dual_mov_b32 v2, s18
	s_swap_pc_i64 s[30:31], s[24:25]
	v_dual_mov_b32 v1, s23 :: v_dual_bitop2_b32 v0, 1, v0 bitop3:0x40
	v_dual_mov_b32 v3, s19 :: v_dual_mov_b32 v4, v13
	v_mov_b32_e32 v5, v10
	s_delay_alu instid0(VALU_DEP_3) | instskip(SKIP_3) | instid1(VALU_DEP_1)
	v_cmp_eq_u32_e64 s13, 1, v0
	v_dual_mov_b32 v0, s22 :: v_dual_mov_b32 v2, s18
	s_swap_pc_i64 s[30:31], s[24:25]
	s_load_b32 s0, s[28:29], 0x160
	v_and_b32_e32 v0, 1, v0
	s_delay_alu instid0(VALU_DEP_1) | instskip(SKIP_3) | instid1(SALU_CYCLE_1)
	v_cmp_eq_u32_e64 s1, 1, v0
	v_add_nc_u64_e32 v[0:1], s[16:17], v[18:19]
	s_wait_kmcnt 0x0
	s_and_b32 s2, s0, 0xff
	s_cmp_lt_i32 s2, 11
	s_cbranch_scc1 .LBB308_707
; %bb.629:
	s_and_b32 s3, 0xffff, s2
	s_mov_b32 s6, -1
	s_mov_b32 s4, 0
	s_cmp_gt_i32 s3, 25
	s_mov_b32 s5, 0
	s_mov_b32 s0, 0
	s_cbranch_scc0 .LBB308_662
; %bb.630:
	s_cmp_gt_i32 s3, 28
	s_cbranch_scc0 .LBB308_645
; %bb.631:
	s_cmp_gt_i32 s3, 43
	;; [unrolled: 3-line block ×3, first 2 shown]
	s_cbranch_scc0 .LBB308_635
; %bb.633:
	s_mov_b32 s0, -1
	s_mov_b32 s6, 0
	s_cmp_eq_u32 s3, 46
	s_cbranch_scc0 .LBB308_635
; %bb.634:
	v_cndmask_b32_e64 v2, 0, 1.0, s15
	s_mov_b32 s0, 0
	s_mov_b32 s5, -1
	s_delay_alu instid0(VALU_DEP_1) | instskip(NEXT) | instid1(VALU_DEP_1)
	v_bfe_u32 v3, v2, 16, 1
	v_add3_u32 v2, v2, v3, 0x7fff
	s_delay_alu instid0(VALU_DEP_1)
	v_lshrrev_b32_e32 v2, 16, v2
	global_store_b32 v[0:1], v2, off
.LBB308_635:
	s_and_b32 vcc_lo, exec_lo, s6
	s_cbranch_vccz .LBB308_640
; %bb.636:
	s_cmp_eq_u32 s3, 44
	s_mov_b32 s0, -1
	s_cbranch_scc0 .LBB308_640
; %bb.637:
	v_cndmask_b32_e64 v4, 0, 1.0, s15
	s_mov_b32 s5, exec_lo
	s_wait_xcnt 0x0
	s_delay_alu instid0(VALU_DEP_1) | instskip(NEXT) | instid1(VALU_DEP_1)
	v_dual_mov_b32 v3, 0xff :: v_dual_lshrrev_b32 v2, 23, v4
	v_cmpx_ne_u32_e32 0xff, v2
; %bb.638:
	v_and_b32_e32 v3, 0x400000, v4
	v_and_or_b32 v4, 0x3fffff, v4, v2
	s_delay_alu instid0(VALU_DEP_2) | instskip(NEXT) | instid1(VALU_DEP_2)
	v_cmp_ne_u32_e32 vcc_lo, 0, v3
	v_cmp_ne_u32_e64 s0, 0, v4
	s_and_b32 s0, vcc_lo, s0
	s_delay_alu instid0(SALU_CYCLE_1) | instskip(NEXT) | instid1(VALU_DEP_1)
	v_cndmask_b32_e64 v3, 0, 1, s0
	v_add_nc_u32_e32 v3, v2, v3
; %bb.639:
	s_or_b32 exec_lo, exec_lo, s5
	s_mov_b32 s0, 0
	s_mov_b32 s5, -1
	global_store_b8 v[0:1], v3, off
.LBB308_640:
	s_mov_b32 s6, 0
.LBB308_641:
	s_delay_alu instid0(SALU_CYCLE_1)
	s_and_b32 vcc_lo, exec_lo, s6
	s_cbranch_vccz .LBB308_644
; %bb.642:
	s_cmp_eq_u32 s3, 29
	s_mov_b32 s0, -1
	s_cbranch_scc0 .LBB308_644
; %bb.643:
	s_mov_b32 s0, 0
	s_wait_xcnt 0x0
	v_cndmask_b32_e64 v2, 0, 1, s15
	v_mov_b32_e32 v3, s0
	s_mov_b32 s5, -1
	global_store_b64 v[0:1], v[2:3], off
.LBB308_644:
	s_mov_b32 s6, 0
.LBB308_645:
	s_delay_alu instid0(SALU_CYCLE_1)
	s_and_b32 vcc_lo, exec_lo, s6
	s_cbranch_vccz .LBB308_661
; %bb.646:
	s_cmp_lt_i32 s3, 27
	s_mov_b32 s5, -1
	s_cbranch_scc1 .LBB308_652
; %bb.647:
	s_cmp_gt_i32 s3, 27
	s_cbranch_scc0 .LBB308_649
; %bb.648:
	s_wait_xcnt 0x0
	v_cndmask_b32_e64 v2, 0, 1, s15
	s_mov_b32 s5, 0
	global_store_b32 v[0:1], v2, off
.LBB308_649:
	s_and_not1_b32 vcc_lo, exec_lo, s5
	s_cbranch_vccnz .LBB308_651
; %bb.650:
	s_wait_xcnt 0x0
	v_cndmask_b32_e64 v2, 0, 1, s15
	global_store_b16 v[0:1], v2, off
.LBB308_651:
	s_mov_b32 s5, 0
.LBB308_652:
	s_delay_alu instid0(SALU_CYCLE_1)
	s_and_not1_b32 vcc_lo, exec_lo, s5
	s_cbranch_vccnz .LBB308_660
; %bb.653:
	s_wait_xcnt 0x0
	v_cndmask_b32_e64 v3, 0, 1.0, s15
	v_mov_b32_e32 v4, 0x80
	s_mov_b32 s5, exec_lo
	s_delay_alu instid0(VALU_DEP_2)
	v_cmpx_gt_u32_e32 0x43800000, v3
	s_cbranch_execz .LBB308_659
; %bb.654:
	s_mov_b32 s6, 0
	s_mov_b32 s7, exec_lo
                                        ; implicit-def: $vgpr2
	v_cmpx_lt_u32_e32 0x3bffffff, v3
	s_xor_b32 s7, exec_lo, s7
	s_cbranch_execz .LBB308_1104
; %bb.655:
	v_bfe_u32 v2, v3, 20, 1
	s_mov_b32 s6, exec_lo
	s_delay_alu instid0(VALU_DEP_1) | instskip(NEXT) | instid1(VALU_DEP_1)
	v_add3_u32 v2, v3, v2, 0x487ffff
                                        ; implicit-def: $vgpr3
	v_lshrrev_b32_e32 v2, 20, v2
	s_and_not1_saveexec_b32 s7, s7
	s_cbranch_execnz .LBB308_1105
.LBB308_656:
	s_or_b32 exec_lo, exec_lo, s7
	v_mov_b32_e32 v4, 0
	s_and_saveexec_b32 s7, s6
.LBB308_657:
	v_mov_b32_e32 v4, v2
.LBB308_658:
	s_or_b32 exec_lo, exec_lo, s7
.LBB308_659:
	s_delay_alu instid0(SALU_CYCLE_1)
	s_or_b32 exec_lo, exec_lo, s5
	global_store_b8 v[0:1], v4, off
.LBB308_660:
	s_mov_b32 s5, -1
.LBB308_661:
	s_mov_b32 s6, 0
.LBB308_662:
	s_delay_alu instid0(SALU_CYCLE_1)
	s_and_b32 vcc_lo, exec_lo, s6
	s_cbranch_vccz .LBB308_702
; %bb.663:
	s_cmp_gt_i32 s3, 22
	s_mov_b32 s4, -1
	s_cbranch_scc0 .LBB308_695
; %bb.664:
	s_cmp_lt_i32 s3, 24
	s_cbranch_scc1 .LBB308_684
; %bb.665:
	s_cmp_gt_i32 s3, 24
	s_cbranch_scc0 .LBB308_673
; %bb.666:
	s_wait_xcnt 0x0
	v_cndmask_b32_e64 v3, 0, 1.0, s15
	v_mov_b32_e32 v4, 0x80
	s_mov_b32 s4, exec_lo
	s_delay_alu instid0(VALU_DEP_2)
	v_cmpx_gt_u32_e32 0x47800000, v3
	s_cbranch_execz .LBB308_672
; %bb.667:
	s_mov_b32 s5, 0
	s_mov_b32 s6, exec_lo
                                        ; implicit-def: $vgpr2
	v_cmpx_lt_u32_e32 0x37ffffff, v3
	s_xor_b32 s6, exec_lo, s6
	s_cbranch_execz .LBB308_1107
; %bb.668:
	v_bfe_u32 v2, v3, 21, 1
	s_mov_b32 s5, exec_lo
	s_delay_alu instid0(VALU_DEP_1) | instskip(NEXT) | instid1(VALU_DEP_1)
	v_add3_u32 v2, v3, v2, 0x88fffff
                                        ; implicit-def: $vgpr3
	v_lshrrev_b32_e32 v2, 21, v2
	s_and_not1_saveexec_b32 s6, s6
	s_cbranch_execnz .LBB308_1108
.LBB308_669:
	s_or_b32 exec_lo, exec_lo, s6
	v_mov_b32_e32 v4, 0
	s_and_saveexec_b32 s6, s5
.LBB308_670:
	v_mov_b32_e32 v4, v2
.LBB308_671:
	s_or_b32 exec_lo, exec_lo, s6
.LBB308_672:
	s_delay_alu instid0(SALU_CYCLE_1)
	s_or_b32 exec_lo, exec_lo, s4
	s_mov_b32 s4, 0
	global_store_b8 v[0:1], v4, off
.LBB308_673:
	s_and_b32 vcc_lo, exec_lo, s4
	s_cbranch_vccz .LBB308_683
; %bb.674:
	s_wait_xcnt 0x0
	v_cndmask_b32_e64 v3, 0, 1.0, s15
	s_mov_b32 s4, exec_lo
                                        ; implicit-def: $vgpr2
	s_delay_alu instid0(VALU_DEP_1)
	v_cmpx_gt_u32_e32 0x43f00000, v3
	s_xor_b32 s4, exec_lo, s4
	s_cbranch_execz .LBB308_680
; %bb.675:
	s_mov_b32 s5, exec_lo
                                        ; implicit-def: $vgpr2
	v_cmpx_lt_u32_e32 0x3c7fffff, v3
	s_xor_b32 s5, exec_lo, s5
; %bb.676:
	v_bfe_u32 v2, v3, 20, 1
	s_delay_alu instid0(VALU_DEP_1) | instskip(NEXT) | instid1(VALU_DEP_1)
	v_add3_u32 v2, v3, v2, 0x407ffff
	v_and_b32_e32 v3, 0xff00000, v2
	v_lshrrev_b32_e32 v2, 20, v2
	s_delay_alu instid0(VALU_DEP_2) | instskip(NEXT) | instid1(VALU_DEP_2)
	v_cmp_ne_u32_e32 vcc_lo, 0x7f00000, v3
                                        ; implicit-def: $vgpr3
	v_cndmask_b32_e32 v2, 0x7e, v2, vcc_lo
; %bb.677:
	s_and_not1_saveexec_b32 s5, s5
; %bb.678:
	v_add_f32_e32 v2, 0x46800000, v3
; %bb.679:
	s_or_b32 exec_lo, exec_lo, s5
                                        ; implicit-def: $vgpr3
.LBB308_680:
	s_and_not1_saveexec_b32 s4, s4
; %bb.681:
	v_mov_b32_e32 v2, 0x7f
	v_cmp_lt_u32_e32 vcc_lo, 0x7f800000, v3
	s_delay_alu instid0(VALU_DEP_2)
	v_cndmask_b32_e32 v2, 0x7e, v2, vcc_lo
; %bb.682:
	s_or_b32 exec_lo, exec_lo, s4
	global_store_b8 v[0:1], v2, off
.LBB308_683:
	s_mov_b32 s4, 0
.LBB308_684:
	s_delay_alu instid0(SALU_CYCLE_1)
	s_and_not1_b32 vcc_lo, exec_lo, s4
	s_cbranch_vccnz .LBB308_694
; %bb.685:
	s_wait_xcnt 0x0
	v_cndmask_b32_e64 v3, 0, 1.0, s15
	s_mov_b32 s4, exec_lo
                                        ; implicit-def: $vgpr2
	s_delay_alu instid0(VALU_DEP_1)
	v_cmpx_gt_u32_e32 0x47800000, v3
	s_xor_b32 s4, exec_lo, s4
	s_cbranch_execz .LBB308_691
; %bb.686:
	s_mov_b32 s5, exec_lo
                                        ; implicit-def: $vgpr2
	v_cmpx_lt_u32_e32 0x387fffff, v3
	s_xor_b32 s5, exec_lo, s5
; %bb.687:
	v_bfe_u32 v2, v3, 21, 1
	s_delay_alu instid0(VALU_DEP_1) | instskip(NEXT) | instid1(VALU_DEP_1)
	v_add3_u32 v2, v3, v2, 0x80fffff
                                        ; implicit-def: $vgpr3
	v_lshrrev_b32_e32 v2, 21, v2
; %bb.688:
	s_and_not1_saveexec_b32 s5, s5
; %bb.689:
	v_add_f32_e32 v2, 0x43000000, v3
; %bb.690:
	s_or_b32 exec_lo, exec_lo, s5
                                        ; implicit-def: $vgpr3
.LBB308_691:
	s_and_not1_saveexec_b32 s4, s4
; %bb.692:
	v_mov_b32_e32 v2, 0x7f
	v_cmp_lt_u32_e32 vcc_lo, 0x7f800000, v3
	s_delay_alu instid0(VALU_DEP_2)
	v_cndmask_b32_e32 v2, 0x7c, v2, vcc_lo
; %bb.693:
	s_or_b32 exec_lo, exec_lo, s4
	global_store_b8 v[0:1], v2, off
.LBB308_694:
	s_mov_b32 s4, 0
	s_mov_b32 s5, -1
.LBB308_695:
	s_and_not1_b32 vcc_lo, exec_lo, s4
	s_mov_b32 s4, 0
	s_cbranch_vccnz .LBB308_702
; %bb.696:
	s_cmp_gt_i32 s3, 14
	s_mov_b32 s4, -1
	s_cbranch_scc0 .LBB308_700
; %bb.697:
	s_cmp_eq_u32 s3, 15
	s_mov_b32 s0, -1
	s_cbranch_scc0 .LBB308_699
; %bb.698:
	s_wait_xcnt 0x0
	v_cndmask_b32_e64 v2, 0, 1.0, s15
	s_mov_b32 s0, 0
	s_mov_b32 s5, -1
	s_delay_alu instid0(VALU_DEP_1) | instskip(NEXT) | instid1(VALU_DEP_1)
	v_bfe_u32 v3, v2, 16, 1
	v_add3_u32 v2, v2, v3, 0x7fff
	global_store_d16_hi_b16 v[0:1], v2, off
.LBB308_699:
	s_mov_b32 s4, 0
.LBB308_700:
	s_delay_alu instid0(SALU_CYCLE_1)
	s_and_b32 vcc_lo, exec_lo, s4
	s_mov_b32 s4, 0
	s_cbranch_vccz .LBB308_702
; %bb.701:
	s_cmp_lg_u32 s3, 11
	s_mov_b32 s4, -1
	s_cselect_b32 s0, -1, 0
.LBB308_702:
	s_delay_alu instid0(SALU_CYCLE_1)
	s_and_b32 vcc_lo, exec_lo, s0
	s_mov_b32 s3, s20
	s_cbranch_vccnz .LBB308_1106
; %bb.703:
	s_and_not1_b32 vcc_lo, exec_lo, s4
	s_cbranch_vccnz .LBB308_705
.LBB308_704:
	s_wait_xcnt 0x0
	v_cndmask_b32_e64 v2, 0, 1, s15
	s_mov_b32 s5, -1
	global_store_b8 v[0:1], v2, off
.LBB308_705:
.LBB308_706:
	s_and_not1_b32 vcc_lo, exec_lo, s5
	s_cbranch_vccz .LBB308_746
	s_branch .LBB308_1058
.LBB308_707:
	s_mov_b32 s5, 0
	s_mov_b32 s3, s20
	s_cbranch_execz .LBB308_706
; %bb.708:
	s_and_b32 s0, 0xffff, s2
	s_mov_b32 s4, -1
	s_cmp_lt_i32 s0, 5
	s_cbranch_scc1 .LBB308_729
; %bb.709:
	s_cmp_lt_i32 s0, 8
	s_cbranch_scc1 .LBB308_719
; %bb.710:
	;; [unrolled: 3-line block ×3, first 2 shown]
	s_cmp_gt_i32 s0, 9
	s_cbranch_scc0 .LBB308_713
; %bb.712:
	s_wait_xcnt 0x0
	v_cndmask_b32_e64 v2, 0, 1, s15
	v_mov_b32_e32 v4, 0
	s_mov_b32 s4, 0
	s_delay_alu instid0(VALU_DEP_2) | instskip(NEXT) | instid1(VALU_DEP_2)
	v_cvt_f64_u32_e32 v[2:3], v2
	v_mov_b32_e32 v5, v4
	global_store_b128 v[0:1], v[2:5], off
.LBB308_713:
	s_and_not1_b32 vcc_lo, exec_lo, s4
	s_cbranch_vccnz .LBB308_715
; %bb.714:
	s_wait_xcnt 0x0
	v_cndmask_b32_e64 v2, 0, 1.0, s15
	v_mov_b32_e32 v3, 0
	global_store_b64 v[0:1], v[2:3], off
.LBB308_715:
	s_mov_b32 s4, 0
.LBB308_716:
	s_delay_alu instid0(SALU_CYCLE_1)
	s_and_not1_b32 vcc_lo, exec_lo, s4
	s_cbranch_vccnz .LBB308_718
; %bb.717:
	s_wait_xcnt 0x0
	v_cndmask_b32_e64 v2, 0, 1.0, s15
	s_delay_alu instid0(VALU_DEP_1) | instskip(NEXT) | instid1(VALU_DEP_1)
	v_cvt_f16_f32_e32 v2, v2
	v_and_b32_e32 v2, 0xffff, v2
	global_store_b32 v[0:1], v2, off
.LBB308_718:
	s_mov_b32 s4, 0
.LBB308_719:
	s_delay_alu instid0(SALU_CYCLE_1)
	s_and_not1_b32 vcc_lo, exec_lo, s4
	s_cbranch_vccnz .LBB308_728
; %bb.720:
	s_cmp_lt_i32 s0, 6
	s_mov_b32 s4, -1
	s_cbranch_scc1 .LBB308_726
; %bb.721:
	s_cmp_gt_i32 s0, 6
	s_cbranch_scc0 .LBB308_723
; %bb.722:
	s_wait_xcnt 0x0
	v_cndmask_b32_e64 v2, 0, 1, s15
	s_mov_b32 s4, 0
	s_delay_alu instid0(VALU_DEP_1)
	v_cvt_f64_u32_e32 v[2:3], v2
	global_store_b64 v[0:1], v[2:3], off
.LBB308_723:
	s_and_not1_b32 vcc_lo, exec_lo, s4
	s_cbranch_vccnz .LBB308_725
; %bb.724:
	s_wait_xcnt 0x0
	v_cndmask_b32_e64 v2, 0, 1.0, s15
	global_store_b32 v[0:1], v2, off
.LBB308_725:
	s_mov_b32 s4, 0
.LBB308_726:
	s_delay_alu instid0(SALU_CYCLE_1)
	s_and_not1_b32 vcc_lo, exec_lo, s4
	s_cbranch_vccnz .LBB308_728
; %bb.727:
	s_wait_xcnt 0x0
	v_cndmask_b32_e64 v2, 0, 1.0, s15
	s_delay_alu instid0(VALU_DEP_1)
	v_cvt_f16_f32_e32 v2, v2
	global_store_b16 v[0:1], v2, off
.LBB308_728:
	s_mov_b32 s4, 0
.LBB308_729:
	s_delay_alu instid0(SALU_CYCLE_1)
	s_and_not1_b32 vcc_lo, exec_lo, s4
	s_cbranch_vccnz .LBB308_745
; %bb.730:
	s_cmp_lt_i32 s0, 2
	s_mov_b32 s4, -1
	s_cbranch_scc1 .LBB308_740
; %bb.731:
	s_cmp_lt_i32 s0, 3
	s_cbranch_scc1 .LBB308_737
; %bb.732:
	s_cmp_gt_i32 s0, 3
	s_cbranch_scc0 .LBB308_734
; %bb.733:
	s_mov_b32 s4, 0
	s_wait_xcnt 0x0
	v_cndmask_b32_e64 v2, 0, 1, s15
	v_mov_b32_e32 v3, s4
	global_store_b64 v[0:1], v[2:3], off
.LBB308_734:
	s_and_not1_b32 vcc_lo, exec_lo, s4
	s_cbranch_vccnz .LBB308_736
; %bb.735:
	s_wait_xcnt 0x0
	v_cndmask_b32_e64 v2, 0, 1, s15
	global_store_b32 v[0:1], v2, off
.LBB308_736:
	s_mov_b32 s4, 0
.LBB308_737:
	s_delay_alu instid0(SALU_CYCLE_1)
	s_and_not1_b32 vcc_lo, exec_lo, s4
	s_cbranch_vccnz .LBB308_739
; %bb.738:
	s_wait_xcnt 0x0
	v_cndmask_b32_e64 v2, 0, 1, s15
	global_store_b16 v[0:1], v2, off
.LBB308_739:
	s_mov_b32 s4, 0
.LBB308_740:
	s_delay_alu instid0(SALU_CYCLE_1)
	s_and_not1_b32 vcc_lo, exec_lo, s4
	s_cbranch_vccnz .LBB308_745
; %bb.741:
	s_cmp_gt_i32 s0, 0
	s_mov_b32 s0, -1
	s_cbranch_scc0 .LBB308_743
; %bb.742:
	s_wait_xcnt 0x0
	v_cndmask_b32_e64 v2, 0, 1, s15
	s_mov_b32 s0, 0
	global_store_b8 v[0:1], v2, off
.LBB308_743:
	s_and_not1_b32 vcc_lo, exec_lo, s0
	s_cbranch_vccnz .LBB308_745
; %bb.744:
	s_wait_xcnt 0x0
	v_cndmask_b32_e64 v2, 0, 1, s15
	global_store_b8 v[0:1], v2, off
.LBB308_745:
.LBB308_746:
	v_mov_b32_e32 v17, 0
	s_and_b32 s4, 0xffff, s2
	s_delay_alu instid0(SALU_CYCLE_1) | instskip(SKIP_1) | instid1(VALU_DEP_1)
	s_cmp_lt_i32 s4, 11
	s_wait_xcnt 0x0
	v_add_nc_u64_e32 v[0:1], s[16:17], v[16:17]
	s_cbranch_scc1 .LBB308_825
; %bb.747:
	s_mov_b32 s7, -1
	s_mov_b32 s5, 0
	s_cmp_gt_i32 s4, 25
	s_mov_b32 s6, 0
	s_mov_b32 s0, 0
	s_cbranch_scc0 .LBB308_780
; %bb.748:
	s_cmp_gt_i32 s4, 28
	s_cbranch_scc0 .LBB308_763
; %bb.749:
	s_cmp_gt_i32 s4, 43
	;; [unrolled: 3-line block ×3, first 2 shown]
	s_cbranch_scc0 .LBB308_753
; %bb.751:
	s_mov_b32 s0, -1
	s_mov_b32 s7, 0
	s_cmp_eq_u32 s4, 46
	s_cbranch_scc0 .LBB308_753
; %bb.752:
	v_cndmask_b32_e64 v2, 0, 1.0, s14
	s_mov_b32 s0, 0
	s_mov_b32 s6, -1
	s_delay_alu instid0(VALU_DEP_1) | instskip(NEXT) | instid1(VALU_DEP_1)
	v_bfe_u32 v3, v2, 16, 1
	v_add3_u32 v2, v2, v3, 0x7fff
	s_delay_alu instid0(VALU_DEP_1)
	v_lshrrev_b32_e32 v2, 16, v2
	global_store_b32 v[0:1], v2, off
.LBB308_753:
	s_and_b32 vcc_lo, exec_lo, s7
	s_cbranch_vccz .LBB308_758
; %bb.754:
	s_cmp_eq_u32 s4, 44
	s_mov_b32 s0, -1
	s_cbranch_scc0 .LBB308_758
; %bb.755:
	v_cndmask_b32_e64 v4, 0, 1.0, s14
	s_mov_b32 s6, exec_lo
	s_wait_xcnt 0x0
	s_delay_alu instid0(VALU_DEP_1) | instskip(NEXT) | instid1(VALU_DEP_1)
	v_dual_mov_b32 v3, 0xff :: v_dual_lshrrev_b32 v2, 23, v4
	v_cmpx_ne_u32_e32 0xff, v2
; %bb.756:
	v_and_b32_e32 v3, 0x400000, v4
	v_and_or_b32 v4, 0x3fffff, v4, v2
	s_delay_alu instid0(VALU_DEP_2) | instskip(NEXT) | instid1(VALU_DEP_2)
	v_cmp_ne_u32_e32 vcc_lo, 0, v3
	v_cmp_ne_u32_e64 s0, 0, v4
	s_and_b32 s0, vcc_lo, s0
	s_delay_alu instid0(SALU_CYCLE_1) | instskip(NEXT) | instid1(VALU_DEP_1)
	v_cndmask_b32_e64 v3, 0, 1, s0
	v_add_nc_u32_e32 v3, v2, v3
; %bb.757:
	s_or_b32 exec_lo, exec_lo, s6
	s_mov_b32 s0, 0
	s_mov_b32 s6, -1
	global_store_b8 v[0:1], v3, off
.LBB308_758:
	s_mov_b32 s7, 0
.LBB308_759:
	s_delay_alu instid0(SALU_CYCLE_1)
	s_and_b32 vcc_lo, exec_lo, s7
	s_cbranch_vccz .LBB308_762
; %bb.760:
	s_cmp_eq_u32 s4, 29
	s_mov_b32 s0, -1
	s_cbranch_scc0 .LBB308_762
; %bb.761:
	s_mov_b32 s0, 0
	s_wait_xcnt 0x0
	v_cndmask_b32_e64 v2, 0, 1, s14
	v_mov_b32_e32 v3, s0
	s_mov_b32 s6, -1
	global_store_b64 v[0:1], v[2:3], off
.LBB308_762:
	s_mov_b32 s7, 0
.LBB308_763:
	s_delay_alu instid0(SALU_CYCLE_1)
	s_and_b32 vcc_lo, exec_lo, s7
	s_cbranch_vccz .LBB308_779
; %bb.764:
	s_cmp_lt_i32 s4, 27
	s_mov_b32 s6, -1
	s_cbranch_scc1 .LBB308_770
; %bb.765:
	s_cmp_gt_i32 s4, 27
	s_cbranch_scc0 .LBB308_767
; %bb.766:
	s_wait_xcnt 0x0
	v_cndmask_b32_e64 v2, 0, 1, s14
	s_mov_b32 s6, 0
	global_store_b32 v[0:1], v2, off
.LBB308_767:
	s_and_not1_b32 vcc_lo, exec_lo, s6
	s_cbranch_vccnz .LBB308_769
; %bb.768:
	s_wait_xcnt 0x0
	v_cndmask_b32_e64 v2, 0, 1, s14
	global_store_b16 v[0:1], v2, off
.LBB308_769:
	s_mov_b32 s6, 0
.LBB308_770:
	s_delay_alu instid0(SALU_CYCLE_1)
	s_and_not1_b32 vcc_lo, exec_lo, s6
	s_cbranch_vccnz .LBB308_778
; %bb.771:
	s_wait_xcnt 0x0
	v_cndmask_b32_e64 v3, 0, 1.0, s14
	v_mov_b32_e32 v4, 0x80
	s_mov_b32 s6, exec_lo
	s_delay_alu instid0(VALU_DEP_2)
	v_cmpx_gt_u32_e32 0x43800000, v3
	s_cbranch_execz .LBB308_777
; %bb.772:
	s_mov_b32 s7, 0
	s_mov_b32 s8, exec_lo
                                        ; implicit-def: $vgpr2
	v_cmpx_lt_u32_e32 0x3bffffff, v3
	s_xor_b32 s8, exec_lo, s8
	s_cbranch_execz .LBB308_1109
; %bb.773:
	v_bfe_u32 v2, v3, 20, 1
	s_mov_b32 s7, exec_lo
	s_delay_alu instid0(VALU_DEP_1) | instskip(NEXT) | instid1(VALU_DEP_1)
	v_add3_u32 v2, v3, v2, 0x487ffff
                                        ; implicit-def: $vgpr3
	v_lshrrev_b32_e32 v2, 20, v2
	s_and_not1_saveexec_b32 s8, s8
	s_cbranch_execnz .LBB308_1110
.LBB308_774:
	s_or_b32 exec_lo, exec_lo, s8
	v_mov_b32_e32 v4, 0
	s_and_saveexec_b32 s8, s7
.LBB308_775:
	v_mov_b32_e32 v4, v2
.LBB308_776:
	s_or_b32 exec_lo, exec_lo, s8
.LBB308_777:
	s_delay_alu instid0(SALU_CYCLE_1)
	s_or_b32 exec_lo, exec_lo, s6
	global_store_b8 v[0:1], v4, off
.LBB308_778:
	s_mov_b32 s6, -1
.LBB308_779:
	s_mov_b32 s7, 0
.LBB308_780:
	s_delay_alu instid0(SALU_CYCLE_1)
	s_and_b32 vcc_lo, exec_lo, s7
	s_cbranch_vccz .LBB308_820
; %bb.781:
	s_cmp_gt_i32 s4, 22
	s_mov_b32 s5, -1
	s_cbranch_scc0 .LBB308_813
; %bb.782:
	s_cmp_lt_i32 s4, 24
	s_cbranch_scc1 .LBB308_802
; %bb.783:
	s_cmp_gt_i32 s4, 24
	s_cbranch_scc0 .LBB308_791
; %bb.784:
	s_wait_xcnt 0x0
	v_cndmask_b32_e64 v3, 0, 1.0, s14
	v_mov_b32_e32 v4, 0x80
	s_mov_b32 s5, exec_lo
	s_delay_alu instid0(VALU_DEP_2)
	v_cmpx_gt_u32_e32 0x47800000, v3
	s_cbranch_execz .LBB308_790
; %bb.785:
	s_mov_b32 s6, 0
	s_mov_b32 s7, exec_lo
                                        ; implicit-def: $vgpr2
	v_cmpx_lt_u32_e32 0x37ffffff, v3
	s_xor_b32 s7, exec_lo, s7
	s_cbranch_execz .LBB308_1112
; %bb.786:
	v_bfe_u32 v2, v3, 21, 1
	s_mov_b32 s6, exec_lo
	s_delay_alu instid0(VALU_DEP_1) | instskip(NEXT) | instid1(VALU_DEP_1)
	v_add3_u32 v2, v3, v2, 0x88fffff
                                        ; implicit-def: $vgpr3
	v_lshrrev_b32_e32 v2, 21, v2
	s_and_not1_saveexec_b32 s7, s7
	s_cbranch_execnz .LBB308_1113
.LBB308_787:
	s_or_b32 exec_lo, exec_lo, s7
	v_mov_b32_e32 v4, 0
	s_and_saveexec_b32 s7, s6
.LBB308_788:
	v_mov_b32_e32 v4, v2
.LBB308_789:
	s_or_b32 exec_lo, exec_lo, s7
.LBB308_790:
	s_delay_alu instid0(SALU_CYCLE_1)
	s_or_b32 exec_lo, exec_lo, s5
	s_mov_b32 s5, 0
	global_store_b8 v[0:1], v4, off
.LBB308_791:
	s_and_b32 vcc_lo, exec_lo, s5
	s_cbranch_vccz .LBB308_801
; %bb.792:
	s_wait_xcnt 0x0
	v_cndmask_b32_e64 v3, 0, 1.0, s14
	s_mov_b32 s5, exec_lo
                                        ; implicit-def: $vgpr2
	s_delay_alu instid0(VALU_DEP_1)
	v_cmpx_gt_u32_e32 0x43f00000, v3
	s_xor_b32 s5, exec_lo, s5
	s_cbranch_execz .LBB308_798
; %bb.793:
	s_mov_b32 s6, exec_lo
                                        ; implicit-def: $vgpr2
	v_cmpx_lt_u32_e32 0x3c7fffff, v3
	s_xor_b32 s6, exec_lo, s6
; %bb.794:
	v_bfe_u32 v2, v3, 20, 1
	s_delay_alu instid0(VALU_DEP_1) | instskip(NEXT) | instid1(VALU_DEP_1)
	v_add3_u32 v2, v3, v2, 0x407ffff
	v_and_b32_e32 v3, 0xff00000, v2
	v_lshrrev_b32_e32 v2, 20, v2
	s_delay_alu instid0(VALU_DEP_2) | instskip(NEXT) | instid1(VALU_DEP_2)
	v_cmp_ne_u32_e32 vcc_lo, 0x7f00000, v3
                                        ; implicit-def: $vgpr3
	v_cndmask_b32_e32 v2, 0x7e, v2, vcc_lo
; %bb.795:
	s_and_not1_saveexec_b32 s6, s6
; %bb.796:
	v_add_f32_e32 v2, 0x46800000, v3
; %bb.797:
	s_or_b32 exec_lo, exec_lo, s6
                                        ; implicit-def: $vgpr3
.LBB308_798:
	s_and_not1_saveexec_b32 s5, s5
; %bb.799:
	v_mov_b32_e32 v2, 0x7f
	v_cmp_lt_u32_e32 vcc_lo, 0x7f800000, v3
	s_delay_alu instid0(VALU_DEP_2)
	v_cndmask_b32_e32 v2, 0x7e, v2, vcc_lo
; %bb.800:
	s_or_b32 exec_lo, exec_lo, s5
	global_store_b8 v[0:1], v2, off
.LBB308_801:
	s_mov_b32 s5, 0
.LBB308_802:
	s_delay_alu instid0(SALU_CYCLE_1)
	s_and_not1_b32 vcc_lo, exec_lo, s5
	s_cbranch_vccnz .LBB308_812
; %bb.803:
	s_wait_xcnt 0x0
	v_cndmask_b32_e64 v3, 0, 1.0, s14
	s_mov_b32 s5, exec_lo
                                        ; implicit-def: $vgpr2
	s_delay_alu instid0(VALU_DEP_1)
	v_cmpx_gt_u32_e32 0x47800000, v3
	s_xor_b32 s5, exec_lo, s5
	s_cbranch_execz .LBB308_809
; %bb.804:
	s_mov_b32 s6, exec_lo
                                        ; implicit-def: $vgpr2
	v_cmpx_lt_u32_e32 0x387fffff, v3
	s_xor_b32 s6, exec_lo, s6
; %bb.805:
	v_bfe_u32 v2, v3, 21, 1
	s_delay_alu instid0(VALU_DEP_1) | instskip(NEXT) | instid1(VALU_DEP_1)
	v_add3_u32 v2, v3, v2, 0x80fffff
                                        ; implicit-def: $vgpr3
	v_lshrrev_b32_e32 v2, 21, v2
; %bb.806:
	s_and_not1_saveexec_b32 s6, s6
; %bb.807:
	v_add_f32_e32 v2, 0x43000000, v3
; %bb.808:
	s_or_b32 exec_lo, exec_lo, s6
                                        ; implicit-def: $vgpr3
.LBB308_809:
	s_and_not1_saveexec_b32 s5, s5
; %bb.810:
	v_mov_b32_e32 v2, 0x7f
	v_cmp_lt_u32_e32 vcc_lo, 0x7f800000, v3
	s_delay_alu instid0(VALU_DEP_2)
	v_cndmask_b32_e32 v2, 0x7c, v2, vcc_lo
; %bb.811:
	s_or_b32 exec_lo, exec_lo, s5
	global_store_b8 v[0:1], v2, off
.LBB308_812:
	s_mov_b32 s5, 0
	s_mov_b32 s6, -1
.LBB308_813:
	s_and_not1_b32 vcc_lo, exec_lo, s5
	s_mov_b32 s5, 0
	s_cbranch_vccnz .LBB308_820
; %bb.814:
	s_cmp_gt_i32 s4, 14
	s_mov_b32 s5, -1
	s_cbranch_scc0 .LBB308_818
; %bb.815:
	s_cmp_eq_u32 s4, 15
	s_mov_b32 s0, -1
	s_cbranch_scc0 .LBB308_817
; %bb.816:
	s_wait_xcnt 0x0
	v_cndmask_b32_e64 v2, 0, 1.0, s14
	s_mov_b32 s0, 0
	s_mov_b32 s6, -1
	s_delay_alu instid0(VALU_DEP_1) | instskip(NEXT) | instid1(VALU_DEP_1)
	v_bfe_u32 v3, v2, 16, 1
	v_add3_u32 v2, v2, v3, 0x7fff
	global_store_d16_hi_b16 v[0:1], v2, off
.LBB308_817:
	s_mov_b32 s5, 0
.LBB308_818:
	s_delay_alu instid0(SALU_CYCLE_1)
	s_and_b32 vcc_lo, exec_lo, s5
	s_mov_b32 s5, 0
	s_cbranch_vccz .LBB308_820
; %bb.819:
	s_cmp_lg_u32 s4, 11
	s_mov_b32 s5, -1
	s_cselect_b32 s0, -1, 0
.LBB308_820:
	s_delay_alu instid0(SALU_CYCLE_1)
	s_and_b32 vcc_lo, exec_lo, s0
	s_cbranch_vccnz .LBB308_1111
; %bb.821:
	s_and_not1_b32 vcc_lo, exec_lo, s5
	s_cbranch_vccnz .LBB308_823
.LBB308_822:
	s_wait_xcnt 0x0
	v_cndmask_b32_e64 v2, 0, 1, s14
	s_mov_b32 s6, -1
	global_store_b8 v[0:1], v2, off
.LBB308_823:
.LBB308_824:
	s_and_not1_b32 vcc_lo, exec_lo, s6
	s_cbranch_vccz .LBB308_864
	s_branch .LBB308_1058
.LBB308_825:
	s_mov_b32 s6, 0
	s_cbranch_execz .LBB308_824
; %bb.826:
	s_cmp_lt_i32 s4, 5
	s_mov_b32 s0, -1
	s_cbranch_scc1 .LBB308_847
; %bb.827:
	s_cmp_lt_i32 s4, 8
	s_cbranch_scc1 .LBB308_837
; %bb.828:
	s_cmp_lt_i32 s4, 9
	s_cbranch_scc1 .LBB308_834
; %bb.829:
	s_cmp_gt_i32 s4, 9
	s_cbranch_scc0 .LBB308_831
; %bb.830:
	s_wait_xcnt 0x0
	v_cndmask_b32_e64 v2, 0, 1, s14
	v_mov_b32_e32 v4, 0
	s_mov_b32 s0, 0
	s_delay_alu instid0(VALU_DEP_2) | instskip(NEXT) | instid1(VALU_DEP_2)
	v_cvt_f64_u32_e32 v[2:3], v2
	v_mov_b32_e32 v5, v4
	global_store_b128 v[0:1], v[2:5], off
.LBB308_831:
	s_and_not1_b32 vcc_lo, exec_lo, s0
	s_cbranch_vccnz .LBB308_833
; %bb.832:
	s_wait_xcnt 0x0
	v_cndmask_b32_e64 v2, 0, 1.0, s14
	v_mov_b32_e32 v3, 0
	global_store_b64 v[0:1], v[2:3], off
.LBB308_833:
	s_mov_b32 s0, 0
.LBB308_834:
	s_delay_alu instid0(SALU_CYCLE_1)
	s_and_not1_b32 vcc_lo, exec_lo, s0
	s_cbranch_vccnz .LBB308_836
; %bb.835:
	s_wait_xcnt 0x0
	v_cndmask_b32_e64 v2, 0, 1.0, s14
	s_delay_alu instid0(VALU_DEP_1) | instskip(NEXT) | instid1(VALU_DEP_1)
	v_cvt_f16_f32_e32 v2, v2
	v_and_b32_e32 v2, 0xffff, v2
	global_store_b32 v[0:1], v2, off
.LBB308_836:
	s_mov_b32 s0, 0
.LBB308_837:
	s_delay_alu instid0(SALU_CYCLE_1)
	s_and_not1_b32 vcc_lo, exec_lo, s0
	s_cbranch_vccnz .LBB308_846
; %bb.838:
	s_cmp_lt_i32 s4, 6
	s_mov_b32 s0, -1
	s_cbranch_scc1 .LBB308_844
; %bb.839:
	s_cmp_gt_i32 s4, 6
	s_cbranch_scc0 .LBB308_841
; %bb.840:
	s_wait_xcnt 0x0
	v_cndmask_b32_e64 v2, 0, 1, s14
	s_mov_b32 s0, 0
	s_delay_alu instid0(VALU_DEP_1)
	v_cvt_f64_u32_e32 v[2:3], v2
	global_store_b64 v[0:1], v[2:3], off
.LBB308_841:
	s_and_not1_b32 vcc_lo, exec_lo, s0
	s_cbranch_vccnz .LBB308_843
; %bb.842:
	s_wait_xcnt 0x0
	v_cndmask_b32_e64 v2, 0, 1.0, s14
	global_store_b32 v[0:1], v2, off
.LBB308_843:
	s_mov_b32 s0, 0
.LBB308_844:
	s_delay_alu instid0(SALU_CYCLE_1)
	s_and_not1_b32 vcc_lo, exec_lo, s0
	s_cbranch_vccnz .LBB308_846
; %bb.845:
	s_wait_xcnt 0x0
	v_cndmask_b32_e64 v2, 0, 1.0, s14
	s_delay_alu instid0(VALU_DEP_1)
	v_cvt_f16_f32_e32 v2, v2
	global_store_b16 v[0:1], v2, off
.LBB308_846:
	s_mov_b32 s0, 0
.LBB308_847:
	s_delay_alu instid0(SALU_CYCLE_1)
	s_and_not1_b32 vcc_lo, exec_lo, s0
	s_cbranch_vccnz .LBB308_863
; %bb.848:
	s_cmp_lt_i32 s4, 2
	s_mov_b32 s0, -1
	s_cbranch_scc1 .LBB308_858
; %bb.849:
	s_cmp_lt_i32 s4, 3
	s_cbranch_scc1 .LBB308_855
; %bb.850:
	s_cmp_gt_i32 s4, 3
	s_cbranch_scc0 .LBB308_852
; %bb.851:
	s_mov_b32 s0, 0
	s_wait_xcnt 0x0
	v_cndmask_b32_e64 v2, 0, 1, s14
	v_mov_b32_e32 v3, s0
	global_store_b64 v[0:1], v[2:3], off
.LBB308_852:
	s_and_not1_b32 vcc_lo, exec_lo, s0
	s_cbranch_vccnz .LBB308_854
; %bb.853:
	s_wait_xcnt 0x0
	v_cndmask_b32_e64 v2, 0, 1, s14
	global_store_b32 v[0:1], v2, off
.LBB308_854:
	s_mov_b32 s0, 0
.LBB308_855:
	s_delay_alu instid0(SALU_CYCLE_1)
	s_and_not1_b32 vcc_lo, exec_lo, s0
	s_cbranch_vccnz .LBB308_857
; %bb.856:
	s_wait_xcnt 0x0
	v_cndmask_b32_e64 v2, 0, 1, s14
	global_store_b16 v[0:1], v2, off
.LBB308_857:
	s_mov_b32 s0, 0
.LBB308_858:
	s_delay_alu instid0(SALU_CYCLE_1)
	s_and_not1_b32 vcc_lo, exec_lo, s0
	s_cbranch_vccnz .LBB308_863
; %bb.859:
	s_cmp_gt_i32 s4, 0
	s_mov_b32 s0, -1
	s_cbranch_scc0 .LBB308_861
; %bb.860:
	s_wait_xcnt 0x0
	v_cndmask_b32_e64 v2, 0, 1, s14
	s_mov_b32 s0, 0
	global_store_b8 v[0:1], v2, off
.LBB308_861:
	s_and_not1_b32 vcc_lo, exec_lo, s0
	s_cbranch_vccnz .LBB308_863
; %bb.862:
	s_wait_xcnt 0x0
	v_cndmask_b32_e64 v2, 0, 1, s14
	global_store_b8 v[0:1], v2, off
.LBB308_863:
.LBB308_864:
	v_mov_b32_e32 v15, 0
	s_cmp_lt_i32 s4, 11
	s_wait_xcnt 0x0
	s_delay_alu instid0(VALU_DEP_1)
	v_add_nc_u64_e32 v[0:1], s[16:17], v[14:15]
	s_cbranch_scc1 .LBB308_1019
; %bb.865:
	s_mov_b32 s7, -1
	s_mov_b32 s5, 0
	s_cmp_gt_i32 s4, 25
	s_mov_b32 s6, 0
	s_mov_b32 s0, 0
	s_cbranch_scc0 .LBB308_898
; %bb.866:
	s_cmp_gt_i32 s4, 28
	s_cbranch_scc0 .LBB308_881
; %bb.867:
	s_cmp_gt_i32 s4, 43
	s_cbranch_scc0 .LBB308_877
; %bb.868:
	s_cmp_gt_i32 s4, 45
	s_cbranch_scc0 .LBB308_871
; %bb.869:
	s_mov_b32 s0, -1
	s_mov_b32 s7, 0
	s_cmp_eq_u32 s4, 46
	s_cbranch_scc0 .LBB308_871
; %bb.870:
	v_cndmask_b32_e64 v2, 0, 1.0, s13
	s_mov_b32 s0, 0
	s_mov_b32 s6, -1
	s_delay_alu instid0(VALU_DEP_1) | instskip(NEXT) | instid1(VALU_DEP_1)
	v_bfe_u32 v3, v2, 16, 1
	v_add3_u32 v2, v2, v3, 0x7fff
	s_delay_alu instid0(VALU_DEP_1)
	v_lshrrev_b32_e32 v2, 16, v2
	global_store_b32 v[0:1], v2, off
.LBB308_871:
	s_and_b32 vcc_lo, exec_lo, s7
	s_cbranch_vccz .LBB308_876
; %bb.872:
	s_cmp_eq_u32 s4, 44
	s_mov_b32 s0, -1
	s_cbranch_scc0 .LBB308_876
; %bb.873:
	v_cndmask_b32_e64 v4, 0, 1.0, s13
	s_mov_b32 s6, exec_lo
	s_wait_xcnt 0x0
	s_delay_alu instid0(VALU_DEP_1) | instskip(NEXT) | instid1(VALU_DEP_1)
	v_dual_mov_b32 v3, 0xff :: v_dual_lshrrev_b32 v2, 23, v4
	v_cmpx_ne_u32_e32 0xff, v2
; %bb.874:
	v_and_b32_e32 v3, 0x400000, v4
	v_and_or_b32 v4, 0x3fffff, v4, v2
	s_delay_alu instid0(VALU_DEP_2) | instskip(NEXT) | instid1(VALU_DEP_2)
	v_cmp_ne_u32_e32 vcc_lo, 0, v3
	v_cmp_ne_u32_e64 s0, 0, v4
	s_and_b32 s0, vcc_lo, s0
	s_delay_alu instid0(SALU_CYCLE_1) | instskip(NEXT) | instid1(VALU_DEP_1)
	v_cndmask_b32_e64 v3, 0, 1, s0
	v_add_nc_u32_e32 v3, v2, v3
; %bb.875:
	s_or_b32 exec_lo, exec_lo, s6
	s_mov_b32 s0, 0
	s_mov_b32 s6, -1
	global_store_b8 v[0:1], v3, off
.LBB308_876:
	s_mov_b32 s7, 0
.LBB308_877:
	s_delay_alu instid0(SALU_CYCLE_1)
	s_and_b32 vcc_lo, exec_lo, s7
	s_cbranch_vccz .LBB308_880
; %bb.878:
	s_cmp_eq_u32 s4, 29
	s_mov_b32 s0, -1
	s_cbranch_scc0 .LBB308_880
; %bb.879:
	s_mov_b32 s0, 0
	s_wait_xcnt 0x0
	v_cndmask_b32_e64 v2, 0, 1, s13
	v_mov_b32_e32 v3, s0
	s_mov_b32 s6, -1
	global_store_b64 v[0:1], v[2:3], off
.LBB308_880:
	s_mov_b32 s7, 0
.LBB308_881:
	s_delay_alu instid0(SALU_CYCLE_1)
	s_and_b32 vcc_lo, exec_lo, s7
	s_cbranch_vccz .LBB308_897
; %bb.882:
	s_cmp_lt_i32 s4, 27
	s_mov_b32 s6, -1
	s_cbranch_scc1 .LBB308_888
; %bb.883:
	s_cmp_gt_i32 s4, 27
	s_cbranch_scc0 .LBB308_885
; %bb.884:
	s_wait_xcnt 0x0
	v_cndmask_b32_e64 v2, 0, 1, s13
	s_mov_b32 s6, 0
	global_store_b32 v[0:1], v2, off
.LBB308_885:
	s_and_not1_b32 vcc_lo, exec_lo, s6
	s_cbranch_vccnz .LBB308_887
; %bb.886:
	s_wait_xcnt 0x0
	v_cndmask_b32_e64 v2, 0, 1, s13
	global_store_b16 v[0:1], v2, off
.LBB308_887:
	s_mov_b32 s6, 0
.LBB308_888:
	s_delay_alu instid0(SALU_CYCLE_1)
	s_and_not1_b32 vcc_lo, exec_lo, s6
	s_cbranch_vccnz .LBB308_896
; %bb.889:
	s_wait_xcnt 0x0
	v_cndmask_b32_e64 v3, 0, 1.0, s13
	v_mov_b32_e32 v4, 0x80
	s_mov_b32 s6, exec_lo
	s_delay_alu instid0(VALU_DEP_2)
	v_cmpx_gt_u32_e32 0x43800000, v3
	s_cbranch_execz .LBB308_895
; %bb.890:
	s_mov_b32 s7, 0
	s_mov_b32 s8, exec_lo
                                        ; implicit-def: $vgpr2
	v_cmpx_lt_u32_e32 0x3bffffff, v3
	s_xor_b32 s8, exec_lo, s8
	s_cbranch_execz .LBB308_1114
; %bb.891:
	v_bfe_u32 v2, v3, 20, 1
	s_mov_b32 s7, exec_lo
	s_delay_alu instid0(VALU_DEP_1) | instskip(NEXT) | instid1(VALU_DEP_1)
	v_add3_u32 v2, v3, v2, 0x487ffff
                                        ; implicit-def: $vgpr3
	v_lshrrev_b32_e32 v2, 20, v2
	s_and_not1_saveexec_b32 s8, s8
	s_cbranch_execnz .LBB308_1115
.LBB308_892:
	s_or_b32 exec_lo, exec_lo, s8
	v_mov_b32_e32 v4, 0
	s_and_saveexec_b32 s8, s7
.LBB308_893:
	v_mov_b32_e32 v4, v2
.LBB308_894:
	s_or_b32 exec_lo, exec_lo, s8
.LBB308_895:
	s_delay_alu instid0(SALU_CYCLE_1)
	s_or_b32 exec_lo, exec_lo, s6
	global_store_b8 v[0:1], v4, off
.LBB308_896:
	s_mov_b32 s6, -1
.LBB308_897:
	s_mov_b32 s7, 0
.LBB308_898:
	s_delay_alu instid0(SALU_CYCLE_1)
	s_and_b32 vcc_lo, exec_lo, s7
	s_cbranch_vccz .LBB308_938
; %bb.899:
	s_cmp_gt_i32 s4, 22
	s_mov_b32 s5, -1
	s_cbranch_scc0 .LBB308_931
; %bb.900:
	s_cmp_lt_i32 s4, 24
	s_cbranch_scc1 .LBB308_920
; %bb.901:
	s_cmp_gt_i32 s4, 24
	s_cbranch_scc0 .LBB308_909
; %bb.902:
	s_wait_xcnt 0x0
	v_cndmask_b32_e64 v3, 0, 1.0, s13
	v_mov_b32_e32 v4, 0x80
	s_mov_b32 s5, exec_lo
	s_delay_alu instid0(VALU_DEP_2)
	v_cmpx_gt_u32_e32 0x47800000, v3
	s_cbranch_execz .LBB308_908
; %bb.903:
	s_mov_b32 s6, 0
	s_mov_b32 s7, exec_lo
                                        ; implicit-def: $vgpr2
	v_cmpx_lt_u32_e32 0x37ffffff, v3
	s_xor_b32 s7, exec_lo, s7
	s_cbranch_execz .LBB308_1117
; %bb.904:
	v_bfe_u32 v2, v3, 21, 1
	s_mov_b32 s6, exec_lo
	s_delay_alu instid0(VALU_DEP_1) | instskip(NEXT) | instid1(VALU_DEP_1)
	v_add3_u32 v2, v3, v2, 0x88fffff
                                        ; implicit-def: $vgpr3
	v_lshrrev_b32_e32 v2, 21, v2
	s_and_not1_saveexec_b32 s7, s7
	s_cbranch_execnz .LBB308_1118
.LBB308_905:
	s_or_b32 exec_lo, exec_lo, s7
	v_mov_b32_e32 v4, 0
	s_and_saveexec_b32 s7, s6
.LBB308_906:
	v_mov_b32_e32 v4, v2
.LBB308_907:
	s_or_b32 exec_lo, exec_lo, s7
.LBB308_908:
	s_delay_alu instid0(SALU_CYCLE_1)
	s_or_b32 exec_lo, exec_lo, s5
	s_mov_b32 s5, 0
	global_store_b8 v[0:1], v4, off
.LBB308_909:
	s_and_b32 vcc_lo, exec_lo, s5
	s_cbranch_vccz .LBB308_919
; %bb.910:
	s_wait_xcnt 0x0
	v_cndmask_b32_e64 v3, 0, 1.0, s13
	s_mov_b32 s5, exec_lo
                                        ; implicit-def: $vgpr2
	s_delay_alu instid0(VALU_DEP_1)
	v_cmpx_gt_u32_e32 0x43f00000, v3
	s_xor_b32 s5, exec_lo, s5
	s_cbranch_execz .LBB308_916
; %bb.911:
	s_mov_b32 s6, exec_lo
                                        ; implicit-def: $vgpr2
	v_cmpx_lt_u32_e32 0x3c7fffff, v3
	s_xor_b32 s6, exec_lo, s6
; %bb.912:
	v_bfe_u32 v2, v3, 20, 1
	s_delay_alu instid0(VALU_DEP_1) | instskip(NEXT) | instid1(VALU_DEP_1)
	v_add3_u32 v2, v3, v2, 0x407ffff
	v_and_b32_e32 v3, 0xff00000, v2
	v_lshrrev_b32_e32 v2, 20, v2
	s_delay_alu instid0(VALU_DEP_2) | instskip(NEXT) | instid1(VALU_DEP_2)
	v_cmp_ne_u32_e32 vcc_lo, 0x7f00000, v3
                                        ; implicit-def: $vgpr3
	v_cndmask_b32_e32 v2, 0x7e, v2, vcc_lo
; %bb.913:
	s_and_not1_saveexec_b32 s6, s6
; %bb.914:
	v_add_f32_e32 v2, 0x46800000, v3
; %bb.915:
	s_or_b32 exec_lo, exec_lo, s6
                                        ; implicit-def: $vgpr3
.LBB308_916:
	s_and_not1_saveexec_b32 s5, s5
; %bb.917:
	v_mov_b32_e32 v2, 0x7f
	v_cmp_lt_u32_e32 vcc_lo, 0x7f800000, v3
	s_delay_alu instid0(VALU_DEP_2)
	v_cndmask_b32_e32 v2, 0x7e, v2, vcc_lo
; %bb.918:
	s_or_b32 exec_lo, exec_lo, s5
	global_store_b8 v[0:1], v2, off
.LBB308_919:
	s_mov_b32 s5, 0
.LBB308_920:
	s_delay_alu instid0(SALU_CYCLE_1)
	s_and_not1_b32 vcc_lo, exec_lo, s5
	s_cbranch_vccnz .LBB308_930
; %bb.921:
	s_wait_xcnt 0x0
	v_cndmask_b32_e64 v3, 0, 1.0, s13
	s_mov_b32 s5, exec_lo
                                        ; implicit-def: $vgpr2
	s_delay_alu instid0(VALU_DEP_1)
	v_cmpx_gt_u32_e32 0x47800000, v3
	s_xor_b32 s5, exec_lo, s5
	s_cbranch_execz .LBB308_927
; %bb.922:
	s_mov_b32 s6, exec_lo
                                        ; implicit-def: $vgpr2
	v_cmpx_lt_u32_e32 0x387fffff, v3
	s_xor_b32 s6, exec_lo, s6
; %bb.923:
	v_bfe_u32 v2, v3, 21, 1
	s_delay_alu instid0(VALU_DEP_1) | instskip(NEXT) | instid1(VALU_DEP_1)
	v_add3_u32 v2, v3, v2, 0x80fffff
                                        ; implicit-def: $vgpr3
	v_lshrrev_b32_e32 v2, 21, v2
; %bb.924:
	s_and_not1_saveexec_b32 s6, s6
; %bb.925:
	v_add_f32_e32 v2, 0x43000000, v3
; %bb.926:
	s_or_b32 exec_lo, exec_lo, s6
                                        ; implicit-def: $vgpr3
.LBB308_927:
	s_and_not1_saveexec_b32 s5, s5
; %bb.928:
	v_mov_b32_e32 v2, 0x7f
	v_cmp_lt_u32_e32 vcc_lo, 0x7f800000, v3
	s_delay_alu instid0(VALU_DEP_2)
	v_cndmask_b32_e32 v2, 0x7c, v2, vcc_lo
; %bb.929:
	s_or_b32 exec_lo, exec_lo, s5
	global_store_b8 v[0:1], v2, off
.LBB308_930:
	s_mov_b32 s5, 0
	s_mov_b32 s6, -1
.LBB308_931:
	s_and_not1_b32 vcc_lo, exec_lo, s5
	s_mov_b32 s5, 0
	s_cbranch_vccnz .LBB308_938
; %bb.932:
	s_cmp_gt_i32 s4, 14
	s_mov_b32 s5, -1
	s_cbranch_scc0 .LBB308_936
; %bb.933:
	s_cmp_eq_u32 s4, 15
	s_mov_b32 s0, -1
	s_cbranch_scc0 .LBB308_935
; %bb.934:
	s_wait_xcnt 0x0
	v_cndmask_b32_e64 v2, 0, 1.0, s13
	s_mov_b32 s0, 0
	s_mov_b32 s6, -1
	s_delay_alu instid0(VALU_DEP_1) | instskip(NEXT) | instid1(VALU_DEP_1)
	v_bfe_u32 v3, v2, 16, 1
	v_add3_u32 v2, v2, v3, 0x7fff
	global_store_d16_hi_b16 v[0:1], v2, off
.LBB308_935:
	s_mov_b32 s5, 0
.LBB308_936:
	s_delay_alu instid0(SALU_CYCLE_1)
	s_and_b32 vcc_lo, exec_lo, s5
	s_mov_b32 s5, 0
	s_cbranch_vccz .LBB308_938
; %bb.937:
	s_cmp_lg_u32 s4, 11
	s_mov_b32 s5, -1
	s_cselect_b32 s0, -1, 0
.LBB308_938:
	s_delay_alu instid0(SALU_CYCLE_1)
	s_and_b32 vcc_lo, exec_lo, s0
	s_cbranch_vccnz .LBB308_1116
; %bb.939:
	s_and_not1_b32 vcc_lo, exec_lo, s5
	s_cbranch_vccnz .LBB308_941
.LBB308_940:
	s_wait_xcnt 0x0
	v_cndmask_b32_e64 v2, 0, 1, s13
	s_mov_b32 s6, -1
	global_store_b8 v[0:1], v2, off
.LBB308_941:
.LBB308_942:
	s_and_not1_b32 vcc_lo, exec_lo, s6
	s_cbranch_vccnz .LBB308_1058
.LBB308_943:
	v_mov_b32_e32 v13, 0
	s_cmp_lt_i32 s4, 11
	s_wait_xcnt 0x0
	s_delay_alu instid0(VALU_DEP_1)
	v_add_nc_u64_e32 v[0:1], s[16:17], v[12:13]
	s_cbranch_scc1 .LBB308_1103
; %bb.944:
	s_mov_b32 s6, -1
	s_mov_b32 s5, 0
	s_cmp_gt_i32 s4, 25
	s_mov_b32 s0, 0
	s_cbranch_scc0 .LBB308_977
; %bb.945:
	s_cmp_gt_i32 s4, 28
	s_cbranch_scc0 .LBB308_961
; %bb.946:
	s_cmp_gt_i32 s4, 43
	;; [unrolled: 3-line block ×3, first 2 shown]
	s_cbranch_scc0 .LBB308_951
; %bb.948:
	s_cmp_eq_u32 s4, 46
	s_mov_b32 s0, -1
	s_cbranch_scc0 .LBB308_950
; %bb.949:
	v_cndmask_b32_e64 v2, 0, 1.0, s1
	s_mov_b32 s0, 0
	s_delay_alu instid0(VALU_DEP_1) | instskip(NEXT) | instid1(VALU_DEP_1)
	v_bfe_u32 v3, v2, 16, 1
	v_add3_u32 v2, v2, v3, 0x7fff
	s_delay_alu instid0(VALU_DEP_1)
	v_lshrrev_b32_e32 v2, 16, v2
	global_store_b32 v[0:1], v2, off
.LBB308_950:
	s_mov_b32 s6, 0
.LBB308_951:
	s_delay_alu instid0(SALU_CYCLE_1)
	s_and_b32 vcc_lo, exec_lo, s6
	s_cbranch_vccz .LBB308_956
; %bb.952:
	s_cmp_eq_u32 s4, 44
	s_mov_b32 s0, -1
	s_cbranch_scc0 .LBB308_956
; %bb.953:
	v_cndmask_b32_e64 v4, 0, 1.0, s1
	s_mov_b32 s6, exec_lo
	s_wait_xcnt 0x0
	s_delay_alu instid0(VALU_DEP_1) | instskip(NEXT) | instid1(VALU_DEP_1)
	v_dual_mov_b32 v3, 0xff :: v_dual_lshrrev_b32 v2, 23, v4
	v_cmpx_ne_u32_e32 0xff, v2
; %bb.954:
	v_and_b32_e32 v3, 0x400000, v4
	v_and_or_b32 v4, 0x3fffff, v4, v2
	s_delay_alu instid0(VALU_DEP_2) | instskip(NEXT) | instid1(VALU_DEP_2)
	v_cmp_ne_u32_e32 vcc_lo, 0, v3
	v_cmp_ne_u32_e64 s0, 0, v4
	s_and_b32 s0, vcc_lo, s0
	s_delay_alu instid0(SALU_CYCLE_1) | instskip(NEXT) | instid1(VALU_DEP_1)
	v_cndmask_b32_e64 v3, 0, 1, s0
	v_add_nc_u32_e32 v3, v2, v3
; %bb.955:
	s_or_b32 exec_lo, exec_lo, s6
	s_mov_b32 s0, 0
	global_store_b8 v[0:1], v3, off
.LBB308_956:
	s_mov_b32 s6, 0
.LBB308_957:
	s_delay_alu instid0(SALU_CYCLE_1)
	s_and_b32 vcc_lo, exec_lo, s6
	s_cbranch_vccz .LBB308_960
; %bb.958:
	s_cmp_eq_u32 s4, 29
	s_mov_b32 s0, -1
	s_cbranch_scc0 .LBB308_960
; %bb.959:
	s_mov_b32 s0, 0
	s_wait_xcnt 0x0
	v_cndmask_b32_e64 v2, 0, 1, s1
	v_mov_b32_e32 v3, s0
	global_store_b64 v[0:1], v[2:3], off
.LBB308_960:
	s_mov_b32 s6, 0
.LBB308_961:
	s_delay_alu instid0(SALU_CYCLE_1)
	s_and_b32 vcc_lo, exec_lo, s6
	s_cbranch_vccz .LBB308_976
; %bb.962:
	s_cmp_lt_i32 s4, 27
	s_mov_b32 s6, -1
	s_cbranch_scc1 .LBB308_968
; %bb.963:
	s_wait_xcnt 0x0
	v_cndmask_b32_e64 v2, 0, 1, s1
	s_cmp_gt_i32 s4, 27
	s_cbranch_scc0 .LBB308_965
; %bb.964:
	s_mov_b32 s6, 0
	global_store_b32 v[0:1], v2, off
.LBB308_965:
	s_and_not1_b32 vcc_lo, exec_lo, s6
	s_cbranch_vccnz .LBB308_967
; %bb.966:
	global_store_b16 v[0:1], v2, off
.LBB308_967:
	s_mov_b32 s6, 0
.LBB308_968:
	s_delay_alu instid0(SALU_CYCLE_1)
	s_and_not1_b32 vcc_lo, exec_lo, s6
	s_cbranch_vccnz .LBB308_976
; %bb.969:
	s_wait_xcnt 0x0
	v_cndmask_b32_e64 v3, 0, 1.0, s1
	v_mov_b32_e32 v4, 0x80
	s_mov_b32 s6, exec_lo
	s_delay_alu instid0(VALU_DEP_2)
	v_cmpx_gt_u32_e32 0x43800000, v3
	s_cbranch_execz .LBB308_975
; %bb.970:
	s_mov_b32 s7, 0
	s_mov_b32 s8, exec_lo
                                        ; implicit-def: $vgpr2
	v_cmpx_lt_u32_e32 0x3bffffff, v3
	s_xor_b32 s8, exec_lo, s8
	s_cbranch_execz .LBB308_1119
; %bb.971:
	v_bfe_u32 v2, v3, 20, 1
	s_mov_b32 s7, exec_lo
	s_delay_alu instid0(VALU_DEP_1) | instskip(NEXT) | instid1(VALU_DEP_1)
	v_add3_u32 v2, v3, v2, 0x487ffff
                                        ; implicit-def: $vgpr3
	v_lshrrev_b32_e32 v2, 20, v2
	s_and_not1_saveexec_b32 s8, s8
	s_cbranch_execnz .LBB308_1120
.LBB308_972:
	s_or_b32 exec_lo, exec_lo, s8
	v_mov_b32_e32 v4, 0
	s_and_saveexec_b32 s8, s7
.LBB308_973:
	v_mov_b32_e32 v4, v2
.LBB308_974:
	s_or_b32 exec_lo, exec_lo, s8
.LBB308_975:
	s_delay_alu instid0(SALU_CYCLE_1)
	s_or_b32 exec_lo, exec_lo, s6
	global_store_b8 v[0:1], v4, off
.LBB308_976:
	s_mov_b32 s6, 0
.LBB308_977:
	s_delay_alu instid0(SALU_CYCLE_1)
	s_and_b32 vcc_lo, exec_lo, s6
	s_cbranch_vccz .LBB308_1017
; %bb.978:
	s_cmp_gt_i32 s4, 22
	s_mov_b32 s5, -1
	s_cbranch_scc0 .LBB308_1010
; %bb.979:
	s_cmp_lt_i32 s4, 24
	s_cbranch_scc1 .LBB308_999
; %bb.980:
	s_cmp_gt_i32 s4, 24
	s_cbranch_scc0 .LBB308_988
; %bb.981:
	s_wait_xcnt 0x0
	v_cndmask_b32_e64 v3, 0, 1.0, s1
	v_mov_b32_e32 v4, 0x80
	s_mov_b32 s5, exec_lo
	s_delay_alu instid0(VALU_DEP_2)
	v_cmpx_gt_u32_e32 0x47800000, v3
	s_cbranch_execz .LBB308_987
; %bb.982:
	s_mov_b32 s6, 0
	s_mov_b32 s7, exec_lo
                                        ; implicit-def: $vgpr2
	v_cmpx_lt_u32_e32 0x37ffffff, v3
	s_xor_b32 s7, exec_lo, s7
	s_cbranch_execz .LBB308_1124
; %bb.983:
	v_bfe_u32 v2, v3, 21, 1
	s_mov_b32 s6, exec_lo
	s_delay_alu instid0(VALU_DEP_1) | instskip(NEXT) | instid1(VALU_DEP_1)
	v_add3_u32 v2, v3, v2, 0x88fffff
                                        ; implicit-def: $vgpr3
	v_lshrrev_b32_e32 v2, 21, v2
	s_and_not1_saveexec_b32 s7, s7
	s_cbranch_execnz .LBB308_1125
.LBB308_984:
	s_or_b32 exec_lo, exec_lo, s7
	v_mov_b32_e32 v4, 0
	s_and_saveexec_b32 s7, s6
.LBB308_985:
	v_mov_b32_e32 v4, v2
.LBB308_986:
	s_or_b32 exec_lo, exec_lo, s7
.LBB308_987:
	s_delay_alu instid0(SALU_CYCLE_1)
	s_or_b32 exec_lo, exec_lo, s5
	s_mov_b32 s5, 0
	global_store_b8 v[0:1], v4, off
.LBB308_988:
	s_and_b32 vcc_lo, exec_lo, s5
	s_cbranch_vccz .LBB308_998
; %bb.989:
	s_wait_xcnt 0x0
	v_cndmask_b32_e64 v3, 0, 1.0, s1
	s_mov_b32 s5, exec_lo
                                        ; implicit-def: $vgpr2
	s_delay_alu instid0(VALU_DEP_1)
	v_cmpx_gt_u32_e32 0x43f00000, v3
	s_xor_b32 s5, exec_lo, s5
	s_cbranch_execz .LBB308_995
; %bb.990:
	s_mov_b32 s6, exec_lo
                                        ; implicit-def: $vgpr2
	v_cmpx_lt_u32_e32 0x3c7fffff, v3
	s_xor_b32 s6, exec_lo, s6
; %bb.991:
	v_bfe_u32 v2, v3, 20, 1
	s_delay_alu instid0(VALU_DEP_1) | instskip(NEXT) | instid1(VALU_DEP_1)
	v_add3_u32 v2, v3, v2, 0x407ffff
	v_and_b32_e32 v3, 0xff00000, v2
	v_lshrrev_b32_e32 v2, 20, v2
	s_delay_alu instid0(VALU_DEP_2) | instskip(NEXT) | instid1(VALU_DEP_2)
	v_cmp_ne_u32_e32 vcc_lo, 0x7f00000, v3
                                        ; implicit-def: $vgpr3
	v_cndmask_b32_e32 v2, 0x7e, v2, vcc_lo
; %bb.992:
	s_and_not1_saveexec_b32 s6, s6
; %bb.993:
	v_add_f32_e32 v2, 0x46800000, v3
; %bb.994:
	s_or_b32 exec_lo, exec_lo, s6
                                        ; implicit-def: $vgpr3
.LBB308_995:
	s_and_not1_saveexec_b32 s5, s5
; %bb.996:
	v_mov_b32_e32 v2, 0x7f
	v_cmp_lt_u32_e32 vcc_lo, 0x7f800000, v3
	s_delay_alu instid0(VALU_DEP_2)
	v_cndmask_b32_e32 v2, 0x7e, v2, vcc_lo
; %bb.997:
	s_or_b32 exec_lo, exec_lo, s5
	global_store_b8 v[0:1], v2, off
.LBB308_998:
	s_mov_b32 s5, 0
.LBB308_999:
	s_delay_alu instid0(SALU_CYCLE_1)
	s_and_not1_b32 vcc_lo, exec_lo, s5
	s_cbranch_vccnz .LBB308_1009
; %bb.1000:
	s_wait_xcnt 0x0
	v_cndmask_b32_e64 v3, 0, 1.0, s1
	s_mov_b32 s5, exec_lo
                                        ; implicit-def: $vgpr2
	s_delay_alu instid0(VALU_DEP_1)
	v_cmpx_gt_u32_e32 0x47800000, v3
	s_xor_b32 s5, exec_lo, s5
	s_cbranch_execz .LBB308_1006
; %bb.1001:
	s_mov_b32 s6, exec_lo
                                        ; implicit-def: $vgpr2
	v_cmpx_lt_u32_e32 0x387fffff, v3
	s_xor_b32 s6, exec_lo, s6
; %bb.1002:
	v_bfe_u32 v2, v3, 21, 1
	s_delay_alu instid0(VALU_DEP_1) | instskip(NEXT) | instid1(VALU_DEP_1)
	v_add3_u32 v2, v3, v2, 0x80fffff
                                        ; implicit-def: $vgpr3
	v_lshrrev_b32_e32 v2, 21, v2
; %bb.1003:
	s_and_not1_saveexec_b32 s6, s6
; %bb.1004:
	v_add_f32_e32 v2, 0x43000000, v3
; %bb.1005:
	s_or_b32 exec_lo, exec_lo, s6
                                        ; implicit-def: $vgpr3
.LBB308_1006:
	s_and_not1_saveexec_b32 s5, s5
; %bb.1007:
	v_mov_b32_e32 v2, 0x7f
	v_cmp_lt_u32_e32 vcc_lo, 0x7f800000, v3
	s_delay_alu instid0(VALU_DEP_2)
	v_cndmask_b32_e32 v2, 0x7c, v2, vcc_lo
; %bb.1008:
	s_or_b32 exec_lo, exec_lo, s5
	global_store_b8 v[0:1], v2, off
.LBB308_1009:
	s_mov_b32 s5, 0
.LBB308_1010:
	s_delay_alu instid0(SALU_CYCLE_1)
	s_and_not1_b32 vcc_lo, exec_lo, s5
	s_mov_b32 s5, 0
	s_cbranch_vccnz .LBB308_1017
; %bb.1011:
	s_cmp_gt_i32 s4, 14
	s_mov_b32 s5, -1
	s_cbranch_scc0 .LBB308_1015
; %bb.1012:
	s_cmp_eq_u32 s4, 15
	s_mov_b32 s0, -1
	s_cbranch_scc0 .LBB308_1014
; %bb.1013:
	s_wait_xcnt 0x0
	v_cndmask_b32_e64 v2, 0, 1.0, s1
	s_mov_b32 s0, 0
	s_delay_alu instid0(VALU_DEP_1) | instskip(NEXT) | instid1(VALU_DEP_1)
	v_bfe_u32 v3, v2, 16, 1
	v_add3_u32 v2, v2, v3, 0x7fff
	global_store_d16_hi_b16 v[0:1], v2, off
.LBB308_1014:
	s_mov_b32 s5, 0
.LBB308_1015:
	s_delay_alu instid0(SALU_CYCLE_1)
	s_and_b32 vcc_lo, exec_lo, s5
	s_mov_b32 s5, 0
	s_cbranch_vccz .LBB308_1017
; %bb.1016:
	s_cmp_lg_u32 s4, 11
	s_mov_b32 s5, -1
	s_cselect_b32 s0, -1, 0
.LBB308_1017:
	s_delay_alu instid0(SALU_CYCLE_1)
	s_and_b32 vcc_lo, exec_lo, s0
	s_cbranch_vccnz .LBB308_1121
.LBB308_1018:
	s_mov_b32 s0, 0
	s_branch .LBB308_1059
.LBB308_1019:
	s_mov_b32 s6, 0
	s_cbranch_execz .LBB308_942
; %bb.1020:
	s_cmp_lt_i32 s4, 5
	s_mov_b32 s0, -1
	s_cbranch_scc1 .LBB308_1041
; %bb.1021:
	s_cmp_lt_i32 s4, 8
	s_cbranch_scc1 .LBB308_1031
; %bb.1022:
	s_cmp_lt_i32 s4, 9
	s_cbranch_scc1 .LBB308_1028
; %bb.1023:
	s_cmp_gt_i32 s4, 9
	s_cbranch_scc0 .LBB308_1025
; %bb.1024:
	s_wait_xcnt 0x0
	v_cndmask_b32_e64 v2, 0, 1, s13
	v_mov_b32_e32 v4, 0
	s_mov_b32 s0, 0
	s_delay_alu instid0(VALU_DEP_2) | instskip(NEXT) | instid1(VALU_DEP_2)
	v_cvt_f64_u32_e32 v[2:3], v2
	v_mov_b32_e32 v5, v4
	global_store_b128 v[0:1], v[2:5], off
.LBB308_1025:
	s_and_not1_b32 vcc_lo, exec_lo, s0
	s_cbranch_vccnz .LBB308_1027
; %bb.1026:
	s_wait_xcnt 0x0
	v_cndmask_b32_e64 v2, 0, 1.0, s13
	v_mov_b32_e32 v3, 0
	global_store_b64 v[0:1], v[2:3], off
.LBB308_1027:
	s_mov_b32 s0, 0
.LBB308_1028:
	s_delay_alu instid0(SALU_CYCLE_1)
	s_and_not1_b32 vcc_lo, exec_lo, s0
	s_cbranch_vccnz .LBB308_1030
; %bb.1029:
	s_wait_xcnt 0x0
	v_cndmask_b32_e64 v2, 0, 1.0, s13
	s_delay_alu instid0(VALU_DEP_1) | instskip(NEXT) | instid1(VALU_DEP_1)
	v_cvt_f16_f32_e32 v2, v2
	v_and_b32_e32 v2, 0xffff, v2
	global_store_b32 v[0:1], v2, off
.LBB308_1030:
	s_mov_b32 s0, 0
.LBB308_1031:
	s_delay_alu instid0(SALU_CYCLE_1)
	s_and_not1_b32 vcc_lo, exec_lo, s0
	s_cbranch_vccnz .LBB308_1040
; %bb.1032:
	s_cmp_lt_i32 s4, 6
	s_mov_b32 s0, -1
	s_cbranch_scc1 .LBB308_1038
; %bb.1033:
	s_cmp_gt_i32 s4, 6
	s_cbranch_scc0 .LBB308_1035
; %bb.1034:
	s_wait_xcnt 0x0
	v_cndmask_b32_e64 v2, 0, 1, s13
	s_mov_b32 s0, 0
	s_delay_alu instid0(VALU_DEP_1)
	v_cvt_f64_u32_e32 v[2:3], v2
	global_store_b64 v[0:1], v[2:3], off
.LBB308_1035:
	s_and_not1_b32 vcc_lo, exec_lo, s0
	s_cbranch_vccnz .LBB308_1037
; %bb.1036:
	s_wait_xcnt 0x0
	v_cndmask_b32_e64 v2, 0, 1.0, s13
	global_store_b32 v[0:1], v2, off
.LBB308_1037:
	s_mov_b32 s0, 0
.LBB308_1038:
	s_delay_alu instid0(SALU_CYCLE_1)
	s_and_not1_b32 vcc_lo, exec_lo, s0
	s_cbranch_vccnz .LBB308_1040
; %bb.1039:
	s_wait_xcnt 0x0
	v_cndmask_b32_e64 v2, 0, 1.0, s13
	s_delay_alu instid0(VALU_DEP_1)
	v_cvt_f16_f32_e32 v2, v2
	global_store_b16 v[0:1], v2, off
.LBB308_1040:
	s_mov_b32 s0, 0
.LBB308_1041:
	s_delay_alu instid0(SALU_CYCLE_1)
	s_and_not1_b32 vcc_lo, exec_lo, s0
	s_cbranch_vccnz .LBB308_1057
; %bb.1042:
	s_cmp_lt_i32 s4, 2
	s_mov_b32 s0, -1
	s_cbranch_scc1 .LBB308_1052
; %bb.1043:
	s_cmp_lt_i32 s4, 3
	s_cbranch_scc1 .LBB308_1049
; %bb.1044:
	s_cmp_gt_i32 s4, 3
	s_cbranch_scc0 .LBB308_1046
; %bb.1045:
	s_mov_b32 s0, 0
	s_wait_xcnt 0x0
	v_cndmask_b32_e64 v2, 0, 1, s13
	v_mov_b32_e32 v3, s0
	global_store_b64 v[0:1], v[2:3], off
.LBB308_1046:
	s_and_not1_b32 vcc_lo, exec_lo, s0
	s_cbranch_vccnz .LBB308_1048
; %bb.1047:
	s_wait_xcnt 0x0
	v_cndmask_b32_e64 v2, 0, 1, s13
	global_store_b32 v[0:1], v2, off
.LBB308_1048:
	s_mov_b32 s0, 0
.LBB308_1049:
	s_delay_alu instid0(SALU_CYCLE_1)
	s_and_not1_b32 vcc_lo, exec_lo, s0
	s_cbranch_vccnz .LBB308_1051
; %bb.1050:
	s_wait_xcnt 0x0
	v_cndmask_b32_e64 v2, 0, 1, s13
	global_store_b16 v[0:1], v2, off
.LBB308_1051:
	s_mov_b32 s0, 0
.LBB308_1052:
	s_delay_alu instid0(SALU_CYCLE_1)
	s_and_not1_b32 vcc_lo, exec_lo, s0
	s_cbranch_vccnz .LBB308_1057
; %bb.1053:
	s_cmp_gt_i32 s4, 0
	s_mov_b32 s0, -1
	s_cbranch_scc0 .LBB308_1055
; %bb.1054:
	s_wait_xcnt 0x0
	v_cndmask_b32_e64 v2, 0, 1, s13
	s_mov_b32 s0, 0
	global_store_b8 v[0:1], v2, off
.LBB308_1055:
	s_and_not1_b32 vcc_lo, exec_lo, s0
	s_cbranch_vccnz .LBB308_1057
; %bb.1056:
	s_wait_xcnt 0x0
	v_cndmask_b32_e64 v2, 0, 1, s13
	global_store_b8 v[0:1], v2, off
.LBB308_1057:
	s_branch .LBB308_943
.LBB308_1058:
	s_mov_b32 s0, 0
	s_mov_b32 s5, 0
                                        ; implicit-def: $sgpr2
                                        ; implicit-def: $vgpr0_vgpr1
.LBB308_1059:
	s_and_not1_b32 s4, s20, exec_lo
	s_and_b32 s3, s3, exec_lo
	s_and_b32 s0, s0, exec_lo
	s_and_b32 s39, s5, exec_lo
	s_or_b32 s20, s4, s3
.LBB308_1060:
	s_wait_xcnt 0x0
	s_or_b32 exec_lo, exec_lo, s21
	s_and_saveexec_b32 s3, s20
	s_cbranch_execz .LBB308_1063
; %bb.1061:
	; divergent unreachable
	s_or_b32 exec_lo, exec_lo, s3
	s_and_saveexec_b32 s3, s39
	s_delay_alu instid0(SALU_CYCLE_1)
	s_xor_b32 s3, exec_lo, s3
	s_cbranch_execnz .LBB308_1064
.LBB308_1062:
	s_or_b32 exec_lo, exec_lo, s3
	s_and_saveexec_b32 s3, s0
	s_cbranch_execnz .LBB308_1065
	s_branch .LBB308_1102
.LBB308_1063:
	s_or_b32 exec_lo, exec_lo, s3
	s_and_saveexec_b32 s3, s39
	s_delay_alu instid0(SALU_CYCLE_1)
	s_xor_b32 s3, exec_lo, s3
	s_cbranch_execz .LBB308_1062
.LBB308_1064:
	v_cndmask_b32_e64 v2, 0, 1, s1
	global_store_b8 v[0:1], v2, off
	s_wait_xcnt 0x0
	s_or_b32 exec_lo, exec_lo, s3
	s_and_saveexec_b32 s3, s0
	s_cbranch_execz .LBB308_1102
.LBB308_1065:
	s_sext_i32_i16 s3, s2
	s_mov_b32 s0, -1
	s_cmp_lt_i32 s3, 5
	s_cbranch_scc1 .LBB308_1086
; %bb.1066:
	s_cmp_lt_i32 s3, 8
	s_cbranch_scc1 .LBB308_1076
; %bb.1067:
	;; [unrolled: 3-line block ×3, first 2 shown]
	s_cmp_gt_i32 s3, 9
	s_cbranch_scc0 .LBB308_1070
; %bb.1069:
	v_cndmask_b32_e64 v2, 0, 1, s1
	v_mov_b32_e32 v4, 0
	s_mov_b32 s0, 0
	s_delay_alu instid0(VALU_DEP_2) | instskip(NEXT) | instid1(VALU_DEP_2)
	v_cvt_f64_u32_e32 v[2:3], v2
	v_mov_b32_e32 v5, v4
	global_store_b128 v[0:1], v[2:5], off
.LBB308_1070:
	s_and_not1_b32 vcc_lo, exec_lo, s0
	s_cbranch_vccnz .LBB308_1072
; %bb.1071:
	s_wait_xcnt 0x0
	v_cndmask_b32_e64 v2, 0, 1.0, s1
	v_mov_b32_e32 v3, 0
	global_store_b64 v[0:1], v[2:3], off
.LBB308_1072:
	s_mov_b32 s0, 0
.LBB308_1073:
	s_delay_alu instid0(SALU_CYCLE_1)
	s_and_not1_b32 vcc_lo, exec_lo, s0
	s_cbranch_vccnz .LBB308_1075
; %bb.1074:
	s_wait_xcnt 0x0
	v_cndmask_b32_e64 v2, 0, 1.0, s1
	s_delay_alu instid0(VALU_DEP_1) | instskip(NEXT) | instid1(VALU_DEP_1)
	v_cvt_f16_f32_e32 v2, v2
	v_and_b32_e32 v2, 0xffff, v2
	global_store_b32 v[0:1], v2, off
.LBB308_1075:
	s_mov_b32 s0, 0
.LBB308_1076:
	s_delay_alu instid0(SALU_CYCLE_1)
	s_and_not1_b32 vcc_lo, exec_lo, s0
	s_cbranch_vccnz .LBB308_1085
; %bb.1077:
	s_sext_i32_i16 s3, s2
	s_mov_b32 s0, -1
	s_cmp_lt_i32 s3, 6
	s_cbranch_scc1 .LBB308_1083
; %bb.1078:
	s_cmp_gt_i32 s3, 6
	s_cbranch_scc0 .LBB308_1080
; %bb.1079:
	s_wait_xcnt 0x0
	v_cndmask_b32_e64 v2, 0, 1, s1
	s_mov_b32 s0, 0
	s_delay_alu instid0(VALU_DEP_1)
	v_cvt_f64_u32_e32 v[2:3], v2
	global_store_b64 v[0:1], v[2:3], off
.LBB308_1080:
	s_and_not1_b32 vcc_lo, exec_lo, s0
	s_cbranch_vccnz .LBB308_1082
; %bb.1081:
	s_wait_xcnt 0x0
	v_cndmask_b32_e64 v2, 0, 1.0, s1
	global_store_b32 v[0:1], v2, off
.LBB308_1082:
	s_mov_b32 s0, 0
.LBB308_1083:
	s_delay_alu instid0(SALU_CYCLE_1)
	s_and_not1_b32 vcc_lo, exec_lo, s0
	s_cbranch_vccnz .LBB308_1085
; %bb.1084:
	s_wait_xcnt 0x0
	v_cndmask_b32_e64 v2, 0, 1.0, s1
	s_delay_alu instid0(VALU_DEP_1)
	v_cvt_f16_f32_e32 v2, v2
	global_store_b16 v[0:1], v2, off
.LBB308_1085:
	s_mov_b32 s0, 0
.LBB308_1086:
	s_delay_alu instid0(SALU_CYCLE_1)
	s_and_not1_b32 vcc_lo, exec_lo, s0
	s_cbranch_vccnz .LBB308_1102
; %bb.1087:
	s_sext_i32_i16 s3, s2
	s_mov_b32 s0, -1
	s_cmp_lt_i32 s3, 2
	s_cbranch_scc1 .LBB308_1097
; %bb.1088:
	s_cmp_lt_i32 s3, 3
	s_cbranch_scc1 .LBB308_1094
; %bb.1089:
	s_cmp_gt_i32 s3, 3
	s_cbranch_scc0 .LBB308_1091
; %bb.1090:
	s_mov_b32 s0, 0
	s_wait_xcnt 0x0
	v_cndmask_b32_e64 v2, 0, 1, s1
	v_mov_b32_e32 v3, s0
	global_store_b64 v[0:1], v[2:3], off
.LBB308_1091:
	s_and_not1_b32 vcc_lo, exec_lo, s0
	s_cbranch_vccnz .LBB308_1093
; %bb.1092:
	s_wait_xcnt 0x0
	v_cndmask_b32_e64 v2, 0, 1, s1
	global_store_b32 v[0:1], v2, off
.LBB308_1093:
	s_mov_b32 s0, 0
.LBB308_1094:
	s_delay_alu instid0(SALU_CYCLE_1)
	s_and_not1_b32 vcc_lo, exec_lo, s0
	s_cbranch_vccnz .LBB308_1096
; %bb.1095:
	s_wait_xcnt 0x0
	v_cndmask_b32_e64 v2, 0, 1, s1
	global_store_b16 v[0:1], v2, off
.LBB308_1096:
	s_mov_b32 s0, 0
.LBB308_1097:
	s_delay_alu instid0(SALU_CYCLE_1)
	s_and_not1_b32 vcc_lo, exec_lo, s0
	s_cbranch_vccnz .LBB308_1102
; %bb.1098:
	s_sext_i32_i16 s0, s2
	s_delay_alu instid0(SALU_CYCLE_1)
	s_cmp_gt_i32 s0, 0
	s_mov_b32 s0, -1
	s_cbranch_scc0 .LBB308_1100
; %bb.1099:
	s_wait_xcnt 0x0
	v_cndmask_b32_e64 v2, 0, 1, s1
	s_mov_b32 s0, 0
	global_store_b8 v[0:1], v2, off
.LBB308_1100:
	s_and_not1_b32 vcc_lo, exec_lo, s0
	s_cbranch_vccnz .LBB308_1102
; %bb.1101:
	s_wait_xcnt 0x0
	v_cndmask_b32_e64 v2, 0, 1, s1
	global_store_b8 v[0:1], v2, off
	s_endpgm
.LBB308_1102:
	s_endpgm
.LBB308_1103:
	s_mov_b32 s5, 0
	s_mov_b32 s0, -1
	s_branch .LBB308_1059
.LBB308_1104:
	s_and_not1_saveexec_b32 s7, s7
	s_cbranch_execz .LBB308_656
.LBB308_1105:
	v_add_f32_e32 v2, 0x46000000, v3
	s_and_not1_b32 s6, s6, exec_lo
	s_delay_alu instid0(VALU_DEP_1) | instskip(NEXT) | instid1(VALU_DEP_1)
	v_and_b32_e32 v2, 0xff, v2
	v_cmp_ne_u32_e32 vcc_lo, 0, v2
	s_and_b32 s8, vcc_lo, exec_lo
	s_delay_alu instid0(SALU_CYCLE_1)
	s_or_b32 s6, s6, s8
	s_or_b32 exec_lo, exec_lo, s7
	v_mov_b32_e32 v4, 0
	s_and_saveexec_b32 s7, s6
	s_cbranch_execnz .LBB308_657
	s_branch .LBB308_658
.LBB308_1106:
	s_or_b32 s3, s20, exec_lo
	s_trap 2
	s_cbranch_execz .LBB308_704
	s_branch .LBB308_705
.LBB308_1107:
	s_and_not1_saveexec_b32 s6, s6
	s_cbranch_execz .LBB308_669
.LBB308_1108:
	v_add_f32_e32 v2, 0x42800000, v3
	s_and_not1_b32 s5, s5, exec_lo
	s_delay_alu instid0(VALU_DEP_1) | instskip(NEXT) | instid1(VALU_DEP_1)
	v_and_b32_e32 v2, 0xff, v2
	v_cmp_ne_u32_e32 vcc_lo, 0, v2
	s_and_b32 s7, vcc_lo, exec_lo
	s_delay_alu instid0(SALU_CYCLE_1)
	s_or_b32 s5, s5, s7
	s_or_b32 exec_lo, exec_lo, s6
	v_mov_b32_e32 v4, 0
	s_and_saveexec_b32 s6, s5
	s_cbranch_execnz .LBB308_670
	s_branch .LBB308_671
.LBB308_1109:
	s_and_not1_saveexec_b32 s8, s8
	s_cbranch_execz .LBB308_774
.LBB308_1110:
	v_add_f32_e32 v2, 0x46000000, v3
	s_and_not1_b32 s7, s7, exec_lo
	s_delay_alu instid0(VALU_DEP_1) | instskip(NEXT) | instid1(VALU_DEP_1)
	v_and_b32_e32 v2, 0xff, v2
	v_cmp_ne_u32_e32 vcc_lo, 0, v2
	s_and_b32 s9, vcc_lo, exec_lo
	s_delay_alu instid0(SALU_CYCLE_1)
	s_or_b32 s7, s7, s9
	s_or_b32 exec_lo, exec_lo, s8
	v_mov_b32_e32 v4, 0
	s_and_saveexec_b32 s8, s7
	s_cbranch_execnz .LBB308_775
	s_branch .LBB308_776
.LBB308_1111:
	s_or_b32 s3, s3, exec_lo
	s_trap 2
	s_cbranch_execz .LBB308_822
	s_branch .LBB308_823
.LBB308_1112:
	s_and_not1_saveexec_b32 s7, s7
	s_cbranch_execz .LBB308_787
.LBB308_1113:
	v_add_f32_e32 v2, 0x42800000, v3
	s_and_not1_b32 s6, s6, exec_lo
	s_delay_alu instid0(VALU_DEP_1) | instskip(NEXT) | instid1(VALU_DEP_1)
	v_and_b32_e32 v2, 0xff, v2
	v_cmp_ne_u32_e32 vcc_lo, 0, v2
	s_and_b32 s8, vcc_lo, exec_lo
	s_delay_alu instid0(SALU_CYCLE_1)
	s_or_b32 s6, s6, s8
	s_or_b32 exec_lo, exec_lo, s7
	v_mov_b32_e32 v4, 0
	s_and_saveexec_b32 s7, s6
	s_cbranch_execnz .LBB308_788
	s_branch .LBB308_789
.LBB308_1114:
	s_and_not1_saveexec_b32 s8, s8
	s_cbranch_execz .LBB308_892
.LBB308_1115:
	v_add_f32_e32 v2, 0x46000000, v3
	s_and_not1_b32 s7, s7, exec_lo
	s_delay_alu instid0(VALU_DEP_1) | instskip(NEXT) | instid1(VALU_DEP_1)
	v_and_b32_e32 v2, 0xff, v2
	v_cmp_ne_u32_e32 vcc_lo, 0, v2
	s_and_b32 s9, vcc_lo, exec_lo
	s_delay_alu instid0(SALU_CYCLE_1)
	s_or_b32 s7, s7, s9
	s_or_b32 exec_lo, exec_lo, s8
	v_mov_b32_e32 v4, 0
	s_and_saveexec_b32 s8, s7
	s_cbranch_execnz .LBB308_893
	s_branch .LBB308_894
.LBB308_1116:
	s_or_b32 s3, s3, exec_lo
	s_trap 2
	s_cbranch_execz .LBB308_940
	s_branch .LBB308_941
.LBB308_1117:
	s_and_not1_saveexec_b32 s7, s7
	s_cbranch_execz .LBB308_905
.LBB308_1118:
	v_add_f32_e32 v2, 0x42800000, v3
	s_and_not1_b32 s6, s6, exec_lo
	s_delay_alu instid0(VALU_DEP_1) | instskip(NEXT) | instid1(VALU_DEP_1)
	v_and_b32_e32 v2, 0xff, v2
	v_cmp_ne_u32_e32 vcc_lo, 0, v2
	s_and_b32 s8, vcc_lo, exec_lo
	s_delay_alu instid0(SALU_CYCLE_1)
	s_or_b32 s6, s6, s8
	s_or_b32 exec_lo, exec_lo, s7
	v_mov_b32_e32 v4, 0
	s_and_saveexec_b32 s7, s6
	s_cbranch_execnz .LBB308_906
	s_branch .LBB308_907
.LBB308_1119:
	s_and_not1_saveexec_b32 s8, s8
	s_cbranch_execz .LBB308_972
.LBB308_1120:
	v_add_f32_e32 v2, 0x46000000, v3
	s_and_not1_b32 s7, s7, exec_lo
	s_delay_alu instid0(VALU_DEP_1) | instskip(NEXT) | instid1(VALU_DEP_1)
	v_and_b32_e32 v2, 0xff, v2
	v_cmp_ne_u32_e32 vcc_lo, 0, v2
	s_and_b32 s9, vcc_lo, exec_lo
	s_delay_alu instid0(SALU_CYCLE_1)
	s_or_b32 s7, s7, s9
	s_or_b32 exec_lo, exec_lo, s8
	v_mov_b32_e32 v4, 0
	s_and_saveexec_b32 s8, s7
	s_cbranch_execnz .LBB308_973
	s_branch .LBB308_974
.LBB308_1121:
	s_mov_b32 s5, 0
	s_or_b32 s3, s3, exec_lo
	s_trap 2
	s_branch .LBB308_1018
.LBB308_1122:
	s_and_not1_saveexec_b32 s6, s6
	s_cbranch_execz .LBB308_480
.LBB308_1123:
	v_add_f32_e32 v2, 0x46000000, v3
	s_and_not1_b32 s5, s5, exec_lo
	s_delay_alu instid0(VALU_DEP_1) | instskip(NEXT) | instid1(VALU_DEP_1)
	v_and_b32_e32 v2, 0xff, v2
	v_cmp_ne_u32_e32 vcc_lo, 0, v2
	s_and_b32 s7, vcc_lo, exec_lo
	s_delay_alu instid0(SALU_CYCLE_1)
	s_or_b32 s5, s5, s7
	s_or_b32 exec_lo, exec_lo, s6
	v_mov_b32_e32 v4, 0
	s_and_saveexec_b32 s6, s5
	s_cbranch_execnz .LBB308_481
	s_branch .LBB308_482
.LBB308_1124:
	s_and_not1_saveexec_b32 s7, s7
	s_cbranch_execz .LBB308_984
.LBB308_1125:
	v_add_f32_e32 v2, 0x42800000, v3
	s_and_not1_b32 s6, s6, exec_lo
	s_delay_alu instid0(VALU_DEP_1) | instskip(NEXT) | instid1(VALU_DEP_1)
	v_and_b32_e32 v2, 0xff, v2
	v_cmp_ne_u32_e32 vcc_lo, 0, v2
	s_and_b32 s8, vcc_lo, exec_lo
	s_delay_alu instid0(SALU_CYCLE_1)
	s_or_b32 s6, s6, s8
	s_or_b32 exec_lo, exec_lo, s7
	v_mov_b32_e32 v4, 0
	s_and_saveexec_b32 s7, s6
	s_cbranch_execnz .LBB308_985
	s_branch .LBB308_986
.LBB308_1126:
	s_and_not1_saveexec_b32 s7, s7
	s_cbranch_execz .LBB308_492
.LBB308_1127:
	v_add_f32_e32 v2, 0x42800000, v3
	s_and_not1_b32 s6, s6, exec_lo
	s_delay_alu instid0(VALU_DEP_1) | instskip(NEXT) | instid1(VALU_DEP_1)
	v_and_b32_e32 v2, 0xff, v2
	v_cmp_ne_u32_e32 vcc_lo, 0, v2
	s_and_b32 s8, vcc_lo, exec_lo
	s_delay_alu instid0(SALU_CYCLE_1)
	s_or_b32 s6, s6, s8
	s_or_b32 exec_lo, exec_lo, s7
	v_mov_b32_e32 v4, 0
	s_and_saveexec_b32 s7, s6
	s_cbranch_execnz .LBB308_493
	s_branch .LBB308_494
	.section	.rodata,"a",@progbits
	.p2align	6, 0x0
	.amdhsa_kernel _ZN2at6native32elementwise_kernel_manual_unrollILi128ELi4EZNS0_15gpu_kernel_implINS0_13AUnaryFunctorIN3c1015Float8_e4m3fnuzES5_bNS0_12_GLOBAL__N_116CompareEqFunctorIS5_EEEEEEvRNS_18TensorIteratorBaseERKT_EUlibE0_EEviT1_
		.amdhsa_group_segment_fixed_size 0
		.amdhsa_private_segment_fixed_size 0
		.amdhsa_kernarg_size 368
		.amdhsa_user_sgpr_count 2
		.amdhsa_user_sgpr_dispatch_ptr 0
		.amdhsa_user_sgpr_queue_ptr 0
		.amdhsa_user_sgpr_kernarg_segment_ptr 1
		.amdhsa_user_sgpr_dispatch_id 0
		.amdhsa_user_sgpr_kernarg_preload_length 0
		.amdhsa_user_sgpr_kernarg_preload_offset 0
		.amdhsa_user_sgpr_private_segment_size 0
		.amdhsa_wavefront_size32 1
		.amdhsa_uses_dynamic_stack 0
		.amdhsa_enable_private_segment 0
		.amdhsa_system_sgpr_workgroup_id_x 1
		.amdhsa_system_sgpr_workgroup_id_y 0
		.amdhsa_system_sgpr_workgroup_id_z 0
		.amdhsa_system_sgpr_workgroup_info 0
		.amdhsa_system_vgpr_workitem_id 0
		.amdhsa_next_free_vgpr 20
		.amdhsa_next_free_sgpr 72
		.amdhsa_named_barrier_count 0
		.amdhsa_reserve_vcc 1
		.amdhsa_float_round_mode_32 0
		.amdhsa_float_round_mode_16_64 0
		.amdhsa_float_denorm_mode_32 3
		.amdhsa_float_denorm_mode_16_64 3
		.amdhsa_fp16_overflow 0
		.amdhsa_memory_ordered 1
		.amdhsa_forward_progress 1
		.amdhsa_inst_pref_size 185
		.amdhsa_round_robin_scheduling 0
		.amdhsa_exception_fp_ieee_invalid_op 0
		.amdhsa_exception_fp_denorm_src 0
		.amdhsa_exception_fp_ieee_div_zero 0
		.amdhsa_exception_fp_ieee_overflow 0
		.amdhsa_exception_fp_ieee_underflow 0
		.amdhsa_exception_fp_ieee_inexact 0
		.amdhsa_exception_int_div_zero 0
	.end_amdhsa_kernel
	.section	.text._ZN2at6native32elementwise_kernel_manual_unrollILi128ELi4EZNS0_15gpu_kernel_implINS0_13AUnaryFunctorIN3c1015Float8_e4m3fnuzES5_bNS0_12_GLOBAL__N_116CompareEqFunctorIS5_EEEEEEvRNS_18TensorIteratorBaseERKT_EUlibE0_EEviT1_,"axG",@progbits,_ZN2at6native32elementwise_kernel_manual_unrollILi128ELi4EZNS0_15gpu_kernel_implINS0_13AUnaryFunctorIN3c1015Float8_e4m3fnuzES5_bNS0_12_GLOBAL__N_116CompareEqFunctorIS5_EEEEEEvRNS_18TensorIteratorBaseERKT_EUlibE0_EEviT1_,comdat
.Lfunc_end308:
	.size	_ZN2at6native32elementwise_kernel_manual_unrollILi128ELi4EZNS0_15gpu_kernel_implINS0_13AUnaryFunctorIN3c1015Float8_e4m3fnuzES5_bNS0_12_GLOBAL__N_116CompareEqFunctorIS5_EEEEEEvRNS_18TensorIteratorBaseERKT_EUlibE0_EEviT1_, .Lfunc_end308-_ZN2at6native32elementwise_kernel_manual_unrollILi128ELi4EZNS0_15gpu_kernel_implINS0_13AUnaryFunctorIN3c1015Float8_e4m3fnuzES5_bNS0_12_GLOBAL__N_116CompareEqFunctorIS5_EEEEEEvRNS_18TensorIteratorBaseERKT_EUlibE0_EEviT1_
                                        ; -- End function
	.set _ZN2at6native32elementwise_kernel_manual_unrollILi128ELi4EZNS0_15gpu_kernel_implINS0_13AUnaryFunctorIN3c1015Float8_e4m3fnuzES5_bNS0_12_GLOBAL__N_116CompareEqFunctorIS5_EEEEEEvRNS_18TensorIteratorBaseERKT_EUlibE0_EEviT1_.num_vgpr, max(20, .L_ZN2at6native6invokeINS0_13AUnaryFunctorIN3c1015Float8_e4m3fnuzES4_bNS0_12_GLOBAL__N_116CompareEqFunctorIS4_EEEEj15function_traitsIS8_EEENT1_11result_typeERKT_PrKPcPKT0_PKNS3_10ScalarTypeEi.num_vgpr)
	.set _ZN2at6native32elementwise_kernel_manual_unrollILi128ELi4EZNS0_15gpu_kernel_implINS0_13AUnaryFunctorIN3c1015Float8_e4m3fnuzES5_bNS0_12_GLOBAL__N_116CompareEqFunctorIS5_EEEEEEvRNS_18TensorIteratorBaseERKT_EUlibE0_EEviT1_.num_agpr, max(0, .L_ZN2at6native6invokeINS0_13AUnaryFunctorIN3c1015Float8_e4m3fnuzES4_bNS0_12_GLOBAL__N_116CompareEqFunctorIS4_EEEEj15function_traitsIS8_EEENT1_11result_typeERKT_PrKPcPKT0_PKNS3_10ScalarTypeEi.num_agpr)
	.set _ZN2at6native32elementwise_kernel_manual_unrollILi128ELi4EZNS0_15gpu_kernel_implINS0_13AUnaryFunctorIN3c1015Float8_e4m3fnuzES5_bNS0_12_GLOBAL__N_116CompareEqFunctorIS5_EEEEEEvRNS_18TensorIteratorBaseERKT_EUlibE0_EEviT1_.numbered_sgpr, max(72, .L_ZN2at6native6invokeINS0_13AUnaryFunctorIN3c1015Float8_e4m3fnuzES4_bNS0_12_GLOBAL__N_116CompareEqFunctorIS4_EEEEj15function_traitsIS8_EEENT1_11result_typeERKT_PrKPcPKT0_PKNS3_10ScalarTypeEi.numbered_sgpr)
	.set _ZN2at6native32elementwise_kernel_manual_unrollILi128ELi4EZNS0_15gpu_kernel_implINS0_13AUnaryFunctorIN3c1015Float8_e4m3fnuzES5_bNS0_12_GLOBAL__N_116CompareEqFunctorIS5_EEEEEEvRNS_18TensorIteratorBaseERKT_EUlibE0_EEviT1_.num_named_barrier, max(0, .L_ZN2at6native6invokeINS0_13AUnaryFunctorIN3c1015Float8_e4m3fnuzES4_bNS0_12_GLOBAL__N_116CompareEqFunctorIS4_EEEEj15function_traitsIS8_EEENT1_11result_typeERKT_PrKPcPKT0_PKNS3_10ScalarTypeEi.num_named_barrier)
	.set _ZN2at6native32elementwise_kernel_manual_unrollILi128ELi4EZNS0_15gpu_kernel_implINS0_13AUnaryFunctorIN3c1015Float8_e4m3fnuzES5_bNS0_12_GLOBAL__N_116CompareEqFunctorIS5_EEEEEEvRNS_18TensorIteratorBaseERKT_EUlibE0_EEviT1_.private_seg_size, 0+max(.L_ZN2at6native6invokeINS0_13AUnaryFunctorIN3c1015Float8_e4m3fnuzES4_bNS0_12_GLOBAL__N_116CompareEqFunctorIS4_EEEEj15function_traitsIS8_EEENT1_11result_typeERKT_PrKPcPKT0_PKNS3_10ScalarTypeEi.private_seg_size)
	.set _ZN2at6native32elementwise_kernel_manual_unrollILi128ELi4EZNS0_15gpu_kernel_implINS0_13AUnaryFunctorIN3c1015Float8_e4m3fnuzES5_bNS0_12_GLOBAL__N_116CompareEqFunctorIS5_EEEEEEvRNS_18TensorIteratorBaseERKT_EUlibE0_EEviT1_.uses_vcc, or(1, .L_ZN2at6native6invokeINS0_13AUnaryFunctorIN3c1015Float8_e4m3fnuzES4_bNS0_12_GLOBAL__N_116CompareEqFunctorIS4_EEEEj15function_traitsIS8_EEENT1_11result_typeERKT_PrKPcPKT0_PKNS3_10ScalarTypeEi.uses_vcc)
	.set _ZN2at6native32elementwise_kernel_manual_unrollILi128ELi4EZNS0_15gpu_kernel_implINS0_13AUnaryFunctorIN3c1015Float8_e4m3fnuzES5_bNS0_12_GLOBAL__N_116CompareEqFunctorIS5_EEEEEEvRNS_18TensorIteratorBaseERKT_EUlibE0_EEviT1_.uses_flat_scratch, or(0, .L_ZN2at6native6invokeINS0_13AUnaryFunctorIN3c1015Float8_e4m3fnuzES4_bNS0_12_GLOBAL__N_116CompareEqFunctorIS4_EEEEj15function_traitsIS8_EEENT1_11result_typeERKT_PrKPcPKT0_PKNS3_10ScalarTypeEi.uses_flat_scratch)
	.set _ZN2at6native32elementwise_kernel_manual_unrollILi128ELi4EZNS0_15gpu_kernel_implINS0_13AUnaryFunctorIN3c1015Float8_e4m3fnuzES5_bNS0_12_GLOBAL__N_116CompareEqFunctorIS5_EEEEEEvRNS_18TensorIteratorBaseERKT_EUlibE0_EEviT1_.has_dyn_sized_stack, or(0, .L_ZN2at6native6invokeINS0_13AUnaryFunctorIN3c1015Float8_e4m3fnuzES4_bNS0_12_GLOBAL__N_116CompareEqFunctorIS4_EEEEj15function_traitsIS8_EEENT1_11result_typeERKT_PrKPcPKT0_PKNS3_10ScalarTypeEi.has_dyn_sized_stack)
	.set _ZN2at6native32elementwise_kernel_manual_unrollILi128ELi4EZNS0_15gpu_kernel_implINS0_13AUnaryFunctorIN3c1015Float8_e4m3fnuzES5_bNS0_12_GLOBAL__N_116CompareEqFunctorIS5_EEEEEEvRNS_18TensorIteratorBaseERKT_EUlibE0_EEviT1_.has_recursion, or(0, .L_ZN2at6native6invokeINS0_13AUnaryFunctorIN3c1015Float8_e4m3fnuzES4_bNS0_12_GLOBAL__N_116CompareEqFunctorIS4_EEEEj15function_traitsIS8_EEENT1_11result_typeERKT_PrKPcPKT0_PKNS3_10ScalarTypeEi.has_recursion)
	.set _ZN2at6native32elementwise_kernel_manual_unrollILi128ELi4EZNS0_15gpu_kernel_implINS0_13AUnaryFunctorIN3c1015Float8_e4m3fnuzES5_bNS0_12_GLOBAL__N_116CompareEqFunctorIS5_EEEEEEvRNS_18TensorIteratorBaseERKT_EUlibE0_EEviT1_.has_indirect_call, or(0, .L_ZN2at6native6invokeINS0_13AUnaryFunctorIN3c1015Float8_e4m3fnuzES4_bNS0_12_GLOBAL__N_116CompareEqFunctorIS4_EEEEj15function_traitsIS8_EEENT1_11result_typeERKT_PrKPcPKT0_PKNS3_10ScalarTypeEi.has_indirect_call)
	.section	.AMDGPU.csdata,"",@progbits
; Kernel info:
; codeLenInByte = 23636
; TotalNumSgprs: 74
; NumVgprs: 20
; ScratchSize: 0
; MemoryBound: 0
; FloatMode: 240
; IeeeMode: 1
; LDSByteSize: 0 bytes/workgroup (compile time only)
; SGPRBlocks: 0
; VGPRBlocks: 1
; NumSGPRsForWavesPerEU: 74
; NumVGPRsForWavesPerEU: 20
; NamedBarCnt: 0
; Occupancy: 16
; WaveLimiterHint : 1
; COMPUTE_PGM_RSRC2:SCRATCH_EN: 0
; COMPUTE_PGM_RSRC2:USER_SGPR: 2
; COMPUTE_PGM_RSRC2:TRAP_HANDLER: 0
; COMPUTE_PGM_RSRC2:TGID_X_EN: 1
; COMPUTE_PGM_RSRC2:TGID_Y_EN: 0
; COMPUTE_PGM_RSRC2:TGID_Z_EN: 0
; COMPUTE_PGM_RSRC2:TIDIG_COMP_CNT: 0
	.section	.text._ZN2at6native29vectorized_elementwise_kernelILi16ENS0_13BinaryFunctorIN3c1014Float8_e8m0fnuES4_bNS0_12_GLOBAL__N_116CompareEqFunctorIS4_EEEESt5arrayIPcLm3EEEEviT0_T1_,"axG",@progbits,_ZN2at6native29vectorized_elementwise_kernelILi16ENS0_13BinaryFunctorIN3c1014Float8_e8m0fnuES4_bNS0_12_GLOBAL__N_116CompareEqFunctorIS4_EEEESt5arrayIPcLm3EEEEviT0_T1_,comdat
	.globl	_ZN2at6native29vectorized_elementwise_kernelILi16ENS0_13BinaryFunctorIN3c1014Float8_e8m0fnuES4_bNS0_12_GLOBAL__N_116CompareEqFunctorIS4_EEEESt5arrayIPcLm3EEEEviT0_T1_ ; -- Begin function _ZN2at6native29vectorized_elementwise_kernelILi16ENS0_13BinaryFunctorIN3c1014Float8_e8m0fnuES4_bNS0_12_GLOBAL__N_116CompareEqFunctorIS4_EEEESt5arrayIPcLm3EEEEviT0_T1_
	.p2align	8
	.type	_ZN2at6native29vectorized_elementwise_kernelILi16ENS0_13BinaryFunctorIN3c1014Float8_e8m0fnuES4_bNS0_12_GLOBAL__N_116CompareEqFunctorIS4_EEEESt5arrayIPcLm3EEEEviT0_T1_,@function
_ZN2at6native29vectorized_elementwise_kernelILi16ENS0_13BinaryFunctorIN3c1014Float8_e8m0fnuES4_bNS0_12_GLOBAL__N_116CompareEqFunctorIS4_EEEESt5arrayIPcLm3EEEEviT0_T1_: ; @_ZN2at6native29vectorized_elementwise_kernelILi16ENS0_13BinaryFunctorIN3c1014Float8_e8m0fnuES4_bNS0_12_GLOBAL__N_116CompareEqFunctorIS4_EEEESt5arrayIPcLm3EEEEviT0_T1_
; %bb.0:
	s_clause 0x2
	s_load_b64 s[4:5], s[0:1], 0x0
	s_load_b128 s[8:11], s[0:1], 0x8
	s_load_b64 s[12:13], s[0:1], 0x18
	s_wait_xcnt 0x0
	s_bfe_u32 s0, ttmp6, 0x4000c
	s_and_b32 s1, ttmp6, 15
	s_add_co_i32 s0, s0, 1
	s_getreg_b32 s2, hwreg(HW_REG_IB_STS2, 6, 4)
	s_mul_i32 s0, ttmp9, s0
	s_delay_alu instid0(SALU_CYCLE_1) | instskip(SKIP_2) | instid1(SALU_CYCLE_1)
	s_add_co_i32 s1, s1, s0
	s_cmp_eq_u32 s2, 0
	s_cselect_b32 s0, ttmp9, s1
	s_lshl_b32 s6, s0, 12
	s_mov_b32 s0, -1
	s_wait_kmcnt 0x0
	s_sub_co_i32 s14, s4, s6
	s_delay_alu instid0(SALU_CYCLE_1)
	s_cmp_gt_i32 s14, 0xfff
	s_cbranch_scc0 .LBB309_2
; %bb.1:
	s_ashr_i32 s7, s6, 31
	s_cmp_eq_u32 s5, 0
	s_add_nc_u64 s[0:1], s[10:11], s[6:7]
	global_load_b128 v[2:5], v0, s[0:1] scale_offset
	s_wait_xcnt 0x0
	s_add_nc_u64 s[0:1], s[12:13], s[6:7]
	global_load_b128 v[6:9], v0, s[0:1] scale_offset
	s_wait_loadcnt 0x1
	v_and_b32_e32 v1, 0xff, v2
	v_dual_lshrrev_b32 v12, 24, v2 :: v_dual_lshrrev_b32 v14, 8, v3
	s_wait_loadcnt 0x0
	v_dual_lshrrev_b32 v26, 8, v6 :: v_dual_lshrrev_b32 v27, 16, v6
	v_and_b32_e32 v25, 0xff, v6
	v_dual_lshrrev_b32 v28, 24, v6 :: v_dual_lshrrev_b32 v30, 8, v7
	v_dual_lshlrev_b32 v42, 15, v6 :: v_dual_lshlrev_b32 v6, 7, v6
	s_delay_alu instid0(VALU_DEP_4)
	v_and_b32_e32 v26, 0xff, v26
	v_and_b32_e32 v27, 0xff, v27
	v_dual_lshlrev_b32 v49, 23, v1 :: v_dual_lshlrev_b32 v51, 23, v12
	v_cmp_ne_u16_e32 vcc_lo, 0xff, v1
	v_dual_lshrrev_b32 v23, 16, v5 :: v_dual_lshrrev_b32 v24, 24, v5
	v_and_b32_e32 v42, 0x7f800000, v42
	v_and_b32_e32 v6, 0x7f800000, v6
	v_cndmask_b32_e32 v49, 0x7f800001, v49, vcc_lo
	v_cmp_ne_u16_e32 vcc_lo, 0, v1
	v_cmp_ne_u16_e64 s2, 0xff, v26
	v_cmp_ne_u16_e64 s4, 0xff, v27
	v_dual_lshrrev_b32 v10, 8, v2 :: v_dual_lshrrev_b32 v11, 16, v2
	v_and_b32_e32 v13, 0xff, v3
	s_delay_alu instid0(VALU_DEP_4)
	v_cndmask_b32_e64 v42, 0x7f800001, v42, s2
	v_cmp_ne_u16_e64 s2, 0, v26
	v_lshlrev_b32_e32 v26, 23, v24
	v_cndmask_b32_e64 v6, 0x7f800001, v6, s4
	v_cmp_ne_u16_e64 s4, 0xff, v12
	v_cndmask_b32_e32 v49, 0x400000, v49, vcc_lo
	v_cmp_ne_u16_e32 vcc_lo, 0, v27
	v_dual_lshlrev_b32 v41, 15, v2 :: v_dual_lshlrev_b32 v2, 7, v2
	v_and_b32_e32 v10, 0xff, v10
	v_dual_lshlrev_b32 v50, 23, v25 :: v_dual_lshlrev_b32 v52, 23, v28
	v_cndmask_b32_e64 v51, 0x7f800001, v51, s4
	v_cmp_ne_u16_e64 s4, 0xff, v28
	v_cndmask_b32_e32 v6, 0x400000, v6, vcc_lo
	v_cmp_ne_u16_e32 vcc_lo, 0, v12
	v_dual_lshrrev_b32 v15, 16, v3 :: v_dual_lshrrev_b32 v16, 24, v3
	v_and_b32_e32 v29, 0xff, v7
	v_and_b32_e32 v37, 0xff, v9
	;; [unrolled: 1-line block ×3, first 2 shown]
	s_delay_alu instid0(VALU_DEP_4)
	v_dual_lshlrev_b32 v53, 23, v13 :: v_dual_lshlrev_b32 v55, 23, v16
	v_cmp_ne_u16_e64 s1, 0xff, v10
	v_cndmask_b32_e64 v52, 0x7f800001, v52, s4
	v_cmp_ne_u16_e64 s4, 0xff, v13
	v_cndmask_b32_e32 v12, 0x400000, v51, vcc_lo
	v_cmp_ne_u16_e32 vcc_lo, 0, v28
	v_dual_lshrrev_b32 v31, 16, v7 :: v_dual_lshrrev_b32 v32, 24, v7
	v_dual_lshlrev_b32 v43, 15, v3 :: v_dual_lshlrev_b32 v3, 7, v3
	v_and_b32_e32 v14, 0xff, v14
	s_delay_alu instid0(VALU_DEP_3)
	v_dual_lshlrev_b32 v54, 23, v29 :: v_dual_lshlrev_b32 v56, 23, v32
	v_cndmask_b32_e64 v41, 0x7f800001, v41, s1
	v_cmp_ne_u16_e64 s1, 0, v10
	v_dual_cndmask_b32 v27, 0x400000, v52 :: v_dual_lshlrev_b32 v10, 23, v37
	v_cndmask_b32_e64 v53, 0x7f800001, v53, s4
	v_cmp_ne_u16_e64 s4, 0xff, v29
	v_cmp_ne_u16_e32 vcc_lo, 0, v13
	v_dual_lshlrev_b32 v44, 15, v7 :: v_dual_lshlrev_b32 v7, 7, v7
	v_and_b32_e32 v30, 0xff, v30
	v_and_b32_e32 v43, 0x7f800000, v43
	v_cndmask_b32_e64 v54, 0x7f800001, v54, s4
	v_cmp_ne_u16_e64 s4, 0xff, v14
	v_cndmask_b32_e32 v13, 0x400000, v53, vcc_lo
	v_cmp_ne_u16_e32 vcc_lo, 0, v29
	v_and_b32_e32 v15, 0xff, v15
	v_and_b32_e32 v44, 0x7f800000, v44
	v_cndmask_b32_e64 v43, 0x7f800001, v43, s4
	v_cmp_ne_u16_e64 s4, 0xff, v30
	v_cndmask_b32_e32 v28, 0x400000, v54, vcc_lo
	v_cmp_ne_u16_e32 vcc_lo, 0, v14
	v_and_b32_e32 v31, 0xff, v31
	v_and_b32_e32 v3, 0x7f800000, v3
	v_cndmask_b32_e64 v44, 0x7f800001, v44, s4
	v_cmp_ne_u16_e64 s4, 0xff, v15
	v_cndmask_b32_e32 v14, 0x400000, v43, vcc_lo
	v_cmp_ne_u16_e32 vcc_lo, 0, v30
	v_and_b32_e32 v7, 0x7f800000, v7
	v_and_b32_e32 v17, 0xff, v4
	v_cndmask_b32_e64 v3, 0x7f800001, v3, s4
	v_cmp_ne_u16_e64 s4, 0xff, v31
	v_cndmask_b32_e32 v29, 0x400000, v44, vcc_lo
	v_cmp_ne_u16_e32 vcc_lo, 0, v15
	v_dual_lshrrev_b32 v18, 8, v4 :: v_dual_lshrrev_b32 v19, 16, v4
	s_delay_alu instid0(VALU_DEP_4) | instskip(SKIP_4) | instid1(VALU_DEP_4)
	v_cndmask_b32_e64 v7, 0x7f800001, v7, s4
	v_cmp_ne_u16_e64 s4, 0xff, v16
	v_cndmask_b32_e32 v3, 0x400000, v3, vcc_lo
	v_cmp_ne_u16_e32 vcc_lo, 0, v31
	v_dual_lshrrev_b32 v20, 24, v4 :: v_dual_lshrrev_b32 v22, 8, v5
	v_cndmask_b32_e64 v55, 0x7f800001, v55, s4
	v_cmp_ne_u16_e64 s4, 0xff, v32
	v_cndmask_b32_e32 v7, 0x400000, v7, vcc_lo
	v_cmp_ne_u16_e32 vcc_lo, 0, v16
	v_and_b32_e32 v33, 0xff, v8
	v_dual_lshlrev_b32 v57, 23, v17 :: v_dual_lshlrev_b32 v59, 23, v20
	v_cndmask_b32_e64 v56, 0x7f800001, v56, s4
	v_cmp_ne_u16_e64 s4, 0xff, v17
	v_cndmask_b32_e32 v15, 0x400000, v55, vcc_lo
	v_cmp_ne_u16_e32 vcc_lo, 0, v32
	v_dual_lshrrev_b32 v34, 8, v8 :: v_dual_lshrrev_b32 v35, 16, v8
	v_dual_lshrrev_b32 v36, 24, v8 :: v_dual_lshrrev_b32 v38, 8, v9
	v_dual_lshlrev_b32 v45, 15, v4 :: v_dual_lshlrev_b32 v4, 7, v4
	v_and_b32_e32 v18, 0xff, v18
	s_delay_alu instid0(VALU_DEP_3)
	v_dual_lshlrev_b32 v58, 23, v33 :: v_dual_lshlrev_b32 v1, 23, v36
	v_cndmask_b32_e64 v57, 0x7f800001, v57, s4
	v_cmp_ne_u16_e64 s4, 0xff, v33
	v_cndmask_b32_e32 v16, 0x400000, v56, vcc_lo
	v_cmp_ne_u16_e32 vcc_lo, 0, v17
	v_dual_lshlrev_b32 v46, 15, v8 :: v_dual_lshlrev_b32 v8, 7, v8
	v_and_b32_e32 v34, 0xff, v34
	v_and_b32_e32 v45, 0x7f800000, v45
	v_cndmask_b32_e64 v58, 0x7f800001, v58, s4
	v_cmp_ne_u16_e64 s4, 0xff, v18
	v_cndmask_b32_e32 v17, 0x400000, v57, vcc_lo
	v_cmp_ne_u16_e32 vcc_lo, 0, v33
	v_and_b32_e32 v19, 0xff, v19
	v_and_b32_e32 v46, 0x7f800000, v46
	v_cndmask_b32_e64 v45, 0x7f800001, v45, s4
	v_cmp_ne_u16_e64 s4, 0xff, v34
	v_cndmask_b32_e32 v30, 0x400000, v58, vcc_lo
	v_cmp_ne_u16_e32 vcc_lo, 0, v18
	v_and_b32_e32 v35, 0xff, v35
	v_and_b32_e32 v4, 0x7f800000, v4
	v_cndmask_b32_e64 v46, 0x7f800001, v46, s4
	v_cmp_ne_u16_e64 s4, 0xff, v19
	v_cndmask_b32_e32 v18, 0x400000, v45, vcc_lo
	v_cmp_ne_u16_e32 vcc_lo, 0, v34
	v_and_b32_e32 v8, 0x7f800000, v8
	v_and_b32_e32 v21, 0xff, v5
	v_cndmask_b32_e64 v4, 0x7f800001, v4, s4
	v_cmp_ne_u16_e64 s4, 0xff, v35
	v_cndmask_b32_e32 v31, 0x400000, v46, vcc_lo
	v_cmp_ne_u16_e32 vcc_lo, 0, v19
	v_and_b32_e32 v11, 0xff, v11
	v_cmp_ne_u16_e64 s0, 0xff, v25
	v_cndmask_b32_e64 v8, 0x7f800001, v8, s4
	v_cmp_ne_u16_e64 s4, 0xff, v20
	v_cndmask_b32_e32 v4, 0x400000, v4, vcc_lo
	v_cmp_ne_u16_e32 vcc_lo, 0, v35
	v_dual_lshrrev_b32 v39, 16, v9 :: v_dual_lshrrev_b32 v40, 24, v9
	s_delay_alu instid0(VALU_DEP_4)
	v_cndmask_b32_e64 v59, 0x7f800001, v59, s4
	v_cmp_ne_u16_e64 s4, 0xff, v36
	v_cndmask_b32_e32 v8, 0x400000, v8, vcc_lo
	v_cmp_ne_u16_e32 vcc_lo, 0, v20
	v_and_b32_e32 v2, 0x7f800000, v2
	v_cndmask_b32_e64 v50, 0x7f800001, v50, s0
	v_cmp_ne_u16_e64 s0, 0, v25
	v_lshlrev_b32_e32 v25, 23, v21
	v_cmp_ne_u16_e64 s3, 0xff, v11
	v_cndmask_b32_e64 v1, 0x7f800001, v1, s4
	v_cmp_ne_u16_e64 s4, 0xff, v21
	v_cndmask_b32_e32 v19, 0x400000, v59, vcc_lo
	v_cmp_ne_u16_e32 vcc_lo, 0, v36
	v_dual_lshlrev_b32 v47, 15, v5 :: v_dual_lshlrev_b32 v5, 7, v5
	v_and_b32_e32 v22, 0xff, v22
	v_cndmask_b32_e64 v2, 0x7f800001, v2, s3
	v_cmp_ne_u16_e64 s3, 0, v11
	v_lshlrev_b32_e32 v11, 23, v40
	v_cndmask_b32_e64 v25, 0x7f800001, v25, s4
	v_cmp_ne_u16_e64 s4, 0xff, v37
	v_cndmask_b32_e32 v1, 0x400000, v1, vcc_lo
	v_cmp_ne_u16_e32 vcc_lo, 0, v21
	v_dual_lshlrev_b32 v48, 15, v9 :: v_dual_lshlrev_b32 v9, 7, v9
	v_and_b32_e32 v38, 0xff, v38
	v_and_b32_e32 v47, 0x7f800000, v47
	v_cndmask_b32_e64 v10, 0x7f800001, v10, s4
	v_cmp_ne_u16_e64 s4, 0xff, v22
	v_cndmask_b32_e32 v20, 0x400000, v25, vcc_lo
	v_cmp_ne_u16_e32 vcc_lo, 0, v37
	v_and_b32_e32 v23, 0xff, v23
	v_and_b32_e32 v48, 0x7f800000, v48
	v_cndmask_b32_e64 v47, 0x7f800001, v47, s4
	v_cmp_ne_u16_e64 s4, 0xff, v38
	v_cndmask_b32_e32 v10, 0x400000, v10, vcc_lo
	v_cmp_ne_u16_e32 vcc_lo, 0, v22
	;; [unrolled: 6-line block ×3, first 2 shown]
	v_and_b32_e32 v9, 0x7f800000, v9
	v_cndmask_b32_e64 v50, 0x400000, v50, s0
	v_cndmask_b32_e64 v5, 0x7f800001, v5, s4
	v_cmp_ne_u16_e64 s4, 0xff, v39
	v_cndmask_b32_e32 v22, 0x400000, v48, vcc_lo
	v_cmp_ne_u16_e32 vcc_lo, 0, v23
	v_cndmask_b32_e64 v41, 0x400000, v41, s1
	v_cndmask_b32_e64 v42, 0x400000, v42, s2
	;; [unrolled: 1-line block ×3, first 2 shown]
	v_cmp_ne_u16_e64 s4, 0xff, v24
	v_cndmask_b32_e32 v5, 0x400000, v5, vcc_lo
	v_cmp_ne_u16_e32 vcc_lo, 0, v39
	v_cndmask_b32_e64 v2, 0x400000, v2, s3
	s_add_nc_u64 s[2:3], s[8:9], s[6:7]
	v_cndmask_b32_e64 v26, 0x7f800001, v26, s4
	v_cmp_ne_u16_e64 s4, 0xff, v40
	v_cndmask_b32_e32 v9, 0x400000, v9, vcc_lo
	v_cmp_ne_u16_e32 vcc_lo, 0, v24
	s_mov_b32 s0, 0
	v_cndmask_b32_e64 v11, 0x7f800001, v11, s4
	v_cndmask_b32_e32 v23, 0x400000, v26, vcc_lo
	v_cmp_ne_u16_e32 vcc_lo, 0, v40
	s_delay_alu instid0(VALU_DEP_3)
	v_cndmask_b32_e32 v11, 0x400000, v11, vcc_lo
	v_cmp_eq_f32_e32 vcc_lo, v49, v50
	v_cndmask_b32_e64 v24, 0, 1, vcc_lo
	v_cmp_neq_f32_e32 vcc_lo, v49, v50
	v_cndmask_b32_e64 v25, 0, 1, vcc_lo
	v_cmp_eq_f32_e32 vcc_lo, v41, v42
	v_cndmask_b32_e64 v26, 0, 1, vcc_lo
	v_cmp_neq_f32_e32 vcc_lo, v41, v42
	v_cndmask_b32_e64 v32, 0, 1, vcc_lo
	;; [unrolled: 4-line block ×16, first 2 shown]
	s_cselect_b32 vcc_lo, -1, 0
	v_dual_cndmask_b32 v23, v25, v24 :: v_dual_cndmask_b32 v24, v32, v26
	v_dual_cndmask_b32 v2, v2, v33, vcc_lo :: v_dual_cndmask_b32 v6, v12, v6, vcc_lo
	v_dual_cndmask_b32 v12, v13, v27 :: v_dual_cndmask_b32 v13, v14, v28
	v_dual_cndmask_b32 v7, v15, v7, vcc_lo :: v_dual_cndmask_b32 v15, v18, v30, vcc_lo
	;; [unrolled: 2-line block ×3, first 2 shown]
	v_dual_cndmask_b32 v5, v5, v22, vcc_lo :: v_dual_cndmask_b32 v9, v11, v9, vcc_lo
	v_and_b32_e32 v11, 1, v24
	v_and_b32_e32 v6, 1, v6
	;; [unrolled: 1-line block ×7, first 2 shown]
	v_dual_cndmask_b32 v3, v3, v29, vcc_lo :: v_dual_bitop2_b32 v7, 1, v7 bitop3:0x40
	v_cndmask_b32_e32 v14, v17, v16, vcc_lo
	v_lshlrev_b16 v10, 8, v10
	v_lshlrev_b16 v9, 8, v9
	;; [unrolled: 1-line block ×8, first 2 shown]
	v_bitop3_b16 v8, v8, v10, 1 bitop3:0xec
	v_bitop3_b16 v5, v5, v9, 1 bitop3:0xec
	;; [unrolled: 1-line block ×8, first 2 shown]
	v_and_b32_e32 v6, 0xffff, v8
	v_lshlrev_b32_e32 v5, 16, v5
	v_and_b32_e32 v8, 0xffff, v9
	v_lshlrev_b32_e32 v1, 16, v1
	v_and_b32_e32 v9, 0xffff, v4
	v_lshlrev_b32_e32 v3, 16, v3
	v_and_b32_e32 v7, 0xffff, v7
	v_dual_lshlrev_b32 v2, 16, v2 :: v_dual_bitop2_b32 v5, v6, v5 bitop3:0x54
	v_or_b32_e32 v4, v8, v1
	s_delay_alu instid0(VALU_DEP_4) | instskip(NEXT) | instid1(VALU_DEP_3)
	v_or_b32_e32 v3, v9, v3
	v_or_b32_e32 v2, v7, v2
	global_store_b128 v0, v[2:5], s[2:3] scale_offset
.LBB309_2:
	s_and_not1_b32 vcc_lo, exec_lo, s0
	s_cbranch_vccnz .LBB309_83
; %bb.3:
	v_cmp_gt_i32_e32 vcc_lo, s14, v0
	s_wait_xcnt 0x0
	v_dual_mov_b32 v2, 0 :: v_dual_bitop2_b32 v10, s6, v0 bitop3:0x54
	v_or_b32_e32 v11, 0x100, v0
	v_dual_mov_b32 v14, 0 :: v_dual_mov_b32 v12, 0
	v_dual_mov_b32 v16, 0 :: v_dual_mov_b32 v13, 0
	;; [unrolled: 1-line block ×16, first 2 shown]
	s_and_saveexec_b32 s1, vcc_lo
	s_cbranch_execz .LBB309_35
; %bb.4:
	s_clause 0x1
	global_load_u8 v41, v10, s[10:11]
	global_load_u8 v40, v10, s[12:13]
	v_or_b32_e32 v1, 0x100, v0
	v_dual_mov_b32 v38, 0 :: v_dual_mov_b32 v39, 0
	v_dual_mov_b32 v5, 0 :: v_dual_mov_b32 v37, 0
	s_delay_alu instid0(VALU_DEP_3)
	v_cmp_gt_u32_e64 s0, s14, v1
	v_dual_mov_b32 v6, 0 :: v_dual_mov_b32 v36, 0
	v_dual_mov_b32 v34, 0 :: v_dual_mov_b32 v35, 0
	;; [unrolled: 1-line block ×13, first 2 shown]
	s_wait_xcnt 0x0
	s_and_saveexec_b32 s2, s0
	s_cbranch_execz .LBB309_34
; %bb.5:
	v_dual_mov_b32 v5, 0 :: v_dual_add_nc_u32 v4, s6, v0
	v_or_b32_e32 v1, 0x200, v0
	v_dual_mov_b32 v37, 0 :: v_dual_mov_b32 v6, 0
	s_clause 0x1
	global_load_u8 v39, v4, s[10:11] offset:256
	global_load_u8 v38, v4, s[12:13] offset:256
	v_dual_mov_b32 v36, 0 :: v_dual_mov_b32 v34, 0
	v_cmp_gt_u32_e64 s0, s14, v1
	v_dual_mov_b32 v35, 0 :: v_dual_mov_b32 v32, 0
	v_dual_mov_b32 v33, 0 :: v_dual_mov_b32 v30, 0
	v_dual_mov_b32 v31, 0 :: v_dual_mov_b32 v28, 0
	v_dual_mov_b32 v29, 0 :: v_dual_mov_b32 v26, 0
	v_dual_mov_b32 v27, 0 :: v_dual_mov_b32 v24, 0
	v_dual_mov_b32 v25, 0 :: v_dual_mov_b32 v22, 0
	v_dual_mov_b32 v23, 0 :: v_dual_mov_b32 v20, 0
	v_dual_mov_b32 v21, 0 :: v_dual_mov_b32 v17, 0
	v_dual_mov_b32 v19, 0 :: v_dual_mov_b32 v15, 0
	v_dual_mov_b32 v18, 0 :: v_dual_mov_b32 v13, 0
	v_dual_mov_b32 v16, 0 :: v_dual_mov_b32 v12, 0
	v_mov_b32_e32 v14, 0
	s_wait_xcnt 0x0
	s_and_saveexec_b32 s3, s0
	s_cbranch_execz .LBB309_33
; %bb.6:
	v_add_nc_u64_e32 v[6:7], s[10:11], v[4:5]
	v_add_nc_u64_e32 v[8:9], s[12:13], v[4:5]
	v_or_b32_e32 v3, 0x300, v0
	v_dual_mov_b32 v36, 0 :: v_dual_mov_b32 v34, 0
	v_dual_mov_b32 v35, 0 :: v_dual_mov_b32 v32, 0
	global_load_u8 v37, v[6:7], off offset:512
	global_load_u8 v1, v[8:9], off offset:512
	v_cmp_gt_u32_e64 s0, s14, v3
	v_dual_mov_b32 v33, 0 :: v_dual_mov_b32 v30, 0
	v_dual_mov_b32 v31, 0 :: v_dual_mov_b32 v28, 0
	;; [unrolled: 1-line block ×10, first 2 shown]
	v_mov_b32_e32 v14, 0
	s_wait_xcnt 0x0
	s_and_saveexec_b32 s4, s0
	s_cbranch_execz .LBB309_32
; %bb.7:
	global_load_u8 v36, v[6:7], off offset:768
	global_load_u8 v5, v[8:9], off offset:768
	v_or_b32_e32 v3, 0x400, v0
	v_dual_mov_b32 v34, 0 :: v_dual_mov_b32 v35, 0
	v_dual_mov_b32 v32, 0 :: v_dual_mov_b32 v33, 0
	s_delay_alu instid0(VALU_DEP_3)
	v_cmp_gt_u32_e64 s0, s14, v3
	v_dual_mov_b32 v30, 0 :: v_dual_mov_b32 v31, 0
	v_dual_mov_b32 v28, 0 :: v_dual_mov_b32 v29, 0
	;; [unrolled: 1-line block ×10, first 2 shown]
	s_wait_xcnt 0x0
	s_and_saveexec_b32 s7, s0
	s_cbranch_execz .LBB309_31
; %bb.8:
	global_load_u8 v35, v[6:7], off offset:1024
	global_load_u8 v34, v[8:9], off offset:1024
	v_or_b32_e32 v3, 0x500, v0
	v_dual_mov_b32 v32, 0 :: v_dual_mov_b32 v33, 0
	v_dual_mov_b32 v30, 0 :: v_dual_mov_b32 v31, 0
	s_delay_alu instid0(VALU_DEP_3)
	v_cmp_gt_u32_e64 s0, s14, v3
	v_dual_mov_b32 v28, 0 :: v_dual_mov_b32 v29, 0
	v_dual_mov_b32 v26, 0 :: v_dual_mov_b32 v27, 0
	;; [unrolled: 1-line block ×9, first 2 shown]
	s_wait_xcnt 0x0
	s_and_saveexec_b32 s10, s0
	s_cbranch_execz .LBB309_30
; %bb.9:
	global_load_u8 v33, v[6:7], off offset:1280
	global_load_u8 v32, v[8:9], off offset:1280
	v_or_b32_e32 v3, 0x600, v0
	v_dual_mov_b32 v30, 0 :: v_dual_mov_b32 v31, 0
	v_dual_mov_b32 v28, 0 :: v_dual_mov_b32 v29, 0
	s_delay_alu instid0(VALU_DEP_3)
	v_cmp_gt_u32_e64 s0, s14, v3
	v_dual_mov_b32 v26, 0 :: v_dual_mov_b32 v27, 0
	v_dual_mov_b32 v24, 0 :: v_dual_mov_b32 v25, 0
	;; [unrolled: 1-line block ×8, first 2 shown]
	s_wait_xcnt 0x0
	s_and_saveexec_b32 s11, s0
	s_cbranch_execz .LBB309_29
; %bb.10:
	global_load_u8 v31, v[6:7], off offset:1536
	global_load_u8 v30, v[8:9], off offset:1536
	v_or_b32_e32 v3, 0x700, v0
	v_dual_mov_b32 v28, 0 :: v_dual_mov_b32 v29, 0
	v_dual_mov_b32 v26, 0 :: v_dual_mov_b32 v27, 0
	v_dual_mov_b32 v24, 0 :: v_dual_mov_b32 v25, 0
	v_dual_mov_b32 v22, 0 :: v_dual_mov_b32 v23, 0
	v_dual_mov_b32 v20, 0 :: v_dual_mov_b32 v21, 0
	v_dual_mov_b32 v17, 0 :: v_dual_mov_b32 v19, 0
	v_dual_mov_b32 v15, 0 :: v_dual_mov_b32 v18, 0
	v_dual_mov_b32 v13, 0 :: v_dual_mov_b32 v16, 0
	v_dual_mov_b32 v12, 0 :: v_dual_mov_b32 v14, 0
	s_mov_b32 s12, exec_lo
	s_wait_xcnt 0x0
	v_cmpx_gt_u32_e64 s14, v3
	s_cbranch_execz .LBB309_28
; %bb.11:
	global_load_u8 v29, v[6:7], off offset:1792
	global_load_u8 v28, v[8:9], off offset:1792
	v_or_b32_e32 v3, 0x800, v0
	v_dual_mov_b32 v26, 0 :: v_dual_mov_b32 v27, 0
	v_dual_mov_b32 v24, 0 :: v_dual_mov_b32 v25, 0
	;; [unrolled: 1-line block ×8, first 2 shown]
	s_mov_b32 s13, exec_lo
	s_wait_xcnt 0x0
	v_cmpx_gt_u32_e64 s14, v3
	s_cbranch_execz .LBB309_27
; %bb.12:
	global_load_u8 v27, v[6:7], off offset:2048
	global_load_u8 v26, v[8:9], off offset:2048
	v_or_b32_e32 v3, 0x900, v0
	v_dual_mov_b32 v24, 0 :: v_dual_mov_b32 v25, 0
	v_dual_mov_b32 v22, 0 :: v_dual_mov_b32 v23, 0
	;; [unrolled: 1-line block ×7, first 2 shown]
	s_mov_b32 s15, exec_lo
	s_wait_xcnt 0x0
	v_cmpx_gt_u32_e64 s14, v3
	s_cbranch_execz .LBB309_26
; %bb.13:
	global_load_u8 v25, v[6:7], off offset:2304
	global_load_u8 v24, v[8:9], off offset:2304
	v_or_b32_e32 v3, 0xa00, v0
	v_dual_mov_b32 v22, 0 :: v_dual_mov_b32 v23, 0
	v_dual_mov_b32 v20, 0 :: v_dual_mov_b32 v21, 0
	;; [unrolled: 1-line block ×6, first 2 shown]
	s_mov_b32 s16, exec_lo
	s_wait_xcnt 0x0
	v_cmpx_gt_u32_e64 s14, v3
	s_cbranch_execz .LBB309_25
; %bb.14:
	global_load_u8 v23, v[6:7], off offset:2560
	global_load_u8 v22, v[8:9], off offset:2560
	v_or_b32_e32 v3, 0xb00, v0
	v_dual_mov_b32 v20, 0 :: v_dual_mov_b32 v21, 0
	v_dual_mov_b32 v17, 0 :: v_dual_mov_b32 v19, 0
	;; [unrolled: 1-line block ×5, first 2 shown]
	s_mov_b32 s17, exec_lo
	s_wait_xcnt 0x0
	v_cmpx_gt_u32_e64 s14, v3
	s_cbranch_execz .LBB309_24
; %bb.15:
	global_load_u8 v21, v[6:7], off offset:2816
	global_load_u8 v20, v[8:9], off offset:2816
	v_or_b32_e32 v3, 0xc00, v0
	v_dual_mov_b32 v17, 0 :: v_dual_mov_b32 v19, 0
	v_dual_mov_b32 v15, 0 :: v_dual_mov_b32 v18, 0
	;; [unrolled: 1-line block ×4, first 2 shown]
	s_mov_b32 s18, exec_lo
	s_wait_xcnt 0x0
	v_cmpx_gt_u32_e64 s14, v3
	s_cbranch_execz .LBB309_23
; %bb.16:
	global_load_u8 v19, v[6:7], off offset:3072
	global_load_u8 v17, v[8:9], off offset:3072
	v_or_b32_e32 v3, 0xd00, v0
	v_dual_mov_b32 v15, 0 :: v_dual_mov_b32 v18, 0
	v_dual_mov_b32 v13, 0 :: v_dual_mov_b32 v16, 0
	v_dual_mov_b32 v12, 0 :: v_dual_mov_b32 v14, 0
	s_mov_b32 s19, exec_lo
	s_wait_xcnt 0x0
	v_cmpx_gt_u32_e64 s14, v3
	s_cbranch_execz .LBB309_22
; %bb.17:
	global_load_u8 v18, v[6:7], off offset:3328
	global_load_u8 v15, v[8:9], off offset:3328
	v_or_b32_e32 v3, 0xe00, v0
	v_dual_mov_b32 v13, 0 :: v_dual_mov_b32 v16, 0
	v_dual_mov_b32 v12, 0 :: v_dual_mov_b32 v14, 0
	s_mov_b32 s20, exec_lo
	s_wait_xcnt 0x0
	v_cmpx_gt_u32_e64 s14, v3
	s_cbranch_execz .LBB309_21
; %bb.18:
	global_load_u8 v16, v[6:7], off offset:3584
	global_load_u8 v13, v[8:9], off offset:3584
	v_or_b32_e32 v3, 0xf00, v0
	v_dual_mov_b32 v12, 0 :: v_dual_mov_b32 v14, 0
	s_mov_b32 s21, exec_lo
	s_wait_xcnt 0x0
	s_delay_alu instid0(VALU_DEP_2)
	v_cmpx_gt_u32_e64 s14, v3
	s_cbranch_execz .LBB309_20
; %bb.19:
	global_load_u8 v14, v[6:7], off offset:3840
	global_load_u8 v12, v[8:9], off offset:3840
.LBB309_20:
	s_wait_xcnt 0x0
	s_or_b32 exec_lo, exec_lo, s21
.LBB309_21:
	s_delay_alu instid0(SALU_CYCLE_1)
	s_or_b32 exec_lo, exec_lo, s20
.LBB309_22:
	s_delay_alu instid0(SALU_CYCLE_1)
	s_or_b32 exec_lo, exec_lo, s19
.LBB309_23:
	s_delay_alu instid0(SALU_CYCLE_1)
	s_or_b32 exec_lo, exec_lo, s18
.LBB309_24:
	s_delay_alu instid0(SALU_CYCLE_1)
	s_or_b32 exec_lo, exec_lo, s17
.LBB309_25:
	s_delay_alu instid0(SALU_CYCLE_1)
	s_or_b32 exec_lo, exec_lo, s16
.LBB309_26:
	s_delay_alu instid0(SALU_CYCLE_1)
	s_or_b32 exec_lo, exec_lo, s15
.LBB309_27:
	s_delay_alu instid0(SALU_CYCLE_1)
	s_or_b32 exec_lo, exec_lo, s13
.LBB309_28:
	s_delay_alu instid0(SALU_CYCLE_1)
	s_or_b32 exec_lo, exec_lo, s12
.LBB309_29:
	s_delay_alu instid0(SALU_CYCLE_1)
	s_or_b32 exec_lo, exec_lo, s11
.LBB309_30:
	s_delay_alu instid0(SALU_CYCLE_1)
	s_or_b32 exec_lo, exec_lo, s10
.LBB309_31:
	s_delay_alu instid0(SALU_CYCLE_1)
	s_or_b32 exec_lo, exec_lo, s7
.LBB309_32:
	s_delay_alu instid0(SALU_CYCLE_1)
	s_or_b32 exec_lo, exec_lo, s4
	s_wait_loadcnt 0x0
	v_dual_mov_b32 v6, v5 :: v_dual_mov_b32 v5, v1
.LBB309_33:
	s_or_b32 exec_lo, exec_lo, s3
.LBB309_34:
	s_delay_alu instid0(SALU_CYCLE_1)
	s_or_b32 exec_lo, exec_lo, s2
.LBB309_35:
	s_delay_alu instid0(SALU_CYCLE_1)
	s_or_b32 exec_lo, exec_lo, s1
	v_dual_mov_b32 v1, v2 :: v_dual_mov_b32 v4, v2
	v_mov_b32_e32 v3, v2
	s_cmp_eq_u32 s5, 0
	s_cselect_b32 s0, -1, 0
	s_and_saveexec_b32 s2, vcc_lo
	s_cbranch_execz .LBB309_37
; %bb.36:
	s_wait_loadcnt 0x1
	v_and_b32_e32 v1, 0xff, v41
	s_wait_loadcnt 0x0
	v_and_b32_e32 v2, 0xff, v40
	s_delay_alu instid0(VALU_DEP_1) | instskip(SKIP_1) | instid1(VALU_DEP_1)
	v_dual_lshlrev_b32 v3, 23, v1 :: v_dual_lshlrev_b32 v4, 23, v2
	v_cmp_ne_u16_e64 s1, 0xff, v1
	v_cndmask_b32_e64 v3, 0x7f800001, v3, s1
	v_cmp_ne_u16_e64 s1, 0xff, v2
	s_delay_alu instid0(VALU_DEP_1) | instskip(SKIP_1) | instid1(VALU_DEP_1)
	v_cndmask_b32_e64 v4, 0x7f800001, v4, s1
	v_cmp_ne_u16_e64 s1, 0, v1
	v_cndmask_b32_e64 v1, 0x400000, v3, s1
	v_cmp_ne_u16_e64 s1, 0, v2
	s_delay_alu instid0(VALU_DEP_1) | instskip(NEXT) | instid1(VALU_DEP_1)
	v_cndmask_b32_e64 v2, 0x400000, v4, s1
	v_cmp_eq_f32_e64 s1, v1, v2
	s_delay_alu instid0(VALU_DEP_1) | instskip(SKIP_1) | instid1(VALU_DEP_1)
	v_cndmask_b32_e64 v3, 0, 1, s1
	v_cmp_neq_f32_e64 s1, v1, v2
	v_cndmask_b32_e64 v1, 0, 1, s1
	s_delay_alu instid0(VALU_DEP_1) | instskip(NEXT) | instid1(VALU_DEP_1)
	v_dual_cndmask_b32 v2, v1, v3, s0 :: v_dual_mov_b32 v1, 0
	v_dual_mov_b32 v4, v1 :: v_dual_bitop2_b32 v2, 1, v2 bitop3:0x40
	v_mov_b32_e32 v3, v1
	s_delay_alu instid0(VALU_DEP_2)
	v_and_b32_e32 v2, 0xffff, v2
.LBB309_37:
	s_or_b32 exec_lo, exec_lo, s2
	s_delay_alu instid0(SALU_CYCLE_1)
	s_mov_b32 s2, exec_lo
	v_cmpx_gt_i32_e64 s14, v11
	s_cbranch_execz .LBB309_39
; %bb.38:
	s_wait_loadcnt 0x1
	v_and_b32_e32 v7, 0xff, v39
	s_wait_loadcnt 0x0
	v_and_b32_e32 v8, 0xff, v38
	s_delay_alu instid0(VALU_DEP_1) | instskip(SKIP_1) | instid1(VALU_DEP_1)
	v_dual_lshlrev_b32 v9, 23, v7 :: v_dual_lshlrev_b32 v38, 23, v8
	v_cmp_ne_u16_e64 s1, 0xff, v7
	v_cndmask_b32_e64 v9, 0x7f800001, v9, s1
	v_cmp_ne_u16_e64 s1, 0xff, v8
	s_delay_alu instid0(VALU_DEP_1) | instskip(SKIP_1) | instid1(VALU_DEP_1)
	v_cndmask_b32_e64 v38, 0x7f800001, v38, s1
	v_cmp_ne_u16_e64 s1, 0, v7
	v_cndmask_b32_e64 v7, 0x400000, v9, s1
	v_cmp_ne_u16_e64 s1, 0, v8
	s_delay_alu instid0(VALU_DEP_1) | instskip(NEXT) | instid1(VALU_DEP_1)
	v_cndmask_b32_e64 v8, 0x400000, v38, s1
	v_cmp_eq_f32_e64 s1, v7, v8
	s_delay_alu instid0(VALU_DEP_1) | instskip(SKIP_1) | instid1(VALU_DEP_1)
	v_cndmask_b32_e64 v9, 0, 1, s1
	v_cmp_neq_f32_e64 s1, v7, v8
	v_cndmask_b32_e64 v7, 0, 1, s1
	s_delay_alu instid0(VALU_DEP_1) | instskip(NEXT) | instid1(VALU_DEP_1)
	v_cndmask_b32_e64 v7, v7, v9, s0
	v_and_b32_e32 v7, 1, v7
	s_delay_alu instid0(VALU_DEP_1) | instskip(NEXT) | instid1(VALU_DEP_1)
	v_lshlrev_b16 v7, 8, v7
	v_bitop3_b16 v7, v2, v7, 0xff bitop3:0xec
	s_delay_alu instid0(VALU_DEP_1) | instskip(NEXT) | instid1(VALU_DEP_1)
	v_and_b32_e32 v7, 0xffff, v7
	v_and_or_b32 v2, 0xffff0000, v2, v7
.LBB309_39:
	s_or_b32 exec_lo, exec_lo, s2
	v_or_b32_e32 v7, 0x200, v0
	s_mov_b32 s2, exec_lo
	s_delay_alu instid0(VALU_DEP_1)
	v_cmpx_gt_i32_e64 s14, v7
	s_cbranch_execz .LBB309_41
; %bb.40:
	v_and_b32_e32 v7, 0xff, v37
	v_and_b32_e32 v5, 0xff, v5
	s_delay_alu instid0(VALU_DEP_1) | instskip(SKIP_1) | instid1(VALU_DEP_1)
	v_dual_lshlrev_b32 v8, 23, v7 :: v_dual_lshlrev_b32 v9, 23, v5
	v_cmp_ne_u16_e64 s1, 0xff, v7
	v_cndmask_b32_e64 v8, 0x7f800001, v8, s1
	v_cmp_ne_u16_e64 s1, 0xff, v5
	s_delay_alu instid0(VALU_DEP_1) | instskip(SKIP_1) | instid1(VALU_DEP_1)
	v_cndmask_b32_e64 v9, 0x7f800001, v9, s1
	v_cmp_ne_u16_e64 s1, 0, v7
	v_cndmask_b32_e64 v7, 0x400000, v8, s1
	v_cmp_ne_u16_e64 s1, 0, v5
	s_delay_alu instid0(VALU_DEP_1) | instskip(NEXT) | instid1(VALU_DEP_1)
	v_cndmask_b32_e64 v5, 0x400000, v9, s1
	v_cmp_eq_f32_e64 s1, v7, v5
	s_delay_alu instid0(VALU_DEP_1) | instskip(SKIP_1) | instid1(VALU_DEP_1)
	v_cndmask_b32_e64 v9, 0, 1, s1
	v_cmp_neq_f32_e64 s1, v7, v5
	v_cndmask_b32_e64 v5, 0, 1, s1
	s_delay_alu instid0(VALU_DEP_1) | instskip(NEXT) | instid1(VALU_DEP_1)
	v_dual_lshrrev_b32 v8, 16, v2 :: v_dual_cndmask_b32 v5, v5, v9, s0
	v_and_b32_e32 v7, 0xffffff00, v8
	s_delay_alu instid0(VALU_DEP_1) | instskip(NEXT) | instid1(VALU_DEP_1)
	v_bitop3_b16 v5, v5, v7, 1 bitop3:0xec
	v_lshlrev_b32_e32 v5, 16, v5
	s_delay_alu instid0(VALU_DEP_1)
	v_and_or_b32 v2, 0xffff, v2, v5
.LBB309_41:
	s_or_b32 exec_lo, exec_lo, s2
	v_or_b32_e32 v5, 0x300, v0
	s_mov_b32 s2, exec_lo
	s_delay_alu instid0(VALU_DEP_1)
	v_cmpx_gt_i32_e64 s14, v5
	s_cbranch_execz .LBB309_43
; %bb.42:
	v_and_b32_e32 v5, 0xff, v36
	v_and_b32_e32 v6, 0xff, v6
	s_delay_alu instid0(VALU_DEP_1) | instskip(SKIP_1) | instid1(VALU_DEP_1)
	v_dual_lshlrev_b32 v7, 23, v5 :: v_dual_lshlrev_b32 v8, 23, v6
	v_cmp_ne_u16_e64 s1, 0xff, v5
	v_cndmask_b32_e64 v7, 0x7f800001, v7, s1
	v_cmp_ne_u16_e64 s1, 0xff, v6
	s_delay_alu instid0(VALU_DEP_1) | instskip(SKIP_1) | instid1(VALU_DEP_1)
	v_cndmask_b32_e64 v8, 0x7f800001, v8, s1
	v_cmp_ne_u16_e64 s1, 0, v5
	v_cndmask_b32_e64 v5, 0x400000, v7, s1
	v_cmp_ne_u16_e64 s1, 0, v6
	s_delay_alu instid0(VALU_DEP_1) | instskip(NEXT) | instid1(VALU_DEP_1)
	v_cndmask_b32_e64 v6, 0x400000, v8, s1
	v_cmp_eq_f32_e64 s1, v5, v6
	s_delay_alu instid0(VALU_DEP_1) | instskip(SKIP_2) | instid1(VALU_DEP_2)
	v_cndmask_b32_e64 v7, 0, 1, s1
	v_cmp_neq_f32_e64 s1, v5, v6
	v_lshrrev_b32_e32 v6, 16, v2
	v_cndmask_b32_e64 v5, 0, 1, s1
	s_delay_alu instid0(VALU_DEP_1) | instskip(NEXT) | instid1(VALU_DEP_1)
	v_cndmask_b32_e64 v5, v5, v7, s0
	v_and_b32_e32 v5, 1, v5
	s_delay_alu instid0(VALU_DEP_1) | instskip(NEXT) | instid1(VALU_DEP_1)
	v_lshlrev_b16 v5, 8, v5
	v_bitop3_b16 v5, v6, v5, 0xff bitop3:0xec
	s_delay_alu instid0(VALU_DEP_1) | instskip(NEXT) | instid1(VALU_DEP_1)
	v_lshlrev_b32_e32 v5, 16, v5
	v_and_or_b32 v2, 0xffff, v2, v5
.LBB309_43:
	s_or_b32 exec_lo, exec_lo, s2
	v_or_b32_e32 v5, 0x400, v0
	s_mov_b32 s2, exec_lo
	s_delay_alu instid0(VALU_DEP_1)
	v_cmpx_gt_i32_e64 s14, v5
	s_cbranch_execz .LBB309_45
; %bb.44:
	v_and_b32_e32 v5, 0xff, v35
	v_and_b32_e32 v6, 0xff, v34
	s_delay_alu instid0(VALU_DEP_1) | instskip(SKIP_1) | instid1(VALU_DEP_1)
	v_dual_lshlrev_b32 v7, 23, v5 :: v_dual_lshlrev_b32 v8, 23, v6
	v_cmp_ne_u16_e64 s1, 0xff, v5
	v_cndmask_b32_e64 v7, 0x7f800001, v7, s1
	v_cmp_ne_u16_e64 s1, 0xff, v6
	s_delay_alu instid0(VALU_DEP_1) | instskip(SKIP_1) | instid1(VALU_DEP_1)
	v_cndmask_b32_e64 v8, 0x7f800001, v8, s1
	v_cmp_ne_u16_e64 s1, 0, v5
	v_cndmask_b32_e64 v5, 0x400000, v7, s1
	v_cmp_ne_u16_e64 s1, 0, v6
	s_delay_alu instid0(VALU_DEP_1) | instskip(NEXT) | instid1(VALU_DEP_1)
	v_cndmask_b32_e64 v6, 0x400000, v8, s1
	v_cmp_eq_f32_e64 s1, v5, v6
	s_delay_alu instid0(VALU_DEP_1) | instskip(SKIP_2) | instid1(VALU_DEP_2)
	v_cndmask_b32_e64 v7, 0, 1, s1
	v_cmp_neq_f32_e64 s1, v5, v6
	v_and_b32_e32 v6, 0xffffff00, v1
	v_cndmask_b32_e64 v5, 0, 1, s1
	s_delay_alu instid0(VALU_DEP_1) | instskip(NEXT) | instid1(VALU_DEP_1)
	v_cndmask_b32_e64 v5, v5, v7, s0
	v_bitop3_b16 v5, v5, v6, 1 bitop3:0xec
	s_delay_alu instid0(VALU_DEP_1) | instskip(NEXT) | instid1(VALU_DEP_1)
	v_and_b32_e32 v5, 0xffff, v5
	v_and_or_b32 v1, 0xffff0000, v1, v5
.LBB309_45:
	s_or_b32 exec_lo, exec_lo, s2
	v_or_b32_e32 v5, 0x500, v0
	s_mov_b32 s2, exec_lo
	s_delay_alu instid0(VALU_DEP_1)
	v_cmpx_gt_i32_e64 s14, v5
	s_cbranch_execz .LBB309_47
; %bb.46:
	v_and_b32_e32 v5, 0xff, v33
	v_and_b32_e32 v6, 0xff, v32
	s_delay_alu instid0(VALU_DEP_1) | instskip(SKIP_1) | instid1(VALU_DEP_1)
	v_dual_lshlrev_b32 v7, 23, v5 :: v_dual_lshlrev_b32 v8, 23, v6
	v_cmp_ne_u16_e64 s1, 0xff, v5
	v_cndmask_b32_e64 v7, 0x7f800001, v7, s1
	v_cmp_ne_u16_e64 s1, 0xff, v6
	s_delay_alu instid0(VALU_DEP_1) | instskip(SKIP_1) | instid1(VALU_DEP_1)
	v_cndmask_b32_e64 v8, 0x7f800001, v8, s1
	v_cmp_ne_u16_e64 s1, 0, v5
	v_cndmask_b32_e64 v5, 0x400000, v7, s1
	v_cmp_ne_u16_e64 s1, 0, v6
	s_delay_alu instid0(VALU_DEP_1) | instskip(NEXT) | instid1(VALU_DEP_1)
	v_cndmask_b32_e64 v6, 0x400000, v8, s1
	v_cmp_eq_f32_e64 s1, v5, v6
	s_delay_alu instid0(VALU_DEP_1) | instskip(SKIP_1) | instid1(VALU_DEP_1)
	v_cndmask_b32_e64 v7, 0, 1, s1
	v_cmp_neq_f32_e64 s1, v5, v6
	v_cndmask_b32_e64 v5, 0, 1, s1
	s_delay_alu instid0(VALU_DEP_1) | instskip(NEXT) | instid1(VALU_DEP_1)
	v_cndmask_b32_e64 v5, v5, v7, s0
	v_and_b32_e32 v5, 1, v5
	s_delay_alu instid0(VALU_DEP_1) | instskip(NEXT) | instid1(VALU_DEP_1)
	v_lshlrev_b16 v5, 8, v5
	v_bitop3_b16 v5, v1, v5, 0xff bitop3:0xec
	s_delay_alu instid0(VALU_DEP_1) | instskip(NEXT) | instid1(VALU_DEP_1)
	v_and_b32_e32 v5, 0xffff, v5
	v_and_or_b32 v1, 0xffff0000, v1, v5
.LBB309_47:
	s_or_b32 exec_lo, exec_lo, s2
	v_or_b32_e32 v5, 0x600, v0
	s_mov_b32 s2, exec_lo
	s_delay_alu instid0(VALU_DEP_1)
	v_cmpx_gt_i32_e64 s14, v5
	s_cbranch_execz .LBB309_49
; %bb.48:
	v_and_b32_e32 v5, 0xff, v31
	v_and_b32_e32 v6, 0xff, v30
	s_delay_alu instid0(VALU_DEP_1) | instskip(SKIP_1) | instid1(VALU_DEP_1)
	v_dual_lshlrev_b32 v7, 23, v5 :: v_dual_lshlrev_b32 v8, 23, v6
	v_cmp_ne_u16_e64 s1, 0xff, v5
	v_cndmask_b32_e64 v7, 0x7f800001, v7, s1
	v_cmp_ne_u16_e64 s1, 0xff, v6
	s_delay_alu instid0(VALU_DEP_1) | instskip(SKIP_1) | instid1(VALU_DEP_1)
	v_cndmask_b32_e64 v8, 0x7f800001, v8, s1
	v_cmp_ne_u16_e64 s1, 0, v5
	v_cndmask_b32_e64 v5, 0x400000, v7, s1
	v_cmp_ne_u16_e64 s1, 0, v6
	s_delay_alu instid0(VALU_DEP_1) | instskip(NEXT) | instid1(VALU_DEP_1)
	v_cndmask_b32_e64 v6, 0x400000, v8, s1
	v_cmp_eq_f32_e64 s1, v5, v6
	s_delay_alu instid0(VALU_DEP_1) | instskip(SKIP_1) | instid1(VALU_DEP_1)
	v_cndmask_b32_e64 v8, 0, 1, s1
	v_cmp_neq_f32_e64 s1, v5, v6
	v_cndmask_b32_e64 v5, 0, 1, s1
	s_delay_alu instid0(VALU_DEP_1) | instskip(NEXT) | instid1(VALU_DEP_1)
	v_dual_lshrrev_b32 v7, 16, v1 :: v_dual_cndmask_b32 v5, v5, v8, s0
	v_and_b32_e32 v6, 0xffffff00, v7
	s_delay_alu instid0(VALU_DEP_1) | instskip(NEXT) | instid1(VALU_DEP_1)
	v_bitop3_b16 v5, v5, v6, 1 bitop3:0xec
	v_lshlrev_b32_e32 v5, 16, v5
	s_delay_alu instid0(VALU_DEP_1)
	v_and_or_b32 v1, 0xffff, v1, v5
.LBB309_49:
	s_or_b32 exec_lo, exec_lo, s2
	v_or_b32_e32 v5, 0x700, v0
	s_mov_b32 s2, exec_lo
	s_delay_alu instid0(VALU_DEP_1)
	v_cmpx_gt_i32_e64 s14, v5
	s_cbranch_execz .LBB309_51
; %bb.50:
	v_and_b32_e32 v5, 0xff, v29
	v_and_b32_e32 v6, 0xff, v28
	s_delay_alu instid0(VALU_DEP_1) | instskip(SKIP_1) | instid1(VALU_DEP_1)
	v_dual_lshlrev_b32 v7, 23, v5 :: v_dual_lshlrev_b32 v8, 23, v6
	v_cmp_ne_u16_e64 s1, 0xff, v5
	v_cndmask_b32_e64 v7, 0x7f800001, v7, s1
	v_cmp_ne_u16_e64 s1, 0xff, v6
	s_delay_alu instid0(VALU_DEP_1) | instskip(SKIP_1) | instid1(VALU_DEP_1)
	v_cndmask_b32_e64 v8, 0x7f800001, v8, s1
	v_cmp_ne_u16_e64 s1, 0, v5
	v_cndmask_b32_e64 v5, 0x400000, v7, s1
	v_cmp_ne_u16_e64 s1, 0, v6
	s_delay_alu instid0(VALU_DEP_1) | instskip(NEXT) | instid1(VALU_DEP_1)
	v_cndmask_b32_e64 v6, 0x400000, v8, s1
	v_cmp_eq_f32_e64 s1, v5, v6
	s_delay_alu instid0(VALU_DEP_1) | instskip(SKIP_2) | instid1(VALU_DEP_2)
	v_cndmask_b32_e64 v7, 0, 1, s1
	v_cmp_neq_f32_e64 s1, v5, v6
	v_lshrrev_b32_e32 v6, 16, v1
	v_cndmask_b32_e64 v5, 0, 1, s1
	s_delay_alu instid0(VALU_DEP_1) | instskip(NEXT) | instid1(VALU_DEP_1)
	v_cndmask_b32_e64 v5, v5, v7, s0
	v_and_b32_e32 v5, 1, v5
	s_delay_alu instid0(VALU_DEP_1) | instskip(NEXT) | instid1(VALU_DEP_1)
	v_lshlrev_b16 v5, 8, v5
	v_bitop3_b16 v5, v6, v5, 0xff bitop3:0xec
	s_delay_alu instid0(VALU_DEP_1) | instskip(NEXT) | instid1(VALU_DEP_1)
	v_lshlrev_b32_e32 v5, 16, v5
	v_and_or_b32 v1, 0xffff, v1, v5
.LBB309_51:
	s_or_b32 exec_lo, exec_lo, s2
	v_or_b32_e32 v5, 0x800, v0
	s_mov_b32 s2, exec_lo
	s_delay_alu instid0(VALU_DEP_1)
	v_cmpx_gt_i32_e64 s14, v5
	s_cbranch_execz .LBB309_53
; %bb.52:
	v_and_b32_e32 v5, 0xff, v27
	v_and_b32_e32 v6, 0xff, v26
	s_delay_alu instid0(VALU_DEP_1) | instskip(SKIP_1) | instid1(VALU_DEP_1)
	v_dual_lshlrev_b32 v7, 23, v5 :: v_dual_lshlrev_b32 v8, 23, v6
	v_cmp_ne_u16_e64 s1, 0xff, v5
	v_cndmask_b32_e64 v7, 0x7f800001, v7, s1
	v_cmp_ne_u16_e64 s1, 0xff, v6
	s_delay_alu instid0(VALU_DEP_1) | instskip(SKIP_1) | instid1(VALU_DEP_1)
	v_cndmask_b32_e64 v8, 0x7f800001, v8, s1
	v_cmp_ne_u16_e64 s1, 0, v5
	v_cndmask_b32_e64 v5, 0x400000, v7, s1
	v_cmp_ne_u16_e64 s1, 0, v6
	s_delay_alu instid0(VALU_DEP_1) | instskip(NEXT) | instid1(VALU_DEP_1)
	v_cndmask_b32_e64 v6, 0x400000, v8, s1
	v_cmp_eq_f32_e64 s1, v5, v6
	s_delay_alu instid0(VALU_DEP_1) | instskip(SKIP_2) | instid1(VALU_DEP_2)
	v_cndmask_b32_e64 v7, 0, 1, s1
	v_cmp_neq_f32_e64 s1, v5, v6
	v_and_b32_e32 v6, 0xffffff00, v4
	v_cndmask_b32_e64 v5, 0, 1, s1
	s_delay_alu instid0(VALU_DEP_1) | instskip(NEXT) | instid1(VALU_DEP_1)
	v_cndmask_b32_e64 v5, v5, v7, s0
	v_bitop3_b16 v5, v5, v6, 1 bitop3:0xec
	s_delay_alu instid0(VALU_DEP_1) | instskip(NEXT) | instid1(VALU_DEP_1)
	v_and_b32_e32 v5, 0xffff, v5
	v_and_or_b32 v4, 0xffff0000, v4, v5
.LBB309_53:
	s_or_b32 exec_lo, exec_lo, s2
	v_or_b32_e32 v5, 0x900, v0
	s_mov_b32 s2, exec_lo
	s_delay_alu instid0(VALU_DEP_1)
	v_cmpx_gt_i32_e64 s14, v5
	s_cbranch_execz .LBB309_55
; %bb.54:
	v_and_b32_e32 v5, 0xff, v25
	v_and_b32_e32 v6, 0xff, v24
	s_delay_alu instid0(VALU_DEP_1) | instskip(SKIP_1) | instid1(VALU_DEP_1)
	v_dual_lshlrev_b32 v7, 23, v5 :: v_dual_lshlrev_b32 v8, 23, v6
	v_cmp_ne_u16_e64 s1, 0xff, v5
	v_cndmask_b32_e64 v7, 0x7f800001, v7, s1
	v_cmp_ne_u16_e64 s1, 0xff, v6
	s_delay_alu instid0(VALU_DEP_1) | instskip(SKIP_1) | instid1(VALU_DEP_1)
	v_cndmask_b32_e64 v8, 0x7f800001, v8, s1
	v_cmp_ne_u16_e64 s1, 0, v5
	v_cndmask_b32_e64 v5, 0x400000, v7, s1
	v_cmp_ne_u16_e64 s1, 0, v6
	s_delay_alu instid0(VALU_DEP_1) | instskip(NEXT) | instid1(VALU_DEP_1)
	v_cndmask_b32_e64 v6, 0x400000, v8, s1
	v_cmp_eq_f32_e64 s1, v5, v6
	s_delay_alu instid0(VALU_DEP_1) | instskip(SKIP_1) | instid1(VALU_DEP_1)
	v_cndmask_b32_e64 v7, 0, 1, s1
	v_cmp_neq_f32_e64 s1, v5, v6
	v_cndmask_b32_e64 v5, 0, 1, s1
	s_delay_alu instid0(VALU_DEP_1) | instskip(NEXT) | instid1(VALU_DEP_1)
	v_cndmask_b32_e64 v5, v5, v7, s0
	v_and_b32_e32 v5, 1, v5
	s_delay_alu instid0(VALU_DEP_1) | instskip(NEXT) | instid1(VALU_DEP_1)
	v_lshlrev_b16 v5, 8, v5
	v_bitop3_b16 v5, v4, v5, 0xff bitop3:0xec
	s_delay_alu instid0(VALU_DEP_1) | instskip(NEXT) | instid1(VALU_DEP_1)
	v_and_b32_e32 v5, 0xffff, v5
	v_and_or_b32 v4, 0xffff0000, v4, v5
.LBB309_55:
	s_or_b32 exec_lo, exec_lo, s2
	v_or_b32_e32 v5, 0xa00, v0
	s_mov_b32 s2, exec_lo
	s_delay_alu instid0(VALU_DEP_1)
	v_cmpx_gt_i32_e64 s14, v5
	s_cbranch_execz .LBB309_57
; %bb.56:
	v_and_b32_e32 v5, 0xff, v23
	v_and_b32_e32 v6, 0xff, v22
	s_delay_alu instid0(VALU_DEP_1) | instskip(SKIP_1) | instid1(VALU_DEP_1)
	v_dual_lshlrev_b32 v7, 23, v5 :: v_dual_lshlrev_b32 v8, 23, v6
	v_cmp_ne_u16_e64 s1, 0xff, v5
	v_cndmask_b32_e64 v7, 0x7f800001, v7, s1
	v_cmp_ne_u16_e64 s1, 0xff, v6
	s_delay_alu instid0(VALU_DEP_1) | instskip(SKIP_1) | instid1(VALU_DEP_1)
	v_cndmask_b32_e64 v8, 0x7f800001, v8, s1
	v_cmp_ne_u16_e64 s1, 0, v5
	v_cndmask_b32_e64 v5, 0x400000, v7, s1
	v_cmp_ne_u16_e64 s1, 0, v6
	v_lshrrev_b32_e32 v7, 16, v4
	s_delay_alu instid0(VALU_DEP_2) | instskip(NEXT) | instid1(VALU_DEP_1)
	v_cndmask_b32_e64 v6, 0x400000, v8, s1
	v_cmp_eq_f32_e64 s1, v5, v6
	s_delay_alu instid0(VALU_DEP_1) | instskip(SKIP_2) | instid1(VALU_DEP_2)
	v_cndmask_b32_e64 v8, 0, 1, s1
	v_cmp_neq_f32_e64 s1, v5, v6
	v_and_b32_e32 v6, 0xffffff00, v7
	v_cndmask_b32_e64 v5, 0, 1, s1
	s_delay_alu instid0(VALU_DEP_1) | instskip(NEXT) | instid1(VALU_DEP_1)
	v_cndmask_b32_e64 v5, v5, v8, s0
	v_bitop3_b16 v5, v5, v6, 1 bitop3:0xec
	s_delay_alu instid0(VALU_DEP_1) | instskip(NEXT) | instid1(VALU_DEP_1)
	v_lshlrev_b32_e32 v5, 16, v5
	v_and_or_b32 v4, 0xffff, v4, v5
.LBB309_57:
	s_or_b32 exec_lo, exec_lo, s2
	v_or_b32_e32 v5, 0xb00, v0
	s_mov_b32 s2, exec_lo
	s_delay_alu instid0(VALU_DEP_1)
	v_cmpx_gt_i32_e64 s14, v5
	s_cbranch_execz .LBB309_59
; %bb.58:
	v_and_b32_e32 v5, 0xff, v21
	v_and_b32_e32 v6, 0xff, v20
	s_delay_alu instid0(VALU_DEP_1) | instskip(SKIP_1) | instid1(VALU_DEP_1)
	v_dual_lshlrev_b32 v7, 23, v5 :: v_dual_lshlrev_b32 v8, 23, v6
	v_cmp_ne_u16_e64 s1, 0xff, v5
	v_cndmask_b32_e64 v7, 0x7f800001, v7, s1
	v_cmp_ne_u16_e64 s1, 0xff, v6
	s_delay_alu instid0(VALU_DEP_1) | instskip(SKIP_1) | instid1(VALU_DEP_1)
	v_cndmask_b32_e64 v8, 0x7f800001, v8, s1
	v_cmp_ne_u16_e64 s1, 0, v5
	v_cndmask_b32_e64 v5, 0x400000, v7, s1
	v_cmp_ne_u16_e64 s1, 0, v6
	s_delay_alu instid0(VALU_DEP_1) | instskip(NEXT) | instid1(VALU_DEP_1)
	v_cndmask_b32_e64 v6, 0x400000, v8, s1
	v_cmp_eq_f32_e64 s1, v5, v6
	s_delay_alu instid0(VALU_DEP_1) | instskip(SKIP_2) | instid1(VALU_DEP_2)
	v_cndmask_b32_e64 v7, 0, 1, s1
	v_cmp_neq_f32_e64 s1, v5, v6
	v_lshrrev_b32_e32 v6, 16, v4
	v_cndmask_b32_e64 v5, 0, 1, s1
	s_delay_alu instid0(VALU_DEP_1) | instskip(NEXT) | instid1(VALU_DEP_1)
	v_cndmask_b32_e64 v5, v5, v7, s0
	v_and_b32_e32 v5, 1, v5
	s_delay_alu instid0(VALU_DEP_1) | instskip(NEXT) | instid1(VALU_DEP_1)
	v_lshlrev_b16 v5, 8, v5
	v_bitop3_b16 v5, v6, v5, 0xff bitop3:0xec
	s_delay_alu instid0(VALU_DEP_1) | instskip(NEXT) | instid1(VALU_DEP_1)
	v_lshlrev_b32_e32 v5, 16, v5
	v_and_or_b32 v4, 0xffff, v4, v5
.LBB309_59:
	s_or_b32 exec_lo, exec_lo, s2
	v_or_b32_e32 v5, 0xc00, v0
	s_mov_b32 s2, exec_lo
	s_delay_alu instid0(VALU_DEP_1)
	v_cmpx_gt_i32_e64 s14, v5
	s_cbranch_execz .LBB309_61
; %bb.60:
	v_and_b32_e32 v5, 0xff, v19
	v_and_b32_e32 v6, 0xff, v17
	s_delay_alu instid0(VALU_DEP_1) | instskip(SKIP_1) | instid1(VALU_DEP_1)
	v_dual_lshlrev_b32 v7, 23, v5 :: v_dual_lshlrev_b32 v8, 23, v6
	v_cmp_ne_u16_e64 s1, 0xff, v5
	v_cndmask_b32_e64 v7, 0x7f800001, v7, s1
	v_cmp_ne_u16_e64 s1, 0xff, v6
	s_delay_alu instid0(VALU_DEP_1) | instskip(SKIP_1) | instid1(VALU_DEP_1)
	v_cndmask_b32_e64 v8, 0x7f800001, v8, s1
	v_cmp_ne_u16_e64 s1, 0, v5
	v_cndmask_b32_e64 v5, 0x400000, v7, s1
	v_cmp_ne_u16_e64 s1, 0, v6
	s_delay_alu instid0(VALU_DEP_1) | instskip(NEXT) | instid1(VALU_DEP_1)
	v_cndmask_b32_e64 v6, 0x400000, v8, s1
	v_cmp_eq_f32_e64 s1, v5, v6
	s_delay_alu instid0(VALU_DEP_1) | instskip(SKIP_2) | instid1(VALU_DEP_2)
	v_cndmask_b32_e64 v7, 0, 1, s1
	v_cmp_neq_f32_e64 s1, v5, v6
	v_and_b32_e32 v6, 0xffffff00, v3
	v_cndmask_b32_e64 v5, 0, 1, s1
	s_delay_alu instid0(VALU_DEP_1) | instskip(NEXT) | instid1(VALU_DEP_1)
	v_cndmask_b32_e64 v5, v5, v7, s0
	v_bitop3_b16 v5, v5, v6, 1 bitop3:0xec
	s_delay_alu instid0(VALU_DEP_1) | instskip(NEXT) | instid1(VALU_DEP_1)
	v_and_b32_e32 v5, 0xffff, v5
	v_and_or_b32 v3, 0xffff0000, v3, v5
.LBB309_61:
	s_or_b32 exec_lo, exec_lo, s2
	v_or_b32_e32 v5, 0xd00, v0
	s_mov_b32 s2, exec_lo
	s_delay_alu instid0(VALU_DEP_1)
	v_cmpx_gt_i32_e64 s14, v5
	s_cbranch_execz .LBB309_63
; %bb.62:
	v_and_b32_e32 v5, 0xff, v18
	v_and_b32_e32 v6, 0xff, v15
	s_delay_alu instid0(VALU_DEP_1) | instskip(SKIP_1) | instid1(VALU_DEP_1)
	v_dual_lshlrev_b32 v7, 23, v5 :: v_dual_lshlrev_b32 v8, 23, v6
	v_cmp_ne_u16_e64 s1, 0xff, v5
	v_cndmask_b32_e64 v7, 0x7f800001, v7, s1
	v_cmp_ne_u16_e64 s1, 0xff, v6
	s_delay_alu instid0(VALU_DEP_1) | instskip(SKIP_1) | instid1(VALU_DEP_1)
	v_cndmask_b32_e64 v8, 0x7f800001, v8, s1
	v_cmp_ne_u16_e64 s1, 0, v5
	v_cndmask_b32_e64 v5, 0x400000, v7, s1
	v_cmp_ne_u16_e64 s1, 0, v6
	s_delay_alu instid0(VALU_DEP_1) | instskip(NEXT) | instid1(VALU_DEP_1)
	v_cndmask_b32_e64 v6, 0x400000, v8, s1
	v_cmp_eq_f32_e64 s1, v5, v6
	s_delay_alu instid0(VALU_DEP_1) | instskip(SKIP_1) | instid1(VALU_DEP_1)
	v_cndmask_b32_e64 v7, 0, 1, s1
	v_cmp_neq_f32_e64 s1, v5, v6
	v_cndmask_b32_e64 v5, 0, 1, s1
	s_delay_alu instid0(VALU_DEP_1) | instskip(NEXT) | instid1(VALU_DEP_1)
	v_cndmask_b32_e64 v5, v5, v7, s0
	v_and_b32_e32 v5, 1, v5
	s_delay_alu instid0(VALU_DEP_1) | instskip(NEXT) | instid1(VALU_DEP_1)
	v_lshlrev_b16 v5, 8, v5
	v_bitop3_b16 v5, v3, v5, 0xff bitop3:0xec
	s_delay_alu instid0(VALU_DEP_1) | instskip(NEXT) | instid1(VALU_DEP_1)
	v_and_b32_e32 v5, 0xffff, v5
	v_and_or_b32 v3, 0xffff0000, v3, v5
.LBB309_63:
	s_or_b32 exec_lo, exec_lo, s2
	v_or_b32_e32 v5, 0xe00, v0
	s_mov_b32 s2, exec_lo
	s_delay_alu instid0(VALU_DEP_1)
	v_cmpx_gt_i32_e64 s14, v5
	s_cbranch_execz .LBB309_65
; %bb.64:
	v_and_b32_e32 v5, 0xff, v16
	v_and_b32_e32 v6, 0xff, v13
	s_delay_alu instid0(VALU_DEP_1) | instskip(SKIP_1) | instid1(VALU_DEP_1)
	v_dual_lshlrev_b32 v7, 23, v5 :: v_dual_lshlrev_b32 v8, 23, v6
	v_cmp_ne_u16_e64 s1, 0xff, v5
	v_cndmask_b32_e64 v7, 0x7f800001, v7, s1
	v_cmp_ne_u16_e64 s1, 0xff, v6
	s_delay_alu instid0(VALU_DEP_1) | instskip(SKIP_1) | instid1(VALU_DEP_1)
	v_cndmask_b32_e64 v8, 0x7f800001, v8, s1
	v_cmp_ne_u16_e64 s1, 0, v5
	v_cndmask_b32_e64 v5, 0x400000, v7, s1
	v_cmp_ne_u16_e64 s1, 0, v6
	s_delay_alu instid0(VALU_DEP_1) | instskip(NEXT) | instid1(VALU_DEP_1)
	v_cndmask_b32_e64 v6, 0x400000, v8, s1
	v_cmp_eq_f32_e64 s1, v5, v6
	s_delay_alu instid0(VALU_DEP_1) | instskip(SKIP_1) | instid1(VALU_DEP_1)
	v_cndmask_b32_e64 v8, 0, 1, s1
	v_cmp_neq_f32_e64 s1, v5, v6
	v_cndmask_b32_e64 v5, 0, 1, s1
	s_delay_alu instid0(VALU_DEP_1) | instskip(NEXT) | instid1(VALU_DEP_1)
	v_dual_lshrrev_b32 v7, 16, v3 :: v_dual_cndmask_b32 v5, v5, v8, s0
	v_and_b32_e32 v6, 0xffffff00, v7
	s_delay_alu instid0(VALU_DEP_1) | instskip(NEXT) | instid1(VALU_DEP_1)
	v_bitop3_b16 v5, v5, v6, 1 bitop3:0xec
	v_lshlrev_b32_e32 v5, 16, v5
	s_delay_alu instid0(VALU_DEP_1)
	v_and_or_b32 v3, 0xffff, v3, v5
.LBB309_65:
	s_or_b32 exec_lo, exec_lo, s2
	v_or_b32_e32 v5, 0xf00, v0
	s_mov_b32 s2, exec_lo
	s_delay_alu instid0(VALU_DEP_1)
	v_cmpx_gt_i32_e64 s14, v5
	s_cbranch_execnz .LBB309_84
; %bb.66:
	s_or_b32 exec_lo, exec_lo, s2
	s_and_saveexec_b32 s0, vcc_lo
	s_delay_alu instid0(SALU_CYCLE_1)
	s_xor_b32 s0, exec_lo, s0
	s_cbranch_execnz .LBB309_85
.LBB309_67:
	s_or_b32 exec_lo, exec_lo, s0
	s_delay_alu instid0(SALU_CYCLE_1)
	s_mov_b32 s0, exec_lo
	v_cmpx_gt_i32_e64 s14, v0
	s_cbranch_execnz .LBB309_86
.LBB309_68:
	s_or_b32 exec_lo, exec_lo, s0
	s_delay_alu instid0(SALU_CYCLE_1)
	s_mov_b32 s0, exec_lo
	v_cmpx_gt_i32_e64 s14, v0
	s_cbranch_execnz .LBB309_87
.LBB309_69:
	s_or_b32 exec_lo, exec_lo, s0
	s_delay_alu instid0(SALU_CYCLE_1)
	s_mov_b32 s0, exec_lo
	v_cmpx_gt_i32_e64 s14, v0
	s_cbranch_execnz .LBB309_88
.LBB309_70:
	s_or_b32 exec_lo, exec_lo, s0
	s_delay_alu instid0(SALU_CYCLE_1)
	s_mov_b32 s0, exec_lo
	v_cmpx_gt_i32_e64 s14, v0
	s_cbranch_execnz .LBB309_89
.LBB309_71:
	s_or_b32 exec_lo, exec_lo, s0
	s_delay_alu instid0(SALU_CYCLE_1)
	s_mov_b32 s0, exec_lo
	v_cmpx_gt_i32_e64 s14, v0
	s_cbranch_execnz .LBB309_90
.LBB309_72:
	s_or_b32 exec_lo, exec_lo, s0
	s_delay_alu instid0(SALU_CYCLE_1)
	s_mov_b32 s0, exec_lo
	v_cmpx_gt_i32_e64 s14, v0
	s_cbranch_execnz .LBB309_91
.LBB309_73:
	s_or_b32 exec_lo, exec_lo, s0
	s_delay_alu instid0(SALU_CYCLE_1)
	s_mov_b32 s0, exec_lo
	v_cmpx_gt_i32_e64 s14, v0
	s_cbranch_execnz .LBB309_92
.LBB309_74:
	s_or_b32 exec_lo, exec_lo, s0
	s_delay_alu instid0(SALU_CYCLE_1)
	s_mov_b32 s0, exec_lo
	v_cmpx_gt_i32_e64 s14, v0
	s_cbranch_execnz .LBB309_93
.LBB309_75:
	s_or_b32 exec_lo, exec_lo, s0
	s_delay_alu instid0(SALU_CYCLE_1)
	s_mov_b32 s0, exec_lo
	v_cmpx_gt_i32_e64 s14, v0
	s_cbranch_execnz .LBB309_94
.LBB309_76:
	s_or_b32 exec_lo, exec_lo, s0
	s_delay_alu instid0(SALU_CYCLE_1)
	s_mov_b32 s0, exec_lo
	v_cmpx_gt_i32_e64 s14, v0
	s_cbranch_execnz .LBB309_95
.LBB309_77:
	s_or_b32 exec_lo, exec_lo, s0
	s_delay_alu instid0(SALU_CYCLE_1)
	s_mov_b32 s0, exec_lo
	v_cmpx_gt_i32_e64 s14, v0
	s_cbranch_execnz .LBB309_96
.LBB309_78:
	s_or_b32 exec_lo, exec_lo, s0
	s_delay_alu instid0(SALU_CYCLE_1)
	s_mov_b32 s0, exec_lo
	v_cmpx_gt_i32_e64 s14, v0
	s_cbranch_execnz .LBB309_97
.LBB309_79:
	s_or_b32 exec_lo, exec_lo, s0
	s_delay_alu instid0(SALU_CYCLE_1)
	s_mov_b32 s0, exec_lo
	v_cmpx_gt_i32_e64 s14, v0
	s_cbranch_execnz .LBB309_98
.LBB309_80:
	s_or_b32 exec_lo, exec_lo, s0
	s_delay_alu instid0(SALU_CYCLE_1)
	s_mov_b32 s0, exec_lo
	v_cmpx_gt_i32_e64 s14, v0
	s_cbranch_execnz .LBB309_99
.LBB309_81:
	s_or_b32 exec_lo, exec_lo, s0
	s_delay_alu instid0(SALU_CYCLE_1)
	s_mov_b32 s0, exec_lo
	v_cmpx_gt_i32_e64 s14, v0
	s_cbranch_execz .LBB309_83
.LBB309_82:
	v_dual_lshrrev_b32 v1, 24, v3 :: v_dual_add_nc_u32 v0, s6, v0
	global_store_b8 v0, v1, s[8:9]
.LBB309_83:
	s_endpgm
.LBB309_84:
	v_and_b32_e32 v5, 0xff, v14
	v_and_b32_e32 v6, 0xff, v12
	s_delay_alu instid0(VALU_DEP_1) | instskip(SKIP_1) | instid1(VALU_DEP_1)
	v_dual_lshlrev_b32 v7, 23, v5 :: v_dual_lshlrev_b32 v8, 23, v6
	v_cmp_ne_u16_e64 s1, 0xff, v5
	v_cndmask_b32_e64 v7, 0x7f800001, v7, s1
	v_cmp_ne_u16_e64 s1, 0xff, v6
	s_delay_alu instid0(VALU_DEP_1) | instskip(SKIP_1) | instid1(VALU_DEP_1)
	v_cndmask_b32_e64 v8, 0x7f800001, v8, s1
	v_cmp_ne_u16_e64 s1, 0, v5
	v_cndmask_b32_e64 v5, 0x400000, v7, s1
	v_cmp_ne_u16_e64 s1, 0, v6
	s_delay_alu instid0(VALU_DEP_1) | instskip(NEXT) | instid1(VALU_DEP_1)
	v_cndmask_b32_e64 v6, 0x400000, v8, s1
	v_cmp_eq_f32_e64 s1, v5, v6
	s_delay_alu instid0(VALU_DEP_1) | instskip(SKIP_2) | instid1(VALU_DEP_2)
	v_cndmask_b32_e64 v7, 0, 1, s1
	v_cmp_neq_f32_e64 s1, v5, v6
	v_lshrrev_b32_e32 v6, 16, v3
	v_cndmask_b32_e64 v5, 0, 1, s1
	s_delay_alu instid0(VALU_DEP_1) | instskip(NEXT) | instid1(VALU_DEP_1)
	v_cndmask_b32_e64 v5, v5, v7, s0
	v_and_b32_e32 v5, 1, v5
	s_delay_alu instid0(VALU_DEP_1) | instskip(NEXT) | instid1(VALU_DEP_1)
	v_lshlrev_b16 v5, 8, v5
	v_bitop3_b16 v5, v6, v5, 0xff bitop3:0xec
	s_delay_alu instid0(VALU_DEP_1) | instskip(NEXT) | instid1(VALU_DEP_1)
	v_lshlrev_b32_e32 v5, 16, v5
	v_and_or_b32 v3, 0xffff, v3, v5
	s_or_b32 exec_lo, exec_lo, s2
	s_and_saveexec_b32 s0, vcc_lo
	s_delay_alu instid0(SALU_CYCLE_1)
	s_xor_b32 s0, exec_lo, s0
	s_cbranch_execz .LBB309_67
.LBB309_85:
	v_mov_b32_e32 v0, v11
	global_store_b8 v10, v2, s[8:9]
	s_wait_xcnt 0x0
	s_or_b32 exec_lo, exec_lo, s0
	s_delay_alu instid0(SALU_CYCLE_1)
	s_mov_b32 s0, exec_lo
	v_cmpx_gt_i32_e64 s14, v0
	s_cbranch_execz .LBB309_68
.LBB309_86:
	v_dual_lshrrev_b32 v5, 8, v2 :: v_dual_add_nc_u32 v6, s6, v0
	v_add_nc_u32_e32 v0, 0x100, v0
	global_store_b8 v6, v5, s[8:9]
	s_wait_xcnt 0x0
	s_or_b32 exec_lo, exec_lo, s0
	s_delay_alu instid0(SALU_CYCLE_1)
	s_mov_b32 s0, exec_lo
	v_cmpx_gt_i32_e64 s14, v0
	s_cbranch_execz .LBB309_69
.LBB309_87:
	v_add_nc_u32_e32 v5, s6, v0
	v_add_nc_u32_e32 v0, 0x100, v0
	global_store_d16_hi_b8 v5, v2, s[8:9]
	s_wait_xcnt 0x0
	s_or_b32 exec_lo, exec_lo, s0
	s_delay_alu instid0(SALU_CYCLE_1)
	s_mov_b32 s0, exec_lo
	v_cmpx_gt_i32_e64 s14, v0
	s_cbranch_execz .LBB309_70
.LBB309_88:
	v_dual_lshrrev_b32 v2, 24, v2 :: v_dual_add_nc_u32 v5, s6, v0
	v_add_nc_u32_e32 v0, 0x100, v0
	global_store_b8 v5, v2, s[8:9]
	s_wait_xcnt 0x0
	s_or_b32 exec_lo, exec_lo, s0
	s_delay_alu instid0(SALU_CYCLE_1)
	s_mov_b32 s0, exec_lo
	v_cmpx_gt_i32_e64 s14, v0
	s_cbranch_execz .LBB309_71
.LBB309_89:
	v_add_nc_u32_e32 v2, s6, v0
	v_add_nc_u32_e32 v0, 0x100, v0
	global_store_b8 v2, v1, s[8:9]
	s_wait_xcnt 0x0
	s_or_b32 exec_lo, exec_lo, s0
	s_delay_alu instid0(SALU_CYCLE_1)
	s_mov_b32 s0, exec_lo
	v_cmpx_gt_i32_e64 s14, v0
	s_cbranch_execz .LBB309_72
.LBB309_90:
	v_dual_lshrrev_b32 v2, 8, v1 :: v_dual_add_nc_u32 v5, s6, v0
	v_add_nc_u32_e32 v0, 0x100, v0
	global_store_b8 v5, v2, s[8:9]
	s_wait_xcnt 0x0
	s_or_b32 exec_lo, exec_lo, s0
	s_delay_alu instid0(SALU_CYCLE_1)
	s_mov_b32 s0, exec_lo
	v_cmpx_gt_i32_e64 s14, v0
	s_cbranch_execz .LBB309_73
.LBB309_91:
	v_add_nc_u32_e32 v2, s6, v0
	v_add_nc_u32_e32 v0, 0x100, v0
	global_store_d16_hi_b8 v2, v1, s[8:9]
	s_wait_xcnt 0x0
	s_or_b32 exec_lo, exec_lo, s0
	s_delay_alu instid0(SALU_CYCLE_1)
	s_mov_b32 s0, exec_lo
	v_cmpx_gt_i32_e64 s14, v0
	s_cbranch_execz .LBB309_74
.LBB309_92:
	v_dual_lshrrev_b32 v1, 24, v1 :: v_dual_add_nc_u32 v2, s6, v0
	v_add_nc_u32_e32 v0, 0x100, v0
	global_store_b8 v2, v1, s[8:9]
	s_wait_xcnt 0x0
	s_or_b32 exec_lo, exec_lo, s0
	s_delay_alu instid0(SALU_CYCLE_1)
	s_mov_b32 s0, exec_lo
	v_cmpx_gt_i32_e64 s14, v0
	s_cbranch_execz .LBB309_75
.LBB309_93:
	v_add_nc_u32_e32 v1, s6, v0
	v_add_nc_u32_e32 v0, 0x100, v0
	global_store_b8 v1, v4, s[8:9]
	s_wait_xcnt 0x0
	s_or_b32 exec_lo, exec_lo, s0
	s_delay_alu instid0(SALU_CYCLE_1)
	s_mov_b32 s0, exec_lo
	v_cmpx_gt_i32_e64 s14, v0
	s_cbranch_execz .LBB309_76
.LBB309_94:
	v_lshrrev_b32_e32 v1, 8, v4
	v_add_nc_u32_e32 v2, s6, v0
	v_add_nc_u32_e32 v0, 0x100, v0
	global_store_b8 v2, v1, s[8:9]
	s_wait_xcnt 0x0
	s_or_b32 exec_lo, exec_lo, s0
	s_delay_alu instid0(SALU_CYCLE_1)
	s_mov_b32 s0, exec_lo
	v_cmpx_gt_i32_e64 s14, v0
	s_cbranch_execz .LBB309_77
.LBB309_95:
	v_add_nc_u32_e32 v1, s6, v0
	v_add_nc_u32_e32 v0, 0x100, v0
	global_store_d16_hi_b8 v1, v4, s[8:9]
	s_wait_xcnt 0x0
	s_or_b32 exec_lo, exec_lo, s0
	s_delay_alu instid0(SALU_CYCLE_1)
	s_mov_b32 s0, exec_lo
	v_cmpx_gt_i32_e64 s14, v0
	s_cbranch_execz .LBB309_78
.LBB309_96:
	v_lshrrev_b32_e32 v1, 24, v4
	v_add_nc_u32_e32 v2, s6, v0
	v_add_nc_u32_e32 v0, 0x100, v0
	global_store_b8 v2, v1, s[8:9]
	s_wait_xcnt 0x0
	s_or_b32 exec_lo, exec_lo, s0
	s_delay_alu instid0(SALU_CYCLE_1)
	s_mov_b32 s0, exec_lo
	v_cmpx_gt_i32_e64 s14, v0
	s_cbranch_execz .LBB309_79
.LBB309_97:
	v_add_nc_u32_e32 v1, s6, v0
	v_add_nc_u32_e32 v0, 0x100, v0
	global_store_b8 v1, v3, s[8:9]
	s_wait_xcnt 0x0
	s_or_b32 exec_lo, exec_lo, s0
	s_delay_alu instid0(SALU_CYCLE_1)
	s_mov_b32 s0, exec_lo
	v_cmpx_gt_i32_e64 s14, v0
	s_cbranch_execz .LBB309_80
.LBB309_98:
	v_dual_lshrrev_b32 v1, 8, v3 :: v_dual_add_nc_u32 v2, s6, v0
	v_add_nc_u32_e32 v0, 0x100, v0
	global_store_b8 v2, v1, s[8:9]
	s_wait_xcnt 0x0
	s_or_b32 exec_lo, exec_lo, s0
	s_delay_alu instid0(SALU_CYCLE_1)
	s_mov_b32 s0, exec_lo
	v_cmpx_gt_i32_e64 s14, v0
	s_cbranch_execz .LBB309_81
.LBB309_99:
	v_add_nc_u32_e32 v1, s6, v0
	v_add_nc_u32_e32 v0, 0x100, v0
	global_store_d16_hi_b8 v1, v3, s[8:9]
	s_wait_xcnt 0x0
	s_or_b32 exec_lo, exec_lo, s0
	s_delay_alu instid0(SALU_CYCLE_1)
	s_mov_b32 s0, exec_lo
	v_cmpx_gt_i32_e64 s14, v0
	s_cbranch_execnz .LBB309_82
	s_branch .LBB309_83
	.section	.rodata,"a",@progbits
	.p2align	6, 0x0
	.amdhsa_kernel _ZN2at6native29vectorized_elementwise_kernelILi16ENS0_13BinaryFunctorIN3c1014Float8_e8m0fnuES4_bNS0_12_GLOBAL__N_116CompareEqFunctorIS4_EEEESt5arrayIPcLm3EEEEviT0_T1_
		.amdhsa_group_segment_fixed_size 0
		.amdhsa_private_segment_fixed_size 0
		.amdhsa_kernarg_size 32
		.amdhsa_user_sgpr_count 2
		.amdhsa_user_sgpr_dispatch_ptr 0
		.amdhsa_user_sgpr_queue_ptr 0
		.amdhsa_user_sgpr_kernarg_segment_ptr 1
		.amdhsa_user_sgpr_dispatch_id 0
		.amdhsa_user_sgpr_kernarg_preload_length 0
		.amdhsa_user_sgpr_kernarg_preload_offset 0
		.amdhsa_user_sgpr_private_segment_size 0
		.amdhsa_wavefront_size32 1
		.amdhsa_uses_dynamic_stack 0
		.amdhsa_enable_private_segment 0
		.amdhsa_system_sgpr_workgroup_id_x 1
		.amdhsa_system_sgpr_workgroup_id_y 0
		.amdhsa_system_sgpr_workgroup_id_z 0
		.amdhsa_system_sgpr_workgroup_info 0
		.amdhsa_system_vgpr_workitem_id 0
		.amdhsa_next_free_vgpr 60
		.amdhsa_next_free_sgpr 22
		.amdhsa_named_barrier_count 0
		.amdhsa_reserve_vcc 1
		.amdhsa_float_round_mode_32 0
		.amdhsa_float_round_mode_16_64 0
		.amdhsa_float_denorm_mode_32 3
		.amdhsa_float_denorm_mode_16_64 3
		.amdhsa_fp16_overflow 0
		.amdhsa_memory_ordered 1
		.amdhsa_forward_progress 1
		.amdhsa_inst_pref_size 81
		.amdhsa_round_robin_scheduling 0
		.amdhsa_exception_fp_ieee_invalid_op 0
		.amdhsa_exception_fp_denorm_src 0
		.amdhsa_exception_fp_ieee_div_zero 0
		.amdhsa_exception_fp_ieee_overflow 0
		.amdhsa_exception_fp_ieee_underflow 0
		.amdhsa_exception_fp_ieee_inexact 0
		.amdhsa_exception_int_div_zero 0
	.end_amdhsa_kernel
	.section	.text._ZN2at6native29vectorized_elementwise_kernelILi16ENS0_13BinaryFunctorIN3c1014Float8_e8m0fnuES4_bNS0_12_GLOBAL__N_116CompareEqFunctorIS4_EEEESt5arrayIPcLm3EEEEviT0_T1_,"axG",@progbits,_ZN2at6native29vectorized_elementwise_kernelILi16ENS0_13BinaryFunctorIN3c1014Float8_e8m0fnuES4_bNS0_12_GLOBAL__N_116CompareEqFunctorIS4_EEEESt5arrayIPcLm3EEEEviT0_T1_,comdat
.Lfunc_end309:
	.size	_ZN2at6native29vectorized_elementwise_kernelILi16ENS0_13BinaryFunctorIN3c1014Float8_e8m0fnuES4_bNS0_12_GLOBAL__N_116CompareEqFunctorIS4_EEEESt5arrayIPcLm3EEEEviT0_T1_, .Lfunc_end309-_ZN2at6native29vectorized_elementwise_kernelILi16ENS0_13BinaryFunctorIN3c1014Float8_e8m0fnuES4_bNS0_12_GLOBAL__N_116CompareEqFunctorIS4_EEEESt5arrayIPcLm3EEEEviT0_T1_
                                        ; -- End function
	.set _ZN2at6native29vectorized_elementwise_kernelILi16ENS0_13BinaryFunctorIN3c1014Float8_e8m0fnuES4_bNS0_12_GLOBAL__N_116CompareEqFunctorIS4_EEEESt5arrayIPcLm3EEEEviT0_T1_.num_vgpr, 60
	.set _ZN2at6native29vectorized_elementwise_kernelILi16ENS0_13BinaryFunctorIN3c1014Float8_e8m0fnuES4_bNS0_12_GLOBAL__N_116CompareEqFunctorIS4_EEEESt5arrayIPcLm3EEEEviT0_T1_.num_agpr, 0
	.set _ZN2at6native29vectorized_elementwise_kernelILi16ENS0_13BinaryFunctorIN3c1014Float8_e8m0fnuES4_bNS0_12_GLOBAL__N_116CompareEqFunctorIS4_EEEESt5arrayIPcLm3EEEEviT0_T1_.numbered_sgpr, 22
	.set _ZN2at6native29vectorized_elementwise_kernelILi16ENS0_13BinaryFunctorIN3c1014Float8_e8m0fnuES4_bNS0_12_GLOBAL__N_116CompareEqFunctorIS4_EEEESt5arrayIPcLm3EEEEviT0_T1_.num_named_barrier, 0
	.set _ZN2at6native29vectorized_elementwise_kernelILi16ENS0_13BinaryFunctorIN3c1014Float8_e8m0fnuES4_bNS0_12_GLOBAL__N_116CompareEqFunctorIS4_EEEESt5arrayIPcLm3EEEEviT0_T1_.private_seg_size, 0
	.set _ZN2at6native29vectorized_elementwise_kernelILi16ENS0_13BinaryFunctorIN3c1014Float8_e8m0fnuES4_bNS0_12_GLOBAL__N_116CompareEqFunctorIS4_EEEESt5arrayIPcLm3EEEEviT0_T1_.uses_vcc, 1
	.set _ZN2at6native29vectorized_elementwise_kernelILi16ENS0_13BinaryFunctorIN3c1014Float8_e8m0fnuES4_bNS0_12_GLOBAL__N_116CompareEqFunctorIS4_EEEESt5arrayIPcLm3EEEEviT0_T1_.uses_flat_scratch, 0
	.set _ZN2at6native29vectorized_elementwise_kernelILi16ENS0_13BinaryFunctorIN3c1014Float8_e8m0fnuES4_bNS0_12_GLOBAL__N_116CompareEqFunctorIS4_EEEESt5arrayIPcLm3EEEEviT0_T1_.has_dyn_sized_stack, 0
	.set _ZN2at6native29vectorized_elementwise_kernelILi16ENS0_13BinaryFunctorIN3c1014Float8_e8m0fnuES4_bNS0_12_GLOBAL__N_116CompareEqFunctorIS4_EEEESt5arrayIPcLm3EEEEviT0_T1_.has_recursion, 0
	.set _ZN2at6native29vectorized_elementwise_kernelILi16ENS0_13BinaryFunctorIN3c1014Float8_e8m0fnuES4_bNS0_12_GLOBAL__N_116CompareEqFunctorIS4_EEEESt5arrayIPcLm3EEEEviT0_T1_.has_indirect_call, 0
	.section	.AMDGPU.csdata,"",@progbits
; Kernel info:
; codeLenInByte = 10316
; TotalNumSgprs: 24
; NumVgprs: 60
; ScratchSize: 0
; MemoryBound: 0
; FloatMode: 240
; IeeeMode: 1
; LDSByteSize: 0 bytes/workgroup (compile time only)
; SGPRBlocks: 0
; VGPRBlocks: 3
; NumSGPRsForWavesPerEU: 24
; NumVGPRsForWavesPerEU: 60
; NamedBarCnt: 0
; Occupancy: 16
; WaveLimiterHint : 0
; COMPUTE_PGM_RSRC2:SCRATCH_EN: 0
; COMPUTE_PGM_RSRC2:USER_SGPR: 2
; COMPUTE_PGM_RSRC2:TRAP_HANDLER: 0
; COMPUTE_PGM_RSRC2:TGID_X_EN: 1
; COMPUTE_PGM_RSRC2:TGID_Y_EN: 0
; COMPUTE_PGM_RSRC2:TGID_Z_EN: 0
; COMPUTE_PGM_RSRC2:TIDIG_COMP_CNT: 0
	.section	.text._ZN2at6native29vectorized_elementwise_kernelILi8ENS0_13BinaryFunctorIN3c1014Float8_e8m0fnuES4_bNS0_12_GLOBAL__N_116CompareEqFunctorIS4_EEEESt5arrayIPcLm3EEEEviT0_T1_,"axG",@progbits,_ZN2at6native29vectorized_elementwise_kernelILi8ENS0_13BinaryFunctorIN3c1014Float8_e8m0fnuES4_bNS0_12_GLOBAL__N_116CompareEqFunctorIS4_EEEESt5arrayIPcLm3EEEEviT0_T1_,comdat
	.globl	_ZN2at6native29vectorized_elementwise_kernelILi8ENS0_13BinaryFunctorIN3c1014Float8_e8m0fnuES4_bNS0_12_GLOBAL__N_116CompareEqFunctorIS4_EEEESt5arrayIPcLm3EEEEviT0_T1_ ; -- Begin function _ZN2at6native29vectorized_elementwise_kernelILi8ENS0_13BinaryFunctorIN3c1014Float8_e8m0fnuES4_bNS0_12_GLOBAL__N_116CompareEqFunctorIS4_EEEESt5arrayIPcLm3EEEEviT0_T1_
	.p2align	8
	.type	_ZN2at6native29vectorized_elementwise_kernelILi8ENS0_13BinaryFunctorIN3c1014Float8_e8m0fnuES4_bNS0_12_GLOBAL__N_116CompareEqFunctorIS4_EEEESt5arrayIPcLm3EEEEviT0_T1_,@function
_ZN2at6native29vectorized_elementwise_kernelILi8ENS0_13BinaryFunctorIN3c1014Float8_e8m0fnuES4_bNS0_12_GLOBAL__N_116CompareEqFunctorIS4_EEEESt5arrayIPcLm3EEEEviT0_T1_: ; @_ZN2at6native29vectorized_elementwise_kernelILi8ENS0_13BinaryFunctorIN3c1014Float8_e8m0fnuES4_bNS0_12_GLOBAL__N_116CompareEqFunctorIS4_EEEESt5arrayIPcLm3EEEEviT0_T1_
; %bb.0:
	s_clause 0x2
	s_load_b64 s[12:13], s[0:1], 0x0
	s_load_b128 s[16:19], s[0:1], 0x8
	s_load_b64 s[20:21], s[0:1], 0x18
	s_wait_xcnt 0x0
	s_bfe_u32 s0, ttmp6, 0x4000c
	s_and_b32 s1, ttmp6, 15
	s_add_co_i32 s0, s0, 1
	s_getreg_b32 s2, hwreg(HW_REG_IB_STS2, 6, 4)
	s_mul_i32 s0, ttmp9, s0
	s_delay_alu instid0(SALU_CYCLE_1) | instskip(SKIP_2) | instid1(SALU_CYCLE_1)
	s_add_co_i32 s1, s1, s0
	s_cmp_eq_u32 s2, 0
	s_cselect_b32 s0, ttmp9, s1
	s_lshl_b32 s14, s0, 12
	s_mov_b32 s0, -1
	s_wait_kmcnt 0x0
	s_sub_co_i32 s22, s12, s14
	s_delay_alu instid0(SALU_CYCLE_1)
	s_cmp_gt_i32 s22, 0xfff
	s_cbranch_scc0 .LBB310_2
; %bb.1:
	s_ashr_i32 s15, s14, 31
	s_cmp_eq_u32 s13, 0
	s_add_nc_u64 s[0:1], s[18:19], s[14:15]
	s_clause 0x1
	global_load_b64 v[2:3], v0, s[0:1] scale_offset
	global_load_b64 v[4:5], v0, s[0:1] offset:2048 scale_offset
	s_wait_xcnt 0x0
	s_add_nc_u64 s[0:1], s[20:21], s[14:15]
	s_clause 0x1
	global_load_b64 v[6:7], v0, s[0:1] scale_offset
	global_load_b64 v[8:9], v0, s[0:1] offset:2048 scale_offset
	s_wait_loadcnt 0x3
	v_dual_lshlrev_b32 v37, 7, v2 :: v_dual_lshrrev_b32 v39, 24, v2
	v_dual_lshrrev_b32 v10, 8, v2 :: v_dual_lshrrev_b32 v11, 16, v2
	s_wait_loadcnt 0x1
	v_dual_lshrrev_b32 v22, 8, v6 :: v_dual_lshrrev_b32 v23, 16, v6
	v_dual_lshlrev_b32 v34, 23, v6 :: v_dual_lshlrev_b32 v36, 15, v6
	v_and_b32_e32 v12, 0xff, v3
	s_delay_alu instid0(VALU_DEP_3)
	v_and_b32_e32 v22, 0xff, v22
	v_dual_lshlrev_b32 v41, 23, v3 :: v_dual_lshlrev_b32 v43, 15, v3
	v_dual_lshrrev_b32 v57, 24, v5 :: v_dual_lshlrev_b32 v59, 23, v39
	v_cmp_ne_u32_e32 vcc_lo, 0xff, v39
	v_and_b32_e32 v36, 0x7f800000, v36
	v_cmp_ne_u16_e64 s10, 0xff, v22
	v_dual_lshrrev_b32 v13, 8, v3 :: v_dual_lshrrev_b32 v14, 16, v3
	v_and_b32_e32 v24, 0xff, v7
	v_dual_lshlrev_b32 v42, 23, v7 :: v_dual_lshlrev_b32 v44, 15, v7
	v_and_b32_e32 v11, 0xff, v11
	v_cndmask_b32_e64 v36, 0x7f800001, v36, s10
	v_cmp_ne_u16_e64 s10, 0, v22
	v_dual_cndmask_b32 v59, 0x7f800001, v59 :: v_dual_lshlrev_b32 v22, 7, v5
	v_and_b32_e32 v41, 0x7f800000, v41
	v_cmp_ne_u16_e32 vcc_lo, 0xff, v12
	v_dual_lshrrev_b32 v25, 8, v7 :: v_dual_lshrrev_b32 v26, 16, v7
	v_and_b32_e32 v37, 0x7f800000, v37
	v_cmp_ne_u16_e64 s11, 0xff, v11
	v_and_b32_e32 v13, 0xff, v13
	v_and_b32_e32 v42, 0x7f800000, v42
	v_cndmask_b32_e32 v41, 0x7f800001, v41, vcc_lo
	v_cmp_ne_u16_e32 vcc_lo, 0xff, v24
	v_cndmask_b32_e64 v37, 0x7f800001, v37, s11
	v_cmp_ne_u16_e64 s11, 0, v11
	s_wait_loadcnt 0x0
	v_lshlrev_b32_e32 v11, 7, v9
	v_and_b32_e32 v25, 0xff, v25
	v_and_b32_e32 v43, 0x7f800000, v43
	v_cndmask_b32_e32 v42, 0x7f800001, v42, vcc_lo
	v_cmp_ne_u16_e32 vcc_lo, 0xff, v13
	v_dual_lshlrev_b32 v45, 7, v3 :: v_dual_lshrrev_b32 v47, 24, v3
	v_and_b32_e32 v14, 0xff, v14
	v_and_b32_e32 v44, 0x7f800000, v44
	v_cndmask_b32_e32 v43, 0x7f800001, v43, vcc_lo
	v_cmp_ne_u16_e32 vcc_lo, 0xff, v25
	v_dual_lshlrev_b32 v46, 7, v7 :: v_dual_lshrrev_b32 v48, 24, v7
	v_and_b32_e32 v26, 0xff, v26
	v_and_b32_e32 v45, 0x7f800000, v45
	v_cndmask_b32_e32 v44, 0x7f800001, v44, vcc_lo
	v_cmp_ne_u16_e32 vcc_lo, 0xff, v14
	v_and_b32_e32 v15, 0xff, v4
	v_dual_lshlrev_b32 v49, 23, v4 :: v_dual_lshlrev_b32 v51, 15, v4
	v_and_b32_e32 v46, 0x7f800000, v46
	v_cndmask_b32_e32 v45, 0x7f800001, v45, vcc_lo
	v_cmp_ne_u16_e32 vcc_lo, 0xff, v26
	v_dual_lshrrev_b32 v16, 8, v4 :: v_dual_lshrrev_b32 v17, 16, v4
	v_and_b32_e32 v27, 0xff, v8
	v_dual_lshlrev_b32 v50, 23, v8 :: v_dual_lshlrev_b32 v52, 15, v8
	v_and_b32_e32 v49, 0x7f800000, v49
	v_cndmask_b32_e32 v46, 0x7f800001, v46, vcc_lo
	v_cmp_ne_u16_e32 vcc_lo, 0xff, v15
	v_dual_lshrrev_b32 v28, 8, v8 :: v_dual_lshrrev_b32 v29, 16, v8
	v_and_b32_e32 v16, 0xff, v16
	v_and_b32_e32 v50, 0x7f800000, v50
	v_cndmask_b32_e32 v49, 0x7f800001, v49, vcc_lo
	v_cmp_ne_u16_e32 vcc_lo, 0xff, v27
	v_and_b32_e32 v28, 0xff, v28
	v_and_b32_e32 v51, 0x7f800000, v51
	v_dual_lshlrev_b32 v53, 7, v4 :: v_dual_lshrrev_b32 v55, 24, v4
	v_cndmask_b32_e32 v50, 0x7f800001, v50, vcc_lo
	v_cmp_ne_u16_e32 vcc_lo, 0xff, v16
	v_and_b32_e32 v17, 0xff, v17
	v_and_b32_e32 v52, 0x7f800000, v52
	v_and_b32_e32 v1, 0xff, v2
	v_and_b32_e32 v21, 0xff, v6
	v_cndmask_b32_e32 v51, 0x7f800001, v51, vcc_lo
	v_cmp_ne_u16_e32 vcc_lo, 0xff, v28
	v_dual_lshlrev_b32 v33, 23, v2 :: v_dual_lshlrev_b32 v35, 15, v2
	v_dual_lshlrev_b32 v38, 7, v6 :: v_dual_lshrrev_b32 v40, 24, v6
	v_dual_lshlrev_b32 v54, 7, v8 :: v_dual_lshrrev_b32 v56, 24, v8
	v_lshrrev_b32_e32 v58, 24, v9
	v_and_b32_e32 v29, 0xff, v29
	v_and_b32_e32 v53, 0x7f800000, v53
	v_cndmask_b32_e32 v52, 0x7f800001, v52, vcc_lo
	v_cmp_ne_u16_e32 vcc_lo, 0xff, v17
	v_and_b32_e32 v18, 0xff, v5
	v_and_b32_e32 v33, 0x7f800000, v33
	v_lshlrev_b32_e32 v39, 23, v40
	v_cmp_ne_u32_e64 s0, 0xff, v40
	v_lshlrev_b32_e32 v40, 23, v47
	v_cmp_ne_u32_e64 s1, 0xff, v47
	v_lshlrev_b32_e32 v47, 23, v48
	v_cmp_ne_u32_e64 s2, 0xff, v48
	v_lshlrev_b32_e32 v48, 23, v55
	v_cmp_ne_u32_e64 s3, 0xff, v55
	v_lshlrev_b32_e32 v55, 23, v56
	v_cmp_ne_u32_e64 s4, 0xff, v56
	v_lshlrev_b32_e32 v56, 23, v57
	v_cmp_ne_u32_e64 s5, 0xff, v57
	v_lshlrev_b32_e32 v57, 23, v58
	v_cmp_ne_u32_e64 s6, 0xff, v58
	v_lshlrev_b32_e32 v58, 23, v5
	v_and_b32_e32 v34, 0x7f800000, v34
	v_cmp_ne_u16_e64 s7, 0xff, v1
	v_and_b32_e32 v10, 0xff, v10
	v_cmp_ne_u16_e64 s8, 0xff, v21
	v_and_b32_e32 v54, 0x7f800000, v54
	v_cndmask_b32_e32 v53, 0x7f800001, v53, vcc_lo
	v_cmp_ne_u16_e32 vcc_lo, 0xff, v29
	v_dual_lshrrev_b32 v19, 8, v5 :: v_dual_lshrrev_b32 v20, 16, v5
	v_and_b32_e32 v30, 0xff, v9
	v_cndmask_b32_e64 v33, 0x7f800001, v33, s7
	v_cmp_ne_u16_e64 s7, 0, v1
	v_lshlrev_b32_e32 v1, 23, v9
	v_and_b32_e32 v35, 0x7f800000, v35
	v_cndmask_b32_e64 v34, 0x7f800001, v34, s8
	v_cmp_ne_u16_e64 s8, 0, v21
	v_lshlrev_b32_e32 v21, 15, v5
	v_cmp_ne_u16_e64 s9, 0xff, v10
	v_and_b32_e32 v58, 0x7f800000, v58
	v_cndmask_b32_e32 v54, 0x7f800001, v54, vcc_lo
	v_cmp_ne_u16_e32 vcc_lo, 0xff, v18
	v_dual_lshrrev_b32 v31, 8, v9 :: v_dual_lshrrev_b32 v32, 16, v9
	v_cndmask_b32_e64 v35, 0x7f800001, v35, s9
	v_cmp_ne_u16_e64 s9, 0, v10
	v_lshlrev_b32_e32 v10, 15, v9
	v_and_b32_e32 v19, 0xff, v19
	v_and_b32_e32 v1, 0x7f800000, v1
	v_cndmask_b32_e32 v58, 0x7f800001, v58, vcc_lo
	v_cmp_ne_u16_e32 vcc_lo, 0xff, v30
	v_and_b32_e32 v31, 0xff, v31
	v_and_b32_e32 v21, 0x7f800000, v21
	;; [unrolled: 1-line block ×4, first 2 shown]
	v_cndmask_b32_e32 v1, 0x7f800001, v1, vcc_lo
	v_cmp_ne_u16_e32 vcc_lo, 0xff, v19
	v_and_b32_e32 v23, 0xff, v23
	v_and_b32_e32 v32, 0xff, v32
	;; [unrolled: 1-line block ×4, first 2 shown]
	v_cndmask_b32_e32 v21, 0x7f800001, v21, vcc_lo
	v_cmp_ne_u16_e32 vcc_lo, 0xff, v31
	v_and_b32_e32 v11, 0x7f800000, v11
	v_cmp_ne_u16_e64 s12, 0xff, v23
	v_cndmask_b32_e64 v39, 0x7f800001, v39, s0
	v_cndmask_b32_e64 v47, 0x7f800001, v47, s2
	v_cndmask_b32_e32 v10, 0x7f800001, v10, vcc_lo
	v_cmp_ne_u16_e32 vcc_lo, 0xff, v20
	v_cndmask_b32_e64 v38, 0x7f800001, v38, s12
	v_cndmask_b32_e64 v40, 0x7f800001, v40, s1
	v_cndmask_b32_e64 v55, 0x7f800001, v55, s4
	v_cndmask_b32_e64 v48, 0x7f800001, v48, s3
	v_cndmask_b32_e32 v22, 0x7f800001, v22, vcc_lo
	v_cmp_ne_u16_e32 vcc_lo, 0xff, v32
	v_cndmask_b32_e64 v57, 0x7f800001, v57, s6
	v_cndmask_b32_e64 v56, 0x7f800001, v56, s5
	;; [unrolled: 6-line block ×3, first 2 shown]
	v_cndmask_b32_e64 v37, 0x400000, v37, s11
	s_add_nc_u64 s[2:3], s[16:17], s[14:15]
	v_cndmask_b32_e32 v23, 0x400000, v38, vcc_lo
	v_cmp_lt_u32_e32 vcc_lo, 0xffffff, v6
	s_mov_b32 s0, 0
	v_cndmask_b32_e32 v6, 0x400000, v39, vcc_lo
	v_cmp_lt_u32_e32 vcc_lo, 0xffffff, v2
	v_cndmask_b32_e32 v2, 0x400000, v59, vcc_lo
	v_cmp_ne_u16_e32 vcc_lo, 0, v12
	v_cndmask_b32_e32 v12, 0x400000, v41, vcc_lo
	v_cmp_ne_u16_e32 vcc_lo, 0, v24
	v_cndmask_b32_e32 v24, 0x400000, v42, vcc_lo
	v_cmp_ne_u16_e32 vcc_lo, 0, v13
	v_cndmask_b32_e32 v13, 0x400000, v43, vcc_lo
	v_cmp_ne_u16_e32 vcc_lo, 0, v25
	v_cndmask_b32_e32 v25, 0x400000, v44, vcc_lo
	v_cmp_ne_u16_e32 vcc_lo, 0, v14
	v_cndmask_b32_e32 v14, 0x400000, v45, vcc_lo
	v_cmp_ne_u16_e32 vcc_lo, 0, v26
	v_cndmask_b32_e32 v26, 0x400000, v46, vcc_lo
	v_cmp_lt_u32_e32 vcc_lo, 0xffffff, v7
	v_cndmask_b32_e32 v7, 0x400000, v47, vcc_lo
	v_cmp_lt_u32_e32 vcc_lo, 0xffffff, v3
	v_cndmask_b32_e32 v3, 0x400000, v40, vcc_lo
	v_cmp_ne_u16_e32 vcc_lo, 0, v15
	v_cndmask_b32_e32 v15, 0x400000, v49, vcc_lo
	v_cmp_ne_u16_e32 vcc_lo, 0, v27
	v_cndmask_b32_e32 v27, 0x400000, v50, vcc_lo
	v_cmp_ne_u16_e32 vcc_lo, 0, v16
	v_cndmask_b32_e32 v16, 0x400000, v51, vcc_lo
	v_cmp_ne_u16_e32 vcc_lo, 0, v28
	v_cndmask_b32_e32 v28, 0x400000, v52, vcc_lo
	v_cmp_ne_u16_e32 vcc_lo, 0, v17
	v_cndmask_b32_e32 v17, 0x400000, v53, vcc_lo
	v_cmp_ne_u16_e32 vcc_lo, 0, v29
	v_cndmask_b32_e32 v29, 0x400000, v54, vcc_lo
	v_cmp_lt_u32_e32 vcc_lo, 0xffffff, v8
	;; [unrolled: 16-line block ×3, first 2 shown]
	v_cndmask_b32_e32 v9, 0x400000, v57, vcc_lo
	v_cmp_lt_u32_e32 vcc_lo, 0xffffff, v5
	v_cndmask_b32_e32 v5, 0x400000, v56, vcc_lo
	v_cmp_eq_f32_e32 vcc_lo, v33, v34
	v_cndmask_b32_e64 v21, 0, 1, vcc_lo
	v_cmp_neq_f32_e32 vcc_lo, v33, v34
	v_cndmask_b32_e64 v22, 0, 1, vcc_lo
	v_cmp_eq_f32_e32 vcc_lo, v35, v36
	v_cndmask_b32_e64 v30, 0, 1, vcc_lo
	v_cmp_neq_f32_e32 vcc_lo, v35, v36
	v_cndmask_b32_e64 v31, 0, 1, vcc_lo
	;; [unrolled: 4-line block ×16, first 2 shown]
	s_cselect_b32 vcc_lo, -1, 0
	s_delay_alu instid0(SALU_CYCLE_1)
	v_dual_cndmask_b32 v9, v22, v21, vcc_lo :: v_dual_cndmask_b32 v21, v31, v30, vcc_lo
	v_dual_cndmask_b32 v22, v23, v32, vcc_lo :: v_dual_cndmask_b32 v2, v2, v33, vcc_lo
	v_dual_cndmask_b32 v6, v12, v6, vcc_lo :: v_dual_cndmask_b32 v12, v13, v24, vcc_lo
	v_dual_cndmask_b32 v13, v14, v25, vcc_lo :: v_dual_cndmask_b32 v3, v3, v26, vcc_lo
	v_dual_cndmask_b32 v14, v16, v27 :: v_dual_cndmask_b32 v1, v1, v8
	v_dual_cndmask_b32 v4, v4, v29, vcc_lo :: v_dual_cndmask_b32 v8, v10, v18, vcc_lo
	v_dual_cndmask_b32 v10, v11, v19 :: v_dual_cndmask_b32 v5, v5, v20
	v_and_b32_e32 v11, 1, v21
	v_and_b32_e32 v2, 1, v2
	;; [unrolled: 1-line block ×8, first 2 shown]
	v_lshlrev_b16 v8, 8, v8
	v_lshlrev_b16 v5, 8, v5
	;; [unrolled: 1-line block ×6, first 2 shown]
	v_dual_cndmask_b32 v7, v15, v7, vcc_lo :: v_dual_cndmask_b32 v15, v17, v28, vcc_lo
	v_lshlrev_b16 v14, 8, v14
	v_lshlrev_b16 v4, 8, v4
	v_bitop3_b16 v1, v1, v8, 1 bitop3:0xec
	v_bitop3_b16 v5, v10, v5, 1 bitop3:0xec
	;; [unrolled: 1-line block ×8, first 2 shown]
	v_and_b32_e32 v1, 0xffff, v1
	v_lshlrev_b32_e32 v5, 16, v5
	v_and_b32_e32 v6, 0xffff, v6
	v_lshlrev_b32_e32 v9, 16, v3
	;; [unrolled: 2-line block ×3, first 2 shown]
	v_and_b32_e32 v7, 0xffff, v7
	v_dual_lshlrev_b32 v10, 16, v4 :: v_dual_bitop2_b32 v3, v1, v5 bitop3:0x54
	v_or_b32_e32 v5, v6, v9
	s_delay_alu instid0(VALU_DEP_4) | instskip(NEXT) | instid1(VALU_DEP_3)
	v_or_b32_e32 v4, v8, v2
	v_or_b32_e32 v2, v7, v10
	s_clause 0x1
	global_store_b64 v0, v[4:5], s[2:3] scale_offset
	global_store_b64 v0, v[2:3], s[2:3] offset:2048 scale_offset
.LBB310_2:
	s_and_not1_b32 vcc_lo, exec_lo, s0
	s_cbranch_vccnz .LBB310_83
; %bb.3:
	v_cmp_gt_i32_e32 vcc_lo, s22, v0
	s_wait_xcnt 0x0
	v_dual_mov_b32 v2, 0 :: v_dual_bitop2_b32 v10, s14, v0 bitop3:0x54
	v_or_b32_e32 v11, 0x100, v0
	v_dual_mov_b32 v14, 0 :: v_dual_mov_b32 v12, 0
	v_dual_mov_b32 v16, 0 :: v_dual_mov_b32 v13, 0
	;; [unrolled: 1-line block ×16, first 2 shown]
	s_and_saveexec_b32 s1, vcc_lo
	s_cbranch_execz .LBB310_35
; %bb.4:
	s_clause 0x1
	global_load_u8 v41, v10, s[18:19]
	global_load_u8 v40, v10, s[20:21]
	v_or_b32_e32 v1, 0x100, v0
	v_dual_mov_b32 v38, 0 :: v_dual_mov_b32 v39, 0
	v_dual_mov_b32 v5, 0 :: v_dual_mov_b32 v37, 0
	s_delay_alu instid0(VALU_DEP_3)
	v_cmp_gt_u32_e64 s0, s22, v1
	v_dual_mov_b32 v6, 0 :: v_dual_mov_b32 v36, 0
	v_dual_mov_b32 v34, 0 :: v_dual_mov_b32 v35, 0
	;; [unrolled: 1-line block ×13, first 2 shown]
	s_wait_xcnt 0x0
	s_and_saveexec_b32 s2, s0
	s_cbranch_execz .LBB310_34
; %bb.5:
	v_dual_mov_b32 v5, 0 :: v_dual_add_nc_u32 v4, s14, v0
	v_or_b32_e32 v1, 0x200, v0
	v_dual_mov_b32 v37, 0 :: v_dual_mov_b32 v6, 0
	s_clause 0x1
	global_load_u8 v39, v4, s[18:19] offset:256
	global_load_u8 v38, v4, s[20:21] offset:256
	v_dual_mov_b32 v36, 0 :: v_dual_mov_b32 v34, 0
	v_cmp_gt_u32_e64 s0, s22, v1
	v_dual_mov_b32 v35, 0 :: v_dual_mov_b32 v32, 0
	v_dual_mov_b32 v33, 0 :: v_dual_mov_b32 v30, 0
	;; [unrolled: 1-line block ×11, first 2 shown]
	v_mov_b32_e32 v14, 0
	s_wait_xcnt 0x0
	s_and_saveexec_b32 s3, s0
	s_cbranch_execz .LBB310_33
; %bb.6:
	v_add_nc_u64_e32 v[6:7], s[18:19], v[4:5]
	v_add_nc_u64_e32 v[8:9], s[20:21], v[4:5]
	v_or_b32_e32 v3, 0x300, v0
	v_dual_mov_b32 v36, 0 :: v_dual_mov_b32 v34, 0
	v_dual_mov_b32 v35, 0 :: v_dual_mov_b32 v32, 0
	global_load_u8 v37, v[6:7], off offset:512
	global_load_u8 v1, v[8:9], off offset:512
	v_cmp_gt_u32_e64 s0, s22, v3
	v_dual_mov_b32 v33, 0 :: v_dual_mov_b32 v30, 0
	v_dual_mov_b32 v31, 0 :: v_dual_mov_b32 v28, 0
	;; [unrolled: 1-line block ×10, first 2 shown]
	v_mov_b32_e32 v14, 0
	s_wait_xcnt 0x0
	s_and_saveexec_b32 s4, s0
	s_cbranch_execz .LBB310_32
; %bb.7:
	global_load_u8 v36, v[6:7], off offset:768
	global_load_u8 v5, v[8:9], off offset:768
	v_or_b32_e32 v3, 0x400, v0
	v_dual_mov_b32 v34, 0 :: v_dual_mov_b32 v35, 0
	v_dual_mov_b32 v32, 0 :: v_dual_mov_b32 v33, 0
	s_delay_alu instid0(VALU_DEP_3)
	v_cmp_gt_u32_e64 s0, s22, v3
	v_dual_mov_b32 v30, 0 :: v_dual_mov_b32 v31, 0
	v_dual_mov_b32 v28, 0 :: v_dual_mov_b32 v29, 0
	;; [unrolled: 1-line block ×10, first 2 shown]
	s_wait_xcnt 0x0
	s_and_saveexec_b32 s5, s0
	s_cbranch_execz .LBB310_31
; %bb.8:
	global_load_u8 v35, v[6:7], off offset:1024
	global_load_u8 v34, v[8:9], off offset:1024
	v_or_b32_e32 v3, 0x500, v0
	v_dual_mov_b32 v32, 0 :: v_dual_mov_b32 v33, 0
	v_dual_mov_b32 v30, 0 :: v_dual_mov_b32 v31, 0
	s_delay_alu instid0(VALU_DEP_3)
	v_cmp_gt_u32_e64 s0, s22, v3
	v_dual_mov_b32 v28, 0 :: v_dual_mov_b32 v29, 0
	v_dual_mov_b32 v26, 0 :: v_dual_mov_b32 v27, 0
	;; [unrolled: 1-line block ×9, first 2 shown]
	s_wait_xcnt 0x0
	s_and_saveexec_b32 s6, s0
	s_cbranch_execz .LBB310_30
; %bb.9:
	global_load_u8 v33, v[6:7], off offset:1280
	global_load_u8 v32, v[8:9], off offset:1280
	v_or_b32_e32 v3, 0x600, v0
	v_dual_mov_b32 v30, 0 :: v_dual_mov_b32 v31, 0
	v_dual_mov_b32 v28, 0 :: v_dual_mov_b32 v29, 0
	s_delay_alu instid0(VALU_DEP_3)
	v_cmp_gt_u32_e64 s0, s22, v3
	v_dual_mov_b32 v26, 0 :: v_dual_mov_b32 v27, 0
	v_dual_mov_b32 v24, 0 :: v_dual_mov_b32 v25, 0
	;; [unrolled: 1-line block ×8, first 2 shown]
	s_wait_xcnt 0x0
	s_and_saveexec_b32 s7, s0
	s_cbranch_execz .LBB310_29
; %bb.10:
	global_load_u8 v31, v[6:7], off offset:1536
	global_load_u8 v30, v[8:9], off offset:1536
	v_or_b32_e32 v3, 0x700, v0
	v_dual_mov_b32 v28, 0 :: v_dual_mov_b32 v29, 0
	v_dual_mov_b32 v26, 0 :: v_dual_mov_b32 v27, 0
	;; [unrolled: 1-line block ×9, first 2 shown]
	s_mov_b32 s8, exec_lo
	s_wait_xcnt 0x0
	v_cmpx_gt_u32_e64 s22, v3
	s_cbranch_execz .LBB310_28
; %bb.11:
	global_load_u8 v29, v[6:7], off offset:1792
	global_load_u8 v28, v[8:9], off offset:1792
	v_or_b32_e32 v3, 0x800, v0
	v_dual_mov_b32 v26, 0 :: v_dual_mov_b32 v27, 0
	v_dual_mov_b32 v24, 0 :: v_dual_mov_b32 v25, 0
	;; [unrolled: 1-line block ×8, first 2 shown]
	s_mov_b32 s9, exec_lo
	s_wait_xcnt 0x0
	v_cmpx_gt_u32_e64 s22, v3
	s_cbranch_execz .LBB310_27
; %bb.12:
	global_load_u8 v27, v[6:7], off offset:2048
	global_load_u8 v26, v[8:9], off offset:2048
	v_or_b32_e32 v3, 0x900, v0
	v_dual_mov_b32 v24, 0 :: v_dual_mov_b32 v25, 0
	v_dual_mov_b32 v22, 0 :: v_dual_mov_b32 v23, 0
	;; [unrolled: 1-line block ×7, first 2 shown]
	s_mov_b32 s10, exec_lo
	s_wait_xcnt 0x0
	v_cmpx_gt_u32_e64 s22, v3
	s_cbranch_execz .LBB310_26
; %bb.13:
	global_load_u8 v25, v[6:7], off offset:2304
	global_load_u8 v24, v[8:9], off offset:2304
	v_or_b32_e32 v3, 0xa00, v0
	v_dual_mov_b32 v22, 0 :: v_dual_mov_b32 v23, 0
	v_dual_mov_b32 v20, 0 :: v_dual_mov_b32 v21, 0
	v_dual_mov_b32 v17, 0 :: v_dual_mov_b32 v19, 0
	v_dual_mov_b32 v15, 0 :: v_dual_mov_b32 v18, 0
	v_dual_mov_b32 v13, 0 :: v_dual_mov_b32 v16, 0
	v_dual_mov_b32 v12, 0 :: v_dual_mov_b32 v14, 0
	s_mov_b32 s11, exec_lo
	s_wait_xcnt 0x0
	v_cmpx_gt_u32_e64 s22, v3
	s_cbranch_execz .LBB310_25
; %bb.14:
	global_load_u8 v23, v[6:7], off offset:2560
	global_load_u8 v22, v[8:9], off offset:2560
	v_or_b32_e32 v3, 0xb00, v0
	v_dual_mov_b32 v20, 0 :: v_dual_mov_b32 v21, 0
	v_dual_mov_b32 v17, 0 :: v_dual_mov_b32 v19, 0
	;; [unrolled: 1-line block ×5, first 2 shown]
	s_mov_b32 s12, exec_lo
	s_wait_xcnt 0x0
	v_cmpx_gt_u32_e64 s22, v3
	s_cbranch_execz .LBB310_24
; %bb.15:
	global_load_u8 v21, v[6:7], off offset:2816
	global_load_u8 v20, v[8:9], off offset:2816
	v_or_b32_e32 v3, 0xc00, v0
	v_dual_mov_b32 v17, 0 :: v_dual_mov_b32 v19, 0
	v_dual_mov_b32 v15, 0 :: v_dual_mov_b32 v18, 0
	;; [unrolled: 1-line block ×4, first 2 shown]
	s_mov_b32 s15, exec_lo
	s_wait_xcnt 0x0
	v_cmpx_gt_u32_e64 s22, v3
	s_cbranch_execz .LBB310_23
; %bb.16:
	global_load_u8 v19, v[6:7], off offset:3072
	global_load_u8 v17, v[8:9], off offset:3072
	v_or_b32_e32 v3, 0xd00, v0
	v_dual_mov_b32 v15, 0 :: v_dual_mov_b32 v18, 0
	v_dual_mov_b32 v13, 0 :: v_dual_mov_b32 v16, 0
	;; [unrolled: 1-line block ×3, first 2 shown]
	s_mov_b32 s18, exec_lo
	s_wait_xcnt 0x0
	v_cmpx_gt_u32_e64 s22, v3
	s_cbranch_execz .LBB310_22
; %bb.17:
	global_load_u8 v18, v[6:7], off offset:3328
	global_load_u8 v15, v[8:9], off offset:3328
	v_or_b32_e32 v3, 0xe00, v0
	v_dual_mov_b32 v13, 0 :: v_dual_mov_b32 v16, 0
	v_dual_mov_b32 v12, 0 :: v_dual_mov_b32 v14, 0
	s_mov_b32 s19, exec_lo
	s_wait_xcnt 0x0
	v_cmpx_gt_u32_e64 s22, v3
	s_cbranch_execz .LBB310_21
; %bb.18:
	global_load_u8 v16, v[6:7], off offset:3584
	global_load_u8 v13, v[8:9], off offset:3584
	v_or_b32_e32 v3, 0xf00, v0
	v_dual_mov_b32 v12, 0 :: v_dual_mov_b32 v14, 0
	s_mov_b32 s20, exec_lo
	s_wait_xcnt 0x0
	s_delay_alu instid0(VALU_DEP_2)
	v_cmpx_gt_u32_e64 s22, v3
	s_cbranch_execz .LBB310_20
; %bb.19:
	global_load_u8 v14, v[6:7], off offset:3840
	global_load_u8 v12, v[8:9], off offset:3840
.LBB310_20:
	s_wait_xcnt 0x0
	s_or_b32 exec_lo, exec_lo, s20
.LBB310_21:
	s_delay_alu instid0(SALU_CYCLE_1)
	s_or_b32 exec_lo, exec_lo, s19
.LBB310_22:
	s_delay_alu instid0(SALU_CYCLE_1)
	s_or_b32 exec_lo, exec_lo, s18
.LBB310_23:
	s_delay_alu instid0(SALU_CYCLE_1)
	s_or_b32 exec_lo, exec_lo, s15
.LBB310_24:
	s_delay_alu instid0(SALU_CYCLE_1)
	s_or_b32 exec_lo, exec_lo, s12
.LBB310_25:
	s_delay_alu instid0(SALU_CYCLE_1)
	s_or_b32 exec_lo, exec_lo, s11
.LBB310_26:
	s_delay_alu instid0(SALU_CYCLE_1)
	s_or_b32 exec_lo, exec_lo, s10
.LBB310_27:
	s_delay_alu instid0(SALU_CYCLE_1)
	s_or_b32 exec_lo, exec_lo, s9
.LBB310_28:
	s_delay_alu instid0(SALU_CYCLE_1)
	s_or_b32 exec_lo, exec_lo, s8
.LBB310_29:
	s_delay_alu instid0(SALU_CYCLE_1)
	s_or_b32 exec_lo, exec_lo, s7
.LBB310_30:
	s_delay_alu instid0(SALU_CYCLE_1)
	s_or_b32 exec_lo, exec_lo, s6
.LBB310_31:
	s_delay_alu instid0(SALU_CYCLE_1)
	s_or_b32 exec_lo, exec_lo, s5
.LBB310_32:
	s_delay_alu instid0(SALU_CYCLE_1)
	s_or_b32 exec_lo, exec_lo, s4
	s_wait_loadcnt 0x0
	v_dual_mov_b32 v6, v5 :: v_dual_mov_b32 v5, v1
.LBB310_33:
	s_or_b32 exec_lo, exec_lo, s3
.LBB310_34:
	s_delay_alu instid0(SALU_CYCLE_1)
	s_or_b32 exec_lo, exec_lo, s2
.LBB310_35:
	s_delay_alu instid0(SALU_CYCLE_1)
	s_or_b32 exec_lo, exec_lo, s1
	v_dual_mov_b32 v1, v2 :: v_dual_mov_b32 v4, v2
	v_mov_b32_e32 v3, v2
	s_cmp_eq_u32 s13, 0
	s_cselect_b32 s0, -1, 0
	s_and_saveexec_b32 s2, vcc_lo
	s_cbranch_execz .LBB310_37
; %bb.36:
	s_wait_loadcnt 0x1
	v_and_b32_e32 v1, 0xff, v41
	s_wait_loadcnt 0x0
	v_and_b32_e32 v2, 0xff, v40
	s_delay_alu instid0(VALU_DEP_1) | instskip(SKIP_1) | instid1(VALU_DEP_1)
	v_dual_lshlrev_b32 v3, 23, v1 :: v_dual_lshlrev_b32 v4, 23, v2
	v_cmp_ne_u16_e64 s1, 0xff, v1
	v_cndmask_b32_e64 v3, 0x7f800001, v3, s1
	v_cmp_ne_u16_e64 s1, 0xff, v2
	s_delay_alu instid0(VALU_DEP_1) | instskip(SKIP_1) | instid1(VALU_DEP_1)
	v_cndmask_b32_e64 v4, 0x7f800001, v4, s1
	v_cmp_ne_u16_e64 s1, 0, v1
	v_cndmask_b32_e64 v1, 0x400000, v3, s1
	v_cmp_ne_u16_e64 s1, 0, v2
	s_delay_alu instid0(VALU_DEP_1) | instskip(NEXT) | instid1(VALU_DEP_1)
	v_cndmask_b32_e64 v2, 0x400000, v4, s1
	v_cmp_eq_f32_e64 s1, v1, v2
	s_delay_alu instid0(VALU_DEP_1) | instskip(SKIP_1) | instid1(VALU_DEP_1)
	v_cndmask_b32_e64 v3, 0, 1, s1
	v_cmp_neq_f32_e64 s1, v1, v2
	v_cndmask_b32_e64 v1, 0, 1, s1
	s_delay_alu instid0(VALU_DEP_1) | instskip(NEXT) | instid1(VALU_DEP_1)
	v_dual_cndmask_b32 v2, v1, v3, s0 :: v_dual_mov_b32 v1, 0
	v_dual_mov_b32 v4, v1 :: v_dual_bitop2_b32 v2, 1, v2 bitop3:0x40
	v_mov_b32_e32 v3, v1
	s_delay_alu instid0(VALU_DEP_2)
	v_and_b32_e32 v2, 0xffff, v2
.LBB310_37:
	s_or_b32 exec_lo, exec_lo, s2
	s_delay_alu instid0(SALU_CYCLE_1)
	s_mov_b32 s2, exec_lo
	v_cmpx_gt_i32_e64 s22, v11
	s_cbranch_execz .LBB310_39
; %bb.38:
	s_wait_loadcnt 0x1
	v_and_b32_e32 v7, 0xff, v39
	s_wait_loadcnt 0x0
	v_and_b32_e32 v8, 0xff, v38
	s_delay_alu instid0(VALU_DEP_1) | instskip(SKIP_1) | instid1(VALU_DEP_1)
	v_dual_lshlrev_b32 v9, 23, v7 :: v_dual_lshlrev_b32 v38, 23, v8
	v_cmp_ne_u16_e64 s1, 0xff, v7
	v_cndmask_b32_e64 v9, 0x7f800001, v9, s1
	v_cmp_ne_u16_e64 s1, 0xff, v8
	s_delay_alu instid0(VALU_DEP_1) | instskip(SKIP_1) | instid1(VALU_DEP_1)
	v_cndmask_b32_e64 v38, 0x7f800001, v38, s1
	v_cmp_ne_u16_e64 s1, 0, v7
	v_cndmask_b32_e64 v7, 0x400000, v9, s1
	v_cmp_ne_u16_e64 s1, 0, v8
	s_delay_alu instid0(VALU_DEP_1) | instskip(NEXT) | instid1(VALU_DEP_1)
	v_cndmask_b32_e64 v8, 0x400000, v38, s1
	v_cmp_eq_f32_e64 s1, v7, v8
	s_delay_alu instid0(VALU_DEP_1) | instskip(SKIP_1) | instid1(VALU_DEP_1)
	v_cndmask_b32_e64 v9, 0, 1, s1
	v_cmp_neq_f32_e64 s1, v7, v8
	v_cndmask_b32_e64 v7, 0, 1, s1
	s_delay_alu instid0(VALU_DEP_1) | instskip(NEXT) | instid1(VALU_DEP_1)
	v_cndmask_b32_e64 v7, v7, v9, s0
	v_and_b32_e32 v7, 1, v7
	s_delay_alu instid0(VALU_DEP_1) | instskip(NEXT) | instid1(VALU_DEP_1)
	v_lshlrev_b16 v7, 8, v7
	v_bitop3_b16 v7, v2, v7, 0xff bitop3:0xec
	s_delay_alu instid0(VALU_DEP_1) | instskip(NEXT) | instid1(VALU_DEP_1)
	v_and_b32_e32 v7, 0xffff, v7
	v_and_or_b32 v2, 0xffff0000, v2, v7
.LBB310_39:
	s_or_b32 exec_lo, exec_lo, s2
	v_or_b32_e32 v7, 0x200, v0
	s_mov_b32 s2, exec_lo
	s_delay_alu instid0(VALU_DEP_1)
	v_cmpx_gt_i32_e64 s22, v7
	s_cbranch_execz .LBB310_41
; %bb.40:
	v_and_b32_e32 v7, 0xff, v37
	v_and_b32_e32 v5, 0xff, v5
	s_delay_alu instid0(VALU_DEP_1) | instskip(SKIP_1) | instid1(VALU_DEP_1)
	v_dual_lshlrev_b32 v8, 23, v7 :: v_dual_lshlrev_b32 v9, 23, v5
	v_cmp_ne_u16_e64 s1, 0xff, v7
	v_cndmask_b32_e64 v8, 0x7f800001, v8, s1
	v_cmp_ne_u16_e64 s1, 0xff, v5
	s_delay_alu instid0(VALU_DEP_1) | instskip(SKIP_1) | instid1(VALU_DEP_1)
	v_cndmask_b32_e64 v9, 0x7f800001, v9, s1
	v_cmp_ne_u16_e64 s1, 0, v7
	v_cndmask_b32_e64 v7, 0x400000, v8, s1
	v_cmp_ne_u16_e64 s1, 0, v5
	s_delay_alu instid0(VALU_DEP_1) | instskip(NEXT) | instid1(VALU_DEP_1)
	v_cndmask_b32_e64 v5, 0x400000, v9, s1
	v_cmp_eq_f32_e64 s1, v7, v5
	s_delay_alu instid0(VALU_DEP_1) | instskip(SKIP_1) | instid1(VALU_DEP_1)
	v_cndmask_b32_e64 v9, 0, 1, s1
	v_cmp_neq_f32_e64 s1, v7, v5
	v_cndmask_b32_e64 v5, 0, 1, s1
	s_delay_alu instid0(VALU_DEP_1) | instskip(NEXT) | instid1(VALU_DEP_1)
	v_dual_lshrrev_b32 v8, 16, v2 :: v_dual_cndmask_b32 v5, v5, v9, s0
	v_and_b32_e32 v7, 0xffffff00, v8
	s_delay_alu instid0(VALU_DEP_1) | instskip(NEXT) | instid1(VALU_DEP_1)
	v_bitop3_b16 v5, v5, v7, 1 bitop3:0xec
	v_lshlrev_b32_e32 v5, 16, v5
	s_delay_alu instid0(VALU_DEP_1)
	v_and_or_b32 v2, 0xffff, v2, v5
.LBB310_41:
	s_or_b32 exec_lo, exec_lo, s2
	v_or_b32_e32 v5, 0x300, v0
	s_mov_b32 s2, exec_lo
	s_delay_alu instid0(VALU_DEP_1)
	v_cmpx_gt_i32_e64 s22, v5
	s_cbranch_execz .LBB310_43
; %bb.42:
	v_and_b32_e32 v5, 0xff, v36
	v_and_b32_e32 v6, 0xff, v6
	s_delay_alu instid0(VALU_DEP_1) | instskip(SKIP_1) | instid1(VALU_DEP_1)
	v_dual_lshlrev_b32 v7, 23, v5 :: v_dual_lshlrev_b32 v8, 23, v6
	v_cmp_ne_u16_e64 s1, 0xff, v5
	v_cndmask_b32_e64 v7, 0x7f800001, v7, s1
	v_cmp_ne_u16_e64 s1, 0xff, v6
	s_delay_alu instid0(VALU_DEP_1) | instskip(SKIP_1) | instid1(VALU_DEP_1)
	v_cndmask_b32_e64 v8, 0x7f800001, v8, s1
	v_cmp_ne_u16_e64 s1, 0, v5
	v_cndmask_b32_e64 v5, 0x400000, v7, s1
	v_cmp_ne_u16_e64 s1, 0, v6
	s_delay_alu instid0(VALU_DEP_1) | instskip(NEXT) | instid1(VALU_DEP_1)
	v_cndmask_b32_e64 v6, 0x400000, v8, s1
	v_cmp_eq_f32_e64 s1, v5, v6
	s_delay_alu instid0(VALU_DEP_1) | instskip(SKIP_2) | instid1(VALU_DEP_2)
	v_cndmask_b32_e64 v7, 0, 1, s1
	v_cmp_neq_f32_e64 s1, v5, v6
	v_lshrrev_b32_e32 v6, 16, v2
	v_cndmask_b32_e64 v5, 0, 1, s1
	s_delay_alu instid0(VALU_DEP_1) | instskip(NEXT) | instid1(VALU_DEP_1)
	v_cndmask_b32_e64 v5, v5, v7, s0
	v_and_b32_e32 v5, 1, v5
	s_delay_alu instid0(VALU_DEP_1) | instskip(NEXT) | instid1(VALU_DEP_1)
	v_lshlrev_b16 v5, 8, v5
	v_bitop3_b16 v5, v6, v5, 0xff bitop3:0xec
	s_delay_alu instid0(VALU_DEP_1) | instskip(NEXT) | instid1(VALU_DEP_1)
	v_lshlrev_b32_e32 v5, 16, v5
	v_and_or_b32 v2, 0xffff, v2, v5
.LBB310_43:
	s_or_b32 exec_lo, exec_lo, s2
	v_or_b32_e32 v5, 0x400, v0
	s_mov_b32 s2, exec_lo
	s_delay_alu instid0(VALU_DEP_1)
	v_cmpx_gt_i32_e64 s22, v5
	s_cbranch_execz .LBB310_45
; %bb.44:
	v_and_b32_e32 v5, 0xff, v35
	v_and_b32_e32 v6, 0xff, v34
	s_delay_alu instid0(VALU_DEP_1) | instskip(SKIP_1) | instid1(VALU_DEP_1)
	v_dual_lshlrev_b32 v7, 23, v5 :: v_dual_lshlrev_b32 v8, 23, v6
	v_cmp_ne_u16_e64 s1, 0xff, v5
	v_cndmask_b32_e64 v7, 0x7f800001, v7, s1
	v_cmp_ne_u16_e64 s1, 0xff, v6
	s_delay_alu instid0(VALU_DEP_1) | instskip(SKIP_1) | instid1(VALU_DEP_1)
	v_cndmask_b32_e64 v8, 0x7f800001, v8, s1
	v_cmp_ne_u16_e64 s1, 0, v5
	v_cndmask_b32_e64 v5, 0x400000, v7, s1
	v_cmp_ne_u16_e64 s1, 0, v6
	s_delay_alu instid0(VALU_DEP_1) | instskip(NEXT) | instid1(VALU_DEP_1)
	v_cndmask_b32_e64 v6, 0x400000, v8, s1
	v_cmp_eq_f32_e64 s1, v5, v6
	s_delay_alu instid0(VALU_DEP_1) | instskip(SKIP_2) | instid1(VALU_DEP_2)
	v_cndmask_b32_e64 v7, 0, 1, s1
	v_cmp_neq_f32_e64 s1, v5, v6
	v_and_b32_e32 v6, 0xffffff00, v1
	v_cndmask_b32_e64 v5, 0, 1, s1
	s_delay_alu instid0(VALU_DEP_1) | instskip(NEXT) | instid1(VALU_DEP_1)
	v_cndmask_b32_e64 v5, v5, v7, s0
	v_bitop3_b16 v5, v5, v6, 1 bitop3:0xec
	s_delay_alu instid0(VALU_DEP_1) | instskip(NEXT) | instid1(VALU_DEP_1)
	v_and_b32_e32 v5, 0xffff, v5
	v_and_or_b32 v1, 0xffff0000, v1, v5
.LBB310_45:
	s_or_b32 exec_lo, exec_lo, s2
	v_or_b32_e32 v5, 0x500, v0
	s_mov_b32 s2, exec_lo
	s_delay_alu instid0(VALU_DEP_1)
	v_cmpx_gt_i32_e64 s22, v5
	s_cbranch_execz .LBB310_47
; %bb.46:
	v_and_b32_e32 v5, 0xff, v33
	v_and_b32_e32 v6, 0xff, v32
	s_delay_alu instid0(VALU_DEP_1) | instskip(SKIP_1) | instid1(VALU_DEP_1)
	v_dual_lshlrev_b32 v7, 23, v5 :: v_dual_lshlrev_b32 v8, 23, v6
	v_cmp_ne_u16_e64 s1, 0xff, v5
	v_cndmask_b32_e64 v7, 0x7f800001, v7, s1
	v_cmp_ne_u16_e64 s1, 0xff, v6
	s_delay_alu instid0(VALU_DEP_1) | instskip(SKIP_1) | instid1(VALU_DEP_1)
	v_cndmask_b32_e64 v8, 0x7f800001, v8, s1
	v_cmp_ne_u16_e64 s1, 0, v5
	v_cndmask_b32_e64 v5, 0x400000, v7, s1
	v_cmp_ne_u16_e64 s1, 0, v6
	s_delay_alu instid0(VALU_DEP_1) | instskip(NEXT) | instid1(VALU_DEP_1)
	v_cndmask_b32_e64 v6, 0x400000, v8, s1
	v_cmp_eq_f32_e64 s1, v5, v6
	s_delay_alu instid0(VALU_DEP_1) | instskip(SKIP_1) | instid1(VALU_DEP_1)
	v_cndmask_b32_e64 v7, 0, 1, s1
	v_cmp_neq_f32_e64 s1, v5, v6
	v_cndmask_b32_e64 v5, 0, 1, s1
	s_delay_alu instid0(VALU_DEP_1) | instskip(NEXT) | instid1(VALU_DEP_1)
	v_cndmask_b32_e64 v5, v5, v7, s0
	v_and_b32_e32 v5, 1, v5
	s_delay_alu instid0(VALU_DEP_1) | instskip(NEXT) | instid1(VALU_DEP_1)
	v_lshlrev_b16 v5, 8, v5
	v_bitop3_b16 v5, v1, v5, 0xff bitop3:0xec
	s_delay_alu instid0(VALU_DEP_1) | instskip(NEXT) | instid1(VALU_DEP_1)
	v_and_b32_e32 v5, 0xffff, v5
	v_and_or_b32 v1, 0xffff0000, v1, v5
.LBB310_47:
	s_or_b32 exec_lo, exec_lo, s2
	v_or_b32_e32 v5, 0x600, v0
	s_mov_b32 s2, exec_lo
	s_delay_alu instid0(VALU_DEP_1)
	v_cmpx_gt_i32_e64 s22, v5
	s_cbranch_execz .LBB310_49
; %bb.48:
	v_and_b32_e32 v5, 0xff, v31
	v_and_b32_e32 v6, 0xff, v30
	s_delay_alu instid0(VALU_DEP_1) | instskip(SKIP_1) | instid1(VALU_DEP_1)
	v_dual_lshlrev_b32 v7, 23, v5 :: v_dual_lshlrev_b32 v8, 23, v6
	v_cmp_ne_u16_e64 s1, 0xff, v5
	v_cndmask_b32_e64 v7, 0x7f800001, v7, s1
	v_cmp_ne_u16_e64 s1, 0xff, v6
	s_delay_alu instid0(VALU_DEP_1) | instskip(SKIP_1) | instid1(VALU_DEP_1)
	v_cndmask_b32_e64 v8, 0x7f800001, v8, s1
	v_cmp_ne_u16_e64 s1, 0, v5
	v_cndmask_b32_e64 v5, 0x400000, v7, s1
	v_cmp_ne_u16_e64 s1, 0, v6
	s_delay_alu instid0(VALU_DEP_1) | instskip(NEXT) | instid1(VALU_DEP_1)
	v_cndmask_b32_e64 v6, 0x400000, v8, s1
	v_cmp_eq_f32_e64 s1, v5, v6
	s_delay_alu instid0(VALU_DEP_1) | instskip(SKIP_1) | instid1(VALU_DEP_1)
	v_cndmask_b32_e64 v8, 0, 1, s1
	v_cmp_neq_f32_e64 s1, v5, v6
	v_cndmask_b32_e64 v5, 0, 1, s1
	s_delay_alu instid0(VALU_DEP_1) | instskip(NEXT) | instid1(VALU_DEP_1)
	v_dual_lshrrev_b32 v7, 16, v1 :: v_dual_cndmask_b32 v5, v5, v8, s0
	v_and_b32_e32 v6, 0xffffff00, v7
	s_delay_alu instid0(VALU_DEP_1) | instskip(NEXT) | instid1(VALU_DEP_1)
	v_bitop3_b16 v5, v5, v6, 1 bitop3:0xec
	v_lshlrev_b32_e32 v5, 16, v5
	s_delay_alu instid0(VALU_DEP_1)
	v_and_or_b32 v1, 0xffff, v1, v5
.LBB310_49:
	s_or_b32 exec_lo, exec_lo, s2
	v_or_b32_e32 v5, 0x700, v0
	s_mov_b32 s2, exec_lo
	s_delay_alu instid0(VALU_DEP_1)
	v_cmpx_gt_i32_e64 s22, v5
	s_cbranch_execz .LBB310_51
; %bb.50:
	v_and_b32_e32 v5, 0xff, v29
	v_and_b32_e32 v6, 0xff, v28
	s_delay_alu instid0(VALU_DEP_1) | instskip(SKIP_1) | instid1(VALU_DEP_1)
	v_dual_lshlrev_b32 v7, 23, v5 :: v_dual_lshlrev_b32 v8, 23, v6
	v_cmp_ne_u16_e64 s1, 0xff, v5
	v_cndmask_b32_e64 v7, 0x7f800001, v7, s1
	v_cmp_ne_u16_e64 s1, 0xff, v6
	s_delay_alu instid0(VALU_DEP_1) | instskip(SKIP_1) | instid1(VALU_DEP_1)
	v_cndmask_b32_e64 v8, 0x7f800001, v8, s1
	v_cmp_ne_u16_e64 s1, 0, v5
	v_cndmask_b32_e64 v5, 0x400000, v7, s1
	v_cmp_ne_u16_e64 s1, 0, v6
	s_delay_alu instid0(VALU_DEP_1) | instskip(NEXT) | instid1(VALU_DEP_1)
	v_cndmask_b32_e64 v6, 0x400000, v8, s1
	v_cmp_eq_f32_e64 s1, v5, v6
	s_delay_alu instid0(VALU_DEP_1) | instskip(SKIP_2) | instid1(VALU_DEP_2)
	v_cndmask_b32_e64 v7, 0, 1, s1
	v_cmp_neq_f32_e64 s1, v5, v6
	v_lshrrev_b32_e32 v6, 16, v1
	v_cndmask_b32_e64 v5, 0, 1, s1
	s_delay_alu instid0(VALU_DEP_1) | instskip(NEXT) | instid1(VALU_DEP_1)
	v_cndmask_b32_e64 v5, v5, v7, s0
	v_and_b32_e32 v5, 1, v5
	s_delay_alu instid0(VALU_DEP_1) | instskip(NEXT) | instid1(VALU_DEP_1)
	v_lshlrev_b16 v5, 8, v5
	v_bitop3_b16 v5, v6, v5, 0xff bitop3:0xec
	s_delay_alu instid0(VALU_DEP_1) | instskip(NEXT) | instid1(VALU_DEP_1)
	v_lshlrev_b32_e32 v5, 16, v5
	v_and_or_b32 v1, 0xffff, v1, v5
.LBB310_51:
	s_or_b32 exec_lo, exec_lo, s2
	v_or_b32_e32 v5, 0x800, v0
	s_mov_b32 s2, exec_lo
	s_delay_alu instid0(VALU_DEP_1)
	v_cmpx_gt_i32_e64 s22, v5
	s_cbranch_execz .LBB310_53
; %bb.52:
	v_and_b32_e32 v5, 0xff, v27
	v_and_b32_e32 v6, 0xff, v26
	s_delay_alu instid0(VALU_DEP_1) | instskip(SKIP_1) | instid1(VALU_DEP_1)
	v_dual_lshlrev_b32 v7, 23, v5 :: v_dual_lshlrev_b32 v8, 23, v6
	v_cmp_ne_u16_e64 s1, 0xff, v5
	v_cndmask_b32_e64 v7, 0x7f800001, v7, s1
	v_cmp_ne_u16_e64 s1, 0xff, v6
	s_delay_alu instid0(VALU_DEP_1) | instskip(SKIP_1) | instid1(VALU_DEP_1)
	v_cndmask_b32_e64 v8, 0x7f800001, v8, s1
	v_cmp_ne_u16_e64 s1, 0, v5
	v_cndmask_b32_e64 v5, 0x400000, v7, s1
	v_cmp_ne_u16_e64 s1, 0, v6
	s_delay_alu instid0(VALU_DEP_1) | instskip(NEXT) | instid1(VALU_DEP_1)
	v_cndmask_b32_e64 v6, 0x400000, v8, s1
	v_cmp_eq_f32_e64 s1, v5, v6
	s_delay_alu instid0(VALU_DEP_1) | instskip(SKIP_2) | instid1(VALU_DEP_2)
	v_cndmask_b32_e64 v7, 0, 1, s1
	v_cmp_neq_f32_e64 s1, v5, v6
	v_and_b32_e32 v6, 0xffffff00, v4
	v_cndmask_b32_e64 v5, 0, 1, s1
	s_delay_alu instid0(VALU_DEP_1) | instskip(NEXT) | instid1(VALU_DEP_1)
	v_cndmask_b32_e64 v5, v5, v7, s0
	v_bitop3_b16 v5, v5, v6, 1 bitop3:0xec
	s_delay_alu instid0(VALU_DEP_1) | instskip(NEXT) | instid1(VALU_DEP_1)
	v_and_b32_e32 v5, 0xffff, v5
	v_and_or_b32 v4, 0xffff0000, v4, v5
.LBB310_53:
	s_or_b32 exec_lo, exec_lo, s2
	v_or_b32_e32 v5, 0x900, v0
	s_mov_b32 s2, exec_lo
	s_delay_alu instid0(VALU_DEP_1)
	v_cmpx_gt_i32_e64 s22, v5
	s_cbranch_execz .LBB310_55
; %bb.54:
	v_and_b32_e32 v5, 0xff, v25
	v_and_b32_e32 v6, 0xff, v24
	s_delay_alu instid0(VALU_DEP_1) | instskip(SKIP_1) | instid1(VALU_DEP_1)
	v_dual_lshlrev_b32 v7, 23, v5 :: v_dual_lshlrev_b32 v8, 23, v6
	v_cmp_ne_u16_e64 s1, 0xff, v5
	v_cndmask_b32_e64 v7, 0x7f800001, v7, s1
	v_cmp_ne_u16_e64 s1, 0xff, v6
	s_delay_alu instid0(VALU_DEP_1) | instskip(SKIP_1) | instid1(VALU_DEP_1)
	v_cndmask_b32_e64 v8, 0x7f800001, v8, s1
	v_cmp_ne_u16_e64 s1, 0, v5
	v_cndmask_b32_e64 v5, 0x400000, v7, s1
	v_cmp_ne_u16_e64 s1, 0, v6
	s_delay_alu instid0(VALU_DEP_1) | instskip(NEXT) | instid1(VALU_DEP_1)
	v_cndmask_b32_e64 v6, 0x400000, v8, s1
	v_cmp_eq_f32_e64 s1, v5, v6
	s_delay_alu instid0(VALU_DEP_1) | instskip(SKIP_1) | instid1(VALU_DEP_1)
	v_cndmask_b32_e64 v7, 0, 1, s1
	v_cmp_neq_f32_e64 s1, v5, v6
	v_cndmask_b32_e64 v5, 0, 1, s1
	s_delay_alu instid0(VALU_DEP_1) | instskip(NEXT) | instid1(VALU_DEP_1)
	v_cndmask_b32_e64 v5, v5, v7, s0
	v_and_b32_e32 v5, 1, v5
	s_delay_alu instid0(VALU_DEP_1) | instskip(NEXT) | instid1(VALU_DEP_1)
	v_lshlrev_b16 v5, 8, v5
	v_bitop3_b16 v5, v4, v5, 0xff bitop3:0xec
	s_delay_alu instid0(VALU_DEP_1) | instskip(NEXT) | instid1(VALU_DEP_1)
	v_and_b32_e32 v5, 0xffff, v5
	v_and_or_b32 v4, 0xffff0000, v4, v5
.LBB310_55:
	s_or_b32 exec_lo, exec_lo, s2
	v_or_b32_e32 v5, 0xa00, v0
	s_mov_b32 s2, exec_lo
	s_delay_alu instid0(VALU_DEP_1)
	v_cmpx_gt_i32_e64 s22, v5
	s_cbranch_execz .LBB310_57
; %bb.56:
	v_and_b32_e32 v5, 0xff, v23
	v_and_b32_e32 v6, 0xff, v22
	s_delay_alu instid0(VALU_DEP_1) | instskip(SKIP_1) | instid1(VALU_DEP_1)
	v_dual_lshlrev_b32 v7, 23, v5 :: v_dual_lshlrev_b32 v8, 23, v6
	v_cmp_ne_u16_e64 s1, 0xff, v5
	v_cndmask_b32_e64 v7, 0x7f800001, v7, s1
	v_cmp_ne_u16_e64 s1, 0xff, v6
	s_delay_alu instid0(VALU_DEP_1) | instskip(SKIP_1) | instid1(VALU_DEP_1)
	v_cndmask_b32_e64 v8, 0x7f800001, v8, s1
	v_cmp_ne_u16_e64 s1, 0, v5
	v_cndmask_b32_e64 v5, 0x400000, v7, s1
	v_cmp_ne_u16_e64 s1, 0, v6
	v_lshrrev_b32_e32 v7, 16, v4
	s_delay_alu instid0(VALU_DEP_2) | instskip(NEXT) | instid1(VALU_DEP_1)
	v_cndmask_b32_e64 v6, 0x400000, v8, s1
	v_cmp_eq_f32_e64 s1, v5, v6
	s_delay_alu instid0(VALU_DEP_1) | instskip(SKIP_2) | instid1(VALU_DEP_2)
	v_cndmask_b32_e64 v8, 0, 1, s1
	v_cmp_neq_f32_e64 s1, v5, v6
	v_and_b32_e32 v6, 0xffffff00, v7
	v_cndmask_b32_e64 v5, 0, 1, s1
	s_delay_alu instid0(VALU_DEP_1) | instskip(NEXT) | instid1(VALU_DEP_1)
	v_cndmask_b32_e64 v5, v5, v8, s0
	v_bitop3_b16 v5, v5, v6, 1 bitop3:0xec
	s_delay_alu instid0(VALU_DEP_1) | instskip(NEXT) | instid1(VALU_DEP_1)
	v_lshlrev_b32_e32 v5, 16, v5
	v_and_or_b32 v4, 0xffff, v4, v5
.LBB310_57:
	s_or_b32 exec_lo, exec_lo, s2
	v_or_b32_e32 v5, 0xb00, v0
	s_mov_b32 s2, exec_lo
	s_delay_alu instid0(VALU_DEP_1)
	v_cmpx_gt_i32_e64 s22, v5
	s_cbranch_execz .LBB310_59
; %bb.58:
	v_and_b32_e32 v5, 0xff, v21
	v_and_b32_e32 v6, 0xff, v20
	s_delay_alu instid0(VALU_DEP_1) | instskip(SKIP_1) | instid1(VALU_DEP_1)
	v_dual_lshlrev_b32 v7, 23, v5 :: v_dual_lshlrev_b32 v8, 23, v6
	v_cmp_ne_u16_e64 s1, 0xff, v5
	v_cndmask_b32_e64 v7, 0x7f800001, v7, s1
	v_cmp_ne_u16_e64 s1, 0xff, v6
	s_delay_alu instid0(VALU_DEP_1) | instskip(SKIP_1) | instid1(VALU_DEP_1)
	v_cndmask_b32_e64 v8, 0x7f800001, v8, s1
	v_cmp_ne_u16_e64 s1, 0, v5
	v_cndmask_b32_e64 v5, 0x400000, v7, s1
	v_cmp_ne_u16_e64 s1, 0, v6
	s_delay_alu instid0(VALU_DEP_1) | instskip(NEXT) | instid1(VALU_DEP_1)
	v_cndmask_b32_e64 v6, 0x400000, v8, s1
	v_cmp_eq_f32_e64 s1, v5, v6
	s_delay_alu instid0(VALU_DEP_1) | instskip(SKIP_2) | instid1(VALU_DEP_2)
	v_cndmask_b32_e64 v7, 0, 1, s1
	v_cmp_neq_f32_e64 s1, v5, v6
	v_lshrrev_b32_e32 v6, 16, v4
	v_cndmask_b32_e64 v5, 0, 1, s1
	s_delay_alu instid0(VALU_DEP_1) | instskip(NEXT) | instid1(VALU_DEP_1)
	v_cndmask_b32_e64 v5, v5, v7, s0
	v_and_b32_e32 v5, 1, v5
	s_delay_alu instid0(VALU_DEP_1) | instskip(NEXT) | instid1(VALU_DEP_1)
	v_lshlrev_b16 v5, 8, v5
	v_bitop3_b16 v5, v6, v5, 0xff bitop3:0xec
	s_delay_alu instid0(VALU_DEP_1) | instskip(NEXT) | instid1(VALU_DEP_1)
	v_lshlrev_b32_e32 v5, 16, v5
	v_and_or_b32 v4, 0xffff, v4, v5
.LBB310_59:
	s_or_b32 exec_lo, exec_lo, s2
	v_or_b32_e32 v5, 0xc00, v0
	s_mov_b32 s2, exec_lo
	s_delay_alu instid0(VALU_DEP_1)
	v_cmpx_gt_i32_e64 s22, v5
	s_cbranch_execz .LBB310_61
; %bb.60:
	v_and_b32_e32 v5, 0xff, v19
	v_and_b32_e32 v6, 0xff, v17
	s_delay_alu instid0(VALU_DEP_1) | instskip(SKIP_1) | instid1(VALU_DEP_1)
	v_dual_lshlrev_b32 v7, 23, v5 :: v_dual_lshlrev_b32 v8, 23, v6
	v_cmp_ne_u16_e64 s1, 0xff, v5
	v_cndmask_b32_e64 v7, 0x7f800001, v7, s1
	v_cmp_ne_u16_e64 s1, 0xff, v6
	s_delay_alu instid0(VALU_DEP_1) | instskip(SKIP_1) | instid1(VALU_DEP_1)
	v_cndmask_b32_e64 v8, 0x7f800001, v8, s1
	v_cmp_ne_u16_e64 s1, 0, v5
	v_cndmask_b32_e64 v5, 0x400000, v7, s1
	v_cmp_ne_u16_e64 s1, 0, v6
	s_delay_alu instid0(VALU_DEP_1) | instskip(NEXT) | instid1(VALU_DEP_1)
	v_cndmask_b32_e64 v6, 0x400000, v8, s1
	v_cmp_eq_f32_e64 s1, v5, v6
	s_delay_alu instid0(VALU_DEP_1) | instskip(SKIP_2) | instid1(VALU_DEP_2)
	v_cndmask_b32_e64 v7, 0, 1, s1
	v_cmp_neq_f32_e64 s1, v5, v6
	v_and_b32_e32 v6, 0xffffff00, v3
	v_cndmask_b32_e64 v5, 0, 1, s1
	s_delay_alu instid0(VALU_DEP_1) | instskip(NEXT) | instid1(VALU_DEP_1)
	v_cndmask_b32_e64 v5, v5, v7, s0
	v_bitop3_b16 v5, v5, v6, 1 bitop3:0xec
	s_delay_alu instid0(VALU_DEP_1) | instskip(NEXT) | instid1(VALU_DEP_1)
	v_and_b32_e32 v5, 0xffff, v5
	v_and_or_b32 v3, 0xffff0000, v3, v5
.LBB310_61:
	s_or_b32 exec_lo, exec_lo, s2
	v_or_b32_e32 v5, 0xd00, v0
	s_mov_b32 s2, exec_lo
	s_delay_alu instid0(VALU_DEP_1)
	v_cmpx_gt_i32_e64 s22, v5
	s_cbranch_execz .LBB310_63
; %bb.62:
	v_and_b32_e32 v5, 0xff, v18
	v_and_b32_e32 v6, 0xff, v15
	s_delay_alu instid0(VALU_DEP_1) | instskip(SKIP_1) | instid1(VALU_DEP_1)
	v_dual_lshlrev_b32 v7, 23, v5 :: v_dual_lshlrev_b32 v8, 23, v6
	v_cmp_ne_u16_e64 s1, 0xff, v5
	v_cndmask_b32_e64 v7, 0x7f800001, v7, s1
	v_cmp_ne_u16_e64 s1, 0xff, v6
	s_delay_alu instid0(VALU_DEP_1) | instskip(SKIP_1) | instid1(VALU_DEP_1)
	v_cndmask_b32_e64 v8, 0x7f800001, v8, s1
	v_cmp_ne_u16_e64 s1, 0, v5
	v_cndmask_b32_e64 v5, 0x400000, v7, s1
	v_cmp_ne_u16_e64 s1, 0, v6
	s_delay_alu instid0(VALU_DEP_1) | instskip(NEXT) | instid1(VALU_DEP_1)
	v_cndmask_b32_e64 v6, 0x400000, v8, s1
	v_cmp_eq_f32_e64 s1, v5, v6
	s_delay_alu instid0(VALU_DEP_1) | instskip(SKIP_1) | instid1(VALU_DEP_1)
	v_cndmask_b32_e64 v7, 0, 1, s1
	v_cmp_neq_f32_e64 s1, v5, v6
	v_cndmask_b32_e64 v5, 0, 1, s1
	s_delay_alu instid0(VALU_DEP_1) | instskip(NEXT) | instid1(VALU_DEP_1)
	v_cndmask_b32_e64 v5, v5, v7, s0
	v_and_b32_e32 v5, 1, v5
	s_delay_alu instid0(VALU_DEP_1) | instskip(NEXT) | instid1(VALU_DEP_1)
	v_lshlrev_b16 v5, 8, v5
	v_bitop3_b16 v5, v3, v5, 0xff bitop3:0xec
	s_delay_alu instid0(VALU_DEP_1) | instskip(NEXT) | instid1(VALU_DEP_1)
	v_and_b32_e32 v5, 0xffff, v5
	v_and_or_b32 v3, 0xffff0000, v3, v5
.LBB310_63:
	s_or_b32 exec_lo, exec_lo, s2
	v_or_b32_e32 v5, 0xe00, v0
	s_mov_b32 s2, exec_lo
	s_delay_alu instid0(VALU_DEP_1)
	v_cmpx_gt_i32_e64 s22, v5
	s_cbranch_execz .LBB310_65
; %bb.64:
	v_and_b32_e32 v5, 0xff, v16
	v_and_b32_e32 v6, 0xff, v13
	s_delay_alu instid0(VALU_DEP_1) | instskip(SKIP_1) | instid1(VALU_DEP_1)
	v_dual_lshlrev_b32 v7, 23, v5 :: v_dual_lshlrev_b32 v8, 23, v6
	v_cmp_ne_u16_e64 s1, 0xff, v5
	v_cndmask_b32_e64 v7, 0x7f800001, v7, s1
	v_cmp_ne_u16_e64 s1, 0xff, v6
	s_delay_alu instid0(VALU_DEP_1) | instskip(SKIP_1) | instid1(VALU_DEP_1)
	v_cndmask_b32_e64 v8, 0x7f800001, v8, s1
	v_cmp_ne_u16_e64 s1, 0, v5
	v_cndmask_b32_e64 v5, 0x400000, v7, s1
	v_cmp_ne_u16_e64 s1, 0, v6
	s_delay_alu instid0(VALU_DEP_1) | instskip(NEXT) | instid1(VALU_DEP_1)
	v_cndmask_b32_e64 v6, 0x400000, v8, s1
	v_cmp_eq_f32_e64 s1, v5, v6
	s_delay_alu instid0(VALU_DEP_1) | instskip(SKIP_1) | instid1(VALU_DEP_1)
	v_cndmask_b32_e64 v8, 0, 1, s1
	v_cmp_neq_f32_e64 s1, v5, v6
	v_cndmask_b32_e64 v5, 0, 1, s1
	s_delay_alu instid0(VALU_DEP_1) | instskip(NEXT) | instid1(VALU_DEP_1)
	v_dual_lshrrev_b32 v7, 16, v3 :: v_dual_cndmask_b32 v5, v5, v8, s0
	v_and_b32_e32 v6, 0xffffff00, v7
	s_delay_alu instid0(VALU_DEP_1) | instskip(NEXT) | instid1(VALU_DEP_1)
	v_bitop3_b16 v5, v5, v6, 1 bitop3:0xec
	v_lshlrev_b32_e32 v5, 16, v5
	s_delay_alu instid0(VALU_DEP_1)
	v_and_or_b32 v3, 0xffff, v3, v5
.LBB310_65:
	s_or_b32 exec_lo, exec_lo, s2
	v_or_b32_e32 v5, 0xf00, v0
	s_mov_b32 s2, exec_lo
	s_delay_alu instid0(VALU_DEP_1)
	v_cmpx_gt_i32_e64 s22, v5
	s_cbranch_execnz .LBB310_84
; %bb.66:
	s_or_b32 exec_lo, exec_lo, s2
	s_and_saveexec_b32 s0, vcc_lo
	s_delay_alu instid0(SALU_CYCLE_1)
	s_xor_b32 s0, exec_lo, s0
	s_cbranch_execnz .LBB310_85
.LBB310_67:
	s_or_b32 exec_lo, exec_lo, s0
	s_delay_alu instid0(SALU_CYCLE_1)
	s_mov_b32 s0, exec_lo
	v_cmpx_gt_i32_e64 s22, v0
	s_cbranch_execnz .LBB310_86
.LBB310_68:
	s_or_b32 exec_lo, exec_lo, s0
	s_delay_alu instid0(SALU_CYCLE_1)
	s_mov_b32 s0, exec_lo
	v_cmpx_gt_i32_e64 s22, v0
	s_cbranch_execnz .LBB310_87
.LBB310_69:
	s_or_b32 exec_lo, exec_lo, s0
	s_delay_alu instid0(SALU_CYCLE_1)
	s_mov_b32 s0, exec_lo
	v_cmpx_gt_i32_e64 s22, v0
	s_cbranch_execnz .LBB310_88
.LBB310_70:
	s_or_b32 exec_lo, exec_lo, s0
	s_delay_alu instid0(SALU_CYCLE_1)
	s_mov_b32 s0, exec_lo
	v_cmpx_gt_i32_e64 s22, v0
	s_cbranch_execnz .LBB310_89
.LBB310_71:
	s_or_b32 exec_lo, exec_lo, s0
	s_delay_alu instid0(SALU_CYCLE_1)
	s_mov_b32 s0, exec_lo
	v_cmpx_gt_i32_e64 s22, v0
	s_cbranch_execnz .LBB310_90
.LBB310_72:
	s_or_b32 exec_lo, exec_lo, s0
	s_delay_alu instid0(SALU_CYCLE_1)
	s_mov_b32 s0, exec_lo
	v_cmpx_gt_i32_e64 s22, v0
	s_cbranch_execnz .LBB310_91
.LBB310_73:
	s_or_b32 exec_lo, exec_lo, s0
	s_delay_alu instid0(SALU_CYCLE_1)
	s_mov_b32 s0, exec_lo
	v_cmpx_gt_i32_e64 s22, v0
	s_cbranch_execnz .LBB310_92
.LBB310_74:
	s_or_b32 exec_lo, exec_lo, s0
	s_delay_alu instid0(SALU_CYCLE_1)
	s_mov_b32 s0, exec_lo
	v_cmpx_gt_i32_e64 s22, v0
	s_cbranch_execnz .LBB310_93
.LBB310_75:
	s_or_b32 exec_lo, exec_lo, s0
	s_delay_alu instid0(SALU_CYCLE_1)
	s_mov_b32 s0, exec_lo
	v_cmpx_gt_i32_e64 s22, v0
	s_cbranch_execnz .LBB310_94
.LBB310_76:
	s_or_b32 exec_lo, exec_lo, s0
	s_delay_alu instid0(SALU_CYCLE_1)
	s_mov_b32 s0, exec_lo
	v_cmpx_gt_i32_e64 s22, v0
	s_cbranch_execnz .LBB310_95
.LBB310_77:
	s_or_b32 exec_lo, exec_lo, s0
	s_delay_alu instid0(SALU_CYCLE_1)
	s_mov_b32 s0, exec_lo
	v_cmpx_gt_i32_e64 s22, v0
	s_cbranch_execnz .LBB310_96
.LBB310_78:
	s_or_b32 exec_lo, exec_lo, s0
	s_delay_alu instid0(SALU_CYCLE_1)
	s_mov_b32 s0, exec_lo
	v_cmpx_gt_i32_e64 s22, v0
	s_cbranch_execnz .LBB310_97
.LBB310_79:
	s_or_b32 exec_lo, exec_lo, s0
	s_delay_alu instid0(SALU_CYCLE_1)
	s_mov_b32 s0, exec_lo
	v_cmpx_gt_i32_e64 s22, v0
	s_cbranch_execnz .LBB310_98
.LBB310_80:
	s_or_b32 exec_lo, exec_lo, s0
	s_delay_alu instid0(SALU_CYCLE_1)
	s_mov_b32 s0, exec_lo
	v_cmpx_gt_i32_e64 s22, v0
	s_cbranch_execnz .LBB310_99
.LBB310_81:
	s_or_b32 exec_lo, exec_lo, s0
	s_delay_alu instid0(SALU_CYCLE_1)
	s_mov_b32 s0, exec_lo
	v_cmpx_gt_i32_e64 s22, v0
	s_cbranch_execz .LBB310_83
.LBB310_82:
	v_dual_lshrrev_b32 v1, 24, v3 :: v_dual_add_nc_u32 v0, s14, v0
	global_store_b8 v0, v1, s[16:17]
.LBB310_83:
	s_endpgm
.LBB310_84:
	v_and_b32_e32 v5, 0xff, v14
	v_and_b32_e32 v6, 0xff, v12
	s_delay_alu instid0(VALU_DEP_1) | instskip(SKIP_1) | instid1(VALU_DEP_1)
	v_dual_lshlrev_b32 v7, 23, v5 :: v_dual_lshlrev_b32 v8, 23, v6
	v_cmp_ne_u16_e64 s1, 0xff, v5
	v_cndmask_b32_e64 v7, 0x7f800001, v7, s1
	v_cmp_ne_u16_e64 s1, 0xff, v6
	s_delay_alu instid0(VALU_DEP_1) | instskip(SKIP_1) | instid1(VALU_DEP_1)
	v_cndmask_b32_e64 v8, 0x7f800001, v8, s1
	v_cmp_ne_u16_e64 s1, 0, v5
	v_cndmask_b32_e64 v5, 0x400000, v7, s1
	v_cmp_ne_u16_e64 s1, 0, v6
	s_delay_alu instid0(VALU_DEP_1) | instskip(NEXT) | instid1(VALU_DEP_1)
	v_cndmask_b32_e64 v6, 0x400000, v8, s1
	v_cmp_eq_f32_e64 s1, v5, v6
	s_delay_alu instid0(VALU_DEP_1) | instskip(SKIP_2) | instid1(VALU_DEP_2)
	v_cndmask_b32_e64 v7, 0, 1, s1
	v_cmp_neq_f32_e64 s1, v5, v6
	v_lshrrev_b32_e32 v6, 16, v3
	v_cndmask_b32_e64 v5, 0, 1, s1
	s_delay_alu instid0(VALU_DEP_1) | instskip(NEXT) | instid1(VALU_DEP_1)
	v_cndmask_b32_e64 v5, v5, v7, s0
	v_and_b32_e32 v5, 1, v5
	s_delay_alu instid0(VALU_DEP_1) | instskip(NEXT) | instid1(VALU_DEP_1)
	v_lshlrev_b16 v5, 8, v5
	v_bitop3_b16 v5, v6, v5, 0xff bitop3:0xec
	s_delay_alu instid0(VALU_DEP_1) | instskip(NEXT) | instid1(VALU_DEP_1)
	v_lshlrev_b32_e32 v5, 16, v5
	v_and_or_b32 v3, 0xffff, v3, v5
	s_or_b32 exec_lo, exec_lo, s2
	s_and_saveexec_b32 s0, vcc_lo
	s_delay_alu instid0(SALU_CYCLE_1)
	s_xor_b32 s0, exec_lo, s0
	s_cbranch_execz .LBB310_67
.LBB310_85:
	v_mov_b32_e32 v0, v11
	global_store_b8 v10, v2, s[16:17]
	s_wait_xcnt 0x0
	s_or_b32 exec_lo, exec_lo, s0
	s_delay_alu instid0(SALU_CYCLE_1)
	s_mov_b32 s0, exec_lo
	v_cmpx_gt_i32_e64 s22, v0
	s_cbranch_execz .LBB310_68
.LBB310_86:
	v_dual_lshrrev_b32 v5, 8, v2 :: v_dual_add_nc_u32 v6, s14, v0
	v_add_nc_u32_e32 v0, 0x100, v0
	global_store_b8 v6, v5, s[16:17]
	s_wait_xcnt 0x0
	s_or_b32 exec_lo, exec_lo, s0
	s_delay_alu instid0(SALU_CYCLE_1)
	s_mov_b32 s0, exec_lo
	v_cmpx_gt_i32_e64 s22, v0
	s_cbranch_execz .LBB310_69
.LBB310_87:
	v_add_nc_u32_e32 v5, s14, v0
	v_add_nc_u32_e32 v0, 0x100, v0
	global_store_d16_hi_b8 v5, v2, s[16:17]
	s_wait_xcnt 0x0
	s_or_b32 exec_lo, exec_lo, s0
	s_delay_alu instid0(SALU_CYCLE_1)
	s_mov_b32 s0, exec_lo
	v_cmpx_gt_i32_e64 s22, v0
	s_cbranch_execz .LBB310_70
.LBB310_88:
	v_dual_lshrrev_b32 v2, 24, v2 :: v_dual_add_nc_u32 v5, s14, v0
	v_add_nc_u32_e32 v0, 0x100, v0
	global_store_b8 v5, v2, s[16:17]
	s_wait_xcnt 0x0
	s_or_b32 exec_lo, exec_lo, s0
	s_delay_alu instid0(SALU_CYCLE_1)
	s_mov_b32 s0, exec_lo
	v_cmpx_gt_i32_e64 s22, v0
	s_cbranch_execz .LBB310_71
.LBB310_89:
	v_add_nc_u32_e32 v2, s14, v0
	v_add_nc_u32_e32 v0, 0x100, v0
	global_store_b8 v2, v1, s[16:17]
	s_wait_xcnt 0x0
	s_or_b32 exec_lo, exec_lo, s0
	s_delay_alu instid0(SALU_CYCLE_1)
	s_mov_b32 s0, exec_lo
	v_cmpx_gt_i32_e64 s22, v0
	s_cbranch_execz .LBB310_72
.LBB310_90:
	v_dual_lshrrev_b32 v2, 8, v1 :: v_dual_add_nc_u32 v5, s14, v0
	v_add_nc_u32_e32 v0, 0x100, v0
	global_store_b8 v5, v2, s[16:17]
	s_wait_xcnt 0x0
	s_or_b32 exec_lo, exec_lo, s0
	s_delay_alu instid0(SALU_CYCLE_1)
	s_mov_b32 s0, exec_lo
	v_cmpx_gt_i32_e64 s22, v0
	s_cbranch_execz .LBB310_73
.LBB310_91:
	v_add_nc_u32_e32 v2, s14, v0
	v_add_nc_u32_e32 v0, 0x100, v0
	global_store_d16_hi_b8 v2, v1, s[16:17]
	s_wait_xcnt 0x0
	s_or_b32 exec_lo, exec_lo, s0
	s_delay_alu instid0(SALU_CYCLE_1)
	s_mov_b32 s0, exec_lo
	v_cmpx_gt_i32_e64 s22, v0
	s_cbranch_execz .LBB310_74
.LBB310_92:
	v_dual_lshrrev_b32 v1, 24, v1 :: v_dual_add_nc_u32 v2, s14, v0
	v_add_nc_u32_e32 v0, 0x100, v0
	global_store_b8 v2, v1, s[16:17]
	s_wait_xcnt 0x0
	s_or_b32 exec_lo, exec_lo, s0
	s_delay_alu instid0(SALU_CYCLE_1)
	s_mov_b32 s0, exec_lo
	v_cmpx_gt_i32_e64 s22, v0
	s_cbranch_execz .LBB310_75
.LBB310_93:
	v_add_nc_u32_e32 v1, s14, v0
	v_add_nc_u32_e32 v0, 0x100, v0
	global_store_b8 v1, v4, s[16:17]
	s_wait_xcnt 0x0
	s_or_b32 exec_lo, exec_lo, s0
	s_delay_alu instid0(SALU_CYCLE_1)
	s_mov_b32 s0, exec_lo
	v_cmpx_gt_i32_e64 s22, v0
	s_cbranch_execz .LBB310_76
.LBB310_94:
	v_lshrrev_b32_e32 v1, 8, v4
	v_add_nc_u32_e32 v2, s14, v0
	v_add_nc_u32_e32 v0, 0x100, v0
	global_store_b8 v2, v1, s[16:17]
	s_wait_xcnt 0x0
	s_or_b32 exec_lo, exec_lo, s0
	s_delay_alu instid0(SALU_CYCLE_1)
	s_mov_b32 s0, exec_lo
	v_cmpx_gt_i32_e64 s22, v0
	s_cbranch_execz .LBB310_77
.LBB310_95:
	v_add_nc_u32_e32 v1, s14, v0
	v_add_nc_u32_e32 v0, 0x100, v0
	global_store_d16_hi_b8 v1, v4, s[16:17]
	s_wait_xcnt 0x0
	s_or_b32 exec_lo, exec_lo, s0
	s_delay_alu instid0(SALU_CYCLE_1)
	s_mov_b32 s0, exec_lo
	v_cmpx_gt_i32_e64 s22, v0
	s_cbranch_execz .LBB310_78
.LBB310_96:
	v_lshrrev_b32_e32 v1, 24, v4
	v_add_nc_u32_e32 v2, s14, v0
	v_add_nc_u32_e32 v0, 0x100, v0
	global_store_b8 v2, v1, s[16:17]
	s_wait_xcnt 0x0
	s_or_b32 exec_lo, exec_lo, s0
	s_delay_alu instid0(SALU_CYCLE_1)
	s_mov_b32 s0, exec_lo
	v_cmpx_gt_i32_e64 s22, v0
	s_cbranch_execz .LBB310_79
.LBB310_97:
	v_add_nc_u32_e32 v1, s14, v0
	v_add_nc_u32_e32 v0, 0x100, v0
	global_store_b8 v1, v3, s[16:17]
	s_wait_xcnt 0x0
	s_or_b32 exec_lo, exec_lo, s0
	s_delay_alu instid0(SALU_CYCLE_1)
	s_mov_b32 s0, exec_lo
	v_cmpx_gt_i32_e64 s22, v0
	s_cbranch_execz .LBB310_80
.LBB310_98:
	v_dual_lshrrev_b32 v1, 8, v3 :: v_dual_add_nc_u32 v2, s14, v0
	v_add_nc_u32_e32 v0, 0x100, v0
	global_store_b8 v2, v1, s[16:17]
	s_wait_xcnt 0x0
	s_or_b32 exec_lo, exec_lo, s0
	s_delay_alu instid0(SALU_CYCLE_1)
	s_mov_b32 s0, exec_lo
	v_cmpx_gt_i32_e64 s22, v0
	s_cbranch_execz .LBB310_81
.LBB310_99:
	v_add_nc_u32_e32 v1, s14, v0
	v_add_nc_u32_e32 v0, 0x100, v0
	global_store_d16_hi_b8 v1, v3, s[16:17]
	s_wait_xcnt 0x0
	s_or_b32 exec_lo, exec_lo, s0
	s_delay_alu instid0(SALU_CYCLE_1)
	s_mov_b32 s0, exec_lo
	v_cmpx_gt_i32_e64 s22, v0
	s_cbranch_execnz .LBB310_82
	s_branch .LBB310_83
	.section	.rodata,"a",@progbits
	.p2align	6, 0x0
	.amdhsa_kernel _ZN2at6native29vectorized_elementwise_kernelILi8ENS0_13BinaryFunctorIN3c1014Float8_e8m0fnuES4_bNS0_12_GLOBAL__N_116CompareEqFunctorIS4_EEEESt5arrayIPcLm3EEEEviT0_T1_
		.amdhsa_group_segment_fixed_size 0
		.amdhsa_private_segment_fixed_size 0
		.amdhsa_kernarg_size 32
		.amdhsa_user_sgpr_count 2
		.amdhsa_user_sgpr_dispatch_ptr 0
		.amdhsa_user_sgpr_queue_ptr 0
		.amdhsa_user_sgpr_kernarg_segment_ptr 1
		.amdhsa_user_sgpr_dispatch_id 0
		.amdhsa_user_sgpr_kernarg_preload_length 0
		.amdhsa_user_sgpr_kernarg_preload_offset 0
		.amdhsa_user_sgpr_private_segment_size 0
		.amdhsa_wavefront_size32 1
		.amdhsa_uses_dynamic_stack 0
		.amdhsa_enable_private_segment 0
		.amdhsa_system_sgpr_workgroup_id_x 1
		.amdhsa_system_sgpr_workgroup_id_y 0
		.amdhsa_system_sgpr_workgroup_id_z 0
		.amdhsa_system_sgpr_workgroup_info 0
		.amdhsa_system_vgpr_workitem_id 0
		.amdhsa_next_free_vgpr 60
		.amdhsa_next_free_sgpr 23
		.amdhsa_named_barrier_count 0
		.amdhsa_reserve_vcc 1
		.amdhsa_float_round_mode_32 0
		.amdhsa_float_round_mode_16_64 0
		.amdhsa_float_denorm_mode_32 3
		.amdhsa_float_denorm_mode_16_64 3
		.amdhsa_fp16_overflow 0
		.amdhsa_memory_ordered 1
		.amdhsa_forward_progress 1
		.amdhsa_inst_pref_size 81
		.amdhsa_round_robin_scheduling 0
		.amdhsa_exception_fp_ieee_invalid_op 0
		.amdhsa_exception_fp_denorm_src 0
		.amdhsa_exception_fp_ieee_div_zero 0
		.amdhsa_exception_fp_ieee_overflow 0
		.amdhsa_exception_fp_ieee_underflow 0
		.amdhsa_exception_fp_ieee_inexact 0
		.amdhsa_exception_int_div_zero 0
	.end_amdhsa_kernel
	.section	.text._ZN2at6native29vectorized_elementwise_kernelILi8ENS0_13BinaryFunctorIN3c1014Float8_e8m0fnuES4_bNS0_12_GLOBAL__N_116CompareEqFunctorIS4_EEEESt5arrayIPcLm3EEEEviT0_T1_,"axG",@progbits,_ZN2at6native29vectorized_elementwise_kernelILi8ENS0_13BinaryFunctorIN3c1014Float8_e8m0fnuES4_bNS0_12_GLOBAL__N_116CompareEqFunctorIS4_EEEESt5arrayIPcLm3EEEEviT0_T1_,comdat
.Lfunc_end310:
	.size	_ZN2at6native29vectorized_elementwise_kernelILi8ENS0_13BinaryFunctorIN3c1014Float8_e8m0fnuES4_bNS0_12_GLOBAL__N_116CompareEqFunctorIS4_EEEESt5arrayIPcLm3EEEEviT0_T1_, .Lfunc_end310-_ZN2at6native29vectorized_elementwise_kernelILi8ENS0_13BinaryFunctorIN3c1014Float8_e8m0fnuES4_bNS0_12_GLOBAL__N_116CompareEqFunctorIS4_EEEESt5arrayIPcLm3EEEEviT0_T1_
                                        ; -- End function
	.set _ZN2at6native29vectorized_elementwise_kernelILi8ENS0_13BinaryFunctorIN3c1014Float8_e8m0fnuES4_bNS0_12_GLOBAL__N_116CompareEqFunctorIS4_EEEESt5arrayIPcLm3EEEEviT0_T1_.num_vgpr, 60
	.set _ZN2at6native29vectorized_elementwise_kernelILi8ENS0_13BinaryFunctorIN3c1014Float8_e8m0fnuES4_bNS0_12_GLOBAL__N_116CompareEqFunctorIS4_EEEESt5arrayIPcLm3EEEEviT0_T1_.num_agpr, 0
	.set _ZN2at6native29vectorized_elementwise_kernelILi8ENS0_13BinaryFunctorIN3c1014Float8_e8m0fnuES4_bNS0_12_GLOBAL__N_116CompareEqFunctorIS4_EEEESt5arrayIPcLm3EEEEviT0_T1_.numbered_sgpr, 23
	.set _ZN2at6native29vectorized_elementwise_kernelILi8ENS0_13BinaryFunctorIN3c1014Float8_e8m0fnuES4_bNS0_12_GLOBAL__N_116CompareEqFunctorIS4_EEEESt5arrayIPcLm3EEEEviT0_T1_.num_named_barrier, 0
	.set _ZN2at6native29vectorized_elementwise_kernelILi8ENS0_13BinaryFunctorIN3c1014Float8_e8m0fnuES4_bNS0_12_GLOBAL__N_116CompareEqFunctorIS4_EEEESt5arrayIPcLm3EEEEviT0_T1_.private_seg_size, 0
	.set _ZN2at6native29vectorized_elementwise_kernelILi8ENS0_13BinaryFunctorIN3c1014Float8_e8m0fnuES4_bNS0_12_GLOBAL__N_116CompareEqFunctorIS4_EEEESt5arrayIPcLm3EEEEviT0_T1_.uses_vcc, 1
	.set _ZN2at6native29vectorized_elementwise_kernelILi8ENS0_13BinaryFunctorIN3c1014Float8_e8m0fnuES4_bNS0_12_GLOBAL__N_116CompareEqFunctorIS4_EEEESt5arrayIPcLm3EEEEviT0_T1_.uses_flat_scratch, 0
	.set _ZN2at6native29vectorized_elementwise_kernelILi8ENS0_13BinaryFunctorIN3c1014Float8_e8m0fnuES4_bNS0_12_GLOBAL__N_116CompareEqFunctorIS4_EEEESt5arrayIPcLm3EEEEviT0_T1_.has_dyn_sized_stack, 0
	.set _ZN2at6native29vectorized_elementwise_kernelILi8ENS0_13BinaryFunctorIN3c1014Float8_e8m0fnuES4_bNS0_12_GLOBAL__N_116CompareEqFunctorIS4_EEEESt5arrayIPcLm3EEEEviT0_T1_.has_recursion, 0
	.set _ZN2at6native29vectorized_elementwise_kernelILi8ENS0_13BinaryFunctorIN3c1014Float8_e8m0fnuES4_bNS0_12_GLOBAL__N_116CompareEqFunctorIS4_EEEESt5arrayIPcLm3EEEEviT0_T1_.has_indirect_call, 0
	.section	.AMDGPU.csdata,"",@progbits
; Kernel info:
; codeLenInByte = 10288
; TotalNumSgprs: 25
; NumVgprs: 60
; ScratchSize: 0
; MemoryBound: 0
; FloatMode: 240
; IeeeMode: 1
; LDSByteSize: 0 bytes/workgroup (compile time only)
; SGPRBlocks: 0
; VGPRBlocks: 3
; NumSGPRsForWavesPerEU: 25
; NumVGPRsForWavesPerEU: 60
; NamedBarCnt: 0
; Occupancy: 16
; WaveLimiterHint : 1
; COMPUTE_PGM_RSRC2:SCRATCH_EN: 0
; COMPUTE_PGM_RSRC2:USER_SGPR: 2
; COMPUTE_PGM_RSRC2:TRAP_HANDLER: 0
; COMPUTE_PGM_RSRC2:TGID_X_EN: 1
; COMPUTE_PGM_RSRC2:TGID_Y_EN: 0
; COMPUTE_PGM_RSRC2:TGID_Z_EN: 0
; COMPUTE_PGM_RSRC2:TIDIG_COMP_CNT: 0
	.section	.text._ZN2at6native29vectorized_elementwise_kernelILi4ENS0_13BinaryFunctorIN3c1014Float8_e8m0fnuES4_bNS0_12_GLOBAL__N_116CompareEqFunctorIS4_EEEESt5arrayIPcLm3EEEEviT0_T1_,"axG",@progbits,_ZN2at6native29vectorized_elementwise_kernelILi4ENS0_13BinaryFunctorIN3c1014Float8_e8m0fnuES4_bNS0_12_GLOBAL__N_116CompareEqFunctorIS4_EEEESt5arrayIPcLm3EEEEviT0_T1_,comdat
	.globl	_ZN2at6native29vectorized_elementwise_kernelILi4ENS0_13BinaryFunctorIN3c1014Float8_e8m0fnuES4_bNS0_12_GLOBAL__N_116CompareEqFunctorIS4_EEEESt5arrayIPcLm3EEEEviT0_T1_ ; -- Begin function _ZN2at6native29vectorized_elementwise_kernelILi4ENS0_13BinaryFunctorIN3c1014Float8_e8m0fnuES4_bNS0_12_GLOBAL__N_116CompareEqFunctorIS4_EEEESt5arrayIPcLm3EEEEviT0_T1_
	.p2align	8
	.type	_ZN2at6native29vectorized_elementwise_kernelILi4ENS0_13BinaryFunctorIN3c1014Float8_e8m0fnuES4_bNS0_12_GLOBAL__N_116CompareEqFunctorIS4_EEEESt5arrayIPcLm3EEEEviT0_T1_,@function
_ZN2at6native29vectorized_elementwise_kernelILi4ENS0_13BinaryFunctorIN3c1014Float8_e8m0fnuES4_bNS0_12_GLOBAL__N_116CompareEqFunctorIS4_EEEESt5arrayIPcLm3EEEEviT0_T1_: ; @_ZN2at6native29vectorized_elementwise_kernelILi4ENS0_13BinaryFunctorIN3c1014Float8_e8m0fnuES4_bNS0_12_GLOBAL__N_116CompareEqFunctorIS4_EEEESt5arrayIPcLm3EEEEviT0_T1_
; %bb.0:
	s_clause 0x2
	s_load_b64 s[12:13], s[0:1], 0x0
	s_load_b128 s[16:19], s[0:1], 0x8
	s_load_b64 s[20:21], s[0:1], 0x18
	s_wait_xcnt 0x0
	s_bfe_u32 s0, ttmp6, 0x4000c
	s_and_b32 s1, ttmp6, 15
	s_add_co_i32 s0, s0, 1
	s_getreg_b32 s2, hwreg(HW_REG_IB_STS2, 6, 4)
	s_mul_i32 s0, ttmp9, s0
	s_delay_alu instid0(SALU_CYCLE_1) | instskip(SKIP_2) | instid1(SALU_CYCLE_1)
	s_add_co_i32 s1, s1, s0
	s_cmp_eq_u32 s2, 0
	s_cselect_b32 s0, ttmp9, s1
	s_lshl_b32 s14, s0, 12
	s_mov_b32 s0, -1
	s_wait_kmcnt 0x0
	s_sub_co_i32 s22, s12, s14
	s_delay_alu instid0(SALU_CYCLE_1)
	s_cmp_gt_i32 s22, 0xfff
	s_cbranch_scc0 .LBB311_2
; %bb.1:
	s_ashr_i32 s15, s14, 31
	s_cmp_eq_u32 s13, 0
	s_add_nc_u64 s[0:1], s[18:19], s[14:15]
	s_clause 0x3
	global_load_b32 v1, v0, s[0:1] scale_offset
	global_load_b32 v2, v0, s[0:1] offset:1024 scale_offset
	global_load_b32 v3, v0, s[0:1] offset:2048 scale_offset
	;; [unrolled: 1-line block ×3, first 2 shown]
	s_wait_xcnt 0x0
	s_add_nc_u64 s[0:1], s[20:21], s[14:15]
	s_clause 0x3
	global_load_b32 v5, v0, s[0:1] scale_offset
	global_load_b32 v6, v0, s[0:1] offset:1024 scale_offset
	global_load_b32 v7, v0, s[0:1] offset:2048 scale_offset
	;; [unrolled: 1-line block ×3, first 2 shown]
	s_wait_loadcnt 0x7
	v_dual_lshlrev_b32 v37, 7, v1 :: v_dual_lshrrev_b32 v39, 24, v1
	v_dual_lshrrev_b32 v10, 8, v1 :: v_dual_lshrrev_b32 v11, 16, v1
	s_wait_loadcnt 0x3
	v_dual_lshrrev_b32 v22, 8, v5 :: v_dual_lshrrev_b32 v23, 16, v5
	v_dual_lshlrev_b32 v34, 23, v5 :: v_dual_lshlrev_b32 v36, 15, v5
	v_and_b32_e32 v12, 0xff, v2
	s_delay_alu instid0(VALU_DEP_3)
	v_and_b32_e32 v22, 0xff, v22
	v_dual_lshlrev_b32 v41, 23, v2 :: v_dual_lshlrev_b32 v43, 15, v2
	v_dual_lshrrev_b32 v57, 24, v4 :: v_dual_lshlrev_b32 v59, 23, v39
	v_cmp_ne_u32_e32 vcc_lo, 0xff, v39
	v_and_b32_e32 v36, 0x7f800000, v36
	v_cmp_ne_u16_e64 s10, 0xff, v22
	v_dual_lshrrev_b32 v13, 8, v2 :: v_dual_lshrrev_b32 v14, 16, v2
	s_wait_loadcnt 0x2
	v_and_b32_e32 v24, 0xff, v6
	v_dual_lshlrev_b32 v42, 23, v6 :: v_dual_lshlrev_b32 v44, 15, v6
	v_and_b32_e32 v11, 0xff, v11
	v_cndmask_b32_e64 v36, 0x7f800001, v36, s10
	v_cmp_ne_u16_e64 s10, 0, v22
	v_dual_cndmask_b32 v59, 0x7f800001, v59 :: v_dual_lshlrev_b32 v22, 7, v4
	v_and_b32_e32 v41, 0x7f800000, v41
	v_cmp_ne_u16_e32 vcc_lo, 0xff, v12
	v_dual_lshrrev_b32 v25, 8, v6 :: v_dual_lshrrev_b32 v26, 16, v6
	v_and_b32_e32 v37, 0x7f800000, v37
	v_cmp_ne_u16_e64 s11, 0xff, v11
	v_and_b32_e32 v13, 0xff, v13
	v_and_b32_e32 v42, 0x7f800000, v42
	v_cndmask_b32_e32 v41, 0x7f800001, v41, vcc_lo
	v_cmp_ne_u16_e32 vcc_lo, 0xff, v24
	v_cndmask_b32_e64 v37, 0x7f800001, v37, s11
	v_cmp_ne_u16_e64 s11, 0, v11
	s_wait_loadcnt 0x0
	v_lshlrev_b32_e32 v11, 7, v8
	v_and_b32_e32 v25, 0xff, v25
	v_and_b32_e32 v43, 0x7f800000, v43
	v_cndmask_b32_e32 v42, 0x7f800001, v42, vcc_lo
	v_cmp_ne_u16_e32 vcc_lo, 0xff, v13
	v_dual_lshlrev_b32 v45, 7, v2 :: v_dual_lshrrev_b32 v47, 24, v2
	v_and_b32_e32 v14, 0xff, v14
	v_and_b32_e32 v44, 0x7f800000, v44
	v_cndmask_b32_e32 v43, 0x7f800001, v43, vcc_lo
	v_cmp_ne_u16_e32 vcc_lo, 0xff, v25
	v_dual_lshlrev_b32 v46, 7, v6 :: v_dual_lshrrev_b32 v48, 24, v6
	v_and_b32_e32 v26, 0xff, v26
	v_and_b32_e32 v45, 0x7f800000, v45
	v_cndmask_b32_e32 v44, 0x7f800001, v44, vcc_lo
	v_cmp_ne_u16_e32 vcc_lo, 0xff, v14
	v_and_b32_e32 v15, 0xff, v3
	v_dual_lshlrev_b32 v49, 23, v3 :: v_dual_lshlrev_b32 v51, 15, v3
	v_and_b32_e32 v46, 0x7f800000, v46
	v_cndmask_b32_e32 v45, 0x7f800001, v45, vcc_lo
	v_cmp_ne_u16_e32 vcc_lo, 0xff, v26
	v_dual_lshrrev_b32 v16, 8, v3 :: v_dual_lshrrev_b32 v17, 16, v3
	v_and_b32_e32 v27, 0xff, v7
	v_dual_lshlrev_b32 v50, 23, v7 :: v_dual_lshlrev_b32 v52, 15, v7
	v_and_b32_e32 v49, 0x7f800000, v49
	v_cndmask_b32_e32 v46, 0x7f800001, v46, vcc_lo
	v_cmp_ne_u16_e32 vcc_lo, 0xff, v15
	v_dual_lshrrev_b32 v28, 8, v7 :: v_dual_lshrrev_b32 v29, 16, v7
	v_and_b32_e32 v16, 0xff, v16
	v_and_b32_e32 v50, 0x7f800000, v50
	v_cndmask_b32_e32 v49, 0x7f800001, v49, vcc_lo
	v_cmp_ne_u16_e32 vcc_lo, 0xff, v27
	v_and_b32_e32 v28, 0xff, v28
	v_and_b32_e32 v51, 0x7f800000, v51
	v_dual_lshlrev_b32 v53, 7, v3 :: v_dual_lshrrev_b32 v55, 24, v3
	v_cndmask_b32_e32 v50, 0x7f800001, v50, vcc_lo
	v_cmp_ne_u16_e32 vcc_lo, 0xff, v16
	v_and_b32_e32 v17, 0xff, v17
	v_and_b32_e32 v52, 0x7f800000, v52
	;; [unrolled: 1-line block ×4, first 2 shown]
	v_cndmask_b32_e32 v51, 0x7f800001, v51, vcc_lo
	v_cmp_ne_u16_e32 vcc_lo, 0xff, v28
	v_dual_lshlrev_b32 v33, 23, v1 :: v_dual_lshlrev_b32 v35, 15, v1
	v_dual_lshlrev_b32 v38, 7, v5 :: v_dual_lshrrev_b32 v40, 24, v5
	v_dual_lshlrev_b32 v54, 7, v7 :: v_dual_lshrrev_b32 v56, 24, v7
	v_lshrrev_b32_e32 v58, 24, v8
	v_and_b32_e32 v29, 0xff, v29
	v_and_b32_e32 v53, 0x7f800000, v53
	v_cndmask_b32_e32 v52, 0x7f800001, v52, vcc_lo
	v_cmp_ne_u16_e32 vcc_lo, 0xff, v17
	v_and_b32_e32 v18, 0xff, v4
	v_and_b32_e32 v33, 0x7f800000, v33
	v_lshlrev_b32_e32 v39, 23, v40
	v_cmp_ne_u32_e64 s0, 0xff, v40
	v_lshlrev_b32_e32 v40, 23, v47
	v_cmp_ne_u32_e64 s1, 0xff, v47
	;; [unrolled: 2-line block ×7, first 2 shown]
	v_lshlrev_b32_e32 v58, 23, v4
	v_and_b32_e32 v34, 0x7f800000, v34
	v_cmp_ne_u16_e64 s7, 0xff, v9
	v_and_b32_e32 v10, 0xff, v10
	v_cmp_ne_u16_e64 s8, 0xff, v21
	v_and_b32_e32 v54, 0x7f800000, v54
	v_cndmask_b32_e32 v53, 0x7f800001, v53, vcc_lo
	v_cmp_ne_u16_e32 vcc_lo, 0xff, v29
	v_dual_lshrrev_b32 v19, 8, v4 :: v_dual_lshrrev_b32 v20, 16, v4
	v_and_b32_e32 v30, 0xff, v8
	v_cndmask_b32_e64 v33, 0x7f800001, v33, s7
	v_cmp_ne_u16_e64 s7, 0, v9
	v_lshlrev_b32_e32 v9, 23, v8
	v_and_b32_e32 v35, 0x7f800000, v35
	v_cndmask_b32_e64 v34, 0x7f800001, v34, s8
	v_cmp_ne_u16_e64 s8, 0, v21
	v_lshlrev_b32_e32 v21, 15, v4
	v_cmp_ne_u16_e64 s9, 0xff, v10
	v_and_b32_e32 v58, 0x7f800000, v58
	v_cndmask_b32_e32 v54, 0x7f800001, v54, vcc_lo
	v_cmp_ne_u16_e32 vcc_lo, 0xff, v18
	v_dual_lshrrev_b32 v31, 8, v8 :: v_dual_lshrrev_b32 v32, 16, v8
	v_cndmask_b32_e64 v35, 0x7f800001, v35, s9
	v_cmp_ne_u16_e64 s9, 0, v10
	v_lshlrev_b32_e32 v10, 15, v8
	v_and_b32_e32 v19, 0xff, v19
	v_and_b32_e32 v9, 0x7f800000, v9
	v_cndmask_b32_e32 v58, 0x7f800001, v58, vcc_lo
	v_cmp_ne_u16_e32 vcc_lo, 0xff, v30
	v_and_b32_e32 v31, 0xff, v31
	v_and_b32_e32 v21, 0x7f800000, v21
	;; [unrolled: 1-line block ×4, first 2 shown]
	v_cndmask_b32_e32 v9, 0x7f800001, v9, vcc_lo
	v_cmp_ne_u16_e32 vcc_lo, 0xff, v19
	v_and_b32_e32 v23, 0xff, v23
	v_and_b32_e32 v32, 0xff, v32
	;; [unrolled: 1-line block ×4, first 2 shown]
	v_cndmask_b32_e32 v21, 0x7f800001, v21, vcc_lo
	v_cmp_ne_u16_e32 vcc_lo, 0xff, v31
	v_and_b32_e32 v11, 0x7f800000, v11
	v_cmp_ne_u16_e64 s12, 0xff, v23
	v_cndmask_b32_e64 v39, 0x7f800001, v39, s0
	v_cndmask_b32_e64 v47, 0x7f800001, v47, s2
	v_cndmask_b32_e32 v10, 0x7f800001, v10, vcc_lo
	v_cmp_ne_u16_e32 vcc_lo, 0xff, v20
	v_cndmask_b32_e64 v38, 0x7f800001, v38, s12
	v_cndmask_b32_e64 v40, 0x7f800001, v40, s1
	v_cndmask_b32_e64 v55, 0x7f800001, v55, s4
	v_cndmask_b32_e64 v48, 0x7f800001, v48, s3
	v_cndmask_b32_e32 v22, 0x7f800001, v22, vcc_lo
	v_cmp_ne_u16_e32 vcc_lo, 0xff, v32
	v_cndmask_b32_e64 v57, 0x7f800001, v57, s6
	v_cndmask_b32_e64 v56, 0x7f800001, v56, s5
	;; [unrolled: 6-line block ×3, first 2 shown]
	v_cndmask_b32_e64 v37, 0x400000, v37, s11
	s_add_nc_u64 s[2:3], s[16:17], s[14:15]
	v_cndmask_b32_e32 v23, 0x400000, v38, vcc_lo
	v_cmp_lt_u32_e32 vcc_lo, 0xffffff, v5
	s_mov_b32 s0, 0
	v_cndmask_b32_e32 v5, 0x400000, v39, vcc_lo
	v_cmp_lt_u32_e32 vcc_lo, 0xffffff, v1
	v_cndmask_b32_e32 v1, 0x400000, v59, vcc_lo
	v_cmp_ne_u16_e32 vcc_lo, 0, v12
	v_cndmask_b32_e32 v12, 0x400000, v41, vcc_lo
	v_cmp_ne_u16_e32 vcc_lo, 0, v24
	v_cndmask_b32_e32 v24, 0x400000, v42, vcc_lo
	v_cmp_ne_u16_e32 vcc_lo, 0, v13
	v_cndmask_b32_e32 v13, 0x400000, v43, vcc_lo
	v_cmp_ne_u16_e32 vcc_lo, 0, v25
	v_cndmask_b32_e32 v25, 0x400000, v44, vcc_lo
	v_cmp_ne_u16_e32 vcc_lo, 0, v14
	v_cndmask_b32_e32 v14, 0x400000, v45, vcc_lo
	v_cmp_ne_u16_e32 vcc_lo, 0, v26
	v_cndmask_b32_e32 v26, 0x400000, v46, vcc_lo
	v_cmp_lt_u32_e32 vcc_lo, 0xffffff, v6
	v_cndmask_b32_e32 v6, 0x400000, v47, vcc_lo
	v_cmp_lt_u32_e32 vcc_lo, 0xffffff, v2
	v_cndmask_b32_e32 v2, 0x400000, v40, vcc_lo
	v_cmp_ne_u16_e32 vcc_lo, 0, v15
	v_cndmask_b32_e32 v15, 0x400000, v49, vcc_lo
	v_cmp_ne_u16_e32 vcc_lo, 0, v27
	v_cndmask_b32_e32 v27, 0x400000, v50, vcc_lo
	v_cmp_ne_u16_e32 vcc_lo, 0, v16
	v_cndmask_b32_e32 v16, 0x400000, v51, vcc_lo
	v_cmp_ne_u16_e32 vcc_lo, 0, v28
	v_cndmask_b32_e32 v28, 0x400000, v52, vcc_lo
	v_cmp_ne_u16_e32 vcc_lo, 0, v17
	v_cndmask_b32_e32 v17, 0x400000, v53, vcc_lo
	v_cmp_ne_u16_e32 vcc_lo, 0, v29
	v_cndmask_b32_e32 v29, 0x400000, v54, vcc_lo
	v_cmp_lt_u32_e32 vcc_lo, 0xffffff, v7
	;; [unrolled: 16-line block ×3, first 2 shown]
	v_cndmask_b32_e32 v8, 0x400000, v57, vcc_lo
	v_cmp_lt_u32_e32 vcc_lo, 0xffffff, v4
	v_cndmask_b32_e32 v4, 0x400000, v56, vcc_lo
	v_cmp_eq_f32_e32 vcc_lo, v33, v34
	v_cndmask_b32_e64 v21, 0, 1, vcc_lo
	v_cmp_neq_f32_e32 vcc_lo, v33, v34
	v_cndmask_b32_e64 v22, 0, 1, vcc_lo
	v_cmp_eq_f32_e32 vcc_lo, v35, v36
	v_cndmask_b32_e64 v30, 0, 1, vcc_lo
	v_cmp_neq_f32_e32 vcc_lo, v35, v36
	v_cndmask_b32_e64 v31, 0, 1, vcc_lo
	;; [unrolled: 4-line block ×16, first 2 shown]
	s_cselect_b32 vcc_lo, -1, 0
	v_dual_cndmask_b32 v8, v22, v21 :: v_dual_cndmask_b32 v21, v31, v30
	v_dual_cndmask_b32 v22, v23, v32 :: v_dual_cndmask_b32 v1, v1, v33
	;; [unrolled: 1-line block ×3, first 2 shown]
	v_cndmask_b32_e32 v2, v2, v26, vcc_lo
	v_dual_cndmask_b32 v13, v14, v25 :: v_dual_cndmask_b32 v6, v15, v6
	v_dual_cndmask_b32 v14, v16, v27 :: v_dual_cndmask_b32 v15, v17, v28
	v_dual_cndmask_b32 v3, v3, v29, vcc_lo :: v_dual_cndmask_b32 v7, v9, v7, vcc_lo
	v_dual_cndmask_b32 v9, v10, v18 :: v_dual_cndmask_b32 v10, v11, v19
	v_dual_cndmask_b32 v4, v4, v20, vcc_lo :: v_dual_bitop2_b32 v11, 1, v21 bitop3:0x40
	v_and_b32_e32 v1, 1, v1
	v_and_b32_e32 v12, 1, v12
	;; [unrolled: 1-line block ×7, first 2 shown]
	v_lshlrev_b16 v11, 8, v11
	v_lshlrev_b16 v1, 8, v1
	;; [unrolled: 1-line block ×8, first 2 shown]
	v_bitop3_b16 v8, v8, v11, 1 bitop3:0xec
	v_bitop3_b16 v1, v22, v1, 1 bitop3:0xec
	;; [unrolled: 1-line block ×8, first 2 shown]
	v_and_b32_e32 v8, 0xffff, v8
	v_lshlrev_b32_e32 v1, 16, v1
	v_and_b32_e32 v5, 0xffff, v5
	v_lshlrev_b32_e32 v2, 16, v2
	v_and_b32_e32 v6, 0xffff, v6
	v_lshlrev_b32_e32 v3, 16, v3
	v_and_b32_e32 v7, 0xffff, v7
	v_dual_lshlrev_b32 v4, 16, v4 :: v_dual_bitop2_b32 v1, v8, v1 bitop3:0x54
	v_or_b32_e32 v2, v5, v2
	s_delay_alu instid0(VALU_DEP_4) | instskip(NEXT) | instid1(VALU_DEP_3)
	v_or_b32_e32 v3, v6, v3
	v_or_b32_e32 v4, v7, v4
	s_clause 0x3
	global_store_b32 v0, v1, s[2:3] scale_offset
	global_store_b32 v0, v2, s[2:3] offset:1024 scale_offset
	global_store_b32 v0, v3, s[2:3] offset:2048 scale_offset
	;; [unrolled: 1-line block ×3, first 2 shown]
.LBB311_2:
	s_and_not1_b32 vcc_lo, exec_lo, s0
	s_cbranch_vccnz .LBB311_83
; %bb.3:
	v_cmp_gt_i32_e32 vcc_lo, s22, v0
	s_wait_xcnt 0x2
	v_dual_mov_b32 v2, 0 :: v_dual_bitop2_b32 v10, s14, v0 bitop3:0x54
	v_or_b32_e32 v11, 0x100, v0
	v_dual_mov_b32 v14, 0 :: v_dual_mov_b32 v12, 0
	v_dual_mov_b32 v16, 0 :: v_dual_mov_b32 v13, 0
	;; [unrolled: 1-line block ×16, first 2 shown]
	s_wait_xcnt 0x0
	s_and_saveexec_b32 s1, vcc_lo
	s_cbranch_execz .LBB311_35
; %bb.4:
	s_clause 0x1
	global_load_u8 v41, v10, s[18:19]
	global_load_u8 v40, v10, s[20:21]
	v_or_b32_e32 v1, 0x100, v0
	v_dual_mov_b32 v38, 0 :: v_dual_mov_b32 v39, 0
	v_dual_mov_b32 v5, 0 :: v_dual_mov_b32 v37, 0
	s_delay_alu instid0(VALU_DEP_3)
	v_cmp_gt_u32_e64 s0, s22, v1
	v_dual_mov_b32 v6, 0 :: v_dual_mov_b32 v36, 0
	v_dual_mov_b32 v34, 0 :: v_dual_mov_b32 v35, 0
	;; [unrolled: 1-line block ×13, first 2 shown]
	s_wait_xcnt 0x0
	s_and_saveexec_b32 s2, s0
	s_cbranch_execz .LBB311_34
; %bb.5:
	v_dual_mov_b32 v5, 0 :: v_dual_add_nc_u32 v4, s14, v0
	v_or_b32_e32 v1, 0x200, v0
	v_dual_mov_b32 v37, 0 :: v_dual_mov_b32 v6, 0
	s_clause 0x1
	global_load_u8 v39, v4, s[18:19] offset:256
	global_load_u8 v38, v4, s[20:21] offset:256
	v_dual_mov_b32 v36, 0 :: v_dual_mov_b32 v34, 0
	v_cmp_gt_u32_e64 s0, s22, v1
	v_dual_mov_b32 v35, 0 :: v_dual_mov_b32 v32, 0
	v_dual_mov_b32 v33, 0 :: v_dual_mov_b32 v30, 0
	v_dual_mov_b32 v31, 0 :: v_dual_mov_b32 v28, 0
	v_dual_mov_b32 v29, 0 :: v_dual_mov_b32 v26, 0
	v_dual_mov_b32 v27, 0 :: v_dual_mov_b32 v24, 0
	v_dual_mov_b32 v25, 0 :: v_dual_mov_b32 v22, 0
	v_dual_mov_b32 v23, 0 :: v_dual_mov_b32 v20, 0
	v_dual_mov_b32 v21, 0 :: v_dual_mov_b32 v17, 0
	v_dual_mov_b32 v19, 0 :: v_dual_mov_b32 v15, 0
	v_dual_mov_b32 v18, 0 :: v_dual_mov_b32 v13, 0
	v_dual_mov_b32 v16, 0 :: v_dual_mov_b32 v12, 0
	v_mov_b32_e32 v14, 0
	s_wait_xcnt 0x0
	s_and_saveexec_b32 s3, s0
	s_cbranch_execz .LBB311_33
; %bb.6:
	v_add_nc_u64_e32 v[6:7], s[18:19], v[4:5]
	v_add_nc_u64_e32 v[8:9], s[20:21], v[4:5]
	v_or_b32_e32 v3, 0x300, v0
	v_dual_mov_b32 v36, 0 :: v_dual_mov_b32 v34, 0
	v_dual_mov_b32 v35, 0 :: v_dual_mov_b32 v32, 0
	global_load_u8 v37, v[6:7], off offset:512
	global_load_u8 v1, v[8:9], off offset:512
	v_cmp_gt_u32_e64 s0, s22, v3
	v_dual_mov_b32 v33, 0 :: v_dual_mov_b32 v30, 0
	v_dual_mov_b32 v31, 0 :: v_dual_mov_b32 v28, 0
	;; [unrolled: 1-line block ×10, first 2 shown]
	v_mov_b32_e32 v14, 0
	s_wait_xcnt 0x0
	s_and_saveexec_b32 s4, s0
	s_cbranch_execz .LBB311_32
; %bb.7:
	global_load_u8 v36, v[6:7], off offset:768
	global_load_u8 v5, v[8:9], off offset:768
	v_or_b32_e32 v3, 0x400, v0
	v_dual_mov_b32 v34, 0 :: v_dual_mov_b32 v35, 0
	v_dual_mov_b32 v32, 0 :: v_dual_mov_b32 v33, 0
	s_delay_alu instid0(VALU_DEP_3)
	v_cmp_gt_u32_e64 s0, s22, v3
	v_dual_mov_b32 v30, 0 :: v_dual_mov_b32 v31, 0
	v_dual_mov_b32 v28, 0 :: v_dual_mov_b32 v29, 0
	v_dual_mov_b32 v26, 0 :: v_dual_mov_b32 v27, 0
	v_dual_mov_b32 v24, 0 :: v_dual_mov_b32 v25, 0
	v_dual_mov_b32 v22, 0 :: v_dual_mov_b32 v23, 0
	v_dual_mov_b32 v20, 0 :: v_dual_mov_b32 v21, 0
	v_dual_mov_b32 v17, 0 :: v_dual_mov_b32 v19, 0
	v_dual_mov_b32 v15, 0 :: v_dual_mov_b32 v18, 0
	v_dual_mov_b32 v13, 0 :: v_dual_mov_b32 v16, 0
	v_dual_mov_b32 v12, 0 :: v_dual_mov_b32 v14, 0
	s_wait_xcnt 0x0
	s_and_saveexec_b32 s5, s0
	s_cbranch_execz .LBB311_31
; %bb.8:
	global_load_u8 v35, v[6:7], off offset:1024
	global_load_u8 v34, v[8:9], off offset:1024
	v_or_b32_e32 v3, 0x500, v0
	v_dual_mov_b32 v32, 0 :: v_dual_mov_b32 v33, 0
	v_dual_mov_b32 v30, 0 :: v_dual_mov_b32 v31, 0
	s_delay_alu instid0(VALU_DEP_3)
	v_cmp_gt_u32_e64 s0, s22, v3
	v_dual_mov_b32 v28, 0 :: v_dual_mov_b32 v29, 0
	v_dual_mov_b32 v26, 0 :: v_dual_mov_b32 v27, 0
	;; [unrolled: 1-line block ×9, first 2 shown]
	s_wait_xcnt 0x0
	s_and_saveexec_b32 s6, s0
	s_cbranch_execz .LBB311_30
; %bb.9:
	global_load_u8 v33, v[6:7], off offset:1280
	global_load_u8 v32, v[8:9], off offset:1280
	v_or_b32_e32 v3, 0x600, v0
	v_dual_mov_b32 v30, 0 :: v_dual_mov_b32 v31, 0
	v_dual_mov_b32 v28, 0 :: v_dual_mov_b32 v29, 0
	s_delay_alu instid0(VALU_DEP_3)
	v_cmp_gt_u32_e64 s0, s22, v3
	v_dual_mov_b32 v26, 0 :: v_dual_mov_b32 v27, 0
	v_dual_mov_b32 v24, 0 :: v_dual_mov_b32 v25, 0
	;; [unrolled: 1-line block ×8, first 2 shown]
	s_wait_xcnt 0x0
	s_and_saveexec_b32 s7, s0
	s_cbranch_execz .LBB311_29
; %bb.10:
	global_load_u8 v31, v[6:7], off offset:1536
	global_load_u8 v30, v[8:9], off offset:1536
	v_or_b32_e32 v3, 0x700, v0
	v_dual_mov_b32 v28, 0 :: v_dual_mov_b32 v29, 0
	v_dual_mov_b32 v26, 0 :: v_dual_mov_b32 v27, 0
	;; [unrolled: 1-line block ×9, first 2 shown]
	s_mov_b32 s8, exec_lo
	s_wait_xcnt 0x0
	v_cmpx_gt_u32_e64 s22, v3
	s_cbranch_execz .LBB311_28
; %bb.11:
	global_load_u8 v29, v[6:7], off offset:1792
	global_load_u8 v28, v[8:9], off offset:1792
	v_or_b32_e32 v3, 0x800, v0
	v_dual_mov_b32 v26, 0 :: v_dual_mov_b32 v27, 0
	v_dual_mov_b32 v24, 0 :: v_dual_mov_b32 v25, 0
	v_dual_mov_b32 v22, 0 :: v_dual_mov_b32 v23, 0
	v_dual_mov_b32 v20, 0 :: v_dual_mov_b32 v21, 0
	v_dual_mov_b32 v17, 0 :: v_dual_mov_b32 v19, 0
	v_dual_mov_b32 v15, 0 :: v_dual_mov_b32 v18, 0
	v_dual_mov_b32 v13, 0 :: v_dual_mov_b32 v16, 0
	v_dual_mov_b32 v12, 0 :: v_dual_mov_b32 v14, 0
	s_mov_b32 s9, exec_lo
	s_wait_xcnt 0x0
	v_cmpx_gt_u32_e64 s22, v3
	s_cbranch_execz .LBB311_27
; %bb.12:
	global_load_u8 v27, v[6:7], off offset:2048
	global_load_u8 v26, v[8:9], off offset:2048
	v_or_b32_e32 v3, 0x900, v0
	v_dual_mov_b32 v24, 0 :: v_dual_mov_b32 v25, 0
	v_dual_mov_b32 v22, 0 :: v_dual_mov_b32 v23, 0
	;; [unrolled: 1-line block ×7, first 2 shown]
	s_mov_b32 s10, exec_lo
	s_wait_xcnt 0x0
	v_cmpx_gt_u32_e64 s22, v3
	s_cbranch_execz .LBB311_26
; %bb.13:
	global_load_u8 v25, v[6:7], off offset:2304
	global_load_u8 v24, v[8:9], off offset:2304
	v_or_b32_e32 v3, 0xa00, v0
	v_dual_mov_b32 v22, 0 :: v_dual_mov_b32 v23, 0
	v_dual_mov_b32 v20, 0 :: v_dual_mov_b32 v21, 0
	;; [unrolled: 1-line block ×6, first 2 shown]
	s_mov_b32 s11, exec_lo
	s_wait_xcnt 0x0
	v_cmpx_gt_u32_e64 s22, v3
	s_cbranch_execz .LBB311_25
; %bb.14:
	global_load_u8 v23, v[6:7], off offset:2560
	global_load_u8 v22, v[8:9], off offset:2560
	v_or_b32_e32 v3, 0xb00, v0
	v_dual_mov_b32 v20, 0 :: v_dual_mov_b32 v21, 0
	v_dual_mov_b32 v17, 0 :: v_dual_mov_b32 v19, 0
	;; [unrolled: 1-line block ×5, first 2 shown]
	s_mov_b32 s12, exec_lo
	s_wait_xcnt 0x0
	v_cmpx_gt_u32_e64 s22, v3
	s_cbranch_execz .LBB311_24
; %bb.15:
	global_load_u8 v21, v[6:7], off offset:2816
	global_load_u8 v20, v[8:9], off offset:2816
	v_or_b32_e32 v3, 0xc00, v0
	v_dual_mov_b32 v17, 0 :: v_dual_mov_b32 v19, 0
	v_dual_mov_b32 v15, 0 :: v_dual_mov_b32 v18, 0
	;; [unrolled: 1-line block ×4, first 2 shown]
	s_mov_b32 s15, exec_lo
	s_wait_xcnt 0x0
	v_cmpx_gt_u32_e64 s22, v3
	s_cbranch_execz .LBB311_23
; %bb.16:
	global_load_u8 v19, v[6:7], off offset:3072
	global_load_u8 v17, v[8:9], off offset:3072
	v_or_b32_e32 v3, 0xd00, v0
	v_dual_mov_b32 v15, 0 :: v_dual_mov_b32 v18, 0
	v_dual_mov_b32 v13, 0 :: v_dual_mov_b32 v16, 0
	;; [unrolled: 1-line block ×3, first 2 shown]
	s_mov_b32 s18, exec_lo
	s_wait_xcnt 0x0
	v_cmpx_gt_u32_e64 s22, v3
	s_cbranch_execz .LBB311_22
; %bb.17:
	global_load_u8 v18, v[6:7], off offset:3328
	global_load_u8 v15, v[8:9], off offset:3328
	v_or_b32_e32 v3, 0xe00, v0
	v_dual_mov_b32 v13, 0 :: v_dual_mov_b32 v16, 0
	v_dual_mov_b32 v12, 0 :: v_dual_mov_b32 v14, 0
	s_mov_b32 s19, exec_lo
	s_wait_xcnt 0x0
	v_cmpx_gt_u32_e64 s22, v3
	s_cbranch_execz .LBB311_21
; %bb.18:
	global_load_u8 v16, v[6:7], off offset:3584
	global_load_u8 v13, v[8:9], off offset:3584
	v_or_b32_e32 v3, 0xf00, v0
	v_dual_mov_b32 v12, 0 :: v_dual_mov_b32 v14, 0
	s_mov_b32 s20, exec_lo
	s_wait_xcnt 0x0
	s_delay_alu instid0(VALU_DEP_2)
	v_cmpx_gt_u32_e64 s22, v3
	s_cbranch_execz .LBB311_20
; %bb.19:
	global_load_u8 v14, v[6:7], off offset:3840
	global_load_u8 v12, v[8:9], off offset:3840
.LBB311_20:
	s_wait_xcnt 0x0
	s_or_b32 exec_lo, exec_lo, s20
.LBB311_21:
	s_delay_alu instid0(SALU_CYCLE_1)
	s_or_b32 exec_lo, exec_lo, s19
.LBB311_22:
	s_delay_alu instid0(SALU_CYCLE_1)
	s_or_b32 exec_lo, exec_lo, s18
.LBB311_23:
	s_delay_alu instid0(SALU_CYCLE_1)
	s_or_b32 exec_lo, exec_lo, s15
.LBB311_24:
	s_delay_alu instid0(SALU_CYCLE_1)
	s_or_b32 exec_lo, exec_lo, s12
.LBB311_25:
	s_delay_alu instid0(SALU_CYCLE_1)
	s_or_b32 exec_lo, exec_lo, s11
.LBB311_26:
	s_delay_alu instid0(SALU_CYCLE_1)
	s_or_b32 exec_lo, exec_lo, s10
.LBB311_27:
	s_delay_alu instid0(SALU_CYCLE_1)
	s_or_b32 exec_lo, exec_lo, s9
.LBB311_28:
	s_delay_alu instid0(SALU_CYCLE_1)
	s_or_b32 exec_lo, exec_lo, s8
.LBB311_29:
	s_delay_alu instid0(SALU_CYCLE_1)
	s_or_b32 exec_lo, exec_lo, s7
.LBB311_30:
	s_delay_alu instid0(SALU_CYCLE_1)
	s_or_b32 exec_lo, exec_lo, s6
.LBB311_31:
	s_delay_alu instid0(SALU_CYCLE_1)
	s_or_b32 exec_lo, exec_lo, s5
.LBB311_32:
	s_delay_alu instid0(SALU_CYCLE_1)
	s_or_b32 exec_lo, exec_lo, s4
	s_wait_loadcnt 0x0
	v_dual_mov_b32 v6, v5 :: v_dual_mov_b32 v5, v1
.LBB311_33:
	s_or_b32 exec_lo, exec_lo, s3
.LBB311_34:
	s_delay_alu instid0(SALU_CYCLE_1)
	s_or_b32 exec_lo, exec_lo, s2
.LBB311_35:
	s_delay_alu instid0(SALU_CYCLE_1)
	s_or_b32 exec_lo, exec_lo, s1
	v_dual_mov_b32 v1, v2 :: v_dual_mov_b32 v4, v2
	v_mov_b32_e32 v3, v2
	s_cmp_eq_u32 s13, 0
	s_cselect_b32 s0, -1, 0
	s_and_saveexec_b32 s2, vcc_lo
	s_cbranch_execz .LBB311_37
; %bb.36:
	s_wait_loadcnt 0x1
	v_and_b32_e32 v1, 0xff, v41
	s_wait_loadcnt 0x0
	v_and_b32_e32 v2, 0xff, v40
	s_delay_alu instid0(VALU_DEP_1) | instskip(SKIP_1) | instid1(VALU_DEP_1)
	v_dual_lshlrev_b32 v3, 23, v1 :: v_dual_lshlrev_b32 v4, 23, v2
	v_cmp_ne_u16_e64 s1, 0xff, v1
	v_cndmask_b32_e64 v3, 0x7f800001, v3, s1
	v_cmp_ne_u16_e64 s1, 0xff, v2
	s_delay_alu instid0(VALU_DEP_1) | instskip(SKIP_1) | instid1(VALU_DEP_1)
	v_cndmask_b32_e64 v4, 0x7f800001, v4, s1
	v_cmp_ne_u16_e64 s1, 0, v1
	v_cndmask_b32_e64 v1, 0x400000, v3, s1
	v_cmp_ne_u16_e64 s1, 0, v2
	s_delay_alu instid0(VALU_DEP_1) | instskip(NEXT) | instid1(VALU_DEP_1)
	v_cndmask_b32_e64 v2, 0x400000, v4, s1
	v_cmp_eq_f32_e64 s1, v1, v2
	s_delay_alu instid0(VALU_DEP_1) | instskip(SKIP_1) | instid1(VALU_DEP_1)
	v_cndmask_b32_e64 v3, 0, 1, s1
	v_cmp_neq_f32_e64 s1, v1, v2
	v_cndmask_b32_e64 v1, 0, 1, s1
	s_delay_alu instid0(VALU_DEP_1) | instskip(NEXT) | instid1(VALU_DEP_1)
	v_dual_cndmask_b32 v2, v1, v3, s0 :: v_dual_mov_b32 v1, 0
	v_dual_mov_b32 v4, v1 :: v_dual_bitop2_b32 v2, 1, v2 bitop3:0x40
	v_mov_b32_e32 v3, v1
	s_delay_alu instid0(VALU_DEP_2)
	v_and_b32_e32 v2, 0xffff, v2
.LBB311_37:
	s_or_b32 exec_lo, exec_lo, s2
	s_delay_alu instid0(SALU_CYCLE_1)
	s_mov_b32 s2, exec_lo
	v_cmpx_gt_i32_e64 s22, v11
	s_cbranch_execz .LBB311_39
; %bb.38:
	s_wait_loadcnt 0x1
	v_and_b32_e32 v7, 0xff, v39
	s_wait_loadcnt 0x0
	v_and_b32_e32 v8, 0xff, v38
	s_delay_alu instid0(VALU_DEP_1) | instskip(SKIP_1) | instid1(VALU_DEP_1)
	v_dual_lshlrev_b32 v9, 23, v7 :: v_dual_lshlrev_b32 v38, 23, v8
	v_cmp_ne_u16_e64 s1, 0xff, v7
	v_cndmask_b32_e64 v9, 0x7f800001, v9, s1
	v_cmp_ne_u16_e64 s1, 0xff, v8
	s_delay_alu instid0(VALU_DEP_1) | instskip(SKIP_1) | instid1(VALU_DEP_1)
	v_cndmask_b32_e64 v38, 0x7f800001, v38, s1
	v_cmp_ne_u16_e64 s1, 0, v7
	v_cndmask_b32_e64 v7, 0x400000, v9, s1
	v_cmp_ne_u16_e64 s1, 0, v8
	s_delay_alu instid0(VALU_DEP_1) | instskip(NEXT) | instid1(VALU_DEP_1)
	v_cndmask_b32_e64 v8, 0x400000, v38, s1
	v_cmp_eq_f32_e64 s1, v7, v8
	s_delay_alu instid0(VALU_DEP_1) | instskip(SKIP_1) | instid1(VALU_DEP_1)
	v_cndmask_b32_e64 v9, 0, 1, s1
	v_cmp_neq_f32_e64 s1, v7, v8
	v_cndmask_b32_e64 v7, 0, 1, s1
	s_delay_alu instid0(VALU_DEP_1) | instskip(NEXT) | instid1(VALU_DEP_1)
	v_cndmask_b32_e64 v7, v7, v9, s0
	v_and_b32_e32 v7, 1, v7
	s_delay_alu instid0(VALU_DEP_1) | instskip(NEXT) | instid1(VALU_DEP_1)
	v_lshlrev_b16 v7, 8, v7
	v_bitop3_b16 v7, v2, v7, 0xff bitop3:0xec
	s_delay_alu instid0(VALU_DEP_1) | instskip(NEXT) | instid1(VALU_DEP_1)
	v_and_b32_e32 v7, 0xffff, v7
	v_and_or_b32 v2, 0xffff0000, v2, v7
.LBB311_39:
	s_or_b32 exec_lo, exec_lo, s2
	v_or_b32_e32 v7, 0x200, v0
	s_mov_b32 s2, exec_lo
	s_delay_alu instid0(VALU_DEP_1)
	v_cmpx_gt_i32_e64 s22, v7
	s_cbranch_execz .LBB311_41
; %bb.40:
	v_and_b32_e32 v7, 0xff, v37
	v_and_b32_e32 v5, 0xff, v5
	s_delay_alu instid0(VALU_DEP_1) | instskip(SKIP_1) | instid1(VALU_DEP_1)
	v_dual_lshlrev_b32 v8, 23, v7 :: v_dual_lshlrev_b32 v9, 23, v5
	v_cmp_ne_u16_e64 s1, 0xff, v7
	v_cndmask_b32_e64 v8, 0x7f800001, v8, s1
	v_cmp_ne_u16_e64 s1, 0xff, v5
	s_delay_alu instid0(VALU_DEP_1) | instskip(SKIP_1) | instid1(VALU_DEP_1)
	v_cndmask_b32_e64 v9, 0x7f800001, v9, s1
	v_cmp_ne_u16_e64 s1, 0, v7
	v_cndmask_b32_e64 v7, 0x400000, v8, s1
	v_cmp_ne_u16_e64 s1, 0, v5
	s_delay_alu instid0(VALU_DEP_1) | instskip(NEXT) | instid1(VALU_DEP_1)
	v_cndmask_b32_e64 v5, 0x400000, v9, s1
	v_cmp_eq_f32_e64 s1, v7, v5
	s_delay_alu instid0(VALU_DEP_1) | instskip(SKIP_1) | instid1(VALU_DEP_1)
	v_cndmask_b32_e64 v9, 0, 1, s1
	v_cmp_neq_f32_e64 s1, v7, v5
	v_cndmask_b32_e64 v5, 0, 1, s1
	s_delay_alu instid0(VALU_DEP_1) | instskip(NEXT) | instid1(VALU_DEP_1)
	v_dual_lshrrev_b32 v8, 16, v2 :: v_dual_cndmask_b32 v5, v5, v9, s0
	v_and_b32_e32 v7, 0xffffff00, v8
	s_delay_alu instid0(VALU_DEP_1) | instskip(NEXT) | instid1(VALU_DEP_1)
	v_bitop3_b16 v5, v5, v7, 1 bitop3:0xec
	v_lshlrev_b32_e32 v5, 16, v5
	s_delay_alu instid0(VALU_DEP_1)
	v_and_or_b32 v2, 0xffff, v2, v5
.LBB311_41:
	s_or_b32 exec_lo, exec_lo, s2
	v_or_b32_e32 v5, 0x300, v0
	s_mov_b32 s2, exec_lo
	s_delay_alu instid0(VALU_DEP_1)
	v_cmpx_gt_i32_e64 s22, v5
	s_cbranch_execz .LBB311_43
; %bb.42:
	v_and_b32_e32 v5, 0xff, v36
	v_and_b32_e32 v6, 0xff, v6
	s_delay_alu instid0(VALU_DEP_1) | instskip(SKIP_1) | instid1(VALU_DEP_1)
	v_dual_lshlrev_b32 v7, 23, v5 :: v_dual_lshlrev_b32 v8, 23, v6
	v_cmp_ne_u16_e64 s1, 0xff, v5
	v_cndmask_b32_e64 v7, 0x7f800001, v7, s1
	v_cmp_ne_u16_e64 s1, 0xff, v6
	s_delay_alu instid0(VALU_DEP_1) | instskip(SKIP_1) | instid1(VALU_DEP_1)
	v_cndmask_b32_e64 v8, 0x7f800001, v8, s1
	v_cmp_ne_u16_e64 s1, 0, v5
	v_cndmask_b32_e64 v5, 0x400000, v7, s1
	v_cmp_ne_u16_e64 s1, 0, v6
	s_delay_alu instid0(VALU_DEP_1) | instskip(NEXT) | instid1(VALU_DEP_1)
	v_cndmask_b32_e64 v6, 0x400000, v8, s1
	v_cmp_eq_f32_e64 s1, v5, v6
	s_delay_alu instid0(VALU_DEP_1) | instskip(SKIP_2) | instid1(VALU_DEP_2)
	v_cndmask_b32_e64 v7, 0, 1, s1
	v_cmp_neq_f32_e64 s1, v5, v6
	v_lshrrev_b32_e32 v6, 16, v2
	v_cndmask_b32_e64 v5, 0, 1, s1
	s_delay_alu instid0(VALU_DEP_1) | instskip(NEXT) | instid1(VALU_DEP_1)
	v_cndmask_b32_e64 v5, v5, v7, s0
	v_and_b32_e32 v5, 1, v5
	s_delay_alu instid0(VALU_DEP_1) | instskip(NEXT) | instid1(VALU_DEP_1)
	v_lshlrev_b16 v5, 8, v5
	v_bitop3_b16 v5, v6, v5, 0xff bitop3:0xec
	s_delay_alu instid0(VALU_DEP_1) | instskip(NEXT) | instid1(VALU_DEP_1)
	v_lshlrev_b32_e32 v5, 16, v5
	v_and_or_b32 v2, 0xffff, v2, v5
.LBB311_43:
	s_or_b32 exec_lo, exec_lo, s2
	v_or_b32_e32 v5, 0x400, v0
	s_mov_b32 s2, exec_lo
	s_delay_alu instid0(VALU_DEP_1)
	v_cmpx_gt_i32_e64 s22, v5
	s_cbranch_execz .LBB311_45
; %bb.44:
	v_and_b32_e32 v5, 0xff, v35
	v_and_b32_e32 v6, 0xff, v34
	s_delay_alu instid0(VALU_DEP_1) | instskip(SKIP_1) | instid1(VALU_DEP_1)
	v_dual_lshlrev_b32 v7, 23, v5 :: v_dual_lshlrev_b32 v8, 23, v6
	v_cmp_ne_u16_e64 s1, 0xff, v5
	v_cndmask_b32_e64 v7, 0x7f800001, v7, s1
	v_cmp_ne_u16_e64 s1, 0xff, v6
	s_delay_alu instid0(VALU_DEP_1) | instskip(SKIP_1) | instid1(VALU_DEP_1)
	v_cndmask_b32_e64 v8, 0x7f800001, v8, s1
	v_cmp_ne_u16_e64 s1, 0, v5
	v_cndmask_b32_e64 v5, 0x400000, v7, s1
	v_cmp_ne_u16_e64 s1, 0, v6
	s_delay_alu instid0(VALU_DEP_1) | instskip(NEXT) | instid1(VALU_DEP_1)
	v_cndmask_b32_e64 v6, 0x400000, v8, s1
	v_cmp_eq_f32_e64 s1, v5, v6
	s_delay_alu instid0(VALU_DEP_1) | instskip(SKIP_2) | instid1(VALU_DEP_2)
	v_cndmask_b32_e64 v7, 0, 1, s1
	v_cmp_neq_f32_e64 s1, v5, v6
	v_and_b32_e32 v6, 0xffffff00, v1
	v_cndmask_b32_e64 v5, 0, 1, s1
	s_delay_alu instid0(VALU_DEP_1) | instskip(NEXT) | instid1(VALU_DEP_1)
	v_cndmask_b32_e64 v5, v5, v7, s0
	v_bitop3_b16 v5, v5, v6, 1 bitop3:0xec
	s_delay_alu instid0(VALU_DEP_1) | instskip(NEXT) | instid1(VALU_DEP_1)
	v_and_b32_e32 v5, 0xffff, v5
	v_and_or_b32 v1, 0xffff0000, v1, v5
.LBB311_45:
	s_or_b32 exec_lo, exec_lo, s2
	v_or_b32_e32 v5, 0x500, v0
	s_mov_b32 s2, exec_lo
	s_delay_alu instid0(VALU_DEP_1)
	v_cmpx_gt_i32_e64 s22, v5
	s_cbranch_execz .LBB311_47
; %bb.46:
	v_and_b32_e32 v5, 0xff, v33
	v_and_b32_e32 v6, 0xff, v32
	s_delay_alu instid0(VALU_DEP_1) | instskip(SKIP_1) | instid1(VALU_DEP_1)
	v_dual_lshlrev_b32 v7, 23, v5 :: v_dual_lshlrev_b32 v8, 23, v6
	v_cmp_ne_u16_e64 s1, 0xff, v5
	v_cndmask_b32_e64 v7, 0x7f800001, v7, s1
	v_cmp_ne_u16_e64 s1, 0xff, v6
	s_delay_alu instid0(VALU_DEP_1) | instskip(SKIP_1) | instid1(VALU_DEP_1)
	v_cndmask_b32_e64 v8, 0x7f800001, v8, s1
	v_cmp_ne_u16_e64 s1, 0, v5
	v_cndmask_b32_e64 v5, 0x400000, v7, s1
	v_cmp_ne_u16_e64 s1, 0, v6
	s_delay_alu instid0(VALU_DEP_1) | instskip(NEXT) | instid1(VALU_DEP_1)
	v_cndmask_b32_e64 v6, 0x400000, v8, s1
	v_cmp_eq_f32_e64 s1, v5, v6
	s_delay_alu instid0(VALU_DEP_1) | instskip(SKIP_1) | instid1(VALU_DEP_1)
	v_cndmask_b32_e64 v7, 0, 1, s1
	v_cmp_neq_f32_e64 s1, v5, v6
	v_cndmask_b32_e64 v5, 0, 1, s1
	s_delay_alu instid0(VALU_DEP_1) | instskip(NEXT) | instid1(VALU_DEP_1)
	v_cndmask_b32_e64 v5, v5, v7, s0
	v_and_b32_e32 v5, 1, v5
	s_delay_alu instid0(VALU_DEP_1) | instskip(NEXT) | instid1(VALU_DEP_1)
	v_lshlrev_b16 v5, 8, v5
	v_bitop3_b16 v5, v1, v5, 0xff bitop3:0xec
	s_delay_alu instid0(VALU_DEP_1) | instskip(NEXT) | instid1(VALU_DEP_1)
	v_and_b32_e32 v5, 0xffff, v5
	v_and_or_b32 v1, 0xffff0000, v1, v5
.LBB311_47:
	s_or_b32 exec_lo, exec_lo, s2
	v_or_b32_e32 v5, 0x600, v0
	s_mov_b32 s2, exec_lo
	s_delay_alu instid0(VALU_DEP_1)
	v_cmpx_gt_i32_e64 s22, v5
	s_cbranch_execz .LBB311_49
; %bb.48:
	v_and_b32_e32 v5, 0xff, v31
	v_and_b32_e32 v6, 0xff, v30
	s_delay_alu instid0(VALU_DEP_1) | instskip(SKIP_1) | instid1(VALU_DEP_1)
	v_dual_lshlrev_b32 v7, 23, v5 :: v_dual_lshlrev_b32 v8, 23, v6
	v_cmp_ne_u16_e64 s1, 0xff, v5
	v_cndmask_b32_e64 v7, 0x7f800001, v7, s1
	v_cmp_ne_u16_e64 s1, 0xff, v6
	s_delay_alu instid0(VALU_DEP_1) | instskip(SKIP_1) | instid1(VALU_DEP_1)
	v_cndmask_b32_e64 v8, 0x7f800001, v8, s1
	v_cmp_ne_u16_e64 s1, 0, v5
	v_cndmask_b32_e64 v5, 0x400000, v7, s1
	v_cmp_ne_u16_e64 s1, 0, v6
	s_delay_alu instid0(VALU_DEP_1) | instskip(NEXT) | instid1(VALU_DEP_1)
	v_cndmask_b32_e64 v6, 0x400000, v8, s1
	v_cmp_eq_f32_e64 s1, v5, v6
	s_delay_alu instid0(VALU_DEP_1) | instskip(SKIP_1) | instid1(VALU_DEP_1)
	v_cndmask_b32_e64 v8, 0, 1, s1
	v_cmp_neq_f32_e64 s1, v5, v6
	v_cndmask_b32_e64 v5, 0, 1, s1
	s_delay_alu instid0(VALU_DEP_1) | instskip(NEXT) | instid1(VALU_DEP_1)
	v_dual_lshrrev_b32 v7, 16, v1 :: v_dual_cndmask_b32 v5, v5, v8, s0
	v_and_b32_e32 v6, 0xffffff00, v7
	s_delay_alu instid0(VALU_DEP_1) | instskip(NEXT) | instid1(VALU_DEP_1)
	v_bitop3_b16 v5, v5, v6, 1 bitop3:0xec
	v_lshlrev_b32_e32 v5, 16, v5
	s_delay_alu instid0(VALU_DEP_1)
	v_and_or_b32 v1, 0xffff, v1, v5
.LBB311_49:
	s_or_b32 exec_lo, exec_lo, s2
	v_or_b32_e32 v5, 0x700, v0
	s_mov_b32 s2, exec_lo
	s_delay_alu instid0(VALU_DEP_1)
	v_cmpx_gt_i32_e64 s22, v5
	s_cbranch_execz .LBB311_51
; %bb.50:
	v_and_b32_e32 v5, 0xff, v29
	v_and_b32_e32 v6, 0xff, v28
	s_delay_alu instid0(VALU_DEP_1) | instskip(SKIP_1) | instid1(VALU_DEP_1)
	v_dual_lshlrev_b32 v7, 23, v5 :: v_dual_lshlrev_b32 v8, 23, v6
	v_cmp_ne_u16_e64 s1, 0xff, v5
	v_cndmask_b32_e64 v7, 0x7f800001, v7, s1
	v_cmp_ne_u16_e64 s1, 0xff, v6
	s_delay_alu instid0(VALU_DEP_1) | instskip(SKIP_1) | instid1(VALU_DEP_1)
	v_cndmask_b32_e64 v8, 0x7f800001, v8, s1
	v_cmp_ne_u16_e64 s1, 0, v5
	v_cndmask_b32_e64 v5, 0x400000, v7, s1
	v_cmp_ne_u16_e64 s1, 0, v6
	s_delay_alu instid0(VALU_DEP_1) | instskip(NEXT) | instid1(VALU_DEP_1)
	v_cndmask_b32_e64 v6, 0x400000, v8, s1
	v_cmp_eq_f32_e64 s1, v5, v6
	s_delay_alu instid0(VALU_DEP_1) | instskip(SKIP_2) | instid1(VALU_DEP_2)
	v_cndmask_b32_e64 v7, 0, 1, s1
	v_cmp_neq_f32_e64 s1, v5, v6
	v_lshrrev_b32_e32 v6, 16, v1
	v_cndmask_b32_e64 v5, 0, 1, s1
	s_delay_alu instid0(VALU_DEP_1) | instskip(NEXT) | instid1(VALU_DEP_1)
	v_cndmask_b32_e64 v5, v5, v7, s0
	v_and_b32_e32 v5, 1, v5
	s_delay_alu instid0(VALU_DEP_1) | instskip(NEXT) | instid1(VALU_DEP_1)
	v_lshlrev_b16 v5, 8, v5
	v_bitop3_b16 v5, v6, v5, 0xff bitop3:0xec
	s_delay_alu instid0(VALU_DEP_1) | instskip(NEXT) | instid1(VALU_DEP_1)
	v_lshlrev_b32_e32 v5, 16, v5
	v_and_or_b32 v1, 0xffff, v1, v5
.LBB311_51:
	s_or_b32 exec_lo, exec_lo, s2
	v_or_b32_e32 v5, 0x800, v0
	s_mov_b32 s2, exec_lo
	s_delay_alu instid0(VALU_DEP_1)
	v_cmpx_gt_i32_e64 s22, v5
	s_cbranch_execz .LBB311_53
; %bb.52:
	v_and_b32_e32 v5, 0xff, v27
	v_and_b32_e32 v6, 0xff, v26
	s_delay_alu instid0(VALU_DEP_1) | instskip(SKIP_1) | instid1(VALU_DEP_1)
	v_dual_lshlrev_b32 v7, 23, v5 :: v_dual_lshlrev_b32 v8, 23, v6
	v_cmp_ne_u16_e64 s1, 0xff, v5
	v_cndmask_b32_e64 v7, 0x7f800001, v7, s1
	v_cmp_ne_u16_e64 s1, 0xff, v6
	s_delay_alu instid0(VALU_DEP_1) | instskip(SKIP_1) | instid1(VALU_DEP_1)
	v_cndmask_b32_e64 v8, 0x7f800001, v8, s1
	v_cmp_ne_u16_e64 s1, 0, v5
	v_cndmask_b32_e64 v5, 0x400000, v7, s1
	v_cmp_ne_u16_e64 s1, 0, v6
	s_delay_alu instid0(VALU_DEP_1) | instskip(NEXT) | instid1(VALU_DEP_1)
	v_cndmask_b32_e64 v6, 0x400000, v8, s1
	v_cmp_eq_f32_e64 s1, v5, v6
	s_delay_alu instid0(VALU_DEP_1) | instskip(SKIP_2) | instid1(VALU_DEP_2)
	v_cndmask_b32_e64 v7, 0, 1, s1
	v_cmp_neq_f32_e64 s1, v5, v6
	v_and_b32_e32 v6, 0xffffff00, v4
	v_cndmask_b32_e64 v5, 0, 1, s1
	s_delay_alu instid0(VALU_DEP_1) | instskip(NEXT) | instid1(VALU_DEP_1)
	v_cndmask_b32_e64 v5, v5, v7, s0
	v_bitop3_b16 v5, v5, v6, 1 bitop3:0xec
	s_delay_alu instid0(VALU_DEP_1) | instskip(NEXT) | instid1(VALU_DEP_1)
	v_and_b32_e32 v5, 0xffff, v5
	v_and_or_b32 v4, 0xffff0000, v4, v5
.LBB311_53:
	s_or_b32 exec_lo, exec_lo, s2
	v_or_b32_e32 v5, 0x900, v0
	s_mov_b32 s2, exec_lo
	s_delay_alu instid0(VALU_DEP_1)
	v_cmpx_gt_i32_e64 s22, v5
	s_cbranch_execz .LBB311_55
; %bb.54:
	v_and_b32_e32 v5, 0xff, v25
	v_and_b32_e32 v6, 0xff, v24
	s_delay_alu instid0(VALU_DEP_1) | instskip(SKIP_1) | instid1(VALU_DEP_1)
	v_dual_lshlrev_b32 v7, 23, v5 :: v_dual_lshlrev_b32 v8, 23, v6
	v_cmp_ne_u16_e64 s1, 0xff, v5
	v_cndmask_b32_e64 v7, 0x7f800001, v7, s1
	v_cmp_ne_u16_e64 s1, 0xff, v6
	s_delay_alu instid0(VALU_DEP_1) | instskip(SKIP_1) | instid1(VALU_DEP_1)
	v_cndmask_b32_e64 v8, 0x7f800001, v8, s1
	v_cmp_ne_u16_e64 s1, 0, v5
	v_cndmask_b32_e64 v5, 0x400000, v7, s1
	v_cmp_ne_u16_e64 s1, 0, v6
	s_delay_alu instid0(VALU_DEP_1) | instskip(NEXT) | instid1(VALU_DEP_1)
	v_cndmask_b32_e64 v6, 0x400000, v8, s1
	v_cmp_eq_f32_e64 s1, v5, v6
	s_delay_alu instid0(VALU_DEP_1) | instskip(SKIP_1) | instid1(VALU_DEP_1)
	v_cndmask_b32_e64 v7, 0, 1, s1
	v_cmp_neq_f32_e64 s1, v5, v6
	v_cndmask_b32_e64 v5, 0, 1, s1
	s_delay_alu instid0(VALU_DEP_1) | instskip(NEXT) | instid1(VALU_DEP_1)
	v_cndmask_b32_e64 v5, v5, v7, s0
	v_and_b32_e32 v5, 1, v5
	s_delay_alu instid0(VALU_DEP_1) | instskip(NEXT) | instid1(VALU_DEP_1)
	v_lshlrev_b16 v5, 8, v5
	v_bitop3_b16 v5, v4, v5, 0xff bitop3:0xec
	s_delay_alu instid0(VALU_DEP_1) | instskip(NEXT) | instid1(VALU_DEP_1)
	v_and_b32_e32 v5, 0xffff, v5
	v_and_or_b32 v4, 0xffff0000, v4, v5
.LBB311_55:
	s_or_b32 exec_lo, exec_lo, s2
	v_or_b32_e32 v5, 0xa00, v0
	s_mov_b32 s2, exec_lo
	s_delay_alu instid0(VALU_DEP_1)
	v_cmpx_gt_i32_e64 s22, v5
	s_cbranch_execz .LBB311_57
; %bb.56:
	v_and_b32_e32 v5, 0xff, v23
	v_and_b32_e32 v6, 0xff, v22
	s_delay_alu instid0(VALU_DEP_1) | instskip(SKIP_1) | instid1(VALU_DEP_1)
	v_dual_lshlrev_b32 v7, 23, v5 :: v_dual_lshlrev_b32 v8, 23, v6
	v_cmp_ne_u16_e64 s1, 0xff, v5
	v_cndmask_b32_e64 v7, 0x7f800001, v7, s1
	v_cmp_ne_u16_e64 s1, 0xff, v6
	s_delay_alu instid0(VALU_DEP_1) | instskip(SKIP_1) | instid1(VALU_DEP_1)
	v_cndmask_b32_e64 v8, 0x7f800001, v8, s1
	v_cmp_ne_u16_e64 s1, 0, v5
	v_cndmask_b32_e64 v5, 0x400000, v7, s1
	v_cmp_ne_u16_e64 s1, 0, v6
	v_lshrrev_b32_e32 v7, 16, v4
	s_delay_alu instid0(VALU_DEP_2) | instskip(NEXT) | instid1(VALU_DEP_1)
	v_cndmask_b32_e64 v6, 0x400000, v8, s1
	v_cmp_eq_f32_e64 s1, v5, v6
	s_delay_alu instid0(VALU_DEP_1) | instskip(SKIP_2) | instid1(VALU_DEP_2)
	v_cndmask_b32_e64 v8, 0, 1, s1
	v_cmp_neq_f32_e64 s1, v5, v6
	v_and_b32_e32 v6, 0xffffff00, v7
	v_cndmask_b32_e64 v5, 0, 1, s1
	s_delay_alu instid0(VALU_DEP_1) | instskip(NEXT) | instid1(VALU_DEP_1)
	v_cndmask_b32_e64 v5, v5, v8, s0
	v_bitop3_b16 v5, v5, v6, 1 bitop3:0xec
	s_delay_alu instid0(VALU_DEP_1) | instskip(NEXT) | instid1(VALU_DEP_1)
	v_lshlrev_b32_e32 v5, 16, v5
	v_and_or_b32 v4, 0xffff, v4, v5
.LBB311_57:
	s_or_b32 exec_lo, exec_lo, s2
	v_or_b32_e32 v5, 0xb00, v0
	s_mov_b32 s2, exec_lo
	s_delay_alu instid0(VALU_DEP_1)
	v_cmpx_gt_i32_e64 s22, v5
	s_cbranch_execz .LBB311_59
; %bb.58:
	v_and_b32_e32 v5, 0xff, v21
	v_and_b32_e32 v6, 0xff, v20
	s_delay_alu instid0(VALU_DEP_1) | instskip(SKIP_1) | instid1(VALU_DEP_1)
	v_dual_lshlrev_b32 v7, 23, v5 :: v_dual_lshlrev_b32 v8, 23, v6
	v_cmp_ne_u16_e64 s1, 0xff, v5
	v_cndmask_b32_e64 v7, 0x7f800001, v7, s1
	v_cmp_ne_u16_e64 s1, 0xff, v6
	s_delay_alu instid0(VALU_DEP_1) | instskip(SKIP_1) | instid1(VALU_DEP_1)
	v_cndmask_b32_e64 v8, 0x7f800001, v8, s1
	v_cmp_ne_u16_e64 s1, 0, v5
	v_cndmask_b32_e64 v5, 0x400000, v7, s1
	v_cmp_ne_u16_e64 s1, 0, v6
	s_delay_alu instid0(VALU_DEP_1) | instskip(NEXT) | instid1(VALU_DEP_1)
	v_cndmask_b32_e64 v6, 0x400000, v8, s1
	v_cmp_eq_f32_e64 s1, v5, v6
	s_delay_alu instid0(VALU_DEP_1) | instskip(SKIP_2) | instid1(VALU_DEP_2)
	v_cndmask_b32_e64 v7, 0, 1, s1
	v_cmp_neq_f32_e64 s1, v5, v6
	v_lshrrev_b32_e32 v6, 16, v4
	v_cndmask_b32_e64 v5, 0, 1, s1
	s_delay_alu instid0(VALU_DEP_1) | instskip(NEXT) | instid1(VALU_DEP_1)
	v_cndmask_b32_e64 v5, v5, v7, s0
	v_and_b32_e32 v5, 1, v5
	s_delay_alu instid0(VALU_DEP_1) | instskip(NEXT) | instid1(VALU_DEP_1)
	v_lshlrev_b16 v5, 8, v5
	v_bitop3_b16 v5, v6, v5, 0xff bitop3:0xec
	s_delay_alu instid0(VALU_DEP_1) | instskip(NEXT) | instid1(VALU_DEP_1)
	v_lshlrev_b32_e32 v5, 16, v5
	v_and_or_b32 v4, 0xffff, v4, v5
.LBB311_59:
	s_or_b32 exec_lo, exec_lo, s2
	v_or_b32_e32 v5, 0xc00, v0
	s_mov_b32 s2, exec_lo
	s_delay_alu instid0(VALU_DEP_1)
	v_cmpx_gt_i32_e64 s22, v5
	s_cbranch_execz .LBB311_61
; %bb.60:
	v_and_b32_e32 v5, 0xff, v19
	v_and_b32_e32 v6, 0xff, v17
	s_delay_alu instid0(VALU_DEP_1) | instskip(SKIP_1) | instid1(VALU_DEP_1)
	v_dual_lshlrev_b32 v7, 23, v5 :: v_dual_lshlrev_b32 v8, 23, v6
	v_cmp_ne_u16_e64 s1, 0xff, v5
	v_cndmask_b32_e64 v7, 0x7f800001, v7, s1
	v_cmp_ne_u16_e64 s1, 0xff, v6
	s_delay_alu instid0(VALU_DEP_1) | instskip(SKIP_1) | instid1(VALU_DEP_1)
	v_cndmask_b32_e64 v8, 0x7f800001, v8, s1
	v_cmp_ne_u16_e64 s1, 0, v5
	v_cndmask_b32_e64 v5, 0x400000, v7, s1
	v_cmp_ne_u16_e64 s1, 0, v6
	s_delay_alu instid0(VALU_DEP_1) | instskip(NEXT) | instid1(VALU_DEP_1)
	v_cndmask_b32_e64 v6, 0x400000, v8, s1
	v_cmp_eq_f32_e64 s1, v5, v6
	s_delay_alu instid0(VALU_DEP_1) | instskip(SKIP_2) | instid1(VALU_DEP_2)
	v_cndmask_b32_e64 v7, 0, 1, s1
	v_cmp_neq_f32_e64 s1, v5, v6
	v_and_b32_e32 v6, 0xffffff00, v3
	v_cndmask_b32_e64 v5, 0, 1, s1
	s_delay_alu instid0(VALU_DEP_1) | instskip(NEXT) | instid1(VALU_DEP_1)
	v_cndmask_b32_e64 v5, v5, v7, s0
	v_bitop3_b16 v5, v5, v6, 1 bitop3:0xec
	s_delay_alu instid0(VALU_DEP_1) | instskip(NEXT) | instid1(VALU_DEP_1)
	v_and_b32_e32 v5, 0xffff, v5
	v_and_or_b32 v3, 0xffff0000, v3, v5
.LBB311_61:
	s_or_b32 exec_lo, exec_lo, s2
	v_or_b32_e32 v5, 0xd00, v0
	s_mov_b32 s2, exec_lo
	s_delay_alu instid0(VALU_DEP_1)
	v_cmpx_gt_i32_e64 s22, v5
	s_cbranch_execz .LBB311_63
; %bb.62:
	v_and_b32_e32 v5, 0xff, v18
	v_and_b32_e32 v6, 0xff, v15
	s_delay_alu instid0(VALU_DEP_1) | instskip(SKIP_1) | instid1(VALU_DEP_1)
	v_dual_lshlrev_b32 v7, 23, v5 :: v_dual_lshlrev_b32 v8, 23, v6
	v_cmp_ne_u16_e64 s1, 0xff, v5
	v_cndmask_b32_e64 v7, 0x7f800001, v7, s1
	v_cmp_ne_u16_e64 s1, 0xff, v6
	s_delay_alu instid0(VALU_DEP_1) | instskip(SKIP_1) | instid1(VALU_DEP_1)
	v_cndmask_b32_e64 v8, 0x7f800001, v8, s1
	v_cmp_ne_u16_e64 s1, 0, v5
	v_cndmask_b32_e64 v5, 0x400000, v7, s1
	v_cmp_ne_u16_e64 s1, 0, v6
	s_delay_alu instid0(VALU_DEP_1) | instskip(NEXT) | instid1(VALU_DEP_1)
	v_cndmask_b32_e64 v6, 0x400000, v8, s1
	v_cmp_eq_f32_e64 s1, v5, v6
	s_delay_alu instid0(VALU_DEP_1) | instskip(SKIP_1) | instid1(VALU_DEP_1)
	v_cndmask_b32_e64 v7, 0, 1, s1
	v_cmp_neq_f32_e64 s1, v5, v6
	v_cndmask_b32_e64 v5, 0, 1, s1
	s_delay_alu instid0(VALU_DEP_1) | instskip(NEXT) | instid1(VALU_DEP_1)
	v_cndmask_b32_e64 v5, v5, v7, s0
	v_and_b32_e32 v5, 1, v5
	s_delay_alu instid0(VALU_DEP_1) | instskip(NEXT) | instid1(VALU_DEP_1)
	v_lshlrev_b16 v5, 8, v5
	v_bitop3_b16 v5, v3, v5, 0xff bitop3:0xec
	s_delay_alu instid0(VALU_DEP_1) | instskip(NEXT) | instid1(VALU_DEP_1)
	v_and_b32_e32 v5, 0xffff, v5
	v_and_or_b32 v3, 0xffff0000, v3, v5
.LBB311_63:
	s_or_b32 exec_lo, exec_lo, s2
	v_or_b32_e32 v5, 0xe00, v0
	s_mov_b32 s2, exec_lo
	s_delay_alu instid0(VALU_DEP_1)
	v_cmpx_gt_i32_e64 s22, v5
	s_cbranch_execz .LBB311_65
; %bb.64:
	v_and_b32_e32 v5, 0xff, v16
	v_and_b32_e32 v6, 0xff, v13
	s_delay_alu instid0(VALU_DEP_1) | instskip(SKIP_1) | instid1(VALU_DEP_1)
	v_dual_lshlrev_b32 v7, 23, v5 :: v_dual_lshlrev_b32 v8, 23, v6
	v_cmp_ne_u16_e64 s1, 0xff, v5
	v_cndmask_b32_e64 v7, 0x7f800001, v7, s1
	v_cmp_ne_u16_e64 s1, 0xff, v6
	s_delay_alu instid0(VALU_DEP_1) | instskip(SKIP_1) | instid1(VALU_DEP_1)
	v_cndmask_b32_e64 v8, 0x7f800001, v8, s1
	v_cmp_ne_u16_e64 s1, 0, v5
	v_cndmask_b32_e64 v5, 0x400000, v7, s1
	v_cmp_ne_u16_e64 s1, 0, v6
	s_delay_alu instid0(VALU_DEP_1) | instskip(NEXT) | instid1(VALU_DEP_1)
	v_cndmask_b32_e64 v6, 0x400000, v8, s1
	v_cmp_eq_f32_e64 s1, v5, v6
	s_delay_alu instid0(VALU_DEP_1) | instskip(SKIP_1) | instid1(VALU_DEP_1)
	v_cndmask_b32_e64 v8, 0, 1, s1
	v_cmp_neq_f32_e64 s1, v5, v6
	v_cndmask_b32_e64 v5, 0, 1, s1
	s_delay_alu instid0(VALU_DEP_1) | instskip(NEXT) | instid1(VALU_DEP_1)
	v_dual_lshrrev_b32 v7, 16, v3 :: v_dual_cndmask_b32 v5, v5, v8, s0
	v_and_b32_e32 v6, 0xffffff00, v7
	s_delay_alu instid0(VALU_DEP_1) | instskip(NEXT) | instid1(VALU_DEP_1)
	v_bitop3_b16 v5, v5, v6, 1 bitop3:0xec
	v_lshlrev_b32_e32 v5, 16, v5
	s_delay_alu instid0(VALU_DEP_1)
	v_and_or_b32 v3, 0xffff, v3, v5
.LBB311_65:
	s_or_b32 exec_lo, exec_lo, s2
	v_or_b32_e32 v5, 0xf00, v0
	s_mov_b32 s2, exec_lo
	s_delay_alu instid0(VALU_DEP_1)
	v_cmpx_gt_i32_e64 s22, v5
	s_cbranch_execnz .LBB311_84
; %bb.66:
	s_or_b32 exec_lo, exec_lo, s2
	s_and_saveexec_b32 s0, vcc_lo
	s_delay_alu instid0(SALU_CYCLE_1)
	s_xor_b32 s0, exec_lo, s0
	s_cbranch_execnz .LBB311_85
.LBB311_67:
	s_or_b32 exec_lo, exec_lo, s0
	s_delay_alu instid0(SALU_CYCLE_1)
	s_mov_b32 s0, exec_lo
	v_cmpx_gt_i32_e64 s22, v0
	s_cbranch_execnz .LBB311_86
.LBB311_68:
	s_or_b32 exec_lo, exec_lo, s0
	s_delay_alu instid0(SALU_CYCLE_1)
	s_mov_b32 s0, exec_lo
	v_cmpx_gt_i32_e64 s22, v0
	s_cbranch_execnz .LBB311_87
.LBB311_69:
	s_or_b32 exec_lo, exec_lo, s0
	s_delay_alu instid0(SALU_CYCLE_1)
	s_mov_b32 s0, exec_lo
	v_cmpx_gt_i32_e64 s22, v0
	s_cbranch_execnz .LBB311_88
.LBB311_70:
	s_or_b32 exec_lo, exec_lo, s0
	s_delay_alu instid0(SALU_CYCLE_1)
	s_mov_b32 s0, exec_lo
	v_cmpx_gt_i32_e64 s22, v0
	s_cbranch_execnz .LBB311_89
.LBB311_71:
	s_or_b32 exec_lo, exec_lo, s0
	s_delay_alu instid0(SALU_CYCLE_1)
	s_mov_b32 s0, exec_lo
	v_cmpx_gt_i32_e64 s22, v0
	s_cbranch_execnz .LBB311_90
.LBB311_72:
	s_or_b32 exec_lo, exec_lo, s0
	s_delay_alu instid0(SALU_CYCLE_1)
	s_mov_b32 s0, exec_lo
	v_cmpx_gt_i32_e64 s22, v0
	s_cbranch_execnz .LBB311_91
.LBB311_73:
	s_or_b32 exec_lo, exec_lo, s0
	s_delay_alu instid0(SALU_CYCLE_1)
	s_mov_b32 s0, exec_lo
	v_cmpx_gt_i32_e64 s22, v0
	s_cbranch_execnz .LBB311_92
.LBB311_74:
	s_or_b32 exec_lo, exec_lo, s0
	s_delay_alu instid0(SALU_CYCLE_1)
	s_mov_b32 s0, exec_lo
	v_cmpx_gt_i32_e64 s22, v0
	s_cbranch_execnz .LBB311_93
.LBB311_75:
	s_or_b32 exec_lo, exec_lo, s0
	s_delay_alu instid0(SALU_CYCLE_1)
	s_mov_b32 s0, exec_lo
	v_cmpx_gt_i32_e64 s22, v0
	s_cbranch_execnz .LBB311_94
.LBB311_76:
	s_or_b32 exec_lo, exec_lo, s0
	s_delay_alu instid0(SALU_CYCLE_1)
	s_mov_b32 s0, exec_lo
	v_cmpx_gt_i32_e64 s22, v0
	s_cbranch_execnz .LBB311_95
.LBB311_77:
	s_or_b32 exec_lo, exec_lo, s0
	s_delay_alu instid0(SALU_CYCLE_1)
	s_mov_b32 s0, exec_lo
	v_cmpx_gt_i32_e64 s22, v0
	s_cbranch_execnz .LBB311_96
.LBB311_78:
	s_or_b32 exec_lo, exec_lo, s0
	s_delay_alu instid0(SALU_CYCLE_1)
	s_mov_b32 s0, exec_lo
	v_cmpx_gt_i32_e64 s22, v0
	s_cbranch_execnz .LBB311_97
.LBB311_79:
	s_or_b32 exec_lo, exec_lo, s0
	s_delay_alu instid0(SALU_CYCLE_1)
	s_mov_b32 s0, exec_lo
	v_cmpx_gt_i32_e64 s22, v0
	s_cbranch_execnz .LBB311_98
.LBB311_80:
	s_or_b32 exec_lo, exec_lo, s0
	s_delay_alu instid0(SALU_CYCLE_1)
	s_mov_b32 s0, exec_lo
	v_cmpx_gt_i32_e64 s22, v0
	s_cbranch_execnz .LBB311_99
.LBB311_81:
	s_or_b32 exec_lo, exec_lo, s0
	s_delay_alu instid0(SALU_CYCLE_1)
	s_mov_b32 s0, exec_lo
	v_cmpx_gt_i32_e64 s22, v0
	s_cbranch_execz .LBB311_83
.LBB311_82:
	v_dual_lshrrev_b32 v1, 24, v3 :: v_dual_add_nc_u32 v0, s14, v0
	global_store_b8 v0, v1, s[16:17]
.LBB311_83:
	s_endpgm
.LBB311_84:
	v_and_b32_e32 v5, 0xff, v14
	v_and_b32_e32 v6, 0xff, v12
	s_delay_alu instid0(VALU_DEP_1) | instskip(SKIP_1) | instid1(VALU_DEP_1)
	v_dual_lshlrev_b32 v7, 23, v5 :: v_dual_lshlrev_b32 v8, 23, v6
	v_cmp_ne_u16_e64 s1, 0xff, v5
	v_cndmask_b32_e64 v7, 0x7f800001, v7, s1
	v_cmp_ne_u16_e64 s1, 0xff, v6
	s_delay_alu instid0(VALU_DEP_1) | instskip(SKIP_1) | instid1(VALU_DEP_1)
	v_cndmask_b32_e64 v8, 0x7f800001, v8, s1
	v_cmp_ne_u16_e64 s1, 0, v5
	v_cndmask_b32_e64 v5, 0x400000, v7, s1
	v_cmp_ne_u16_e64 s1, 0, v6
	s_delay_alu instid0(VALU_DEP_1) | instskip(NEXT) | instid1(VALU_DEP_1)
	v_cndmask_b32_e64 v6, 0x400000, v8, s1
	v_cmp_eq_f32_e64 s1, v5, v6
	s_delay_alu instid0(VALU_DEP_1) | instskip(SKIP_2) | instid1(VALU_DEP_2)
	v_cndmask_b32_e64 v7, 0, 1, s1
	v_cmp_neq_f32_e64 s1, v5, v6
	v_lshrrev_b32_e32 v6, 16, v3
	v_cndmask_b32_e64 v5, 0, 1, s1
	s_delay_alu instid0(VALU_DEP_1) | instskip(NEXT) | instid1(VALU_DEP_1)
	v_cndmask_b32_e64 v5, v5, v7, s0
	v_and_b32_e32 v5, 1, v5
	s_delay_alu instid0(VALU_DEP_1) | instskip(NEXT) | instid1(VALU_DEP_1)
	v_lshlrev_b16 v5, 8, v5
	v_bitop3_b16 v5, v6, v5, 0xff bitop3:0xec
	s_delay_alu instid0(VALU_DEP_1) | instskip(NEXT) | instid1(VALU_DEP_1)
	v_lshlrev_b32_e32 v5, 16, v5
	v_and_or_b32 v3, 0xffff, v3, v5
	s_or_b32 exec_lo, exec_lo, s2
	s_and_saveexec_b32 s0, vcc_lo
	s_delay_alu instid0(SALU_CYCLE_1)
	s_xor_b32 s0, exec_lo, s0
	s_cbranch_execz .LBB311_67
.LBB311_85:
	v_mov_b32_e32 v0, v11
	global_store_b8 v10, v2, s[16:17]
	s_wait_xcnt 0x0
	s_or_b32 exec_lo, exec_lo, s0
	s_delay_alu instid0(SALU_CYCLE_1)
	s_mov_b32 s0, exec_lo
	v_cmpx_gt_i32_e64 s22, v0
	s_cbranch_execz .LBB311_68
.LBB311_86:
	v_dual_lshrrev_b32 v5, 8, v2 :: v_dual_add_nc_u32 v6, s14, v0
	v_add_nc_u32_e32 v0, 0x100, v0
	global_store_b8 v6, v5, s[16:17]
	s_wait_xcnt 0x0
	s_or_b32 exec_lo, exec_lo, s0
	s_delay_alu instid0(SALU_CYCLE_1)
	s_mov_b32 s0, exec_lo
	v_cmpx_gt_i32_e64 s22, v0
	s_cbranch_execz .LBB311_69
.LBB311_87:
	v_add_nc_u32_e32 v5, s14, v0
	v_add_nc_u32_e32 v0, 0x100, v0
	global_store_d16_hi_b8 v5, v2, s[16:17]
	s_wait_xcnt 0x0
	s_or_b32 exec_lo, exec_lo, s0
	s_delay_alu instid0(SALU_CYCLE_1)
	s_mov_b32 s0, exec_lo
	v_cmpx_gt_i32_e64 s22, v0
	s_cbranch_execz .LBB311_70
.LBB311_88:
	v_dual_lshrrev_b32 v2, 24, v2 :: v_dual_add_nc_u32 v5, s14, v0
	v_add_nc_u32_e32 v0, 0x100, v0
	global_store_b8 v5, v2, s[16:17]
	s_wait_xcnt 0x0
	s_or_b32 exec_lo, exec_lo, s0
	s_delay_alu instid0(SALU_CYCLE_1)
	s_mov_b32 s0, exec_lo
	v_cmpx_gt_i32_e64 s22, v0
	s_cbranch_execz .LBB311_71
.LBB311_89:
	v_add_nc_u32_e32 v2, s14, v0
	v_add_nc_u32_e32 v0, 0x100, v0
	global_store_b8 v2, v1, s[16:17]
	s_wait_xcnt 0x0
	s_or_b32 exec_lo, exec_lo, s0
	s_delay_alu instid0(SALU_CYCLE_1)
	s_mov_b32 s0, exec_lo
	v_cmpx_gt_i32_e64 s22, v0
	s_cbranch_execz .LBB311_72
.LBB311_90:
	v_dual_lshrrev_b32 v2, 8, v1 :: v_dual_add_nc_u32 v5, s14, v0
	v_add_nc_u32_e32 v0, 0x100, v0
	global_store_b8 v5, v2, s[16:17]
	s_wait_xcnt 0x0
	s_or_b32 exec_lo, exec_lo, s0
	s_delay_alu instid0(SALU_CYCLE_1)
	s_mov_b32 s0, exec_lo
	v_cmpx_gt_i32_e64 s22, v0
	s_cbranch_execz .LBB311_73
.LBB311_91:
	v_add_nc_u32_e32 v2, s14, v0
	v_add_nc_u32_e32 v0, 0x100, v0
	global_store_d16_hi_b8 v2, v1, s[16:17]
	s_wait_xcnt 0x0
	s_or_b32 exec_lo, exec_lo, s0
	s_delay_alu instid0(SALU_CYCLE_1)
	s_mov_b32 s0, exec_lo
	v_cmpx_gt_i32_e64 s22, v0
	s_cbranch_execz .LBB311_74
.LBB311_92:
	v_dual_lshrrev_b32 v1, 24, v1 :: v_dual_add_nc_u32 v2, s14, v0
	v_add_nc_u32_e32 v0, 0x100, v0
	global_store_b8 v2, v1, s[16:17]
	s_wait_xcnt 0x0
	s_or_b32 exec_lo, exec_lo, s0
	s_delay_alu instid0(SALU_CYCLE_1)
	s_mov_b32 s0, exec_lo
	v_cmpx_gt_i32_e64 s22, v0
	s_cbranch_execz .LBB311_75
.LBB311_93:
	v_add_nc_u32_e32 v1, s14, v0
	v_add_nc_u32_e32 v0, 0x100, v0
	global_store_b8 v1, v4, s[16:17]
	s_wait_xcnt 0x0
	s_or_b32 exec_lo, exec_lo, s0
	s_delay_alu instid0(SALU_CYCLE_1)
	s_mov_b32 s0, exec_lo
	v_cmpx_gt_i32_e64 s22, v0
	s_cbranch_execz .LBB311_76
.LBB311_94:
	v_lshrrev_b32_e32 v1, 8, v4
	v_add_nc_u32_e32 v2, s14, v0
	v_add_nc_u32_e32 v0, 0x100, v0
	global_store_b8 v2, v1, s[16:17]
	s_wait_xcnt 0x0
	s_or_b32 exec_lo, exec_lo, s0
	s_delay_alu instid0(SALU_CYCLE_1)
	s_mov_b32 s0, exec_lo
	v_cmpx_gt_i32_e64 s22, v0
	s_cbranch_execz .LBB311_77
.LBB311_95:
	v_add_nc_u32_e32 v1, s14, v0
	v_add_nc_u32_e32 v0, 0x100, v0
	global_store_d16_hi_b8 v1, v4, s[16:17]
	s_wait_xcnt 0x0
	s_or_b32 exec_lo, exec_lo, s0
	s_delay_alu instid0(SALU_CYCLE_1)
	s_mov_b32 s0, exec_lo
	v_cmpx_gt_i32_e64 s22, v0
	s_cbranch_execz .LBB311_78
.LBB311_96:
	v_lshrrev_b32_e32 v1, 24, v4
	v_add_nc_u32_e32 v2, s14, v0
	v_add_nc_u32_e32 v0, 0x100, v0
	global_store_b8 v2, v1, s[16:17]
	s_wait_xcnt 0x0
	s_or_b32 exec_lo, exec_lo, s0
	s_delay_alu instid0(SALU_CYCLE_1)
	s_mov_b32 s0, exec_lo
	v_cmpx_gt_i32_e64 s22, v0
	s_cbranch_execz .LBB311_79
.LBB311_97:
	v_add_nc_u32_e32 v1, s14, v0
	v_add_nc_u32_e32 v0, 0x100, v0
	global_store_b8 v1, v3, s[16:17]
	s_wait_xcnt 0x0
	s_or_b32 exec_lo, exec_lo, s0
	s_delay_alu instid0(SALU_CYCLE_1)
	s_mov_b32 s0, exec_lo
	v_cmpx_gt_i32_e64 s22, v0
	s_cbranch_execz .LBB311_80
.LBB311_98:
	v_dual_lshrrev_b32 v1, 8, v3 :: v_dual_add_nc_u32 v2, s14, v0
	v_add_nc_u32_e32 v0, 0x100, v0
	global_store_b8 v2, v1, s[16:17]
	s_wait_xcnt 0x0
	s_or_b32 exec_lo, exec_lo, s0
	s_delay_alu instid0(SALU_CYCLE_1)
	s_mov_b32 s0, exec_lo
	v_cmpx_gt_i32_e64 s22, v0
	s_cbranch_execz .LBB311_81
.LBB311_99:
	v_add_nc_u32_e32 v1, s14, v0
	v_add_nc_u32_e32 v0, 0x100, v0
	global_store_d16_hi_b8 v1, v3, s[16:17]
	s_wait_xcnt 0x0
	s_or_b32 exec_lo, exec_lo, s0
	s_delay_alu instid0(SALU_CYCLE_1)
	s_mov_b32 s0, exec_lo
	v_cmpx_gt_i32_e64 s22, v0
	s_cbranch_execnz .LBB311_82
	s_branch .LBB311_83
	.section	.rodata,"a",@progbits
	.p2align	6, 0x0
	.amdhsa_kernel _ZN2at6native29vectorized_elementwise_kernelILi4ENS0_13BinaryFunctorIN3c1014Float8_e8m0fnuES4_bNS0_12_GLOBAL__N_116CompareEqFunctorIS4_EEEESt5arrayIPcLm3EEEEviT0_T1_
		.amdhsa_group_segment_fixed_size 0
		.amdhsa_private_segment_fixed_size 0
		.amdhsa_kernarg_size 32
		.amdhsa_user_sgpr_count 2
		.amdhsa_user_sgpr_dispatch_ptr 0
		.amdhsa_user_sgpr_queue_ptr 0
		.amdhsa_user_sgpr_kernarg_segment_ptr 1
		.amdhsa_user_sgpr_dispatch_id 0
		.amdhsa_user_sgpr_kernarg_preload_length 0
		.amdhsa_user_sgpr_kernarg_preload_offset 0
		.amdhsa_user_sgpr_private_segment_size 0
		.amdhsa_wavefront_size32 1
		.amdhsa_uses_dynamic_stack 0
		.amdhsa_enable_private_segment 0
		.amdhsa_system_sgpr_workgroup_id_x 1
		.amdhsa_system_sgpr_workgroup_id_y 0
		.amdhsa_system_sgpr_workgroup_id_z 0
		.amdhsa_system_sgpr_workgroup_info 0
		.amdhsa_system_vgpr_workitem_id 0
		.amdhsa_next_free_vgpr 60
		.amdhsa_next_free_sgpr 23
		.amdhsa_named_barrier_count 0
		.amdhsa_reserve_vcc 1
		.amdhsa_float_round_mode_32 0
		.amdhsa_float_round_mode_16_64 0
		.amdhsa_float_denorm_mode_32 3
		.amdhsa_float_denorm_mode_16_64 3
		.amdhsa_fp16_overflow 0
		.amdhsa_memory_ordered 1
		.amdhsa_forward_progress 1
		.amdhsa_inst_pref_size 81
		.amdhsa_round_robin_scheduling 0
		.amdhsa_exception_fp_ieee_invalid_op 0
		.amdhsa_exception_fp_denorm_src 0
		.amdhsa_exception_fp_ieee_div_zero 0
		.amdhsa_exception_fp_ieee_overflow 0
		.amdhsa_exception_fp_ieee_underflow 0
		.amdhsa_exception_fp_ieee_inexact 0
		.amdhsa_exception_int_div_zero 0
	.end_amdhsa_kernel
	.section	.text._ZN2at6native29vectorized_elementwise_kernelILi4ENS0_13BinaryFunctorIN3c1014Float8_e8m0fnuES4_bNS0_12_GLOBAL__N_116CompareEqFunctorIS4_EEEESt5arrayIPcLm3EEEEviT0_T1_,"axG",@progbits,_ZN2at6native29vectorized_elementwise_kernelILi4ENS0_13BinaryFunctorIN3c1014Float8_e8m0fnuES4_bNS0_12_GLOBAL__N_116CompareEqFunctorIS4_EEEESt5arrayIPcLm3EEEEviT0_T1_,comdat
.Lfunc_end311:
	.size	_ZN2at6native29vectorized_elementwise_kernelILi4ENS0_13BinaryFunctorIN3c1014Float8_e8m0fnuES4_bNS0_12_GLOBAL__N_116CompareEqFunctorIS4_EEEESt5arrayIPcLm3EEEEviT0_T1_, .Lfunc_end311-_ZN2at6native29vectorized_elementwise_kernelILi4ENS0_13BinaryFunctorIN3c1014Float8_e8m0fnuES4_bNS0_12_GLOBAL__N_116CompareEqFunctorIS4_EEEESt5arrayIPcLm3EEEEviT0_T1_
                                        ; -- End function
	.set _ZN2at6native29vectorized_elementwise_kernelILi4ENS0_13BinaryFunctorIN3c1014Float8_e8m0fnuES4_bNS0_12_GLOBAL__N_116CompareEqFunctorIS4_EEEESt5arrayIPcLm3EEEEviT0_T1_.num_vgpr, 60
	.set _ZN2at6native29vectorized_elementwise_kernelILi4ENS0_13BinaryFunctorIN3c1014Float8_e8m0fnuES4_bNS0_12_GLOBAL__N_116CompareEqFunctorIS4_EEEESt5arrayIPcLm3EEEEviT0_T1_.num_agpr, 0
	.set _ZN2at6native29vectorized_elementwise_kernelILi4ENS0_13BinaryFunctorIN3c1014Float8_e8m0fnuES4_bNS0_12_GLOBAL__N_116CompareEqFunctorIS4_EEEESt5arrayIPcLm3EEEEviT0_T1_.numbered_sgpr, 23
	.set _ZN2at6native29vectorized_elementwise_kernelILi4ENS0_13BinaryFunctorIN3c1014Float8_e8m0fnuES4_bNS0_12_GLOBAL__N_116CompareEqFunctorIS4_EEEESt5arrayIPcLm3EEEEviT0_T1_.num_named_barrier, 0
	.set _ZN2at6native29vectorized_elementwise_kernelILi4ENS0_13BinaryFunctorIN3c1014Float8_e8m0fnuES4_bNS0_12_GLOBAL__N_116CompareEqFunctorIS4_EEEESt5arrayIPcLm3EEEEviT0_T1_.private_seg_size, 0
	.set _ZN2at6native29vectorized_elementwise_kernelILi4ENS0_13BinaryFunctorIN3c1014Float8_e8m0fnuES4_bNS0_12_GLOBAL__N_116CompareEqFunctorIS4_EEEESt5arrayIPcLm3EEEEviT0_T1_.uses_vcc, 1
	.set _ZN2at6native29vectorized_elementwise_kernelILi4ENS0_13BinaryFunctorIN3c1014Float8_e8m0fnuES4_bNS0_12_GLOBAL__N_116CompareEqFunctorIS4_EEEESt5arrayIPcLm3EEEEviT0_T1_.uses_flat_scratch, 0
	.set _ZN2at6native29vectorized_elementwise_kernelILi4ENS0_13BinaryFunctorIN3c1014Float8_e8m0fnuES4_bNS0_12_GLOBAL__N_116CompareEqFunctorIS4_EEEESt5arrayIPcLm3EEEEviT0_T1_.has_dyn_sized_stack, 0
	.set _ZN2at6native29vectorized_elementwise_kernelILi4ENS0_13BinaryFunctorIN3c1014Float8_e8m0fnuES4_bNS0_12_GLOBAL__N_116CompareEqFunctorIS4_EEEESt5arrayIPcLm3EEEEviT0_T1_.has_recursion, 0
	.set _ZN2at6native29vectorized_elementwise_kernelILi4ENS0_13BinaryFunctorIN3c1014Float8_e8m0fnuES4_bNS0_12_GLOBAL__N_116CompareEqFunctorIS4_EEEESt5arrayIPcLm3EEEEviT0_T1_.has_indirect_call, 0
	.section	.AMDGPU.csdata,"",@progbits
; Kernel info:
; codeLenInByte = 10348
; TotalNumSgprs: 25
; NumVgprs: 60
; ScratchSize: 0
; MemoryBound: 0
; FloatMode: 240
; IeeeMode: 1
; LDSByteSize: 0 bytes/workgroup (compile time only)
; SGPRBlocks: 0
; VGPRBlocks: 3
; NumSGPRsForWavesPerEU: 25
; NumVGPRsForWavesPerEU: 60
; NamedBarCnt: 0
; Occupancy: 16
; WaveLimiterHint : 1
; COMPUTE_PGM_RSRC2:SCRATCH_EN: 0
; COMPUTE_PGM_RSRC2:USER_SGPR: 2
; COMPUTE_PGM_RSRC2:TRAP_HANDLER: 0
; COMPUTE_PGM_RSRC2:TGID_X_EN: 1
; COMPUTE_PGM_RSRC2:TGID_Y_EN: 0
; COMPUTE_PGM_RSRC2:TGID_Z_EN: 0
; COMPUTE_PGM_RSRC2:TIDIG_COMP_CNT: 0
	.section	.text._ZN2at6native29vectorized_elementwise_kernelILi2ENS0_13BinaryFunctorIN3c1014Float8_e8m0fnuES4_bNS0_12_GLOBAL__N_116CompareEqFunctorIS4_EEEESt5arrayIPcLm3EEEEviT0_T1_,"axG",@progbits,_ZN2at6native29vectorized_elementwise_kernelILi2ENS0_13BinaryFunctorIN3c1014Float8_e8m0fnuES4_bNS0_12_GLOBAL__N_116CompareEqFunctorIS4_EEEESt5arrayIPcLm3EEEEviT0_T1_,comdat
	.globl	_ZN2at6native29vectorized_elementwise_kernelILi2ENS0_13BinaryFunctorIN3c1014Float8_e8m0fnuES4_bNS0_12_GLOBAL__N_116CompareEqFunctorIS4_EEEESt5arrayIPcLm3EEEEviT0_T1_ ; -- Begin function _ZN2at6native29vectorized_elementwise_kernelILi2ENS0_13BinaryFunctorIN3c1014Float8_e8m0fnuES4_bNS0_12_GLOBAL__N_116CompareEqFunctorIS4_EEEESt5arrayIPcLm3EEEEviT0_T1_
	.p2align	8
	.type	_ZN2at6native29vectorized_elementwise_kernelILi2ENS0_13BinaryFunctorIN3c1014Float8_e8m0fnuES4_bNS0_12_GLOBAL__N_116CompareEqFunctorIS4_EEEESt5arrayIPcLm3EEEEviT0_T1_,@function
_ZN2at6native29vectorized_elementwise_kernelILi2ENS0_13BinaryFunctorIN3c1014Float8_e8m0fnuES4_bNS0_12_GLOBAL__N_116CompareEqFunctorIS4_EEEESt5arrayIPcLm3EEEEviT0_T1_: ; @_ZN2at6native29vectorized_elementwise_kernelILi2ENS0_13BinaryFunctorIN3c1014Float8_e8m0fnuES4_bNS0_12_GLOBAL__N_116CompareEqFunctorIS4_EEEESt5arrayIPcLm3EEEEviT0_T1_
; %bb.0:
	s_clause 0x2
	s_load_b64 s[4:5], s[0:1], 0x0
	s_load_b128 s[8:11], s[0:1], 0x8
	s_load_b64 s[12:13], s[0:1], 0x18
	s_wait_xcnt 0x0
	s_bfe_u32 s0, ttmp6, 0x4000c
	s_and_b32 s1, ttmp6, 15
	s_add_co_i32 s0, s0, 1
	s_getreg_b32 s2, hwreg(HW_REG_IB_STS2, 6, 4)
	s_mul_i32 s0, ttmp9, s0
	s_mov_b32 s17, -1
	s_add_co_i32 s1, s1, s0
	s_cmp_eq_u32 s2, 0
	s_cselect_b32 s0, ttmp9, s1
	s_delay_alu instid0(SALU_CYCLE_1) | instskip(SKIP_2) | instid1(SALU_CYCLE_1)
	s_lshl_b32 s6, s0, 12
	s_wait_kmcnt 0x0
	s_sub_co_i32 s16, s4, s6
	s_cmp_gt_i32 s16, 0xfff
	s_cbranch_scc0 .LBB312_2
; %bb.1:
	s_ashr_i32 s7, s6, 31
	s_cmp_eq_u32 s5, 0
	s_add_nc_u64 s[0:1], s[10:11], s[6:7]
	s_add_nc_u64 s[2:3], s[12:13], s[6:7]
	s_clause 0xf
	global_load_u16 v1, v0, s[0:1] scale_offset
	global_load_u16 v2, v0, s[0:1] offset:512 scale_offset
	global_load_u16 v3, v0, s[0:1] offset:1024 scale_offset
	;; [unrolled: 1-line block ×7, first 2 shown]
	global_load_u16 v9, v0, s[2:3] scale_offset
	global_load_u16 v10, v0, s[2:3] offset:512 scale_offset
	global_load_u16 v11, v0, s[2:3] offset:1024 scale_offset
	;; [unrolled: 1-line block ×6, first 2 shown]
	; meta instruction
	global_load_u16 v16, v0, s[2:3] offset:3584 scale_offset
	s_add_nc_u64 s[14:15], s[8:9], s[6:7]
	s_mov_b32 s17, 0
	s_wait_loadcnt 0xf
	v_lshrrev_b16 v17, 8, v1
	v_and_b32_e32 v1, 0xff, v1
	s_wait_loadcnt 0xe
	v_lshrrev_b16 v18, 8, v2
	v_and_b32_e32 v2, 0xff, v2
	s_wait_loadcnt 0xd
	v_lshrrev_b16 v19, 8, v3
	v_lshlrev_b32_e32 v35, 23, v17
	v_lshlrev_b32_e32 v33, 23, v1
	v_cmp_ne_u16_e32 vcc_lo, 0xff, v1
	s_wait_loadcnt 0x7
	v_lshrrev_b16 v25, 8, v9
	s_wait_loadcnt 0x6
	v_lshrrev_b16 v26, 8, v10
	v_and_b32_e32 v9, 0xff, v9
	v_and_b32_e32 v10, 0xff, v10
	v_lshlrev_b32_e32 v37, 23, v2
	s_wait_xcnt 0x0
	v_cmp_ne_u16_e64 s3, 0xff, v2
	s_wait_loadcnt 0x1
	v_lshrrev_b16 v31, 8, v15
	v_and_b32_e32 v15, 0xff, v15
	s_wait_loadcnt 0x0
	v_lshrrev_b16 v32, 8, v16
	v_dual_lshlrev_b32 v34, 23, v9 :: v_dual_lshlrev_b32 v38, 23, v10
	s_delay_alu instid0(VALU_DEP_3)
	v_dual_cndmask_b32 v33, 0x7f800001, v33 :: v_dual_lshlrev_b32 v58, 23, v15
	v_cmp_ne_u16_e32 vcc_lo, 0, v1
	v_cmp_ne_u16_e64 s4, 0xff, v10
	v_lshlrev_b32_e32 v39, 23, v18
	v_cndmask_b32_e64 v37, 0x7f800001, v37, s3
	v_cmp_ne_u16_e64 s3, 0, v2
	v_dual_cndmask_b32 v33, 0x400000, v33 :: v_dual_lshlrev_b32 v2, 23, v32
	v_cndmask_b32_e64 v38, 0x7f800001, v38, s4
	v_cmp_ne_u16_e64 s4, 0xff, v18
	v_cmp_ne_u16_e32 vcc_lo, 0, v10
	v_and_b32_e32 v3, 0xff, v3
	v_dual_lshlrev_b32 v36, 23, v25 :: v_dual_lshlrev_b32 v40, 23, v26
	s_delay_alu instid0(VALU_DEP_4)
	v_cndmask_b32_e64 v39, 0x7f800001, v39, s4
	v_cmp_ne_u16_e64 s4, 0xff, v26
	v_cndmask_b32_e32 v10, 0x400000, v38, vcc_lo
	v_cmp_ne_u16_e32 vcc_lo, 0, v18
	v_lshrrev_b16 v20, 8, v4
	v_lshrrev_b16 v27, 8, v11
	v_and_b32_e32 v11, 0xff, v11
	v_and_b32_e32 v4, 0xff, v4
	v_lshlrev_b32_e32 v41, 23, v3
	v_cndmask_b32_e64 v40, 0x7f800001, v40, s4
	v_cmp_ne_u16_e64 s4, 0xff, v3
	v_cndmask_b32_e32 v18, 0x400000, v39, vcc_lo
	v_cmp_ne_u16_e32 vcc_lo, 0, v26
	v_lshrrev_b16 v28, 8, v12
	v_and_b32_e32 v12, 0xff, v12
	v_dual_lshlrev_b32 v42, 23, v11 :: v_dual_lshlrev_b32 v45, 23, v4
	v_cndmask_b32_e64 v41, 0x7f800001, v41, s4
	v_cmp_ne_u16_e64 s4, 0xff, v11
	v_cndmask_b32_e32 v26, 0x400000, v40, vcc_lo
	v_cmp_ne_u16_e32 vcc_lo, 0, v3
	v_dual_lshlrev_b32 v43, 23, v19 :: v_dual_lshlrev_b32 v47, 23, v20
	v_lshlrev_b32_e32 v46, 23, v12
	v_cndmask_b32_e64 v42, 0x7f800001, v42, s4
	v_cmp_ne_u16_e64 s4, 0xff, v19
	v_cndmask_b32_e32 v3, 0x400000, v41, vcc_lo
	v_cmp_ne_u16_e32 vcc_lo, 0, v11
	v_dual_lshlrev_b32 v44, 23, v27 :: v_dual_lshlrev_b32 v48, 23, v28
	s_delay_alu instid0(VALU_DEP_4)
	v_cndmask_b32_e64 v43, 0x7f800001, v43, s4
	v_cmp_ne_u16_e64 s4, 0xff, v27
	v_cndmask_b32_e32 v11, 0x400000, v42, vcc_lo
	v_cmp_ne_u16_e32 vcc_lo, 0, v19
	v_lshrrev_b16 v21, 8, v5
	v_and_b32_e32 v5, 0xff, v5
	v_cndmask_b32_e64 v44, 0x7f800001, v44, s4
	v_cmp_ne_u16_e64 s4, 0xff, v4
	v_cndmask_b32_e32 v19, 0x400000, v43, vcc_lo
	v_cmp_ne_u16_e32 vcc_lo, 0, v27
	v_lshrrev_b16 v22, 8, v6
	v_lshrrev_b16 v29, 8, v13
	v_cndmask_b32_e64 v45, 0x7f800001, v45, s4
	v_cmp_ne_u16_e64 s4, 0xff, v12
	v_cndmask_b32_e32 v27, 0x400000, v44, vcc_lo
	v_cmp_ne_u16_e32 vcc_lo, 0, v4
	v_and_b32_e32 v13, 0xff, v13
	v_and_b32_e32 v6, 0xff, v6
	v_cndmask_b32_e64 v46, 0x7f800001, v46, s4
	v_cmp_ne_u16_e64 s4, 0xff, v20
	v_cndmask_b32_e32 v4, 0x400000, v45, vcc_lo
	v_cmp_ne_u16_e32 vcc_lo, 0, v12
	v_dual_lshlrev_b32 v49, 23, v5 :: v_dual_lshlrev_b32 v53, 23, v6
	s_delay_alu instid0(VALU_DEP_4)
	v_cndmask_b32_e64 v47, 0x7f800001, v47, s4
	v_cmp_ne_u16_e64 s4, 0xff, v28
	v_cndmask_b32_e32 v12, 0x400000, v46, vcc_lo
	v_cmp_ne_u16_e32 vcc_lo, 0, v20
	v_lshrrev_b16 v30, 8, v14
	v_and_b32_e32 v14, 0xff, v14
	v_cndmask_b32_e64 v48, 0x7f800001, v48, s4
	v_cmp_ne_u16_e64 s4, 0xff, v5
	v_cndmask_b32_e32 v20, 0x400000, v47, vcc_lo
	v_cmp_ne_u16_e32 vcc_lo, 0, v28
	v_dual_lshlrev_b32 v50, 23, v13 :: v_dual_lshlrev_b32 v54, 23, v14
	s_delay_alu instid0(VALU_DEP_4) | instskip(SKIP_4) | instid1(VALU_DEP_4)
	v_cndmask_b32_e64 v49, 0x7f800001, v49, s4
	v_cmp_ne_u16_e64 s4, 0xff, v13
	v_cndmask_b32_e32 v28, 0x400000, v48, vcc_lo
	v_cmp_ne_u16_e32 vcc_lo, 0, v5
	v_dual_lshlrev_b32 v51, 23, v21 :: v_dual_lshlrev_b32 v55, 23, v22
	v_cndmask_b32_e64 v50, 0x7f800001, v50, s4
	v_cmp_ne_u16_e64 s4, 0xff, v21
	v_cndmask_b32_e32 v5, 0x400000, v49, vcc_lo
	v_cmp_ne_u16_e32 vcc_lo, 0, v13
	v_dual_lshlrev_b32 v52, 23, v29 :: v_dual_lshlrev_b32 v56, 23, v30
	s_delay_alu instid0(VALU_DEP_4)
	v_cndmask_b32_e64 v51, 0x7f800001, v51, s4
	v_cmp_ne_u16_e64 s4, 0xff, v29
	v_cndmask_b32_e32 v13, 0x400000, v50, vcc_lo
	v_cmp_ne_u16_e32 vcc_lo, 0, v21
	v_lshrrev_b16 v23, 8, v7
	v_and_b32_e32 v7, 0xff, v7
	v_cndmask_b32_e64 v52, 0x7f800001, v52, s4
	v_cmp_ne_u16_e64 s4, 0xff, v6
	v_cndmask_b32_e32 v21, 0x400000, v51, vcc_lo
	v_cmp_ne_u16_e32 vcc_lo, 0, v29
	v_lshrrev_b16 v24, 8, v8
	v_and_b32_e32 v8, 0xff, v8
	v_cndmask_b32_e64 v53, 0x7f800001, v53, s4
	v_cmp_ne_u16_e64 s4, 0xff, v14
	v_cndmask_b32_e32 v29, 0x400000, v52, vcc_lo
	v_cmp_ne_u16_e32 vcc_lo, 0, v6
	v_lshlrev_b32_e32 v57, 23, v7
	v_cmp_ne_u16_e64 s0, 0xff, v9
	v_cndmask_b32_e64 v54, 0x7f800001, v54, s4
	v_cmp_ne_u16_e64 s4, 0xff, v22
	v_cndmask_b32_e32 v6, 0x400000, v53, vcc_lo
	v_cmp_ne_u16_e32 vcc_lo, 0, v14
	v_cndmask_b32_e64 v34, 0x7f800001, v34, s0
	v_cmp_ne_u16_e64 s0, 0, v9
	v_cndmask_b32_e64 v55, 0x7f800001, v55, s4
	v_cmp_ne_u16_e64 s4, 0xff, v30
	v_cndmask_b32_e32 v14, 0x400000, v54, vcc_lo
	v_cmp_ne_u16_e32 vcc_lo, 0, v22
	v_lshlrev_b32_e32 v9, 23, v8
	v_and_b32_e32 v16, 0xff, v16
	v_cndmask_b32_e64 v56, 0x7f800001, v56, s4
	v_cmp_ne_u16_e64 s4, 0xff, v7
	v_cndmask_b32_e32 v22, 0x400000, v55, vcc_lo
	v_cmp_ne_u16_e32 vcc_lo, 0, v30
	v_lshlrev_b32_e32 v59, 23, v23
	v_cmp_ne_u16_e64 s1, 0xff, v17
	v_cndmask_b32_e64 v57, 0x7f800001, v57, s4
	v_cmp_ne_u16_e64 s4, 0xff, v15
	v_cndmask_b32_e32 v30, 0x400000, v56, vcc_lo
	v_cmp_ne_u16_e32 vcc_lo, 0, v7
	v_lshlrev_b32_e32 v1, 23, v31
	v_cndmask_b32_e64 v35, 0x7f800001, v35, s1
	v_cndmask_b32_e64 v58, 0x7f800001, v58, s4
	v_cmp_ne_u16_e64 s4, 0xff, v23
	v_cndmask_b32_e32 v7, 0x400000, v57, vcc_lo
	v_cmp_ne_u16_e32 vcc_lo, 0, v15
	v_cmp_ne_u16_e64 s1, 0, v17
	v_lshlrev_b32_e32 v17, 23, v16
	v_cmp_ne_u16_e64 s2, 0xff, v25
	v_cndmask_b32_e64 v59, 0x7f800001, v59, s4
	v_cmp_ne_u16_e64 s4, 0xff, v31
	v_cndmask_b32_e32 v15, 0x400000, v58, vcc_lo
	v_cmp_ne_u16_e32 vcc_lo, 0, v23
	v_cndmask_b32_e64 v36, 0x7f800001, v36, s2
	v_cmp_ne_u16_e64 s2, 0, v25
	v_lshlrev_b32_e32 v25, 23, v24
	v_cndmask_b32_e64 v1, 0x7f800001, v1, s4
	v_cmp_ne_u16_e64 s4, 0xff, v8
	v_cndmask_b32_e32 v23, 0x400000, v59, vcc_lo
	v_cmp_ne_u16_e32 vcc_lo, 0, v31
	v_cndmask_b32_e64 v34, 0x400000, v34, s0
	v_cndmask_b32_e64 v35, 0x400000, v35, s1
	v_cndmask_b32_e64 v9, 0x7f800001, v9, s4
	v_cmp_ne_u16_e64 s4, 0xff, v16
	v_cndmask_b32_e32 v1, 0x400000, v1, vcc_lo
	v_cmp_ne_u16_e32 vcc_lo, 0, v8
	v_cndmask_b32_e64 v36, 0x400000, v36, s2
	v_cndmask_b32_e64 v37, 0x400000, v37, s3
	;; [unrolled: 1-line block ×3, first 2 shown]
	v_cmp_ne_u16_e64 s4, 0xff, v24
	v_cndmask_b32_e32 v8, 0x400000, v9, vcc_lo
	v_cmp_ne_u16_e32 vcc_lo, 0, v16
	s_delay_alu instid0(VALU_DEP_3) | instskip(SKIP_3) | instid1(VALU_DEP_3)
	v_cndmask_b32_e64 v25, 0x7f800001, v25, s4
	v_cmp_ne_u16_e64 s4, 0xff, v32
	v_cndmask_b32_e32 v9, 0x400000, v17, vcc_lo
	v_cmp_ne_u16_e32 vcc_lo, 0, v24
	v_cndmask_b32_e64 v2, 0x7f800001, v2, s4
	v_cndmask_b32_e32 v16, 0x400000, v25, vcc_lo
	v_cmp_ne_u16_e32 vcc_lo, 0, v32
	s_delay_alu instid0(VALU_DEP_3)
	v_cndmask_b32_e32 v2, 0x400000, v2, vcc_lo
	v_cmp_eq_f32_e32 vcc_lo, v33, v34
	v_cndmask_b32_e64 v17, 0, 1, vcc_lo
	v_cmp_neq_f32_e32 vcc_lo, v33, v34
	v_cndmask_b32_e64 v24, 0, 1, vcc_lo
	v_cmp_eq_f32_e32 vcc_lo, v35, v36
	v_cndmask_b32_e64 v25, 0, 1, vcc_lo
	v_cmp_neq_f32_e32 vcc_lo, v35, v36
	v_cndmask_b32_e64 v31, 0, 1, vcc_lo
	;; [unrolled: 4-line block ×16, first 2 shown]
	s_cselect_b32 vcc_lo, -1, 0
	s_delay_alu instid0(SALU_CYCLE_1)
	v_dual_cndmask_b32 v16, v24, v17, vcc_lo :: v_dual_cndmask_b32 v10, v10, v32, vcc_lo
	v_dual_cndmask_b32 v17, v31, v25 :: v_dual_cndmask_b32 v4, v4, v27
	v_dual_cndmask_b32 v7, v7, v30, vcc_lo :: v_dual_cndmask_b32 v1, v1, v15, vcc_lo
	v_dual_cndmask_b32 v18, v18, v33 :: v_dual_cndmask_b32 v3, v3, v26
	;; [unrolled: 2-line block ×3, first 2 shown]
	v_dual_cndmask_b32 v13, v21, v13 :: v_dual_cndmask_b32 v14, v22, v14
	v_and_b32_e32 v9, 1, v17
	v_and_b32_e32 v1, 1, v1
	;; [unrolled: 1-line block ×8, first 2 shown]
	v_lshlrev_b16 v1, 8, v1
	v_lshlrev_b16 v9, 8, v9
	;; [unrolled: 1-line block ×6, first 2 shown]
	v_dual_cndmask_b32 v5, v5, v28 :: v_dual_cndmask_b32 v6, v6, v29
	v_lshlrev_b16 v13, 8, v13
	v_lshlrev_b16 v14, 8, v14
	v_bitop3_b16 v1, v7, v1, 1 bitop3:0xec
	v_bitop3_b16 v7, v16, v9, 1 bitop3:0xec
	v_bitop3_b16 v2, v8, v2, 1 bitop3:0xec
	v_bitop3_b16 v8, v10, v15, 1 bitop3:0xec
	v_bitop3_b16 v3, v3, v11, 1 bitop3:0xec
	v_bitop3_b16 v4, v4, v12, 1 bitop3:0xec
	v_bitop3_b16 v5, v5, v13, 1 bitop3:0xec
	v_bitop3_b16 v6, v6, v14, 1 bitop3:0xec
	s_clause 0x7
	global_store_b16 v0, v7, s[14:15] scale_offset
	global_store_b16 v0, v8, s[14:15] offset:512 scale_offset
	global_store_b16 v0, v3, s[14:15] offset:1024 scale_offset
	;; [unrolled: 1-line block ×7, first 2 shown]
.LBB312_2:
	s_and_not1_b32 vcc_lo, exec_lo, s17
	s_cbranch_vccnz .LBB312_83
; %bb.3:
	v_cmp_gt_i32_e32 vcc_lo, s16, v0
	s_wait_xcnt 0x0
	v_dual_mov_b32 v2, 0 :: v_dual_bitop2_b32 v10, s6, v0 bitop3:0x54
	v_or_b32_e32 v11, 0x100, v0
	v_dual_mov_b32 v14, 0 :: v_dual_mov_b32 v12, 0
	v_dual_mov_b32 v16, 0 :: v_dual_mov_b32 v13, 0
	;; [unrolled: 1-line block ×16, first 2 shown]
	s_and_saveexec_b32 s1, vcc_lo
	s_cbranch_execz .LBB312_35
; %bb.4:
	s_clause 0x1
	global_load_u8 v41, v10, s[10:11]
	global_load_u8 v40, v10, s[12:13]
	v_or_b32_e32 v1, 0x100, v0
	v_dual_mov_b32 v38, 0 :: v_dual_mov_b32 v39, 0
	v_dual_mov_b32 v5, 0 :: v_dual_mov_b32 v37, 0
	s_delay_alu instid0(VALU_DEP_3)
	v_cmp_gt_u32_e64 s0, s16, v1
	v_dual_mov_b32 v6, 0 :: v_dual_mov_b32 v36, 0
	v_dual_mov_b32 v34, 0 :: v_dual_mov_b32 v35, 0
	;; [unrolled: 1-line block ×13, first 2 shown]
	s_wait_xcnt 0x0
	s_and_saveexec_b32 s2, s0
	s_cbranch_execz .LBB312_34
; %bb.5:
	v_dual_mov_b32 v5, 0 :: v_dual_add_nc_u32 v4, s6, v0
	v_or_b32_e32 v1, 0x200, v0
	v_dual_mov_b32 v37, 0 :: v_dual_mov_b32 v6, 0
	s_clause 0x1
	global_load_u8 v39, v4, s[10:11] offset:256
	global_load_u8 v38, v4, s[12:13] offset:256
	v_dual_mov_b32 v36, 0 :: v_dual_mov_b32 v34, 0
	v_cmp_gt_u32_e64 s0, s16, v1
	v_dual_mov_b32 v35, 0 :: v_dual_mov_b32 v32, 0
	v_dual_mov_b32 v33, 0 :: v_dual_mov_b32 v30, 0
	;; [unrolled: 1-line block ×11, first 2 shown]
	v_mov_b32_e32 v14, 0
	s_wait_xcnt 0x0
	s_and_saveexec_b32 s3, s0
	s_cbranch_execz .LBB312_33
; %bb.6:
	v_add_nc_u64_e32 v[6:7], s[10:11], v[4:5]
	v_add_nc_u64_e32 v[8:9], s[12:13], v[4:5]
	v_or_b32_e32 v3, 0x300, v0
	v_dual_mov_b32 v36, 0 :: v_dual_mov_b32 v34, 0
	v_dual_mov_b32 v35, 0 :: v_dual_mov_b32 v32, 0
	global_load_u8 v37, v[6:7], off offset:512
	global_load_u8 v1, v[8:9], off offset:512
	v_cmp_gt_u32_e64 s0, s16, v3
	v_dual_mov_b32 v33, 0 :: v_dual_mov_b32 v30, 0
	v_dual_mov_b32 v31, 0 :: v_dual_mov_b32 v28, 0
	;; [unrolled: 1-line block ×10, first 2 shown]
	v_mov_b32_e32 v14, 0
	s_wait_xcnt 0x0
	s_and_saveexec_b32 s4, s0
	s_cbranch_execz .LBB312_32
; %bb.7:
	global_load_u8 v36, v[6:7], off offset:768
	global_load_u8 v5, v[8:9], off offset:768
	v_or_b32_e32 v3, 0x400, v0
	v_dual_mov_b32 v34, 0 :: v_dual_mov_b32 v35, 0
	v_dual_mov_b32 v32, 0 :: v_dual_mov_b32 v33, 0
	s_delay_alu instid0(VALU_DEP_3)
	v_cmp_gt_u32_e64 s0, s16, v3
	v_dual_mov_b32 v30, 0 :: v_dual_mov_b32 v31, 0
	v_dual_mov_b32 v28, 0 :: v_dual_mov_b32 v29, 0
	;; [unrolled: 1-line block ×10, first 2 shown]
	s_wait_xcnt 0x0
	s_and_saveexec_b32 s7, s0
	s_cbranch_execz .LBB312_31
; %bb.8:
	global_load_u8 v35, v[6:7], off offset:1024
	global_load_u8 v34, v[8:9], off offset:1024
	v_or_b32_e32 v3, 0x500, v0
	v_dual_mov_b32 v32, 0 :: v_dual_mov_b32 v33, 0
	v_dual_mov_b32 v30, 0 :: v_dual_mov_b32 v31, 0
	s_delay_alu instid0(VALU_DEP_3)
	v_cmp_gt_u32_e64 s0, s16, v3
	v_dual_mov_b32 v28, 0 :: v_dual_mov_b32 v29, 0
	v_dual_mov_b32 v26, 0 :: v_dual_mov_b32 v27, 0
	;; [unrolled: 1-line block ×9, first 2 shown]
	s_wait_xcnt 0x0
	s_and_saveexec_b32 s10, s0
	s_cbranch_execz .LBB312_30
; %bb.9:
	global_load_u8 v33, v[6:7], off offset:1280
	global_load_u8 v32, v[8:9], off offset:1280
	v_or_b32_e32 v3, 0x600, v0
	v_dual_mov_b32 v30, 0 :: v_dual_mov_b32 v31, 0
	v_dual_mov_b32 v28, 0 :: v_dual_mov_b32 v29, 0
	s_delay_alu instid0(VALU_DEP_3)
	v_cmp_gt_u32_e64 s0, s16, v3
	v_dual_mov_b32 v26, 0 :: v_dual_mov_b32 v27, 0
	v_dual_mov_b32 v24, 0 :: v_dual_mov_b32 v25, 0
	;; [unrolled: 1-line block ×8, first 2 shown]
	s_wait_xcnt 0x0
	s_and_saveexec_b32 s11, s0
	s_cbranch_execz .LBB312_29
; %bb.10:
	global_load_u8 v31, v[6:7], off offset:1536
	global_load_u8 v30, v[8:9], off offset:1536
	v_or_b32_e32 v3, 0x700, v0
	v_dual_mov_b32 v28, 0 :: v_dual_mov_b32 v29, 0
	v_dual_mov_b32 v26, 0 :: v_dual_mov_b32 v27, 0
	;; [unrolled: 1-line block ×9, first 2 shown]
	s_mov_b32 s12, exec_lo
	s_wait_xcnt 0x0
	v_cmpx_gt_u32_e64 s16, v3
	s_cbranch_execz .LBB312_28
; %bb.11:
	global_load_u8 v29, v[6:7], off offset:1792
	global_load_u8 v28, v[8:9], off offset:1792
	v_or_b32_e32 v3, 0x800, v0
	v_dual_mov_b32 v26, 0 :: v_dual_mov_b32 v27, 0
	v_dual_mov_b32 v24, 0 :: v_dual_mov_b32 v25, 0
	;; [unrolled: 1-line block ×8, first 2 shown]
	s_mov_b32 s13, exec_lo
	s_wait_xcnt 0x0
	v_cmpx_gt_u32_e64 s16, v3
	s_cbranch_execz .LBB312_27
; %bb.12:
	global_load_u8 v27, v[6:7], off offset:2048
	global_load_u8 v26, v[8:9], off offset:2048
	v_or_b32_e32 v3, 0x900, v0
	v_dual_mov_b32 v24, 0 :: v_dual_mov_b32 v25, 0
	v_dual_mov_b32 v22, 0 :: v_dual_mov_b32 v23, 0
	;; [unrolled: 1-line block ×7, first 2 shown]
	s_mov_b32 s14, exec_lo
	s_wait_xcnt 0x0
	v_cmpx_gt_u32_e64 s16, v3
	s_cbranch_execz .LBB312_26
; %bb.13:
	global_load_u8 v25, v[6:7], off offset:2304
	global_load_u8 v24, v[8:9], off offset:2304
	v_or_b32_e32 v3, 0xa00, v0
	v_dual_mov_b32 v22, 0 :: v_dual_mov_b32 v23, 0
	v_dual_mov_b32 v20, 0 :: v_dual_mov_b32 v21, 0
	;; [unrolled: 1-line block ×6, first 2 shown]
	s_mov_b32 s15, exec_lo
	s_wait_xcnt 0x0
	v_cmpx_gt_u32_e64 s16, v3
	s_cbranch_execz .LBB312_25
; %bb.14:
	global_load_u8 v23, v[6:7], off offset:2560
	global_load_u8 v22, v[8:9], off offset:2560
	v_or_b32_e32 v3, 0xb00, v0
	v_dual_mov_b32 v20, 0 :: v_dual_mov_b32 v21, 0
	v_dual_mov_b32 v17, 0 :: v_dual_mov_b32 v19, 0
	;; [unrolled: 1-line block ×5, first 2 shown]
	s_mov_b32 s17, exec_lo
	s_wait_xcnt 0x0
	v_cmpx_gt_u32_e64 s16, v3
	s_cbranch_execz .LBB312_24
; %bb.15:
	global_load_u8 v21, v[6:7], off offset:2816
	global_load_u8 v20, v[8:9], off offset:2816
	v_or_b32_e32 v3, 0xc00, v0
	v_dual_mov_b32 v17, 0 :: v_dual_mov_b32 v19, 0
	v_dual_mov_b32 v15, 0 :: v_dual_mov_b32 v18, 0
	;; [unrolled: 1-line block ×4, first 2 shown]
	s_mov_b32 s18, exec_lo
	s_wait_xcnt 0x0
	v_cmpx_gt_u32_e64 s16, v3
	s_cbranch_execz .LBB312_23
; %bb.16:
	global_load_u8 v19, v[6:7], off offset:3072
	global_load_u8 v17, v[8:9], off offset:3072
	v_or_b32_e32 v3, 0xd00, v0
	v_dual_mov_b32 v15, 0 :: v_dual_mov_b32 v18, 0
	v_dual_mov_b32 v13, 0 :: v_dual_mov_b32 v16, 0
	;; [unrolled: 1-line block ×3, first 2 shown]
	s_mov_b32 s19, exec_lo
	s_wait_xcnt 0x0
	v_cmpx_gt_u32_e64 s16, v3
	s_cbranch_execz .LBB312_22
; %bb.17:
	global_load_u8 v18, v[6:7], off offset:3328
	global_load_u8 v15, v[8:9], off offset:3328
	v_or_b32_e32 v3, 0xe00, v0
	v_dual_mov_b32 v13, 0 :: v_dual_mov_b32 v16, 0
	v_dual_mov_b32 v12, 0 :: v_dual_mov_b32 v14, 0
	s_mov_b32 s20, exec_lo
	s_wait_xcnt 0x0
	v_cmpx_gt_u32_e64 s16, v3
	s_cbranch_execz .LBB312_21
; %bb.18:
	global_load_u8 v16, v[6:7], off offset:3584
	global_load_u8 v13, v[8:9], off offset:3584
	v_or_b32_e32 v3, 0xf00, v0
	v_dual_mov_b32 v12, 0 :: v_dual_mov_b32 v14, 0
	s_mov_b32 s21, exec_lo
	s_wait_xcnt 0x0
	s_delay_alu instid0(VALU_DEP_2)
	v_cmpx_gt_u32_e64 s16, v3
	s_cbranch_execz .LBB312_20
; %bb.19:
	global_load_u8 v14, v[6:7], off offset:3840
	global_load_u8 v12, v[8:9], off offset:3840
.LBB312_20:
	s_wait_xcnt 0x0
	s_or_b32 exec_lo, exec_lo, s21
.LBB312_21:
	s_delay_alu instid0(SALU_CYCLE_1)
	s_or_b32 exec_lo, exec_lo, s20
.LBB312_22:
	s_delay_alu instid0(SALU_CYCLE_1)
	s_or_b32 exec_lo, exec_lo, s19
.LBB312_23:
	s_delay_alu instid0(SALU_CYCLE_1)
	s_or_b32 exec_lo, exec_lo, s18
.LBB312_24:
	s_delay_alu instid0(SALU_CYCLE_1)
	s_or_b32 exec_lo, exec_lo, s17
.LBB312_25:
	s_delay_alu instid0(SALU_CYCLE_1)
	s_or_b32 exec_lo, exec_lo, s15
.LBB312_26:
	s_delay_alu instid0(SALU_CYCLE_1)
	s_or_b32 exec_lo, exec_lo, s14
.LBB312_27:
	s_delay_alu instid0(SALU_CYCLE_1)
	s_or_b32 exec_lo, exec_lo, s13
.LBB312_28:
	s_delay_alu instid0(SALU_CYCLE_1)
	s_or_b32 exec_lo, exec_lo, s12
.LBB312_29:
	s_delay_alu instid0(SALU_CYCLE_1)
	s_or_b32 exec_lo, exec_lo, s11
.LBB312_30:
	s_delay_alu instid0(SALU_CYCLE_1)
	s_or_b32 exec_lo, exec_lo, s10
.LBB312_31:
	s_delay_alu instid0(SALU_CYCLE_1)
	s_or_b32 exec_lo, exec_lo, s7
.LBB312_32:
	s_delay_alu instid0(SALU_CYCLE_1)
	s_or_b32 exec_lo, exec_lo, s4
	s_wait_loadcnt 0x0
	v_dual_mov_b32 v6, v5 :: v_dual_mov_b32 v5, v1
.LBB312_33:
	s_or_b32 exec_lo, exec_lo, s3
.LBB312_34:
	s_delay_alu instid0(SALU_CYCLE_1)
	s_or_b32 exec_lo, exec_lo, s2
.LBB312_35:
	s_delay_alu instid0(SALU_CYCLE_1)
	s_or_b32 exec_lo, exec_lo, s1
	v_dual_mov_b32 v1, v2 :: v_dual_mov_b32 v4, v2
	v_mov_b32_e32 v3, v2
	s_cmp_eq_u32 s5, 0
	s_cselect_b32 s0, -1, 0
	s_and_saveexec_b32 s2, vcc_lo
	s_cbranch_execz .LBB312_37
; %bb.36:
	s_wait_loadcnt 0x1
	v_and_b32_e32 v1, 0xff, v41
	s_wait_loadcnt 0x0
	v_and_b32_e32 v2, 0xff, v40
	s_delay_alu instid0(VALU_DEP_1) | instskip(SKIP_1) | instid1(VALU_DEP_1)
	v_dual_lshlrev_b32 v3, 23, v1 :: v_dual_lshlrev_b32 v4, 23, v2
	v_cmp_ne_u16_e64 s1, 0xff, v1
	v_cndmask_b32_e64 v3, 0x7f800001, v3, s1
	v_cmp_ne_u16_e64 s1, 0xff, v2
	s_delay_alu instid0(VALU_DEP_1) | instskip(SKIP_1) | instid1(VALU_DEP_1)
	v_cndmask_b32_e64 v4, 0x7f800001, v4, s1
	v_cmp_ne_u16_e64 s1, 0, v1
	v_cndmask_b32_e64 v1, 0x400000, v3, s1
	v_cmp_ne_u16_e64 s1, 0, v2
	s_delay_alu instid0(VALU_DEP_1) | instskip(NEXT) | instid1(VALU_DEP_1)
	v_cndmask_b32_e64 v2, 0x400000, v4, s1
	v_cmp_eq_f32_e64 s1, v1, v2
	s_delay_alu instid0(VALU_DEP_1) | instskip(SKIP_1) | instid1(VALU_DEP_1)
	v_cndmask_b32_e64 v3, 0, 1, s1
	v_cmp_neq_f32_e64 s1, v1, v2
	v_cndmask_b32_e64 v1, 0, 1, s1
	s_delay_alu instid0(VALU_DEP_1) | instskip(NEXT) | instid1(VALU_DEP_1)
	v_dual_cndmask_b32 v2, v1, v3, s0 :: v_dual_mov_b32 v1, 0
	v_dual_mov_b32 v4, v1 :: v_dual_bitop2_b32 v2, 1, v2 bitop3:0x40
	v_mov_b32_e32 v3, v1
	s_delay_alu instid0(VALU_DEP_2)
	v_and_b32_e32 v2, 0xffff, v2
.LBB312_37:
	s_or_b32 exec_lo, exec_lo, s2
	s_delay_alu instid0(SALU_CYCLE_1)
	s_mov_b32 s2, exec_lo
	v_cmpx_gt_i32_e64 s16, v11
	s_cbranch_execz .LBB312_39
; %bb.38:
	s_wait_loadcnt 0x1
	v_and_b32_e32 v7, 0xff, v39
	s_wait_loadcnt 0x0
	v_and_b32_e32 v8, 0xff, v38
	s_delay_alu instid0(VALU_DEP_1) | instskip(SKIP_1) | instid1(VALU_DEP_1)
	v_dual_lshlrev_b32 v9, 23, v7 :: v_dual_lshlrev_b32 v38, 23, v8
	v_cmp_ne_u16_e64 s1, 0xff, v7
	v_cndmask_b32_e64 v9, 0x7f800001, v9, s1
	v_cmp_ne_u16_e64 s1, 0xff, v8
	s_delay_alu instid0(VALU_DEP_1) | instskip(SKIP_1) | instid1(VALU_DEP_1)
	v_cndmask_b32_e64 v38, 0x7f800001, v38, s1
	v_cmp_ne_u16_e64 s1, 0, v7
	v_cndmask_b32_e64 v7, 0x400000, v9, s1
	v_cmp_ne_u16_e64 s1, 0, v8
	s_delay_alu instid0(VALU_DEP_1) | instskip(NEXT) | instid1(VALU_DEP_1)
	v_cndmask_b32_e64 v8, 0x400000, v38, s1
	v_cmp_eq_f32_e64 s1, v7, v8
	s_delay_alu instid0(VALU_DEP_1) | instskip(SKIP_1) | instid1(VALU_DEP_1)
	v_cndmask_b32_e64 v9, 0, 1, s1
	v_cmp_neq_f32_e64 s1, v7, v8
	v_cndmask_b32_e64 v7, 0, 1, s1
	s_delay_alu instid0(VALU_DEP_1) | instskip(NEXT) | instid1(VALU_DEP_1)
	v_cndmask_b32_e64 v7, v7, v9, s0
	v_and_b32_e32 v7, 1, v7
	s_delay_alu instid0(VALU_DEP_1) | instskip(NEXT) | instid1(VALU_DEP_1)
	v_lshlrev_b16 v7, 8, v7
	v_bitop3_b16 v7, v2, v7, 0xff bitop3:0xec
	s_delay_alu instid0(VALU_DEP_1) | instskip(NEXT) | instid1(VALU_DEP_1)
	v_and_b32_e32 v7, 0xffff, v7
	v_and_or_b32 v2, 0xffff0000, v2, v7
.LBB312_39:
	s_or_b32 exec_lo, exec_lo, s2
	v_or_b32_e32 v7, 0x200, v0
	s_mov_b32 s2, exec_lo
	s_delay_alu instid0(VALU_DEP_1)
	v_cmpx_gt_i32_e64 s16, v7
	s_cbranch_execz .LBB312_41
; %bb.40:
	v_and_b32_e32 v7, 0xff, v37
	v_and_b32_e32 v5, 0xff, v5
	s_delay_alu instid0(VALU_DEP_1) | instskip(SKIP_1) | instid1(VALU_DEP_1)
	v_dual_lshlrev_b32 v8, 23, v7 :: v_dual_lshlrev_b32 v9, 23, v5
	v_cmp_ne_u16_e64 s1, 0xff, v7
	v_cndmask_b32_e64 v8, 0x7f800001, v8, s1
	v_cmp_ne_u16_e64 s1, 0xff, v5
	s_delay_alu instid0(VALU_DEP_1) | instskip(SKIP_1) | instid1(VALU_DEP_1)
	v_cndmask_b32_e64 v9, 0x7f800001, v9, s1
	v_cmp_ne_u16_e64 s1, 0, v7
	v_cndmask_b32_e64 v7, 0x400000, v8, s1
	v_cmp_ne_u16_e64 s1, 0, v5
	s_delay_alu instid0(VALU_DEP_1) | instskip(NEXT) | instid1(VALU_DEP_1)
	v_cndmask_b32_e64 v5, 0x400000, v9, s1
	v_cmp_eq_f32_e64 s1, v7, v5
	s_delay_alu instid0(VALU_DEP_1) | instskip(SKIP_1) | instid1(VALU_DEP_1)
	v_cndmask_b32_e64 v9, 0, 1, s1
	v_cmp_neq_f32_e64 s1, v7, v5
	v_cndmask_b32_e64 v5, 0, 1, s1
	s_delay_alu instid0(VALU_DEP_1) | instskip(NEXT) | instid1(VALU_DEP_1)
	v_dual_lshrrev_b32 v8, 16, v2 :: v_dual_cndmask_b32 v5, v5, v9, s0
	v_and_b32_e32 v7, 0xffffff00, v8
	s_delay_alu instid0(VALU_DEP_1) | instskip(NEXT) | instid1(VALU_DEP_1)
	v_bitop3_b16 v5, v5, v7, 1 bitop3:0xec
	v_lshlrev_b32_e32 v5, 16, v5
	s_delay_alu instid0(VALU_DEP_1)
	v_and_or_b32 v2, 0xffff, v2, v5
.LBB312_41:
	s_or_b32 exec_lo, exec_lo, s2
	v_or_b32_e32 v5, 0x300, v0
	s_mov_b32 s2, exec_lo
	s_delay_alu instid0(VALU_DEP_1)
	v_cmpx_gt_i32_e64 s16, v5
	s_cbranch_execz .LBB312_43
; %bb.42:
	v_and_b32_e32 v5, 0xff, v36
	v_and_b32_e32 v6, 0xff, v6
	s_delay_alu instid0(VALU_DEP_1) | instskip(SKIP_1) | instid1(VALU_DEP_1)
	v_dual_lshlrev_b32 v7, 23, v5 :: v_dual_lshlrev_b32 v8, 23, v6
	v_cmp_ne_u16_e64 s1, 0xff, v5
	v_cndmask_b32_e64 v7, 0x7f800001, v7, s1
	v_cmp_ne_u16_e64 s1, 0xff, v6
	s_delay_alu instid0(VALU_DEP_1) | instskip(SKIP_1) | instid1(VALU_DEP_1)
	v_cndmask_b32_e64 v8, 0x7f800001, v8, s1
	v_cmp_ne_u16_e64 s1, 0, v5
	v_cndmask_b32_e64 v5, 0x400000, v7, s1
	v_cmp_ne_u16_e64 s1, 0, v6
	s_delay_alu instid0(VALU_DEP_1) | instskip(NEXT) | instid1(VALU_DEP_1)
	v_cndmask_b32_e64 v6, 0x400000, v8, s1
	v_cmp_eq_f32_e64 s1, v5, v6
	s_delay_alu instid0(VALU_DEP_1) | instskip(SKIP_2) | instid1(VALU_DEP_2)
	v_cndmask_b32_e64 v7, 0, 1, s1
	v_cmp_neq_f32_e64 s1, v5, v6
	v_lshrrev_b32_e32 v6, 16, v2
	v_cndmask_b32_e64 v5, 0, 1, s1
	s_delay_alu instid0(VALU_DEP_1) | instskip(NEXT) | instid1(VALU_DEP_1)
	v_cndmask_b32_e64 v5, v5, v7, s0
	v_and_b32_e32 v5, 1, v5
	s_delay_alu instid0(VALU_DEP_1) | instskip(NEXT) | instid1(VALU_DEP_1)
	v_lshlrev_b16 v5, 8, v5
	v_bitop3_b16 v5, v6, v5, 0xff bitop3:0xec
	s_delay_alu instid0(VALU_DEP_1) | instskip(NEXT) | instid1(VALU_DEP_1)
	v_lshlrev_b32_e32 v5, 16, v5
	v_and_or_b32 v2, 0xffff, v2, v5
.LBB312_43:
	s_or_b32 exec_lo, exec_lo, s2
	v_or_b32_e32 v5, 0x400, v0
	s_mov_b32 s2, exec_lo
	s_delay_alu instid0(VALU_DEP_1)
	v_cmpx_gt_i32_e64 s16, v5
	s_cbranch_execz .LBB312_45
; %bb.44:
	v_and_b32_e32 v5, 0xff, v35
	v_and_b32_e32 v6, 0xff, v34
	s_delay_alu instid0(VALU_DEP_1) | instskip(SKIP_1) | instid1(VALU_DEP_1)
	v_dual_lshlrev_b32 v7, 23, v5 :: v_dual_lshlrev_b32 v8, 23, v6
	v_cmp_ne_u16_e64 s1, 0xff, v5
	v_cndmask_b32_e64 v7, 0x7f800001, v7, s1
	v_cmp_ne_u16_e64 s1, 0xff, v6
	s_delay_alu instid0(VALU_DEP_1) | instskip(SKIP_1) | instid1(VALU_DEP_1)
	v_cndmask_b32_e64 v8, 0x7f800001, v8, s1
	v_cmp_ne_u16_e64 s1, 0, v5
	v_cndmask_b32_e64 v5, 0x400000, v7, s1
	v_cmp_ne_u16_e64 s1, 0, v6
	s_delay_alu instid0(VALU_DEP_1) | instskip(NEXT) | instid1(VALU_DEP_1)
	v_cndmask_b32_e64 v6, 0x400000, v8, s1
	v_cmp_eq_f32_e64 s1, v5, v6
	s_delay_alu instid0(VALU_DEP_1) | instskip(SKIP_2) | instid1(VALU_DEP_2)
	v_cndmask_b32_e64 v7, 0, 1, s1
	v_cmp_neq_f32_e64 s1, v5, v6
	v_and_b32_e32 v6, 0xffffff00, v1
	v_cndmask_b32_e64 v5, 0, 1, s1
	s_delay_alu instid0(VALU_DEP_1) | instskip(NEXT) | instid1(VALU_DEP_1)
	v_cndmask_b32_e64 v5, v5, v7, s0
	v_bitop3_b16 v5, v5, v6, 1 bitop3:0xec
	s_delay_alu instid0(VALU_DEP_1) | instskip(NEXT) | instid1(VALU_DEP_1)
	v_and_b32_e32 v5, 0xffff, v5
	v_and_or_b32 v1, 0xffff0000, v1, v5
.LBB312_45:
	s_or_b32 exec_lo, exec_lo, s2
	v_or_b32_e32 v5, 0x500, v0
	s_mov_b32 s2, exec_lo
	s_delay_alu instid0(VALU_DEP_1)
	v_cmpx_gt_i32_e64 s16, v5
	s_cbranch_execz .LBB312_47
; %bb.46:
	v_and_b32_e32 v5, 0xff, v33
	v_and_b32_e32 v6, 0xff, v32
	s_delay_alu instid0(VALU_DEP_1) | instskip(SKIP_1) | instid1(VALU_DEP_1)
	v_dual_lshlrev_b32 v7, 23, v5 :: v_dual_lshlrev_b32 v8, 23, v6
	v_cmp_ne_u16_e64 s1, 0xff, v5
	v_cndmask_b32_e64 v7, 0x7f800001, v7, s1
	v_cmp_ne_u16_e64 s1, 0xff, v6
	s_delay_alu instid0(VALU_DEP_1) | instskip(SKIP_1) | instid1(VALU_DEP_1)
	v_cndmask_b32_e64 v8, 0x7f800001, v8, s1
	v_cmp_ne_u16_e64 s1, 0, v5
	v_cndmask_b32_e64 v5, 0x400000, v7, s1
	v_cmp_ne_u16_e64 s1, 0, v6
	s_delay_alu instid0(VALU_DEP_1) | instskip(NEXT) | instid1(VALU_DEP_1)
	v_cndmask_b32_e64 v6, 0x400000, v8, s1
	v_cmp_eq_f32_e64 s1, v5, v6
	s_delay_alu instid0(VALU_DEP_1) | instskip(SKIP_1) | instid1(VALU_DEP_1)
	v_cndmask_b32_e64 v7, 0, 1, s1
	v_cmp_neq_f32_e64 s1, v5, v6
	v_cndmask_b32_e64 v5, 0, 1, s1
	s_delay_alu instid0(VALU_DEP_1) | instskip(NEXT) | instid1(VALU_DEP_1)
	v_cndmask_b32_e64 v5, v5, v7, s0
	v_and_b32_e32 v5, 1, v5
	s_delay_alu instid0(VALU_DEP_1) | instskip(NEXT) | instid1(VALU_DEP_1)
	v_lshlrev_b16 v5, 8, v5
	v_bitop3_b16 v5, v1, v5, 0xff bitop3:0xec
	s_delay_alu instid0(VALU_DEP_1) | instskip(NEXT) | instid1(VALU_DEP_1)
	v_and_b32_e32 v5, 0xffff, v5
	v_and_or_b32 v1, 0xffff0000, v1, v5
.LBB312_47:
	s_or_b32 exec_lo, exec_lo, s2
	v_or_b32_e32 v5, 0x600, v0
	s_mov_b32 s2, exec_lo
	s_delay_alu instid0(VALU_DEP_1)
	v_cmpx_gt_i32_e64 s16, v5
	s_cbranch_execz .LBB312_49
; %bb.48:
	v_and_b32_e32 v5, 0xff, v31
	v_and_b32_e32 v6, 0xff, v30
	s_delay_alu instid0(VALU_DEP_1) | instskip(SKIP_1) | instid1(VALU_DEP_1)
	v_dual_lshlrev_b32 v7, 23, v5 :: v_dual_lshlrev_b32 v8, 23, v6
	v_cmp_ne_u16_e64 s1, 0xff, v5
	v_cndmask_b32_e64 v7, 0x7f800001, v7, s1
	v_cmp_ne_u16_e64 s1, 0xff, v6
	s_delay_alu instid0(VALU_DEP_1) | instskip(SKIP_1) | instid1(VALU_DEP_1)
	v_cndmask_b32_e64 v8, 0x7f800001, v8, s1
	v_cmp_ne_u16_e64 s1, 0, v5
	v_cndmask_b32_e64 v5, 0x400000, v7, s1
	v_cmp_ne_u16_e64 s1, 0, v6
	s_delay_alu instid0(VALU_DEP_1) | instskip(NEXT) | instid1(VALU_DEP_1)
	v_cndmask_b32_e64 v6, 0x400000, v8, s1
	v_cmp_eq_f32_e64 s1, v5, v6
	s_delay_alu instid0(VALU_DEP_1) | instskip(SKIP_1) | instid1(VALU_DEP_1)
	v_cndmask_b32_e64 v8, 0, 1, s1
	v_cmp_neq_f32_e64 s1, v5, v6
	v_cndmask_b32_e64 v5, 0, 1, s1
	s_delay_alu instid0(VALU_DEP_1) | instskip(NEXT) | instid1(VALU_DEP_1)
	v_dual_lshrrev_b32 v7, 16, v1 :: v_dual_cndmask_b32 v5, v5, v8, s0
	v_and_b32_e32 v6, 0xffffff00, v7
	s_delay_alu instid0(VALU_DEP_1) | instskip(NEXT) | instid1(VALU_DEP_1)
	v_bitop3_b16 v5, v5, v6, 1 bitop3:0xec
	v_lshlrev_b32_e32 v5, 16, v5
	s_delay_alu instid0(VALU_DEP_1)
	v_and_or_b32 v1, 0xffff, v1, v5
.LBB312_49:
	s_or_b32 exec_lo, exec_lo, s2
	v_or_b32_e32 v5, 0x700, v0
	s_mov_b32 s2, exec_lo
	s_delay_alu instid0(VALU_DEP_1)
	v_cmpx_gt_i32_e64 s16, v5
	s_cbranch_execz .LBB312_51
; %bb.50:
	v_and_b32_e32 v5, 0xff, v29
	v_and_b32_e32 v6, 0xff, v28
	s_delay_alu instid0(VALU_DEP_1) | instskip(SKIP_1) | instid1(VALU_DEP_1)
	v_dual_lshlrev_b32 v7, 23, v5 :: v_dual_lshlrev_b32 v8, 23, v6
	v_cmp_ne_u16_e64 s1, 0xff, v5
	v_cndmask_b32_e64 v7, 0x7f800001, v7, s1
	v_cmp_ne_u16_e64 s1, 0xff, v6
	s_delay_alu instid0(VALU_DEP_1) | instskip(SKIP_1) | instid1(VALU_DEP_1)
	v_cndmask_b32_e64 v8, 0x7f800001, v8, s1
	v_cmp_ne_u16_e64 s1, 0, v5
	v_cndmask_b32_e64 v5, 0x400000, v7, s1
	v_cmp_ne_u16_e64 s1, 0, v6
	s_delay_alu instid0(VALU_DEP_1) | instskip(NEXT) | instid1(VALU_DEP_1)
	v_cndmask_b32_e64 v6, 0x400000, v8, s1
	v_cmp_eq_f32_e64 s1, v5, v6
	s_delay_alu instid0(VALU_DEP_1) | instskip(SKIP_2) | instid1(VALU_DEP_2)
	v_cndmask_b32_e64 v7, 0, 1, s1
	v_cmp_neq_f32_e64 s1, v5, v6
	v_lshrrev_b32_e32 v6, 16, v1
	v_cndmask_b32_e64 v5, 0, 1, s1
	s_delay_alu instid0(VALU_DEP_1) | instskip(NEXT) | instid1(VALU_DEP_1)
	v_cndmask_b32_e64 v5, v5, v7, s0
	v_and_b32_e32 v5, 1, v5
	s_delay_alu instid0(VALU_DEP_1) | instskip(NEXT) | instid1(VALU_DEP_1)
	v_lshlrev_b16 v5, 8, v5
	v_bitop3_b16 v5, v6, v5, 0xff bitop3:0xec
	s_delay_alu instid0(VALU_DEP_1) | instskip(NEXT) | instid1(VALU_DEP_1)
	v_lshlrev_b32_e32 v5, 16, v5
	v_and_or_b32 v1, 0xffff, v1, v5
.LBB312_51:
	s_or_b32 exec_lo, exec_lo, s2
	v_or_b32_e32 v5, 0x800, v0
	s_mov_b32 s2, exec_lo
	s_delay_alu instid0(VALU_DEP_1)
	v_cmpx_gt_i32_e64 s16, v5
	s_cbranch_execz .LBB312_53
; %bb.52:
	v_and_b32_e32 v5, 0xff, v27
	v_and_b32_e32 v6, 0xff, v26
	s_delay_alu instid0(VALU_DEP_1) | instskip(SKIP_1) | instid1(VALU_DEP_1)
	v_dual_lshlrev_b32 v7, 23, v5 :: v_dual_lshlrev_b32 v8, 23, v6
	v_cmp_ne_u16_e64 s1, 0xff, v5
	v_cndmask_b32_e64 v7, 0x7f800001, v7, s1
	v_cmp_ne_u16_e64 s1, 0xff, v6
	s_delay_alu instid0(VALU_DEP_1) | instskip(SKIP_1) | instid1(VALU_DEP_1)
	v_cndmask_b32_e64 v8, 0x7f800001, v8, s1
	v_cmp_ne_u16_e64 s1, 0, v5
	v_cndmask_b32_e64 v5, 0x400000, v7, s1
	v_cmp_ne_u16_e64 s1, 0, v6
	s_delay_alu instid0(VALU_DEP_1) | instskip(NEXT) | instid1(VALU_DEP_1)
	v_cndmask_b32_e64 v6, 0x400000, v8, s1
	v_cmp_eq_f32_e64 s1, v5, v6
	s_delay_alu instid0(VALU_DEP_1) | instskip(SKIP_2) | instid1(VALU_DEP_2)
	v_cndmask_b32_e64 v7, 0, 1, s1
	v_cmp_neq_f32_e64 s1, v5, v6
	v_and_b32_e32 v6, 0xffffff00, v4
	v_cndmask_b32_e64 v5, 0, 1, s1
	s_delay_alu instid0(VALU_DEP_1) | instskip(NEXT) | instid1(VALU_DEP_1)
	v_cndmask_b32_e64 v5, v5, v7, s0
	v_bitop3_b16 v5, v5, v6, 1 bitop3:0xec
	s_delay_alu instid0(VALU_DEP_1) | instskip(NEXT) | instid1(VALU_DEP_1)
	v_and_b32_e32 v5, 0xffff, v5
	v_and_or_b32 v4, 0xffff0000, v4, v5
.LBB312_53:
	s_or_b32 exec_lo, exec_lo, s2
	v_or_b32_e32 v5, 0x900, v0
	s_mov_b32 s2, exec_lo
	s_delay_alu instid0(VALU_DEP_1)
	v_cmpx_gt_i32_e64 s16, v5
	s_cbranch_execz .LBB312_55
; %bb.54:
	v_and_b32_e32 v5, 0xff, v25
	v_and_b32_e32 v6, 0xff, v24
	s_delay_alu instid0(VALU_DEP_1) | instskip(SKIP_1) | instid1(VALU_DEP_1)
	v_dual_lshlrev_b32 v7, 23, v5 :: v_dual_lshlrev_b32 v8, 23, v6
	v_cmp_ne_u16_e64 s1, 0xff, v5
	v_cndmask_b32_e64 v7, 0x7f800001, v7, s1
	v_cmp_ne_u16_e64 s1, 0xff, v6
	s_delay_alu instid0(VALU_DEP_1) | instskip(SKIP_1) | instid1(VALU_DEP_1)
	v_cndmask_b32_e64 v8, 0x7f800001, v8, s1
	v_cmp_ne_u16_e64 s1, 0, v5
	v_cndmask_b32_e64 v5, 0x400000, v7, s1
	v_cmp_ne_u16_e64 s1, 0, v6
	s_delay_alu instid0(VALU_DEP_1) | instskip(NEXT) | instid1(VALU_DEP_1)
	v_cndmask_b32_e64 v6, 0x400000, v8, s1
	v_cmp_eq_f32_e64 s1, v5, v6
	s_delay_alu instid0(VALU_DEP_1) | instskip(SKIP_1) | instid1(VALU_DEP_1)
	v_cndmask_b32_e64 v7, 0, 1, s1
	v_cmp_neq_f32_e64 s1, v5, v6
	v_cndmask_b32_e64 v5, 0, 1, s1
	s_delay_alu instid0(VALU_DEP_1) | instskip(NEXT) | instid1(VALU_DEP_1)
	v_cndmask_b32_e64 v5, v5, v7, s0
	v_and_b32_e32 v5, 1, v5
	s_delay_alu instid0(VALU_DEP_1) | instskip(NEXT) | instid1(VALU_DEP_1)
	v_lshlrev_b16 v5, 8, v5
	v_bitop3_b16 v5, v4, v5, 0xff bitop3:0xec
	s_delay_alu instid0(VALU_DEP_1) | instskip(NEXT) | instid1(VALU_DEP_1)
	v_and_b32_e32 v5, 0xffff, v5
	v_and_or_b32 v4, 0xffff0000, v4, v5
.LBB312_55:
	s_or_b32 exec_lo, exec_lo, s2
	v_or_b32_e32 v5, 0xa00, v0
	s_mov_b32 s2, exec_lo
	s_delay_alu instid0(VALU_DEP_1)
	v_cmpx_gt_i32_e64 s16, v5
	s_cbranch_execz .LBB312_57
; %bb.56:
	v_and_b32_e32 v5, 0xff, v23
	v_and_b32_e32 v6, 0xff, v22
	s_delay_alu instid0(VALU_DEP_1) | instskip(SKIP_1) | instid1(VALU_DEP_1)
	v_dual_lshlrev_b32 v7, 23, v5 :: v_dual_lshlrev_b32 v8, 23, v6
	v_cmp_ne_u16_e64 s1, 0xff, v5
	v_cndmask_b32_e64 v7, 0x7f800001, v7, s1
	v_cmp_ne_u16_e64 s1, 0xff, v6
	s_delay_alu instid0(VALU_DEP_1) | instskip(SKIP_1) | instid1(VALU_DEP_1)
	v_cndmask_b32_e64 v8, 0x7f800001, v8, s1
	v_cmp_ne_u16_e64 s1, 0, v5
	v_cndmask_b32_e64 v5, 0x400000, v7, s1
	v_cmp_ne_u16_e64 s1, 0, v6
	v_lshrrev_b32_e32 v7, 16, v4
	s_delay_alu instid0(VALU_DEP_2) | instskip(NEXT) | instid1(VALU_DEP_1)
	v_cndmask_b32_e64 v6, 0x400000, v8, s1
	v_cmp_eq_f32_e64 s1, v5, v6
	s_delay_alu instid0(VALU_DEP_1) | instskip(SKIP_2) | instid1(VALU_DEP_2)
	v_cndmask_b32_e64 v8, 0, 1, s1
	v_cmp_neq_f32_e64 s1, v5, v6
	v_and_b32_e32 v6, 0xffffff00, v7
	v_cndmask_b32_e64 v5, 0, 1, s1
	s_delay_alu instid0(VALU_DEP_1) | instskip(NEXT) | instid1(VALU_DEP_1)
	v_cndmask_b32_e64 v5, v5, v8, s0
	v_bitop3_b16 v5, v5, v6, 1 bitop3:0xec
	s_delay_alu instid0(VALU_DEP_1) | instskip(NEXT) | instid1(VALU_DEP_1)
	v_lshlrev_b32_e32 v5, 16, v5
	v_and_or_b32 v4, 0xffff, v4, v5
.LBB312_57:
	s_or_b32 exec_lo, exec_lo, s2
	v_or_b32_e32 v5, 0xb00, v0
	s_mov_b32 s2, exec_lo
	s_delay_alu instid0(VALU_DEP_1)
	v_cmpx_gt_i32_e64 s16, v5
	s_cbranch_execz .LBB312_59
; %bb.58:
	v_and_b32_e32 v5, 0xff, v21
	v_and_b32_e32 v6, 0xff, v20
	s_delay_alu instid0(VALU_DEP_1) | instskip(SKIP_1) | instid1(VALU_DEP_1)
	v_dual_lshlrev_b32 v7, 23, v5 :: v_dual_lshlrev_b32 v8, 23, v6
	v_cmp_ne_u16_e64 s1, 0xff, v5
	v_cndmask_b32_e64 v7, 0x7f800001, v7, s1
	v_cmp_ne_u16_e64 s1, 0xff, v6
	s_delay_alu instid0(VALU_DEP_1) | instskip(SKIP_1) | instid1(VALU_DEP_1)
	v_cndmask_b32_e64 v8, 0x7f800001, v8, s1
	v_cmp_ne_u16_e64 s1, 0, v5
	v_cndmask_b32_e64 v5, 0x400000, v7, s1
	v_cmp_ne_u16_e64 s1, 0, v6
	s_delay_alu instid0(VALU_DEP_1) | instskip(NEXT) | instid1(VALU_DEP_1)
	v_cndmask_b32_e64 v6, 0x400000, v8, s1
	v_cmp_eq_f32_e64 s1, v5, v6
	s_delay_alu instid0(VALU_DEP_1) | instskip(SKIP_2) | instid1(VALU_DEP_2)
	v_cndmask_b32_e64 v7, 0, 1, s1
	v_cmp_neq_f32_e64 s1, v5, v6
	v_lshrrev_b32_e32 v6, 16, v4
	v_cndmask_b32_e64 v5, 0, 1, s1
	s_delay_alu instid0(VALU_DEP_1) | instskip(NEXT) | instid1(VALU_DEP_1)
	v_cndmask_b32_e64 v5, v5, v7, s0
	v_and_b32_e32 v5, 1, v5
	s_delay_alu instid0(VALU_DEP_1) | instskip(NEXT) | instid1(VALU_DEP_1)
	v_lshlrev_b16 v5, 8, v5
	v_bitop3_b16 v5, v6, v5, 0xff bitop3:0xec
	s_delay_alu instid0(VALU_DEP_1) | instskip(NEXT) | instid1(VALU_DEP_1)
	v_lshlrev_b32_e32 v5, 16, v5
	v_and_or_b32 v4, 0xffff, v4, v5
.LBB312_59:
	s_or_b32 exec_lo, exec_lo, s2
	v_or_b32_e32 v5, 0xc00, v0
	s_mov_b32 s2, exec_lo
	s_delay_alu instid0(VALU_DEP_1)
	v_cmpx_gt_i32_e64 s16, v5
	s_cbranch_execz .LBB312_61
; %bb.60:
	v_and_b32_e32 v5, 0xff, v19
	v_and_b32_e32 v6, 0xff, v17
	s_delay_alu instid0(VALU_DEP_1) | instskip(SKIP_1) | instid1(VALU_DEP_1)
	v_dual_lshlrev_b32 v7, 23, v5 :: v_dual_lshlrev_b32 v8, 23, v6
	v_cmp_ne_u16_e64 s1, 0xff, v5
	v_cndmask_b32_e64 v7, 0x7f800001, v7, s1
	v_cmp_ne_u16_e64 s1, 0xff, v6
	s_delay_alu instid0(VALU_DEP_1) | instskip(SKIP_1) | instid1(VALU_DEP_1)
	v_cndmask_b32_e64 v8, 0x7f800001, v8, s1
	v_cmp_ne_u16_e64 s1, 0, v5
	v_cndmask_b32_e64 v5, 0x400000, v7, s1
	v_cmp_ne_u16_e64 s1, 0, v6
	s_delay_alu instid0(VALU_DEP_1) | instskip(NEXT) | instid1(VALU_DEP_1)
	v_cndmask_b32_e64 v6, 0x400000, v8, s1
	v_cmp_eq_f32_e64 s1, v5, v6
	s_delay_alu instid0(VALU_DEP_1) | instskip(SKIP_2) | instid1(VALU_DEP_2)
	v_cndmask_b32_e64 v7, 0, 1, s1
	v_cmp_neq_f32_e64 s1, v5, v6
	v_and_b32_e32 v6, 0xffffff00, v3
	v_cndmask_b32_e64 v5, 0, 1, s1
	s_delay_alu instid0(VALU_DEP_1) | instskip(NEXT) | instid1(VALU_DEP_1)
	v_cndmask_b32_e64 v5, v5, v7, s0
	v_bitop3_b16 v5, v5, v6, 1 bitop3:0xec
	s_delay_alu instid0(VALU_DEP_1) | instskip(NEXT) | instid1(VALU_DEP_1)
	v_and_b32_e32 v5, 0xffff, v5
	v_and_or_b32 v3, 0xffff0000, v3, v5
.LBB312_61:
	s_or_b32 exec_lo, exec_lo, s2
	v_or_b32_e32 v5, 0xd00, v0
	s_mov_b32 s2, exec_lo
	s_delay_alu instid0(VALU_DEP_1)
	v_cmpx_gt_i32_e64 s16, v5
	s_cbranch_execz .LBB312_63
; %bb.62:
	v_and_b32_e32 v5, 0xff, v18
	v_and_b32_e32 v6, 0xff, v15
	s_delay_alu instid0(VALU_DEP_1) | instskip(SKIP_1) | instid1(VALU_DEP_1)
	v_dual_lshlrev_b32 v7, 23, v5 :: v_dual_lshlrev_b32 v8, 23, v6
	v_cmp_ne_u16_e64 s1, 0xff, v5
	v_cndmask_b32_e64 v7, 0x7f800001, v7, s1
	v_cmp_ne_u16_e64 s1, 0xff, v6
	s_delay_alu instid0(VALU_DEP_1) | instskip(SKIP_1) | instid1(VALU_DEP_1)
	v_cndmask_b32_e64 v8, 0x7f800001, v8, s1
	v_cmp_ne_u16_e64 s1, 0, v5
	v_cndmask_b32_e64 v5, 0x400000, v7, s1
	v_cmp_ne_u16_e64 s1, 0, v6
	s_delay_alu instid0(VALU_DEP_1) | instskip(NEXT) | instid1(VALU_DEP_1)
	v_cndmask_b32_e64 v6, 0x400000, v8, s1
	v_cmp_eq_f32_e64 s1, v5, v6
	s_delay_alu instid0(VALU_DEP_1) | instskip(SKIP_1) | instid1(VALU_DEP_1)
	v_cndmask_b32_e64 v7, 0, 1, s1
	v_cmp_neq_f32_e64 s1, v5, v6
	v_cndmask_b32_e64 v5, 0, 1, s1
	s_delay_alu instid0(VALU_DEP_1) | instskip(NEXT) | instid1(VALU_DEP_1)
	v_cndmask_b32_e64 v5, v5, v7, s0
	v_and_b32_e32 v5, 1, v5
	s_delay_alu instid0(VALU_DEP_1) | instskip(NEXT) | instid1(VALU_DEP_1)
	v_lshlrev_b16 v5, 8, v5
	v_bitop3_b16 v5, v3, v5, 0xff bitop3:0xec
	s_delay_alu instid0(VALU_DEP_1) | instskip(NEXT) | instid1(VALU_DEP_1)
	v_and_b32_e32 v5, 0xffff, v5
	v_and_or_b32 v3, 0xffff0000, v3, v5
.LBB312_63:
	s_or_b32 exec_lo, exec_lo, s2
	v_or_b32_e32 v5, 0xe00, v0
	s_mov_b32 s2, exec_lo
	s_delay_alu instid0(VALU_DEP_1)
	v_cmpx_gt_i32_e64 s16, v5
	s_cbranch_execz .LBB312_65
; %bb.64:
	v_and_b32_e32 v5, 0xff, v16
	v_and_b32_e32 v6, 0xff, v13
	s_delay_alu instid0(VALU_DEP_1) | instskip(SKIP_1) | instid1(VALU_DEP_1)
	v_dual_lshlrev_b32 v7, 23, v5 :: v_dual_lshlrev_b32 v8, 23, v6
	v_cmp_ne_u16_e64 s1, 0xff, v5
	v_cndmask_b32_e64 v7, 0x7f800001, v7, s1
	v_cmp_ne_u16_e64 s1, 0xff, v6
	s_delay_alu instid0(VALU_DEP_1) | instskip(SKIP_1) | instid1(VALU_DEP_1)
	v_cndmask_b32_e64 v8, 0x7f800001, v8, s1
	v_cmp_ne_u16_e64 s1, 0, v5
	v_cndmask_b32_e64 v5, 0x400000, v7, s1
	v_cmp_ne_u16_e64 s1, 0, v6
	s_delay_alu instid0(VALU_DEP_1) | instskip(NEXT) | instid1(VALU_DEP_1)
	v_cndmask_b32_e64 v6, 0x400000, v8, s1
	v_cmp_eq_f32_e64 s1, v5, v6
	s_delay_alu instid0(VALU_DEP_1) | instskip(SKIP_1) | instid1(VALU_DEP_1)
	v_cndmask_b32_e64 v8, 0, 1, s1
	v_cmp_neq_f32_e64 s1, v5, v6
	v_cndmask_b32_e64 v5, 0, 1, s1
	s_delay_alu instid0(VALU_DEP_1) | instskip(NEXT) | instid1(VALU_DEP_1)
	v_dual_lshrrev_b32 v7, 16, v3 :: v_dual_cndmask_b32 v5, v5, v8, s0
	v_and_b32_e32 v6, 0xffffff00, v7
	s_delay_alu instid0(VALU_DEP_1) | instskip(NEXT) | instid1(VALU_DEP_1)
	v_bitop3_b16 v5, v5, v6, 1 bitop3:0xec
	v_lshlrev_b32_e32 v5, 16, v5
	s_delay_alu instid0(VALU_DEP_1)
	v_and_or_b32 v3, 0xffff, v3, v5
.LBB312_65:
	s_or_b32 exec_lo, exec_lo, s2
	v_or_b32_e32 v5, 0xf00, v0
	s_mov_b32 s2, exec_lo
	s_delay_alu instid0(VALU_DEP_1)
	v_cmpx_gt_i32_e64 s16, v5
	s_cbranch_execnz .LBB312_84
; %bb.66:
	s_or_b32 exec_lo, exec_lo, s2
	s_and_saveexec_b32 s0, vcc_lo
	s_delay_alu instid0(SALU_CYCLE_1)
	s_xor_b32 s0, exec_lo, s0
	s_cbranch_execnz .LBB312_85
.LBB312_67:
	s_or_b32 exec_lo, exec_lo, s0
	s_delay_alu instid0(SALU_CYCLE_1)
	s_mov_b32 s0, exec_lo
	v_cmpx_gt_i32_e64 s16, v0
	s_cbranch_execnz .LBB312_86
.LBB312_68:
	s_or_b32 exec_lo, exec_lo, s0
	s_delay_alu instid0(SALU_CYCLE_1)
	s_mov_b32 s0, exec_lo
	v_cmpx_gt_i32_e64 s16, v0
	s_cbranch_execnz .LBB312_87
.LBB312_69:
	s_or_b32 exec_lo, exec_lo, s0
	s_delay_alu instid0(SALU_CYCLE_1)
	s_mov_b32 s0, exec_lo
	v_cmpx_gt_i32_e64 s16, v0
	s_cbranch_execnz .LBB312_88
.LBB312_70:
	s_or_b32 exec_lo, exec_lo, s0
	s_delay_alu instid0(SALU_CYCLE_1)
	s_mov_b32 s0, exec_lo
	v_cmpx_gt_i32_e64 s16, v0
	s_cbranch_execnz .LBB312_89
.LBB312_71:
	s_or_b32 exec_lo, exec_lo, s0
	s_delay_alu instid0(SALU_CYCLE_1)
	s_mov_b32 s0, exec_lo
	v_cmpx_gt_i32_e64 s16, v0
	s_cbranch_execnz .LBB312_90
.LBB312_72:
	s_or_b32 exec_lo, exec_lo, s0
	s_delay_alu instid0(SALU_CYCLE_1)
	s_mov_b32 s0, exec_lo
	v_cmpx_gt_i32_e64 s16, v0
	s_cbranch_execnz .LBB312_91
.LBB312_73:
	s_or_b32 exec_lo, exec_lo, s0
	s_delay_alu instid0(SALU_CYCLE_1)
	s_mov_b32 s0, exec_lo
	v_cmpx_gt_i32_e64 s16, v0
	s_cbranch_execnz .LBB312_92
.LBB312_74:
	s_or_b32 exec_lo, exec_lo, s0
	s_delay_alu instid0(SALU_CYCLE_1)
	s_mov_b32 s0, exec_lo
	v_cmpx_gt_i32_e64 s16, v0
	s_cbranch_execnz .LBB312_93
.LBB312_75:
	s_or_b32 exec_lo, exec_lo, s0
	s_delay_alu instid0(SALU_CYCLE_1)
	s_mov_b32 s0, exec_lo
	v_cmpx_gt_i32_e64 s16, v0
	s_cbranch_execnz .LBB312_94
.LBB312_76:
	s_or_b32 exec_lo, exec_lo, s0
	s_delay_alu instid0(SALU_CYCLE_1)
	s_mov_b32 s0, exec_lo
	v_cmpx_gt_i32_e64 s16, v0
	s_cbranch_execnz .LBB312_95
.LBB312_77:
	s_or_b32 exec_lo, exec_lo, s0
	s_delay_alu instid0(SALU_CYCLE_1)
	s_mov_b32 s0, exec_lo
	v_cmpx_gt_i32_e64 s16, v0
	s_cbranch_execnz .LBB312_96
.LBB312_78:
	s_or_b32 exec_lo, exec_lo, s0
	s_delay_alu instid0(SALU_CYCLE_1)
	s_mov_b32 s0, exec_lo
	v_cmpx_gt_i32_e64 s16, v0
	s_cbranch_execnz .LBB312_97
.LBB312_79:
	s_or_b32 exec_lo, exec_lo, s0
	s_delay_alu instid0(SALU_CYCLE_1)
	s_mov_b32 s0, exec_lo
	v_cmpx_gt_i32_e64 s16, v0
	s_cbranch_execnz .LBB312_98
.LBB312_80:
	s_or_b32 exec_lo, exec_lo, s0
	s_delay_alu instid0(SALU_CYCLE_1)
	s_mov_b32 s0, exec_lo
	v_cmpx_gt_i32_e64 s16, v0
	s_cbranch_execnz .LBB312_99
.LBB312_81:
	s_or_b32 exec_lo, exec_lo, s0
	s_delay_alu instid0(SALU_CYCLE_1)
	s_mov_b32 s0, exec_lo
	v_cmpx_gt_i32_e64 s16, v0
	s_cbranch_execz .LBB312_83
.LBB312_82:
	v_dual_lshrrev_b32 v1, 24, v3 :: v_dual_add_nc_u32 v0, s6, v0
	global_store_b8 v0, v1, s[8:9]
.LBB312_83:
	s_endpgm
.LBB312_84:
	v_and_b32_e32 v5, 0xff, v14
	v_and_b32_e32 v6, 0xff, v12
	s_delay_alu instid0(VALU_DEP_1) | instskip(SKIP_1) | instid1(VALU_DEP_1)
	v_dual_lshlrev_b32 v7, 23, v5 :: v_dual_lshlrev_b32 v8, 23, v6
	v_cmp_ne_u16_e64 s1, 0xff, v5
	v_cndmask_b32_e64 v7, 0x7f800001, v7, s1
	v_cmp_ne_u16_e64 s1, 0xff, v6
	s_delay_alu instid0(VALU_DEP_1) | instskip(SKIP_1) | instid1(VALU_DEP_1)
	v_cndmask_b32_e64 v8, 0x7f800001, v8, s1
	v_cmp_ne_u16_e64 s1, 0, v5
	v_cndmask_b32_e64 v5, 0x400000, v7, s1
	v_cmp_ne_u16_e64 s1, 0, v6
	s_delay_alu instid0(VALU_DEP_1) | instskip(NEXT) | instid1(VALU_DEP_1)
	v_cndmask_b32_e64 v6, 0x400000, v8, s1
	v_cmp_eq_f32_e64 s1, v5, v6
	s_delay_alu instid0(VALU_DEP_1) | instskip(SKIP_2) | instid1(VALU_DEP_2)
	v_cndmask_b32_e64 v7, 0, 1, s1
	v_cmp_neq_f32_e64 s1, v5, v6
	v_lshrrev_b32_e32 v6, 16, v3
	v_cndmask_b32_e64 v5, 0, 1, s1
	s_delay_alu instid0(VALU_DEP_1) | instskip(NEXT) | instid1(VALU_DEP_1)
	v_cndmask_b32_e64 v5, v5, v7, s0
	v_and_b32_e32 v5, 1, v5
	s_delay_alu instid0(VALU_DEP_1) | instskip(NEXT) | instid1(VALU_DEP_1)
	v_lshlrev_b16 v5, 8, v5
	v_bitop3_b16 v5, v6, v5, 0xff bitop3:0xec
	s_delay_alu instid0(VALU_DEP_1) | instskip(NEXT) | instid1(VALU_DEP_1)
	v_lshlrev_b32_e32 v5, 16, v5
	v_and_or_b32 v3, 0xffff, v3, v5
	s_or_b32 exec_lo, exec_lo, s2
	s_and_saveexec_b32 s0, vcc_lo
	s_delay_alu instid0(SALU_CYCLE_1)
	s_xor_b32 s0, exec_lo, s0
	s_cbranch_execz .LBB312_67
.LBB312_85:
	v_mov_b32_e32 v0, v11
	global_store_b8 v10, v2, s[8:9]
	s_wait_xcnt 0x0
	s_or_b32 exec_lo, exec_lo, s0
	s_delay_alu instid0(SALU_CYCLE_1)
	s_mov_b32 s0, exec_lo
	v_cmpx_gt_i32_e64 s16, v0
	s_cbranch_execz .LBB312_68
.LBB312_86:
	v_dual_lshrrev_b32 v5, 8, v2 :: v_dual_add_nc_u32 v6, s6, v0
	v_add_nc_u32_e32 v0, 0x100, v0
	global_store_b8 v6, v5, s[8:9]
	s_wait_xcnt 0x0
	s_or_b32 exec_lo, exec_lo, s0
	s_delay_alu instid0(SALU_CYCLE_1)
	s_mov_b32 s0, exec_lo
	v_cmpx_gt_i32_e64 s16, v0
	s_cbranch_execz .LBB312_69
.LBB312_87:
	v_add_nc_u32_e32 v5, s6, v0
	v_add_nc_u32_e32 v0, 0x100, v0
	global_store_d16_hi_b8 v5, v2, s[8:9]
	s_wait_xcnt 0x0
	s_or_b32 exec_lo, exec_lo, s0
	s_delay_alu instid0(SALU_CYCLE_1)
	s_mov_b32 s0, exec_lo
	v_cmpx_gt_i32_e64 s16, v0
	s_cbranch_execz .LBB312_70
.LBB312_88:
	v_dual_lshrrev_b32 v2, 24, v2 :: v_dual_add_nc_u32 v5, s6, v0
	v_add_nc_u32_e32 v0, 0x100, v0
	global_store_b8 v5, v2, s[8:9]
	s_wait_xcnt 0x0
	s_or_b32 exec_lo, exec_lo, s0
	s_delay_alu instid0(SALU_CYCLE_1)
	s_mov_b32 s0, exec_lo
	v_cmpx_gt_i32_e64 s16, v0
	s_cbranch_execz .LBB312_71
.LBB312_89:
	v_add_nc_u32_e32 v2, s6, v0
	v_add_nc_u32_e32 v0, 0x100, v0
	global_store_b8 v2, v1, s[8:9]
	s_wait_xcnt 0x0
	s_or_b32 exec_lo, exec_lo, s0
	s_delay_alu instid0(SALU_CYCLE_1)
	s_mov_b32 s0, exec_lo
	v_cmpx_gt_i32_e64 s16, v0
	s_cbranch_execz .LBB312_72
.LBB312_90:
	v_dual_lshrrev_b32 v2, 8, v1 :: v_dual_add_nc_u32 v5, s6, v0
	v_add_nc_u32_e32 v0, 0x100, v0
	global_store_b8 v5, v2, s[8:9]
	s_wait_xcnt 0x0
	s_or_b32 exec_lo, exec_lo, s0
	s_delay_alu instid0(SALU_CYCLE_1)
	s_mov_b32 s0, exec_lo
	v_cmpx_gt_i32_e64 s16, v0
	s_cbranch_execz .LBB312_73
.LBB312_91:
	v_add_nc_u32_e32 v2, s6, v0
	v_add_nc_u32_e32 v0, 0x100, v0
	global_store_d16_hi_b8 v2, v1, s[8:9]
	s_wait_xcnt 0x0
	s_or_b32 exec_lo, exec_lo, s0
	s_delay_alu instid0(SALU_CYCLE_1)
	s_mov_b32 s0, exec_lo
	v_cmpx_gt_i32_e64 s16, v0
	s_cbranch_execz .LBB312_74
.LBB312_92:
	v_dual_lshrrev_b32 v1, 24, v1 :: v_dual_add_nc_u32 v2, s6, v0
	v_add_nc_u32_e32 v0, 0x100, v0
	global_store_b8 v2, v1, s[8:9]
	s_wait_xcnt 0x0
	s_or_b32 exec_lo, exec_lo, s0
	s_delay_alu instid0(SALU_CYCLE_1)
	s_mov_b32 s0, exec_lo
	v_cmpx_gt_i32_e64 s16, v0
	s_cbranch_execz .LBB312_75
.LBB312_93:
	v_add_nc_u32_e32 v1, s6, v0
	v_add_nc_u32_e32 v0, 0x100, v0
	global_store_b8 v1, v4, s[8:9]
	s_wait_xcnt 0x0
	s_or_b32 exec_lo, exec_lo, s0
	s_delay_alu instid0(SALU_CYCLE_1)
	s_mov_b32 s0, exec_lo
	v_cmpx_gt_i32_e64 s16, v0
	s_cbranch_execz .LBB312_76
.LBB312_94:
	v_lshrrev_b32_e32 v1, 8, v4
	v_add_nc_u32_e32 v2, s6, v0
	v_add_nc_u32_e32 v0, 0x100, v0
	global_store_b8 v2, v1, s[8:9]
	s_wait_xcnt 0x0
	s_or_b32 exec_lo, exec_lo, s0
	s_delay_alu instid0(SALU_CYCLE_1)
	s_mov_b32 s0, exec_lo
	v_cmpx_gt_i32_e64 s16, v0
	s_cbranch_execz .LBB312_77
.LBB312_95:
	v_add_nc_u32_e32 v1, s6, v0
	v_add_nc_u32_e32 v0, 0x100, v0
	global_store_d16_hi_b8 v1, v4, s[8:9]
	s_wait_xcnt 0x0
	s_or_b32 exec_lo, exec_lo, s0
	s_delay_alu instid0(SALU_CYCLE_1)
	s_mov_b32 s0, exec_lo
	v_cmpx_gt_i32_e64 s16, v0
	s_cbranch_execz .LBB312_78
.LBB312_96:
	v_lshrrev_b32_e32 v1, 24, v4
	v_add_nc_u32_e32 v2, s6, v0
	v_add_nc_u32_e32 v0, 0x100, v0
	global_store_b8 v2, v1, s[8:9]
	s_wait_xcnt 0x0
	s_or_b32 exec_lo, exec_lo, s0
	s_delay_alu instid0(SALU_CYCLE_1)
	s_mov_b32 s0, exec_lo
	v_cmpx_gt_i32_e64 s16, v0
	s_cbranch_execz .LBB312_79
.LBB312_97:
	v_add_nc_u32_e32 v1, s6, v0
	v_add_nc_u32_e32 v0, 0x100, v0
	global_store_b8 v1, v3, s[8:9]
	s_wait_xcnt 0x0
	s_or_b32 exec_lo, exec_lo, s0
	s_delay_alu instid0(SALU_CYCLE_1)
	s_mov_b32 s0, exec_lo
	v_cmpx_gt_i32_e64 s16, v0
	s_cbranch_execz .LBB312_80
.LBB312_98:
	v_dual_lshrrev_b32 v1, 8, v3 :: v_dual_add_nc_u32 v2, s6, v0
	v_add_nc_u32_e32 v0, 0x100, v0
	global_store_b8 v2, v1, s[8:9]
	s_wait_xcnt 0x0
	s_or_b32 exec_lo, exec_lo, s0
	s_delay_alu instid0(SALU_CYCLE_1)
	s_mov_b32 s0, exec_lo
	v_cmpx_gt_i32_e64 s16, v0
	s_cbranch_execz .LBB312_81
.LBB312_99:
	v_add_nc_u32_e32 v1, s6, v0
	v_add_nc_u32_e32 v0, 0x100, v0
	global_store_d16_hi_b8 v1, v3, s[8:9]
	s_wait_xcnt 0x0
	s_or_b32 exec_lo, exec_lo, s0
	s_delay_alu instid0(SALU_CYCLE_1)
	s_mov_b32 s0, exec_lo
	v_cmpx_gt_i32_e64 s16, v0
	s_cbranch_execnz .LBB312_82
	s_branch .LBB312_83
	.section	.rodata,"a",@progbits
	.p2align	6, 0x0
	.amdhsa_kernel _ZN2at6native29vectorized_elementwise_kernelILi2ENS0_13BinaryFunctorIN3c1014Float8_e8m0fnuES4_bNS0_12_GLOBAL__N_116CompareEqFunctorIS4_EEEESt5arrayIPcLm3EEEEviT0_T1_
		.amdhsa_group_segment_fixed_size 0
		.amdhsa_private_segment_fixed_size 0
		.amdhsa_kernarg_size 32
		.amdhsa_user_sgpr_count 2
		.amdhsa_user_sgpr_dispatch_ptr 0
		.amdhsa_user_sgpr_queue_ptr 0
		.amdhsa_user_sgpr_kernarg_segment_ptr 1
		.amdhsa_user_sgpr_dispatch_id 0
		.amdhsa_user_sgpr_kernarg_preload_length 0
		.amdhsa_user_sgpr_kernarg_preload_offset 0
		.amdhsa_user_sgpr_private_segment_size 0
		.amdhsa_wavefront_size32 1
		.amdhsa_uses_dynamic_stack 0
		.amdhsa_enable_private_segment 0
		.amdhsa_system_sgpr_workgroup_id_x 1
		.amdhsa_system_sgpr_workgroup_id_y 0
		.amdhsa_system_sgpr_workgroup_id_z 0
		.amdhsa_system_sgpr_workgroup_info 0
		.amdhsa_system_vgpr_workitem_id 0
		.amdhsa_next_free_vgpr 60
		.amdhsa_next_free_sgpr 22
		.amdhsa_named_barrier_count 0
		.amdhsa_reserve_vcc 1
		.amdhsa_float_round_mode_32 0
		.amdhsa_float_round_mode_16_64 0
		.amdhsa_float_denorm_mode_32 3
		.amdhsa_float_denorm_mode_16_64 3
		.amdhsa_fp16_overflow 0
		.amdhsa_memory_ordered 1
		.amdhsa_forward_progress 1
		.amdhsa_inst_pref_size 81
		.amdhsa_round_robin_scheduling 0
		.amdhsa_exception_fp_ieee_invalid_op 0
		.amdhsa_exception_fp_denorm_src 0
		.amdhsa_exception_fp_ieee_div_zero 0
		.amdhsa_exception_fp_ieee_overflow 0
		.amdhsa_exception_fp_ieee_underflow 0
		.amdhsa_exception_fp_ieee_inexact 0
		.amdhsa_exception_int_div_zero 0
	.end_amdhsa_kernel
	.section	.text._ZN2at6native29vectorized_elementwise_kernelILi2ENS0_13BinaryFunctorIN3c1014Float8_e8m0fnuES4_bNS0_12_GLOBAL__N_116CompareEqFunctorIS4_EEEESt5arrayIPcLm3EEEEviT0_T1_,"axG",@progbits,_ZN2at6native29vectorized_elementwise_kernelILi2ENS0_13BinaryFunctorIN3c1014Float8_e8m0fnuES4_bNS0_12_GLOBAL__N_116CompareEqFunctorIS4_EEEESt5arrayIPcLm3EEEEviT0_T1_,comdat
.Lfunc_end312:
	.size	_ZN2at6native29vectorized_elementwise_kernelILi2ENS0_13BinaryFunctorIN3c1014Float8_e8m0fnuES4_bNS0_12_GLOBAL__N_116CompareEqFunctorIS4_EEEESt5arrayIPcLm3EEEEviT0_T1_, .Lfunc_end312-_ZN2at6native29vectorized_elementwise_kernelILi2ENS0_13BinaryFunctorIN3c1014Float8_e8m0fnuES4_bNS0_12_GLOBAL__N_116CompareEqFunctorIS4_EEEESt5arrayIPcLm3EEEEviT0_T1_
                                        ; -- End function
	.set _ZN2at6native29vectorized_elementwise_kernelILi2ENS0_13BinaryFunctorIN3c1014Float8_e8m0fnuES4_bNS0_12_GLOBAL__N_116CompareEqFunctorIS4_EEEESt5arrayIPcLm3EEEEviT0_T1_.num_vgpr, 60
	.set _ZN2at6native29vectorized_elementwise_kernelILi2ENS0_13BinaryFunctorIN3c1014Float8_e8m0fnuES4_bNS0_12_GLOBAL__N_116CompareEqFunctorIS4_EEEESt5arrayIPcLm3EEEEviT0_T1_.num_agpr, 0
	.set _ZN2at6native29vectorized_elementwise_kernelILi2ENS0_13BinaryFunctorIN3c1014Float8_e8m0fnuES4_bNS0_12_GLOBAL__N_116CompareEqFunctorIS4_EEEESt5arrayIPcLm3EEEEviT0_T1_.numbered_sgpr, 22
	.set _ZN2at6native29vectorized_elementwise_kernelILi2ENS0_13BinaryFunctorIN3c1014Float8_e8m0fnuES4_bNS0_12_GLOBAL__N_116CompareEqFunctorIS4_EEEESt5arrayIPcLm3EEEEviT0_T1_.num_named_barrier, 0
	.set _ZN2at6native29vectorized_elementwise_kernelILi2ENS0_13BinaryFunctorIN3c1014Float8_e8m0fnuES4_bNS0_12_GLOBAL__N_116CompareEqFunctorIS4_EEEESt5arrayIPcLm3EEEEviT0_T1_.private_seg_size, 0
	.set _ZN2at6native29vectorized_elementwise_kernelILi2ENS0_13BinaryFunctorIN3c1014Float8_e8m0fnuES4_bNS0_12_GLOBAL__N_116CompareEqFunctorIS4_EEEESt5arrayIPcLm3EEEEviT0_T1_.uses_vcc, 1
	.set _ZN2at6native29vectorized_elementwise_kernelILi2ENS0_13BinaryFunctorIN3c1014Float8_e8m0fnuES4_bNS0_12_GLOBAL__N_116CompareEqFunctorIS4_EEEESt5arrayIPcLm3EEEEviT0_T1_.uses_flat_scratch, 0
	.set _ZN2at6native29vectorized_elementwise_kernelILi2ENS0_13BinaryFunctorIN3c1014Float8_e8m0fnuES4_bNS0_12_GLOBAL__N_116CompareEqFunctorIS4_EEEESt5arrayIPcLm3EEEEviT0_T1_.has_dyn_sized_stack, 0
	.set _ZN2at6native29vectorized_elementwise_kernelILi2ENS0_13BinaryFunctorIN3c1014Float8_e8m0fnuES4_bNS0_12_GLOBAL__N_116CompareEqFunctorIS4_EEEESt5arrayIPcLm3EEEEviT0_T1_.has_recursion, 0
	.set _ZN2at6native29vectorized_elementwise_kernelILi2ENS0_13BinaryFunctorIN3c1014Float8_e8m0fnuES4_bNS0_12_GLOBAL__N_116CompareEqFunctorIS4_EEEESt5arrayIPcLm3EEEEviT0_T1_.has_indirect_call, 0
	.section	.AMDGPU.csdata,"",@progbits
; Kernel info:
; codeLenInByte = 10288
; TotalNumSgprs: 24
; NumVgprs: 60
; ScratchSize: 0
; MemoryBound: 0
; FloatMode: 240
; IeeeMode: 1
; LDSByteSize: 0 bytes/workgroup (compile time only)
; SGPRBlocks: 0
; VGPRBlocks: 3
; NumSGPRsForWavesPerEU: 24
; NumVGPRsForWavesPerEU: 60
; NamedBarCnt: 0
; Occupancy: 16
; WaveLimiterHint : 1
; COMPUTE_PGM_RSRC2:SCRATCH_EN: 0
; COMPUTE_PGM_RSRC2:USER_SGPR: 2
; COMPUTE_PGM_RSRC2:TRAP_HANDLER: 0
; COMPUTE_PGM_RSRC2:TGID_X_EN: 1
; COMPUTE_PGM_RSRC2:TGID_Y_EN: 0
; COMPUTE_PGM_RSRC2:TGID_Z_EN: 0
; COMPUTE_PGM_RSRC2:TIDIG_COMP_CNT: 0
	.section	.text._ZN2at6native27unrolled_elementwise_kernelINS0_13BinaryFunctorIN3c1014Float8_e8m0fnuES4_bNS0_12_GLOBAL__N_116CompareEqFunctorIS4_EEEESt5arrayIPcLm3EELi4E23TrivialOffsetCalculatorILi2EjESC_ILi1EjENS0_6memory15LoadWithoutCastENSF_16StoreWithoutCastEEEviT_T0_T2_T3_T4_T5_,"axG",@progbits,_ZN2at6native27unrolled_elementwise_kernelINS0_13BinaryFunctorIN3c1014Float8_e8m0fnuES4_bNS0_12_GLOBAL__N_116CompareEqFunctorIS4_EEEESt5arrayIPcLm3EELi4E23TrivialOffsetCalculatorILi2EjESC_ILi1EjENS0_6memory15LoadWithoutCastENSF_16StoreWithoutCastEEEviT_T0_T2_T3_T4_T5_,comdat
	.globl	_ZN2at6native27unrolled_elementwise_kernelINS0_13BinaryFunctorIN3c1014Float8_e8m0fnuES4_bNS0_12_GLOBAL__N_116CompareEqFunctorIS4_EEEESt5arrayIPcLm3EELi4E23TrivialOffsetCalculatorILi2EjESC_ILi1EjENS0_6memory15LoadWithoutCastENSF_16StoreWithoutCastEEEviT_T0_T2_T3_T4_T5_ ; -- Begin function _ZN2at6native27unrolled_elementwise_kernelINS0_13BinaryFunctorIN3c1014Float8_e8m0fnuES4_bNS0_12_GLOBAL__N_116CompareEqFunctorIS4_EEEESt5arrayIPcLm3EELi4E23TrivialOffsetCalculatorILi2EjESC_ILi1EjENS0_6memory15LoadWithoutCastENSF_16StoreWithoutCastEEEviT_T0_T2_T3_T4_T5_
	.p2align	8
	.type	_ZN2at6native27unrolled_elementwise_kernelINS0_13BinaryFunctorIN3c1014Float8_e8m0fnuES4_bNS0_12_GLOBAL__N_116CompareEqFunctorIS4_EEEESt5arrayIPcLm3EELi4E23TrivialOffsetCalculatorILi2EjESC_ILi1EjENS0_6memory15LoadWithoutCastENSF_16StoreWithoutCastEEEviT_T0_T2_T3_T4_T5_,@function
_ZN2at6native27unrolled_elementwise_kernelINS0_13BinaryFunctorIN3c1014Float8_e8m0fnuES4_bNS0_12_GLOBAL__N_116CompareEqFunctorIS4_EEEESt5arrayIPcLm3EELi4E23TrivialOffsetCalculatorILi2EjESC_ILi1EjENS0_6memory15LoadWithoutCastENSF_16StoreWithoutCastEEEviT_T0_T2_T3_T4_T5_: ; @_ZN2at6native27unrolled_elementwise_kernelINS0_13BinaryFunctorIN3c1014Float8_e8m0fnuES4_bNS0_12_GLOBAL__N_116CompareEqFunctorIS4_EEEESt5arrayIPcLm3EELi4E23TrivialOffsetCalculatorILi2EjESC_ILi1EjENS0_6memory15LoadWithoutCastENSF_16StoreWithoutCastEEEviT_T0_T2_T3_T4_T5_
; %bb.0:
	s_load_b64 s[2:3], s[0:1], 0x0
	s_bfe_u32 s11, ttmp6, 0x4000c
	s_clause 0x1
	s_load_b128 s[4:7], s[0:1], 0x8
	s_load_b64 s[8:9], s[0:1], 0x18
	s_add_co_i32 s11, s11, 1
	s_and_b32 s10, ttmp6, 15
	s_wait_xcnt 0x0
	s_mul_i32 s0, ttmp9, s11
	s_getreg_b32 s12, hwreg(HW_REG_IB_STS2, 6, 4)
	s_add_co_i32 s10, s10, s0
	s_cmp_eq_u32 s12, 0
	v_dual_mov_b32 v1, 0 :: v_dual_mov_b32 v5, 0
	s_cselect_b32 s0, ttmp9, s10
	v_dual_mov_b32 v4, 0 :: v_dual_mov_b32 v7, 0
	s_lshl_b32 s10, s0, 10
	v_dual_mov_b32 v6, 0 :: v_dual_mov_b32 v9, 0
	v_dual_mov_b32 v8, 0 :: v_dual_bitop2_b32 v3, s10, v0 bitop3:0x54
	v_or_b32_e32 v2, 0x100, v0
	s_wait_kmcnt 0x0
	s_sub_co_i32 s2, s2, s10
	v_dual_mov_b32 v11, 0 :: v_dual_mov_b32 v10, 0
	v_cmp_gt_i32_e32 vcc_lo, s2, v0
	s_and_saveexec_b32 s1, vcc_lo
	s_cbranch_execz .LBB313_8
; %bb.1:
	s_clause 0x1
	global_load_u8 v11, v3, s[6:7]
	global_load_u8 v10, v3, s[8:9]
	v_or_b32_e32 v12, 0x100, v0
	v_dual_mov_b32 v8, 0 :: v_dual_mov_b32 v9, 0
	v_dual_mov_b32 v6, 0 :: v_dual_mov_b32 v7, 0
	;; [unrolled: 1-line block ×3, first 2 shown]
	s_mov_b32 s11, exec_lo
	s_wait_xcnt 0x0
	v_cmpx_gt_u32_e64 s2, v12
	s_cbranch_execz .LBB313_7
; %bb.2:
	v_dual_add_nc_u32 v4, s10, v12 :: v_dual_mov_b32 v6, 0
	v_or_b32_e32 v12, 0x200, v0
	v_dual_mov_b32 v7, 0 :: v_dual_mov_b32 v5, 0
	s_clause 0x1
	global_load_u8 v9, v4, s[6:7]
	global_load_u8 v8, v4, s[8:9]
	s_wait_xcnt 0x0
	v_mov_b32_e32 v4, 0
	s_mov_b32 s12, exec_lo
	v_cmpx_gt_u32_e64 s2, v12
	s_cbranch_execz .LBB313_6
; %bb.3:
	v_dual_mov_b32 v5, 0 :: v_dual_add_nc_u32 v4, s10, v12
	v_or_b32_e32 v12, 0x300, v0
	s_mov_b32 s13, exec_lo
	s_clause 0x1
	global_load_u8 v7, v4, s[6:7]
	global_load_u8 v6, v4, s[8:9]
	s_wait_xcnt 0x0
	v_mov_b32_e32 v4, 0
	v_cmpx_gt_u32_e64 s2, v12
	s_cbranch_execz .LBB313_5
; %bb.4:
	v_add_nc_u32_e32 v12, s10, v12
	s_clause 0x1
	global_load_u8 v5, v12, s[6:7]
	global_load_u8 v4, v12, s[8:9]
.LBB313_5:
	s_wait_xcnt 0x0
	s_or_b32 exec_lo, exec_lo, s13
.LBB313_6:
	s_delay_alu instid0(SALU_CYCLE_1)
	s_or_b32 exec_lo, exec_lo, s12
.LBB313_7:
	s_delay_alu instid0(SALU_CYCLE_1)
	s_or_b32 exec_lo, exec_lo, s11
.LBB313_8:
	s_delay_alu instid0(SALU_CYCLE_1)
	s_or_b32 exec_lo, exec_lo, s1
	s_cmp_eq_u32 s3, 0
	s_cselect_b32 s0, -1, 0
	s_and_saveexec_b32 s3, vcc_lo
	s_cbranch_execz .LBB313_10
; %bb.9:
	s_wait_loadcnt 0x1
	v_and_b32_e32 v1, 0xff, v11
	s_wait_loadcnt 0x0
	v_and_b32_e32 v10, 0xff, v10
	s_delay_alu instid0(VALU_DEP_1) | instskip(SKIP_1) | instid1(VALU_DEP_1)
	v_dual_lshlrev_b32 v11, 23, v1 :: v_dual_lshlrev_b32 v12, 23, v10
	v_cmp_ne_u16_e64 s1, 0xff, v1
	v_cndmask_b32_e64 v11, 0x7f800001, v11, s1
	v_cmp_ne_u16_e64 s1, 0xff, v10
	s_delay_alu instid0(VALU_DEP_1) | instskip(SKIP_1) | instid1(VALU_DEP_1)
	v_cndmask_b32_e64 v12, 0x7f800001, v12, s1
	v_cmp_ne_u16_e64 s1, 0, v1
	v_cndmask_b32_e64 v1, 0x400000, v11, s1
	v_cmp_ne_u16_e64 s1, 0, v10
	s_delay_alu instid0(VALU_DEP_1) | instskip(NEXT) | instid1(VALU_DEP_1)
	v_cndmask_b32_e64 v10, 0x400000, v12, s1
	v_cmp_eq_f32_e64 s1, v1, v10
	s_delay_alu instid0(VALU_DEP_1) | instskip(SKIP_1) | instid1(VALU_DEP_1)
	v_cndmask_b32_e64 v11, 0, 1, s1
	v_cmp_neq_f32_e64 s1, v1, v10
	v_cndmask_b32_e64 v1, 0, 1, s1
	s_delay_alu instid0(VALU_DEP_1) | instskip(NEXT) | instid1(VALU_DEP_1)
	v_cndmask_b32_e64 v1, v1, v11, s0
	v_and_b32_e32 v1, 1, v1
.LBB313_10:
	s_or_b32 exec_lo, exec_lo, s3
	s_delay_alu instid0(SALU_CYCLE_1)
	s_mov_b32 s3, exec_lo
	v_cmpx_gt_i32_e64 s2, v2
	s_cbranch_execz .LBB313_12
; %bb.11:
	s_wait_loadcnt 0x1
	v_and_b32_e32 v9, 0xff, v9
	s_wait_loadcnt 0x0
	v_and_b32_e32 v8, 0xff, v8
	s_delay_alu instid0(VALU_DEP_1) | instskip(SKIP_1) | instid1(VALU_DEP_1)
	v_dual_lshlrev_b32 v10, 23, v9 :: v_dual_lshlrev_b32 v11, 23, v8
	v_cmp_ne_u16_e64 s1, 0xff, v9
	v_cndmask_b32_e64 v10, 0x7f800001, v10, s1
	v_cmp_ne_u16_e64 s1, 0xff, v8
	s_delay_alu instid0(VALU_DEP_1) | instskip(SKIP_1) | instid1(VALU_DEP_1)
	v_cndmask_b32_e64 v11, 0x7f800001, v11, s1
	v_cmp_ne_u16_e64 s1, 0, v9
	v_cndmask_b32_e64 v9, 0x400000, v10, s1
	v_cmp_ne_u16_e64 s1, 0, v8
	s_delay_alu instid0(VALU_DEP_1) | instskip(NEXT) | instid1(VALU_DEP_1)
	v_cndmask_b32_e64 v8, 0x400000, v11, s1
	v_cmp_eq_f32_e64 s1, v9, v8
	s_delay_alu instid0(VALU_DEP_1) | instskip(SKIP_1) | instid1(VALU_DEP_1)
	v_cndmask_b32_e64 v10, 0, 1, s1
	v_cmp_neq_f32_e64 s1, v9, v8
	v_cndmask_b32_e64 v8, 0, 1, s1
	s_delay_alu instid0(VALU_DEP_1) | instskip(NEXT) | instid1(VALU_DEP_1)
	v_cndmask_b32_e64 v8, v8, v10, s0
	v_and_b32_e32 v8, 1, v8
	s_delay_alu instid0(VALU_DEP_1) | instskip(NEXT) | instid1(VALU_DEP_1)
	v_lshlrev_b16 v8, 8, v8
	v_or_b32_e32 v1, v1, v8
	s_delay_alu instid0(VALU_DEP_1)
	v_and_b32_e32 v1, 0xffff, v1
.LBB313_12:
	s_or_b32 exec_lo, exec_lo, s3
	s_wait_loadcnt 0x0
	v_or_b32_e32 v8, 0x200, v0
	s_mov_b32 s3, exec_lo
	s_delay_alu instid0(VALU_DEP_1)
	v_cmpx_gt_i32_e64 s2, v8
	s_cbranch_execz .LBB313_14
; %bb.13:
	v_and_b32_e32 v7, 0xff, v7
	v_and_b32_e32 v6, 0xff, v6
	s_delay_alu instid0(VALU_DEP_1) | instskip(SKIP_1) | instid1(VALU_DEP_1)
	v_dual_lshlrev_b32 v8, 23, v7 :: v_dual_lshlrev_b32 v9, 23, v6
	v_cmp_ne_u16_e64 s1, 0xff, v7
	v_cndmask_b32_e64 v8, 0x7f800001, v8, s1
	v_cmp_ne_u16_e64 s1, 0xff, v6
	s_delay_alu instid0(VALU_DEP_1) | instskip(SKIP_1) | instid1(VALU_DEP_1)
	v_cndmask_b32_e64 v9, 0x7f800001, v9, s1
	v_cmp_ne_u16_e64 s1, 0, v7
	v_cndmask_b32_e64 v7, 0x400000, v8, s1
	v_cmp_ne_u16_e64 s1, 0, v6
	s_delay_alu instid0(VALU_DEP_1) | instskip(NEXT) | instid1(VALU_DEP_1)
	v_cndmask_b32_e64 v6, 0x400000, v9, s1
	v_cmp_eq_f32_e64 s1, v7, v6
	s_delay_alu instid0(VALU_DEP_1) | instskip(SKIP_1) | instid1(VALU_DEP_1)
	v_cndmask_b32_e64 v8, 0, 1, s1
	v_cmp_neq_f32_e64 s1, v7, v6
	v_cndmask_b32_e64 v6, 0, 1, s1
	s_delay_alu instid0(VALU_DEP_1) | instskip(NEXT) | instid1(VALU_DEP_1)
	v_cndmask_b32_e64 v6, v6, v8, s0
	v_and_b32_e32 v6, 1, v6
	s_delay_alu instid0(VALU_DEP_1)
	v_lshl_or_b32 v1, v6, 16, v1
.LBB313_14:
	s_or_b32 exec_lo, exec_lo, s3
	v_or_b32_e32 v6, 0x300, v0
	s_mov_b32 s3, exec_lo
	s_delay_alu instid0(VALU_DEP_1)
	v_cmpx_gt_i32_e64 s2, v6
	s_cbranch_execnz .LBB313_20
; %bb.15:
	s_or_b32 exec_lo, exec_lo, s3
	s_and_saveexec_b32 s0, vcc_lo
	s_delay_alu instid0(SALU_CYCLE_1)
	s_xor_b32 s0, exec_lo, s0
	s_cbranch_execnz .LBB313_21
.LBB313_16:
	s_or_b32 exec_lo, exec_lo, s0
	s_delay_alu instid0(SALU_CYCLE_1)
	s_mov_b32 s0, exec_lo
	v_cmpx_gt_i32_e64 s2, v0
	s_cbranch_execnz .LBB313_22
.LBB313_17:
	s_or_b32 exec_lo, exec_lo, s0
	s_delay_alu instid0(SALU_CYCLE_1)
	s_mov_b32 s0, exec_lo
	v_cmpx_gt_i32_e64 s2, v0
	s_cbranch_execnz .LBB313_23
.LBB313_18:
	s_or_b32 exec_lo, exec_lo, s0
	s_delay_alu instid0(SALU_CYCLE_1)
	s_mov_b32 s0, exec_lo
	v_cmpx_gt_i32_e64 s2, v0
	s_cbranch_execnz .LBB313_24
.LBB313_19:
	s_endpgm
.LBB313_20:
	v_and_b32_e32 v5, 0xff, v5
	v_and_b32_e32 v4, 0xff, v4
	s_delay_alu instid0(VALU_DEP_1) | instskip(SKIP_1) | instid1(VALU_DEP_1)
	v_dual_lshlrev_b32 v6, 23, v5 :: v_dual_lshlrev_b32 v7, 23, v4
	v_cmp_ne_u16_e64 s1, 0xff, v5
	v_cndmask_b32_e64 v6, 0x7f800001, v6, s1
	v_cmp_ne_u16_e64 s1, 0xff, v4
	s_delay_alu instid0(VALU_DEP_1) | instskip(SKIP_1) | instid1(VALU_DEP_1)
	v_cndmask_b32_e64 v7, 0x7f800001, v7, s1
	v_cmp_ne_u16_e64 s1, 0, v5
	v_cndmask_b32_e64 v5, 0x400000, v6, s1
	v_cmp_ne_u16_e64 s1, 0, v4
	s_delay_alu instid0(VALU_DEP_1) | instskip(NEXT) | instid1(VALU_DEP_1)
	v_cndmask_b32_e64 v4, 0x400000, v7, s1
	v_cmp_eq_f32_e64 s1, v5, v4
	s_delay_alu instid0(VALU_DEP_1) | instskip(SKIP_2) | instid1(VALU_DEP_2)
	v_cndmask_b32_e64 v6, 0, 1, s1
	v_cmp_neq_f32_e64 s1, v5, v4
	v_lshrrev_b32_e32 v5, 16, v1
	v_cndmask_b32_e64 v4, 0, 1, s1
	s_delay_alu instid0(VALU_DEP_1) | instskip(NEXT) | instid1(VALU_DEP_1)
	v_cndmask_b32_e64 v4, v4, v6, s0
	v_and_b32_e32 v4, 1, v4
	s_delay_alu instid0(VALU_DEP_1) | instskip(NEXT) | instid1(VALU_DEP_1)
	v_lshlrev_b16 v4, 8, v4
	v_or_b32_e32 v4, v5, v4
	s_delay_alu instid0(VALU_DEP_1) | instskip(NEXT) | instid1(VALU_DEP_1)
	v_lshlrev_b32_e32 v4, 16, v4
	v_and_or_b32 v1, 0xffff, v1, v4
	s_or_b32 exec_lo, exec_lo, s3
	s_and_saveexec_b32 s0, vcc_lo
	s_delay_alu instid0(SALU_CYCLE_1)
	s_xor_b32 s0, exec_lo, s0
	s_cbranch_execz .LBB313_16
.LBB313_21:
	v_mov_b32_e32 v0, v2
	global_store_b8 v3, v1, s[4:5]
	s_wait_xcnt 0x0
	s_or_b32 exec_lo, exec_lo, s0
	s_delay_alu instid0(SALU_CYCLE_1)
	s_mov_b32 s0, exec_lo
	v_cmpx_gt_i32_e64 s2, v0
	s_cbranch_execz .LBB313_17
.LBB313_22:
	v_add_nc_u32_e32 v2, 0x100, v0
	v_dual_add_nc_u32 v3, s10, v0 :: v_dual_lshrrev_b32 v4, 8, v1
	s_delay_alu instid0(VALU_DEP_2) | instskip(SKIP_3) | instid1(SALU_CYCLE_1)
	v_mov_b32_e32 v0, v2
	global_store_b8 v3, v4, s[4:5]
	s_wait_xcnt 0x0
	s_or_b32 exec_lo, exec_lo, s0
	s_mov_b32 s0, exec_lo
	v_cmpx_gt_i32_e64 s2, v0
	s_cbranch_execz .LBB313_18
.LBB313_23:
	v_add_nc_u32_e32 v2, 0x100, v0
	s_delay_alu instid0(VALU_DEP_1) | instskip(SKIP_3) | instid1(SALU_CYCLE_1)
	v_dual_mov_b32 v0, v2 :: v_dual_add_nc_u32 v3, s10, v0
	global_store_d16_hi_b8 v3, v1, s[4:5]
	s_wait_xcnt 0x0
	s_or_b32 exec_lo, exec_lo, s0
	s_mov_b32 s0, exec_lo
	v_cmpx_gt_i32_e64 s2, v0
	s_cbranch_execz .LBB313_19
.LBB313_24:
	v_dual_add_nc_u32 v0, s10, v0 :: v_dual_lshrrev_b32 v1, 24, v1
	global_store_b8 v0, v1, s[4:5]
	s_endpgm
	.section	.rodata,"a",@progbits
	.p2align	6, 0x0
	.amdhsa_kernel _ZN2at6native27unrolled_elementwise_kernelINS0_13BinaryFunctorIN3c1014Float8_e8m0fnuES4_bNS0_12_GLOBAL__N_116CompareEqFunctorIS4_EEEESt5arrayIPcLm3EELi4E23TrivialOffsetCalculatorILi2EjESC_ILi1EjENS0_6memory15LoadWithoutCastENSF_16StoreWithoutCastEEEviT_T0_T2_T3_T4_T5_
		.amdhsa_group_segment_fixed_size 0
		.amdhsa_private_segment_fixed_size 0
		.amdhsa_kernarg_size 36
		.amdhsa_user_sgpr_count 2
		.amdhsa_user_sgpr_dispatch_ptr 0
		.amdhsa_user_sgpr_queue_ptr 0
		.amdhsa_user_sgpr_kernarg_segment_ptr 1
		.amdhsa_user_sgpr_dispatch_id 0
		.amdhsa_user_sgpr_kernarg_preload_length 0
		.amdhsa_user_sgpr_kernarg_preload_offset 0
		.amdhsa_user_sgpr_private_segment_size 0
		.amdhsa_wavefront_size32 1
		.amdhsa_uses_dynamic_stack 0
		.amdhsa_enable_private_segment 0
		.amdhsa_system_sgpr_workgroup_id_x 1
		.amdhsa_system_sgpr_workgroup_id_y 0
		.amdhsa_system_sgpr_workgroup_id_z 0
		.amdhsa_system_sgpr_workgroup_info 0
		.amdhsa_system_vgpr_workitem_id 0
		.amdhsa_next_free_vgpr 13
		.amdhsa_next_free_sgpr 14
		.amdhsa_named_barrier_count 0
		.amdhsa_reserve_vcc 1
		.amdhsa_float_round_mode_32 0
		.amdhsa_float_round_mode_16_64 0
		.amdhsa_float_denorm_mode_32 3
		.amdhsa_float_denorm_mode_16_64 3
		.amdhsa_fp16_overflow 0
		.amdhsa_memory_ordered 1
		.amdhsa_forward_progress 1
		.amdhsa_inst_pref_size 14
		.amdhsa_round_robin_scheduling 0
		.amdhsa_exception_fp_ieee_invalid_op 0
		.amdhsa_exception_fp_denorm_src 0
		.amdhsa_exception_fp_ieee_div_zero 0
		.amdhsa_exception_fp_ieee_overflow 0
		.amdhsa_exception_fp_ieee_underflow 0
		.amdhsa_exception_fp_ieee_inexact 0
		.amdhsa_exception_int_div_zero 0
	.end_amdhsa_kernel
	.section	.text._ZN2at6native27unrolled_elementwise_kernelINS0_13BinaryFunctorIN3c1014Float8_e8m0fnuES4_bNS0_12_GLOBAL__N_116CompareEqFunctorIS4_EEEESt5arrayIPcLm3EELi4E23TrivialOffsetCalculatorILi2EjESC_ILi1EjENS0_6memory15LoadWithoutCastENSF_16StoreWithoutCastEEEviT_T0_T2_T3_T4_T5_,"axG",@progbits,_ZN2at6native27unrolled_elementwise_kernelINS0_13BinaryFunctorIN3c1014Float8_e8m0fnuES4_bNS0_12_GLOBAL__N_116CompareEqFunctorIS4_EEEESt5arrayIPcLm3EELi4E23TrivialOffsetCalculatorILi2EjESC_ILi1EjENS0_6memory15LoadWithoutCastENSF_16StoreWithoutCastEEEviT_T0_T2_T3_T4_T5_,comdat
.Lfunc_end313:
	.size	_ZN2at6native27unrolled_elementwise_kernelINS0_13BinaryFunctorIN3c1014Float8_e8m0fnuES4_bNS0_12_GLOBAL__N_116CompareEqFunctorIS4_EEEESt5arrayIPcLm3EELi4E23TrivialOffsetCalculatorILi2EjESC_ILi1EjENS0_6memory15LoadWithoutCastENSF_16StoreWithoutCastEEEviT_T0_T2_T3_T4_T5_, .Lfunc_end313-_ZN2at6native27unrolled_elementwise_kernelINS0_13BinaryFunctorIN3c1014Float8_e8m0fnuES4_bNS0_12_GLOBAL__N_116CompareEqFunctorIS4_EEEESt5arrayIPcLm3EELi4E23TrivialOffsetCalculatorILi2EjESC_ILi1EjENS0_6memory15LoadWithoutCastENSF_16StoreWithoutCastEEEviT_T0_T2_T3_T4_T5_
                                        ; -- End function
	.set _ZN2at6native27unrolled_elementwise_kernelINS0_13BinaryFunctorIN3c1014Float8_e8m0fnuES4_bNS0_12_GLOBAL__N_116CompareEqFunctorIS4_EEEESt5arrayIPcLm3EELi4E23TrivialOffsetCalculatorILi2EjESC_ILi1EjENS0_6memory15LoadWithoutCastENSF_16StoreWithoutCastEEEviT_T0_T2_T3_T4_T5_.num_vgpr, 13
	.set _ZN2at6native27unrolled_elementwise_kernelINS0_13BinaryFunctorIN3c1014Float8_e8m0fnuES4_bNS0_12_GLOBAL__N_116CompareEqFunctorIS4_EEEESt5arrayIPcLm3EELi4E23TrivialOffsetCalculatorILi2EjESC_ILi1EjENS0_6memory15LoadWithoutCastENSF_16StoreWithoutCastEEEviT_T0_T2_T3_T4_T5_.num_agpr, 0
	.set _ZN2at6native27unrolled_elementwise_kernelINS0_13BinaryFunctorIN3c1014Float8_e8m0fnuES4_bNS0_12_GLOBAL__N_116CompareEqFunctorIS4_EEEESt5arrayIPcLm3EELi4E23TrivialOffsetCalculatorILi2EjESC_ILi1EjENS0_6memory15LoadWithoutCastENSF_16StoreWithoutCastEEEviT_T0_T2_T3_T4_T5_.numbered_sgpr, 14
	.set _ZN2at6native27unrolled_elementwise_kernelINS0_13BinaryFunctorIN3c1014Float8_e8m0fnuES4_bNS0_12_GLOBAL__N_116CompareEqFunctorIS4_EEEESt5arrayIPcLm3EELi4E23TrivialOffsetCalculatorILi2EjESC_ILi1EjENS0_6memory15LoadWithoutCastENSF_16StoreWithoutCastEEEviT_T0_T2_T3_T4_T5_.num_named_barrier, 0
	.set _ZN2at6native27unrolled_elementwise_kernelINS0_13BinaryFunctorIN3c1014Float8_e8m0fnuES4_bNS0_12_GLOBAL__N_116CompareEqFunctorIS4_EEEESt5arrayIPcLm3EELi4E23TrivialOffsetCalculatorILi2EjESC_ILi1EjENS0_6memory15LoadWithoutCastENSF_16StoreWithoutCastEEEviT_T0_T2_T3_T4_T5_.private_seg_size, 0
	.set _ZN2at6native27unrolled_elementwise_kernelINS0_13BinaryFunctorIN3c1014Float8_e8m0fnuES4_bNS0_12_GLOBAL__N_116CompareEqFunctorIS4_EEEESt5arrayIPcLm3EELi4E23TrivialOffsetCalculatorILi2EjESC_ILi1EjENS0_6memory15LoadWithoutCastENSF_16StoreWithoutCastEEEviT_T0_T2_T3_T4_T5_.uses_vcc, 1
	.set _ZN2at6native27unrolled_elementwise_kernelINS0_13BinaryFunctorIN3c1014Float8_e8m0fnuES4_bNS0_12_GLOBAL__N_116CompareEqFunctorIS4_EEEESt5arrayIPcLm3EELi4E23TrivialOffsetCalculatorILi2EjESC_ILi1EjENS0_6memory15LoadWithoutCastENSF_16StoreWithoutCastEEEviT_T0_T2_T3_T4_T5_.uses_flat_scratch, 0
	.set _ZN2at6native27unrolled_elementwise_kernelINS0_13BinaryFunctorIN3c1014Float8_e8m0fnuES4_bNS0_12_GLOBAL__N_116CompareEqFunctorIS4_EEEESt5arrayIPcLm3EELi4E23TrivialOffsetCalculatorILi2EjESC_ILi1EjENS0_6memory15LoadWithoutCastENSF_16StoreWithoutCastEEEviT_T0_T2_T3_T4_T5_.has_dyn_sized_stack, 0
	.set _ZN2at6native27unrolled_elementwise_kernelINS0_13BinaryFunctorIN3c1014Float8_e8m0fnuES4_bNS0_12_GLOBAL__N_116CompareEqFunctorIS4_EEEESt5arrayIPcLm3EELi4E23TrivialOffsetCalculatorILi2EjESC_ILi1EjENS0_6memory15LoadWithoutCastENSF_16StoreWithoutCastEEEviT_T0_T2_T3_T4_T5_.has_recursion, 0
	.set _ZN2at6native27unrolled_elementwise_kernelINS0_13BinaryFunctorIN3c1014Float8_e8m0fnuES4_bNS0_12_GLOBAL__N_116CompareEqFunctorIS4_EEEESt5arrayIPcLm3EELi4E23TrivialOffsetCalculatorILi2EjESC_ILi1EjENS0_6memory15LoadWithoutCastENSF_16StoreWithoutCastEEEviT_T0_T2_T3_T4_T5_.has_indirect_call, 0
	.section	.AMDGPU.csdata,"",@progbits
; Kernel info:
; codeLenInByte = 1676
; TotalNumSgprs: 16
; NumVgprs: 13
; ScratchSize: 0
; MemoryBound: 0
; FloatMode: 240
; IeeeMode: 1
; LDSByteSize: 0 bytes/workgroup (compile time only)
; SGPRBlocks: 0
; VGPRBlocks: 0
; NumSGPRsForWavesPerEU: 16
; NumVGPRsForWavesPerEU: 13
; NamedBarCnt: 0
; Occupancy: 16
; WaveLimiterHint : 0
; COMPUTE_PGM_RSRC2:SCRATCH_EN: 0
; COMPUTE_PGM_RSRC2:USER_SGPR: 2
; COMPUTE_PGM_RSRC2:TRAP_HANDLER: 0
; COMPUTE_PGM_RSRC2:TGID_X_EN: 1
; COMPUTE_PGM_RSRC2:TGID_Y_EN: 0
; COMPUTE_PGM_RSRC2:TGID_Z_EN: 0
; COMPUTE_PGM_RSRC2:TIDIG_COMP_CNT: 0
	.section	.text._ZN2at6native32elementwise_kernel_manual_unrollILi128ELi8EZNS0_22gpu_kernel_impl_nocastINS0_13BinaryFunctorIN3c1014Float8_e8m0fnuES5_bNS0_12_GLOBAL__N_116CompareEqFunctorIS5_EEEEEEvRNS_18TensorIteratorBaseERKT_EUlibE_EEviT1_,"axG",@progbits,_ZN2at6native32elementwise_kernel_manual_unrollILi128ELi8EZNS0_22gpu_kernel_impl_nocastINS0_13BinaryFunctorIN3c1014Float8_e8m0fnuES5_bNS0_12_GLOBAL__N_116CompareEqFunctorIS5_EEEEEEvRNS_18TensorIteratorBaseERKT_EUlibE_EEviT1_,comdat
	.globl	_ZN2at6native32elementwise_kernel_manual_unrollILi128ELi8EZNS0_22gpu_kernel_impl_nocastINS0_13BinaryFunctorIN3c1014Float8_e8m0fnuES5_bNS0_12_GLOBAL__N_116CompareEqFunctorIS5_EEEEEEvRNS_18TensorIteratorBaseERKT_EUlibE_EEviT1_ ; -- Begin function _ZN2at6native32elementwise_kernel_manual_unrollILi128ELi8EZNS0_22gpu_kernel_impl_nocastINS0_13BinaryFunctorIN3c1014Float8_e8m0fnuES5_bNS0_12_GLOBAL__N_116CompareEqFunctorIS5_EEEEEEvRNS_18TensorIteratorBaseERKT_EUlibE_EEviT1_
	.p2align	8
	.type	_ZN2at6native32elementwise_kernel_manual_unrollILi128ELi8EZNS0_22gpu_kernel_impl_nocastINS0_13BinaryFunctorIN3c1014Float8_e8m0fnuES5_bNS0_12_GLOBAL__N_116CompareEqFunctorIS5_EEEEEEvRNS_18TensorIteratorBaseERKT_EUlibE_EEviT1_,@function
_ZN2at6native32elementwise_kernel_manual_unrollILi128ELi8EZNS0_22gpu_kernel_impl_nocastINS0_13BinaryFunctorIN3c1014Float8_e8m0fnuES5_bNS0_12_GLOBAL__N_116CompareEqFunctorIS5_EEEEEEvRNS_18TensorIteratorBaseERKT_EUlibE_EEviT1_: ; @_ZN2at6native32elementwise_kernel_manual_unrollILi128ELi8EZNS0_22gpu_kernel_impl_nocastINS0_13BinaryFunctorIN3c1014Float8_e8m0fnuES5_bNS0_12_GLOBAL__N_116CompareEqFunctorIS5_EEEEEEvRNS_18TensorIteratorBaseERKT_EUlibE_EEviT1_
; %bb.0:
	s_clause 0x1
	s_load_b32 s26, s[0:1], 0x8
	s_load_b32 s33, s[0:1], 0x0
	s_bfe_u32 s2, ttmp6, 0x4000c
	s_and_b32 s3, ttmp6, 15
	s_add_co_i32 s2, s2, 1
	s_getreg_b32 s4, hwreg(HW_REG_IB_STS2, 6, 4)
	s_mul_i32 s2, ttmp9, s2
	s_add_nc_u64 s[20:21], s[0:1], 8
	s_add_co_i32 s3, s3, s2
	s_cmp_eq_u32 s4, 0
	s_wait_xcnt 0x0
	s_mov_b32 s0, exec_lo
	s_cselect_b32 s2, ttmp9, s3
	s_mov_b32 s3, 0
	v_lshl_or_b32 v0, s2, 10, v0
	s_delay_alu instid0(VALU_DEP_1) | instskip(SKIP_2) | instid1(SALU_CYCLE_1)
	v_or_b32_e32 v5, 0x380, v0
	s_wait_kmcnt 0x0
	s_add_co_i32 s27, s26, -1
	s_cmp_gt_u32 s27, 1
	s_cselect_b32 s28, -1, 0
	v_cmpx_le_i32_e64 s33, v5
	s_xor_b32 s29, exec_lo, s0
	s_cbranch_execz .LBB314_106
; %bb.1:
	s_clause 0x5
	s_load_b128 s[8:11], s[20:21], 0x4
	s_load_b64 s[0:1], s[20:21], 0x14
	s_load_b96 s[16:18], s[20:21], 0x198
	s_load_b128 s[12:15], s[20:21], 0xc4
	s_load_b64 s[22:23], s[20:21], 0xd4
	s_load_b128 s[4:7], s[20:21], 0x188
	s_cmp_lg_u32 s26, 0
	s_mov_b32 s25, s3
	s_cselect_b32 s34, -1, 0
	s_min_u32 s31, s27, 15
	s_cmp_gt_u32 s26, 1
	s_cselect_b32 s30, -1, 0
	s_wait_kmcnt 0x0
	s_mov_b32 s2, s9
	s_mov_b32 s24, s0
	s_cmp_eq_u32 s18, 0
	s_mov_b32 s9, exec_lo
	s_cselect_b32 s0, -1, 0
	v_cmpx_gt_i32_e64 s33, v0
	s_cbranch_execnz .LBB314_9
; %bb.2:
	s_or_b32 exec_lo, exec_lo, s9
	s_delay_alu instid0(SALU_CYCLE_1)
	s_mov_b32 s9, exec_lo
	v_cmpx_gt_i32_e64 s33, v0
	s_cbranch_execnz .LBB314_21
.LBB314_3:
	s_or_b32 exec_lo, exec_lo, s9
	s_delay_alu instid0(SALU_CYCLE_1)
	s_mov_b32 s9, exec_lo
	v_cmpx_gt_i32_e64 s33, v0
	s_cbranch_execnz .LBB314_33
.LBB314_4:
	s_or_b32 exec_lo, exec_lo, s9
	s_delay_alu instid0(SALU_CYCLE_1)
	s_mov_b32 s9, exec_lo
	v_cmpx_gt_i32_e64 s33, v0
	s_cbranch_execnz .LBB314_45
.LBB314_5:
	s_or_b32 exec_lo, exec_lo, s9
	s_delay_alu instid0(SALU_CYCLE_1)
	s_mov_b32 s9, exec_lo
	v_cmpx_gt_i32_e64 s33, v0
	s_cbranch_execnz .LBB314_57
.LBB314_6:
	s_or_b32 exec_lo, exec_lo, s9
	s_delay_alu instid0(SALU_CYCLE_1)
	s_mov_b32 s9, exec_lo
	v_cmpx_gt_i32_e64 s33, v0
	s_cbranch_execnz .LBB314_69
.LBB314_7:
	s_or_b32 exec_lo, exec_lo, s9
	s_delay_alu instid0(SALU_CYCLE_1)
	s_mov_b32 s9, exec_lo
	v_cmpx_gt_i32_e64 s33, v0
	s_cbranch_execnz .LBB314_81
.LBB314_8:
	s_or_b32 exec_lo, exec_lo, s9
	s_delay_alu instid0(SALU_CYCLE_1)
	s_mov_b32 s9, exec_lo
	v_cmpx_gt_i32_e64 s33, v0
	s_cbranch_execnz .LBB314_93
	s_branch .LBB314_105
.LBB314_9:
	s_and_not1_b32 vcc_lo, exec_lo, s28
	s_cbranch_vccnz .LBB314_15
; %bb.10:
	s_and_not1_b32 vcc_lo, exec_lo, s34
	s_cbranch_vccnz .LBB314_16
; %bb.11:
	v_dual_mov_b32 v4, 0 :: v_dual_mov_b32 v1, v0
	v_dual_mov_b32 v6, 0 :: v_dual_mov_b32 v5, 0
	s_add_co_i32 s35, s31, 1
	s_mov_b64 s[18:19], 0xffffffffffffffe8
	s_and_b32 s35, s35, 30
	s_add_nc_u64 s[18:19], s[20:21], s[18:19]
.LBB314_12:                             ; =>This Inner Loop Header: Depth=1
	s_clause 0x1
	s_load_b128 s[36:39], s[18:19], 0x1c
	s_load_b64 s[44:45], s[18:19], 0x2c
	s_add_co_i32 s35, s35, -2
	s_delay_alu instid0(SALU_CYCLE_1) | instskip(SKIP_2) | instid1(VALU_DEP_1)
	s_cmp_lg_u32 s35, 0
	s_wait_kmcnt 0x0
	v_mul_hi_u32 v2, s37, v1
	v_add_nc_u32_e32 v2, v1, v2
	s_delay_alu instid0(VALU_DEP_1) | instskip(NEXT) | instid1(VALU_DEP_1)
	v_lshrrev_b32_e32 v2, s38, v2
	v_mul_hi_u32 v3, s44, v2
	v_mul_lo_u32 v7, v2, s36
	s_clause 0x1
	s_load_b128 s[40:43], s[18:19], 0xdc
	s_load_b64 s[36:37], s[18:19], 0xec
	s_wait_xcnt 0x0
	s_add_nc_u64 s[18:19], s[18:19], 24
	s_delay_alu instid0(VALU_DEP_2) | instskip(NEXT) | instid1(VALU_DEP_2)
	v_add_nc_u32_e32 v3, v2, v3
	v_sub_nc_u32_e32 v7, v1, v7
	s_delay_alu instid0(VALU_DEP_2) | instskip(SKIP_1) | instid1(VALU_DEP_2)
	v_lshrrev_b32_e32 v1, s45, v3
	s_wait_kmcnt 0x0
	v_mad_u32 v4, v7, s40, v4
	s_delay_alu instid0(VALU_DEP_2) | instskip(SKIP_2) | instid1(VALU_DEP_3)
	v_mul_lo_u32 v3, v1, s39
	v_mad_u32 v5, v7, s42, v5
	v_mad_u32 v6, v7, s41, v6
	v_sub_nc_u32_e32 v2, v2, v3
	s_delay_alu instid0(VALU_DEP_1) | instskip(NEXT) | instid1(VALU_DEP_4)
	v_mad_u32 v4, v2, s43, v4
	v_mad_u32 v5, v2, s37, v5
	s_delay_alu instid0(VALU_DEP_4)
	v_mad_u32 v6, v2, s36, v6
	s_cbranch_scc1 .LBB314_12
; %bb.13:
	s_bitcmp1_b32 s31, 0
	s_cselect_b32 s35, -1, 0
	s_delay_alu instid0(SALU_CYCLE_1)
	s_and_b32 vcc_lo, exec_lo, s35
	s_cbranch_vccnz .LBB314_17
; %bb.14:
	s_clause 0x1
	s_load_b96 s[36:38], s[18:19], 0x1c
	s_load_b96 s[40:42], s[18:19], 0xdc
	s_wait_xcnt 0x0
	s_wait_kmcnt 0x0
	v_mul_hi_u32 v2, s37, v1
	s_delay_alu instid0(VALU_DEP_1) | instskip(NEXT) | instid1(VALU_DEP_1)
	v_add_nc_u32_e32 v2, v1, v2
	v_lshrrev_b32_e32 v2, s38, v2
	s_delay_alu instid0(VALU_DEP_1) | instskip(NEXT) | instid1(VALU_DEP_1)
	v_mul_lo_u32 v2, v2, s36
	v_sub_nc_u32_e32 v1, v1, v2
	s_delay_alu instid0(VALU_DEP_1)
	v_mad_u32 v4, v1, s40, v4
	v_mad_u32 v6, v1, s41, v6
	;; [unrolled: 1-line block ×3, first 2 shown]
	s_cbranch_execz .LBB314_18
	s_branch .LBB314_20
.LBB314_15:
                                        ; implicit-def: $vgpr5
                                        ; implicit-def: $vgpr6
                                        ; implicit-def: $vgpr4
	s_branch .LBB314_18
.LBB314_16:
	v_dual_mov_b32 v5, 0 :: v_dual_mov_b32 v6, 0
	v_mov_b32_e32 v4, 0
.LBB314_17:
	s_cbranch_execnz .LBB314_20
.LBB314_18:
	v_mov_b32_e32 v1, 0
	s_and_not1_b32 vcc_lo, exec_lo, s30
	s_delay_alu instid0(VALU_DEP_1) | instskip(NEXT) | instid1(VALU_DEP_1)
	v_mul_u64_e32 v[2:3], s[2:3], v[0:1]
	v_add_nc_u32_e32 v2, v0, v3
	s_delay_alu instid0(VALU_DEP_1) | instskip(NEXT) | instid1(VALU_DEP_1)
	v_lshrrev_b32_e32 v2, s10, v2
	v_mul_lo_u32 v3, v2, s8
	s_delay_alu instid0(VALU_DEP_1) | instskip(NEXT) | instid1(VALU_DEP_1)
	v_sub_nc_u32_e32 v3, v0, v3
	v_mul_lo_u32 v4, v3, s12
	v_mul_lo_u32 v5, v3, s14
	;; [unrolled: 1-line block ×3, first 2 shown]
	s_cbranch_vccnz .LBB314_20
; %bb.19:
	v_mov_b32_e32 v3, v1
	s_delay_alu instid0(VALU_DEP_1) | instskip(NEXT) | instid1(VALU_DEP_1)
	v_mul_u64_e32 v[8:9], s[24:25], v[2:3]
	v_add_nc_u32_e32 v1, v2, v9
	s_delay_alu instid0(VALU_DEP_1) | instskip(NEXT) | instid1(VALU_DEP_1)
	v_lshrrev_b32_e32 v1, s1, v1
	v_mul_lo_u32 v1, v1, s11
	s_delay_alu instid0(VALU_DEP_1) | instskip(NEXT) | instid1(VALU_DEP_1)
	v_sub_nc_u32_e32 v1, v2, v1
	v_mad_u32 v4, v1, s15, v4
	v_mad_u32 v6, v1, s22, v6
	;; [unrolled: 1-line block ×3, first 2 shown]
.LBB314_20:
	global_load_u8 v1, v6, s[6:7]
	global_load_u8 v2, v5, s[16:17]
	v_add_nc_u32_e32 v0, 0x80, v0
	s_wait_loadcnt 0x0
	v_dual_lshlrev_b32 v3, 23, v1 :: v_dual_lshlrev_b32 v5, 23, v2
	v_cmp_ne_u32_e32 vcc_lo, 0xff, v1
	s_delay_alu instid0(VALU_DEP_2) | instskip(SKIP_1) | instid1(VALU_DEP_4)
	v_cndmask_b32_e32 v3, 0x7f800001, v3, vcc_lo
	v_cmp_ne_u32_e32 vcc_lo, 0xff, v2
	v_cndmask_b32_e32 v5, 0x7f800001, v5, vcc_lo
	v_cmp_ne_u32_e32 vcc_lo, 0, v1
	s_delay_alu instid0(VALU_DEP_4) | instskip(SKIP_1) | instid1(VALU_DEP_4)
	v_cndmask_b32_e32 v1, 0x400000, v3, vcc_lo
	v_cmp_ne_u32_e32 vcc_lo, 0, v2
	v_cndmask_b32_e32 v2, 0x400000, v5, vcc_lo
	s_delay_alu instid0(VALU_DEP_1) | instskip(SKIP_3) | instid1(VALU_DEP_1)
	v_cmp_eq_f32_e32 vcc_lo, v1, v2
	v_cndmask_b32_e64 v3, 0, 1, vcc_lo
	v_cmp_neq_f32_e32 vcc_lo, v1, v2
	v_cndmask_b32_e64 v1, 0, 1, vcc_lo
	v_cndmask_b32_e64 v1, v1, v3, s0
	s_delay_alu instid0(VALU_DEP_1) | instskip(SKIP_3) | instid1(SALU_CYCLE_1)
	v_and_b32_e32 v1, 1, v1
	global_store_b8 v4, v1, s[4:5]
	s_wait_xcnt 0x0
	s_or_b32 exec_lo, exec_lo, s9
	s_mov_b32 s9, exec_lo
	v_cmpx_gt_i32_e64 s33, v0
	s_cbranch_execz .LBB314_3
.LBB314_21:
	s_and_not1_b32 vcc_lo, exec_lo, s28
	s_cbranch_vccnz .LBB314_27
; %bb.22:
	s_and_not1_b32 vcc_lo, exec_lo, s34
	s_cbranch_vccnz .LBB314_28
; %bb.23:
	v_dual_mov_b32 v4, 0 :: v_dual_mov_b32 v1, v0
	v_dual_mov_b32 v6, 0 :: v_dual_mov_b32 v5, 0
	s_add_co_i32 s35, s31, 1
	s_mov_b64 s[18:19], 0xffffffffffffffe8
	s_and_b32 s35, s35, 30
	s_add_nc_u64 s[18:19], s[20:21], s[18:19]
.LBB314_24:                             ; =>This Inner Loop Header: Depth=1
	s_clause 0x1
	s_load_b128 s[36:39], s[18:19], 0x1c
	s_load_b64 s[44:45], s[18:19], 0x2c
	s_add_co_i32 s35, s35, -2
	s_delay_alu instid0(SALU_CYCLE_1) | instskip(SKIP_2) | instid1(VALU_DEP_1)
	s_cmp_eq_u32 s35, 0
	s_wait_kmcnt 0x0
	v_mul_hi_u32 v2, s37, v1
	v_add_nc_u32_e32 v2, v1, v2
	s_delay_alu instid0(VALU_DEP_1) | instskip(NEXT) | instid1(VALU_DEP_1)
	v_lshrrev_b32_e32 v2, s38, v2
	v_mul_hi_u32 v3, s44, v2
	v_mul_lo_u32 v7, v2, s36
	s_clause 0x1
	s_load_b128 s[40:43], s[18:19], 0xdc
	s_load_b64 s[36:37], s[18:19], 0xec
	s_wait_xcnt 0x0
	s_add_nc_u64 s[18:19], s[18:19], 24
	s_delay_alu instid0(VALU_DEP_2) | instskip(NEXT) | instid1(VALU_DEP_2)
	v_add_nc_u32_e32 v3, v2, v3
	v_sub_nc_u32_e32 v7, v1, v7
	s_delay_alu instid0(VALU_DEP_2) | instskip(SKIP_1) | instid1(VALU_DEP_2)
	v_lshrrev_b32_e32 v1, s45, v3
	s_wait_kmcnt 0x0
	v_mad_u32 v4, v7, s40, v4
	s_delay_alu instid0(VALU_DEP_2) | instskip(SKIP_2) | instid1(VALU_DEP_3)
	v_mul_lo_u32 v3, v1, s39
	v_mad_u32 v5, v7, s42, v5
	v_mad_u32 v6, v7, s41, v6
	v_sub_nc_u32_e32 v2, v2, v3
	s_delay_alu instid0(VALU_DEP_1) | instskip(NEXT) | instid1(VALU_DEP_4)
	v_mad_u32 v4, v2, s43, v4
	v_mad_u32 v5, v2, s37, v5
	s_delay_alu instid0(VALU_DEP_4)
	v_mad_u32 v6, v2, s36, v6
	s_cbranch_scc0 .LBB314_24
; %bb.25:
	s_bitcmp1_b32 s31, 0
	s_cselect_b32 s35, -1, 0
	s_delay_alu instid0(SALU_CYCLE_1)
	s_and_b32 vcc_lo, exec_lo, s35
	s_cbranch_vccnz .LBB314_29
; %bb.26:
	s_clause 0x1
	s_load_b96 s[36:38], s[18:19], 0x1c
	s_load_b96 s[40:42], s[18:19], 0xdc
	s_wait_kmcnt 0x0
	v_mul_hi_u32 v2, s37, v1
	s_delay_alu instid0(VALU_DEP_1) | instskip(NEXT) | instid1(VALU_DEP_1)
	v_add_nc_u32_e32 v2, v1, v2
	v_lshrrev_b32_e32 v2, s38, v2
	s_delay_alu instid0(VALU_DEP_1) | instskip(NEXT) | instid1(VALU_DEP_1)
	v_mul_lo_u32 v2, v2, s36
	v_sub_nc_u32_e32 v1, v1, v2
	s_delay_alu instid0(VALU_DEP_1)
	v_mad_u32 v4, v1, s40, v4
	v_mad_u32 v6, v1, s41, v6
	;; [unrolled: 1-line block ×3, first 2 shown]
	s_branch .LBB314_29
.LBB314_27:
                                        ; implicit-def: $vgpr5
                                        ; implicit-def: $vgpr6
                                        ; implicit-def: $vgpr4
	s_branch .LBB314_30
.LBB314_28:
	v_dual_mov_b32 v5, 0 :: v_dual_mov_b32 v6, 0
	v_mov_b32_e32 v4, 0
.LBB314_29:
	s_cbranch_execnz .LBB314_32
.LBB314_30:
	v_mov_b32_e32 v1, 0
	s_and_not1_b32 vcc_lo, exec_lo, s30
	s_delay_alu instid0(VALU_DEP_1) | instskip(NEXT) | instid1(VALU_DEP_1)
	v_mul_u64_e32 v[2:3], s[2:3], v[0:1]
	v_add_nc_u32_e32 v2, v0, v3
	s_delay_alu instid0(VALU_DEP_1) | instskip(NEXT) | instid1(VALU_DEP_1)
	v_lshrrev_b32_e32 v2, s10, v2
	v_mul_lo_u32 v3, v2, s8
	s_delay_alu instid0(VALU_DEP_1) | instskip(NEXT) | instid1(VALU_DEP_1)
	v_sub_nc_u32_e32 v3, v0, v3
	v_mul_lo_u32 v4, v3, s12
	v_mul_lo_u32 v5, v3, s14
	;; [unrolled: 1-line block ×3, first 2 shown]
	s_cbranch_vccnz .LBB314_32
; %bb.31:
	v_mov_b32_e32 v3, v1
	s_delay_alu instid0(VALU_DEP_1) | instskip(NEXT) | instid1(VALU_DEP_1)
	v_mul_u64_e32 v[8:9], s[24:25], v[2:3]
	v_add_nc_u32_e32 v1, v2, v9
	s_delay_alu instid0(VALU_DEP_1) | instskip(NEXT) | instid1(VALU_DEP_1)
	v_lshrrev_b32_e32 v1, s1, v1
	v_mul_lo_u32 v1, v1, s11
	s_delay_alu instid0(VALU_DEP_1) | instskip(NEXT) | instid1(VALU_DEP_1)
	v_sub_nc_u32_e32 v1, v2, v1
	v_mad_u32 v4, v1, s15, v4
	v_mad_u32 v6, v1, s22, v6
	;; [unrolled: 1-line block ×3, first 2 shown]
.LBB314_32:
	global_load_u8 v1, v6, s[6:7]
	global_load_u8 v2, v5, s[16:17]
	v_add_nc_u32_e32 v0, 0x80, v0
	s_wait_loadcnt 0x0
	v_dual_lshlrev_b32 v3, 23, v1 :: v_dual_lshlrev_b32 v5, 23, v2
	v_cmp_ne_u32_e32 vcc_lo, 0xff, v1
	s_delay_alu instid0(VALU_DEP_2) | instskip(SKIP_1) | instid1(VALU_DEP_4)
	v_cndmask_b32_e32 v3, 0x7f800001, v3, vcc_lo
	v_cmp_ne_u32_e32 vcc_lo, 0xff, v2
	v_cndmask_b32_e32 v5, 0x7f800001, v5, vcc_lo
	v_cmp_ne_u32_e32 vcc_lo, 0, v1
	s_delay_alu instid0(VALU_DEP_4) | instskip(SKIP_1) | instid1(VALU_DEP_4)
	v_cndmask_b32_e32 v1, 0x400000, v3, vcc_lo
	v_cmp_ne_u32_e32 vcc_lo, 0, v2
	v_cndmask_b32_e32 v2, 0x400000, v5, vcc_lo
	s_delay_alu instid0(VALU_DEP_1) | instskip(SKIP_3) | instid1(VALU_DEP_1)
	v_cmp_eq_f32_e32 vcc_lo, v1, v2
	v_cndmask_b32_e64 v3, 0, 1, vcc_lo
	v_cmp_neq_f32_e32 vcc_lo, v1, v2
	v_cndmask_b32_e64 v1, 0, 1, vcc_lo
	v_cndmask_b32_e64 v1, v1, v3, s0
	s_delay_alu instid0(VALU_DEP_1) | instskip(SKIP_3) | instid1(SALU_CYCLE_1)
	v_and_b32_e32 v1, 1, v1
	global_store_b8 v4, v1, s[4:5]
	s_wait_xcnt 0x0
	s_or_b32 exec_lo, exec_lo, s9
	s_mov_b32 s9, exec_lo
	v_cmpx_gt_i32_e64 s33, v0
	s_cbranch_execz .LBB314_4
.LBB314_33:
	s_and_not1_b32 vcc_lo, exec_lo, s28
	s_cbranch_vccnz .LBB314_39
; %bb.34:
	s_and_not1_b32 vcc_lo, exec_lo, s34
	s_cbranch_vccnz .LBB314_40
; %bb.35:
	v_dual_mov_b32 v4, 0 :: v_dual_mov_b32 v1, v0
	v_dual_mov_b32 v6, 0 :: v_dual_mov_b32 v5, 0
	s_add_co_i32 s35, s31, 1
	s_mov_b64 s[18:19], 0xffffffffffffffe8
	s_and_b32 s35, s35, 30
	s_add_nc_u64 s[18:19], s[20:21], s[18:19]
.LBB314_36:                             ; =>This Inner Loop Header: Depth=1
	s_clause 0x1
	s_load_b128 s[36:39], s[18:19], 0x1c
	s_load_b64 s[44:45], s[18:19], 0x2c
	s_add_co_i32 s35, s35, -2
	s_delay_alu instid0(SALU_CYCLE_1) | instskip(SKIP_2) | instid1(VALU_DEP_1)
	s_cmp_eq_u32 s35, 0
	s_wait_kmcnt 0x0
	v_mul_hi_u32 v2, s37, v1
	v_add_nc_u32_e32 v2, v1, v2
	s_delay_alu instid0(VALU_DEP_1) | instskip(NEXT) | instid1(VALU_DEP_1)
	v_lshrrev_b32_e32 v2, s38, v2
	v_mul_hi_u32 v3, s44, v2
	v_mul_lo_u32 v7, v2, s36
	s_clause 0x1
	s_load_b128 s[40:43], s[18:19], 0xdc
	s_load_b64 s[36:37], s[18:19], 0xec
	s_wait_xcnt 0x0
	s_add_nc_u64 s[18:19], s[18:19], 24
	s_delay_alu instid0(VALU_DEP_2) | instskip(NEXT) | instid1(VALU_DEP_2)
	v_add_nc_u32_e32 v3, v2, v3
	v_sub_nc_u32_e32 v7, v1, v7
	s_delay_alu instid0(VALU_DEP_2) | instskip(SKIP_1) | instid1(VALU_DEP_2)
	v_lshrrev_b32_e32 v1, s45, v3
	s_wait_kmcnt 0x0
	v_mad_u32 v4, v7, s40, v4
	s_delay_alu instid0(VALU_DEP_2) | instskip(SKIP_2) | instid1(VALU_DEP_3)
	v_mul_lo_u32 v3, v1, s39
	v_mad_u32 v5, v7, s42, v5
	v_mad_u32 v6, v7, s41, v6
	v_sub_nc_u32_e32 v2, v2, v3
	s_delay_alu instid0(VALU_DEP_1) | instskip(NEXT) | instid1(VALU_DEP_4)
	v_mad_u32 v4, v2, s43, v4
	v_mad_u32 v5, v2, s37, v5
	s_delay_alu instid0(VALU_DEP_4)
	v_mad_u32 v6, v2, s36, v6
	s_cbranch_scc0 .LBB314_36
; %bb.37:
	s_bitcmp1_b32 s31, 0
	s_cselect_b32 s35, -1, 0
	s_delay_alu instid0(SALU_CYCLE_1)
	s_and_b32 vcc_lo, exec_lo, s35
	s_cbranch_vccnz .LBB314_41
; %bb.38:
	s_clause 0x1
	s_load_b96 s[36:38], s[18:19], 0x1c
	s_load_b96 s[40:42], s[18:19], 0xdc
	s_wait_kmcnt 0x0
	v_mul_hi_u32 v2, s37, v1
	s_delay_alu instid0(VALU_DEP_1) | instskip(NEXT) | instid1(VALU_DEP_1)
	v_add_nc_u32_e32 v2, v1, v2
	v_lshrrev_b32_e32 v2, s38, v2
	s_delay_alu instid0(VALU_DEP_1) | instskip(NEXT) | instid1(VALU_DEP_1)
	v_mul_lo_u32 v2, v2, s36
	v_sub_nc_u32_e32 v1, v1, v2
	s_delay_alu instid0(VALU_DEP_1)
	v_mad_u32 v4, v1, s40, v4
	v_mad_u32 v6, v1, s41, v6
	;; [unrolled: 1-line block ×3, first 2 shown]
	s_branch .LBB314_41
.LBB314_39:
                                        ; implicit-def: $vgpr5
                                        ; implicit-def: $vgpr6
                                        ; implicit-def: $vgpr4
	s_branch .LBB314_42
.LBB314_40:
	v_dual_mov_b32 v5, 0 :: v_dual_mov_b32 v6, 0
	v_mov_b32_e32 v4, 0
.LBB314_41:
	s_cbranch_execnz .LBB314_44
.LBB314_42:
	v_mov_b32_e32 v1, 0
	s_and_not1_b32 vcc_lo, exec_lo, s30
	s_delay_alu instid0(VALU_DEP_1) | instskip(NEXT) | instid1(VALU_DEP_1)
	v_mul_u64_e32 v[2:3], s[2:3], v[0:1]
	v_add_nc_u32_e32 v2, v0, v3
	s_delay_alu instid0(VALU_DEP_1) | instskip(NEXT) | instid1(VALU_DEP_1)
	v_lshrrev_b32_e32 v2, s10, v2
	v_mul_lo_u32 v3, v2, s8
	s_delay_alu instid0(VALU_DEP_1) | instskip(NEXT) | instid1(VALU_DEP_1)
	v_sub_nc_u32_e32 v3, v0, v3
	v_mul_lo_u32 v4, v3, s12
	v_mul_lo_u32 v5, v3, s14
	;; [unrolled: 1-line block ×3, first 2 shown]
	s_cbranch_vccnz .LBB314_44
; %bb.43:
	v_mov_b32_e32 v3, v1
	s_delay_alu instid0(VALU_DEP_1) | instskip(NEXT) | instid1(VALU_DEP_1)
	v_mul_u64_e32 v[8:9], s[24:25], v[2:3]
	v_add_nc_u32_e32 v1, v2, v9
	s_delay_alu instid0(VALU_DEP_1) | instskip(NEXT) | instid1(VALU_DEP_1)
	v_lshrrev_b32_e32 v1, s1, v1
	v_mul_lo_u32 v1, v1, s11
	s_delay_alu instid0(VALU_DEP_1) | instskip(NEXT) | instid1(VALU_DEP_1)
	v_sub_nc_u32_e32 v1, v2, v1
	v_mad_u32 v4, v1, s15, v4
	v_mad_u32 v6, v1, s22, v6
	;; [unrolled: 1-line block ×3, first 2 shown]
.LBB314_44:
	global_load_u8 v1, v6, s[6:7]
	global_load_u8 v2, v5, s[16:17]
	v_add_nc_u32_e32 v0, 0x80, v0
	s_wait_loadcnt 0x0
	v_dual_lshlrev_b32 v3, 23, v1 :: v_dual_lshlrev_b32 v5, 23, v2
	v_cmp_ne_u32_e32 vcc_lo, 0xff, v1
	s_delay_alu instid0(VALU_DEP_2) | instskip(SKIP_1) | instid1(VALU_DEP_4)
	v_cndmask_b32_e32 v3, 0x7f800001, v3, vcc_lo
	v_cmp_ne_u32_e32 vcc_lo, 0xff, v2
	v_cndmask_b32_e32 v5, 0x7f800001, v5, vcc_lo
	v_cmp_ne_u32_e32 vcc_lo, 0, v1
	s_delay_alu instid0(VALU_DEP_4) | instskip(SKIP_1) | instid1(VALU_DEP_4)
	v_cndmask_b32_e32 v1, 0x400000, v3, vcc_lo
	v_cmp_ne_u32_e32 vcc_lo, 0, v2
	v_cndmask_b32_e32 v2, 0x400000, v5, vcc_lo
	s_delay_alu instid0(VALU_DEP_1) | instskip(SKIP_3) | instid1(VALU_DEP_1)
	v_cmp_eq_f32_e32 vcc_lo, v1, v2
	v_cndmask_b32_e64 v3, 0, 1, vcc_lo
	v_cmp_neq_f32_e32 vcc_lo, v1, v2
	v_cndmask_b32_e64 v1, 0, 1, vcc_lo
	v_cndmask_b32_e64 v1, v1, v3, s0
	s_delay_alu instid0(VALU_DEP_1) | instskip(SKIP_3) | instid1(SALU_CYCLE_1)
	v_and_b32_e32 v1, 1, v1
	global_store_b8 v4, v1, s[4:5]
	s_wait_xcnt 0x0
	s_or_b32 exec_lo, exec_lo, s9
	s_mov_b32 s9, exec_lo
	v_cmpx_gt_i32_e64 s33, v0
	s_cbranch_execz .LBB314_5
.LBB314_45:
	s_and_not1_b32 vcc_lo, exec_lo, s28
	s_cbranch_vccnz .LBB314_51
; %bb.46:
	s_and_not1_b32 vcc_lo, exec_lo, s34
	s_cbranch_vccnz .LBB314_52
; %bb.47:
	v_dual_mov_b32 v4, 0 :: v_dual_mov_b32 v1, v0
	v_dual_mov_b32 v6, 0 :: v_dual_mov_b32 v5, 0
	s_add_co_i32 s35, s31, 1
	s_mov_b64 s[18:19], 0xffffffffffffffe8
	s_and_b32 s35, s35, 30
	s_add_nc_u64 s[18:19], s[20:21], s[18:19]
.LBB314_48:                             ; =>This Inner Loop Header: Depth=1
	s_clause 0x1
	s_load_b128 s[36:39], s[18:19], 0x1c
	s_load_b64 s[44:45], s[18:19], 0x2c
	s_add_co_i32 s35, s35, -2
	s_delay_alu instid0(SALU_CYCLE_1) | instskip(SKIP_2) | instid1(VALU_DEP_1)
	s_cmp_eq_u32 s35, 0
	s_wait_kmcnt 0x0
	v_mul_hi_u32 v2, s37, v1
	v_add_nc_u32_e32 v2, v1, v2
	s_delay_alu instid0(VALU_DEP_1) | instskip(NEXT) | instid1(VALU_DEP_1)
	v_lshrrev_b32_e32 v2, s38, v2
	v_mul_hi_u32 v3, s44, v2
	v_mul_lo_u32 v7, v2, s36
	s_clause 0x1
	s_load_b128 s[40:43], s[18:19], 0xdc
	s_load_b64 s[36:37], s[18:19], 0xec
	s_wait_xcnt 0x0
	s_add_nc_u64 s[18:19], s[18:19], 24
	s_delay_alu instid0(VALU_DEP_2) | instskip(NEXT) | instid1(VALU_DEP_2)
	v_add_nc_u32_e32 v3, v2, v3
	v_sub_nc_u32_e32 v7, v1, v7
	s_delay_alu instid0(VALU_DEP_2) | instskip(SKIP_1) | instid1(VALU_DEP_2)
	v_lshrrev_b32_e32 v1, s45, v3
	s_wait_kmcnt 0x0
	v_mad_u32 v4, v7, s40, v4
	s_delay_alu instid0(VALU_DEP_2) | instskip(SKIP_2) | instid1(VALU_DEP_3)
	v_mul_lo_u32 v3, v1, s39
	v_mad_u32 v5, v7, s42, v5
	v_mad_u32 v6, v7, s41, v6
	v_sub_nc_u32_e32 v2, v2, v3
	s_delay_alu instid0(VALU_DEP_1) | instskip(NEXT) | instid1(VALU_DEP_4)
	v_mad_u32 v4, v2, s43, v4
	v_mad_u32 v5, v2, s37, v5
	s_delay_alu instid0(VALU_DEP_4)
	v_mad_u32 v6, v2, s36, v6
	s_cbranch_scc0 .LBB314_48
; %bb.49:
	s_bitcmp1_b32 s31, 0
	s_cselect_b32 s35, -1, 0
	s_delay_alu instid0(SALU_CYCLE_1)
	s_and_b32 vcc_lo, exec_lo, s35
	s_cbranch_vccnz .LBB314_53
; %bb.50:
	s_clause 0x1
	s_load_b96 s[36:38], s[18:19], 0x1c
	s_load_b96 s[40:42], s[18:19], 0xdc
	s_wait_kmcnt 0x0
	v_mul_hi_u32 v2, s37, v1
	s_delay_alu instid0(VALU_DEP_1) | instskip(NEXT) | instid1(VALU_DEP_1)
	v_add_nc_u32_e32 v2, v1, v2
	v_lshrrev_b32_e32 v2, s38, v2
	s_delay_alu instid0(VALU_DEP_1) | instskip(NEXT) | instid1(VALU_DEP_1)
	v_mul_lo_u32 v2, v2, s36
	v_sub_nc_u32_e32 v1, v1, v2
	s_delay_alu instid0(VALU_DEP_1)
	v_mad_u32 v4, v1, s40, v4
	v_mad_u32 v6, v1, s41, v6
	;; [unrolled: 1-line block ×3, first 2 shown]
	s_branch .LBB314_53
.LBB314_51:
                                        ; implicit-def: $vgpr5
                                        ; implicit-def: $vgpr6
                                        ; implicit-def: $vgpr4
	s_branch .LBB314_54
.LBB314_52:
	v_dual_mov_b32 v5, 0 :: v_dual_mov_b32 v6, 0
	v_mov_b32_e32 v4, 0
.LBB314_53:
	s_cbranch_execnz .LBB314_56
.LBB314_54:
	v_mov_b32_e32 v1, 0
	s_and_not1_b32 vcc_lo, exec_lo, s30
	s_delay_alu instid0(VALU_DEP_1) | instskip(NEXT) | instid1(VALU_DEP_1)
	v_mul_u64_e32 v[2:3], s[2:3], v[0:1]
	v_add_nc_u32_e32 v2, v0, v3
	s_delay_alu instid0(VALU_DEP_1) | instskip(NEXT) | instid1(VALU_DEP_1)
	v_lshrrev_b32_e32 v2, s10, v2
	v_mul_lo_u32 v3, v2, s8
	s_delay_alu instid0(VALU_DEP_1) | instskip(NEXT) | instid1(VALU_DEP_1)
	v_sub_nc_u32_e32 v3, v0, v3
	v_mul_lo_u32 v4, v3, s12
	v_mul_lo_u32 v5, v3, s14
	v_mul_lo_u32 v6, v3, s13
	s_cbranch_vccnz .LBB314_56
; %bb.55:
	v_mov_b32_e32 v3, v1
	s_delay_alu instid0(VALU_DEP_1) | instskip(NEXT) | instid1(VALU_DEP_1)
	v_mul_u64_e32 v[8:9], s[24:25], v[2:3]
	v_add_nc_u32_e32 v1, v2, v9
	s_delay_alu instid0(VALU_DEP_1) | instskip(NEXT) | instid1(VALU_DEP_1)
	v_lshrrev_b32_e32 v1, s1, v1
	v_mul_lo_u32 v1, v1, s11
	s_delay_alu instid0(VALU_DEP_1) | instskip(NEXT) | instid1(VALU_DEP_1)
	v_sub_nc_u32_e32 v1, v2, v1
	v_mad_u32 v4, v1, s15, v4
	v_mad_u32 v6, v1, s22, v6
	;; [unrolled: 1-line block ×3, first 2 shown]
.LBB314_56:
	global_load_u8 v1, v6, s[6:7]
	global_load_u8 v2, v5, s[16:17]
	v_add_nc_u32_e32 v0, 0x80, v0
	s_wait_loadcnt 0x0
	v_dual_lshlrev_b32 v3, 23, v1 :: v_dual_lshlrev_b32 v5, 23, v2
	v_cmp_ne_u32_e32 vcc_lo, 0xff, v1
	s_delay_alu instid0(VALU_DEP_2) | instskip(SKIP_1) | instid1(VALU_DEP_4)
	v_cndmask_b32_e32 v3, 0x7f800001, v3, vcc_lo
	v_cmp_ne_u32_e32 vcc_lo, 0xff, v2
	v_cndmask_b32_e32 v5, 0x7f800001, v5, vcc_lo
	v_cmp_ne_u32_e32 vcc_lo, 0, v1
	s_delay_alu instid0(VALU_DEP_4) | instskip(SKIP_1) | instid1(VALU_DEP_4)
	v_cndmask_b32_e32 v1, 0x400000, v3, vcc_lo
	v_cmp_ne_u32_e32 vcc_lo, 0, v2
	v_cndmask_b32_e32 v2, 0x400000, v5, vcc_lo
	s_delay_alu instid0(VALU_DEP_1) | instskip(SKIP_3) | instid1(VALU_DEP_1)
	v_cmp_eq_f32_e32 vcc_lo, v1, v2
	v_cndmask_b32_e64 v3, 0, 1, vcc_lo
	v_cmp_neq_f32_e32 vcc_lo, v1, v2
	v_cndmask_b32_e64 v1, 0, 1, vcc_lo
	v_cndmask_b32_e64 v1, v1, v3, s0
	s_delay_alu instid0(VALU_DEP_1) | instskip(SKIP_3) | instid1(SALU_CYCLE_1)
	v_and_b32_e32 v1, 1, v1
	global_store_b8 v4, v1, s[4:5]
	s_wait_xcnt 0x0
	s_or_b32 exec_lo, exec_lo, s9
	s_mov_b32 s9, exec_lo
	v_cmpx_gt_i32_e64 s33, v0
	s_cbranch_execz .LBB314_6
.LBB314_57:
	s_and_not1_b32 vcc_lo, exec_lo, s28
	s_cbranch_vccnz .LBB314_63
; %bb.58:
	s_and_not1_b32 vcc_lo, exec_lo, s34
	s_cbranch_vccnz .LBB314_64
; %bb.59:
	v_dual_mov_b32 v4, 0 :: v_dual_mov_b32 v1, v0
	v_dual_mov_b32 v6, 0 :: v_dual_mov_b32 v5, 0
	s_add_co_i32 s35, s31, 1
	s_mov_b64 s[18:19], 0xffffffffffffffe8
	s_and_b32 s35, s35, 30
	s_add_nc_u64 s[18:19], s[20:21], s[18:19]
.LBB314_60:                             ; =>This Inner Loop Header: Depth=1
	s_clause 0x1
	s_load_b128 s[36:39], s[18:19], 0x1c
	s_load_b64 s[44:45], s[18:19], 0x2c
	s_add_co_i32 s35, s35, -2
	s_delay_alu instid0(SALU_CYCLE_1) | instskip(SKIP_2) | instid1(VALU_DEP_1)
	s_cmp_eq_u32 s35, 0
	s_wait_kmcnt 0x0
	v_mul_hi_u32 v2, s37, v1
	v_add_nc_u32_e32 v2, v1, v2
	s_delay_alu instid0(VALU_DEP_1) | instskip(NEXT) | instid1(VALU_DEP_1)
	v_lshrrev_b32_e32 v2, s38, v2
	v_mul_hi_u32 v3, s44, v2
	v_mul_lo_u32 v7, v2, s36
	s_clause 0x1
	s_load_b128 s[40:43], s[18:19], 0xdc
	s_load_b64 s[36:37], s[18:19], 0xec
	s_wait_xcnt 0x0
	s_add_nc_u64 s[18:19], s[18:19], 24
	s_delay_alu instid0(VALU_DEP_2) | instskip(NEXT) | instid1(VALU_DEP_2)
	v_add_nc_u32_e32 v3, v2, v3
	v_sub_nc_u32_e32 v7, v1, v7
	s_delay_alu instid0(VALU_DEP_2) | instskip(SKIP_1) | instid1(VALU_DEP_2)
	v_lshrrev_b32_e32 v1, s45, v3
	s_wait_kmcnt 0x0
	v_mad_u32 v4, v7, s40, v4
	s_delay_alu instid0(VALU_DEP_2) | instskip(SKIP_2) | instid1(VALU_DEP_3)
	v_mul_lo_u32 v3, v1, s39
	v_mad_u32 v5, v7, s42, v5
	v_mad_u32 v6, v7, s41, v6
	v_sub_nc_u32_e32 v2, v2, v3
	s_delay_alu instid0(VALU_DEP_1) | instskip(NEXT) | instid1(VALU_DEP_4)
	v_mad_u32 v4, v2, s43, v4
	v_mad_u32 v5, v2, s37, v5
	s_delay_alu instid0(VALU_DEP_4)
	v_mad_u32 v6, v2, s36, v6
	s_cbranch_scc0 .LBB314_60
; %bb.61:
	s_bitcmp1_b32 s31, 0
	s_cselect_b32 s35, -1, 0
	s_delay_alu instid0(SALU_CYCLE_1)
	s_and_b32 vcc_lo, exec_lo, s35
	s_cbranch_vccnz .LBB314_65
; %bb.62:
	s_clause 0x1
	s_load_b96 s[36:38], s[18:19], 0x1c
	s_load_b96 s[40:42], s[18:19], 0xdc
	s_wait_kmcnt 0x0
	v_mul_hi_u32 v2, s37, v1
	s_delay_alu instid0(VALU_DEP_1) | instskip(NEXT) | instid1(VALU_DEP_1)
	v_add_nc_u32_e32 v2, v1, v2
	v_lshrrev_b32_e32 v2, s38, v2
	s_delay_alu instid0(VALU_DEP_1) | instskip(NEXT) | instid1(VALU_DEP_1)
	v_mul_lo_u32 v2, v2, s36
	v_sub_nc_u32_e32 v1, v1, v2
	s_delay_alu instid0(VALU_DEP_1)
	v_mad_u32 v4, v1, s40, v4
	v_mad_u32 v6, v1, s41, v6
	;; [unrolled: 1-line block ×3, first 2 shown]
	s_branch .LBB314_65
.LBB314_63:
                                        ; implicit-def: $vgpr5
                                        ; implicit-def: $vgpr6
                                        ; implicit-def: $vgpr4
	s_branch .LBB314_66
.LBB314_64:
	v_dual_mov_b32 v5, 0 :: v_dual_mov_b32 v6, 0
	v_mov_b32_e32 v4, 0
.LBB314_65:
	s_cbranch_execnz .LBB314_68
.LBB314_66:
	v_mov_b32_e32 v1, 0
	s_and_not1_b32 vcc_lo, exec_lo, s30
	s_delay_alu instid0(VALU_DEP_1) | instskip(NEXT) | instid1(VALU_DEP_1)
	v_mul_u64_e32 v[2:3], s[2:3], v[0:1]
	v_add_nc_u32_e32 v2, v0, v3
	s_delay_alu instid0(VALU_DEP_1) | instskip(NEXT) | instid1(VALU_DEP_1)
	v_lshrrev_b32_e32 v2, s10, v2
	v_mul_lo_u32 v3, v2, s8
	s_delay_alu instid0(VALU_DEP_1) | instskip(NEXT) | instid1(VALU_DEP_1)
	v_sub_nc_u32_e32 v3, v0, v3
	v_mul_lo_u32 v4, v3, s12
	v_mul_lo_u32 v5, v3, s14
	;; [unrolled: 1-line block ×3, first 2 shown]
	s_cbranch_vccnz .LBB314_68
; %bb.67:
	v_mov_b32_e32 v3, v1
	s_delay_alu instid0(VALU_DEP_1) | instskip(NEXT) | instid1(VALU_DEP_1)
	v_mul_u64_e32 v[8:9], s[24:25], v[2:3]
	v_add_nc_u32_e32 v1, v2, v9
	s_delay_alu instid0(VALU_DEP_1) | instskip(NEXT) | instid1(VALU_DEP_1)
	v_lshrrev_b32_e32 v1, s1, v1
	v_mul_lo_u32 v1, v1, s11
	s_delay_alu instid0(VALU_DEP_1) | instskip(NEXT) | instid1(VALU_DEP_1)
	v_sub_nc_u32_e32 v1, v2, v1
	v_mad_u32 v4, v1, s15, v4
	v_mad_u32 v6, v1, s22, v6
	;; [unrolled: 1-line block ×3, first 2 shown]
.LBB314_68:
	global_load_u8 v1, v6, s[6:7]
	global_load_u8 v2, v5, s[16:17]
	v_add_nc_u32_e32 v0, 0x80, v0
	s_wait_loadcnt 0x0
	v_dual_lshlrev_b32 v3, 23, v1 :: v_dual_lshlrev_b32 v5, 23, v2
	v_cmp_ne_u32_e32 vcc_lo, 0xff, v1
	s_delay_alu instid0(VALU_DEP_2) | instskip(SKIP_1) | instid1(VALU_DEP_4)
	v_cndmask_b32_e32 v3, 0x7f800001, v3, vcc_lo
	v_cmp_ne_u32_e32 vcc_lo, 0xff, v2
	v_cndmask_b32_e32 v5, 0x7f800001, v5, vcc_lo
	v_cmp_ne_u32_e32 vcc_lo, 0, v1
	s_delay_alu instid0(VALU_DEP_4) | instskip(SKIP_1) | instid1(VALU_DEP_4)
	v_cndmask_b32_e32 v1, 0x400000, v3, vcc_lo
	v_cmp_ne_u32_e32 vcc_lo, 0, v2
	v_cndmask_b32_e32 v2, 0x400000, v5, vcc_lo
	s_delay_alu instid0(VALU_DEP_1) | instskip(SKIP_3) | instid1(VALU_DEP_1)
	v_cmp_eq_f32_e32 vcc_lo, v1, v2
	v_cndmask_b32_e64 v3, 0, 1, vcc_lo
	v_cmp_neq_f32_e32 vcc_lo, v1, v2
	v_cndmask_b32_e64 v1, 0, 1, vcc_lo
	v_cndmask_b32_e64 v1, v1, v3, s0
	s_delay_alu instid0(VALU_DEP_1) | instskip(SKIP_3) | instid1(SALU_CYCLE_1)
	v_and_b32_e32 v1, 1, v1
	global_store_b8 v4, v1, s[4:5]
	s_wait_xcnt 0x0
	s_or_b32 exec_lo, exec_lo, s9
	s_mov_b32 s9, exec_lo
	v_cmpx_gt_i32_e64 s33, v0
	s_cbranch_execz .LBB314_7
.LBB314_69:
	s_and_not1_b32 vcc_lo, exec_lo, s28
	s_cbranch_vccnz .LBB314_75
; %bb.70:
	s_and_not1_b32 vcc_lo, exec_lo, s34
	s_cbranch_vccnz .LBB314_76
; %bb.71:
	v_dual_mov_b32 v4, 0 :: v_dual_mov_b32 v1, v0
	v_dual_mov_b32 v6, 0 :: v_dual_mov_b32 v5, 0
	s_add_co_i32 s35, s31, 1
	s_mov_b64 s[18:19], 0xffffffffffffffe8
	s_and_b32 s35, s35, 30
	s_add_nc_u64 s[18:19], s[20:21], s[18:19]
.LBB314_72:                             ; =>This Inner Loop Header: Depth=1
	s_clause 0x1
	s_load_b128 s[36:39], s[18:19], 0x1c
	s_load_b64 s[44:45], s[18:19], 0x2c
	s_add_co_i32 s35, s35, -2
	s_delay_alu instid0(SALU_CYCLE_1) | instskip(SKIP_2) | instid1(VALU_DEP_1)
	s_cmp_eq_u32 s35, 0
	s_wait_kmcnt 0x0
	v_mul_hi_u32 v2, s37, v1
	v_add_nc_u32_e32 v2, v1, v2
	s_delay_alu instid0(VALU_DEP_1) | instskip(NEXT) | instid1(VALU_DEP_1)
	v_lshrrev_b32_e32 v2, s38, v2
	v_mul_hi_u32 v3, s44, v2
	v_mul_lo_u32 v7, v2, s36
	s_clause 0x1
	s_load_b128 s[40:43], s[18:19], 0xdc
	s_load_b64 s[36:37], s[18:19], 0xec
	s_wait_xcnt 0x0
	s_add_nc_u64 s[18:19], s[18:19], 24
	s_delay_alu instid0(VALU_DEP_2) | instskip(NEXT) | instid1(VALU_DEP_2)
	v_add_nc_u32_e32 v3, v2, v3
	v_sub_nc_u32_e32 v7, v1, v7
	s_delay_alu instid0(VALU_DEP_2) | instskip(SKIP_1) | instid1(VALU_DEP_2)
	v_lshrrev_b32_e32 v1, s45, v3
	s_wait_kmcnt 0x0
	v_mad_u32 v4, v7, s40, v4
	s_delay_alu instid0(VALU_DEP_2) | instskip(SKIP_2) | instid1(VALU_DEP_3)
	v_mul_lo_u32 v3, v1, s39
	v_mad_u32 v5, v7, s42, v5
	v_mad_u32 v6, v7, s41, v6
	v_sub_nc_u32_e32 v2, v2, v3
	s_delay_alu instid0(VALU_DEP_1) | instskip(NEXT) | instid1(VALU_DEP_4)
	v_mad_u32 v4, v2, s43, v4
	v_mad_u32 v5, v2, s37, v5
	s_delay_alu instid0(VALU_DEP_4)
	v_mad_u32 v6, v2, s36, v6
	s_cbranch_scc0 .LBB314_72
; %bb.73:
	s_bitcmp1_b32 s31, 0
	s_cselect_b32 s35, -1, 0
	s_delay_alu instid0(SALU_CYCLE_1)
	s_and_b32 vcc_lo, exec_lo, s35
	s_cbranch_vccnz .LBB314_77
; %bb.74:
	s_clause 0x1
	s_load_b96 s[36:38], s[18:19], 0x1c
	s_load_b96 s[40:42], s[18:19], 0xdc
	s_wait_kmcnt 0x0
	v_mul_hi_u32 v2, s37, v1
	s_delay_alu instid0(VALU_DEP_1) | instskip(NEXT) | instid1(VALU_DEP_1)
	v_add_nc_u32_e32 v2, v1, v2
	v_lshrrev_b32_e32 v2, s38, v2
	s_delay_alu instid0(VALU_DEP_1) | instskip(NEXT) | instid1(VALU_DEP_1)
	v_mul_lo_u32 v2, v2, s36
	v_sub_nc_u32_e32 v1, v1, v2
	s_delay_alu instid0(VALU_DEP_1)
	v_mad_u32 v4, v1, s40, v4
	v_mad_u32 v6, v1, s41, v6
	;; [unrolled: 1-line block ×3, first 2 shown]
	s_branch .LBB314_77
.LBB314_75:
                                        ; implicit-def: $vgpr5
                                        ; implicit-def: $vgpr6
                                        ; implicit-def: $vgpr4
	s_branch .LBB314_78
.LBB314_76:
	v_dual_mov_b32 v5, 0 :: v_dual_mov_b32 v6, 0
	v_mov_b32_e32 v4, 0
.LBB314_77:
	s_cbranch_execnz .LBB314_80
.LBB314_78:
	v_mov_b32_e32 v1, 0
	s_and_not1_b32 vcc_lo, exec_lo, s30
	s_delay_alu instid0(VALU_DEP_1) | instskip(NEXT) | instid1(VALU_DEP_1)
	v_mul_u64_e32 v[2:3], s[2:3], v[0:1]
	v_add_nc_u32_e32 v2, v0, v3
	s_delay_alu instid0(VALU_DEP_1) | instskip(NEXT) | instid1(VALU_DEP_1)
	v_lshrrev_b32_e32 v2, s10, v2
	v_mul_lo_u32 v3, v2, s8
	s_delay_alu instid0(VALU_DEP_1) | instskip(NEXT) | instid1(VALU_DEP_1)
	v_sub_nc_u32_e32 v3, v0, v3
	v_mul_lo_u32 v4, v3, s12
	v_mul_lo_u32 v5, v3, s14
	;; [unrolled: 1-line block ×3, first 2 shown]
	s_cbranch_vccnz .LBB314_80
; %bb.79:
	v_mov_b32_e32 v3, v1
	s_delay_alu instid0(VALU_DEP_1) | instskip(NEXT) | instid1(VALU_DEP_1)
	v_mul_u64_e32 v[8:9], s[24:25], v[2:3]
	v_add_nc_u32_e32 v1, v2, v9
	s_delay_alu instid0(VALU_DEP_1) | instskip(NEXT) | instid1(VALU_DEP_1)
	v_lshrrev_b32_e32 v1, s1, v1
	v_mul_lo_u32 v1, v1, s11
	s_delay_alu instid0(VALU_DEP_1) | instskip(NEXT) | instid1(VALU_DEP_1)
	v_sub_nc_u32_e32 v1, v2, v1
	v_mad_u32 v4, v1, s15, v4
	v_mad_u32 v6, v1, s22, v6
	;; [unrolled: 1-line block ×3, first 2 shown]
.LBB314_80:
	global_load_u8 v1, v6, s[6:7]
	global_load_u8 v2, v5, s[16:17]
	v_add_nc_u32_e32 v0, 0x80, v0
	s_wait_loadcnt 0x0
	v_dual_lshlrev_b32 v3, 23, v1 :: v_dual_lshlrev_b32 v5, 23, v2
	v_cmp_ne_u32_e32 vcc_lo, 0xff, v1
	s_delay_alu instid0(VALU_DEP_2) | instskip(SKIP_1) | instid1(VALU_DEP_4)
	v_cndmask_b32_e32 v3, 0x7f800001, v3, vcc_lo
	v_cmp_ne_u32_e32 vcc_lo, 0xff, v2
	v_cndmask_b32_e32 v5, 0x7f800001, v5, vcc_lo
	v_cmp_ne_u32_e32 vcc_lo, 0, v1
	s_delay_alu instid0(VALU_DEP_4) | instskip(SKIP_1) | instid1(VALU_DEP_4)
	v_cndmask_b32_e32 v1, 0x400000, v3, vcc_lo
	v_cmp_ne_u32_e32 vcc_lo, 0, v2
	v_cndmask_b32_e32 v2, 0x400000, v5, vcc_lo
	s_delay_alu instid0(VALU_DEP_1) | instskip(SKIP_3) | instid1(VALU_DEP_1)
	v_cmp_eq_f32_e32 vcc_lo, v1, v2
	v_cndmask_b32_e64 v3, 0, 1, vcc_lo
	v_cmp_neq_f32_e32 vcc_lo, v1, v2
	v_cndmask_b32_e64 v1, 0, 1, vcc_lo
	v_cndmask_b32_e64 v1, v1, v3, s0
	s_delay_alu instid0(VALU_DEP_1) | instskip(SKIP_3) | instid1(SALU_CYCLE_1)
	v_and_b32_e32 v1, 1, v1
	global_store_b8 v4, v1, s[4:5]
	s_wait_xcnt 0x0
	s_or_b32 exec_lo, exec_lo, s9
	s_mov_b32 s9, exec_lo
	v_cmpx_gt_i32_e64 s33, v0
	s_cbranch_execz .LBB314_8
.LBB314_81:
	s_and_not1_b32 vcc_lo, exec_lo, s28
	s_cbranch_vccnz .LBB314_87
; %bb.82:
	s_and_not1_b32 vcc_lo, exec_lo, s34
	s_cbranch_vccnz .LBB314_88
; %bb.83:
	v_dual_mov_b32 v4, 0 :: v_dual_mov_b32 v1, v0
	v_dual_mov_b32 v6, 0 :: v_dual_mov_b32 v5, 0
	s_add_co_i32 s35, s31, 1
	s_mov_b64 s[18:19], 0xffffffffffffffe8
	s_and_b32 s35, s35, 30
	s_add_nc_u64 s[18:19], s[20:21], s[18:19]
.LBB314_84:                             ; =>This Inner Loop Header: Depth=1
	s_clause 0x1
	s_load_b128 s[36:39], s[18:19], 0x1c
	s_load_b64 s[44:45], s[18:19], 0x2c
	s_add_co_i32 s35, s35, -2
	s_delay_alu instid0(SALU_CYCLE_1) | instskip(SKIP_2) | instid1(VALU_DEP_1)
	s_cmp_eq_u32 s35, 0
	s_wait_kmcnt 0x0
	v_mul_hi_u32 v2, s37, v1
	v_add_nc_u32_e32 v2, v1, v2
	s_delay_alu instid0(VALU_DEP_1) | instskip(NEXT) | instid1(VALU_DEP_1)
	v_lshrrev_b32_e32 v2, s38, v2
	v_mul_hi_u32 v3, s44, v2
	v_mul_lo_u32 v7, v2, s36
	s_clause 0x1
	s_load_b128 s[40:43], s[18:19], 0xdc
	s_load_b64 s[36:37], s[18:19], 0xec
	s_wait_xcnt 0x0
	s_add_nc_u64 s[18:19], s[18:19], 24
	s_delay_alu instid0(VALU_DEP_2) | instskip(NEXT) | instid1(VALU_DEP_2)
	v_add_nc_u32_e32 v3, v2, v3
	v_sub_nc_u32_e32 v7, v1, v7
	s_delay_alu instid0(VALU_DEP_2) | instskip(SKIP_1) | instid1(VALU_DEP_2)
	v_lshrrev_b32_e32 v1, s45, v3
	s_wait_kmcnt 0x0
	v_mad_u32 v4, v7, s40, v4
	s_delay_alu instid0(VALU_DEP_2) | instskip(SKIP_2) | instid1(VALU_DEP_3)
	v_mul_lo_u32 v3, v1, s39
	v_mad_u32 v5, v7, s42, v5
	v_mad_u32 v6, v7, s41, v6
	v_sub_nc_u32_e32 v2, v2, v3
	s_delay_alu instid0(VALU_DEP_1) | instskip(NEXT) | instid1(VALU_DEP_4)
	v_mad_u32 v4, v2, s43, v4
	v_mad_u32 v5, v2, s37, v5
	s_delay_alu instid0(VALU_DEP_4)
	v_mad_u32 v6, v2, s36, v6
	s_cbranch_scc0 .LBB314_84
; %bb.85:
	s_bitcmp1_b32 s31, 0
	s_cselect_b32 s35, -1, 0
	s_delay_alu instid0(SALU_CYCLE_1)
	s_and_b32 vcc_lo, exec_lo, s35
	s_cbranch_vccnz .LBB314_89
; %bb.86:
	s_clause 0x1
	s_load_b96 s[36:38], s[18:19], 0x1c
	s_load_b96 s[40:42], s[18:19], 0xdc
	s_wait_kmcnt 0x0
	v_mul_hi_u32 v2, s37, v1
	s_delay_alu instid0(VALU_DEP_1) | instskip(NEXT) | instid1(VALU_DEP_1)
	v_add_nc_u32_e32 v2, v1, v2
	v_lshrrev_b32_e32 v2, s38, v2
	s_delay_alu instid0(VALU_DEP_1) | instskip(NEXT) | instid1(VALU_DEP_1)
	v_mul_lo_u32 v2, v2, s36
	v_sub_nc_u32_e32 v1, v1, v2
	s_delay_alu instid0(VALU_DEP_1)
	v_mad_u32 v4, v1, s40, v4
	v_mad_u32 v6, v1, s41, v6
	;; [unrolled: 1-line block ×3, first 2 shown]
	s_branch .LBB314_89
.LBB314_87:
                                        ; implicit-def: $vgpr5
                                        ; implicit-def: $vgpr6
                                        ; implicit-def: $vgpr4
	s_branch .LBB314_90
.LBB314_88:
	v_dual_mov_b32 v5, 0 :: v_dual_mov_b32 v6, 0
	v_mov_b32_e32 v4, 0
.LBB314_89:
	s_cbranch_execnz .LBB314_92
.LBB314_90:
	v_mov_b32_e32 v1, 0
	s_and_not1_b32 vcc_lo, exec_lo, s30
	s_delay_alu instid0(VALU_DEP_1) | instskip(NEXT) | instid1(VALU_DEP_1)
	v_mul_u64_e32 v[2:3], s[2:3], v[0:1]
	v_add_nc_u32_e32 v2, v0, v3
	s_delay_alu instid0(VALU_DEP_1) | instskip(NEXT) | instid1(VALU_DEP_1)
	v_lshrrev_b32_e32 v2, s10, v2
	v_mul_lo_u32 v3, v2, s8
	s_delay_alu instid0(VALU_DEP_1) | instskip(NEXT) | instid1(VALU_DEP_1)
	v_sub_nc_u32_e32 v3, v0, v3
	v_mul_lo_u32 v4, v3, s12
	v_mul_lo_u32 v5, v3, s14
	;; [unrolled: 1-line block ×3, first 2 shown]
	s_cbranch_vccnz .LBB314_92
; %bb.91:
	v_mov_b32_e32 v3, v1
	s_delay_alu instid0(VALU_DEP_1) | instskip(NEXT) | instid1(VALU_DEP_1)
	v_mul_u64_e32 v[8:9], s[24:25], v[2:3]
	v_add_nc_u32_e32 v1, v2, v9
	s_delay_alu instid0(VALU_DEP_1) | instskip(NEXT) | instid1(VALU_DEP_1)
	v_lshrrev_b32_e32 v1, s1, v1
	v_mul_lo_u32 v1, v1, s11
	s_delay_alu instid0(VALU_DEP_1) | instskip(NEXT) | instid1(VALU_DEP_1)
	v_sub_nc_u32_e32 v1, v2, v1
	v_mad_u32 v4, v1, s15, v4
	v_mad_u32 v6, v1, s22, v6
	;; [unrolled: 1-line block ×3, first 2 shown]
.LBB314_92:
	global_load_u8 v1, v6, s[6:7]
	global_load_u8 v2, v5, s[16:17]
	v_add_nc_u32_e32 v0, 0x80, v0
	s_wait_loadcnt 0x0
	v_dual_lshlrev_b32 v3, 23, v1 :: v_dual_lshlrev_b32 v5, 23, v2
	v_cmp_ne_u32_e32 vcc_lo, 0xff, v1
	s_delay_alu instid0(VALU_DEP_2) | instskip(SKIP_1) | instid1(VALU_DEP_4)
	v_cndmask_b32_e32 v3, 0x7f800001, v3, vcc_lo
	v_cmp_ne_u32_e32 vcc_lo, 0xff, v2
	v_cndmask_b32_e32 v5, 0x7f800001, v5, vcc_lo
	v_cmp_ne_u32_e32 vcc_lo, 0, v1
	s_delay_alu instid0(VALU_DEP_4) | instskip(SKIP_1) | instid1(VALU_DEP_4)
	v_cndmask_b32_e32 v1, 0x400000, v3, vcc_lo
	v_cmp_ne_u32_e32 vcc_lo, 0, v2
	v_cndmask_b32_e32 v2, 0x400000, v5, vcc_lo
	s_delay_alu instid0(VALU_DEP_1) | instskip(SKIP_3) | instid1(VALU_DEP_1)
	v_cmp_eq_f32_e32 vcc_lo, v1, v2
	v_cndmask_b32_e64 v3, 0, 1, vcc_lo
	v_cmp_neq_f32_e32 vcc_lo, v1, v2
	v_cndmask_b32_e64 v1, 0, 1, vcc_lo
	v_cndmask_b32_e64 v1, v1, v3, s0
	s_delay_alu instid0(VALU_DEP_1) | instskip(SKIP_3) | instid1(SALU_CYCLE_1)
	v_and_b32_e32 v1, 1, v1
	global_store_b8 v4, v1, s[4:5]
	s_wait_xcnt 0x0
	s_or_b32 exec_lo, exec_lo, s9
	s_mov_b32 s9, exec_lo
	v_cmpx_gt_i32_e64 s33, v0
	s_cbranch_execz .LBB314_105
.LBB314_93:
	s_and_not1_b32 vcc_lo, exec_lo, s28
	s_cbranch_vccnz .LBB314_99
; %bb.94:
	s_and_not1_b32 vcc_lo, exec_lo, s34
	s_cbranch_vccnz .LBB314_100
; %bb.95:
	v_dual_mov_b32 v4, 0 :: v_dual_mov_b32 v1, v0
	v_dual_mov_b32 v6, 0 :: v_dual_mov_b32 v5, 0
	s_add_co_i32 s33, s31, 1
	s_mov_b64 s[18:19], 0xffffffffffffffe8
	s_and_b32 s33, s33, 30
	s_add_nc_u64 s[18:19], s[20:21], s[18:19]
.LBB314_96:                             ; =>This Inner Loop Header: Depth=1
	s_clause 0x1
	s_load_b128 s[36:39], s[18:19], 0x1c
	s_load_b64 s[34:35], s[18:19], 0x2c
	s_add_co_i32 s33, s33, -2
	s_delay_alu instid0(SALU_CYCLE_1) | instskip(SKIP_2) | instid1(VALU_DEP_1)
	s_cmp_eq_u32 s33, 0
	s_wait_kmcnt 0x0
	v_mul_hi_u32 v2, s37, v1
	v_add_nc_u32_e32 v2, v1, v2
	s_delay_alu instid0(VALU_DEP_1) | instskip(NEXT) | instid1(VALU_DEP_1)
	v_lshrrev_b32_e32 v2, s38, v2
	v_mul_hi_u32 v3, s34, v2
	v_mul_lo_u32 v7, v2, s36
	s_clause 0x1
	s_load_b128 s[40:43], s[18:19], 0xdc
	s_load_b64 s[36:37], s[18:19], 0xec
	s_wait_xcnt 0x0
	s_add_nc_u64 s[18:19], s[18:19], 24
	s_delay_alu instid0(VALU_DEP_2) | instskip(NEXT) | instid1(VALU_DEP_2)
	v_add_nc_u32_e32 v3, v2, v3
	v_sub_nc_u32_e32 v7, v1, v7
	s_delay_alu instid0(VALU_DEP_2) | instskip(SKIP_1) | instid1(VALU_DEP_2)
	v_lshrrev_b32_e32 v1, s35, v3
	s_wait_kmcnt 0x0
	v_mad_u32 v4, v7, s40, v4
	s_delay_alu instid0(VALU_DEP_2) | instskip(SKIP_2) | instid1(VALU_DEP_3)
	v_mul_lo_u32 v3, v1, s39
	v_mad_u32 v5, v7, s42, v5
	v_mad_u32 v6, v7, s41, v6
	v_sub_nc_u32_e32 v2, v2, v3
	s_delay_alu instid0(VALU_DEP_1) | instskip(NEXT) | instid1(VALU_DEP_4)
	v_mad_u32 v4, v2, s43, v4
	v_mad_u32 v5, v2, s37, v5
	s_delay_alu instid0(VALU_DEP_4)
	v_mad_u32 v6, v2, s36, v6
	s_cbranch_scc0 .LBB314_96
; %bb.97:
	s_bitcmp1_b32 s31, 0
	s_cselect_b32 s31, -1, 0
	s_delay_alu instid0(SALU_CYCLE_1)
	s_and_b32 vcc_lo, exec_lo, s31
	s_cbranch_vccnz .LBB314_101
; %bb.98:
	s_clause 0x1
	s_load_b96 s[36:38], s[18:19], 0x1c
	s_load_b96 s[40:42], s[18:19], 0xdc
	s_wait_kmcnt 0x0
	v_mul_hi_u32 v2, s37, v1
	s_delay_alu instid0(VALU_DEP_1) | instskip(NEXT) | instid1(VALU_DEP_1)
	v_add_nc_u32_e32 v2, v1, v2
	v_lshrrev_b32_e32 v2, s38, v2
	s_delay_alu instid0(VALU_DEP_1) | instskip(NEXT) | instid1(VALU_DEP_1)
	v_mul_lo_u32 v2, v2, s36
	v_sub_nc_u32_e32 v1, v1, v2
	s_delay_alu instid0(VALU_DEP_1)
	v_mad_u32 v4, v1, s40, v4
	v_mad_u32 v6, v1, s41, v6
	;; [unrolled: 1-line block ×3, first 2 shown]
	s_branch .LBB314_101
.LBB314_99:
                                        ; implicit-def: $vgpr5
                                        ; implicit-def: $vgpr6
                                        ; implicit-def: $vgpr4
	s_branch .LBB314_102
.LBB314_100:
	v_dual_mov_b32 v5, 0 :: v_dual_mov_b32 v6, 0
	v_mov_b32_e32 v4, 0
.LBB314_101:
	s_cbranch_execnz .LBB314_104
.LBB314_102:
	v_mov_b32_e32 v1, 0
	s_and_not1_b32 vcc_lo, exec_lo, s30
	s_delay_alu instid0(VALU_DEP_1) | instskip(NEXT) | instid1(VALU_DEP_1)
	v_mul_u64_e32 v[2:3], s[2:3], v[0:1]
	v_add_nc_u32_e32 v2, v0, v3
	s_delay_alu instid0(VALU_DEP_1) | instskip(NEXT) | instid1(VALU_DEP_1)
	v_lshrrev_b32_e32 v2, s10, v2
	v_mul_lo_u32 v3, v2, s8
	s_delay_alu instid0(VALU_DEP_1) | instskip(NEXT) | instid1(VALU_DEP_1)
	v_sub_nc_u32_e32 v0, v0, v3
	v_mul_lo_u32 v4, v0, s12
	v_mul_lo_u32 v5, v0, s14
	;; [unrolled: 1-line block ×3, first 2 shown]
	s_cbranch_vccnz .LBB314_104
; %bb.103:
	v_mov_b32_e32 v3, v1
	s_delay_alu instid0(VALU_DEP_1) | instskip(NEXT) | instid1(VALU_DEP_1)
	v_mul_u64_e32 v[0:1], s[24:25], v[2:3]
	v_add_nc_u32_e32 v0, v2, v1
	s_delay_alu instid0(VALU_DEP_1) | instskip(NEXT) | instid1(VALU_DEP_1)
	v_lshrrev_b32_e32 v0, s1, v0
	v_mul_lo_u32 v0, v0, s11
	s_delay_alu instid0(VALU_DEP_1) | instskip(NEXT) | instid1(VALU_DEP_1)
	v_sub_nc_u32_e32 v0, v2, v0
	v_mad_u32 v4, v0, s15, v4
	v_mad_u32 v6, v0, s22, v6
	v_mad_u32 v5, v0, s23, v5
.LBB314_104:
	global_load_u8 v0, v6, s[6:7]
	global_load_u8 v1, v5, s[16:17]
	s_wait_loadcnt 0x0
	v_dual_lshlrev_b32 v2, 23, v0 :: v_dual_lshlrev_b32 v3, 23, v1
	v_cmp_ne_u32_e32 vcc_lo, 0xff, v0
	s_delay_alu instid0(VALU_DEP_2) | instskip(SKIP_1) | instid1(VALU_DEP_4)
	v_cndmask_b32_e32 v2, 0x7f800001, v2, vcc_lo
	v_cmp_ne_u32_e32 vcc_lo, 0xff, v1
	v_cndmask_b32_e32 v3, 0x7f800001, v3, vcc_lo
	v_cmp_ne_u32_e32 vcc_lo, 0, v0
	s_delay_alu instid0(VALU_DEP_4) | instskip(SKIP_1) | instid1(VALU_DEP_4)
	v_cndmask_b32_e32 v0, 0x400000, v2, vcc_lo
	v_cmp_ne_u32_e32 vcc_lo, 0, v1
	v_cndmask_b32_e32 v1, 0x400000, v3, vcc_lo
	s_delay_alu instid0(VALU_DEP_1) | instskip(SKIP_3) | instid1(VALU_DEP_1)
	v_cmp_eq_f32_e32 vcc_lo, v0, v1
	v_cndmask_b32_e64 v2, 0, 1, vcc_lo
	v_cmp_neq_f32_e32 vcc_lo, v0, v1
	v_cndmask_b32_e64 v0, 0, 1, vcc_lo
	v_cndmask_b32_e64 v0, v0, v2, s0
	s_delay_alu instid0(VALU_DEP_1)
	v_and_b32_e32 v0, 1, v0
	global_store_b8 v4, v0, s[4:5]
.LBB314_105:
	s_wait_xcnt 0x0
	s_or_b32 exec_lo, exec_lo, s9
                                        ; implicit-def: $vgpr5
                                        ; implicit-def: $vgpr0
.LBB314_106:
	s_and_not1_saveexec_b32 s0, s29
	s_cbranch_execz .LBB314_113
; %bb.107:
	v_cndmask_b32_e64 v9, 0, 1, s28
	s_and_not1_b32 vcc_lo, exec_lo, s28
	s_cbranch_vccnz .LBB314_114
; %bb.108:
	s_cmp_lg_u32 s26, 0
	s_mov_b32 s2, 0
	s_cbranch_scc0 .LBB314_118
; %bb.109:
	s_min_u32 s3, s27, 15
	v_dual_mov_b32 v1, 0 :: v_dual_mov_b32 v4, v0
	v_dual_mov_b32 v2, 0 :: v_dual_mov_b32 v3, 0
	s_add_co_i32 s4, s3, 1
	s_mov_b64 s[0:1], 0xffffffffffffffe8
	s_and_b32 s4, s4, 30
	s_add_nc_u64 s[0:1], s[20:21], s[0:1]
.LBB314_110:                            ; =>This Inner Loop Header: Depth=1
	s_clause 0x1
	s_load_b128 s[8:11], s[0:1], 0x1c
	s_load_b64 s[6:7], s[0:1], 0x2c
	s_add_co_i32 s4, s4, -2
	s_delay_alu instid0(SALU_CYCLE_1) | instskip(SKIP_2) | instid1(VALU_DEP_1)
	s_cmp_lg_u32 s4, 0
	s_wait_kmcnt 0x0
	v_mul_hi_u32 v6, s9, v4
	v_add_nc_u32_e32 v6, v4, v6
	s_delay_alu instid0(VALU_DEP_1) | instskip(NEXT) | instid1(VALU_DEP_1)
	v_lshrrev_b32_e32 v6, s10, v6
	v_mul_hi_u32 v7, s6, v6
	v_mul_lo_u32 v8, v6, s8
	s_clause 0x1
	s_load_b128 s[12:15], s[0:1], 0xdc
	s_load_b64 s[8:9], s[0:1], 0xec
	s_wait_xcnt 0x0
	s_add_nc_u64 s[0:1], s[0:1], 24
	s_delay_alu instid0(VALU_DEP_1) | instskip(NEXT) | instid1(VALU_DEP_1)
	v_dual_add_nc_u32 v7, v6, v7 :: v_dual_sub_nc_u32 v8, v4, v8
	v_lshrrev_b32_e32 v4, s7, v7
	s_wait_kmcnt 0x0
	s_delay_alu instid0(VALU_DEP_2) | instskip(NEXT) | instid1(VALU_DEP_2)
	v_mad_u32 v1, v8, s12, v1
	v_mul_lo_u32 v7, v4, s11
	v_mad_u32 v3, v8, s14, v3
	v_mad_u32 v2, v8, s13, v2
	s_delay_alu instid0(VALU_DEP_3) | instskip(NEXT) | instid1(VALU_DEP_1)
	v_sub_nc_u32_e32 v6, v6, v7
	v_mad_u32 v1, v6, s15, v1
	s_delay_alu instid0(VALU_DEP_4) | instskip(NEXT) | instid1(VALU_DEP_4)
	v_mad_u32 v3, v6, s9, v3
	v_mad_u32 v2, v6, s8, v2
	s_cbranch_scc1 .LBB314_110
; %bb.111:
	s_bitcmp1_b32 s3, 0
	s_cselect_b32 s3, -1, 0
	s_delay_alu instid0(SALU_CYCLE_1)
	s_and_b32 vcc_lo, exec_lo, s3
	s_cbranch_vccnz .LBB314_115
; %bb.112:
	s_clause 0x1
	s_load_b96 s[4:6], s[0:1], 0x1c
	s_load_b96 s[8:10], s[0:1], 0xdc
	s_wait_kmcnt 0x0
	v_mul_hi_u32 v6, s5, v4
	s_delay_alu instid0(VALU_DEP_1) | instskip(NEXT) | instid1(VALU_DEP_1)
	v_add_nc_u32_e32 v6, v4, v6
	v_lshrrev_b32_e32 v6, s6, v6
	s_delay_alu instid0(VALU_DEP_1) | instskip(NEXT) | instid1(VALU_DEP_1)
	v_mul_lo_u32 v6, v6, s4
	v_sub_nc_u32_e32 v4, v4, v6
	s_delay_alu instid0(VALU_DEP_1)
	v_mad_u32 v1, v4, s8, v1
	v_mad_u32 v2, v4, s9, v2
	;; [unrolled: 1-line block ×3, first 2 shown]
	s_and_not1_b32 vcc_lo, exec_lo, s2
	s_cbranch_vccz .LBB314_116
	s_branch .LBB314_119
.LBB314_113:
	s_endpgm
.LBB314_114:
	s_mov_b32 s2, -1
                                        ; implicit-def: $vgpr3
                                        ; implicit-def: $vgpr2
                                        ; implicit-def: $vgpr1
.LBB314_115:
	s_delay_alu instid0(SALU_CYCLE_1)
	s_and_not1_b32 vcc_lo, exec_lo, s2
	s_cbranch_vccnz .LBB314_119
.LBB314_116:
	s_clause 0x1
	s_load_b96 s[0:2], s[20:21], 0x4
	s_load_b96 s[4:6], s[20:21], 0xc4
	s_cmp_lt_u32 s26, 2
	s_wait_kmcnt 0x0
	v_mul_hi_u32 v1, s1, v0
	s_delay_alu instid0(VALU_DEP_1) | instskip(NEXT) | instid1(VALU_DEP_1)
	v_add_nc_u32_e32 v1, v0, v1
	v_lshrrev_b32_e32 v4, s2, v1
	s_delay_alu instid0(VALU_DEP_1) | instskip(NEXT) | instid1(VALU_DEP_1)
	v_mul_lo_u32 v1, v4, s0
	v_sub_nc_u32_e32 v2, v0, v1
	s_delay_alu instid0(VALU_DEP_1)
	v_mul_lo_u32 v1, v2, s4
	v_mul_lo_u32 v3, v2, s6
	;; [unrolled: 1-line block ×3, first 2 shown]
	s_cbranch_scc1 .LBB314_119
; %bb.117:
	s_clause 0x1
	s_load_b96 s[0:2], s[20:21], 0x10
	s_load_b96 s[4:6], s[20:21], 0xd0
	s_wait_kmcnt 0x0
	v_mul_hi_u32 v6, s1, v4
	s_delay_alu instid0(VALU_DEP_1) | instskip(NEXT) | instid1(VALU_DEP_1)
	v_add_nc_u32_e32 v6, v4, v6
	v_lshrrev_b32_e32 v6, s2, v6
	s_delay_alu instid0(VALU_DEP_1) | instskip(NEXT) | instid1(VALU_DEP_1)
	v_mul_lo_u32 v6, v6, s0
	v_sub_nc_u32_e32 v4, v4, v6
	s_delay_alu instid0(VALU_DEP_1)
	v_mad_u32 v1, v4, s4, v1
	v_mad_u32 v2, v4, s5, v2
	v_mad_u32 v3, v4, s6, v3
	s_branch .LBB314_119
.LBB314_118:
	v_dual_mov_b32 v3, 0 :: v_dual_mov_b32 v2, 0
	v_mov_b32_e32 v1, 0
	s_and_not1_b32 vcc_lo, exec_lo, s2
	s_cbranch_vccz .LBB314_116
.LBB314_119:
	v_cmp_ne_u32_e32 vcc_lo, 1, v9
	v_add_nc_u32_e32 v8, 0x80, v0
	s_cbranch_vccnz .LBB314_125
; %bb.120:
	s_cmp_lg_u32 s26, 0
	s_mov_b32 s2, 0
	s_cbranch_scc0 .LBB314_129
; %bb.121:
	s_min_u32 s3, s27, 15
	v_dual_mov_b32 v4, 0 :: v_dual_mov_b32 v10, v8
	v_dual_mov_b32 v6, 0 :: v_dual_mov_b32 v7, 0
	s_add_co_i32 s4, s3, 1
	s_mov_b64 s[0:1], 0xffffffffffffffe8
	s_and_b32 s4, s4, 30
	s_add_nc_u64 s[0:1], s[20:21], s[0:1]
.LBB314_122:                            ; =>This Inner Loop Header: Depth=1
	s_clause 0x1
	s_load_b128 s[8:11], s[0:1], 0x1c
	s_load_b64 s[6:7], s[0:1], 0x2c
	s_add_co_i32 s4, s4, -2
	s_delay_alu instid0(SALU_CYCLE_1) | instskip(SKIP_2) | instid1(VALU_DEP_1)
	s_cmp_lg_u32 s4, 0
	s_wait_kmcnt 0x0
	v_mul_hi_u32 v11, s9, v10
	v_add_nc_u32_e32 v11, v10, v11
	s_delay_alu instid0(VALU_DEP_1) | instskip(NEXT) | instid1(VALU_DEP_1)
	v_lshrrev_b32_e32 v11, s10, v11
	v_mul_hi_u32 v12, s6, v11
	v_mul_lo_u32 v13, v11, s8
	s_clause 0x1
	s_load_b128 s[12:15], s[0:1], 0xdc
	s_load_b64 s[8:9], s[0:1], 0xec
	s_wait_xcnt 0x0
	s_add_nc_u64 s[0:1], s[0:1], 24
	s_delay_alu instid0(VALU_DEP_1) | instskip(NEXT) | instid1(VALU_DEP_1)
	v_dual_add_nc_u32 v12, v11, v12 :: v_dual_sub_nc_u32 v13, v10, v13
	v_lshrrev_b32_e32 v10, s7, v12
	s_wait_kmcnt 0x0
	s_delay_alu instid0(VALU_DEP_2) | instskip(NEXT) | instid1(VALU_DEP_2)
	v_mad_u32 v4, v13, s12, v4
	v_mul_lo_u32 v12, v10, s11
	v_mad_u32 v7, v13, s14, v7
	v_mad_u32 v6, v13, s13, v6
	s_delay_alu instid0(VALU_DEP_3) | instskip(NEXT) | instid1(VALU_DEP_1)
	v_sub_nc_u32_e32 v11, v11, v12
	v_mad_u32 v4, v11, s15, v4
	s_delay_alu instid0(VALU_DEP_4) | instskip(NEXT) | instid1(VALU_DEP_4)
	v_mad_u32 v7, v11, s9, v7
	v_mad_u32 v6, v11, s8, v6
	s_cbranch_scc1 .LBB314_122
; %bb.123:
	s_bitcmp1_b32 s3, 0
	s_cselect_b32 s3, -1, 0
	s_delay_alu instid0(SALU_CYCLE_1)
	s_and_b32 vcc_lo, exec_lo, s3
	s_cbranch_vccnz .LBB314_126
; %bb.124:
	s_clause 0x1
	s_load_b96 s[4:6], s[0:1], 0x1c
	s_load_b96 s[8:10], s[0:1], 0xdc
	s_wait_kmcnt 0x0
	v_mul_hi_u32 v11, s5, v10
	s_delay_alu instid0(VALU_DEP_1) | instskip(NEXT) | instid1(VALU_DEP_1)
	v_add_nc_u32_e32 v11, v10, v11
	v_lshrrev_b32_e32 v11, s6, v11
	s_delay_alu instid0(VALU_DEP_1) | instskip(NEXT) | instid1(VALU_DEP_1)
	v_mul_lo_u32 v11, v11, s4
	v_sub_nc_u32_e32 v10, v10, v11
	s_delay_alu instid0(VALU_DEP_1)
	v_mad_u32 v4, v10, s8, v4
	v_mad_u32 v6, v10, s9, v6
	;; [unrolled: 1-line block ×3, first 2 shown]
	s_and_not1_b32 vcc_lo, exec_lo, s2
	s_cbranch_vccz .LBB314_127
	s_branch .LBB314_130
.LBB314_125:
	s_mov_b32 s2, -1
                                        ; implicit-def: $vgpr7
                                        ; implicit-def: $vgpr6
                                        ; implicit-def: $vgpr4
.LBB314_126:
	s_delay_alu instid0(SALU_CYCLE_1)
	s_and_not1_b32 vcc_lo, exec_lo, s2
	s_cbranch_vccnz .LBB314_130
.LBB314_127:
	s_clause 0x1
	s_load_b96 s[0:2], s[20:21], 0x4
	s_load_b96 s[4:6], s[20:21], 0xc4
	s_cmp_lt_u32 s26, 2
	s_wait_kmcnt 0x0
	v_mul_hi_u32 v4, s1, v8
	s_delay_alu instid0(VALU_DEP_1) | instskip(NEXT) | instid1(VALU_DEP_1)
	v_add_nc_u32_e32 v4, v8, v4
	v_lshrrev_b32_e32 v10, s2, v4
	s_delay_alu instid0(VALU_DEP_1) | instskip(NEXT) | instid1(VALU_DEP_1)
	v_mul_lo_u32 v4, v10, s0
	v_sub_nc_u32_e32 v6, v8, v4
	s_delay_alu instid0(VALU_DEP_1)
	v_mul_lo_u32 v4, v6, s4
	v_mul_lo_u32 v7, v6, s6
	;; [unrolled: 1-line block ×3, first 2 shown]
	s_cbranch_scc1 .LBB314_130
; %bb.128:
	s_clause 0x1
	s_load_b96 s[0:2], s[20:21], 0x10
	s_load_b96 s[4:6], s[20:21], 0xd0
	s_wait_kmcnt 0x0
	v_mul_hi_u32 v8, s1, v10
	s_delay_alu instid0(VALU_DEP_1) | instskip(NEXT) | instid1(VALU_DEP_1)
	v_add_nc_u32_e32 v8, v10, v8
	v_lshrrev_b32_e32 v8, s2, v8
	s_delay_alu instid0(VALU_DEP_1) | instskip(NEXT) | instid1(VALU_DEP_1)
	v_mul_lo_u32 v8, v8, s0
	v_sub_nc_u32_e32 v8, v10, v8
	s_delay_alu instid0(VALU_DEP_1)
	v_mad_u32 v4, v8, s4, v4
	v_mad_u32 v6, v8, s5, v6
	;; [unrolled: 1-line block ×3, first 2 shown]
	s_branch .LBB314_130
.LBB314_129:
	v_dual_mov_b32 v7, 0 :: v_dual_mov_b32 v6, 0
	v_mov_b32_e32 v4, 0
	s_and_not1_b32 vcc_lo, exec_lo, s2
	s_cbranch_vccz .LBB314_127
.LBB314_130:
	v_cmp_ne_u32_e32 vcc_lo, 1, v9
	v_add_nc_u32_e32 v12, 0x100, v0
	s_cbranch_vccnz .LBB314_136
; %bb.131:
	s_cmp_lg_u32 s26, 0
	s_mov_b32 s2, 0
	s_cbranch_scc0 .LBB314_140
; %bb.132:
	s_min_u32 s3, s27, 15
	v_dual_mov_b32 v8, 0 :: v_dual_mov_b32 v13, v12
	v_dual_mov_b32 v11, 0 :: v_dual_mov_b32 v10, 0
	s_add_co_i32 s4, s3, 1
	s_mov_b64 s[0:1], 0xffffffffffffffe8
	s_and_b32 s4, s4, 30
	s_add_nc_u64 s[0:1], s[20:21], s[0:1]
.LBB314_133:                            ; =>This Inner Loop Header: Depth=1
	s_clause 0x1
	s_load_b128 s[8:11], s[0:1], 0x1c
	s_load_b64 s[6:7], s[0:1], 0x2c
	s_add_co_i32 s4, s4, -2
	s_delay_alu instid0(SALU_CYCLE_1) | instskip(SKIP_2) | instid1(VALU_DEP_1)
	s_cmp_lg_u32 s4, 0
	s_wait_kmcnt 0x0
	v_mul_hi_u32 v14, s9, v13
	v_add_nc_u32_e32 v14, v13, v14
	s_delay_alu instid0(VALU_DEP_1) | instskip(NEXT) | instid1(VALU_DEP_1)
	v_lshrrev_b32_e32 v14, s10, v14
	v_mul_hi_u32 v15, s6, v14
	v_mul_lo_u32 v16, v14, s8
	s_clause 0x1
	s_load_b128 s[12:15], s[0:1], 0xdc
	s_load_b64 s[8:9], s[0:1], 0xec
	s_wait_xcnt 0x0
	s_add_nc_u64 s[0:1], s[0:1], 24
	s_delay_alu instid0(VALU_DEP_1) | instskip(NEXT) | instid1(VALU_DEP_1)
	v_dual_add_nc_u32 v15, v14, v15 :: v_dual_sub_nc_u32 v16, v13, v16
	v_lshrrev_b32_e32 v13, s7, v15
	s_wait_kmcnt 0x0
	s_delay_alu instid0(VALU_DEP_2) | instskip(NEXT) | instid1(VALU_DEP_2)
	v_mad_u32 v8, v16, s12, v8
	v_mul_lo_u32 v15, v13, s11
	v_mad_u32 v10, v16, s14, v10
	v_mad_u32 v11, v16, s13, v11
	s_delay_alu instid0(VALU_DEP_3) | instskip(NEXT) | instid1(VALU_DEP_1)
	v_sub_nc_u32_e32 v14, v14, v15
	v_mad_u32 v8, v14, s15, v8
	s_delay_alu instid0(VALU_DEP_4) | instskip(NEXT) | instid1(VALU_DEP_4)
	v_mad_u32 v10, v14, s9, v10
	v_mad_u32 v11, v14, s8, v11
	s_cbranch_scc1 .LBB314_133
; %bb.134:
	s_bitcmp1_b32 s3, 0
	s_cselect_b32 s3, -1, 0
	s_delay_alu instid0(SALU_CYCLE_1)
	s_and_b32 vcc_lo, exec_lo, s3
	s_cbranch_vccnz .LBB314_137
; %bb.135:
	s_clause 0x1
	s_load_b96 s[4:6], s[0:1], 0x1c
	s_load_b96 s[8:10], s[0:1], 0xdc
	s_wait_kmcnt 0x0
	v_mul_hi_u32 v14, s5, v13
	s_delay_alu instid0(VALU_DEP_1) | instskip(NEXT) | instid1(VALU_DEP_1)
	v_add_nc_u32_e32 v14, v13, v14
	v_lshrrev_b32_e32 v14, s6, v14
	s_delay_alu instid0(VALU_DEP_1) | instskip(NEXT) | instid1(VALU_DEP_1)
	v_mul_lo_u32 v14, v14, s4
	v_sub_nc_u32_e32 v13, v13, v14
	s_delay_alu instid0(VALU_DEP_1)
	v_mad_u32 v8, v13, s8, v8
	v_mad_u32 v11, v13, s9, v11
	;; [unrolled: 1-line block ×3, first 2 shown]
	s_and_not1_b32 vcc_lo, exec_lo, s2
	s_cbranch_vccz .LBB314_138
	s_branch .LBB314_141
.LBB314_136:
	s_mov_b32 s2, -1
                                        ; implicit-def: $vgpr10
                                        ; implicit-def: $vgpr11
                                        ; implicit-def: $vgpr8
.LBB314_137:
	s_delay_alu instid0(SALU_CYCLE_1)
	s_and_not1_b32 vcc_lo, exec_lo, s2
	s_cbranch_vccnz .LBB314_141
.LBB314_138:
	s_clause 0x1
	s_load_b96 s[0:2], s[20:21], 0x4
	s_load_b96 s[4:6], s[20:21], 0xc4
	s_cmp_lt_u32 s26, 2
	s_wait_kmcnt 0x0
	v_mul_hi_u32 v8, s1, v12
	s_delay_alu instid0(VALU_DEP_1) | instskip(NEXT) | instid1(VALU_DEP_1)
	v_add_nc_u32_e32 v8, v12, v8
	v_lshrrev_b32_e32 v13, s2, v8
	s_delay_alu instid0(VALU_DEP_1) | instskip(NEXT) | instid1(VALU_DEP_1)
	v_mul_lo_u32 v8, v13, s0
	v_sub_nc_u32_e32 v11, v12, v8
	s_delay_alu instid0(VALU_DEP_1)
	v_mul_lo_u32 v8, v11, s4
	v_mul_lo_u32 v10, v11, s6
	;; [unrolled: 1-line block ×3, first 2 shown]
	s_cbranch_scc1 .LBB314_141
; %bb.139:
	s_clause 0x1
	s_load_b96 s[0:2], s[20:21], 0x10
	s_load_b96 s[4:6], s[20:21], 0xd0
	s_wait_kmcnt 0x0
	v_mul_hi_u32 v12, s1, v13
	s_delay_alu instid0(VALU_DEP_1) | instskip(NEXT) | instid1(VALU_DEP_1)
	v_add_nc_u32_e32 v12, v13, v12
	v_lshrrev_b32_e32 v12, s2, v12
	s_delay_alu instid0(VALU_DEP_1) | instskip(NEXT) | instid1(VALU_DEP_1)
	v_mul_lo_u32 v12, v12, s0
	v_sub_nc_u32_e32 v12, v13, v12
	s_delay_alu instid0(VALU_DEP_1)
	v_mad_u32 v8, v12, s4, v8
	v_mad_u32 v11, v12, s5, v11
	v_mad_u32 v10, v12, s6, v10
	s_branch .LBB314_141
.LBB314_140:
	v_dual_mov_b32 v10, 0 :: v_dual_mov_b32 v11, 0
	v_mov_b32_e32 v8, 0
	s_and_not1_b32 vcc_lo, exec_lo, s2
	s_cbranch_vccz .LBB314_138
.LBB314_141:
	v_cmp_ne_u32_e32 vcc_lo, 1, v9
	v_add_nc_u32_e32 v15, 0x180, v0
	s_cbranch_vccnz .LBB314_147
; %bb.142:
	s_cmp_lg_u32 s26, 0
	s_mov_b32 s2, 0
	s_cbranch_scc0 .LBB314_151
; %bb.143:
	s_min_u32 s3, s27, 15
	v_dual_mov_b32 v12, 0 :: v_dual_mov_b32 v16, v15
	v_dual_mov_b32 v14, 0 :: v_dual_mov_b32 v13, 0
	s_add_co_i32 s4, s3, 1
	s_mov_b64 s[0:1], 0xffffffffffffffe8
	s_and_b32 s4, s4, 30
	s_add_nc_u64 s[0:1], s[20:21], s[0:1]
.LBB314_144:                            ; =>This Inner Loop Header: Depth=1
	s_clause 0x1
	s_load_b128 s[8:11], s[0:1], 0x1c
	s_load_b64 s[6:7], s[0:1], 0x2c
	s_add_co_i32 s4, s4, -2
	s_delay_alu instid0(SALU_CYCLE_1) | instskip(SKIP_2) | instid1(VALU_DEP_1)
	s_cmp_lg_u32 s4, 0
	s_wait_kmcnt 0x0
	v_mul_hi_u32 v17, s9, v16
	v_add_nc_u32_e32 v17, v16, v17
	s_delay_alu instid0(VALU_DEP_1) | instskip(NEXT) | instid1(VALU_DEP_1)
	v_lshrrev_b32_e32 v17, s10, v17
	v_mul_hi_u32 v18, s6, v17
	v_mul_lo_u32 v19, v17, s8
	s_clause 0x1
	s_load_b128 s[12:15], s[0:1], 0xdc
	s_load_b64 s[8:9], s[0:1], 0xec
	s_wait_xcnt 0x0
	s_add_nc_u64 s[0:1], s[0:1], 24
	s_delay_alu instid0(VALU_DEP_1) | instskip(NEXT) | instid1(VALU_DEP_1)
	v_dual_add_nc_u32 v18, v17, v18 :: v_dual_sub_nc_u32 v19, v16, v19
	v_lshrrev_b32_e32 v16, s7, v18
	s_wait_kmcnt 0x0
	s_delay_alu instid0(VALU_DEP_2) | instskip(NEXT) | instid1(VALU_DEP_2)
	v_mad_u32 v12, v19, s12, v12
	v_mul_lo_u32 v18, v16, s11
	v_mad_u32 v13, v19, s14, v13
	v_mad_u32 v14, v19, s13, v14
	s_delay_alu instid0(VALU_DEP_3) | instskip(NEXT) | instid1(VALU_DEP_1)
	v_sub_nc_u32_e32 v17, v17, v18
	v_mad_u32 v12, v17, s15, v12
	s_delay_alu instid0(VALU_DEP_4) | instskip(NEXT) | instid1(VALU_DEP_4)
	v_mad_u32 v13, v17, s9, v13
	v_mad_u32 v14, v17, s8, v14
	s_cbranch_scc1 .LBB314_144
; %bb.145:
	s_bitcmp1_b32 s3, 0
	s_cselect_b32 s3, -1, 0
	s_delay_alu instid0(SALU_CYCLE_1)
	s_and_b32 vcc_lo, exec_lo, s3
	s_cbranch_vccnz .LBB314_148
; %bb.146:
	s_clause 0x1
	s_load_b96 s[4:6], s[0:1], 0x1c
	s_load_b96 s[8:10], s[0:1], 0xdc
	s_wait_kmcnt 0x0
	v_mul_hi_u32 v17, s5, v16
	s_delay_alu instid0(VALU_DEP_1) | instskip(NEXT) | instid1(VALU_DEP_1)
	v_add_nc_u32_e32 v17, v16, v17
	v_lshrrev_b32_e32 v17, s6, v17
	s_delay_alu instid0(VALU_DEP_1) | instskip(NEXT) | instid1(VALU_DEP_1)
	v_mul_lo_u32 v17, v17, s4
	v_sub_nc_u32_e32 v16, v16, v17
	s_delay_alu instid0(VALU_DEP_1)
	v_mad_u32 v12, v16, s8, v12
	v_mad_u32 v14, v16, s9, v14
	v_mad_u32 v13, v16, s10, v13
	s_and_not1_b32 vcc_lo, exec_lo, s2
	s_cbranch_vccz .LBB314_149
	s_branch .LBB314_152
.LBB314_147:
	s_mov_b32 s2, -1
                                        ; implicit-def: $vgpr13
                                        ; implicit-def: $vgpr14
                                        ; implicit-def: $vgpr12
.LBB314_148:
	s_delay_alu instid0(SALU_CYCLE_1)
	s_and_not1_b32 vcc_lo, exec_lo, s2
	s_cbranch_vccnz .LBB314_152
.LBB314_149:
	s_clause 0x1
	s_load_b96 s[0:2], s[20:21], 0x4
	s_load_b96 s[4:6], s[20:21], 0xc4
	s_cmp_lt_u32 s26, 2
	s_wait_kmcnt 0x0
	v_mul_hi_u32 v12, s1, v15
	s_delay_alu instid0(VALU_DEP_1) | instskip(NEXT) | instid1(VALU_DEP_1)
	v_add_nc_u32_e32 v12, v15, v12
	v_lshrrev_b32_e32 v16, s2, v12
	s_delay_alu instid0(VALU_DEP_1) | instskip(NEXT) | instid1(VALU_DEP_1)
	v_mul_lo_u32 v12, v16, s0
	v_sub_nc_u32_e32 v14, v15, v12
	s_delay_alu instid0(VALU_DEP_1)
	v_mul_lo_u32 v12, v14, s4
	v_mul_lo_u32 v13, v14, s6
	v_mul_lo_u32 v14, v14, s5
	s_cbranch_scc1 .LBB314_152
; %bb.150:
	s_clause 0x1
	s_load_b96 s[0:2], s[20:21], 0x10
	s_load_b96 s[4:6], s[20:21], 0xd0
	s_wait_kmcnt 0x0
	v_mul_hi_u32 v15, s1, v16
	s_delay_alu instid0(VALU_DEP_1) | instskip(NEXT) | instid1(VALU_DEP_1)
	v_add_nc_u32_e32 v15, v16, v15
	v_lshrrev_b32_e32 v15, s2, v15
	s_delay_alu instid0(VALU_DEP_1) | instskip(NEXT) | instid1(VALU_DEP_1)
	v_mul_lo_u32 v15, v15, s0
	v_sub_nc_u32_e32 v15, v16, v15
	s_delay_alu instid0(VALU_DEP_1)
	v_mad_u32 v12, v15, s4, v12
	v_mad_u32 v14, v15, s5, v14
	;; [unrolled: 1-line block ×3, first 2 shown]
	s_branch .LBB314_152
.LBB314_151:
	v_dual_mov_b32 v13, 0 :: v_dual_mov_b32 v14, 0
	v_mov_b32_e32 v12, 0
	s_and_not1_b32 vcc_lo, exec_lo, s2
	s_cbranch_vccz .LBB314_149
.LBB314_152:
	v_cmp_ne_u32_e32 vcc_lo, 1, v9
	v_add_nc_u32_e32 v18, 0x200, v0
	s_cbranch_vccnz .LBB314_158
; %bb.153:
	s_cmp_lg_u32 s26, 0
	s_mov_b32 s2, 0
	s_cbranch_scc0 .LBB314_162
; %bb.154:
	s_min_u32 s3, s27, 15
	v_dual_mov_b32 v15, 0 :: v_dual_mov_b32 v19, v18
	v_dual_mov_b32 v16, 0 :: v_dual_mov_b32 v17, 0
	s_add_co_i32 s4, s3, 1
	s_mov_b64 s[0:1], 0xffffffffffffffe8
	s_and_b32 s4, s4, 30
	s_add_nc_u64 s[0:1], s[20:21], s[0:1]
.LBB314_155:                            ; =>This Inner Loop Header: Depth=1
	s_clause 0x1
	s_load_b128 s[8:11], s[0:1], 0x1c
	s_load_b64 s[6:7], s[0:1], 0x2c
	s_add_co_i32 s4, s4, -2
	s_delay_alu instid0(SALU_CYCLE_1) | instskip(SKIP_2) | instid1(VALU_DEP_1)
	s_cmp_lg_u32 s4, 0
	s_wait_kmcnt 0x0
	v_mul_hi_u32 v20, s9, v19
	v_add_nc_u32_e32 v20, v19, v20
	s_delay_alu instid0(VALU_DEP_1) | instskip(NEXT) | instid1(VALU_DEP_1)
	v_lshrrev_b32_e32 v20, s10, v20
	v_mul_hi_u32 v21, s6, v20
	v_mul_lo_u32 v22, v20, s8
	s_clause 0x1
	s_load_b128 s[12:15], s[0:1], 0xdc
	s_load_b64 s[8:9], s[0:1], 0xec
	s_wait_xcnt 0x0
	s_add_nc_u64 s[0:1], s[0:1], 24
	s_delay_alu instid0(VALU_DEP_1) | instskip(NEXT) | instid1(VALU_DEP_1)
	v_dual_add_nc_u32 v21, v20, v21 :: v_dual_sub_nc_u32 v22, v19, v22
	v_lshrrev_b32_e32 v19, s7, v21
	s_wait_kmcnt 0x0
	s_delay_alu instid0(VALU_DEP_2) | instskip(NEXT) | instid1(VALU_DEP_2)
	v_mad_u32 v15, v22, s12, v15
	v_mul_lo_u32 v21, v19, s11
	v_mad_u32 v17, v22, s14, v17
	v_mad_u32 v16, v22, s13, v16
	s_delay_alu instid0(VALU_DEP_3) | instskip(NEXT) | instid1(VALU_DEP_1)
	v_sub_nc_u32_e32 v20, v20, v21
	v_mad_u32 v15, v20, s15, v15
	s_delay_alu instid0(VALU_DEP_4) | instskip(NEXT) | instid1(VALU_DEP_4)
	v_mad_u32 v17, v20, s9, v17
	v_mad_u32 v16, v20, s8, v16
	s_cbranch_scc1 .LBB314_155
; %bb.156:
	s_bitcmp1_b32 s3, 0
	s_cselect_b32 s3, -1, 0
	s_delay_alu instid0(SALU_CYCLE_1)
	s_and_b32 vcc_lo, exec_lo, s3
	s_cbranch_vccnz .LBB314_159
; %bb.157:
	s_clause 0x1
	s_load_b96 s[4:6], s[0:1], 0x1c
	s_load_b96 s[8:10], s[0:1], 0xdc
	s_wait_kmcnt 0x0
	v_mul_hi_u32 v20, s5, v19
	s_delay_alu instid0(VALU_DEP_1) | instskip(NEXT) | instid1(VALU_DEP_1)
	v_add_nc_u32_e32 v20, v19, v20
	v_lshrrev_b32_e32 v20, s6, v20
	s_delay_alu instid0(VALU_DEP_1) | instskip(NEXT) | instid1(VALU_DEP_1)
	v_mul_lo_u32 v20, v20, s4
	v_sub_nc_u32_e32 v19, v19, v20
	s_delay_alu instid0(VALU_DEP_1)
	v_mad_u32 v15, v19, s8, v15
	v_mad_u32 v16, v19, s9, v16
	;; [unrolled: 1-line block ×3, first 2 shown]
	s_and_not1_b32 vcc_lo, exec_lo, s2
	s_cbranch_vccz .LBB314_160
	s_branch .LBB314_163
.LBB314_158:
	s_mov_b32 s2, -1
                                        ; implicit-def: $vgpr17
                                        ; implicit-def: $vgpr16
                                        ; implicit-def: $vgpr15
.LBB314_159:
	s_delay_alu instid0(SALU_CYCLE_1)
	s_and_not1_b32 vcc_lo, exec_lo, s2
	s_cbranch_vccnz .LBB314_163
.LBB314_160:
	s_clause 0x1
	s_load_b96 s[0:2], s[20:21], 0x4
	s_load_b96 s[4:6], s[20:21], 0xc4
	s_cmp_lt_u32 s26, 2
	s_wait_kmcnt 0x0
	v_mul_hi_u32 v15, s1, v18
	s_delay_alu instid0(VALU_DEP_1) | instskip(NEXT) | instid1(VALU_DEP_1)
	v_add_nc_u32_e32 v15, v18, v15
	v_lshrrev_b32_e32 v19, s2, v15
	s_delay_alu instid0(VALU_DEP_1) | instskip(NEXT) | instid1(VALU_DEP_1)
	v_mul_lo_u32 v15, v19, s0
	v_sub_nc_u32_e32 v16, v18, v15
	s_delay_alu instid0(VALU_DEP_1)
	v_mul_lo_u32 v15, v16, s4
	v_mul_lo_u32 v17, v16, s6
	;; [unrolled: 1-line block ×3, first 2 shown]
	s_cbranch_scc1 .LBB314_163
; %bb.161:
	s_clause 0x1
	s_load_b96 s[0:2], s[20:21], 0x10
	s_load_b96 s[4:6], s[20:21], 0xd0
	s_wait_kmcnt 0x0
	v_mul_hi_u32 v18, s1, v19
	s_delay_alu instid0(VALU_DEP_1) | instskip(NEXT) | instid1(VALU_DEP_1)
	v_add_nc_u32_e32 v18, v19, v18
	v_lshrrev_b32_e32 v18, s2, v18
	s_delay_alu instid0(VALU_DEP_1) | instskip(NEXT) | instid1(VALU_DEP_1)
	v_mul_lo_u32 v18, v18, s0
	v_sub_nc_u32_e32 v18, v19, v18
	s_delay_alu instid0(VALU_DEP_1)
	v_mad_u32 v15, v18, s4, v15
	v_mad_u32 v16, v18, s5, v16
	;; [unrolled: 1-line block ×3, first 2 shown]
	s_branch .LBB314_163
.LBB314_162:
	v_dual_mov_b32 v17, 0 :: v_dual_mov_b32 v16, 0
	v_mov_b32_e32 v15, 0
	s_and_not1_b32 vcc_lo, exec_lo, s2
	s_cbranch_vccz .LBB314_160
.LBB314_163:
	v_cmp_ne_u32_e32 vcc_lo, 1, v9
	v_add_nc_u32_e32 v21, 0x280, v0
	s_cbranch_vccnz .LBB314_169
; %bb.164:
	s_cmp_lg_u32 s26, 0
	s_mov_b32 s2, 0
	s_cbranch_scc0 .LBB314_173
; %bb.165:
	s_min_u32 s3, s27, 15
	v_dual_mov_b32 v18, 0 :: v_dual_mov_b32 v22, v21
	v_dual_mov_b32 v20, 0 :: v_dual_mov_b32 v19, 0
	s_add_co_i32 s4, s3, 1
	s_mov_b64 s[0:1], 0xffffffffffffffe8
	s_and_b32 s4, s4, 30
	s_add_nc_u64 s[0:1], s[20:21], s[0:1]
.LBB314_166:                            ; =>This Inner Loop Header: Depth=1
	s_clause 0x1
	s_load_b128 s[8:11], s[0:1], 0x1c
	s_load_b64 s[6:7], s[0:1], 0x2c
	s_add_co_i32 s4, s4, -2
	s_delay_alu instid0(SALU_CYCLE_1) | instskip(SKIP_2) | instid1(VALU_DEP_1)
	s_cmp_lg_u32 s4, 0
	s_wait_kmcnt 0x0
	v_mul_hi_u32 v23, s9, v22
	v_add_nc_u32_e32 v23, v22, v23
	s_delay_alu instid0(VALU_DEP_1) | instskip(NEXT) | instid1(VALU_DEP_1)
	v_lshrrev_b32_e32 v23, s10, v23
	v_mul_hi_u32 v24, s6, v23
	v_mul_lo_u32 v25, v23, s8
	s_clause 0x1
	s_load_b128 s[12:15], s[0:1], 0xdc
	s_load_b64 s[8:9], s[0:1], 0xec
	s_wait_xcnt 0x0
	s_add_nc_u64 s[0:1], s[0:1], 24
	s_delay_alu instid0(VALU_DEP_1) | instskip(NEXT) | instid1(VALU_DEP_1)
	v_dual_add_nc_u32 v24, v23, v24 :: v_dual_sub_nc_u32 v25, v22, v25
	v_lshrrev_b32_e32 v22, s7, v24
	s_wait_kmcnt 0x0
	s_delay_alu instid0(VALU_DEP_2) | instskip(NEXT) | instid1(VALU_DEP_2)
	v_mad_u32 v18, v25, s12, v18
	v_mul_lo_u32 v24, v22, s11
	v_mad_u32 v19, v25, s14, v19
	v_mad_u32 v20, v25, s13, v20
	s_delay_alu instid0(VALU_DEP_3) | instskip(NEXT) | instid1(VALU_DEP_1)
	v_sub_nc_u32_e32 v23, v23, v24
	v_mad_u32 v18, v23, s15, v18
	s_delay_alu instid0(VALU_DEP_4) | instskip(NEXT) | instid1(VALU_DEP_4)
	v_mad_u32 v19, v23, s9, v19
	v_mad_u32 v20, v23, s8, v20
	s_cbranch_scc1 .LBB314_166
; %bb.167:
	s_bitcmp1_b32 s3, 0
	s_cselect_b32 s3, -1, 0
	s_delay_alu instid0(SALU_CYCLE_1)
	s_and_b32 vcc_lo, exec_lo, s3
	s_cbranch_vccnz .LBB314_170
; %bb.168:
	s_clause 0x1
	s_load_b96 s[4:6], s[0:1], 0x1c
	s_load_b96 s[8:10], s[0:1], 0xdc
	s_wait_kmcnt 0x0
	v_mul_hi_u32 v23, s5, v22
	s_delay_alu instid0(VALU_DEP_1) | instskip(NEXT) | instid1(VALU_DEP_1)
	v_add_nc_u32_e32 v23, v22, v23
	v_lshrrev_b32_e32 v23, s6, v23
	s_delay_alu instid0(VALU_DEP_1) | instskip(NEXT) | instid1(VALU_DEP_1)
	v_mul_lo_u32 v23, v23, s4
	v_sub_nc_u32_e32 v22, v22, v23
	s_delay_alu instid0(VALU_DEP_1)
	v_mad_u32 v18, v22, s8, v18
	v_mad_u32 v20, v22, s9, v20
	;; [unrolled: 1-line block ×3, first 2 shown]
	s_and_not1_b32 vcc_lo, exec_lo, s2
	s_cbranch_vccz .LBB314_171
	s_branch .LBB314_174
.LBB314_169:
	s_mov_b32 s2, -1
                                        ; implicit-def: $vgpr19
                                        ; implicit-def: $vgpr20
                                        ; implicit-def: $vgpr18
.LBB314_170:
	s_delay_alu instid0(SALU_CYCLE_1)
	s_and_not1_b32 vcc_lo, exec_lo, s2
	s_cbranch_vccnz .LBB314_174
.LBB314_171:
	s_clause 0x1
	s_load_b96 s[0:2], s[20:21], 0x4
	s_load_b96 s[4:6], s[20:21], 0xc4
	s_cmp_lt_u32 s26, 2
	s_wait_kmcnt 0x0
	v_mul_hi_u32 v18, s1, v21
	s_delay_alu instid0(VALU_DEP_1) | instskip(NEXT) | instid1(VALU_DEP_1)
	v_add_nc_u32_e32 v18, v21, v18
	v_lshrrev_b32_e32 v22, s2, v18
	s_delay_alu instid0(VALU_DEP_1) | instskip(NEXT) | instid1(VALU_DEP_1)
	v_mul_lo_u32 v18, v22, s0
	v_sub_nc_u32_e32 v20, v21, v18
	s_delay_alu instid0(VALU_DEP_1)
	v_mul_lo_u32 v18, v20, s4
	v_mul_lo_u32 v19, v20, s6
	;; [unrolled: 1-line block ×3, first 2 shown]
	s_cbranch_scc1 .LBB314_174
; %bb.172:
	s_clause 0x1
	s_load_b96 s[0:2], s[20:21], 0x10
	s_load_b96 s[4:6], s[20:21], 0xd0
	s_wait_kmcnt 0x0
	v_mul_hi_u32 v21, s1, v22
	s_delay_alu instid0(VALU_DEP_1) | instskip(NEXT) | instid1(VALU_DEP_1)
	v_add_nc_u32_e32 v21, v22, v21
	v_lshrrev_b32_e32 v21, s2, v21
	s_delay_alu instid0(VALU_DEP_1) | instskip(NEXT) | instid1(VALU_DEP_1)
	v_mul_lo_u32 v21, v21, s0
	v_sub_nc_u32_e32 v21, v22, v21
	s_delay_alu instid0(VALU_DEP_1)
	v_mad_u32 v18, v21, s4, v18
	v_mad_u32 v20, v21, s5, v20
	;; [unrolled: 1-line block ×3, first 2 shown]
	s_branch .LBB314_174
.LBB314_173:
	v_dual_mov_b32 v19, 0 :: v_dual_mov_b32 v20, 0
	v_mov_b32_e32 v18, 0
	s_and_not1_b32 vcc_lo, exec_lo, s2
	s_cbranch_vccz .LBB314_171
.LBB314_174:
	v_cmp_ne_u32_e32 vcc_lo, 1, v9
	v_add_nc_u32_e32 v23, 0x300, v0
	s_cbranch_vccnz .LBB314_180
; %bb.175:
	s_cmp_lg_u32 s26, 0
	s_mov_b32 s2, 0
	s_cbranch_scc0 .LBB314_184
; %bb.176:
	s_min_u32 s3, s27, 15
	v_dual_mov_b32 v0, 0 :: v_dual_mov_b32 v24, v23
	v_dual_mov_b32 v22, 0 :: v_dual_mov_b32 v21, 0
	s_add_co_i32 s4, s3, 1
	s_mov_b64 s[0:1], 0xffffffffffffffe8
	s_and_b32 s4, s4, 30
	s_add_nc_u64 s[0:1], s[20:21], s[0:1]
.LBB314_177:                            ; =>This Inner Loop Header: Depth=1
	s_clause 0x1
	s_load_b128 s[8:11], s[0:1], 0x1c
	s_load_b64 s[6:7], s[0:1], 0x2c
	s_add_co_i32 s4, s4, -2
	s_delay_alu instid0(SALU_CYCLE_1) | instskip(SKIP_2) | instid1(VALU_DEP_1)
	s_cmp_lg_u32 s4, 0
	s_wait_kmcnt 0x0
	v_mul_hi_u32 v25, s9, v24
	v_add_nc_u32_e32 v25, v24, v25
	s_delay_alu instid0(VALU_DEP_1) | instskip(NEXT) | instid1(VALU_DEP_1)
	v_lshrrev_b32_e32 v25, s10, v25
	v_mul_hi_u32 v26, s6, v25
	v_mul_lo_u32 v27, v25, s8
	s_clause 0x1
	s_load_b128 s[12:15], s[0:1], 0xdc
	s_load_b64 s[8:9], s[0:1], 0xec
	s_wait_xcnt 0x0
	s_add_nc_u64 s[0:1], s[0:1], 24
	s_delay_alu instid0(VALU_DEP_1) | instskip(NEXT) | instid1(VALU_DEP_1)
	v_dual_add_nc_u32 v26, v25, v26 :: v_dual_sub_nc_u32 v27, v24, v27
	v_lshrrev_b32_e32 v24, s7, v26
	s_wait_kmcnt 0x0
	s_delay_alu instid0(VALU_DEP_2) | instskip(NEXT) | instid1(VALU_DEP_2)
	v_mad_u32 v0, v27, s12, v0
	v_mul_lo_u32 v26, v24, s11
	v_mad_u32 v21, v27, s14, v21
	v_mad_u32 v22, v27, s13, v22
	s_delay_alu instid0(VALU_DEP_3) | instskip(NEXT) | instid1(VALU_DEP_1)
	v_sub_nc_u32_e32 v25, v25, v26
	v_mad_u32 v0, v25, s15, v0
	s_delay_alu instid0(VALU_DEP_4) | instskip(NEXT) | instid1(VALU_DEP_4)
	v_mad_u32 v21, v25, s9, v21
	v_mad_u32 v22, v25, s8, v22
	s_cbranch_scc1 .LBB314_177
; %bb.178:
	s_bitcmp1_b32 s3, 0
	s_cselect_b32 s3, -1, 0
	s_delay_alu instid0(SALU_CYCLE_1)
	s_and_b32 vcc_lo, exec_lo, s3
	s_cbranch_vccnz .LBB314_181
; %bb.179:
	s_clause 0x1
	s_load_b96 s[4:6], s[0:1], 0x1c
	s_load_b96 s[8:10], s[0:1], 0xdc
	s_wait_kmcnt 0x0
	v_mul_hi_u32 v25, s5, v24
	s_delay_alu instid0(VALU_DEP_1) | instskip(NEXT) | instid1(VALU_DEP_1)
	v_add_nc_u32_e32 v25, v24, v25
	v_lshrrev_b32_e32 v25, s6, v25
	s_delay_alu instid0(VALU_DEP_1) | instskip(NEXT) | instid1(VALU_DEP_1)
	v_mul_lo_u32 v25, v25, s4
	v_sub_nc_u32_e32 v24, v24, v25
	s_delay_alu instid0(VALU_DEP_1)
	v_mad_u32 v0, v24, s8, v0
	v_mad_u32 v22, v24, s9, v22
	;; [unrolled: 1-line block ×3, first 2 shown]
	s_and_not1_b32 vcc_lo, exec_lo, s2
	s_cbranch_vccz .LBB314_182
	s_branch .LBB314_185
.LBB314_180:
	s_mov_b32 s2, -1
                                        ; implicit-def: $vgpr21
                                        ; implicit-def: $vgpr22
                                        ; implicit-def: $vgpr0
.LBB314_181:
	s_delay_alu instid0(SALU_CYCLE_1)
	s_and_not1_b32 vcc_lo, exec_lo, s2
	s_cbranch_vccnz .LBB314_185
.LBB314_182:
	s_clause 0x1
	s_load_b96 s[0:2], s[20:21], 0x4
	s_load_b96 s[4:6], s[20:21], 0xc4
	s_cmp_lt_u32 s26, 2
	s_wait_kmcnt 0x0
	v_mul_hi_u32 v0, s1, v23
	s_delay_alu instid0(VALU_DEP_1) | instskip(NEXT) | instid1(VALU_DEP_1)
	v_add_nc_u32_e32 v0, v23, v0
	v_lshrrev_b32_e32 v24, s2, v0
	s_delay_alu instid0(VALU_DEP_1) | instskip(NEXT) | instid1(VALU_DEP_1)
	v_mul_lo_u32 v0, v24, s0
	v_sub_nc_u32_e32 v22, v23, v0
	s_delay_alu instid0(VALU_DEP_1)
	v_mul_lo_u32 v0, v22, s4
	v_mul_lo_u32 v21, v22, s6
	;; [unrolled: 1-line block ×3, first 2 shown]
	s_cbranch_scc1 .LBB314_185
; %bb.183:
	s_clause 0x1
	s_load_b96 s[0:2], s[20:21], 0x10
	s_load_b96 s[4:6], s[20:21], 0xd0
	s_wait_kmcnt 0x0
	v_mul_hi_u32 v23, s1, v24
	s_delay_alu instid0(VALU_DEP_1) | instskip(NEXT) | instid1(VALU_DEP_1)
	v_add_nc_u32_e32 v23, v24, v23
	v_lshrrev_b32_e32 v23, s2, v23
	s_delay_alu instid0(VALU_DEP_1) | instskip(NEXT) | instid1(VALU_DEP_1)
	v_mul_lo_u32 v23, v23, s0
	v_sub_nc_u32_e32 v23, v24, v23
	s_delay_alu instid0(VALU_DEP_1)
	v_mad_u32 v0, v23, s4, v0
	v_mad_u32 v22, v23, s5, v22
	;; [unrolled: 1-line block ×3, first 2 shown]
	s_branch .LBB314_185
.LBB314_184:
	v_dual_mov_b32 v21, 0 :: v_dual_mov_b32 v22, 0
	v_mov_b32_e32 v0, 0
	s_and_not1_b32 vcc_lo, exec_lo, s2
	s_cbranch_vccz .LBB314_182
.LBB314_185:
	v_cmp_ne_u32_e32 vcc_lo, 1, v9
	s_cbranch_vccnz .LBB314_191
; %bb.186:
	s_cmp_lg_u32 s26, 0
	s_mov_b32 s2, 0
	s_cbranch_scc0 .LBB314_195
; %bb.187:
	s_min_u32 s3, s27, 15
	v_dual_mov_b32 v9, 0 :: v_dual_mov_b32 v25, v5
	v_dual_mov_b32 v24, 0 :: v_dual_mov_b32 v23, 0
	s_add_co_i32 s4, s3, 1
	s_mov_b64 s[0:1], 0xffffffffffffffe8
	s_and_b32 s4, s4, 30
	s_add_nc_u64 s[0:1], s[20:21], s[0:1]
.LBB314_188:                            ; =>This Inner Loop Header: Depth=1
	s_clause 0x1
	s_load_b128 s[8:11], s[0:1], 0x1c
	s_load_b64 s[6:7], s[0:1], 0x2c
	s_add_co_i32 s4, s4, -2
	s_delay_alu instid0(SALU_CYCLE_1) | instskip(SKIP_2) | instid1(VALU_DEP_1)
	s_cmp_lg_u32 s4, 0
	s_wait_kmcnt 0x0
	v_mul_hi_u32 v26, s9, v25
	v_add_nc_u32_e32 v26, v25, v26
	s_delay_alu instid0(VALU_DEP_1) | instskip(NEXT) | instid1(VALU_DEP_1)
	v_lshrrev_b32_e32 v26, s10, v26
	v_mul_hi_u32 v27, s6, v26
	v_mul_lo_u32 v28, v26, s8
	s_clause 0x1
	s_load_b128 s[12:15], s[0:1], 0xdc
	s_load_b64 s[8:9], s[0:1], 0xec
	s_wait_xcnt 0x0
	s_add_nc_u64 s[0:1], s[0:1], 24
	s_delay_alu instid0(VALU_DEP_1) | instskip(NEXT) | instid1(VALU_DEP_1)
	v_dual_add_nc_u32 v27, v26, v27 :: v_dual_sub_nc_u32 v28, v25, v28
	v_lshrrev_b32_e32 v25, s7, v27
	s_wait_kmcnt 0x0
	s_delay_alu instid0(VALU_DEP_2) | instskip(NEXT) | instid1(VALU_DEP_2)
	v_mad_u32 v9, v28, s12, v9
	v_mul_lo_u32 v27, v25, s11
	v_mad_u32 v23, v28, s14, v23
	v_mad_u32 v24, v28, s13, v24
	s_delay_alu instid0(VALU_DEP_3) | instskip(NEXT) | instid1(VALU_DEP_1)
	v_sub_nc_u32_e32 v26, v26, v27
	v_mad_u32 v9, v26, s15, v9
	s_delay_alu instid0(VALU_DEP_4) | instskip(NEXT) | instid1(VALU_DEP_4)
	v_mad_u32 v23, v26, s9, v23
	v_mad_u32 v24, v26, s8, v24
	s_cbranch_scc1 .LBB314_188
; %bb.189:
	s_bitcmp1_b32 s3, 0
	s_cselect_b32 s3, -1, 0
	s_delay_alu instid0(SALU_CYCLE_1)
	s_and_b32 vcc_lo, exec_lo, s3
	s_cbranch_vccnz .LBB314_192
; %bb.190:
	s_clause 0x1
	s_load_b96 s[4:6], s[0:1], 0x1c
	s_load_b96 s[8:10], s[0:1], 0xdc
	s_wait_kmcnt 0x0
	v_mul_hi_u32 v26, s5, v25
	s_delay_alu instid0(VALU_DEP_1) | instskip(NEXT) | instid1(VALU_DEP_1)
	v_add_nc_u32_e32 v26, v25, v26
	v_lshrrev_b32_e32 v26, s6, v26
	s_delay_alu instid0(VALU_DEP_1) | instskip(NEXT) | instid1(VALU_DEP_1)
	v_mul_lo_u32 v26, v26, s4
	v_sub_nc_u32_e32 v25, v25, v26
	s_delay_alu instid0(VALU_DEP_1)
	v_mad_u32 v9, v25, s8, v9
	v_mad_u32 v24, v25, s9, v24
	;; [unrolled: 1-line block ×3, first 2 shown]
	s_and_not1_b32 vcc_lo, exec_lo, s2
	s_cbranch_vccz .LBB314_193
	s_branch .LBB314_196
.LBB314_191:
	s_mov_b32 s2, -1
                                        ; implicit-def: $vgpr23
                                        ; implicit-def: $vgpr24
                                        ; implicit-def: $vgpr9
.LBB314_192:
	s_delay_alu instid0(SALU_CYCLE_1)
	s_and_not1_b32 vcc_lo, exec_lo, s2
	s_cbranch_vccnz .LBB314_196
.LBB314_193:
	s_clause 0x1
	s_load_b96 s[0:2], s[20:21], 0x4
	s_load_b96 s[4:6], s[20:21], 0xc4
	s_cmp_lt_u32 s26, 2
	s_wait_kmcnt 0x0
	v_mul_hi_u32 v9, s1, v5
	s_delay_alu instid0(VALU_DEP_1) | instskip(NEXT) | instid1(VALU_DEP_1)
	v_add_nc_u32_e32 v9, v5, v9
	v_lshrrev_b32_e32 v25, s2, v9
	s_delay_alu instid0(VALU_DEP_1) | instskip(NEXT) | instid1(VALU_DEP_1)
	v_mul_lo_u32 v9, v25, s0
	v_sub_nc_u32_e32 v5, v5, v9
	s_delay_alu instid0(VALU_DEP_1)
	v_mul_lo_u32 v9, v5, s4
	v_mul_lo_u32 v23, v5, s6
	;; [unrolled: 1-line block ×3, first 2 shown]
	s_cbranch_scc1 .LBB314_196
; %bb.194:
	s_clause 0x1
	s_load_b96 s[0:2], s[20:21], 0x10
	s_load_b96 s[4:6], s[20:21], 0xd0
	s_wait_kmcnt 0x0
	v_mul_hi_u32 v5, s1, v25
	s_delay_alu instid0(VALU_DEP_1) | instskip(NEXT) | instid1(VALU_DEP_1)
	v_add_nc_u32_e32 v5, v25, v5
	v_lshrrev_b32_e32 v5, s2, v5
	s_delay_alu instid0(VALU_DEP_1) | instskip(NEXT) | instid1(VALU_DEP_1)
	v_mul_lo_u32 v5, v5, s0
	v_sub_nc_u32_e32 v5, v25, v5
	s_delay_alu instid0(VALU_DEP_1)
	v_mad_u32 v9, v5, s4, v9
	v_mad_u32 v24, v5, s5, v24
	;; [unrolled: 1-line block ×3, first 2 shown]
	s_branch .LBB314_196
.LBB314_195:
	v_dual_mov_b32 v23, 0 :: v_dual_mov_b32 v24, 0
	v_mov_b32_e32 v9, 0
	s_and_not1_b32 vcc_lo, exec_lo, s2
	s_cbranch_vccz .LBB314_193
.LBB314_196:
	s_clause 0x1
	s_load_b128 s[0:3], s[20:21], 0x188
	s_load_b96 s[4:6], s[20:21], 0x198
	s_wait_kmcnt 0x0
	global_load_u8 v5, v2, s[2:3]
	global_load_u8 v25, v3, s[4:5]
	global_load_u8 v26, v6, s[2:3]
	global_load_u8 v27, v7, s[4:5]
	global_load_u8 v28, v11, s[2:3]
	global_load_u8 v29, v10, s[4:5]
	global_load_u8 v30, v14, s[2:3]
	global_load_u8 v31, v13, s[4:5]
	global_load_u8 v32, v16, s[2:3]
	global_load_u8 v33, v17, s[4:5]
	global_load_u8 v34, v20, s[2:3]
	global_load_u8 v35, v19, s[4:5]
	global_load_u8 v36, v22, s[2:3]
	global_load_u8 v37, v21, s[4:5]
	global_load_u8 v38, v24, s[2:3]
                                        ; kill: killed $vgpr20
                                        ; kill: killed $sgpr2_sgpr3
                                        ; kill: killed $vgpr3
                                        ; kill: killed $vgpr17
                                        ; kill: killed $vgpr11
                                        ; kill: killed $vgpr22
                                        ; kill: killed $vgpr7
                                        ; kill: killed $vgpr19
                                        ; kill: killed $vgpr14
                                        ; kill: killed $vgpr24
                                        ; kill: killed $vgpr10
                                        ; kill: killed $vgpr2
                                        ; kill: killed $vgpr21
                                        ; kill: killed $vgpr16
                                        ; kill: killed $vgpr13
                                        ; kill: killed $vgpr6
	global_load_u8 v2, v23, s[4:5]
	s_cmp_eq_u32 s6, 0
	s_wait_loadcnt 0xf
	s_wait_xcnt 0xe
	v_lshlrev_b32_e32 v3, 23, v5
	v_cmp_ne_u32_e32 vcc_lo, 0xff, v5
	s_wait_loadcnt 0xc
	s_wait_xcnt 0xa
	v_dual_lshlrev_b32 v6, 23, v25 :: v_dual_lshlrev_b32 v10, 23, v27
	s_wait_loadcnt 0xb
	v_dual_lshlrev_b32 v7, 23, v26 :: v_dual_lshlrev_b32 v11, 23, v28
	s_wait_loadcnt 0x9
	s_wait_xcnt 0x8
	v_dual_lshlrev_b32 v13, 23, v29 :: v_dual_lshlrev_b32 v14, 23, v30
	s_wait_loadcnt 0x7
	s_wait_xcnt 0x6
	;; [unrolled: 3-line block ×5, first 2 shown]
	v_dual_lshlrev_b32 v23, 23, v37 :: v_dual_lshlrev_b32 v24, 23, v38
	v_cndmask_b32_e32 v3, 0x7f800001, v3, vcc_lo
	v_cmp_ne_u32_e32 vcc_lo, 0xff, v25
	v_cndmask_b32_e32 v6, 0x7f800001, v6, vcc_lo
	v_cmp_ne_u32_e32 vcc_lo, 0xff, v26
	v_cndmask_b32_e32 v7, 0x7f800001, v7, vcc_lo
	v_cmp_ne_u32_e32 vcc_lo, 0xff, v27
	v_cndmask_b32_e32 v10, 0x7f800001, v10, vcc_lo
	v_cmp_ne_u32_e32 vcc_lo, 0xff, v28
	v_cndmask_b32_e32 v11, 0x7f800001, v11, vcc_lo
	v_cmp_ne_u32_e32 vcc_lo, 0xff, v29
	v_cndmask_b32_e32 v13, 0x7f800001, v13, vcc_lo
	v_cmp_ne_u32_e32 vcc_lo, 0xff, v30
	v_cndmask_b32_e32 v14, 0x7f800001, v14, vcc_lo
	v_cmp_ne_u32_e32 vcc_lo, 0xff, v31
	s_wait_loadcnt 0x0
	v_dual_cndmask_b32 v16, 0x7f800001, v16 :: v_dual_lshlrev_b32 v39, 23, v2
	v_cmp_ne_u32_e32 vcc_lo, 0xff, v32
	v_cndmask_b32_e32 v17, 0x7f800001, v17, vcc_lo
	v_cmp_ne_u32_e32 vcc_lo, 0xff, v33
	v_cndmask_b32_e32 v19, 0x7f800001, v19, vcc_lo
	;; [unrolled: 2-line block ×24, first 2 shown]
	v_cmp_eq_f32_e32 vcc_lo, v3, v5
	v_cndmask_b32_e64 v24, 0, 1, vcc_lo
	v_cmp_neq_f32_e32 vcc_lo, v3, v5
	v_cndmask_b32_e64 v3, 0, 1, vcc_lo
	v_cmp_eq_f32_e32 vcc_lo, v6, v7
	v_cndmask_b32_e64 v5, 0, 1, vcc_lo
	v_cmp_neq_f32_e32 vcc_lo, v6, v7
	v_cndmask_b32_e64 v6, 0, 1, vcc_lo
	;; [unrolled: 4-line block ×8, first 2 shown]
	s_cselect_b32 vcc_lo, -1, 0
	s_delay_alu instid0(SALU_CYCLE_1) | instskip(SKIP_3) | instid1(VALU_DEP_4)
	v_dual_cndmask_b32 v3, v3, v24, vcc_lo :: v_dual_cndmask_b32 v5, v6, v5, vcc_lo
	v_dual_cndmask_b32 v6, v10, v7, vcc_lo :: v_dual_cndmask_b32 v10, v16, v14, vcc_lo
	;; [unrolled: 1-line block ×3, first 2 shown]
	v_dual_cndmask_b32 v13, v21, v20 :: v_dual_cndmask_b32 v2, v2, v22
	v_and_b32_e32 v3, 1, v3
	v_and_b32_e32 v5, 1, v5
	;; [unrolled: 1-line block ×8, first 2 shown]
	s_clause 0x7
	global_store_b8 v1, v3, s[0:1]
	global_store_b8 v4, v5, s[0:1]
	global_store_b8 v8, v6, s[0:1]
	global_store_b8 v12, v7, s[0:1]
	global_store_b8 v15, v10, s[0:1]
	global_store_b8 v18, v11, s[0:1]
	global_store_b8 v0, v13, s[0:1]
	global_store_b8 v9, v2, s[0:1]
	s_endpgm
	.section	.rodata,"a",@progbits
	.p2align	6, 0x0
	.amdhsa_kernel _ZN2at6native32elementwise_kernel_manual_unrollILi128ELi8EZNS0_22gpu_kernel_impl_nocastINS0_13BinaryFunctorIN3c1014Float8_e8m0fnuES5_bNS0_12_GLOBAL__N_116CompareEqFunctorIS5_EEEEEEvRNS_18TensorIteratorBaseERKT_EUlibE_EEviT1_
		.amdhsa_group_segment_fixed_size 0
		.amdhsa_private_segment_fixed_size 0
		.amdhsa_kernarg_size 432
		.amdhsa_user_sgpr_count 2
		.amdhsa_user_sgpr_dispatch_ptr 0
		.amdhsa_user_sgpr_queue_ptr 0
		.amdhsa_user_sgpr_kernarg_segment_ptr 1
		.amdhsa_user_sgpr_dispatch_id 0
		.amdhsa_user_sgpr_kernarg_preload_length 0
		.amdhsa_user_sgpr_kernarg_preload_offset 0
		.amdhsa_user_sgpr_private_segment_size 0
		.amdhsa_wavefront_size32 1
		.amdhsa_uses_dynamic_stack 0
		.amdhsa_enable_private_segment 0
		.amdhsa_system_sgpr_workgroup_id_x 1
		.amdhsa_system_sgpr_workgroup_id_y 0
		.amdhsa_system_sgpr_workgroup_id_z 0
		.amdhsa_system_sgpr_workgroup_info 0
		.amdhsa_system_vgpr_workitem_id 0
		.amdhsa_next_free_vgpr 40
		.amdhsa_next_free_sgpr 46
		.amdhsa_named_barrier_count 0
		.amdhsa_reserve_vcc 1
		.amdhsa_float_round_mode_32 0
		.amdhsa_float_round_mode_16_64 0
		.amdhsa_float_denorm_mode_32 3
		.amdhsa_float_denorm_mode_16_64 3
		.amdhsa_fp16_overflow 0
		.amdhsa_memory_ordered 1
		.amdhsa_forward_progress 1
		.amdhsa_inst_pref_size 96
		.amdhsa_round_robin_scheduling 0
		.amdhsa_exception_fp_ieee_invalid_op 0
		.amdhsa_exception_fp_denorm_src 0
		.amdhsa_exception_fp_ieee_div_zero 0
		.amdhsa_exception_fp_ieee_overflow 0
		.amdhsa_exception_fp_ieee_underflow 0
		.amdhsa_exception_fp_ieee_inexact 0
		.amdhsa_exception_int_div_zero 0
	.end_amdhsa_kernel
	.section	.text._ZN2at6native32elementwise_kernel_manual_unrollILi128ELi8EZNS0_22gpu_kernel_impl_nocastINS0_13BinaryFunctorIN3c1014Float8_e8m0fnuES5_bNS0_12_GLOBAL__N_116CompareEqFunctorIS5_EEEEEEvRNS_18TensorIteratorBaseERKT_EUlibE_EEviT1_,"axG",@progbits,_ZN2at6native32elementwise_kernel_manual_unrollILi128ELi8EZNS0_22gpu_kernel_impl_nocastINS0_13BinaryFunctorIN3c1014Float8_e8m0fnuES5_bNS0_12_GLOBAL__N_116CompareEqFunctorIS5_EEEEEEvRNS_18TensorIteratorBaseERKT_EUlibE_EEviT1_,comdat
.Lfunc_end314:
	.size	_ZN2at6native32elementwise_kernel_manual_unrollILi128ELi8EZNS0_22gpu_kernel_impl_nocastINS0_13BinaryFunctorIN3c1014Float8_e8m0fnuES5_bNS0_12_GLOBAL__N_116CompareEqFunctorIS5_EEEEEEvRNS_18TensorIteratorBaseERKT_EUlibE_EEviT1_, .Lfunc_end314-_ZN2at6native32elementwise_kernel_manual_unrollILi128ELi8EZNS0_22gpu_kernel_impl_nocastINS0_13BinaryFunctorIN3c1014Float8_e8m0fnuES5_bNS0_12_GLOBAL__N_116CompareEqFunctorIS5_EEEEEEvRNS_18TensorIteratorBaseERKT_EUlibE_EEviT1_
                                        ; -- End function
	.set _ZN2at6native32elementwise_kernel_manual_unrollILi128ELi8EZNS0_22gpu_kernel_impl_nocastINS0_13BinaryFunctorIN3c1014Float8_e8m0fnuES5_bNS0_12_GLOBAL__N_116CompareEqFunctorIS5_EEEEEEvRNS_18TensorIteratorBaseERKT_EUlibE_EEviT1_.num_vgpr, 40
	.set _ZN2at6native32elementwise_kernel_manual_unrollILi128ELi8EZNS0_22gpu_kernel_impl_nocastINS0_13BinaryFunctorIN3c1014Float8_e8m0fnuES5_bNS0_12_GLOBAL__N_116CompareEqFunctorIS5_EEEEEEvRNS_18TensorIteratorBaseERKT_EUlibE_EEviT1_.num_agpr, 0
	.set _ZN2at6native32elementwise_kernel_manual_unrollILi128ELi8EZNS0_22gpu_kernel_impl_nocastINS0_13BinaryFunctorIN3c1014Float8_e8m0fnuES5_bNS0_12_GLOBAL__N_116CompareEqFunctorIS5_EEEEEEvRNS_18TensorIteratorBaseERKT_EUlibE_EEviT1_.numbered_sgpr, 46
	.set _ZN2at6native32elementwise_kernel_manual_unrollILi128ELi8EZNS0_22gpu_kernel_impl_nocastINS0_13BinaryFunctorIN3c1014Float8_e8m0fnuES5_bNS0_12_GLOBAL__N_116CompareEqFunctorIS5_EEEEEEvRNS_18TensorIteratorBaseERKT_EUlibE_EEviT1_.num_named_barrier, 0
	.set _ZN2at6native32elementwise_kernel_manual_unrollILi128ELi8EZNS0_22gpu_kernel_impl_nocastINS0_13BinaryFunctorIN3c1014Float8_e8m0fnuES5_bNS0_12_GLOBAL__N_116CompareEqFunctorIS5_EEEEEEvRNS_18TensorIteratorBaseERKT_EUlibE_EEviT1_.private_seg_size, 0
	.set _ZN2at6native32elementwise_kernel_manual_unrollILi128ELi8EZNS0_22gpu_kernel_impl_nocastINS0_13BinaryFunctorIN3c1014Float8_e8m0fnuES5_bNS0_12_GLOBAL__N_116CompareEqFunctorIS5_EEEEEEvRNS_18TensorIteratorBaseERKT_EUlibE_EEviT1_.uses_vcc, 1
	.set _ZN2at6native32elementwise_kernel_manual_unrollILi128ELi8EZNS0_22gpu_kernel_impl_nocastINS0_13BinaryFunctorIN3c1014Float8_e8m0fnuES5_bNS0_12_GLOBAL__N_116CompareEqFunctorIS5_EEEEEEvRNS_18TensorIteratorBaseERKT_EUlibE_EEviT1_.uses_flat_scratch, 0
	.set _ZN2at6native32elementwise_kernel_manual_unrollILi128ELi8EZNS0_22gpu_kernel_impl_nocastINS0_13BinaryFunctorIN3c1014Float8_e8m0fnuES5_bNS0_12_GLOBAL__N_116CompareEqFunctorIS5_EEEEEEvRNS_18TensorIteratorBaseERKT_EUlibE_EEviT1_.has_dyn_sized_stack, 0
	.set _ZN2at6native32elementwise_kernel_manual_unrollILi128ELi8EZNS0_22gpu_kernel_impl_nocastINS0_13BinaryFunctorIN3c1014Float8_e8m0fnuES5_bNS0_12_GLOBAL__N_116CompareEqFunctorIS5_EEEEEEvRNS_18TensorIteratorBaseERKT_EUlibE_EEviT1_.has_recursion, 0
	.set _ZN2at6native32elementwise_kernel_manual_unrollILi128ELi8EZNS0_22gpu_kernel_impl_nocastINS0_13BinaryFunctorIN3c1014Float8_e8m0fnuES5_bNS0_12_GLOBAL__N_116CompareEqFunctorIS5_EEEEEEvRNS_18TensorIteratorBaseERKT_EUlibE_EEviT1_.has_indirect_call, 0
	.section	.AMDGPU.csdata,"",@progbits
; Kernel info:
; codeLenInByte = 12216
; TotalNumSgprs: 48
; NumVgprs: 40
; ScratchSize: 0
; MemoryBound: 0
; FloatMode: 240
; IeeeMode: 1
; LDSByteSize: 0 bytes/workgroup (compile time only)
; SGPRBlocks: 0
; VGPRBlocks: 2
; NumSGPRsForWavesPerEU: 48
; NumVGPRsForWavesPerEU: 40
; NamedBarCnt: 0
; Occupancy: 16
; WaveLimiterHint : 1
; COMPUTE_PGM_RSRC2:SCRATCH_EN: 0
; COMPUTE_PGM_RSRC2:USER_SGPR: 2
; COMPUTE_PGM_RSRC2:TRAP_HANDLER: 0
; COMPUTE_PGM_RSRC2:TGID_X_EN: 1
; COMPUTE_PGM_RSRC2:TGID_Y_EN: 0
; COMPUTE_PGM_RSRC2:TGID_Z_EN: 0
; COMPUTE_PGM_RSRC2:TIDIG_COMP_CNT: 0
	.section	.text._ZN2at6native32elementwise_kernel_manual_unrollILi128ELi4EZNS0_15gpu_kernel_implINS0_13BinaryFunctorIN3c1014Float8_e8m0fnuES5_bNS0_12_GLOBAL__N_116CompareEqFunctorIS5_EEEEEEvRNS_18TensorIteratorBaseERKT_EUlibE_EEviT1_,"axG",@progbits,_ZN2at6native32elementwise_kernel_manual_unrollILi128ELi4EZNS0_15gpu_kernel_implINS0_13BinaryFunctorIN3c1014Float8_e8m0fnuES5_bNS0_12_GLOBAL__N_116CompareEqFunctorIS5_EEEEEEvRNS_18TensorIteratorBaseERKT_EUlibE_EEviT1_,comdat
	.globl	_ZN2at6native32elementwise_kernel_manual_unrollILi128ELi4EZNS0_15gpu_kernel_implINS0_13BinaryFunctorIN3c1014Float8_e8m0fnuES5_bNS0_12_GLOBAL__N_116CompareEqFunctorIS5_EEEEEEvRNS_18TensorIteratorBaseERKT_EUlibE_EEviT1_ ; -- Begin function _ZN2at6native32elementwise_kernel_manual_unrollILi128ELi4EZNS0_15gpu_kernel_implINS0_13BinaryFunctorIN3c1014Float8_e8m0fnuES5_bNS0_12_GLOBAL__N_116CompareEqFunctorIS5_EEEEEEvRNS_18TensorIteratorBaseERKT_EUlibE_EEviT1_
	.p2align	8
	.type	_ZN2at6native32elementwise_kernel_manual_unrollILi128ELi4EZNS0_15gpu_kernel_implINS0_13BinaryFunctorIN3c1014Float8_e8m0fnuES5_bNS0_12_GLOBAL__N_116CompareEqFunctorIS5_EEEEEEvRNS_18TensorIteratorBaseERKT_EUlibE_EEviT1_,@function
_ZN2at6native32elementwise_kernel_manual_unrollILi128ELi4EZNS0_15gpu_kernel_implINS0_13BinaryFunctorIN3c1014Float8_e8m0fnuES5_bNS0_12_GLOBAL__N_116CompareEqFunctorIS5_EEEEEEvRNS_18TensorIteratorBaseERKT_EUlibE_EEviT1_: ; @_ZN2at6native32elementwise_kernel_manual_unrollILi128ELi4EZNS0_15gpu_kernel_implINS0_13BinaryFunctorIN3c1014Float8_e8m0fnuES5_bNS0_12_GLOBAL__N_116CompareEqFunctorIS5_EEEEEEvRNS_18TensorIteratorBaseERKT_EUlibE_EEviT1_
; %bb.0:
	s_load_b32 s3, s[0:1], 0x30
	s_bfe_u32 s8, ttmp6, 0x4000c
	s_clause 0x1
	s_load_b32 s19, s[0:1], 0x0
	s_load_b128 s[4:7], s[0:1], 0x8
	s_add_co_i32 s14, s8, 1
	s_clause 0x1
	s_load_b64 s[12:13], s[0:1], 0x18
	s_load_b128 s[8:11], s[0:1], 0x20
	s_and_b32 s2, ttmp6, 15
	s_wait_xcnt 0x0
	s_mul_i32 s0, ttmp9, s14
	s_getreg_b32 s15, hwreg(HW_REG_IB_STS2, 6, 4)
	s_add_co_i32 s2, s2, s0
	s_mov_b32 s18, 0
	s_wait_kmcnt 0x0
	s_lshr_b32 s16, s3, 8
	s_lshr_b32 s14, s3, 16
	s_cmp_eq_u32 s15, 0
	s_mov_b32 s15, 0
	s_cselect_b32 s0, ttmp9, s2
	s_delay_alu instid0(SALU_CYCLE_1) | instskip(SKIP_1) | instid1(VALU_DEP_1)
	v_lshl_or_b32 v6, s0, 9, v0
	s_mov_b32 s0, exec_lo
	v_or_b32_e32 v0, 0x180, v6
	s_delay_alu instid0(VALU_DEP_1)
	v_cmpx_le_i32_e64 s19, v0
	s_xor_b32 s17, exec_lo, s0
	s_cbranch_execz .LBB315_1879
; %bb.1:
	s_cmp_eq_u32 s11, 0
	s_mov_b32 s23, 0
	s_cselect_b32 s0, -1, 0
	s_mov_b32 s1, -1
	s_mov_b32 s21, 0
	s_mov_b32 s20, 0
	s_mov_b32 s22, exec_lo
	v_cmpx_gt_i32_e64 s19, v6
	s_cbranch_execz .LBB315_465
; %bb.2:
	v_mul_lo_u32 v0, v6, s9
	s_and_b32 s2, s16, 0xff
	s_delay_alu instid0(SALU_CYCLE_1) | instskip(NEXT) | instid1(VALU_DEP_1)
	s_cmp_lt_i32 s2, 11
	v_ashrrev_i32_e32 v1, 31, v0
	s_delay_alu instid0(VALU_DEP_1)
	v_add_nc_u64_e32 v[0:1], s[6:7], v[0:1]
	s_cbranch_scc1 .LBB315_11
; %bb.3:
	s_and_b32 s18, 0xffff, s2
	s_delay_alu instid0(SALU_CYCLE_1)
	s_cmp_gt_i32 s18, 25
	s_cbranch_scc0 .LBB315_22
; %bb.4:
	s_cmp_gt_i32 s18, 28
	s_cbranch_scc0 .LBB315_71
; %bb.5:
	s_cmp_gt_i32 s18, 43
	s_cbranch_scc0 .LBB315_73
; %bb.6:
	s_cmp_gt_i32 s18, 45
	s_cbranch_scc0 .LBB315_76
; %bb.7:
	s_cmp_eq_u32 s18, 46
	s_cbranch_scc0 .LBB315_79
; %bb.8:
	global_load_b32 v3, v[0:1], off
	v_mov_b32_e32 v2, 0xff
	s_mov_b32 s21, exec_lo
	s_wait_loadcnt 0x0
	v_lshlrev_b32_e32 v4, 16, v3
	s_delay_alu instid0(VALU_DEP_1) | instskip(NEXT) | instid1(VALU_DEP_1)
	v_bfe_u32 v5, v4, 23, 8
	v_cmpx_ne_u32_e32 0xff, v5
	s_cbranch_execz .LBB315_10
; %bb.9:
	v_and_b32_e32 v2, 64, v3
	v_and_or_b32 v4, 0x3f0000, v4, v5
	s_delay_alu instid0(VALU_DEP_2) | instskip(NEXT) | instid1(VALU_DEP_2)
	v_cmp_ne_u32_e32 vcc_lo, 0, v2
	v_cmp_ne_u32_e64 s1, 0, v4
	v_bfe_u32 v2, v3, 7, 9
	s_and_b32 s1, vcc_lo, s1
	s_delay_alu instid0(SALU_CYCLE_1) | instskip(NEXT) | instid1(VALU_DEP_1)
	v_cndmask_b32_e64 v3, 0, 1, s1
	v_add_nc_u32_e32 v2, v2, v3
.LBB315_10:
	s_or_b32 exec_lo, exec_lo, s21
	s_mov_b32 s1, -1
	s_mov_b32 s21, 0
	s_branch .LBB315_81
.LBB315_11:
	s_mov_b32 s1, 0
                                        ; implicit-def: $vgpr2
	s_cbranch_execnz .LBB315_165
.LBB315_12:
	s_and_not1_b32 vcc_lo, exec_lo, s1
	s_cbranch_vccnz .LBB315_234
.LBB315_13:
	s_wait_xcnt 0x0
	v_mul_lo_u32 v0, v6, s10
	s_and_b32 s2, s14, 0xff
	s_delay_alu instid0(SALU_CYCLE_1) | instskip(NEXT) | instid1(VALU_DEP_1)
	s_cmp_lt_i32 s2, 11
	v_ashrrev_i32_e32 v1, 31, v0
	s_delay_alu instid0(VALU_DEP_1)
	v_add_nc_u64_e32 v[0:1], s[12:13], v[0:1]
	s_cbranch_scc1 .LBB315_23
; %bb.14:
	s_and_b32 s18, 0xffff, s2
	s_delay_alu instid0(SALU_CYCLE_1)
	s_cmp_gt_i32 s18, 25
	s_cbranch_scc0 .LBB315_72
; %bb.15:
	s_cmp_gt_i32 s18, 28
	s_cbranch_scc0 .LBB315_74
; %bb.16:
	;; [unrolled: 3-line block ×4, first 2 shown]
	s_cmp_eq_u32 s18, 46
	s_mov_b32 s24, 0
	s_cbranch_scc0 .LBB315_235
; %bb.19:
	global_load_b32 v4, v[0:1], off
	v_mov_b32_e32 v3, 0xff
	s_mov_b32 s20, exec_lo
	s_wait_loadcnt 0x0
	v_lshlrev_b32_e32 v5, 16, v4
	s_delay_alu instid0(VALU_DEP_1) | instskip(NEXT) | instid1(VALU_DEP_1)
	v_bfe_u32 v7, v5, 23, 8
	v_cmpx_ne_u32_e32 0xff, v7
	s_cbranch_execz .LBB315_21
; %bb.20:
	v_and_b32_e32 v3, 64, v4
	v_and_or_b32 v5, 0x3f0000, v5, v7
	s_delay_alu instid0(VALU_DEP_2) | instskip(NEXT) | instid1(VALU_DEP_2)
	v_cmp_ne_u32_e32 vcc_lo, 0, v3
	v_cmp_ne_u32_e64 s1, 0, v5
	v_bfe_u32 v3, v4, 7, 9
	s_and_b32 s1, vcc_lo, s1
	s_delay_alu instid0(SALU_CYCLE_1) | instskip(NEXT) | instid1(VALU_DEP_1)
	v_cndmask_b32_e64 v4, 0, 1, s1
	v_add_nc_u32_e32 v3, v3, v4
.LBB315_21:
	s_or_b32 exec_lo, exec_lo, s20
	s_mov_b32 s1, -1
	s_mov_b32 s20, 0
	s_branch .LBB315_237
.LBB315_22:
	s_mov_b32 s1, 0
                                        ; implicit-def: $vgpr2
	s_cbranch_execnz .LBB315_122
	s_branch .LBB315_164
.LBB315_23:
	s_mov_b32 s20, 0
	s_mov_b32 s1, 0
                                        ; implicit-def: $vgpr3
	s_cbranch_execnz .LBB315_392
.LBB315_24:
	s_and_not1_b32 vcc_lo, exec_lo, s1
	s_cbranch_vccnz .LBB315_462
.LBB315_25:
	s_wait_loadcnt 0x0
	v_and_b32_e32 v0, 0xff, v2
	v_and_b32_e32 v1, 0xff, v3
	s_and_b32 s18, s3, 0xff
	s_mov_b32 s2, 0
	s_mov_b32 s24, -1
	s_delay_alu instid0(VALU_DEP_1) | instskip(SKIP_3) | instid1(VALU_DEP_2)
	v_dual_lshlrev_b32 v2, 23, v0 :: v_dual_lshlrev_b32 v3, 23, v1
	v_cmp_ne_u16_e32 vcc_lo, 0xff, v0
	s_cmp_lt_i32 s18, 11
	s_mov_b32 s25, 0
	v_cndmask_b32_e32 v2, 0x7f800001, v2, vcc_lo
	v_cmp_ne_u16_e32 vcc_lo, 0xff, v1
	v_cndmask_b32_e32 v3, 0x7f800001, v3, vcc_lo
	v_cmp_ne_u16_e32 vcc_lo, 0, v0
	v_mul_lo_u32 v0, v6, s8
	v_cndmask_b32_e32 v2, 0x400000, v2, vcc_lo
	v_cmp_ne_u16_e32 vcc_lo, 0, v1
	v_cndmask_b32_e32 v1, 0x400000, v3, vcc_lo
	s_delay_alu instid0(VALU_DEP_1) | instskip(SKIP_3) | instid1(VALU_DEP_1)
	v_cmp_eq_f32_e32 vcc_lo, v2, v1
	v_cndmask_b32_e64 v3, 0, 1, vcc_lo
	v_cmp_neq_f32_e32 vcc_lo, v2, v1
	v_cndmask_b32_e64 v1, 0, 1, vcc_lo
	v_dual_cndmask_b32 v2, v1, v3, s0 :: v_dual_ashrrev_i32 v1, 31, v0
	s_delay_alu instid0(VALU_DEP_1) | instskip(NEXT) | instid1(VALU_DEP_2)
	v_and_b32_e32 v2, 1, v2
	v_add_nc_u64_e32 v[0:1], s[4:5], v[0:1]
	s_delay_alu instid0(VALU_DEP_2)
	v_cmp_eq_u32_e64 s1, 1, v2
	s_cbranch_scc1 .LBB315_32
; %bb.26:
	s_and_b32 s24, 0xffff, s18
	s_delay_alu instid0(SALU_CYCLE_1)
	s_cmp_gt_i32 s24, 25
	s_cbranch_scc0 .LBB315_75
; %bb.27:
	s_cmp_gt_i32 s24, 28
	s_cbranch_scc0 .LBB315_78
; %bb.28:
	;; [unrolled: 3-line block ×4, first 2 shown]
	s_mov_b32 s26, 0
	s_mov_b32 s2, -1
	s_cmp_eq_u32 s24, 46
	s_cbranch_scc0 .LBB315_241
; %bb.31:
	v_cndmask_b32_e64 v2, 0, 1.0, s1
	s_mov_b32 s25, -1
	s_mov_b32 s2, 0
	s_delay_alu instid0(VALU_DEP_1) | instskip(NEXT) | instid1(VALU_DEP_1)
	v_bfe_u32 v3, v2, 16, 1
	v_add3_u32 v2, v2, v3, 0x7fff
	s_delay_alu instid0(VALU_DEP_1)
	v_lshrrev_b32_e32 v2, 16, v2
	global_store_b32 v[0:1], v2, off
	s_branch .LBB315_241
.LBB315_32:
	s_and_b32 vcc_lo, exec_lo, s24
	s_cbranch_vccz .LBB315_310
; %bb.33:
	s_and_b32 s18, 0xffff, s18
	s_mov_b32 s24, -1
	s_cmp_lt_i32 s18, 5
	s_cbranch_scc1 .LBB315_54
; %bb.34:
	s_cmp_lt_i32 s18, 8
	s_cbranch_scc1 .LBB315_44
; %bb.35:
	;; [unrolled: 3-line block ×3, first 2 shown]
	s_cmp_gt_i32 s18, 9
	s_cbranch_scc0 .LBB315_38
; %bb.37:
	s_wait_xcnt 0x0
	v_cndmask_b32_e64 v2, 0, 1, s1
	v_mov_b32_e32 v4, 0
	s_mov_b32 s24, 0
	s_delay_alu instid0(VALU_DEP_2) | instskip(NEXT) | instid1(VALU_DEP_2)
	v_cvt_f64_u32_e32 v[2:3], v2
	v_mov_b32_e32 v5, v4
	global_store_b128 v[0:1], v[2:5], off
.LBB315_38:
	s_and_not1_b32 vcc_lo, exec_lo, s24
	s_cbranch_vccnz .LBB315_40
; %bb.39:
	s_wait_xcnt 0x0
	v_cndmask_b32_e64 v2, 0, 1.0, s1
	v_mov_b32_e32 v3, 0
	global_store_b64 v[0:1], v[2:3], off
.LBB315_40:
	s_mov_b32 s24, 0
.LBB315_41:
	s_delay_alu instid0(SALU_CYCLE_1)
	s_and_not1_b32 vcc_lo, exec_lo, s24
	s_cbranch_vccnz .LBB315_43
; %bb.42:
	s_wait_xcnt 0x0
	v_cndmask_b32_e64 v2, 0, 1.0, s1
	s_delay_alu instid0(VALU_DEP_1) | instskip(NEXT) | instid1(VALU_DEP_1)
	v_cvt_f16_f32_e32 v2, v2
	v_and_b32_e32 v2, 0xffff, v2
	global_store_b32 v[0:1], v2, off
.LBB315_43:
	s_mov_b32 s24, 0
.LBB315_44:
	s_delay_alu instid0(SALU_CYCLE_1)
	s_and_not1_b32 vcc_lo, exec_lo, s24
	s_cbranch_vccnz .LBB315_53
; %bb.45:
	s_cmp_lt_i32 s18, 6
	s_mov_b32 s24, -1
	s_cbranch_scc1 .LBB315_51
; %bb.46:
	s_cmp_gt_i32 s18, 6
	s_cbranch_scc0 .LBB315_48
; %bb.47:
	s_wait_xcnt 0x0
	v_cndmask_b32_e64 v2, 0, 1, s1
	s_mov_b32 s24, 0
	s_delay_alu instid0(VALU_DEP_1)
	v_cvt_f64_u32_e32 v[2:3], v2
	global_store_b64 v[0:1], v[2:3], off
.LBB315_48:
	s_and_not1_b32 vcc_lo, exec_lo, s24
	s_cbranch_vccnz .LBB315_50
; %bb.49:
	s_wait_xcnt 0x0
	v_cndmask_b32_e64 v2, 0, 1.0, s1
	global_store_b32 v[0:1], v2, off
.LBB315_50:
	s_mov_b32 s24, 0
.LBB315_51:
	s_delay_alu instid0(SALU_CYCLE_1)
	s_and_not1_b32 vcc_lo, exec_lo, s24
	s_cbranch_vccnz .LBB315_53
; %bb.52:
	s_wait_xcnt 0x0
	v_cndmask_b32_e64 v2, 0, 1.0, s1
	s_delay_alu instid0(VALU_DEP_1)
	v_cvt_f16_f32_e32 v2, v2
	global_store_b16 v[0:1], v2, off
.LBB315_53:
	s_mov_b32 s24, 0
.LBB315_54:
	s_delay_alu instid0(SALU_CYCLE_1)
	s_and_not1_b32 vcc_lo, exec_lo, s24
	s_cbranch_vccnz .LBB315_70
; %bb.55:
	s_cmp_lt_i32 s18, 2
	s_mov_b32 s24, -1
	s_cbranch_scc1 .LBB315_65
; %bb.56:
	s_cmp_lt_i32 s18, 3
	s_cbranch_scc1 .LBB315_62
; %bb.57:
	s_cmp_gt_i32 s18, 3
	s_cbranch_scc0 .LBB315_59
; %bb.58:
	s_mov_b32 s24, 0
	s_wait_xcnt 0x0
	v_cndmask_b32_e64 v2, 0, 1, s1
	v_mov_b32_e32 v3, s24
	global_store_b64 v[0:1], v[2:3], off
.LBB315_59:
	s_and_not1_b32 vcc_lo, exec_lo, s24
	s_cbranch_vccnz .LBB315_61
; %bb.60:
	s_wait_xcnt 0x0
	v_cndmask_b32_e64 v2, 0, 1, s1
	global_store_b32 v[0:1], v2, off
.LBB315_61:
	s_mov_b32 s24, 0
.LBB315_62:
	s_delay_alu instid0(SALU_CYCLE_1)
	s_and_not1_b32 vcc_lo, exec_lo, s24
	s_cbranch_vccnz .LBB315_64
; %bb.63:
	s_wait_xcnt 0x0
	v_cndmask_b32_e64 v2, 0, 1, s1
	global_store_b16 v[0:1], v2, off
.LBB315_64:
	s_mov_b32 s24, 0
.LBB315_65:
	s_delay_alu instid0(SALU_CYCLE_1)
	s_and_not1_b32 vcc_lo, exec_lo, s24
	s_cbranch_vccnz .LBB315_70
; %bb.66:
	s_wait_xcnt 0x0
	v_cndmask_b32_e64 v2, 0, 1, s1
	s_cmp_gt_i32 s18, 0
	s_mov_b32 s1, -1
	s_cbranch_scc0 .LBB315_68
; %bb.67:
	s_mov_b32 s1, 0
	global_store_b8 v[0:1], v2, off
.LBB315_68:
	s_and_not1_b32 vcc_lo, exec_lo, s1
	s_cbranch_vccnz .LBB315_70
; %bb.69:
	global_store_b8 v[0:1], v2, off
.LBB315_70:
	s_branch .LBB315_311
.LBB315_71:
	s_mov_b32 s20, -1
	s_mov_b32 s1, 0
                                        ; implicit-def: $vgpr2
	s_branch .LBB315_95
.LBB315_72:
	s_mov_b32 s24, -1
	s_mov_b32 s20, 0
	s_mov_b32 s1, 0
                                        ; implicit-def: $vgpr3
	s_branch .LBB315_348
.LBB315_73:
	s_mov_b32 s20, -1
	s_mov_b32 s1, 0
                                        ; implicit-def: $vgpr2
	s_branch .LBB315_88
.LBB315_74:
	s_mov_b32 s24, -1
	s_mov_b32 s20, 0
	s_mov_b32 s1, 0
                                        ; implicit-def: $vgpr3
	s_branch .LBB315_321
.LBB315_75:
	s_mov_b32 s26, -1
	s_branch .LBB315_268
.LBB315_76:
	s_mov_b32 s20, -1
	s_branch .LBB315_80
.LBB315_77:
	s_mov_b32 s24, -1
	s_mov_b32 s20, 0
	s_mov_b32 s1, 0
                                        ; implicit-def: $vgpr3
	s_branch .LBB315_314
.LBB315_78:
	s_mov_b32 s26, -1
	s_branch .LBB315_251
.LBB315_79:
	s_mov_b32 s21, -1
.LBB315_80:
	s_mov_b32 s1, 0
                                        ; implicit-def: $vgpr2
.LBB315_81:
	s_and_b32 vcc_lo, exec_lo, s20
	s_cbranch_vccz .LBB315_87
; %bb.82:
	s_cmp_eq_u32 s18, 44
	s_cbranch_scc0 .LBB315_86
; %bb.83:
	global_load_u8 v2, v[0:1], off
	s_mov_b32 s1, -1
	s_mov_b32 s21, 0
	s_branch .LBB315_87
.LBB315_84:
	s_mov_b32 s24, -1
	s_mov_b32 s20, 0
	s_branch .LBB315_236
.LBB315_85:
	s_mov_b32 s26, -1
	s_branch .LBB315_247
.LBB315_86:
	s_mov_b32 s21, -1
                                        ; implicit-def: $vgpr2
.LBB315_87:
	s_mov_b32 s20, 0
.LBB315_88:
	s_delay_alu instid0(SALU_CYCLE_1)
	s_and_b32 vcc_lo, exec_lo, s20
	s_cbranch_vccz .LBB315_94
; %bb.89:
	s_cmp_eq_u32 s18, 29
	s_cbranch_scc0 .LBB315_93
; %bb.90:
	s_wait_loadcnt 0x0
	global_load_b64 v[2:3], v[0:1], off
	s_mov_b32 s20, exec_lo
	s_wait_loadcnt 0x0
	v_clz_i32_u32_e32 v4, v3
	s_delay_alu instid0(VALU_DEP_1) | instskip(NEXT) | instid1(VALU_DEP_1)
	v_min_u32_e32 v4, 32, v4
	v_lshlrev_b64_e32 v[2:3], v4, v[2:3]
	s_delay_alu instid0(VALU_DEP_1) | instskip(NEXT) | instid1(VALU_DEP_1)
	v_min_u32_e32 v2, 1, v2
	v_dual_sub_nc_u32 v3, 32, v4 :: v_dual_bitop2_b32 v2, v3, v2 bitop3:0x54
	s_delay_alu instid0(VALU_DEP_1) | instskip(NEXT) | instid1(VALU_DEP_1)
	v_cvt_f32_u32_e32 v2, v2
	v_ldexp_f32 v4, v2, v3
	s_delay_alu instid0(VALU_DEP_1) | instskip(NEXT) | instid1(VALU_DEP_1)
	v_dual_mov_b32 v2, 0xff :: v_dual_lshrrev_b32 v3, 23, v4
	v_cmpx_ne_u32_e32 0xff, v3
; %bb.91:
	v_and_b32_e32 v2, 0x400000, v4
	v_and_or_b32 v4, 0x3fffff, v4, v3
	s_delay_alu instid0(VALU_DEP_2) | instskip(NEXT) | instid1(VALU_DEP_2)
	v_cmp_ne_u32_e32 vcc_lo, 0, v2
	v_cmp_ne_u32_e64 s1, 0, v4
	s_and_b32 s1, vcc_lo, s1
	s_delay_alu instid0(SALU_CYCLE_1) | instskip(NEXT) | instid1(VALU_DEP_1)
	v_cndmask_b32_e64 v2, 0, 1, s1
	v_add_nc_u32_e32 v2, v3, v2
; %bb.92:
	s_or_b32 exec_lo, exec_lo, s20
	s_mov_b32 s1, -1
	s_mov_b32 s21, 0
	s_branch .LBB315_94
.LBB315_93:
	s_mov_b32 s21, -1
                                        ; implicit-def: $vgpr2
.LBB315_94:
	s_mov_b32 s20, 0
.LBB315_95:
	s_delay_alu instid0(SALU_CYCLE_1)
	s_and_b32 vcc_lo, exec_lo, s20
	s_cbranch_vccz .LBB315_121
; %bb.96:
	s_cmp_lt_i32 s18, 27
	s_cbranch_scc1 .LBB315_101
; %bb.97:
	s_cmp_gt_i32 s18, 27
	s_cbranch_scc0 .LBB315_102
; %bb.98:
	s_wait_loadcnt 0x0
	global_load_b32 v2, v[0:1], off
	s_mov_b32 s20, exec_lo
	s_wait_loadcnt 0x0
	v_cvt_f32_u32_e32 v4, v2
	s_delay_alu instid0(VALU_DEP_1) | instskip(NEXT) | instid1(VALU_DEP_1)
	v_dual_mov_b32 v2, 0xff :: v_dual_lshrrev_b32 v3, 23, v4
	v_cmpx_ne_u32_e32 0xff, v3
; %bb.99:
	v_and_b32_e32 v2, 0x400000, v4
	v_and_or_b32 v4, 0x3fffff, v4, v3
	s_delay_alu instid0(VALU_DEP_2) | instskip(NEXT) | instid1(VALU_DEP_2)
	v_cmp_ne_u32_e32 vcc_lo, 0, v2
	v_cmp_ne_u32_e64 s1, 0, v4
	s_and_b32 s1, vcc_lo, s1
	s_delay_alu instid0(SALU_CYCLE_1) | instskip(NEXT) | instid1(VALU_DEP_1)
	v_cndmask_b32_e64 v2, 0, 1, s1
	v_add_nc_u32_e32 v2, v3, v2
; %bb.100:
	s_or_b32 exec_lo, exec_lo, s20
	s_mov_b32 s1, 0
	s_branch .LBB315_103
.LBB315_101:
	s_mov_b32 s1, -1
                                        ; implicit-def: $vgpr2
	s_branch .LBB315_108
.LBB315_102:
	s_mov_b32 s1, -1
                                        ; implicit-def: $vgpr2
.LBB315_103:
	s_delay_alu instid0(SALU_CYCLE_1)
	s_and_not1_b32 vcc_lo, exec_lo, s1
	s_cbranch_vccnz .LBB315_107
; %bb.104:
	s_wait_loadcnt 0x0
	global_load_u16 v2, v[0:1], off
	s_mov_b32 s20, exec_lo
	s_wait_loadcnt 0x0
	v_cvt_f32_u32_e32 v4, v2
	s_delay_alu instid0(VALU_DEP_1) | instskip(NEXT) | instid1(VALU_DEP_1)
	v_dual_mov_b32 v2, 0xff :: v_dual_lshrrev_b32 v3, 23, v4
	v_cmpx_ne_u32_e32 0xff, v3
; %bb.105:
	v_and_b32_e32 v2, 0x400000, v4
	v_and_or_b32 v4, 0x3fffff, v4, v3
	s_delay_alu instid0(VALU_DEP_2) | instskip(NEXT) | instid1(VALU_DEP_2)
	v_cmp_ne_u32_e32 vcc_lo, 0, v2
	v_cmp_ne_u32_e64 s1, 0, v4
	s_and_b32 s1, vcc_lo, s1
	s_delay_alu instid0(SALU_CYCLE_1) | instskip(NEXT) | instid1(VALU_DEP_1)
	v_cndmask_b32_e64 v2, 0, 1, s1
	v_add_nc_u32_e32 v2, v3, v2
; %bb.106:
	s_or_b32 exec_lo, exec_lo, s20
.LBB315_107:
	s_mov_b32 s1, 0
.LBB315_108:
	s_delay_alu instid0(SALU_CYCLE_1)
	s_and_not1_b32 vcc_lo, exec_lo, s1
	s_cbranch_vccnz .LBB315_120
; %bb.109:
	s_wait_loadcnt 0x0
	global_load_u8 v2, v[0:1], off
	s_mov_b32 s1, 0
	s_mov_b32 s20, exec_lo
	s_wait_loadcnt 0x0
	v_cmpx_lt_i16_e32 0x7f, v2
	s_xor_b32 s20, exec_lo, s20
	s_cbranch_execz .LBB315_113
; %bb.110:
	s_mov_b32 s1, -1
	s_mov_b32 s24, exec_lo
	v_cmpx_eq_u16_e32 0x80, v2
; %bb.111:
	s_xor_b32 s1, exec_lo, -1
; %bb.112:
	s_or_b32 exec_lo, exec_lo, s24
	s_delay_alu instid0(SALU_CYCLE_1)
	s_and_b32 s1, s1, exec_lo
.LBB315_113:
	s_or_saveexec_b32 s20, s20
	v_mov_b32_e32 v3, 0x7f800001
	v_and_b32_e32 v4, 0xffff, v2
	s_xor_b32 exec_lo, exec_lo, s20
; %bb.114:
	v_cmp_ne_u16_e32 vcc_lo, 0, v2
	s_delay_alu instid0(VALU_DEP_2) | instskip(SKIP_2) | instid1(SALU_CYCLE_1)
	v_mov_b32_e32 v3, v4
	s_and_not1_b32 s1, s1, exec_lo
	s_and_b32 s24, vcc_lo, exec_lo
	s_or_b32 s1, s1, s24
; %bb.115:
	s_or_b32 exec_lo, exec_lo, s20
	s_and_saveexec_b32 s20, s1
	s_cbranch_execz .LBB315_117
; %bb.116:
	v_and_b32_e32 v2, 7, v4
	s_delay_alu instid0(VALU_DEP_1) | instskip(NEXT) | instid1(VALU_DEP_1)
	v_clz_i32_u32_e32 v3, v2
	v_min_u32_e32 v3, 32, v3
	s_delay_alu instid0(VALU_DEP_1) | instskip(NEXT) | instid1(VALU_DEP_1)
	v_subrev_nc_u32_e32 v5, 28, v3
	v_lshlrev_b32_e32 v5, v5, v4
	v_bfe_u32 v4, v4, 3, 4
	s_delay_alu instid0(VALU_DEP_2) | instskip(NEXT) | instid1(VALU_DEP_2)
	v_dual_sub_nc_u32 v3, 29, v3 :: v_dual_bitop2_b32 v5, 7, v5 bitop3:0x40
	v_cmp_eq_u32_e32 vcc_lo, 0, v4
	s_delay_alu instid0(VALU_DEP_2) | instskip(NEXT) | instid1(VALU_DEP_1)
	v_dual_cndmask_b32 v3, v4, v3 :: v_dual_cndmask_b32 v2, v2, v5
	v_lshlrev_b32_e32 v2, 20, v2
	s_delay_alu instid0(VALU_DEP_1) | instskip(NEXT) | instid1(VALU_DEP_1)
	v_lshl_or_b32 v2, v3, 23, v2
	v_add_nc_u32_e32 v3, 0x3b800000, v2
.LBB315_117:
	s_or_b32 exec_lo, exec_lo, s20
	s_delay_alu instid0(VALU_DEP_1) | instskip(SKIP_2) | instid1(VALU_DEP_2)
	v_lshrrev_b32_e32 v4, 23, v3
	v_mov_b32_e32 v2, 0xff
	s_mov_b32 s20, exec_lo
	v_cmpx_ne_u32_e32 0xff, v4
; %bb.118:
	v_and_b32_e32 v2, 0x400000, v3
	v_and_or_b32 v3, 0x3fffff, v3, v4
	s_delay_alu instid0(VALU_DEP_2) | instskip(NEXT) | instid1(VALU_DEP_2)
	v_cmp_ne_u32_e32 vcc_lo, 0, v2
	v_cmp_ne_u32_e64 s1, 0, v3
	s_and_b32 s1, vcc_lo, s1
	s_delay_alu instid0(SALU_CYCLE_1) | instskip(NEXT) | instid1(VALU_DEP_1)
	v_cndmask_b32_e64 v2, 0, 1, s1
	v_add_nc_u32_e32 v2, v4, v2
; %bb.119:
	s_or_b32 exec_lo, exec_lo, s20
.LBB315_120:
	s_mov_b32 s1, -1
.LBB315_121:
	s_branch .LBB315_164
.LBB315_122:
	s_cmp_gt_i32 s18, 22
	s_cbranch_scc0 .LBB315_136
; %bb.123:
	s_cmp_lt_i32 s18, 24
	s_cbranch_scc1 .LBB315_137
; %bb.124:
	s_cmp_gt_i32 s18, 24
	s_cbranch_scc0 .LBB315_138
; %bb.125:
	s_wait_loadcnt 0x0
	global_load_u8 v2, v[0:1], off
	s_mov_b32 s1, 0
	s_mov_b32 s20, exec_lo
	s_wait_loadcnt 0x0
	v_cmpx_lt_i16_e32 0x7f, v2
	s_xor_b32 s20, exec_lo, s20
	s_cbranch_execz .LBB315_129
; %bb.126:
	s_mov_b32 s1, -1
	s_mov_b32 s24, exec_lo
	v_cmpx_eq_u16_e32 0x80, v2
; %bb.127:
	s_xor_b32 s1, exec_lo, -1
; %bb.128:
	s_or_b32 exec_lo, exec_lo, s24
	s_delay_alu instid0(SALU_CYCLE_1)
	s_and_b32 s1, s1, exec_lo
.LBB315_129:
	s_or_saveexec_b32 s20, s20
	v_mov_b32_e32 v3, 0x7f800001
	v_and_b32_e32 v4, 0xffff, v2
	s_xor_b32 exec_lo, exec_lo, s20
; %bb.130:
	v_cmp_ne_u16_e32 vcc_lo, 0, v2
	s_delay_alu instid0(VALU_DEP_2) | instskip(SKIP_2) | instid1(SALU_CYCLE_1)
	v_mov_b32_e32 v3, v4
	s_and_not1_b32 s1, s1, exec_lo
	s_and_b32 s24, vcc_lo, exec_lo
	s_or_b32 s1, s1, s24
; %bb.131:
	s_or_b32 exec_lo, exec_lo, s20
	s_and_saveexec_b32 s20, s1
	s_cbranch_execz .LBB315_133
; %bb.132:
	v_and_b32_e32 v2, 3, v4
	s_delay_alu instid0(VALU_DEP_1) | instskip(NEXT) | instid1(VALU_DEP_1)
	v_clz_i32_u32_e32 v3, v2
	v_min_u32_e32 v3, 32, v3
	s_delay_alu instid0(VALU_DEP_1) | instskip(NEXT) | instid1(VALU_DEP_1)
	v_subrev_nc_u32_e32 v5, 29, v3
	v_lshlrev_b32_e32 v5, v5, v4
	v_bfe_u32 v4, v4, 2, 5
	s_delay_alu instid0(VALU_DEP_2) | instskip(NEXT) | instid1(VALU_DEP_2)
	v_dual_sub_nc_u32 v3, 30, v3 :: v_dual_bitop2_b32 v5, 3, v5 bitop3:0x40
	v_cmp_eq_u32_e32 vcc_lo, 0, v4
	s_delay_alu instid0(VALU_DEP_2) | instskip(NEXT) | instid1(VALU_DEP_1)
	v_dual_cndmask_b32 v3, v4, v3 :: v_dual_cndmask_b32 v2, v2, v5
	v_lshlrev_b32_e32 v2, 21, v2
	s_delay_alu instid0(VALU_DEP_1) | instskip(NEXT) | instid1(VALU_DEP_1)
	v_lshl_or_b32 v2, v3, 23, v2
	v_add_nc_u32_e32 v3, 0x37800000, v2
.LBB315_133:
	s_or_b32 exec_lo, exec_lo, s20
	s_delay_alu instid0(VALU_DEP_1) | instskip(SKIP_2) | instid1(VALU_DEP_2)
	v_lshrrev_b32_e32 v4, 23, v3
	v_mov_b32_e32 v2, 0xff
	s_mov_b32 s20, exec_lo
	v_cmpx_ne_u32_e32 0xff, v4
; %bb.134:
	v_and_b32_e32 v2, 0x400000, v3
	v_and_or_b32 v3, 0x3fffff, v3, v4
	s_delay_alu instid0(VALU_DEP_2) | instskip(NEXT) | instid1(VALU_DEP_2)
	v_cmp_ne_u32_e32 vcc_lo, 0, v2
	v_cmp_ne_u32_e64 s1, 0, v3
	s_and_b32 s1, vcc_lo, s1
	s_delay_alu instid0(SALU_CYCLE_1) | instskip(NEXT) | instid1(VALU_DEP_1)
	v_cndmask_b32_e64 v2, 0, 1, s1
	v_add_nc_u32_e32 v2, v4, v2
; %bb.135:
	s_or_b32 exec_lo, exec_lo, s20
	s_mov_b32 s1, 0
	s_branch .LBB315_139
.LBB315_136:
	s_mov_b32 s20, -1
                                        ; implicit-def: $vgpr2
	s_branch .LBB315_149
.LBB315_137:
	s_mov_b32 s1, -1
                                        ; implicit-def: $vgpr2
	s_branch .LBB315_144
.LBB315_138:
	s_mov_b32 s1, -1
                                        ; implicit-def: $vgpr2
.LBB315_139:
	s_delay_alu instid0(SALU_CYCLE_1)
	s_and_b32 vcc_lo, exec_lo, s1
	s_cbranch_vccz .LBB315_143
; %bb.140:
	s_wait_loadcnt 0x0
	global_load_u8 v2, v[0:1], off
	s_mov_b32 s20, exec_lo
	s_wait_loadcnt 0x0
	v_lshlrev_b32_e32 v2, 24, v2
	s_delay_alu instid0(VALU_DEP_1) | instskip(NEXT) | instid1(VALU_DEP_1)
	v_and_b32_e32 v2, 0x7f000000, v2
	v_clz_i32_u32_e32 v3, v2
	v_cmp_ne_u32_e32 vcc_lo, 0, v2
	v_add_nc_u32_e32 v5, 0x1000000, v2
	s_delay_alu instid0(VALU_DEP_3) | instskip(NEXT) | instid1(VALU_DEP_1)
	v_min_u32_e32 v3, 32, v3
	v_sub_nc_u32_e64 v3, v3, 4 clamp
	s_delay_alu instid0(VALU_DEP_1) | instskip(SKIP_1) | instid1(VALU_DEP_2)
	v_dual_lshlrev_b32 v4, v3, v2 :: v_dual_lshlrev_b32 v3, 23, v3
	v_mov_b32_e32 v2, 0xff
	v_lshrrev_b32_e32 v4, 4, v4
	s_delay_alu instid0(VALU_DEP_1) | instskip(NEXT) | instid1(VALU_DEP_1)
	v_dual_sub_nc_u32 v3, v4, v3 :: v_dual_ashrrev_i32 v4, 8, v5
	v_add_nc_u32_e32 v3, 0x3c000000, v3
	s_delay_alu instid0(VALU_DEP_1) | instskip(NEXT) | instid1(VALU_DEP_1)
	v_and_or_b32 v3, 0x7f800000, v4, v3
	v_cndmask_b32_e32 v4, 0, v3, vcc_lo
	s_delay_alu instid0(VALU_DEP_1) | instskip(NEXT) | instid1(VALU_DEP_1)
	v_lshrrev_b32_e32 v3, 23, v4
	v_cmpx_ne_u32_e32 0xff, v3
; %bb.141:
	v_and_b32_e32 v2, 0x400000, v4
	v_and_or_b32 v4, 0x3fffff, v4, v3
	s_delay_alu instid0(VALU_DEP_2) | instskip(NEXT) | instid1(VALU_DEP_2)
	v_cmp_ne_u32_e32 vcc_lo, 0, v2
	v_cmp_ne_u32_e64 s1, 0, v4
	s_and_b32 s1, vcc_lo, s1
	s_delay_alu instid0(SALU_CYCLE_1) | instskip(NEXT) | instid1(VALU_DEP_1)
	v_cndmask_b32_e64 v2, 0, 1, s1
	v_add_nc_u32_e32 v2, v3, v2
; %bb.142:
	s_or_b32 exec_lo, exec_lo, s20
.LBB315_143:
	s_mov_b32 s1, 0
.LBB315_144:
	s_delay_alu instid0(SALU_CYCLE_1)
	s_and_not1_b32 vcc_lo, exec_lo, s1
	s_cbranch_vccnz .LBB315_148
; %bb.145:
	s_wait_loadcnt 0x0
	global_load_u8 v2, v[0:1], off
	s_mov_b32 s20, exec_lo
	s_wait_loadcnt 0x0
	v_dual_lshlrev_b32 v3, 25, v2 :: v_dual_lshlrev_b32 v2, 8, v2
	s_delay_alu instid0(VALU_DEP_1) | instskip(NEXT) | instid1(VALU_DEP_2)
	v_cmp_gt_u32_e32 vcc_lo, 0x8000000, v3
	v_and_or_b32 v2, 0x7f00, v2, 0.5
	s_delay_alu instid0(VALU_DEP_1) | instskip(NEXT) | instid1(VALU_DEP_1)
	v_dual_lshrrev_b32 v4, 4, v3 :: v_dual_add_f32 v2, -0.5, v2
	v_or_b32_e32 v4, 0x70000000, v4
	s_delay_alu instid0(VALU_DEP_1) | instskip(NEXT) | instid1(VALU_DEP_1)
	v_mul_f32_e32 v4, 0x7800000, v4
	v_dual_cndmask_b32 v3, v4, v2 :: v_dual_mov_b32 v2, 0xff
	s_delay_alu instid0(VALU_DEP_1) | instskip(NEXT) | instid1(VALU_DEP_1)
	v_bfe_u32 v4, v3, 23, 8
	v_cmpx_ne_u32_e32 0xff, v4
	s_cbranch_execz .LBB315_147
; %bb.146:
	v_and_b32_e32 v2, 0x400000, v3
	v_and_or_b32 v4, 0x3fffff, v3, v4
	s_delay_alu instid0(VALU_DEP_2) | instskip(NEXT) | instid1(VALU_DEP_2)
	v_cmp_ne_u32_e32 vcc_lo, 0, v2
	v_cmp_ne_u32_e64 s1, 0, v4
	v_lshrrev_b32_e32 v2, 23, v3
	s_and_b32 s1, vcc_lo, s1
	s_delay_alu instid0(SALU_CYCLE_1) | instskip(NEXT) | instid1(VALU_DEP_1)
	v_cndmask_b32_e64 v3, 0, 1, s1
	v_add_nc_u32_e32 v2, v2, v3
.LBB315_147:
	s_or_b32 exec_lo, exec_lo, s20
.LBB315_148:
	s_mov_b32 s20, 0
	s_mov_b32 s1, -1
.LBB315_149:
	s_and_not1_b32 vcc_lo, exec_lo, s20
	s_cbranch_vccnz .LBB315_164
; %bb.150:
	s_cmp_gt_i32 s18, 14
	s_cbranch_scc0 .LBB315_155
; %bb.151:
	s_cmp_eq_u32 s18, 15
	s_cbranch_scc0 .LBB315_156
; %bb.152:
	global_load_u16 v3, v[0:1], off
	s_wait_loadcnt 0x1
	v_mov_b32_e32 v2, 0xff
	s_mov_b32 s20, exec_lo
	s_wait_loadcnt 0x0
	v_bfe_u32 v4, v3, 7, 8
	s_delay_alu instid0(VALU_DEP_1)
	v_cmpx_ne_u32_e32 0xff, v4
	s_cbranch_execz .LBB315_154
; %bb.153:
	v_dual_lshlrev_b32 v2, 16, v3 :: v_dual_bitop2_b32 v5, 64, v3 bitop3:0x40
	s_delay_alu instid0(VALU_DEP_1) | instskip(NEXT) | instid1(VALU_DEP_2)
	v_and_or_b32 v2, 0x3f0000, v2, v4
	v_cmp_ne_u32_e32 vcc_lo, 0, v5
	s_delay_alu instid0(VALU_DEP_2) | instskip(SKIP_2) | instid1(SALU_CYCLE_1)
	v_cmp_ne_u32_e64 s1, 0, v2
	v_lshrrev_b32_e32 v2, 7, v3
	s_and_b32 s1, vcc_lo, s1
	v_cndmask_b32_e64 v3, 0, 1, s1
	s_delay_alu instid0(VALU_DEP_1)
	v_add_nc_u32_e32 v2, v2, v3
.LBB315_154:
	s_or_b32 exec_lo, exec_lo, s20
	s_mov_b32 s1, -1
	s_mov_b32 s21, 0
	s_branch .LBB315_157
.LBB315_155:
	s_mov_b32 s20, -1
                                        ; implicit-def: $vgpr2
	s_branch .LBB315_158
.LBB315_156:
	s_mov_b32 s21, -1
                                        ; implicit-def: $vgpr2
.LBB315_157:
	s_mov_b32 s20, 0
.LBB315_158:
	s_delay_alu instid0(SALU_CYCLE_1)
	s_and_b32 vcc_lo, exec_lo, s20
	s_cbranch_vccz .LBB315_164
; %bb.159:
	s_cmp_eq_u32 s18, 11
	s_cbranch_scc0 .LBB315_163
; %bb.160:
	s_wait_loadcnt 0x0
	global_load_u8 v2, v[0:1], off
	s_mov_b32 s21, 0
	s_mov_b32 s18, exec_lo
	s_wait_loadcnt 0x0
	v_cmp_ne_u16_e32 vcc_lo, 0, v2
	v_mov_b32_e32 v2, 0xff
	v_cndmask_b32_e64 v4, 0, 1.0, vcc_lo
	s_delay_alu instid0(VALU_DEP_1) | instskip(NEXT) | instid1(VALU_DEP_1)
	v_lshrrev_b32_e32 v3, 23, v4
	v_cmpx_ne_u32_e32 0xff, v3
; %bb.161:
	v_and_b32_e32 v2, 0x400000, v4
	v_and_or_b32 v4, 0x3fffff, v4, v3
	s_delay_alu instid0(VALU_DEP_2) | instskip(NEXT) | instid1(VALU_DEP_2)
	v_cmp_ne_u32_e32 vcc_lo, 0, v2
	v_cmp_ne_u32_e64 s1, 0, v4
	s_and_b32 s1, vcc_lo, s1
	s_delay_alu instid0(SALU_CYCLE_1) | instskip(NEXT) | instid1(VALU_DEP_1)
	v_cndmask_b32_e64 v2, 0, 1, s1
	v_add_nc_u32_e32 v2, v3, v2
; %bb.162:
	s_or_b32 exec_lo, exec_lo, s18
	s_mov_b32 s1, -1
	s_branch .LBB315_164
.LBB315_163:
	s_mov_b32 s21, -1
                                        ; implicit-def: $vgpr2
.LBB315_164:
	s_branch .LBB315_12
.LBB315_165:
	s_and_b32 s2, 0xffff, s2
	s_delay_alu instid0(SALU_CYCLE_1)
	s_cmp_lt_i32 s2, 5
	s_cbranch_scc1 .LBB315_172
; %bb.166:
	s_cmp_lt_i32 s2, 8
	s_cbranch_scc1 .LBB315_173
; %bb.167:
	;; [unrolled: 3-line block ×3, first 2 shown]
	s_cmp_gt_i32 s2, 9
	s_cbranch_scc0 .LBB315_175
; %bb.169:
	s_wait_loadcnt 0x0
	global_load_b64 v[2:3], v[0:1], off
	s_mov_b32 s18, exec_lo
	s_wait_loadcnt 0x0
	v_cvt_f32_f64_e32 v3, v[2:3]
	v_mov_b32_e32 v2, 0xff
	s_delay_alu instid0(VALU_DEP_2) | instskip(NEXT) | instid1(VALU_DEP_1)
	v_bfe_u32 v4, v3, 23, 8
	v_cmpx_ne_u32_e32 0xff, v4
	s_cbranch_execz .LBB315_171
; %bb.170:
	v_and_b32_e32 v2, 0x400000, v3
	v_and_or_b32 v4, 0x3fffff, v3, v4
	s_delay_alu instid0(VALU_DEP_2) | instskip(NEXT) | instid1(VALU_DEP_2)
	v_cmp_ne_u32_e32 vcc_lo, 0, v2
	v_cmp_ne_u32_e64 s1, 0, v4
	v_lshrrev_b32_e32 v2, 23, v3
	s_and_b32 s1, vcc_lo, s1
	s_delay_alu instid0(SALU_CYCLE_1) | instskip(NEXT) | instid1(VALU_DEP_1)
	v_cndmask_b32_e64 v3, 0, 1, s1
	v_add_nc_u32_e32 v2, v2, v3
.LBB315_171:
	s_or_b32 exec_lo, exec_lo, s18
	s_mov_b32 s1, 0
	s_branch .LBB315_176
.LBB315_172:
                                        ; implicit-def: $vgpr2
	s_branch .LBB315_204
.LBB315_173:
	s_mov_b32 s1, -1
                                        ; implicit-def: $vgpr2
	s_branch .LBB315_186
.LBB315_174:
	s_mov_b32 s1, -1
                                        ; implicit-def: $vgpr2
	s_branch .LBB315_181
.LBB315_175:
	s_mov_b32 s1, -1
                                        ; implicit-def: $vgpr2
.LBB315_176:
	s_delay_alu instid0(SALU_CYCLE_1)
	s_and_not1_b32 vcc_lo, exec_lo, s1
	s_cbranch_vccnz .LBB315_180
; %bb.177:
	global_load_b32 v3, v[0:1], off
	s_wait_loadcnt 0x1
	v_mov_b32_e32 v2, 0xff
	s_mov_b32 s18, exec_lo
	s_wait_loadcnt 0x0
	v_bfe_u32 v4, v3, 23, 8
	s_delay_alu instid0(VALU_DEP_1)
	v_cmpx_ne_u32_e32 0xff, v4
	s_cbranch_execz .LBB315_179
; %bb.178:
	v_and_b32_e32 v2, 0x400000, v3
	v_and_or_b32 v4, 0x3fffff, v3, v4
	s_delay_alu instid0(VALU_DEP_2) | instskip(NEXT) | instid1(VALU_DEP_2)
	v_cmp_ne_u32_e32 vcc_lo, 0, v2
	v_cmp_ne_u32_e64 s1, 0, v4
	v_lshrrev_b32_e32 v2, 23, v3
	s_and_b32 s1, vcc_lo, s1
	s_delay_alu instid0(SALU_CYCLE_1) | instskip(NEXT) | instid1(VALU_DEP_1)
	v_cndmask_b32_e64 v3, 0, 1, s1
	v_add_nc_u32_e32 v2, v2, v3
.LBB315_179:
	s_or_b32 exec_lo, exec_lo, s18
.LBB315_180:
	s_mov_b32 s1, 0
.LBB315_181:
	s_delay_alu instid0(SALU_CYCLE_1)
	s_and_not1_b32 vcc_lo, exec_lo, s1
	s_cbranch_vccnz .LBB315_185
; %bb.182:
	s_wait_loadcnt 0x0
	global_load_b32 v2, v[0:1], off
	s_mov_b32 s18, exec_lo
	s_wait_loadcnt 0x0
	v_cvt_f32_f16_e32 v3, v2
	v_mov_b32_e32 v2, 0xff
	s_delay_alu instid0(VALU_DEP_2) | instskip(NEXT) | instid1(VALU_DEP_1)
	v_bfe_u32 v4, v3, 23, 8
	v_cmpx_ne_u32_e32 0xff, v4
	s_cbranch_execz .LBB315_184
; %bb.183:
	v_and_b32_e32 v2, 0x400000, v3
	v_and_or_b32 v4, 0x3fffff, v3, v4
	s_delay_alu instid0(VALU_DEP_2) | instskip(NEXT) | instid1(VALU_DEP_2)
	v_cmp_ne_u32_e32 vcc_lo, 0, v2
	v_cmp_ne_u32_e64 s1, 0, v4
	v_lshrrev_b32_e32 v2, 23, v3
	s_and_b32 s1, vcc_lo, s1
	s_delay_alu instid0(SALU_CYCLE_1) | instskip(NEXT) | instid1(VALU_DEP_1)
	v_cndmask_b32_e64 v3, 0, 1, s1
	v_add_nc_u32_e32 v2, v2, v3
.LBB315_184:
	s_or_b32 exec_lo, exec_lo, s18
.LBB315_185:
	s_mov_b32 s1, 0
.LBB315_186:
	s_delay_alu instid0(SALU_CYCLE_1)
	s_and_not1_b32 vcc_lo, exec_lo, s1
	s_cbranch_vccnz .LBB315_203
; %bb.187:
	s_cmp_lt_i32 s2, 6
	s_cbranch_scc1 .LBB315_192
; %bb.188:
	s_cmp_gt_i32 s2, 6
	s_cbranch_scc0 .LBB315_193
; %bb.189:
	s_wait_loadcnt 0x0
	global_load_b64 v[2:3], v[0:1], off
	s_mov_b32 s18, exec_lo
	s_wait_loadcnt 0x0
	v_cvt_f32_f64_e32 v3, v[2:3]
	v_mov_b32_e32 v2, 0xff
	s_delay_alu instid0(VALU_DEP_2) | instskip(NEXT) | instid1(VALU_DEP_1)
	v_bfe_u32 v4, v3, 23, 8
	v_cmpx_ne_u32_e32 0xff, v4
	s_cbranch_execz .LBB315_191
; %bb.190:
	v_and_b32_e32 v2, 0x400000, v3
	v_and_or_b32 v4, 0x3fffff, v3, v4
	s_delay_alu instid0(VALU_DEP_2) | instskip(NEXT) | instid1(VALU_DEP_2)
	v_cmp_ne_u32_e32 vcc_lo, 0, v2
	v_cmp_ne_u32_e64 s1, 0, v4
	v_lshrrev_b32_e32 v2, 23, v3
	s_and_b32 s1, vcc_lo, s1
	s_delay_alu instid0(SALU_CYCLE_1) | instskip(NEXT) | instid1(VALU_DEP_1)
	v_cndmask_b32_e64 v3, 0, 1, s1
	v_add_nc_u32_e32 v2, v2, v3
.LBB315_191:
	s_or_b32 exec_lo, exec_lo, s18
	s_mov_b32 s1, 0
	s_branch .LBB315_194
.LBB315_192:
	s_mov_b32 s1, -1
                                        ; implicit-def: $vgpr2
	s_branch .LBB315_199
.LBB315_193:
	s_mov_b32 s1, -1
                                        ; implicit-def: $vgpr2
.LBB315_194:
	s_delay_alu instid0(SALU_CYCLE_1)
	s_and_not1_b32 vcc_lo, exec_lo, s1
	s_cbranch_vccnz .LBB315_198
; %bb.195:
	global_load_b32 v3, v[0:1], off
	s_wait_loadcnt 0x1
	v_mov_b32_e32 v2, 0xff
	s_mov_b32 s18, exec_lo
	s_wait_loadcnt 0x0
	v_bfe_u32 v4, v3, 23, 8
	s_delay_alu instid0(VALU_DEP_1)
	v_cmpx_ne_u32_e32 0xff, v4
	s_cbranch_execz .LBB315_197
; %bb.196:
	v_and_b32_e32 v2, 0x400000, v3
	v_and_or_b32 v4, 0x3fffff, v3, v4
	s_delay_alu instid0(VALU_DEP_2) | instskip(NEXT) | instid1(VALU_DEP_2)
	v_cmp_ne_u32_e32 vcc_lo, 0, v2
	v_cmp_ne_u32_e64 s1, 0, v4
	v_lshrrev_b32_e32 v2, 23, v3
	s_and_b32 s1, vcc_lo, s1
	s_delay_alu instid0(SALU_CYCLE_1) | instskip(NEXT) | instid1(VALU_DEP_1)
	v_cndmask_b32_e64 v3, 0, 1, s1
	v_add_nc_u32_e32 v2, v2, v3
.LBB315_197:
	s_or_b32 exec_lo, exec_lo, s18
.LBB315_198:
	s_mov_b32 s1, 0
.LBB315_199:
	s_delay_alu instid0(SALU_CYCLE_1)
	s_and_not1_b32 vcc_lo, exec_lo, s1
	s_cbranch_vccnz .LBB315_203
; %bb.200:
	s_wait_loadcnt 0x0
	global_load_u16 v2, v[0:1], off
	s_mov_b32 s18, exec_lo
	s_wait_loadcnt 0x0
	v_cvt_f32_f16_e32 v3, v2
	v_mov_b32_e32 v2, 0xff
	s_delay_alu instid0(VALU_DEP_2) | instskip(NEXT) | instid1(VALU_DEP_1)
	v_bfe_u32 v4, v3, 23, 8
	v_cmpx_ne_u32_e32 0xff, v4
	s_cbranch_execz .LBB315_202
; %bb.201:
	v_and_b32_e32 v2, 0x400000, v3
	v_and_or_b32 v4, 0x3fffff, v3, v4
	s_delay_alu instid0(VALU_DEP_2) | instskip(NEXT) | instid1(VALU_DEP_2)
	v_cmp_ne_u32_e32 vcc_lo, 0, v2
	v_cmp_ne_u32_e64 s1, 0, v4
	v_lshrrev_b32_e32 v2, 23, v3
	s_and_b32 s1, vcc_lo, s1
	s_delay_alu instid0(SALU_CYCLE_1) | instskip(NEXT) | instid1(VALU_DEP_1)
	v_cndmask_b32_e64 v3, 0, 1, s1
	v_add_nc_u32_e32 v2, v2, v3
.LBB315_202:
	s_or_b32 exec_lo, exec_lo, s18
.LBB315_203:
	s_cbranch_execnz .LBB315_233
.LBB315_204:
	s_cmp_lt_i32 s2, 2
	s_cbranch_scc1 .LBB315_210
; %bb.205:
	s_cmp_lt_i32 s2, 3
	s_cbranch_scc1 .LBB315_211
; %bb.206:
	s_cmp_gt_i32 s2, 3
	s_cbranch_scc0 .LBB315_212
; %bb.207:
	s_wait_loadcnt 0x0
	global_load_b64 v[2:3], v[0:1], off
	s_mov_b32 s18, exec_lo
	s_wait_loadcnt 0x0
	v_xor_b32_e32 v4, v2, v3
	v_cls_i32_e32 v5, v3
	s_delay_alu instid0(VALU_DEP_2) | instskip(NEXT) | instid1(VALU_DEP_1)
	v_ashrrev_i32_e32 v4, 31, v4
	v_add_nc_u32_e32 v4, 32, v4
	s_delay_alu instid0(VALU_DEP_1) | instskip(NEXT) | instid1(VALU_DEP_1)
	v_add_min_u32_e64 v4, v5, -1, v4
	v_lshlrev_b64_e32 v[2:3], v4, v[2:3]
	s_delay_alu instid0(VALU_DEP_1) | instskip(NEXT) | instid1(VALU_DEP_1)
	v_min_u32_e32 v2, 1, v2
	v_dual_sub_nc_u32 v3, 32, v4 :: v_dual_bitop2_b32 v2, v3, v2 bitop3:0x54
	s_delay_alu instid0(VALU_DEP_1) | instskip(NEXT) | instid1(VALU_DEP_1)
	v_cvt_f32_i32_e32 v2, v2
	v_ldexp_f32 v3, v2, v3
	v_mov_b32_e32 v2, 0xff
	s_delay_alu instid0(VALU_DEP_2) | instskip(NEXT) | instid1(VALU_DEP_1)
	v_bfe_u32 v4, v3, 23, 8
	v_cmpx_ne_u32_e32 0xff, v4
	s_cbranch_execz .LBB315_209
; %bb.208:
	v_and_b32_e32 v2, 0x400000, v3
	v_and_or_b32 v4, 0x3fffff, v3, v4
	s_delay_alu instid0(VALU_DEP_2) | instskip(NEXT) | instid1(VALU_DEP_2)
	v_cmp_ne_u32_e32 vcc_lo, 0, v2
	v_cmp_ne_u32_e64 s1, 0, v4
	v_lshrrev_b32_e32 v2, 23, v3
	s_and_b32 s1, vcc_lo, s1
	s_delay_alu instid0(SALU_CYCLE_1) | instskip(NEXT) | instid1(VALU_DEP_1)
	v_cndmask_b32_e64 v3, 0, 1, s1
	v_add_nc_u32_e32 v2, v2, v3
.LBB315_209:
	s_or_b32 exec_lo, exec_lo, s18
	s_mov_b32 s1, 0
	s_branch .LBB315_213
.LBB315_210:
	s_mov_b32 s1, -1
                                        ; implicit-def: $vgpr2
	s_branch .LBB315_223
.LBB315_211:
	s_mov_b32 s1, -1
                                        ; implicit-def: $vgpr2
	s_branch .LBB315_218
.LBB315_212:
	s_mov_b32 s1, -1
                                        ; implicit-def: $vgpr2
.LBB315_213:
	s_delay_alu instid0(SALU_CYCLE_1)
	s_and_not1_b32 vcc_lo, exec_lo, s1
	s_cbranch_vccnz .LBB315_217
; %bb.214:
	s_wait_loadcnt 0x0
	global_load_b32 v2, v[0:1], off
	s_mov_b32 s18, exec_lo
	s_wait_loadcnt 0x0
	v_cvt_f32_i32_e32 v3, v2
	v_mov_b32_e32 v2, 0xff
	s_delay_alu instid0(VALU_DEP_2) | instskip(NEXT) | instid1(VALU_DEP_1)
	v_bfe_u32 v4, v3, 23, 8
	v_cmpx_ne_u32_e32 0xff, v4
	s_cbranch_execz .LBB315_216
; %bb.215:
	v_and_b32_e32 v2, 0x400000, v3
	v_and_or_b32 v4, 0x3fffff, v3, v4
	s_delay_alu instid0(VALU_DEP_2) | instskip(NEXT) | instid1(VALU_DEP_2)
	v_cmp_ne_u32_e32 vcc_lo, 0, v2
	v_cmp_ne_u32_e64 s1, 0, v4
	v_lshrrev_b32_e32 v2, 23, v3
	s_and_b32 s1, vcc_lo, s1
	s_delay_alu instid0(SALU_CYCLE_1) | instskip(NEXT) | instid1(VALU_DEP_1)
	v_cndmask_b32_e64 v3, 0, 1, s1
	v_add_nc_u32_e32 v2, v2, v3
.LBB315_216:
	s_or_b32 exec_lo, exec_lo, s18
.LBB315_217:
	s_mov_b32 s1, 0
.LBB315_218:
	s_delay_alu instid0(SALU_CYCLE_1)
	s_and_not1_b32 vcc_lo, exec_lo, s1
	s_cbranch_vccnz .LBB315_222
; %bb.219:
	s_wait_loadcnt 0x0
	global_load_i16 v2, v[0:1], off
	s_mov_b32 s18, exec_lo
	s_wait_loadcnt 0x0
	v_cvt_f32_i32_e32 v3, v2
	v_mov_b32_e32 v2, 0xff
	s_delay_alu instid0(VALU_DEP_2) | instskip(NEXT) | instid1(VALU_DEP_1)
	v_bfe_u32 v4, v3, 23, 8
	v_cmpx_ne_u32_e32 0xff, v4
	s_cbranch_execz .LBB315_221
; %bb.220:
	v_and_b32_e32 v2, 0x400000, v3
	v_and_or_b32 v4, 0x3fffff, v3, v4
	s_delay_alu instid0(VALU_DEP_2) | instskip(NEXT) | instid1(VALU_DEP_2)
	v_cmp_ne_u32_e32 vcc_lo, 0, v2
	v_cmp_ne_u32_e64 s1, 0, v4
	v_lshrrev_b32_e32 v2, 23, v3
	s_and_b32 s1, vcc_lo, s1
	s_delay_alu instid0(SALU_CYCLE_1) | instskip(NEXT) | instid1(VALU_DEP_1)
	v_cndmask_b32_e64 v3, 0, 1, s1
	v_add_nc_u32_e32 v2, v2, v3
.LBB315_221:
	s_or_b32 exec_lo, exec_lo, s18
.LBB315_222:
	s_mov_b32 s1, 0
.LBB315_223:
	s_delay_alu instid0(SALU_CYCLE_1)
	s_and_not1_b32 vcc_lo, exec_lo, s1
	s_cbranch_vccnz .LBB315_233
; %bb.224:
	s_cmp_gt_i32 s2, 0
	s_cbranch_scc0 .LBB315_228
; %bb.225:
	s_wait_loadcnt 0x0
	global_load_i8 v2, v[0:1], off
	s_mov_b32 s2, exec_lo
	s_wait_loadcnt 0x0
	v_cvt_f32_i32_e32 v3, v2
	v_mov_b32_e32 v2, 0xff
	s_delay_alu instid0(VALU_DEP_2) | instskip(NEXT) | instid1(VALU_DEP_1)
	v_bfe_u32 v4, v3, 23, 8
	v_cmpx_ne_u32_e32 0xff, v4
	s_cbranch_execz .LBB315_227
; %bb.226:
	v_and_b32_e32 v2, 0x400000, v3
	v_and_or_b32 v4, 0x3fffff, v3, v4
	s_delay_alu instid0(VALU_DEP_2) | instskip(NEXT) | instid1(VALU_DEP_2)
	v_cmp_ne_u32_e32 vcc_lo, 0, v2
	v_cmp_ne_u32_e64 s1, 0, v4
	v_lshrrev_b32_e32 v2, 23, v3
	s_and_b32 s1, vcc_lo, s1
	s_delay_alu instid0(SALU_CYCLE_1) | instskip(NEXT) | instid1(VALU_DEP_1)
	v_cndmask_b32_e64 v3, 0, 1, s1
	v_add_nc_u32_e32 v2, v2, v3
.LBB315_227:
	s_or_b32 exec_lo, exec_lo, s2
	s_mov_b32 s1, 0
	s_branch .LBB315_229
.LBB315_228:
	s_mov_b32 s1, -1
                                        ; implicit-def: $vgpr2
.LBB315_229:
	s_delay_alu instid0(SALU_CYCLE_1)
	s_and_not1_b32 vcc_lo, exec_lo, s1
	s_cbranch_vccnz .LBB315_233
; %bb.230:
	global_load_u8 v0, v[0:1], off
	s_wait_loadcnt 0x1
	v_mov_b32_e32 v2, 0xff
	s_mov_b32 s2, exec_lo
	s_wait_loadcnt 0x0
	v_cvt_f32_ubyte0_e32 v1, v0
	s_delay_alu instid0(VALU_DEP_1) | instskip(NEXT) | instid1(VALU_DEP_1)
	v_lshrrev_b32_e32 v0, 23, v1
	v_cmpx_ne_u32_e32 0xff, v0
; %bb.231:
	v_and_b32_e32 v2, 0x400000, v1
	v_and_or_b32 v1, 0x3fffff, v1, v0
	s_delay_alu instid0(VALU_DEP_2) | instskip(NEXT) | instid1(VALU_DEP_2)
	v_cmp_ne_u32_e32 vcc_lo, 0, v2
	v_cmp_ne_u32_e64 s1, 0, v1
	s_and_b32 s1, vcc_lo, s1
	s_delay_alu instid0(SALU_CYCLE_1) | instskip(NEXT) | instid1(VALU_DEP_1)
	v_cndmask_b32_e64 v1, 0, 1, s1
	v_add_nc_u32_e32 v2, v0, v1
; %bb.232:
	s_or_b32 exec_lo, exec_lo, s2
.LBB315_233:
	s_branch .LBB315_13
.LBB315_234:
	s_mov_b32 s2, 0
	s_mov_b32 s20, 0
	s_branch .LBB315_463
.LBB315_235:
	s_mov_b32 s20, -1
.LBB315_236:
	s_mov_b32 s1, 0
                                        ; implicit-def: $vgpr3
.LBB315_237:
	s_and_b32 vcc_lo, exec_lo, s24
	s_cbranch_vccz .LBB315_313
; %bb.238:
	s_cmp_eq_u32 s18, 44
	s_cbranch_scc0 .LBB315_312
; %bb.239:
	global_load_u8 v3, v[0:1], off
	s_mov_b32 s1, -1
	s_mov_b32 s20, 0
	s_branch .LBB315_313
.LBB315_240:
	s_mov_b32 s26, -1
.LBB315_241:
	s_delay_alu instid0(SALU_CYCLE_1)
	s_and_b32 vcc_lo, exec_lo, s26
	s_cbranch_vccz .LBB315_246
; %bb.242:
	s_cmp_eq_u32 s24, 44
	s_mov_b32 s2, -1
	s_cbranch_scc0 .LBB315_246
; %bb.243:
	v_cndmask_b32_e64 v4, 0, 1.0, s1
	s_mov_b32 s25, exec_lo
	s_wait_xcnt 0x0
	s_delay_alu instid0(VALU_DEP_1) | instskip(NEXT) | instid1(VALU_DEP_1)
	v_dual_mov_b32 v3, 0xff :: v_dual_lshrrev_b32 v2, 23, v4
	v_cmpx_ne_u32_e32 0xff, v2
; %bb.244:
	v_and_b32_e32 v3, 0x400000, v4
	v_and_or_b32 v4, 0x3fffff, v4, v2
	s_delay_alu instid0(VALU_DEP_2) | instskip(NEXT) | instid1(VALU_DEP_2)
	v_cmp_ne_u32_e32 vcc_lo, 0, v3
	v_cmp_ne_u32_e64 s2, 0, v4
	s_and_b32 s2, vcc_lo, s2
	s_delay_alu instid0(SALU_CYCLE_1) | instskip(NEXT) | instid1(VALU_DEP_1)
	v_cndmask_b32_e64 v3, 0, 1, s2
	v_add_nc_u32_e32 v3, v2, v3
; %bb.245:
	s_or_b32 exec_lo, exec_lo, s25
	s_mov_b32 s25, -1
	s_mov_b32 s2, 0
	global_store_b8 v[0:1], v3, off
.LBB315_246:
	s_mov_b32 s26, 0
.LBB315_247:
	s_delay_alu instid0(SALU_CYCLE_1)
	s_and_b32 vcc_lo, exec_lo, s26
	s_cbranch_vccz .LBB315_250
; %bb.248:
	s_cmp_eq_u32 s24, 29
	s_mov_b32 s2, -1
	s_cbranch_scc0 .LBB315_250
; %bb.249:
	s_mov_b32 s2, 0
	s_wait_xcnt 0x0
	v_cndmask_b32_e64 v2, 0, 1, s1
	v_mov_b32_e32 v3, s2
	s_mov_b32 s25, -1
	s_mov_b32 s26, 0
	global_store_b64 v[0:1], v[2:3], off
	s_branch .LBB315_251
.LBB315_250:
	s_mov_b32 s26, 0
.LBB315_251:
	s_delay_alu instid0(SALU_CYCLE_1)
	s_and_b32 vcc_lo, exec_lo, s26
	s_cbranch_vccz .LBB315_267
; %bb.252:
	s_cmp_lt_i32 s24, 27
	s_mov_b32 s25, -1
	s_cbranch_scc1 .LBB315_258
; %bb.253:
	s_cmp_gt_i32 s24, 27
	s_cbranch_scc0 .LBB315_255
; %bb.254:
	s_wait_xcnt 0x0
	v_cndmask_b32_e64 v2, 0, 1, s1
	s_mov_b32 s25, 0
	global_store_b32 v[0:1], v2, off
.LBB315_255:
	s_and_not1_b32 vcc_lo, exec_lo, s25
	s_cbranch_vccnz .LBB315_257
; %bb.256:
	s_wait_xcnt 0x0
	v_cndmask_b32_e64 v2, 0, 1, s1
	global_store_b16 v[0:1], v2, off
.LBB315_257:
	s_mov_b32 s25, 0
.LBB315_258:
	s_delay_alu instid0(SALU_CYCLE_1)
	s_and_not1_b32 vcc_lo, exec_lo, s25
	s_cbranch_vccnz .LBB315_266
; %bb.259:
	s_wait_xcnt 0x0
	v_cndmask_b32_e64 v3, 0, 1.0, s1
	v_mov_b32_e32 v4, 0x80
	s_mov_b32 s25, exec_lo
	s_delay_alu instid0(VALU_DEP_2)
	v_cmpx_gt_u32_e32 0x43800000, v3
	s_cbranch_execz .LBB315_265
; %bb.260:
	s_mov_b32 s26, 0
	s_mov_b32 s27, exec_lo
                                        ; implicit-def: $vgpr2
	v_cmpx_lt_u32_e32 0x3bffffff, v3
	s_xor_b32 s27, exec_lo, s27
	s_cbranch_execz .LBB315_500
; %bb.261:
	v_bfe_u32 v2, v3, 20, 1
	s_mov_b32 s26, exec_lo
	s_delay_alu instid0(VALU_DEP_1) | instskip(NEXT) | instid1(VALU_DEP_1)
	v_add3_u32 v2, v3, v2, 0x487ffff
                                        ; implicit-def: $vgpr3
	v_lshrrev_b32_e32 v2, 20, v2
	s_and_not1_saveexec_b32 s27, s27
	s_cbranch_execnz .LBB315_501
.LBB315_262:
	s_or_b32 exec_lo, exec_lo, s27
	v_mov_b32_e32 v4, 0
	s_and_saveexec_b32 s27, s26
.LBB315_263:
	v_mov_b32_e32 v4, v2
.LBB315_264:
	s_or_b32 exec_lo, exec_lo, s27
.LBB315_265:
	s_delay_alu instid0(SALU_CYCLE_1)
	s_or_b32 exec_lo, exec_lo, s25
	global_store_b8 v[0:1], v4, off
.LBB315_266:
	s_mov_b32 s25, -1
.LBB315_267:
	s_mov_b32 s26, 0
.LBB315_268:
	s_delay_alu instid0(SALU_CYCLE_1)
	s_and_b32 vcc_lo, exec_lo, s26
	s_cbranch_vccz .LBB315_309
; %bb.269:
	s_cmp_gt_i32 s24, 22
	s_mov_b32 s26, -1
	s_cbranch_scc0 .LBB315_301
; %bb.270:
	s_cmp_lt_i32 s24, 24
	s_mov_b32 s25, -1
	s_cbranch_scc1 .LBB315_290
; %bb.271:
	s_cmp_gt_i32 s24, 24
	s_cbranch_scc0 .LBB315_279
; %bb.272:
	s_wait_xcnt 0x0
	v_cndmask_b32_e64 v3, 0, 1.0, s1
	v_mov_b32_e32 v4, 0x80
	s_mov_b32 s25, exec_lo
	s_delay_alu instid0(VALU_DEP_2)
	v_cmpx_gt_u32_e32 0x47800000, v3
	s_cbranch_execz .LBB315_278
; %bb.273:
	s_mov_b32 s26, 0
	s_mov_b32 s27, exec_lo
                                        ; implicit-def: $vgpr2
	v_cmpx_lt_u32_e32 0x37ffffff, v3
	s_xor_b32 s27, exec_lo, s27
	s_cbranch_execz .LBB315_659
; %bb.274:
	v_bfe_u32 v2, v3, 21, 1
	s_mov_b32 s26, exec_lo
	s_delay_alu instid0(VALU_DEP_1) | instskip(NEXT) | instid1(VALU_DEP_1)
	v_add3_u32 v2, v3, v2, 0x88fffff
                                        ; implicit-def: $vgpr3
	v_lshrrev_b32_e32 v2, 21, v2
	s_and_not1_saveexec_b32 s27, s27
	s_cbranch_execnz .LBB315_660
.LBB315_275:
	s_or_b32 exec_lo, exec_lo, s27
	v_mov_b32_e32 v4, 0
	s_and_saveexec_b32 s27, s26
.LBB315_276:
	v_mov_b32_e32 v4, v2
.LBB315_277:
	s_or_b32 exec_lo, exec_lo, s27
.LBB315_278:
	s_delay_alu instid0(SALU_CYCLE_1)
	s_or_b32 exec_lo, exec_lo, s25
	s_mov_b32 s25, 0
	global_store_b8 v[0:1], v4, off
.LBB315_279:
	s_and_b32 vcc_lo, exec_lo, s25
	s_cbranch_vccz .LBB315_289
; %bb.280:
	s_wait_xcnt 0x0
	v_cndmask_b32_e64 v3, 0, 1.0, s1
	s_mov_b32 s25, exec_lo
                                        ; implicit-def: $vgpr2
	s_delay_alu instid0(VALU_DEP_1)
	v_cmpx_gt_u32_e32 0x43f00000, v3
	s_xor_b32 s25, exec_lo, s25
	s_cbranch_execz .LBB315_286
; %bb.281:
	s_mov_b32 s26, exec_lo
                                        ; implicit-def: $vgpr2
	v_cmpx_lt_u32_e32 0x3c7fffff, v3
	s_xor_b32 s26, exec_lo, s26
; %bb.282:
	v_bfe_u32 v2, v3, 20, 1
	s_delay_alu instid0(VALU_DEP_1) | instskip(NEXT) | instid1(VALU_DEP_1)
	v_add3_u32 v2, v3, v2, 0x407ffff
	v_and_b32_e32 v3, 0xff00000, v2
	v_lshrrev_b32_e32 v2, 20, v2
	s_delay_alu instid0(VALU_DEP_2) | instskip(NEXT) | instid1(VALU_DEP_2)
	v_cmp_ne_u32_e32 vcc_lo, 0x7f00000, v3
                                        ; implicit-def: $vgpr3
	v_cndmask_b32_e32 v2, 0x7e, v2, vcc_lo
; %bb.283:
	s_and_not1_saveexec_b32 s26, s26
; %bb.284:
	v_add_f32_e32 v2, 0x46800000, v3
; %bb.285:
	s_or_b32 exec_lo, exec_lo, s26
                                        ; implicit-def: $vgpr3
.LBB315_286:
	s_and_not1_saveexec_b32 s25, s25
; %bb.287:
	v_mov_b32_e32 v2, 0x7f
	v_cmp_lt_u32_e32 vcc_lo, 0x7f800000, v3
	s_delay_alu instid0(VALU_DEP_2)
	v_cndmask_b32_e32 v2, 0x7e, v2, vcc_lo
; %bb.288:
	s_or_b32 exec_lo, exec_lo, s25
	global_store_b8 v[0:1], v2, off
.LBB315_289:
	s_mov_b32 s25, 0
.LBB315_290:
	s_delay_alu instid0(SALU_CYCLE_1)
	s_and_not1_b32 vcc_lo, exec_lo, s25
	s_cbranch_vccnz .LBB315_300
; %bb.291:
	s_wait_xcnt 0x0
	v_cndmask_b32_e64 v3, 0, 1.0, s1
	s_mov_b32 s25, exec_lo
                                        ; implicit-def: $vgpr2
	s_delay_alu instid0(VALU_DEP_1)
	v_cmpx_gt_u32_e32 0x47800000, v3
	s_xor_b32 s25, exec_lo, s25
	s_cbranch_execz .LBB315_297
; %bb.292:
	s_mov_b32 s26, exec_lo
                                        ; implicit-def: $vgpr2
	v_cmpx_lt_u32_e32 0x387fffff, v3
	s_xor_b32 s26, exec_lo, s26
; %bb.293:
	v_bfe_u32 v2, v3, 21, 1
	s_delay_alu instid0(VALU_DEP_1) | instskip(NEXT) | instid1(VALU_DEP_1)
	v_add3_u32 v2, v3, v2, 0x80fffff
                                        ; implicit-def: $vgpr3
	v_lshrrev_b32_e32 v2, 21, v2
; %bb.294:
	s_and_not1_saveexec_b32 s26, s26
; %bb.295:
	v_add_f32_e32 v2, 0x43000000, v3
; %bb.296:
	s_or_b32 exec_lo, exec_lo, s26
                                        ; implicit-def: $vgpr3
.LBB315_297:
	s_and_not1_saveexec_b32 s25, s25
; %bb.298:
	v_mov_b32_e32 v2, 0x7f
	v_cmp_lt_u32_e32 vcc_lo, 0x7f800000, v3
	s_delay_alu instid0(VALU_DEP_2)
	v_cndmask_b32_e32 v2, 0x7c, v2, vcc_lo
; %bb.299:
	s_or_b32 exec_lo, exec_lo, s25
	global_store_b8 v[0:1], v2, off
.LBB315_300:
	s_mov_b32 s26, 0
	s_mov_b32 s25, -1
.LBB315_301:
	s_and_not1_b32 vcc_lo, exec_lo, s26
	s_cbranch_vccnz .LBB315_309
; %bb.302:
	s_cmp_gt_i32 s24, 14
	s_mov_b32 s26, -1
	s_cbranch_scc0 .LBB315_306
; %bb.303:
	s_cmp_eq_u32 s24, 15
	s_mov_b32 s2, -1
	s_cbranch_scc0 .LBB315_305
; %bb.304:
	s_wait_xcnt 0x0
	v_cndmask_b32_e64 v2, 0, 1.0, s1
	s_mov_b32 s25, -1
	s_mov_b32 s2, 0
	s_delay_alu instid0(VALU_DEP_1) | instskip(NEXT) | instid1(VALU_DEP_1)
	v_bfe_u32 v3, v2, 16, 1
	v_add3_u32 v2, v2, v3, 0x7fff
	global_store_d16_hi_b16 v[0:1], v2, off
.LBB315_305:
	s_mov_b32 s26, 0
.LBB315_306:
	s_delay_alu instid0(SALU_CYCLE_1)
	s_and_b32 vcc_lo, exec_lo, s26
	s_cbranch_vccz .LBB315_309
; %bb.307:
	s_cmp_eq_u32 s24, 11
	s_mov_b32 s2, -1
	s_cbranch_scc0 .LBB315_309
; %bb.308:
	s_wait_xcnt 0x0
	v_cndmask_b32_e64 v2, 0, 1, s1
	s_mov_b32 s25, -1
	s_mov_b32 s2, 0
	global_store_b8 v[0:1], v2, off
.LBB315_309:
.LBB315_310:
	s_and_not1_b32 vcc_lo, exec_lo, s25
	s_cbranch_vccnz .LBB315_463
.LBB315_311:
	v_add_nc_u32_e32 v6, 0x80, v6
	s_mov_b32 s1, -1
	s_branch .LBB315_464
.LBB315_312:
	s_mov_b32 s20, -1
                                        ; implicit-def: $vgpr3
.LBB315_313:
	s_mov_b32 s24, 0
.LBB315_314:
	s_delay_alu instid0(SALU_CYCLE_1)
	s_and_b32 vcc_lo, exec_lo, s24
	s_cbranch_vccz .LBB315_320
; %bb.315:
	s_cmp_eq_u32 s18, 29
	s_cbranch_scc0 .LBB315_319
; %bb.316:
	global_load_b64 v[4:5], v[0:1], off
	s_mov_b32 s20, exec_lo
	s_wait_loadcnt 0x0
	v_clz_i32_u32_e32 v3, v5
	s_delay_alu instid0(VALU_DEP_1) | instskip(NEXT) | instid1(VALU_DEP_1)
	v_min_u32_e32 v3, 32, v3
	v_lshlrev_b64_e32 v[4:5], v3, v[4:5]
	v_sub_nc_u32_e32 v3, 32, v3
	s_delay_alu instid0(VALU_DEP_2) | instskip(NEXT) | instid1(VALU_DEP_1)
	v_min_u32_e32 v4, 1, v4
	v_or_b32_e32 v4, v5, v4
	s_delay_alu instid0(VALU_DEP_1) | instskip(NEXT) | instid1(VALU_DEP_1)
	v_cvt_f32_u32_e32 v4, v4
	v_ldexp_f32 v5, v4, v3
	s_delay_alu instid0(VALU_DEP_1) | instskip(NEXT) | instid1(VALU_DEP_1)
	v_dual_mov_b32 v3, 0xff :: v_dual_lshrrev_b32 v4, 23, v5
	v_cmpx_ne_u32_e32 0xff, v4
; %bb.317:
	v_and_b32_e32 v3, 0x400000, v5
	v_and_or_b32 v5, 0x3fffff, v5, v4
	s_delay_alu instid0(VALU_DEP_2) | instskip(NEXT) | instid1(VALU_DEP_2)
	v_cmp_ne_u32_e32 vcc_lo, 0, v3
	v_cmp_ne_u32_e64 s1, 0, v5
	s_and_b32 s1, vcc_lo, s1
	s_delay_alu instid0(SALU_CYCLE_1) | instskip(NEXT) | instid1(VALU_DEP_1)
	v_cndmask_b32_e64 v3, 0, 1, s1
	v_add_nc_u32_e32 v3, v4, v3
; %bb.318:
	s_or_b32 exec_lo, exec_lo, s20
	s_mov_b32 s1, -1
	s_mov_b32 s20, 0
	s_branch .LBB315_320
.LBB315_319:
	s_mov_b32 s20, -1
                                        ; implicit-def: $vgpr3
.LBB315_320:
	s_mov_b32 s24, 0
.LBB315_321:
	s_delay_alu instid0(SALU_CYCLE_1)
	s_and_b32 vcc_lo, exec_lo, s24
	s_cbranch_vccz .LBB315_347
; %bb.322:
	s_cmp_lt_i32 s18, 27
	s_cbranch_scc1 .LBB315_327
; %bb.323:
	s_cmp_gt_i32 s18, 27
	s_cbranch_scc0 .LBB315_328
; %bb.324:
	s_wait_loadcnt 0x0
	global_load_b32 v3, v[0:1], off
	s_mov_b32 s24, exec_lo
	s_wait_loadcnt 0x0
	v_cvt_f32_u32_e32 v5, v3
	s_delay_alu instid0(VALU_DEP_1) | instskip(NEXT) | instid1(VALU_DEP_1)
	v_dual_mov_b32 v3, 0xff :: v_dual_lshrrev_b32 v4, 23, v5
	v_cmpx_ne_u32_e32 0xff, v4
; %bb.325:
	v_and_b32_e32 v3, 0x400000, v5
	v_and_or_b32 v5, 0x3fffff, v5, v4
	s_delay_alu instid0(VALU_DEP_2) | instskip(NEXT) | instid1(VALU_DEP_2)
	v_cmp_ne_u32_e32 vcc_lo, 0, v3
	v_cmp_ne_u32_e64 s1, 0, v5
	s_and_b32 s1, vcc_lo, s1
	s_delay_alu instid0(SALU_CYCLE_1) | instskip(NEXT) | instid1(VALU_DEP_1)
	v_cndmask_b32_e64 v3, 0, 1, s1
	v_add_nc_u32_e32 v3, v4, v3
; %bb.326:
	s_or_b32 exec_lo, exec_lo, s24
	s_mov_b32 s1, 0
	s_branch .LBB315_329
.LBB315_327:
	s_mov_b32 s1, -1
                                        ; implicit-def: $vgpr3
	s_branch .LBB315_334
.LBB315_328:
	s_mov_b32 s1, -1
                                        ; implicit-def: $vgpr3
.LBB315_329:
	s_delay_alu instid0(SALU_CYCLE_1)
	s_and_not1_b32 vcc_lo, exec_lo, s1
	s_cbranch_vccnz .LBB315_333
; %bb.330:
	s_wait_loadcnt 0x0
	global_load_u16 v3, v[0:1], off
	s_mov_b32 s24, exec_lo
	s_wait_loadcnt 0x0
	v_cvt_f32_u32_e32 v5, v3
	s_delay_alu instid0(VALU_DEP_1) | instskip(NEXT) | instid1(VALU_DEP_1)
	v_dual_mov_b32 v3, 0xff :: v_dual_lshrrev_b32 v4, 23, v5
	v_cmpx_ne_u32_e32 0xff, v4
; %bb.331:
	v_and_b32_e32 v3, 0x400000, v5
	v_and_or_b32 v5, 0x3fffff, v5, v4
	s_delay_alu instid0(VALU_DEP_2) | instskip(NEXT) | instid1(VALU_DEP_2)
	v_cmp_ne_u32_e32 vcc_lo, 0, v3
	v_cmp_ne_u32_e64 s1, 0, v5
	s_and_b32 s1, vcc_lo, s1
	s_delay_alu instid0(SALU_CYCLE_1) | instskip(NEXT) | instid1(VALU_DEP_1)
	v_cndmask_b32_e64 v3, 0, 1, s1
	v_add_nc_u32_e32 v3, v4, v3
; %bb.332:
	s_or_b32 exec_lo, exec_lo, s24
.LBB315_333:
	s_mov_b32 s1, 0
.LBB315_334:
	s_delay_alu instid0(SALU_CYCLE_1)
	s_and_not1_b32 vcc_lo, exec_lo, s1
	s_cbranch_vccnz .LBB315_346
; %bb.335:
	s_wait_loadcnt 0x0
	global_load_u8 v3, v[0:1], off
	s_mov_b32 s1, 0
	s_mov_b32 s24, exec_lo
	s_wait_loadcnt 0x0
	v_cmpx_lt_i16_e32 0x7f, v3
	s_xor_b32 s24, exec_lo, s24
	s_cbranch_execz .LBB315_339
; %bb.336:
	s_mov_b32 s1, -1
	s_mov_b32 s25, exec_lo
	v_cmpx_eq_u16_e32 0x80, v3
; %bb.337:
	s_xor_b32 s1, exec_lo, -1
; %bb.338:
	s_or_b32 exec_lo, exec_lo, s25
	s_delay_alu instid0(SALU_CYCLE_1)
	s_and_b32 s1, s1, exec_lo
.LBB315_339:
	s_or_saveexec_b32 s24, s24
	v_mov_b32_e32 v4, 0x7f800001
	v_and_b32_e32 v5, 0xffff, v3
	s_xor_b32 exec_lo, exec_lo, s24
; %bb.340:
	v_cmp_ne_u16_e32 vcc_lo, 0, v3
	s_delay_alu instid0(VALU_DEP_2) | instskip(SKIP_2) | instid1(SALU_CYCLE_1)
	v_mov_b32_e32 v4, v5
	s_and_not1_b32 s1, s1, exec_lo
	s_and_b32 s25, vcc_lo, exec_lo
	s_or_b32 s1, s1, s25
; %bb.341:
	s_or_b32 exec_lo, exec_lo, s24
	s_and_saveexec_b32 s24, s1
	s_cbranch_execz .LBB315_343
; %bb.342:
	v_and_b32_e32 v3, 7, v5
	s_delay_alu instid0(VALU_DEP_1) | instskip(NEXT) | instid1(VALU_DEP_1)
	v_clz_i32_u32_e32 v4, v3
	v_min_u32_e32 v4, 32, v4
	s_delay_alu instid0(VALU_DEP_1) | instskip(NEXT) | instid1(VALU_DEP_1)
	v_subrev_nc_u32_e32 v7, 28, v4
	v_lshlrev_b32_e32 v7, v7, v5
	v_bfe_u32 v5, v5, 3, 4
	s_delay_alu instid0(VALU_DEP_2) | instskip(NEXT) | instid1(VALU_DEP_2)
	v_dual_sub_nc_u32 v4, 29, v4 :: v_dual_bitop2_b32 v7, 7, v7 bitop3:0x40
	v_cmp_eq_u32_e32 vcc_lo, 0, v5
	s_delay_alu instid0(VALU_DEP_2) | instskip(NEXT) | instid1(VALU_DEP_1)
	v_dual_cndmask_b32 v4, v5, v4 :: v_dual_cndmask_b32 v3, v3, v7
	v_lshlrev_b32_e32 v3, 20, v3
	s_delay_alu instid0(VALU_DEP_1) | instskip(NEXT) | instid1(VALU_DEP_1)
	v_lshl_or_b32 v3, v4, 23, v3
	v_add_nc_u32_e32 v4, 0x3b800000, v3
.LBB315_343:
	s_or_b32 exec_lo, exec_lo, s24
	s_delay_alu instid0(VALU_DEP_1) | instskip(SKIP_2) | instid1(VALU_DEP_2)
	v_lshrrev_b32_e32 v5, 23, v4
	v_mov_b32_e32 v3, 0xff
	s_mov_b32 s24, exec_lo
	v_cmpx_ne_u32_e32 0xff, v5
; %bb.344:
	v_and_b32_e32 v3, 0x400000, v4
	v_and_or_b32 v4, 0x3fffff, v4, v5
	s_delay_alu instid0(VALU_DEP_2) | instskip(NEXT) | instid1(VALU_DEP_2)
	v_cmp_ne_u32_e32 vcc_lo, 0, v3
	v_cmp_ne_u32_e64 s1, 0, v4
	s_and_b32 s1, vcc_lo, s1
	s_delay_alu instid0(SALU_CYCLE_1) | instskip(NEXT) | instid1(VALU_DEP_1)
	v_cndmask_b32_e64 v3, 0, 1, s1
	v_add_nc_u32_e32 v3, v5, v3
; %bb.345:
	s_or_b32 exec_lo, exec_lo, s24
.LBB315_346:
	s_mov_b32 s1, -1
.LBB315_347:
	s_mov_b32 s24, 0
.LBB315_348:
	s_delay_alu instid0(SALU_CYCLE_1)
	s_and_b32 vcc_lo, exec_lo, s24
	s_cbranch_vccz .LBB315_391
; %bb.349:
	s_cmp_gt_i32 s18, 22
	s_cbranch_scc0 .LBB315_363
; %bb.350:
	s_cmp_lt_i32 s18, 24
	s_cbranch_scc1 .LBB315_364
; %bb.351:
	s_cmp_gt_i32 s18, 24
	s_cbranch_scc0 .LBB315_365
; %bb.352:
	s_wait_loadcnt 0x0
	global_load_u8 v3, v[0:1], off
	s_mov_b32 s1, 0
	s_mov_b32 s24, exec_lo
	s_wait_loadcnt 0x0
	v_cmpx_lt_i16_e32 0x7f, v3
	s_xor_b32 s24, exec_lo, s24
	s_cbranch_execz .LBB315_356
; %bb.353:
	s_mov_b32 s1, -1
	s_mov_b32 s25, exec_lo
	v_cmpx_eq_u16_e32 0x80, v3
; %bb.354:
	s_xor_b32 s1, exec_lo, -1
; %bb.355:
	s_or_b32 exec_lo, exec_lo, s25
	s_delay_alu instid0(SALU_CYCLE_1)
	s_and_b32 s1, s1, exec_lo
.LBB315_356:
	s_or_saveexec_b32 s24, s24
	v_mov_b32_e32 v4, 0x7f800001
	v_and_b32_e32 v5, 0xffff, v3
	s_xor_b32 exec_lo, exec_lo, s24
; %bb.357:
	v_cmp_ne_u16_e32 vcc_lo, 0, v3
	s_delay_alu instid0(VALU_DEP_2) | instskip(SKIP_2) | instid1(SALU_CYCLE_1)
	v_mov_b32_e32 v4, v5
	s_and_not1_b32 s1, s1, exec_lo
	s_and_b32 s25, vcc_lo, exec_lo
	s_or_b32 s1, s1, s25
; %bb.358:
	s_or_b32 exec_lo, exec_lo, s24
	s_and_saveexec_b32 s24, s1
	s_cbranch_execz .LBB315_360
; %bb.359:
	v_and_b32_e32 v3, 3, v5
	s_delay_alu instid0(VALU_DEP_1) | instskip(NEXT) | instid1(VALU_DEP_1)
	v_clz_i32_u32_e32 v4, v3
	v_min_u32_e32 v4, 32, v4
	s_delay_alu instid0(VALU_DEP_1) | instskip(NEXT) | instid1(VALU_DEP_1)
	v_subrev_nc_u32_e32 v7, 29, v4
	v_lshlrev_b32_e32 v7, v7, v5
	v_bfe_u32 v5, v5, 2, 5
	s_delay_alu instid0(VALU_DEP_2) | instskip(NEXT) | instid1(VALU_DEP_2)
	v_dual_sub_nc_u32 v4, 30, v4 :: v_dual_bitop2_b32 v7, 3, v7 bitop3:0x40
	v_cmp_eq_u32_e32 vcc_lo, 0, v5
	s_delay_alu instid0(VALU_DEP_2) | instskip(NEXT) | instid1(VALU_DEP_1)
	v_dual_cndmask_b32 v4, v5, v4 :: v_dual_cndmask_b32 v3, v3, v7
	v_lshlrev_b32_e32 v3, 21, v3
	s_delay_alu instid0(VALU_DEP_1) | instskip(NEXT) | instid1(VALU_DEP_1)
	v_lshl_or_b32 v3, v4, 23, v3
	v_add_nc_u32_e32 v4, 0x37800000, v3
.LBB315_360:
	s_or_b32 exec_lo, exec_lo, s24
	s_delay_alu instid0(VALU_DEP_1) | instskip(SKIP_2) | instid1(VALU_DEP_2)
	v_lshrrev_b32_e32 v5, 23, v4
	v_mov_b32_e32 v3, 0xff
	s_mov_b32 s24, exec_lo
	v_cmpx_ne_u32_e32 0xff, v5
; %bb.361:
	v_and_b32_e32 v3, 0x400000, v4
	v_and_or_b32 v4, 0x3fffff, v4, v5
	s_delay_alu instid0(VALU_DEP_2) | instskip(NEXT) | instid1(VALU_DEP_2)
	v_cmp_ne_u32_e32 vcc_lo, 0, v3
	v_cmp_ne_u32_e64 s1, 0, v4
	s_and_b32 s1, vcc_lo, s1
	s_delay_alu instid0(SALU_CYCLE_1) | instskip(NEXT) | instid1(VALU_DEP_1)
	v_cndmask_b32_e64 v3, 0, 1, s1
	v_add_nc_u32_e32 v3, v5, v3
; %bb.362:
	s_or_b32 exec_lo, exec_lo, s24
	s_mov_b32 s1, 0
	s_branch .LBB315_366
.LBB315_363:
	s_mov_b32 s24, -1
                                        ; implicit-def: $vgpr3
	s_branch .LBB315_376
.LBB315_364:
	s_mov_b32 s1, -1
                                        ; implicit-def: $vgpr3
	s_branch .LBB315_371
.LBB315_365:
	s_mov_b32 s1, -1
                                        ; implicit-def: $vgpr3
.LBB315_366:
	s_delay_alu instid0(SALU_CYCLE_1)
	s_and_b32 vcc_lo, exec_lo, s1
	s_cbranch_vccz .LBB315_370
; %bb.367:
	s_wait_loadcnt 0x0
	global_load_u8 v3, v[0:1], off
	s_mov_b32 s24, exec_lo
	s_wait_loadcnt 0x0
	v_lshlrev_b32_e32 v3, 24, v3
	s_delay_alu instid0(VALU_DEP_1) | instskip(NEXT) | instid1(VALU_DEP_1)
	v_and_b32_e32 v3, 0x7f000000, v3
	v_clz_i32_u32_e32 v4, v3
	v_add_nc_u32_e32 v7, 0x1000000, v3
	v_cmp_ne_u32_e32 vcc_lo, 0, v3
	s_delay_alu instid0(VALU_DEP_3) | instskip(NEXT) | instid1(VALU_DEP_1)
	v_min_u32_e32 v4, 32, v4
	v_sub_nc_u32_e64 v4, v4, 4 clamp
	s_delay_alu instid0(VALU_DEP_1) | instskip(SKIP_1) | instid1(VALU_DEP_2)
	v_dual_lshlrev_b32 v5, v4, v3 :: v_dual_lshlrev_b32 v4, 23, v4
	v_mov_b32_e32 v3, 0xff
	v_lshrrev_b32_e32 v5, 4, v5
	s_delay_alu instid0(VALU_DEP_1) | instskip(NEXT) | instid1(VALU_DEP_1)
	v_dual_sub_nc_u32 v4, v5, v4 :: v_dual_ashrrev_i32 v5, 8, v7
	v_add_nc_u32_e32 v4, 0x3c000000, v4
	s_delay_alu instid0(VALU_DEP_1) | instskip(NEXT) | instid1(VALU_DEP_1)
	v_and_or_b32 v4, 0x7f800000, v5, v4
	v_cndmask_b32_e32 v5, 0, v4, vcc_lo
	s_delay_alu instid0(VALU_DEP_1) | instskip(NEXT) | instid1(VALU_DEP_1)
	v_lshrrev_b32_e32 v4, 23, v5
	v_cmpx_ne_u32_e32 0xff, v4
; %bb.368:
	v_and_b32_e32 v3, 0x400000, v5
	v_and_or_b32 v5, 0x3fffff, v5, v4
	s_delay_alu instid0(VALU_DEP_2) | instskip(NEXT) | instid1(VALU_DEP_2)
	v_cmp_ne_u32_e32 vcc_lo, 0, v3
	v_cmp_ne_u32_e64 s1, 0, v5
	s_and_b32 s1, vcc_lo, s1
	s_delay_alu instid0(SALU_CYCLE_1) | instskip(NEXT) | instid1(VALU_DEP_1)
	v_cndmask_b32_e64 v3, 0, 1, s1
	v_add_nc_u32_e32 v3, v4, v3
; %bb.369:
	s_or_b32 exec_lo, exec_lo, s24
.LBB315_370:
	s_mov_b32 s1, 0
.LBB315_371:
	s_delay_alu instid0(SALU_CYCLE_1)
	s_and_not1_b32 vcc_lo, exec_lo, s1
	s_cbranch_vccnz .LBB315_375
; %bb.372:
	s_wait_loadcnt 0x0
	global_load_u8 v3, v[0:1], off
	s_mov_b32 s24, exec_lo
	s_wait_loadcnt 0x0
	v_dual_lshlrev_b32 v4, 25, v3 :: v_dual_lshlrev_b32 v3, 8, v3
	s_delay_alu instid0(VALU_DEP_1) | instskip(NEXT) | instid1(VALU_DEP_2)
	v_cmp_gt_u32_e32 vcc_lo, 0x8000000, v4
	v_and_or_b32 v3, 0x7f00, v3, 0.5
	s_delay_alu instid0(VALU_DEP_1) | instskip(NEXT) | instid1(VALU_DEP_1)
	v_dual_lshrrev_b32 v5, 4, v4 :: v_dual_add_f32 v3, -0.5, v3
	v_or_b32_e32 v5, 0x70000000, v5
	s_delay_alu instid0(VALU_DEP_1) | instskip(NEXT) | instid1(VALU_DEP_1)
	v_mul_f32_e32 v5, 0x7800000, v5
	v_dual_cndmask_b32 v4, v5, v3 :: v_dual_mov_b32 v3, 0xff
	s_delay_alu instid0(VALU_DEP_1) | instskip(NEXT) | instid1(VALU_DEP_1)
	v_bfe_u32 v5, v4, 23, 8
	v_cmpx_ne_u32_e32 0xff, v5
	s_cbranch_execz .LBB315_374
; %bb.373:
	v_and_b32_e32 v3, 0x400000, v4
	v_and_or_b32 v5, 0x3fffff, v4, v5
	s_delay_alu instid0(VALU_DEP_2) | instskip(NEXT) | instid1(VALU_DEP_2)
	v_cmp_ne_u32_e32 vcc_lo, 0, v3
	v_cmp_ne_u32_e64 s1, 0, v5
	v_lshrrev_b32_e32 v3, 23, v4
	s_and_b32 s1, vcc_lo, s1
	s_delay_alu instid0(SALU_CYCLE_1) | instskip(NEXT) | instid1(VALU_DEP_1)
	v_cndmask_b32_e64 v4, 0, 1, s1
	v_add_nc_u32_e32 v3, v3, v4
.LBB315_374:
	s_or_b32 exec_lo, exec_lo, s24
.LBB315_375:
	s_mov_b32 s24, 0
	s_mov_b32 s1, -1
.LBB315_376:
	s_and_not1_b32 vcc_lo, exec_lo, s24
	s_cbranch_vccnz .LBB315_391
; %bb.377:
	s_cmp_gt_i32 s18, 14
	s_cbranch_scc0 .LBB315_382
; %bb.378:
	s_cmp_eq_u32 s18, 15
	s_cbranch_scc0 .LBB315_383
; %bb.379:
	global_load_u16 v4, v[0:1], off
	s_wait_loadcnt 0x1
	v_mov_b32_e32 v3, 0xff
	s_mov_b32 s20, exec_lo
	s_wait_loadcnt 0x0
	v_bfe_u32 v5, v4, 7, 8
	s_delay_alu instid0(VALU_DEP_1)
	v_cmpx_ne_u32_e32 0xff, v5
	s_cbranch_execz .LBB315_381
; %bb.380:
	v_dual_lshlrev_b32 v3, 16, v4 :: v_dual_bitop2_b32 v7, 64, v4 bitop3:0x40
	s_delay_alu instid0(VALU_DEP_1) | instskip(NEXT) | instid1(VALU_DEP_2)
	v_and_or_b32 v3, 0x3f0000, v3, v5
	v_cmp_ne_u32_e32 vcc_lo, 0, v7
	s_delay_alu instid0(VALU_DEP_2) | instskip(SKIP_2) | instid1(SALU_CYCLE_1)
	v_cmp_ne_u32_e64 s1, 0, v3
	v_lshrrev_b32_e32 v3, 7, v4
	s_and_b32 s1, vcc_lo, s1
	v_cndmask_b32_e64 v4, 0, 1, s1
	s_delay_alu instid0(VALU_DEP_1)
	v_add_nc_u32_e32 v3, v3, v4
.LBB315_381:
	s_or_b32 exec_lo, exec_lo, s20
	s_mov_b32 s1, -1
	s_mov_b32 s20, 0
	s_branch .LBB315_384
.LBB315_382:
	s_mov_b32 s24, -1
                                        ; implicit-def: $vgpr3
	s_branch .LBB315_385
.LBB315_383:
	s_mov_b32 s20, -1
                                        ; implicit-def: $vgpr3
.LBB315_384:
	s_mov_b32 s24, 0
.LBB315_385:
	s_delay_alu instid0(SALU_CYCLE_1)
	s_and_b32 vcc_lo, exec_lo, s24
	s_cbranch_vccz .LBB315_391
; %bb.386:
	s_cmp_eq_u32 s18, 11
	s_cbranch_scc0 .LBB315_390
; %bb.387:
	s_wait_loadcnt 0x0
	global_load_u8 v3, v[0:1], off
	s_mov_b32 s20, 0
	s_mov_b32 s18, exec_lo
	s_wait_loadcnt 0x0
	v_cmp_ne_u16_e32 vcc_lo, 0, v3
	v_mov_b32_e32 v3, 0xff
	v_cndmask_b32_e64 v5, 0, 1.0, vcc_lo
	s_delay_alu instid0(VALU_DEP_1) | instskip(NEXT) | instid1(VALU_DEP_1)
	v_lshrrev_b32_e32 v4, 23, v5
	v_cmpx_ne_u32_e32 0xff, v4
; %bb.388:
	v_and_b32_e32 v3, 0x400000, v5
	v_and_or_b32 v5, 0x3fffff, v5, v4
	s_delay_alu instid0(VALU_DEP_2) | instskip(NEXT) | instid1(VALU_DEP_2)
	v_cmp_ne_u32_e32 vcc_lo, 0, v3
	v_cmp_ne_u32_e64 s1, 0, v5
	s_and_b32 s1, vcc_lo, s1
	s_delay_alu instid0(SALU_CYCLE_1) | instskip(NEXT) | instid1(VALU_DEP_1)
	v_cndmask_b32_e64 v3, 0, 1, s1
	v_add_nc_u32_e32 v3, v4, v3
; %bb.389:
	s_or_b32 exec_lo, exec_lo, s18
	s_mov_b32 s1, -1
	s_branch .LBB315_391
.LBB315_390:
	s_mov_b32 s20, -1
                                        ; implicit-def: $vgpr3
.LBB315_391:
	s_branch .LBB315_24
.LBB315_392:
	s_and_b32 s2, 0xffff, s2
	s_delay_alu instid0(SALU_CYCLE_1)
	s_cmp_lt_i32 s2, 5
	s_cbranch_scc1 .LBB315_399
; %bb.393:
	s_cmp_lt_i32 s2, 8
	s_cbranch_scc1 .LBB315_400
; %bb.394:
	;; [unrolled: 3-line block ×3, first 2 shown]
	s_cmp_gt_i32 s2, 9
	s_cbranch_scc0 .LBB315_402
; %bb.396:
	global_load_b64 v[4:5], v[0:1], off
	s_wait_loadcnt 0x1
	v_mov_b32_e32 v3, 0xff
	s_mov_b32 s18, exec_lo
	s_wait_loadcnt 0x0
	v_cvt_f32_f64_e32 v4, v[4:5]
	s_delay_alu instid0(VALU_DEP_1) | instskip(NEXT) | instid1(VALU_DEP_1)
	v_bfe_u32 v5, v4, 23, 8
	v_cmpx_ne_u32_e32 0xff, v5
	s_cbranch_execz .LBB315_398
; %bb.397:
	v_and_b32_e32 v3, 0x400000, v4
	v_and_or_b32 v5, 0x3fffff, v4, v5
	s_delay_alu instid0(VALU_DEP_2) | instskip(NEXT) | instid1(VALU_DEP_2)
	v_cmp_ne_u32_e32 vcc_lo, 0, v3
	v_cmp_ne_u32_e64 s1, 0, v5
	v_lshrrev_b32_e32 v3, 23, v4
	s_and_b32 s1, vcc_lo, s1
	s_delay_alu instid0(SALU_CYCLE_1) | instskip(NEXT) | instid1(VALU_DEP_1)
	v_cndmask_b32_e64 v4, 0, 1, s1
	v_add_nc_u32_e32 v3, v3, v4
.LBB315_398:
	s_or_b32 exec_lo, exec_lo, s18
	s_mov_b32 s1, 0
	s_branch .LBB315_403
.LBB315_399:
	s_mov_b32 s1, -1
                                        ; implicit-def: $vgpr3
	s_branch .LBB315_431
.LBB315_400:
	s_mov_b32 s1, -1
                                        ; implicit-def: $vgpr3
	s_branch .LBB315_413
.LBB315_401:
	s_mov_b32 s1, -1
                                        ; implicit-def: $vgpr3
	s_branch .LBB315_408
.LBB315_402:
	s_mov_b32 s1, -1
                                        ; implicit-def: $vgpr3
.LBB315_403:
	s_delay_alu instid0(SALU_CYCLE_1)
	s_and_not1_b32 vcc_lo, exec_lo, s1
	s_cbranch_vccnz .LBB315_407
; %bb.404:
	global_load_b32 v4, v[0:1], off
	s_wait_loadcnt 0x1
	v_mov_b32_e32 v3, 0xff
	s_mov_b32 s18, exec_lo
	s_wait_loadcnt 0x0
	v_bfe_u32 v5, v4, 23, 8
	s_delay_alu instid0(VALU_DEP_1)
	v_cmpx_ne_u32_e32 0xff, v5
	s_cbranch_execz .LBB315_406
; %bb.405:
	v_and_b32_e32 v3, 0x400000, v4
	v_and_or_b32 v5, 0x3fffff, v4, v5
	s_delay_alu instid0(VALU_DEP_2) | instskip(NEXT) | instid1(VALU_DEP_2)
	v_cmp_ne_u32_e32 vcc_lo, 0, v3
	v_cmp_ne_u32_e64 s1, 0, v5
	v_lshrrev_b32_e32 v3, 23, v4
	s_and_b32 s1, vcc_lo, s1
	s_delay_alu instid0(SALU_CYCLE_1) | instskip(NEXT) | instid1(VALU_DEP_1)
	v_cndmask_b32_e64 v4, 0, 1, s1
	v_add_nc_u32_e32 v3, v3, v4
.LBB315_406:
	s_or_b32 exec_lo, exec_lo, s18
.LBB315_407:
	s_mov_b32 s1, 0
.LBB315_408:
	s_delay_alu instid0(SALU_CYCLE_1)
	s_and_not1_b32 vcc_lo, exec_lo, s1
	s_cbranch_vccnz .LBB315_412
; %bb.409:
	s_wait_loadcnt 0x0
	global_load_b32 v3, v[0:1], off
	s_mov_b32 s18, exec_lo
	s_wait_loadcnt 0x0
	v_cvt_f32_f16_e32 v4, v3
	v_mov_b32_e32 v3, 0xff
	s_delay_alu instid0(VALU_DEP_2) | instskip(NEXT) | instid1(VALU_DEP_1)
	v_bfe_u32 v5, v4, 23, 8
	v_cmpx_ne_u32_e32 0xff, v5
	s_cbranch_execz .LBB315_411
; %bb.410:
	v_and_b32_e32 v3, 0x400000, v4
	v_and_or_b32 v5, 0x3fffff, v4, v5
	s_delay_alu instid0(VALU_DEP_2) | instskip(NEXT) | instid1(VALU_DEP_2)
	v_cmp_ne_u32_e32 vcc_lo, 0, v3
	v_cmp_ne_u32_e64 s1, 0, v5
	v_lshrrev_b32_e32 v3, 23, v4
	s_and_b32 s1, vcc_lo, s1
	s_delay_alu instid0(SALU_CYCLE_1) | instskip(NEXT) | instid1(VALU_DEP_1)
	v_cndmask_b32_e64 v4, 0, 1, s1
	v_add_nc_u32_e32 v3, v3, v4
.LBB315_411:
	s_or_b32 exec_lo, exec_lo, s18
.LBB315_412:
	s_mov_b32 s1, 0
.LBB315_413:
	s_delay_alu instid0(SALU_CYCLE_1)
	s_and_not1_b32 vcc_lo, exec_lo, s1
	s_cbranch_vccnz .LBB315_430
; %bb.414:
	s_cmp_lt_i32 s2, 6
	s_cbranch_scc1 .LBB315_419
; %bb.415:
	s_cmp_gt_i32 s2, 6
	s_cbranch_scc0 .LBB315_420
; %bb.416:
	global_load_b64 v[4:5], v[0:1], off
	s_wait_loadcnt 0x1
	v_mov_b32_e32 v3, 0xff
	s_mov_b32 s18, exec_lo
	s_wait_loadcnt 0x0
	v_cvt_f32_f64_e32 v4, v[4:5]
	s_delay_alu instid0(VALU_DEP_1) | instskip(NEXT) | instid1(VALU_DEP_1)
	v_bfe_u32 v5, v4, 23, 8
	v_cmpx_ne_u32_e32 0xff, v5
	s_cbranch_execz .LBB315_418
; %bb.417:
	v_and_b32_e32 v3, 0x400000, v4
	v_and_or_b32 v5, 0x3fffff, v4, v5
	s_delay_alu instid0(VALU_DEP_2) | instskip(NEXT) | instid1(VALU_DEP_2)
	v_cmp_ne_u32_e32 vcc_lo, 0, v3
	v_cmp_ne_u32_e64 s1, 0, v5
	v_lshrrev_b32_e32 v3, 23, v4
	s_and_b32 s1, vcc_lo, s1
	s_delay_alu instid0(SALU_CYCLE_1) | instskip(NEXT) | instid1(VALU_DEP_1)
	v_cndmask_b32_e64 v4, 0, 1, s1
	v_add_nc_u32_e32 v3, v3, v4
.LBB315_418:
	s_or_b32 exec_lo, exec_lo, s18
	s_mov_b32 s1, 0
	s_branch .LBB315_421
.LBB315_419:
	s_mov_b32 s1, -1
                                        ; implicit-def: $vgpr3
	s_branch .LBB315_426
.LBB315_420:
	s_mov_b32 s1, -1
                                        ; implicit-def: $vgpr3
.LBB315_421:
	s_delay_alu instid0(SALU_CYCLE_1)
	s_and_not1_b32 vcc_lo, exec_lo, s1
	s_cbranch_vccnz .LBB315_425
; %bb.422:
	global_load_b32 v4, v[0:1], off
	s_wait_loadcnt 0x1
	v_mov_b32_e32 v3, 0xff
	s_mov_b32 s18, exec_lo
	s_wait_loadcnt 0x0
	v_bfe_u32 v5, v4, 23, 8
	s_delay_alu instid0(VALU_DEP_1)
	v_cmpx_ne_u32_e32 0xff, v5
	s_cbranch_execz .LBB315_424
; %bb.423:
	v_and_b32_e32 v3, 0x400000, v4
	v_and_or_b32 v5, 0x3fffff, v4, v5
	s_delay_alu instid0(VALU_DEP_2) | instskip(NEXT) | instid1(VALU_DEP_2)
	v_cmp_ne_u32_e32 vcc_lo, 0, v3
	v_cmp_ne_u32_e64 s1, 0, v5
	v_lshrrev_b32_e32 v3, 23, v4
	s_and_b32 s1, vcc_lo, s1
	s_delay_alu instid0(SALU_CYCLE_1) | instskip(NEXT) | instid1(VALU_DEP_1)
	v_cndmask_b32_e64 v4, 0, 1, s1
	v_add_nc_u32_e32 v3, v3, v4
.LBB315_424:
	s_or_b32 exec_lo, exec_lo, s18
.LBB315_425:
	s_mov_b32 s1, 0
.LBB315_426:
	s_delay_alu instid0(SALU_CYCLE_1)
	s_and_not1_b32 vcc_lo, exec_lo, s1
	s_cbranch_vccnz .LBB315_430
; %bb.427:
	s_wait_loadcnt 0x0
	global_load_u16 v3, v[0:1], off
	s_mov_b32 s18, exec_lo
	s_wait_loadcnt 0x0
	v_cvt_f32_f16_e32 v4, v3
	v_mov_b32_e32 v3, 0xff
	s_delay_alu instid0(VALU_DEP_2) | instskip(NEXT) | instid1(VALU_DEP_1)
	v_bfe_u32 v5, v4, 23, 8
	v_cmpx_ne_u32_e32 0xff, v5
	s_cbranch_execz .LBB315_429
; %bb.428:
	v_and_b32_e32 v3, 0x400000, v4
	v_and_or_b32 v5, 0x3fffff, v4, v5
	s_delay_alu instid0(VALU_DEP_2) | instskip(NEXT) | instid1(VALU_DEP_2)
	v_cmp_ne_u32_e32 vcc_lo, 0, v3
	v_cmp_ne_u32_e64 s1, 0, v5
	v_lshrrev_b32_e32 v3, 23, v4
	s_and_b32 s1, vcc_lo, s1
	s_delay_alu instid0(SALU_CYCLE_1) | instskip(NEXT) | instid1(VALU_DEP_1)
	v_cndmask_b32_e64 v4, 0, 1, s1
	v_add_nc_u32_e32 v3, v3, v4
.LBB315_429:
	s_or_b32 exec_lo, exec_lo, s18
.LBB315_430:
	s_mov_b32 s1, 0
.LBB315_431:
	s_delay_alu instid0(SALU_CYCLE_1)
	s_and_not1_b32 vcc_lo, exec_lo, s1
	s_cbranch_vccnz .LBB315_461
; %bb.432:
	s_cmp_lt_i32 s2, 2
	s_cbranch_scc1 .LBB315_438
; %bb.433:
	s_cmp_lt_i32 s2, 3
	s_cbranch_scc1 .LBB315_439
; %bb.434:
	s_cmp_gt_i32 s2, 3
	s_cbranch_scc0 .LBB315_440
; %bb.435:
	global_load_b64 v[4:5], v[0:1], off
	s_mov_b32 s18, exec_lo
	s_wait_loadcnt 0x0
	v_xor_b32_e32 v3, v4, v5
	v_cls_i32_e32 v7, v5
	s_delay_alu instid0(VALU_DEP_2) | instskip(NEXT) | instid1(VALU_DEP_1)
	v_ashrrev_i32_e32 v3, 31, v3
	v_add_nc_u32_e32 v3, 32, v3
	s_delay_alu instid0(VALU_DEP_1) | instskip(NEXT) | instid1(VALU_DEP_1)
	v_add_min_u32_e64 v3, v7, -1, v3
	v_lshlrev_b64_e32 v[4:5], v3, v[4:5]
	v_sub_nc_u32_e32 v3, 32, v3
	s_delay_alu instid0(VALU_DEP_2) | instskip(NEXT) | instid1(VALU_DEP_1)
	v_min_u32_e32 v4, 1, v4
	v_or_b32_e32 v4, v5, v4
	s_delay_alu instid0(VALU_DEP_1) | instskip(NEXT) | instid1(VALU_DEP_1)
	v_cvt_f32_i32_e32 v4, v4
	v_ldexp_f32 v4, v4, v3
	v_mov_b32_e32 v3, 0xff
	s_delay_alu instid0(VALU_DEP_2) | instskip(NEXT) | instid1(VALU_DEP_1)
	v_bfe_u32 v5, v4, 23, 8
	v_cmpx_ne_u32_e32 0xff, v5
	s_cbranch_execz .LBB315_437
; %bb.436:
	v_and_b32_e32 v3, 0x400000, v4
	v_and_or_b32 v5, 0x3fffff, v4, v5
	s_delay_alu instid0(VALU_DEP_2) | instskip(NEXT) | instid1(VALU_DEP_2)
	v_cmp_ne_u32_e32 vcc_lo, 0, v3
	v_cmp_ne_u32_e64 s1, 0, v5
	v_lshrrev_b32_e32 v3, 23, v4
	s_and_b32 s1, vcc_lo, s1
	s_delay_alu instid0(SALU_CYCLE_1) | instskip(NEXT) | instid1(VALU_DEP_1)
	v_cndmask_b32_e64 v4, 0, 1, s1
	v_add_nc_u32_e32 v3, v3, v4
.LBB315_437:
	s_or_b32 exec_lo, exec_lo, s18
	s_mov_b32 s1, 0
	s_branch .LBB315_441
.LBB315_438:
	s_mov_b32 s1, -1
                                        ; implicit-def: $vgpr3
	s_branch .LBB315_451
.LBB315_439:
	s_mov_b32 s1, -1
                                        ; implicit-def: $vgpr3
	s_branch .LBB315_446
.LBB315_440:
	s_mov_b32 s1, -1
                                        ; implicit-def: $vgpr3
.LBB315_441:
	s_delay_alu instid0(SALU_CYCLE_1)
	s_and_not1_b32 vcc_lo, exec_lo, s1
	s_cbranch_vccnz .LBB315_445
; %bb.442:
	s_wait_loadcnt 0x0
	global_load_b32 v3, v[0:1], off
	s_mov_b32 s18, exec_lo
	s_wait_loadcnt 0x0
	v_cvt_f32_i32_e32 v4, v3
	v_mov_b32_e32 v3, 0xff
	s_delay_alu instid0(VALU_DEP_2) | instskip(NEXT) | instid1(VALU_DEP_1)
	v_bfe_u32 v5, v4, 23, 8
	v_cmpx_ne_u32_e32 0xff, v5
	s_cbranch_execz .LBB315_444
; %bb.443:
	v_and_b32_e32 v3, 0x400000, v4
	v_and_or_b32 v5, 0x3fffff, v4, v5
	s_delay_alu instid0(VALU_DEP_2) | instskip(NEXT) | instid1(VALU_DEP_2)
	v_cmp_ne_u32_e32 vcc_lo, 0, v3
	v_cmp_ne_u32_e64 s1, 0, v5
	v_lshrrev_b32_e32 v3, 23, v4
	s_and_b32 s1, vcc_lo, s1
	s_delay_alu instid0(SALU_CYCLE_1) | instskip(NEXT) | instid1(VALU_DEP_1)
	v_cndmask_b32_e64 v4, 0, 1, s1
	v_add_nc_u32_e32 v3, v3, v4
.LBB315_444:
	s_or_b32 exec_lo, exec_lo, s18
.LBB315_445:
	s_mov_b32 s1, 0
.LBB315_446:
	s_delay_alu instid0(SALU_CYCLE_1)
	s_and_not1_b32 vcc_lo, exec_lo, s1
	s_cbranch_vccnz .LBB315_450
; %bb.447:
	s_wait_loadcnt 0x0
	global_load_i16 v3, v[0:1], off
	s_mov_b32 s18, exec_lo
	s_wait_loadcnt 0x0
	v_cvt_f32_i32_e32 v4, v3
	v_mov_b32_e32 v3, 0xff
	s_delay_alu instid0(VALU_DEP_2) | instskip(NEXT) | instid1(VALU_DEP_1)
	v_bfe_u32 v5, v4, 23, 8
	v_cmpx_ne_u32_e32 0xff, v5
	s_cbranch_execz .LBB315_449
; %bb.448:
	v_and_b32_e32 v3, 0x400000, v4
	v_and_or_b32 v5, 0x3fffff, v4, v5
	s_delay_alu instid0(VALU_DEP_2) | instskip(NEXT) | instid1(VALU_DEP_2)
	v_cmp_ne_u32_e32 vcc_lo, 0, v3
	v_cmp_ne_u32_e64 s1, 0, v5
	v_lshrrev_b32_e32 v3, 23, v4
	s_and_b32 s1, vcc_lo, s1
	s_delay_alu instid0(SALU_CYCLE_1) | instskip(NEXT) | instid1(VALU_DEP_1)
	v_cndmask_b32_e64 v4, 0, 1, s1
	v_add_nc_u32_e32 v3, v3, v4
.LBB315_449:
	s_or_b32 exec_lo, exec_lo, s18
.LBB315_450:
	s_mov_b32 s1, 0
.LBB315_451:
	s_delay_alu instid0(SALU_CYCLE_1)
	s_and_not1_b32 vcc_lo, exec_lo, s1
	s_cbranch_vccnz .LBB315_461
; %bb.452:
	s_cmp_gt_i32 s2, 0
	s_cbranch_scc0 .LBB315_456
; %bb.453:
	s_wait_loadcnt 0x0
	global_load_i8 v3, v[0:1], off
	s_mov_b32 s2, exec_lo
	s_wait_loadcnt 0x0
	v_cvt_f32_i32_e32 v4, v3
	v_mov_b32_e32 v3, 0xff
	s_delay_alu instid0(VALU_DEP_2) | instskip(NEXT) | instid1(VALU_DEP_1)
	v_bfe_u32 v5, v4, 23, 8
	v_cmpx_ne_u32_e32 0xff, v5
	s_cbranch_execz .LBB315_455
; %bb.454:
	v_and_b32_e32 v3, 0x400000, v4
	v_and_or_b32 v5, 0x3fffff, v4, v5
	s_delay_alu instid0(VALU_DEP_2) | instskip(NEXT) | instid1(VALU_DEP_2)
	v_cmp_ne_u32_e32 vcc_lo, 0, v3
	v_cmp_ne_u32_e64 s1, 0, v5
	v_lshrrev_b32_e32 v3, 23, v4
	s_and_b32 s1, vcc_lo, s1
	s_delay_alu instid0(SALU_CYCLE_1) | instskip(NEXT) | instid1(VALU_DEP_1)
	v_cndmask_b32_e64 v4, 0, 1, s1
	v_add_nc_u32_e32 v3, v3, v4
.LBB315_455:
	s_or_b32 exec_lo, exec_lo, s2
	s_mov_b32 s1, 0
	s_branch .LBB315_457
.LBB315_456:
	s_mov_b32 s1, -1
                                        ; implicit-def: $vgpr3
.LBB315_457:
	s_delay_alu instid0(SALU_CYCLE_1)
	s_and_not1_b32 vcc_lo, exec_lo, s1
	s_cbranch_vccnz .LBB315_461
; %bb.458:
	global_load_u8 v0, v[0:1], off
	s_mov_b32 s2, exec_lo
	s_wait_loadcnt 0x1
	v_mov_b32_e32 v3, 0xff
	s_wait_loadcnt 0x0
	v_cvt_f32_ubyte0_e32 v1, v0
	s_delay_alu instid0(VALU_DEP_1) | instskip(NEXT) | instid1(VALU_DEP_1)
	v_lshrrev_b32_e32 v0, 23, v1
	v_cmpx_ne_u32_e32 0xff, v0
; %bb.459:
	v_and_b32_e32 v3, 0x400000, v1
	v_and_or_b32 v1, 0x3fffff, v1, v0
	s_delay_alu instid0(VALU_DEP_2) | instskip(NEXT) | instid1(VALU_DEP_2)
	v_cmp_ne_u32_e32 vcc_lo, 0, v3
	v_cmp_ne_u32_e64 s1, 0, v1
	s_and_b32 s1, vcc_lo, s1
	s_delay_alu instid0(SALU_CYCLE_1) | instskip(NEXT) | instid1(VALU_DEP_1)
	v_cndmask_b32_e64 v1, 0, 1, s1
	v_add_nc_u32_e32 v3, v0, v1
; %bb.460:
	s_or_b32 exec_lo, exec_lo, s2
.LBB315_461:
	s_branch .LBB315_25
.LBB315_462:
	s_mov_b32 s2, 0
.LBB315_463:
	s_mov_b32 s1, 0
                                        ; implicit-def: $vgpr6
.LBB315_464:
	s_and_b32 s18, s2, exec_lo
	s_and_b32 s20, s20, exec_lo
	;; [unrolled: 1-line block ×3, first 2 shown]
	s_or_not1_b32 s1, s1, exec_lo
.LBB315_465:
	s_wait_xcnt 0x0
	s_or_b32 exec_lo, exec_lo, s22
	s_mov_b32 s25, 0
	s_mov_b32 s24, 0
                                        ; implicit-def: $sgpr27
                                        ; implicit-def: $vgpr0_vgpr1
                                        ; implicit-def: $vgpr2
	s_and_saveexec_b32 s22, s1
	s_cbranch_execz .LBB315_476
; %bb.466:
	s_mov_b32 s2, -1
	s_mov_b32 s23, s21
	s_mov_b32 s25, s20
	;; [unrolled: 1-line block ×3, first 2 shown]
	s_mov_b32 s26, exec_lo
	v_cmpx_gt_i32_e64 s19, v6
	s_cbranch_execz .LBB315_868
; %bb.467:
	v_mul_lo_u32 v0, v6, s9
	s_and_b32 s2, s16, 0xff
	s_delay_alu instid0(SALU_CYCLE_1) | instskip(NEXT) | instid1(VALU_DEP_1)
	s_cmp_lt_i32 s2, 11
	v_ashrrev_i32_e32 v1, 31, v0
	s_delay_alu instid0(VALU_DEP_1)
	v_add_nc_u64_e32 v[0:1], s[6:7], v[0:1]
	s_cbranch_scc1 .LBB315_481
; %bb.468:
	s_and_b32 s24, 0xffff, s2
	s_delay_alu instid0(SALU_CYCLE_1)
	s_cmp_gt_i32 s24, 25
	s_cbranch_scc0 .LBB315_492
; %bb.469:
	s_cmp_gt_i32 s24, 28
	s_cbranch_scc0 .LBB315_494
; %bb.470:
	s_cmp_gt_i32 s24, 43
	s_cbranch_scc0 .LBB315_496
; %bb.471:
	s_cmp_gt_i32 s24, 45
	s_cbranch_scc0 .LBB315_498
; %bb.472:
	s_cmp_eq_u32 s24, 46
	s_mov_b32 s25, 0
	s_cbranch_scc0 .LBB315_502
; %bb.473:
	s_wait_loadcnt 0x0
	global_load_b32 v3, v[0:1], off
	v_mov_b32_e32 v2, 0xff
	s_mov_b32 s23, exec_lo
	s_wait_loadcnt 0x0
	v_lshlrev_b32_e32 v4, 16, v3
	s_delay_alu instid0(VALU_DEP_1) | instskip(SKIP_1) | instid1(VALU_DEP_1)
	v_bfe_u32 v5, v4, 23, 8
	s_wait_xcnt 0x0
	v_cmpx_ne_u32_e32 0xff, v5
	s_cbranch_execz .LBB315_475
; %bb.474:
	v_and_b32_e32 v2, 64, v3
	v_and_or_b32 v4, 0x3f0000, v4, v5
	s_delay_alu instid0(VALU_DEP_2) | instskip(NEXT) | instid1(VALU_DEP_2)
	v_cmp_ne_u32_e32 vcc_lo, 0, v2
	v_cmp_ne_u32_e64 s1, 0, v4
	v_bfe_u32 v2, v3, 7, 9
	s_and_b32 s1, vcc_lo, s1
	s_delay_alu instid0(SALU_CYCLE_1) | instskip(NEXT) | instid1(VALU_DEP_1)
	v_cndmask_b32_e64 v3, 0, 1, s1
	v_add_nc_u32_e32 v2, v2, v3
.LBB315_475:
	s_or_b32 exec_lo, exec_lo, s23
	s_mov_b32 s1, -1
	s_mov_b32 s23, 0
	s_branch .LBB315_504
.LBB315_476:
	s_or_b32 exec_lo, exec_lo, s22
	s_mov_b32 s2, 0
	s_and_saveexec_b32 s1, s21
	s_cbranch_execnz .LBB315_1520
.LBB315_477:
	s_or_b32 exec_lo, exec_lo, s1
	s_and_saveexec_b32 s1, s23
	s_delay_alu instid0(SALU_CYCLE_1)
	s_xor_b32 s19, exec_lo, s1
	s_cbranch_execz .LBB315_1521
.LBB315_478:
	s_wait_loadcnt 0x0
	global_load_u8 v2, v[0:1], off
	s_mov_b32 s21, exec_lo
	s_wait_loadcnt 0x0
	v_cmp_ne_u16_e32 vcc_lo, 0, v2
	v_mov_b32_e32 v2, 0xff
	v_cndmask_b32_e64 v4, 0, 1.0, vcc_lo
	s_delay_alu instid0(VALU_DEP_1) | instskip(SKIP_1) | instid1(VALU_DEP_1)
	v_lshrrev_b32_e32 v3, 23, v4
	s_wait_xcnt 0x0
	v_cmpx_ne_u32_e32 0xff, v3
; %bb.479:
	v_and_b32_e32 v2, 0x400000, v4
	v_and_or_b32 v4, 0x3fffff, v4, v3
	s_delay_alu instid0(VALU_DEP_2) | instskip(NEXT) | instid1(VALU_DEP_2)
	v_cmp_ne_u32_e32 vcc_lo, 0, v2
	v_cmp_ne_u32_e64 s1, 0, v4
	s_and_b32 s1, vcc_lo, s1
	s_delay_alu instid0(SALU_CYCLE_1) | instskip(NEXT) | instid1(VALU_DEP_1)
	v_cndmask_b32_e64 v2, 0, 1, s1
	v_add_nc_u32_e32 v2, v3, v2
; %bb.480:
	s_or_b32 exec_lo, exec_lo, s21
	s_delay_alu instid0(SALU_CYCLE_1)
	s_or_b32 s24, s24, exec_lo
	s_or_b32 exec_lo, exec_lo, s19
	s_and_saveexec_b32 s19, s25
	s_cbranch_execz .LBB315_1589
	s_branch .LBB315_1522
.LBB315_481:
	s_mov_b32 s1, 0
	s_mov_b32 s23, s21
                                        ; implicit-def: $vgpr2
	s_cbranch_execnz .LBB315_588
.LBB315_482:
	s_and_not1_b32 vcc_lo, exec_lo, s1
	s_cbranch_vccnz .LBB315_658
.LBB315_483:
	s_wait_xcnt 0x0
	v_mul_lo_u32 v0, v6, s10
	s_and_b32 s2, s14, 0xff
	s_delay_alu instid0(SALU_CYCLE_1) | instskip(NEXT) | instid1(VALU_DEP_1)
	s_cmp_lt_i32 s2, 11
	v_ashrrev_i32_e32 v1, 31, v0
	s_delay_alu instid0(VALU_DEP_1)
	v_add_nc_u64_e32 v[0:1], s[12:13], v[0:1]
	s_cbranch_scc1 .LBB315_493
; %bb.484:
	s_and_b32 s24, 0xffff, s2
	s_delay_alu instid0(SALU_CYCLE_1)
	s_cmp_gt_i32 s24, 25
	s_cbranch_scc0 .LBB315_495
; %bb.485:
	s_cmp_gt_i32 s24, 28
	s_cbranch_scc0 .LBB315_497
; %bb.486:
	;; [unrolled: 3-line block ×4, first 2 shown]
	s_cmp_eq_u32 s24, 46
	s_mov_b32 s27, 0
	s_cbranch_scc0 .LBB315_661
; %bb.489:
	global_load_b32 v4, v[0:1], off
	s_wait_loadcnt 0x1
	v_mov_b32_e32 v3, 0xff
	s_mov_b32 s25, exec_lo
	s_wait_loadcnt 0x0
	v_lshlrev_b32_e32 v5, 16, v4
	s_delay_alu instid0(VALU_DEP_1) | instskip(SKIP_1) | instid1(VALU_DEP_1)
	v_bfe_u32 v7, v5, 23, 8
	s_wait_xcnt 0x0
	v_cmpx_ne_u32_e32 0xff, v7
	s_cbranch_execz .LBB315_491
; %bb.490:
	v_and_b32_e32 v3, 64, v4
	v_and_or_b32 v5, 0x3f0000, v5, v7
	s_delay_alu instid0(VALU_DEP_2) | instskip(NEXT) | instid1(VALU_DEP_2)
	v_cmp_ne_u32_e32 vcc_lo, 0, v3
	v_cmp_ne_u32_e64 s1, 0, v5
	v_bfe_u32 v3, v4, 7, 9
	s_and_b32 s1, vcc_lo, s1
	s_delay_alu instid0(SALU_CYCLE_1) | instskip(NEXT) | instid1(VALU_DEP_1)
	v_cndmask_b32_e64 v4, 0, 1, s1
	v_add_nc_u32_e32 v3, v3, v4
.LBB315_491:
	s_or_b32 exec_lo, exec_lo, s25
	s_mov_b32 s1, -1
	s_mov_b32 s25, 0
	s_branch .LBB315_663
.LBB315_492:
	s_mov_b32 s25, -1
	s_mov_b32 s1, 0
	s_mov_b32 s23, s21
                                        ; implicit-def: $vgpr2
	s_branch .LBB315_544
.LBB315_493:
	s_mov_b32 s24, -1
	s_mov_b32 s1, 0
	s_mov_b32 s25, s20
                                        ; implicit-def: $vgpr3
	s_branch .LBB315_746
.LBB315_494:
	s_mov_b32 s25, -1
	s_mov_b32 s1, 0
	s_mov_b32 s23, s21
                                        ; implicit-def: $vgpr2
	s_branch .LBB315_517
.LBB315_495:
	s_mov_b32 s27, -1
	s_mov_b32 s1, 0
	s_mov_b32 s25, s20
                                        ; implicit-def: $vgpr3
	s_branch .LBB315_702
.LBB315_496:
	s_mov_b32 s25, -1
	s_mov_b32 s1, 0
	s_mov_b32 s23, s21
                                        ; implicit-def: $vgpr2
	s_branch .LBB315_510
.LBB315_497:
	s_mov_b32 s27, -1
	s_mov_b32 s1, 0
	s_mov_b32 s25, s20
                                        ; implicit-def: $vgpr3
	s_branch .LBB315_675
.LBB315_498:
	s_mov_b32 s25, -1
	s_mov_b32 s1, 0
	s_mov_b32 s23, s21
	s_branch .LBB315_503
.LBB315_499:
	s_mov_b32 s27, -1
	s_mov_b32 s1, 0
	s_mov_b32 s25, s20
                                        ; implicit-def: $vgpr3
	s_branch .LBB315_668
.LBB315_500:
	s_and_not1_saveexec_b32 s27, s27
	s_cbranch_execz .LBB315_262
.LBB315_501:
	v_add_f32_e32 v2, 0x46000000, v3
	s_and_not1_b32 s26, s26, exec_lo
	s_delay_alu instid0(VALU_DEP_1) | instskip(NEXT) | instid1(VALU_DEP_1)
	v_and_b32_e32 v2, 0xff, v2
	v_cmp_ne_u32_e32 vcc_lo, 0, v2
	s_and_b32 s28, vcc_lo, exec_lo
	s_delay_alu instid0(SALU_CYCLE_1)
	s_or_b32 s26, s26, s28
	s_or_b32 exec_lo, exec_lo, s27
	v_mov_b32_e32 v4, 0
	s_and_saveexec_b32 s27, s26
	s_cbranch_execnz .LBB315_263
	s_branch .LBB315_264
.LBB315_502:
	s_mov_b32 s23, -1
	s_mov_b32 s1, 0
.LBB315_503:
                                        ; implicit-def: $vgpr2
.LBB315_504:
	s_and_b32 vcc_lo, exec_lo, s25
	s_cbranch_vccz .LBB315_509
; %bb.505:
	s_cmp_eq_u32 s24, 44
	s_cbranch_scc0 .LBB315_508
; %bb.506:
	s_wait_loadcnt 0x0
	global_load_u8 v2, v[0:1], off
	s_mov_b32 s1, -1
	s_mov_b32 s23, 0
	s_branch .LBB315_509
.LBB315_507:
	s_mov_b32 s27, -1
	s_mov_b32 s1, 0
	s_mov_b32 s25, s20
	s_branch .LBB315_662
.LBB315_508:
	s_mov_b32 s23, -1
                                        ; implicit-def: $vgpr2
.LBB315_509:
	s_mov_b32 s25, 0
.LBB315_510:
	s_delay_alu instid0(SALU_CYCLE_1)
	s_and_b32 vcc_lo, exec_lo, s25
	s_cbranch_vccz .LBB315_516
; %bb.511:
	s_cmp_eq_u32 s24, 29
	s_cbranch_scc0 .LBB315_515
; %bb.512:
	s_wait_loadcnt 0x0
	global_load_b64 v[2:3], v[0:1], off
	s_mov_b32 s23, exec_lo
	s_wait_loadcnt 0x0
	v_clz_i32_u32_e32 v4, v3
	s_delay_alu instid0(VALU_DEP_1) | instskip(NEXT) | instid1(VALU_DEP_1)
	v_min_u32_e32 v4, 32, v4
	v_lshlrev_b64_e32 v[2:3], v4, v[2:3]
	s_delay_alu instid0(VALU_DEP_1) | instskip(NEXT) | instid1(VALU_DEP_1)
	v_min_u32_e32 v2, 1, v2
	v_dual_sub_nc_u32 v3, 32, v4 :: v_dual_bitop2_b32 v2, v3, v2 bitop3:0x54
	s_delay_alu instid0(VALU_DEP_1) | instskip(NEXT) | instid1(VALU_DEP_1)
	v_cvt_f32_u32_e32 v2, v2
	v_ldexp_f32 v4, v2, v3
	s_delay_alu instid0(VALU_DEP_1) | instskip(SKIP_1) | instid1(VALU_DEP_1)
	v_dual_mov_b32 v2, 0xff :: v_dual_lshrrev_b32 v3, 23, v4
	s_wait_xcnt 0x0
	v_cmpx_ne_u32_e32 0xff, v3
; %bb.513:
	v_and_b32_e32 v2, 0x400000, v4
	v_and_or_b32 v4, 0x3fffff, v4, v3
	s_delay_alu instid0(VALU_DEP_2) | instskip(NEXT) | instid1(VALU_DEP_2)
	v_cmp_ne_u32_e32 vcc_lo, 0, v2
	v_cmp_ne_u32_e64 s1, 0, v4
	s_and_b32 s1, vcc_lo, s1
	s_delay_alu instid0(SALU_CYCLE_1) | instskip(NEXT) | instid1(VALU_DEP_1)
	v_cndmask_b32_e64 v2, 0, 1, s1
	v_add_nc_u32_e32 v2, v3, v2
; %bb.514:
	s_or_b32 exec_lo, exec_lo, s23
	s_mov_b32 s1, -1
	s_mov_b32 s23, 0
	s_branch .LBB315_516
.LBB315_515:
	s_mov_b32 s23, -1
                                        ; implicit-def: $vgpr2
.LBB315_516:
	s_mov_b32 s25, 0
.LBB315_517:
	s_delay_alu instid0(SALU_CYCLE_1)
	s_and_b32 vcc_lo, exec_lo, s25
	s_cbranch_vccz .LBB315_543
; %bb.518:
	s_cmp_lt_i32 s24, 27
	s_cbranch_scc1 .LBB315_523
; %bb.519:
	s_cmp_gt_i32 s24, 27
	s_cbranch_scc0 .LBB315_524
; %bb.520:
	s_wait_loadcnt 0x0
	global_load_b32 v2, v[0:1], off
	s_mov_b32 s25, exec_lo
	s_wait_loadcnt 0x0
	v_cvt_f32_u32_e32 v4, v2
	s_delay_alu instid0(VALU_DEP_1) | instskip(SKIP_1) | instid1(VALU_DEP_1)
	v_dual_mov_b32 v2, 0xff :: v_dual_lshrrev_b32 v3, 23, v4
	s_wait_xcnt 0x0
	v_cmpx_ne_u32_e32 0xff, v3
; %bb.521:
	v_and_b32_e32 v2, 0x400000, v4
	v_and_or_b32 v4, 0x3fffff, v4, v3
	s_delay_alu instid0(VALU_DEP_2) | instskip(NEXT) | instid1(VALU_DEP_2)
	v_cmp_ne_u32_e32 vcc_lo, 0, v2
	v_cmp_ne_u32_e64 s1, 0, v4
	s_and_b32 s1, vcc_lo, s1
	s_delay_alu instid0(SALU_CYCLE_1) | instskip(NEXT) | instid1(VALU_DEP_1)
	v_cndmask_b32_e64 v2, 0, 1, s1
	v_add_nc_u32_e32 v2, v3, v2
; %bb.522:
	s_or_b32 exec_lo, exec_lo, s25
	s_mov_b32 s1, 0
	s_branch .LBB315_525
.LBB315_523:
	s_mov_b32 s1, -1
                                        ; implicit-def: $vgpr2
	s_branch .LBB315_530
.LBB315_524:
	s_mov_b32 s1, -1
                                        ; implicit-def: $vgpr2
.LBB315_525:
	s_delay_alu instid0(SALU_CYCLE_1)
	s_and_not1_b32 vcc_lo, exec_lo, s1
	s_cbranch_vccnz .LBB315_529
; %bb.526:
	s_wait_loadcnt 0x0
	global_load_u16 v2, v[0:1], off
	s_mov_b32 s25, exec_lo
	s_wait_loadcnt 0x0
	v_cvt_f32_u32_e32 v4, v2
	s_delay_alu instid0(VALU_DEP_1) | instskip(SKIP_1) | instid1(VALU_DEP_1)
	v_dual_mov_b32 v2, 0xff :: v_dual_lshrrev_b32 v3, 23, v4
	s_wait_xcnt 0x0
	v_cmpx_ne_u32_e32 0xff, v3
; %bb.527:
	v_and_b32_e32 v2, 0x400000, v4
	v_and_or_b32 v4, 0x3fffff, v4, v3
	s_delay_alu instid0(VALU_DEP_2) | instskip(NEXT) | instid1(VALU_DEP_2)
	v_cmp_ne_u32_e32 vcc_lo, 0, v2
	v_cmp_ne_u32_e64 s1, 0, v4
	s_and_b32 s1, vcc_lo, s1
	s_delay_alu instid0(SALU_CYCLE_1) | instskip(NEXT) | instid1(VALU_DEP_1)
	v_cndmask_b32_e64 v2, 0, 1, s1
	v_add_nc_u32_e32 v2, v3, v2
; %bb.528:
	s_or_b32 exec_lo, exec_lo, s25
.LBB315_529:
	s_mov_b32 s1, 0
.LBB315_530:
	s_delay_alu instid0(SALU_CYCLE_1)
	s_and_not1_b32 vcc_lo, exec_lo, s1
	s_cbranch_vccnz .LBB315_542
; %bb.531:
	s_wait_loadcnt 0x0
	global_load_u8 v2, v[0:1], off
	s_mov_b32 s1, 0
	s_mov_b32 s25, exec_lo
	s_wait_loadcnt 0x0
	v_cmpx_lt_i16_e32 0x7f, v2
	s_xor_b32 s25, exec_lo, s25
	s_cbranch_execz .LBB315_535
; %bb.532:
	s_mov_b32 s1, -1
	s_mov_b32 s27, exec_lo
	v_cmpx_eq_u16_e32 0x80, v2
; %bb.533:
	s_xor_b32 s1, exec_lo, -1
; %bb.534:
	s_or_b32 exec_lo, exec_lo, s27
	s_delay_alu instid0(SALU_CYCLE_1)
	s_and_b32 s1, s1, exec_lo
.LBB315_535:
	s_or_saveexec_b32 s25, s25
	v_mov_b32_e32 v3, 0x7f800001
	v_and_b32_e32 v4, 0xffff, v2
	s_xor_b32 exec_lo, exec_lo, s25
; %bb.536:
	v_cmp_ne_u16_e32 vcc_lo, 0, v2
	s_delay_alu instid0(VALU_DEP_2) | instskip(SKIP_2) | instid1(SALU_CYCLE_1)
	v_mov_b32_e32 v3, v4
	s_and_not1_b32 s1, s1, exec_lo
	s_and_b32 s27, vcc_lo, exec_lo
	s_or_b32 s1, s1, s27
; %bb.537:
	s_or_b32 exec_lo, exec_lo, s25
	s_and_saveexec_b32 s25, s1
	s_cbranch_execz .LBB315_539
; %bb.538:
	v_and_b32_e32 v2, 7, v4
	s_delay_alu instid0(VALU_DEP_1) | instskip(NEXT) | instid1(VALU_DEP_1)
	v_clz_i32_u32_e32 v3, v2
	v_min_u32_e32 v3, 32, v3
	s_delay_alu instid0(VALU_DEP_1) | instskip(NEXT) | instid1(VALU_DEP_1)
	v_subrev_nc_u32_e32 v5, 28, v3
	v_lshlrev_b32_e32 v5, v5, v4
	v_bfe_u32 v4, v4, 3, 4
	s_delay_alu instid0(VALU_DEP_2) | instskip(NEXT) | instid1(VALU_DEP_2)
	v_dual_sub_nc_u32 v3, 29, v3 :: v_dual_bitop2_b32 v5, 7, v5 bitop3:0x40
	v_cmp_eq_u32_e32 vcc_lo, 0, v4
	s_delay_alu instid0(VALU_DEP_2) | instskip(NEXT) | instid1(VALU_DEP_1)
	v_dual_cndmask_b32 v3, v4, v3 :: v_dual_cndmask_b32 v2, v2, v5
	v_lshlrev_b32_e32 v2, 20, v2
	s_delay_alu instid0(VALU_DEP_1) | instskip(NEXT) | instid1(VALU_DEP_1)
	v_lshl_or_b32 v2, v3, 23, v2
	v_add_nc_u32_e32 v3, 0x3b800000, v2
.LBB315_539:
	s_or_b32 exec_lo, exec_lo, s25
	s_delay_alu instid0(VALU_DEP_1) | instskip(SKIP_2) | instid1(VALU_DEP_2)
	v_lshrrev_b32_e32 v4, 23, v3
	v_mov_b32_e32 v2, 0xff
	s_mov_b32 s25, exec_lo
	v_cmpx_ne_u32_e32 0xff, v4
; %bb.540:
	v_and_b32_e32 v2, 0x400000, v3
	v_and_or_b32 v3, 0x3fffff, v3, v4
	s_delay_alu instid0(VALU_DEP_2) | instskip(NEXT) | instid1(VALU_DEP_2)
	v_cmp_ne_u32_e32 vcc_lo, 0, v2
	v_cmp_ne_u32_e64 s1, 0, v3
	s_and_b32 s1, vcc_lo, s1
	s_delay_alu instid0(SALU_CYCLE_1) | instskip(NEXT) | instid1(VALU_DEP_1)
	v_cndmask_b32_e64 v2, 0, 1, s1
	v_add_nc_u32_e32 v2, v4, v2
; %bb.541:
	s_or_b32 exec_lo, exec_lo, s25
.LBB315_542:
	s_mov_b32 s1, -1
.LBB315_543:
	s_mov_b32 s25, 0
.LBB315_544:
	s_delay_alu instid0(SALU_CYCLE_1)
	s_and_b32 vcc_lo, exec_lo, s25
	s_cbranch_vccz .LBB315_587
; %bb.545:
	s_cmp_gt_i32 s24, 22
	s_cbranch_scc0 .LBB315_559
; %bb.546:
	s_cmp_lt_i32 s24, 24
	s_cbranch_scc1 .LBB315_560
; %bb.547:
	s_cmp_gt_i32 s24, 24
	s_cbranch_scc0 .LBB315_561
; %bb.548:
	s_wait_loadcnt 0x0
	global_load_u8 v2, v[0:1], off
	s_mov_b32 s1, 0
	s_mov_b32 s25, exec_lo
	s_wait_loadcnt 0x0
	v_cmpx_lt_i16_e32 0x7f, v2
	s_xor_b32 s25, exec_lo, s25
	s_cbranch_execz .LBB315_552
; %bb.549:
	s_mov_b32 s1, -1
	s_mov_b32 s27, exec_lo
	v_cmpx_eq_u16_e32 0x80, v2
; %bb.550:
	s_xor_b32 s1, exec_lo, -1
; %bb.551:
	s_or_b32 exec_lo, exec_lo, s27
	s_delay_alu instid0(SALU_CYCLE_1)
	s_and_b32 s1, s1, exec_lo
.LBB315_552:
	s_or_saveexec_b32 s25, s25
	v_mov_b32_e32 v3, 0x7f800001
	v_and_b32_e32 v4, 0xffff, v2
	s_xor_b32 exec_lo, exec_lo, s25
; %bb.553:
	v_cmp_ne_u16_e32 vcc_lo, 0, v2
	s_delay_alu instid0(VALU_DEP_2) | instskip(SKIP_2) | instid1(SALU_CYCLE_1)
	v_mov_b32_e32 v3, v4
	s_and_not1_b32 s1, s1, exec_lo
	s_and_b32 s27, vcc_lo, exec_lo
	s_or_b32 s1, s1, s27
; %bb.554:
	s_or_b32 exec_lo, exec_lo, s25
	s_and_saveexec_b32 s25, s1
	s_cbranch_execz .LBB315_556
; %bb.555:
	v_and_b32_e32 v2, 3, v4
	s_delay_alu instid0(VALU_DEP_1) | instskip(NEXT) | instid1(VALU_DEP_1)
	v_clz_i32_u32_e32 v3, v2
	v_min_u32_e32 v3, 32, v3
	s_delay_alu instid0(VALU_DEP_1) | instskip(NEXT) | instid1(VALU_DEP_1)
	v_subrev_nc_u32_e32 v5, 29, v3
	v_lshlrev_b32_e32 v5, v5, v4
	v_bfe_u32 v4, v4, 2, 5
	s_delay_alu instid0(VALU_DEP_2) | instskip(NEXT) | instid1(VALU_DEP_2)
	v_dual_sub_nc_u32 v3, 30, v3 :: v_dual_bitop2_b32 v5, 3, v5 bitop3:0x40
	v_cmp_eq_u32_e32 vcc_lo, 0, v4
	s_delay_alu instid0(VALU_DEP_2) | instskip(NEXT) | instid1(VALU_DEP_1)
	v_dual_cndmask_b32 v3, v4, v3 :: v_dual_cndmask_b32 v2, v2, v5
	v_lshlrev_b32_e32 v2, 21, v2
	s_delay_alu instid0(VALU_DEP_1) | instskip(NEXT) | instid1(VALU_DEP_1)
	v_lshl_or_b32 v2, v3, 23, v2
	v_add_nc_u32_e32 v3, 0x37800000, v2
.LBB315_556:
	s_or_b32 exec_lo, exec_lo, s25
	s_delay_alu instid0(VALU_DEP_1) | instskip(SKIP_2) | instid1(VALU_DEP_2)
	v_lshrrev_b32_e32 v4, 23, v3
	v_mov_b32_e32 v2, 0xff
	s_mov_b32 s25, exec_lo
	v_cmpx_ne_u32_e32 0xff, v4
; %bb.557:
	v_and_b32_e32 v2, 0x400000, v3
	v_and_or_b32 v3, 0x3fffff, v3, v4
	s_delay_alu instid0(VALU_DEP_2) | instskip(NEXT) | instid1(VALU_DEP_2)
	v_cmp_ne_u32_e32 vcc_lo, 0, v2
	v_cmp_ne_u32_e64 s1, 0, v3
	s_and_b32 s1, vcc_lo, s1
	s_delay_alu instid0(SALU_CYCLE_1) | instskip(NEXT) | instid1(VALU_DEP_1)
	v_cndmask_b32_e64 v2, 0, 1, s1
	v_add_nc_u32_e32 v2, v4, v2
; %bb.558:
	s_or_b32 exec_lo, exec_lo, s25
	s_mov_b32 s1, 0
	s_branch .LBB315_562
.LBB315_559:
	s_mov_b32 s25, -1
                                        ; implicit-def: $vgpr2
	s_branch .LBB315_572
.LBB315_560:
	s_mov_b32 s1, -1
                                        ; implicit-def: $vgpr2
	s_branch .LBB315_567
.LBB315_561:
	s_mov_b32 s1, -1
                                        ; implicit-def: $vgpr2
.LBB315_562:
	s_delay_alu instid0(SALU_CYCLE_1)
	s_and_b32 vcc_lo, exec_lo, s1
	s_cbranch_vccz .LBB315_566
; %bb.563:
	s_wait_loadcnt 0x0
	global_load_u8 v2, v[0:1], off
	s_mov_b32 s25, exec_lo
	s_wait_loadcnt 0x0
	v_lshlrev_b32_e32 v2, 24, v2
	s_delay_alu instid0(VALU_DEP_1) | instskip(NEXT) | instid1(VALU_DEP_1)
	v_and_b32_e32 v2, 0x7f000000, v2
	v_clz_i32_u32_e32 v3, v2
	v_cmp_ne_u32_e32 vcc_lo, 0, v2
	v_add_nc_u32_e32 v5, 0x1000000, v2
	s_delay_alu instid0(VALU_DEP_3) | instskip(NEXT) | instid1(VALU_DEP_1)
	v_min_u32_e32 v3, 32, v3
	v_sub_nc_u32_e64 v3, v3, 4 clamp
	s_delay_alu instid0(VALU_DEP_1) | instskip(SKIP_1) | instid1(VALU_DEP_2)
	v_dual_lshlrev_b32 v4, v3, v2 :: v_dual_lshlrev_b32 v3, 23, v3
	v_mov_b32_e32 v2, 0xff
	v_lshrrev_b32_e32 v4, 4, v4
	s_delay_alu instid0(VALU_DEP_1) | instskip(NEXT) | instid1(VALU_DEP_1)
	v_dual_sub_nc_u32 v3, v4, v3 :: v_dual_ashrrev_i32 v4, 8, v5
	v_add_nc_u32_e32 v3, 0x3c000000, v3
	s_delay_alu instid0(VALU_DEP_1) | instskip(NEXT) | instid1(VALU_DEP_1)
	v_and_or_b32 v3, 0x7f800000, v4, v3
	v_cndmask_b32_e32 v4, 0, v3, vcc_lo
	s_delay_alu instid0(VALU_DEP_1) | instskip(SKIP_1) | instid1(VALU_DEP_1)
	v_lshrrev_b32_e32 v3, 23, v4
	s_wait_xcnt 0x0
	v_cmpx_ne_u32_e32 0xff, v3
; %bb.564:
	v_and_b32_e32 v2, 0x400000, v4
	v_and_or_b32 v4, 0x3fffff, v4, v3
	s_delay_alu instid0(VALU_DEP_2) | instskip(NEXT) | instid1(VALU_DEP_2)
	v_cmp_ne_u32_e32 vcc_lo, 0, v2
	v_cmp_ne_u32_e64 s1, 0, v4
	s_and_b32 s1, vcc_lo, s1
	s_delay_alu instid0(SALU_CYCLE_1) | instskip(NEXT) | instid1(VALU_DEP_1)
	v_cndmask_b32_e64 v2, 0, 1, s1
	v_add_nc_u32_e32 v2, v3, v2
; %bb.565:
	s_or_b32 exec_lo, exec_lo, s25
.LBB315_566:
	s_mov_b32 s1, 0
.LBB315_567:
	s_delay_alu instid0(SALU_CYCLE_1)
	s_and_not1_b32 vcc_lo, exec_lo, s1
	s_cbranch_vccnz .LBB315_571
; %bb.568:
	s_wait_loadcnt 0x0
	global_load_u8 v2, v[0:1], off
	s_mov_b32 s25, exec_lo
	s_wait_loadcnt 0x0
	v_dual_lshlrev_b32 v3, 25, v2 :: v_dual_lshlrev_b32 v2, 8, v2
	s_delay_alu instid0(VALU_DEP_1) | instskip(NEXT) | instid1(VALU_DEP_2)
	v_cmp_gt_u32_e32 vcc_lo, 0x8000000, v3
	v_and_or_b32 v2, 0x7f00, v2, 0.5
	s_delay_alu instid0(VALU_DEP_1) | instskip(NEXT) | instid1(VALU_DEP_1)
	v_dual_lshrrev_b32 v4, 4, v3 :: v_dual_add_f32 v2, -0.5, v2
	v_or_b32_e32 v4, 0x70000000, v4
	s_delay_alu instid0(VALU_DEP_1) | instskip(NEXT) | instid1(VALU_DEP_1)
	v_mul_f32_e32 v4, 0x7800000, v4
	v_dual_cndmask_b32 v3, v4, v2 :: v_dual_mov_b32 v2, 0xff
	s_delay_alu instid0(VALU_DEP_1) | instskip(SKIP_1) | instid1(VALU_DEP_1)
	v_bfe_u32 v4, v3, 23, 8
	s_wait_xcnt 0x0
	v_cmpx_ne_u32_e32 0xff, v4
	s_cbranch_execz .LBB315_570
; %bb.569:
	v_and_b32_e32 v2, 0x400000, v3
	v_and_or_b32 v4, 0x3fffff, v3, v4
	s_delay_alu instid0(VALU_DEP_2) | instskip(NEXT) | instid1(VALU_DEP_2)
	v_cmp_ne_u32_e32 vcc_lo, 0, v2
	v_cmp_ne_u32_e64 s1, 0, v4
	v_lshrrev_b32_e32 v2, 23, v3
	s_and_b32 s1, vcc_lo, s1
	s_delay_alu instid0(SALU_CYCLE_1) | instskip(NEXT) | instid1(VALU_DEP_1)
	v_cndmask_b32_e64 v3, 0, 1, s1
	v_add_nc_u32_e32 v2, v2, v3
.LBB315_570:
	s_or_b32 exec_lo, exec_lo, s25
.LBB315_571:
	s_mov_b32 s25, 0
	s_mov_b32 s1, -1
.LBB315_572:
	s_and_not1_b32 vcc_lo, exec_lo, s25
	s_cbranch_vccnz .LBB315_587
; %bb.573:
	s_cmp_gt_i32 s24, 14
	s_cbranch_scc0 .LBB315_578
; %bb.574:
	s_cmp_eq_u32 s24, 15
	s_cbranch_scc0 .LBB315_579
; %bb.575:
	s_wait_loadcnt 0x0
	global_load_u16 v3, v[0:1], off
	v_mov_b32_e32 v2, 0xff
	s_mov_b32 s23, exec_lo
	s_wait_loadcnt 0x0
	v_bfe_u32 v4, v3, 7, 8
	s_wait_xcnt 0x0
	s_delay_alu instid0(VALU_DEP_1)
	v_cmpx_ne_u32_e32 0xff, v4
	s_cbranch_execz .LBB315_577
; %bb.576:
	v_dual_lshlrev_b32 v2, 16, v3 :: v_dual_bitop2_b32 v5, 64, v3 bitop3:0x40
	s_delay_alu instid0(VALU_DEP_1) | instskip(NEXT) | instid1(VALU_DEP_2)
	v_and_or_b32 v2, 0x3f0000, v2, v4
	v_cmp_ne_u32_e32 vcc_lo, 0, v5
	s_delay_alu instid0(VALU_DEP_2) | instskip(SKIP_2) | instid1(SALU_CYCLE_1)
	v_cmp_ne_u32_e64 s1, 0, v2
	v_lshrrev_b32_e32 v2, 7, v3
	s_and_b32 s1, vcc_lo, s1
	v_cndmask_b32_e64 v3, 0, 1, s1
	s_delay_alu instid0(VALU_DEP_1)
	v_add_nc_u32_e32 v2, v2, v3
.LBB315_577:
	s_or_b32 exec_lo, exec_lo, s23
	s_mov_b32 s1, -1
	s_mov_b32 s23, 0
	s_branch .LBB315_580
.LBB315_578:
	s_mov_b32 s25, -1
                                        ; implicit-def: $vgpr2
	s_branch .LBB315_581
.LBB315_579:
	s_mov_b32 s23, -1
                                        ; implicit-def: $vgpr2
.LBB315_580:
	s_mov_b32 s25, 0
.LBB315_581:
	s_delay_alu instid0(SALU_CYCLE_1)
	s_and_b32 vcc_lo, exec_lo, s25
	s_cbranch_vccz .LBB315_587
; %bb.582:
	s_cmp_eq_u32 s24, 11
	s_cbranch_scc0 .LBB315_586
; %bb.583:
	s_wait_loadcnt 0x0
	global_load_u8 v2, v[0:1], off
	s_mov_b32 s23, 0
	s_mov_b32 s24, exec_lo
	s_wait_loadcnt 0x0
	v_cmp_ne_u16_e32 vcc_lo, 0, v2
	v_mov_b32_e32 v2, 0xff
	v_cndmask_b32_e64 v4, 0, 1.0, vcc_lo
	s_delay_alu instid0(VALU_DEP_1) | instskip(SKIP_1) | instid1(VALU_DEP_1)
	v_lshrrev_b32_e32 v3, 23, v4
	s_wait_xcnt 0x0
	v_cmpx_ne_u32_e32 0xff, v3
; %bb.584:
	v_and_b32_e32 v2, 0x400000, v4
	v_and_or_b32 v4, 0x3fffff, v4, v3
	s_delay_alu instid0(VALU_DEP_2) | instskip(NEXT) | instid1(VALU_DEP_2)
	v_cmp_ne_u32_e32 vcc_lo, 0, v2
	v_cmp_ne_u32_e64 s1, 0, v4
	s_and_b32 s1, vcc_lo, s1
	s_delay_alu instid0(SALU_CYCLE_1) | instskip(NEXT) | instid1(VALU_DEP_1)
	v_cndmask_b32_e64 v2, 0, 1, s1
	v_add_nc_u32_e32 v2, v3, v2
; %bb.585:
	s_or_b32 exec_lo, exec_lo, s24
	s_mov_b32 s1, -1
	s_branch .LBB315_587
.LBB315_586:
	s_mov_b32 s23, -1
                                        ; implicit-def: $vgpr2
.LBB315_587:
	s_branch .LBB315_482
.LBB315_588:
	s_and_b32 s2, 0xffff, s2
	s_delay_alu instid0(SALU_CYCLE_1)
	s_cmp_lt_i32 s2, 5
	s_cbranch_scc1 .LBB315_595
; %bb.589:
	s_cmp_lt_i32 s2, 8
	s_cbranch_scc1 .LBB315_596
; %bb.590:
	;; [unrolled: 3-line block ×3, first 2 shown]
	s_cmp_gt_i32 s2, 9
	s_cbranch_scc0 .LBB315_598
; %bb.592:
	s_wait_loadcnt 0x0
	global_load_b64 v[2:3], v[0:1], off
	s_mov_b32 s24, exec_lo
	s_wait_loadcnt 0x0
	v_cvt_f32_f64_e32 v3, v[2:3]
	v_mov_b32_e32 v2, 0xff
	s_delay_alu instid0(VALU_DEP_2) | instskip(SKIP_1) | instid1(VALU_DEP_1)
	v_bfe_u32 v4, v3, 23, 8
	s_wait_xcnt 0x0
	v_cmpx_ne_u32_e32 0xff, v4
	s_cbranch_execz .LBB315_594
; %bb.593:
	v_and_b32_e32 v2, 0x400000, v3
	v_and_or_b32 v4, 0x3fffff, v3, v4
	s_delay_alu instid0(VALU_DEP_2) | instskip(NEXT) | instid1(VALU_DEP_2)
	v_cmp_ne_u32_e32 vcc_lo, 0, v2
	v_cmp_ne_u32_e64 s1, 0, v4
	v_lshrrev_b32_e32 v2, 23, v3
	s_and_b32 s1, vcc_lo, s1
	s_delay_alu instid0(SALU_CYCLE_1) | instskip(NEXT) | instid1(VALU_DEP_1)
	v_cndmask_b32_e64 v3, 0, 1, s1
	v_add_nc_u32_e32 v2, v2, v3
.LBB315_594:
	s_or_b32 exec_lo, exec_lo, s24
	s_mov_b32 s1, 0
	s_branch .LBB315_599
.LBB315_595:
	s_mov_b32 s1, -1
                                        ; implicit-def: $vgpr2
	s_branch .LBB315_627
.LBB315_596:
	s_mov_b32 s1, -1
                                        ; implicit-def: $vgpr2
	s_branch .LBB315_609
.LBB315_597:
	s_mov_b32 s1, -1
                                        ; implicit-def: $vgpr2
	s_branch .LBB315_604
.LBB315_598:
	s_mov_b32 s1, -1
                                        ; implicit-def: $vgpr2
.LBB315_599:
	s_delay_alu instid0(SALU_CYCLE_1)
	s_and_not1_b32 vcc_lo, exec_lo, s1
	s_cbranch_vccnz .LBB315_603
; %bb.600:
	s_wait_loadcnt 0x0
	global_load_b32 v3, v[0:1], off
	v_mov_b32_e32 v2, 0xff
	s_mov_b32 s24, exec_lo
	s_wait_loadcnt 0x0
	v_bfe_u32 v4, v3, 23, 8
	s_wait_xcnt 0x0
	s_delay_alu instid0(VALU_DEP_1)
	v_cmpx_ne_u32_e32 0xff, v4
	s_cbranch_execz .LBB315_602
; %bb.601:
	v_and_b32_e32 v2, 0x400000, v3
	v_and_or_b32 v4, 0x3fffff, v3, v4
	s_delay_alu instid0(VALU_DEP_2) | instskip(NEXT) | instid1(VALU_DEP_2)
	v_cmp_ne_u32_e32 vcc_lo, 0, v2
	v_cmp_ne_u32_e64 s1, 0, v4
	v_lshrrev_b32_e32 v2, 23, v3
	s_and_b32 s1, vcc_lo, s1
	s_delay_alu instid0(SALU_CYCLE_1) | instskip(NEXT) | instid1(VALU_DEP_1)
	v_cndmask_b32_e64 v3, 0, 1, s1
	v_add_nc_u32_e32 v2, v2, v3
.LBB315_602:
	s_or_b32 exec_lo, exec_lo, s24
.LBB315_603:
	s_mov_b32 s1, 0
.LBB315_604:
	s_delay_alu instid0(SALU_CYCLE_1)
	s_and_not1_b32 vcc_lo, exec_lo, s1
	s_cbranch_vccnz .LBB315_608
; %bb.605:
	s_wait_loadcnt 0x0
	global_load_b32 v2, v[0:1], off
	s_mov_b32 s24, exec_lo
	s_wait_loadcnt 0x0
	v_cvt_f32_f16_e32 v3, v2
	v_mov_b32_e32 v2, 0xff
	s_delay_alu instid0(VALU_DEP_2) | instskip(SKIP_1) | instid1(VALU_DEP_1)
	v_bfe_u32 v4, v3, 23, 8
	s_wait_xcnt 0x0
	v_cmpx_ne_u32_e32 0xff, v4
	s_cbranch_execz .LBB315_607
; %bb.606:
	v_and_b32_e32 v2, 0x400000, v3
	v_and_or_b32 v4, 0x3fffff, v3, v4
	s_delay_alu instid0(VALU_DEP_2) | instskip(NEXT) | instid1(VALU_DEP_2)
	v_cmp_ne_u32_e32 vcc_lo, 0, v2
	v_cmp_ne_u32_e64 s1, 0, v4
	v_lshrrev_b32_e32 v2, 23, v3
	s_and_b32 s1, vcc_lo, s1
	s_delay_alu instid0(SALU_CYCLE_1) | instskip(NEXT) | instid1(VALU_DEP_1)
	v_cndmask_b32_e64 v3, 0, 1, s1
	v_add_nc_u32_e32 v2, v2, v3
.LBB315_607:
	s_or_b32 exec_lo, exec_lo, s24
.LBB315_608:
	s_mov_b32 s1, 0
.LBB315_609:
	s_delay_alu instid0(SALU_CYCLE_1)
	s_and_not1_b32 vcc_lo, exec_lo, s1
	s_cbranch_vccnz .LBB315_626
; %bb.610:
	s_cmp_lt_i32 s2, 6
	s_cbranch_scc1 .LBB315_615
; %bb.611:
	s_cmp_gt_i32 s2, 6
	s_cbranch_scc0 .LBB315_616
; %bb.612:
	s_wait_loadcnt 0x0
	global_load_b64 v[2:3], v[0:1], off
	s_mov_b32 s24, exec_lo
	s_wait_loadcnt 0x0
	v_cvt_f32_f64_e32 v3, v[2:3]
	v_mov_b32_e32 v2, 0xff
	s_delay_alu instid0(VALU_DEP_2) | instskip(SKIP_1) | instid1(VALU_DEP_1)
	v_bfe_u32 v4, v3, 23, 8
	s_wait_xcnt 0x0
	v_cmpx_ne_u32_e32 0xff, v4
	s_cbranch_execz .LBB315_614
; %bb.613:
	v_and_b32_e32 v2, 0x400000, v3
	v_and_or_b32 v4, 0x3fffff, v3, v4
	s_delay_alu instid0(VALU_DEP_2) | instskip(NEXT) | instid1(VALU_DEP_2)
	v_cmp_ne_u32_e32 vcc_lo, 0, v2
	v_cmp_ne_u32_e64 s1, 0, v4
	v_lshrrev_b32_e32 v2, 23, v3
	s_and_b32 s1, vcc_lo, s1
	s_delay_alu instid0(SALU_CYCLE_1) | instskip(NEXT) | instid1(VALU_DEP_1)
	v_cndmask_b32_e64 v3, 0, 1, s1
	v_add_nc_u32_e32 v2, v2, v3
.LBB315_614:
	s_or_b32 exec_lo, exec_lo, s24
	s_mov_b32 s1, 0
	s_branch .LBB315_617
.LBB315_615:
	s_mov_b32 s1, -1
                                        ; implicit-def: $vgpr2
	s_branch .LBB315_622
.LBB315_616:
	s_mov_b32 s1, -1
                                        ; implicit-def: $vgpr2
.LBB315_617:
	s_delay_alu instid0(SALU_CYCLE_1)
	s_and_not1_b32 vcc_lo, exec_lo, s1
	s_cbranch_vccnz .LBB315_621
; %bb.618:
	s_wait_loadcnt 0x0
	global_load_b32 v3, v[0:1], off
	v_mov_b32_e32 v2, 0xff
	s_mov_b32 s24, exec_lo
	s_wait_loadcnt 0x0
	v_bfe_u32 v4, v3, 23, 8
	s_wait_xcnt 0x0
	s_delay_alu instid0(VALU_DEP_1)
	v_cmpx_ne_u32_e32 0xff, v4
	s_cbranch_execz .LBB315_620
; %bb.619:
	v_and_b32_e32 v2, 0x400000, v3
	v_and_or_b32 v4, 0x3fffff, v3, v4
	s_delay_alu instid0(VALU_DEP_2) | instskip(NEXT) | instid1(VALU_DEP_2)
	v_cmp_ne_u32_e32 vcc_lo, 0, v2
	v_cmp_ne_u32_e64 s1, 0, v4
	v_lshrrev_b32_e32 v2, 23, v3
	s_and_b32 s1, vcc_lo, s1
	s_delay_alu instid0(SALU_CYCLE_1) | instskip(NEXT) | instid1(VALU_DEP_1)
	v_cndmask_b32_e64 v3, 0, 1, s1
	v_add_nc_u32_e32 v2, v2, v3
.LBB315_620:
	s_or_b32 exec_lo, exec_lo, s24
.LBB315_621:
	s_mov_b32 s1, 0
.LBB315_622:
	s_delay_alu instid0(SALU_CYCLE_1)
	s_and_not1_b32 vcc_lo, exec_lo, s1
	s_cbranch_vccnz .LBB315_626
; %bb.623:
	s_wait_loadcnt 0x0
	global_load_u16 v2, v[0:1], off
	s_mov_b32 s24, exec_lo
	s_wait_loadcnt 0x0
	v_cvt_f32_f16_e32 v3, v2
	v_mov_b32_e32 v2, 0xff
	s_delay_alu instid0(VALU_DEP_2) | instskip(SKIP_1) | instid1(VALU_DEP_1)
	v_bfe_u32 v4, v3, 23, 8
	s_wait_xcnt 0x0
	v_cmpx_ne_u32_e32 0xff, v4
	s_cbranch_execz .LBB315_625
; %bb.624:
	v_and_b32_e32 v2, 0x400000, v3
	v_and_or_b32 v4, 0x3fffff, v3, v4
	s_delay_alu instid0(VALU_DEP_2) | instskip(NEXT) | instid1(VALU_DEP_2)
	v_cmp_ne_u32_e32 vcc_lo, 0, v2
	v_cmp_ne_u32_e64 s1, 0, v4
	v_lshrrev_b32_e32 v2, 23, v3
	s_and_b32 s1, vcc_lo, s1
	s_delay_alu instid0(SALU_CYCLE_1) | instskip(NEXT) | instid1(VALU_DEP_1)
	v_cndmask_b32_e64 v3, 0, 1, s1
	v_add_nc_u32_e32 v2, v2, v3
.LBB315_625:
	s_or_b32 exec_lo, exec_lo, s24
.LBB315_626:
	s_mov_b32 s1, 0
.LBB315_627:
	s_delay_alu instid0(SALU_CYCLE_1)
	s_and_not1_b32 vcc_lo, exec_lo, s1
	s_cbranch_vccnz .LBB315_657
; %bb.628:
	s_cmp_lt_i32 s2, 2
	s_cbranch_scc1 .LBB315_634
; %bb.629:
	s_cmp_lt_i32 s2, 3
	s_cbranch_scc1 .LBB315_635
; %bb.630:
	s_cmp_gt_i32 s2, 3
	s_cbranch_scc0 .LBB315_636
; %bb.631:
	s_wait_loadcnt 0x0
	global_load_b64 v[2:3], v[0:1], off
	s_mov_b32 s24, exec_lo
	s_wait_loadcnt 0x0
	v_xor_b32_e32 v4, v2, v3
	v_cls_i32_e32 v5, v3
	s_delay_alu instid0(VALU_DEP_2) | instskip(NEXT) | instid1(VALU_DEP_1)
	v_ashrrev_i32_e32 v4, 31, v4
	v_add_nc_u32_e32 v4, 32, v4
	s_delay_alu instid0(VALU_DEP_1) | instskip(NEXT) | instid1(VALU_DEP_1)
	v_add_min_u32_e64 v4, v5, -1, v4
	v_lshlrev_b64_e32 v[2:3], v4, v[2:3]
	s_delay_alu instid0(VALU_DEP_1) | instskip(NEXT) | instid1(VALU_DEP_1)
	v_min_u32_e32 v2, 1, v2
	v_dual_sub_nc_u32 v3, 32, v4 :: v_dual_bitop2_b32 v2, v3, v2 bitop3:0x54
	s_delay_alu instid0(VALU_DEP_1) | instskip(NEXT) | instid1(VALU_DEP_1)
	v_cvt_f32_i32_e32 v2, v2
	v_ldexp_f32 v3, v2, v3
	v_mov_b32_e32 v2, 0xff
	s_delay_alu instid0(VALU_DEP_2) | instskip(SKIP_1) | instid1(VALU_DEP_1)
	v_bfe_u32 v4, v3, 23, 8
	s_wait_xcnt 0x0
	v_cmpx_ne_u32_e32 0xff, v4
	s_cbranch_execz .LBB315_633
; %bb.632:
	v_and_b32_e32 v2, 0x400000, v3
	v_and_or_b32 v4, 0x3fffff, v3, v4
	s_delay_alu instid0(VALU_DEP_2) | instskip(NEXT) | instid1(VALU_DEP_2)
	v_cmp_ne_u32_e32 vcc_lo, 0, v2
	v_cmp_ne_u32_e64 s1, 0, v4
	v_lshrrev_b32_e32 v2, 23, v3
	s_and_b32 s1, vcc_lo, s1
	s_delay_alu instid0(SALU_CYCLE_1) | instskip(NEXT) | instid1(VALU_DEP_1)
	v_cndmask_b32_e64 v3, 0, 1, s1
	v_add_nc_u32_e32 v2, v2, v3
.LBB315_633:
	s_or_b32 exec_lo, exec_lo, s24
	s_mov_b32 s1, 0
	s_branch .LBB315_637
.LBB315_634:
	s_mov_b32 s1, -1
                                        ; implicit-def: $vgpr2
	s_branch .LBB315_647
.LBB315_635:
	s_mov_b32 s1, -1
                                        ; implicit-def: $vgpr2
	s_branch .LBB315_642
.LBB315_636:
	s_mov_b32 s1, -1
                                        ; implicit-def: $vgpr2
.LBB315_637:
	s_delay_alu instid0(SALU_CYCLE_1)
	s_and_not1_b32 vcc_lo, exec_lo, s1
	s_cbranch_vccnz .LBB315_641
; %bb.638:
	s_wait_loadcnt 0x0
	global_load_b32 v2, v[0:1], off
	s_mov_b32 s24, exec_lo
	s_wait_loadcnt 0x0
	v_cvt_f32_i32_e32 v3, v2
	v_mov_b32_e32 v2, 0xff
	s_delay_alu instid0(VALU_DEP_2) | instskip(SKIP_1) | instid1(VALU_DEP_1)
	v_bfe_u32 v4, v3, 23, 8
	s_wait_xcnt 0x0
	v_cmpx_ne_u32_e32 0xff, v4
	s_cbranch_execz .LBB315_640
; %bb.639:
	v_and_b32_e32 v2, 0x400000, v3
	v_and_or_b32 v4, 0x3fffff, v3, v4
	s_delay_alu instid0(VALU_DEP_2) | instskip(NEXT) | instid1(VALU_DEP_2)
	v_cmp_ne_u32_e32 vcc_lo, 0, v2
	v_cmp_ne_u32_e64 s1, 0, v4
	v_lshrrev_b32_e32 v2, 23, v3
	s_and_b32 s1, vcc_lo, s1
	s_delay_alu instid0(SALU_CYCLE_1) | instskip(NEXT) | instid1(VALU_DEP_1)
	v_cndmask_b32_e64 v3, 0, 1, s1
	v_add_nc_u32_e32 v2, v2, v3
.LBB315_640:
	s_or_b32 exec_lo, exec_lo, s24
.LBB315_641:
	s_mov_b32 s1, 0
.LBB315_642:
	s_delay_alu instid0(SALU_CYCLE_1)
	s_and_not1_b32 vcc_lo, exec_lo, s1
	s_cbranch_vccnz .LBB315_646
; %bb.643:
	s_wait_loadcnt 0x0
	global_load_i16 v2, v[0:1], off
	s_mov_b32 s24, exec_lo
	s_wait_loadcnt 0x0
	v_cvt_f32_i32_e32 v3, v2
	v_mov_b32_e32 v2, 0xff
	s_delay_alu instid0(VALU_DEP_2) | instskip(SKIP_1) | instid1(VALU_DEP_1)
	v_bfe_u32 v4, v3, 23, 8
	s_wait_xcnt 0x0
	v_cmpx_ne_u32_e32 0xff, v4
	s_cbranch_execz .LBB315_645
; %bb.644:
	v_and_b32_e32 v2, 0x400000, v3
	v_and_or_b32 v4, 0x3fffff, v3, v4
	s_delay_alu instid0(VALU_DEP_2) | instskip(NEXT) | instid1(VALU_DEP_2)
	v_cmp_ne_u32_e32 vcc_lo, 0, v2
	v_cmp_ne_u32_e64 s1, 0, v4
	v_lshrrev_b32_e32 v2, 23, v3
	s_and_b32 s1, vcc_lo, s1
	s_delay_alu instid0(SALU_CYCLE_1) | instskip(NEXT) | instid1(VALU_DEP_1)
	v_cndmask_b32_e64 v3, 0, 1, s1
	v_add_nc_u32_e32 v2, v2, v3
.LBB315_645:
	s_or_b32 exec_lo, exec_lo, s24
.LBB315_646:
	s_mov_b32 s1, 0
.LBB315_647:
	s_delay_alu instid0(SALU_CYCLE_1)
	s_and_not1_b32 vcc_lo, exec_lo, s1
	s_cbranch_vccnz .LBB315_657
; %bb.648:
	s_cmp_gt_i32 s2, 0
	s_cbranch_scc0 .LBB315_652
; %bb.649:
	s_wait_loadcnt 0x0
	global_load_i8 v2, v[0:1], off
	s_mov_b32 s2, exec_lo
	s_wait_loadcnt 0x0
	v_cvt_f32_i32_e32 v3, v2
	v_mov_b32_e32 v2, 0xff
	s_delay_alu instid0(VALU_DEP_2) | instskip(SKIP_1) | instid1(VALU_DEP_1)
	v_bfe_u32 v4, v3, 23, 8
	s_wait_xcnt 0x0
	v_cmpx_ne_u32_e32 0xff, v4
	s_cbranch_execz .LBB315_651
; %bb.650:
	v_and_b32_e32 v2, 0x400000, v3
	v_and_or_b32 v4, 0x3fffff, v3, v4
	s_delay_alu instid0(VALU_DEP_2) | instskip(NEXT) | instid1(VALU_DEP_2)
	v_cmp_ne_u32_e32 vcc_lo, 0, v2
	v_cmp_ne_u32_e64 s1, 0, v4
	v_lshrrev_b32_e32 v2, 23, v3
	s_and_b32 s1, vcc_lo, s1
	s_delay_alu instid0(SALU_CYCLE_1) | instskip(NEXT) | instid1(VALU_DEP_1)
	v_cndmask_b32_e64 v3, 0, 1, s1
	v_add_nc_u32_e32 v2, v2, v3
.LBB315_651:
	s_or_b32 exec_lo, exec_lo, s2
	s_mov_b32 s1, 0
	s_branch .LBB315_653
.LBB315_652:
	s_mov_b32 s1, -1
                                        ; implicit-def: $vgpr2
.LBB315_653:
	s_delay_alu instid0(SALU_CYCLE_1)
	s_and_not1_b32 vcc_lo, exec_lo, s1
	s_cbranch_vccnz .LBB315_657
; %bb.654:
	global_load_u8 v0, v[0:1], off
	s_wait_loadcnt 0x1
	v_mov_b32_e32 v2, 0xff
	s_mov_b32 s2, exec_lo
	s_wait_loadcnt 0x0
	v_cvt_f32_ubyte0_e32 v1, v0
	s_delay_alu instid0(VALU_DEP_1) | instskip(NEXT) | instid1(VALU_DEP_1)
	v_lshrrev_b32_e32 v0, 23, v1
	v_cmpx_ne_u32_e32 0xff, v0
; %bb.655:
	v_and_b32_e32 v2, 0x400000, v1
	v_and_or_b32 v1, 0x3fffff, v1, v0
	s_delay_alu instid0(VALU_DEP_2) | instskip(NEXT) | instid1(VALU_DEP_2)
	v_cmp_ne_u32_e32 vcc_lo, 0, v2
	v_cmp_ne_u32_e64 s1, 0, v1
	s_and_b32 s1, vcc_lo, s1
	s_delay_alu instid0(SALU_CYCLE_1) | instskip(NEXT) | instid1(VALU_DEP_1)
	v_cndmask_b32_e64 v1, 0, 1, s1
	v_add_nc_u32_e32 v2, v0, v1
; %bb.656:
	s_or_b32 exec_lo, exec_lo, s2
.LBB315_657:
	s_branch .LBB315_483
.LBB315_658:
	s_mov_b32 s1, 0
	s_mov_b32 s2, s18
	;; [unrolled: 1-line block ×3, first 2 shown]
	s_branch .LBB315_866
.LBB315_659:
	s_and_not1_saveexec_b32 s27, s27
	s_cbranch_execz .LBB315_275
.LBB315_660:
	v_add_f32_e32 v2, 0x42800000, v3
	s_and_not1_b32 s26, s26, exec_lo
	s_delay_alu instid0(VALU_DEP_1) | instskip(NEXT) | instid1(VALU_DEP_1)
	v_and_b32_e32 v2, 0xff, v2
	v_cmp_ne_u32_e32 vcc_lo, 0, v2
	s_and_b32 s28, vcc_lo, exec_lo
	s_delay_alu instid0(SALU_CYCLE_1)
	s_or_b32 s26, s26, s28
	s_or_b32 exec_lo, exec_lo, s27
	v_mov_b32_e32 v4, 0
	s_and_saveexec_b32 s27, s26
	s_cbranch_execnz .LBB315_276
	s_branch .LBB315_277
.LBB315_661:
	s_mov_b32 s25, -1
	s_mov_b32 s1, 0
.LBB315_662:
                                        ; implicit-def: $vgpr3
.LBB315_663:
	s_and_b32 vcc_lo, exec_lo, s27
	s_cbranch_vccz .LBB315_667
; %bb.664:
	s_cmp_eq_u32 s24, 44
	s_cbranch_scc0 .LBB315_666
; %bb.665:
	s_wait_loadcnt 0x0
	global_load_u8 v3, v[0:1], off
	s_mov_b32 s1, -1
	s_mov_b32 s25, 0
	s_branch .LBB315_667
.LBB315_666:
	s_mov_b32 s25, -1
                                        ; implicit-def: $vgpr3
.LBB315_667:
	s_mov_b32 s27, 0
.LBB315_668:
	s_delay_alu instid0(SALU_CYCLE_1)
	s_and_b32 vcc_lo, exec_lo, s27
	s_cbranch_vccz .LBB315_674
; %bb.669:
	s_cmp_eq_u32 s24, 29
	s_cbranch_scc0 .LBB315_673
; %bb.670:
	global_load_b64 v[4:5], v[0:1], off
	s_mov_b32 s25, exec_lo
	s_wait_loadcnt 0x0
	v_clz_i32_u32_e32 v3, v5
	s_delay_alu instid0(VALU_DEP_1) | instskip(NEXT) | instid1(VALU_DEP_1)
	v_min_u32_e32 v3, 32, v3
	v_lshlrev_b64_e32 v[4:5], v3, v[4:5]
	v_sub_nc_u32_e32 v3, 32, v3
	s_delay_alu instid0(VALU_DEP_2) | instskip(NEXT) | instid1(VALU_DEP_1)
	v_min_u32_e32 v4, 1, v4
	v_or_b32_e32 v4, v5, v4
	s_delay_alu instid0(VALU_DEP_1) | instskip(NEXT) | instid1(VALU_DEP_1)
	v_cvt_f32_u32_e32 v4, v4
	v_ldexp_f32 v5, v4, v3
	s_delay_alu instid0(VALU_DEP_1) | instskip(SKIP_1) | instid1(VALU_DEP_1)
	v_dual_mov_b32 v3, 0xff :: v_dual_lshrrev_b32 v4, 23, v5
	s_wait_xcnt 0x0
	v_cmpx_ne_u32_e32 0xff, v4
; %bb.671:
	v_and_b32_e32 v3, 0x400000, v5
	v_and_or_b32 v5, 0x3fffff, v5, v4
	s_delay_alu instid0(VALU_DEP_2) | instskip(NEXT) | instid1(VALU_DEP_2)
	v_cmp_ne_u32_e32 vcc_lo, 0, v3
	v_cmp_ne_u32_e64 s1, 0, v5
	s_and_b32 s1, vcc_lo, s1
	s_delay_alu instid0(SALU_CYCLE_1) | instskip(NEXT) | instid1(VALU_DEP_1)
	v_cndmask_b32_e64 v3, 0, 1, s1
	v_add_nc_u32_e32 v3, v4, v3
; %bb.672:
	s_or_b32 exec_lo, exec_lo, s25
	s_mov_b32 s1, -1
	s_mov_b32 s25, 0
	s_branch .LBB315_674
.LBB315_673:
	s_mov_b32 s25, -1
                                        ; implicit-def: $vgpr3
.LBB315_674:
	s_mov_b32 s27, 0
.LBB315_675:
	s_delay_alu instid0(SALU_CYCLE_1)
	s_and_b32 vcc_lo, exec_lo, s27
	s_cbranch_vccz .LBB315_701
; %bb.676:
	s_cmp_lt_i32 s24, 27
	s_cbranch_scc1 .LBB315_681
; %bb.677:
	s_cmp_gt_i32 s24, 27
	s_cbranch_scc0 .LBB315_682
; %bb.678:
	s_wait_loadcnt 0x0
	global_load_b32 v3, v[0:1], off
	s_mov_b32 s27, exec_lo
	s_wait_loadcnt 0x0
	v_cvt_f32_u32_e32 v5, v3
	s_delay_alu instid0(VALU_DEP_1) | instskip(SKIP_1) | instid1(VALU_DEP_1)
	v_dual_mov_b32 v3, 0xff :: v_dual_lshrrev_b32 v4, 23, v5
	s_wait_xcnt 0x0
	v_cmpx_ne_u32_e32 0xff, v4
; %bb.679:
	v_and_b32_e32 v3, 0x400000, v5
	v_and_or_b32 v5, 0x3fffff, v5, v4
	s_delay_alu instid0(VALU_DEP_2) | instskip(NEXT) | instid1(VALU_DEP_2)
	v_cmp_ne_u32_e32 vcc_lo, 0, v3
	v_cmp_ne_u32_e64 s1, 0, v5
	s_and_b32 s1, vcc_lo, s1
	s_delay_alu instid0(SALU_CYCLE_1) | instskip(NEXT) | instid1(VALU_DEP_1)
	v_cndmask_b32_e64 v3, 0, 1, s1
	v_add_nc_u32_e32 v3, v4, v3
; %bb.680:
	s_or_b32 exec_lo, exec_lo, s27
	s_mov_b32 s1, 0
	s_branch .LBB315_683
.LBB315_681:
	s_mov_b32 s1, -1
                                        ; implicit-def: $vgpr3
	s_branch .LBB315_688
.LBB315_682:
	s_mov_b32 s1, -1
                                        ; implicit-def: $vgpr3
.LBB315_683:
	s_delay_alu instid0(SALU_CYCLE_1)
	s_and_not1_b32 vcc_lo, exec_lo, s1
	s_cbranch_vccnz .LBB315_687
; %bb.684:
	s_wait_loadcnt 0x0
	global_load_u16 v3, v[0:1], off
	s_mov_b32 s27, exec_lo
	s_wait_loadcnt 0x0
	v_cvt_f32_u32_e32 v5, v3
	s_delay_alu instid0(VALU_DEP_1) | instskip(SKIP_1) | instid1(VALU_DEP_1)
	v_dual_mov_b32 v3, 0xff :: v_dual_lshrrev_b32 v4, 23, v5
	s_wait_xcnt 0x0
	v_cmpx_ne_u32_e32 0xff, v4
; %bb.685:
	v_and_b32_e32 v3, 0x400000, v5
	v_and_or_b32 v5, 0x3fffff, v5, v4
	s_delay_alu instid0(VALU_DEP_2) | instskip(NEXT) | instid1(VALU_DEP_2)
	v_cmp_ne_u32_e32 vcc_lo, 0, v3
	v_cmp_ne_u32_e64 s1, 0, v5
	s_and_b32 s1, vcc_lo, s1
	s_delay_alu instid0(SALU_CYCLE_1) | instskip(NEXT) | instid1(VALU_DEP_1)
	v_cndmask_b32_e64 v3, 0, 1, s1
	v_add_nc_u32_e32 v3, v4, v3
; %bb.686:
	s_or_b32 exec_lo, exec_lo, s27
.LBB315_687:
	s_mov_b32 s1, 0
.LBB315_688:
	s_delay_alu instid0(SALU_CYCLE_1)
	s_and_not1_b32 vcc_lo, exec_lo, s1
	s_cbranch_vccnz .LBB315_700
; %bb.689:
	s_wait_loadcnt 0x0
	global_load_u8 v3, v[0:1], off
	s_mov_b32 s1, 0
	s_mov_b32 s27, exec_lo
	s_wait_loadcnt 0x0
	v_cmpx_lt_i16_e32 0x7f, v3
	s_xor_b32 s27, exec_lo, s27
	s_cbranch_execz .LBB315_693
; %bb.690:
	s_mov_b32 s1, -1
	s_mov_b32 s28, exec_lo
	v_cmpx_eq_u16_e32 0x80, v3
; %bb.691:
	s_xor_b32 s1, exec_lo, -1
; %bb.692:
	s_or_b32 exec_lo, exec_lo, s28
	s_delay_alu instid0(SALU_CYCLE_1)
	s_and_b32 s1, s1, exec_lo
.LBB315_693:
	s_or_saveexec_b32 s27, s27
	v_mov_b32_e32 v4, 0x7f800001
	v_and_b32_e32 v5, 0xffff, v3
	s_xor_b32 exec_lo, exec_lo, s27
; %bb.694:
	v_cmp_ne_u16_e32 vcc_lo, 0, v3
	s_delay_alu instid0(VALU_DEP_2) | instskip(SKIP_2) | instid1(SALU_CYCLE_1)
	v_mov_b32_e32 v4, v5
	s_and_not1_b32 s1, s1, exec_lo
	s_and_b32 s28, vcc_lo, exec_lo
	s_or_b32 s1, s1, s28
; %bb.695:
	s_or_b32 exec_lo, exec_lo, s27
	s_and_saveexec_b32 s27, s1
	s_cbranch_execz .LBB315_697
; %bb.696:
	v_and_b32_e32 v3, 7, v5
	s_delay_alu instid0(VALU_DEP_1) | instskip(NEXT) | instid1(VALU_DEP_1)
	v_clz_i32_u32_e32 v4, v3
	v_min_u32_e32 v4, 32, v4
	s_delay_alu instid0(VALU_DEP_1) | instskip(NEXT) | instid1(VALU_DEP_1)
	v_subrev_nc_u32_e32 v7, 28, v4
	v_lshlrev_b32_e32 v7, v7, v5
	v_bfe_u32 v5, v5, 3, 4
	s_delay_alu instid0(VALU_DEP_2) | instskip(NEXT) | instid1(VALU_DEP_2)
	v_dual_sub_nc_u32 v4, 29, v4 :: v_dual_bitop2_b32 v7, 7, v7 bitop3:0x40
	v_cmp_eq_u32_e32 vcc_lo, 0, v5
	s_delay_alu instid0(VALU_DEP_2) | instskip(NEXT) | instid1(VALU_DEP_1)
	v_dual_cndmask_b32 v4, v5, v4 :: v_dual_cndmask_b32 v3, v3, v7
	v_lshlrev_b32_e32 v3, 20, v3
	s_delay_alu instid0(VALU_DEP_1) | instskip(NEXT) | instid1(VALU_DEP_1)
	v_lshl_or_b32 v3, v4, 23, v3
	v_add_nc_u32_e32 v4, 0x3b800000, v3
.LBB315_697:
	s_or_b32 exec_lo, exec_lo, s27
	s_delay_alu instid0(VALU_DEP_1) | instskip(SKIP_2) | instid1(VALU_DEP_2)
	v_lshrrev_b32_e32 v5, 23, v4
	v_mov_b32_e32 v3, 0xff
	s_mov_b32 s27, exec_lo
	v_cmpx_ne_u32_e32 0xff, v5
; %bb.698:
	v_and_b32_e32 v3, 0x400000, v4
	v_and_or_b32 v4, 0x3fffff, v4, v5
	s_delay_alu instid0(VALU_DEP_2) | instskip(NEXT) | instid1(VALU_DEP_2)
	v_cmp_ne_u32_e32 vcc_lo, 0, v3
	v_cmp_ne_u32_e64 s1, 0, v4
	s_and_b32 s1, vcc_lo, s1
	s_delay_alu instid0(SALU_CYCLE_1) | instskip(NEXT) | instid1(VALU_DEP_1)
	v_cndmask_b32_e64 v3, 0, 1, s1
	v_add_nc_u32_e32 v3, v5, v3
; %bb.699:
	s_or_b32 exec_lo, exec_lo, s27
.LBB315_700:
	s_mov_b32 s1, -1
.LBB315_701:
	s_mov_b32 s27, 0
.LBB315_702:
	s_delay_alu instid0(SALU_CYCLE_1)
	s_and_b32 vcc_lo, exec_lo, s27
	s_cbranch_vccz .LBB315_745
; %bb.703:
	s_cmp_gt_i32 s24, 22
	s_cbranch_scc0 .LBB315_717
; %bb.704:
	s_cmp_lt_i32 s24, 24
	s_cbranch_scc1 .LBB315_718
; %bb.705:
	s_cmp_gt_i32 s24, 24
	s_cbranch_scc0 .LBB315_719
; %bb.706:
	s_wait_loadcnt 0x0
	global_load_u8 v3, v[0:1], off
	s_mov_b32 s1, 0
	s_mov_b32 s27, exec_lo
	s_wait_loadcnt 0x0
	v_cmpx_lt_i16_e32 0x7f, v3
	s_xor_b32 s27, exec_lo, s27
	s_cbranch_execz .LBB315_710
; %bb.707:
	s_mov_b32 s1, -1
	s_mov_b32 s28, exec_lo
	v_cmpx_eq_u16_e32 0x80, v3
; %bb.708:
	s_xor_b32 s1, exec_lo, -1
; %bb.709:
	s_or_b32 exec_lo, exec_lo, s28
	s_delay_alu instid0(SALU_CYCLE_1)
	s_and_b32 s1, s1, exec_lo
.LBB315_710:
	s_or_saveexec_b32 s27, s27
	v_mov_b32_e32 v4, 0x7f800001
	v_and_b32_e32 v5, 0xffff, v3
	s_xor_b32 exec_lo, exec_lo, s27
; %bb.711:
	v_cmp_ne_u16_e32 vcc_lo, 0, v3
	s_delay_alu instid0(VALU_DEP_2) | instskip(SKIP_2) | instid1(SALU_CYCLE_1)
	v_mov_b32_e32 v4, v5
	s_and_not1_b32 s1, s1, exec_lo
	s_and_b32 s28, vcc_lo, exec_lo
	s_or_b32 s1, s1, s28
; %bb.712:
	s_or_b32 exec_lo, exec_lo, s27
	s_and_saveexec_b32 s27, s1
	s_cbranch_execz .LBB315_714
; %bb.713:
	v_and_b32_e32 v3, 3, v5
	s_delay_alu instid0(VALU_DEP_1) | instskip(NEXT) | instid1(VALU_DEP_1)
	v_clz_i32_u32_e32 v4, v3
	v_min_u32_e32 v4, 32, v4
	s_delay_alu instid0(VALU_DEP_1) | instskip(NEXT) | instid1(VALU_DEP_1)
	v_subrev_nc_u32_e32 v7, 29, v4
	v_lshlrev_b32_e32 v7, v7, v5
	v_bfe_u32 v5, v5, 2, 5
	s_delay_alu instid0(VALU_DEP_2) | instskip(NEXT) | instid1(VALU_DEP_2)
	v_dual_sub_nc_u32 v4, 30, v4 :: v_dual_bitop2_b32 v7, 3, v7 bitop3:0x40
	v_cmp_eq_u32_e32 vcc_lo, 0, v5
	s_delay_alu instid0(VALU_DEP_2) | instskip(NEXT) | instid1(VALU_DEP_1)
	v_dual_cndmask_b32 v4, v5, v4 :: v_dual_cndmask_b32 v3, v3, v7
	v_lshlrev_b32_e32 v3, 21, v3
	s_delay_alu instid0(VALU_DEP_1) | instskip(NEXT) | instid1(VALU_DEP_1)
	v_lshl_or_b32 v3, v4, 23, v3
	v_add_nc_u32_e32 v4, 0x37800000, v3
.LBB315_714:
	s_or_b32 exec_lo, exec_lo, s27
	s_delay_alu instid0(VALU_DEP_1) | instskip(SKIP_2) | instid1(VALU_DEP_2)
	v_lshrrev_b32_e32 v5, 23, v4
	v_mov_b32_e32 v3, 0xff
	s_mov_b32 s27, exec_lo
	v_cmpx_ne_u32_e32 0xff, v5
; %bb.715:
	v_and_b32_e32 v3, 0x400000, v4
	v_and_or_b32 v4, 0x3fffff, v4, v5
	s_delay_alu instid0(VALU_DEP_2) | instskip(NEXT) | instid1(VALU_DEP_2)
	v_cmp_ne_u32_e32 vcc_lo, 0, v3
	v_cmp_ne_u32_e64 s1, 0, v4
	s_and_b32 s1, vcc_lo, s1
	s_delay_alu instid0(SALU_CYCLE_1) | instskip(NEXT) | instid1(VALU_DEP_1)
	v_cndmask_b32_e64 v3, 0, 1, s1
	v_add_nc_u32_e32 v3, v5, v3
; %bb.716:
	s_or_b32 exec_lo, exec_lo, s27
	s_mov_b32 s1, 0
	s_branch .LBB315_720
.LBB315_717:
	s_mov_b32 s27, -1
                                        ; implicit-def: $vgpr3
	s_branch .LBB315_730
.LBB315_718:
	s_mov_b32 s1, -1
                                        ; implicit-def: $vgpr3
	s_branch .LBB315_725
.LBB315_719:
	s_mov_b32 s1, -1
                                        ; implicit-def: $vgpr3
.LBB315_720:
	s_delay_alu instid0(SALU_CYCLE_1)
	s_and_b32 vcc_lo, exec_lo, s1
	s_cbranch_vccz .LBB315_724
; %bb.721:
	s_wait_loadcnt 0x0
	global_load_u8 v3, v[0:1], off
	s_mov_b32 s27, exec_lo
	s_wait_loadcnt 0x0
	v_lshlrev_b32_e32 v3, 24, v3
	s_delay_alu instid0(VALU_DEP_1) | instskip(NEXT) | instid1(VALU_DEP_1)
	v_and_b32_e32 v3, 0x7f000000, v3
	v_clz_i32_u32_e32 v4, v3
	v_add_nc_u32_e32 v7, 0x1000000, v3
	v_cmp_ne_u32_e32 vcc_lo, 0, v3
	s_delay_alu instid0(VALU_DEP_3) | instskip(NEXT) | instid1(VALU_DEP_1)
	v_min_u32_e32 v4, 32, v4
	v_sub_nc_u32_e64 v4, v4, 4 clamp
	s_delay_alu instid0(VALU_DEP_1) | instskip(SKIP_1) | instid1(VALU_DEP_2)
	v_dual_lshlrev_b32 v5, v4, v3 :: v_dual_lshlrev_b32 v4, 23, v4
	v_mov_b32_e32 v3, 0xff
	v_lshrrev_b32_e32 v5, 4, v5
	s_delay_alu instid0(VALU_DEP_1) | instskip(NEXT) | instid1(VALU_DEP_1)
	v_dual_sub_nc_u32 v4, v5, v4 :: v_dual_ashrrev_i32 v5, 8, v7
	v_add_nc_u32_e32 v4, 0x3c000000, v4
	s_delay_alu instid0(VALU_DEP_1) | instskip(NEXT) | instid1(VALU_DEP_1)
	v_and_or_b32 v4, 0x7f800000, v5, v4
	v_cndmask_b32_e32 v5, 0, v4, vcc_lo
	s_delay_alu instid0(VALU_DEP_1) | instskip(SKIP_1) | instid1(VALU_DEP_1)
	v_lshrrev_b32_e32 v4, 23, v5
	s_wait_xcnt 0x0
	v_cmpx_ne_u32_e32 0xff, v4
; %bb.722:
	v_and_b32_e32 v3, 0x400000, v5
	v_and_or_b32 v5, 0x3fffff, v5, v4
	s_delay_alu instid0(VALU_DEP_2) | instskip(NEXT) | instid1(VALU_DEP_2)
	v_cmp_ne_u32_e32 vcc_lo, 0, v3
	v_cmp_ne_u32_e64 s1, 0, v5
	s_and_b32 s1, vcc_lo, s1
	s_delay_alu instid0(SALU_CYCLE_1) | instskip(NEXT) | instid1(VALU_DEP_1)
	v_cndmask_b32_e64 v3, 0, 1, s1
	v_add_nc_u32_e32 v3, v4, v3
; %bb.723:
	s_or_b32 exec_lo, exec_lo, s27
.LBB315_724:
	s_mov_b32 s1, 0
.LBB315_725:
	s_delay_alu instid0(SALU_CYCLE_1)
	s_and_not1_b32 vcc_lo, exec_lo, s1
	s_cbranch_vccnz .LBB315_729
; %bb.726:
	s_wait_loadcnt 0x0
	global_load_u8 v3, v[0:1], off
	s_mov_b32 s27, exec_lo
	s_wait_loadcnt 0x0
	v_dual_lshlrev_b32 v4, 25, v3 :: v_dual_lshlrev_b32 v3, 8, v3
	s_delay_alu instid0(VALU_DEP_1) | instskip(NEXT) | instid1(VALU_DEP_2)
	v_cmp_gt_u32_e32 vcc_lo, 0x8000000, v4
	v_and_or_b32 v3, 0x7f00, v3, 0.5
	s_delay_alu instid0(VALU_DEP_1) | instskip(NEXT) | instid1(VALU_DEP_1)
	v_dual_lshrrev_b32 v5, 4, v4 :: v_dual_add_f32 v3, -0.5, v3
	v_or_b32_e32 v5, 0x70000000, v5
	s_delay_alu instid0(VALU_DEP_1) | instskip(NEXT) | instid1(VALU_DEP_1)
	v_mul_f32_e32 v5, 0x7800000, v5
	v_dual_cndmask_b32 v4, v5, v3 :: v_dual_mov_b32 v3, 0xff
	s_delay_alu instid0(VALU_DEP_1) | instskip(SKIP_1) | instid1(VALU_DEP_1)
	v_bfe_u32 v5, v4, 23, 8
	s_wait_xcnt 0x0
	v_cmpx_ne_u32_e32 0xff, v5
	s_cbranch_execz .LBB315_728
; %bb.727:
	v_and_b32_e32 v3, 0x400000, v4
	v_and_or_b32 v5, 0x3fffff, v4, v5
	s_delay_alu instid0(VALU_DEP_2) | instskip(NEXT) | instid1(VALU_DEP_2)
	v_cmp_ne_u32_e32 vcc_lo, 0, v3
	v_cmp_ne_u32_e64 s1, 0, v5
	v_lshrrev_b32_e32 v3, 23, v4
	s_and_b32 s1, vcc_lo, s1
	s_delay_alu instid0(SALU_CYCLE_1) | instskip(NEXT) | instid1(VALU_DEP_1)
	v_cndmask_b32_e64 v4, 0, 1, s1
	v_add_nc_u32_e32 v3, v3, v4
.LBB315_728:
	s_or_b32 exec_lo, exec_lo, s27
.LBB315_729:
	s_mov_b32 s27, 0
	s_mov_b32 s1, -1
.LBB315_730:
	s_and_not1_b32 vcc_lo, exec_lo, s27
	s_cbranch_vccnz .LBB315_745
; %bb.731:
	s_cmp_gt_i32 s24, 14
	s_cbranch_scc0 .LBB315_736
; %bb.732:
	s_cmp_eq_u32 s24, 15
	s_cbranch_scc0 .LBB315_737
; %bb.733:
	global_load_u16 v4, v[0:1], off
	s_wait_loadcnt 0x1
	v_mov_b32_e32 v3, 0xff
	s_mov_b32 s25, exec_lo
	s_wait_loadcnt 0x0
	v_bfe_u32 v5, v4, 7, 8
	s_wait_xcnt 0x0
	s_delay_alu instid0(VALU_DEP_1)
	v_cmpx_ne_u32_e32 0xff, v5
	s_cbranch_execz .LBB315_735
; %bb.734:
	v_dual_lshlrev_b32 v3, 16, v4 :: v_dual_bitop2_b32 v7, 64, v4 bitop3:0x40
	s_delay_alu instid0(VALU_DEP_1) | instskip(NEXT) | instid1(VALU_DEP_2)
	v_and_or_b32 v3, 0x3f0000, v3, v5
	v_cmp_ne_u32_e32 vcc_lo, 0, v7
	s_delay_alu instid0(VALU_DEP_2) | instskip(SKIP_2) | instid1(SALU_CYCLE_1)
	v_cmp_ne_u32_e64 s1, 0, v3
	v_lshrrev_b32_e32 v3, 7, v4
	s_and_b32 s1, vcc_lo, s1
	v_cndmask_b32_e64 v4, 0, 1, s1
	s_delay_alu instid0(VALU_DEP_1)
	v_add_nc_u32_e32 v3, v3, v4
.LBB315_735:
	s_or_b32 exec_lo, exec_lo, s25
	s_mov_b32 s1, -1
	s_mov_b32 s25, 0
	s_branch .LBB315_738
.LBB315_736:
	s_mov_b32 s27, -1
                                        ; implicit-def: $vgpr3
	s_branch .LBB315_739
.LBB315_737:
	s_mov_b32 s25, -1
                                        ; implicit-def: $vgpr3
.LBB315_738:
	s_mov_b32 s27, 0
.LBB315_739:
	s_delay_alu instid0(SALU_CYCLE_1)
	s_and_b32 vcc_lo, exec_lo, s27
	s_cbranch_vccz .LBB315_745
; %bb.740:
	s_cmp_eq_u32 s24, 11
	s_cbranch_scc0 .LBB315_744
; %bb.741:
	s_wait_loadcnt 0x0
	global_load_u8 v3, v[0:1], off
	s_mov_b32 s25, 0
	s_mov_b32 s24, exec_lo
	s_wait_loadcnt 0x0
	v_cmp_ne_u16_e32 vcc_lo, 0, v3
	v_mov_b32_e32 v3, 0xff
	v_cndmask_b32_e64 v5, 0, 1.0, vcc_lo
	s_delay_alu instid0(VALU_DEP_1) | instskip(SKIP_1) | instid1(VALU_DEP_1)
	v_lshrrev_b32_e32 v4, 23, v5
	s_wait_xcnt 0x0
	v_cmpx_ne_u32_e32 0xff, v4
; %bb.742:
	v_and_b32_e32 v3, 0x400000, v5
	v_and_or_b32 v5, 0x3fffff, v5, v4
	s_delay_alu instid0(VALU_DEP_2) | instskip(NEXT) | instid1(VALU_DEP_2)
	v_cmp_ne_u32_e32 vcc_lo, 0, v3
	v_cmp_ne_u32_e64 s1, 0, v5
	s_and_b32 s1, vcc_lo, s1
	s_delay_alu instid0(SALU_CYCLE_1) | instskip(NEXT) | instid1(VALU_DEP_1)
	v_cndmask_b32_e64 v3, 0, 1, s1
	v_add_nc_u32_e32 v3, v4, v3
; %bb.743:
	s_or_b32 exec_lo, exec_lo, s24
	s_mov_b32 s1, -1
	s_branch .LBB315_745
.LBB315_744:
	s_mov_b32 s25, -1
                                        ; implicit-def: $vgpr3
.LBB315_745:
	s_mov_b32 s24, 0
.LBB315_746:
	s_delay_alu instid0(SALU_CYCLE_1)
	s_and_b32 vcc_lo, exec_lo, s24
	s_cbranch_vccz .LBB315_817
; %bb.747:
	s_and_b32 s2, 0xffff, s2
	s_delay_alu instid0(SALU_CYCLE_1)
	s_cmp_lt_i32 s2, 5
	s_cbranch_scc1 .LBB315_754
; %bb.748:
	s_cmp_lt_i32 s2, 8
	s_cbranch_scc1 .LBB315_755
; %bb.749:
	;; [unrolled: 3-line block ×3, first 2 shown]
	s_cmp_gt_i32 s2, 9
	s_cbranch_scc0 .LBB315_757
; %bb.751:
	global_load_b64 v[4:5], v[0:1], off
	s_wait_loadcnt 0x1
	v_mov_b32_e32 v3, 0xff
	s_mov_b32 s24, exec_lo
	s_wait_loadcnt 0x0
	v_cvt_f32_f64_e32 v4, v[4:5]
	s_delay_alu instid0(VALU_DEP_1) | instskip(SKIP_1) | instid1(VALU_DEP_1)
	v_bfe_u32 v5, v4, 23, 8
	s_wait_xcnt 0x0
	v_cmpx_ne_u32_e32 0xff, v5
	s_cbranch_execz .LBB315_753
; %bb.752:
	v_and_b32_e32 v3, 0x400000, v4
	v_and_or_b32 v5, 0x3fffff, v4, v5
	s_delay_alu instid0(VALU_DEP_2) | instskip(NEXT) | instid1(VALU_DEP_2)
	v_cmp_ne_u32_e32 vcc_lo, 0, v3
	v_cmp_ne_u32_e64 s1, 0, v5
	v_lshrrev_b32_e32 v3, 23, v4
	s_and_b32 s1, vcc_lo, s1
	s_delay_alu instid0(SALU_CYCLE_1) | instskip(NEXT) | instid1(VALU_DEP_1)
	v_cndmask_b32_e64 v4, 0, 1, s1
	v_add_nc_u32_e32 v3, v3, v4
.LBB315_753:
	s_or_b32 exec_lo, exec_lo, s24
	s_mov_b32 s1, 0
	s_branch .LBB315_758
.LBB315_754:
	s_mov_b32 s1, -1
                                        ; implicit-def: $vgpr3
	s_branch .LBB315_786
.LBB315_755:
	s_mov_b32 s1, -1
                                        ; implicit-def: $vgpr3
	s_branch .LBB315_768
.LBB315_756:
	s_mov_b32 s1, -1
                                        ; implicit-def: $vgpr3
	s_branch .LBB315_763
.LBB315_757:
	s_mov_b32 s1, -1
                                        ; implicit-def: $vgpr3
.LBB315_758:
	s_delay_alu instid0(SALU_CYCLE_1)
	s_and_not1_b32 vcc_lo, exec_lo, s1
	s_cbranch_vccnz .LBB315_762
; %bb.759:
	global_load_b32 v4, v[0:1], off
	s_wait_loadcnt 0x1
	v_mov_b32_e32 v3, 0xff
	s_mov_b32 s24, exec_lo
	s_wait_loadcnt 0x0
	v_bfe_u32 v5, v4, 23, 8
	s_wait_xcnt 0x0
	s_delay_alu instid0(VALU_DEP_1)
	v_cmpx_ne_u32_e32 0xff, v5
	s_cbranch_execz .LBB315_761
; %bb.760:
	v_and_b32_e32 v3, 0x400000, v4
	v_and_or_b32 v5, 0x3fffff, v4, v5
	s_delay_alu instid0(VALU_DEP_2) | instskip(NEXT) | instid1(VALU_DEP_2)
	v_cmp_ne_u32_e32 vcc_lo, 0, v3
	v_cmp_ne_u32_e64 s1, 0, v5
	v_lshrrev_b32_e32 v3, 23, v4
	s_and_b32 s1, vcc_lo, s1
	s_delay_alu instid0(SALU_CYCLE_1) | instskip(NEXT) | instid1(VALU_DEP_1)
	v_cndmask_b32_e64 v4, 0, 1, s1
	v_add_nc_u32_e32 v3, v3, v4
.LBB315_761:
	s_or_b32 exec_lo, exec_lo, s24
.LBB315_762:
	s_mov_b32 s1, 0
.LBB315_763:
	s_delay_alu instid0(SALU_CYCLE_1)
	s_and_not1_b32 vcc_lo, exec_lo, s1
	s_cbranch_vccnz .LBB315_767
; %bb.764:
	s_wait_loadcnt 0x0
	global_load_b32 v3, v[0:1], off
	s_mov_b32 s24, exec_lo
	s_wait_loadcnt 0x0
	v_cvt_f32_f16_e32 v4, v3
	v_mov_b32_e32 v3, 0xff
	s_delay_alu instid0(VALU_DEP_2) | instskip(SKIP_1) | instid1(VALU_DEP_1)
	v_bfe_u32 v5, v4, 23, 8
	s_wait_xcnt 0x0
	v_cmpx_ne_u32_e32 0xff, v5
	s_cbranch_execz .LBB315_766
; %bb.765:
	v_and_b32_e32 v3, 0x400000, v4
	v_and_or_b32 v5, 0x3fffff, v4, v5
	s_delay_alu instid0(VALU_DEP_2) | instskip(NEXT) | instid1(VALU_DEP_2)
	v_cmp_ne_u32_e32 vcc_lo, 0, v3
	v_cmp_ne_u32_e64 s1, 0, v5
	v_lshrrev_b32_e32 v3, 23, v4
	s_and_b32 s1, vcc_lo, s1
	s_delay_alu instid0(SALU_CYCLE_1) | instskip(NEXT) | instid1(VALU_DEP_1)
	v_cndmask_b32_e64 v4, 0, 1, s1
	v_add_nc_u32_e32 v3, v3, v4
.LBB315_766:
	s_or_b32 exec_lo, exec_lo, s24
.LBB315_767:
	s_mov_b32 s1, 0
.LBB315_768:
	s_delay_alu instid0(SALU_CYCLE_1)
	s_and_not1_b32 vcc_lo, exec_lo, s1
	s_cbranch_vccnz .LBB315_785
; %bb.769:
	s_cmp_lt_i32 s2, 6
	s_cbranch_scc1 .LBB315_774
; %bb.770:
	s_cmp_gt_i32 s2, 6
	s_cbranch_scc0 .LBB315_775
; %bb.771:
	global_load_b64 v[4:5], v[0:1], off
	s_wait_loadcnt 0x1
	v_mov_b32_e32 v3, 0xff
	s_mov_b32 s24, exec_lo
	s_wait_loadcnt 0x0
	v_cvt_f32_f64_e32 v4, v[4:5]
	s_delay_alu instid0(VALU_DEP_1) | instskip(SKIP_1) | instid1(VALU_DEP_1)
	v_bfe_u32 v5, v4, 23, 8
	s_wait_xcnt 0x0
	v_cmpx_ne_u32_e32 0xff, v5
	s_cbranch_execz .LBB315_773
; %bb.772:
	v_and_b32_e32 v3, 0x400000, v4
	v_and_or_b32 v5, 0x3fffff, v4, v5
	s_delay_alu instid0(VALU_DEP_2) | instskip(NEXT) | instid1(VALU_DEP_2)
	v_cmp_ne_u32_e32 vcc_lo, 0, v3
	v_cmp_ne_u32_e64 s1, 0, v5
	v_lshrrev_b32_e32 v3, 23, v4
	s_and_b32 s1, vcc_lo, s1
	s_delay_alu instid0(SALU_CYCLE_1) | instskip(NEXT) | instid1(VALU_DEP_1)
	v_cndmask_b32_e64 v4, 0, 1, s1
	v_add_nc_u32_e32 v3, v3, v4
.LBB315_773:
	s_or_b32 exec_lo, exec_lo, s24
	s_mov_b32 s1, 0
	s_branch .LBB315_776
.LBB315_774:
	s_mov_b32 s1, -1
                                        ; implicit-def: $vgpr3
	s_branch .LBB315_781
.LBB315_775:
	s_mov_b32 s1, -1
                                        ; implicit-def: $vgpr3
.LBB315_776:
	s_delay_alu instid0(SALU_CYCLE_1)
	s_and_not1_b32 vcc_lo, exec_lo, s1
	s_cbranch_vccnz .LBB315_780
; %bb.777:
	global_load_b32 v4, v[0:1], off
	s_wait_loadcnt 0x1
	v_mov_b32_e32 v3, 0xff
	s_mov_b32 s24, exec_lo
	s_wait_loadcnt 0x0
	v_bfe_u32 v5, v4, 23, 8
	s_wait_xcnt 0x0
	s_delay_alu instid0(VALU_DEP_1)
	v_cmpx_ne_u32_e32 0xff, v5
	s_cbranch_execz .LBB315_779
; %bb.778:
	v_and_b32_e32 v3, 0x400000, v4
	v_and_or_b32 v5, 0x3fffff, v4, v5
	s_delay_alu instid0(VALU_DEP_2) | instskip(NEXT) | instid1(VALU_DEP_2)
	v_cmp_ne_u32_e32 vcc_lo, 0, v3
	v_cmp_ne_u32_e64 s1, 0, v5
	v_lshrrev_b32_e32 v3, 23, v4
	s_and_b32 s1, vcc_lo, s1
	s_delay_alu instid0(SALU_CYCLE_1) | instskip(NEXT) | instid1(VALU_DEP_1)
	v_cndmask_b32_e64 v4, 0, 1, s1
	v_add_nc_u32_e32 v3, v3, v4
.LBB315_779:
	s_or_b32 exec_lo, exec_lo, s24
.LBB315_780:
	s_mov_b32 s1, 0
.LBB315_781:
	s_delay_alu instid0(SALU_CYCLE_1)
	s_and_not1_b32 vcc_lo, exec_lo, s1
	s_cbranch_vccnz .LBB315_785
; %bb.782:
	s_wait_loadcnt 0x0
	global_load_u16 v3, v[0:1], off
	s_mov_b32 s24, exec_lo
	s_wait_loadcnt 0x0
	v_cvt_f32_f16_e32 v4, v3
	v_mov_b32_e32 v3, 0xff
	s_delay_alu instid0(VALU_DEP_2) | instskip(SKIP_1) | instid1(VALU_DEP_1)
	v_bfe_u32 v5, v4, 23, 8
	s_wait_xcnt 0x0
	v_cmpx_ne_u32_e32 0xff, v5
	s_cbranch_execz .LBB315_784
; %bb.783:
	v_and_b32_e32 v3, 0x400000, v4
	v_and_or_b32 v5, 0x3fffff, v4, v5
	s_delay_alu instid0(VALU_DEP_2) | instskip(NEXT) | instid1(VALU_DEP_2)
	v_cmp_ne_u32_e32 vcc_lo, 0, v3
	v_cmp_ne_u32_e64 s1, 0, v5
	v_lshrrev_b32_e32 v3, 23, v4
	s_and_b32 s1, vcc_lo, s1
	s_delay_alu instid0(SALU_CYCLE_1) | instskip(NEXT) | instid1(VALU_DEP_1)
	v_cndmask_b32_e64 v4, 0, 1, s1
	v_add_nc_u32_e32 v3, v3, v4
.LBB315_784:
	s_or_b32 exec_lo, exec_lo, s24
.LBB315_785:
	s_mov_b32 s1, 0
.LBB315_786:
	s_delay_alu instid0(SALU_CYCLE_1)
	s_and_not1_b32 vcc_lo, exec_lo, s1
	s_cbranch_vccnz .LBB315_816
; %bb.787:
	s_cmp_lt_i32 s2, 2
	s_cbranch_scc1 .LBB315_793
; %bb.788:
	s_cmp_lt_i32 s2, 3
	s_cbranch_scc1 .LBB315_794
; %bb.789:
	s_cmp_gt_i32 s2, 3
	s_cbranch_scc0 .LBB315_795
; %bb.790:
	global_load_b64 v[4:5], v[0:1], off
	s_mov_b32 s24, exec_lo
	s_wait_loadcnt 0x0
	v_xor_b32_e32 v3, v4, v5
	v_cls_i32_e32 v7, v5
	s_delay_alu instid0(VALU_DEP_2) | instskip(NEXT) | instid1(VALU_DEP_1)
	v_ashrrev_i32_e32 v3, 31, v3
	v_add_nc_u32_e32 v3, 32, v3
	s_delay_alu instid0(VALU_DEP_1) | instskip(NEXT) | instid1(VALU_DEP_1)
	v_add_min_u32_e64 v3, v7, -1, v3
	v_lshlrev_b64_e32 v[4:5], v3, v[4:5]
	v_sub_nc_u32_e32 v3, 32, v3
	s_delay_alu instid0(VALU_DEP_2) | instskip(NEXT) | instid1(VALU_DEP_1)
	v_min_u32_e32 v4, 1, v4
	v_or_b32_e32 v4, v5, v4
	s_delay_alu instid0(VALU_DEP_1) | instskip(NEXT) | instid1(VALU_DEP_1)
	v_cvt_f32_i32_e32 v4, v4
	v_ldexp_f32 v4, v4, v3
	v_mov_b32_e32 v3, 0xff
	s_delay_alu instid0(VALU_DEP_2) | instskip(SKIP_1) | instid1(VALU_DEP_1)
	v_bfe_u32 v5, v4, 23, 8
	s_wait_xcnt 0x0
	v_cmpx_ne_u32_e32 0xff, v5
	s_cbranch_execz .LBB315_792
; %bb.791:
	v_and_b32_e32 v3, 0x400000, v4
	v_and_or_b32 v5, 0x3fffff, v4, v5
	s_delay_alu instid0(VALU_DEP_2) | instskip(NEXT) | instid1(VALU_DEP_2)
	v_cmp_ne_u32_e32 vcc_lo, 0, v3
	v_cmp_ne_u32_e64 s1, 0, v5
	v_lshrrev_b32_e32 v3, 23, v4
	s_and_b32 s1, vcc_lo, s1
	s_delay_alu instid0(SALU_CYCLE_1) | instskip(NEXT) | instid1(VALU_DEP_1)
	v_cndmask_b32_e64 v4, 0, 1, s1
	v_add_nc_u32_e32 v3, v3, v4
.LBB315_792:
	s_or_b32 exec_lo, exec_lo, s24
	s_mov_b32 s1, 0
	s_branch .LBB315_796
.LBB315_793:
	s_mov_b32 s1, -1
                                        ; implicit-def: $vgpr3
	s_branch .LBB315_806
.LBB315_794:
	s_mov_b32 s1, -1
                                        ; implicit-def: $vgpr3
	s_branch .LBB315_801
.LBB315_795:
	s_mov_b32 s1, -1
                                        ; implicit-def: $vgpr3
.LBB315_796:
	s_delay_alu instid0(SALU_CYCLE_1)
	s_and_not1_b32 vcc_lo, exec_lo, s1
	s_cbranch_vccnz .LBB315_800
; %bb.797:
	s_wait_loadcnt 0x0
	global_load_b32 v3, v[0:1], off
	s_mov_b32 s24, exec_lo
	s_wait_loadcnt 0x0
	v_cvt_f32_i32_e32 v4, v3
	v_mov_b32_e32 v3, 0xff
	s_delay_alu instid0(VALU_DEP_2) | instskip(SKIP_1) | instid1(VALU_DEP_1)
	v_bfe_u32 v5, v4, 23, 8
	s_wait_xcnt 0x0
	v_cmpx_ne_u32_e32 0xff, v5
	s_cbranch_execz .LBB315_799
; %bb.798:
	v_and_b32_e32 v3, 0x400000, v4
	v_and_or_b32 v5, 0x3fffff, v4, v5
	s_delay_alu instid0(VALU_DEP_2) | instskip(NEXT) | instid1(VALU_DEP_2)
	v_cmp_ne_u32_e32 vcc_lo, 0, v3
	v_cmp_ne_u32_e64 s1, 0, v5
	v_lshrrev_b32_e32 v3, 23, v4
	s_and_b32 s1, vcc_lo, s1
	s_delay_alu instid0(SALU_CYCLE_1) | instskip(NEXT) | instid1(VALU_DEP_1)
	v_cndmask_b32_e64 v4, 0, 1, s1
	v_add_nc_u32_e32 v3, v3, v4
.LBB315_799:
	s_or_b32 exec_lo, exec_lo, s24
.LBB315_800:
	s_mov_b32 s1, 0
.LBB315_801:
	s_delay_alu instid0(SALU_CYCLE_1)
	s_and_not1_b32 vcc_lo, exec_lo, s1
	s_cbranch_vccnz .LBB315_805
; %bb.802:
	s_wait_loadcnt 0x0
	global_load_i16 v3, v[0:1], off
	s_mov_b32 s24, exec_lo
	s_wait_loadcnt 0x0
	v_cvt_f32_i32_e32 v4, v3
	v_mov_b32_e32 v3, 0xff
	s_delay_alu instid0(VALU_DEP_2) | instskip(SKIP_1) | instid1(VALU_DEP_1)
	v_bfe_u32 v5, v4, 23, 8
	s_wait_xcnt 0x0
	v_cmpx_ne_u32_e32 0xff, v5
	s_cbranch_execz .LBB315_804
; %bb.803:
	v_and_b32_e32 v3, 0x400000, v4
	v_and_or_b32 v5, 0x3fffff, v4, v5
	s_delay_alu instid0(VALU_DEP_2) | instskip(NEXT) | instid1(VALU_DEP_2)
	v_cmp_ne_u32_e32 vcc_lo, 0, v3
	v_cmp_ne_u32_e64 s1, 0, v5
	v_lshrrev_b32_e32 v3, 23, v4
	s_and_b32 s1, vcc_lo, s1
	s_delay_alu instid0(SALU_CYCLE_1) | instskip(NEXT) | instid1(VALU_DEP_1)
	v_cndmask_b32_e64 v4, 0, 1, s1
	v_add_nc_u32_e32 v3, v3, v4
.LBB315_804:
	s_or_b32 exec_lo, exec_lo, s24
.LBB315_805:
	s_mov_b32 s1, 0
.LBB315_806:
	s_delay_alu instid0(SALU_CYCLE_1)
	s_and_not1_b32 vcc_lo, exec_lo, s1
	s_cbranch_vccnz .LBB315_816
; %bb.807:
	s_cmp_gt_i32 s2, 0
	s_cbranch_scc0 .LBB315_811
; %bb.808:
	s_wait_loadcnt 0x0
	global_load_i8 v3, v[0:1], off
	s_mov_b32 s2, exec_lo
	s_wait_loadcnt 0x0
	v_cvt_f32_i32_e32 v4, v3
	v_mov_b32_e32 v3, 0xff
	s_delay_alu instid0(VALU_DEP_2) | instskip(SKIP_1) | instid1(VALU_DEP_1)
	v_bfe_u32 v5, v4, 23, 8
	s_wait_xcnt 0x0
	v_cmpx_ne_u32_e32 0xff, v5
	s_cbranch_execz .LBB315_810
; %bb.809:
	v_and_b32_e32 v3, 0x400000, v4
	v_and_or_b32 v5, 0x3fffff, v4, v5
	s_delay_alu instid0(VALU_DEP_2) | instskip(NEXT) | instid1(VALU_DEP_2)
	v_cmp_ne_u32_e32 vcc_lo, 0, v3
	v_cmp_ne_u32_e64 s1, 0, v5
	v_lshrrev_b32_e32 v3, 23, v4
	s_and_b32 s1, vcc_lo, s1
	s_delay_alu instid0(SALU_CYCLE_1) | instskip(NEXT) | instid1(VALU_DEP_1)
	v_cndmask_b32_e64 v4, 0, 1, s1
	v_add_nc_u32_e32 v3, v3, v4
.LBB315_810:
	s_or_b32 exec_lo, exec_lo, s2
	s_mov_b32 s1, 0
	s_branch .LBB315_812
.LBB315_811:
	s_mov_b32 s1, -1
                                        ; implicit-def: $vgpr3
.LBB315_812:
	s_delay_alu instid0(SALU_CYCLE_1)
	s_and_not1_b32 vcc_lo, exec_lo, s1
	s_cbranch_vccnz .LBB315_816
; %bb.813:
	global_load_u8 v0, v[0:1], off
	s_mov_b32 s2, exec_lo
	s_wait_loadcnt 0x1
	v_mov_b32_e32 v3, 0xff
	s_wait_loadcnt 0x0
	v_cvt_f32_ubyte0_e32 v1, v0
	s_delay_alu instid0(VALU_DEP_1) | instskip(NEXT) | instid1(VALU_DEP_1)
	v_lshrrev_b32_e32 v0, 23, v1
	v_cmpx_ne_u32_e32 0xff, v0
; %bb.814:
	v_and_b32_e32 v3, 0x400000, v1
	v_and_or_b32 v1, 0x3fffff, v1, v0
	s_delay_alu instid0(VALU_DEP_2) | instskip(NEXT) | instid1(VALU_DEP_2)
	v_cmp_ne_u32_e32 vcc_lo, 0, v3
	v_cmp_ne_u32_e64 s1, 0, v1
	s_and_b32 s1, vcc_lo, s1
	s_delay_alu instid0(SALU_CYCLE_1) | instskip(NEXT) | instid1(VALU_DEP_1)
	v_cndmask_b32_e64 v1, 0, 1, s1
	v_add_nc_u32_e32 v3, v0, v1
; %bb.815:
	s_or_b32 exec_lo, exec_lo, s2
.LBB315_816:
	s_mov_b32 s1, -1
.LBB315_817:
	s_delay_alu instid0(SALU_CYCLE_1)
	s_and_not1_b32 vcc_lo, exec_lo, s1
	s_cbranch_vccnz .LBB315_825
; %bb.818:
	s_wait_loadcnt 0x0
	v_and_b32_e32 v0, 0xff, v2
	v_and_b32_e32 v1, 0xff, v3
	s_and_b32 s24, s3, 0xff
	s_mov_b32 s28, 0
	s_mov_b32 s27, -1
	s_delay_alu instid0(VALU_DEP_1) | instskip(SKIP_3) | instid1(VALU_DEP_2)
	v_dual_lshlrev_b32 v2, 23, v0 :: v_dual_lshlrev_b32 v3, 23, v1
	v_cmp_ne_u16_e32 vcc_lo, 0xff, v0
	s_cmp_lt_i32 s24, 11
	s_mov_b32 s2, s18
	v_cndmask_b32_e32 v2, 0x7f800001, v2, vcc_lo
	v_cmp_ne_u16_e32 vcc_lo, 0xff, v1
	v_cndmask_b32_e32 v3, 0x7f800001, v3, vcc_lo
	v_cmp_ne_u16_e32 vcc_lo, 0, v0
	v_mul_lo_u32 v0, v6, s8
	v_cndmask_b32_e32 v2, 0x400000, v2, vcc_lo
	v_cmp_ne_u16_e32 vcc_lo, 0, v1
	v_cndmask_b32_e32 v1, 0x400000, v3, vcc_lo
	s_delay_alu instid0(VALU_DEP_1) | instskip(SKIP_3) | instid1(VALU_DEP_1)
	v_cmp_eq_f32_e32 vcc_lo, v2, v1
	v_cndmask_b32_e64 v3, 0, 1, vcc_lo
	v_cmp_neq_f32_e32 vcc_lo, v2, v1
	v_cndmask_b32_e64 v1, 0, 1, vcc_lo
	v_dual_cndmask_b32 v2, v1, v3, s0 :: v_dual_ashrrev_i32 v1, 31, v0
	s_delay_alu instid0(VALU_DEP_1) | instskip(NEXT) | instid1(VALU_DEP_2)
	v_and_b32_e32 v2, 1, v2
	v_add_nc_u64_e32 v[0:1], s[4:5], v[0:1]
	s_delay_alu instid0(VALU_DEP_2)
	v_cmp_eq_u32_e64 s1, 1, v2
	s_cbranch_scc1 .LBB315_826
; %bb.819:
	s_and_b32 s27, 0xffff, s24
	s_delay_alu instid0(SALU_CYCLE_1)
	s_cmp_gt_i32 s27, 25
	s_cbranch_scc0 .LBB315_881
; %bb.820:
	s_cmp_gt_i32 s27, 28
	s_cbranch_scc0 .LBB315_883
; %bb.821:
	;; [unrolled: 3-line block ×4, first 2 shown]
	s_mov_b32 s29, 0
	s_mov_b32 s2, -1
	s_cmp_eq_u32 s27, 46
	s_cbranch_scc0 .LBB315_888
; %bb.824:
	v_cndmask_b32_e64 v2, 0, 1.0, s1
	s_mov_b32 s28, -1
	s_mov_b32 s2, 0
	s_delay_alu instid0(VALU_DEP_1) | instskip(NEXT) | instid1(VALU_DEP_1)
	v_bfe_u32 v3, v2, 16, 1
	v_add3_u32 v2, v2, v3, 0x7fff
	s_delay_alu instid0(VALU_DEP_1)
	v_lshrrev_b32_e32 v2, 16, v2
	global_store_b32 v[0:1], v2, off
	s_branch .LBB315_888
.LBB315_825:
	s_mov_b32 s1, 0
	s_mov_b32 s2, s18
	s_branch .LBB315_866
.LBB315_826:
	s_and_b32 vcc_lo, exec_lo, s27
	s_cbranch_vccz .LBB315_957
; %bb.827:
	s_and_b32 s24, 0xffff, s24
	s_mov_b32 s27, -1
	s_cmp_lt_i32 s24, 5
	s_cbranch_scc1 .LBB315_848
; %bb.828:
	s_cmp_lt_i32 s24, 8
	s_cbranch_scc1 .LBB315_838
; %bb.829:
	;; [unrolled: 3-line block ×3, first 2 shown]
	s_cmp_gt_i32 s24, 9
	s_cbranch_scc0 .LBB315_832
; %bb.831:
	s_wait_xcnt 0x0
	v_cndmask_b32_e64 v2, 0, 1, s1
	v_mov_b32_e32 v4, 0
	s_mov_b32 s27, 0
	s_delay_alu instid0(VALU_DEP_2) | instskip(NEXT) | instid1(VALU_DEP_2)
	v_cvt_f64_u32_e32 v[2:3], v2
	v_mov_b32_e32 v5, v4
	global_store_b128 v[0:1], v[2:5], off
.LBB315_832:
	s_and_not1_b32 vcc_lo, exec_lo, s27
	s_cbranch_vccnz .LBB315_834
; %bb.833:
	s_wait_xcnt 0x0
	v_cndmask_b32_e64 v2, 0, 1.0, s1
	v_mov_b32_e32 v3, 0
	global_store_b64 v[0:1], v[2:3], off
.LBB315_834:
	s_mov_b32 s27, 0
.LBB315_835:
	s_delay_alu instid0(SALU_CYCLE_1)
	s_and_not1_b32 vcc_lo, exec_lo, s27
	s_cbranch_vccnz .LBB315_837
; %bb.836:
	s_wait_xcnt 0x0
	v_cndmask_b32_e64 v2, 0, 1.0, s1
	s_delay_alu instid0(VALU_DEP_1) | instskip(NEXT) | instid1(VALU_DEP_1)
	v_cvt_f16_f32_e32 v2, v2
	v_and_b32_e32 v2, 0xffff, v2
	global_store_b32 v[0:1], v2, off
.LBB315_837:
	s_mov_b32 s27, 0
.LBB315_838:
	s_delay_alu instid0(SALU_CYCLE_1)
	s_and_not1_b32 vcc_lo, exec_lo, s27
	s_cbranch_vccnz .LBB315_847
; %bb.839:
	s_cmp_lt_i32 s24, 6
	s_mov_b32 s27, -1
	s_cbranch_scc1 .LBB315_845
; %bb.840:
	s_cmp_gt_i32 s24, 6
	s_cbranch_scc0 .LBB315_842
; %bb.841:
	s_wait_xcnt 0x0
	v_cndmask_b32_e64 v2, 0, 1, s1
	s_mov_b32 s27, 0
	s_delay_alu instid0(VALU_DEP_1)
	v_cvt_f64_u32_e32 v[2:3], v2
	global_store_b64 v[0:1], v[2:3], off
.LBB315_842:
	s_and_not1_b32 vcc_lo, exec_lo, s27
	s_cbranch_vccnz .LBB315_844
; %bb.843:
	s_wait_xcnt 0x0
	v_cndmask_b32_e64 v2, 0, 1.0, s1
	global_store_b32 v[0:1], v2, off
.LBB315_844:
	s_mov_b32 s27, 0
.LBB315_845:
	s_delay_alu instid0(SALU_CYCLE_1)
	s_and_not1_b32 vcc_lo, exec_lo, s27
	s_cbranch_vccnz .LBB315_847
; %bb.846:
	s_wait_xcnt 0x0
	v_cndmask_b32_e64 v2, 0, 1.0, s1
	s_delay_alu instid0(VALU_DEP_1)
	v_cvt_f16_f32_e32 v2, v2
	global_store_b16 v[0:1], v2, off
.LBB315_847:
	s_mov_b32 s27, 0
.LBB315_848:
	s_delay_alu instid0(SALU_CYCLE_1)
	s_and_not1_b32 vcc_lo, exec_lo, s27
	s_cbranch_vccnz .LBB315_864
; %bb.849:
	s_cmp_lt_i32 s24, 2
	s_mov_b32 s27, -1
	s_cbranch_scc1 .LBB315_859
; %bb.850:
	s_cmp_lt_i32 s24, 3
	s_cbranch_scc1 .LBB315_856
; %bb.851:
	s_cmp_gt_i32 s24, 3
	s_cbranch_scc0 .LBB315_853
; %bb.852:
	s_mov_b32 s27, 0
	s_wait_xcnt 0x0
	v_cndmask_b32_e64 v2, 0, 1, s1
	v_mov_b32_e32 v3, s27
	global_store_b64 v[0:1], v[2:3], off
.LBB315_853:
	s_and_not1_b32 vcc_lo, exec_lo, s27
	s_cbranch_vccnz .LBB315_855
; %bb.854:
	s_wait_xcnt 0x0
	v_cndmask_b32_e64 v2, 0, 1, s1
	global_store_b32 v[0:1], v2, off
.LBB315_855:
	s_mov_b32 s27, 0
.LBB315_856:
	s_delay_alu instid0(SALU_CYCLE_1)
	s_and_not1_b32 vcc_lo, exec_lo, s27
	s_cbranch_vccnz .LBB315_858
; %bb.857:
	s_wait_xcnt 0x0
	v_cndmask_b32_e64 v2, 0, 1, s1
	global_store_b16 v[0:1], v2, off
.LBB315_858:
	s_mov_b32 s27, 0
.LBB315_859:
	s_delay_alu instid0(SALU_CYCLE_1)
	s_and_not1_b32 vcc_lo, exec_lo, s27
	s_cbranch_vccnz .LBB315_864
; %bb.860:
	s_wait_xcnt 0x0
	v_cndmask_b32_e64 v2, 0, 1, s1
	s_cmp_gt_i32 s24, 0
	s_mov_b32 s1, -1
	s_cbranch_scc0 .LBB315_862
; %bb.861:
	s_mov_b32 s1, 0
	global_store_b8 v[0:1], v2, off
.LBB315_862:
	s_and_not1_b32 vcc_lo, exec_lo, s1
	s_cbranch_vccnz .LBB315_864
; %bb.863:
	global_store_b8 v[0:1], v2, off
.LBB315_864:
	s_branch .LBB315_958
.LBB315_865:
	s_mov_b32 s1, 0
.LBB315_866:
                                        ; implicit-def: $vgpr6
.LBB315_867:
	s_and_not1_b32 s24, s18, exec_lo
	s_and_b32 s2, s2, exec_lo
	s_and_b32 s25, s25, exec_lo
	s_or_b32 s24, s24, s2
	s_and_not1_b32 s2, s20, exec_lo
	s_and_not1_b32 s27, s21, exec_lo
	s_and_b32 s23, s23, exec_lo
	s_or_b32 s25, s2, s25
	s_or_b32 s23, s27, s23
	s_or_not1_b32 s2, s1, exec_lo
.LBB315_868:
	s_wait_xcnt 0x0
	s_or_b32 exec_lo, exec_lo, s26
	s_mov_b32 s1, 0
	s_mov_b32 s28, 0
	;; [unrolled: 1-line block ×3, first 2 shown]
                                        ; implicit-def: $sgpr27
                                        ; implicit-def: $vgpr0_vgpr1
                                        ; implicit-def: $vgpr2
	s_and_saveexec_b32 s26, s2
	s_cbranch_execz .LBB315_1519
; %bb.869:
	s_mov_b32 s34, -1
	s_mov_b32 s2, s23
	s_mov_b32 s28, s25
	;; [unrolled: 1-line block ×3, first 2 shown]
	s_mov_b32 s27, exec_lo
	v_cmpx_gt_i32_e64 s19, v6
	s_cbranch_execz .LBB315_1342
; %bb.870:
	v_mul_lo_u32 v0, v6, s9
	s_and_b32 s2, s16, 0xff
	s_delay_alu instid0(SALU_CYCLE_1) | instskip(NEXT) | instid1(VALU_DEP_1)
	s_cmp_lt_i32 s2, 11
	v_ashrrev_i32_e32 v1, 31, v0
	s_delay_alu instid0(VALU_DEP_1)
	v_add_nc_u64_e32 v[0:1], s[6:7], v[0:1]
	s_cbranch_scc1 .LBB315_879
; %bb.871:
	s_and_b32 s29, 0xffff, s2
	s_delay_alu instid0(SALU_CYCLE_1)
	s_cmp_gt_i32 s29, 25
	s_cbranch_scc0 .LBB315_880
; %bb.872:
	s_cmp_gt_i32 s29, 28
	s_cbranch_scc0 .LBB315_882
; %bb.873:
	;; [unrolled: 3-line block ×4, first 2 shown]
	s_cmp_eq_u32 s29, 46
	s_mov_b32 s30, 0
	s_cbranch_scc0 .LBB315_959
; %bb.876:
	s_wait_loadcnt 0x0
	global_load_b32 v3, v[0:1], off
	v_mov_b32_e32 v2, 0xff
	s_mov_b32 s28, exec_lo
	s_wait_loadcnt 0x0
	v_lshlrev_b32_e32 v4, 16, v3
	s_delay_alu instid0(VALU_DEP_1) | instskip(SKIP_1) | instid1(VALU_DEP_1)
	v_bfe_u32 v5, v4, 23, 8
	s_wait_xcnt 0x0
	v_cmpx_ne_u32_e32 0xff, v5
	s_cbranch_execz .LBB315_878
; %bb.877:
	v_and_b32_e32 v2, 64, v3
	v_and_or_b32 v4, 0x3f0000, v4, v5
	s_delay_alu instid0(VALU_DEP_2) | instskip(NEXT) | instid1(VALU_DEP_2)
	v_cmp_ne_u32_e32 vcc_lo, 0, v2
	v_cmp_ne_u32_e64 s1, 0, v4
	v_bfe_u32 v2, v3, 7, 9
	s_and_b32 s1, vcc_lo, s1
	s_delay_alu instid0(SALU_CYCLE_1) | instskip(NEXT) | instid1(VALU_DEP_1)
	v_cndmask_b32_e64 v3, 0, 1, s1
	v_add_nc_u32_e32 v2, v2, v3
.LBB315_878:
	s_or_b32 exec_lo, exec_lo, s28
	s_mov_b32 s1, -1
	s_mov_b32 s28, 0
	s_branch .LBB315_961
.LBB315_879:
	s_mov_b32 s29, -1
	s_mov_b32 s28, s23
                                        ; implicit-def: $vgpr2
	s_branch .LBB315_1046
.LBB315_880:
	s_mov_b32 s30, -1
	s_mov_b32 s28, s23
                                        ; implicit-def: $vgpr2
	s_branch .LBB315_1002
.LBB315_881:
	s_mov_b32 s29, -1
	s_mov_b32 s2, s18
	s_branch .LBB315_915
.LBB315_882:
	s_mov_b32 s30, -1
	s_mov_b32 s28, s23
                                        ; implicit-def: $vgpr2
	s_branch .LBB315_975
.LBB315_883:
	s_mov_b32 s29, -1
	s_mov_b32 s2, s18
	s_branch .LBB315_898
.LBB315_884:
	s_mov_b32 s30, -1
	s_mov_b32 s28, s23
                                        ; implicit-def: $vgpr2
	s_branch .LBB315_968
.LBB315_885:
	s_mov_b32 s29, -1
	s_mov_b32 s2, s18
	s_branch .LBB315_894
.LBB315_886:
	s_mov_b32 s30, -1
	s_mov_b32 s28, s23
	s_branch .LBB315_960
.LBB315_887:
	s_mov_b32 s29, -1
	s_mov_b32 s2, s18
.LBB315_888:
	s_and_b32 vcc_lo, exec_lo, s29
	s_cbranch_vccz .LBB315_893
; %bb.889:
	s_cmp_eq_u32 s27, 44
	s_mov_b32 s2, -1
	s_cbranch_scc0 .LBB315_893
; %bb.890:
	v_cndmask_b32_e64 v4, 0, 1.0, s1
	s_mov_b32 s28, exec_lo
	s_wait_xcnt 0x0
	s_delay_alu instid0(VALU_DEP_1) | instskip(NEXT) | instid1(VALU_DEP_1)
	v_dual_mov_b32 v3, 0xff :: v_dual_lshrrev_b32 v2, 23, v4
	v_cmpx_ne_u32_e32 0xff, v2
; %bb.891:
	v_and_b32_e32 v3, 0x400000, v4
	v_and_or_b32 v4, 0x3fffff, v4, v2
	s_delay_alu instid0(VALU_DEP_2) | instskip(NEXT) | instid1(VALU_DEP_2)
	v_cmp_ne_u32_e32 vcc_lo, 0, v3
	v_cmp_ne_u32_e64 s2, 0, v4
	s_and_b32 s2, vcc_lo, s2
	s_delay_alu instid0(SALU_CYCLE_1) | instskip(NEXT) | instid1(VALU_DEP_1)
	v_cndmask_b32_e64 v3, 0, 1, s2
	v_add_nc_u32_e32 v3, v2, v3
; %bb.892:
	s_or_b32 exec_lo, exec_lo, s28
	s_mov_b32 s28, -1
	s_mov_b32 s2, 0
	global_store_b8 v[0:1], v3, off
.LBB315_893:
	s_mov_b32 s29, 0
.LBB315_894:
	s_delay_alu instid0(SALU_CYCLE_1)
	s_and_b32 vcc_lo, exec_lo, s29
	s_cbranch_vccz .LBB315_897
; %bb.895:
	s_cmp_eq_u32 s27, 29
	s_mov_b32 s2, -1
	s_cbranch_scc0 .LBB315_897
; %bb.896:
	s_mov_b32 s2, 0
	s_wait_xcnt 0x0
	v_cndmask_b32_e64 v2, 0, 1, s1
	v_mov_b32_e32 v3, s2
	s_mov_b32 s28, -1
	s_mov_b32 s29, 0
	global_store_b64 v[0:1], v[2:3], off
	s_branch .LBB315_898
.LBB315_897:
	s_mov_b32 s29, 0
.LBB315_898:
	s_delay_alu instid0(SALU_CYCLE_1)
	s_and_b32 vcc_lo, exec_lo, s29
	s_cbranch_vccz .LBB315_914
; %bb.899:
	s_cmp_lt_i32 s27, 27
	s_mov_b32 s28, -1
	s_cbranch_scc1 .LBB315_905
; %bb.900:
	s_cmp_gt_i32 s27, 27
	s_cbranch_scc0 .LBB315_902
; %bb.901:
	s_wait_xcnt 0x0
	v_cndmask_b32_e64 v2, 0, 1, s1
	s_mov_b32 s28, 0
	global_store_b32 v[0:1], v2, off
.LBB315_902:
	s_and_not1_b32 vcc_lo, exec_lo, s28
	s_cbranch_vccnz .LBB315_904
; %bb.903:
	s_wait_xcnt 0x0
	v_cndmask_b32_e64 v2, 0, 1, s1
	global_store_b16 v[0:1], v2, off
.LBB315_904:
	s_mov_b32 s28, 0
.LBB315_905:
	s_delay_alu instid0(SALU_CYCLE_1)
	s_and_not1_b32 vcc_lo, exec_lo, s28
	s_cbranch_vccnz .LBB315_913
; %bb.906:
	s_wait_xcnt 0x0
	v_cndmask_b32_e64 v3, 0, 1.0, s1
	v_mov_b32_e32 v4, 0x80
	s_mov_b32 s28, exec_lo
	s_delay_alu instid0(VALU_DEP_2)
	v_cmpx_gt_u32_e32 0x43800000, v3
	s_cbranch_execz .LBB315_912
; %bb.907:
	s_mov_b32 s29, 0
	s_mov_b32 s30, exec_lo
                                        ; implicit-def: $vgpr2
	v_cmpx_lt_u32_e32 0x3bffffff, v3
	s_xor_b32 s30, exec_lo, s30
	s_cbranch_execz .LBB315_964
; %bb.908:
	v_bfe_u32 v2, v3, 20, 1
	s_mov_b32 s29, exec_lo
	s_delay_alu instid0(VALU_DEP_1) | instskip(NEXT) | instid1(VALU_DEP_1)
	v_add3_u32 v2, v3, v2, 0x487ffff
                                        ; implicit-def: $vgpr3
	v_lshrrev_b32_e32 v2, 20, v2
	s_and_not1_saveexec_b32 s30, s30
	s_cbranch_execnz .LBB315_965
.LBB315_909:
	s_or_b32 exec_lo, exec_lo, s30
	v_mov_b32_e32 v4, 0
	s_and_saveexec_b32 s30, s29
.LBB315_910:
	v_mov_b32_e32 v4, v2
.LBB315_911:
	s_or_b32 exec_lo, exec_lo, s30
.LBB315_912:
	s_delay_alu instid0(SALU_CYCLE_1)
	s_or_b32 exec_lo, exec_lo, s28
	global_store_b8 v[0:1], v4, off
.LBB315_913:
	s_mov_b32 s28, -1
.LBB315_914:
	s_mov_b32 s29, 0
.LBB315_915:
	s_delay_alu instid0(SALU_CYCLE_1)
	s_and_b32 vcc_lo, exec_lo, s29
	s_cbranch_vccz .LBB315_956
; %bb.916:
	s_cmp_gt_i32 s27, 22
	s_mov_b32 s29, -1
	s_cbranch_scc0 .LBB315_948
; %bb.917:
	s_cmp_lt_i32 s27, 24
	s_mov_b32 s28, -1
	s_cbranch_scc1 .LBB315_937
; %bb.918:
	s_cmp_gt_i32 s27, 24
	s_cbranch_scc0 .LBB315_926
; %bb.919:
	s_wait_xcnt 0x0
	v_cndmask_b32_e64 v3, 0, 1.0, s1
	v_mov_b32_e32 v4, 0x80
	s_mov_b32 s28, exec_lo
	s_delay_alu instid0(VALU_DEP_2)
	v_cmpx_gt_u32_e32 0x47800000, v3
	s_cbranch_execz .LBB315_925
; %bb.920:
	s_mov_b32 s29, 0
	s_mov_b32 s30, exec_lo
                                        ; implicit-def: $vgpr2
	v_cmpx_lt_u32_e32 0x37ffffff, v3
	s_xor_b32 s30, exec_lo, s30
	s_cbranch_execz .LBB315_1133
; %bb.921:
	v_bfe_u32 v2, v3, 21, 1
	s_mov_b32 s29, exec_lo
	s_delay_alu instid0(VALU_DEP_1) | instskip(NEXT) | instid1(VALU_DEP_1)
	v_add3_u32 v2, v3, v2, 0x88fffff
                                        ; implicit-def: $vgpr3
	v_lshrrev_b32_e32 v2, 21, v2
	s_and_not1_saveexec_b32 s30, s30
	s_cbranch_execnz .LBB315_1134
.LBB315_922:
	s_or_b32 exec_lo, exec_lo, s30
	v_mov_b32_e32 v4, 0
	s_and_saveexec_b32 s30, s29
.LBB315_923:
	v_mov_b32_e32 v4, v2
.LBB315_924:
	s_or_b32 exec_lo, exec_lo, s30
.LBB315_925:
	s_delay_alu instid0(SALU_CYCLE_1)
	s_or_b32 exec_lo, exec_lo, s28
	s_mov_b32 s28, 0
	global_store_b8 v[0:1], v4, off
.LBB315_926:
	s_and_b32 vcc_lo, exec_lo, s28
	s_cbranch_vccz .LBB315_936
; %bb.927:
	s_wait_xcnt 0x0
	v_cndmask_b32_e64 v3, 0, 1.0, s1
	s_mov_b32 s28, exec_lo
                                        ; implicit-def: $vgpr2
	s_delay_alu instid0(VALU_DEP_1)
	v_cmpx_gt_u32_e32 0x43f00000, v3
	s_xor_b32 s28, exec_lo, s28
	s_cbranch_execz .LBB315_933
; %bb.928:
	s_mov_b32 s29, exec_lo
                                        ; implicit-def: $vgpr2
	v_cmpx_lt_u32_e32 0x3c7fffff, v3
	s_xor_b32 s29, exec_lo, s29
; %bb.929:
	v_bfe_u32 v2, v3, 20, 1
	s_delay_alu instid0(VALU_DEP_1) | instskip(NEXT) | instid1(VALU_DEP_1)
	v_add3_u32 v2, v3, v2, 0x407ffff
	v_and_b32_e32 v3, 0xff00000, v2
	v_lshrrev_b32_e32 v2, 20, v2
	s_delay_alu instid0(VALU_DEP_2) | instskip(NEXT) | instid1(VALU_DEP_2)
	v_cmp_ne_u32_e32 vcc_lo, 0x7f00000, v3
                                        ; implicit-def: $vgpr3
	v_cndmask_b32_e32 v2, 0x7e, v2, vcc_lo
; %bb.930:
	s_and_not1_saveexec_b32 s29, s29
; %bb.931:
	v_add_f32_e32 v2, 0x46800000, v3
; %bb.932:
	s_or_b32 exec_lo, exec_lo, s29
                                        ; implicit-def: $vgpr3
.LBB315_933:
	s_and_not1_saveexec_b32 s28, s28
; %bb.934:
	v_mov_b32_e32 v2, 0x7f
	v_cmp_lt_u32_e32 vcc_lo, 0x7f800000, v3
	s_delay_alu instid0(VALU_DEP_2)
	v_cndmask_b32_e32 v2, 0x7e, v2, vcc_lo
; %bb.935:
	s_or_b32 exec_lo, exec_lo, s28
	global_store_b8 v[0:1], v2, off
.LBB315_936:
	s_mov_b32 s28, 0
.LBB315_937:
	s_delay_alu instid0(SALU_CYCLE_1)
	s_and_not1_b32 vcc_lo, exec_lo, s28
	s_cbranch_vccnz .LBB315_947
; %bb.938:
	s_wait_xcnt 0x0
	v_cndmask_b32_e64 v3, 0, 1.0, s1
	s_mov_b32 s28, exec_lo
                                        ; implicit-def: $vgpr2
	s_delay_alu instid0(VALU_DEP_1)
	v_cmpx_gt_u32_e32 0x47800000, v3
	s_xor_b32 s28, exec_lo, s28
	s_cbranch_execz .LBB315_944
; %bb.939:
	s_mov_b32 s29, exec_lo
                                        ; implicit-def: $vgpr2
	v_cmpx_lt_u32_e32 0x387fffff, v3
	s_xor_b32 s29, exec_lo, s29
; %bb.940:
	v_bfe_u32 v2, v3, 21, 1
	s_delay_alu instid0(VALU_DEP_1) | instskip(NEXT) | instid1(VALU_DEP_1)
	v_add3_u32 v2, v3, v2, 0x80fffff
                                        ; implicit-def: $vgpr3
	v_lshrrev_b32_e32 v2, 21, v2
; %bb.941:
	s_and_not1_saveexec_b32 s29, s29
; %bb.942:
	v_add_f32_e32 v2, 0x43000000, v3
; %bb.943:
	s_or_b32 exec_lo, exec_lo, s29
                                        ; implicit-def: $vgpr3
.LBB315_944:
	s_and_not1_saveexec_b32 s28, s28
; %bb.945:
	v_mov_b32_e32 v2, 0x7f
	v_cmp_lt_u32_e32 vcc_lo, 0x7f800000, v3
	s_delay_alu instid0(VALU_DEP_2)
	v_cndmask_b32_e32 v2, 0x7c, v2, vcc_lo
; %bb.946:
	s_or_b32 exec_lo, exec_lo, s28
	global_store_b8 v[0:1], v2, off
.LBB315_947:
	s_mov_b32 s29, 0
	s_mov_b32 s28, -1
.LBB315_948:
	s_and_not1_b32 vcc_lo, exec_lo, s29
	s_cbranch_vccnz .LBB315_956
; %bb.949:
	s_cmp_gt_i32 s27, 14
	s_mov_b32 s29, -1
	s_cbranch_scc0 .LBB315_953
; %bb.950:
	s_cmp_eq_u32 s27, 15
	s_mov_b32 s2, -1
	s_cbranch_scc0 .LBB315_952
; %bb.951:
	s_wait_xcnt 0x0
	v_cndmask_b32_e64 v2, 0, 1.0, s1
	s_mov_b32 s28, -1
	s_mov_b32 s2, 0
	s_delay_alu instid0(VALU_DEP_1) | instskip(NEXT) | instid1(VALU_DEP_1)
	v_bfe_u32 v3, v2, 16, 1
	v_add3_u32 v2, v2, v3, 0x7fff
	global_store_d16_hi_b16 v[0:1], v2, off
.LBB315_952:
	s_mov_b32 s29, 0
.LBB315_953:
	s_delay_alu instid0(SALU_CYCLE_1)
	s_and_b32 vcc_lo, exec_lo, s29
	s_cbranch_vccz .LBB315_956
; %bb.954:
	s_cmp_eq_u32 s27, 11
	s_mov_b32 s2, -1
	s_cbranch_scc0 .LBB315_956
; %bb.955:
	s_wait_xcnt 0x0
	v_cndmask_b32_e64 v2, 0, 1, s1
	s_mov_b32 s28, -1
	s_mov_b32 s2, 0
	global_store_b8 v[0:1], v2, off
.LBB315_956:
.LBB315_957:
	s_and_not1_b32 vcc_lo, exec_lo, s28
	s_cbranch_vccnz .LBB315_865
.LBB315_958:
	v_add_nc_u32_e32 v6, 0x80, v6
	s_mov_b32 s1, -1
	s_branch .LBB315_867
.LBB315_959:
	s_mov_b32 s28, -1
.LBB315_960:
                                        ; implicit-def: $vgpr2
.LBB315_961:
	s_and_b32 vcc_lo, exec_lo, s30
	s_cbranch_vccz .LBB315_967
; %bb.962:
	s_cmp_eq_u32 s29, 44
	s_cbranch_scc0 .LBB315_966
; %bb.963:
	s_wait_loadcnt 0x0
	global_load_u8 v2, v[0:1], off
	s_mov_b32 s1, -1
	s_mov_b32 s28, 0
	s_branch .LBB315_967
.LBB315_964:
	s_and_not1_saveexec_b32 s30, s30
	s_cbranch_execz .LBB315_909
.LBB315_965:
	v_add_f32_e32 v2, 0x46000000, v3
	s_and_not1_b32 s29, s29, exec_lo
	s_delay_alu instid0(VALU_DEP_1) | instskip(NEXT) | instid1(VALU_DEP_1)
	v_and_b32_e32 v2, 0xff, v2
	v_cmp_ne_u32_e32 vcc_lo, 0, v2
	s_and_b32 s31, vcc_lo, exec_lo
	s_delay_alu instid0(SALU_CYCLE_1)
	s_or_b32 s29, s29, s31
	s_or_b32 exec_lo, exec_lo, s30
	v_mov_b32_e32 v4, 0
	s_and_saveexec_b32 s30, s29
	s_cbranch_execnz .LBB315_910
	s_branch .LBB315_911
.LBB315_966:
	s_mov_b32 s28, -1
                                        ; implicit-def: $vgpr2
.LBB315_967:
	s_mov_b32 s30, 0
.LBB315_968:
	s_delay_alu instid0(SALU_CYCLE_1)
	s_and_b32 vcc_lo, exec_lo, s30
	s_cbranch_vccz .LBB315_974
; %bb.969:
	s_cmp_eq_u32 s29, 29
	s_cbranch_scc0 .LBB315_973
; %bb.970:
	s_wait_loadcnt 0x0
	global_load_b64 v[2:3], v[0:1], off
	s_mov_b32 s28, exec_lo
	s_wait_loadcnt 0x0
	v_clz_i32_u32_e32 v4, v3
	s_delay_alu instid0(VALU_DEP_1) | instskip(NEXT) | instid1(VALU_DEP_1)
	v_min_u32_e32 v4, 32, v4
	v_lshlrev_b64_e32 v[2:3], v4, v[2:3]
	s_delay_alu instid0(VALU_DEP_1) | instskip(NEXT) | instid1(VALU_DEP_1)
	v_min_u32_e32 v2, 1, v2
	v_dual_sub_nc_u32 v3, 32, v4 :: v_dual_bitop2_b32 v2, v3, v2 bitop3:0x54
	s_delay_alu instid0(VALU_DEP_1) | instskip(NEXT) | instid1(VALU_DEP_1)
	v_cvt_f32_u32_e32 v2, v2
	v_ldexp_f32 v4, v2, v3
	s_delay_alu instid0(VALU_DEP_1) | instskip(SKIP_1) | instid1(VALU_DEP_1)
	v_dual_mov_b32 v2, 0xff :: v_dual_lshrrev_b32 v3, 23, v4
	s_wait_xcnt 0x0
	v_cmpx_ne_u32_e32 0xff, v3
; %bb.971:
	v_and_b32_e32 v2, 0x400000, v4
	v_and_or_b32 v4, 0x3fffff, v4, v3
	s_delay_alu instid0(VALU_DEP_2) | instskip(NEXT) | instid1(VALU_DEP_2)
	v_cmp_ne_u32_e32 vcc_lo, 0, v2
	v_cmp_ne_u32_e64 s1, 0, v4
	s_and_b32 s1, vcc_lo, s1
	s_delay_alu instid0(SALU_CYCLE_1) | instskip(NEXT) | instid1(VALU_DEP_1)
	v_cndmask_b32_e64 v2, 0, 1, s1
	v_add_nc_u32_e32 v2, v3, v2
; %bb.972:
	s_or_b32 exec_lo, exec_lo, s28
	s_mov_b32 s1, -1
	s_mov_b32 s28, 0
	s_branch .LBB315_974
.LBB315_973:
	s_mov_b32 s28, -1
                                        ; implicit-def: $vgpr2
.LBB315_974:
	s_mov_b32 s30, 0
.LBB315_975:
	s_delay_alu instid0(SALU_CYCLE_1)
	s_and_b32 vcc_lo, exec_lo, s30
	s_cbranch_vccz .LBB315_1001
; %bb.976:
	s_cmp_lt_i32 s29, 27
	s_cbranch_scc1 .LBB315_981
; %bb.977:
	s_cmp_gt_i32 s29, 27
	s_cbranch_scc0 .LBB315_982
; %bb.978:
	s_wait_loadcnt 0x0
	global_load_b32 v2, v[0:1], off
	s_mov_b32 s30, exec_lo
	s_wait_loadcnt 0x0
	v_cvt_f32_u32_e32 v4, v2
	s_delay_alu instid0(VALU_DEP_1) | instskip(SKIP_1) | instid1(VALU_DEP_1)
	v_dual_mov_b32 v2, 0xff :: v_dual_lshrrev_b32 v3, 23, v4
	s_wait_xcnt 0x0
	v_cmpx_ne_u32_e32 0xff, v3
; %bb.979:
	v_and_b32_e32 v2, 0x400000, v4
	v_and_or_b32 v4, 0x3fffff, v4, v3
	s_delay_alu instid0(VALU_DEP_2) | instskip(NEXT) | instid1(VALU_DEP_2)
	v_cmp_ne_u32_e32 vcc_lo, 0, v2
	v_cmp_ne_u32_e64 s1, 0, v4
	s_and_b32 s1, vcc_lo, s1
	s_delay_alu instid0(SALU_CYCLE_1) | instskip(NEXT) | instid1(VALU_DEP_1)
	v_cndmask_b32_e64 v2, 0, 1, s1
	v_add_nc_u32_e32 v2, v3, v2
; %bb.980:
	s_or_b32 exec_lo, exec_lo, s30
	s_mov_b32 s1, 0
	s_branch .LBB315_983
.LBB315_981:
	s_mov_b32 s1, -1
                                        ; implicit-def: $vgpr2
	s_branch .LBB315_988
.LBB315_982:
	s_mov_b32 s1, -1
                                        ; implicit-def: $vgpr2
.LBB315_983:
	s_delay_alu instid0(SALU_CYCLE_1)
	s_and_not1_b32 vcc_lo, exec_lo, s1
	s_cbranch_vccnz .LBB315_987
; %bb.984:
	s_wait_loadcnt 0x0
	global_load_u16 v2, v[0:1], off
	s_mov_b32 s30, exec_lo
	s_wait_loadcnt 0x0
	v_cvt_f32_u32_e32 v4, v2
	s_delay_alu instid0(VALU_DEP_1) | instskip(SKIP_1) | instid1(VALU_DEP_1)
	v_dual_mov_b32 v2, 0xff :: v_dual_lshrrev_b32 v3, 23, v4
	s_wait_xcnt 0x0
	v_cmpx_ne_u32_e32 0xff, v3
; %bb.985:
	v_and_b32_e32 v2, 0x400000, v4
	v_and_or_b32 v4, 0x3fffff, v4, v3
	s_delay_alu instid0(VALU_DEP_2) | instskip(NEXT) | instid1(VALU_DEP_2)
	v_cmp_ne_u32_e32 vcc_lo, 0, v2
	v_cmp_ne_u32_e64 s1, 0, v4
	s_and_b32 s1, vcc_lo, s1
	s_delay_alu instid0(SALU_CYCLE_1) | instskip(NEXT) | instid1(VALU_DEP_1)
	v_cndmask_b32_e64 v2, 0, 1, s1
	v_add_nc_u32_e32 v2, v3, v2
; %bb.986:
	s_or_b32 exec_lo, exec_lo, s30
.LBB315_987:
	s_mov_b32 s1, 0
.LBB315_988:
	s_delay_alu instid0(SALU_CYCLE_1)
	s_and_not1_b32 vcc_lo, exec_lo, s1
	s_cbranch_vccnz .LBB315_1000
; %bb.989:
	s_wait_loadcnt 0x0
	global_load_u8 v2, v[0:1], off
	s_mov_b32 s1, 0
	s_mov_b32 s30, exec_lo
	s_wait_loadcnt 0x0
	v_cmpx_lt_i16_e32 0x7f, v2
	s_xor_b32 s30, exec_lo, s30
	s_cbranch_execz .LBB315_993
; %bb.990:
	s_mov_b32 s1, -1
	s_mov_b32 s31, exec_lo
	v_cmpx_eq_u16_e32 0x80, v2
; %bb.991:
	s_xor_b32 s1, exec_lo, -1
; %bb.992:
	s_or_b32 exec_lo, exec_lo, s31
	s_delay_alu instid0(SALU_CYCLE_1)
	s_and_b32 s1, s1, exec_lo
.LBB315_993:
	s_or_saveexec_b32 s30, s30
	v_mov_b32_e32 v3, 0x7f800001
	v_and_b32_e32 v4, 0xffff, v2
	s_xor_b32 exec_lo, exec_lo, s30
; %bb.994:
	v_cmp_ne_u16_e32 vcc_lo, 0, v2
	s_delay_alu instid0(VALU_DEP_2) | instskip(SKIP_2) | instid1(SALU_CYCLE_1)
	v_mov_b32_e32 v3, v4
	s_and_not1_b32 s1, s1, exec_lo
	s_and_b32 s31, vcc_lo, exec_lo
	s_or_b32 s1, s1, s31
; %bb.995:
	s_or_b32 exec_lo, exec_lo, s30
	s_and_saveexec_b32 s30, s1
	s_cbranch_execz .LBB315_997
; %bb.996:
	v_and_b32_e32 v2, 7, v4
	s_delay_alu instid0(VALU_DEP_1) | instskip(NEXT) | instid1(VALU_DEP_1)
	v_clz_i32_u32_e32 v3, v2
	v_min_u32_e32 v3, 32, v3
	s_delay_alu instid0(VALU_DEP_1) | instskip(NEXT) | instid1(VALU_DEP_1)
	v_subrev_nc_u32_e32 v5, 28, v3
	v_lshlrev_b32_e32 v5, v5, v4
	v_bfe_u32 v4, v4, 3, 4
	s_delay_alu instid0(VALU_DEP_2) | instskip(NEXT) | instid1(VALU_DEP_2)
	v_dual_sub_nc_u32 v3, 29, v3 :: v_dual_bitop2_b32 v5, 7, v5 bitop3:0x40
	v_cmp_eq_u32_e32 vcc_lo, 0, v4
	s_delay_alu instid0(VALU_DEP_2) | instskip(NEXT) | instid1(VALU_DEP_1)
	v_dual_cndmask_b32 v3, v4, v3 :: v_dual_cndmask_b32 v2, v2, v5
	v_lshlrev_b32_e32 v2, 20, v2
	s_delay_alu instid0(VALU_DEP_1) | instskip(NEXT) | instid1(VALU_DEP_1)
	v_lshl_or_b32 v2, v3, 23, v2
	v_add_nc_u32_e32 v3, 0x3b800000, v2
.LBB315_997:
	s_or_b32 exec_lo, exec_lo, s30
	s_delay_alu instid0(VALU_DEP_1) | instskip(SKIP_2) | instid1(VALU_DEP_2)
	v_lshrrev_b32_e32 v4, 23, v3
	v_mov_b32_e32 v2, 0xff
	s_mov_b32 s30, exec_lo
	v_cmpx_ne_u32_e32 0xff, v4
; %bb.998:
	v_and_b32_e32 v2, 0x400000, v3
	v_and_or_b32 v3, 0x3fffff, v3, v4
	s_delay_alu instid0(VALU_DEP_2) | instskip(NEXT) | instid1(VALU_DEP_2)
	v_cmp_ne_u32_e32 vcc_lo, 0, v2
	v_cmp_ne_u32_e64 s1, 0, v3
	s_and_b32 s1, vcc_lo, s1
	s_delay_alu instid0(SALU_CYCLE_1) | instskip(NEXT) | instid1(VALU_DEP_1)
	v_cndmask_b32_e64 v2, 0, 1, s1
	v_add_nc_u32_e32 v2, v4, v2
; %bb.999:
	s_or_b32 exec_lo, exec_lo, s30
.LBB315_1000:
	s_mov_b32 s1, -1
.LBB315_1001:
	s_mov_b32 s30, 0
.LBB315_1002:
	s_delay_alu instid0(SALU_CYCLE_1)
	s_and_b32 vcc_lo, exec_lo, s30
	s_cbranch_vccz .LBB315_1045
; %bb.1003:
	s_cmp_gt_i32 s29, 22
	s_cbranch_scc0 .LBB315_1017
; %bb.1004:
	s_cmp_lt_i32 s29, 24
	s_cbranch_scc1 .LBB315_1018
; %bb.1005:
	s_cmp_gt_i32 s29, 24
	s_cbranch_scc0 .LBB315_1019
; %bb.1006:
	s_wait_loadcnt 0x0
	global_load_u8 v2, v[0:1], off
	s_mov_b32 s1, 0
	s_mov_b32 s30, exec_lo
	s_wait_loadcnt 0x0
	v_cmpx_lt_i16_e32 0x7f, v2
	s_xor_b32 s30, exec_lo, s30
	s_cbranch_execz .LBB315_1010
; %bb.1007:
	s_mov_b32 s1, -1
	s_mov_b32 s31, exec_lo
	v_cmpx_eq_u16_e32 0x80, v2
; %bb.1008:
	s_xor_b32 s1, exec_lo, -1
; %bb.1009:
	s_or_b32 exec_lo, exec_lo, s31
	s_delay_alu instid0(SALU_CYCLE_1)
	s_and_b32 s1, s1, exec_lo
.LBB315_1010:
	s_or_saveexec_b32 s30, s30
	v_mov_b32_e32 v3, 0x7f800001
	v_and_b32_e32 v4, 0xffff, v2
	s_xor_b32 exec_lo, exec_lo, s30
; %bb.1011:
	v_cmp_ne_u16_e32 vcc_lo, 0, v2
	s_delay_alu instid0(VALU_DEP_2) | instskip(SKIP_2) | instid1(SALU_CYCLE_1)
	v_mov_b32_e32 v3, v4
	s_and_not1_b32 s1, s1, exec_lo
	s_and_b32 s31, vcc_lo, exec_lo
	s_or_b32 s1, s1, s31
; %bb.1012:
	s_or_b32 exec_lo, exec_lo, s30
	s_and_saveexec_b32 s30, s1
	s_cbranch_execz .LBB315_1014
; %bb.1013:
	v_and_b32_e32 v2, 3, v4
	s_delay_alu instid0(VALU_DEP_1) | instskip(NEXT) | instid1(VALU_DEP_1)
	v_clz_i32_u32_e32 v3, v2
	v_min_u32_e32 v3, 32, v3
	s_delay_alu instid0(VALU_DEP_1) | instskip(NEXT) | instid1(VALU_DEP_1)
	v_subrev_nc_u32_e32 v5, 29, v3
	v_lshlrev_b32_e32 v5, v5, v4
	v_bfe_u32 v4, v4, 2, 5
	s_delay_alu instid0(VALU_DEP_2) | instskip(NEXT) | instid1(VALU_DEP_2)
	v_dual_sub_nc_u32 v3, 30, v3 :: v_dual_bitop2_b32 v5, 3, v5 bitop3:0x40
	v_cmp_eq_u32_e32 vcc_lo, 0, v4
	s_delay_alu instid0(VALU_DEP_2) | instskip(NEXT) | instid1(VALU_DEP_1)
	v_dual_cndmask_b32 v3, v4, v3 :: v_dual_cndmask_b32 v2, v2, v5
	v_lshlrev_b32_e32 v2, 21, v2
	s_delay_alu instid0(VALU_DEP_1) | instskip(NEXT) | instid1(VALU_DEP_1)
	v_lshl_or_b32 v2, v3, 23, v2
	v_add_nc_u32_e32 v3, 0x37800000, v2
.LBB315_1014:
	s_or_b32 exec_lo, exec_lo, s30
	s_delay_alu instid0(VALU_DEP_1) | instskip(SKIP_2) | instid1(VALU_DEP_2)
	v_lshrrev_b32_e32 v4, 23, v3
	v_mov_b32_e32 v2, 0xff
	s_mov_b32 s30, exec_lo
	v_cmpx_ne_u32_e32 0xff, v4
; %bb.1015:
	v_and_b32_e32 v2, 0x400000, v3
	v_and_or_b32 v3, 0x3fffff, v3, v4
	s_delay_alu instid0(VALU_DEP_2) | instskip(NEXT) | instid1(VALU_DEP_2)
	v_cmp_ne_u32_e32 vcc_lo, 0, v2
	v_cmp_ne_u32_e64 s1, 0, v3
	s_and_b32 s1, vcc_lo, s1
	s_delay_alu instid0(SALU_CYCLE_1) | instskip(NEXT) | instid1(VALU_DEP_1)
	v_cndmask_b32_e64 v2, 0, 1, s1
	v_add_nc_u32_e32 v2, v4, v2
; %bb.1016:
	s_or_b32 exec_lo, exec_lo, s30
	s_mov_b32 s1, 0
	s_branch .LBB315_1020
.LBB315_1017:
	s_mov_b32 s30, -1
                                        ; implicit-def: $vgpr2
	s_branch .LBB315_1030
.LBB315_1018:
	s_mov_b32 s1, -1
                                        ; implicit-def: $vgpr2
	s_branch .LBB315_1025
.LBB315_1019:
	s_mov_b32 s1, -1
                                        ; implicit-def: $vgpr2
.LBB315_1020:
	s_delay_alu instid0(SALU_CYCLE_1)
	s_and_b32 vcc_lo, exec_lo, s1
	s_cbranch_vccz .LBB315_1024
; %bb.1021:
	s_wait_loadcnt 0x0
	global_load_u8 v2, v[0:1], off
	s_mov_b32 s30, exec_lo
	s_wait_loadcnt 0x0
	v_lshlrev_b32_e32 v2, 24, v2
	s_delay_alu instid0(VALU_DEP_1) | instskip(NEXT) | instid1(VALU_DEP_1)
	v_and_b32_e32 v2, 0x7f000000, v2
	v_clz_i32_u32_e32 v3, v2
	v_cmp_ne_u32_e32 vcc_lo, 0, v2
	v_add_nc_u32_e32 v5, 0x1000000, v2
	s_delay_alu instid0(VALU_DEP_3) | instskip(NEXT) | instid1(VALU_DEP_1)
	v_min_u32_e32 v3, 32, v3
	v_sub_nc_u32_e64 v3, v3, 4 clamp
	s_delay_alu instid0(VALU_DEP_1) | instskip(SKIP_1) | instid1(VALU_DEP_2)
	v_dual_lshlrev_b32 v4, v3, v2 :: v_dual_lshlrev_b32 v3, 23, v3
	v_mov_b32_e32 v2, 0xff
	v_lshrrev_b32_e32 v4, 4, v4
	s_delay_alu instid0(VALU_DEP_1) | instskip(NEXT) | instid1(VALU_DEP_1)
	v_dual_sub_nc_u32 v3, v4, v3 :: v_dual_ashrrev_i32 v4, 8, v5
	v_add_nc_u32_e32 v3, 0x3c000000, v3
	s_delay_alu instid0(VALU_DEP_1) | instskip(NEXT) | instid1(VALU_DEP_1)
	v_and_or_b32 v3, 0x7f800000, v4, v3
	v_cndmask_b32_e32 v4, 0, v3, vcc_lo
	s_delay_alu instid0(VALU_DEP_1) | instskip(SKIP_1) | instid1(VALU_DEP_1)
	v_lshrrev_b32_e32 v3, 23, v4
	s_wait_xcnt 0x0
	v_cmpx_ne_u32_e32 0xff, v3
; %bb.1022:
	v_and_b32_e32 v2, 0x400000, v4
	v_and_or_b32 v4, 0x3fffff, v4, v3
	s_delay_alu instid0(VALU_DEP_2) | instskip(NEXT) | instid1(VALU_DEP_2)
	v_cmp_ne_u32_e32 vcc_lo, 0, v2
	v_cmp_ne_u32_e64 s1, 0, v4
	s_and_b32 s1, vcc_lo, s1
	s_delay_alu instid0(SALU_CYCLE_1) | instskip(NEXT) | instid1(VALU_DEP_1)
	v_cndmask_b32_e64 v2, 0, 1, s1
	v_add_nc_u32_e32 v2, v3, v2
; %bb.1023:
	s_or_b32 exec_lo, exec_lo, s30
.LBB315_1024:
	s_mov_b32 s1, 0
.LBB315_1025:
	s_delay_alu instid0(SALU_CYCLE_1)
	s_and_not1_b32 vcc_lo, exec_lo, s1
	s_cbranch_vccnz .LBB315_1029
; %bb.1026:
	s_wait_loadcnt 0x0
	global_load_u8 v2, v[0:1], off
	s_mov_b32 s30, exec_lo
	s_wait_loadcnt 0x0
	v_dual_lshlrev_b32 v3, 25, v2 :: v_dual_lshlrev_b32 v2, 8, v2
	s_delay_alu instid0(VALU_DEP_1) | instskip(NEXT) | instid1(VALU_DEP_2)
	v_cmp_gt_u32_e32 vcc_lo, 0x8000000, v3
	v_and_or_b32 v2, 0x7f00, v2, 0.5
	s_delay_alu instid0(VALU_DEP_1) | instskip(NEXT) | instid1(VALU_DEP_1)
	v_dual_lshrrev_b32 v4, 4, v3 :: v_dual_add_f32 v2, -0.5, v2
	v_or_b32_e32 v4, 0x70000000, v4
	s_delay_alu instid0(VALU_DEP_1) | instskip(NEXT) | instid1(VALU_DEP_1)
	v_mul_f32_e32 v4, 0x7800000, v4
	v_dual_cndmask_b32 v3, v4, v2 :: v_dual_mov_b32 v2, 0xff
	s_delay_alu instid0(VALU_DEP_1) | instskip(SKIP_1) | instid1(VALU_DEP_1)
	v_bfe_u32 v4, v3, 23, 8
	s_wait_xcnt 0x0
	v_cmpx_ne_u32_e32 0xff, v4
	s_cbranch_execz .LBB315_1028
; %bb.1027:
	v_and_b32_e32 v2, 0x400000, v3
	v_and_or_b32 v4, 0x3fffff, v3, v4
	s_delay_alu instid0(VALU_DEP_2) | instskip(NEXT) | instid1(VALU_DEP_2)
	v_cmp_ne_u32_e32 vcc_lo, 0, v2
	v_cmp_ne_u32_e64 s1, 0, v4
	v_lshrrev_b32_e32 v2, 23, v3
	s_and_b32 s1, vcc_lo, s1
	s_delay_alu instid0(SALU_CYCLE_1) | instskip(NEXT) | instid1(VALU_DEP_1)
	v_cndmask_b32_e64 v3, 0, 1, s1
	v_add_nc_u32_e32 v2, v2, v3
.LBB315_1028:
	s_or_b32 exec_lo, exec_lo, s30
.LBB315_1029:
	s_mov_b32 s30, 0
	s_mov_b32 s1, -1
.LBB315_1030:
	s_and_not1_b32 vcc_lo, exec_lo, s30
	s_cbranch_vccnz .LBB315_1045
; %bb.1031:
	s_cmp_gt_i32 s29, 14
	s_cbranch_scc0 .LBB315_1036
; %bb.1032:
	s_cmp_eq_u32 s29, 15
	s_cbranch_scc0 .LBB315_1037
; %bb.1033:
	s_wait_loadcnt 0x0
	global_load_u16 v3, v[0:1], off
	v_mov_b32_e32 v2, 0xff
	s_mov_b32 s28, exec_lo
	s_wait_loadcnt 0x0
	v_bfe_u32 v4, v3, 7, 8
	s_wait_xcnt 0x0
	s_delay_alu instid0(VALU_DEP_1)
	v_cmpx_ne_u32_e32 0xff, v4
	s_cbranch_execz .LBB315_1035
; %bb.1034:
	v_dual_lshlrev_b32 v2, 16, v3 :: v_dual_bitop2_b32 v5, 64, v3 bitop3:0x40
	s_delay_alu instid0(VALU_DEP_1) | instskip(NEXT) | instid1(VALU_DEP_2)
	v_and_or_b32 v2, 0x3f0000, v2, v4
	v_cmp_ne_u32_e32 vcc_lo, 0, v5
	s_delay_alu instid0(VALU_DEP_2) | instskip(SKIP_2) | instid1(SALU_CYCLE_1)
	v_cmp_ne_u32_e64 s1, 0, v2
	v_lshrrev_b32_e32 v2, 7, v3
	s_and_b32 s1, vcc_lo, s1
	v_cndmask_b32_e64 v3, 0, 1, s1
	s_delay_alu instid0(VALU_DEP_1)
	v_add_nc_u32_e32 v2, v2, v3
.LBB315_1035:
	s_or_b32 exec_lo, exec_lo, s28
	s_mov_b32 s1, -1
	s_mov_b32 s28, 0
	s_branch .LBB315_1038
.LBB315_1036:
	s_mov_b32 s30, -1
                                        ; implicit-def: $vgpr2
	s_branch .LBB315_1039
.LBB315_1037:
	s_mov_b32 s28, -1
                                        ; implicit-def: $vgpr2
.LBB315_1038:
	s_mov_b32 s30, 0
.LBB315_1039:
	s_delay_alu instid0(SALU_CYCLE_1)
	s_and_b32 vcc_lo, exec_lo, s30
	s_cbranch_vccz .LBB315_1045
; %bb.1040:
	s_cmp_eq_u32 s29, 11
	s_cbranch_scc0 .LBB315_1044
; %bb.1041:
	s_wait_loadcnt 0x0
	global_load_u8 v2, v[0:1], off
	s_mov_b32 s28, 0
	s_mov_b32 s29, exec_lo
	s_wait_loadcnt 0x0
	v_cmp_ne_u16_e32 vcc_lo, 0, v2
	v_mov_b32_e32 v2, 0xff
	v_cndmask_b32_e64 v4, 0, 1.0, vcc_lo
	s_delay_alu instid0(VALU_DEP_1) | instskip(SKIP_1) | instid1(VALU_DEP_1)
	v_lshrrev_b32_e32 v3, 23, v4
	s_wait_xcnt 0x0
	v_cmpx_ne_u32_e32 0xff, v3
; %bb.1042:
	v_and_b32_e32 v2, 0x400000, v4
	v_and_or_b32 v4, 0x3fffff, v4, v3
	s_delay_alu instid0(VALU_DEP_2) | instskip(NEXT) | instid1(VALU_DEP_2)
	v_cmp_ne_u32_e32 vcc_lo, 0, v2
	v_cmp_ne_u32_e64 s1, 0, v4
	s_and_b32 s1, vcc_lo, s1
	s_delay_alu instid0(SALU_CYCLE_1) | instskip(NEXT) | instid1(VALU_DEP_1)
	v_cndmask_b32_e64 v2, 0, 1, s1
	v_add_nc_u32_e32 v2, v3, v2
; %bb.1043:
	s_or_b32 exec_lo, exec_lo, s29
	s_mov_b32 s1, -1
	s_branch .LBB315_1045
.LBB315_1044:
	s_mov_b32 s28, -1
                                        ; implicit-def: $vgpr2
.LBB315_1045:
	s_mov_b32 s29, 0
.LBB315_1046:
	s_delay_alu instid0(SALU_CYCLE_1)
	s_and_b32 vcc_lo, exec_lo, s29
	s_cbranch_vccz .LBB315_1117
; %bb.1047:
	s_and_b32 s2, 0xffff, s2
	s_delay_alu instid0(SALU_CYCLE_1)
	s_cmp_lt_i32 s2, 5
	s_cbranch_scc1 .LBB315_1054
; %bb.1048:
	s_cmp_lt_i32 s2, 8
	s_cbranch_scc1 .LBB315_1055
; %bb.1049:
	;; [unrolled: 3-line block ×3, first 2 shown]
	s_cmp_gt_i32 s2, 9
	s_cbranch_scc0 .LBB315_1057
; %bb.1051:
	s_wait_loadcnt 0x0
	global_load_b64 v[2:3], v[0:1], off
	s_mov_b32 s29, exec_lo
	s_wait_loadcnt 0x0
	v_cvt_f32_f64_e32 v3, v[2:3]
	v_mov_b32_e32 v2, 0xff
	s_delay_alu instid0(VALU_DEP_2) | instskip(SKIP_1) | instid1(VALU_DEP_1)
	v_bfe_u32 v4, v3, 23, 8
	s_wait_xcnt 0x0
	v_cmpx_ne_u32_e32 0xff, v4
	s_cbranch_execz .LBB315_1053
; %bb.1052:
	v_and_b32_e32 v2, 0x400000, v3
	v_and_or_b32 v4, 0x3fffff, v3, v4
	s_delay_alu instid0(VALU_DEP_2) | instskip(NEXT) | instid1(VALU_DEP_2)
	v_cmp_ne_u32_e32 vcc_lo, 0, v2
	v_cmp_ne_u32_e64 s1, 0, v4
	v_lshrrev_b32_e32 v2, 23, v3
	s_and_b32 s1, vcc_lo, s1
	s_delay_alu instid0(SALU_CYCLE_1) | instskip(NEXT) | instid1(VALU_DEP_1)
	v_cndmask_b32_e64 v3, 0, 1, s1
	v_add_nc_u32_e32 v2, v2, v3
.LBB315_1053:
	s_or_b32 exec_lo, exec_lo, s29
	s_mov_b32 s1, 0
	s_branch .LBB315_1058
.LBB315_1054:
	s_mov_b32 s1, -1
                                        ; implicit-def: $vgpr2
	s_branch .LBB315_1086
.LBB315_1055:
	s_mov_b32 s1, -1
                                        ; implicit-def: $vgpr2
	s_branch .LBB315_1068
.LBB315_1056:
	s_mov_b32 s1, -1
                                        ; implicit-def: $vgpr2
	s_branch .LBB315_1063
.LBB315_1057:
	s_mov_b32 s1, -1
                                        ; implicit-def: $vgpr2
.LBB315_1058:
	s_delay_alu instid0(SALU_CYCLE_1)
	s_and_not1_b32 vcc_lo, exec_lo, s1
	s_cbranch_vccnz .LBB315_1062
; %bb.1059:
	s_wait_loadcnt 0x0
	global_load_b32 v3, v[0:1], off
	v_mov_b32_e32 v2, 0xff
	s_mov_b32 s29, exec_lo
	s_wait_loadcnt 0x0
	v_bfe_u32 v4, v3, 23, 8
	s_wait_xcnt 0x0
	s_delay_alu instid0(VALU_DEP_1)
	v_cmpx_ne_u32_e32 0xff, v4
	s_cbranch_execz .LBB315_1061
; %bb.1060:
	v_and_b32_e32 v2, 0x400000, v3
	v_and_or_b32 v4, 0x3fffff, v3, v4
	s_delay_alu instid0(VALU_DEP_2) | instskip(NEXT) | instid1(VALU_DEP_2)
	v_cmp_ne_u32_e32 vcc_lo, 0, v2
	v_cmp_ne_u32_e64 s1, 0, v4
	v_lshrrev_b32_e32 v2, 23, v3
	s_and_b32 s1, vcc_lo, s1
	s_delay_alu instid0(SALU_CYCLE_1) | instskip(NEXT) | instid1(VALU_DEP_1)
	v_cndmask_b32_e64 v3, 0, 1, s1
	v_add_nc_u32_e32 v2, v2, v3
.LBB315_1061:
	s_or_b32 exec_lo, exec_lo, s29
.LBB315_1062:
	s_mov_b32 s1, 0
.LBB315_1063:
	s_delay_alu instid0(SALU_CYCLE_1)
	s_and_not1_b32 vcc_lo, exec_lo, s1
	s_cbranch_vccnz .LBB315_1067
; %bb.1064:
	s_wait_loadcnt 0x0
	global_load_b32 v2, v[0:1], off
	s_mov_b32 s29, exec_lo
	s_wait_loadcnt 0x0
	v_cvt_f32_f16_e32 v3, v2
	v_mov_b32_e32 v2, 0xff
	s_delay_alu instid0(VALU_DEP_2) | instskip(SKIP_1) | instid1(VALU_DEP_1)
	v_bfe_u32 v4, v3, 23, 8
	s_wait_xcnt 0x0
	v_cmpx_ne_u32_e32 0xff, v4
	s_cbranch_execz .LBB315_1066
; %bb.1065:
	v_and_b32_e32 v2, 0x400000, v3
	v_and_or_b32 v4, 0x3fffff, v3, v4
	s_delay_alu instid0(VALU_DEP_2) | instskip(NEXT) | instid1(VALU_DEP_2)
	v_cmp_ne_u32_e32 vcc_lo, 0, v2
	v_cmp_ne_u32_e64 s1, 0, v4
	v_lshrrev_b32_e32 v2, 23, v3
	s_and_b32 s1, vcc_lo, s1
	s_delay_alu instid0(SALU_CYCLE_1) | instskip(NEXT) | instid1(VALU_DEP_1)
	v_cndmask_b32_e64 v3, 0, 1, s1
	v_add_nc_u32_e32 v2, v2, v3
.LBB315_1066:
	s_or_b32 exec_lo, exec_lo, s29
.LBB315_1067:
	s_mov_b32 s1, 0
.LBB315_1068:
	s_delay_alu instid0(SALU_CYCLE_1)
	s_and_not1_b32 vcc_lo, exec_lo, s1
	s_cbranch_vccnz .LBB315_1085
; %bb.1069:
	s_cmp_lt_i32 s2, 6
	s_cbranch_scc1 .LBB315_1074
; %bb.1070:
	s_cmp_gt_i32 s2, 6
	s_cbranch_scc0 .LBB315_1075
; %bb.1071:
	s_wait_loadcnt 0x0
	global_load_b64 v[2:3], v[0:1], off
	s_mov_b32 s29, exec_lo
	s_wait_loadcnt 0x0
	v_cvt_f32_f64_e32 v3, v[2:3]
	v_mov_b32_e32 v2, 0xff
	s_delay_alu instid0(VALU_DEP_2) | instskip(SKIP_1) | instid1(VALU_DEP_1)
	v_bfe_u32 v4, v3, 23, 8
	s_wait_xcnt 0x0
	v_cmpx_ne_u32_e32 0xff, v4
	s_cbranch_execz .LBB315_1073
; %bb.1072:
	v_and_b32_e32 v2, 0x400000, v3
	v_and_or_b32 v4, 0x3fffff, v3, v4
	s_delay_alu instid0(VALU_DEP_2) | instskip(NEXT) | instid1(VALU_DEP_2)
	v_cmp_ne_u32_e32 vcc_lo, 0, v2
	v_cmp_ne_u32_e64 s1, 0, v4
	v_lshrrev_b32_e32 v2, 23, v3
	s_and_b32 s1, vcc_lo, s1
	s_delay_alu instid0(SALU_CYCLE_1) | instskip(NEXT) | instid1(VALU_DEP_1)
	v_cndmask_b32_e64 v3, 0, 1, s1
	v_add_nc_u32_e32 v2, v2, v3
.LBB315_1073:
	s_or_b32 exec_lo, exec_lo, s29
	s_mov_b32 s1, 0
	s_branch .LBB315_1076
.LBB315_1074:
	s_mov_b32 s1, -1
                                        ; implicit-def: $vgpr2
	s_branch .LBB315_1081
.LBB315_1075:
	s_mov_b32 s1, -1
                                        ; implicit-def: $vgpr2
.LBB315_1076:
	s_delay_alu instid0(SALU_CYCLE_1)
	s_and_not1_b32 vcc_lo, exec_lo, s1
	s_cbranch_vccnz .LBB315_1080
; %bb.1077:
	s_wait_loadcnt 0x0
	global_load_b32 v3, v[0:1], off
	v_mov_b32_e32 v2, 0xff
	s_mov_b32 s29, exec_lo
	s_wait_loadcnt 0x0
	v_bfe_u32 v4, v3, 23, 8
	s_wait_xcnt 0x0
	s_delay_alu instid0(VALU_DEP_1)
	v_cmpx_ne_u32_e32 0xff, v4
	s_cbranch_execz .LBB315_1079
; %bb.1078:
	v_and_b32_e32 v2, 0x400000, v3
	v_and_or_b32 v4, 0x3fffff, v3, v4
	s_delay_alu instid0(VALU_DEP_2) | instskip(NEXT) | instid1(VALU_DEP_2)
	v_cmp_ne_u32_e32 vcc_lo, 0, v2
	v_cmp_ne_u32_e64 s1, 0, v4
	v_lshrrev_b32_e32 v2, 23, v3
	s_and_b32 s1, vcc_lo, s1
	s_delay_alu instid0(SALU_CYCLE_1) | instskip(NEXT) | instid1(VALU_DEP_1)
	v_cndmask_b32_e64 v3, 0, 1, s1
	v_add_nc_u32_e32 v2, v2, v3
.LBB315_1079:
	s_or_b32 exec_lo, exec_lo, s29
.LBB315_1080:
	s_mov_b32 s1, 0
.LBB315_1081:
	s_delay_alu instid0(SALU_CYCLE_1)
	s_and_not1_b32 vcc_lo, exec_lo, s1
	s_cbranch_vccnz .LBB315_1085
; %bb.1082:
	s_wait_loadcnt 0x0
	global_load_u16 v2, v[0:1], off
	s_mov_b32 s29, exec_lo
	s_wait_loadcnt 0x0
	v_cvt_f32_f16_e32 v3, v2
	v_mov_b32_e32 v2, 0xff
	s_delay_alu instid0(VALU_DEP_2) | instskip(SKIP_1) | instid1(VALU_DEP_1)
	v_bfe_u32 v4, v3, 23, 8
	s_wait_xcnt 0x0
	v_cmpx_ne_u32_e32 0xff, v4
	s_cbranch_execz .LBB315_1084
; %bb.1083:
	v_and_b32_e32 v2, 0x400000, v3
	v_and_or_b32 v4, 0x3fffff, v3, v4
	s_delay_alu instid0(VALU_DEP_2) | instskip(NEXT) | instid1(VALU_DEP_2)
	v_cmp_ne_u32_e32 vcc_lo, 0, v2
	v_cmp_ne_u32_e64 s1, 0, v4
	v_lshrrev_b32_e32 v2, 23, v3
	s_and_b32 s1, vcc_lo, s1
	s_delay_alu instid0(SALU_CYCLE_1) | instskip(NEXT) | instid1(VALU_DEP_1)
	v_cndmask_b32_e64 v3, 0, 1, s1
	v_add_nc_u32_e32 v2, v2, v3
.LBB315_1084:
	s_or_b32 exec_lo, exec_lo, s29
.LBB315_1085:
	s_mov_b32 s1, 0
.LBB315_1086:
	s_delay_alu instid0(SALU_CYCLE_1)
	s_and_not1_b32 vcc_lo, exec_lo, s1
	s_cbranch_vccnz .LBB315_1116
; %bb.1087:
	s_cmp_lt_i32 s2, 2
	s_cbranch_scc1 .LBB315_1093
; %bb.1088:
	s_cmp_lt_i32 s2, 3
	s_cbranch_scc1 .LBB315_1094
; %bb.1089:
	s_cmp_gt_i32 s2, 3
	s_cbranch_scc0 .LBB315_1095
; %bb.1090:
	s_wait_loadcnt 0x0
	global_load_b64 v[2:3], v[0:1], off
	s_mov_b32 s29, exec_lo
	s_wait_loadcnt 0x0
	v_xor_b32_e32 v4, v2, v3
	v_cls_i32_e32 v5, v3
	s_delay_alu instid0(VALU_DEP_2) | instskip(NEXT) | instid1(VALU_DEP_1)
	v_ashrrev_i32_e32 v4, 31, v4
	v_add_nc_u32_e32 v4, 32, v4
	s_delay_alu instid0(VALU_DEP_1) | instskip(NEXT) | instid1(VALU_DEP_1)
	v_add_min_u32_e64 v4, v5, -1, v4
	v_lshlrev_b64_e32 v[2:3], v4, v[2:3]
	s_delay_alu instid0(VALU_DEP_1) | instskip(NEXT) | instid1(VALU_DEP_1)
	v_min_u32_e32 v2, 1, v2
	v_dual_sub_nc_u32 v3, 32, v4 :: v_dual_bitop2_b32 v2, v3, v2 bitop3:0x54
	s_delay_alu instid0(VALU_DEP_1) | instskip(NEXT) | instid1(VALU_DEP_1)
	v_cvt_f32_i32_e32 v2, v2
	v_ldexp_f32 v3, v2, v3
	v_mov_b32_e32 v2, 0xff
	s_delay_alu instid0(VALU_DEP_2) | instskip(SKIP_1) | instid1(VALU_DEP_1)
	v_bfe_u32 v4, v3, 23, 8
	s_wait_xcnt 0x0
	v_cmpx_ne_u32_e32 0xff, v4
	s_cbranch_execz .LBB315_1092
; %bb.1091:
	v_and_b32_e32 v2, 0x400000, v3
	v_and_or_b32 v4, 0x3fffff, v3, v4
	s_delay_alu instid0(VALU_DEP_2) | instskip(NEXT) | instid1(VALU_DEP_2)
	v_cmp_ne_u32_e32 vcc_lo, 0, v2
	v_cmp_ne_u32_e64 s1, 0, v4
	v_lshrrev_b32_e32 v2, 23, v3
	s_and_b32 s1, vcc_lo, s1
	s_delay_alu instid0(SALU_CYCLE_1) | instskip(NEXT) | instid1(VALU_DEP_1)
	v_cndmask_b32_e64 v3, 0, 1, s1
	v_add_nc_u32_e32 v2, v2, v3
.LBB315_1092:
	s_or_b32 exec_lo, exec_lo, s29
	s_mov_b32 s1, 0
	s_branch .LBB315_1096
.LBB315_1093:
	s_mov_b32 s1, -1
                                        ; implicit-def: $vgpr2
	s_branch .LBB315_1106
.LBB315_1094:
	s_mov_b32 s1, -1
                                        ; implicit-def: $vgpr2
	s_branch .LBB315_1101
.LBB315_1095:
	s_mov_b32 s1, -1
                                        ; implicit-def: $vgpr2
.LBB315_1096:
	s_delay_alu instid0(SALU_CYCLE_1)
	s_and_not1_b32 vcc_lo, exec_lo, s1
	s_cbranch_vccnz .LBB315_1100
; %bb.1097:
	s_wait_loadcnt 0x0
	global_load_b32 v2, v[0:1], off
	s_mov_b32 s29, exec_lo
	s_wait_loadcnt 0x0
	v_cvt_f32_i32_e32 v3, v2
	v_mov_b32_e32 v2, 0xff
	s_delay_alu instid0(VALU_DEP_2) | instskip(SKIP_1) | instid1(VALU_DEP_1)
	v_bfe_u32 v4, v3, 23, 8
	s_wait_xcnt 0x0
	v_cmpx_ne_u32_e32 0xff, v4
	s_cbranch_execz .LBB315_1099
; %bb.1098:
	v_and_b32_e32 v2, 0x400000, v3
	v_and_or_b32 v4, 0x3fffff, v3, v4
	s_delay_alu instid0(VALU_DEP_2) | instskip(NEXT) | instid1(VALU_DEP_2)
	v_cmp_ne_u32_e32 vcc_lo, 0, v2
	v_cmp_ne_u32_e64 s1, 0, v4
	v_lshrrev_b32_e32 v2, 23, v3
	s_and_b32 s1, vcc_lo, s1
	s_delay_alu instid0(SALU_CYCLE_1) | instskip(NEXT) | instid1(VALU_DEP_1)
	v_cndmask_b32_e64 v3, 0, 1, s1
	v_add_nc_u32_e32 v2, v2, v3
.LBB315_1099:
	s_or_b32 exec_lo, exec_lo, s29
.LBB315_1100:
	s_mov_b32 s1, 0
.LBB315_1101:
	s_delay_alu instid0(SALU_CYCLE_1)
	s_and_not1_b32 vcc_lo, exec_lo, s1
	s_cbranch_vccnz .LBB315_1105
; %bb.1102:
	s_wait_loadcnt 0x0
	global_load_i16 v2, v[0:1], off
	s_mov_b32 s29, exec_lo
	s_wait_loadcnt 0x0
	v_cvt_f32_i32_e32 v3, v2
	v_mov_b32_e32 v2, 0xff
	s_delay_alu instid0(VALU_DEP_2) | instskip(SKIP_1) | instid1(VALU_DEP_1)
	v_bfe_u32 v4, v3, 23, 8
	s_wait_xcnt 0x0
	v_cmpx_ne_u32_e32 0xff, v4
	s_cbranch_execz .LBB315_1104
; %bb.1103:
	v_and_b32_e32 v2, 0x400000, v3
	v_and_or_b32 v4, 0x3fffff, v3, v4
	s_delay_alu instid0(VALU_DEP_2) | instskip(NEXT) | instid1(VALU_DEP_2)
	v_cmp_ne_u32_e32 vcc_lo, 0, v2
	v_cmp_ne_u32_e64 s1, 0, v4
	v_lshrrev_b32_e32 v2, 23, v3
	s_and_b32 s1, vcc_lo, s1
	s_delay_alu instid0(SALU_CYCLE_1) | instskip(NEXT) | instid1(VALU_DEP_1)
	v_cndmask_b32_e64 v3, 0, 1, s1
	v_add_nc_u32_e32 v2, v2, v3
.LBB315_1104:
	s_or_b32 exec_lo, exec_lo, s29
.LBB315_1105:
	s_mov_b32 s1, 0
.LBB315_1106:
	s_delay_alu instid0(SALU_CYCLE_1)
	s_and_not1_b32 vcc_lo, exec_lo, s1
	s_cbranch_vccnz .LBB315_1116
; %bb.1107:
	s_cmp_gt_i32 s2, 0
	s_cbranch_scc0 .LBB315_1111
; %bb.1108:
	s_wait_loadcnt 0x0
	global_load_i8 v2, v[0:1], off
	s_mov_b32 s2, exec_lo
	s_wait_loadcnt 0x0
	v_cvt_f32_i32_e32 v3, v2
	v_mov_b32_e32 v2, 0xff
	s_delay_alu instid0(VALU_DEP_2) | instskip(SKIP_1) | instid1(VALU_DEP_1)
	v_bfe_u32 v4, v3, 23, 8
	s_wait_xcnt 0x0
	v_cmpx_ne_u32_e32 0xff, v4
	s_cbranch_execz .LBB315_1110
; %bb.1109:
	v_and_b32_e32 v2, 0x400000, v3
	v_and_or_b32 v4, 0x3fffff, v3, v4
	s_delay_alu instid0(VALU_DEP_2) | instskip(NEXT) | instid1(VALU_DEP_2)
	v_cmp_ne_u32_e32 vcc_lo, 0, v2
	v_cmp_ne_u32_e64 s1, 0, v4
	v_lshrrev_b32_e32 v2, 23, v3
	s_and_b32 s1, vcc_lo, s1
	s_delay_alu instid0(SALU_CYCLE_1) | instskip(NEXT) | instid1(VALU_DEP_1)
	v_cndmask_b32_e64 v3, 0, 1, s1
	v_add_nc_u32_e32 v2, v2, v3
.LBB315_1110:
	s_or_b32 exec_lo, exec_lo, s2
	s_mov_b32 s1, 0
	s_branch .LBB315_1112
.LBB315_1111:
	s_mov_b32 s1, -1
                                        ; implicit-def: $vgpr2
.LBB315_1112:
	s_delay_alu instid0(SALU_CYCLE_1)
	s_and_not1_b32 vcc_lo, exec_lo, s1
	s_cbranch_vccnz .LBB315_1116
; %bb.1113:
	global_load_u8 v0, v[0:1], off
	s_wait_loadcnt 0x1
	v_mov_b32_e32 v2, 0xff
	s_mov_b32 s2, exec_lo
	s_wait_loadcnt 0x0
	v_cvt_f32_ubyte0_e32 v1, v0
	s_delay_alu instid0(VALU_DEP_1) | instskip(NEXT) | instid1(VALU_DEP_1)
	v_lshrrev_b32_e32 v0, 23, v1
	v_cmpx_ne_u32_e32 0xff, v0
; %bb.1114:
	v_and_b32_e32 v2, 0x400000, v1
	v_and_or_b32 v1, 0x3fffff, v1, v0
	s_delay_alu instid0(VALU_DEP_2) | instskip(NEXT) | instid1(VALU_DEP_2)
	v_cmp_ne_u32_e32 vcc_lo, 0, v2
	v_cmp_ne_u32_e64 s1, 0, v1
	s_and_b32 s1, vcc_lo, s1
	s_delay_alu instid0(SALU_CYCLE_1) | instskip(NEXT) | instid1(VALU_DEP_1)
	v_cndmask_b32_e64 v1, 0, 1, s1
	v_add_nc_u32_e32 v2, v0, v1
; %bb.1115:
	s_or_b32 exec_lo, exec_lo, s2
.LBB315_1116:
	s_mov_b32 s1, -1
.LBB315_1117:
	s_delay_alu instid0(SALU_CYCLE_1)
	s_and_not1_b32 vcc_lo, exec_lo, s1
	s_cbranch_vccnz .LBB315_1127
; %bb.1118:
	s_wait_xcnt 0x0
	v_mul_lo_u32 v0, v6, s10
	s_and_b32 s2, s14, 0xff
	s_delay_alu instid0(SALU_CYCLE_1) | instskip(NEXT) | instid1(VALU_DEP_1)
	s_cmp_lt_i32 s2, 11
	v_ashrrev_i32_e32 v1, 31, v0
	s_delay_alu instid0(VALU_DEP_1)
	v_add_nc_u64_e32 v[0:1], s[12:13], v[0:1]
	s_cbranch_scc1 .LBB315_1128
; %bb.1119:
	s_and_b32 s30, 0xffff, s2
	s_delay_alu instid0(SALU_CYCLE_1)
	s_cmp_gt_i32 s30, 25
	s_cbranch_scc0 .LBB315_1129
; %bb.1120:
	s_cmp_gt_i32 s30, 28
	s_cbranch_scc0 .LBB315_1130
; %bb.1121:
	;; [unrolled: 3-line block ×4, first 2 shown]
	s_cmp_eq_u32 s30, 46
	s_mov_b32 s31, 0
	s_cbranch_scc0 .LBB315_1135
; %bb.1124:
	global_load_b32 v4, v[0:1], off
	s_wait_loadcnt 0x1
	v_mov_b32_e32 v3, 0xff
	s_mov_b32 s29, exec_lo
	s_wait_loadcnt 0x0
	v_lshlrev_b32_e32 v5, 16, v4
	s_delay_alu instid0(VALU_DEP_1) | instskip(SKIP_1) | instid1(VALU_DEP_1)
	v_bfe_u32 v7, v5, 23, 8
	s_wait_xcnt 0x0
	v_cmpx_ne_u32_e32 0xff, v7
	s_cbranch_execz .LBB315_1126
; %bb.1125:
	v_and_b32_e32 v3, 64, v4
	v_and_or_b32 v5, 0x3f0000, v5, v7
	s_delay_alu instid0(VALU_DEP_2) | instskip(NEXT) | instid1(VALU_DEP_2)
	v_cmp_ne_u32_e32 vcc_lo, 0, v3
	v_cmp_ne_u32_e64 s1, 0, v5
	v_bfe_u32 v3, v4, 7, 9
	s_and_b32 s1, vcc_lo, s1
	s_delay_alu instid0(SALU_CYCLE_1) | instskip(NEXT) | instid1(VALU_DEP_1)
	v_cndmask_b32_e64 v4, 0, 1, s1
	v_add_nc_u32_e32 v3, v3, v4
.LBB315_1126:
	s_or_b32 exec_lo, exec_lo, s29
	s_mov_b32 s1, -1
	s_mov_b32 s29, 0
	s_branch .LBB315_1137
.LBB315_1127:
	s_mov_b32 s1, 0
	s_mov_b32 s2, s24
	;; [unrolled: 1-line block ×3, first 2 shown]
	s_branch .LBB315_1340
.LBB315_1128:
	s_mov_b32 s30, -1
	s_mov_b32 s1, 0
	s_mov_b32 s29, s25
                                        ; implicit-def: $vgpr3
	s_branch .LBB315_1220
.LBB315_1129:
	s_mov_b32 s31, -1
	s_mov_b32 s1, 0
	s_mov_b32 s29, s25
                                        ; implicit-def: $vgpr3
	s_branch .LBB315_1176
.LBB315_1130:
	s_mov_b32 s31, -1
	s_mov_b32 s1, 0
	s_mov_b32 s29, s25
                                        ; implicit-def: $vgpr3
	s_branch .LBB315_1149
.LBB315_1131:
	s_mov_b32 s31, -1
	s_mov_b32 s1, 0
	s_mov_b32 s29, s25
                                        ; implicit-def: $vgpr3
	s_branch .LBB315_1142
.LBB315_1132:
	s_mov_b32 s31, -1
	s_mov_b32 s1, 0
	s_mov_b32 s29, s25
	s_branch .LBB315_1136
.LBB315_1133:
	s_and_not1_saveexec_b32 s30, s30
	s_cbranch_execz .LBB315_922
.LBB315_1134:
	v_add_f32_e32 v2, 0x42800000, v3
	s_and_not1_b32 s29, s29, exec_lo
	s_delay_alu instid0(VALU_DEP_1) | instskip(NEXT) | instid1(VALU_DEP_1)
	v_and_b32_e32 v2, 0xff, v2
	v_cmp_ne_u32_e32 vcc_lo, 0, v2
	s_and_b32 s31, vcc_lo, exec_lo
	s_delay_alu instid0(SALU_CYCLE_1)
	s_or_b32 s29, s29, s31
	s_or_b32 exec_lo, exec_lo, s30
	v_mov_b32_e32 v4, 0
	s_and_saveexec_b32 s30, s29
	s_cbranch_execnz .LBB315_923
	s_branch .LBB315_924
.LBB315_1135:
	s_mov_b32 s29, -1
	s_mov_b32 s1, 0
.LBB315_1136:
                                        ; implicit-def: $vgpr3
.LBB315_1137:
	s_and_b32 vcc_lo, exec_lo, s31
	s_cbranch_vccz .LBB315_1141
; %bb.1138:
	s_cmp_eq_u32 s30, 44
	s_cbranch_scc0 .LBB315_1140
; %bb.1139:
	s_wait_loadcnt 0x0
	global_load_u8 v3, v[0:1], off
	s_mov_b32 s1, -1
	s_mov_b32 s29, 0
	s_branch .LBB315_1141
.LBB315_1140:
	s_mov_b32 s29, -1
                                        ; implicit-def: $vgpr3
.LBB315_1141:
	s_mov_b32 s31, 0
.LBB315_1142:
	s_delay_alu instid0(SALU_CYCLE_1)
	s_and_b32 vcc_lo, exec_lo, s31
	s_cbranch_vccz .LBB315_1148
; %bb.1143:
	s_cmp_eq_u32 s30, 29
	s_cbranch_scc0 .LBB315_1147
; %bb.1144:
	global_load_b64 v[4:5], v[0:1], off
	s_mov_b32 s29, exec_lo
	s_wait_loadcnt 0x0
	v_clz_i32_u32_e32 v3, v5
	s_delay_alu instid0(VALU_DEP_1) | instskip(NEXT) | instid1(VALU_DEP_1)
	v_min_u32_e32 v3, 32, v3
	v_lshlrev_b64_e32 v[4:5], v3, v[4:5]
	v_sub_nc_u32_e32 v3, 32, v3
	s_delay_alu instid0(VALU_DEP_2) | instskip(NEXT) | instid1(VALU_DEP_1)
	v_min_u32_e32 v4, 1, v4
	v_or_b32_e32 v4, v5, v4
	s_delay_alu instid0(VALU_DEP_1) | instskip(NEXT) | instid1(VALU_DEP_1)
	v_cvt_f32_u32_e32 v4, v4
	v_ldexp_f32 v5, v4, v3
	s_delay_alu instid0(VALU_DEP_1) | instskip(SKIP_1) | instid1(VALU_DEP_1)
	v_dual_mov_b32 v3, 0xff :: v_dual_lshrrev_b32 v4, 23, v5
	s_wait_xcnt 0x0
	v_cmpx_ne_u32_e32 0xff, v4
; %bb.1145:
	v_and_b32_e32 v3, 0x400000, v5
	v_and_or_b32 v5, 0x3fffff, v5, v4
	s_delay_alu instid0(VALU_DEP_2) | instskip(NEXT) | instid1(VALU_DEP_2)
	v_cmp_ne_u32_e32 vcc_lo, 0, v3
	v_cmp_ne_u32_e64 s1, 0, v5
	s_and_b32 s1, vcc_lo, s1
	s_delay_alu instid0(SALU_CYCLE_1) | instskip(NEXT) | instid1(VALU_DEP_1)
	v_cndmask_b32_e64 v3, 0, 1, s1
	v_add_nc_u32_e32 v3, v4, v3
; %bb.1146:
	s_or_b32 exec_lo, exec_lo, s29
	s_mov_b32 s1, -1
	s_mov_b32 s29, 0
	s_branch .LBB315_1148
.LBB315_1147:
	s_mov_b32 s29, -1
                                        ; implicit-def: $vgpr3
.LBB315_1148:
	s_mov_b32 s31, 0
.LBB315_1149:
	s_delay_alu instid0(SALU_CYCLE_1)
	s_and_b32 vcc_lo, exec_lo, s31
	s_cbranch_vccz .LBB315_1175
; %bb.1150:
	s_cmp_lt_i32 s30, 27
	s_cbranch_scc1 .LBB315_1155
; %bb.1151:
	s_cmp_gt_i32 s30, 27
	s_cbranch_scc0 .LBB315_1156
; %bb.1152:
	s_wait_loadcnt 0x0
	global_load_b32 v3, v[0:1], off
	s_mov_b32 s31, exec_lo
	s_wait_loadcnt 0x0
	v_cvt_f32_u32_e32 v5, v3
	s_delay_alu instid0(VALU_DEP_1) | instskip(SKIP_1) | instid1(VALU_DEP_1)
	v_dual_mov_b32 v3, 0xff :: v_dual_lshrrev_b32 v4, 23, v5
	s_wait_xcnt 0x0
	v_cmpx_ne_u32_e32 0xff, v4
; %bb.1153:
	v_and_b32_e32 v3, 0x400000, v5
	v_and_or_b32 v5, 0x3fffff, v5, v4
	s_delay_alu instid0(VALU_DEP_2) | instskip(NEXT) | instid1(VALU_DEP_2)
	v_cmp_ne_u32_e32 vcc_lo, 0, v3
	v_cmp_ne_u32_e64 s1, 0, v5
	s_and_b32 s1, vcc_lo, s1
	s_delay_alu instid0(SALU_CYCLE_1) | instskip(NEXT) | instid1(VALU_DEP_1)
	v_cndmask_b32_e64 v3, 0, 1, s1
	v_add_nc_u32_e32 v3, v4, v3
; %bb.1154:
	s_or_b32 exec_lo, exec_lo, s31
	s_mov_b32 s1, 0
	s_branch .LBB315_1157
.LBB315_1155:
	s_mov_b32 s1, -1
                                        ; implicit-def: $vgpr3
	s_branch .LBB315_1162
.LBB315_1156:
	s_mov_b32 s1, -1
                                        ; implicit-def: $vgpr3
.LBB315_1157:
	s_delay_alu instid0(SALU_CYCLE_1)
	s_and_not1_b32 vcc_lo, exec_lo, s1
	s_cbranch_vccnz .LBB315_1161
; %bb.1158:
	s_wait_loadcnt 0x0
	global_load_u16 v3, v[0:1], off
	s_mov_b32 s31, exec_lo
	s_wait_loadcnt 0x0
	v_cvt_f32_u32_e32 v5, v3
	s_delay_alu instid0(VALU_DEP_1) | instskip(SKIP_1) | instid1(VALU_DEP_1)
	v_dual_mov_b32 v3, 0xff :: v_dual_lshrrev_b32 v4, 23, v5
	s_wait_xcnt 0x0
	v_cmpx_ne_u32_e32 0xff, v4
; %bb.1159:
	v_and_b32_e32 v3, 0x400000, v5
	v_and_or_b32 v5, 0x3fffff, v5, v4
	s_delay_alu instid0(VALU_DEP_2) | instskip(NEXT) | instid1(VALU_DEP_2)
	v_cmp_ne_u32_e32 vcc_lo, 0, v3
	v_cmp_ne_u32_e64 s1, 0, v5
	s_and_b32 s1, vcc_lo, s1
	s_delay_alu instid0(SALU_CYCLE_1) | instskip(NEXT) | instid1(VALU_DEP_1)
	v_cndmask_b32_e64 v3, 0, 1, s1
	v_add_nc_u32_e32 v3, v4, v3
; %bb.1160:
	s_or_b32 exec_lo, exec_lo, s31
.LBB315_1161:
	s_mov_b32 s1, 0
.LBB315_1162:
	s_delay_alu instid0(SALU_CYCLE_1)
	s_and_not1_b32 vcc_lo, exec_lo, s1
	s_cbranch_vccnz .LBB315_1174
; %bb.1163:
	s_wait_loadcnt 0x0
	global_load_u8 v3, v[0:1], off
	s_mov_b32 s1, 0
	s_mov_b32 s31, exec_lo
	s_wait_loadcnt 0x0
	v_cmpx_lt_i16_e32 0x7f, v3
	s_xor_b32 s31, exec_lo, s31
	s_cbranch_execz .LBB315_1167
; %bb.1164:
	s_mov_b32 s1, -1
	s_mov_b32 s33, exec_lo
	v_cmpx_eq_u16_e32 0x80, v3
; %bb.1165:
	s_xor_b32 s1, exec_lo, -1
; %bb.1166:
	s_or_b32 exec_lo, exec_lo, s33
	s_delay_alu instid0(SALU_CYCLE_1)
	s_and_b32 s1, s1, exec_lo
.LBB315_1167:
	s_or_saveexec_b32 s31, s31
	v_mov_b32_e32 v4, 0x7f800001
	v_and_b32_e32 v5, 0xffff, v3
	s_xor_b32 exec_lo, exec_lo, s31
; %bb.1168:
	v_cmp_ne_u16_e32 vcc_lo, 0, v3
	s_delay_alu instid0(VALU_DEP_2) | instskip(SKIP_2) | instid1(SALU_CYCLE_1)
	v_mov_b32_e32 v4, v5
	s_and_not1_b32 s1, s1, exec_lo
	s_and_b32 s33, vcc_lo, exec_lo
	s_or_b32 s1, s1, s33
; %bb.1169:
	s_or_b32 exec_lo, exec_lo, s31
	s_and_saveexec_b32 s31, s1
	s_cbranch_execz .LBB315_1171
; %bb.1170:
	v_and_b32_e32 v3, 7, v5
	s_delay_alu instid0(VALU_DEP_1) | instskip(NEXT) | instid1(VALU_DEP_1)
	v_clz_i32_u32_e32 v4, v3
	v_min_u32_e32 v4, 32, v4
	s_delay_alu instid0(VALU_DEP_1) | instskip(NEXT) | instid1(VALU_DEP_1)
	v_subrev_nc_u32_e32 v7, 28, v4
	v_lshlrev_b32_e32 v7, v7, v5
	v_bfe_u32 v5, v5, 3, 4
	s_delay_alu instid0(VALU_DEP_2) | instskip(NEXT) | instid1(VALU_DEP_2)
	v_dual_sub_nc_u32 v4, 29, v4 :: v_dual_bitop2_b32 v7, 7, v7 bitop3:0x40
	v_cmp_eq_u32_e32 vcc_lo, 0, v5
	s_delay_alu instid0(VALU_DEP_2) | instskip(NEXT) | instid1(VALU_DEP_1)
	v_dual_cndmask_b32 v4, v5, v4 :: v_dual_cndmask_b32 v3, v3, v7
	v_lshlrev_b32_e32 v3, 20, v3
	s_delay_alu instid0(VALU_DEP_1) | instskip(NEXT) | instid1(VALU_DEP_1)
	v_lshl_or_b32 v3, v4, 23, v3
	v_add_nc_u32_e32 v4, 0x3b800000, v3
.LBB315_1171:
	s_or_b32 exec_lo, exec_lo, s31
	s_delay_alu instid0(VALU_DEP_1) | instskip(SKIP_2) | instid1(VALU_DEP_2)
	v_lshrrev_b32_e32 v5, 23, v4
	v_mov_b32_e32 v3, 0xff
	s_mov_b32 s31, exec_lo
	v_cmpx_ne_u32_e32 0xff, v5
; %bb.1172:
	v_and_b32_e32 v3, 0x400000, v4
	v_and_or_b32 v4, 0x3fffff, v4, v5
	s_delay_alu instid0(VALU_DEP_2) | instskip(NEXT) | instid1(VALU_DEP_2)
	v_cmp_ne_u32_e32 vcc_lo, 0, v3
	v_cmp_ne_u32_e64 s1, 0, v4
	s_and_b32 s1, vcc_lo, s1
	s_delay_alu instid0(SALU_CYCLE_1) | instskip(NEXT) | instid1(VALU_DEP_1)
	v_cndmask_b32_e64 v3, 0, 1, s1
	v_add_nc_u32_e32 v3, v5, v3
; %bb.1173:
	s_or_b32 exec_lo, exec_lo, s31
.LBB315_1174:
	s_mov_b32 s1, -1
.LBB315_1175:
	s_mov_b32 s31, 0
.LBB315_1176:
	s_delay_alu instid0(SALU_CYCLE_1)
	s_and_b32 vcc_lo, exec_lo, s31
	s_cbranch_vccz .LBB315_1219
; %bb.1177:
	s_cmp_gt_i32 s30, 22
	s_cbranch_scc0 .LBB315_1191
; %bb.1178:
	s_cmp_lt_i32 s30, 24
	s_cbranch_scc1 .LBB315_1192
; %bb.1179:
	s_cmp_gt_i32 s30, 24
	s_cbranch_scc0 .LBB315_1193
; %bb.1180:
	s_wait_loadcnt 0x0
	global_load_u8 v3, v[0:1], off
	s_mov_b32 s1, 0
	s_mov_b32 s31, exec_lo
	s_wait_loadcnt 0x0
	v_cmpx_lt_i16_e32 0x7f, v3
	s_xor_b32 s31, exec_lo, s31
	s_cbranch_execz .LBB315_1184
; %bb.1181:
	s_mov_b32 s1, -1
	s_mov_b32 s33, exec_lo
	v_cmpx_eq_u16_e32 0x80, v3
; %bb.1182:
	s_xor_b32 s1, exec_lo, -1
; %bb.1183:
	s_or_b32 exec_lo, exec_lo, s33
	s_delay_alu instid0(SALU_CYCLE_1)
	s_and_b32 s1, s1, exec_lo
.LBB315_1184:
	s_or_saveexec_b32 s31, s31
	v_mov_b32_e32 v4, 0x7f800001
	v_and_b32_e32 v5, 0xffff, v3
	s_xor_b32 exec_lo, exec_lo, s31
; %bb.1185:
	v_cmp_ne_u16_e32 vcc_lo, 0, v3
	s_delay_alu instid0(VALU_DEP_2) | instskip(SKIP_2) | instid1(SALU_CYCLE_1)
	v_mov_b32_e32 v4, v5
	s_and_not1_b32 s1, s1, exec_lo
	s_and_b32 s33, vcc_lo, exec_lo
	s_or_b32 s1, s1, s33
; %bb.1186:
	s_or_b32 exec_lo, exec_lo, s31
	s_and_saveexec_b32 s31, s1
	s_cbranch_execz .LBB315_1188
; %bb.1187:
	v_and_b32_e32 v3, 3, v5
	s_delay_alu instid0(VALU_DEP_1) | instskip(NEXT) | instid1(VALU_DEP_1)
	v_clz_i32_u32_e32 v4, v3
	v_min_u32_e32 v4, 32, v4
	s_delay_alu instid0(VALU_DEP_1) | instskip(NEXT) | instid1(VALU_DEP_1)
	v_subrev_nc_u32_e32 v7, 29, v4
	v_lshlrev_b32_e32 v7, v7, v5
	v_bfe_u32 v5, v5, 2, 5
	s_delay_alu instid0(VALU_DEP_2) | instskip(NEXT) | instid1(VALU_DEP_2)
	v_dual_sub_nc_u32 v4, 30, v4 :: v_dual_bitop2_b32 v7, 3, v7 bitop3:0x40
	v_cmp_eq_u32_e32 vcc_lo, 0, v5
	s_delay_alu instid0(VALU_DEP_2) | instskip(NEXT) | instid1(VALU_DEP_1)
	v_dual_cndmask_b32 v4, v5, v4 :: v_dual_cndmask_b32 v3, v3, v7
	v_lshlrev_b32_e32 v3, 21, v3
	s_delay_alu instid0(VALU_DEP_1) | instskip(NEXT) | instid1(VALU_DEP_1)
	v_lshl_or_b32 v3, v4, 23, v3
	v_add_nc_u32_e32 v4, 0x37800000, v3
.LBB315_1188:
	s_or_b32 exec_lo, exec_lo, s31
	s_delay_alu instid0(VALU_DEP_1) | instskip(SKIP_2) | instid1(VALU_DEP_2)
	v_lshrrev_b32_e32 v5, 23, v4
	v_mov_b32_e32 v3, 0xff
	s_mov_b32 s31, exec_lo
	v_cmpx_ne_u32_e32 0xff, v5
; %bb.1189:
	v_and_b32_e32 v3, 0x400000, v4
	v_and_or_b32 v4, 0x3fffff, v4, v5
	s_delay_alu instid0(VALU_DEP_2) | instskip(NEXT) | instid1(VALU_DEP_2)
	v_cmp_ne_u32_e32 vcc_lo, 0, v3
	v_cmp_ne_u32_e64 s1, 0, v4
	s_and_b32 s1, vcc_lo, s1
	s_delay_alu instid0(SALU_CYCLE_1) | instskip(NEXT) | instid1(VALU_DEP_1)
	v_cndmask_b32_e64 v3, 0, 1, s1
	v_add_nc_u32_e32 v3, v5, v3
; %bb.1190:
	s_or_b32 exec_lo, exec_lo, s31
	s_mov_b32 s1, 0
	s_branch .LBB315_1194
.LBB315_1191:
	s_mov_b32 s31, -1
                                        ; implicit-def: $vgpr3
	s_branch .LBB315_1204
.LBB315_1192:
	s_mov_b32 s1, -1
                                        ; implicit-def: $vgpr3
	s_branch .LBB315_1199
.LBB315_1193:
	s_mov_b32 s1, -1
                                        ; implicit-def: $vgpr3
.LBB315_1194:
	s_delay_alu instid0(SALU_CYCLE_1)
	s_and_b32 vcc_lo, exec_lo, s1
	s_cbranch_vccz .LBB315_1198
; %bb.1195:
	s_wait_loadcnt 0x0
	global_load_u8 v3, v[0:1], off
	s_mov_b32 s31, exec_lo
	s_wait_loadcnt 0x0
	v_lshlrev_b32_e32 v3, 24, v3
	s_delay_alu instid0(VALU_DEP_1) | instskip(NEXT) | instid1(VALU_DEP_1)
	v_and_b32_e32 v3, 0x7f000000, v3
	v_clz_i32_u32_e32 v4, v3
	v_add_nc_u32_e32 v7, 0x1000000, v3
	v_cmp_ne_u32_e32 vcc_lo, 0, v3
	s_delay_alu instid0(VALU_DEP_3) | instskip(NEXT) | instid1(VALU_DEP_1)
	v_min_u32_e32 v4, 32, v4
	v_sub_nc_u32_e64 v4, v4, 4 clamp
	s_delay_alu instid0(VALU_DEP_1) | instskip(SKIP_1) | instid1(VALU_DEP_2)
	v_dual_lshlrev_b32 v5, v4, v3 :: v_dual_lshlrev_b32 v4, 23, v4
	v_mov_b32_e32 v3, 0xff
	v_lshrrev_b32_e32 v5, 4, v5
	s_delay_alu instid0(VALU_DEP_1) | instskip(NEXT) | instid1(VALU_DEP_1)
	v_dual_sub_nc_u32 v4, v5, v4 :: v_dual_ashrrev_i32 v5, 8, v7
	v_add_nc_u32_e32 v4, 0x3c000000, v4
	s_delay_alu instid0(VALU_DEP_1) | instskip(NEXT) | instid1(VALU_DEP_1)
	v_and_or_b32 v4, 0x7f800000, v5, v4
	v_cndmask_b32_e32 v5, 0, v4, vcc_lo
	s_delay_alu instid0(VALU_DEP_1) | instskip(SKIP_1) | instid1(VALU_DEP_1)
	v_lshrrev_b32_e32 v4, 23, v5
	s_wait_xcnt 0x0
	v_cmpx_ne_u32_e32 0xff, v4
; %bb.1196:
	v_and_b32_e32 v3, 0x400000, v5
	v_and_or_b32 v5, 0x3fffff, v5, v4
	s_delay_alu instid0(VALU_DEP_2) | instskip(NEXT) | instid1(VALU_DEP_2)
	v_cmp_ne_u32_e32 vcc_lo, 0, v3
	v_cmp_ne_u32_e64 s1, 0, v5
	s_and_b32 s1, vcc_lo, s1
	s_delay_alu instid0(SALU_CYCLE_1) | instskip(NEXT) | instid1(VALU_DEP_1)
	v_cndmask_b32_e64 v3, 0, 1, s1
	v_add_nc_u32_e32 v3, v4, v3
; %bb.1197:
	s_or_b32 exec_lo, exec_lo, s31
.LBB315_1198:
	s_mov_b32 s1, 0
.LBB315_1199:
	s_delay_alu instid0(SALU_CYCLE_1)
	s_and_not1_b32 vcc_lo, exec_lo, s1
	s_cbranch_vccnz .LBB315_1203
; %bb.1200:
	s_wait_loadcnt 0x0
	global_load_u8 v3, v[0:1], off
	s_mov_b32 s31, exec_lo
	s_wait_loadcnt 0x0
	v_dual_lshlrev_b32 v4, 25, v3 :: v_dual_lshlrev_b32 v3, 8, v3
	s_delay_alu instid0(VALU_DEP_1) | instskip(NEXT) | instid1(VALU_DEP_2)
	v_cmp_gt_u32_e32 vcc_lo, 0x8000000, v4
	v_and_or_b32 v3, 0x7f00, v3, 0.5
	s_delay_alu instid0(VALU_DEP_1) | instskip(NEXT) | instid1(VALU_DEP_1)
	v_dual_lshrrev_b32 v5, 4, v4 :: v_dual_add_f32 v3, -0.5, v3
	v_or_b32_e32 v5, 0x70000000, v5
	s_delay_alu instid0(VALU_DEP_1) | instskip(NEXT) | instid1(VALU_DEP_1)
	v_mul_f32_e32 v5, 0x7800000, v5
	v_dual_cndmask_b32 v4, v5, v3 :: v_dual_mov_b32 v3, 0xff
	s_delay_alu instid0(VALU_DEP_1) | instskip(SKIP_1) | instid1(VALU_DEP_1)
	v_bfe_u32 v5, v4, 23, 8
	s_wait_xcnt 0x0
	v_cmpx_ne_u32_e32 0xff, v5
	s_cbranch_execz .LBB315_1202
; %bb.1201:
	v_and_b32_e32 v3, 0x400000, v4
	v_and_or_b32 v5, 0x3fffff, v4, v5
	s_delay_alu instid0(VALU_DEP_2) | instskip(NEXT) | instid1(VALU_DEP_2)
	v_cmp_ne_u32_e32 vcc_lo, 0, v3
	v_cmp_ne_u32_e64 s1, 0, v5
	v_lshrrev_b32_e32 v3, 23, v4
	s_and_b32 s1, vcc_lo, s1
	s_delay_alu instid0(SALU_CYCLE_1) | instskip(NEXT) | instid1(VALU_DEP_1)
	v_cndmask_b32_e64 v4, 0, 1, s1
	v_add_nc_u32_e32 v3, v3, v4
.LBB315_1202:
	s_or_b32 exec_lo, exec_lo, s31
.LBB315_1203:
	s_mov_b32 s31, 0
	s_mov_b32 s1, -1
.LBB315_1204:
	s_and_not1_b32 vcc_lo, exec_lo, s31
	s_cbranch_vccnz .LBB315_1219
; %bb.1205:
	s_cmp_gt_i32 s30, 14
	s_cbranch_scc0 .LBB315_1210
; %bb.1206:
	s_cmp_eq_u32 s30, 15
	s_cbranch_scc0 .LBB315_1211
; %bb.1207:
	global_load_u16 v4, v[0:1], off
	s_wait_loadcnt 0x1
	v_mov_b32_e32 v3, 0xff
	s_mov_b32 s29, exec_lo
	s_wait_loadcnt 0x0
	v_bfe_u32 v5, v4, 7, 8
	s_wait_xcnt 0x0
	s_delay_alu instid0(VALU_DEP_1)
	v_cmpx_ne_u32_e32 0xff, v5
	s_cbranch_execz .LBB315_1209
; %bb.1208:
	v_dual_lshlrev_b32 v3, 16, v4 :: v_dual_bitop2_b32 v7, 64, v4 bitop3:0x40
	s_delay_alu instid0(VALU_DEP_1) | instskip(NEXT) | instid1(VALU_DEP_2)
	v_and_or_b32 v3, 0x3f0000, v3, v5
	v_cmp_ne_u32_e32 vcc_lo, 0, v7
	s_delay_alu instid0(VALU_DEP_2) | instskip(SKIP_2) | instid1(SALU_CYCLE_1)
	v_cmp_ne_u32_e64 s1, 0, v3
	v_lshrrev_b32_e32 v3, 7, v4
	s_and_b32 s1, vcc_lo, s1
	v_cndmask_b32_e64 v4, 0, 1, s1
	s_delay_alu instid0(VALU_DEP_1)
	v_add_nc_u32_e32 v3, v3, v4
.LBB315_1209:
	s_or_b32 exec_lo, exec_lo, s29
	s_mov_b32 s1, -1
	s_mov_b32 s29, 0
	s_branch .LBB315_1212
.LBB315_1210:
	s_mov_b32 s31, -1
                                        ; implicit-def: $vgpr3
	s_branch .LBB315_1213
.LBB315_1211:
	s_mov_b32 s29, -1
                                        ; implicit-def: $vgpr3
.LBB315_1212:
	s_mov_b32 s31, 0
.LBB315_1213:
	s_delay_alu instid0(SALU_CYCLE_1)
	s_and_b32 vcc_lo, exec_lo, s31
	s_cbranch_vccz .LBB315_1219
; %bb.1214:
	s_cmp_eq_u32 s30, 11
	s_cbranch_scc0 .LBB315_1218
; %bb.1215:
	s_wait_loadcnt 0x0
	global_load_u8 v3, v[0:1], off
	s_mov_b32 s29, 0
	s_mov_b32 s30, exec_lo
	s_wait_loadcnt 0x0
	v_cmp_ne_u16_e32 vcc_lo, 0, v3
	v_mov_b32_e32 v3, 0xff
	v_cndmask_b32_e64 v5, 0, 1.0, vcc_lo
	s_delay_alu instid0(VALU_DEP_1) | instskip(SKIP_1) | instid1(VALU_DEP_1)
	v_lshrrev_b32_e32 v4, 23, v5
	s_wait_xcnt 0x0
	v_cmpx_ne_u32_e32 0xff, v4
; %bb.1216:
	v_and_b32_e32 v3, 0x400000, v5
	v_and_or_b32 v5, 0x3fffff, v5, v4
	s_delay_alu instid0(VALU_DEP_2) | instskip(NEXT) | instid1(VALU_DEP_2)
	v_cmp_ne_u32_e32 vcc_lo, 0, v3
	v_cmp_ne_u32_e64 s1, 0, v5
	s_and_b32 s1, vcc_lo, s1
	s_delay_alu instid0(SALU_CYCLE_1) | instskip(NEXT) | instid1(VALU_DEP_1)
	v_cndmask_b32_e64 v3, 0, 1, s1
	v_add_nc_u32_e32 v3, v4, v3
; %bb.1217:
	s_or_b32 exec_lo, exec_lo, s30
	s_mov_b32 s1, -1
	s_branch .LBB315_1219
.LBB315_1218:
	s_mov_b32 s29, -1
                                        ; implicit-def: $vgpr3
.LBB315_1219:
	s_mov_b32 s30, 0
.LBB315_1220:
	s_delay_alu instid0(SALU_CYCLE_1)
	s_and_b32 vcc_lo, exec_lo, s30
	s_cbranch_vccz .LBB315_1291
; %bb.1221:
	s_and_b32 s2, 0xffff, s2
	s_delay_alu instid0(SALU_CYCLE_1)
	s_cmp_lt_i32 s2, 5
	s_cbranch_scc1 .LBB315_1228
; %bb.1222:
	s_cmp_lt_i32 s2, 8
	s_cbranch_scc1 .LBB315_1229
; %bb.1223:
	;; [unrolled: 3-line block ×3, first 2 shown]
	s_cmp_gt_i32 s2, 9
	s_cbranch_scc0 .LBB315_1231
; %bb.1225:
	global_load_b64 v[4:5], v[0:1], off
	s_wait_loadcnt 0x1
	v_mov_b32_e32 v3, 0xff
	s_mov_b32 s30, exec_lo
	s_wait_loadcnt 0x0
	v_cvt_f32_f64_e32 v4, v[4:5]
	s_delay_alu instid0(VALU_DEP_1) | instskip(SKIP_1) | instid1(VALU_DEP_1)
	v_bfe_u32 v5, v4, 23, 8
	s_wait_xcnt 0x0
	v_cmpx_ne_u32_e32 0xff, v5
	s_cbranch_execz .LBB315_1227
; %bb.1226:
	v_and_b32_e32 v3, 0x400000, v4
	v_and_or_b32 v5, 0x3fffff, v4, v5
	s_delay_alu instid0(VALU_DEP_2) | instskip(NEXT) | instid1(VALU_DEP_2)
	v_cmp_ne_u32_e32 vcc_lo, 0, v3
	v_cmp_ne_u32_e64 s1, 0, v5
	v_lshrrev_b32_e32 v3, 23, v4
	s_and_b32 s1, vcc_lo, s1
	s_delay_alu instid0(SALU_CYCLE_1) | instskip(NEXT) | instid1(VALU_DEP_1)
	v_cndmask_b32_e64 v4, 0, 1, s1
	v_add_nc_u32_e32 v3, v3, v4
.LBB315_1227:
	s_or_b32 exec_lo, exec_lo, s30
	s_mov_b32 s1, 0
	s_branch .LBB315_1232
.LBB315_1228:
	s_mov_b32 s1, -1
                                        ; implicit-def: $vgpr3
	s_branch .LBB315_1260
.LBB315_1229:
	s_mov_b32 s1, -1
                                        ; implicit-def: $vgpr3
	s_branch .LBB315_1242
.LBB315_1230:
	s_mov_b32 s1, -1
                                        ; implicit-def: $vgpr3
	s_branch .LBB315_1237
.LBB315_1231:
	s_mov_b32 s1, -1
                                        ; implicit-def: $vgpr3
.LBB315_1232:
	s_delay_alu instid0(SALU_CYCLE_1)
	s_and_not1_b32 vcc_lo, exec_lo, s1
	s_cbranch_vccnz .LBB315_1236
; %bb.1233:
	global_load_b32 v4, v[0:1], off
	s_wait_loadcnt 0x1
	v_mov_b32_e32 v3, 0xff
	s_mov_b32 s30, exec_lo
	s_wait_loadcnt 0x0
	v_bfe_u32 v5, v4, 23, 8
	s_wait_xcnt 0x0
	s_delay_alu instid0(VALU_DEP_1)
	v_cmpx_ne_u32_e32 0xff, v5
	s_cbranch_execz .LBB315_1235
; %bb.1234:
	v_and_b32_e32 v3, 0x400000, v4
	v_and_or_b32 v5, 0x3fffff, v4, v5
	s_delay_alu instid0(VALU_DEP_2) | instskip(NEXT) | instid1(VALU_DEP_2)
	v_cmp_ne_u32_e32 vcc_lo, 0, v3
	v_cmp_ne_u32_e64 s1, 0, v5
	v_lshrrev_b32_e32 v3, 23, v4
	s_and_b32 s1, vcc_lo, s1
	s_delay_alu instid0(SALU_CYCLE_1) | instskip(NEXT) | instid1(VALU_DEP_1)
	v_cndmask_b32_e64 v4, 0, 1, s1
	v_add_nc_u32_e32 v3, v3, v4
.LBB315_1235:
	s_or_b32 exec_lo, exec_lo, s30
.LBB315_1236:
	s_mov_b32 s1, 0
.LBB315_1237:
	s_delay_alu instid0(SALU_CYCLE_1)
	s_and_not1_b32 vcc_lo, exec_lo, s1
	s_cbranch_vccnz .LBB315_1241
; %bb.1238:
	s_wait_loadcnt 0x0
	global_load_b32 v3, v[0:1], off
	s_mov_b32 s30, exec_lo
	s_wait_loadcnt 0x0
	v_cvt_f32_f16_e32 v4, v3
	v_mov_b32_e32 v3, 0xff
	s_delay_alu instid0(VALU_DEP_2) | instskip(SKIP_1) | instid1(VALU_DEP_1)
	v_bfe_u32 v5, v4, 23, 8
	s_wait_xcnt 0x0
	v_cmpx_ne_u32_e32 0xff, v5
	s_cbranch_execz .LBB315_1240
; %bb.1239:
	v_and_b32_e32 v3, 0x400000, v4
	v_and_or_b32 v5, 0x3fffff, v4, v5
	s_delay_alu instid0(VALU_DEP_2) | instskip(NEXT) | instid1(VALU_DEP_2)
	v_cmp_ne_u32_e32 vcc_lo, 0, v3
	v_cmp_ne_u32_e64 s1, 0, v5
	v_lshrrev_b32_e32 v3, 23, v4
	s_and_b32 s1, vcc_lo, s1
	s_delay_alu instid0(SALU_CYCLE_1) | instskip(NEXT) | instid1(VALU_DEP_1)
	v_cndmask_b32_e64 v4, 0, 1, s1
	v_add_nc_u32_e32 v3, v3, v4
.LBB315_1240:
	s_or_b32 exec_lo, exec_lo, s30
.LBB315_1241:
	s_mov_b32 s1, 0
.LBB315_1242:
	s_delay_alu instid0(SALU_CYCLE_1)
	s_and_not1_b32 vcc_lo, exec_lo, s1
	s_cbranch_vccnz .LBB315_1259
; %bb.1243:
	s_cmp_lt_i32 s2, 6
	s_cbranch_scc1 .LBB315_1248
; %bb.1244:
	s_cmp_gt_i32 s2, 6
	s_cbranch_scc0 .LBB315_1249
; %bb.1245:
	global_load_b64 v[4:5], v[0:1], off
	s_wait_loadcnt 0x1
	v_mov_b32_e32 v3, 0xff
	s_mov_b32 s30, exec_lo
	s_wait_loadcnt 0x0
	v_cvt_f32_f64_e32 v4, v[4:5]
	s_delay_alu instid0(VALU_DEP_1) | instskip(SKIP_1) | instid1(VALU_DEP_1)
	v_bfe_u32 v5, v4, 23, 8
	s_wait_xcnt 0x0
	v_cmpx_ne_u32_e32 0xff, v5
	s_cbranch_execz .LBB315_1247
; %bb.1246:
	v_and_b32_e32 v3, 0x400000, v4
	v_and_or_b32 v5, 0x3fffff, v4, v5
	s_delay_alu instid0(VALU_DEP_2) | instskip(NEXT) | instid1(VALU_DEP_2)
	v_cmp_ne_u32_e32 vcc_lo, 0, v3
	v_cmp_ne_u32_e64 s1, 0, v5
	v_lshrrev_b32_e32 v3, 23, v4
	s_and_b32 s1, vcc_lo, s1
	s_delay_alu instid0(SALU_CYCLE_1) | instskip(NEXT) | instid1(VALU_DEP_1)
	v_cndmask_b32_e64 v4, 0, 1, s1
	v_add_nc_u32_e32 v3, v3, v4
.LBB315_1247:
	s_or_b32 exec_lo, exec_lo, s30
	s_mov_b32 s1, 0
	s_branch .LBB315_1250
.LBB315_1248:
	s_mov_b32 s1, -1
                                        ; implicit-def: $vgpr3
	s_branch .LBB315_1255
.LBB315_1249:
	s_mov_b32 s1, -1
                                        ; implicit-def: $vgpr3
.LBB315_1250:
	s_delay_alu instid0(SALU_CYCLE_1)
	s_and_not1_b32 vcc_lo, exec_lo, s1
	s_cbranch_vccnz .LBB315_1254
; %bb.1251:
	global_load_b32 v4, v[0:1], off
	s_wait_loadcnt 0x1
	v_mov_b32_e32 v3, 0xff
	s_mov_b32 s30, exec_lo
	s_wait_loadcnt 0x0
	v_bfe_u32 v5, v4, 23, 8
	s_wait_xcnt 0x0
	s_delay_alu instid0(VALU_DEP_1)
	v_cmpx_ne_u32_e32 0xff, v5
	s_cbranch_execz .LBB315_1253
; %bb.1252:
	v_and_b32_e32 v3, 0x400000, v4
	v_and_or_b32 v5, 0x3fffff, v4, v5
	s_delay_alu instid0(VALU_DEP_2) | instskip(NEXT) | instid1(VALU_DEP_2)
	v_cmp_ne_u32_e32 vcc_lo, 0, v3
	v_cmp_ne_u32_e64 s1, 0, v5
	v_lshrrev_b32_e32 v3, 23, v4
	s_and_b32 s1, vcc_lo, s1
	s_delay_alu instid0(SALU_CYCLE_1) | instskip(NEXT) | instid1(VALU_DEP_1)
	v_cndmask_b32_e64 v4, 0, 1, s1
	v_add_nc_u32_e32 v3, v3, v4
.LBB315_1253:
	s_or_b32 exec_lo, exec_lo, s30
.LBB315_1254:
	s_mov_b32 s1, 0
.LBB315_1255:
	s_delay_alu instid0(SALU_CYCLE_1)
	s_and_not1_b32 vcc_lo, exec_lo, s1
	s_cbranch_vccnz .LBB315_1259
; %bb.1256:
	s_wait_loadcnt 0x0
	global_load_u16 v3, v[0:1], off
	s_mov_b32 s30, exec_lo
	s_wait_loadcnt 0x0
	v_cvt_f32_f16_e32 v4, v3
	v_mov_b32_e32 v3, 0xff
	s_delay_alu instid0(VALU_DEP_2) | instskip(SKIP_1) | instid1(VALU_DEP_1)
	v_bfe_u32 v5, v4, 23, 8
	s_wait_xcnt 0x0
	v_cmpx_ne_u32_e32 0xff, v5
	s_cbranch_execz .LBB315_1258
; %bb.1257:
	v_and_b32_e32 v3, 0x400000, v4
	v_and_or_b32 v5, 0x3fffff, v4, v5
	s_delay_alu instid0(VALU_DEP_2) | instskip(NEXT) | instid1(VALU_DEP_2)
	v_cmp_ne_u32_e32 vcc_lo, 0, v3
	v_cmp_ne_u32_e64 s1, 0, v5
	v_lshrrev_b32_e32 v3, 23, v4
	s_and_b32 s1, vcc_lo, s1
	s_delay_alu instid0(SALU_CYCLE_1) | instskip(NEXT) | instid1(VALU_DEP_1)
	v_cndmask_b32_e64 v4, 0, 1, s1
	v_add_nc_u32_e32 v3, v3, v4
.LBB315_1258:
	s_or_b32 exec_lo, exec_lo, s30
.LBB315_1259:
	s_mov_b32 s1, 0
.LBB315_1260:
	s_delay_alu instid0(SALU_CYCLE_1)
	s_and_not1_b32 vcc_lo, exec_lo, s1
	s_cbranch_vccnz .LBB315_1290
; %bb.1261:
	s_cmp_lt_i32 s2, 2
	s_cbranch_scc1 .LBB315_1267
; %bb.1262:
	s_cmp_lt_i32 s2, 3
	s_cbranch_scc1 .LBB315_1268
; %bb.1263:
	s_cmp_gt_i32 s2, 3
	s_cbranch_scc0 .LBB315_1269
; %bb.1264:
	global_load_b64 v[4:5], v[0:1], off
	s_mov_b32 s30, exec_lo
	s_wait_loadcnt 0x0
	v_xor_b32_e32 v3, v4, v5
	v_cls_i32_e32 v7, v5
	s_delay_alu instid0(VALU_DEP_2) | instskip(NEXT) | instid1(VALU_DEP_1)
	v_ashrrev_i32_e32 v3, 31, v3
	v_add_nc_u32_e32 v3, 32, v3
	s_delay_alu instid0(VALU_DEP_1) | instskip(NEXT) | instid1(VALU_DEP_1)
	v_add_min_u32_e64 v3, v7, -1, v3
	v_lshlrev_b64_e32 v[4:5], v3, v[4:5]
	v_sub_nc_u32_e32 v3, 32, v3
	s_delay_alu instid0(VALU_DEP_2) | instskip(NEXT) | instid1(VALU_DEP_1)
	v_min_u32_e32 v4, 1, v4
	v_or_b32_e32 v4, v5, v4
	s_delay_alu instid0(VALU_DEP_1) | instskip(NEXT) | instid1(VALU_DEP_1)
	v_cvt_f32_i32_e32 v4, v4
	v_ldexp_f32 v4, v4, v3
	v_mov_b32_e32 v3, 0xff
	s_delay_alu instid0(VALU_DEP_2) | instskip(SKIP_1) | instid1(VALU_DEP_1)
	v_bfe_u32 v5, v4, 23, 8
	s_wait_xcnt 0x0
	v_cmpx_ne_u32_e32 0xff, v5
	s_cbranch_execz .LBB315_1266
; %bb.1265:
	v_and_b32_e32 v3, 0x400000, v4
	v_and_or_b32 v5, 0x3fffff, v4, v5
	s_delay_alu instid0(VALU_DEP_2) | instskip(NEXT) | instid1(VALU_DEP_2)
	v_cmp_ne_u32_e32 vcc_lo, 0, v3
	v_cmp_ne_u32_e64 s1, 0, v5
	v_lshrrev_b32_e32 v3, 23, v4
	s_and_b32 s1, vcc_lo, s1
	s_delay_alu instid0(SALU_CYCLE_1) | instskip(NEXT) | instid1(VALU_DEP_1)
	v_cndmask_b32_e64 v4, 0, 1, s1
	v_add_nc_u32_e32 v3, v3, v4
.LBB315_1266:
	s_or_b32 exec_lo, exec_lo, s30
	s_mov_b32 s1, 0
	s_branch .LBB315_1270
.LBB315_1267:
	s_mov_b32 s1, -1
                                        ; implicit-def: $vgpr3
	s_branch .LBB315_1280
.LBB315_1268:
	s_mov_b32 s1, -1
                                        ; implicit-def: $vgpr3
	s_branch .LBB315_1275
.LBB315_1269:
	s_mov_b32 s1, -1
                                        ; implicit-def: $vgpr3
.LBB315_1270:
	s_delay_alu instid0(SALU_CYCLE_1)
	s_and_not1_b32 vcc_lo, exec_lo, s1
	s_cbranch_vccnz .LBB315_1274
; %bb.1271:
	s_wait_loadcnt 0x0
	global_load_b32 v3, v[0:1], off
	s_mov_b32 s30, exec_lo
	s_wait_loadcnt 0x0
	v_cvt_f32_i32_e32 v4, v3
	v_mov_b32_e32 v3, 0xff
	s_delay_alu instid0(VALU_DEP_2) | instskip(SKIP_1) | instid1(VALU_DEP_1)
	v_bfe_u32 v5, v4, 23, 8
	s_wait_xcnt 0x0
	v_cmpx_ne_u32_e32 0xff, v5
	s_cbranch_execz .LBB315_1273
; %bb.1272:
	v_and_b32_e32 v3, 0x400000, v4
	v_and_or_b32 v5, 0x3fffff, v4, v5
	s_delay_alu instid0(VALU_DEP_2) | instskip(NEXT) | instid1(VALU_DEP_2)
	v_cmp_ne_u32_e32 vcc_lo, 0, v3
	v_cmp_ne_u32_e64 s1, 0, v5
	v_lshrrev_b32_e32 v3, 23, v4
	s_and_b32 s1, vcc_lo, s1
	s_delay_alu instid0(SALU_CYCLE_1) | instskip(NEXT) | instid1(VALU_DEP_1)
	v_cndmask_b32_e64 v4, 0, 1, s1
	v_add_nc_u32_e32 v3, v3, v4
.LBB315_1273:
	s_or_b32 exec_lo, exec_lo, s30
.LBB315_1274:
	s_mov_b32 s1, 0
.LBB315_1275:
	s_delay_alu instid0(SALU_CYCLE_1)
	s_and_not1_b32 vcc_lo, exec_lo, s1
	s_cbranch_vccnz .LBB315_1279
; %bb.1276:
	s_wait_loadcnt 0x0
	global_load_i16 v3, v[0:1], off
	s_mov_b32 s30, exec_lo
	s_wait_loadcnt 0x0
	v_cvt_f32_i32_e32 v4, v3
	v_mov_b32_e32 v3, 0xff
	s_delay_alu instid0(VALU_DEP_2) | instskip(SKIP_1) | instid1(VALU_DEP_1)
	v_bfe_u32 v5, v4, 23, 8
	s_wait_xcnt 0x0
	v_cmpx_ne_u32_e32 0xff, v5
	s_cbranch_execz .LBB315_1278
; %bb.1277:
	v_and_b32_e32 v3, 0x400000, v4
	v_and_or_b32 v5, 0x3fffff, v4, v5
	s_delay_alu instid0(VALU_DEP_2) | instskip(NEXT) | instid1(VALU_DEP_2)
	v_cmp_ne_u32_e32 vcc_lo, 0, v3
	v_cmp_ne_u32_e64 s1, 0, v5
	v_lshrrev_b32_e32 v3, 23, v4
	s_and_b32 s1, vcc_lo, s1
	s_delay_alu instid0(SALU_CYCLE_1) | instskip(NEXT) | instid1(VALU_DEP_1)
	v_cndmask_b32_e64 v4, 0, 1, s1
	v_add_nc_u32_e32 v3, v3, v4
.LBB315_1278:
	s_or_b32 exec_lo, exec_lo, s30
.LBB315_1279:
	s_mov_b32 s1, 0
.LBB315_1280:
	s_delay_alu instid0(SALU_CYCLE_1)
	s_and_not1_b32 vcc_lo, exec_lo, s1
	s_cbranch_vccnz .LBB315_1290
; %bb.1281:
	s_cmp_gt_i32 s2, 0
	s_cbranch_scc0 .LBB315_1285
; %bb.1282:
	s_wait_loadcnt 0x0
	global_load_i8 v3, v[0:1], off
	s_mov_b32 s2, exec_lo
	s_wait_loadcnt 0x0
	v_cvt_f32_i32_e32 v4, v3
	v_mov_b32_e32 v3, 0xff
	s_delay_alu instid0(VALU_DEP_2) | instskip(SKIP_1) | instid1(VALU_DEP_1)
	v_bfe_u32 v5, v4, 23, 8
	s_wait_xcnt 0x0
	v_cmpx_ne_u32_e32 0xff, v5
	s_cbranch_execz .LBB315_1284
; %bb.1283:
	v_and_b32_e32 v3, 0x400000, v4
	v_and_or_b32 v5, 0x3fffff, v4, v5
	s_delay_alu instid0(VALU_DEP_2) | instskip(NEXT) | instid1(VALU_DEP_2)
	v_cmp_ne_u32_e32 vcc_lo, 0, v3
	v_cmp_ne_u32_e64 s1, 0, v5
	v_lshrrev_b32_e32 v3, 23, v4
	s_and_b32 s1, vcc_lo, s1
	s_delay_alu instid0(SALU_CYCLE_1) | instskip(NEXT) | instid1(VALU_DEP_1)
	v_cndmask_b32_e64 v4, 0, 1, s1
	v_add_nc_u32_e32 v3, v3, v4
.LBB315_1284:
	s_or_b32 exec_lo, exec_lo, s2
	s_mov_b32 s1, 0
	s_branch .LBB315_1286
.LBB315_1285:
	s_mov_b32 s1, -1
                                        ; implicit-def: $vgpr3
.LBB315_1286:
	s_delay_alu instid0(SALU_CYCLE_1)
	s_and_not1_b32 vcc_lo, exec_lo, s1
	s_cbranch_vccnz .LBB315_1290
; %bb.1287:
	global_load_u8 v0, v[0:1], off
	s_mov_b32 s2, exec_lo
	s_wait_loadcnt 0x1
	v_mov_b32_e32 v3, 0xff
	s_wait_loadcnt 0x0
	v_cvt_f32_ubyte0_e32 v1, v0
	s_delay_alu instid0(VALU_DEP_1) | instskip(NEXT) | instid1(VALU_DEP_1)
	v_lshrrev_b32_e32 v0, 23, v1
	v_cmpx_ne_u32_e32 0xff, v0
; %bb.1288:
	v_and_b32_e32 v3, 0x400000, v1
	v_and_or_b32 v1, 0x3fffff, v1, v0
	s_delay_alu instid0(VALU_DEP_2) | instskip(NEXT) | instid1(VALU_DEP_2)
	v_cmp_ne_u32_e32 vcc_lo, 0, v3
	v_cmp_ne_u32_e64 s1, 0, v1
	s_and_b32 s1, vcc_lo, s1
	s_delay_alu instid0(SALU_CYCLE_1) | instskip(NEXT) | instid1(VALU_DEP_1)
	v_cndmask_b32_e64 v1, 0, 1, s1
	v_add_nc_u32_e32 v3, v0, v1
; %bb.1289:
	s_or_b32 exec_lo, exec_lo, s2
.LBB315_1290:
	s_mov_b32 s1, -1
.LBB315_1291:
	s_delay_alu instid0(SALU_CYCLE_1)
	s_and_not1_b32 vcc_lo, exec_lo, s1
	s_cbranch_vccnz .LBB315_1299
; %bb.1292:
	s_wait_loadcnt 0x0
	v_and_b32_e32 v0, 0xff, v2
	v_and_b32_e32 v1, 0xff, v3
	s_and_b32 s30, s3, 0xff
	s_mov_b32 s33, 0
	s_mov_b32 s31, -1
	s_delay_alu instid0(VALU_DEP_1) | instskip(SKIP_3) | instid1(VALU_DEP_2)
	v_dual_lshlrev_b32 v2, 23, v0 :: v_dual_lshlrev_b32 v3, 23, v1
	v_cmp_ne_u16_e32 vcc_lo, 0xff, v0
	s_cmp_lt_i32 s30, 11
	s_mov_b32 s2, s24
	v_cndmask_b32_e32 v2, 0x7f800001, v2, vcc_lo
	v_cmp_ne_u16_e32 vcc_lo, 0xff, v1
	v_cndmask_b32_e32 v3, 0x7f800001, v3, vcc_lo
	v_cmp_ne_u16_e32 vcc_lo, 0, v0
	v_mul_lo_u32 v0, v6, s8
	v_cndmask_b32_e32 v2, 0x400000, v2, vcc_lo
	v_cmp_ne_u16_e32 vcc_lo, 0, v1
	v_cndmask_b32_e32 v1, 0x400000, v3, vcc_lo
	s_delay_alu instid0(VALU_DEP_1) | instskip(SKIP_3) | instid1(VALU_DEP_1)
	v_cmp_eq_f32_e32 vcc_lo, v2, v1
	v_cndmask_b32_e64 v3, 0, 1, vcc_lo
	v_cmp_neq_f32_e32 vcc_lo, v2, v1
	v_cndmask_b32_e64 v1, 0, 1, vcc_lo
	v_dual_cndmask_b32 v2, v1, v3, s0 :: v_dual_ashrrev_i32 v1, 31, v0
	s_delay_alu instid0(VALU_DEP_1) | instskip(NEXT) | instid1(VALU_DEP_2)
	v_and_b32_e32 v2, 1, v2
	v_add_nc_u64_e32 v[0:1], s[4:5], v[0:1]
	s_delay_alu instid0(VALU_DEP_2)
	v_cmp_eq_u32_e64 s1, 1, v2
	s_cbranch_scc1 .LBB315_1300
; %bb.1293:
	s_and_b32 s31, 0xffff, s30
	s_delay_alu instid0(SALU_CYCLE_1)
	s_cmp_gt_i32 s31, 25
	s_cbranch_scc0 .LBB315_1355
; %bb.1294:
	s_cmp_gt_i32 s31, 28
	s_cbranch_scc0 .LBB315_1357
; %bb.1295:
	;; [unrolled: 3-line block ×4, first 2 shown]
	s_mov_b32 s34, 0
	s_mov_b32 s2, -1
	s_cmp_eq_u32 s31, 46
	s_cbranch_scc0 .LBB315_1362
; %bb.1298:
	v_cndmask_b32_e64 v2, 0, 1.0, s1
	s_mov_b32 s33, -1
	s_mov_b32 s2, 0
	s_delay_alu instid0(VALU_DEP_1) | instskip(NEXT) | instid1(VALU_DEP_1)
	v_bfe_u32 v3, v2, 16, 1
	v_add3_u32 v2, v2, v3, 0x7fff
	s_delay_alu instid0(VALU_DEP_1)
	v_lshrrev_b32_e32 v2, 16, v2
	global_store_b32 v[0:1], v2, off
	s_branch .LBB315_1362
.LBB315_1299:
	s_mov_b32 s1, 0
	s_mov_b32 s2, s24
	s_branch .LBB315_1340
.LBB315_1300:
	s_and_b32 vcc_lo, exec_lo, s31
	s_cbranch_vccz .LBB315_1431
; %bb.1301:
	s_and_b32 s30, 0xffff, s30
	s_mov_b32 s31, -1
	s_cmp_lt_i32 s30, 5
	s_cbranch_scc1 .LBB315_1322
; %bb.1302:
	s_cmp_lt_i32 s30, 8
	s_cbranch_scc1 .LBB315_1312
; %bb.1303:
	;; [unrolled: 3-line block ×3, first 2 shown]
	s_cmp_gt_i32 s30, 9
	s_cbranch_scc0 .LBB315_1306
; %bb.1305:
	s_wait_xcnt 0x0
	v_cndmask_b32_e64 v2, 0, 1, s1
	v_mov_b32_e32 v4, 0
	s_mov_b32 s31, 0
	s_delay_alu instid0(VALU_DEP_2) | instskip(NEXT) | instid1(VALU_DEP_2)
	v_cvt_f64_u32_e32 v[2:3], v2
	v_mov_b32_e32 v5, v4
	global_store_b128 v[0:1], v[2:5], off
.LBB315_1306:
	s_and_not1_b32 vcc_lo, exec_lo, s31
	s_cbranch_vccnz .LBB315_1308
; %bb.1307:
	s_wait_xcnt 0x0
	v_cndmask_b32_e64 v2, 0, 1.0, s1
	v_mov_b32_e32 v3, 0
	global_store_b64 v[0:1], v[2:3], off
.LBB315_1308:
	s_mov_b32 s31, 0
.LBB315_1309:
	s_delay_alu instid0(SALU_CYCLE_1)
	s_and_not1_b32 vcc_lo, exec_lo, s31
	s_cbranch_vccnz .LBB315_1311
; %bb.1310:
	s_wait_xcnt 0x0
	v_cndmask_b32_e64 v2, 0, 1.0, s1
	s_delay_alu instid0(VALU_DEP_1) | instskip(NEXT) | instid1(VALU_DEP_1)
	v_cvt_f16_f32_e32 v2, v2
	v_and_b32_e32 v2, 0xffff, v2
	global_store_b32 v[0:1], v2, off
.LBB315_1311:
	s_mov_b32 s31, 0
.LBB315_1312:
	s_delay_alu instid0(SALU_CYCLE_1)
	s_and_not1_b32 vcc_lo, exec_lo, s31
	s_cbranch_vccnz .LBB315_1321
; %bb.1313:
	s_cmp_lt_i32 s30, 6
	s_mov_b32 s31, -1
	s_cbranch_scc1 .LBB315_1319
; %bb.1314:
	s_cmp_gt_i32 s30, 6
	s_cbranch_scc0 .LBB315_1316
; %bb.1315:
	s_wait_xcnt 0x0
	v_cndmask_b32_e64 v2, 0, 1, s1
	s_mov_b32 s31, 0
	s_delay_alu instid0(VALU_DEP_1)
	v_cvt_f64_u32_e32 v[2:3], v2
	global_store_b64 v[0:1], v[2:3], off
.LBB315_1316:
	s_and_not1_b32 vcc_lo, exec_lo, s31
	s_cbranch_vccnz .LBB315_1318
; %bb.1317:
	s_wait_xcnt 0x0
	v_cndmask_b32_e64 v2, 0, 1.0, s1
	global_store_b32 v[0:1], v2, off
.LBB315_1318:
	s_mov_b32 s31, 0
.LBB315_1319:
	s_delay_alu instid0(SALU_CYCLE_1)
	s_and_not1_b32 vcc_lo, exec_lo, s31
	s_cbranch_vccnz .LBB315_1321
; %bb.1320:
	s_wait_xcnt 0x0
	v_cndmask_b32_e64 v2, 0, 1.0, s1
	s_delay_alu instid0(VALU_DEP_1)
	v_cvt_f16_f32_e32 v2, v2
	global_store_b16 v[0:1], v2, off
.LBB315_1321:
	s_mov_b32 s31, 0
.LBB315_1322:
	s_delay_alu instid0(SALU_CYCLE_1)
	s_and_not1_b32 vcc_lo, exec_lo, s31
	s_cbranch_vccnz .LBB315_1338
; %bb.1323:
	s_cmp_lt_i32 s30, 2
	s_mov_b32 s31, -1
	s_cbranch_scc1 .LBB315_1333
; %bb.1324:
	s_cmp_lt_i32 s30, 3
	s_cbranch_scc1 .LBB315_1330
; %bb.1325:
	s_cmp_gt_i32 s30, 3
	s_cbranch_scc0 .LBB315_1327
; %bb.1326:
	s_mov_b32 s31, 0
	s_wait_xcnt 0x0
	v_cndmask_b32_e64 v2, 0, 1, s1
	v_mov_b32_e32 v3, s31
	global_store_b64 v[0:1], v[2:3], off
.LBB315_1327:
	s_and_not1_b32 vcc_lo, exec_lo, s31
	s_cbranch_vccnz .LBB315_1329
; %bb.1328:
	s_wait_xcnt 0x0
	v_cndmask_b32_e64 v2, 0, 1, s1
	global_store_b32 v[0:1], v2, off
.LBB315_1329:
	s_mov_b32 s31, 0
.LBB315_1330:
	s_delay_alu instid0(SALU_CYCLE_1)
	s_and_not1_b32 vcc_lo, exec_lo, s31
	s_cbranch_vccnz .LBB315_1332
; %bb.1331:
	s_wait_xcnt 0x0
	v_cndmask_b32_e64 v2, 0, 1, s1
	global_store_b16 v[0:1], v2, off
.LBB315_1332:
	s_mov_b32 s31, 0
.LBB315_1333:
	s_delay_alu instid0(SALU_CYCLE_1)
	s_and_not1_b32 vcc_lo, exec_lo, s31
	s_cbranch_vccnz .LBB315_1338
; %bb.1334:
	s_wait_xcnt 0x0
	v_cndmask_b32_e64 v2, 0, 1, s1
	s_cmp_gt_i32 s30, 0
	s_mov_b32 s1, -1
	s_cbranch_scc0 .LBB315_1336
; %bb.1335:
	s_mov_b32 s1, 0
	global_store_b8 v[0:1], v2, off
.LBB315_1336:
	s_and_not1_b32 vcc_lo, exec_lo, s1
	s_cbranch_vccnz .LBB315_1338
; %bb.1337:
	global_store_b8 v[0:1], v2, off
.LBB315_1338:
	s_branch .LBB315_1432
.LBB315_1339:
	s_mov_b32 s1, 0
.LBB315_1340:
                                        ; implicit-def: $vgpr6
.LBB315_1341:
	s_and_not1_b32 s30, s24, exec_lo
	s_and_b32 s2, s2, exec_lo
	s_and_b32 s29, s29, exec_lo
	s_or_b32 s30, s30, s2
	s_and_not1_b32 s2, s25, exec_lo
	s_and_not1_b32 s31, s23, exec_lo
	s_and_b32 s33, s28, exec_lo
	s_or_b32 s28, s2, s29
	s_or_b32 s2, s31, s33
	s_or_not1_b32 s34, s1, exec_lo
.LBB315_1342:
	s_wait_xcnt 0x0
	s_or_b32 exec_lo, exec_lo, s27
	s_mov_b32 s1, 0
	s_mov_b32 s31, 0
	;; [unrolled: 1-line block ×3, first 2 shown]
                                        ; implicit-def: $sgpr27
                                        ; implicit-def: $vgpr0_vgpr1
                                        ; implicit-def: $vgpr2
	s_and_saveexec_b32 s29, s34
	s_cbranch_execz .LBB315_1518
; %bb.1343:
	v_cmp_gt_i32_e32 vcc_lo, s19, v6
	s_mov_b32 s34, s2
	s_mov_b32 s35, 0
                                        ; implicit-def: $sgpr27
                                        ; implicit-def: $vgpr0_vgpr1
                                        ; implicit-def: $vgpr2
	s_and_saveexec_b32 s19, vcc_lo
	s_cbranch_execz .LBB315_1517
; %bb.1344:
	v_mul_lo_u32 v0, v6, s9
	s_and_b32 s27, s16, 0xff
	s_delay_alu instid0(SALU_CYCLE_1) | instskip(NEXT) | instid1(VALU_DEP_1)
	s_cmp_lt_i32 s27, 11
	v_ashrrev_i32_e32 v1, 31, v0
	s_delay_alu instid0(VALU_DEP_1)
	v_add_nc_u64_e32 v[0:1], s[6:7], v[0:1]
	s_cbranch_scc1 .LBB315_1353
; %bb.1345:
	s_and_b32 s31, 0xffff, s27
	s_mov_b32 s34, 0
	s_cmp_gt_i32 s31, 25
	s_cbranch_scc0 .LBB315_1354
; %bb.1346:
	s_cmp_gt_i32 s31, 28
	s_cbranch_scc0 .LBB315_1356
; %bb.1347:
	;; [unrolled: 3-line block ×4, first 2 shown]
	s_cmp_eq_u32 s31, 46
	s_cbranch_scc0 .LBB315_1433
; %bb.1350:
	s_wait_loadcnt 0x0
	global_load_b32 v3, v[0:1], off
	v_mov_b32_e32 v2, 0xff
	s_mov_b32 s33, exec_lo
	s_wait_loadcnt 0x0
	v_lshlrev_b32_e32 v4, 16, v3
	s_delay_alu instid0(VALU_DEP_1) | instskip(SKIP_1) | instid1(VALU_DEP_1)
	v_bfe_u32 v5, v4, 23, 8
	s_wait_xcnt 0x0
	v_cmpx_ne_u32_e32 0xff, v5
	s_cbranch_execz .LBB315_1352
; %bb.1351:
	v_and_b32_e32 v2, 64, v3
	v_and_or_b32 v4, 0x3f0000, v4, v5
	s_delay_alu instid0(VALU_DEP_2) | instskip(NEXT) | instid1(VALU_DEP_2)
	v_cmp_ne_u32_e32 vcc_lo, 0, v2
	v_cmp_ne_u32_e64 s1, 0, v4
	v_bfe_u32 v2, v3, 7, 9
	s_and_b32 s1, vcc_lo, s1
	s_delay_alu instid0(SALU_CYCLE_1) | instskip(NEXT) | instid1(VALU_DEP_1)
	v_cndmask_b32_e64 v3, 0, 1, s1
	v_add_nc_u32_e32 v2, v2, v3
.LBB315_1352:
	s_or_b32 exec_lo, exec_lo, s33
	s_mov_b32 s33, 0
	s_mov_b32 s1, -1
	s_branch .LBB315_1435
.LBB315_1353:
	s_mov_b32 s31, -1
	s_mov_b32 s34, 0
	s_mov_b32 s33, s2
                                        ; implicit-def: $vgpr2
	s_branch .LBB315_1516
.LBB315_1354:
	s_mov_b32 s35, -1
	s_mov_b32 s33, s2
                                        ; implicit-def: $vgpr2
	s_branch .LBB315_1476
.LBB315_1355:
	s_mov_b32 s2, s24
	s_branch .LBB315_1389
.LBB315_1356:
	s_mov_b32 s35, -1
	s_mov_b32 s33, s2
                                        ; implicit-def: $vgpr2
	s_branch .LBB315_1449
.LBB315_1357:
	s_mov_b32 s2, s24
	s_branch .LBB315_1372
.LBB315_1358:
	s_mov_b32 s35, -1
	s_mov_b32 s33, s2
                                        ; implicit-def: $vgpr2
	s_branch .LBB315_1442
.LBB315_1359:
	s_mov_b32 s2, s24
	s_branch .LBB315_1368
.LBB315_1360:
	s_mov_b32 s35, -1
	s_mov_b32 s33, s2
	s_branch .LBB315_1434
.LBB315_1361:
	s_mov_b32 s2, s24
.LBB315_1362:
	s_and_b32 vcc_lo, exec_lo, s34
	s_cbranch_vccz .LBB315_1367
; %bb.1363:
	s_cmp_eq_u32 s31, 44
	s_mov_b32 s2, -1
	s_cbranch_scc0 .LBB315_1367
; %bb.1364:
	v_cndmask_b32_e64 v4, 0, 1.0, s1
	s_mov_b32 s33, exec_lo
	s_wait_xcnt 0x0
	s_delay_alu instid0(VALU_DEP_1) | instskip(NEXT) | instid1(VALU_DEP_1)
	v_dual_mov_b32 v3, 0xff :: v_dual_lshrrev_b32 v2, 23, v4
	v_cmpx_ne_u32_e32 0xff, v2
; %bb.1365:
	v_and_b32_e32 v3, 0x400000, v4
	v_and_or_b32 v4, 0x3fffff, v4, v2
	s_delay_alu instid0(VALU_DEP_2) | instskip(NEXT) | instid1(VALU_DEP_2)
	v_cmp_ne_u32_e32 vcc_lo, 0, v3
	v_cmp_ne_u32_e64 s2, 0, v4
	s_and_b32 s2, vcc_lo, s2
	s_delay_alu instid0(SALU_CYCLE_1) | instskip(NEXT) | instid1(VALU_DEP_1)
	v_cndmask_b32_e64 v3, 0, 1, s2
	v_add_nc_u32_e32 v3, v2, v3
; %bb.1366:
	s_or_b32 exec_lo, exec_lo, s33
	s_mov_b32 s33, -1
	s_mov_b32 s2, 0
	global_store_b8 v[0:1], v3, off
.LBB315_1367:
	s_mov_b32 s34, 0
.LBB315_1368:
	s_delay_alu instid0(SALU_CYCLE_1)
	s_and_b32 vcc_lo, exec_lo, s34
	s_cbranch_vccz .LBB315_1371
; %bb.1369:
	s_cmp_eq_u32 s31, 29
	s_mov_b32 s2, -1
	s_cbranch_scc0 .LBB315_1371
; %bb.1370:
	s_mov_b32 s2, 0
	s_wait_xcnt 0x0
	v_cndmask_b32_e64 v2, 0, 1, s1
	v_mov_b32_e32 v3, s2
	s_mov_b32 s33, -1
	s_mov_b32 s34, 0
	global_store_b64 v[0:1], v[2:3], off
	s_branch .LBB315_1372
.LBB315_1371:
	s_mov_b32 s34, 0
.LBB315_1372:
	s_delay_alu instid0(SALU_CYCLE_1)
	s_and_b32 vcc_lo, exec_lo, s34
	s_cbranch_vccz .LBB315_1388
; %bb.1373:
	s_cmp_lt_i32 s31, 27
	s_mov_b32 s33, -1
	s_cbranch_scc1 .LBB315_1379
; %bb.1374:
	s_cmp_gt_i32 s31, 27
	s_cbranch_scc0 .LBB315_1376
; %bb.1375:
	s_wait_xcnt 0x0
	v_cndmask_b32_e64 v2, 0, 1, s1
	s_mov_b32 s33, 0
	global_store_b32 v[0:1], v2, off
.LBB315_1376:
	s_and_not1_b32 vcc_lo, exec_lo, s33
	s_cbranch_vccnz .LBB315_1378
; %bb.1377:
	s_wait_xcnt 0x0
	v_cndmask_b32_e64 v2, 0, 1, s1
	global_store_b16 v[0:1], v2, off
.LBB315_1378:
	s_mov_b32 s33, 0
.LBB315_1379:
	s_delay_alu instid0(SALU_CYCLE_1)
	s_and_not1_b32 vcc_lo, exec_lo, s33
	s_cbranch_vccnz .LBB315_1387
; %bb.1380:
	s_wait_xcnt 0x0
	v_cndmask_b32_e64 v3, 0, 1.0, s1
	v_mov_b32_e32 v4, 0x80
	s_mov_b32 s33, exec_lo
	s_delay_alu instid0(VALU_DEP_2)
	v_cmpx_gt_u32_e32 0x43800000, v3
	s_cbranch_execz .LBB315_1386
; %bb.1381:
	s_mov_b32 s34, 0
	s_mov_b32 s35, exec_lo
                                        ; implicit-def: $vgpr2
	v_cmpx_lt_u32_e32 0x3bffffff, v3
	s_xor_b32 s35, exec_lo, s35
	s_cbranch_execz .LBB315_1438
; %bb.1382:
	v_bfe_u32 v2, v3, 20, 1
	s_mov_b32 s34, exec_lo
	s_delay_alu instid0(VALU_DEP_1) | instskip(NEXT) | instid1(VALU_DEP_1)
	v_add3_u32 v2, v3, v2, 0x487ffff
                                        ; implicit-def: $vgpr3
	v_lshrrev_b32_e32 v2, 20, v2
	s_and_not1_saveexec_b32 s35, s35
	s_cbranch_execnz .LBB315_1439
.LBB315_1383:
	s_or_b32 exec_lo, exec_lo, s35
	v_mov_b32_e32 v4, 0
	s_and_saveexec_b32 s35, s34
.LBB315_1384:
	v_mov_b32_e32 v4, v2
.LBB315_1385:
	s_or_b32 exec_lo, exec_lo, s35
.LBB315_1386:
	s_delay_alu instid0(SALU_CYCLE_1)
	s_or_b32 exec_lo, exec_lo, s33
	global_store_b8 v[0:1], v4, off
.LBB315_1387:
	s_mov_b32 s33, -1
.LBB315_1388:
	s_mov_b32 s34, 0
.LBB315_1389:
	s_delay_alu instid0(SALU_CYCLE_1)
	s_and_b32 vcc_lo, exec_lo, s34
	s_cbranch_vccz .LBB315_1430
; %bb.1390:
	s_cmp_gt_i32 s31, 22
	s_mov_b32 s34, -1
	s_cbranch_scc0 .LBB315_1422
; %bb.1391:
	s_cmp_lt_i32 s31, 24
	s_mov_b32 s33, -1
	s_cbranch_scc1 .LBB315_1411
; %bb.1392:
	s_cmp_gt_i32 s31, 24
	s_cbranch_scc0 .LBB315_1400
; %bb.1393:
	s_wait_xcnt 0x0
	v_cndmask_b32_e64 v3, 0, 1.0, s1
	v_mov_b32_e32 v4, 0x80
	s_mov_b32 s33, exec_lo
	s_delay_alu instid0(VALU_DEP_2)
	v_cmpx_gt_u32_e32 0x47800000, v3
	s_cbranch_execz .LBB315_1399
; %bb.1394:
	s_mov_b32 s34, 0
	s_mov_b32 s35, exec_lo
                                        ; implicit-def: $vgpr2
	v_cmpx_lt_u32_e32 0x37ffffff, v3
	s_xor_b32 s35, exec_lo, s35
	s_cbranch_execz .LBB315_2754
; %bb.1395:
	v_bfe_u32 v2, v3, 21, 1
	s_mov_b32 s34, exec_lo
	s_delay_alu instid0(VALU_DEP_1) | instskip(NEXT) | instid1(VALU_DEP_1)
	v_add3_u32 v2, v3, v2, 0x88fffff
                                        ; implicit-def: $vgpr3
	v_lshrrev_b32_e32 v2, 21, v2
	s_and_not1_saveexec_b32 s35, s35
	s_cbranch_execnz .LBB315_2755
.LBB315_1396:
	s_or_b32 exec_lo, exec_lo, s35
	v_mov_b32_e32 v4, 0
	s_and_saveexec_b32 s35, s34
.LBB315_1397:
	v_mov_b32_e32 v4, v2
.LBB315_1398:
	s_or_b32 exec_lo, exec_lo, s35
.LBB315_1399:
	s_delay_alu instid0(SALU_CYCLE_1)
	s_or_b32 exec_lo, exec_lo, s33
	s_mov_b32 s33, 0
	global_store_b8 v[0:1], v4, off
.LBB315_1400:
	s_and_b32 vcc_lo, exec_lo, s33
	s_cbranch_vccz .LBB315_1410
; %bb.1401:
	s_wait_xcnt 0x0
	v_cndmask_b32_e64 v3, 0, 1.0, s1
	s_mov_b32 s33, exec_lo
                                        ; implicit-def: $vgpr2
	s_delay_alu instid0(VALU_DEP_1)
	v_cmpx_gt_u32_e32 0x43f00000, v3
	s_xor_b32 s33, exec_lo, s33
	s_cbranch_execz .LBB315_1407
; %bb.1402:
	s_mov_b32 s34, exec_lo
                                        ; implicit-def: $vgpr2
	v_cmpx_lt_u32_e32 0x3c7fffff, v3
	s_xor_b32 s34, exec_lo, s34
; %bb.1403:
	v_bfe_u32 v2, v3, 20, 1
	s_delay_alu instid0(VALU_DEP_1) | instskip(NEXT) | instid1(VALU_DEP_1)
	v_add3_u32 v2, v3, v2, 0x407ffff
	v_and_b32_e32 v3, 0xff00000, v2
	v_lshrrev_b32_e32 v2, 20, v2
	s_delay_alu instid0(VALU_DEP_2) | instskip(NEXT) | instid1(VALU_DEP_2)
	v_cmp_ne_u32_e32 vcc_lo, 0x7f00000, v3
                                        ; implicit-def: $vgpr3
	v_cndmask_b32_e32 v2, 0x7e, v2, vcc_lo
; %bb.1404:
	s_and_not1_saveexec_b32 s34, s34
; %bb.1405:
	v_add_f32_e32 v2, 0x46800000, v3
; %bb.1406:
	s_or_b32 exec_lo, exec_lo, s34
                                        ; implicit-def: $vgpr3
.LBB315_1407:
	s_and_not1_saveexec_b32 s33, s33
; %bb.1408:
	v_mov_b32_e32 v2, 0x7f
	v_cmp_lt_u32_e32 vcc_lo, 0x7f800000, v3
	s_delay_alu instid0(VALU_DEP_2)
	v_cndmask_b32_e32 v2, 0x7e, v2, vcc_lo
; %bb.1409:
	s_or_b32 exec_lo, exec_lo, s33
	global_store_b8 v[0:1], v2, off
.LBB315_1410:
	s_mov_b32 s33, 0
.LBB315_1411:
	s_delay_alu instid0(SALU_CYCLE_1)
	s_and_not1_b32 vcc_lo, exec_lo, s33
	s_cbranch_vccnz .LBB315_1421
; %bb.1412:
	s_wait_xcnt 0x0
	v_cndmask_b32_e64 v3, 0, 1.0, s1
	s_mov_b32 s33, exec_lo
                                        ; implicit-def: $vgpr2
	s_delay_alu instid0(VALU_DEP_1)
	v_cmpx_gt_u32_e32 0x47800000, v3
	s_xor_b32 s33, exec_lo, s33
	s_cbranch_execz .LBB315_1418
; %bb.1413:
	s_mov_b32 s34, exec_lo
                                        ; implicit-def: $vgpr2
	v_cmpx_lt_u32_e32 0x387fffff, v3
	s_xor_b32 s34, exec_lo, s34
; %bb.1414:
	v_bfe_u32 v2, v3, 21, 1
	s_delay_alu instid0(VALU_DEP_1) | instskip(NEXT) | instid1(VALU_DEP_1)
	v_add3_u32 v2, v3, v2, 0x80fffff
                                        ; implicit-def: $vgpr3
	v_lshrrev_b32_e32 v2, 21, v2
; %bb.1415:
	s_and_not1_saveexec_b32 s34, s34
; %bb.1416:
	v_add_f32_e32 v2, 0x43000000, v3
; %bb.1417:
	s_or_b32 exec_lo, exec_lo, s34
                                        ; implicit-def: $vgpr3
.LBB315_1418:
	s_and_not1_saveexec_b32 s33, s33
; %bb.1419:
	v_mov_b32_e32 v2, 0x7f
	v_cmp_lt_u32_e32 vcc_lo, 0x7f800000, v3
	s_delay_alu instid0(VALU_DEP_2)
	v_cndmask_b32_e32 v2, 0x7c, v2, vcc_lo
; %bb.1420:
	s_or_b32 exec_lo, exec_lo, s33
	global_store_b8 v[0:1], v2, off
.LBB315_1421:
	s_mov_b32 s34, 0
	s_mov_b32 s33, -1
.LBB315_1422:
	s_and_not1_b32 vcc_lo, exec_lo, s34
	s_cbranch_vccnz .LBB315_1430
; %bb.1423:
	s_cmp_gt_i32 s31, 14
	s_mov_b32 s34, -1
	s_cbranch_scc0 .LBB315_1427
; %bb.1424:
	s_cmp_eq_u32 s31, 15
	s_mov_b32 s2, -1
	s_cbranch_scc0 .LBB315_1426
; %bb.1425:
	s_wait_xcnt 0x0
	v_cndmask_b32_e64 v2, 0, 1.0, s1
	s_mov_b32 s33, -1
	s_mov_b32 s2, 0
	s_delay_alu instid0(VALU_DEP_1) | instskip(NEXT) | instid1(VALU_DEP_1)
	v_bfe_u32 v3, v2, 16, 1
	v_add3_u32 v2, v2, v3, 0x7fff
	global_store_d16_hi_b16 v[0:1], v2, off
.LBB315_1426:
	s_mov_b32 s34, 0
.LBB315_1427:
	s_delay_alu instid0(SALU_CYCLE_1)
	s_and_b32 vcc_lo, exec_lo, s34
	s_cbranch_vccz .LBB315_1430
; %bb.1428:
	s_cmp_eq_u32 s31, 11
	s_mov_b32 s2, -1
	s_cbranch_scc0 .LBB315_1430
; %bb.1429:
	s_wait_xcnt 0x0
	v_cndmask_b32_e64 v2, 0, 1, s1
	s_mov_b32 s33, -1
	s_mov_b32 s2, 0
	global_store_b8 v[0:1], v2, off
.LBB315_1430:
.LBB315_1431:
	s_and_not1_b32 vcc_lo, exec_lo, s33
	s_cbranch_vccnz .LBB315_1339
.LBB315_1432:
	v_add_nc_u32_e32 v6, 0x80, v6
	s_mov_b32 s1, -1
	s_branch .LBB315_1341
.LBB315_1433:
	s_mov_b32 s33, -1
.LBB315_1434:
                                        ; implicit-def: $vgpr2
.LBB315_1435:
	s_and_b32 vcc_lo, exec_lo, s35
	s_cbranch_vccz .LBB315_1441
; %bb.1436:
	s_cmp_eq_u32 s31, 44
	s_cbranch_scc0 .LBB315_1440
; %bb.1437:
	s_wait_loadcnt 0x0
	global_load_u8 v2, v[0:1], off
	s_mov_b32 s33, 0
	s_mov_b32 s1, -1
	s_branch .LBB315_1441
.LBB315_1438:
	s_and_not1_saveexec_b32 s35, s35
	s_cbranch_execz .LBB315_1383
.LBB315_1439:
	v_add_f32_e32 v2, 0x46000000, v3
	s_and_not1_b32 s34, s34, exec_lo
	s_delay_alu instid0(VALU_DEP_1) | instskip(NEXT) | instid1(VALU_DEP_1)
	v_and_b32_e32 v2, 0xff, v2
	v_cmp_ne_u32_e32 vcc_lo, 0, v2
	s_and_b32 s36, vcc_lo, exec_lo
	s_delay_alu instid0(SALU_CYCLE_1)
	s_or_b32 s34, s34, s36
	s_or_b32 exec_lo, exec_lo, s35
	v_mov_b32_e32 v4, 0
	s_and_saveexec_b32 s35, s34
	s_cbranch_execnz .LBB315_1384
	s_branch .LBB315_1385
.LBB315_1440:
	s_mov_b32 s33, -1
                                        ; implicit-def: $vgpr2
.LBB315_1441:
	s_mov_b32 s35, 0
.LBB315_1442:
	s_delay_alu instid0(SALU_CYCLE_1)
	s_and_b32 vcc_lo, exec_lo, s35
	s_cbranch_vccz .LBB315_1448
; %bb.1443:
	s_cmp_eq_u32 s31, 29
	s_cbranch_scc0 .LBB315_1447
; %bb.1444:
	s_wait_loadcnt 0x0
	global_load_b64 v[2:3], v[0:1], off
	s_mov_b32 s33, exec_lo
	s_wait_loadcnt 0x0
	v_clz_i32_u32_e32 v4, v3
	s_delay_alu instid0(VALU_DEP_1) | instskip(NEXT) | instid1(VALU_DEP_1)
	v_min_u32_e32 v4, 32, v4
	v_lshlrev_b64_e32 v[2:3], v4, v[2:3]
	s_delay_alu instid0(VALU_DEP_1) | instskip(NEXT) | instid1(VALU_DEP_1)
	v_min_u32_e32 v2, 1, v2
	v_dual_sub_nc_u32 v3, 32, v4 :: v_dual_bitop2_b32 v2, v3, v2 bitop3:0x54
	s_delay_alu instid0(VALU_DEP_1) | instskip(NEXT) | instid1(VALU_DEP_1)
	v_cvt_f32_u32_e32 v2, v2
	v_ldexp_f32 v4, v2, v3
	s_delay_alu instid0(VALU_DEP_1) | instskip(SKIP_1) | instid1(VALU_DEP_1)
	v_dual_mov_b32 v2, 0xff :: v_dual_lshrrev_b32 v3, 23, v4
	s_wait_xcnt 0x0
	v_cmpx_ne_u32_e32 0xff, v3
; %bb.1445:
	v_and_b32_e32 v2, 0x400000, v4
	v_and_or_b32 v4, 0x3fffff, v4, v3
	s_delay_alu instid0(VALU_DEP_2) | instskip(NEXT) | instid1(VALU_DEP_2)
	v_cmp_ne_u32_e32 vcc_lo, 0, v2
	v_cmp_ne_u32_e64 s1, 0, v4
	s_and_b32 s1, vcc_lo, s1
	s_delay_alu instid0(SALU_CYCLE_1) | instskip(NEXT) | instid1(VALU_DEP_1)
	v_cndmask_b32_e64 v2, 0, 1, s1
	v_add_nc_u32_e32 v2, v3, v2
; %bb.1446:
	s_or_b32 exec_lo, exec_lo, s33
	s_mov_b32 s33, 0
	s_mov_b32 s1, -1
	s_branch .LBB315_1448
.LBB315_1447:
	s_mov_b32 s33, -1
                                        ; implicit-def: $vgpr2
.LBB315_1448:
	s_mov_b32 s35, 0
.LBB315_1449:
	s_delay_alu instid0(SALU_CYCLE_1)
	s_and_b32 vcc_lo, exec_lo, s35
	s_cbranch_vccz .LBB315_1475
; %bb.1450:
	s_cmp_lt_i32 s31, 27
	s_cbranch_scc1 .LBB315_1455
; %bb.1451:
	s_cmp_gt_i32 s31, 27
	s_cbranch_scc0 .LBB315_1456
; %bb.1452:
	s_wait_loadcnt 0x0
	global_load_b32 v2, v[0:1], off
	s_mov_b32 s35, exec_lo
	s_wait_loadcnt 0x0
	v_cvt_f32_u32_e32 v4, v2
	s_delay_alu instid0(VALU_DEP_1) | instskip(SKIP_1) | instid1(VALU_DEP_1)
	v_dual_mov_b32 v2, 0xff :: v_dual_lshrrev_b32 v3, 23, v4
	s_wait_xcnt 0x0
	v_cmpx_ne_u32_e32 0xff, v3
; %bb.1453:
	v_and_b32_e32 v2, 0x400000, v4
	v_and_or_b32 v4, 0x3fffff, v4, v3
	s_delay_alu instid0(VALU_DEP_2) | instskip(NEXT) | instid1(VALU_DEP_2)
	v_cmp_ne_u32_e32 vcc_lo, 0, v2
	v_cmp_ne_u32_e64 s1, 0, v4
	s_and_b32 s1, vcc_lo, s1
	s_delay_alu instid0(SALU_CYCLE_1) | instskip(NEXT) | instid1(VALU_DEP_1)
	v_cndmask_b32_e64 v2, 0, 1, s1
	v_add_nc_u32_e32 v2, v3, v2
; %bb.1454:
	s_or_b32 exec_lo, exec_lo, s35
	s_mov_b32 s1, 0
	s_branch .LBB315_1457
.LBB315_1455:
	s_mov_b32 s1, -1
                                        ; implicit-def: $vgpr2
	s_branch .LBB315_1462
.LBB315_1456:
	s_mov_b32 s1, -1
                                        ; implicit-def: $vgpr2
.LBB315_1457:
	s_delay_alu instid0(SALU_CYCLE_1)
	s_and_not1_b32 vcc_lo, exec_lo, s1
	s_cbranch_vccnz .LBB315_1461
; %bb.1458:
	s_wait_loadcnt 0x0
	global_load_u16 v2, v[0:1], off
	s_mov_b32 s35, exec_lo
	s_wait_loadcnt 0x0
	v_cvt_f32_u32_e32 v4, v2
	s_delay_alu instid0(VALU_DEP_1) | instskip(SKIP_1) | instid1(VALU_DEP_1)
	v_dual_mov_b32 v2, 0xff :: v_dual_lshrrev_b32 v3, 23, v4
	s_wait_xcnt 0x0
	v_cmpx_ne_u32_e32 0xff, v3
; %bb.1459:
	v_and_b32_e32 v2, 0x400000, v4
	v_and_or_b32 v4, 0x3fffff, v4, v3
	s_delay_alu instid0(VALU_DEP_2) | instskip(NEXT) | instid1(VALU_DEP_2)
	v_cmp_ne_u32_e32 vcc_lo, 0, v2
	v_cmp_ne_u32_e64 s1, 0, v4
	s_and_b32 s1, vcc_lo, s1
	s_delay_alu instid0(SALU_CYCLE_1) | instskip(NEXT) | instid1(VALU_DEP_1)
	v_cndmask_b32_e64 v2, 0, 1, s1
	v_add_nc_u32_e32 v2, v3, v2
; %bb.1460:
	s_or_b32 exec_lo, exec_lo, s35
.LBB315_1461:
	s_mov_b32 s1, 0
.LBB315_1462:
	s_delay_alu instid0(SALU_CYCLE_1)
	s_and_not1_b32 vcc_lo, exec_lo, s1
	s_cbranch_vccnz .LBB315_1474
; %bb.1463:
	s_wait_loadcnt 0x0
	global_load_u8 v2, v[0:1], off
	s_mov_b32 s1, 0
	s_mov_b32 s35, exec_lo
	s_wait_loadcnt 0x0
	v_cmpx_lt_i16_e32 0x7f, v2
	s_xor_b32 s35, exec_lo, s35
	s_cbranch_execz .LBB315_1467
; %bb.1464:
	s_mov_b32 s1, -1
	s_mov_b32 s36, exec_lo
	v_cmpx_eq_u16_e32 0x80, v2
; %bb.1465:
	s_xor_b32 s1, exec_lo, -1
; %bb.1466:
	s_or_b32 exec_lo, exec_lo, s36
	s_delay_alu instid0(SALU_CYCLE_1)
	s_and_b32 s1, s1, exec_lo
.LBB315_1467:
	s_or_saveexec_b32 s35, s35
	v_mov_b32_e32 v3, 0x7f800001
	v_and_b32_e32 v4, 0xffff, v2
	s_xor_b32 exec_lo, exec_lo, s35
; %bb.1468:
	v_cmp_ne_u16_e32 vcc_lo, 0, v2
	s_delay_alu instid0(VALU_DEP_2) | instskip(SKIP_2) | instid1(SALU_CYCLE_1)
	v_mov_b32_e32 v3, v4
	s_and_not1_b32 s1, s1, exec_lo
	s_and_b32 s36, vcc_lo, exec_lo
	s_or_b32 s1, s1, s36
; %bb.1469:
	s_or_b32 exec_lo, exec_lo, s35
	s_and_saveexec_b32 s35, s1
	s_cbranch_execz .LBB315_1471
; %bb.1470:
	v_and_b32_e32 v2, 7, v4
	s_delay_alu instid0(VALU_DEP_1) | instskip(NEXT) | instid1(VALU_DEP_1)
	v_clz_i32_u32_e32 v3, v2
	v_min_u32_e32 v3, 32, v3
	s_delay_alu instid0(VALU_DEP_1) | instskip(NEXT) | instid1(VALU_DEP_1)
	v_subrev_nc_u32_e32 v5, 28, v3
	v_lshlrev_b32_e32 v5, v5, v4
	v_bfe_u32 v4, v4, 3, 4
	s_delay_alu instid0(VALU_DEP_2) | instskip(NEXT) | instid1(VALU_DEP_2)
	v_dual_sub_nc_u32 v3, 29, v3 :: v_dual_bitop2_b32 v5, 7, v5 bitop3:0x40
	v_cmp_eq_u32_e32 vcc_lo, 0, v4
	s_delay_alu instid0(VALU_DEP_2) | instskip(NEXT) | instid1(VALU_DEP_1)
	v_dual_cndmask_b32 v3, v4, v3 :: v_dual_cndmask_b32 v2, v2, v5
	v_lshlrev_b32_e32 v2, 20, v2
	s_delay_alu instid0(VALU_DEP_1) | instskip(NEXT) | instid1(VALU_DEP_1)
	v_lshl_or_b32 v2, v3, 23, v2
	v_add_nc_u32_e32 v3, 0x3b800000, v2
.LBB315_1471:
	s_or_b32 exec_lo, exec_lo, s35
	s_delay_alu instid0(VALU_DEP_1) | instskip(SKIP_2) | instid1(VALU_DEP_2)
	v_lshrrev_b32_e32 v4, 23, v3
	v_mov_b32_e32 v2, 0xff
	s_mov_b32 s35, exec_lo
	v_cmpx_ne_u32_e32 0xff, v4
; %bb.1472:
	v_and_b32_e32 v2, 0x400000, v3
	v_and_or_b32 v3, 0x3fffff, v3, v4
	s_delay_alu instid0(VALU_DEP_2) | instskip(NEXT) | instid1(VALU_DEP_2)
	v_cmp_ne_u32_e32 vcc_lo, 0, v2
	v_cmp_ne_u32_e64 s1, 0, v3
	s_and_b32 s1, vcc_lo, s1
	s_delay_alu instid0(SALU_CYCLE_1) | instskip(NEXT) | instid1(VALU_DEP_1)
	v_cndmask_b32_e64 v2, 0, 1, s1
	v_add_nc_u32_e32 v2, v4, v2
; %bb.1473:
	s_or_b32 exec_lo, exec_lo, s35
.LBB315_1474:
	s_mov_b32 s1, -1
.LBB315_1475:
	s_mov_b32 s35, 0
.LBB315_1476:
	s_delay_alu instid0(SALU_CYCLE_1)
	s_and_b32 vcc_lo, exec_lo, s35
	s_cbranch_vccz .LBB315_1515
; %bb.1477:
	s_cmp_gt_i32 s31, 22
	s_cbranch_scc0 .LBB315_1491
; %bb.1478:
	s_cmp_lt_i32 s31, 24
	s_cbranch_scc1 .LBB315_1492
; %bb.1479:
	s_cmp_gt_i32 s31, 24
	s_cbranch_scc0 .LBB315_1493
; %bb.1480:
	s_wait_loadcnt 0x0
	global_load_u8 v2, v[0:1], off
	s_mov_b32 s1, 0
	s_mov_b32 s34, exec_lo
	s_wait_loadcnt 0x0
	v_cmpx_lt_i16_e32 0x7f, v2
	s_xor_b32 s34, exec_lo, s34
	s_cbranch_execz .LBB315_1484
; %bb.1481:
	s_mov_b32 s1, -1
	s_mov_b32 s35, exec_lo
	v_cmpx_eq_u16_e32 0x80, v2
; %bb.1482:
	s_xor_b32 s1, exec_lo, -1
; %bb.1483:
	s_or_b32 exec_lo, exec_lo, s35
	s_delay_alu instid0(SALU_CYCLE_1)
	s_and_b32 s1, s1, exec_lo
.LBB315_1484:
	s_or_saveexec_b32 s34, s34
	v_mov_b32_e32 v3, 0x7f800001
	v_and_b32_e32 v4, 0xffff, v2
	s_xor_b32 exec_lo, exec_lo, s34
; %bb.1485:
	v_cmp_ne_u16_e32 vcc_lo, 0, v2
	s_delay_alu instid0(VALU_DEP_2) | instskip(SKIP_2) | instid1(SALU_CYCLE_1)
	v_mov_b32_e32 v3, v4
	s_and_not1_b32 s1, s1, exec_lo
	s_and_b32 s35, vcc_lo, exec_lo
	s_or_b32 s1, s1, s35
; %bb.1486:
	s_or_b32 exec_lo, exec_lo, s34
	s_and_saveexec_b32 s34, s1
	s_cbranch_execz .LBB315_1488
; %bb.1487:
	v_and_b32_e32 v2, 3, v4
	s_delay_alu instid0(VALU_DEP_1) | instskip(NEXT) | instid1(VALU_DEP_1)
	v_clz_i32_u32_e32 v3, v2
	v_min_u32_e32 v3, 32, v3
	s_delay_alu instid0(VALU_DEP_1) | instskip(NEXT) | instid1(VALU_DEP_1)
	v_subrev_nc_u32_e32 v5, 29, v3
	v_lshlrev_b32_e32 v5, v5, v4
	v_bfe_u32 v4, v4, 2, 5
	s_delay_alu instid0(VALU_DEP_2) | instskip(NEXT) | instid1(VALU_DEP_2)
	v_dual_sub_nc_u32 v3, 30, v3 :: v_dual_bitop2_b32 v5, 3, v5 bitop3:0x40
	v_cmp_eq_u32_e32 vcc_lo, 0, v4
	s_delay_alu instid0(VALU_DEP_2) | instskip(NEXT) | instid1(VALU_DEP_1)
	v_dual_cndmask_b32 v3, v4, v3 :: v_dual_cndmask_b32 v2, v2, v5
	v_lshlrev_b32_e32 v2, 21, v2
	s_delay_alu instid0(VALU_DEP_1) | instskip(NEXT) | instid1(VALU_DEP_1)
	v_lshl_or_b32 v2, v3, 23, v2
	v_add_nc_u32_e32 v3, 0x37800000, v2
.LBB315_1488:
	s_or_b32 exec_lo, exec_lo, s34
	s_delay_alu instid0(VALU_DEP_1) | instskip(SKIP_2) | instid1(VALU_DEP_2)
	v_lshrrev_b32_e32 v4, 23, v3
	v_mov_b32_e32 v2, 0xff
	s_mov_b32 s34, exec_lo
	v_cmpx_ne_u32_e32 0xff, v4
; %bb.1489:
	v_and_b32_e32 v2, 0x400000, v3
	v_and_or_b32 v3, 0x3fffff, v3, v4
	s_delay_alu instid0(VALU_DEP_2) | instskip(NEXT) | instid1(VALU_DEP_2)
	v_cmp_ne_u32_e32 vcc_lo, 0, v2
	v_cmp_ne_u32_e64 s1, 0, v3
	s_and_b32 s1, vcc_lo, s1
	s_delay_alu instid0(SALU_CYCLE_1) | instskip(NEXT) | instid1(VALU_DEP_1)
	v_cndmask_b32_e64 v2, 0, 1, s1
	v_add_nc_u32_e32 v2, v4, v2
; %bb.1490:
	s_or_b32 exec_lo, exec_lo, s34
	s_mov_b32 s1, 0
	s_branch .LBB315_1494
.LBB315_1491:
	s_mov_b32 s34, -1
                                        ; implicit-def: $vgpr2
	s_branch .LBB315_1504
.LBB315_1492:
	s_mov_b32 s1, -1
                                        ; implicit-def: $vgpr2
	s_branch .LBB315_1499
.LBB315_1493:
	s_mov_b32 s1, -1
                                        ; implicit-def: $vgpr2
.LBB315_1494:
	s_delay_alu instid0(SALU_CYCLE_1)
	s_and_b32 vcc_lo, exec_lo, s1
	s_cbranch_vccz .LBB315_1498
; %bb.1495:
	s_wait_loadcnt 0x0
	global_load_u8 v2, v[0:1], off
	s_mov_b32 s34, exec_lo
	s_wait_loadcnt 0x0
	v_lshlrev_b32_e32 v2, 24, v2
	s_delay_alu instid0(VALU_DEP_1) | instskip(NEXT) | instid1(VALU_DEP_1)
	v_and_b32_e32 v2, 0x7f000000, v2
	v_clz_i32_u32_e32 v3, v2
	v_cmp_ne_u32_e32 vcc_lo, 0, v2
	v_add_nc_u32_e32 v5, 0x1000000, v2
	s_delay_alu instid0(VALU_DEP_3) | instskip(NEXT) | instid1(VALU_DEP_1)
	v_min_u32_e32 v3, 32, v3
	v_sub_nc_u32_e64 v3, v3, 4 clamp
	s_delay_alu instid0(VALU_DEP_1) | instskip(SKIP_1) | instid1(VALU_DEP_2)
	v_dual_lshlrev_b32 v4, v3, v2 :: v_dual_lshlrev_b32 v3, 23, v3
	v_mov_b32_e32 v2, 0xff
	v_lshrrev_b32_e32 v4, 4, v4
	s_delay_alu instid0(VALU_DEP_1) | instskip(NEXT) | instid1(VALU_DEP_1)
	v_dual_sub_nc_u32 v3, v4, v3 :: v_dual_ashrrev_i32 v4, 8, v5
	v_add_nc_u32_e32 v3, 0x3c000000, v3
	s_delay_alu instid0(VALU_DEP_1) | instskip(NEXT) | instid1(VALU_DEP_1)
	v_and_or_b32 v3, 0x7f800000, v4, v3
	v_cndmask_b32_e32 v4, 0, v3, vcc_lo
	s_delay_alu instid0(VALU_DEP_1) | instskip(SKIP_1) | instid1(VALU_DEP_1)
	v_lshrrev_b32_e32 v3, 23, v4
	s_wait_xcnt 0x0
	v_cmpx_ne_u32_e32 0xff, v3
; %bb.1496:
	v_and_b32_e32 v2, 0x400000, v4
	v_and_or_b32 v4, 0x3fffff, v4, v3
	s_delay_alu instid0(VALU_DEP_2) | instskip(NEXT) | instid1(VALU_DEP_2)
	v_cmp_ne_u32_e32 vcc_lo, 0, v2
	v_cmp_ne_u32_e64 s1, 0, v4
	s_and_b32 s1, vcc_lo, s1
	s_delay_alu instid0(SALU_CYCLE_1) | instskip(NEXT) | instid1(VALU_DEP_1)
	v_cndmask_b32_e64 v2, 0, 1, s1
	v_add_nc_u32_e32 v2, v3, v2
; %bb.1497:
	s_or_b32 exec_lo, exec_lo, s34
.LBB315_1498:
	s_mov_b32 s1, 0
.LBB315_1499:
	s_delay_alu instid0(SALU_CYCLE_1)
	s_and_not1_b32 vcc_lo, exec_lo, s1
	s_cbranch_vccnz .LBB315_1503
; %bb.1500:
	s_wait_loadcnt 0x0
	global_load_u8 v2, v[0:1], off
	s_mov_b32 s34, exec_lo
	s_wait_loadcnt 0x0
	v_dual_lshlrev_b32 v3, 25, v2 :: v_dual_lshlrev_b32 v2, 8, v2
	s_delay_alu instid0(VALU_DEP_1) | instskip(NEXT) | instid1(VALU_DEP_2)
	v_cmp_gt_u32_e32 vcc_lo, 0x8000000, v3
	v_and_or_b32 v2, 0x7f00, v2, 0.5
	s_delay_alu instid0(VALU_DEP_1) | instskip(NEXT) | instid1(VALU_DEP_1)
	v_dual_lshrrev_b32 v4, 4, v3 :: v_dual_add_f32 v2, -0.5, v2
	v_or_b32_e32 v4, 0x70000000, v4
	s_delay_alu instid0(VALU_DEP_1) | instskip(NEXT) | instid1(VALU_DEP_1)
	v_mul_f32_e32 v4, 0x7800000, v4
	v_dual_cndmask_b32 v3, v4, v2 :: v_dual_mov_b32 v2, 0xff
	s_delay_alu instid0(VALU_DEP_1) | instskip(SKIP_1) | instid1(VALU_DEP_1)
	v_bfe_u32 v4, v3, 23, 8
	s_wait_xcnt 0x0
	v_cmpx_ne_u32_e32 0xff, v4
	s_cbranch_execz .LBB315_1502
; %bb.1501:
	v_and_b32_e32 v2, 0x400000, v3
	v_and_or_b32 v4, 0x3fffff, v3, v4
	s_delay_alu instid0(VALU_DEP_2) | instskip(NEXT) | instid1(VALU_DEP_2)
	v_cmp_ne_u32_e32 vcc_lo, 0, v2
	v_cmp_ne_u32_e64 s1, 0, v4
	v_lshrrev_b32_e32 v2, 23, v3
	s_and_b32 s1, vcc_lo, s1
	s_delay_alu instid0(SALU_CYCLE_1) | instskip(NEXT) | instid1(VALU_DEP_1)
	v_cndmask_b32_e64 v3, 0, 1, s1
	v_add_nc_u32_e32 v2, v2, v3
.LBB315_1502:
	s_or_b32 exec_lo, exec_lo, s34
.LBB315_1503:
	s_mov_b32 s34, 0
	s_mov_b32 s1, -1
.LBB315_1504:
	s_and_not1_b32 vcc_lo, exec_lo, s34
	s_mov_b32 s34, 0
	s_cbranch_vccnz .LBB315_1515
; %bb.1505:
	s_cmp_gt_i32 s31, 14
	s_cbranch_scc0 .LBB315_1510
; %bb.1506:
	s_cmp_eq_u32 s31, 15
	s_cbranch_scc0 .LBB315_1511
; %bb.1507:
	s_wait_loadcnt 0x0
	global_load_u16 v3, v[0:1], off
	v_mov_b32_e32 v2, 0xff
	s_mov_b32 s33, exec_lo
	s_wait_loadcnt 0x0
	v_bfe_u32 v4, v3, 7, 8
	s_wait_xcnt 0x0
	s_delay_alu instid0(VALU_DEP_1)
	v_cmpx_ne_u32_e32 0xff, v4
	s_cbranch_execz .LBB315_1509
; %bb.1508:
	v_dual_lshlrev_b32 v2, 16, v3 :: v_dual_bitop2_b32 v5, 64, v3 bitop3:0x40
	s_delay_alu instid0(VALU_DEP_1) | instskip(NEXT) | instid1(VALU_DEP_2)
	v_and_or_b32 v2, 0x3f0000, v2, v4
	v_cmp_ne_u32_e32 vcc_lo, 0, v5
	s_delay_alu instid0(VALU_DEP_2) | instskip(SKIP_2) | instid1(SALU_CYCLE_1)
	v_cmp_ne_u32_e64 s1, 0, v2
	v_lshrrev_b32_e32 v2, 7, v3
	s_and_b32 s1, vcc_lo, s1
	v_cndmask_b32_e64 v3, 0, 1, s1
	s_delay_alu instid0(VALU_DEP_1)
	v_add_nc_u32_e32 v2, v2, v3
.LBB315_1509:
	s_or_b32 exec_lo, exec_lo, s33
	s_mov_b32 s33, 0
	s_mov_b32 s1, -1
	s_branch .LBB315_1513
.LBB315_1510:
	s_mov_b32 s34, -1
	s_branch .LBB315_1512
.LBB315_1511:
	s_mov_b32 s33, -1
.LBB315_1512:
                                        ; implicit-def: $vgpr2
.LBB315_1513:
	s_and_b32 vcc_lo, exec_lo, s34
	s_mov_b32 s34, 0
	s_cbranch_vccz .LBB315_1515
; %bb.1514:
	s_cmp_lg_u32 s31, 11
	s_mov_b32 s34, -1
	s_cselect_b32 s31, -1, 0
	s_and_not1_b32 s33, s33, exec_lo
	s_and_b32 s31, s31, exec_lo
	s_delay_alu instid0(SALU_CYCLE_1)
	s_or_b32 s33, s33, s31
.LBB315_1515:
	s_mov_b32 s31, 0
.LBB315_1516:
	s_and_not1_b32 s36, s2, exec_lo
	s_and_b32 s33, s33, exec_lo
	s_and_b32 s35, s1, exec_lo
	;; [unrolled: 1-line block ×4, first 2 shown]
	s_or_b32 s34, s36, s33
.LBB315_1517:
	s_wait_xcnt 0x0
	s_or_b32 exec_lo, exec_lo, s19
	s_delay_alu instid0(SALU_CYCLE_1)
	s_and_not1_b32 s2, s2, exec_lo
	s_and_b32 s19, s34, exec_lo
	s_and_b32 s33, s35, exec_lo
	s_and_b32 s31, s31, exec_lo
	s_and_b32 s1, s1, exec_lo
	s_or_b32 s2, s2, s19
.LBB315_1518:
	s_or_b32 exec_lo, exec_lo, s29
	s_delay_alu instid0(SALU_CYCLE_1)
	s_and_not1_b32 s19, s24, exec_lo
	s_and_b32 s24, s30, exec_lo
	s_and_not1_b32 s25, s25, exec_lo
	s_and_b32 s28, s28, exec_lo
	s_or_b32 s24, s19, s24
	s_and_not1_b32 s19, s23, exec_lo
	s_and_b32 s2, s2, exec_lo
	s_or_b32 s25, s25, s28
	s_and_b32 s29, s33, exec_lo
	s_and_b32 s28, s31, exec_lo
	;; [unrolled: 1-line block ×3, first 2 shown]
	s_or_b32 s23, s19, s2
.LBB315_1519:
	s_or_b32 exec_lo, exec_lo, s26
	s_delay_alu instid0(SALU_CYCLE_1)
	s_and_not1_b32 s2, s18, exec_lo
	s_and_b32 s18, s24, exec_lo
	s_and_not1_b32 s19, s20, exec_lo
	s_and_b32 s20, s25, exec_lo
	s_or_b32 s18, s2, s18
	s_or_b32 s20, s19, s20
	s_and_not1_b32 s2, s21, exec_lo
	s_and_b32 s19, s23, exec_lo
	s_and_b32 s24, s29, exec_lo
	;; [unrolled: 1-line block ×4, first 2 shown]
	s_or_b32 s21, s2, s19
	s_or_b32 exec_lo, exec_lo, s22
	s_mov_b32 s2, 0
	s_and_saveexec_b32 s1, s21
	s_cbranch_execz .LBB315_477
.LBB315_1520:
	s_mov_b32 s2, exec_lo
	s_and_not1_b32 s23, s23, exec_lo
	s_trap 2
	s_or_b32 exec_lo, exec_lo, s1
	s_and_saveexec_b32 s1, s23
	s_delay_alu instid0(SALU_CYCLE_1)
	s_xor_b32 s19, exec_lo, s1
	s_cbranch_execnz .LBB315_478
.LBB315_1521:
	s_or_b32 exec_lo, exec_lo, s19
	s_and_saveexec_b32 s19, s25
	s_cbranch_execz .LBB315_1589
.LBB315_1522:
	s_sext_i32_i16 s1, s27
	s_delay_alu instid0(SALU_CYCLE_1)
	s_cmp_lt_i32 s1, 5
	s_cbranch_scc1 .LBB315_1529
; %bb.1523:
	s_cmp_lt_i32 s1, 8
	s_cbranch_scc1 .LBB315_1530
; %bb.1524:
	;; [unrolled: 3-line block ×3, first 2 shown]
	s_cmp_gt_i32 s1, 9
	s_cbranch_scc0 .LBB315_1532
; %bb.1526:
	s_wait_loadcnt 0x0
	global_load_b64 v[2:3], v[0:1], off
	s_mov_b32 s21, exec_lo
	s_wait_loadcnt 0x0
	v_cvt_f32_f64_e32 v3, v[2:3]
	v_mov_b32_e32 v2, 0xff
	s_delay_alu instid0(VALU_DEP_2) | instskip(SKIP_1) | instid1(VALU_DEP_1)
	v_bfe_u32 v4, v3, 23, 8
	s_wait_xcnt 0x0
	v_cmpx_ne_u32_e32 0xff, v4
	s_cbranch_execz .LBB315_1528
; %bb.1527:
	v_and_b32_e32 v2, 0x400000, v3
	v_and_or_b32 v4, 0x3fffff, v3, v4
	s_delay_alu instid0(VALU_DEP_2) | instskip(NEXT) | instid1(VALU_DEP_2)
	v_cmp_ne_u32_e32 vcc_lo, 0, v2
	v_cmp_ne_u32_e64 s1, 0, v4
	v_lshrrev_b32_e32 v2, 23, v3
	s_and_b32 s1, vcc_lo, s1
	s_delay_alu instid0(SALU_CYCLE_1) | instskip(NEXT) | instid1(VALU_DEP_1)
	v_cndmask_b32_e64 v3, 0, 1, s1
	v_add_nc_u32_e32 v2, v2, v3
.LBB315_1528:
	s_or_b32 exec_lo, exec_lo, s21
	s_mov_b32 s1, 0
	s_branch .LBB315_1533
.LBB315_1529:
                                        ; implicit-def: $vgpr2
	s_branch .LBB315_1560
.LBB315_1530:
                                        ; implicit-def: $vgpr2
	s_branch .LBB315_1543
.LBB315_1531:
	s_mov_b32 s1, -1
                                        ; implicit-def: $vgpr2
	s_branch .LBB315_1538
.LBB315_1532:
	s_mov_b32 s1, -1
                                        ; implicit-def: $vgpr2
.LBB315_1533:
	s_delay_alu instid0(SALU_CYCLE_1)
	s_and_not1_b32 vcc_lo, exec_lo, s1
	s_cbranch_vccnz .LBB315_1537
; %bb.1534:
	s_wait_loadcnt 0x0
	global_load_b32 v3, v[0:1], off
	v_mov_b32_e32 v2, 0xff
	s_mov_b32 s21, exec_lo
	s_wait_loadcnt 0x0
	v_bfe_u32 v4, v3, 23, 8
	s_wait_xcnt 0x0
	s_delay_alu instid0(VALU_DEP_1)
	v_cmpx_ne_u32_e32 0xff, v4
	s_cbranch_execz .LBB315_1536
; %bb.1535:
	v_and_b32_e32 v2, 0x400000, v3
	v_and_or_b32 v4, 0x3fffff, v3, v4
	s_delay_alu instid0(VALU_DEP_2) | instskip(NEXT) | instid1(VALU_DEP_2)
	v_cmp_ne_u32_e32 vcc_lo, 0, v2
	v_cmp_ne_u32_e64 s1, 0, v4
	v_lshrrev_b32_e32 v2, 23, v3
	s_and_b32 s1, vcc_lo, s1
	s_delay_alu instid0(SALU_CYCLE_1) | instskip(NEXT) | instid1(VALU_DEP_1)
	v_cndmask_b32_e64 v3, 0, 1, s1
	v_add_nc_u32_e32 v2, v2, v3
.LBB315_1536:
	s_or_b32 exec_lo, exec_lo, s21
.LBB315_1537:
	s_mov_b32 s1, 0
.LBB315_1538:
	s_delay_alu instid0(SALU_CYCLE_1)
	s_and_not1_b32 vcc_lo, exec_lo, s1
	s_cbranch_vccnz .LBB315_1542
; %bb.1539:
	s_wait_loadcnt 0x0
	global_load_b32 v2, v[0:1], off
	s_mov_b32 s21, exec_lo
	s_wait_loadcnt 0x0
	v_cvt_f32_f16_e32 v3, v2
	v_mov_b32_e32 v2, 0xff
	s_delay_alu instid0(VALU_DEP_2) | instskip(SKIP_1) | instid1(VALU_DEP_1)
	v_bfe_u32 v4, v3, 23, 8
	s_wait_xcnt 0x0
	v_cmpx_ne_u32_e32 0xff, v4
	s_cbranch_execz .LBB315_1541
; %bb.1540:
	v_and_b32_e32 v2, 0x400000, v3
	v_and_or_b32 v4, 0x3fffff, v3, v4
	s_delay_alu instid0(VALU_DEP_2) | instskip(NEXT) | instid1(VALU_DEP_2)
	v_cmp_ne_u32_e32 vcc_lo, 0, v2
	v_cmp_ne_u32_e64 s1, 0, v4
	v_lshrrev_b32_e32 v2, 23, v3
	s_and_b32 s1, vcc_lo, s1
	s_delay_alu instid0(SALU_CYCLE_1) | instskip(NEXT) | instid1(VALU_DEP_1)
	v_cndmask_b32_e64 v3, 0, 1, s1
	v_add_nc_u32_e32 v2, v2, v3
.LBB315_1541:
	s_or_b32 exec_lo, exec_lo, s21
.LBB315_1542:
	s_cbranch_execnz .LBB315_1559
.LBB315_1543:
	s_sext_i32_i16 s1, s27
	s_delay_alu instid0(SALU_CYCLE_1)
	s_cmp_lt_i32 s1, 6
	s_cbranch_scc1 .LBB315_1548
; %bb.1544:
	s_cmp_gt_i32 s1, 6
	s_cbranch_scc0 .LBB315_1549
; %bb.1545:
	s_wait_loadcnt 0x0
	global_load_b64 v[2:3], v[0:1], off
	s_mov_b32 s21, exec_lo
	s_wait_loadcnt 0x0
	v_cvt_f32_f64_e32 v3, v[2:3]
	v_mov_b32_e32 v2, 0xff
	s_delay_alu instid0(VALU_DEP_2) | instskip(SKIP_1) | instid1(VALU_DEP_1)
	v_bfe_u32 v4, v3, 23, 8
	s_wait_xcnt 0x0
	v_cmpx_ne_u32_e32 0xff, v4
	s_cbranch_execz .LBB315_1547
; %bb.1546:
	v_and_b32_e32 v2, 0x400000, v3
	v_and_or_b32 v4, 0x3fffff, v3, v4
	s_delay_alu instid0(VALU_DEP_2) | instskip(NEXT) | instid1(VALU_DEP_2)
	v_cmp_ne_u32_e32 vcc_lo, 0, v2
	v_cmp_ne_u32_e64 s1, 0, v4
	v_lshrrev_b32_e32 v2, 23, v3
	s_and_b32 s1, vcc_lo, s1
	s_delay_alu instid0(SALU_CYCLE_1) | instskip(NEXT) | instid1(VALU_DEP_1)
	v_cndmask_b32_e64 v3, 0, 1, s1
	v_add_nc_u32_e32 v2, v2, v3
.LBB315_1547:
	s_or_b32 exec_lo, exec_lo, s21
	s_mov_b32 s1, 0
	s_branch .LBB315_1550
.LBB315_1548:
	s_mov_b32 s1, -1
                                        ; implicit-def: $vgpr2
	s_branch .LBB315_1555
.LBB315_1549:
	s_mov_b32 s1, -1
                                        ; implicit-def: $vgpr2
.LBB315_1550:
	s_delay_alu instid0(SALU_CYCLE_1)
	s_and_not1_b32 vcc_lo, exec_lo, s1
	s_cbranch_vccnz .LBB315_1554
; %bb.1551:
	s_wait_loadcnt 0x0
	global_load_b32 v3, v[0:1], off
	v_mov_b32_e32 v2, 0xff
	s_mov_b32 s21, exec_lo
	s_wait_loadcnt 0x0
	v_bfe_u32 v4, v3, 23, 8
	s_wait_xcnt 0x0
	s_delay_alu instid0(VALU_DEP_1)
	v_cmpx_ne_u32_e32 0xff, v4
	s_cbranch_execz .LBB315_1553
; %bb.1552:
	v_and_b32_e32 v2, 0x400000, v3
	v_and_or_b32 v4, 0x3fffff, v3, v4
	s_delay_alu instid0(VALU_DEP_2) | instskip(NEXT) | instid1(VALU_DEP_2)
	v_cmp_ne_u32_e32 vcc_lo, 0, v2
	v_cmp_ne_u32_e64 s1, 0, v4
	v_lshrrev_b32_e32 v2, 23, v3
	s_and_b32 s1, vcc_lo, s1
	s_delay_alu instid0(SALU_CYCLE_1) | instskip(NEXT) | instid1(VALU_DEP_1)
	v_cndmask_b32_e64 v3, 0, 1, s1
	v_add_nc_u32_e32 v2, v2, v3
.LBB315_1553:
	s_or_b32 exec_lo, exec_lo, s21
.LBB315_1554:
	s_mov_b32 s1, 0
.LBB315_1555:
	s_delay_alu instid0(SALU_CYCLE_1)
	s_and_not1_b32 vcc_lo, exec_lo, s1
	s_cbranch_vccnz .LBB315_1559
; %bb.1556:
	s_wait_loadcnt 0x0
	global_load_u16 v2, v[0:1], off
	s_mov_b32 s21, exec_lo
	s_wait_loadcnt 0x0
	v_cvt_f32_f16_e32 v3, v2
	v_mov_b32_e32 v2, 0xff
	s_delay_alu instid0(VALU_DEP_2) | instskip(SKIP_1) | instid1(VALU_DEP_1)
	v_bfe_u32 v4, v3, 23, 8
	s_wait_xcnt 0x0
	v_cmpx_ne_u32_e32 0xff, v4
	s_cbranch_execz .LBB315_1558
; %bb.1557:
	v_and_b32_e32 v2, 0x400000, v3
	v_and_or_b32 v4, 0x3fffff, v3, v4
	s_delay_alu instid0(VALU_DEP_2) | instskip(NEXT) | instid1(VALU_DEP_2)
	v_cmp_ne_u32_e32 vcc_lo, 0, v2
	v_cmp_ne_u32_e64 s1, 0, v4
	v_lshrrev_b32_e32 v2, 23, v3
	s_and_b32 s1, vcc_lo, s1
	s_delay_alu instid0(SALU_CYCLE_1) | instskip(NEXT) | instid1(VALU_DEP_1)
	v_cndmask_b32_e64 v3, 0, 1, s1
	v_add_nc_u32_e32 v2, v2, v3
.LBB315_1558:
	s_or_b32 exec_lo, exec_lo, s21
.LBB315_1559:
	s_cbranch_execnz .LBB315_1588
.LBB315_1560:
	s_sext_i32_i16 s1, s27
	s_delay_alu instid0(SALU_CYCLE_1)
	s_cmp_lt_i32 s1, 2
	s_cbranch_scc1 .LBB315_1566
; %bb.1561:
	s_cmp_lt_i32 s1, 3
	s_cbranch_scc1 .LBB315_1567
; %bb.1562:
	s_cmp_gt_i32 s1, 3
	s_cbranch_scc0 .LBB315_1568
; %bb.1563:
	s_wait_loadcnt 0x0
	global_load_b64 v[2:3], v[0:1], off
	s_mov_b32 s21, exec_lo
	s_wait_loadcnt 0x0
	v_xor_b32_e32 v4, v2, v3
	v_cls_i32_e32 v5, v3
	s_delay_alu instid0(VALU_DEP_2) | instskip(NEXT) | instid1(VALU_DEP_1)
	v_ashrrev_i32_e32 v4, 31, v4
	v_add_nc_u32_e32 v4, 32, v4
	s_delay_alu instid0(VALU_DEP_1) | instskip(NEXT) | instid1(VALU_DEP_1)
	v_add_min_u32_e64 v4, v5, -1, v4
	v_lshlrev_b64_e32 v[2:3], v4, v[2:3]
	s_delay_alu instid0(VALU_DEP_1) | instskip(NEXT) | instid1(VALU_DEP_1)
	v_min_u32_e32 v2, 1, v2
	v_dual_sub_nc_u32 v3, 32, v4 :: v_dual_bitop2_b32 v2, v3, v2 bitop3:0x54
	s_delay_alu instid0(VALU_DEP_1) | instskip(NEXT) | instid1(VALU_DEP_1)
	v_cvt_f32_i32_e32 v2, v2
	v_ldexp_f32 v3, v2, v3
	v_mov_b32_e32 v2, 0xff
	s_delay_alu instid0(VALU_DEP_2) | instskip(SKIP_1) | instid1(VALU_DEP_1)
	v_bfe_u32 v4, v3, 23, 8
	s_wait_xcnt 0x0
	v_cmpx_ne_u32_e32 0xff, v4
	s_cbranch_execz .LBB315_1565
; %bb.1564:
	v_and_b32_e32 v2, 0x400000, v3
	v_and_or_b32 v4, 0x3fffff, v3, v4
	s_delay_alu instid0(VALU_DEP_2) | instskip(NEXT) | instid1(VALU_DEP_2)
	v_cmp_ne_u32_e32 vcc_lo, 0, v2
	v_cmp_ne_u32_e64 s1, 0, v4
	v_lshrrev_b32_e32 v2, 23, v3
	s_and_b32 s1, vcc_lo, s1
	s_delay_alu instid0(SALU_CYCLE_1) | instskip(NEXT) | instid1(VALU_DEP_1)
	v_cndmask_b32_e64 v3, 0, 1, s1
	v_add_nc_u32_e32 v2, v2, v3
.LBB315_1565:
	s_or_b32 exec_lo, exec_lo, s21
	s_mov_b32 s1, 0
	s_branch .LBB315_1569
.LBB315_1566:
                                        ; implicit-def: $vgpr2
	s_branch .LBB315_1579
.LBB315_1567:
	s_mov_b32 s1, -1
                                        ; implicit-def: $vgpr2
	s_branch .LBB315_1574
.LBB315_1568:
	s_mov_b32 s1, -1
                                        ; implicit-def: $vgpr2
.LBB315_1569:
	s_delay_alu instid0(SALU_CYCLE_1)
	s_and_not1_b32 vcc_lo, exec_lo, s1
	s_cbranch_vccnz .LBB315_1573
; %bb.1570:
	s_wait_loadcnt 0x0
	global_load_b32 v2, v[0:1], off
	s_mov_b32 s21, exec_lo
	s_wait_loadcnt 0x0
	v_cvt_f32_i32_e32 v3, v2
	v_mov_b32_e32 v2, 0xff
	s_delay_alu instid0(VALU_DEP_2) | instskip(SKIP_1) | instid1(VALU_DEP_1)
	v_bfe_u32 v4, v3, 23, 8
	s_wait_xcnt 0x0
	v_cmpx_ne_u32_e32 0xff, v4
	s_cbranch_execz .LBB315_1572
; %bb.1571:
	v_and_b32_e32 v2, 0x400000, v3
	v_and_or_b32 v4, 0x3fffff, v3, v4
	s_delay_alu instid0(VALU_DEP_2) | instskip(NEXT) | instid1(VALU_DEP_2)
	v_cmp_ne_u32_e32 vcc_lo, 0, v2
	v_cmp_ne_u32_e64 s1, 0, v4
	v_lshrrev_b32_e32 v2, 23, v3
	s_and_b32 s1, vcc_lo, s1
	s_delay_alu instid0(SALU_CYCLE_1) | instskip(NEXT) | instid1(VALU_DEP_1)
	v_cndmask_b32_e64 v3, 0, 1, s1
	v_add_nc_u32_e32 v2, v2, v3
.LBB315_1572:
	s_or_b32 exec_lo, exec_lo, s21
.LBB315_1573:
	s_mov_b32 s1, 0
.LBB315_1574:
	s_delay_alu instid0(SALU_CYCLE_1)
	s_and_not1_b32 vcc_lo, exec_lo, s1
	s_cbranch_vccnz .LBB315_1578
; %bb.1575:
	s_wait_loadcnt 0x0
	global_load_i16 v2, v[0:1], off
	s_mov_b32 s21, exec_lo
	s_wait_loadcnt 0x0
	v_cvt_f32_i32_e32 v3, v2
	v_mov_b32_e32 v2, 0xff
	s_delay_alu instid0(VALU_DEP_2) | instskip(SKIP_1) | instid1(VALU_DEP_1)
	v_bfe_u32 v4, v3, 23, 8
	s_wait_xcnt 0x0
	v_cmpx_ne_u32_e32 0xff, v4
	s_cbranch_execz .LBB315_1577
; %bb.1576:
	v_and_b32_e32 v2, 0x400000, v3
	v_and_or_b32 v4, 0x3fffff, v3, v4
	s_delay_alu instid0(VALU_DEP_2) | instskip(NEXT) | instid1(VALU_DEP_2)
	v_cmp_ne_u32_e32 vcc_lo, 0, v2
	v_cmp_ne_u32_e64 s1, 0, v4
	v_lshrrev_b32_e32 v2, 23, v3
	s_and_b32 s1, vcc_lo, s1
	s_delay_alu instid0(SALU_CYCLE_1) | instskip(NEXT) | instid1(VALU_DEP_1)
	v_cndmask_b32_e64 v3, 0, 1, s1
	v_add_nc_u32_e32 v2, v2, v3
.LBB315_1577:
	s_or_b32 exec_lo, exec_lo, s21
.LBB315_1578:
	s_cbranch_execnz .LBB315_1588
.LBB315_1579:
	s_sext_i32_i16 s1, s27
	s_delay_alu instid0(SALU_CYCLE_1)
	s_cmp_gt_i32 s1, 0
	s_cbranch_scc0 .LBB315_1583
; %bb.1580:
	s_wait_loadcnt 0x0
	global_load_i8 v2, v[0:1], off
	s_mov_b32 s21, exec_lo
	s_wait_loadcnt 0x0
	v_cvt_f32_i32_e32 v3, v2
	v_mov_b32_e32 v2, 0xff
	s_delay_alu instid0(VALU_DEP_2) | instskip(SKIP_1) | instid1(VALU_DEP_1)
	v_bfe_u32 v4, v3, 23, 8
	s_wait_xcnt 0x0
	v_cmpx_ne_u32_e32 0xff, v4
	s_cbranch_execz .LBB315_1582
; %bb.1581:
	v_and_b32_e32 v2, 0x400000, v3
	v_and_or_b32 v4, 0x3fffff, v3, v4
	s_delay_alu instid0(VALU_DEP_2) | instskip(NEXT) | instid1(VALU_DEP_2)
	v_cmp_ne_u32_e32 vcc_lo, 0, v2
	v_cmp_ne_u32_e64 s1, 0, v4
	v_lshrrev_b32_e32 v2, 23, v3
	s_and_b32 s1, vcc_lo, s1
	s_delay_alu instid0(SALU_CYCLE_1) | instskip(NEXT) | instid1(VALU_DEP_1)
	v_cndmask_b32_e64 v3, 0, 1, s1
	v_add_nc_u32_e32 v2, v2, v3
.LBB315_1582:
	s_or_b32 exec_lo, exec_lo, s21
	s_mov_b32 s1, 0
	s_branch .LBB315_1584
.LBB315_1583:
	s_mov_b32 s1, -1
                                        ; implicit-def: $vgpr2
.LBB315_1584:
	s_delay_alu instid0(SALU_CYCLE_1)
	s_and_not1_b32 vcc_lo, exec_lo, s1
	s_cbranch_vccnz .LBB315_1588
; %bb.1585:
	global_load_u8 v0, v[0:1], off
	s_wait_loadcnt 0x1
	v_mov_b32_e32 v2, 0xff
	s_mov_b32 s21, exec_lo
	s_wait_loadcnt 0x0
	v_cvt_f32_ubyte0_e32 v1, v0
	s_delay_alu instid0(VALU_DEP_1) | instskip(NEXT) | instid1(VALU_DEP_1)
	v_lshrrev_b32_e32 v0, 23, v1
	v_cmpx_ne_u32_e32 0xff, v0
; %bb.1586:
	v_and_b32_e32 v2, 0x400000, v1
	v_and_or_b32 v1, 0x3fffff, v1, v0
	s_delay_alu instid0(VALU_DEP_2) | instskip(NEXT) | instid1(VALU_DEP_2)
	v_cmp_ne_u32_e32 vcc_lo, 0, v2
	v_cmp_ne_u32_e64 s1, 0, v1
	s_and_b32 s1, vcc_lo, s1
	s_delay_alu instid0(SALU_CYCLE_1) | instskip(NEXT) | instid1(VALU_DEP_1)
	v_cndmask_b32_e64 v1, 0, 1, s1
	v_add_nc_u32_e32 v2, v0, v1
; %bb.1587:
	s_or_b32 exec_lo, exec_lo, s21
.LBB315_1588:
	s_delay_alu instid0(SALU_CYCLE_1)
	s_or_b32 s24, s24, exec_lo
.LBB315_1589:
	s_or_b32 exec_lo, exec_lo, s19
	s_mov_b32 s1, 0
	s_mov_b32 s25, 0
	;; [unrolled: 1-line block ×3, first 2 shown]
                                        ; implicit-def: $sgpr19
                                        ; implicit-def: $vgpr0_vgpr1
                                        ; implicit-def: $vgpr3
	s_and_saveexec_b32 s21, s24
	s_cbranch_execz .LBB315_1599
; %bb.1590:
	v_mul_lo_u32 v0, v6, s10
	s_and_b32 s19, s14, 0xff
	s_delay_alu instid0(SALU_CYCLE_1) | instskip(NEXT) | instid1(VALU_DEP_1)
	s_cmp_lt_i32 s19, 11
	v_ashrrev_i32_e32 v1, 31, v0
	s_delay_alu instid0(VALU_DEP_1)
	v_add_nc_u64_e32 v[0:1], s[12:13], v[0:1]
	s_cbranch_scc1 .LBB315_1604
; %bb.1591:
	s_and_b32 s22, 0xffff, s19
	s_mov_b32 s24, 0
	s_cmp_gt_i32 s22, 25
	s_cbranch_scc0 .LBB315_1605
; %bb.1592:
	s_cmp_gt_i32 s22, 28
	s_cbranch_scc0 .LBB315_1606
; %bb.1593:
	;; [unrolled: 3-line block ×4, first 2 shown]
	s_cmp_eq_u32 s22, 46
	s_cbranch_scc0 .LBB315_1609
; %bb.1596:
	global_load_b32 v4, v[0:1], off
	s_wait_loadcnt 0x1
	v_mov_b32_e32 v3, 0xff
	s_mov_b32 s23, exec_lo
	s_wait_loadcnt 0x0
	v_lshlrev_b32_e32 v5, 16, v4
	s_delay_alu instid0(VALU_DEP_1) | instskip(SKIP_1) | instid1(VALU_DEP_1)
	v_bfe_u32 v7, v5, 23, 8
	s_wait_xcnt 0x0
	v_cmpx_ne_u32_e32 0xff, v7
	s_cbranch_execz .LBB315_1598
; %bb.1597:
	v_and_b32_e32 v3, 64, v4
	v_and_or_b32 v5, 0x3f0000, v5, v7
	s_delay_alu instid0(VALU_DEP_2) | instskip(NEXT) | instid1(VALU_DEP_2)
	v_cmp_ne_u32_e32 vcc_lo, 0, v3
	v_cmp_ne_u32_e64 s1, 0, v5
	v_bfe_u32 v3, v4, 7, 9
	s_and_b32 s1, vcc_lo, s1
	s_delay_alu instid0(SALU_CYCLE_1) | instskip(NEXT) | instid1(VALU_DEP_1)
	v_cndmask_b32_e64 v4, 0, 1, s1
	v_add_nc_u32_e32 v3, v3, v4
.LBB315_1598:
	s_or_b32 exec_lo, exec_lo, s23
	s_mov_b32 s23, 0
	s_mov_b32 s1, -1
	s_branch .LBB315_1611
.LBB315_1599:
	s_or_b32 exec_lo, exec_lo, s21
	s_and_saveexec_b32 s21, s20
	s_cbranch_execnz .LBB315_1690
.LBB315_1600:
	s_or_b32 exec_lo, exec_lo, s21
	s_and_saveexec_b32 s20, s1
	s_delay_alu instid0(SALU_CYCLE_1)
	s_xor_b32 s20, exec_lo, s20
	s_cbranch_execz .LBB315_1691
.LBB315_1601:
	s_wait_loadcnt 0x0
	global_load_u8 v3, v[0:1], off
	s_mov_b32 s21, exec_lo
	s_wait_loadcnt 0x0
	v_cmp_ne_u16_e32 vcc_lo, 0, v3
	v_mov_b32_e32 v3, 0xff
	v_cndmask_b32_e64 v5, 0, 1.0, vcc_lo
	s_delay_alu instid0(VALU_DEP_1) | instskip(SKIP_1) | instid1(VALU_DEP_1)
	v_lshrrev_b32_e32 v4, 23, v5
	s_wait_xcnt 0x0
	v_cmpx_ne_u32_e32 0xff, v4
; %bb.1602:
	v_and_b32_e32 v3, 0x400000, v5
	v_and_or_b32 v5, 0x3fffff, v5, v4
	s_delay_alu instid0(VALU_DEP_2) | instskip(NEXT) | instid1(VALU_DEP_2)
	v_cmp_ne_u32_e32 vcc_lo, 0, v3
	v_cmp_ne_u32_e64 s1, 0, v5
	s_and_b32 s1, vcc_lo, s1
	s_delay_alu instid0(SALU_CYCLE_1) | instskip(NEXT) | instid1(VALU_DEP_1)
	v_cndmask_b32_e64 v3, 0, 1, s1
	v_add_nc_u32_e32 v3, v4, v3
; %bb.1603:
	s_or_b32 exec_lo, exec_lo, s21
	s_delay_alu instid0(SALU_CYCLE_1)
	s_or_b32 s22, s22, exec_lo
	s_or_b32 exec_lo, exec_lo, s20
	s_and_saveexec_b32 s20, s25
	s_cbranch_execz .LBB315_1759
	s_branch .LBB315_1692
.LBB315_1604:
	s_mov_b32 s25, -1
	s_mov_b32 s24, 0
	s_mov_b32 s23, s20
                                        ; implicit-def: $vgpr3
	s_branch .LBB315_1689
.LBB315_1605:
	s_mov_b32 s23, s20
                                        ; implicit-def: $vgpr3
	s_cbranch_execnz .LBB315_1650
	s_branch .LBB315_1688
.LBB315_1606:
	s_mov_b32 s25, -1
	s_mov_b32 s23, s20
                                        ; implicit-def: $vgpr3
	s_branch .LBB315_1623
.LBB315_1607:
	s_mov_b32 s25, -1
	s_mov_b32 s23, s20
                                        ; implicit-def: $vgpr3
	s_branch .LBB315_1616
.LBB315_1608:
	s_mov_b32 s25, -1
	s_mov_b32 s23, s20
	s_branch .LBB315_1610
.LBB315_1609:
	s_mov_b32 s23, -1
.LBB315_1610:
                                        ; implicit-def: $vgpr3
.LBB315_1611:
	s_and_b32 vcc_lo, exec_lo, s25
	s_cbranch_vccz .LBB315_1615
; %bb.1612:
	s_cmp_eq_u32 s22, 44
	s_cbranch_scc0 .LBB315_1614
; %bb.1613:
	s_wait_loadcnt 0x0
	global_load_u8 v3, v[0:1], off
	s_mov_b32 s23, 0
	s_mov_b32 s1, -1
	s_branch .LBB315_1615
.LBB315_1614:
	s_mov_b32 s23, -1
                                        ; implicit-def: $vgpr3
.LBB315_1615:
	s_mov_b32 s25, 0
.LBB315_1616:
	s_delay_alu instid0(SALU_CYCLE_1)
	s_and_b32 vcc_lo, exec_lo, s25
	s_cbranch_vccz .LBB315_1622
; %bb.1617:
	s_cmp_eq_u32 s22, 29
	s_cbranch_scc0 .LBB315_1621
; %bb.1618:
	global_load_b64 v[4:5], v[0:1], off
	s_mov_b32 s23, exec_lo
	s_wait_loadcnt 0x0
	v_clz_i32_u32_e32 v3, v5
	s_delay_alu instid0(VALU_DEP_1) | instskip(NEXT) | instid1(VALU_DEP_1)
	v_min_u32_e32 v3, 32, v3
	v_lshlrev_b64_e32 v[4:5], v3, v[4:5]
	v_sub_nc_u32_e32 v3, 32, v3
	s_delay_alu instid0(VALU_DEP_2) | instskip(NEXT) | instid1(VALU_DEP_1)
	v_min_u32_e32 v4, 1, v4
	v_or_b32_e32 v4, v5, v4
	s_delay_alu instid0(VALU_DEP_1) | instskip(NEXT) | instid1(VALU_DEP_1)
	v_cvt_f32_u32_e32 v4, v4
	v_ldexp_f32 v5, v4, v3
	s_delay_alu instid0(VALU_DEP_1) | instskip(SKIP_1) | instid1(VALU_DEP_1)
	v_dual_mov_b32 v3, 0xff :: v_dual_lshrrev_b32 v4, 23, v5
	s_wait_xcnt 0x0
	v_cmpx_ne_u32_e32 0xff, v4
; %bb.1619:
	v_and_b32_e32 v3, 0x400000, v5
	v_and_or_b32 v5, 0x3fffff, v5, v4
	s_delay_alu instid0(VALU_DEP_2) | instskip(NEXT) | instid1(VALU_DEP_2)
	v_cmp_ne_u32_e32 vcc_lo, 0, v3
	v_cmp_ne_u32_e64 s1, 0, v5
	s_and_b32 s1, vcc_lo, s1
	s_delay_alu instid0(SALU_CYCLE_1) | instskip(NEXT) | instid1(VALU_DEP_1)
	v_cndmask_b32_e64 v3, 0, 1, s1
	v_add_nc_u32_e32 v3, v4, v3
; %bb.1620:
	s_or_b32 exec_lo, exec_lo, s23
	s_mov_b32 s23, 0
	s_mov_b32 s1, -1
	s_branch .LBB315_1622
.LBB315_1621:
	s_mov_b32 s23, -1
                                        ; implicit-def: $vgpr3
.LBB315_1622:
	s_mov_b32 s25, 0
.LBB315_1623:
	s_delay_alu instid0(SALU_CYCLE_1)
	s_and_b32 vcc_lo, exec_lo, s25
	s_cbranch_vccz .LBB315_1649
; %bb.1624:
	s_cmp_lt_i32 s22, 27
	s_cbranch_scc1 .LBB315_1629
; %bb.1625:
	s_cmp_gt_i32 s22, 27
	s_cbranch_scc0 .LBB315_1630
; %bb.1626:
	s_wait_loadcnt 0x0
	global_load_b32 v3, v[0:1], off
	s_mov_b32 s25, exec_lo
	s_wait_loadcnt 0x0
	v_cvt_f32_u32_e32 v5, v3
	s_delay_alu instid0(VALU_DEP_1) | instskip(SKIP_1) | instid1(VALU_DEP_1)
	v_dual_mov_b32 v3, 0xff :: v_dual_lshrrev_b32 v4, 23, v5
	s_wait_xcnt 0x0
	v_cmpx_ne_u32_e32 0xff, v4
; %bb.1627:
	v_and_b32_e32 v3, 0x400000, v5
	v_and_or_b32 v5, 0x3fffff, v5, v4
	s_delay_alu instid0(VALU_DEP_2) | instskip(NEXT) | instid1(VALU_DEP_2)
	v_cmp_ne_u32_e32 vcc_lo, 0, v3
	v_cmp_ne_u32_e64 s1, 0, v5
	s_and_b32 s1, vcc_lo, s1
	s_delay_alu instid0(SALU_CYCLE_1) | instskip(NEXT) | instid1(VALU_DEP_1)
	v_cndmask_b32_e64 v3, 0, 1, s1
	v_add_nc_u32_e32 v3, v4, v3
; %bb.1628:
	s_or_b32 exec_lo, exec_lo, s25
	s_mov_b32 s1, 0
	s_branch .LBB315_1631
.LBB315_1629:
	s_mov_b32 s1, -1
                                        ; implicit-def: $vgpr3
	s_branch .LBB315_1636
.LBB315_1630:
	s_mov_b32 s1, -1
                                        ; implicit-def: $vgpr3
.LBB315_1631:
	s_delay_alu instid0(SALU_CYCLE_1)
	s_and_not1_b32 vcc_lo, exec_lo, s1
	s_cbranch_vccnz .LBB315_1635
; %bb.1632:
	s_wait_loadcnt 0x0
	global_load_u16 v3, v[0:1], off
	s_mov_b32 s25, exec_lo
	s_wait_loadcnt 0x0
	v_cvt_f32_u32_e32 v5, v3
	s_delay_alu instid0(VALU_DEP_1) | instskip(SKIP_1) | instid1(VALU_DEP_1)
	v_dual_mov_b32 v3, 0xff :: v_dual_lshrrev_b32 v4, 23, v5
	s_wait_xcnt 0x0
	v_cmpx_ne_u32_e32 0xff, v4
; %bb.1633:
	v_and_b32_e32 v3, 0x400000, v5
	v_and_or_b32 v5, 0x3fffff, v5, v4
	s_delay_alu instid0(VALU_DEP_2) | instskip(NEXT) | instid1(VALU_DEP_2)
	v_cmp_ne_u32_e32 vcc_lo, 0, v3
	v_cmp_ne_u32_e64 s1, 0, v5
	s_and_b32 s1, vcc_lo, s1
	s_delay_alu instid0(SALU_CYCLE_1) | instskip(NEXT) | instid1(VALU_DEP_1)
	v_cndmask_b32_e64 v3, 0, 1, s1
	v_add_nc_u32_e32 v3, v4, v3
; %bb.1634:
	s_or_b32 exec_lo, exec_lo, s25
.LBB315_1635:
	s_mov_b32 s1, 0
.LBB315_1636:
	s_delay_alu instid0(SALU_CYCLE_1)
	s_and_not1_b32 vcc_lo, exec_lo, s1
	s_cbranch_vccnz .LBB315_1648
; %bb.1637:
	s_wait_loadcnt 0x0
	global_load_u8 v3, v[0:1], off
	s_mov_b32 s1, 0
	s_mov_b32 s25, exec_lo
	s_wait_loadcnt 0x0
	v_cmpx_lt_i16_e32 0x7f, v3
	s_xor_b32 s25, exec_lo, s25
	s_cbranch_execz .LBB315_1641
; %bb.1638:
	s_mov_b32 s1, -1
	s_mov_b32 s26, exec_lo
	v_cmpx_eq_u16_e32 0x80, v3
; %bb.1639:
	s_xor_b32 s1, exec_lo, -1
; %bb.1640:
	s_or_b32 exec_lo, exec_lo, s26
	s_delay_alu instid0(SALU_CYCLE_1)
	s_and_b32 s1, s1, exec_lo
.LBB315_1641:
	s_or_saveexec_b32 s25, s25
	v_mov_b32_e32 v4, 0x7f800001
	v_and_b32_e32 v5, 0xffff, v3
	s_xor_b32 exec_lo, exec_lo, s25
; %bb.1642:
	v_cmp_ne_u16_e32 vcc_lo, 0, v3
	s_delay_alu instid0(VALU_DEP_2) | instskip(SKIP_2) | instid1(SALU_CYCLE_1)
	v_mov_b32_e32 v4, v5
	s_and_not1_b32 s1, s1, exec_lo
	s_and_b32 s26, vcc_lo, exec_lo
	s_or_b32 s1, s1, s26
; %bb.1643:
	s_or_b32 exec_lo, exec_lo, s25
	s_and_saveexec_b32 s25, s1
	s_cbranch_execz .LBB315_1645
; %bb.1644:
	v_and_b32_e32 v3, 7, v5
	s_delay_alu instid0(VALU_DEP_1) | instskip(NEXT) | instid1(VALU_DEP_1)
	v_clz_i32_u32_e32 v4, v3
	v_min_u32_e32 v4, 32, v4
	s_delay_alu instid0(VALU_DEP_1) | instskip(NEXT) | instid1(VALU_DEP_1)
	v_subrev_nc_u32_e32 v7, 28, v4
	v_lshlrev_b32_e32 v7, v7, v5
	v_bfe_u32 v5, v5, 3, 4
	s_delay_alu instid0(VALU_DEP_2) | instskip(NEXT) | instid1(VALU_DEP_2)
	v_dual_sub_nc_u32 v4, 29, v4 :: v_dual_bitop2_b32 v7, 7, v7 bitop3:0x40
	v_cmp_eq_u32_e32 vcc_lo, 0, v5
	s_delay_alu instid0(VALU_DEP_2) | instskip(NEXT) | instid1(VALU_DEP_1)
	v_dual_cndmask_b32 v4, v5, v4 :: v_dual_cndmask_b32 v3, v3, v7
	v_lshlrev_b32_e32 v3, 20, v3
	s_delay_alu instid0(VALU_DEP_1) | instskip(NEXT) | instid1(VALU_DEP_1)
	v_lshl_or_b32 v3, v4, 23, v3
	v_add_nc_u32_e32 v4, 0x3b800000, v3
.LBB315_1645:
	s_or_b32 exec_lo, exec_lo, s25
	s_delay_alu instid0(VALU_DEP_1) | instskip(SKIP_2) | instid1(VALU_DEP_2)
	v_lshrrev_b32_e32 v5, 23, v4
	v_mov_b32_e32 v3, 0xff
	s_mov_b32 s25, exec_lo
	v_cmpx_ne_u32_e32 0xff, v5
; %bb.1646:
	v_and_b32_e32 v3, 0x400000, v4
	v_and_or_b32 v4, 0x3fffff, v4, v5
	s_delay_alu instid0(VALU_DEP_2) | instskip(NEXT) | instid1(VALU_DEP_2)
	v_cmp_ne_u32_e32 vcc_lo, 0, v3
	v_cmp_ne_u32_e64 s1, 0, v4
	s_and_b32 s1, vcc_lo, s1
	s_delay_alu instid0(SALU_CYCLE_1) | instskip(NEXT) | instid1(VALU_DEP_1)
	v_cndmask_b32_e64 v3, 0, 1, s1
	v_add_nc_u32_e32 v3, v5, v3
; %bb.1647:
	s_or_b32 exec_lo, exec_lo, s25
.LBB315_1648:
	s_mov_b32 s1, -1
.LBB315_1649:
	s_branch .LBB315_1688
.LBB315_1650:
	s_cmp_gt_i32 s22, 22
	s_cbranch_scc0 .LBB315_1664
; %bb.1651:
	s_cmp_lt_i32 s22, 24
	s_cbranch_scc1 .LBB315_1665
; %bb.1652:
	s_cmp_gt_i32 s22, 24
	s_cbranch_scc0 .LBB315_1666
; %bb.1653:
	s_wait_loadcnt 0x0
	global_load_u8 v3, v[0:1], off
	s_mov_b32 s1, 0
	s_mov_b32 s24, exec_lo
	s_wait_loadcnt 0x0
	v_cmpx_lt_i16_e32 0x7f, v3
	s_xor_b32 s24, exec_lo, s24
	s_cbranch_execz .LBB315_1657
; %bb.1654:
	s_mov_b32 s1, -1
	s_mov_b32 s25, exec_lo
	v_cmpx_eq_u16_e32 0x80, v3
; %bb.1655:
	s_xor_b32 s1, exec_lo, -1
; %bb.1656:
	s_or_b32 exec_lo, exec_lo, s25
	s_delay_alu instid0(SALU_CYCLE_1)
	s_and_b32 s1, s1, exec_lo
.LBB315_1657:
	s_or_saveexec_b32 s24, s24
	v_mov_b32_e32 v4, 0x7f800001
	v_and_b32_e32 v5, 0xffff, v3
	s_xor_b32 exec_lo, exec_lo, s24
; %bb.1658:
	v_cmp_ne_u16_e32 vcc_lo, 0, v3
	s_delay_alu instid0(VALU_DEP_2) | instskip(SKIP_2) | instid1(SALU_CYCLE_1)
	v_mov_b32_e32 v4, v5
	s_and_not1_b32 s1, s1, exec_lo
	s_and_b32 s25, vcc_lo, exec_lo
	s_or_b32 s1, s1, s25
; %bb.1659:
	s_or_b32 exec_lo, exec_lo, s24
	s_and_saveexec_b32 s24, s1
	s_cbranch_execz .LBB315_1661
; %bb.1660:
	v_and_b32_e32 v3, 3, v5
	s_delay_alu instid0(VALU_DEP_1) | instskip(NEXT) | instid1(VALU_DEP_1)
	v_clz_i32_u32_e32 v4, v3
	v_min_u32_e32 v4, 32, v4
	s_delay_alu instid0(VALU_DEP_1) | instskip(NEXT) | instid1(VALU_DEP_1)
	v_subrev_nc_u32_e32 v7, 29, v4
	v_lshlrev_b32_e32 v7, v7, v5
	v_bfe_u32 v5, v5, 2, 5
	s_delay_alu instid0(VALU_DEP_2) | instskip(NEXT) | instid1(VALU_DEP_2)
	v_dual_sub_nc_u32 v4, 30, v4 :: v_dual_bitop2_b32 v7, 3, v7 bitop3:0x40
	v_cmp_eq_u32_e32 vcc_lo, 0, v5
	s_delay_alu instid0(VALU_DEP_2) | instskip(NEXT) | instid1(VALU_DEP_1)
	v_dual_cndmask_b32 v4, v5, v4 :: v_dual_cndmask_b32 v3, v3, v7
	v_lshlrev_b32_e32 v3, 21, v3
	s_delay_alu instid0(VALU_DEP_1) | instskip(NEXT) | instid1(VALU_DEP_1)
	v_lshl_or_b32 v3, v4, 23, v3
	v_add_nc_u32_e32 v4, 0x37800000, v3
.LBB315_1661:
	s_or_b32 exec_lo, exec_lo, s24
	s_delay_alu instid0(VALU_DEP_1) | instskip(SKIP_2) | instid1(VALU_DEP_2)
	v_lshrrev_b32_e32 v5, 23, v4
	v_mov_b32_e32 v3, 0xff
	s_mov_b32 s24, exec_lo
	v_cmpx_ne_u32_e32 0xff, v5
; %bb.1662:
	v_and_b32_e32 v3, 0x400000, v4
	v_and_or_b32 v4, 0x3fffff, v4, v5
	s_delay_alu instid0(VALU_DEP_2) | instskip(NEXT) | instid1(VALU_DEP_2)
	v_cmp_ne_u32_e32 vcc_lo, 0, v3
	v_cmp_ne_u32_e64 s1, 0, v4
	s_and_b32 s1, vcc_lo, s1
	s_delay_alu instid0(SALU_CYCLE_1) | instskip(NEXT) | instid1(VALU_DEP_1)
	v_cndmask_b32_e64 v3, 0, 1, s1
	v_add_nc_u32_e32 v3, v5, v3
; %bb.1663:
	s_or_b32 exec_lo, exec_lo, s24
	s_mov_b32 s1, 0
	s_branch .LBB315_1667
.LBB315_1664:
	s_mov_b32 s24, -1
                                        ; implicit-def: $vgpr3
	s_branch .LBB315_1677
.LBB315_1665:
	s_mov_b32 s1, -1
                                        ; implicit-def: $vgpr3
	s_branch .LBB315_1672
.LBB315_1666:
	s_mov_b32 s1, -1
                                        ; implicit-def: $vgpr3
.LBB315_1667:
	s_delay_alu instid0(SALU_CYCLE_1)
	s_and_b32 vcc_lo, exec_lo, s1
	s_cbranch_vccz .LBB315_1671
; %bb.1668:
	s_wait_loadcnt 0x0
	global_load_u8 v3, v[0:1], off
	s_mov_b32 s24, exec_lo
	s_wait_loadcnt 0x0
	v_lshlrev_b32_e32 v3, 24, v3
	s_delay_alu instid0(VALU_DEP_1) | instskip(NEXT) | instid1(VALU_DEP_1)
	v_and_b32_e32 v3, 0x7f000000, v3
	v_clz_i32_u32_e32 v4, v3
	v_add_nc_u32_e32 v7, 0x1000000, v3
	v_cmp_ne_u32_e32 vcc_lo, 0, v3
	s_delay_alu instid0(VALU_DEP_3) | instskip(NEXT) | instid1(VALU_DEP_1)
	v_min_u32_e32 v4, 32, v4
	v_sub_nc_u32_e64 v4, v4, 4 clamp
	s_delay_alu instid0(VALU_DEP_1) | instskip(SKIP_1) | instid1(VALU_DEP_2)
	v_dual_lshlrev_b32 v5, v4, v3 :: v_dual_lshlrev_b32 v4, 23, v4
	v_mov_b32_e32 v3, 0xff
	v_lshrrev_b32_e32 v5, 4, v5
	s_delay_alu instid0(VALU_DEP_1) | instskip(NEXT) | instid1(VALU_DEP_1)
	v_dual_sub_nc_u32 v4, v5, v4 :: v_dual_ashrrev_i32 v5, 8, v7
	v_add_nc_u32_e32 v4, 0x3c000000, v4
	s_delay_alu instid0(VALU_DEP_1) | instskip(NEXT) | instid1(VALU_DEP_1)
	v_and_or_b32 v4, 0x7f800000, v5, v4
	v_cndmask_b32_e32 v5, 0, v4, vcc_lo
	s_delay_alu instid0(VALU_DEP_1) | instskip(SKIP_1) | instid1(VALU_DEP_1)
	v_lshrrev_b32_e32 v4, 23, v5
	s_wait_xcnt 0x0
	v_cmpx_ne_u32_e32 0xff, v4
; %bb.1669:
	v_and_b32_e32 v3, 0x400000, v5
	v_and_or_b32 v5, 0x3fffff, v5, v4
	s_delay_alu instid0(VALU_DEP_2) | instskip(NEXT) | instid1(VALU_DEP_2)
	v_cmp_ne_u32_e32 vcc_lo, 0, v3
	v_cmp_ne_u32_e64 s1, 0, v5
	s_and_b32 s1, vcc_lo, s1
	s_delay_alu instid0(SALU_CYCLE_1) | instskip(NEXT) | instid1(VALU_DEP_1)
	v_cndmask_b32_e64 v3, 0, 1, s1
	v_add_nc_u32_e32 v3, v4, v3
; %bb.1670:
	s_or_b32 exec_lo, exec_lo, s24
.LBB315_1671:
	s_mov_b32 s1, 0
.LBB315_1672:
	s_delay_alu instid0(SALU_CYCLE_1)
	s_and_not1_b32 vcc_lo, exec_lo, s1
	s_cbranch_vccnz .LBB315_1676
; %bb.1673:
	s_wait_loadcnt 0x0
	global_load_u8 v3, v[0:1], off
	s_mov_b32 s24, exec_lo
	s_wait_loadcnt 0x0
	v_dual_lshlrev_b32 v4, 25, v3 :: v_dual_lshlrev_b32 v3, 8, v3
	s_delay_alu instid0(VALU_DEP_1) | instskip(NEXT) | instid1(VALU_DEP_2)
	v_cmp_gt_u32_e32 vcc_lo, 0x8000000, v4
	v_and_or_b32 v3, 0x7f00, v3, 0.5
	s_delay_alu instid0(VALU_DEP_1) | instskip(NEXT) | instid1(VALU_DEP_1)
	v_dual_lshrrev_b32 v5, 4, v4 :: v_dual_add_f32 v3, -0.5, v3
	v_or_b32_e32 v5, 0x70000000, v5
	s_delay_alu instid0(VALU_DEP_1) | instskip(NEXT) | instid1(VALU_DEP_1)
	v_mul_f32_e32 v5, 0x7800000, v5
	v_dual_cndmask_b32 v4, v5, v3 :: v_dual_mov_b32 v3, 0xff
	s_delay_alu instid0(VALU_DEP_1) | instskip(SKIP_1) | instid1(VALU_DEP_1)
	v_bfe_u32 v5, v4, 23, 8
	s_wait_xcnt 0x0
	v_cmpx_ne_u32_e32 0xff, v5
	s_cbranch_execz .LBB315_1675
; %bb.1674:
	v_and_b32_e32 v3, 0x400000, v4
	v_and_or_b32 v5, 0x3fffff, v4, v5
	s_delay_alu instid0(VALU_DEP_2) | instskip(NEXT) | instid1(VALU_DEP_2)
	v_cmp_ne_u32_e32 vcc_lo, 0, v3
	v_cmp_ne_u32_e64 s1, 0, v5
	v_lshrrev_b32_e32 v3, 23, v4
	s_and_b32 s1, vcc_lo, s1
	s_delay_alu instid0(SALU_CYCLE_1) | instskip(NEXT) | instid1(VALU_DEP_1)
	v_cndmask_b32_e64 v4, 0, 1, s1
	v_add_nc_u32_e32 v3, v3, v4
.LBB315_1675:
	s_or_b32 exec_lo, exec_lo, s24
.LBB315_1676:
	s_mov_b32 s24, 0
	s_mov_b32 s1, -1
.LBB315_1677:
	s_and_not1_b32 vcc_lo, exec_lo, s24
	s_mov_b32 s24, 0
	s_cbranch_vccnz .LBB315_1688
; %bb.1678:
	s_cmp_gt_i32 s22, 14
	s_cbranch_scc0 .LBB315_1683
; %bb.1679:
	s_cmp_eq_u32 s22, 15
	s_cbranch_scc0 .LBB315_1684
; %bb.1680:
	global_load_u16 v4, v[0:1], off
	s_wait_loadcnt 0x1
	v_mov_b32_e32 v3, 0xff
	s_mov_b32 s23, exec_lo
	s_wait_loadcnt 0x0
	v_bfe_u32 v5, v4, 7, 8
	s_wait_xcnt 0x0
	s_delay_alu instid0(VALU_DEP_1)
	v_cmpx_ne_u32_e32 0xff, v5
	s_cbranch_execz .LBB315_1682
; %bb.1681:
	v_dual_lshlrev_b32 v3, 16, v4 :: v_dual_bitop2_b32 v7, 64, v4 bitop3:0x40
	s_delay_alu instid0(VALU_DEP_1) | instskip(NEXT) | instid1(VALU_DEP_2)
	v_and_or_b32 v3, 0x3f0000, v3, v5
	v_cmp_ne_u32_e32 vcc_lo, 0, v7
	s_delay_alu instid0(VALU_DEP_2) | instskip(SKIP_2) | instid1(SALU_CYCLE_1)
	v_cmp_ne_u32_e64 s1, 0, v3
	v_lshrrev_b32_e32 v3, 7, v4
	s_and_b32 s1, vcc_lo, s1
	v_cndmask_b32_e64 v4, 0, 1, s1
	s_delay_alu instid0(VALU_DEP_1)
	v_add_nc_u32_e32 v3, v3, v4
.LBB315_1682:
	s_or_b32 exec_lo, exec_lo, s23
	s_mov_b32 s23, 0
	s_mov_b32 s1, -1
	s_branch .LBB315_1686
.LBB315_1683:
	s_mov_b32 s24, -1
	s_branch .LBB315_1685
.LBB315_1684:
	s_mov_b32 s23, -1
.LBB315_1685:
                                        ; implicit-def: $vgpr3
.LBB315_1686:
	s_and_b32 vcc_lo, exec_lo, s24
	s_mov_b32 s24, 0
	s_cbranch_vccz .LBB315_1688
; %bb.1687:
	s_cmp_lg_u32 s22, 11
	s_mov_b32 s24, -1
	s_cselect_b32 s22, -1, 0
	s_and_not1_b32 s23, s23, exec_lo
	s_and_b32 s22, s22, exec_lo
	s_delay_alu instid0(SALU_CYCLE_1)
	s_or_b32 s23, s23, s22
.LBB315_1688:
	s_mov_b32 s25, 0
.LBB315_1689:
	s_and_not1_b32 s20, s20, exec_lo
	s_and_b32 s23, s23, exec_lo
	s_and_b32 s22, s1, exec_lo
	;; [unrolled: 1-line block ×4, first 2 shown]
	s_or_b32 s20, s20, s23
	s_wait_xcnt 0x0
	s_or_b32 exec_lo, exec_lo, s21
	s_and_saveexec_b32 s21, s20
	s_cbranch_execz .LBB315_1600
.LBB315_1690:
	s_or_b32 s2, s2, exec_lo
	s_and_not1_b32 s1, s1, exec_lo
	s_trap 2
	s_or_b32 exec_lo, exec_lo, s21
	s_and_saveexec_b32 s20, s1
	s_delay_alu instid0(SALU_CYCLE_1)
	s_xor_b32 s20, exec_lo, s20
	s_cbranch_execnz .LBB315_1601
.LBB315_1691:
	s_or_b32 exec_lo, exec_lo, s20
	s_and_saveexec_b32 s20, s25
	s_cbranch_execz .LBB315_1759
.LBB315_1692:
	s_sext_i32_i16 s1, s19
	s_delay_alu instid0(SALU_CYCLE_1)
	s_cmp_lt_i32 s1, 5
	s_cbranch_scc1 .LBB315_1699
; %bb.1693:
	s_cmp_lt_i32 s1, 8
	s_cbranch_scc1 .LBB315_1700
; %bb.1694:
	;; [unrolled: 3-line block ×3, first 2 shown]
	s_cmp_gt_i32 s1, 9
	s_cbranch_scc0 .LBB315_1702
; %bb.1696:
	global_load_b64 v[4:5], v[0:1], off
	s_wait_loadcnt 0x1
	v_mov_b32_e32 v3, 0xff
	s_mov_b32 s21, exec_lo
	s_wait_loadcnt 0x0
	v_cvt_f32_f64_e32 v4, v[4:5]
	s_delay_alu instid0(VALU_DEP_1) | instskip(SKIP_1) | instid1(VALU_DEP_1)
	v_bfe_u32 v5, v4, 23, 8
	s_wait_xcnt 0x0
	v_cmpx_ne_u32_e32 0xff, v5
	s_cbranch_execz .LBB315_1698
; %bb.1697:
	v_and_b32_e32 v3, 0x400000, v4
	v_and_or_b32 v5, 0x3fffff, v4, v5
	s_delay_alu instid0(VALU_DEP_2) | instskip(NEXT) | instid1(VALU_DEP_2)
	v_cmp_ne_u32_e32 vcc_lo, 0, v3
	v_cmp_ne_u32_e64 s1, 0, v5
	v_lshrrev_b32_e32 v3, 23, v4
	s_and_b32 s1, vcc_lo, s1
	s_delay_alu instid0(SALU_CYCLE_1) | instskip(NEXT) | instid1(VALU_DEP_1)
	v_cndmask_b32_e64 v4, 0, 1, s1
	v_add_nc_u32_e32 v3, v3, v4
.LBB315_1698:
	s_or_b32 exec_lo, exec_lo, s21
	s_mov_b32 s1, 0
	s_branch .LBB315_1703
.LBB315_1699:
                                        ; implicit-def: $vgpr3
	s_branch .LBB315_1730
.LBB315_1700:
                                        ; implicit-def: $vgpr3
	s_branch .LBB315_1713
.LBB315_1701:
	s_mov_b32 s1, -1
                                        ; implicit-def: $vgpr3
	s_branch .LBB315_1708
.LBB315_1702:
	s_mov_b32 s1, -1
                                        ; implicit-def: $vgpr3
.LBB315_1703:
	s_delay_alu instid0(SALU_CYCLE_1)
	s_and_not1_b32 vcc_lo, exec_lo, s1
	s_cbranch_vccnz .LBB315_1707
; %bb.1704:
	global_load_b32 v4, v[0:1], off
	s_wait_loadcnt 0x1
	v_mov_b32_e32 v3, 0xff
	s_mov_b32 s21, exec_lo
	s_wait_loadcnt 0x0
	v_bfe_u32 v5, v4, 23, 8
	s_wait_xcnt 0x0
	s_delay_alu instid0(VALU_DEP_1)
	v_cmpx_ne_u32_e32 0xff, v5
	s_cbranch_execz .LBB315_1706
; %bb.1705:
	v_and_b32_e32 v3, 0x400000, v4
	v_and_or_b32 v5, 0x3fffff, v4, v5
	s_delay_alu instid0(VALU_DEP_2) | instskip(NEXT) | instid1(VALU_DEP_2)
	v_cmp_ne_u32_e32 vcc_lo, 0, v3
	v_cmp_ne_u32_e64 s1, 0, v5
	v_lshrrev_b32_e32 v3, 23, v4
	s_and_b32 s1, vcc_lo, s1
	s_delay_alu instid0(SALU_CYCLE_1) | instskip(NEXT) | instid1(VALU_DEP_1)
	v_cndmask_b32_e64 v4, 0, 1, s1
	v_add_nc_u32_e32 v3, v3, v4
.LBB315_1706:
	s_or_b32 exec_lo, exec_lo, s21
.LBB315_1707:
	s_mov_b32 s1, 0
.LBB315_1708:
	s_delay_alu instid0(SALU_CYCLE_1)
	s_and_not1_b32 vcc_lo, exec_lo, s1
	s_cbranch_vccnz .LBB315_1712
; %bb.1709:
	s_wait_loadcnt 0x0
	global_load_b32 v3, v[0:1], off
	s_mov_b32 s21, exec_lo
	s_wait_loadcnt 0x0
	v_cvt_f32_f16_e32 v4, v3
	v_mov_b32_e32 v3, 0xff
	s_delay_alu instid0(VALU_DEP_2) | instskip(SKIP_1) | instid1(VALU_DEP_1)
	v_bfe_u32 v5, v4, 23, 8
	s_wait_xcnt 0x0
	v_cmpx_ne_u32_e32 0xff, v5
	s_cbranch_execz .LBB315_1711
; %bb.1710:
	v_and_b32_e32 v3, 0x400000, v4
	v_and_or_b32 v5, 0x3fffff, v4, v5
	s_delay_alu instid0(VALU_DEP_2) | instskip(NEXT) | instid1(VALU_DEP_2)
	v_cmp_ne_u32_e32 vcc_lo, 0, v3
	v_cmp_ne_u32_e64 s1, 0, v5
	v_lshrrev_b32_e32 v3, 23, v4
	s_and_b32 s1, vcc_lo, s1
	s_delay_alu instid0(SALU_CYCLE_1) | instskip(NEXT) | instid1(VALU_DEP_1)
	v_cndmask_b32_e64 v4, 0, 1, s1
	v_add_nc_u32_e32 v3, v3, v4
.LBB315_1711:
	s_or_b32 exec_lo, exec_lo, s21
.LBB315_1712:
	s_cbranch_execnz .LBB315_1729
.LBB315_1713:
	s_sext_i32_i16 s1, s19
	s_delay_alu instid0(SALU_CYCLE_1)
	s_cmp_lt_i32 s1, 6
	s_cbranch_scc1 .LBB315_1718
; %bb.1714:
	s_cmp_gt_i32 s1, 6
	s_cbranch_scc0 .LBB315_1719
; %bb.1715:
	global_load_b64 v[4:5], v[0:1], off
	s_wait_loadcnt 0x1
	v_mov_b32_e32 v3, 0xff
	s_mov_b32 s21, exec_lo
	s_wait_loadcnt 0x0
	v_cvt_f32_f64_e32 v4, v[4:5]
	s_delay_alu instid0(VALU_DEP_1) | instskip(SKIP_1) | instid1(VALU_DEP_1)
	v_bfe_u32 v5, v4, 23, 8
	s_wait_xcnt 0x0
	v_cmpx_ne_u32_e32 0xff, v5
	s_cbranch_execz .LBB315_1717
; %bb.1716:
	v_and_b32_e32 v3, 0x400000, v4
	v_and_or_b32 v5, 0x3fffff, v4, v5
	s_delay_alu instid0(VALU_DEP_2) | instskip(NEXT) | instid1(VALU_DEP_2)
	v_cmp_ne_u32_e32 vcc_lo, 0, v3
	v_cmp_ne_u32_e64 s1, 0, v5
	v_lshrrev_b32_e32 v3, 23, v4
	s_and_b32 s1, vcc_lo, s1
	s_delay_alu instid0(SALU_CYCLE_1) | instskip(NEXT) | instid1(VALU_DEP_1)
	v_cndmask_b32_e64 v4, 0, 1, s1
	v_add_nc_u32_e32 v3, v3, v4
.LBB315_1717:
	s_or_b32 exec_lo, exec_lo, s21
	s_mov_b32 s1, 0
	s_branch .LBB315_1720
.LBB315_1718:
	s_mov_b32 s1, -1
                                        ; implicit-def: $vgpr3
	s_branch .LBB315_1725
.LBB315_1719:
	s_mov_b32 s1, -1
                                        ; implicit-def: $vgpr3
.LBB315_1720:
	s_delay_alu instid0(SALU_CYCLE_1)
	s_and_not1_b32 vcc_lo, exec_lo, s1
	s_cbranch_vccnz .LBB315_1724
; %bb.1721:
	global_load_b32 v4, v[0:1], off
	s_wait_loadcnt 0x1
	v_mov_b32_e32 v3, 0xff
	s_mov_b32 s21, exec_lo
	s_wait_loadcnt 0x0
	v_bfe_u32 v5, v4, 23, 8
	s_wait_xcnt 0x0
	s_delay_alu instid0(VALU_DEP_1)
	v_cmpx_ne_u32_e32 0xff, v5
	s_cbranch_execz .LBB315_1723
; %bb.1722:
	v_and_b32_e32 v3, 0x400000, v4
	v_and_or_b32 v5, 0x3fffff, v4, v5
	s_delay_alu instid0(VALU_DEP_2) | instskip(NEXT) | instid1(VALU_DEP_2)
	v_cmp_ne_u32_e32 vcc_lo, 0, v3
	v_cmp_ne_u32_e64 s1, 0, v5
	v_lshrrev_b32_e32 v3, 23, v4
	s_and_b32 s1, vcc_lo, s1
	s_delay_alu instid0(SALU_CYCLE_1) | instskip(NEXT) | instid1(VALU_DEP_1)
	v_cndmask_b32_e64 v4, 0, 1, s1
	v_add_nc_u32_e32 v3, v3, v4
.LBB315_1723:
	s_or_b32 exec_lo, exec_lo, s21
.LBB315_1724:
	s_mov_b32 s1, 0
.LBB315_1725:
	s_delay_alu instid0(SALU_CYCLE_1)
	s_and_not1_b32 vcc_lo, exec_lo, s1
	s_cbranch_vccnz .LBB315_1729
; %bb.1726:
	s_wait_loadcnt 0x0
	global_load_u16 v3, v[0:1], off
	s_mov_b32 s21, exec_lo
	s_wait_loadcnt 0x0
	v_cvt_f32_f16_e32 v4, v3
	v_mov_b32_e32 v3, 0xff
	s_delay_alu instid0(VALU_DEP_2) | instskip(SKIP_1) | instid1(VALU_DEP_1)
	v_bfe_u32 v5, v4, 23, 8
	s_wait_xcnt 0x0
	v_cmpx_ne_u32_e32 0xff, v5
	s_cbranch_execz .LBB315_1728
; %bb.1727:
	v_and_b32_e32 v3, 0x400000, v4
	v_and_or_b32 v5, 0x3fffff, v4, v5
	s_delay_alu instid0(VALU_DEP_2) | instskip(NEXT) | instid1(VALU_DEP_2)
	v_cmp_ne_u32_e32 vcc_lo, 0, v3
	v_cmp_ne_u32_e64 s1, 0, v5
	v_lshrrev_b32_e32 v3, 23, v4
	s_and_b32 s1, vcc_lo, s1
	s_delay_alu instid0(SALU_CYCLE_1) | instskip(NEXT) | instid1(VALU_DEP_1)
	v_cndmask_b32_e64 v4, 0, 1, s1
	v_add_nc_u32_e32 v3, v3, v4
.LBB315_1728:
	s_or_b32 exec_lo, exec_lo, s21
.LBB315_1729:
	s_cbranch_execnz .LBB315_1758
.LBB315_1730:
	s_sext_i32_i16 s1, s19
	s_delay_alu instid0(SALU_CYCLE_1)
	s_cmp_lt_i32 s1, 2
	s_cbranch_scc1 .LBB315_1736
; %bb.1731:
	s_cmp_lt_i32 s1, 3
	s_cbranch_scc1 .LBB315_1737
; %bb.1732:
	s_cmp_gt_i32 s1, 3
	s_cbranch_scc0 .LBB315_1738
; %bb.1733:
	global_load_b64 v[4:5], v[0:1], off
	s_mov_b32 s21, exec_lo
	s_wait_loadcnt 0x0
	v_xor_b32_e32 v3, v4, v5
	v_cls_i32_e32 v7, v5
	s_delay_alu instid0(VALU_DEP_2) | instskip(NEXT) | instid1(VALU_DEP_1)
	v_ashrrev_i32_e32 v3, 31, v3
	v_add_nc_u32_e32 v3, 32, v3
	s_delay_alu instid0(VALU_DEP_1) | instskip(NEXT) | instid1(VALU_DEP_1)
	v_add_min_u32_e64 v3, v7, -1, v3
	v_lshlrev_b64_e32 v[4:5], v3, v[4:5]
	v_sub_nc_u32_e32 v3, 32, v3
	s_delay_alu instid0(VALU_DEP_2) | instskip(NEXT) | instid1(VALU_DEP_1)
	v_min_u32_e32 v4, 1, v4
	v_or_b32_e32 v4, v5, v4
	s_delay_alu instid0(VALU_DEP_1) | instskip(NEXT) | instid1(VALU_DEP_1)
	v_cvt_f32_i32_e32 v4, v4
	v_ldexp_f32 v4, v4, v3
	v_mov_b32_e32 v3, 0xff
	s_delay_alu instid0(VALU_DEP_2) | instskip(SKIP_1) | instid1(VALU_DEP_1)
	v_bfe_u32 v5, v4, 23, 8
	s_wait_xcnt 0x0
	v_cmpx_ne_u32_e32 0xff, v5
	s_cbranch_execz .LBB315_1735
; %bb.1734:
	v_and_b32_e32 v3, 0x400000, v4
	v_and_or_b32 v5, 0x3fffff, v4, v5
	s_delay_alu instid0(VALU_DEP_2) | instskip(NEXT) | instid1(VALU_DEP_2)
	v_cmp_ne_u32_e32 vcc_lo, 0, v3
	v_cmp_ne_u32_e64 s1, 0, v5
	v_lshrrev_b32_e32 v3, 23, v4
	s_and_b32 s1, vcc_lo, s1
	s_delay_alu instid0(SALU_CYCLE_1) | instskip(NEXT) | instid1(VALU_DEP_1)
	v_cndmask_b32_e64 v4, 0, 1, s1
	v_add_nc_u32_e32 v3, v3, v4
.LBB315_1735:
	s_or_b32 exec_lo, exec_lo, s21
	s_mov_b32 s1, 0
	s_branch .LBB315_1739
.LBB315_1736:
                                        ; implicit-def: $vgpr3
	s_branch .LBB315_1749
.LBB315_1737:
	s_mov_b32 s1, -1
                                        ; implicit-def: $vgpr3
	s_branch .LBB315_1744
.LBB315_1738:
	s_mov_b32 s1, -1
                                        ; implicit-def: $vgpr3
.LBB315_1739:
	s_delay_alu instid0(SALU_CYCLE_1)
	s_and_not1_b32 vcc_lo, exec_lo, s1
	s_cbranch_vccnz .LBB315_1743
; %bb.1740:
	s_wait_loadcnt 0x0
	global_load_b32 v3, v[0:1], off
	s_mov_b32 s21, exec_lo
	s_wait_loadcnt 0x0
	v_cvt_f32_i32_e32 v4, v3
	v_mov_b32_e32 v3, 0xff
	s_delay_alu instid0(VALU_DEP_2) | instskip(SKIP_1) | instid1(VALU_DEP_1)
	v_bfe_u32 v5, v4, 23, 8
	s_wait_xcnt 0x0
	v_cmpx_ne_u32_e32 0xff, v5
	s_cbranch_execz .LBB315_1742
; %bb.1741:
	v_and_b32_e32 v3, 0x400000, v4
	v_and_or_b32 v5, 0x3fffff, v4, v5
	s_delay_alu instid0(VALU_DEP_2) | instskip(NEXT) | instid1(VALU_DEP_2)
	v_cmp_ne_u32_e32 vcc_lo, 0, v3
	v_cmp_ne_u32_e64 s1, 0, v5
	v_lshrrev_b32_e32 v3, 23, v4
	s_and_b32 s1, vcc_lo, s1
	s_delay_alu instid0(SALU_CYCLE_1) | instskip(NEXT) | instid1(VALU_DEP_1)
	v_cndmask_b32_e64 v4, 0, 1, s1
	v_add_nc_u32_e32 v3, v3, v4
.LBB315_1742:
	s_or_b32 exec_lo, exec_lo, s21
.LBB315_1743:
	s_mov_b32 s1, 0
.LBB315_1744:
	s_delay_alu instid0(SALU_CYCLE_1)
	s_and_not1_b32 vcc_lo, exec_lo, s1
	s_cbranch_vccnz .LBB315_1748
; %bb.1745:
	s_wait_loadcnt 0x0
	global_load_i16 v3, v[0:1], off
	s_mov_b32 s21, exec_lo
	s_wait_loadcnt 0x0
	v_cvt_f32_i32_e32 v4, v3
	v_mov_b32_e32 v3, 0xff
	s_delay_alu instid0(VALU_DEP_2) | instskip(SKIP_1) | instid1(VALU_DEP_1)
	v_bfe_u32 v5, v4, 23, 8
	s_wait_xcnt 0x0
	v_cmpx_ne_u32_e32 0xff, v5
	s_cbranch_execz .LBB315_1747
; %bb.1746:
	v_and_b32_e32 v3, 0x400000, v4
	v_and_or_b32 v5, 0x3fffff, v4, v5
	s_delay_alu instid0(VALU_DEP_2) | instskip(NEXT) | instid1(VALU_DEP_2)
	v_cmp_ne_u32_e32 vcc_lo, 0, v3
	v_cmp_ne_u32_e64 s1, 0, v5
	v_lshrrev_b32_e32 v3, 23, v4
	s_and_b32 s1, vcc_lo, s1
	s_delay_alu instid0(SALU_CYCLE_1) | instskip(NEXT) | instid1(VALU_DEP_1)
	v_cndmask_b32_e64 v4, 0, 1, s1
	v_add_nc_u32_e32 v3, v3, v4
.LBB315_1747:
	s_or_b32 exec_lo, exec_lo, s21
.LBB315_1748:
	s_cbranch_execnz .LBB315_1758
.LBB315_1749:
	s_sext_i32_i16 s1, s19
	s_delay_alu instid0(SALU_CYCLE_1)
	s_cmp_gt_i32 s1, 0
	s_cbranch_scc0 .LBB315_1753
; %bb.1750:
	s_wait_loadcnt 0x0
	global_load_i8 v3, v[0:1], off
	s_mov_b32 s19, exec_lo
	s_wait_loadcnt 0x0
	v_cvt_f32_i32_e32 v4, v3
	v_mov_b32_e32 v3, 0xff
	s_delay_alu instid0(VALU_DEP_2) | instskip(SKIP_1) | instid1(VALU_DEP_1)
	v_bfe_u32 v5, v4, 23, 8
	s_wait_xcnt 0x0
	v_cmpx_ne_u32_e32 0xff, v5
	s_cbranch_execz .LBB315_1752
; %bb.1751:
	v_and_b32_e32 v3, 0x400000, v4
	v_and_or_b32 v5, 0x3fffff, v4, v5
	s_delay_alu instid0(VALU_DEP_2) | instskip(NEXT) | instid1(VALU_DEP_2)
	v_cmp_ne_u32_e32 vcc_lo, 0, v3
	v_cmp_ne_u32_e64 s1, 0, v5
	v_lshrrev_b32_e32 v3, 23, v4
	s_and_b32 s1, vcc_lo, s1
	s_delay_alu instid0(SALU_CYCLE_1) | instskip(NEXT) | instid1(VALU_DEP_1)
	v_cndmask_b32_e64 v4, 0, 1, s1
	v_add_nc_u32_e32 v3, v3, v4
.LBB315_1752:
	s_or_b32 exec_lo, exec_lo, s19
	s_mov_b32 s1, 0
	s_branch .LBB315_1754
.LBB315_1753:
	s_mov_b32 s1, -1
                                        ; implicit-def: $vgpr3
.LBB315_1754:
	s_delay_alu instid0(SALU_CYCLE_1)
	s_and_not1_b32 vcc_lo, exec_lo, s1
	s_cbranch_vccnz .LBB315_1758
; %bb.1755:
	global_load_u8 v0, v[0:1], off
	s_mov_b32 s19, exec_lo
	s_wait_loadcnt 0x1
	v_mov_b32_e32 v3, 0xff
	s_wait_loadcnt 0x0
	v_cvt_f32_ubyte0_e32 v1, v0
	s_delay_alu instid0(VALU_DEP_1) | instskip(NEXT) | instid1(VALU_DEP_1)
	v_lshrrev_b32_e32 v0, 23, v1
	v_cmpx_ne_u32_e32 0xff, v0
; %bb.1756:
	v_and_b32_e32 v3, 0x400000, v1
	v_and_or_b32 v1, 0x3fffff, v1, v0
	s_delay_alu instid0(VALU_DEP_2) | instskip(NEXT) | instid1(VALU_DEP_2)
	v_cmp_ne_u32_e32 vcc_lo, 0, v3
	v_cmp_ne_u32_e64 s1, 0, v1
	s_and_b32 s1, vcc_lo, s1
	s_delay_alu instid0(SALU_CYCLE_1) | instskip(NEXT) | instid1(VALU_DEP_1)
	v_cndmask_b32_e64 v1, 0, 1, s1
	v_add_nc_u32_e32 v3, v0, v1
; %bb.1757:
	s_or_b32 exec_lo, exec_lo, s19
.LBB315_1758:
	s_delay_alu instid0(SALU_CYCLE_1)
	s_or_b32 s22, s22, exec_lo
.LBB315_1759:
	s_or_b32 exec_lo, exec_lo, s20
	s_mov_b32 s23, 0
	s_mov_b32 s21, 0
                                        ; implicit-def: $sgpr1
                                        ; implicit-def: $sgpr19
                                        ; implicit-def: $vgpr0_vgpr1
	s_and_saveexec_b32 s20, s22
	s_cbranch_execz .LBB315_1834
; %bb.1760:
	s_wait_loadcnt 0x0
	v_and_b32_e32 v0, 0xff, v2
	v_and_b32_e32 v1, 0xff, v3
	s_and_b32 s19, s3, 0xff
	s_mov_b32 s22, -1
	s_cmp_lt_i32 s19, 11
	s_delay_alu instid0(VALU_DEP_1) | instskip(SKIP_1) | instid1(VALU_DEP_2)
	v_dual_lshlrev_b32 v2, 23, v0 :: v_dual_lshlrev_b32 v3, 23, v1
	v_cmp_ne_u16_e32 vcc_lo, 0xff, v0
	v_cndmask_b32_e32 v2, 0x7f800001, v2, vcc_lo
	v_cmp_ne_u16_e32 vcc_lo, 0xff, v1
	s_delay_alu instid0(VALU_DEP_4)
	v_cndmask_b32_e32 v3, 0x7f800001, v3, vcc_lo
	v_cmp_ne_u16_e32 vcc_lo, 0, v0
	v_mul_lo_u32 v0, v6, s8
	v_cndmask_b32_e32 v2, 0x400000, v2, vcc_lo
	v_cmp_ne_u16_e32 vcc_lo, 0, v1
	v_cndmask_b32_e32 v1, 0x400000, v3, vcc_lo
	s_delay_alu instid0(VALU_DEP_1) | instskip(SKIP_3) | instid1(VALU_DEP_1)
	v_cmp_eq_f32_e32 vcc_lo, v2, v1
	v_cndmask_b32_e64 v3, 0, 1, vcc_lo
	v_cmp_neq_f32_e32 vcc_lo, v2, v1
	v_cndmask_b32_e64 v1, 0, 1, vcc_lo
	v_dual_cndmask_b32 v2, v1, v3, s0 :: v_dual_ashrrev_i32 v1, 31, v0
	s_mov_b32 s0, s18
	s_delay_alu instid0(VALU_DEP_1) | instskip(NEXT) | instid1(VALU_DEP_2)
	v_and_b32_e32 v2, 1, v2
	v_add_nc_u64_e32 v[0:1], s[4:5], v[0:1]
	s_delay_alu instid0(VALU_DEP_2)
	v_cmp_eq_u32_e64 s1, 1, v2
	s_cbranch_scc1 .LBB315_1838
; %bb.1761:
	s_and_b32 s21, 0xffff, s19
	s_mov_b32 s0, s18
	s_cmp_gt_i32 s21, 25
	s_cbranch_scc0 .LBB315_1794
; %bb.1762:
	s_cmp_gt_i32 s21, 28
	s_mov_b32 s0, s18
	s_cbranch_scc0 .LBB315_1778
; %bb.1763:
	s_cmp_gt_i32 s21, 43
	s_mov_b32 s0, s18
	;; [unrolled: 4-line block ×3, first 2 shown]
	s_cbranch_scc0 .LBB315_1768
; %bb.1765:
	s_cmp_eq_u32 s21, 46
	s_mov_b32 s0, -1
	s_cbranch_scc0 .LBB315_1767
; %bb.1766:
	v_cndmask_b32_e64 v2, 0, 1.0, s1
	s_mov_b32 s0, 0
	s_delay_alu instid0(VALU_DEP_1) | instskip(NEXT) | instid1(VALU_DEP_1)
	v_bfe_u32 v3, v2, 16, 1
	v_add3_u32 v2, v2, v3, 0x7fff
	s_delay_alu instid0(VALU_DEP_1)
	v_lshrrev_b32_e32 v2, 16, v2
	global_store_b32 v[0:1], v2, off
.LBB315_1767:
	s_mov_b32 s22, 0
.LBB315_1768:
	s_delay_alu instid0(SALU_CYCLE_1)
	s_and_b32 vcc_lo, exec_lo, s22
	s_cbranch_vccz .LBB315_1773
; %bb.1769:
	s_cmp_eq_u32 s21, 44
	s_mov_b32 s0, -1
	s_cbranch_scc0 .LBB315_1773
; %bb.1770:
	v_cndmask_b32_e64 v4, 0, 1.0, s1
	s_mov_b32 s22, exec_lo
	s_wait_xcnt 0x0
	s_delay_alu instid0(VALU_DEP_1) | instskip(NEXT) | instid1(VALU_DEP_1)
	v_dual_mov_b32 v3, 0xff :: v_dual_lshrrev_b32 v2, 23, v4
	v_cmpx_ne_u32_e32 0xff, v2
; %bb.1771:
	v_and_b32_e32 v3, 0x400000, v4
	v_and_or_b32 v4, 0x3fffff, v4, v2
	s_delay_alu instid0(VALU_DEP_2) | instskip(NEXT) | instid1(VALU_DEP_2)
	v_cmp_ne_u32_e32 vcc_lo, 0, v3
	v_cmp_ne_u32_e64 s0, 0, v4
	s_and_b32 s0, vcc_lo, s0
	s_delay_alu instid0(SALU_CYCLE_1) | instskip(NEXT) | instid1(VALU_DEP_1)
	v_cndmask_b32_e64 v3, 0, 1, s0
	v_add_nc_u32_e32 v3, v2, v3
; %bb.1772:
	s_or_b32 exec_lo, exec_lo, s22
	s_mov_b32 s0, 0
	global_store_b8 v[0:1], v3, off
.LBB315_1773:
	s_mov_b32 s22, 0
.LBB315_1774:
	s_delay_alu instid0(SALU_CYCLE_1)
	s_and_b32 vcc_lo, exec_lo, s22
	s_cbranch_vccz .LBB315_1777
; %bb.1775:
	s_cmp_eq_u32 s21, 29
	s_mov_b32 s0, -1
	s_cbranch_scc0 .LBB315_1777
; %bb.1776:
	s_mov_b32 s0, 0
	s_wait_xcnt 0x0
	v_cndmask_b32_e64 v2, 0, 1, s1
	v_mov_b32_e32 v3, s0
	global_store_b64 v[0:1], v[2:3], off
.LBB315_1777:
	s_mov_b32 s22, 0
.LBB315_1778:
	s_delay_alu instid0(SALU_CYCLE_1)
	s_and_b32 vcc_lo, exec_lo, s22
	s_cbranch_vccz .LBB315_1793
; %bb.1779:
	s_cmp_lt_i32 s21, 27
	s_mov_b32 s22, -1
	s_cbranch_scc1 .LBB315_1785
; %bb.1780:
	s_wait_xcnt 0x0
	v_cndmask_b32_e64 v2, 0, 1, s1
	s_cmp_gt_i32 s21, 27
	s_cbranch_scc0 .LBB315_1782
; %bb.1781:
	s_mov_b32 s22, 0
	global_store_b32 v[0:1], v2, off
.LBB315_1782:
	s_and_not1_b32 vcc_lo, exec_lo, s22
	s_cbranch_vccnz .LBB315_1784
; %bb.1783:
	global_store_b16 v[0:1], v2, off
.LBB315_1784:
	s_mov_b32 s22, 0
.LBB315_1785:
	s_delay_alu instid0(SALU_CYCLE_1)
	s_and_not1_b32 vcc_lo, exec_lo, s22
	s_cbranch_vccnz .LBB315_1793
; %bb.1786:
	s_wait_xcnt 0x0
	v_cndmask_b32_e64 v3, 0, 1.0, s1
	v_mov_b32_e32 v4, 0x80
	s_mov_b32 s22, exec_lo
	s_delay_alu instid0(VALU_DEP_2)
	v_cmpx_gt_u32_e32 0x43800000, v3
	s_cbranch_execz .LBB315_1792
; %bb.1787:
	s_mov_b32 s24, exec_lo
                                        ; implicit-def: $vgpr2
	v_cmpx_lt_u32_e32 0x3bffffff, v3
	s_xor_b32 s24, exec_lo, s24
	s_cbranch_execz .LBB315_1898
; %bb.1788:
	v_bfe_u32 v2, v3, 20, 1
	s_mov_b32 s23, exec_lo
	s_delay_alu instid0(VALU_DEP_1) | instskip(NEXT) | instid1(VALU_DEP_1)
	v_add3_u32 v2, v3, v2, 0x487ffff
                                        ; implicit-def: $vgpr3
	v_lshrrev_b32_e32 v2, 20, v2
	s_and_not1_saveexec_b32 s24, s24
	s_cbranch_execnz .LBB315_1899
.LBB315_1789:
	s_or_b32 exec_lo, exec_lo, s24
	v_mov_b32_e32 v4, 0
	s_and_saveexec_b32 s24, s23
.LBB315_1790:
	v_mov_b32_e32 v4, v2
.LBB315_1791:
	s_or_b32 exec_lo, exec_lo, s24
.LBB315_1792:
	s_delay_alu instid0(SALU_CYCLE_1)
	s_or_b32 exec_lo, exec_lo, s22
	global_store_b8 v[0:1], v4, off
.LBB315_1793:
	s_mov_b32 s22, 0
.LBB315_1794:
	s_delay_alu instid0(SALU_CYCLE_1)
	s_and_b32 vcc_lo, exec_lo, s22
	s_mov_b32 s22, 0
	s_cbranch_vccz .LBB315_1837
; %bb.1795:
	s_cmp_gt_i32 s21, 22
	s_mov_b32 s23, -1
	s_cbranch_scc0 .LBB315_1827
; %bb.1796:
	s_cmp_lt_i32 s21, 24
	s_cbranch_scc1 .LBB315_1816
; %bb.1797:
	s_cmp_gt_i32 s21, 24
	s_cbranch_scc0 .LBB315_1805
; %bb.1798:
	s_wait_xcnt 0x0
	v_cndmask_b32_e64 v3, 0, 1.0, s1
	v_mov_b32_e32 v4, 0x80
	s_mov_b32 s23, exec_lo
	s_delay_alu instid0(VALU_DEP_2)
	v_cmpx_gt_u32_e32 0x47800000, v3
	s_cbranch_execz .LBB315_1804
; %bb.1799:
	s_mov_b32 s24, 0
	s_mov_b32 s25, exec_lo
                                        ; implicit-def: $vgpr2
	v_cmpx_lt_u32_e32 0x37ffffff, v3
	s_xor_b32 s25, exec_lo, s25
	s_cbranch_execz .LBB315_2065
; %bb.1800:
	v_bfe_u32 v2, v3, 21, 1
	s_mov_b32 s24, exec_lo
	s_delay_alu instid0(VALU_DEP_1) | instskip(NEXT) | instid1(VALU_DEP_1)
	v_add3_u32 v2, v3, v2, 0x88fffff
                                        ; implicit-def: $vgpr3
	v_lshrrev_b32_e32 v2, 21, v2
	s_and_not1_saveexec_b32 s25, s25
	s_cbranch_execnz .LBB315_2066
.LBB315_1801:
	s_or_b32 exec_lo, exec_lo, s25
	v_mov_b32_e32 v4, 0
	s_and_saveexec_b32 s25, s24
.LBB315_1802:
	v_mov_b32_e32 v4, v2
.LBB315_1803:
	s_or_b32 exec_lo, exec_lo, s25
.LBB315_1804:
	s_delay_alu instid0(SALU_CYCLE_1)
	s_or_b32 exec_lo, exec_lo, s23
	s_mov_b32 s23, 0
	global_store_b8 v[0:1], v4, off
.LBB315_1805:
	s_and_b32 vcc_lo, exec_lo, s23
	s_cbranch_vccz .LBB315_1815
; %bb.1806:
	s_wait_xcnt 0x0
	v_cndmask_b32_e64 v3, 0, 1.0, s1
	s_mov_b32 s23, exec_lo
                                        ; implicit-def: $vgpr2
	s_delay_alu instid0(VALU_DEP_1)
	v_cmpx_gt_u32_e32 0x43f00000, v3
	s_xor_b32 s23, exec_lo, s23
	s_cbranch_execz .LBB315_1812
; %bb.1807:
	s_mov_b32 s24, exec_lo
                                        ; implicit-def: $vgpr2
	v_cmpx_lt_u32_e32 0x3c7fffff, v3
	s_xor_b32 s24, exec_lo, s24
; %bb.1808:
	v_bfe_u32 v2, v3, 20, 1
	s_delay_alu instid0(VALU_DEP_1) | instskip(NEXT) | instid1(VALU_DEP_1)
	v_add3_u32 v2, v3, v2, 0x407ffff
	v_and_b32_e32 v3, 0xff00000, v2
	v_lshrrev_b32_e32 v2, 20, v2
	s_delay_alu instid0(VALU_DEP_2) | instskip(NEXT) | instid1(VALU_DEP_2)
	v_cmp_ne_u32_e32 vcc_lo, 0x7f00000, v3
                                        ; implicit-def: $vgpr3
	v_cndmask_b32_e32 v2, 0x7e, v2, vcc_lo
; %bb.1809:
	s_and_not1_saveexec_b32 s24, s24
; %bb.1810:
	v_add_f32_e32 v2, 0x46800000, v3
; %bb.1811:
	s_or_b32 exec_lo, exec_lo, s24
                                        ; implicit-def: $vgpr3
.LBB315_1812:
	s_and_not1_saveexec_b32 s23, s23
; %bb.1813:
	v_mov_b32_e32 v2, 0x7f
	v_cmp_lt_u32_e32 vcc_lo, 0x7f800000, v3
	s_delay_alu instid0(VALU_DEP_2)
	v_cndmask_b32_e32 v2, 0x7e, v2, vcc_lo
; %bb.1814:
	s_or_b32 exec_lo, exec_lo, s23
	global_store_b8 v[0:1], v2, off
.LBB315_1815:
	s_mov_b32 s23, 0
.LBB315_1816:
	s_delay_alu instid0(SALU_CYCLE_1)
	s_and_not1_b32 vcc_lo, exec_lo, s23
	s_cbranch_vccnz .LBB315_1826
; %bb.1817:
	s_wait_xcnt 0x0
	v_cndmask_b32_e64 v3, 0, 1.0, s1
	s_mov_b32 s23, exec_lo
                                        ; implicit-def: $vgpr2
	s_delay_alu instid0(VALU_DEP_1)
	v_cmpx_gt_u32_e32 0x47800000, v3
	s_xor_b32 s23, exec_lo, s23
	s_cbranch_execz .LBB315_1823
; %bb.1818:
	s_mov_b32 s24, exec_lo
                                        ; implicit-def: $vgpr2
	v_cmpx_lt_u32_e32 0x387fffff, v3
	s_xor_b32 s24, exec_lo, s24
; %bb.1819:
	v_bfe_u32 v2, v3, 21, 1
	s_delay_alu instid0(VALU_DEP_1) | instskip(NEXT) | instid1(VALU_DEP_1)
	v_add3_u32 v2, v3, v2, 0x80fffff
                                        ; implicit-def: $vgpr3
	v_lshrrev_b32_e32 v2, 21, v2
; %bb.1820:
	s_and_not1_saveexec_b32 s24, s24
; %bb.1821:
	v_add_f32_e32 v2, 0x43000000, v3
; %bb.1822:
	s_or_b32 exec_lo, exec_lo, s24
                                        ; implicit-def: $vgpr3
.LBB315_1823:
	s_and_not1_saveexec_b32 s23, s23
; %bb.1824:
	v_mov_b32_e32 v2, 0x7f
	v_cmp_lt_u32_e32 vcc_lo, 0x7f800000, v3
	s_delay_alu instid0(VALU_DEP_2)
	v_cndmask_b32_e32 v2, 0x7c, v2, vcc_lo
; %bb.1825:
	s_or_b32 exec_lo, exec_lo, s23
	global_store_b8 v[0:1], v2, off
.LBB315_1826:
	s_mov_b32 s23, 0
.LBB315_1827:
	s_delay_alu instid0(SALU_CYCLE_1)
	s_and_not1_b32 vcc_lo, exec_lo, s23
	s_mov_b32 s23, 0
	s_cbranch_vccnz .LBB315_1838
; %bb.1828:
	s_cmp_gt_i32 s21, 14
	s_mov_b32 s23, -1
	s_cbranch_scc0 .LBB315_1832
; %bb.1829:
	s_cmp_eq_u32 s21, 15
	s_mov_b32 s0, -1
	s_cbranch_scc0 .LBB315_1831
; %bb.1830:
	s_wait_xcnt 0x0
	v_cndmask_b32_e64 v2, 0, 1.0, s1
	s_mov_b32 s0, 0
	s_delay_alu instid0(VALU_DEP_1) | instskip(NEXT) | instid1(VALU_DEP_1)
	v_bfe_u32 v3, v2, 16, 1
	v_add3_u32 v2, v2, v3, 0x7fff
	global_store_d16_hi_b16 v[0:1], v2, off
.LBB315_1831:
	s_mov_b32 s23, 0
.LBB315_1832:
	s_delay_alu instid0(SALU_CYCLE_1)
	s_and_b32 vcc_lo, exec_lo, s23
	s_mov_b32 s23, 0
	s_cbranch_vccz .LBB315_1838
; %bb.1833:
	s_cmp_lg_u32 s21, 11
	s_mov_b32 s23, -1
	s_cselect_b32 s21, -1, 0
	s_and_not1_b32 s0, s0, exec_lo
	s_and_b32 s21, s21, exec_lo
	s_delay_alu instid0(SALU_CYCLE_1)
	s_or_b32 s0, s0, s21
	s_branch .LBB315_1838
.LBB315_1834:
	s_or_b32 exec_lo, exec_lo, s20
	s_and_saveexec_b32 s0, s18
	s_cbranch_execnz .LBB315_1839
.LBB315_1835:
	s_or_b32 exec_lo, exec_lo, s0
	s_and_saveexec_b32 s0, s23
	s_delay_alu instid0(SALU_CYCLE_1)
	s_xor_b32 s0, exec_lo, s0
	s_cbranch_execz .LBB315_1840
.LBB315_1836:
	s_wait_loadcnt 0x0
	v_cndmask_b32_e64 v2, 0, 1, s1
	global_store_b8 v[0:1], v2, off
	s_wait_xcnt 0x0
	s_or_b32 exec_lo, exec_lo, s0
	s_and_saveexec_b32 s0, s21
	s_delay_alu instid0(SALU_CYCLE_1)
	s_xor_b32 s0, exec_lo, s0
	s_cbranch_execz .LBB315_1878
	s_branch .LBB315_1841
.LBB315_1837:
	s_mov_b32 s23, 0
.LBB315_1838:
	s_and_not1_b32 s18, s18, exec_lo
	s_and_b32 s0, s0, exec_lo
	s_and_b32 s21, s22, exec_lo
	;; [unrolled: 1-line block ×3, first 2 shown]
	s_or_b32 s18, s18, s0
	s_wait_xcnt 0x0
	s_or_b32 exec_lo, exec_lo, s20
	s_and_saveexec_b32 s0, s18
	s_cbranch_execz .LBB315_1835
.LBB315_1839:
	s_or_b32 s2, s2, exec_lo
	s_and_not1_b32 s23, s23, exec_lo
	s_trap 2
	s_or_b32 exec_lo, exec_lo, s0
	s_and_saveexec_b32 s0, s23
	s_delay_alu instid0(SALU_CYCLE_1)
	s_xor_b32 s0, exec_lo, s0
	s_cbranch_execnz .LBB315_1836
.LBB315_1840:
	s_or_b32 exec_lo, exec_lo, s0
	s_and_saveexec_b32 s0, s21
	s_delay_alu instid0(SALU_CYCLE_1)
	s_xor_b32 s0, exec_lo, s0
	s_cbranch_execz .LBB315_1878
.LBB315_1841:
	s_sext_i32_i16 s20, s19
	s_mov_b32 s18, -1
	s_cmp_lt_i32 s20, 5
	s_cbranch_scc1 .LBB315_1862
; %bb.1842:
	s_cmp_lt_i32 s20, 8
	s_cbranch_scc1 .LBB315_1852
; %bb.1843:
	;; [unrolled: 3-line block ×3, first 2 shown]
	s_cmp_gt_i32 s20, 9
	s_cbranch_scc0 .LBB315_1846
; %bb.1845:
	s_wait_loadcnt 0x0
	v_cndmask_b32_e64 v2, 0, 1, s1
	v_mov_b32_e32 v4, 0
	s_mov_b32 s18, 0
	s_delay_alu instid0(VALU_DEP_2) | instskip(NEXT) | instid1(VALU_DEP_2)
	v_cvt_f64_u32_e32 v[2:3], v2
	v_mov_b32_e32 v5, v4
	global_store_b128 v[0:1], v[2:5], off
.LBB315_1846:
	s_and_not1_b32 vcc_lo, exec_lo, s18
	s_cbranch_vccnz .LBB315_1848
; %bb.1847:
	s_wait_loadcnt 0x0
	v_cndmask_b32_e64 v2, 0, 1.0, s1
	v_mov_b32_e32 v3, 0
	global_store_b64 v[0:1], v[2:3], off
.LBB315_1848:
	s_mov_b32 s18, 0
.LBB315_1849:
	s_delay_alu instid0(SALU_CYCLE_1)
	s_and_not1_b32 vcc_lo, exec_lo, s18
	s_cbranch_vccnz .LBB315_1851
; %bb.1850:
	s_wait_loadcnt 0x0
	v_cndmask_b32_e64 v2, 0, 1.0, s1
	s_delay_alu instid0(VALU_DEP_1) | instskip(NEXT) | instid1(VALU_DEP_1)
	v_cvt_f16_f32_e32 v2, v2
	v_and_b32_e32 v2, 0xffff, v2
	global_store_b32 v[0:1], v2, off
.LBB315_1851:
	s_mov_b32 s18, 0
.LBB315_1852:
	s_delay_alu instid0(SALU_CYCLE_1)
	s_and_not1_b32 vcc_lo, exec_lo, s18
	s_cbranch_vccnz .LBB315_1861
; %bb.1853:
	s_sext_i32_i16 s20, s19
	s_mov_b32 s18, -1
	s_cmp_lt_i32 s20, 6
	s_cbranch_scc1 .LBB315_1859
; %bb.1854:
	s_cmp_gt_i32 s20, 6
	s_cbranch_scc0 .LBB315_1856
; %bb.1855:
	s_wait_loadcnt 0x0
	v_cndmask_b32_e64 v2, 0, 1, s1
	s_mov_b32 s18, 0
	s_delay_alu instid0(VALU_DEP_1)
	v_cvt_f64_u32_e32 v[2:3], v2
	global_store_b64 v[0:1], v[2:3], off
.LBB315_1856:
	s_and_not1_b32 vcc_lo, exec_lo, s18
	s_cbranch_vccnz .LBB315_1858
; %bb.1857:
	s_wait_loadcnt 0x0
	v_cndmask_b32_e64 v2, 0, 1.0, s1
	global_store_b32 v[0:1], v2, off
.LBB315_1858:
	s_mov_b32 s18, 0
.LBB315_1859:
	s_delay_alu instid0(SALU_CYCLE_1)
	s_and_not1_b32 vcc_lo, exec_lo, s18
	s_cbranch_vccnz .LBB315_1861
; %bb.1860:
	s_wait_loadcnt 0x0
	v_cndmask_b32_e64 v2, 0, 1.0, s1
	s_delay_alu instid0(VALU_DEP_1)
	v_cvt_f16_f32_e32 v2, v2
	global_store_b16 v[0:1], v2, off
.LBB315_1861:
	s_mov_b32 s18, 0
.LBB315_1862:
	s_delay_alu instid0(SALU_CYCLE_1)
	s_and_not1_b32 vcc_lo, exec_lo, s18
	s_cbranch_vccnz .LBB315_1878
; %bb.1863:
	s_sext_i32_i16 s20, s19
	s_mov_b32 s18, -1
	s_cmp_lt_i32 s20, 2
	s_cbranch_scc1 .LBB315_1873
; %bb.1864:
	s_cmp_lt_i32 s20, 3
	s_cbranch_scc1 .LBB315_1870
; %bb.1865:
	s_cmp_gt_i32 s20, 3
	s_cbranch_scc0 .LBB315_1867
; %bb.1866:
	s_mov_b32 s18, 0
	s_wait_loadcnt 0x0
	v_cndmask_b32_e64 v2, 0, 1, s1
	v_mov_b32_e32 v3, s18
	global_store_b64 v[0:1], v[2:3], off
.LBB315_1867:
	s_and_not1_b32 vcc_lo, exec_lo, s18
	s_cbranch_vccnz .LBB315_1869
; %bb.1868:
	s_wait_loadcnt 0x0
	v_cndmask_b32_e64 v2, 0, 1, s1
	global_store_b32 v[0:1], v2, off
.LBB315_1869:
	s_mov_b32 s18, 0
.LBB315_1870:
	s_delay_alu instid0(SALU_CYCLE_1)
	s_and_not1_b32 vcc_lo, exec_lo, s18
	s_cbranch_vccnz .LBB315_1872
; %bb.1871:
	s_wait_loadcnt 0x0
	v_cndmask_b32_e64 v2, 0, 1, s1
	global_store_b16 v[0:1], v2, off
.LBB315_1872:
	s_mov_b32 s18, 0
.LBB315_1873:
	s_delay_alu instid0(SALU_CYCLE_1)
	s_and_not1_b32 vcc_lo, exec_lo, s18
	s_cbranch_vccnz .LBB315_1878
; %bb.1874:
	s_wait_loadcnt 0x0
	v_cndmask_b32_e64 v2, 0, 1, s1
	s_sext_i32_i16 s18, s19
	s_mov_b32 s1, -1
	s_cmp_gt_i32 s18, 0
	s_cbranch_scc0 .LBB315_1876
; %bb.1875:
	s_mov_b32 s1, 0
	global_store_b8 v[0:1], v2, off
.LBB315_1876:
	s_and_not1_b32 vcc_lo, exec_lo, s1
	s_cbranch_vccnz .LBB315_1878
; %bb.1877:
	global_store_b8 v[0:1], v2, off
.LBB315_1878:
	s_wait_xcnt 0x0
	s_or_b32 exec_lo, exec_lo, s0
	s_delay_alu instid0(SALU_CYCLE_1)
	s_and_b32 s18, s2, exec_lo
                                        ; implicit-def: $vgpr6
.LBB315_1879:
	s_or_saveexec_b32 s17, s17
	s_mov_b32 s0, 0
                                        ; implicit-def: $sgpr1
                                        ; implicit-def: $sgpr19
                                        ; implicit-def: $vgpr0_vgpr1
	s_xor_b32 exec_lo, exec_lo, s17
	s_cbranch_execz .LBB315_1889
; %bb.1880:
	v_mul_lo_u32 v0, s9, v6
	s_and_b32 s1, s16, 0xff
	s_delay_alu instid0(SALU_CYCLE_1) | instskip(NEXT) | instid1(VALU_DEP_1)
	s_cmp_lt_i32 s1, 11
	v_ashrrev_i32_e32 v1, 31, v0
	s_wait_loadcnt 0x0
	s_delay_alu instid0(VALU_DEP_1)
	v_add_nc_u64_e32 v[2:3], s[6:7], v[0:1]
	s_cbranch_scc1 .LBB315_1892
; %bb.1881:
	s_and_b32 s2, 0xffff, s1
	s_mov_b32 s16, 0
	s_cmp_gt_i32 s2, 25
	s_cbranch_scc0 .LBB315_1894
; %bb.1882:
	s_cmp_gt_i32 s2, 28
	s_cbranch_scc0 .LBB315_1895
; %bb.1883:
	;; [unrolled: 3-line block ×4, first 2 shown]
	s_cmp_eq_u32 s2, 46
	s_mov_b32 s19, 0
	s_cbranch_scc0 .LBB315_1900
; %bb.1886:
	global_load_b32 v1, v[2:3], off
	s_mov_b32 s15, exec_lo
	s_wait_loadcnt 0x0
	v_dual_mov_b32 v7, 0xff :: v_dual_lshlrev_b32 v4, 16, v1
	s_delay_alu instid0(VALU_DEP_1) | instskip(SKIP_1) | instid1(VALU_DEP_1)
	v_bfe_u32 v5, v4, 23, 8
	s_wait_xcnt 0x0
	v_cmpx_ne_u32_e32 0xff, v5
	s_cbranch_execz .LBB315_1888
; %bb.1887:
	v_and_b32_e32 v7, 64, v1
	v_and_or_b32 v4, 0x3f0000, v4, v5
	v_bfe_u32 v1, v1, 7, 9
	s_delay_alu instid0(VALU_DEP_3) | instskip(NEXT) | instid1(VALU_DEP_3)
	v_cmp_ne_u32_e32 vcc_lo, 0, v7
	v_cmp_ne_u32_e64 s0, 0, v4
	s_and_b32 s0, vcc_lo, s0
	s_delay_alu instid0(SALU_CYCLE_1) | instskip(NEXT) | instid1(VALU_DEP_1)
	v_cndmask_b32_e64 v4, 0, 1, s0
	v_add_nc_u32_e32 v7, v1, v4
.LBB315_1888:
	s_or_b32 exec_lo, exec_lo, s15
	s_mov_b32 s15, 0
	s_mov_b32 s0, -1
	s_branch .LBB315_1902
.LBB315_1889:
	s_or_b32 exec_lo, exec_lo, s17
	s_and_saveexec_b32 s2, s18
	s_cbranch_execz .LBB315_3692
.LBB315_1890:
	; divergent unreachable
	s_or_b32 exec_lo, exec_lo, s2
	s_and_saveexec_b32 s2, s15
	s_delay_alu instid0(SALU_CYCLE_1)
	s_xor_b32 s2, exec_lo, s2
	s_cbranch_execnz .LBB315_3693
.LBB315_1891:
	s_or_b32 exec_lo, exec_lo, s2
	s_and_saveexec_b32 s2, s0
	s_cbranch_execnz .LBB315_3694
	s_branch .LBB315_3731
.LBB315_1892:
	s_mov_b32 s15, s18
                                        ; implicit-def: $vgpr7
	s_cbranch_execnz .LBB315_1982
.LBB315_1893:
	s_and_not1_b32 vcc_lo, exec_lo, s0
	s_cbranch_vccz .LBB315_2049
	s_branch .LBB315_3690
.LBB315_1894:
                                        ; implicit-def: $vgpr7
	s_cbranch_execnz .LBB315_1939
	s_branch .LBB315_1976
.LBB315_1895:
                                        ; implicit-def: $vgpr7
	s_cbranch_execz .LBB315_1938
	s_branch .LBB315_1913
.LBB315_1896:
                                        ; implicit-def: $vgpr7
	s_cbranch_execnz .LBB315_1907
	s_branch .LBB315_1912
.LBB315_1897:
	s_mov_b32 s19, -1
	s_branch .LBB315_1901
.LBB315_1898:
	s_and_not1_saveexec_b32 s24, s24
	s_cbranch_execz .LBB315_1789
.LBB315_1899:
	v_add_f32_e32 v2, 0x46000000, v3
	s_and_not1_b32 s23, s23, exec_lo
	s_delay_alu instid0(VALU_DEP_1) | instskip(NEXT) | instid1(VALU_DEP_1)
	v_and_b32_e32 v2, 0xff, v2
	v_cmp_ne_u32_e32 vcc_lo, 0, v2
	s_and_b32 s25, vcc_lo, exec_lo
	s_delay_alu instid0(SALU_CYCLE_1)
	s_or_b32 s23, s23, s25
	s_or_b32 exec_lo, exec_lo, s24
	v_mov_b32_e32 v4, 0
	s_and_saveexec_b32 s24, s23
	s_cbranch_execnz .LBB315_1790
	s_branch .LBB315_1791
.LBB315_1900:
	s_mov_b32 s15, -1
.LBB315_1901:
                                        ; implicit-def: $vgpr7
.LBB315_1902:
	s_and_b32 vcc_lo, exec_lo, s19
	s_cbranch_vccz .LBB315_1905
; %bb.1903:
	s_cmp_eq_u32 s2, 44
	s_cbranch_scc0 .LBB315_1906
; %bb.1904:
	global_load_u8 v7, v[2:3], off
	s_mov_b32 s15, 0
	s_mov_b32 s0, -1
.LBB315_1905:
	s_branch .LBB315_1912
.LBB315_1906:
	s_mov_b32 s15, -1
                                        ; implicit-def: $vgpr7
	s_branch .LBB315_1912
.LBB315_1907:
	s_cmp_eq_u32 s2, 29
	s_cbranch_scc0 .LBB315_1911
; %bb.1908:
	global_load_b64 v[4:5], v[2:3], off
	s_wait_loadcnt 0x1
	v_mov_b32_e32 v7, 0xff
	s_mov_b32 s15, exec_lo
	s_wait_loadcnt 0x0
	v_clz_i32_u32_e32 v1, v5
	s_delay_alu instid0(VALU_DEP_1) | instskip(NEXT) | instid1(VALU_DEP_1)
	v_min_u32_e32 v1, 32, v1
	v_lshlrev_b64_e32 v[4:5], v1, v[4:5]
	v_sub_nc_u32_e32 v1, 32, v1
	s_delay_alu instid0(VALU_DEP_2) | instskip(NEXT) | instid1(VALU_DEP_1)
	v_min_u32_e32 v4, 1, v4
	v_or_b32_e32 v4, v5, v4
	s_delay_alu instid0(VALU_DEP_1) | instskip(NEXT) | instid1(VALU_DEP_1)
	v_cvt_f32_u32_e32 v4, v4
	v_ldexp_f32 v4, v4, v1
	s_delay_alu instid0(VALU_DEP_1) | instskip(SKIP_1) | instid1(VALU_DEP_1)
	v_lshrrev_b32_e32 v1, 23, v4
	s_wait_xcnt 0x0
	v_cmpx_ne_u32_e32 0xff, v1
; %bb.1909:
	v_and_b32_e32 v5, 0x400000, v4
	v_and_or_b32 v4, 0x3fffff, v4, v1
	s_delay_alu instid0(VALU_DEP_2) | instskip(NEXT) | instid1(VALU_DEP_2)
	v_cmp_ne_u32_e32 vcc_lo, 0, v5
	v_cmp_ne_u32_e64 s0, 0, v4
	s_and_b32 s0, vcc_lo, s0
	s_delay_alu instid0(SALU_CYCLE_1) | instskip(NEXT) | instid1(VALU_DEP_1)
	v_cndmask_b32_e64 v4, 0, 1, s0
	v_add_nc_u32_e32 v7, v1, v4
; %bb.1910:
	s_or_b32 exec_lo, exec_lo, s15
	s_mov_b32 s15, 0
	s_mov_b32 s0, -1
	s_branch .LBB315_1912
.LBB315_1911:
	s_mov_b32 s15, -1
                                        ; implicit-def: $vgpr7
.LBB315_1912:
	s_branch .LBB315_1938
.LBB315_1913:
	s_cmp_lt_i32 s2, 27
	s_cbranch_scc1 .LBB315_1918
; %bb.1914:
	s_cmp_gt_i32 s2, 27
	s_cbranch_scc0 .LBB315_1919
; %bb.1915:
	global_load_b32 v1, v[2:3], off
	s_wait_loadcnt 0x1
	v_mov_b32_e32 v7, 0xff
	s_mov_b32 s19, exec_lo
	s_wait_loadcnt 0x0
	v_cvt_f32_u32_e32 v4, v1
	s_delay_alu instid0(VALU_DEP_1) | instskip(SKIP_1) | instid1(VALU_DEP_1)
	v_lshrrev_b32_e32 v1, 23, v4
	s_wait_xcnt 0x0
	v_cmpx_ne_u32_e32 0xff, v1
; %bb.1916:
	v_and_b32_e32 v5, 0x400000, v4
	v_and_or_b32 v4, 0x3fffff, v4, v1
	s_delay_alu instid0(VALU_DEP_2) | instskip(NEXT) | instid1(VALU_DEP_2)
	v_cmp_ne_u32_e32 vcc_lo, 0, v5
	v_cmp_ne_u32_e64 s0, 0, v4
	s_and_b32 s0, vcc_lo, s0
	s_delay_alu instid0(SALU_CYCLE_1) | instskip(NEXT) | instid1(VALU_DEP_1)
	v_cndmask_b32_e64 v4, 0, 1, s0
	v_add_nc_u32_e32 v7, v1, v4
; %bb.1917:
	s_or_b32 exec_lo, exec_lo, s19
	s_mov_b32 s0, 0
	s_branch .LBB315_1920
.LBB315_1918:
	s_mov_b32 s0, -1
                                        ; implicit-def: $vgpr7
	s_branch .LBB315_1925
.LBB315_1919:
	s_mov_b32 s0, -1
                                        ; implicit-def: $vgpr7
.LBB315_1920:
	s_delay_alu instid0(SALU_CYCLE_1)
	s_and_not1_b32 vcc_lo, exec_lo, s0
	s_cbranch_vccnz .LBB315_1924
; %bb.1921:
	global_load_u16 v1, v[2:3], off
	s_wait_loadcnt 0x1
	v_mov_b32_e32 v7, 0xff
	s_mov_b32 s19, exec_lo
	s_wait_loadcnt 0x0
	v_cvt_f32_u32_e32 v4, v1
	s_delay_alu instid0(VALU_DEP_1) | instskip(SKIP_1) | instid1(VALU_DEP_1)
	v_lshrrev_b32_e32 v1, 23, v4
	s_wait_xcnt 0x0
	v_cmpx_ne_u32_e32 0xff, v1
; %bb.1922:
	v_and_b32_e32 v5, 0x400000, v4
	v_and_or_b32 v4, 0x3fffff, v4, v1
	s_delay_alu instid0(VALU_DEP_2) | instskip(NEXT) | instid1(VALU_DEP_2)
	v_cmp_ne_u32_e32 vcc_lo, 0, v5
	v_cmp_ne_u32_e64 s0, 0, v4
	s_and_b32 s0, vcc_lo, s0
	s_delay_alu instid0(SALU_CYCLE_1) | instskip(NEXT) | instid1(VALU_DEP_1)
	v_cndmask_b32_e64 v4, 0, 1, s0
	v_add_nc_u32_e32 v7, v1, v4
; %bb.1923:
	s_or_b32 exec_lo, exec_lo, s19
.LBB315_1924:
	s_mov_b32 s0, 0
.LBB315_1925:
	s_delay_alu instid0(SALU_CYCLE_1)
	s_and_not1_b32 vcc_lo, exec_lo, s0
	s_cbranch_vccnz .LBB315_1937
; %bb.1926:
	global_load_u8 v1, v[2:3], off
	s_mov_b32 s0, 0
	s_mov_b32 s19, exec_lo
	s_wait_loadcnt 0x0
	v_cmpx_lt_i16_e32 0x7f, v1
	s_xor_b32 s19, exec_lo, s19
	s_cbranch_execz .LBB315_1930
; %bb.1927:
	s_mov_b32 s0, -1
	s_mov_b32 s20, exec_lo
	v_cmpx_eq_u16_e32 0x80, v1
; %bb.1928:
	s_xor_b32 s0, exec_lo, -1
; %bb.1929:
	s_or_b32 exec_lo, exec_lo, s20
	s_delay_alu instid0(SALU_CYCLE_1)
	s_and_b32 s0, s0, exec_lo
.LBB315_1930:
	s_or_saveexec_b32 s19, s19
	v_mov_b32_e32 v4, 0x7f800001
	v_and_b32_e32 v5, 0xffff, v1
	s_xor_b32 exec_lo, exec_lo, s19
; %bb.1931:
	v_cmp_ne_u16_e32 vcc_lo, 0, v1
	s_delay_alu instid0(VALU_DEP_2) | instskip(SKIP_2) | instid1(SALU_CYCLE_1)
	v_mov_b32_e32 v4, v5
	s_and_not1_b32 s0, s0, exec_lo
	s_and_b32 s20, vcc_lo, exec_lo
	s_or_b32 s0, s0, s20
; %bb.1932:
	s_or_b32 exec_lo, exec_lo, s19
	s_and_saveexec_b32 s19, s0
	s_cbranch_execz .LBB315_1934
; %bb.1933:
	v_and_b32_e32 v1, 7, v5
	s_delay_alu instid0(VALU_DEP_1) | instskip(NEXT) | instid1(VALU_DEP_1)
	v_clz_i32_u32_e32 v4, v1
	v_min_u32_e32 v4, 32, v4
	s_delay_alu instid0(VALU_DEP_1) | instskip(NEXT) | instid1(VALU_DEP_1)
	v_subrev_nc_u32_e32 v7, 28, v4
	v_lshlrev_b32_e32 v7, v7, v5
	v_bfe_u32 v5, v5, 3, 4
	s_delay_alu instid0(VALU_DEP_2) | instskip(NEXT) | instid1(VALU_DEP_2)
	v_dual_sub_nc_u32 v4, 29, v4 :: v_dual_bitop2_b32 v7, 7, v7 bitop3:0x40
	v_cmp_eq_u32_e32 vcc_lo, 0, v5
	s_delay_alu instid0(VALU_DEP_2) | instskip(NEXT) | instid1(VALU_DEP_1)
	v_cndmask_b32_e32 v1, v1, v7, vcc_lo
	v_dual_cndmask_b32 v4, v5, v4 :: v_dual_lshlrev_b32 v1, 20, v1
	s_delay_alu instid0(VALU_DEP_1) | instskip(NEXT) | instid1(VALU_DEP_1)
	v_lshl_or_b32 v1, v4, 23, v1
	v_add_nc_u32_e32 v4, 0x3b800000, v1
.LBB315_1934:
	s_or_b32 exec_lo, exec_lo, s19
	s_delay_alu instid0(VALU_DEP_1) | instskip(SKIP_2) | instid1(VALU_DEP_2)
	v_lshrrev_b32_e32 v1, 23, v4
	v_mov_b32_e32 v7, 0xff
	s_mov_b32 s19, exec_lo
	v_cmpx_ne_u32_e32 0xff, v1
; %bb.1935:
	v_and_b32_e32 v5, 0x400000, v4
	v_and_or_b32 v4, 0x3fffff, v4, v1
	s_delay_alu instid0(VALU_DEP_2) | instskip(NEXT) | instid1(VALU_DEP_2)
	v_cmp_ne_u32_e32 vcc_lo, 0, v5
	v_cmp_ne_u32_e64 s0, 0, v4
	s_and_b32 s0, vcc_lo, s0
	s_delay_alu instid0(SALU_CYCLE_1) | instskip(NEXT) | instid1(VALU_DEP_1)
	v_cndmask_b32_e64 v4, 0, 1, s0
	v_add_nc_u32_e32 v7, v1, v4
; %bb.1936:
	s_or_b32 exec_lo, exec_lo, s19
.LBB315_1937:
	s_mov_b32 s0, -1
.LBB315_1938:
	s_branch .LBB315_1976
.LBB315_1939:
	s_cmp_gt_i32 s2, 22
	s_cbranch_scc0 .LBB315_1953
; %bb.1940:
	s_cmp_lt_i32 s2, 24
	s_cbranch_scc1 .LBB315_1954
; %bb.1941:
	s_cmp_gt_i32 s2, 24
	s_cbranch_scc0 .LBB315_1955
; %bb.1942:
	global_load_u8 v1, v[2:3], off
	s_mov_b32 s0, 0
	s_mov_b32 s16, exec_lo
	s_wait_loadcnt 0x0
	v_cmpx_lt_i16_e32 0x7f, v1
	s_xor_b32 s16, exec_lo, s16
	s_cbranch_execz .LBB315_1946
; %bb.1943:
	s_mov_b32 s0, -1
	s_mov_b32 s19, exec_lo
	v_cmpx_eq_u16_e32 0x80, v1
; %bb.1944:
	s_xor_b32 s0, exec_lo, -1
; %bb.1945:
	s_or_b32 exec_lo, exec_lo, s19
	s_delay_alu instid0(SALU_CYCLE_1)
	s_and_b32 s0, s0, exec_lo
.LBB315_1946:
	s_or_saveexec_b32 s16, s16
	v_mov_b32_e32 v4, 0x7f800001
	v_and_b32_e32 v5, 0xffff, v1
	s_xor_b32 exec_lo, exec_lo, s16
; %bb.1947:
	v_cmp_ne_u16_e32 vcc_lo, 0, v1
	s_delay_alu instid0(VALU_DEP_2) | instskip(SKIP_2) | instid1(SALU_CYCLE_1)
	v_mov_b32_e32 v4, v5
	s_and_not1_b32 s0, s0, exec_lo
	s_and_b32 s19, vcc_lo, exec_lo
	s_or_b32 s0, s0, s19
; %bb.1948:
	s_or_b32 exec_lo, exec_lo, s16
	s_and_saveexec_b32 s16, s0
	s_cbranch_execz .LBB315_1950
; %bb.1949:
	v_and_b32_e32 v1, 3, v5
	s_delay_alu instid0(VALU_DEP_1) | instskip(NEXT) | instid1(VALU_DEP_1)
	v_clz_i32_u32_e32 v4, v1
	v_min_u32_e32 v4, 32, v4
	s_delay_alu instid0(VALU_DEP_1) | instskip(NEXT) | instid1(VALU_DEP_1)
	v_subrev_nc_u32_e32 v7, 29, v4
	v_lshlrev_b32_e32 v7, v7, v5
	v_bfe_u32 v5, v5, 2, 5
	s_delay_alu instid0(VALU_DEP_2) | instskip(NEXT) | instid1(VALU_DEP_2)
	v_dual_sub_nc_u32 v4, 30, v4 :: v_dual_bitop2_b32 v7, 3, v7 bitop3:0x40
	v_cmp_eq_u32_e32 vcc_lo, 0, v5
	s_delay_alu instid0(VALU_DEP_2) | instskip(NEXT) | instid1(VALU_DEP_1)
	v_cndmask_b32_e32 v1, v1, v7, vcc_lo
	v_dual_cndmask_b32 v4, v5, v4 :: v_dual_lshlrev_b32 v1, 21, v1
	s_delay_alu instid0(VALU_DEP_1) | instskip(NEXT) | instid1(VALU_DEP_1)
	v_lshl_or_b32 v1, v4, 23, v1
	v_add_nc_u32_e32 v4, 0x37800000, v1
.LBB315_1950:
	s_or_b32 exec_lo, exec_lo, s16
	s_delay_alu instid0(VALU_DEP_1) | instskip(SKIP_2) | instid1(VALU_DEP_2)
	v_lshrrev_b32_e32 v1, 23, v4
	v_mov_b32_e32 v7, 0xff
	s_mov_b32 s16, exec_lo
	v_cmpx_ne_u32_e32 0xff, v1
; %bb.1951:
	v_and_b32_e32 v5, 0x400000, v4
	v_and_or_b32 v4, 0x3fffff, v4, v1
	s_delay_alu instid0(VALU_DEP_2) | instskip(NEXT) | instid1(VALU_DEP_2)
	v_cmp_ne_u32_e32 vcc_lo, 0, v5
	v_cmp_ne_u32_e64 s0, 0, v4
	s_and_b32 s0, vcc_lo, s0
	s_delay_alu instid0(SALU_CYCLE_1) | instskip(NEXT) | instid1(VALU_DEP_1)
	v_cndmask_b32_e64 v4, 0, 1, s0
	v_add_nc_u32_e32 v7, v1, v4
; %bb.1952:
	s_or_b32 exec_lo, exec_lo, s16
	s_mov_b32 s0, 0
	s_branch .LBB315_1956
.LBB315_1953:
                                        ; implicit-def: $vgpr7
	s_mov_b32 s16, 0
	s_branch .LBB315_1966
.LBB315_1954:
	s_mov_b32 s0, -1
                                        ; implicit-def: $vgpr7
	s_branch .LBB315_1961
.LBB315_1955:
	s_mov_b32 s0, -1
                                        ; implicit-def: $vgpr7
.LBB315_1956:
	s_delay_alu instid0(SALU_CYCLE_1)
	s_and_b32 vcc_lo, exec_lo, s0
	s_cbranch_vccz .LBB315_1960
; %bb.1957:
	global_load_u8 v1, v[2:3], off
	s_mov_b32 s16, exec_lo
	s_wait_loadcnt 0x0
	v_lshlrev_b32_e32 v1, 24, v1
	s_delay_alu instid0(VALU_DEP_1) | instskip(NEXT) | instid1(VALU_DEP_1)
	v_and_b32_e32 v1, 0x7f000000, v1
	v_clz_i32_u32_e32 v4, v1
	v_cmp_ne_u32_e32 vcc_lo, 0, v1
	v_add_nc_u32_e32 v7, 0x1000000, v1
	s_delay_alu instid0(VALU_DEP_3) | instskip(NEXT) | instid1(VALU_DEP_1)
	v_min_u32_e32 v4, 32, v4
	v_sub_nc_u32_e64 v4, v4, 4 clamp
	s_delay_alu instid0(VALU_DEP_1) | instskip(NEXT) | instid1(VALU_DEP_1)
	v_dual_lshlrev_b32 v5, v4, v1 :: v_dual_lshlrev_b32 v4, 23, v4
	v_lshrrev_b32_e32 v5, 4, v5
	s_delay_alu instid0(VALU_DEP_1) | instskip(SKIP_1) | instid1(VALU_DEP_2)
	v_dual_sub_nc_u32 v4, v5, v4 :: v_dual_ashrrev_i32 v5, 8, v7
	v_mov_b32_e32 v7, 0xff
	v_add_nc_u32_e32 v4, 0x3c000000, v4
	s_delay_alu instid0(VALU_DEP_1) | instskip(NEXT) | instid1(VALU_DEP_1)
	v_and_or_b32 v4, 0x7f800000, v5, v4
	v_cndmask_b32_e32 v4, 0, v4, vcc_lo
	s_delay_alu instid0(VALU_DEP_1) | instskip(SKIP_1) | instid1(VALU_DEP_1)
	v_lshrrev_b32_e32 v1, 23, v4
	s_wait_xcnt 0x0
	v_cmpx_ne_u32_e32 0xff, v1
; %bb.1958:
	v_and_b32_e32 v5, 0x400000, v4
	v_and_or_b32 v4, 0x3fffff, v4, v1
	s_delay_alu instid0(VALU_DEP_2) | instskip(NEXT) | instid1(VALU_DEP_2)
	v_cmp_ne_u32_e32 vcc_lo, 0, v5
	v_cmp_ne_u32_e64 s0, 0, v4
	s_and_b32 s0, vcc_lo, s0
	s_delay_alu instid0(SALU_CYCLE_1) | instskip(NEXT) | instid1(VALU_DEP_1)
	v_cndmask_b32_e64 v4, 0, 1, s0
	v_add_nc_u32_e32 v7, v1, v4
; %bb.1959:
	s_or_b32 exec_lo, exec_lo, s16
.LBB315_1960:
	s_mov_b32 s0, 0
.LBB315_1961:
	s_delay_alu instid0(SALU_CYCLE_1)
	s_and_not1_b32 vcc_lo, exec_lo, s0
	s_cbranch_vccnz .LBB315_1965
; %bb.1962:
	global_load_u8 v1, v[2:3], off
	s_wait_loadcnt 0x1
	v_mov_b32_e32 v7, 0xff
	s_mov_b32 s16, exec_lo
	s_wait_loadcnt 0x0
	v_dual_lshlrev_b32 v4, 25, v1 :: v_dual_lshlrev_b32 v1, 8, v1
	s_delay_alu instid0(VALU_DEP_1) | instskip(NEXT) | instid1(VALU_DEP_2)
	v_cmp_gt_u32_e32 vcc_lo, 0x8000000, v4
	v_and_or_b32 v1, 0x7f00, v1, 0.5
	s_delay_alu instid0(VALU_DEP_1) | instskip(NEXT) | instid1(VALU_DEP_1)
	v_dual_lshrrev_b32 v5, 4, v4 :: v_dual_add_f32 v1, -0.5, v1
	v_or_b32_e32 v5, 0x70000000, v5
	s_delay_alu instid0(VALU_DEP_1) | instskip(NEXT) | instid1(VALU_DEP_1)
	v_mul_f32_e32 v5, 0x7800000, v5
	v_cndmask_b32_e32 v1, v5, v1, vcc_lo
	s_delay_alu instid0(VALU_DEP_1) | instskip(SKIP_1) | instid1(VALU_DEP_1)
	v_bfe_u32 v4, v1, 23, 8
	s_wait_xcnt 0x0
	v_cmpx_ne_u32_e32 0xff, v4
	s_cbranch_execz .LBB315_1964
; %bb.1963:
	v_and_b32_e32 v5, 0x400000, v1
	v_and_or_b32 v4, 0x3fffff, v1, v4
	v_lshrrev_b32_e32 v1, 23, v1
	s_delay_alu instid0(VALU_DEP_3) | instskip(NEXT) | instid1(VALU_DEP_3)
	v_cmp_ne_u32_e32 vcc_lo, 0, v5
	v_cmp_ne_u32_e64 s0, 0, v4
	s_and_b32 s0, vcc_lo, s0
	s_delay_alu instid0(SALU_CYCLE_1) | instskip(NEXT) | instid1(VALU_DEP_1)
	v_cndmask_b32_e64 v4, 0, 1, s0
	v_add_nc_u32_e32 v7, v1, v4
.LBB315_1964:
	s_or_b32 exec_lo, exec_lo, s16
.LBB315_1965:
	s_mov_b32 s0, -1
	s_mov_b32 s16, 0
	s_cbranch_execnz .LBB315_1976
.LBB315_1966:
	s_cmp_gt_i32 s2, 14
	s_cbranch_scc0 .LBB315_1971
; %bb.1967:
	s_cmp_eq_u32 s2, 15
	s_cbranch_scc0 .LBB315_1972
; %bb.1968:
	global_load_u16 v1, v[2:3], off
	s_wait_loadcnt 0x1
	v_mov_b32_e32 v7, 0xff
	s_mov_b32 s15, exec_lo
	s_wait_loadcnt 0x0
	v_bfe_u32 v4, v1, 7, 8
	s_wait_xcnt 0x0
	s_delay_alu instid0(VALU_DEP_1)
	v_cmpx_ne_u32_e32 0xff, v4
	s_cbranch_execz .LBB315_1970
; %bb.1969:
	v_dual_lshlrev_b32 v5, 16, v1 :: v_dual_bitop2_b32 v7, 64, v1 bitop3:0x40
	v_lshrrev_b32_e32 v1, 7, v1
	s_delay_alu instid0(VALU_DEP_2) | instskip(NEXT) | instid1(VALU_DEP_3)
	v_and_or_b32 v4, 0x3f0000, v5, v4
	v_cmp_ne_u32_e32 vcc_lo, 0, v7
	s_delay_alu instid0(VALU_DEP_2) | instskip(SKIP_1) | instid1(SALU_CYCLE_1)
	v_cmp_ne_u32_e64 s0, 0, v4
	s_and_b32 s0, vcc_lo, s0
	v_cndmask_b32_e64 v4, 0, 1, s0
	s_delay_alu instid0(VALU_DEP_1)
	v_add_nc_u32_e32 v7, v1, v4
.LBB315_1970:
	s_or_b32 exec_lo, exec_lo, s15
	s_mov_b32 s15, 0
	s_mov_b32 s0, -1
	s_branch .LBB315_1974
.LBB315_1971:
	s_mov_b32 s16, -1
	s_branch .LBB315_1973
.LBB315_1972:
	s_mov_b32 s15, -1
.LBB315_1973:
                                        ; implicit-def: $vgpr7
.LBB315_1974:
	s_and_b32 vcc_lo, exec_lo, s16
	s_mov_b32 s16, 0
	s_cbranch_vccz .LBB315_1976
; %bb.1975:
	s_cmp_lg_u32 s2, 11
	s_mov_b32 s16, -1
	s_cselect_b32 s15, -1, 0
.LBB315_1976:
	s_delay_alu instid0(SALU_CYCLE_1)
	s_and_b32 vcc_lo, exec_lo, s15
	s_mov_b32 s15, s18
	s_cbranch_vccnz .LBB315_2063
; %bb.1977:
	s_and_not1_b32 vcc_lo, exec_lo, s16
	s_cbranch_vccnz .LBB315_1981
.LBB315_1978:
	global_load_u8 v1, v[2:3], off
	s_wait_loadcnt 0x1
	v_mov_b32_e32 v7, 0xff
	s_mov_b32 s2, exec_lo
	s_wait_loadcnt 0x0
	v_cmp_ne_u16_e32 vcc_lo, 0, v1
	v_cndmask_b32_e64 v4, 0, 1.0, vcc_lo
	s_delay_alu instid0(VALU_DEP_1) | instskip(SKIP_1) | instid1(VALU_DEP_1)
	v_lshrrev_b32_e32 v1, 23, v4
	s_wait_xcnt 0x0
	v_cmpx_ne_u32_e32 0xff, v1
; %bb.1979:
	v_and_b32_e32 v5, 0x400000, v4
	v_and_or_b32 v4, 0x3fffff, v4, v1
	s_delay_alu instid0(VALU_DEP_2) | instskip(NEXT) | instid1(VALU_DEP_2)
	v_cmp_ne_u32_e32 vcc_lo, 0, v5
	v_cmp_ne_u32_e64 s0, 0, v4
	s_and_b32 s0, vcc_lo, s0
	s_delay_alu instid0(SALU_CYCLE_1) | instskip(NEXT) | instid1(VALU_DEP_1)
	v_cndmask_b32_e64 v4, 0, 1, s0
	v_add_nc_u32_e32 v7, v1, v4
; %bb.1980:
	s_or_b32 exec_lo, exec_lo, s2
	s_mov_b32 s0, -1
.LBB315_1981:
	s_branch .LBB315_1893
.LBB315_1982:
	s_and_b32 s2, 0xffff, s1
	s_delay_alu instid0(SALU_CYCLE_1)
	s_cmp_lt_i32 s2, 5
	s_cbranch_scc1 .LBB315_1989
; %bb.1983:
	s_cmp_lt_i32 s2, 8
	s_cbranch_scc1 .LBB315_1990
; %bb.1984:
	;; [unrolled: 3-line block ×3, first 2 shown]
	s_cmp_gt_i32 s2, 9
	s_cbranch_scc0 .LBB315_1992
; %bb.1986:
	global_load_b64 v[4:5], v[2:3], off
	s_wait_loadcnt 0x1
	v_mov_b32_e32 v7, 0xff
	s_mov_b32 s16, exec_lo
	s_wait_loadcnt 0x0
	v_cvt_f32_f64_e32 v1, v[4:5]
	s_delay_alu instid0(VALU_DEP_1) | instskip(SKIP_1) | instid1(VALU_DEP_1)
	v_bfe_u32 v4, v1, 23, 8
	s_wait_xcnt 0x0
	v_cmpx_ne_u32_e32 0xff, v4
	s_cbranch_execz .LBB315_1988
; %bb.1987:
	v_and_b32_e32 v5, 0x400000, v1
	v_and_or_b32 v4, 0x3fffff, v1, v4
	v_lshrrev_b32_e32 v1, 23, v1
	s_delay_alu instid0(VALU_DEP_3) | instskip(NEXT) | instid1(VALU_DEP_3)
	v_cmp_ne_u32_e32 vcc_lo, 0, v5
	v_cmp_ne_u32_e64 s0, 0, v4
	s_and_b32 s0, vcc_lo, s0
	s_delay_alu instid0(SALU_CYCLE_1) | instskip(NEXT) | instid1(VALU_DEP_1)
	v_cndmask_b32_e64 v4, 0, 1, s0
	v_add_nc_u32_e32 v7, v1, v4
.LBB315_1988:
	s_or_b32 exec_lo, exec_lo, s16
	s_mov_b32 s0, 0
	s_branch .LBB315_1993
.LBB315_1989:
                                        ; implicit-def: $vgpr7
	s_branch .LBB315_2020
.LBB315_1990:
                                        ; implicit-def: $vgpr7
	s_branch .LBB315_2003
.LBB315_1991:
	s_mov_b32 s0, -1
                                        ; implicit-def: $vgpr7
	s_branch .LBB315_1998
.LBB315_1992:
	s_mov_b32 s0, -1
                                        ; implicit-def: $vgpr7
.LBB315_1993:
	s_delay_alu instid0(SALU_CYCLE_1)
	s_and_not1_b32 vcc_lo, exec_lo, s0
	s_cbranch_vccnz .LBB315_1997
; %bb.1994:
	global_load_b32 v1, v[2:3], off
	s_wait_loadcnt 0x1
	v_mov_b32_e32 v7, 0xff
	s_mov_b32 s16, exec_lo
	s_wait_loadcnt 0x0
	v_bfe_u32 v4, v1, 23, 8
	s_wait_xcnt 0x0
	s_delay_alu instid0(VALU_DEP_1)
	v_cmpx_ne_u32_e32 0xff, v4
	s_cbranch_execz .LBB315_1996
; %bb.1995:
	v_and_b32_e32 v5, 0x400000, v1
	v_and_or_b32 v4, 0x3fffff, v1, v4
	v_lshrrev_b32_e32 v1, 23, v1
	s_delay_alu instid0(VALU_DEP_3) | instskip(NEXT) | instid1(VALU_DEP_3)
	v_cmp_ne_u32_e32 vcc_lo, 0, v5
	v_cmp_ne_u32_e64 s0, 0, v4
	s_and_b32 s0, vcc_lo, s0
	s_delay_alu instid0(SALU_CYCLE_1) | instskip(NEXT) | instid1(VALU_DEP_1)
	v_cndmask_b32_e64 v4, 0, 1, s0
	v_add_nc_u32_e32 v7, v1, v4
.LBB315_1996:
	s_or_b32 exec_lo, exec_lo, s16
.LBB315_1997:
	s_mov_b32 s0, 0
.LBB315_1998:
	s_delay_alu instid0(SALU_CYCLE_1)
	s_and_not1_b32 vcc_lo, exec_lo, s0
	s_cbranch_vccnz .LBB315_2002
; %bb.1999:
	global_load_b32 v1, v[2:3], off
	s_wait_loadcnt 0x1
	v_mov_b32_e32 v7, 0xff
	s_mov_b32 s16, exec_lo
	s_wait_loadcnt 0x0
	v_cvt_f32_f16_e32 v1, v1
	s_delay_alu instid0(VALU_DEP_1) | instskip(SKIP_1) | instid1(VALU_DEP_1)
	v_bfe_u32 v4, v1, 23, 8
	s_wait_xcnt 0x0
	v_cmpx_ne_u32_e32 0xff, v4
	s_cbranch_execz .LBB315_2001
; %bb.2000:
	v_and_b32_e32 v5, 0x400000, v1
	v_and_or_b32 v4, 0x3fffff, v1, v4
	v_lshrrev_b32_e32 v1, 23, v1
	s_delay_alu instid0(VALU_DEP_3) | instskip(NEXT) | instid1(VALU_DEP_3)
	v_cmp_ne_u32_e32 vcc_lo, 0, v5
	v_cmp_ne_u32_e64 s0, 0, v4
	s_and_b32 s0, vcc_lo, s0
	s_delay_alu instid0(SALU_CYCLE_1) | instskip(NEXT) | instid1(VALU_DEP_1)
	v_cndmask_b32_e64 v4, 0, 1, s0
	v_add_nc_u32_e32 v7, v1, v4
.LBB315_2001:
	s_or_b32 exec_lo, exec_lo, s16
.LBB315_2002:
	s_cbranch_execnz .LBB315_2019
.LBB315_2003:
	s_cmp_lt_i32 s2, 6
	s_cbranch_scc1 .LBB315_2008
; %bb.2004:
	s_cmp_gt_i32 s2, 6
	s_cbranch_scc0 .LBB315_2009
; %bb.2005:
	global_load_b64 v[4:5], v[2:3], off
	s_wait_loadcnt 0x1
	v_mov_b32_e32 v7, 0xff
	s_mov_b32 s16, exec_lo
	s_wait_loadcnt 0x0
	v_cvt_f32_f64_e32 v1, v[4:5]
	s_delay_alu instid0(VALU_DEP_1) | instskip(SKIP_1) | instid1(VALU_DEP_1)
	v_bfe_u32 v4, v1, 23, 8
	s_wait_xcnt 0x0
	v_cmpx_ne_u32_e32 0xff, v4
	s_cbranch_execz .LBB315_2007
; %bb.2006:
	v_and_b32_e32 v5, 0x400000, v1
	v_and_or_b32 v4, 0x3fffff, v1, v4
	v_lshrrev_b32_e32 v1, 23, v1
	s_delay_alu instid0(VALU_DEP_3) | instskip(NEXT) | instid1(VALU_DEP_3)
	v_cmp_ne_u32_e32 vcc_lo, 0, v5
	v_cmp_ne_u32_e64 s0, 0, v4
	s_and_b32 s0, vcc_lo, s0
	s_delay_alu instid0(SALU_CYCLE_1) | instskip(NEXT) | instid1(VALU_DEP_1)
	v_cndmask_b32_e64 v4, 0, 1, s0
	v_add_nc_u32_e32 v7, v1, v4
.LBB315_2007:
	s_or_b32 exec_lo, exec_lo, s16
	s_mov_b32 s0, 0
	s_branch .LBB315_2010
.LBB315_2008:
	s_mov_b32 s0, -1
                                        ; implicit-def: $vgpr7
	s_branch .LBB315_2015
.LBB315_2009:
	s_mov_b32 s0, -1
                                        ; implicit-def: $vgpr7
.LBB315_2010:
	s_delay_alu instid0(SALU_CYCLE_1)
	s_and_not1_b32 vcc_lo, exec_lo, s0
	s_cbranch_vccnz .LBB315_2014
; %bb.2011:
	global_load_b32 v1, v[2:3], off
	s_wait_loadcnt 0x1
	v_mov_b32_e32 v7, 0xff
	s_mov_b32 s16, exec_lo
	s_wait_loadcnt 0x0
	v_bfe_u32 v4, v1, 23, 8
	s_wait_xcnt 0x0
	s_delay_alu instid0(VALU_DEP_1)
	v_cmpx_ne_u32_e32 0xff, v4
	s_cbranch_execz .LBB315_2013
; %bb.2012:
	v_and_b32_e32 v5, 0x400000, v1
	v_and_or_b32 v4, 0x3fffff, v1, v4
	v_lshrrev_b32_e32 v1, 23, v1
	s_delay_alu instid0(VALU_DEP_3) | instskip(NEXT) | instid1(VALU_DEP_3)
	v_cmp_ne_u32_e32 vcc_lo, 0, v5
	v_cmp_ne_u32_e64 s0, 0, v4
	s_and_b32 s0, vcc_lo, s0
	s_delay_alu instid0(SALU_CYCLE_1) | instskip(NEXT) | instid1(VALU_DEP_1)
	v_cndmask_b32_e64 v4, 0, 1, s0
	v_add_nc_u32_e32 v7, v1, v4
.LBB315_2013:
	s_or_b32 exec_lo, exec_lo, s16
.LBB315_2014:
	s_mov_b32 s0, 0
.LBB315_2015:
	s_delay_alu instid0(SALU_CYCLE_1)
	s_and_not1_b32 vcc_lo, exec_lo, s0
	s_cbranch_vccnz .LBB315_2019
; %bb.2016:
	global_load_u16 v1, v[2:3], off
	s_wait_loadcnt 0x1
	v_mov_b32_e32 v7, 0xff
	s_mov_b32 s16, exec_lo
	s_wait_loadcnt 0x0
	v_cvt_f32_f16_e32 v1, v1
	s_delay_alu instid0(VALU_DEP_1) | instskip(SKIP_1) | instid1(VALU_DEP_1)
	v_bfe_u32 v4, v1, 23, 8
	s_wait_xcnt 0x0
	v_cmpx_ne_u32_e32 0xff, v4
	s_cbranch_execz .LBB315_2018
; %bb.2017:
	v_and_b32_e32 v5, 0x400000, v1
	v_and_or_b32 v4, 0x3fffff, v1, v4
	v_lshrrev_b32_e32 v1, 23, v1
	s_delay_alu instid0(VALU_DEP_3) | instskip(NEXT) | instid1(VALU_DEP_3)
	v_cmp_ne_u32_e32 vcc_lo, 0, v5
	v_cmp_ne_u32_e64 s0, 0, v4
	s_and_b32 s0, vcc_lo, s0
	s_delay_alu instid0(SALU_CYCLE_1) | instskip(NEXT) | instid1(VALU_DEP_1)
	v_cndmask_b32_e64 v4, 0, 1, s0
	v_add_nc_u32_e32 v7, v1, v4
.LBB315_2018:
	s_or_b32 exec_lo, exec_lo, s16
.LBB315_2019:
	s_cbranch_execnz .LBB315_2048
.LBB315_2020:
	s_cmp_lt_i32 s2, 2
	s_cbranch_scc1 .LBB315_2026
; %bb.2021:
	s_cmp_lt_i32 s2, 3
	s_cbranch_scc1 .LBB315_2027
; %bb.2022:
	s_cmp_gt_i32 s2, 3
	s_cbranch_scc0 .LBB315_2028
; %bb.2023:
	global_load_b64 v[4:5], v[2:3], off
	s_mov_b32 s16, exec_lo
	s_wait_loadcnt 0x0
	v_xor_b32_e32 v1, v4, v5
	v_cls_i32_e32 v7, v5
	s_delay_alu instid0(VALU_DEP_2) | instskip(NEXT) | instid1(VALU_DEP_1)
	v_ashrrev_i32_e32 v1, 31, v1
	v_add_nc_u32_e32 v1, 32, v1
	s_delay_alu instid0(VALU_DEP_1) | instskip(SKIP_1) | instid1(VALU_DEP_2)
	v_add_min_u32_e64 v1, v7, -1, v1
	v_mov_b32_e32 v7, 0xff
	v_lshlrev_b64_e32 v[4:5], v1, v[4:5]
	v_sub_nc_u32_e32 v1, 32, v1
	s_delay_alu instid0(VALU_DEP_2) | instskip(NEXT) | instid1(VALU_DEP_1)
	v_min_u32_e32 v4, 1, v4
	v_or_b32_e32 v4, v5, v4
	s_delay_alu instid0(VALU_DEP_1) | instskip(NEXT) | instid1(VALU_DEP_1)
	v_cvt_f32_i32_e32 v4, v4
	v_ldexp_f32 v1, v4, v1
	s_delay_alu instid0(VALU_DEP_1) | instskip(SKIP_1) | instid1(VALU_DEP_1)
	v_bfe_u32 v4, v1, 23, 8
	s_wait_xcnt 0x0
	v_cmpx_ne_u32_e32 0xff, v4
	s_cbranch_execz .LBB315_2025
; %bb.2024:
	v_and_b32_e32 v5, 0x400000, v1
	v_and_or_b32 v4, 0x3fffff, v1, v4
	v_lshrrev_b32_e32 v1, 23, v1
	s_delay_alu instid0(VALU_DEP_3) | instskip(NEXT) | instid1(VALU_DEP_3)
	v_cmp_ne_u32_e32 vcc_lo, 0, v5
	v_cmp_ne_u32_e64 s0, 0, v4
	s_and_b32 s0, vcc_lo, s0
	s_delay_alu instid0(SALU_CYCLE_1) | instskip(NEXT) | instid1(VALU_DEP_1)
	v_cndmask_b32_e64 v4, 0, 1, s0
	v_add_nc_u32_e32 v7, v1, v4
.LBB315_2025:
	s_or_b32 exec_lo, exec_lo, s16
	s_mov_b32 s0, 0
	s_branch .LBB315_2029
.LBB315_2026:
                                        ; implicit-def: $vgpr7
	s_branch .LBB315_2039
.LBB315_2027:
	s_mov_b32 s0, -1
                                        ; implicit-def: $vgpr7
	s_branch .LBB315_2034
.LBB315_2028:
	s_mov_b32 s0, -1
                                        ; implicit-def: $vgpr7
.LBB315_2029:
	s_delay_alu instid0(SALU_CYCLE_1)
	s_and_not1_b32 vcc_lo, exec_lo, s0
	s_cbranch_vccnz .LBB315_2033
; %bb.2030:
	global_load_b32 v1, v[2:3], off
	s_wait_loadcnt 0x1
	v_mov_b32_e32 v7, 0xff
	s_mov_b32 s16, exec_lo
	s_wait_loadcnt 0x0
	v_cvt_f32_i32_e32 v1, v1
	s_delay_alu instid0(VALU_DEP_1) | instskip(SKIP_1) | instid1(VALU_DEP_1)
	v_bfe_u32 v4, v1, 23, 8
	s_wait_xcnt 0x0
	v_cmpx_ne_u32_e32 0xff, v4
	s_cbranch_execz .LBB315_2032
; %bb.2031:
	v_and_b32_e32 v5, 0x400000, v1
	v_and_or_b32 v4, 0x3fffff, v1, v4
	v_lshrrev_b32_e32 v1, 23, v1
	s_delay_alu instid0(VALU_DEP_3) | instskip(NEXT) | instid1(VALU_DEP_3)
	v_cmp_ne_u32_e32 vcc_lo, 0, v5
	v_cmp_ne_u32_e64 s0, 0, v4
	s_and_b32 s0, vcc_lo, s0
	s_delay_alu instid0(SALU_CYCLE_1) | instskip(NEXT) | instid1(VALU_DEP_1)
	v_cndmask_b32_e64 v4, 0, 1, s0
	v_add_nc_u32_e32 v7, v1, v4
.LBB315_2032:
	s_or_b32 exec_lo, exec_lo, s16
.LBB315_2033:
	s_mov_b32 s0, 0
.LBB315_2034:
	s_delay_alu instid0(SALU_CYCLE_1)
	s_and_not1_b32 vcc_lo, exec_lo, s0
	s_cbranch_vccnz .LBB315_2038
; %bb.2035:
	global_load_i16 v1, v[2:3], off
	s_wait_loadcnt 0x1
	v_mov_b32_e32 v7, 0xff
	s_mov_b32 s16, exec_lo
	s_wait_loadcnt 0x0
	v_cvt_f32_i32_e32 v1, v1
	s_delay_alu instid0(VALU_DEP_1) | instskip(SKIP_1) | instid1(VALU_DEP_1)
	v_bfe_u32 v4, v1, 23, 8
	s_wait_xcnt 0x0
	v_cmpx_ne_u32_e32 0xff, v4
	s_cbranch_execz .LBB315_2037
; %bb.2036:
	v_and_b32_e32 v5, 0x400000, v1
	v_and_or_b32 v4, 0x3fffff, v1, v4
	v_lshrrev_b32_e32 v1, 23, v1
	s_delay_alu instid0(VALU_DEP_3) | instskip(NEXT) | instid1(VALU_DEP_3)
	v_cmp_ne_u32_e32 vcc_lo, 0, v5
	v_cmp_ne_u32_e64 s0, 0, v4
	s_and_b32 s0, vcc_lo, s0
	s_delay_alu instid0(SALU_CYCLE_1) | instskip(NEXT) | instid1(VALU_DEP_1)
	v_cndmask_b32_e64 v4, 0, 1, s0
	v_add_nc_u32_e32 v7, v1, v4
.LBB315_2037:
	s_or_b32 exec_lo, exec_lo, s16
.LBB315_2038:
	s_cbranch_execnz .LBB315_2048
.LBB315_2039:
	s_cmp_gt_i32 s2, 0
	s_cbranch_scc0 .LBB315_2043
; %bb.2040:
	global_load_i8 v1, v[2:3], off
	s_wait_loadcnt 0x1
	v_mov_b32_e32 v7, 0xff
	s_mov_b32 s2, exec_lo
	s_wait_loadcnt 0x0
	v_cvt_f32_i32_e32 v1, v1
	s_delay_alu instid0(VALU_DEP_1) | instskip(SKIP_1) | instid1(VALU_DEP_1)
	v_bfe_u32 v4, v1, 23, 8
	s_wait_xcnt 0x0
	v_cmpx_ne_u32_e32 0xff, v4
	s_cbranch_execz .LBB315_2042
; %bb.2041:
	v_and_b32_e32 v5, 0x400000, v1
	v_and_or_b32 v4, 0x3fffff, v1, v4
	v_lshrrev_b32_e32 v1, 23, v1
	s_delay_alu instid0(VALU_DEP_3) | instskip(NEXT) | instid1(VALU_DEP_3)
	v_cmp_ne_u32_e32 vcc_lo, 0, v5
	v_cmp_ne_u32_e64 s0, 0, v4
	s_and_b32 s0, vcc_lo, s0
	s_delay_alu instid0(SALU_CYCLE_1) | instskip(NEXT) | instid1(VALU_DEP_1)
	v_cndmask_b32_e64 v4, 0, 1, s0
	v_add_nc_u32_e32 v7, v1, v4
.LBB315_2042:
	s_or_b32 exec_lo, exec_lo, s2
	s_mov_b32 s0, 0
	s_branch .LBB315_2044
.LBB315_2043:
	s_mov_b32 s0, -1
                                        ; implicit-def: $vgpr7
.LBB315_2044:
	s_delay_alu instid0(SALU_CYCLE_1)
	s_and_not1_b32 vcc_lo, exec_lo, s0
	s_cbranch_vccnz .LBB315_2048
; %bb.2045:
	global_load_u8 v1, v[2:3], off
	s_wait_loadcnt 0x1
	v_mov_b32_e32 v7, 0xff
	s_mov_b32 s2, exec_lo
	s_wait_loadcnt 0x0
	v_cvt_f32_ubyte0_e32 v2, v1
	s_delay_alu instid0(VALU_DEP_1) | instskip(NEXT) | instid1(VALU_DEP_1)
	v_lshrrev_b32_e32 v1, 23, v2
	v_cmpx_ne_u32_e32 0xff, v1
; %bb.2046:
	v_and_b32_e32 v3, 0x400000, v2
	v_and_or_b32 v2, 0x3fffff, v2, v1
	s_delay_alu instid0(VALU_DEP_2) | instskip(NEXT) | instid1(VALU_DEP_2)
	v_cmp_ne_u32_e32 vcc_lo, 0, v3
	v_cmp_ne_u32_e64 s0, 0, v2
	s_and_b32 s0, vcc_lo, s0
	s_delay_alu instid0(SALU_CYCLE_1) | instskip(NEXT) | instid1(VALU_DEP_1)
	v_cndmask_b32_e64 v2, 0, 1, s0
	v_add_nc_u32_e32 v7, v1, v2
; %bb.2047:
	s_or_b32 exec_lo, exec_lo, s2
.LBB315_2048:
.LBB315_2049:
	s_wait_xcnt 0x0
	v_mul_lo_u32 v2, s10, v6
	s_and_b32 s2, s14, 0xff
	s_delay_alu instid0(SALU_CYCLE_1) | instskip(NEXT) | instid1(VALU_DEP_1)
	s_cmp_lt_i32 s2, 11
	v_ashrrev_i32_e32 v3, 31, v2
	s_delay_alu instid0(VALU_DEP_1)
	v_add_nc_u64_e32 v[4:5], s[12:13], v[2:3]
	s_cbranch_scc1 .LBB315_2058
; %bb.2050:
	s_and_b32 s14, 0xffff, s2
	s_mov_b32 s19, 0
	s_cmp_gt_i32 s14, 25
	s_cbranch_scc0 .LBB315_2060
; %bb.2051:
	s_cmp_gt_i32 s14, 28
	s_cbranch_scc0 .LBB315_2061
; %bb.2052:
	;; [unrolled: 3-line block ×4, first 2 shown]
	s_cmp_eq_u32 s14, 46
	s_mov_b32 s20, 0
	s_cbranch_scc0 .LBB315_2067
; %bb.2055:
	global_load_b32 v1, v[4:5], off
	s_mov_b32 s16, exec_lo
	s_wait_loadcnt 0x0
	v_dual_mov_b32 v8, 0xff :: v_dual_lshlrev_b32 v3, 16, v1
	s_delay_alu instid0(VALU_DEP_1) | instskip(SKIP_1) | instid1(VALU_DEP_1)
	v_bfe_u32 v9, v3, 23, 8
	s_wait_xcnt 0x0
	v_cmpx_ne_u32_e32 0xff, v9
	s_cbranch_execz .LBB315_2057
; %bb.2056:
	v_and_b32_e32 v8, 64, v1
	v_and_or_b32 v3, 0x3f0000, v3, v9
	v_bfe_u32 v1, v1, 7, 9
	s_delay_alu instid0(VALU_DEP_3) | instskip(NEXT) | instid1(VALU_DEP_3)
	v_cmp_ne_u32_e32 vcc_lo, 0, v8
	v_cmp_ne_u32_e64 s0, 0, v3
	s_and_b32 s0, vcc_lo, s0
	s_delay_alu instid0(SALU_CYCLE_1) | instskip(NEXT) | instid1(VALU_DEP_1)
	v_cndmask_b32_e64 v3, 0, 1, s0
	v_add_nc_u32_e32 v8, v1, v3
.LBB315_2057:
	s_or_b32 exec_lo, exec_lo, s16
	s_mov_b32 s16, 0
	s_mov_b32 s0, -1
	s_branch .LBB315_2069
.LBB315_2058:
	s_mov_b32 s0, 0
                                        ; implicit-def: $vgpr8
	s_cbranch_execnz .LBB315_2152
.LBB315_2059:
	s_and_not1_b32 vcc_lo, exec_lo, s0
	s_cbranch_vccz .LBB315_2221
	s_branch .LBB315_3690
.LBB315_2060:
	s_mov_b32 s0, 0
	s_mov_b32 s16, 0
                                        ; implicit-def: $vgpr8
	s_cbranch_execnz .LBB315_2108
	s_branch .LBB315_2146
.LBB315_2061:
	s_mov_b32 s20, -1
	s_mov_b32 s0, 0
	s_mov_b32 s16, 0
                                        ; implicit-def: $vgpr8
	s_branch .LBB315_2081
.LBB315_2062:
	s_mov_b32 s20, -1
	s_mov_b32 s0, 0
	s_mov_b32 s16, 0
                                        ; implicit-def: $vgpr8
	s_branch .LBB315_2074
.LBB315_2063:
	s_or_b32 s15, s18, exec_lo
	s_trap 2
	s_cbranch_execz .LBB315_1978
	s_branch .LBB315_1981
.LBB315_2064:
	s_mov_b32 s20, -1
	s_mov_b32 s0, 0
	s_mov_b32 s16, 0
	s_branch .LBB315_2068
.LBB315_2065:
	s_and_not1_saveexec_b32 s25, s25
	s_cbranch_execz .LBB315_1801
.LBB315_2066:
	v_add_f32_e32 v2, 0x42800000, v3
	s_and_not1_b32 s24, s24, exec_lo
	s_delay_alu instid0(VALU_DEP_1) | instskip(NEXT) | instid1(VALU_DEP_1)
	v_and_b32_e32 v2, 0xff, v2
	v_cmp_ne_u32_e32 vcc_lo, 0, v2
	s_and_b32 s26, vcc_lo, exec_lo
	s_delay_alu instid0(SALU_CYCLE_1)
	s_or_b32 s24, s24, s26
	s_or_b32 exec_lo, exec_lo, s25
	v_mov_b32_e32 v4, 0
	s_and_saveexec_b32 s25, s24
	s_cbranch_execnz .LBB315_1802
	s_branch .LBB315_1803
.LBB315_2067:
	s_mov_b32 s16, -1
	s_mov_b32 s0, 0
.LBB315_2068:
                                        ; implicit-def: $vgpr8
.LBB315_2069:
	s_and_b32 vcc_lo, exec_lo, s20
	s_cbranch_vccz .LBB315_2073
; %bb.2070:
	s_cmp_eq_u32 s14, 44
	s_cbranch_scc0 .LBB315_2072
; %bb.2071:
	global_load_u8 v8, v[4:5], off
	s_mov_b32 s16, 0
	s_mov_b32 s0, -1
	s_branch .LBB315_2073
.LBB315_2072:
	s_mov_b32 s16, -1
                                        ; implicit-def: $vgpr8
.LBB315_2073:
	s_mov_b32 s20, 0
.LBB315_2074:
	s_delay_alu instid0(SALU_CYCLE_1)
	s_and_b32 vcc_lo, exec_lo, s20
	s_cbranch_vccz .LBB315_2080
; %bb.2075:
	s_cmp_eq_u32 s14, 29
	s_cbranch_scc0 .LBB315_2079
; %bb.2076:
	s_wait_loadcnt 0x0
	global_load_b64 v[8:9], v[4:5], off
	s_mov_b32 s16, exec_lo
	s_wait_loadcnt 0x0
	v_clz_i32_u32_e32 v1, v9
	s_delay_alu instid0(VALU_DEP_1) | instskip(NEXT) | instid1(VALU_DEP_1)
	v_min_u32_e32 v1, 32, v1
	v_lshlrev_b64_e32 v[8:9], v1, v[8:9]
	v_sub_nc_u32_e32 v1, 32, v1
	s_delay_alu instid0(VALU_DEP_2) | instskip(SKIP_1) | instid1(VALU_DEP_2)
	v_min_u32_e32 v3, 1, v8
	v_mov_b32_e32 v8, 0xff
	v_or_b32_e32 v3, v9, v3
	s_delay_alu instid0(VALU_DEP_1) | instskip(NEXT) | instid1(VALU_DEP_1)
	v_cvt_f32_u32_e32 v3, v3
	v_ldexp_f32 v3, v3, v1
	s_delay_alu instid0(VALU_DEP_1) | instskip(SKIP_1) | instid1(VALU_DEP_1)
	v_lshrrev_b32_e32 v1, 23, v3
	s_wait_xcnt 0x0
	v_cmpx_ne_u32_e32 0xff, v1
; %bb.2077:
	v_and_b32_e32 v8, 0x400000, v3
	v_and_or_b32 v3, 0x3fffff, v3, v1
	s_delay_alu instid0(VALU_DEP_2) | instskip(NEXT) | instid1(VALU_DEP_2)
	v_cmp_ne_u32_e32 vcc_lo, 0, v8
	v_cmp_ne_u32_e64 s0, 0, v3
	s_and_b32 s0, vcc_lo, s0
	s_delay_alu instid0(SALU_CYCLE_1) | instskip(NEXT) | instid1(VALU_DEP_1)
	v_cndmask_b32_e64 v3, 0, 1, s0
	v_add_nc_u32_e32 v8, v1, v3
; %bb.2078:
	s_or_b32 exec_lo, exec_lo, s16
	s_mov_b32 s16, 0
	s_mov_b32 s0, -1
	s_branch .LBB315_2080
.LBB315_2079:
	s_mov_b32 s16, -1
                                        ; implicit-def: $vgpr8
.LBB315_2080:
	s_mov_b32 s20, 0
.LBB315_2081:
	s_delay_alu instid0(SALU_CYCLE_1)
	s_and_b32 vcc_lo, exec_lo, s20
	s_cbranch_vccz .LBB315_2107
; %bb.2082:
	s_cmp_lt_i32 s14, 27
	s_cbranch_scc1 .LBB315_2087
; %bb.2083:
	s_cmp_gt_i32 s14, 27
	s_cbranch_scc0 .LBB315_2088
; %bb.2084:
	global_load_b32 v1, v[4:5], off
	s_mov_b32 s20, exec_lo
	s_wait_loadcnt 0x1
	v_mov_b32_e32 v8, 0xff
	s_wait_loadcnt 0x0
	v_cvt_f32_u32_e32 v3, v1
	s_delay_alu instid0(VALU_DEP_1) | instskip(SKIP_1) | instid1(VALU_DEP_1)
	v_lshrrev_b32_e32 v1, 23, v3
	s_wait_xcnt 0x0
	v_cmpx_ne_u32_e32 0xff, v1
; %bb.2085:
	v_and_b32_e32 v8, 0x400000, v3
	v_and_or_b32 v3, 0x3fffff, v3, v1
	s_delay_alu instid0(VALU_DEP_2) | instskip(NEXT) | instid1(VALU_DEP_2)
	v_cmp_ne_u32_e32 vcc_lo, 0, v8
	v_cmp_ne_u32_e64 s0, 0, v3
	s_and_b32 s0, vcc_lo, s0
	s_delay_alu instid0(SALU_CYCLE_1) | instskip(NEXT) | instid1(VALU_DEP_1)
	v_cndmask_b32_e64 v3, 0, 1, s0
	v_add_nc_u32_e32 v8, v1, v3
; %bb.2086:
	s_or_b32 exec_lo, exec_lo, s20
	s_mov_b32 s0, 0
	s_branch .LBB315_2089
.LBB315_2087:
	s_mov_b32 s0, -1
                                        ; implicit-def: $vgpr8
	s_branch .LBB315_2094
.LBB315_2088:
	s_mov_b32 s0, -1
                                        ; implicit-def: $vgpr8
.LBB315_2089:
	s_delay_alu instid0(SALU_CYCLE_1)
	s_and_not1_b32 vcc_lo, exec_lo, s0
	s_cbranch_vccnz .LBB315_2093
; %bb.2090:
	global_load_u16 v1, v[4:5], off
	s_mov_b32 s20, exec_lo
	s_wait_loadcnt 0x1
	v_mov_b32_e32 v8, 0xff
	s_wait_loadcnt 0x0
	v_cvt_f32_u32_e32 v3, v1
	s_delay_alu instid0(VALU_DEP_1) | instskip(SKIP_1) | instid1(VALU_DEP_1)
	v_lshrrev_b32_e32 v1, 23, v3
	s_wait_xcnt 0x0
	v_cmpx_ne_u32_e32 0xff, v1
; %bb.2091:
	v_and_b32_e32 v8, 0x400000, v3
	v_and_or_b32 v3, 0x3fffff, v3, v1
	s_delay_alu instid0(VALU_DEP_2) | instskip(NEXT) | instid1(VALU_DEP_2)
	v_cmp_ne_u32_e32 vcc_lo, 0, v8
	v_cmp_ne_u32_e64 s0, 0, v3
	s_and_b32 s0, vcc_lo, s0
	s_delay_alu instid0(SALU_CYCLE_1) | instskip(NEXT) | instid1(VALU_DEP_1)
	v_cndmask_b32_e64 v3, 0, 1, s0
	v_add_nc_u32_e32 v8, v1, v3
; %bb.2092:
	s_or_b32 exec_lo, exec_lo, s20
.LBB315_2093:
	s_mov_b32 s0, 0
.LBB315_2094:
	s_delay_alu instid0(SALU_CYCLE_1)
	s_and_not1_b32 vcc_lo, exec_lo, s0
	s_cbranch_vccnz .LBB315_2106
; %bb.2095:
	global_load_u8 v1, v[4:5], off
	s_mov_b32 s0, 0
	s_mov_b32 s20, exec_lo
	s_wait_loadcnt 0x0
	v_cmpx_lt_i16_e32 0x7f, v1
	s_xor_b32 s20, exec_lo, s20
	s_cbranch_execz .LBB315_2099
; %bb.2096:
	s_mov_b32 s0, -1
	s_mov_b32 s21, exec_lo
	v_cmpx_eq_u16_e32 0x80, v1
; %bb.2097:
	s_xor_b32 s0, exec_lo, -1
; %bb.2098:
	s_or_b32 exec_lo, exec_lo, s21
	s_delay_alu instid0(SALU_CYCLE_1)
	s_and_b32 s0, s0, exec_lo
.LBB315_2099:
	s_or_saveexec_b32 s20, s20
	v_mov_b32_e32 v3, 0x7f800001
	v_and_b32_e32 v8, 0xffff, v1
	s_xor_b32 exec_lo, exec_lo, s20
; %bb.2100:
	v_cmp_ne_u16_e32 vcc_lo, 0, v1
	s_delay_alu instid0(VALU_DEP_2) | instskip(SKIP_2) | instid1(SALU_CYCLE_1)
	v_mov_b32_e32 v3, v8
	s_and_not1_b32 s0, s0, exec_lo
	s_and_b32 s21, vcc_lo, exec_lo
	s_or_b32 s0, s0, s21
; %bb.2101:
	s_or_b32 exec_lo, exec_lo, s20
	s_and_saveexec_b32 s20, s0
	s_cbranch_execz .LBB315_2103
; %bb.2102:
	v_and_b32_e32 v1, 7, v8
	s_delay_alu instid0(VALU_DEP_1) | instskip(NEXT) | instid1(VALU_DEP_1)
	v_clz_i32_u32_e32 v3, v1
	v_min_u32_e32 v3, 32, v3
	s_delay_alu instid0(VALU_DEP_1) | instskip(NEXT) | instid1(VALU_DEP_1)
	v_subrev_nc_u32_e32 v9, 28, v3
	v_lshlrev_b32_e32 v9, v9, v8
	v_bfe_u32 v8, v8, 3, 4
	s_delay_alu instid0(VALU_DEP_2) | instskip(NEXT) | instid1(VALU_DEP_2)
	v_dual_sub_nc_u32 v3, 29, v3 :: v_dual_bitop2_b32 v9, 7, v9 bitop3:0x40
	v_cmp_eq_u32_e32 vcc_lo, 0, v8
	s_delay_alu instid0(VALU_DEP_2) | instskip(NEXT) | instid1(VALU_DEP_1)
	v_dual_cndmask_b32 v3, v8, v3, vcc_lo :: v_dual_cndmask_b32 v1, v1, v9, vcc_lo
	v_lshlrev_b32_e32 v1, 20, v1
	s_delay_alu instid0(VALU_DEP_1) | instskip(NEXT) | instid1(VALU_DEP_1)
	v_lshl_or_b32 v1, v3, 23, v1
	v_add_nc_u32_e32 v3, 0x3b800000, v1
.LBB315_2103:
	s_or_b32 exec_lo, exec_lo, s20
	s_delay_alu instid0(VALU_DEP_1) | instskip(SKIP_1) | instid1(VALU_DEP_1)
	v_dual_mov_b32 v8, 0xff :: v_dual_lshrrev_b32 v1, 23, v3
	s_mov_b32 s20, exec_lo
	v_cmpx_ne_u32_e32 0xff, v1
; %bb.2104:
	v_and_b32_e32 v8, 0x400000, v3
	v_and_or_b32 v3, 0x3fffff, v3, v1
	s_delay_alu instid0(VALU_DEP_2) | instskip(NEXT) | instid1(VALU_DEP_2)
	v_cmp_ne_u32_e32 vcc_lo, 0, v8
	v_cmp_ne_u32_e64 s0, 0, v3
	s_and_b32 s0, vcc_lo, s0
	s_delay_alu instid0(SALU_CYCLE_1) | instskip(NEXT) | instid1(VALU_DEP_1)
	v_cndmask_b32_e64 v3, 0, 1, s0
	v_add_nc_u32_e32 v8, v1, v3
; %bb.2105:
	s_or_b32 exec_lo, exec_lo, s20
.LBB315_2106:
	s_mov_b32 s0, -1
.LBB315_2107:
	s_branch .LBB315_2146
.LBB315_2108:
	s_cmp_gt_i32 s14, 22
	s_cbranch_scc0 .LBB315_2122
; %bb.2109:
	s_cmp_lt_i32 s14, 24
	s_cbranch_scc1 .LBB315_2123
; %bb.2110:
	s_cmp_gt_i32 s14, 24
	s_cbranch_scc0 .LBB315_2124
; %bb.2111:
	global_load_u8 v1, v[4:5], off
	s_mov_b32 s0, 0
	s_mov_b32 s19, exec_lo
	s_wait_loadcnt 0x0
	v_cmpx_lt_i16_e32 0x7f, v1
	s_xor_b32 s19, exec_lo, s19
	s_cbranch_execz .LBB315_2115
; %bb.2112:
	s_mov_b32 s0, -1
	s_mov_b32 s20, exec_lo
	v_cmpx_eq_u16_e32 0x80, v1
; %bb.2113:
	s_xor_b32 s0, exec_lo, -1
; %bb.2114:
	s_or_b32 exec_lo, exec_lo, s20
	s_delay_alu instid0(SALU_CYCLE_1)
	s_and_b32 s0, s0, exec_lo
.LBB315_2115:
	s_or_saveexec_b32 s19, s19
	v_mov_b32_e32 v3, 0x7f800001
	v_and_b32_e32 v8, 0xffff, v1
	s_xor_b32 exec_lo, exec_lo, s19
; %bb.2116:
	v_cmp_ne_u16_e32 vcc_lo, 0, v1
	s_delay_alu instid0(VALU_DEP_2) | instskip(SKIP_2) | instid1(SALU_CYCLE_1)
	v_mov_b32_e32 v3, v8
	s_and_not1_b32 s0, s0, exec_lo
	s_and_b32 s20, vcc_lo, exec_lo
	s_or_b32 s0, s0, s20
; %bb.2117:
	s_or_b32 exec_lo, exec_lo, s19
	s_and_saveexec_b32 s19, s0
	s_cbranch_execz .LBB315_2119
; %bb.2118:
	v_and_b32_e32 v1, 3, v8
	s_delay_alu instid0(VALU_DEP_1) | instskip(NEXT) | instid1(VALU_DEP_1)
	v_clz_i32_u32_e32 v3, v1
	v_min_u32_e32 v3, 32, v3
	s_delay_alu instid0(VALU_DEP_1) | instskip(NEXT) | instid1(VALU_DEP_1)
	v_subrev_nc_u32_e32 v9, 29, v3
	v_lshlrev_b32_e32 v9, v9, v8
	v_bfe_u32 v8, v8, 2, 5
	s_delay_alu instid0(VALU_DEP_2) | instskip(NEXT) | instid1(VALU_DEP_2)
	v_dual_sub_nc_u32 v3, 30, v3 :: v_dual_bitop2_b32 v9, 3, v9 bitop3:0x40
	v_cmp_eq_u32_e32 vcc_lo, 0, v8
	s_delay_alu instid0(VALU_DEP_2) | instskip(NEXT) | instid1(VALU_DEP_1)
	v_dual_cndmask_b32 v3, v8, v3, vcc_lo :: v_dual_cndmask_b32 v1, v1, v9, vcc_lo
	v_lshlrev_b32_e32 v1, 21, v1
	s_delay_alu instid0(VALU_DEP_1) | instskip(NEXT) | instid1(VALU_DEP_1)
	v_lshl_or_b32 v1, v3, 23, v1
	v_add_nc_u32_e32 v3, 0x37800000, v1
.LBB315_2119:
	s_or_b32 exec_lo, exec_lo, s19
	s_delay_alu instid0(VALU_DEP_1) | instskip(SKIP_1) | instid1(VALU_DEP_1)
	v_dual_mov_b32 v8, 0xff :: v_dual_lshrrev_b32 v1, 23, v3
	s_mov_b32 s19, exec_lo
	v_cmpx_ne_u32_e32 0xff, v1
; %bb.2120:
	v_and_b32_e32 v8, 0x400000, v3
	v_and_or_b32 v3, 0x3fffff, v3, v1
	s_delay_alu instid0(VALU_DEP_2) | instskip(NEXT) | instid1(VALU_DEP_2)
	v_cmp_ne_u32_e32 vcc_lo, 0, v8
	v_cmp_ne_u32_e64 s0, 0, v3
	s_and_b32 s0, vcc_lo, s0
	s_delay_alu instid0(SALU_CYCLE_1) | instskip(NEXT) | instid1(VALU_DEP_1)
	v_cndmask_b32_e64 v3, 0, 1, s0
	v_add_nc_u32_e32 v8, v1, v3
; %bb.2121:
	s_or_b32 exec_lo, exec_lo, s19
	s_mov_b32 s0, 0
	s_branch .LBB315_2125
.LBB315_2122:
	s_mov_b32 s19, -1
                                        ; implicit-def: $vgpr8
	s_branch .LBB315_2135
.LBB315_2123:
	s_mov_b32 s0, -1
                                        ; implicit-def: $vgpr8
	s_branch .LBB315_2130
.LBB315_2124:
	s_mov_b32 s0, -1
                                        ; implicit-def: $vgpr8
.LBB315_2125:
	s_delay_alu instid0(SALU_CYCLE_1)
	s_and_b32 vcc_lo, exec_lo, s0
	s_cbranch_vccz .LBB315_2129
; %bb.2126:
	global_load_u8 v1, v[4:5], off
	s_mov_b32 s19, exec_lo
	s_wait_loadcnt 0x0
	v_lshlrev_b32_e32 v1, 24, v1
	s_delay_alu instid0(VALU_DEP_1) | instskip(NEXT) | instid1(VALU_DEP_1)
	v_and_b32_e32 v1, 0x7f000000, v1
	v_clz_i32_u32_e32 v3, v1
	v_cmp_ne_u32_e32 vcc_lo, 0, v1
	v_add_nc_u32_e32 v9, 0x1000000, v1
	s_delay_alu instid0(VALU_DEP_3) | instskip(NEXT) | instid1(VALU_DEP_1)
	v_min_u32_e32 v3, 32, v3
	v_sub_nc_u32_e64 v3, v3, 4 clamp
	s_delay_alu instid0(VALU_DEP_1) | instskip(NEXT) | instid1(VALU_DEP_1)
	v_dual_lshlrev_b32 v8, v3, v1 :: v_dual_lshlrev_b32 v3, 23, v3
	v_lshrrev_b32_e32 v8, 4, v8
	s_delay_alu instid0(VALU_DEP_1) | instskip(NEXT) | instid1(VALU_DEP_1)
	v_dual_sub_nc_u32 v3, v8, v3 :: v_dual_ashrrev_i32 v8, 8, v9
	v_add_nc_u32_e32 v3, 0x3c000000, v3
	s_delay_alu instid0(VALU_DEP_1) | instskip(NEXT) | instid1(VALU_DEP_1)
	v_and_or_b32 v3, 0x7f800000, v8, v3
	v_dual_mov_b32 v8, 0xff :: v_dual_cndmask_b32 v3, 0, v3
	s_delay_alu instid0(VALU_DEP_1) | instskip(SKIP_1) | instid1(VALU_DEP_1)
	v_lshrrev_b32_e32 v1, 23, v3
	s_wait_xcnt 0x0
	v_cmpx_ne_u32_e32 0xff, v1
; %bb.2127:
	v_and_b32_e32 v8, 0x400000, v3
	v_and_or_b32 v3, 0x3fffff, v3, v1
	s_delay_alu instid0(VALU_DEP_2) | instskip(NEXT) | instid1(VALU_DEP_2)
	v_cmp_ne_u32_e32 vcc_lo, 0, v8
	v_cmp_ne_u32_e64 s0, 0, v3
	s_and_b32 s0, vcc_lo, s0
	s_delay_alu instid0(SALU_CYCLE_1) | instskip(NEXT) | instid1(VALU_DEP_1)
	v_cndmask_b32_e64 v3, 0, 1, s0
	v_add_nc_u32_e32 v8, v1, v3
; %bb.2128:
	s_or_b32 exec_lo, exec_lo, s19
.LBB315_2129:
	s_mov_b32 s0, 0
.LBB315_2130:
	s_delay_alu instid0(SALU_CYCLE_1)
	s_and_not1_b32 vcc_lo, exec_lo, s0
	s_cbranch_vccnz .LBB315_2134
; %bb.2131:
	global_load_u8 v1, v[4:5], off
	s_mov_b32 s19, exec_lo
	s_wait_loadcnt 0x0
	v_dual_lshlrev_b32 v3, 25, v1 :: v_dual_lshlrev_b32 v1, 8, v1
	s_delay_alu instid0(VALU_DEP_1) | instskip(NEXT) | instid1(VALU_DEP_2)
	v_cmp_gt_u32_e32 vcc_lo, 0x8000000, v3
	v_and_or_b32 v1, 0x7f00, v1, 0.5
	s_delay_alu instid0(VALU_DEP_1) | instskip(NEXT) | instid1(VALU_DEP_1)
	v_dual_add_f32 v1, -0.5, v1 :: v_dual_lshrrev_b32 v8, 4, v3
	v_or_b32_e32 v8, 0x70000000, v8
	s_delay_alu instid0(VALU_DEP_1) | instskip(NEXT) | instid1(VALU_DEP_1)
	v_mul_f32_e32 v8, 0x7800000, v8
	v_dual_cndmask_b32 v1, v8, v1 :: v_dual_mov_b32 v8, 0xff
	s_delay_alu instid0(VALU_DEP_1) | instskip(SKIP_1) | instid1(VALU_DEP_1)
	v_bfe_u32 v3, v1, 23, 8
	s_wait_xcnt 0x0
	v_cmpx_ne_u32_e32 0xff, v3
	s_cbranch_execz .LBB315_2133
; %bb.2132:
	v_and_b32_e32 v8, 0x400000, v1
	v_and_or_b32 v3, 0x3fffff, v1, v3
	v_lshrrev_b32_e32 v1, 23, v1
	s_delay_alu instid0(VALU_DEP_3) | instskip(NEXT) | instid1(VALU_DEP_3)
	v_cmp_ne_u32_e32 vcc_lo, 0, v8
	v_cmp_ne_u32_e64 s0, 0, v3
	s_and_b32 s0, vcc_lo, s0
	s_delay_alu instid0(SALU_CYCLE_1) | instskip(NEXT) | instid1(VALU_DEP_1)
	v_cndmask_b32_e64 v3, 0, 1, s0
	v_add_nc_u32_e32 v8, v1, v3
.LBB315_2133:
	s_or_b32 exec_lo, exec_lo, s19
.LBB315_2134:
	s_mov_b32 s19, 0
	s_mov_b32 s0, -1
.LBB315_2135:
	s_and_not1_b32 vcc_lo, exec_lo, s19
	s_mov_b32 s19, 0
	s_cbranch_vccnz .LBB315_2146
; %bb.2136:
	s_cmp_gt_i32 s14, 14
	s_cbranch_scc0 .LBB315_2141
; %bb.2137:
	s_cmp_eq_u32 s14, 15
	s_cbranch_scc0 .LBB315_2142
; %bb.2138:
	global_load_u16 v1, v[4:5], off
	s_wait_loadcnt 0x1
	v_mov_b32_e32 v8, 0xff
	s_mov_b32 s16, exec_lo
	s_wait_loadcnt 0x0
	v_bfe_u32 v3, v1, 7, 8
	s_wait_xcnt 0x0
	s_delay_alu instid0(VALU_DEP_1)
	v_cmpx_ne_u32_e32 0xff, v3
	s_cbranch_execz .LBB315_2140
; %bb.2139:
	v_dual_lshlrev_b32 v8, 16, v1 :: v_dual_bitop2_b32 v9, 64, v1 bitop3:0x40
	v_lshrrev_b32_e32 v1, 7, v1
	s_delay_alu instid0(VALU_DEP_2) | instskip(NEXT) | instid1(VALU_DEP_3)
	v_and_or_b32 v3, 0x3f0000, v8, v3
	v_cmp_ne_u32_e32 vcc_lo, 0, v9
	s_delay_alu instid0(VALU_DEP_2) | instskip(SKIP_1) | instid1(SALU_CYCLE_1)
	v_cmp_ne_u32_e64 s0, 0, v3
	s_and_b32 s0, vcc_lo, s0
	v_cndmask_b32_e64 v3, 0, 1, s0
	s_delay_alu instid0(VALU_DEP_1)
	v_add_nc_u32_e32 v8, v1, v3
.LBB315_2140:
	s_or_b32 exec_lo, exec_lo, s16
	s_mov_b32 s16, 0
	s_mov_b32 s0, -1
	s_branch .LBB315_2144
.LBB315_2141:
	s_mov_b32 s19, -1
	s_branch .LBB315_2143
.LBB315_2142:
	s_mov_b32 s16, -1
.LBB315_2143:
                                        ; implicit-def: $vgpr8
.LBB315_2144:
	s_and_b32 vcc_lo, exec_lo, s19
	s_mov_b32 s19, 0
	s_cbranch_vccz .LBB315_2146
; %bb.2145:
	s_cmp_lg_u32 s14, 11
	s_mov_b32 s19, -1
	s_cselect_b32 s16, -1, 0
.LBB315_2146:
	s_delay_alu instid0(SALU_CYCLE_1)
	s_and_b32 vcc_lo, exec_lo, s16
	s_cbranch_vccnz .LBB315_2235
; %bb.2147:
	s_and_not1_b32 vcc_lo, exec_lo, s19
	s_cbranch_vccnz .LBB315_2151
.LBB315_2148:
	global_load_u8 v1, v[4:5], off
	s_mov_b32 s14, exec_lo
	s_wait_loadcnt 0x1
	v_mov_b32_e32 v8, 0xff
	s_wait_loadcnt 0x0
	v_cmp_ne_u16_e32 vcc_lo, 0, v1
	v_cndmask_b32_e64 v3, 0, 1.0, vcc_lo
	s_delay_alu instid0(VALU_DEP_1) | instskip(SKIP_1) | instid1(VALU_DEP_1)
	v_lshrrev_b32_e32 v1, 23, v3
	s_wait_xcnt 0x0
	v_cmpx_ne_u32_e32 0xff, v1
; %bb.2149:
	v_and_b32_e32 v8, 0x400000, v3
	v_and_or_b32 v3, 0x3fffff, v3, v1
	s_delay_alu instid0(VALU_DEP_2) | instskip(NEXT) | instid1(VALU_DEP_2)
	v_cmp_ne_u32_e32 vcc_lo, 0, v8
	v_cmp_ne_u32_e64 s0, 0, v3
	s_and_b32 s0, vcc_lo, s0
	s_delay_alu instid0(SALU_CYCLE_1) | instskip(NEXT) | instid1(VALU_DEP_1)
	v_cndmask_b32_e64 v3, 0, 1, s0
	v_add_nc_u32_e32 v8, v1, v3
; %bb.2150:
	s_or_b32 exec_lo, exec_lo, s14
	s_mov_b32 s0, -1
.LBB315_2151:
	s_branch .LBB315_2059
.LBB315_2152:
	s_and_b32 s14, 0xffff, s2
	s_delay_alu instid0(SALU_CYCLE_1)
	s_cmp_lt_i32 s14, 5
	s_cbranch_scc1 .LBB315_2159
; %bb.2153:
	s_cmp_lt_i32 s14, 8
	s_cbranch_scc1 .LBB315_2160
; %bb.2154:
	;; [unrolled: 3-line block ×3, first 2 shown]
	s_cmp_gt_i32 s14, 9
	s_cbranch_scc0 .LBB315_2162
; %bb.2156:
	s_wait_loadcnt 0x0
	global_load_b64 v[8:9], v[4:5], off
	s_mov_b32 s16, exec_lo
	s_wait_loadcnt 0x0
	v_cvt_f32_f64_e32 v1, v[8:9]
	v_mov_b32_e32 v8, 0xff
	s_delay_alu instid0(VALU_DEP_2) | instskip(SKIP_1) | instid1(VALU_DEP_1)
	v_bfe_u32 v3, v1, 23, 8
	s_wait_xcnt 0x0
	v_cmpx_ne_u32_e32 0xff, v3
	s_cbranch_execz .LBB315_2158
; %bb.2157:
	v_and_b32_e32 v8, 0x400000, v1
	v_and_or_b32 v3, 0x3fffff, v1, v3
	v_lshrrev_b32_e32 v1, 23, v1
	s_delay_alu instid0(VALU_DEP_3) | instskip(NEXT) | instid1(VALU_DEP_3)
	v_cmp_ne_u32_e32 vcc_lo, 0, v8
	v_cmp_ne_u32_e64 s0, 0, v3
	s_and_b32 s0, vcc_lo, s0
	s_delay_alu instid0(SALU_CYCLE_1) | instskip(NEXT) | instid1(VALU_DEP_1)
	v_cndmask_b32_e64 v3, 0, 1, s0
	v_add_nc_u32_e32 v8, v1, v3
.LBB315_2158:
	s_or_b32 exec_lo, exec_lo, s16
	s_mov_b32 s0, 0
	s_branch .LBB315_2163
.LBB315_2159:
                                        ; implicit-def: $vgpr8
	s_branch .LBB315_2191
.LBB315_2160:
	s_mov_b32 s0, -1
                                        ; implicit-def: $vgpr8
	s_branch .LBB315_2173
.LBB315_2161:
	s_mov_b32 s0, -1
                                        ; implicit-def: $vgpr8
	s_branch .LBB315_2168
.LBB315_2162:
	s_mov_b32 s0, -1
                                        ; implicit-def: $vgpr8
.LBB315_2163:
	s_delay_alu instid0(SALU_CYCLE_1)
	s_and_not1_b32 vcc_lo, exec_lo, s0
	s_cbranch_vccnz .LBB315_2167
; %bb.2164:
	global_load_b32 v1, v[4:5], off
	s_wait_loadcnt 0x1
	v_mov_b32_e32 v8, 0xff
	s_mov_b32 s16, exec_lo
	s_wait_loadcnt 0x0
	v_bfe_u32 v3, v1, 23, 8
	s_wait_xcnt 0x0
	s_delay_alu instid0(VALU_DEP_1)
	v_cmpx_ne_u32_e32 0xff, v3
	s_cbranch_execz .LBB315_2166
; %bb.2165:
	v_and_b32_e32 v8, 0x400000, v1
	v_and_or_b32 v3, 0x3fffff, v1, v3
	v_lshrrev_b32_e32 v1, 23, v1
	s_delay_alu instid0(VALU_DEP_3) | instskip(NEXT) | instid1(VALU_DEP_3)
	v_cmp_ne_u32_e32 vcc_lo, 0, v8
	v_cmp_ne_u32_e64 s0, 0, v3
	s_and_b32 s0, vcc_lo, s0
	s_delay_alu instid0(SALU_CYCLE_1) | instskip(NEXT) | instid1(VALU_DEP_1)
	v_cndmask_b32_e64 v3, 0, 1, s0
	v_add_nc_u32_e32 v8, v1, v3
.LBB315_2166:
	s_or_b32 exec_lo, exec_lo, s16
.LBB315_2167:
	s_mov_b32 s0, 0
.LBB315_2168:
	s_delay_alu instid0(SALU_CYCLE_1)
	s_and_not1_b32 vcc_lo, exec_lo, s0
	s_cbranch_vccnz .LBB315_2172
; %bb.2169:
	global_load_b32 v1, v[4:5], off
	s_wait_loadcnt 0x1
	v_mov_b32_e32 v8, 0xff
	s_mov_b32 s16, exec_lo
	s_wait_loadcnt 0x0
	v_cvt_f32_f16_e32 v1, v1
	s_delay_alu instid0(VALU_DEP_1) | instskip(SKIP_1) | instid1(VALU_DEP_1)
	v_bfe_u32 v3, v1, 23, 8
	s_wait_xcnt 0x0
	v_cmpx_ne_u32_e32 0xff, v3
	s_cbranch_execz .LBB315_2171
; %bb.2170:
	v_and_b32_e32 v8, 0x400000, v1
	v_and_or_b32 v3, 0x3fffff, v1, v3
	v_lshrrev_b32_e32 v1, 23, v1
	s_delay_alu instid0(VALU_DEP_3) | instskip(NEXT) | instid1(VALU_DEP_3)
	v_cmp_ne_u32_e32 vcc_lo, 0, v8
	v_cmp_ne_u32_e64 s0, 0, v3
	s_and_b32 s0, vcc_lo, s0
	s_delay_alu instid0(SALU_CYCLE_1) | instskip(NEXT) | instid1(VALU_DEP_1)
	v_cndmask_b32_e64 v3, 0, 1, s0
	v_add_nc_u32_e32 v8, v1, v3
.LBB315_2171:
	s_or_b32 exec_lo, exec_lo, s16
.LBB315_2172:
	s_mov_b32 s0, 0
.LBB315_2173:
	s_delay_alu instid0(SALU_CYCLE_1)
	s_and_not1_b32 vcc_lo, exec_lo, s0
	s_cbranch_vccnz .LBB315_2190
; %bb.2174:
	s_cmp_lt_i32 s14, 6
	s_cbranch_scc1 .LBB315_2179
; %bb.2175:
	s_cmp_gt_i32 s14, 6
	s_cbranch_scc0 .LBB315_2180
; %bb.2176:
	s_wait_loadcnt 0x0
	global_load_b64 v[8:9], v[4:5], off
	s_mov_b32 s16, exec_lo
	s_wait_loadcnt 0x0
	v_cvt_f32_f64_e32 v1, v[8:9]
	v_mov_b32_e32 v8, 0xff
	s_delay_alu instid0(VALU_DEP_2) | instskip(SKIP_1) | instid1(VALU_DEP_1)
	v_bfe_u32 v3, v1, 23, 8
	s_wait_xcnt 0x0
	v_cmpx_ne_u32_e32 0xff, v3
	s_cbranch_execz .LBB315_2178
; %bb.2177:
	v_and_b32_e32 v8, 0x400000, v1
	v_and_or_b32 v3, 0x3fffff, v1, v3
	v_lshrrev_b32_e32 v1, 23, v1
	s_delay_alu instid0(VALU_DEP_3) | instskip(NEXT) | instid1(VALU_DEP_3)
	v_cmp_ne_u32_e32 vcc_lo, 0, v8
	v_cmp_ne_u32_e64 s0, 0, v3
	s_and_b32 s0, vcc_lo, s0
	s_delay_alu instid0(SALU_CYCLE_1) | instskip(NEXT) | instid1(VALU_DEP_1)
	v_cndmask_b32_e64 v3, 0, 1, s0
	v_add_nc_u32_e32 v8, v1, v3
.LBB315_2178:
	s_or_b32 exec_lo, exec_lo, s16
	s_mov_b32 s0, 0
	s_branch .LBB315_2181
.LBB315_2179:
	s_mov_b32 s0, -1
                                        ; implicit-def: $vgpr8
	s_branch .LBB315_2186
.LBB315_2180:
	s_mov_b32 s0, -1
                                        ; implicit-def: $vgpr8
.LBB315_2181:
	s_delay_alu instid0(SALU_CYCLE_1)
	s_and_not1_b32 vcc_lo, exec_lo, s0
	s_cbranch_vccnz .LBB315_2185
; %bb.2182:
	global_load_b32 v1, v[4:5], off
	s_wait_loadcnt 0x1
	v_mov_b32_e32 v8, 0xff
	s_mov_b32 s16, exec_lo
	s_wait_loadcnt 0x0
	v_bfe_u32 v3, v1, 23, 8
	s_wait_xcnt 0x0
	s_delay_alu instid0(VALU_DEP_1)
	v_cmpx_ne_u32_e32 0xff, v3
	s_cbranch_execz .LBB315_2184
; %bb.2183:
	v_and_b32_e32 v8, 0x400000, v1
	v_and_or_b32 v3, 0x3fffff, v1, v3
	v_lshrrev_b32_e32 v1, 23, v1
	s_delay_alu instid0(VALU_DEP_3) | instskip(NEXT) | instid1(VALU_DEP_3)
	v_cmp_ne_u32_e32 vcc_lo, 0, v8
	v_cmp_ne_u32_e64 s0, 0, v3
	s_and_b32 s0, vcc_lo, s0
	s_delay_alu instid0(SALU_CYCLE_1) | instskip(NEXT) | instid1(VALU_DEP_1)
	v_cndmask_b32_e64 v3, 0, 1, s0
	v_add_nc_u32_e32 v8, v1, v3
.LBB315_2184:
	s_or_b32 exec_lo, exec_lo, s16
.LBB315_2185:
	s_mov_b32 s0, 0
.LBB315_2186:
	s_delay_alu instid0(SALU_CYCLE_1)
	s_and_not1_b32 vcc_lo, exec_lo, s0
	s_cbranch_vccnz .LBB315_2190
; %bb.2187:
	global_load_u16 v1, v[4:5], off
	s_wait_loadcnt 0x1
	v_mov_b32_e32 v8, 0xff
	s_mov_b32 s16, exec_lo
	s_wait_loadcnt 0x0
	v_cvt_f32_f16_e32 v1, v1
	s_delay_alu instid0(VALU_DEP_1) | instskip(SKIP_1) | instid1(VALU_DEP_1)
	v_bfe_u32 v3, v1, 23, 8
	s_wait_xcnt 0x0
	v_cmpx_ne_u32_e32 0xff, v3
	s_cbranch_execz .LBB315_2189
; %bb.2188:
	v_and_b32_e32 v8, 0x400000, v1
	v_and_or_b32 v3, 0x3fffff, v1, v3
	v_lshrrev_b32_e32 v1, 23, v1
	s_delay_alu instid0(VALU_DEP_3) | instskip(NEXT) | instid1(VALU_DEP_3)
	v_cmp_ne_u32_e32 vcc_lo, 0, v8
	v_cmp_ne_u32_e64 s0, 0, v3
	s_and_b32 s0, vcc_lo, s0
	s_delay_alu instid0(SALU_CYCLE_1) | instskip(NEXT) | instid1(VALU_DEP_1)
	v_cndmask_b32_e64 v3, 0, 1, s0
	v_add_nc_u32_e32 v8, v1, v3
.LBB315_2189:
	s_or_b32 exec_lo, exec_lo, s16
.LBB315_2190:
	s_cbranch_execnz .LBB315_2220
.LBB315_2191:
	s_cmp_lt_i32 s14, 2
	s_cbranch_scc1 .LBB315_2197
; %bb.2192:
	s_cmp_lt_i32 s14, 3
	s_cbranch_scc1 .LBB315_2198
; %bb.2193:
	s_cmp_gt_i32 s14, 3
	s_cbranch_scc0 .LBB315_2199
; %bb.2194:
	s_wait_loadcnt 0x0
	global_load_b64 v[8:9], v[4:5], off
	s_mov_b32 s16, exec_lo
	s_wait_loadcnt 0x0
	v_xor_b32_e32 v1, v8, v9
	v_cls_i32_e32 v3, v9
	s_delay_alu instid0(VALU_DEP_2) | instskip(NEXT) | instid1(VALU_DEP_1)
	v_ashrrev_i32_e32 v1, 31, v1
	v_add_nc_u32_e32 v1, 32, v1
	s_delay_alu instid0(VALU_DEP_1) | instskip(NEXT) | instid1(VALU_DEP_1)
	v_add_min_u32_e64 v1, v3, -1, v1
	v_lshlrev_b64_e32 v[8:9], v1, v[8:9]
	v_sub_nc_u32_e32 v1, 32, v1
	s_delay_alu instid0(VALU_DEP_2) | instskip(SKIP_1) | instid1(VALU_DEP_2)
	v_min_u32_e32 v3, 1, v8
	v_mov_b32_e32 v8, 0xff
	v_or_b32_e32 v3, v9, v3
	s_delay_alu instid0(VALU_DEP_1) | instskip(NEXT) | instid1(VALU_DEP_1)
	v_cvt_f32_i32_e32 v3, v3
	v_ldexp_f32 v1, v3, v1
	s_delay_alu instid0(VALU_DEP_1) | instskip(SKIP_1) | instid1(VALU_DEP_1)
	v_bfe_u32 v3, v1, 23, 8
	s_wait_xcnt 0x0
	v_cmpx_ne_u32_e32 0xff, v3
	s_cbranch_execz .LBB315_2196
; %bb.2195:
	v_and_b32_e32 v8, 0x400000, v1
	v_and_or_b32 v3, 0x3fffff, v1, v3
	v_lshrrev_b32_e32 v1, 23, v1
	s_delay_alu instid0(VALU_DEP_3) | instskip(NEXT) | instid1(VALU_DEP_3)
	v_cmp_ne_u32_e32 vcc_lo, 0, v8
	v_cmp_ne_u32_e64 s0, 0, v3
	s_and_b32 s0, vcc_lo, s0
	s_delay_alu instid0(SALU_CYCLE_1) | instskip(NEXT) | instid1(VALU_DEP_1)
	v_cndmask_b32_e64 v3, 0, 1, s0
	v_add_nc_u32_e32 v8, v1, v3
.LBB315_2196:
	s_or_b32 exec_lo, exec_lo, s16
	s_mov_b32 s0, 0
	s_branch .LBB315_2200
.LBB315_2197:
	s_mov_b32 s0, -1
                                        ; implicit-def: $vgpr8
	s_branch .LBB315_2210
.LBB315_2198:
	s_mov_b32 s0, -1
                                        ; implicit-def: $vgpr8
	s_branch .LBB315_2205
.LBB315_2199:
	s_mov_b32 s0, -1
                                        ; implicit-def: $vgpr8
.LBB315_2200:
	s_delay_alu instid0(SALU_CYCLE_1)
	s_and_not1_b32 vcc_lo, exec_lo, s0
	s_cbranch_vccnz .LBB315_2204
; %bb.2201:
	global_load_b32 v1, v[4:5], off
	s_wait_loadcnt 0x1
	v_mov_b32_e32 v8, 0xff
	s_mov_b32 s16, exec_lo
	s_wait_loadcnt 0x0
	v_cvt_f32_i32_e32 v1, v1
	s_delay_alu instid0(VALU_DEP_1) | instskip(SKIP_1) | instid1(VALU_DEP_1)
	v_bfe_u32 v3, v1, 23, 8
	s_wait_xcnt 0x0
	v_cmpx_ne_u32_e32 0xff, v3
	s_cbranch_execz .LBB315_2203
; %bb.2202:
	v_and_b32_e32 v8, 0x400000, v1
	v_and_or_b32 v3, 0x3fffff, v1, v3
	v_lshrrev_b32_e32 v1, 23, v1
	s_delay_alu instid0(VALU_DEP_3) | instskip(NEXT) | instid1(VALU_DEP_3)
	v_cmp_ne_u32_e32 vcc_lo, 0, v8
	v_cmp_ne_u32_e64 s0, 0, v3
	s_and_b32 s0, vcc_lo, s0
	s_delay_alu instid0(SALU_CYCLE_1) | instskip(NEXT) | instid1(VALU_DEP_1)
	v_cndmask_b32_e64 v3, 0, 1, s0
	v_add_nc_u32_e32 v8, v1, v3
.LBB315_2203:
	s_or_b32 exec_lo, exec_lo, s16
.LBB315_2204:
	s_mov_b32 s0, 0
.LBB315_2205:
	s_delay_alu instid0(SALU_CYCLE_1)
	s_and_not1_b32 vcc_lo, exec_lo, s0
	s_cbranch_vccnz .LBB315_2209
; %bb.2206:
	global_load_i16 v1, v[4:5], off
	s_wait_loadcnt 0x1
	v_mov_b32_e32 v8, 0xff
	s_mov_b32 s16, exec_lo
	s_wait_loadcnt 0x0
	v_cvt_f32_i32_e32 v1, v1
	s_delay_alu instid0(VALU_DEP_1) | instskip(SKIP_1) | instid1(VALU_DEP_1)
	v_bfe_u32 v3, v1, 23, 8
	s_wait_xcnt 0x0
	v_cmpx_ne_u32_e32 0xff, v3
	s_cbranch_execz .LBB315_2208
; %bb.2207:
	v_and_b32_e32 v8, 0x400000, v1
	v_and_or_b32 v3, 0x3fffff, v1, v3
	v_lshrrev_b32_e32 v1, 23, v1
	s_delay_alu instid0(VALU_DEP_3) | instskip(NEXT) | instid1(VALU_DEP_3)
	v_cmp_ne_u32_e32 vcc_lo, 0, v8
	v_cmp_ne_u32_e64 s0, 0, v3
	s_and_b32 s0, vcc_lo, s0
	s_delay_alu instid0(SALU_CYCLE_1) | instskip(NEXT) | instid1(VALU_DEP_1)
	v_cndmask_b32_e64 v3, 0, 1, s0
	v_add_nc_u32_e32 v8, v1, v3
.LBB315_2208:
	s_or_b32 exec_lo, exec_lo, s16
.LBB315_2209:
	s_mov_b32 s0, 0
.LBB315_2210:
	s_delay_alu instid0(SALU_CYCLE_1)
	s_and_not1_b32 vcc_lo, exec_lo, s0
	s_cbranch_vccnz .LBB315_2220
; %bb.2211:
	s_cmp_gt_i32 s14, 0
	s_cbranch_scc0 .LBB315_2215
; %bb.2212:
	global_load_i8 v1, v[4:5], off
	s_wait_loadcnt 0x1
	v_mov_b32_e32 v8, 0xff
	s_mov_b32 s14, exec_lo
	s_wait_loadcnt 0x0
	v_cvt_f32_i32_e32 v1, v1
	s_delay_alu instid0(VALU_DEP_1) | instskip(SKIP_1) | instid1(VALU_DEP_1)
	v_bfe_u32 v3, v1, 23, 8
	s_wait_xcnt 0x0
	v_cmpx_ne_u32_e32 0xff, v3
	s_cbranch_execz .LBB315_2214
; %bb.2213:
	v_and_b32_e32 v8, 0x400000, v1
	v_and_or_b32 v3, 0x3fffff, v1, v3
	v_lshrrev_b32_e32 v1, 23, v1
	s_delay_alu instid0(VALU_DEP_3) | instskip(NEXT) | instid1(VALU_DEP_3)
	v_cmp_ne_u32_e32 vcc_lo, 0, v8
	v_cmp_ne_u32_e64 s0, 0, v3
	s_and_b32 s0, vcc_lo, s0
	s_delay_alu instid0(SALU_CYCLE_1) | instskip(NEXT) | instid1(VALU_DEP_1)
	v_cndmask_b32_e64 v3, 0, 1, s0
	v_add_nc_u32_e32 v8, v1, v3
.LBB315_2214:
	s_or_b32 exec_lo, exec_lo, s14
	s_mov_b32 s0, 0
	s_branch .LBB315_2216
.LBB315_2215:
	s_mov_b32 s0, -1
                                        ; implicit-def: $vgpr8
.LBB315_2216:
	s_delay_alu instid0(SALU_CYCLE_1)
	s_and_not1_b32 vcc_lo, exec_lo, s0
	s_cbranch_vccnz .LBB315_2220
; %bb.2217:
	global_load_u8 v1, v[4:5], off
	s_mov_b32 s14, exec_lo
	s_wait_loadcnt 0x1
	v_mov_b32_e32 v8, 0xff
	s_wait_loadcnt 0x0
	v_cvt_f32_ubyte0_e32 v3, v1
	s_delay_alu instid0(VALU_DEP_1) | instskip(SKIP_1) | instid1(VALU_DEP_1)
	v_lshrrev_b32_e32 v1, 23, v3
	s_wait_xcnt 0x0
	v_cmpx_ne_u32_e32 0xff, v1
; %bb.2218:
	v_and_b32_e32 v4, 0x400000, v3
	v_and_or_b32 v3, 0x3fffff, v3, v1
	s_delay_alu instid0(VALU_DEP_2) | instskip(NEXT) | instid1(VALU_DEP_2)
	v_cmp_ne_u32_e32 vcc_lo, 0, v4
	v_cmp_ne_u32_e64 s0, 0, v3
	s_and_b32 s0, vcc_lo, s0
	s_delay_alu instid0(SALU_CYCLE_1) | instskip(NEXT) | instid1(VALU_DEP_1)
	v_cndmask_b32_e64 v3, 0, 1, s0
	v_add_nc_u32_e32 v8, v1, v3
; %bb.2219:
	s_or_b32 exec_lo, exec_lo, s14
.LBB315_2220:
.LBB315_2221:
	s_lshl_b32 s9, s9, 7
	s_cmp_lt_i32 s1, 11
	v_add_nc_u32_e32 v0, s9, v0
	s_delay_alu instid0(VALU_DEP_1) | instskip(SKIP_1) | instid1(VALU_DEP_1)
	v_ashrrev_i32_e32 v1, 31, v0
	s_wait_xcnt 0x0
	v_add_nc_u64_e32 v[4:5], s[6:7], v[0:1]
	s_cbranch_scc1 .LBB315_2230
; %bb.2222:
	s_and_b32 s14, 0xffff, s1
	s_mov_b32 s19, 0
	s_cmp_gt_i32 s14, 25
	s_cbranch_scc0 .LBB315_2232
; %bb.2223:
	s_cmp_gt_i32 s14, 28
	s_cbranch_scc0 .LBB315_2233
; %bb.2224:
	;; [unrolled: 3-line block ×4, first 2 shown]
	s_cmp_eq_u32 s14, 46
	s_mov_b32 s20, 0
	s_cbranch_scc0 .LBB315_2237
; %bb.2227:
	global_load_b32 v1, v[4:5], off
	v_mov_b32_e32 v9, 0xff
	s_mov_b32 s16, exec_lo
	s_wait_loadcnt 0x0
	v_lshlrev_b32_e32 v3, 16, v1
	s_delay_alu instid0(VALU_DEP_1) | instskip(SKIP_1) | instid1(VALU_DEP_1)
	v_bfe_u32 v10, v3, 23, 8
	s_wait_xcnt 0x0
	v_cmpx_ne_u32_e32 0xff, v10
	s_cbranch_execz .LBB315_2229
; %bb.2228:
	v_and_b32_e32 v9, 64, v1
	v_and_or_b32 v3, 0x3f0000, v3, v10
	v_bfe_u32 v1, v1, 7, 9
	s_delay_alu instid0(VALU_DEP_3) | instskip(NEXT) | instid1(VALU_DEP_3)
	v_cmp_ne_u32_e32 vcc_lo, 0, v9
	v_cmp_ne_u32_e64 s0, 0, v3
	s_and_b32 s0, vcc_lo, s0
	s_delay_alu instid0(SALU_CYCLE_1) | instskip(NEXT) | instid1(VALU_DEP_1)
	v_cndmask_b32_e64 v3, 0, 1, s0
	v_add_nc_u32_e32 v9, v1, v3
.LBB315_2229:
	s_or_b32 exec_lo, exec_lo, s16
	s_mov_b32 s16, 0
	s_mov_b32 s0, -1
	s_branch .LBB315_2239
.LBB315_2230:
	s_mov_b32 s0, 0
                                        ; implicit-def: $vgpr9
	s_cbranch_execnz .LBB315_2323
.LBB315_2231:
	s_and_not1_b32 vcc_lo, exec_lo, s0
	s_cbranch_vccz .LBB315_2393
	s_branch .LBB315_3690
.LBB315_2232:
	s_mov_b32 s20, -1
	s_mov_b32 s0, 0
	s_mov_b32 s16, 0
                                        ; implicit-def: $vgpr9
	s_branch .LBB315_2278
.LBB315_2233:
	s_mov_b32 s20, -1
	s_mov_b32 s0, 0
	s_mov_b32 s16, 0
                                        ; implicit-def: $vgpr9
	s_branch .LBB315_2251
.LBB315_2234:
	s_mov_b32 s20, -1
	s_mov_b32 s0, 0
	s_mov_b32 s16, 0
                                        ; implicit-def: $vgpr9
	s_branch .LBB315_2244
.LBB315_2235:
	s_or_b32 s15, s15, exec_lo
	s_trap 2
	s_cbranch_execz .LBB315_2148
	s_branch .LBB315_2151
.LBB315_2236:
	s_mov_b32 s20, -1
	s_mov_b32 s0, 0
	s_mov_b32 s16, 0
	s_branch .LBB315_2238
.LBB315_2237:
	s_mov_b32 s16, -1
	s_mov_b32 s0, 0
.LBB315_2238:
                                        ; implicit-def: $vgpr9
.LBB315_2239:
	s_and_b32 vcc_lo, exec_lo, s20
	s_cbranch_vccz .LBB315_2243
; %bb.2240:
	s_cmp_eq_u32 s14, 44
	s_cbranch_scc0 .LBB315_2242
; %bb.2241:
	global_load_u8 v9, v[4:5], off
	s_mov_b32 s16, 0
	s_mov_b32 s0, -1
	s_branch .LBB315_2243
.LBB315_2242:
	s_mov_b32 s16, -1
                                        ; implicit-def: $vgpr9
.LBB315_2243:
	s_mov_b32 s20, 0
.LBB315_2244:
	s_delay_alu instid0(SALU_CYCLE_1)
	s_and_b32 vcc_lo, exec_lo, s20
	s_cbranch_vccz .LBB315_2250
; %bb.2245:
	s_cmp_eq_u32 s14, 29
	s_cbranch_scc0 .LBB315_2249
; %bb.2246:
	global_load_b64 v[10:11], v[4:5], off
	s_wait_loadcnt 0x1
	v_mov_b32_e32 v9, 0xff
	s_mov_b32 s16, exec_lo
	s_wait_loadcnt 0x0
	v_clz_i32_u32_e32 v1, v11
	s_delay_alu instid0(VALU_DEP_1) | instskip(NEXT) | instid1(VALU_DEP_1)
	v_min_u32_e32 v1, 32, v1
	v_lshlrev_b64_e32 v[10:11], v1, v[10:11]
	v_sub_nc_u32_e32 v1, 32, v1
	s_delay_alu instid0(VALU_DEP_2) | instskip(NEXT) | instid1(VALU_DEP_1)
	v_min_u32_e32 v3, 1, v10
	v_or_b32_e32 v3, v11, v3
	s_delay_alu instid0(VALU_DEP_1) | instskip(NEXT) | instid1(VALU_DEP_1)
	v_cvt_f32_u32_e32 v3, v3
	v_ldexp_f32 v3, v3, v1
	s_delay_alu instid0(VALU_DEP_1) | instskip(SKIP_1) | instid1(VALU_DEP_1)
	v_lshrrev_b32_e32 v1, 23, v3
	s_wait_xcnt 0x0
	v_cmpx_ne_u32_e32 0xff, v1
; %bb.2247:
	v_and_b32_e32 v9, 0x400000, v3
	v_and_or_b32 v3, 0x3fffff, v3, v1
	s_delay_alu instid0(VALU_DEP_2) | instskip(NEXT) | instid1(VALU_DEP_2)
	v_cmp_ne_u32_e32 vcc_lo, 0, v9
	v_cmp_ne_u32_e64 s0, 0, v3
	s_and_b32 s0, vcc_lo, s0
	s_delay_alu instid0(SALU_CYCLE_1) | instskip(NEXT) | instid1(VALU_DEP_1)
	v_cndmask_b32_e64 v3, 0, 1, s0
	v_add_nc_u32_e32 v9, v1, v3
; %bb.2248:
	s_or_b32 exec_lo, exec_lo, s16
	s_mov_b32 s16, 0
	s_mov_b32 s0, -1
	s_branch .LBB315_2250
.LBB315_2249:
	s_mov_b32 s16, -1
                                        ; implicit-def: $vgpr9
.LBB315_2250:
	s_mov_b32 s20, 0
.LBB315_2251:
	s_delay_alu instid0(SALU_CYCLE_1)
	s_and_b32 vcc_lo, exec_lo, s20
	s_cbranch_vccz .LBB315_2277
; %bb.2252:
	s_cmp_lt_i32 s14, 27
	s_cbranch_scc1 .LBB315_2257
; %bb.2253:
	s_cmp_gt_i32 s14, 27
	s_cbranch_scc0 .LBB315_2258
; %bb.2254:
	global_load_b32 v1, v[4:5], off
	s_wait_loadcnt 0x1
	v_mov_b32_e32 v9, 0xff
	s_mov_b32 s20, exec_lo
	s_wait_loadcnt 0x0
	v_cvt_f32_u32_e32 v3, v1
	s_delay_alu instid0(VALU_DEP_1) | instskip(SKIP_1) | instid1(VALU_DEP_1)
	v_lshrrev_b32_e32 v1, 23, v3
	s_wait_xcnt 0x0
	v_cmpx_ne_u32_e32 0xff, v1
; %bb.2255:
	v_and_b32_e32 v9, 0x400000, v3
	v_and_or_b32 v3, 0x3fffff, v3, v1
	s_delay_alu instid0(VALU_DEP_2) | instskip(NEXT) | instid1(VALU_DEP_2)
	v_cmp_ne_u32_e32 vcc_lo, 0, v9
	v_cmp_ne_u32_e64 s0, 0, v3
	s_and_b32 s0, vcc_lo, s0
	s_delay_alu instid0(SALU_CYCLE_1) | instskip(NEXT) | instid1(VALU_DEP_1)
	v_cndmask_b32_e64 v3, 0, 1, s0
	v_add_nc_u32_e32 v9, v1, v3
; %bb.2256:
	s_or_b32 exec_lo, exec_lo, s20
	s_mov_b32 s0, 0
	s_branch .LBB315_2259
.LBB315_2257:
	s_mov_b32 s0, -1
                                        ; implicit-def: $vgpr9
	s_branch .LBB315_2264
.LBB315_2258:
	s_mov_b32 s0, -1
                                        ; implicit-def: $vgpr9
.LBB315_2259:
	s_delay_alu instid0(SALU_CYCLE_1)
	s_and_not1_b32 vcc_lo, exec_lo, s0
	s_cbranch_vccnz .LBB315_2263
; %bb.2260:
	global_load_u16 v1, v[4:5], off
	s_wait_loadcnt 0x1
	v_mov_b32_e32 v9, 0xff
	s_mov_b32 s20, exec_lo
	s_wait_loadcnt 0x0
	v_cvt_f32_u32_e32 v3, v1
	s_delay_alu instid0(VALU_DEP_1) | instskip(SKIP_1) | instid1(VALU_DEP_1)
	v_lshrrev_b32_e32 v1, 23, v3
	s_wait_xcnt 0x0
	v_cmpx_ne_u32_e32 0xff, v1
; %bb.2261:
	v_and_b32_e32 v9, 0x400000, v3
	v_and_or_b32 v3, 0x3fffff, v3, v1
	s_delay_alu instid0(VALU_DEP_2) | instskip(NEXT) | instid1(VALU_DEP_2)
	v_cmp_ne_u32_e32 vcc_lo, 0, v9
	v_cmp_ne_u32_e64 s0, 0, v3
	s_and_b32 s0, vcc_lo, s0
	s_delay_alu instid0(SALU_CYCLE_1) | instskip(NEXT) | instid1(VALU_DEP_1)
	v_cndmask_b32_e64 v3, 0, 1, s0
	v_add_nc_u32_e32 v9, v1, v3
; %bb.2262:
	s_or_b32 exec_lo, exec_lo, s20
.LBB315_2263:
	s_mov_b32 s0, 0
.LBB315_2264:
	s_delay_alu instid0(SALU_CYCLE_1)
	s_and_not1_b32 vcc_lo, exec_lo, s0
	s_cbranch_vccnz .LBB315_2276
; %bb.2265:
	global_load_u8 v1, v[4:5], off
	s_mov_b32 s0, 0
	s_mov_b32 s20, exec_lo
	s_wait_loadcnt 0x0
	v_cmpx_lt_i16_e32 0x7f, v1
	s_xor_b32 s20, exec_lo, s20
	s_cbranch_execz .LBB315_2269
; %bb.2266:
	s_mov_b32 s0, -1
	s_mov_b32 s21, exec_lo
	v_cmpx_eq_u16_e32 0x80, v1
; %bb.2267:
	s_xor_b32 s0, exec_lo, -1
; %bb.2268:
	s_or_b32 exec_lo, exec_lo, s21
	s_delay_alu instid0(SALU_CYCLE_1)
	s_and_b32 s0, s0, exec_lo
.LBB315_2269:
	s_or_saveexec_b32 s20, s20
	v_mov_b32_e32 v3, 0x7f800001
	v_and_b32_e32 v9, 0xffff, v1
	s_xor_b32 exec_lo, exec_lo, s20
; %bb.2270:
	v_cmp_ne_u16_e32 vcc_lo, 0, v1
	s_delay_alu instid0(VALU_DEP_2) | instskip(SKIP_2) | instid1(SALU_CYCLE_1)
	v_mov_b32_e32 v3, v9
	s_and_not1_b32 s0, s0, exec_lo
	s_and_b32 s21, vcc_lo, exec_lo
	s_or_b32 s0, s0, s21
; %bb.2271:
	s_or_b32 exec_lo, exec_lo, s20
	s_and_saveexec_b32 s20, s0
	s_cbranch_execz .LBB315_2273
; %bb.2272:
	v_and_b32_e32 v1, 7, v9
	s_delay_alu instid0(VALU_DEP_1) | instskip(NEXT) | instid1(VALU_DEP_1)
	v_clz_i32_u32_e32 v3, v1
	v_min_u32_e32 v3, 32, v3
	s_delay_alu instid0(VALU_DEP_1) | instskip(NEXT) | instid1(VALU_DEP_1)
	v_subrev_nc_u32_e32 v10, 28, v3
	v_lshlrev_b32_e32 v10, v10, v9
	v_bfe_u32 v9, v9, 3, 4
	s_delay_alu instid0(VALU_DEP_2) | instskip(NEXT) | instid1(VALU_DEP_2)
	v_dual_sub_nc_u32 v3, 29, v3 :: v_dual_bitop2_b32 v10, 7, v10 bitop3:0x40
	v_cmp_eq_u32_e32 vcc_lo, 0, v9
	s_delay_alu instid0(VALU_DEP_2) | instskip(NEXT) | instid1(VALU_DEP_1)
	v_cndmask_b32_e32 v1, v1, v10, vcc_lo
	v_dual_cndmask_b32 v3, v9, v3, vcc_lo :: v_dual_lshlrev_b32 v1, 20, v1
	s_delay_alu instid0(VALU_DEP_1) | instskip(NEXT) | instid1(VALU_DEP_1)
	v_lshl_or_b32 v1, v3, 23, v1
	v_add_nc_u32_e32 v3, 0x3b800000, v1
.LBB315_2273:
	s_or_b32 exec_lo, exec_lo, s20
	s_delay_alu instid0(VALU_DEP_1) | instskip(SKIP_2) | instid1(VALU_DEP_2)
	v_lshrrev_b32_e32 v1, 23, v3
	v_mov_b32_e32 v9, 0xff
	s_mov_b32 s20, exec_lo
	v_cmpx_ne_u32_e32 0xff, v1
; %bb.2274:
	v_and_b32_e32 v9, 0x400000, v3
	v_and_or_b32 v3, 0x3fffff, v3, v1
	s_delay_alu instid0(VALU_DEP_2) | instskip(NEXT) | instid1(VALU_DEP_2)
	v_cmp_ne_u32_e32 vcc_lo, 0, v9
	v_cmp_ne_u32_e64 s0, 0, v3
	s_and_b32 s0, vcc_lo, s0
	s_delay_alu instid0(SALU_CYCLE_1) | instskip(NEXT) | instid1(VALU_DEP_1)
	v_cndmask_b32_e64 v3, 0, 1, s0
	v_add_nc_u32_e32 v9, v1, v3
; %bb.2275:
	s_or_b32 exec_lo, exec_lo, s20
.LBB315_2276:
	s_mov_b32 s0, -1
.LBB315_2277:
	s_mov_b32 s20, 0
.LBB315_2278:
	s_delay_alu instid0(SALU_CYCLE_1)
	s_and_b32 vcc_lo, exec_lo, s20
	s_cbranch_vccz .LBB315_2317
; %bb.2279:
	s_cmp_gt_i32 s14, 22
	s_cbranch_scc0 .LBB315_2293
; %bb.2280:
	s_cmp_lt_i32 s14, 24
	s_cbranch_scc1 .LBB315_2294
; %bb.2281:
	s_cmp_gt_i32 s14, 24
	s_cbranch_scc0 .LBB315_2295
; %bb.2282:
	global_load_u8 v1, v[4:5], off
	s_mov_b32 s0, 0
	s_mov_b32 s19, exec_lo
	s_wait_loadcnt 0x0
	v_cmpx_lt_i16_e32 0x7f, v1
	s_xor_b32 s19, exec_lo, s19
	s_cbranch_execz .LBB315_2286
; %bb.2283:
	s_mov_b32 s0, -1
	s_mov_b32 s20, exec_lo
	v_cmpx_eq_u16_e32 0x80, v1
; %bb.2284:
	s_xor_b32 s0, exec_lo, -1
; %bb.2285:
	s_or_b32 exec_lo, exec_lo, s20
	s_delay_alu instid0(SALU_CYCLE_1)
	s_and_b32 s0, s0, exec_lo
.LBB315_2286:
	s_or_saveexec_b32 s19, s19
	v_mov_b32_e32 v3, 0x7f800001
	v_and_b32_e32 v9, 0xffff, v1
	s_xor_b32 exec_lo, exec_lo, s19
; %bb.2287:
	v_cmp_ne_u16_e32 vcc_lo, 0, v1
	s_delay_alu instid0(VALU_DEP_2) | instskip(SKIP_2) | instid1(SALU_CYCLE_1)
	v_mov_b32_e32 v3, v9
	s_and_not1_b32 s0, s0, exec_lo
	s_and_b32 s20, vcc_lo, exec_lo
	s_or_b32 s0, s0, s20
; %bb.2288:
	s_or_b32 exec_lo, exec_lo, s19
	s_and_saveexec_b32 s19, s0
	s_cbranch_execz .LBB315_2290
; %bb.2289:
	v_and_b32_e32 v1, 3, v9
	s_delay_alu instid0(VALU_DEP_1) | instskip(NEXT) | instid1(VALU_DEP_1)
	v_clz_i32_u32_e32 v3, v1
	v_min_u32_e32 v3, 32, v3
	s_delay_alu instid0(VALU_DEP_1) | instskip(NEXT) | instid1(VALU_DEP_1)
	v_subrev_nc_u32_e32 v10, 29, v3
	v_lshlrev_b32_e32 v10, v10, v9
	v_bfe_u32 v9, v9, 2, 5
	s_delay_alu instid0(VALU_DEP_2) | instskip(NEXT) | instid1(VALU_DEP_2)
	v_dual_sub_nc_u32 v3, 30, v3 :: v_dual_bitop2_b32 v10, 3, v10 bitop3:0x40
	v_cmp_eq_u32_e32 vcc_lo, 0, v9
	s_delay_alu instid0(VALU_DEP_2) | instskip(NEXT) | instid1(VALU_DEP_1)
	v_cndmask_b32_e32 v1, v1, v10, vcc_lo
	v_dual_cndmask_b32 v3, v9, v3, vcc_lo :: v_dual_lshlrev_b32 v1, 21, v1
	s_delay_alu instid0(VALU_DEP_1) | instskip(NEXT) | instid1(VALU_DEP_1)
	v_lshl_or_b32 v1, v3, 23, v1
	v_add_nc_u32_e32 v3, 0x37800000, v1
.LBB315_2290:
	s_or_b32 exec_lo, exec_lo, s19
	s_delay_alu instid0(VALU_DEP_1) | instskip(SKIP_2) | instid1(VALU_DEP_2)
	v_lshrrev_b32_e32 v1, 23, v3
	v_mov_b32_e32 v9, 0xff
	s_mov_b32 s19, exec_lo
	v_cmpx_ne_u32_e32 0xff, v1
; %bb.2291:
	v_and_b32_e32 v9, 0x400000, v3
	v_and_or_b32 v3, 0x3fffff, v3, v1
	s_delay_alu instid0(VALU_DEP_2) | instskip(NEXT) | instid1(VALU_DEP_2)
	v_cmp_ne_u32_e32 vcc_lo, 0, v9
	v_cmp_ne_u32_e64 s0, 0, v3
	s_and_b32 s0, vcc_lo, s0
	s_delay_alu instid0(SALU_CYCLE_1) | instskip(NEXT) | instid1(VALU_DEP_1)
	v_cndmask_b32_e64 v3, 0, 1, s0
	v_add_nc_u32_e32 v9, v1, v3
; %bb.2292:
	s_or_b32 exec_lo, exec_lo, s19
	s_mov_b32 s0, 0
	s_branch .LBB315_2296
.LBB315_2293:
	s_mov_b32 s19, -1
                                        ; implicit-def: $vgpr9
	s_branch .LBB315_2306
.LBB315_2294:
	s_mov_b32 s0, -1
                                        ; implicit-def: $vgpr9
	s_branch .LBB315_2301
.LBB315_2295:
	s_mov_b32 s0, -1
                                        ; implicit-def: $vgpr9
.LBB315_2296:
	s_delay_alu instid0(SALU_CYCLE_1)
	s_and_b32 vcc_lo, exec_lo, s0
	s_cbranch_vccz .LBB315_2300
; %bb.2297:
	global_load_u8 v1, v[4:5], off
	s_mov_b32 s19, exec_lo
	s_wait_loadcnt 0x0
	v_lshlrev_b32_e32 v1, 24, v1
	s_delay_alu instid0(VALU_DEP_1) | instskip(NEXT) | instid1(VALU_DEP_1)
	v_and_b32_e32 v1, 0x7f000000, v1
	v_clz_i32_u32_e32 v3, v1
	v_cmp_ne_u32_e32 vcc_lo, 0, v1
	v_add_nc_u32_e32 v10, 0x1000000, v1
	s_delay_alu instid0(VALU_DEP_3) | instskip(NEXT) | instid1(VALU_DEP_1)
	v_min_u32_e32 v3, 32, v3
	v_sub_nc_u32_e64 v3, v3, 4 clamp
	s_delay_alu instid0(VALU_DEP_1) | instskip(NEXT) | instid1(VALU_DEP_1)
	v_dual_lshlrev_b32 v9, v3, v1 :: v_dual_lshlrev_b32 v3, 23, v3
	v_lshrrev_b32_e32 v9, 4, v9
	s_delay_alu instid0(VALU_DEP_1) | instskip(NEXT) | instid1(VALU_DEP_1)
	v_dual_sub_nc_u32 v3, v9, v3 :: v_dual_ashrrev_i32 v9, 8, v10
	v_add_nc_u32_e32 v3, 0x3c000000, v3
	s_delay_alu instid0(VALU_DEP_1) | instskip(SKIP_1) | instid1(VALU_DEP_2)
	v_and_or_b32 v3, 0x7f800000, v9, v3
	v_mov_b32_e32 v9, 0xff
	v_cndmask_b32_e32 v3, 0, v3, vcc_lo
	s_delay_alu instid0(VALU_DEP_1) | instskip(SKIP_1) | instid1(VALU_DEP_1)
	v_lshrrev_b32_e32 v1, 23, v3
	s_wait_xcnt 0x0
	v_cmpx_ne_u32_e32 0xff, v1
; %bb.2298:
	v_and_b32_e32 v9, 0x400000, v3
	v_and_or_b32 v3, 0x3fffff, v3, v1
	s_delay_alu instid0(VALU_DEP_2) | instskip(NEXT) | instid1(VALU_DEP_2)
	v_cmp_ne_u32_e32 vcc_lo, 0, v9
	v_cmp_ne_u32_e64 s0, 0, v3
	s_and_b32 s0, vcc_lo, s0
	s_delay_alu instid0(SALU_CYCLE_1) | instskip(NEXT) | instid1(VALU_DEP_1)
	v_cndmask_b32_e64 v3, 0, 1, s0
	v_add_nc_u32_e32 v9, v1, v3
; %bb.2299:
	s_or_b32 exec_lo, exec_lo, s19
.LBB315_2300:
	s_mov_b32 s0, 0
.LBB315_2301:
	s_delay_alu instid0(SALU_CYCLE_1)
	s_and_not1_b32 vcc_lo, exec_lo, s0
	s_cbranch_vccnz .LBB315_2305
; %bb.2302:
	global_load_u8 v1, v[4:5], off
	s_mov_b32 s19, exec_lo
	s_wait_loadcnt 0x0
	v_dual_lshlrev_b32 v3, 25, v1 :: v_dual_lshlrev_b32 v1, 8, v1
	s_delay_alu instid0(VALU_DEP_1) | instskip(NEXT) | instid1(VALU_DEP_2)
	v_cmp_gt_u32_e32 vcc_lo, 0x8000000, v3
	v_and_or_b32 v1, 0x7f00, v1, 0.5
	s_delay_alu instid0(VALU_DEP_1) | instskip(NEXT) | instid1(VALU_DEP_1)
	v_dual_lshrrev_b32 v9, 4, v3 :: v_dual_add_f32 v1, -0.5, v1
	v_or_b32_e32 v9, 0x70000000, v9
	s_delay_alu instid0(VALU_DEP_1) | instskip(NEXT) | instid1(VALU_DEP_1)
	v_mul_f32_e32 v9, 0x7800000, v9
	v_cndmask_b32_e32 v1, v9, v1, vcc_lo
	v_mov_b32_e32 v9, 0xff
	s_delay_alu instid0(VALU_DEP_2) | instskip(SKIP_1) | instid1(VALU_DEP_1)
	v_bfe_u32 v3, v1, 23, 8
	s_wait_xcnt 0x0
	v_cmpx_ne_u32_e32 0xff, v3
	s_cbranch_execz .LBB315_2304
; %bb.2303:
	v_and_b32_e32 v9, 0x400000, v1
	v_and_or_b32 v3, 0x3fffff, v1, v3
	v_lshrrev_b32_e32 v1, 23, v1
	s_delay_alu instid0(VALU_DEP_3) | instskip(NEXT) | instid1(VALU_DEP_3)
	v_cmp_ne_u32_e32 vcc_lo, 0, v9
	v_cmp_ne_u32_e64 s0, 0, v3
	s_and_b32 s0, vcc_lo, s0
	s_delay_alu instid0(SALU_CYCLE_1) | instskip(NEXT) | instid1(VALU_DEP_1)
	v_cndmask_b32_e64 v3, 0, 1, s0
	v_add_nc_u32_e32 v9, v1, v3
.LBB315_2304:
	s_or_b32 exec_lo, exec_lo, s19
.LBB315_2305:
	s_mov_b32 s19, 0
	s_mov_b32 s0, -1
.LBB315_2306:
	s_and_not1_b32 vcc_lo, exec_lo, s19
	s_mov_b32 s19, 0
	s_cbranch_vccnz .LBB315_2317
; %bb.2307:
	s_cmp_gt_i32 s14, 14
	s_cbranch_scc0 .LBB315_2312
; %bb.2308:
	s_cmp_eq_u32 s14, 15
	s_cbranch_scc0 .LBB315_2313
; %bb.2309:
	global_load_u16 v1, v[4:5], off
	s_wait_loadcnt 0x1
	v_mov_b32_e32 v9, 0xff
	s_mov_b32 s16, exec_lo
	s_wait_loadcnt 0x0
	v_bfe_u32 v3, v1, 7, 8
	s_wait_xcnt 0x0
	s_delay_alu instid0(VALU_DEP_1)
	v_cmpx_ne_u32_e32 0xff, v3
	s_cbranch_execz .LBB315_2311
; %bb.2310:
	v_dual_lshlrev_b32 v9, 16, v1 :: v_dual_bitop2_b32 v10, 64, v1 bitop3:0x40
	v_lshrrev_b32_e32 v1, 7, v1
	s_delay_alu instid0(VALU_DEP_2) | instskip(NEXT) | instid1(VALU_DEP_3)
	v_and_or_b32 v3, 0x3f0000, v9, v3
	v_cmp_ne_u32_e32 vcc_lo, 0, v10
	s_delay_alu instid0(VALU_DEP_2) | instskip(SKIP_1) | instid1(SALU_CYCLE_1)
	v_cmp_ne_u32_e64 s0, 0, v3
	s_and_b32 s0, vcc_lo, s0
	v_cndmask_b32_e64 v3, 0, 1, s0
	s_delay_alu instid0(VALU_DEP_1)
	v_add_nc_u32_e32 v9, v1, v3
.LBB315_2311:
	s_or_b32 exec_lo, exec_lo, s16
	s_mov_b32 s16, 0
	s_mov_b32 s0, -1
	s_branch .LBB315_2315
.LBB315_2312:
	s_mov_b32 s19, -1
	s_branch .LBB315_2314
.LBB315_2313:
	s_mov_b32 s16, -1
.LBB315_2314:
                                        ; implicit-def: $vgpr9
.LBB315_2315:
	s_and_b32 vcc_lo, exec_lo, s19
	s_mov_b32 s19, 0
	s_cbranch_vccz .LBB315_2317
; %bb.2316:
	s_cmp_lg_u32 s14, 11
	s_mov_b32 s19, -1
	s_cselect_b32 s16, -1, 0
.LBB315_2317:
	s_delay_alu instid0(SALU_CYCLE_1)
	s_and_b32 vcc_lo, exec_lo, s16
	s_cbranch_vccnz .LBB315_2406
; %bb.2318:
	s_and_not1_b32 vcc_lo, exec_lo, s19
	s_cbranch_vccnz .LBB315_2322
.LBB315_2319:
	global_load_u8 v1, v[4:5], off
	s_wait_loadcnt 0x1
	v_mov_b32_e32 v9, 0xff
	s_mov_b32 s14, exec_lo
	s_wait_loadcnt 0x0
	v_cmp_ne_u16_e32 vcc_lo, 0, v1
	v_cndmask_b32_e64 v3, 0, 1.0, vcc_lo
	s_delay_alu instid0(VALU_DEP_1) | instskip(SKIP_1) | instid1(VALU_DEP_1)
	v_lshrrev_b32_e32 v1, 23, v3
	s_wait_xcnt 0x0
	v_cmpx_ne_u32_e32 0xff, v1
; %bb.2320:
	v_and_b32_e32 v9, 0x400000, v3
	v_and_or_b32 v3, 0x3fffff, v3, v1
	s_delay_alu instid0(VALU_DEP_2) | instskip(NEXT) | instid1(VALU_DEP_2)
	v_cmp_ne_u32_e32 vcc_lo, 0, v9
	v_cmp_ne_u32_e64 s0, 0, v3
	s_and_b32 s0, vcc_lo, s0
	s_delay_alu instid0(SALU_CYCLE_1) | instskip(NEXT) | instid1(VALU_DEP_1)
	v_cndmask_b32_e64 v3, 0, 1, s0
	v_add_nc_u32_e32 v9, v1, v3
; %bb.2321:
	s_or_b32 exec_lo, exec_lo, s14
	s_mov_b32 s0, -1
.LBB315_2322:
	s_branch .LBB315_2231
.LBB315_2323:
	s_and_b32 s14, 0xffff, s1
	s_delay_alu instid0(SALU_CYCLE_1)
	s_cmp_lt_i32 s14, 5
	s_cbranch_scc1 .LBB315_2330
; %bb.2324:
	s_cmp_lt_i32 s14, 8
	s_cbranch_scc1 .LBB315_2331
; %bb.2325:
	;; [unrolled: 3-line block ×3, first 2 shown]
	s_cmp_gt_i32 s14, 9
	s_cbranch_scc0 .LBB315_2333
; %bb.2327:
	global_load_b64 v[10:11], v[4:5], off
	s_wait_loadcnt 0x1
	v_mov_b32_e32 v9, 0xff
	s_mov_b32 s16, exec_lo
	s_wait_loadcnt 0x0
	v_cvt_f32_f64_e32 v1, v[10:11]
	s_delay_alu instid0(VALU_DEP_1) | instskip(SKIP_1) | instid1(VALU_DEP_1)
	v_bfe_u32 v3, v1, 23, 8
	s_wait_xcnt 0x0
	v_cmpx_ne_u32_e32 0xff, v3
	s_cbranch_execz .LBB315_2329
; %bb.2328:
	v_and_b32_e32 v9, 0x400000, v1
	v_and_or_b32 v3, 0x3fffff, v1, v3
	v_lshrrev_b32_e32 v1, 23, v1
	s_delay_alu instid0(VALU_DEP_3) | instskip(NEXT) | instid1(VALU_DEP_3)
	v_cmp_ne_u32_e32 vcc_lo, 0, v9
	v_cmp_ne_u32_e64 s0, 0, v3
	s_and_b32 s0, vcc_lo, s0
	s_delay_alu instid0(SALU_CYCLE_1) | instskip(NEXT) | instid1(VALU_DEP_1)
	v_cndmask_b32_e64 v3, 0, 1, s0
	v_add_nc_u32_e32 v9, v1, v3
.LBB315_2329:
	s_or_b32 exec_lo, exec_lo, s16
	s_mov_b32 s0, 0
	s_branch .LBB315_2334
.LBB315_2330:
	s_mov_b32 s0, -1
                                        ; implicit-def: $vgpr9
	s_branch .LBB315_2362
.LBB315_2331:
	s_mov_b32 s0, -1
                                        ; implicit-def: $vgpr9
	s_branch .LBB315_2344
.LBB315_2332:
	s_mov_b32 s0, -1
                                        ; implicit-def: $vgpr9
	s_branch .LBB315_2339
.LBB315_2333:
	s_mov_b32 s0, -1
                                        ; implicit-def: $vgpr9
.LBB315_2334:
	s_delay_alu instid0(SALU_CYCLE_1)
	s_and_not1_b32 vcc_lo, exec_lo, s0
	s_cbranch_vccnz .LBB315_2338
; %bb.2335:
	global_load_b32 v1, v[4:5], off
	s_wait_loadcnt 0x1
	v_mov_b32_e32 v9, 0xff
	s_mov_b32 s16, exec_lo
	s_wait_loadcnt 0x0
	v_bfe_u32 v3, v1, 23, 8
	s_wait_xcnt 0x0
	s_delay_alu instid0(VALU_DEP_1)
	v_cmpx_ne_u32_e32 0xff, v3
	s_cbranch_execz .LBB315_2337
; %bb.2336:
	v_and_b32_e32 v9, 0x400000, v1
	v_and_or_b32 v3, 0x3fffff, v1, v3
	v_lshrrev_b32_e32 v1, 23, v1
	s_delay_alu instid0(VALU_DEP_3) | instskip(NEXT) | instid1(VALU_DEP_3)
	v_cmp_ne_u32_e32 vcc_lo, 0, v9
	v_cmp_ne_u32_e64 s0, 0, v3
	s_and_b32 s0, vcc_lo, s0
	s_delay_alu instid0(SALU_CYCLE_1) | instskip(NEXT) | instid1(VALU_DEP_1)
	v_cndmask_b32_e64 v3, 0, 1, s0
	v_add_nc_u32_e32 v9, v1, v3
.LBB315_2337:
	s_or_b32 exec_lo, exec_lo, s16
.LBB315_2338:
	s_mov_b32 s0, 0
.LBB315_2339:
	s_delay_alu instid0(SALU_CYCLE_1)
	s_and_not1_b32 vcc_lo, exec_lo, s0
	s_cbranch_vccnz .LBB315_2343
; %bb.2340:
	global_load_b32 v1, v[4:5], off
	s_wait_loadcnt 0x1
	v_mov_b32_e32 v9, 0xff
	s_mov_b32 s16, exec_lo
	s_wait_loadcnt 0x0
	v_cvt_f32_f16_e32 v1, v1
	s_delay_alu instid0(VALU_DEP_1) | instskip(SKIP_1) | instid1(VALU_DEP_1)
	v_bfe_u32 v3, v1, 23, 8
	s_wait_xcnt 0x0
	v_cmpx_ne_u32_e32 0xff, v3
	s_cbranch_execz .LBB315_2342
; %bb.2341:
	v_and_b32_e32 v9, 0x400000, v1
	v_and_or_b32 v3, 0x3fffff, v1, v3
	v_lshrrev_b32_e32 v1, 23, v1
	s_delay_alu instid0(VALU_DEP_3) | instskip(NEXT) | instid1(VALU_DEP_3)
	v_cmp_ne_u32_e32 vcc_lo, 0, v9
	v_cmp_ne_u32_e64 s0, 0, v3
	s_and_b32 s0, vcc_lo, s0
	s_delay_alu instid0(SALU_CYCLE_1) | instskip(NEXT) | instid1(VALU_DEP_1)
	v_cndmask_b32_e64 v3, 0, 1, s0
	v_add_nc_u32_e32 v9, v1, v3
.LBB315_2342:
	s_or_b32 exec_lo, exec_lo, s16
.LBB315_2343:
	s_mov_b32 s0, 0
.LBB315_2344:
	s_delay_alu instid0(SALU_CYCLE_1)
	s_and_not1_b32 vcc_lo, exec_lo, s0
	s_cbranch_vccnz .LBB315_2361
; %bb.2345:
	s_cmp_lt_i32 s14, 6
	s_cbranch_scc1 .LBB315_2350
; %bb.2346:
	s_cmp_gt_i32 s14, 6
	s_cbranch_scc0 .LBB315_2351
; %bb.2347:
	global_load_b64 v[10:11], v[4:5], off
	s_wait_loadcnt 0x1
	v_mov_b32_e32 v9, 0xff
	s_mov_b32 s16, exec_lo
	s_wait_loadcnt 0x0
	v_cvt_f32_f64_e32 v1, v[10:11]
	s_delay_alu instid0(VALU_DEP_1) | instskip(SKIP_1) | instid1(VALU_DEP_1)
	v_bfe_u32 v3, v1, 23, 8
	s_wait_xcnt 0x0
	v_cmpx_ne_u32_e32 0xff, v3
	s_cbranch_execz .LBB315_2349
; %bb.2348:
	v_and_b32_e32 v9, 0x400000, v1
	v_and_or_b32 v3, 0x3fffff, v1, v3
	v_lshrrev_b32_e32 v1, 23, v1
	s_delay_alu instid0(VALU_DEP_3) | instskip(NEXT) | instid1(VALU_DEP_3)
	v_cmp_ne_u32_e32 vcc_lo, 0, v9
	v_cmp_ne_u32_e64 s0, 0, v3
	s_and_b32 s0, vcc_lo, s0
	s_delay_alu instid0(SALU_CYCLE_1) | instskip(NEXT) | instid1(VALU_DEP_1)
	v_cndmask_b32_e64 v3, 0, 1, s0
	v_add_nc_u32_e32 v9, v1, v3
.LBB315_2349:
	s_or_b32 exec_lo, exec_lo, s16
	s_mov_b32 s0, 0
	s_branch .LBB315_2352
.LBB315_2350:
	s_mov_b32 s0, -1
                                        ; implicit-def: $vgpr9
	s_branch .LBB315_2357
.LBB315_2351:
	s_mov_b32 s0, -1
                                        ; implicit-def: $vgpr9
.LBB315_2352:
	s_delay_alu instid0(SALU_CYCLE_1)
	s_and_not1_b32 vcc_lo, exec_lo, s0
	s_cbranch_vccnz .LBB315_2356
; %bb.2353:
	global_load_b32 v1, v[4:5], off
	s_wait_loadcnt 0x1
	v_mov_b32_e32 v9, 0xff
	s_mov_b32 s16, exec_lo
	s_wait_loadcnt 0x0
	v_bfe_u32 v3, v1, 23, 8
	s_wait_xcnt 0x0
	s_delay_alu instid0(VALU_DEP_1)
	v_cmpx_ne_u32_e32 0xff, v3
	s_cbranch_execz .LBB315_2355
; %bb.2354:
	v_and_b32_e32 v9, 0x400000, v1
	v_and_or_b32 v3, 0x3fffff, v1, v3
	v_lshrrev_b32_e32 v1, 23, v1
	s_delay_alu instid0(VALU_DEP_3) | instskip(NEXT) | instid1(VALU_DEP_3)
	v_cmp_ne_u32_e32 vcc_lo, 0, v9
	v_cmp_ne_u32_e64 s0, 0, v3
	s_and_b32 s0, vcc_lo, s0
	s_delay_alu instid0(SALU_CYCLE_1) | instskip(NEXT) | instid1(VALU_DEP_1)
	v_cndmask_b32_e64 v3, 0, 1, s0
	v_add_nc_u32_e32 v9, v1, v3
.LBB315_2355:
	s_or_b32 exec_lo, exec_lo, s16
.LBB315_2356:
	s_mov_b32 s0, 0
.LBB315_2357:
	s_delay_alu instid0(SALU_CYCLE_1)
	s_and_not1_b32 vcc_lo, exec_lo, s0
	s_cbranch_vccnz .LBB315_2361
; %bb.2358:
	global_load_u16 v1, v[4:5], off
	s_wait_loadcnt 0x1
	v_mov_b32_e32 v9, 0xff
	s_mov_b32 s16, exec_lo
	s_wait_loadcnt 0x0
	v_cvt_f32_f16_e32 v1, v1
	s_delay_alu instid0(VALU_DEP_1) | instskip(SKIP_1) | instid1(VALU_DEP_1)
	v_bfe_u32 v3, v1, 23, 8
	s_wait_xcnt 0x0
	v_cmpx_ne_u32_e32 0xff, v3
	s_cbranch_execz .LBB315_2360
; %bb.2359:
	v_and_b32_e32 v9, 0x400000, v1
	v_and_or_b32 v3, 0x3fffff, v1, v3
	v_lshrrev_b32_e32 v1, 23, v1
	s_delay_alu instid0(VALU_DEP_3) | instskip(NEXT) | instid1(VALU_DEP_3)
	v_cmp_ne_u32_e32 vcc_lo, 0, v9
	v_cmp_ne_u32_e64 s0, 0, v3
	s_and_b32 s0, vcc_lo, s0
	s_delay_alu instid0(SALU_CYCLE_1) | instskip(NEXT) | instid1(VALU_DEP_1)
	v_cndmask_b32_e64 v3, 0, 1, s0
	v_add_nc_u32_e32 v9, v1, v3
.LBB315_2360:
	s_or_b32 exec_lo, exec_lo, s16
.LBB315_2361:
	s_mov_b32 s0, 0
.LBB315_2362:
	s_delay_alu instid0(SALU_CYCLE_1)
	s_and_not1_b32 vcc_lo, exec_lo, s0
	s_cbranch_vccnz .LBB315_2392
; %bb.2363:
	s_cmp_lt_i32 s14, 2
	s_cbranch_scc1 .LBB315_2369
; %bb.2364:
	s_cmp_lt_i32 s14, 3
	s_cbranch_scc1 .LBB315_2370
; %bb.2365:
	s_cmp_gt_i32 s14, 3
	s_cbranch_scc0 .LBB315_2371
; %bb.2366:
	global_load_b64 v[10:11], v[4:5], off
	s_wait_loadcnt 0x1
	v_mov_b32_e32 v9, 0xff
	s_mov_b32 s16, exec_lo
	s_wait_loadcnt 0x0
	v_xor_b32_e32 v1, v10, v11
	v_cls_i32_e32 v3, v11
	s_delay_alu instid0(VALU_DEP_2) | instskip(NEXT) | instid1(VALU_DEP_1)
	v_ashrrev_i32_e32 v1, 31, v1
	v_add_nc_u32_e32 v1, 32, v1
	s_delay_alu instid0(VALU_DEP_1) | instskip(NEXT) | instid1(VALU_DEP_1)
	v_add_min_u32_e64 v1, v3, -1, v1
	v_lshlrev_b64_e32 v[10:11], v1, v[10:11]
	v_sub_nc_u32_e32 v1, 32, v1
	s_delay_alu instid0(VALU_DEP_2) | instskip(NEXT) | instid1(VALU_DEP_1)
	v_min_u32_e32 v3, 1, v10
	v_or_b32_e32 v3, v11, v3
	s_delay_alu instid0(VALU_DEP_1) | instskip(NEXT) | instid1(VALU_DEP_1)
	v_cvt_f32_i32_e32 v3, v3
	v_ldexp_f32 v1, v3, v1
	s_delay_alu instid0(VALU_DEP_1) | instskip(SKIP_1) | instid1(VALU_DEP_1)
	v_bfe_u32 v3, v1, 23, 8
	s_wait_xcnt 0x0
	v_cmpx_ne_u32_e32 0xff, v3
	s_cbranch_execz .LBB315_2368
; %bb.2367:
	v_and_b32_e32 v9, 0x400000, v1
	v_and_or_b32 v3, 0x3fffff, v1, v3
	v_lshrrev_b32_e32 v1, 23, v1
	s_delay_alu instid0(VALU_DEP_3) | instskip(NEXT) | instid1(VALU_DEP_3)
	v_cmp_ne_u32_e32 vcc_lo, 0, v9
	v_cmp_ne_u32_e64 s0, 0, v3
	s_and_b32 s0, vcc_lo, s0
	s_delay_alu instid0(SALU_CYCLE_1) | instskip(NEXT) | instid1(VALU_DEP_1)
	v_cndmask_b32_e64 v3, 0, 1, s0
	v_add_nc_u32_e32 v9, v1, v3
.LBB315_2368:
	s_or_b32 exec_lo, exec_lo, s16
	s_mov_b32 s0, 0
	s_branch .LBB315_2372
.LBB315_2369:
	s_mov_b32 s0, -1
                                        ; implicit-def: $vgpr9
	s_branch .LBB315_2382
.LBB315_2370:
	s_mov_b32 s0, -1
                                        ; implicit-def: $vgpr9
	s_branch .LBB315_2377
.LBB315_2371:
	s_mov_b32 s0, -1
                                        ; implicit-def: $vgpr9
.LBB315_2372:
	s_delay_alu instid0(SALU_CYCLE_1)
	s_and_not1_b32 vcc_lo, exec_lo, s0
	s_cbranch_vccnz .LBB315_2376
; %bb.2373:
	global_load_b32 v1, v[4:5], off
	s_wait_loadcnt 0x1
	v_mov_b32_e32 v9, 0xff
	s_mov_b32 s16, exec_lo
	s_wait_loadcnt 0x0
	v_cvt_f32_i32_e32 v1, v1
	s_delay_alu instid0(VALU_DEP_1) | instskip(SKIP_1) | instid1(VALU_DEP_1)
	v_bfe_u32 v3, v1, 23, 8
	s_wait_xcnt 0x0
	v_cmpx_ne_u32_e32 0xff, v3
	s_cbranch_execz .LBB315_2375
; %bb.2374:
	v_and_b32_e32 v9, 0x400000, v1
	v_and_or_b32 v3, 0x3fffff, v1, v3
	v_lshrrev_b32_e32 v1, 23, v1
	s_delay_alu instid0(VALU_DEP_3) | instskip(NEXT) | instid1(VALU_DEP_3)
	v_cmp_ne_u32_e32 vcc_lo, 0, v9
	v_cmp_ne_u32_e64 s0, 0, v3
	s_and_b32 s0, vcc_lo, s0
	s_delay_alu instid0(SALU_CYCLE_1) | instskip(NEXT) | instid1(VALU_DEP_1)
	v_cndmask_b32_e64 v3, 0, 1, s0
	v_add_nc_u32_e32 v9, v1, v3
.LBB315_2375:
	s_or_b32 exec_lo, exec_lo, s16
.LBB315_2376:
	s_mov_b32 s0, 0
.LBB315_2377:
	s_delay_alu instid0(SALU_CYCLE_1)
	s_and_not1_b32 vcc_lo, exec_lo, s0
	s_cbranch_vccnz .LBB315_2381
; %bb.2378:
	global_load_i16 v1, v[4:5], off
	s_wait_loadcnt 0x1
	v_mov_b32_e32 v9, 0xff
	s_mov_b32 s16, exec_lo
	s_wait_loadcnt 0x0
	v_cvt_f32_i32_e32 v1, v1
	s_delay_alu instid0(VALU_DEP_1) | instskip(SKIP_1) | instid1(VALU_DEP_1)
	v_bfe_u32 v3, v1, 23, 8
	s_wait_xcnt 0x0
	v_cmpx_ne_u32_e32 0xff, v3
	s_cbranch_execz .LBB315_2380
; %bb.2379:
	v_and_b32_e32 v9, 0x400000, v1
	v_and_or_b32 v3, 0x3fffff, v1, v3
	v_lshrrev_b32_e32 v1, 23, v1
	s_delay_alu instid0(VALU_DEP_3) | instskip(NEXT) | instid1(VALU_DEP_3)
	v_cmp_ne_u32_e32 vcc_lo, 0, v9
	v_cmp_ne_u32_e64 s0, 0, v3
	s_and_b32 s0, vcc_lo, s0
	s_delay_alu instid0(SALU_CYCLE_1) | instskip(NEXT) | instid1(VALU_DEP_1)
	v_cndmask_b32_e64 v3, 0, 1, s0
	v_add_nc_u32_e32 v9, v1, v3
.LBB315_2380:
	s_or_b32 exec_lo, exec_lo, s16
.LBB315_2381:
	s_mov_b32 s0, 0
.LBB315_2382:
	s_delay_alu instid0(SALU_CYCLE_1)
	s_and_not1_b32 vcc_lo, exec_lo, s0
	s_cbranch_vccnz .LBB315_2392
; %bb.2383:
	s_cmp_gt_i32 s14, 0
	s_cbranch_scc0 .LBB315_2387
; %bb.2384:
	global_load_i8 v1, v[4:5], off
	s_wait_loadcnt 0x1
	v_mov_b32_e32 v9, 0xff
	s_mov_b32 s14, exec_lo
	s_wait_loadcnt 0x0
	v_cvt_f32_i32_e32 v1, v1
	s_delay_alu instid0(VALU_DEP_1) | instskip(SKIP_1) | instid1(VALU_DEP_1)
	v_bfe_u32 v3, v1, 23, 8
	s_wait_xcnt 0x0
	v_cmpx_ne_u32_e32 0xff, v3
	s_cbranch_execz .LBB315_2386
; %bb.2385:
	v_and_b32_e32 v9, 0x400000, v1
	v_and_or_b32 v3, 0x3fffff, v1, v3
	v_lshrrev_b32_e32 v1, 23, v1
	s_delay_alu instid0(VALU_DEP_3) | instskip(NEXT) | instid1(VALU_DEP_3)
	v_cmp_ne_u32_e32 vcc_lo, 0, v9
	v_cmp_ne_u32_e64 s0, 0, v3
	s_and_b32 s0, vcc_lo, s0
	s_delay_alu instid0(SALU_CYCLE_1) | instskip(NEXT) | instid1(VALU_DEP_1)
	v_cndmask_b32_e64 v3, 0, 1, s0
	v_add_nc_u32_e32 v9, v1, v3
.LBB315_2386:
	s_or_b32 exec_lo, exec_lo, s14
	s_mov_b32 s0, 0
	s_branch .LBB315_2388
.LBB315_2387:
	s_mov_b32 s0, -1
                                        ; implicit-def: $vgpr9
.LBB315_2388:
	s_delay_alu instid0(SALU_CYCLE_1)
	s_and_not1_b32 vcc_lo, exec_lo, s0
	s_cbranch_vccnz .LBB315_2392
; %bb.2389:
	global_load_u8 v1, v[4:5], off
	s_wait_loadcnt 0x1
	v_mov_b32_e32 v9, 0xff
	s_mov_b32 s14, exec_lo
	s_wait_loadcnt 0x0
	v_cvt_f32_ubyte0_e32 v3, v1
	s_delay_alu instid0(VALU_DEP_1) | instskip(SKIP_1) | instid1(VALU_DEP_1)
	v_lshrrev_b32_e32 v1, 23, v3
	s_wait_xcnt 0x0
	v_cmpx_ne_u32_e32 0xff, v1
; %bb.2390:
	v_and_b32_e32 v4, 0x400000, v3
	v_and_or_b32 v3, 0x3fffff, v3, v1
	s_delay_alu instid0(VALU_DEP_2) | instskip(NEXT) | instid1(VALU_DEP_2)
	v_cmp_ne_u32_e32 vcc_lo, 0, v4
	v_cmp_ne_u32_e64 s0, 0, v3
	s_and_b32 s0, vcc_lo, s0
	s_delay_alu instid0(SALU_CYCLE_1) | instskip(NEXT) | instid1(VALU_DEP_1)
	v_cndmask_b32_e64 v3, 0, 1, s0
	v_add_nc_u32_e32 v9, v1, v3
; %bb.2391:
	s_or_b32 exec_lo, exec_lo, s14
.LBB315_2392:
.LBB315_2393:
	s_lshl_b32 s10, s10, 7
	s_cmp_lt_i32 s2, 11
	v_add_nc_u32_e32 v2, s10, v2
	s_delay_alu instid0(VALU_DEP_1) | instskip(SKIP_1) | instid1(VALU_DEP_1)
	v_ashrrev_i32_e32 v3, 31, v2
	s_wait_xcnt 0x0
	v_add_nc_u64_e32 v[4:5], s[12:13], v[2:3]
	s_cbranch_scc1 .LBB315_2402
; %bb.2394:
	s_and_b32 s14, 0xffff, s2
	s_mov_b32 s19, 0
	s_cmp_gt_i32 s14, 25
	s_cbranch_scc0 .LBB315_2403
; %bb.2395:
	s_cmp_gt_i32 s14, 28
	s_cbranch_scc0 .LBB315_2404
; %bb.2396:
	;; [unrolled: 3-line block ×4, first 2 shown]
	s_cmp_eq_u32 s14, 46
	s_mov_b32 s20, 0
	s_cbranch_scc0 .LBB315_2408
; %bb.2399:
	global_load_b32 v1, v[4:5], off
	s_mov_b32 s16, exec_lo
	s_wait_loadcnt 0x0
	v_dual_mov_b32 v10, 0xff :: v_dual_lshlrev_b32 v3, 16, v1
	s_delay_alu instid0(VALU_DEP_1) | instskip(SKIP_1) | instid1(VALU_DEP_1)
	v_bfe_u32 v11, v3, 23, 8
	s_wait_xcnt 0x0
	v_cmpx_ne_u32_e32 0xff, v11
	s_cbranch_execz .LBB315_2401
; %bb.2400:
	v_and_b32_e32 v10, 64, v1
	v_and_or_b32 v3, 0x3f0000, v3, v11
	v_bfe_u32 v1, v1, 7, 9
	s_delay_alu instid0(VALU_DEP_3) | instskip(NEXT) | instid1(VALU_DEP_3)
	v_cmp_ne_u32_e32 vcc_lo, 0, v10
	v_cmp_ne_u32_e64 s0, 0, v3
	s_and_b32 s0, vcc_lo, s0
	s_delay_alu instid0(SALU_CYCLE_1) | instskip(NEXT) | instid1(VALU_DEP_1)
	v_cndmask_b32_e64 v3, 0, 1, s0
	v_add_nc_u32_e32 v10, v1, v3
.LBB315_2401:
	s_or_b32 exec_lo, exec_lo, s16
	s_mov_b32 s16, 0
	s_mov_b32 s0, -1
	s_branch .LBB315_2410
.LBB315_2402:
	s_mov_b32 s14, -1
	s_mov_b32 s0, 0
                                        ; implicit-def: $vgpr10
	s_branch .LBB315_2494
.LBB315_2403:
	s_mov_b32 s20, -1
	s_mov_b32 s0, 0
	s_mov_b32 s16, 0
                                        ; implicit-def: $vgpr10
	s_branch .LBB315_2449
.LBB315_2404:
	s_mov_b32 s20, -1
	s_mov_b32 s0, 0
	s_mov_b32 s16, 0
                                        ; implicit-def: $vgpr10
	s_branch .LBB315_2422
.LBB315_2405:
	s_mov_b32 s20, -1
	s_mov_b32 s0, 0
	s_mov_b32 s16, 0
                                        ; implicit-def: $vgpr10
	s_branch .LBB315_2415
.LBB315_2406:
	s_or_b32 s15, s15, exec_lo
	s_trap 2
	s_cbranch_execz .LBB315_2319
	s_branch .LBB315_2322
.LBB315_2407:
	s_mov_b32 s20, -1
	s_mov_b32 s0, 0
	s_mov_b32 s16, 0
	s_branch .LBB315_2409
.LBB315_2408:
	s_mov_b32 s16, -1
	s_mov_b32 s0, 0
.LBB315_2409:
                                        ; implicit-def: $vgpr10
.LBB315_2410:
	s_and_b32 vcc_lo, exec_lo, s20
	s_cbranch_vccz .LBB315_2414
; %bb.2411:
	s_cmp_eq_u32 s14, 44
	s_cbranch_scc0 .LBB315_2413
; %bb.2412:
	global_load_u8 v10, v[4:5], off
	s_mov_b32 s16, 0
	s_mov_b32 s0, -1
	s_branch .LBB315_2414
.LBB315_2413:
	s_mov_b32 s16, -1
                                        ; implicit-def: $vgpr10
.LBB315_2414:
	s_mov_b32 s20, 0
.LBB315_2415:
	s_delay_alu instid0(SALU_CYCLE_1)
	s_and_b32 vcc_lo, exec_lo, s20
	s_cbranch_vccz .LBB315_2421
; %bb.2416:
	s_cmp_eq_u32 s14, 29
	s_cbranch_scc0 .LBB315_2420
; %bb.2417:
	s_wait_loadcnt 0x0
	global_load_b64 v[10:11], v[4:5], off
	s_mov_b32 s16, exec_lo
	s_wait_loadcnt 0x0
	v_clz_i32_u32_e32 v1, v11
	s_delay_alu instid0(VALU_DEP_1) | instskip(NEXT) | instid1(VALU_DEP_1)
	v_min_u32_e32 v1, 32, v1
	v_lshlrev_b64_e32 v[10:11], v1, v[10:11]
	v_sub_nc_u32_e32 v1, 32, v1
	s_delay_alu instid0(VALU_DEP_2) | instskip(SKIP_1) | instid1(VALU_DEP_2)
	v_min_u32_e32 v3, 1, v10
	v_mov_b32_e32 v10, 0xff
	v_or_b32_e32 v3, v11, v3
	s_delay_alu instid0(VALU_DEP_1) | instskip(NEXT) | instid1(VALU_DEP_1)
	v_cvt_f32_u32_e32 v3, v3
	v_ldexp_f32 v3, v3, v1
	s_delay_alu instid0(VALU_DEP_1) | instskip(SKIP_1) | instid1(VALU_DEP_1)
	v_lshrrev_b32_e32 v1, 23, v3
	s_wait_xcnt 0x0
	v_cmpx_ne_u32_e32 0xff, v1
; %bb.2418:
	v_and_b32_e32 v10, 0x400000, v3
	v_and_or_b32 v3, 0x3fffff, v3, v1
	s_delay_alu instid0(VALU_DEP_2) | instskip(NEXT) | instid1(VALU_DEP_2)
	v_cmp_ne_u32_e32 vcc_lo, 0, v10
	v_cmp_ne_u32_e64 s0, 0, v3
	s_and_b32 s0, vcc_lo, s0
	s_delay_alu instid0(SALU_CYCLE_1) | instskip(NEXT) | instid1(VALU_DEP_1)
	v_cndmask_b32_e64 v3, 0, 1, s0
	v_add_nc_u32_e32 v10, v1, v3
; %bb.2419:
	s_or_b32 exec_lo, exec_lo, s16
	s_mov_b32 s16, 0
	s_mov_b32 s0, -1
	s_branch .LBB315_2421
.LBB315_2420:
	s_mov_b32 s16, -1
                                        ; implicit-def: $vgpr10
.LBB315_2421:
	s_mov_b32 s20, 0
.LBB315_2422:
	s_delay_alu instid0(SALU_CYCLE_1)
	s_and_b32 vcc_lo, exec_lo, s20
	s_cbranch_vccz .LBB315_2448
; %bb.2423:
	s_cmp_lt_i32 s14, 27
	s_cbranch_scc1 .LBB315_2428
; %bb.2424:
	s_cmp_gt_i32 s14, 27
	s_cbranch_scc0 .LBB315_2429
; %bb.2425:
	global_load_b32 v1, v[4:5], off
	s_mov_b32 s20, exec_lo
	s_wait_loadcnt 0x1
	v_mov_b32_e32 v10, 0xff
	s_wait_loadcnt 0x0
	v_cvt_f32_u32_e32 v3, v1
	s_delay_alu instid0(VALU_DEP_1) | instskip(SKIP_1) | instid1(VALU_DEP_1)
	v_lshrrev_b32_e32 v1, 23, v3
	s_wait_xcnt 0x0
	v_cmpx_ne_u32_e32 0xff, v1
; %bb.2426:
	v_and_b32_e32 v10, 0x400000, v3
	v_and_or_b32 v3, 0x3fffff, v3, v1
	s_delay_alu instid0(VALU_DEP_2) | instskip(NEXT) | instid1(VALU_DEP_2)
	v_cmp_ne_u32_e32 vcc_lo, 0, v10
	v_cmp_ne_u32_e64 s0, 0, v3
	s_and_b32 s0, vcc_lo, s0
	s_delay_alu instid0(SALU_CYCLE_1) | instskip(NEXT) | instid1(VALU_DEP_1)
	v_cndmask_b32_e64 v3, 0, 1, s0
	v_add_nc_u32_e32 v10, v1, v3
; %bb.2427:
	s_or_b32 exec_lo, exec_lo, s20
	s_mov_b32 s0, 0
	s_branch .LBB315_2430
.LBB315_2428:
	s_mov_b32 s0, -1
                                        ; implicit-def: $vgpr10
	s_branch .LBB315_2435
.LBB315_2429:
	s_mov_b32 s0, -1
                                        ; implicit-def: $vgpr10
.LBB315_2430:
	s_delay_alu instid0(SALU_CYCLE_1)
	s_and_not1_b32 vcc_lo, exec_lo, s0
	s_cbranch_vccnz .LBB315_2434
; %bb.2431:
	global_load_u16 v1, v[4:5], off
	s_mov_b32 s20, exec_lo
	s_wait_loadcnt 0x1
	v_mov_b32_e32 v10, 0xff
	s_wait_loadcnt 0x0
	v_cvt_f32_u32_e32 v3, v1
	s_delay_alu instid0(VALU_DEP_1) | instskip(SKIP_1) | instid1(VALU_DEP_1)
	v_lshrrev_b32_e32 v1, 23, v3
	s_wait_xcnt 0x0
	v_cmpx_ne_u32_e32 0xff, v1
; %bb.2432:
	v_and_b32_e32 v10, 0x400000, v3
	v_and_or_b32 v3, 0x3fffff, v3, v1
	s_delay_alu instid0(VALU_DEP_2) | instskip(NEXT) | instid1(VALU_DEP_2)
	v_cmp_ne_u32_e32 vcc_lo, 0, v10
	v_cmp_ne_u32_e64 s0, 0, v3
	s_and_b32 s0, vcc_lo, s0
	s_delay_alu instid0(SALU_CYCLE_1) | instskip(NEXT) | instid1(VALU_DEP_1)
	v_cndmask_b32_e64 v3, 0, 1, s0
	v_add_nc_u32_e32 v10, v1, v3
; %bb.2433:
	s_or_b32 exec_lo, exec_lo, s20
.LBB315_2434:
	s_mov_b32 s0, 0
.LBB315_2435:
	s_delay_alu instid0(SALU_CYCLE_1)
	s_and_not1_b32 vcc_lo, exec_lo, s0
	s_cbranch_vccnz .LBB315_2447
; %bb.2436:
	global_load_u8 v1, v[4:5], off
	s_mov_b32 s0, 0
	s_mov_b32 s20, exec_lo
	s_wait_loadcnt 0x0
	v_cmpx_lt_i16_e32 0x7f, v1
	s_xor_b32 s20, exec_lo, s20
	s_cbranch_execz .LBB315_2440
; %bb.2437:
	s_mov_b32 s0, -1
	s_mov_b32 s21, exec_lo
	v_cmpx_eq_u16_e32 0x80, v1
; %bb.2438:
	s_xor_b32 s0, exec_lo, -1
; %bb.2439:
	s_or_b32 exec_lo, exec_lo, s21
	s_delay_alu instid0(SALU_CYCLE_1)
	s_and_b32 s0, s0, exec_lo
.LBB315_2440:
	s_or_saveexec_b32 s20, s20
	v_mov_b32_e32 v3, 0x7f800001
	v_and_b32_e32 v10, 0xffff, v1
	s_xor_b32 exec_lo, exec_lo, s20
; %bb.2441:
	v_cmp_ne_u16_e32 vcc_lo, 0, v1
	s_delay_alu instid0(VALU_DEP_2) | instskip(SKIP_2) | instid1(SALU_CYCLE_1)
	v_mov_b32_e32 v3, v10
	s_and_not1_b32 s0, s0, exec_lo
	s_and_b32 s21, vcc_lo, exec_lo
	s_or_b32 s0, s0, s21
; %bb.2442:
	s_or_b32 exec_lo, exec_lo, s20
	s_and_saveexec_b32 s20, s0
	s_cbranch_execz .LBB315_2444
; %bb.2443:
	v_and_b32_e32 v1, 7, v10
	s_delay_alu instid0(VALU_DEP_1) | instskip(NEXT) | instid1(VALU_DEP_1)
	v_clz_i32_u32_e32 v3, v1
	v_min_u32_e32 v3, 32, v3
	s_delay_alu instid0(VALU_DEP_1) | instskip(NEXT) | instid1(VALU_DEP_1)
	v_subrev_nc_u32_e32 v11, 28, v3
	v_lshlrev_b32_e32 v11, v11, v10
	v_bfe_u32 v10, v10, 3, 4
	s_delay_alu instid0(VALU_DEP_2) | instskip(NEXT) | instid1(VALU_DEP_2)
	v_and_b32_e32 v11, 7, v11
	v_cmp_eq_u32_e32 vcc_lo, 0, v10
	s_delay_alu instid0(VALU_DEP_2) | instskip(NEXT) | instid1(VALU_DEP_1)
	v_cndmask_b32_e32 v1, v1, v11, vcc_lo
	v_dual_sub_nc_u32 v3, 29, v3 :: v_dual_lshlrev_b32 v1, 20, v1
	s_delay_alu instid0(VALU_DEP_1) | instskip(NEXT) | instid1(VALU_DEP_1)
	v_cndmask_b32_e32 v3, v10, v3, vcc_lo
	v_lshl_or_b32 v1, v3, 23, v1
	s_delay_alu instid0(VALU_DEP_1)
	v_add_nc_u32_e32 v3, 0x3b800000, v1
.LBB315_2444:
	s_or_b32 exec_lo, exec_lo, s20
	s_delay_alu instid0(VALU_DEP_1) | instskip(SKIP_1) | instid1(VALU_DEP_1)
	v_dual_mov_b32 v10, 0xff :: v_dual_lshrrev_b32 v1, 23, v3
	s_mov_b32 s20, exec_lo
	v_cmpx_ne_u32_e32 0xff, v1
; %bb.2445:
	v_and_b32_e32 v10, 0x400000, v3
	v_and_or_b32 v3, 0x3fffff, v3, v1
	s_delay_alu instid0(VALU_DEP_2) | instskip(NEXT) | instid1(VALU_DEP_2)
	v_cmp_ne_u32_e32 vcc_lo, 0, v10
	v_cmp_ne_u32_e64 s0, 0, v3
	s_and_b32 s0, vcc_lo, s0
	s_delay_alu instid0(SALU_CYCLE_1) | instskip(NEXT) | instid1(VALU_DEP_1)
	v_cndmask_b32_e64 v3, 0, 1, s0
	v_add_nc_u32_e32 v10, v1, v3
; %bb.2446:
	s_or_b32 exec_lo, exec_lo, s20
.LBB315_2447:
	s_mov_b32 s0, -1
.LBB315_2448:
	s_mov_b32 s20, 0
.LBB315_2449:
	s_delay_alu instid0(SALU_CYCLE_1)
	s_and_b32 vcc_lo, exec_lo, s20
	s_cbranch_vccz .LBB315_2488
; %bb.2450:
	s_cmp_gt_i32 s14, 22
	s_cbranch_scc0 .LBB315_2464
; %bb.2451:
	s_cmp_lt_i32 s14, 24
	s_cbranch_scc1 .LBB315_2465
; %bb.2452:
	s_cmp_gt_i32 s14, 24
	s_cbranch_scc0 .LBB315_2466
; %bb.2453:
	global_load_u8 v1, v[4:5], off
	s_mov_b32 s0, 0
	s_mov_b32 s19, exec_lo
	s_wait_loadcnt 0x0
	v_cmpx_lt_i16_e32 0x7f, v1
	s_xor_b32 s19, exec_lo, s19
	s_cbranch_execz .LBB315_2457
; %bb.2454:
	s_mov_b32 s0, -1
	s_mov_b32 s20, exec_lo
	v_cmpx_eq_u16_e32 0x80, v1
; %bb.2455:
	s_xor_b32 s0, exec_lo, -1
; %bb.2456:
	s_or_b32 exec_lo, exec_lo, s20
	s_delay_alu instid0(SALU_CYCLE_1)
	s_and_b32 s0, s0, exec_lo
.LBB315_2457:
	s_or_saveexec_b32 s19, s19
	v_mov_b32_e32 v3, 0x7f800001
	v_and_b32_e32 v10, 0xffff, v1
	s_xor_b32 exec_lo, exec_lo, s19
; %bb.2458:
	v_cmp_ne_u16_e32 vcc_lo, 0, v1
	s_delay_alu instid0(VALU_DEP_2) | instskip(SKIP_2) | instid1(SALU_CYCLE_1)
	v_mov_b32_e32 v3, v10
	s_and_not1_b32 s0, s0, exec_lo
	s_and_b32 s20, vcc_lo, exec_lo
	s_or_b32 s0, s0, s20
; %bb.2459:
	s_or_b32 exec_lo, exec_lo, s19
	s_and_saveexec_b32 s19, s0
	s_cbranch_execz .LBB315_2461
; %bb.2460:
	v_and_b32_e32 v1, 3, v10
	s_delay_alu instid0(VALU_DEP_1) | instskip(NEXT) | instid1(VALU_DEP_1)
	v_clz_i32_u32_e32 v3, v1
	v_min_u32_e32 v3, 32, v3
	s_delay_alu instid0(VALU_DEP_1) | instskip(NEXT) | instid1(VALU_DEP_1)
	v_subrev_nc_u32_e32 v11, 29, v3
	v_lshlrev_b32_e32 v11, v11, v10
	v_bfe_u32 v10, v10, 2, 5
	s_delay_alu instid0(VALU_DEP_2) | instskip(NEXT) | instid1(VALU_DEP_2)
	v_and_b32_e32 v11, 3, v11
	v_cmp_eq_u32_e32 vcc_lo, 0, v10
	s_delay_alu instid0(VALU_DEP_2) | instskip(NEXT) | instid1(VALU_DEP_1)
	v_cndmask_b32_e32 v1, v1, v11, vcc_lo
	v_dual_sub_nc_u32 v3, 30, v3 :: v_dual_lshlrev_b32 v1, 21, v1
	s_delay_alu instid0(VALU_DEP_1) | instskip(NEXT) | instid1(VALU_DEP_1)
	v_cndmask_b32_e32 v3, v10, v3, vcc_lo
	v_lshl_or_b32 v1, v3, 23, v1
	s_delay_alu instid0(VALU_DEP_1)
	v_add_nc_u32_e32 v3, 0x37800000, v1
.LBB315_2461:
	s_or_b32 exec_lo, exec_lo, s19
	s_delay_alu instid0(VALU_DEP_1) | instskip(SKIP_1) | instid1(VALU_DEP_1)
	v_dual_mov_b32 v10, 0xff :: v_dual_lshrrev_b32 v1, 23, v3
	s_mov_b32 s19, exec_lo
	v_cmpx_ne_u32_e32 0xff, v1
; %bb.2462:
	v_and_b32_e32 v10, 0x400000, v3
	v_and_or_b32 v3, 0x3fffff, v3, v1
	s_delay_alu instid0(VALU_DEP_2) | instskip(NEXT) | instid1(VALU_DEP_2)
	v_cmp_ne_u32_e32 vcc_lo, 0, v10
	v_cmp_ne_u32_e64 s0, 0, v3
	s_and_b32 s0, vcc_lo, s0
	s_delay_alu instid0(SALU_CYCLE_1) | instskip(NEXT) | instid1(VALU_DEP_1)
	v_cndmask_b32_e64 v3, 0, 1, s0
	v_add_nc_u32_e32 v10, v1, v3
; %bb.2463:
	s_or_b32 exec_lo, exec_lo, s19
	s_mov_b32 s0, 0
	s_branch .LBB315_2467
.LBB315_2464:
	s_mov_b32 s19, -1
                                        ; implicit-def: $vgpr10
	s_branch .LBB315_2477
.LBB315_2465:
	s_mov_b32 s0, -1
                                        ; implicit-def: $vgpr10
	s_branch .LBB315_2472
.LBB315_2466:
	s_mov_b32 s0, -1
                                        ; implicit-def: $vgpr10
.LBB315_2467:
	s_delay_alu instid0(SALU_CYCLE_1)
	s_and_b32 vcc_lo, exec_lo, s0
	s_cbranch_vccz .LBB315_2471
; %bb.2468:
	global_load_u8 v1, v[4:5], off
	s_mov_b32 s19, exec_lo
	s_wait_loadcnt 0x0
	v_lshlrev_b32_e32 v1, 24, v1
	s_delay_alu instid0(VALU_DEP_1) | instskip(NEXT) | instid1(VALU_DEP_1)
	v_and_b32_e32 v1, 0x7f000000, v1
	v_clz_i32_u32_e32 v3, v1
	v_cmp_ne_u32_e32 vcc_lo, 0, v1
	v_add_nc_u32_e32 v11, 0x1000000, v1
	s_delay_alu instid0(VALU_DEP_3) | instskip(NEXT) | instid1(VALU_DEP_1)
	v_min_u32_e32 v3, 32, v3
	v_sub_nc_u32_e64 v3, v3, 4 clamp
	s_delay_alu instid0(VALU_DEP_1) | instskip(NEXT) | instid1(VALU_DEP_1)
	v_dual_lshlrev_b32 v10, v3, v1 :: v_dual_lshlrev_b32 v3, 23, v3
	v_lshrrev_b32_e32 v10, 4, v10
	s_delay_alu instid0(VALU_DEP_1) | instskip(SKIP_1) | instid1(VALU_DEP_2)
	v_sub_nc_u32_e32 v3, v10, v3
	v_ashrrev_i32_e32 v10, 8, v11
	v_add_nc_u32_e32 v3, 0x3c000000, v3
	s_delay_alu instid0(VALU_DEP_1) | instskip(NEXT) | instid1(VALU_DEP_1)
	v_and_or_b32 v3, 0x7f800000, v10, v3
	v_dual_mov_b32 v10, 0xff :: v_dual_cndmask_b32 v3, 0, v3
	s_delay_alu instid0(VALU_DEP_1) | instskip(SKIP_1) | instid1(VALU_DEP_1)
	v_lshrrev_b32_e32 v1, 23, v3
	s_wait_xcnt 0x0
	v_cmpx_ne_u32_e32 0xff, v1
; %bb.2469:
	v_and_b32_e32 v10, 0x400000, v3
	v_and_or_b32 v3, 0x3fffff, v3, v1
	s_delay_alu instid0(VALU_DEP_2) | instskip(NEXT) | instid1(VALU_DEP_2)
	v_cmp_ne_u32_e32 vcc_lo, 0, v10
	v_cmp_ne_u32_e64 s0, 0, v3
	s_and_b32 s0, vcc_lo, s0
	s_delay_alu instid0(SALU_CYCLE_1) | instskip(NEXT) | instid1(VALU_DEP_1)
	v_cndmask_b32_e64 v3, 0, 1, s0
	v_add_nc_u32_e32 v10, v1, v3
; %bb.2470:
	s_or_b32 exec_lo, exec_lo, s19
.LBB315_2471:
	s_mov_b32 s0, 0
.LBB315_2472:
	s_delay_alu instid0(SALU_CYCLE_1)
	s_and_not1_b32 vcc_lo, exec_lo, s0
	s_cbranch_vccnz .LBB315_2476
; %bb.2473:
	global_load_u8 v1, v[4:5], off
	s_mov_b32 s19, exec_lo
	s_wait_loadcnt 0x0
	v_dual_lshlrev_b32 v3, 25, v1 :: v_dual_lshlrev_b32 v1, 8, v1
	s_delay_alu instid0(VALU_DEP_1) | instskip(NEXT) | instid1(VALU_DEP_2)
	v_cmp_gt_u32_e32 vcc_lo, 0x8000000, v3
	v_and_or_b32 v1, 0x7f00, v1, 0.5
	s_delay_alu instid0(VALU_DEP_1) | instskip(NEXT) | instid1(VALU_DEP_1)
	v_dual_add_f32 v1, -0.5, v1 :: v_dual_lshrrev_b32 v10, 4, v3
	v_or_b32_e32 v10, 0x70000000, v10
	s_delay_alu instid0(VALU_DEP_1) | instskip(NEXT) | instid1(VALU_DEP_1)
	v_mul_f32_e32 v10, 0x7800000, v10
	v_dual_cndmask_b32 v1, v10, v1 :: v_dual_mov_b32 v10, 0xff
	s_delay_alu instid0(VALU_DEP_1) | instskip(SKIP_1) | instid1(VALU_DEP_1)
	v_bfe_u32 v3, v1, 23, 8
	s_wait_xcnt 0x0
	v_cmpx_ne_u32_e32 0xff, v3
	s_cbranch_execz .LBB315_2475
; %bb.2474:
	v_and_b32_e32 v10, 0x400000, v1
	v_and_or_b32 v3, 0x3fffff, v1, v3
	v_lshrrev_b32_e32 v1, 23, v1
	s_delay_alu instid0(VALU_DEP_3) | instskip(NEXT) | instid1(VALU_DEP_3)
	v_cmp_ne_u32_e32 vcc_lo, 0, v10
	v_cmp_ne_u32_e64 s0, 0, v3
	s_and_b32 s0, vcc_lo, s0
	s_delay_alu instid0(SALU_CYCLE_1) | instskip(NEXT) | instid1(VALU_DEP_1)
	v_cndmask_b32_e64 v3, 0, 1, s0
	v_add_nc_u32_e32 v10, v1, v3
.LBB315_2475:
	s_or_b32 exec_lo, exec_lo, s19
.LBB315_2476:
	s_mov_b32 s19, 0
	s_mov_b32 s0, -1
.LBB315_2477:
	s_and_not1_b32 vcc_lo, exec_lo, s19
	s_mov_b32 s19, 0
	s_cbranch_vccnz .LBB315_2488
; %bb.2478:
	s_cmp_gt_i32 s14, 14
	s_cbranch_scc0 .LBB315_2483
; %bb.2479:
	s_cmp_eq_u32 s14, 15
	s_cbranch_scc0 .LBB315_2484
; %bb.2480:
	global_load_u16 v1, v[4:5], off
	s_wait_loadcnt 0x1
	v_mov_b32_e32 v10, 0xff
	s_mov_b32 s16, exec_lo
	s_wait_loadcnt 0x0
	v_bfe_u32 v3, v1, 7, 8
	s_wait_xcnt 0x0
	s_delay_alu instid0(VALU_DEP_1)
	v_cmpx_ne_u32_e32 0xff, v3
	s_cbranch_execz .LBB315_2482
; %bb.2481:
	v_dual_lshlrev_b32 v10, 16, v1 :: v_dual_bitop2_b32 v11, 64, v1 bitop3:0x40
	v_lshrrev_b32_e32 v1, 7, v1
	s_delay_alu instid0(VALU_DEP_2) | instskip(NEXT) | instid1(VALU_DEP_3)
	v_and_or_b32 v3, 0x3f0000, v10, v3
	v_cmp_ne_u32_e32 vcc_lo, 0, v11
	s_delay_alu instid0(VALU_DEP_2) | instskip(SKIP_1) | instid1(SALU_CYCLE_1)
	v_cmp_ne_u32_e64 s0, 0, v3
	s_and_b32 s0, vcc_lo, s0
	v_cndmask_b32_e64 v3, 0, 1, s0
	s_delay_alu instid0(VALU_DEP_1)
	v_add_nc_u32_e32 v10, v1, v3
.LBB315_2482:
	s_or_b32 exec_lo, exec_lo, s16
	s_mov_b32 s16, 0
	s_mov_b32 s0, -1
	s_branch .LBB315_2486
.LBB315_2483:
	s_mov_b32 s19, -1
	s_branch .LBB315_2485
.LBB315_2484:
	s_mov_b32 s16, -1
.LBB315_2485:
                                        ; implicit-def: $vgpr10
.LBB315_2486:
	s_and_b32 vcc_lo, exec_lo, s19
	s_mov_b32 s19, 0
	s_cbranch_vccz .LBB315_2488
; %bb.2487:
	s_cmp_lg_u32 s14, 11
	s_mov_b32 s19, -1
	s_cselect_b32 s16, -1, 0
.LBB315_2488:
	s_delay_alu instid0(SALU_CYCLE_1)
	s_and_b32 vcc_lo, exec_lo, s16
	s_cbranch_vccnz .LBB315_2579
; %bb.2489:
	s_and_not1_b32 vcc_lo, exec_lo, s19
	s_cbranch_vccnz .LBB315_2493
.LBB315_2490:
	global_load_u8 v1, v[4:5], off
	s_mov_b32 s14, exec_lo
	s_wait_loadcnt 0x1
	v_mov_b32_e32 v10, 0xff
	s_wait_loadcnt 0x0
	v_cmp_ne_u16_e32 vcc_lo, 0, v1
	v_cndmask_b32_e64 v3, 0, 1.0, vcc_lo
	s_delay_alu instid0(VALU_DEP_1) | instskip(SKIP_1) | instid1(VALU_DEP_1)
	v_lshrrev_b32_e32 v1, 23, v3
	s_wait_xcnt 0x0
	v_cmpx_ne_u32_e32 0xff, v1
; %bb.2491:
	v_and_b32_e32 v10, 0x400000, v3
	v_and_or_b32 v3, 0x3fffff, v3, v1
	s_delay_alu instid0(VALU_DEP_2) | instskip(NEXT) | instid1(VALU_DEP_2)
	v_cmp_ne_u32_e32 vcc_lo, 0, v10
	v_cmp_ne_u32_e64 s0, 0, v3
	s_and_b32 s0, vcc_lo, s0
	s_delay_alu instid0(SALU_CYCLE_1) | instskip(NEXT) | instid1(VALU_DEP_1)
	v_cndmask_b32_e64 v3, 0, 1, s0
	v_add_nc_u32_e32 v10, v1, v3
; %bb.2492:
	s_or_b32 exec_lo, exec_lo, s14
	s_mov_b32 s0, -1
.LBB315_2493:
	s_mov_b32 s14, 0
.LBB315_2494:
	s_delay_alu instid0(SALU_CYCLE_1)
	s_and_b32 vcc_lo, exec_lo, s14
	s_cbranch_vccz .LBB315_2565
; %bb.2495:
	s_and_b32 s14, 0xffff, s2
	s_delay_alu instid0(SALU_CYCLE_1)
	s_cmp_lt_i32 s14, 5
	s_cbranch_scc1 .LBB315_2502
; %bb.2496:
	s_cmp_lt_i32 s14, 8
	s_cbranch_scc1 .LBB315_2503
; %bb.2497:
	;; [unrolled: 3-line block ×3, first 2 shown]
	s_cmp_gt_i32 s14, 9
	s_cbranch_scc0 .LBB315_2505
; %bb.2499:
	s_wait_loadcnt 0x0
	global_load_b64 v[10:11], v[4:5], off
	s_mov_b32 s16, exec_lo
	s_wait_loadcnt 0x0
	v_cvt_f32_f64_e32 v1, v[10:11]
	v_mov_b32_e32 v10, 0xff
	s_delay_alu instid0(VALU_DEP_2) | instskip(SKIP_1) | instid1(VALU_DEP_1)
	v_bfe_u32 v3, v1, 23, 8
	s_wait_xcnt 0x0
	v_cmpx_ne_u32_e32 0xff, v3
	s_cbranch_execz .LBB315_2501
; %bb.2500:
	v_and_b32_e32 v10, 0x400000, v1
	v_and_or_b32 v3, 0x3fffff, v1, v3
	v_lshrrev_b32_e32 v1, 23, v1
	s_delay_alu instid0(VALU_DEP_3) | instskip(NEXT) | instid1(VALU_DEP_3)
	v_cmp_ne_u32_e32 vcc_lo, 0, v10
	v_cmp_ne_u32_e64 s0, 0, v3
	s_and_b32 s0, vcc_lo, s0
	s_delay_alu instid0(SALU_CYCLE_1) | instskip(NEXT) | instid1(VALU_DEP_1)
	v_cndmask_b32_e64 v3, 0, 1, s0
	v_add_nc_u32_e32 v10, v1, v3
.LBB315_2501:
	s_or_b32 exec_lo, exec_lo, s16
	s_mov_b32 s0, 0
	s_branch .LBB315_2506
.LBB315_2502:
	s_mov_b32 s0, -1
                                        ; implicit-def: $vgpr10
	s_branch .LBB315_2534
.LBB315_2503:
	s_mov_b32 s0, -1
                                        ; implicit-def: $vgpr10
	s_branch .LBB315_2516
.LBB315_2504:
	s_mov_b32 s0, -1
                                        ; implicit-def: $vgpr10
	s_branch .LBB315_2511
.LBB315_2505:
	s_mov_b32 s0, -1
                                        ; implicit-def: $vgpr10
.LBB315_2506:
	s_delay_alu instid0(SALU_CYCLE_1)
	s_and_not1_b32 vcc_lo, exec_lo, s0
	s_cbranch_vccnz .LBB315_2510
; %bb.2507:
	global_load_b32 v1, v[4:5], off
	s_wait_loadcnt 0x1
	v_mov_b32_e32 v10, 0xff
	s_mov_b32 s16, exec_lo
	s_wait_loadcnt 0x0
	v_bfe_u32 v3, v1, 23, 8
	s_wait_xcnt 0x0
	s_delay_alu instid0(VALU_DEP_1)
	v_cmpx_ne_u32_e32 0xff, v3
	s_cbranch_execz .LBB315_2509
; %bb.2508:
	v_and_b32_e32 v10, 0x400000, v1
	v_and_or_b32 v3, 0x3fffff, v1, v3
	v_lshrrev_b32_e32 v1, 23, v1
	s_delay_alu instid0(VALU_DEP_3) | instskip(NEXT) | instid1(VALU_DEP_3)
	v_cmp_ne_u32_e32 vcc_lo, 0, v10
	v_cmp_ne_u32_e64 s0, 0, v3
	s_and_b32 s0, vcc_lo, s0
	s_delay_alu instid0(SALU_CYCLE_1) | instskip(NEXT) | instid1(VALU_DEP_1)
	v_cndmask_b32_e64 v3, 0, 1, s0
	v_add_nc_u32_e32 v10, v1, v3
.LBB315_2509:
	s_or_b32 exec_lo, exec_lo, s16
.LBB315_2510:
	s_mov_b32 s0, 0
.LBB315_2511:
	s_delay_alu instid0(SALU_CYCLE_1)
	s_and_not1_b32 vcc_lo, exec_lo, s0
	s_cbranch_vccnz .LBB315_2515
; %bb.2512:
	global_load_b32 v1, v[4:5], off
	s_wait_loadcnt 0x1
	v_mov_b32_e32 v10, 0xff
	s_mov_b32 s16, exec_lo
	s_wait_loadcnt 0x0
	v_cvt_f32_f16_e32 v1, v1
	s_delay_alu instid0(VALU_DEP_1) | instskip(SKIP_1) | instid1(VALU_DEP_1)
	v_bfe_u32 v3, v1, 23, 8
	s_wait_xcnt 0x0
	v_cmpx_ne_u32_e32 0xff, v3
	s_cbranch_execz .LBB315_2514
; %bb.2513:
	v_and_b32_e32 v10, 0x400000, v1
	v_and_or_b32 v3, 0x3fffff, v1, v3
	v_lshrrev_b32_e32 v1, 23, v1
	s_delay_alu instid0(VALU_DEP_3) | instskip(NEXT) | instid1(VALU_DEP_3)
	v_cmp_ne_u32_e32 vcc_lo, 0, v10
	v_cmp_ne_u32_e64 s0, 0, v3
	s_and_b32 s0, vcc_lo, s0
	s_delay_alu instid0(SALU_CYCLE_1) | instskip(NEXT) | instid1(VALU_DEP_1)
	v_cndmask_b32_e64 v3, 0, 1, s0
	v_add_nc_u32_e32 v10, v1, v3
.LBB315_2514:
	s_or_b32 exec_lo, exec_lo, s16
.LBB315_2515:
	s_mov_b32 s0, 0
.LBB315_2516:
	s_delay_alu instid0(SALU_CYCLE_1)
	s_and_not1_b32 vcc_lo, exec_lo, s0
	s_cbranch_vccnz .LBB315_2533
; %bb.2517:
	s_cmp_lt_i32 s14, 6
	s_cbranch_scc1 .LBB315_2522
; %bb.2518:
	s_cmp_gt_i32 s14, 6
	s_cbranch_scc0 .LBB315_2523
; %bb.2519:
	s_wait_loadcnt 0x0
	global_load_b64 v[10:11], v[4:5], off
	s_mov_b32 s16, exec_lo
	s_wait_loadcnt 0x0
	v_cvt_f32_f64_e32 v1, v[10:11]
	v_mov_b32_e32 v10, 0xff
	s_delay_alu instid0(VALU_DEP_2) | instskip(SKIP_1) | instid1(VALU_DEP_1)
	v_bfe_u32 v3, v1, 23, 8
	s_wait_xcnt 0x0
	v_cmpx_ne_u32_e32 0xff, v3
	s_cbranch_execz .LBB315_2521
; %bb.2520:
	v_and_b32_e32 v10, 0x400000, v1
	v_and_or_b32 v3, 0x3fffff, v1, v3
	v_lshrrev_b32_e32 v1, 23, v1
	s_delay_alu instid0(VALU_DEP_3) | instskip(NEXT) | instid1(VALU_DEP_3)
	v_cmp_ne_u32_e32 vcc_lo, 0, v10
	v_cmp_ne_u32_e64 s0, 0, v3
	s_and_b32 s0, vcc_lo, s0
	s_delay_alu instid0(SALU_CYCLE_1) | instskip(NEXT) | instid1(VALU_DEP_1)
	v_cndmask_b32_e64 v3, 0, 1, s0
	v_add_nc_u32_e32 v10, v1, v3
.LBB315_2521:
	s_or_b32 exec_lo, exec_lo, s16
	s_mov_b32 s0, 0
	s_branch .LBB315_2524
.LBB315_2522:
	s_mov_b32 s0, -1
                                        ; implicit-def: $vgpr10
	s_branch .LBB315_2529
.LBB315_2523:
	s_mov_b32 s0, -1
                                        ; implicit-def: $vgpr10
.LBB315_2524:
	s_delay_alu instid0(SALU_CYCLE_1)
	s_and_not1_b32 vcc_lo, exec_lo, s0
	s_cbranch_vccnz .LBB315_2528
; %bb.2525:
	global_load_b32 v1, v[4:5], off
	s_wait_loadcnt 0x1
	v_mov_b32_e32 v10, 0xff
	s_mov_b32 s16, exec_lo
	s_wait_loadcnt 0x0
	v_bfe_u32 v3, v1, 23, 8
	s_wait_xcnt 0x0
	s_delay_alu instid0(VALU_DEP_1)
	v_cmpx_ne_u32_e32 0xff, v3
	s_cbranch_execz .LBB315_2527
; %bb.2526:
	v_and_b32_e32 v10, 0x400000, v1
	v_and_or_b32 v3, 0x3fffff, v1, v3
	v_lshrrev_b32_e32 v1, 23, v1
	s_delay_alu instid0(VALU_DEP_3) | instskip(NEXT) | instid1(VALU_DEP_3)
	v_cmp_ne_u32_e32 vcc_lo, 0, v10
	v_cmp_ne_u32_e64 s0, 0, v3
	s_and_b32 s0, vcc_lo, s0
	s_delay_alu instid0(SALU_CYCLE_1) | instskip(NEXT) | instid1(VALU_DEP_1)
	v_cndmask_b32_e64 v3, 0, 1, s0
	v_add_nc_u32_e32 v10, v1, v3
.LBB315_2527:
	s_or_b32 exec_lo, exec_lo, s16
.LBB315_2528:
	s_mov_b32 s0, 0
.LBB315_2529:
	s_delay_alu instid0(SALU_CYCLE_1)
	s_and_not1_b32 vcc_lo, exec_lo, s0
	s_cbranch_vccnz .LBB315_2533
; %bb.2530:
	global_load_u16 v1, v[4:5], off
	s_wait_loadcnt 0x1
	v_mov_b32_e32 v10, 0xff
	s_mov_b32 s16, exec_lo
	s_wait_loadcnt 0x0
	v_cvt_f32_f16_e32 v1, v1
	s_delay_alu instid0(VALU_DEP_1) | instskip(SKIP_1) | instid1(VALU_DEP_1)
	v_bfe_u32 v3, v1, 23, 8
	s_wait_xcnt 0x0
	v_cmpx_ne_u32_e32 0xff, v3
	s_cbranch_execz .LBB315_2532
; %bb.2531:
	v_and_b32_e32 v10, 0x400000, v1
	v_and_or_b32 v3, 0x3fffff, v1, v3
	v_lshrrev_b32_e32 v1, 23, v1
	s_delay_alu instid0(VALU_DEP_3) | instskip(NEXT) | instid1(VALU_DEP_3)
	v_cmp_ne_u32_e32 vcc_lo, 0, v10
	v_cmp_ne_u32_e64 s0, 0, v3
	s_and_b32 s0, vcc_lo, s0
	s_delay_alu instid0(SALU_CYCLE_1) | instskip(NEXT) | instid1(VALU_DEP_1)
	v_cndmask_b32_e64 v3, 0, 1, s0
	v_add_nc_u32_e32 v10, v1, v3
.LBB315_2532:
	s_or_b32 exec_lo, exec_lo, s16
.LBB315_2533:
	s_mov_b32 s0, 0
.LBB315_2534:
	s_delay_alu instid0(SALU_CYCLE_1)
	s_and_not1_b32 vcc_lo, exec_lo, s0
	s_cbranch_vccnz .LBB315_2564
; %bb.2535:
	s_cmp_lt_i32 s14, 2
	s_cbranch_scc1 .LBB315_2541
; %bb.2536:
	s_cmp_lt_i32 s14, 3
	s_cbranch_scc1 .LBB315_2542
; %bb.2537:
	s_cmp_gt_i32 s14, 3
	s_cbranch_scc0 .LBB315_2543
; %bb.2538:
	s_wait_loadcnt 0x0
	global_load_b64 v[10:11], v[4:5], off
	s_mov_b32 s16, exec_lo
	s_wait_loadcnt 0x0
	v_xor_b32_e32 v1, v10, v11
	v_cls_i32_e32 v3, v11
	s_delay_alu instid0(VALU_DEP_2) | instskip(NEXT) | instid1(VALU_DEP_1)
	v_ashrrev_i32_e32 v1, 31, v1
	v_add_nc_u32_e32 v1, 32, v1
	s_delay_alu instid0(VALU_DEP_1) | instskip(NEXT) | instid1(VALU_DEP_1)
	v_add_min_u32_e64 v1, v3, -1, v1
	v_lshlrev_b64_e32 v[10:11], v1, v[10:11]
	v_sub_nc_u32_e32 v1, 32, v1
	s_delay_alu instid0(VALU_DEP_2) | instskip(SKIP_1) | instid1(VALU_DEP_2)
	v_min_u32_e32 v3, 1, v10
	v_mov_b32_e32 v10, 0xff
	v_or_b32_e32 v3, v11, v3
	s_delay_alu instid0(VALU_DEP_1) | instskip(NEXT) | instid1(VALU_DEP_1)
	v_cvt_f32_i32_e32 v3, v3
	v_ldexp_f32 v1, v3, v1
	s_delay_alu instid0(VALU_DEP_1) | instskip(SKIP_1) | instid1(VALU_DEP_1)
	v_bfe_u32 v3, v1, 23, 8
	s_wait_xcnt 0x0
	v_cmpx_ne_u32_e32 0xff, v3
	s_cbranch_execz .LBB315_2540
; %bb.2539:
	v_and_b32_e32 v10, 0x400000, v1
	v_and_or_b32 v3, 0x3fffff, v1, v3
	v_lshrrev_b32_e32 v1, 23, v1
	s_delay_alu instid0(VALU_DEP_3) | instskip(NEXT) | instid1(VALU_DEP_3)
	v_cmp_ne_u32_e32 vcc_lo, 0, v10
	v_cmp_ne_u32_e64 s0, 0, v3
	s_and_b32 s0, vcc_lo, s0
	s_delay_alu instid0(SALU_CYCLE_1) | instskip(NEXT) | instid1(VALU_DEP_1)
	v_cndmask_b32_e64 v3, 0, 1, s0
	v_add_nc_u32_e32 v10, v1, v3
.LBB315_2540:
	s_or_b32 exec_lo, exec_lo, s16
	s_mov_b32 s0, 0
	s_branch .LBB315_2544
.LBB315_2541:
	s_mov_b32 s0, -1
                                        ; implicit-def: $vgpr10
	s_branch .LBB315_2554
.LBB315_2542:
	s_mov_b32 s0, -1
                                        ; implicit-def: $vgpr10
	s_branch .LBB315_2549
.LBB315_2543:
	s_mov_b32 s0, -1
                                        ; implicit-def: $vgpr10
.LBB315_2544:
	s_delay_alu instid0(SALU_CYCLE_1)
	s_and_not1_b32 vcc_lo, exec_lo, s0
	s_cbranch_vccnz .LBB315_2548
; %bb.2545:
	global_load_b32 v1, v[4:5], off
	s_wait_loadcnt 0x1
	v_mov_b32_e32 v10, 0xff
	s_mov_b32 s16, exec_lo
	s_wait_loadcnt 0x0
	v_cvt_f32_i32_e32 v1, v1
	s_delay_alu instid0(VALU_DEP_1) | instskip(SKIP_1) | instid1(VALU_DEP_1)
	v_bfe_u32 v3, v1, 23, 8
	s_wait_xcnt 0x0
	v_cmpx_ne_u32_e32 0xff, v3
	s_cbranch_execz .LBB315_2547
; %bb.2546:
	v_and_b32_e32 v10, 0x400000, v1
	v_and_or_b32 v3, 0x3fffff, v1, v3
	v_lshrrev_b32_e32 v1, 23, v1
	s_delay_alu instid0(VALU_DEP_3) | instskip(NEXT) | instid1(VALU_DEP_3)
	v_cmp_ne_u32_e32 vcc_lo, 0, v10
	v_cmp_ne_u32_e64 s0, 0, v3
	s_and_b32 s0, vcc_lo, s0
	s_delay_alu instid0(SALU_CYCLE_1) | instskip(NEXT) | instid1(VALU_DEP_1)
	v_cndmask_b32_e64 v3, 0, 1, s0
	v_add_nc_u32_e32 v10, v1, v3
.LBB315_2547:
	s_or_b32 exec_lo, exec_lo, s16
.LBB315_2548:
	s_mov_b32 s0, 0
.LBB315_2549:
	s_delay_alu instid0(SALU_CYCLE_1)
	s_and_not1_b32 vcc_lo, exec_lo, s0
	s_cbranch_vccnz .LBB315_2553
; %bb.2550:
	global_load_i16 v1, v[4:5], off
	s_wait_loadcnt 0x1
	v_mov_b32_e32 v10, 0xff
	s_mov_b32 s16, exec_lo
	s_wait_loadcnt 0x0
	v_cvt_f32_i32_e32 v1, v1
	s_delay_alu instid0(VALU_DEP_1) | instskip(SKIP_1) | instid1(VALU_DEP_1)
	v_bfe_u32 v3, v1, 23, 8
	s_wait_xcnt 0x0
	v_cmpx_ne_u32_e32 0xff, v3
	s_cbranch_execz .LBB315_2552
; %bb.2551:
	v_and_b32_e32 v10, 0x400000, v1
	v_and_or_b32 v3, 0x3fffff, v1, v3
	v_lshrrev_b32_e32 v1, 23, v1
	s_delay_alu instid0(VALU_DEP_3) | instskip(NEXT) | instid1(VALU_DEP_3)
	v_cmp_ne_u32_e32 vcc_lo, 0, v10
	v_cmp_ne_u32_e64 s0, 0, v3
	s_and_b32 s0, vcc_lo, s0
	s_delay_alu instid0(SALU_CYCLE_1) | instskip(NEXT) | instid1(VALU_DEP_1)
	v_cndmask_b32_e64 v3, 0, 1, s0
	v_add_nc_u32_e32 v10, v1, v3
.LBB315_2552:
	s_or_b32 exec_lo, exec_lo, s16
.LBB315_2553:
	s_mov_b32 s0, 0
.LBB315_2554:
	s_delay_alu instid0(SALU_CYCLE_1)
	s_and_not1_b32 vcc_lo, exec_lo, s0
	s_cbranch_vccnz .LBB315_2564
; %bb.2555:
	s_cmp_gt_i32 s14, 0
	s_cbranch_scc0 .LBB315_2559
; %bb.2556:
	global_load_i8 v1, v[4:5], off
	s_wait_loadcnt 0x1
	v_mov_b32_e32 v10, 0xff
	s_mov_b32 s14, exec_lo
	s_wait_loadcnt 0x0
	v_cvt_f32_i32_e32 v1, v1
	s_delay_alu instid0(VALU_DEP_1) | instskip(SKIP_1) | instid1(VALU_DEP_1)
	v_bfe_u32 v3, v1, 23, 8
	s_wait_xcnt 0x0
	v_cmpx_ne_u32_e32 0xff, v3
	s_cbranch_execz .LBB315_2558
; %bb.2557:
	v_and_b32_e32 v10, 0x400000, v1
	v_and_or_b32 v3, 0x3fffff, v1, v3
	v_lshrrev_b32_e32 v1, 23, v1
	s_delay_alu instid0(VALU_DEP_3) | instskip(NEXT) | instid1(VALU_DEP_3)
	v_cmp_ne_u32_e32 vcc_lo, 0, v10
	v_cmp_ne_u32_e64 s0, 0, v3
	s_and_b32 s0, vcc_lo, s0
	s_delay_alu instid0(SALU_CYCLE_1) | instskip(NEXT) | instid1(VALU_DEP_1)
	v_cndmask_b32_e64 v3, 0, 1, s0
	v_add_nc_u32_e32 v10, v1, v3
.LBB315_2558:
	s_or_b32 exec_lo, exec_lo, s14
	s_mov_b32 s0, 0
	s_branch .LBB315_2560
.LBB315_2559:
	s_mov_b32 s0, -1
                                        ; implicit-def: $vgpr10
.LBB315_2560:
	s_delay_alu instid0(SALU_CYCLE_1)
	s_and_not1_b32 vcc_lo, exec_lo, s0
	s_cbranch_vccnz .LBB315_2564
; %bb.2561:
	global_load_u8 v1, v[4:5], off
	s_mov_b32 s14, exec_lo
	s_wait_loadcnt 0x1
	v_mov_b32_e32 v10, 0xff
	s_wait_loadcnt 0x0
	v_cvt_f32_ubyte0_e32 v3, v1
	s_delay_alu instid0(VALU_DEP_1) | instskip(SKIP_1) | instid1(VALU_DEP_1)
	v_lshrrev_b32_e32 v1, 23, v3
	s_wait_xcnt 0x0
	v_cmpx_ne_u32_e32 0xff, v1
; %bb.2562:
	v_and_b32_e32 v4, 0x400000, v3
	v_and_or_b32 v3, 0x3fffff, v3, v1
	s_delay_alu instid0(VALU_DEP_2) | instskip(NEXT) | instid1(VALU_DEP_2)
	v_cmp_ne_u32_e32 vcc_lo, 0, v4
	v_cmp_ne_u32_e64 s0, 0, v3
	s_and_b32 s0, vcc_lo, s0
	s_delay_alu instid0(SALU_CYCLE_1) | instskip(NEXT) | instid1(VALU_DEP_1)
	v_cndmask_b32_e64 v3, 0, 1, s0
	v_add_nc_u32_e32 v10, v1, v3
; %bb.2563:
	s_or_b32 exec_lo, exec_lo, s14
.LBB315_2564:
	s_mov_b32 s0, -1
.LBB315_2565:
	s_delay_alu instid0(SALU_CYCLE_1)
	s_and_not1_b32 vcc_lo, exec_lo, s0
	s_cbranch_vccnz .LBB315_3690
; %bb.2566:
	v_add_nc_u32_e32 v0, s9, v0
	s_cmp_lt_i32 s1, 11
	s_delay_alu instid0(VALU_DEP_1) | instskip(SKIP_1) | instid1(VALU_DEP_1)
	v_ashrrev_i32_e32 v1, 31, v0
	s_wait_xcnt 0x0
	v_add_nc_u64_e32 v[4:5], s[6:7], v[0:1]
	s_cbranch_scc1 .LBB315_2575
; %bb.2567:
	s_and_b32 s14, 0xffff, s1
	s_mov_b32 s19, 0
	s_cmp_gt_i32 s14, 25
	s_cbranch_scc0 .LBB315_2576
; %bb.2568:
	s_cmp_gt_i32 s14, 28
	s_cbranch_scc0 .LBB315_2577
; %bb.2569:
	;; [unrolled: 3-line block ×4, first 2 shown]
	s_cmp_eq_u32 s14, 46
	s_mov_b32 s20, 0
	s_cbranch_scc0 .LBB315_2581
; %bb.2572:
	global_load_b32 v1, v[4:5], off
	v_mov_b32_e32 v11, 0xff
	s_mov_b32 s16, exec_lo
	s_wait_loadcnt 0x0
	v_lshlrev_b32_e32 v3, 16, v1
	s_delay_alu instid0(VALU_DEP_1) | instskip(SKIP_1) | instid1(VALU_DEP_1)
	v_bfe_u32 v12, v3, 23, 8
	s_wait_xcnt 0x0
	v_cmpx_ne_u32_e32 0xff, v12
	s_cbranch_execz .LBB315_2574
; %bb.2573:
	v_and_b32_e32 v11, 64, v1
	v_and_or_b32 v3, 0x3f0000, v3, v12
	v_bfe_u32 v1, v1, 7, 9
	s_delay_alu instid0(VALU_DEP_3) | instskip(NEXT) | instid1(VALU_DEP_3)
	v_cmp_ne_u32_e32 vcc_lo, 0, v11
	v_cmp_ne_u32_e64 s0, 0, v3
	s_and_b32 s0, vcc_lo, s0
	s_delay_alu instid0(SALU_CYCLE_1) | instskip(NEXT) | instid1(VALU_DEP_1)
	v_cndmask_b32_e64 v3, 0, 1, s0
	v_add_nc_u32_e32 v11, v1, v3
.LBB315_2574:
	s_or_b32 exec_lo, exec_lo, s16
	s_mov_b32 s16, 0
	s_mov_b32 s0, -1
	s_branch .LBB315_2583
.LBB315_2575:
	s_mov_b32 s14, -1
	s_mov_b32 s0, 0
                                        ; implicit-def: $vgpr11
	s_branch .LBB315_2667
.LBB315_2576:
	s_mov_b32 s20, -1
	s_mov_b32 s0, 0
	s_mov_b32 s16, 0
                                        ; implicit-def: $vgpr11
	s_branch .LBB315_2622
.LBB315_2577:
	s_mov_b32 s20, -1
	s_mov_b32 s0, 0
	s_mov_b32 s16, 0
                                        ; implicit-def: $vgpr11
	s_branch .LBB315_2595
.LBB315_2578:
	s_mov_b32 s20, -1
	s_mov_b32 s0, 0
	s_mov_b32 s16, 0
                                        ; implicit-def: $vgpr11
	s_branch .LBB315_2588
.LBB315_2579:
	s_or_b32 s15, s15, exec_lo
	s_trap 2
	s_cbranch_execz .LBB315_2490
	s_branch .LBB315_2493
.LBB315_2580:
	s_mov_b32 s20, -1
	s_mov_b32 s0, 0
	s_mov_b32 s16, 0
	s_branch .LBB315_2582
.LBB315_2581:
	s_mov_b32 s16, -1
	s_mov_b32 s0, 0
.LBB315_2582:
                                        ; implicit-def: $vgpr11
.LBB315_2583:
	s_and_b32 vcc_lo, exec_lo, s20
	s_cbranch_vccz .LBB315_2587
; %bb.2584:
	s_cmp_eq_u32 s14, 44
	s_cbranch_scc0 .LBB315_2586
; %bb.2585:
	global_load_u8 v11, v[4:5], off
	s_mov_b32 s16, 0
	s_mov_b32 s0, -1
	s_branch .LBB315_2587
.LBB315_2586:
	s_mov_b32 s16, -1
                                        ; implicit-def: $vgpr11
.LBB315_2587:
	s_mov_b32 s20, 0
.LBB315_2588:
	s_delay_alu instid0(SALU_CYCLE_1)
	s_and_b32 vcc_lo, exec_lo, s20
	s_cbranch_vccz .LBB315_2594
; %bb.2589:
	s_cmp_eq_u32 s14, 29
	s_cbranch_scc0 .LBB315_2593
; %bb.2590:
	global_load_b64 v[12:13], v[4:5], off
	s_wait_loadcnt 0x1
	v_mov_b32_e32 v11, 0xff
	s_mov_b32 s16, exec_lo
	s_wait_loadcnt 0x0
	v_clz_i32_u32_e32 v1, v13
	s_delay_alu instid0(VALU_DEP_1) | instskip(NEXT) | instid1(VALU_DEP_1)
	v_min_u32_e32 v1, 32, v1
	v_lshlrev_b64_e32 v[12:13], v1, v[12:13]
	v_sub_nc_u32_e32 v1, 32, v1
	s_delay_alu instid0(VALU_DEP_2) | instskip(NEXT) | instid1(VALU_DEP_1)
	v_min_u32_e32 v3, 1, v12
	v_or_b32_e32 v3, v13, v3
	s_delay_alu instid0(VALU_DEP_1) | instskip(NEXT) | instid1(VALU_DEP_1)
	v_cvt_f32_u32_e32 v3, v3
	v_ldexp_f32 v3, v3, v1
	s_delay_alu instid0(VALU_DEP_1) | instskip(SKIP_1) | instid1(VALU_DEP_1)
	v_lshrrev_b32_e32 v1, 23, v3
	s_wait_xcnt 0x0
	v_cmpx_ne_u32_e32 0xff, v1
; %bb.2591:
	v_and_b32_e32 v11, 0x400000, v3
	v_and_or_b32 v3, 0x3fffff, v3, v1
	s_delay_alu instid0(VALU_DEP_2) | instskip(NEXT) | instid1(VALU_DEP_2)
	v_cmp_ne_u32_e32 vcc_lo, 0, v11
	v_cmp_ne_u32_e64 s0, 0, v3
	s_and_b32 s0, vcc_lo, s0
	s_delay_alu instid0(SALU_CYCLE_1) | instskip(NEXT) | instid1(VALU_DEP_1)
	v_cndmask_b32_e64 v3, 0, 1, s0
	v_add_nc_u32_e32 v11, v1, v3
; %bb.2592:
	s_or_b32 exec_lo, exec_lo, s16
	s_mov_b32 s16, 0
	s_mov_b32 s0, -1
	s_branch .LBB315_2594
.LBB315_2593:
	s_mov_b32 s16, -1
                                        ; implicit-def: $vgpr11
.LBB315_2594:
	s_mov_b32 s20, 0
.LBB315_2595:
	s_delay_alu instid0(SALU_CYCLE_1)
	s_and_b32 vcc_lo, exec_lo, s20
	s_cbranch_vccz .LBB315_2621
; %bb.2596:
	s_cmp_lt_i32 s14, 27
	s_cbranch_scc1 .LBB315_2601
; %bb.2597:
	s_cmp_gt_i32 s14, 27
	s_cbranch_scc0 .LBB315_2602
; %bb.2598:
	global_load_b32 v1, v[4:5], off
	s_wait_loadcnt 0x1
	v_mov_b32_e32 v11, 0xff
	s_mov_b32 s20, exec_lo
	s_wait_loadcnt 0x0
	v_cvt_f32_u32_e32 v3, v1
	s_delay_alu instid0(VALU_DEP_1) | instskip(SKIP_1) | instid1(VALU_DEP_1)
	v_lshrrev_b32_e32 v1, 23, v3
	s_wait_xcnt 0x0
	v_cmpx_ne_u32_e32 0xff, v1
; %bb.2599:
	v_and_b32_e32 v11, 0x400000, v3
	v_and_or_b32 v3, 0x3fffff, v3, v1
	s_delay_alu instid0(VALU_DEP_2) | instskip(NEXT) | instid1(VALU_DEP_2)
	v_cmp_ne_u32_e32 vcc_lo, 0, v11
	v_cmp_ne_u32_e64 s0, 0, v3
	s_and_b32 s0, vcc_lo, s0
	s_delay_alu instid0(SALU_CYCLE_1) | instskip(NEXT) | instid1(VALU_DEP_1)
	v_cndmask_b32_e64 v3, 0, 1, s0
	v_add_nc_u32_e32 v11, v1, v3
; %bb.2600:
	s_or_b32 exec_lo, exec_lo, s20
	s_mov_b32 s0, 0
	s_branch .LBB315_2603
.LBB315_2601:
	s_mov_b32 s0, -1
                                        ; implicit-def: $vgpr11
	s_branch .LBB315_2608
.LBB315_2602:
	s_mov_b32 s0, -1
                                        ; implicit-def: $vgpr11
.LBB315_2603:
	s_delay_alu instid0(SALU_CYCLE_1)
	s_and_not1_b32 vcc_lo, exec_lo, s0
	s_cbranch_vccnz .LBB315_2607
; %bb.2604:
	global_load_u16 v1, v[4:5], off
	s_wait_loadcnt 0x1
	v_mov_b32_e32 v11, 0xff
	s_mov_b32 s20, exec_lo
	s_wait_loadcnt 0x0
	v_cvt_f32_u32_e32 v3, v1
	s_delay_alu instid0(VALU_DEP_1) | instskip(SKIP_1) | instid1(VALU_DEP_1)
	v_lshrrev_b32_e32 v1, 23, v3
	s_wait_xcnt 0x0
	v_cmpx_ne_u32_e32 0xff, v1
; %bb.2605:
	v_and_b32_e32 v11, 0x400000, v3
	v_and_or_b32 v3, 0x3fffff, v3, v1
	s_delay_alu instid0(VALU_DEP_2) | instskip(NEXT) | instid1(VALU_DEP_2)
	v_cmp_ne_u32_e32 vcc_lo, 0, v11
	v_cmp_ne_u32_e64 s0, 0, v3
	s_and_b32 s0, vcc_lo, s0
	s_delay_alu instid0(SALU_CYCLE_1) | instskip(NEXT) | instid1(VALU_DEP_1)
	v_cndmask_b32_e64 v3, 0, 1, s0
	v_add_nc_u32_e32 v11, v1, v3
; %bb.2606:
	s_or_b32 exec_lo, exec_lo, s20
.LBB315_2607:
	s_mov_b32 s0, 0
.LBB315_2608:
	s_delay_alu instid0(SALU_CYCLE_1)
	s_and_not1_b32 vcc_lo, exec_lo, s0
	s_cbranch_vccnz .LBB315_2620
; %bb.2609:
	global_load_u8 v1, v[4:5], off
	s_mov_b32 s0, 0
	s_mov_b32 s20, exec_lo
	s_wait_loadcnt 0x0
	v_cmpx_lt_i16_e32 0x7f, v1
	s_xor_b32 s20, exec_lo, s20
	s_cbranch_execz .LBB315_2613
; %bb.2610:
	s_mov_b32 s0, -1
	s_mov_b32 s21, exec_lo
	v_cmpx_eq_u16_e32 0x80, v1
; %bb.2611:
	s_xor_b32 s0, exec_lo, -1
; %bb.2612:
	s_or_b32 exec_lo, exec_lo, s21
	s_delay_alu instid0(SALU_CYCLE_1)
	s_and_b32 s0, s0, exec_lo
.LBB315_2613:
	s_or_saveexec_b32 s20, s20
	v_mov_b32_e32 v3, 0x7f800001
	v_and_b32_e32 v11, 0xffff, v1
	s_xor_b32 exec_lo, exec_lo, s20
; %bb.2614:
	v_cmp_ne_u16_e32 vcc_lo, 0, v1
	s_delay_alu instid0(VALU_DEP_2) | instskip(SKIP_2) | instid1(SALU_CYCLE_1)
	v_mov_b32_e32 v3, v11
	s_and_not1_b32 s0, s0, exec_lo
	s_and_b32 s21, vcc_lo, exec_lo
	s_or_b32 s0, s0, s21
; %bb.2615:
	s_or_b32 exec_lo, exec_lo, s20
	s_and_saveexec_b32 s20, s0
	s_cbranch_execz .LBB315_2617
; %bb.2616:
	v_and_b32_e32 v1, 7, v11
	s_delay_alu instid0(VALU_DEP_1) | instskip(NEXT) | instid1(VALU_DEP_1)
	v_clz_i32_u32_e32 v3, v1
	v_min_u32_e32 v3, 32, v3
	s_delay_alu instid0(VALU_DEP_1) | instskip(NEXT) | instid1(VALU_DEP_1)
	v_subrev_nc_u32_e32 v12, 28, v3
	v_lshlrev_b32_e32 v12, v12, v11
	v_bfe_u32 v11, v11, 3, 4
	s_delay_alu instid0(VALU_DEP_2) | instskip(NEXT) | instid1(VALU_DEP_2)
	v_dual_sub_nc_u32 v3, 29, v3 :: v_dual_bitop2_b32 v12, 7, v12 bitop3:0x40
	v_cmp_eq_u32_e32 vcc_lo, 0, v11
	s_delay_alu instid0(VALU_DEP_2) | instskip(NEXT) | instid1(VALU_DEP_1)
	v_dual_cndmask_b32 v3, v11, v3, vcc_lo :: v_dual_cndmask_b32 v1, v1, v12, vcc_lo
	v_lshlrev_b32_e32 v1, 20, v1
	s_delay_alu instid0(VALU_DEP_1) | instskip(NEXT) | instid1(VALU_DEP_1)
	v_lshl_or_b32 v1, v3, 23, v1
	v_add_nc_u32_e32 v3, 0x3b800000, v1
.LBB315_2617:
	s_or_b32 exec_lo, exec_lo, s20
	s_delay_alu instid0(VALU_DEP_1) | instskip(SKIP_2) | instid1(VALU_DEP_2)
	v_lshrrev_b32_e32 v1, 23, v3
	v_mov_b32_e32 v11, 0xff
	s_mov_b32 s20, exec_lo
	v_cmpx_ne_u32_e32 0xff, v1
; %bb.2618:
	v_and_b32_e32 v11, 0x400000, v3
	v_and_or_b32 v3, 0x3fffff, v3, v1
	s_delay_alu instid0(VALU_DEP_2) | instskip(NEXT) | instid1(VALU_DEP_2)
	v_cmp_ne_u32_e32 vcc_lo, 0, v11
	v_cmp_ne_u32_e64 s0, 0, v3
	s_and_b32 s0, vcc_lo, s0
	s_delay_alu instid0(SALU_CYCLE_1) | instskip(NEXT) | instid1(VALU_DEP_1)
	v_cndmask_b32_e64 v3, 0, 1, s0
	v_add_nc_u32_e32 v11, v1, v3
; %bb.2619:
	s_or_b32 exec_lo, exec_lo, s20
.LBB315_2620:
	s_mov_b32 s0, -1
.LBB315_2621:
	s_mov_b32 s20, 0
.LBB315_2622:
	s_delay_alu instid0(SALU_CYCLE_1)
	s_and_b32 vcc_lo, exec_lo, s20
	s_cbranch_vccz .LBB315_2661
; %bb.2623:
	s_cmp_gt_i32 s14, 22
	s_cbranch_scc0 .LBB315_2637
; %bb.2624:
	s_cmp_lt_i32 s14, 24
	s_cbranch_scc1 .LBB315_2638
; %bb.2625:
	s_cmp_gt_i32 s14, 24
	s_cbranch_scc0 .LBB315_2639
; %bb.2626:
	global_load_u8 v1, v[4:5], off
	s_mov_b32 s0, 0
	s_mov_b32 s19, exec_lo
	s_wait_loadcnt 0x0
	v_cmpx_lt_i16_e32 0x7f, v1
	s_xor_b32 s19, exec_lo, s19
	s_cbranch_execz .LBB315_2630
; %bb.2627:
	s_mov_b32 s0, -1
	s_mov_b32 s20, exec_lo
	v_cmpx_eq_u16_e32 0x80, v1
; %bb.2628:
	s_xor_b32 s0, exec_lo, -1
; %bb.2629:
	s_or_b32 exec_lo, exec_lo, s20
	s_delay_alu instid0(SALU_CYCLE_1)
	s_and_b32 s0, s0, exec_lo
.LBB315_2630:
	s_or_saveexec_b32 s19, s19
	v_mov_b32_e32 v3, 0x7f800001
	v_and_b32_e32 v11, 0xffff, v1
	s_xor_b32 exec_lo, exec_lo, s19
; %bb.2631:
	v_cmp_ne_u16_e32 vcc_lo, 0, v1
	s_delay_alu instid0(VALU_DEP_2) | instskip(SKIP_2) | instid1(SALU_CYCLE_1)
	v_mov_b32_e32 v3, v11
	s_and_not1_b32 s0, s0, exec_lo
	s_and_b32 s20, vcc_lo, exec_lo
	s_or_b32 s0, s0, s20
; %bb.2632:
	s_or_b32 exec_lo, exec_lo, s19
	s_and_saveexec_b32 s19, s0
	s_cbranch_execz .LBB315_2634
; %bb.2633:
	v_and_b32_e32 v1, 3, v11
	s_delay_alu instid0(VALU_DEP_1) | instskip(NEXT) | instid1(VALU_DEP_1)
	v_clz_i32_u32_e32 v3, v1
	v_min_u32_e32 v3, 32, v3
	s_delay_alu instid0(VALU_DEP_1) | instskip(NEXT) | instid1(VALU_DEP_1)
	v_subrev_nc_u32_e32 v12, 29, v3
	v_lshlrev_b32_e32 v12, v12, v11
	v_bfe_u32 v11, v11, 2, 5
	s_delay_alu instid0(VALU_DEP_2) | instskip(NEXT) | instid1(VALU_DEP_2)
	v_dual_sub_nc_u32 v3, 30, v3 :: v_dual_bitop2_b32 v12, 3, v12 bitop3:0x40
	v_cmp_eq_u32_e32 vcc_lo, 0, v11
	s_delay_alu instid0(VALU_DEP_2) | instskip(NEXT) | instid1(VALU_DEP_1)
	v_dual_cndmask_b32 v3, v11, v3, vcc_lo :: v_dual_cndmask_b32 v1, v1, v12, vcc_lo
	v_lshlrev_b32_e32 v1, 21, v1
	s_delay_alu instid0(VALU_DEP_1) | instskip(NEXT) | instid1(VALU_DEP_1)
	v_lshl_or_b32 v1, v3, 23, v1
	v_add_nc_u32_e32 v3, 0x37800000, v1
.LBB315_2634:
	s_or_b32 exec_lo, exec_lo, s19
	s_delay_alu instid0(VALU_DEP_1) | instskip(SKIP_2) | instid1(VALU_DEP_2)
	v_lshrrev_b32_e32 v1, 23, v3
	v_mov_b32_e32 v11, 0xff
	s_mov_b32 s19, exec_lo
	v_cmpx_ne_u32_e32 0xff, v1
; %bb.2635:
	v_and_b32_e32 v11, 0x400000, v3
	v_and_or_b32 v3, 0x3fffff, v3, v1
	s_delay_alu instid0(VALU_DEP_2) | instskip(NEXT) | instid1(VALU_DEP_2)
	v_cmp_ne_u32_e32 vcc_lo, 0, v11
	v_cmp_ne_u32_e64 s0, 0, v3
	s_and_b32 s0, vcc_lo, s0
	s_delay_alu instid0(SALU_CYCLE_1) | instskip(NEXT) | instid1(VALU_DEP_1)
	v_cndmask_b32_e64 v3, 0, 1, s0
	v_add_nc_u32_e32 v11, v1, v3
; %bb.2636:
	s_or_b32 exec_lo, exec_lo, s19
	s_mov_b32 s0, 0
	s_branch .LBB315_2640
.LBB315_2637:
	s_mov_b32 s19, -1
                                        ; implicit-def: $vgpr11
	s_branch .LBB315_2650
.LBB315_2638:
	s_mov_b32 s0, -1
                                        ; implicit-def: $vgpr11
	s_branch .LBB315_2645
.LBB315_2639:
	s_mov_b32 s0, -1
                                        ; implicit-def: $vgpr11
.LBB315_2640:
	s_delay_alu instid0(SALU_CYCLE_1)
	s_and_b32 vcc_lo, exec_lo, s0
	s_cbranch_vccz .LBB315_2644
; %bb.2641:
	global_load_u8 v1, v[4:5], off
	s_mov_b32 s19, exec_lo
	s_wait_loadcnt 0x0
	v_lshlrev_b32_e32 v1, 24, v1
	s_delay_alu instid0(VALU_DEP_1) | instskip(NEXT) | instid1(VALU_DEP_1)
	v_and_b32_e32 v1, 0x7f000000, v1
	v_clz_i32_u32_e32 v3, v1
	v_cmp_ne_u32_e32 vcc_lo, 0, v1
	v_add_nc_u32_e32 v12, 0x1000000, v1
	s_delay_alu instid0(VALU_DEP_3) | instskip(NEXT) | instid1(VALU_DEP_1)
	v_min_u32_e32 v3, 32, v3
	v_sub_nc_u32_e64 v3, v3, 4 clamp
	s_delay_alu instid0(VALU_DEP_1) | instskip(NEXT) | instid1(VALU_DEP_1)
	v_dual_lshlrev_b32 v11, v3, v1 :: v_dual_lshlrev_b32 v3, 23, v3
	v_lshrrev_b32_e32 v11, 4, v11
	s_delay_alu instid0(VALU_DEP_1) | instskip(NEXT) | instid1(VALU_DEP_1)
	v_dual_sub_nc_u32 v3, v11, v3 :: v_dual_ashrrev_i32 v11, 8, v12
	v_add_nc_u32_e32 v3, 0x3c000000, v3
	s_delay_alu instid0(VALU_DEP_1) | instskip(SKIP_1) | instid1(VALU_DEP_2)
	v_and_or_b32 v3, 0x7f800000, v11, v3
	v_mov_b32_e32 v11, 0xff
	v_cndmask_b32_e32 v3, 0, v3, vcc_lo
	s_delay_alu instid0(VALU_DEP_1) | instskip(SKIP_1) | instid1(VALU_DEP_1)
	v_lshrrev_b32_e32 v1, 23, v3
	s_wait_xcnt 0x0
	v_cmpx_ne_u32_e32 0xff, v1
; %bb.2642:
	v_and_b32_e32 v11, 0x400000, v3
	v_and_or_b32 v3, 0x3fffff, v3, v1
	s_delay_alu instid0(VALU_DEP_2) | instskip(NEXT) | instid1(VALU_DEP_2)
	v_cmp_ne_u32_e32 vcc_lo, 0, v11
	v_cmp_ne_u32_e64 s0, 0, v3
	s_and_b32 s0, vcc_lo, s0
	s_delay_alu instid0(SALU_CYCLE_1) | instskip(NEXT) | instid1(VALU_DEP_1)
	v_cndmask_b32_e64 v3, 0, 1, s0
	v_add_nc_u32_e32 v11, v1, v3
; %bb.2643:
	s_or_b32 exec_lo, exec_lo, s19
.LBB315_2644:
	s_mov_b32 s0, 0
.LBB315_2645:
	s_delay_alu instid0(SALU_CYCLE_1)
	s_and_not1_b32 vcc_lo, exec_lo, s0
	s_cbranch_vccnz .LBB315_2649
; %bb.2646:
	global_load_u8 v1, v[4:5], off
	s_mov_b32 s19, exec_lo
	s_wait_loadcnt 0x0
	v_dual_lshlrev_b32 v3, 25, v1 :: v_dual_lshlrev_b32 v1, 8, v1
	s_delay_alu instid0(VALU_DEP_1) | instskip(NEXT) | instid1(VALU_DEP_2)
	v_cmp_gt_u32_e32 vcc_lo, 0x8000000, v3
	v_and_or_b32 v1, 0x7f00, v1, 0.5
	s_delay_alu instid0(VALU_DEP_1) | instskip(NEXT) | instid1(VALU_DEP_1)
	v_dual_lshrrev_b32 v11, 4, v3 :: v_dual_add_f32 v1, -0.5, v1
	v_or_b32_e32 v11, 0x70000000, v11
	s_delay_alu instid0(VALU_DEP_1) | instskip(NEXT) | instid1(VALU_DEP_1)
	v_mul_f32_e32 v11, 0x7800000, v11
	v_cndmask_b32_e32 v1, v11, v1, vcc_lo
	v_mov_b32_e32 v11, 0xff
	s_delay_alu instid0(VALU_DEP_2) | instskip(SKIP_1) | instid1(VALU_DEP_1)
	v_bfe_u32 v3, v1, 23, 8
	s_wait_xcnt 0x0
	v_cmpx_ne_u32_e32 0xff, v3
	s_cbranch_execz .LBB315_2648
; %bb.2647:
	v_and_b32_e32 v11, 0x400000, v1
	v_and_or_b32 v3, 0x3fffff, v1, v3
	v_lshrrev_b32_e32 v1, 23, v1
	s_delay_alu instid0(VALU_DEP_3) | instskip(NEXT) | instid1(VALU_DEP_3)
	v_cmp_ne_u32_e32 vcc_lo, 0, v11
	v_cmp_ne_u32_e64 s0, 0, v3
	s_and_b32 s0, vcc_lo, s0
	s_delay_alu instid0(SALU_CYCLE_1) | instskip(NEXT) | instid1(VALU_DEP_1)
	v_cndmask_b32_e64 v3, 0, 1, s0
	v_add_nc_u32_e32 v11, v1, v3
.LBB315_2648:
	s_or_b32 exec_lo, exec_lo, s19
.LBB315_2649:
	s_mov_b32 s19, 0
	s_mov_b32 s0, -1
.LBB315_2650:
	s_and_not1_b32 vcc_lo, exec_lo, s19
	s_mov_b32 s19, 0
	s_cbranch_vccnz .LBB315_2661
; %bb.2651:
	s_cmp_gt_i32 s14, 14
	s_cbranch_scc0 .LBB315_2656
; %bb.2652:
	s_cmp_eq_u32 s14, 15
	s_cbranch_scc0 .LBB315_2657
; %bb.2653:
	global_load_u16 v1, v[4:5], off
	s_wait_loadcnt 0x1
	v_mov_b32_e32 v11, 0xff
	s_mov_b32 s16, exec_lo
	s_wait_loadcnt 0x0
	v_bfe_u32 v3, v1, 7, 8
	s_wait_xcnt 0x0
	s_delay_alu instid0(VALU_DEP_1)
	v_cmpx_ne_u32_e32 0xff, v3
	s_cbranch_execz .LBB315_2655
; %bb.2654:
	v_dual_lshlrev_b32 v11, 16, v1 :: v_dual_bitop2_b32 v12, 64, v1 bitop3:0x40
	v_lshrrev_b32_e32 v1, 7, v1
	s_delay_alu instid0(VALU_DEP_2) | instskip(NEXT) | instid1(VALU_DEP_3)
	v_and_or_b32 v3, 0x3f0000, v11, v3
	v_cmp_ne_u32_e32 vcc_lo, 0, v12
	s_delay_alu instid0(VALU_DEP_2) | instskip(SKIP_1) | instid1(SALU_CYCLE_1)
	v_cmp_ne_u32_e64 s0, 0, v3
	s_and_b32 s0, vcc_lo, s0
	v_cndmask_b32_e64 v3, 0, 1, s0
	s_delay_alu instid0(VALU_DEP_1)
	v_add_nc_u32_e32 v11, v1, v3
.LBB315_2655:
	s_or_b32 exec_lo, exec_lo, s16
	s_mov_b32 s16, 0
	s_mov_b32 s0, -1
	s_branch .LBB315_2659
.LBB315_2656:
	s_mov_b32 s19, -1
	s_branch .LBB315_2658
.LBB315_2657:
	s_mov_b32 s16, -1
.LBB315_2658:
                                        ; implicit-def: $vgpr11
.LBB315_2659:
	s_and_b32 vcc_lo, exec_lo, s19
	s_mov_b32 s19, 0
	s_cbranch_vccz .LBB315_2661
; %bb.2660:
	s_cmp_lg_u32 s14, 11
	s_mov_b32 s19, -1
	s_cselect_b32 s16, -1, 0
.LBB315_2661:
	s_delay_alu instid0(SALU_CYCLE_1)
	s_and_b32 vcc_lo, exec_lo, s16
	s_cbranch_vccnz .LBB315_2752
; %bb.2662:
	s_and_not1_b32 vcc_lo, exec_lo, s19
	s_cbranch_vccnz .LBB315_2666
.LBB315_2663:
	global_load_u8 v1, v[4:5], off
	s_wait_loadcnt 0x1
	v_mov_b32_e32 v11, 0xff
	s_mov_b32 s14, exec_lo
	s_wait_loadcnt 0x0
	v_cmp_ne_u16_e32 vcc_lo, 0, v1
	v_cndmask_b32_e64 v3, 0, 1.0, vcc_lo
	s_delay_alu instid0(VALU_DEP_1) | instskip(SKIP_1) | instid1(VALU_DEP_1)
	v_lshrrev_b32_e32 v1, 23, v3
	s_wait_xcnt 0x0
	v_cmpx_ne_u32_e32 0xff, v1
; %bb.2664:
	v_and_b32_e32 v11, 0x400000, v3
	v_and_or_b32 v3, 0x3fffff, v3, v1
	s_delay_alu instid0(VALU_DEP_2) | instskip(NEXT) | instid1(VALU_DEP_2)
	v_cmp_ne_u32_e32 vcc_lo, 0, v11
	v_cmp_ne_u32_e64 s0, 0, v3
	s_and_b32 s0, vcc_lo, s0
	s_delay_alu instid0(SALU_CYCLE_1) | instskip(NEXT) | instid1(VALU_DEP_1)
	v_cndmask_b32_e64 v3, 0, 1, s0
	v_add_nc_u32_e32 v11, v1, v3
; %bb.2665:
	s_or_b32 exec_lo, exec_lo, s14
	s_mov_b32 s0, -1
.LBB315_2666:
	s_mov_b32 s14, 0
.LBB315_2667:
	s_delay_alu instid0(SALU_CYCLE_1)
	s_and_b32 vcc_lo, exec_lo, s14
	s_cbranch_vccz .LBB315_2738
; %bb.2668:
	s_and_b32 s14, 0xffff, s1
	s_delay_alu instid0(SALU_CYCLE_1)
	s_cmp_lt_i32 s14, 5
	s_cbranch_scc1 .LBB315_2675
; %bb.2669:
	s_cmp_lt_i32 s14, 8
	s_cbranch_scc1 .LBB315_2676
; %bb.2670:
	;; [unrolled: 3-line block ×3, first 2 shown]
	s_cmp_gt_i32 s14, 9
	s_cbranch_scc0 .LBB315_2678
; %bb.2672:
	global_load_b64 v[12:13], v[4:5], off
	s_wait_loadcnt 0x1
	v_mov_b32_e32 v11, 0xff
	s_mov_b32 s16, exec_lo
	s_wait_loadcnt 0x0
	v_cvt_f32_f64_e32 v1, v[12:13]
	s_delay_alu instid0(VALU_DEP_1) | instskip(SKIP_1) | instid1(VALU_DEP_1)
	v_bfe_u32 v3, v1, 23, 8
	s_wait_xcnt 0x0
	v_cmpx_ne_u32_e32 0xff, v3
	s_cbranch_execz .LBB315_2674
; %bb.2673:
	v_and_b32_e32 v11, 0x400000, v1
	v_and_or_b32 v3, 0x3fffff, v1, v3
	v_lshrrev_b32_e32 v1, 23, v1
	s_delay_alu instid0(VALU_DEP_3) | instskip(NEXT) | instid1(VALU_DEP_3)
	v_cmp_ne_u32_e32 vcc_lo, 0, v11
	v_cmp_ne_u32_e64 s0, 0, v3
	s_and_b32 s0, vcc_lo, s0
	s_delay_alu instid0(SALU_CYCLE_1) | instskip(NEXT) | instid1(VALU_DEP_1)
	v_cndmask_b32_e64 v3, 0, 1, s0
	v_add_nc_u32_e32 v11, v1, v3
.LBB315_2674:
	s_or_b32 exec_lo, exec_lo, s16
	s_mov_b32 s0, 0
	s_branch .LBB315_2679
.LBB315_2675:
	s_mov_b32 s0, -1
                                        ; implicit-def: $vgpr11
	s_branch .LBB315_2707
.LBB315_2676:
	s_mov_b32 s0, -1
                                        ; implicit-def: $vgpr11
	s_branch .LBB315_2689
.LBB315_2677:
	s_mov_b32 s0, -1
                                        ; implicit-def: $vgpr11
	s_branch .LBB315_2684
.LBB315_2678:
	s_mov_b32 s0, -1
                                        ; implicit-def: $vgpr11
.LBB315_2679:
	s_delay_alu instid0(SALU_CYCLE_1)
	s_and_not1_b32 vcc_lo, exec_lo, s0
	s_cbranch_vccnz .LBB315_2683
; %bb.2680:
	global_load_b32 v1, v[4:5], off
	s_wait_loadcnt 0x1
	v_mov_b32_e32 v11, 0xff
	s_mov_b32 s16, exec_lo
	s_wait_loadcnt 0x0
	v_bfe_u32 v3, v1, 23, 8
	s_wait_xcnt 0x0
	s_delay_alu instid0(VALU_DEP_1)
	v_cmpx_ne_u32_e32 0xff, v3
	s_cbranch_execz .LBB315_2682
; %bb.2681:
	v_and_b32_e32 v11, 0x400000, v1
	v_and_or_b32 v3, 0x3fffff, v1, v3
	v_lshrrev_b32_e32 v1, 23, v1
	s_delay_alu instid0(VALU_DEP_3) | instskip(NEXT) | instid1(VALU_DEP_3)
	v_cmp_ne_u32_e32 vcc_lo, 0, v11
	v_cmp_ne_u32_e64 s0, 0, v3
	s_and_b32 s0, vcc_lo, s0
	s_delay_alu instid0(SALU_CYCLE_1) | instskip(NEXT) | instid1(VALU_DEP_1)
	v_cndmask_b32_e64 v3, 0, 1, s0
	v_add_nc_u32_e32 v11, v1, v3
.LBB315_2682:
	s_or_b32 exec_lo, exec_lo, s16
.LBB315_2683:
	s_mov_b32 s0, 0
.LBB315_2684:
	s_delay_alu instid0(SALU_CYCLE_1)
	s_and_not1_b32 vcc_lo, exec_lo, s0
	s_cbranch_vccnz .LBB315_2688
; %bb.2685:
	global_load_b32 v1, v[4:5], off
	s_wait_loadcnt 0x1
	v_mov_b32_e32 v11, 0xff
	s_mov_b32 s16, exec_lo
	s_wait_loadcnt 0x0
	v_cvt_f32_f16_e32 v1, v1
	s_delay_alu instid0(VALU_DEP_1) | instskip(SKIP_1) | instid1(VALU_DEP_1)
	v_bfe_u32 v3, v1, 23, 8
	s_wait_xcnt 0x0
	v_cmpx_ne_u32_e32 0xff, v3
	s_cbranch_execz .LBB315_2687
; %bb.2686:
	v_and_b32_e32 v11, 0x400000, v1
	v_and_or_b32 v3, 0x3fffff, v1, v3
	v_lshrrev_b32_e32 v1, 23, v1
	s_delay_alu instid0(VALU_DEP_3) | instskip(NEXT) | instid1(VALU_DEP_3)
	v_cmp_ne_u32_e32 vcc_lo, 0, v11
	v_cmp_ne_u32_e64 s0, 0, v3
	s_and_b32 s0, vcc_lo, s0
	s_delay_alu instid0(SALU_CYCLE_1) | instskip(NEXT) | instid1(VALU_DEP_1)
	v_cndmask_b32_e64 v3, 0, 1, s0
	v_add_nc_u32_e32 v11, v1, v3
.LBB315_2687:
	s_or_b32 exec_lo, exec_lo, s16
.LBB315_2688:
	s_mov_b32 s0, 0
.LBB315_2689:
	s_delay_alu instid0(SALU_CYCLE_1)
	s_and_not1_b32 vcc_lo, exec_lo, s0
	s_cbranch_vccnz .LBB315_2706
; %bb.2690:
	s_cmp_lt_i32 s14, 6
	s_cbranch_scc1 .LBB315_2695
; %bb.2691:
	s_cmp_gt_i32 s14, 6
	s_cbranch_scc0 .LBB315_2696
; %bb.2692:
	global_load_b64 v[12:13], v[4:5], off
	s_wait_loadcnt 0x1
	v_mov_b32_e32 v11, 0xff
	s_mov_b32 s16, exec_lo
	s_wait_loadcnt 0x0
	v_cvt_f32_f64_e32 v1, v[12:13]
	s_delay_alu instid0(VALU_DEP_1) | instskip(SKIP_1) | instid1(VALU_DEP_1)
	v_bfe_u32 v3, v1, 23, 8
	s_wait_xcnt 0x0
	v_cmpx_ne_u32_e32 0xff, v3
	s_cbranch_execz .LBB315_2694
; %bb.2693:
	v_and_b32_e32 v11, 0x400000, v1
	v_and_or_b32 v3, 0x3fffff, v1, v3
	v_lshrrev_b32_e32 v1, 23, v1
	s_delay_alu instid0(VALU_DEP_3) | instskip(NEXT) | instid1(VALU_DEP_3)
	v_cmp_ne_u32_e32 vcc_lo, 0, v11
	v_cmp_ne_u32_e64 s0, 0, v3
	s_and_b32 s0, vcc_lo, s0
	s_delay_alu instid0(SALU_CYCLE_1) | instskip(NEXT) | instid1(VALU_DEP_1)
	v_cndmask_b32_e64 v3, 0, 1, s0
	v_add_nc_u32_e32 v11, v1, v3
.LBB315_2694:
	s_or_b32 exec_lo, exec_lo, s16
	s_mov_b32 s0, 0
	s_branch .LBB315_2697
.LBB315_2695:
	s_mov_b32 s0, -1
                                        ; implicit-def: $vgpr11
	s_branch .LBB315_2702
.LBB315_2696:
	s_mov_b32 s0, -1
                                        ; implicit-def: $vgpr11
.LBB315_2697:
	s_delay_alu instid0(SALU_CYCLE_1)
	s_and_not1_b32 vcc_lo, exec_lo, s0
	s_cbranch_vccnz .LBB315_2701
; %bb.2698:
	global_load_b32 v1, v[4:5], off
	s_wait_loadcnt 0x1
	v_mov_b32_e32 v11, 0xff
	s_mov_b32 s16, exec_lo
	s_wait_loadcnt 0x0
	v_bfe_u32 v3, v1, 23, 8
	s_wait_xcnt 0x0
	s_delay_alu instid0(VALU_DEP_1)
	v_cmpx_ne_u32_e32 0xff, v3
	s_cbranch_execz .LBB315_2700
; %bb.2699:
	v_and_b32_e32 v11, 0x400000, v1
	v_and_or_b32 v3, 0x3fffff, v1, v3
	v_lshrrev_b32_e32 v1, 23, v1
	s_delay_alu instid0(VALU_DEP_3) | instskip(NEXT) | instid1(VALU_DEP_3)
	v_cmp_ne_u32_e32 vcc_lo, 0, v11
	v_cmp_ne_u32_e64 s0, 0, v3
	s_and_b32 s0, vcc_lo, s0
	s_delay_alu instid0(SALU_CYCLE_1) | instskip(NEXT) | instid1(VALU_DEP_1)
	v_cndmask_b32_e64 v3, 0, 1, s0
	v_add_nc_u32_e32 v11, v1, v3
.LBB315_2700:
	s_or_b32 exec_lo, exec_lo, s16
.LBB315_2701:
	s_mov_b32 s0, 0
.LBB315_2702:
	s_delay_alu instid0(SALU_CYCLE_1)
	s_and_not1_b32 vcc_lo, exec_lo, s0
	s_cbranch_vccnz .LBB315_2706
; %bb.2703:
	global_load_u16 v1, v[4:5], off
	s_wait_loadcnt 0x1
	v_mov_b32_e32 v11, 0xff
	s_mov_b32 s16, exec_lo
	s_wait_loadcnt 0x0
	v_cvt_f32_f16_e32 v1, v1
	s_delay_alu instid0(VALU_DEP_1) | instskip(SKIP_1) | instid1(VALU_DEP_1)
	v_bfe_u32 v3, v1, 23, 8
	s_wait_xcnt 0x0
	v_cmpx_ne_u32_e32 0xff, v3
	s_cbranch_execz .LBB315_2705
; %bb.2704:
	v_and_b32_e32 v11, 0x400000, v1
	v_and_or_b32 v3, 0x3fffff, v1, v3
	v_lshrrev_b32_e32 v1, 23, v1
	s_delay_alu instid0(VALU_DEP_3) | instskip(NEXT) | instid1(VALU_DEP_3)
	v_cmp_ne_u32_e32 vcc_lo, 0, v11
	v_cmp_ne_u32_e64 s0, 0, v3
	s_and_b32 s0, vcc_lo, s0
	s_delay_alu instid0(SALU_CYCLE_1) | instskip(NEXT) | instid1(VALU_DEP_1)
	v_cndmask_b32_e64 v3, 0, 1, s0
	v_add_nc_u32_e32 v11, v1, v3
.LBB315_2705:
	s_or_b32 exec_lo, exec_lo, s16
.LBB315_2706:
	s_mov_b32 s0, 0
.LBB315_2707:
	s_delay_alu instid0(SALU_CYCLE_1)
	s_and_not1_b32 vcc_lo, exec_lo, s0
	s_cbranch_vccnz .LBB315_2737
; %bb.2708:
	s_cmp_lt_i32 s14, 2
	s_cbranch_scc1 .LBB315_2714
; %bb.2709:
	s_cmp_lt_i32 s14, 3
	s_cbranch_scc1 .LBB315_2715
; %bb.2710:
	s_cmp_gt_i32 s14, 3
	s_cbranch_scc0 .LBB315_2716
; %bb.2711:
	global_load_b64 v[12:13], v[4:5], off
	s_wait_loadcnt 0x1
	v_mov_b32_e32 v11, 0xff
	s_mov_b32 s16, exec_lo
	s_wait_loadcnt 0x0
	v_xor_b32_e32 v1, v12, v13
	v_cls_i32_e32 v3, v13
	s_delay_alu instid0(VALU_DEP_2) | instskip(NEXT) | instid1(VALU_DEP_1)
	v_ashrrev_i32_e32 v1, 31, v1
	v_add_nc_u32_e32 v1, 32, v1
	s_delay_alu instid0(VALU_DEP_1) | instskip(NEXT) | instid1(VALU_DEP_1)
	v_add_min_u32_e64 v1, v3, -1, v1
	v_lshlrev_b64_e32 v[12:13], v1, v[12:13]
	v_sub_nc_u32_e32 v1, 32, v1
	s_delay_alu instid0(VALU_DEP_2) | instskip(NEXT) | instid1(VALU_DEP_1)
	v_min_u32_e32 v3, 1, v12
	v_or_b32_e32 v3, v13, v3
	s_delay_alu instid0(VALU_DEP_1) | instskip(NEXT) | instid1(VALU_DEP_1)
	v_cvt_f32_i32_e32 v3, v3
	v_ldexp_f32 v1, v3, v1
	s_delay_alu instid0(VALU_DEP_1) | instskip(SKIP_1) | instid1(VALU_DEP_1)
	v_bfe_u32 v3, v1, 23, 8
	s_wait_xcnt 0x0
	v_cmpx_ne_u32_e32 0xff, v3
	s_cbranch_execz .LBB315_2713
; %bb.2712:
	v_and_b32_e32 v11, 0x400000, v1
	v_and_or_b32 v3, 0x3fffff, v1, v3
	v_lshrrev_b32_e32 v1, 23, v1
	s_delay_alu instid0(VALU_DEP_3) | instskip(NEXT) | instid1(VALU_DEP_3)
	v_cmp_ne_u32_e32 vcc_lo, 0, v11
	v_cmp_ne_u32_e64 s0, 0, v3
	s_and_b32 s0, vcc_lo, s0
	s_delay_alu instid0(SALU_CYCLE_1) | instskip(NEXT) | instid1(VALU_DEP_1)
	v_cndmask_b32_e64 v3, 0, 1, s0
	v_add_nc_u32_e32 v11, v1, v3
.LBB315_2713:
	s_or_b32 exec_lo, exec_lo, s16
	s_mov_b32 s0, 0
	s_branch .LBB315_2717
.LBB315_2714:
	s_mov_b32 s0, -1
                                        ; implicit-def: $vgpr11
	s_branch .LBB315_2727
.LBB315_2715:
	s_mov_b32 s0, -1
                                        ; implicit-def: $vgpr11
	s_branch .LBB315_2722
.LBB315_2716:
	s_mov_b32 s0, -1
                                        ; implicit-def: $vgpr11
.LBB315_2717:
	s_delay_alu instid0(SALU_CYCLE_1)
	s_and_not1_b32 vcc_lo, exec_lo, s0
	s_cbranch_vccnz .LBB315_2721
; %bb.2718:
	global_load_b32 v1, v[4:5], off
	s_wait_loadcnt 0x1
	v_mov_b32_e32 v11, 0xff
	s_mov_b32 s16, exec_lo
	s_wait_loadcnt 0x0
	v_cvt_f32_i32_e32 v1, v1
	s_delay_alu instid0(VALU_DEP_1) | instskip(SKIP_1) | instid1(VALU_DEP_1)
	v_bfe_u32 v3, v1, 23, 8
	s_wait_xcnt 0x0
	v_cmpx_ne_u32_e32 0xff, v3
	s_cbranch_execz .LBB315_2720
; %bb.2719:
	v_and_b32_e32 v11, 0x400000, v1
	v_and_or_b32 v3, 0x3fffff, v1, v3
	v_lshrrev_b32_e32 v1, 23, v1
	s_delay_alu instid0(VALU_DEP_3) | instskip(NEXT) | instid1(VALU_DEP_3)
	v_cmp_ne_u32_e32 vcc_lo, 0, v11
	v_cmp_ne_u32_e64 s0, 0, v3
	s_and_b32 s0, vcc_lo, s0
	s_delay_alu instid0(SALU_CYCLE_1) | instskip(NEXT) | instid1(VALU_DEP_1)
	v_cndmask_b32_e64 v3, 0, 1, s0
	v_add_nc_u32_e32 v11, v1, v3
.LBB315_2720:
	s_or_b32 exec_lo, exec_lo, s16
.LBB315_2721:
	s_mov_b32 s0, 0
.LBB315_2722:
	s_delay_alu instid0(SALU_CYCLE_1)
	s_and_not1_b32 vcc_lo, exec_lo, s0
	s_cbranch_vccnz .LBB315_2726
; %bb.2723:
	global_load_i16 v1, v[4:5], off
	s_wait_loadcnt 0x1
	v_mov_b32_e32 v11, 0xff
	s_mov_b32 s16, exec_lo
	s_wait_loadcnt 0x0
	v_cvt_f32_i32_e32 v1, v1
	s_delay_alu instid0(VALU_DEP_1) | instskip(SKIP_1) | instid1(VALU_DEP_1)
	v_bfe_u32 v3, v1, 23, 8
	s_wait_xcnt 0x0
	v_cmpx_ne_u32_e32 0xff, v3
	s_cbranch_execz .LBB315_2725
; %bb.2724:
	v_and_b32_e32 v11, 0x400000, v1
	v_and_or_b32 v3, 0x3fffff, v1, v3
	v_lshrrev_b32_e32 v1, 23, v1
	s_delay_alu instid0(VALU_DEP_3) | instskip(NEXT) | instid1(VALU_DEP_3)
	v_cmp_ne_u32_e32 vcc_lo, 0, v11
	v_cmp_ne_u32_e64 s0, 0, v3
	s_and_b32 s0, vcc_lo, s0
	s_delay_alu instid0(SALU_CYCLE_1) | instskip(NEXT) | instid1(VALU_DEP_1)
	v_cndmask_b32_e64 v3, 0, 1, s0
	v_add_nc_u32_e32 v11, v1, v3
.LBB315_2725:
	s_or_b32 exec_lo, exec_lo, s16
.LBB315_2726:
	s_mov_b32 s0, 0
.LBB315_2727:
	s_delay_alu instid0(SALU_CYCLE_1)
	s_and_not1_b32 vcc_lo, exec_lo, s0
	s_cbranch_vccnz .LBB315_2737
; %bb.2728:
	s_cmp_gt_i32 s14, 0
	s_cbranch_scc0 .LBB315_2732
; %bb.2729:
	global_load_i8 v1, v[4:5], off
	s_wait_loadcnt 0x1
	v_mov_b32_e32 v11, 0xff
	s_mov_b32 s14, exec_lo
	s_wait_loadcnt 0x0
	v_cvt_f32_i32_e32 v1, v1
	s_delay_alu instid0(VALU_DEP_1) | instskip(SKIP_1) | instid1(VALU_DEP_1)
	v_bfe_u32 v3, v1, 23, 8
	s_wait_xcnt 0x0
	v_cmpx_ne_u32_e32 0xff, v3
	s_cbranch_execz .LBB315_2731
; %bb.2730:
	v_and_b32_e32 v11, 0x400000, v1
	v_and_or_b32 v3, 0x3fffff, v1, v3
	v_lshrrev_b32_e32 v1, 23, v1
	s_delay_alu instid0(VALU_DEP_3) | instskip(NEXT) | instid1(VALU_DEP_3)
	v_cmp_ne_u32_e32 vcc_lo, 0, v11
	v_cmp_ne_u32_e64 s0, 0, v3
	s_and_b32 s0, vcc_lo, s0
	s_delay_alu instid0(SALU_CYCLE_1) | instskip(NEXT) | instid1(VALU_DEP_1)
	v_cndmask_b32_e64 v3, 0, 1, s0
	v_add_nc_u32_e32 v11, v1, v3
.LBB315_2731:
	s_or_b32 exec_lo, exec_lo, s14
	s_mov_b32 s0, 0
	s_branch .LBB315_2733
.LBB315_2732:
	s_mov_b32 s0, -1
                                        ; implicit-def: $vgpr11
.LBB315_2733:
	s_delay_alu instid0(SALU_CYCLE_1)
	s_and_not1_b32 vcc_lo, exec_lo, s0
	s_cbranch_vccnz .LBB315_2737
; %bb.2734:
	global_load_u8 v1, v[4:5], off
	s_wait_loadcnt 0x1
	v_mov_b32_e32 v11, 0xff
	s_mov_b32 s14, exec_lo
	s_wait_loadcnt 0x0
	v_cvt_f32_ubyte0_e32 v3, v1
	s_delay_alu instid0(VALU_DEP_1) | instskip(SKIP_1) | instid1(VALU_DEP_1)
	v_lshrrev_b32_e32 v1, 23, v3
	s_wait_xcnt 0x0
	v_cmpx_ne_u32_e32 0xff, v1
; %bb.2735:
	v_and_b32_e32 v4, 0x400000, v3
	v_and_or_b32 v3, 0x3fffff, v3, v1
	s_delay_alu instid0(VALU_DEP_2) | instskip(NEXT) | instid1(VALU_DEP_2)
	v_cmp_ne_u32_e32 vcc_lo, 0, v4
	v_cmp_ne_u32_e64 s0, 0, v3
	s_and_b32 s0, vcc_lo, s0
	s_delay_alu instid0(SALU_CYCLE_1) | instskip(NEXT) | instid1(VALU_DEP_1)
	v_cndmask_b32_e64 v3, 0, 1, s0
	v_add_nc_u32_e32 v11, v1, v3
; %bb.2736:
	s_or_b32 exec_lo, exec_lo, s14
.LBB315_2737:
	s_mov_b32 s0, -1
.LBB315_2738:
	s_delay_alu instid0(SALU_CYCLE_1)
	s_and_not1_b32 vcc_lo, exec_lo, s0
	s_cbranch_vccnz .LBB315_3690
; %bb.2739:
	v_add_nc_u32_e32 v2, s10, v2
	s_cmp_lt_i32 s2, 11
	s_delay_alu instid0(VALU_DEP_1) | instskip(SKIP_1) | instid1(VALU_DEP_1)
	v_ashrrev_i32_e32 v3, 31, v2
	s_wait_xcnt 0x0
	v_add_nc_u64_e32 v[4:5], s[12:13], v[2:3]
	s_cbranch_scc1 .LBB315_2748
; %bb.2740:
	s_and_b32 s14, 0xffff, s2
	s_mov_b32 s19, 0
	s_cmp_gt_i32 s14, 25
	s_cbranch_scc0 .LBB315_2749
; %bb.2741:
	s_cmp_gt_i32 s14, 28
	s_cbranch_scc0 .LBB315_2750
; %bb.2742:
	;; [unrolled: 3-line block ×4, first 2 shown]
	s_cmp_eq_u32 s14, 46
	s_mov_b32 s20, 0
	s_cbranch_scc0 .LBB315_2756
; %bb.2745:
	global_load_b32 v1, v[4:5], off
	s_mov_b32 s16, exec_lo
	s_wait_loadcnt 0x0
	v_dual_mov_b32 v12, 0xff :: v_dual_lshlrev_b32 v3, 16, v1
	s_delay_alu instid0(VALU_DEP_1) | instskip(SKIP_1) | instid1(VALU_DEP_1)
	v_bfe_u32 v13, v3, 23, 8
	s_wait_xcnt 0x0
	v_cmpx_ne_u32_e32 0xff, v13
	s_cbranch_execz .LBB315_2747
; %bb.2746:
	v_and_b32_e32 v12, 64, v1
	v_and_or_b32 v3, 0x3f0000, v3, v13
	v_bfe_u32 v1, v1, 7, 9
	s_delay_alu instid0(VALU_DEP_3) | instskip(NEXT) | instid1(VALU_DEP_3)
	v_cmp_ne_u32_e32 vcc_lo, 0, v12
	v_cmp_ne_u32_e64 s0, 0, v3
	s_and_b32 s0, vcc_lo, s0
	s_delay_alu instid0(SALU_CYCLE_1) | instskip(NEXT) | instid1(VALU_DEP_1)
	v_cndmask_b32_e64 v3, 0, 1, s0
	v_add_nc_u32_e32 v12, v1, v3
.LBB315_2747:
	s_or_b32 exec_lo, exec_lo, s16
	s_mov_b32 s16, 0
	s_mov_b32 s0, -1
	s_branch .LBB315_2758
.LBB315_2748:
	s_mov_b32 s14, -1
	s_mov_b32 s0, 0
                                        ; implicit-def: $vgpr12
	s_branch .LBB315_2842
.LBB315_2749:
	s_mov_b32 s20, -1
	s_mov_b32 s0, 0
	s_mov_b32 s16, 0
                                        ; implicit-def: $vgpr12
	s_branch .LBB315_2797
.LBB315_2750:
	s_mov_b32 s20, -1
	s_mov_b32 s0, 0
	s_mov_b32 s16, 0
                                        ; implicit-def: $vgpr12
	s_branch .LBB315_2770
.LBB315_2751:
	s_mov_b32 s20, -1
	s_mov_b32 s0, 0
	s_mov_b32 s16, 0
                                        ; implicit-def: $vgpr12
	s_branch .LBB315_2763
.LBB315_2752:
	s_or_b32 s15, s15, exec_lo
	s_trap 2
	s_cbranch_execz .LBB315_2663
	s_branch .LBB315_2666
.LBB315_2753:
	s_mov_b32 s20, -1
	s_mov_b32 s0, 0
	s_mov_b32 s16, 0
	s_branch .LBB315_2757
.LBB315_2754:
	s_and_not1_saveexec_b32 s35, s35
	s_cbranch_execz .LBB315_1396
.LBB315_2755:
	v_add_f32_e32 v2, 0x42800000, v3
	s_and_not1_b32 s34, s34, exec_lo
	s_delay_alu instid0(VALU_DEP_1) | instskip(NEXT) | instid1(VALU_DEP_1)
	v_and_b32_e32 v2, 0xff, v2
	v_cmp_ne_u32_e32 vcc_lo, 0, v2
	s_and_b32 s36, vcc_lo, exec_lo
	s_delay_alu instid0(SALU_CYCLE_1)
	s_or_b32 s34, s34, s36
	s_or_b32 exec_lo, exec_lo, s35
	v_mov_b32_e32 v4, 0
	s_and_saveexec_b32 s35, s34
	s_cbranch_execnz .LBB315_1397
	s_branch .LBB315_1398
.LBB315_2756:
	s_mov_b32 s16, -1
	s_mov_b32 s0, 0
.LBB315_2757:
                                        ; implicit-def: $vgpr12
.LBB315_2758:
	s_and_b32 vcc_lo, exec_lo, s20
	s_cbranch_vccz .LBB315_2762
; %bb.2759:
	s_cmp_eq_u32 s14, 44
	s_cbranch_scc0 .LBB315_2761
; %bb.2760:
	global_load_u8 v12, v[4:5], off
	s_mov_b32 s16, 0
	s_mov_b32 s0, -1
	s_branch .LBB315_2762
.LBB315_2761:
	s_mov_b32 s16, -1
                                        ; implicit-def: $vgpr12
.LBB315_2762:
	s_mov_b32 s20, 0
.LBB315_2763:
	s_delay_alu instid0(SALU_CYCLE_1)
	s_and_b32 vcc_lo, exec_lo, s20
	s_cbranch_vccz .LBB315_2769
; %bb.2764:
	s_cmp_eq_u32 s14, 29
	s_cbranch_scc0 .LBB315_2768
; %bb.2765:
	s_wait_loadcnt 0x0
	global_load_b64 v[12:13], v[4:5], off
	s_mov_b32 s16, exec_lo
	s_wait_loadcnt 0x0
	v_clz_i32_u32_e32 v1, v13
	s_delay_alu instid0(VALU_DEP_1) | instskip(NEXT) | instid1(VALU_DEP_1)
	v_min_u32_e32 v1, 32, v1
	v_lshlrev_b64_e32 v[12:13], v1, v[12:13]
	v_sub_nc_u32_e32 v1, 32, v1
	s_delay_alu instid0(VALU_DEP_2) | instskip(SKIP_1) | instid1(VALU_DEP_2)
	v_min_u32_e32 v3, 1, v12
	v_mov_b32_e32 v12, 0xff
	v_or_b32_e32 v3, v13, v3
	s_delay_alu instid0(VALU_DEP_1) | instskip(NEXT) | instid1(VALU_DEP_1)
	v_cvt_f32_u32_e32 v3, v3
	v_ldexp_f32 v3, v3, v1
	s_delay_alu instid0(VALU_DEP_1) | instskip(SKIP_1) | instid1(VALU_DEP_1)
	v_lshrrev_b32_e32 v1, 23, v3
	s_wait_xcnt 0x0
	v_cmpx_ne_u32_e32 0xff, v1
; %bb.2766:
	v_and_b32_e32 v12, 0x400000, v3
	v_and_or_b32 v3, 0x3fffff, v3, v1
	s_delay_alu instid0(VALU_DEP_2) | instskip(NEXT) | instid1(VALU_DEP_2)
	v_cmp_ne_u32_e32 vcc_lo, 0, v12
	v_cmp_ne_u32_e64 s0, 0, v3
	s_and_b32 s0, vcc_lo, s0
	s_delay_alu instid0(SALU_CYCLE_1) | instskip(NEXT) | instid1(VALU_DEP_1)
	v_cndmask_b32_e64 v3, 0, 1, s0
	v_add_nc_u32_e32 v12, v1, v3
; %bb.2767:
	s_or_b32 exec_lo, exec_lo, s16
	s_mov_b32 s16, 0
	s_mov_b32 s0, -1
	s_branch .LBB315_2769
.LBB315_2768:
	s_mov_b32 s16, -1
                                        ; implicit-def: $vgpr12
.LBB315_2769:
	s_mov_b32 s20, 0
.LBB315_2770:
	s_delay_alu instid0(SALU_CYCLE_1)
	s_and_b32 vcc_lo, exec_lo, s20
	s_cbranch_vccz .LBB315_2796
; %bb.2771:
	s_cmp_lt_i32 s14, 27
	s_cbranch_scc1 .LBB315_2776
; %bb.2772:
	s_cmp_gt_i32 s14, 27
	s_cbranch_scc0 .LBB315_2777
; %bb.2773:
	global_load_b32 v1, v[4:5], off
	s_mov_b32 s20, exec_lo
	s_wait_loadcnt 0x1
	v_mov_b32_e32 v12, 0xff
	s_wait_loadcnt 0x0
	v_cvt_f32_u32_e32 v3, v1
	s_delay_alu instid0(VALU_DEP_1) | instskip(SKIP_1) | instid1(VALU_DEP_1)
	v_lshrrev_b32_e32 v1, 23, v3
	s_wait_xcnt 0x0
	v_cmpx_ne_u32_e32 0xff, v1
; %bb.2774:
	v_and_b32_e32 v12, 0x400000, v3
	v_and_or_b32 v3, 0x3fffff, v3, v1
	s_delay_alu instid0(VALU_DEP_2) | instskip(NEXT) | instid1(VALU_DEP_2)
	v_cmp_ne_u32_e32 vcc_lo, 0, v12
	v_cmp_ne_u32_e64 s0, 0, v3
	s_and_b32 s0, vcc_lo, s0
	s_delay_alu instid0(SALU_CYCLE_1) | instskip(NEXT) | instid1(VALU_DEP_1)
	v_cndmask_b32_e64 v3, 0, 1, s0
	v_add_nc_u32_e32 v12, v1, v3
; %bb.2775:
	s_or_b32 exec_lo, exec_lo, s20
	s_mov_b32 s0, 0
	s_branch .LBB315_2778
.LBB315_2776:
	s_mov_b32 s0, -1
                                        ; implicit-def: $vgpr12
	s_branch .LBB315_2783
.LBB315_2777:
	s_mov_b32 s0, -1
                                        ; implicit-def: $vgpr12
.LBB315_2778:
	s_delay_alu instid0(SALU_CYCLE_1)
	s_and_not1_b32 vcc_lo, exec_lo, s0
	s_cbranch_vccnz .LBB315_2782
; %bb.2779:
	global_load_u16 v1, v[4:5], off
	s_mov_b32 s20, exec_lo
	s_wait_loadcnt 0x1
	v_mov_b32_e32 v12, 0xff
	s_wait_loadcnt 0x0
	v_cvt_f32_u32_e32 v3, v1
	s_delay_alu instid0(VALU_DEP_1) | instskip(SKIP_1) | instid1(VALU_DEP_1)
	v_lshrrev_b32_e32 v1, 23, v3
	s_wait_xcnt 0x0
	v_cmpx_ne_u32_e32 0xff, v1
; %bb.2780:
	v_and_b32_e32 v12, 0x400000, v3
	v_and_or_b32 v3, 0x3fffff, v3, v1
	s_delay_alu instid0(VALU_DEP_2) | instskip(NEXT) | instid1(VALU_DEP_2)
	v_cmp_ne_u32_e32 vcc_lo, 0, v12
	v_cmp_ne_u32_e64 s0, 0, v3
	s_and_b32 s0, vcc_lo, s0
	s_delay_alu instid0(SALU_CYCLE_1) | instskip(NEXT) | instid1(VALU_DEP_1)
	v_cndmask_b32_e64 v3, 0, 1, s0
	v_add_nc_u32_e32 v12, v1, v3
; %bb.2781:
	s_or_b32 exec_lo, exec_lo, s20
.LBB315_2782:
	s_mov_b32 s0, 0
.LBB315_2783:
	s_delay_alu instid0(SALU_CYCLE_1)
	s_and_not1_b32 vcc_lo, exec_lo, s0
	s_cbranch_vccnz .LBB315_2795
; %bb.2784:
	global_load_u8 v1, v[4:5], off
	s_mov_b32 s0, 0
	s_mov_b32 s20, exec_lo
	s_wait_loadcnt 0x0
	v_cmpx_lt_i16_e32 0x7f, v1
	s_xor_b32 s20, exec_lo, s20
	s_cbranch_execz .LBB315_2788
; %bb.2785:
	s_mov_b32 s0, -1
	s_mov_b32 s21, exec_lo
	v_cmpx_eq_u16_e32 0x80, v1
; %bb.2786:
	s_xor_b32 s0, exec_lo, -1
; %bb.2787:
	s_or_b32 exec_lo, exec_lo, s21
	s_delay_alu instid0(SALU_CYCLE_1)
	s_and_b32 s0, s0, exec_lo
.LBB315_2788:
	s_or_saveexec_b32 s20, s20
	v_mov_b32_e32 v3, 0x7f800001
	v_and_b32_e32 v12, 0xffff, v1
	s_xor_b32 exec_lo, exec_lo, s20
; %bb.2789:
	v_cmp_ne_u16_e32 vcc_lo, 0, v1
	s_delay_alu instid0(VALU_DEP_2) | instskip(SKIP_2) | instid1(SALU_CYCLE_1)
	v_mov_b32_e32 v3, v12
	s_and_not1_b32 s0, s0, exec_lo
	s_and_b32 s21, vcc_lo, exec_lo
	s_or_b32 s0, s0, s21
; %bb.2790:
	s_or_b32 exec_lo, exec_lo, s20
	s_and_saveexec_b32 s20, s0
	s_cbranch_execz .LBB315_2792
; %bb.2791:
	v_and_b32_e32 v1, 7, v12
	s_delay_alu instid0(VALU_DEP_1) | instskip(NEXT) | instid1(VALU_DEP_1)
	v_clz_i32_u32_e32 v3, v1
	v_min_u32_e32 v3, 32, v3
	s_delay_alu instid0(VALU_DEP_1) | instskip(NEXT) | instid1(VALU_DEP_1)
	v_subrev_nc_u32_e32 v13, 28, v3
	v_lshlrev_b32_e32 v13, v13, v12
	v_bfe_u32 v12, v12, 3, 4
	s_delay_alu instid0(VALU_DEP_2) | instskip(NEXT) | instid1(VALU_DEP_2)
	v_dual_sub_nc_u32 v3, 29, v3 :: v_dual_bitop2_b32 v13, 7, v13 bitop3:0x40
	v_cmp_eq_u32_e32 vcc_lo, 0, v12
	s_delay_alu instid0(VALU_DEP_2) | instskip(NEXT) | instid1(VALU_DEP_1)
	v_dual_cndmask_b32 v3, v12, v3, vcc_lo :: v_dual_cndmask_b32 v1, v1, v13, vcc_lo
	v_lshlrev_b32_e32 v1, 20, v1
	s_delay_alu instid0(VALU_DEP_1) | instskip(NEXT) | instid1(VALU_DEP_1)
	v_lshl_or_b32 v1, v3, 23, v1
	v_add_nc_u32_e32 v3, 0x3b800000, v1
.LBB315_2792:
	s_or_b32 exec_lo, exec_lo, s20
	s_delay_alu instid0(VALU_DEP_1) | instskip(SKIP_1) | instid1(VALU_DEP_1)
	v_dual_mov_b32 v12, 0xff :: v_dual_lshrrev_b32 v1, 23, v3
	s_mov_b32 s20, exec_lo
	v_cmpx_ne_u32_e32 0xff, v1
; %bb.2793:
	v_and_b32_e32 v12, 0x400000, v3
	v_and_or_b32 v3, 0x3fffff, v3, v1
	s_delay_alu instid0(VALU_DEP_2) | instskip(NEXT) | instid1(VALU_DEP_2)
	v_cmp_ne_u32_e32 vcc_lo, 0, v12
	v_cmp_ne_u32_e64 s0, 0, v3
	s_and_b32 s0, vcc_lo, s0
	s_delay_alu instid0(SALU_CYCLE_1) | instskip(NEXT) | instid1(VALU_DEP_1)
	v_cndmask_b32_e64 v3, 0, 1, s0
	v_add_nc_u32_e32 v12, v1, v3
; %bb.2794:
	s_or_b32 exec_lo, exec_lo, s20
.LBB315_2795:
	s_mov_b32 s0, -1
.LBB315_2796:
	s_mov_b32 s20, 0
.LBB315_2797:
	s_delay_alu instid0(SALU_CYCLE_1)
	s_and_b32 vcc_lo, exec_lo, s20
	s_cbranch_vccz .LBB315_2836
; %bb.2798:
	s_cmp_gt_i32 s14, 22
	s_cbranch_scc0 .LBB315_2812
; %bb.2799:
	s_cmp_lt_i32 s14, 24
	s_cbranch_scc1 .LBB315_2813
; %bb.2800:
	s_cmp_gt_i32 s14, 24
	s_cbranch_scc0 .LBB315_2814
; %bb.2801:
	global_load_u8 v1, v[4:5], off
	s_mov_b32 s0, 0
	s_mov_b32 s19, exec_lo
	s_wait_loadcnt 0x0
	v_cmpx_lt_i16_e32 0x7f, v1
	s_xor_b32 s19, exec_lo, s19
	s_cbranch_execz .LBB315_2805
; %bb.2802:
	s_mov_b32 s0, -1
	s_mov_b32 s20, exec_lo
	v_cmpx_eq_u16_e32 0x80, v1
; %bb.2803:
	s_xor_b32 s0, exec_lo, -1
; %bb.2804:
	s_or_b32 exec_lo, exec_lo, s20
	s_delay_alu instid0(SALU_CYCLE_1)
	s_and_b32 s0, s0, exec_lo
.LBB315_2805:
	s_or_saveexec_b32 s19, s19
	v_mov_b32_e32 v3, 0x7f800001
	v_and_b32_e32 v12, 0xffff, v1
	s_xor_b32 exec_lo, exec_lo, s19
; %bb.2806:
	v_cmp_ne_u16_e32 vcc_lo, 0, v1
	s_delay_alu instid0(VALU_DEP_2) | instskip(SKIP_2) | instid1(SALU_CYCLE_1)
	v_mov_b32_e32 v3, v12
	s_and_not1_b32 s0, s0, exec_lo
	s_and_b32 s20, vcc_lo, exec_lo
	s_or_b32 s0, s0, s20
; %bb.2807:
	s_or_b32 exec_lo, exec_lo, s19
	s_and_saveexec_b32 s19, s0
	s_cbranch_execz .LBB315_2809
; %bb.2808:
	v_and_b32_e32 v1, 3, v12
	s_delay_alu instid0(VALU_DEP_1) | instskip(NEXT) | instid1(VALU_DEP_1)
	v_clz_i32_u32_e32 v3, v1
	v_min_u32_e32 v3, 32, v3
	s_delay_alu instid0(VALU_DEP_1) | instskip(NEXT) | instid1(VALU_DEP_1)
	v_subrev_nc_u32_e32 v13, 29, v3
	v_lshlrev_b32_e32 v13, v13, v12
	v_bfe_u32 v12, v12, 2, 5
	s_delay_alu instid0(VALU_DEP_2) | instskip(NEXT) | instid1(VALU_DEP_2)
	v_dual_sub_nc_u32 v3, 30, v3 :: v_dual_bitop2_b32 v13, 3, v13 bitop3:0x40
	v_cmp_eq_u32_e32 vcc_lo, 0, v12
	s_delay_alu instid0(VALU_DEP_2) | instskip(NEXT) | instid1(VALU_DEP_1)
	v_dual_cndmask_b32 v3, v12, v3, vcc_lo :: v_dual_cndmask_b32 v1, v1, v13, vcc_lo
	v_lshlrev_b32_e32 v1, 21, v1
	s_delay_alu instid0(VALU_DEP_1) | instskip(NEXT) | instid1(VALU_DEP_1)
	v_lshl_or_b32 v1, v3, 23, v1
	v_add_nc_u32_e32 v3, 0x37800000, v1
.LBB315_2809:
	s_or_b32 exec_lo, exec_lo, s19
	s_delay_alu instid0(VALU_DEP_1) | instskip(SKIP_1) | instid1(VALU_DEP_1)
	v_dual_mov_b32 v12, 0xff :: v_dual_lshrrev_b32 v1, 23, v3
	s_mov_b32 s19, exec_lo
	v_cmpx_ne_u32_e32 0xff, v1
; %bb.2810:
	v_and_b32_e32 v12, 0x400000, v3
	v_and_or_b32 v3, 0x3fffff, v3, v1
	s_delay_alu instid0(VALU_DEP_2) | instskip(NEXT) | instid1(VALU_DEP_2)
	v_cmp_ne_u32_e32 vcc_lo, 0, v12
	v_cmp_ne_u32_e64 s0, 0, v3
	s_and_b32 s0, vcc_lo, s0
	s_delay_alu instid0(SALU_CYCLE_1) | instskip(NEXT) | instid1(VALU_DEP_1)
	v_cndmask_b32_e64 v3, 0, 1, s0
	v_add_nc_u32_e32 v12, v1, v3
; %bb.2811:
	s_or_b32 exec_lo, exec_lo, s19
	s_mov_b32 s0, 0
	s_branch .LBB315_2815
.LBB315_2812:
	s_mov_b32 s19, -1
                                        ; implicit-def: $vgpr12
	s_branch .LBB315_2825
.LBB315_2813:
	s_mov_b32 s0, -1
                                        ; implicit-def: $vgpr12
	s_branch .LBB315_2820
.LBB315_2814:
	s_mov_b32 s0, -1
                                        ; implicit-def: $vgpr12
.LBB315_2815:
	s_delay_alu instid0(SALU_CYCLE_1)
	s_and_b32 vcc_lo, exec_lo, s0
	s_cbranch_vccz .LBB315_2819
; %bb.2816:
	global_load_u8 v1, v[4:5], off
	s_mov_b32 s19, exec_lo
	s_wait_loadcnt 0x0
	v_lshlrev_b32_e32 v1, 24, v1
	s_delay_alu instid0(VALU_DEP_1) | instskip(NEXT) | instid1(VALU_DEP_1)
	v_and_b32_e32 v1, 0x7f000000, v1
	v_clz_i32_u32_e32 v3, v1
	v_cmp_ne_u32_e32 vcc_lo, 0, v1
	v_add_nc_u32_e32 v13, 0x1000000, v1
	s_delay_alu instid0(VALU_DEP_3) | instskip(NEXT) | instid1(VALU_DEP_1)
	v_min_u32_e32 v3, 32, v3
	v_sub_nc_u32_e64 v3, v3, 4 clamp
	s_delay_alu instid0(VALU_DEP_1) | instskip(NEXT) | instid1(VALU_DEP_1)
	v_dual_lshlrev_b32 v12, v3, v1 :: v_dual_lshlrev_b32 v3, 23, v3
	v_lshrrev_b32_e32 v12, 4, v12
	s_delay_alu instid0(VALU_DEP_1) | instskip(NEXT) | instid1(VALU_DEP_1)
	v_dual_sub_nc_u32 v3, v12, v3 :: v_dual_ashrrev_i32 v12, 8, v13
	v_add_nc_u32_e32 v3, 0x3c000000, v3
	s_delay_alu instid0(VALU_DEP_1) | instskip(NEXT) | instid1(VALU_DEP_1)
	v_and_or_b32 v3, 0x7f800000, v12, v3
	v_dual_mov_b32 v12, 0xff :: v_dual_cndmask_b32 v3, 0, v3
	s_delay_alu instid0(VALU_DEP_1) | instskip(SKIP_1) | instid1(VALU_DEP_1)
	v_lshrrev_b32_e32 v1, 23, v3
	s_wait_xcnt 0x0
	v_cmpx_ne_u32_e32 0xff, v1
; %bb.2817:
	v_and_b32_e32 v12, 0x400000, v3
	v_and_or_b32 v3, 0x3fffff, v3, v1
	s_delay_alu instid0(VALU_DEP_2) | instskip(NEXT) | instid1(VALU_DEP_2)
	v_cmp_ne_u32_e32 vcc_lo, 0, v12
	v_cmp_ne_u32_e64 s0, 0, v3
	s_and_b32 s0, vcc_lo, s0
	s_delay_alu instid0(SALU_CYCLE_1) | instskip(NEXT) | instid1(VALU_DEP_1)
	v_cndmask_b32_e64 v3, 0, 1, s0
	v_add_nc_u32_e32 v12, v1, v3
; %bb.2818:
	s_or_b32 exec_lo, exec_lo, s19
.LBB315_2819:
	s_mov_b32 s0, 0
.LBB315_2820:
	s_delay_alu instid0(SALU_CYCLE_1)
	s_and_not1_b32 vcc_lo, exec_lo, s0
	s_cbranch_vccnz .LBB315_2824
; %bb.2821:
	global_load_u8 v1, v[4:5], off
	s_mov_b32 s19, exec_lo
	s_wait_loadcnt 0x0
	v_dual_lshlrev_b32 v3, 25, v1 :: v_dual_lshlrev_b32 v1, 8, v1
	s_delay_alu instid0(VALU_DEP_1) | instskip(NEXT) | instid1(VALU_DEP_2)
	v_cmp_gt_u32_e32 vcc_lo, 0x8000000, v3
	v_and_or_b32 v1, 0x7f00, v1, 0.5
	s_delay_alu instid0(VALU_DEP_1) | instskip(NEXT) | instid1(VALU_DEP_1)
	v_dual_add_f32 v1, -0.5, v1 :: v_dual_lshrrev_b32 v12, 4, v3
	v_or_b32_e32 v12, 0x70000000, v12
	s_delay_alu instid0(VALU_DEP_1) | instskip(NEXT) | instid1(VALU_DEP_1)
	v_mul_f32_e32 v12, 0x7800000, v12
	v_dual_cndmask_b32 v1, v12, v1 :: v_dual_mov_b32 v12, 0xff
	s_delay_alu instid0(VALU_DEP_1) | instskip(SKIP_1) | instid1(VALU_DEP_1)
	v_bfe_u32 v3, v1, 23, 8
	s_wait_xcnt 0x0
	v_cmpx_ne_u32_e32 0xff, v3
	s_cbranch_execz .LBB315_2823
; %bb.2822:
	v_and_b32_e32 v12, 0x400000, v1
	v_and_or_b32 v3, 0x3fffff, v1, v3
	v_lshrrev_b32_e32 v1, 23, v1
	s_delay_alu instid0(VALU_DEP_3) | instskip(NEXT) | instid1(VALU_DEP_3)
	v_cmp_ne_u32_e32 vcc_lo, 0, v12
	v_cmp_ne_u32_e64 s0, 0, v3
	s_and_b32 s0, vcc_lo, s0
	s_delay_alu instid0(SALU_CYCLE_1) | instskip(NEXT) | instid1(VALU_DEP_1)
	v_cndmask_b32_e64 v3, 0, 1, s0
	v_add_nc_u32_e32 v12, v1, v3
.LBB315_2823:
	s_or_b32 exec_lo, exec_lo, s19
.LBB315_2824:
	s_mov_b32 s19, 0
	s_mov_b32 s0, -1
.LBB315_2825:
	s_and_not1_b32 vcc_lo, exec_lo, s19
	s_mov_b32 s19, 0
	s_cbranch_vccnz .LBB315_2836
; %bb.2826:
	s_cmp_gt_i32 s14, 14
	s_cbranch_scc0 .LBB315_2831
; %bb.2827:
	s_cmp_eq_u32 s14, 15
	s_cbranch_scc0 .LBB315_2832
; %bb.2828:
	global_load_u16 v1, v[4:5], off
	s_wait_loadcnt 0x1
	v_mov_b32_e32 v12, 0xff
	s_mov_b32 s16, exec_lo
	s_wait_loadcnt 0x0
	v_bfe_u32 v3, v1, 7, 8
	s_wait_xcnt 0x0
	s_delay_alu instid0(VALU_DEP_1)
	v_cmpx_ne_u32_e32 0xff, v3
	s_cbranch_execz .LBB315_2830
; %bb.2829:
	v_dual_lshlrev_b32 v12, 16, v1 :: v_dual_bitop2_b32 v13, 64, v1 bitop3:0x40
	v_lshrrev_b32_e32 v1, 7, v1
	s_delay_alu instid0(VALU_DEP_2) | instskip(NEXT) | instid1(VALU_DEP_3)
	v_and_or_b32 v3, 0x3f0000, v12, v3
	v_cmp_ne_u32_e32 vcc_lo, 0, v13
	s_delay_alu instid0(VALU_DEP_2) | instskip(SKIP_1) | instid1(SALU_CYCLE_1)
	v_cmp_ne_u32_e64 s0, 0, v3
	s_and_b32 s0, vcc_lo, s0
	v_cndmask_b32_e64 v3, 0, 1, s0
	s_delay_alu instid0(VALU_DEP_1)
	v_add_nc_u32_e32 v12, v1, v3
.LBB315_2830:
	s_or_b32 exec_lo, exec_lo, s16
	s_mov_b32 s16, 0
	s_mov_b32 s0, -1
	s_branch .LBB315_2834
.LBB315_2831:
	s_mov_b32 s19, -1
	s_branch .LBB315_2833
.LBB315_2832:
	s_mov_b32 s16, -1
.LBB315_2833:
                                        ; implicit-def: $vgpr12
.LBB315_2834:
	s_and_b32 vcc_lo, exec_lo, s19
	s_mov_b32 s19, 0
	s_cbranch_vccz .LBB315_2836
; %bb.2835:
	s_cmp_lg_u32 s14, 11
	s_mov_b32 s19, -1
	s_cselect_b32 s16, -1, 0
.LBB315_2836:
	s_delay_alu instid0(SALU_CYCLE_1)
	s_and_b32 vcc_lo, exec_lo, s16
	s_cbranch_vccnz .LBB315_2927
; %bb.2837:
	s_and_not1_b32 vcc_lo, exec_lo, s19
	s_cbranch_vccnz .LBB315_2841
.LBB315_2838:
	global_load_u8 v1, v[4:5], off
	s_mov_b32 s14, exec_lo
	s_wait_loadcnt 0x1
	v_mov_b32_e32 v12, 0xff
	s_wait_loadcnt 0x0
	v_cmp_ne_u16_e32 vcc_lo, 0, v1
	v_cndmask_b32_e64 v3, 0, 1.0, vcc_lo
	s_delay_alu instid0(VALU_DEP_1) | instskip(SKIP_1) | instid1(VALU_DEP_1)
	v_lshrrev_b32_e32 v1, 23, v3
	s_wait_xcnt 0x0
	v_cmpx_ne_u32_e32 0xff, v1
; %bb.2839:
	v_and_b32_e32 v12, 0x400000, v3
	v_and_or_b32 v3, 0x3fffff, v3, v1
	s_delay_alu instid0(VALU_DEP_2) | instskip(NEXT) | instid1(VALU_DEP_2)
	v_cmp_ne_u32_e32 vcc_lo, 0, v12
	v_cmp_ne_u32_e64 s0, 0, v3
	s_and_b32 s0, vcc_lo, s0
	s_delay_alu instid0(SALU_CYCLE_1) | instskip(NEXT) | instid1(VALU_DEP_1)
	v_cndmask_b32_e64 v3, 0, 1, s0
	v_add_nc_u32_e32 v12, v1, v3
; %bb.2840:
	s_or_b32 exec_lo, exec_lo, s14
	s_mov_b32 s0, -1
.LBB315_2841:
	s_mov_b32 s14, 0
.LBB315_2842:
	s_delay_alu instid0(SALU_CYCLE_1)
	s_and_b32 vcc_lo, exec_lo, s14
	s_cbranch_vccz .LBB315_2913
; %bb.2843:
	s_and_b32 s14, 0xffff, s2
	s_delay_alu instid0(SALU_CYCLE_1)
	s_cmp_lt_i32 s14, 5
	s_cbranch_scc1 .LBB315_2850
; %bb.2844:
	s_cmp_lt_i32 s14, 8
	s_cbranch_scc1 .LBB315_2851
; %bb.2845:
	;; [unrolled: 3-line block ×3, first 2 shown]
	s_cmp_gt_i32 s14, 9
	s_cbranch_scc0 .LBB315_2853
; %bb.2847:
	s_wait_loadcnt 0x0
	global_load_b64 v[12:13], v[4:5], off
	s_mov_b32 s16, exec_lo
	s_wait_loadcnt 0x0
	v_cvt_f32_f64_e32 v1, v[12:13]
	v_mov_b32_e32 v12, 0xff
	s_delay_alu instid0(VALU_DEP_2) | instskip(SKIP_1) | instid1(VALU_DEP_1)
	v_bfe_u32 v3, v1, 23, 8
	s_wait_xcnt 0x0
	v_cmpx_ne_u32_e32 0xff, v3
	s_cbranch_execz .LBB315_2849
; %bb.2848:
	v_and_b32_e32 v12, 0x400000, v1
	v_and_or_b32 v3, 0x3fffff, v1, v3
	v_lshrrev_b32_e32 v1, 23, v1
	s_delay_alu instid0(VALU_DEP_3) | instskip(NEXT) | instid1(VALU_DEP_3)
	v_cmp_ne_u32_e32 vcc_lo, 0, v12
	v_cmp_ne_u32_e64 s0, 0, v3
	s_and_b32 s0, vcc_lo, s0
	s_delay_alu instid0(SALU_CYCLE_1) | instskip(NEXT) | instid1(VALU_DEP_1)
	v_cndmask_b32_e64 v3, 0, 1, s0
	v_add_nc_u32_e32 v12, v1, v3
.LBB315_2849:
	s_or_b32 exec_lo, exec_lo, s16
	s_mov_b32 s0, 0
	s_branch .LBB315_2854
.LBB315_2850:
	s_mov_b32 s0, -1
                                        ; implicit-def: $vgpr12
	s_branch .LBB315_2882
.LBB315_2851:
	s_mov_b32 s0, -1
                                        ; implicit-def: $vgpr12
	s_branch .LBB315_2864
.LBB315_2852:
	s_mov_b32 s0, -1
                                        ; implicit-def: $vgpr12
	s_branch .LBB315_2859
.LBB315_2853:
	s_mov_b32 s0, -1
                                        ; implicit-def: $vgpr12
.LBB315_2854:
	s_delay_alu instid0(SALU_CYCLE_1)
	s_and_not1_b32 vcc_lo, exec_lo, s0
	s_cbranch_vccnz .LBB315_2858
; %bb.2855:
	global_load_b32 v1, v[4:5], off
	s_wait_loadcnt 0x1
	v_mov_b32_e32 v12, 0xff
	s_mov_b32 s16, exec_lo
	s_wait_loadcnt 0x0
	v_bfe_u32 v3, v1, 23, 8
	s_wait_xcnt 0x0
	s_delay_alu instid0(VALU_DEP_1)
	v_cmpx_ne_u32_e32 0xff, v3
	s_cbranch_execz .LBB315_2857
; %bb.2856:
	v_and_b32_e32 v12, 0x400000, v1
	v_and_or_b32 v3, 0x3fffff, v1, v3
	v_lshrrev_b32_e32 v1, 23, v1
	s_delay_alu instid0(VALU_DEP_3) | instskip(NEXT) | instid1(VALU_DEP_3)
	v_cmp_ne_u32_e32 vcc_lo, 0, v12
	v_cmp_ne_u32_e64 s0, 0, v3
	s_and_b32 s0, vcc_lo, s0
	s_delay_alu instid0(SALU_CYCLE_1) | instskip(NEXT) | instid1(VALU_DEP_1)
	v_cndmask_b32_e64 v3, 0, 1, s0
	v_add_nc_u32_e32 v12, v1, v3
.LBB315_2857:
	s_or_b32 exec_lo, exec_lo, s16
.LBB315_2858:
	s_mov_b32 s0, 0
.LBB315_2859:
	s_delay_alu instid0(SALU_CYCLE_1)
	s_and_not1_b32 vcc_lo, exec_lo, s0
	s_cbranch_vccnz .LBB315_2863
; %bb.2860:
	global_load_b32 v1, v[4:5], off
	s_wait_loadcnt 0x1
	v_mov_b32_e32 v12, 0xff
	s_mov_b32 s16, exec_lo
	s_wait_loadcnt 0x0
	v_cvt_f32_f16_e32 v1, v1
	s_delay_alu instid0(VALU_DEP_1) | instskip(SKIP_1) | instid1(VALU_DEP_1)
	v_bfe_u32 v3, v1, 23, 8
	s_wait_xcnt 0x0
	v_cmpx_ne_u32_e32 0xff, v3
	s_cbranch_execz .LBB315_2862
; %bb.2861:
	v_and_b32_e32 v12, 0x400000, v1
	v_and_or_b32 v3, 0x3fffff, v1, v3
	v_lshrrev_b32_e32 v1, 23, v1
	s_delay_alu instid0(VALU_DEP_3) | instskip(NEXT) | instid1(VALU_DEP_3)
	v_cmp_ne_u32_e32 vcc_lo, 0, v12
	v_cmp_ne_u32_e64 s0, 0, v3
	s_and_b32 s0, vcc_lo, s0
	s_delay_alu instid0(SALU_CYCLE_1) | instskip(NEXT) | instid1(VALU_DEP_1)
	v_cndmask_b32_e64 v3, 0, 1, s0
	v_add_nc_u32_e32 v12, v1, v3
.LBB315_2862:
	s_or_b32 exec_lo, exec_lo, s16
.LBB315_2863:
	s_mov_b32 s0, 0
.LBB315_2864:
	s_delay_alu instid0(SALU_CYCLE_1)
	s_and_not1_b32 vcc_lo, exec_lo, s0
	s_cbranch_vccnz .LBB315_2881
; %bb.2865:
	s_cmp_lt_i32 s14, 6
	s_cbranch_scc1 .LBB315_2870
; %bb.2866:
	s_cmp_gt_i32 s14, 6
	s_cbranch_scc0 .LBB315_2871
; %bb.2867:
	s_wait_loadcnt 0x0
	global_load_b64 v[12:13], v[4:5], off
	s_mov_b32 s16, exec_lo
	s_wait_loadcnt 0x0
	v_cvt_f32_f64_e32 v1, v[12:13]
	v_mov_b32_e32 v12, 0xff
	s_delay_alu instid0(VALU_DEP_2) | instskip(SKIP_1) | instid1(VALU_DEP_1)
	v_bfe_u32 v3, v1, 23, 8
	s_wait_xcnt 0x0
	v_cmpx_ne_u32_e32 0xff, v3
	s_cbranch_execz .LBB315_2869
; %bb.2868:
	v_and_b32_e32 v12, 0x400000, v1
	v_and_or_b32 v3, 0x3fffff, v1, v3
	v_lshrrev_b32_e32 v1, 23, v1
	s_delay_alu instid0(VALU_DEP_3) | instskip(NEXT) | instid1(VALU_DEP_3)
	v_cmp_ne_u32_e32 vcc_lo, 0, v12
	v_cmp_ne_u32_e64 s0, 0, v3
	s_and_b32 s0, vcc_lo, s0
	s_delay_alu instid0(SALU_CYCLE_1) | instskip(NEXT) | instid1(VALU_DEP_1)
	v_cndmask_b32_e64 v3, 0, 1, s0
	v_add_nc_u32_e32 v12, v1, v3
.LBB315_2869:
	s_or_b32 exec_lo, exec_lo, s16
	s_mov_b32 s0, 0
	s_branch .LBB315_2872
.LBB315_2870:
	s_mov_b32 s0, -1
                                        ; implicit-def: $vgpr12
	s_branch .LBB315_2877
.LBB315_2871:
	s_mov_b32 s0, -1
                                        ; implicit-def: $vgpr12
.LBB315_2872:
	s_delay_alu instid0(SALU_CYCLE_1)
	s_and_not1_b32 vcc_lo, exec_lo, s0
	s_cbranch_vccnz .LBB315_2876
; %bb.2873:
	global_load_b32 v1, v[4:5], off
	s_wait_loadcnt 0x1
	v_mov_b32_e32 v12, 0xff
	s_mov_b32 s16, exec_lo
	s_wait_loadcnt 0x0
	v_bfe_u32 v3, v1, 23, 8
	s_wait_xcnt 0x0
	s_delay_alu instid0(VALU_DEP_1)
	v_cmpx_ne_u32_e32 0xff, v3
	s_cbranch_execz .LBB315_2875
; %bb.2874:
	v_and_b32_e32 v12, 0x400000, v1
	v_and_or_b32 v3, 0x3fffff, v1, v3
	v_lshrrev_b32_e32 v1, 23, v1
	s_delay_alu instid0(VALU_DEP_3) | instskip(NEXT) | instid1(VALU_DEP_3)
	v_cmp_ne_u32_e32 vcc_lo, 0, v12
	v_cmp_ne_u32_e64 s0, 0, v3
	s_and_b32 s0, vcc_lo, s0
	s_delay_alu instid0(SALU_CYCLE_1) | instskip(NEXT) | instid1(VALU_DEP_1)
	v_cndmask_b32_e64 v3, 0, 1, s0
	v_add_nc_u32_e32 v12, v1, v3
.LBB315_2875:
	s_or_b32 exec_lo, exec_lo, s16
.LBB315_2876:
	s_mov_b32 s0, 0
.LBB315_2877:
	s_delay_alu instid0(SALU_CYCLE_1)
	s_and_not1_b32 vcc_lo, exec_lo, s0
	s_cbranch_vccnz .LBB315_2881
; %bb.2878:
	global_load_u16 v1, v[4:5], off
	s_wait_loadcnt 0x1
	v_mov_b32_e32 v12, 0xff
	s_mov_b32 s16, exec_lo
	s_wait_loadcnt 0x0
	v_cvt_f32_f16_e32 v1, v1
	s_delay_alu instid0(VALU_DEP_1) | instskip(SKIP_1) | instid1(VALU_DEP_1)
	v_bfe_u32 v3, v1, 23, 8
	s_wait_xcnt 0x0
	v_cmpx_ne_u32_e32 0xff, v3
	s_cbranch_execz .LBB315_2880
; %bb.2879:
	v_and_b32_e32 v12, 0x400000, v1
	v_and_or_b32 v3, 0x3fffff, v1, v3
	v_lshrrev_b32_e32 v1, 23, v1
	s_delay_alu instid0(VALU_DEP_3) | instskip(NEXT) | instid1(VALU_DEP_3)
	v_cmp_ne_u32_e32 vcc_lo, 0, v12
	v_cmp_ne_u32_e64 s0, 0, v3
	s_and_b32 s0, vcc_lo, s0
	s_delay_alu instid0(SALU_CYCLE_1) | instskip(NEXT) | instid1(VALU_DEP_1)
	v_cndmask_b32_e64 v3, 0, 1, s0
	v_add_nc_u32_e32 v12, v1, v3
.LBB315_2880:
	s_or_b32 exec_lo, exec_lo, s16
.LBB315_2881:
	s_mov_b32 s0, 0
.LBB315_2882:
	s_delay_alu instid0(SALU_CYCLE_1)
	s_and_not1_b32 vcc_lo, exec_lo, s0
	s_cbranch_vccnz .LBB315_2912
; %bb.2883:
	s_cmp_lt_i32 s14, 2
	s_cbranch_scc1 .LBB315_2889
; %bb.2884:
	s_cmp_lt_i32 s14, 3
	s_cbranch_scc1 .LBB315_2890
; %bb.2885:
	s_cmp_gt_i32 s14, 3
	s_cbranch_scc0 .LBB315_2891
; %bb.2886:
	s_wait_loadcnt 0x0
	global_load_b64 v[12:13], v[4:5], off
	s_mov_b32 s16, exec_lo
	s_wait_loadcnt 0x0
	v_xor_b32_e32 v1, v12, v13
	v_cls_i32_e32 v3, v13
	s_delay_alu instid0(VALU_DEP_2) | instskip(NEXT) | instid1(VALU_DEP_1)
	v_ashrrev_i32_e32 v1, 31, v1
	v_add_nc_u32_e32 v1, 32, v1
	s_delay_alu instid0(VALU_DEP_1) | instskip(NEXT) | instid1(VALU_DEP_1)
	v_add_min_u32_e64 v1, v3, -1, v1
	v_lshlrev_b64_e32 v[12:13], v1, v[12:13]
	v_sub_nc_u32_e32 v1, 32, v1
	s_delay_alu instid0(VALU_DEP_2) | instskip(SKIP_1) | instid1(VALU_DEP_2)
	v_min_u32_e32 v3, 1, v12
	v_mov_b32_e32 v12, 0xff
	v_or_b32_e32 v3, v13, v3
	s_delay_alu instid0(VALU_DEP_1) | instskip(NEXT) | instid1(VALU_DEP_1)
	v_cvt_f32_i32_e32 v3, v3
	v_ldexp_f32 v1, v3, v1
	s_delay_alu instid0(VALU_DEP_1) | instskip(SKIP_1) | instid1(VALU_DEP_1)
	v_bfe_u32 v3, v1, 23, 8
	s_wait_xcnt 0x0
	v_cmpx_ne_u32_e32 0xff, v3
	s_cbranch_execz .LBB315_2888
; %bb.2887:
	v_and_b32_e32 v12, 0x400000, v1
	v_and_or_b32 v3, 0x3fffff, v1, v3
	v_lshrrev_b32_e32 v1, 23, v1
	s_delay_alu instid0(VALU_DEP_3) | instskip(NEXT) | instid1(VALU_DEP_3)
	v_cmp_ne_u32_e32 vcc_lo, 0, v12
	v_cmp_ne_u32_e64 s0, 0, v3
	s_and_b32 s0, vcc_lo, s0
	s_delay_alu instid0(SALU_CYCLE_1) | instskip(NEXT) | instid1(VALU_DEP_1)
	v_cndmask_b32_e64 v3, 0, 1, s0
	v_add_nc_u32_e32 v12, v1, v3
.LBB315_2888:
	s_or_b32 exec_lo, exec_lo, s16
	s_mov_b32 s0, 0
	s_branch .LBB315_2892
.LBB315_2889:
	s_mov_b32 s0, -1
                                        ; implicit-def: $vgpr12
	s_branch .LBB315_2902
.LBB315_2890:
	s_mov_b32 s0, -1
                                        ; implicit-def: $vgpr12
	s_branch .LBB315_2897
.LBB315_2891:
	s_mov_b32 s0, -1
                                        ; implicit-def: $vgpr12
.LBB315_2892:
	s_delay_alu instid0(SALU_CYCLE_1)
	s_and_not1_b32 vcc_lo, exec_lo, s0
	s_cbranch_vccnz .LBB315_2896
; %bb.2893:
	global_load_b32 v1, v[4:5], off
	s_wait_loadcnt 0x1
	v_mov_b32_e32 v12, 0xff
	s_mov_b32 s16, exec_lo
	s_wait_loadcnt 0x0
	v_cvt_f32_i32_e32 v1, v1
	s_delay_alu instid0(VALU_DEP_1) | instskip(SKIP_1) | instid1(VALU_DEP_1)
	v_bfe_u32 v3, v1, 23, 8
	s_wait_xcnt 0x0
	v_cmpx_ne_u32_e32 0xff, v3
	s_cbranch_execz .LBB315_2895
; %bb.2894:
	v_and_b32_e32 v12, 0x400000, v1
	v_and_or_b32 v3, 0x3fffff, v1, v3
	v_lshrrev_b32_e32 v1, 23, v1
	s_delay_alu instid0(VALU_DEP_3) | instskip(NEXT) | instid1(VALU_DEP_3)
	v_cmp_ne_u32_e32 vcc_lo, 0, v12
	v_cmp_ne_u32_e64 s0, 0, v3
	s_and_b32 s0, vcc_lo, s0
	s_delay_alu instid0(SALU_CYCLE_1) | instskip(NEXT) | instid1(VALU_DEP_1)
	v_cndmask_b32_e64 v3, 0, 1, s0
	v_add_nc_u32_e32 v12, v1, v3
.LBB315_2895:
	s_or_b32 exec_lo, exec_lo, s16
.LBB315_2896:
	s_mov_b32 s0, 0
.LBB315_2897:
	s_delay_alu instid0(SALU_CYCLE_1)
	s_and_not1_b32 vcc_lo, exec_lo, s0
	s_cbranch_vccnz .LBB315_2901
; %bb.2898:
	global_load_i16 v1, v[4:5], off
	s_wait_loadcnt 0x1
	v_mov_b32_e32 v12, 0xff
	s_mov_b32 s16, exec_lo
	s_wait_loadcnt 0x0
	v_cvt_f32_i32_e32 v1, v1
	s_delay_alu instid0(VALU_DEP_1) | instskip(SKIP_1) | instid1(VALU_DEP_1)
	v_bfe_u32 v3, v1, 23, 8
	s_wait_xcnt 0x0
	v_cmpx_ne_u32_e32 0xff, v3
	s_cbranch_execz .LBB315_2900
; %bb.2899:
	v_and_b32_e32 v12, 0x400000, v1
	v_and_or_b32 v3, 0x3fffff, v1, v3
	v_lshrrev_b32_e32 v1, 23, v1
	s_delay_alu instid0(VALU_DEP_3) | instskip(NEXT) | instid1(VALU_DEP_3)
	v_cmp_ne_u32_e32 vcc_lo, 0, v12
	v_cmp_ne_u32_e64 s0, 0, v3
	s_and_b32 s0, vcc_lo, s0
	s_delay_alu instid0(SALU_CYCLE_1) | instskip(NEXT) | instid1(VALU_DEP_1)
	v_cndmask_b32_e64 v3, 0, 1, s0
	v_add_nc_u32_e32 v12, v1, v3
.LBB315_2900:
	s_or_b32 exec_lo, exec_lo, s16
.LBB315_2901:
	s_mov_b32 s0, 0
.LBB315_2902:
	s_delay_alu instid0(SALU_CYCLE_1)
	s_and_not1_b32 vcc_lo, exec_lo, s0
	s_cbranch_vccnz .LBB315_2912
; %bb.2903:
	s_cmp_gt_i32 s14, 0
	s_cbranch_scc0 .LBB315_2907
; %bb.2904:
	global_load_i8 v1, v[4:5], off
	s_wait_loadcnt 0x1
	v_mov_b32_e32 v12, 0xff
	s_mov_b32 s14, exec_lo
	s_wait_loadcnt 0x0
	v_cvt_f32_i32_e32 v1, v1
	s_delay_alu instid0(VALU_DEP_1) | instskip(SKIP_1) | instid1(VALU_DEP_1)
	v_bfe_u32 v3, v1, 23, 8
	s_wait_xcnt 0x0
	v_cmpx_ne_u32_e32 0xff, v3
	s_cbranch_execz .LBB315_2906
; %bb.2905:
	v_and_b32_e32 v12, 0x400000, v1
	v_and_or_b32 v3, 0x3fffff, v1, v3
	v_lshrrev_b32_e32 v1, 23, v1
	s_delay_alu instid0(VALU_DEP_3) | instskip(NEXT) | instid1(VALU_DEP_3)
	v_cmp_ne_u32_e32 vcc_lo, 0, v12
	v_cmp_ne_u32_e64 s0, 0, v3
	s_and_b32 s0, vcc_lo, s0
	s_delay_alu instid0(SALU_CYCLE_1) | instskip(NEXT) | instid1(VALU_DEP_1)
	v_cndmask_b32_e64 v3, 0, 1, s0
	v_add_nc_u32_e32 v12, v1, v3
.LBB315_2906:
	s_or_b32 exec_lo, exec_lo, s14
	s_mov_b32 s0, 0
	s_branch .LBB315_2908
.LBB315_2907:
	s_mov_b32 s0, -1
                                        ; implicit-def: $vgpr12
.LBB315_2908:
	s_delay_alu instid0(SALU_CYCLE_1)
	s_and_not1_b32 vcc_lo, exec_lo, s0
	s_cbranch_vccnz .LBB315_2912
; %bb.2909:
	global_load_u8 v1, v[4:5], off
	s_mov_b32 s14, exec_lo
	s_wait_loadcnt 0x1
	v_mov_b32_e32 v12, 0xff
	s_wait_loadcnt 0x0
	v_cvt_f32_ubyte0_e32 v3, v1
	s_delay_alu instid0(VALU_DEP_1) | instskip(SKIP_1) | instid1(VALU_DEP_1)
	v_lshrrev_b32_e32 v1, 23, v3
	s_wait_xcnt 0x0
	v_cmpx_ne_u32_e32 0xff, v1
; %bb.2910:
	v_and_b32_e32 v4, 0x400000, v3
	v_and_or_b32 v3, 0x3fffff, v3, v1
	s_delay_alu instid0(VALU_DEP_2) | instskip(NEXT) | instid1(VALU_DEP_2)
	v_cmp_ne_u32_e32 vcc_lo, 0, v4
	v_cmp_ne_u32_e64 s0, 0, v3
	s_and_b32 s0, vcc_lo, s0
	s_delay_alu instid0(SALU_CYCLE_1) | instskip(NEXT) | instid1(VALU_DEP_1)
	v_cndmask_b32_e64 v3, 0, 1, s0
	v_add_nc_u32_e32 v12, v1, v3
; %bb.2911:
	s_or_b32 exec_lo, exec_lo, s14
.LBB315_2912:
	s_mov_b32 s0, -1
.LBB315_2913:
	s_delay_alu instid0(SALU_CYCLE_1)
	s_and_not1_b32 vcc_lo, exec_lo, s0
	s_cbranch_vccnz .LBB315_3690
; %bb.2914:
	v_add_nc_u32_e32 v0, s9, v0
	s_cmp_lt_i32 s1, 11
	s_delay_alu instid0(VALU_DEP_1) | instskip(NEXT) | instid1(VALU_DEP_1)
	v_ashrrev_i32_e32 v1, 31, v0
	v_add_nc_u64_e32 v[0:1], s[6:7], v[0:1]
	s_cbranch_scc1 .LBB315_2923
; %bb.2915:
	s_and_b32 s6, 0xffff, s1
	s_mov_b32 s9, 0
	s_cmp_gt_i32 s6, 25
	s_cbranch_scc0 .LBB315_2924
; %bb.2916:
	s_cmp_gt_i32 s6, 28
	s_cbranch_scc0 .LBB315_2925
; %bb.2917:
	;; [unrolled: 3-line block ×4, first 2 shown]
	s_cmp_eq_u32 s6, 46
	s_mov_b32 s14, 0
	s_cbranch_scc0 .LBB315_2929
; %bb.2920:
	global_load_b32 v3, v[0:1], off
	s_mov_b32 s7, exec_lo
	s_wait_loadcnt 0x0
	s_wait_xcnt 0x1
	v_dual_mov_b32 v4, 0xff :: v_dual_lshlrev_b32 v5, 16, v3
	s_delay_alu instid0(VALU_DEP_1) | instskip(SKIP_1) | instid1(VALU_DEP_1)
	v_bfe_u32 v13, v5, 23, 8
	s_wait_xcnt 0x0
	v_cmpx_ne_u32_e32 0xff, v13
	s_cbranch_execz .LBB315_2922
; %bb.2921:
	v_and_b32_e32 v4, 64, v3
	v_and_or_b32 v5, 0x3f0000, v5, v13
	v_bfe_u32 v3, v3, 7, 9
	s_delay_alu instid0(VALU_DEP_3) | instskip(NEXT) | instid1(VALU_DEP_3)
	v_cmp_ne_u32_e32 vcc_lo, 0, v4
	v_cmp_ne_u32_e64 s0, 0, v5
	s_and_b32 s0, vcc_lo, s0
	s_delay_alu instid0(SALU_CYCLE_1) | instskip(NEXT) | instid1(VALU_DEP_1)
	v_cndmask_b32_e64 v4, 0, 1, s0
	v_add_nc_u32_e32 v4, v3, v4
.LBB315_2922:
	s_or_b32 exec_lo, exec_lo, s7
	s_mov_b32 s7, 0
	s_mov_b32 s0, -1
	s_branch .LBB315_2931
.LBB315_2923:
	s_mov_b32 s6, -1
	s_mov_b32 s0, 0
                                        ; implicit-def: $vgpr4
	s_branch .LBB315_3015
.LBB315_2924:
	s_mov_b32 s14, -1
	s_mov_b32 s0, 0
	s_mov_b32 s7, 0
                                        ; implicit-def: $vgpr4
	s_branch .LBB315_2970
.LBB315_2925:
	s_mov_b32 s14, -1
	s_mov_b32 s0, 0
	s_mov_b32 s7, 0
                                        ; implicit-def: $vgpr4
	s_branch .LBB315_2943
.LBB315_2926:
	s_mov_b32 s14, -1
	s_mov_b32 s0, 0
	s_mov_b32 s7, 0
                                        ; implicit-def: $vgpr4
	s_branch .LBB315_2936
.LBB315_2927:
	s_or_b32 s15, s15, exec_lo
	s_trap 2
	s_cbranch_execz .LBB315_2838
	s_branch .LBB315_2841
.LBB315_2928:
	s_mov_b32 s14, -1
	s_mov_b32 s0, 0
	s_mov_b32 s7, 0
	s_branch .LBB315_2930
.LBB315_2929:
	s_mov_b32 s7, -1
	s_mov_b32 s0, 0
.LBB315_2930:
                                        ; implicit-def: $vgpr4
.LBB315_2931:
	s_and_b32 vcc_lo, exec_lo, s14
	s_cbranch_vccz .LBB315_2935
; %bb.2932:
	s_cmp_eq_u32 s6, 44
	s_cbranch_scc0 .LBB315_2934
; %bb.2933:
	global_load_u8 v4, v[0:1], off
	s_mov_b32 s7, 0
	s_mov_b32 s0, -1
	s_branch .LBB315_2935
.LBB315_2934:
	s_mov_b32 s7, -1
                                        ; implicit-def: $vgpr4
.LBB315_2935:
	s_mov_b32 s14, 0
.LBB315_2936:
	s_delay_alu instid0(SALU_CYCLE_1)
	s_and_b32 vcc_lo, exec_lo, s14
	s_cbranch_vccz .LBB315_2942
; %bb.2937:
	s_cmp_eq_u32 s6, 29
	s_cbranch_scc0 .LBB315_2941
; %bb.2938:
	s_wait_loadcnt 0x0
	global_load_b64 v[4:5], v[0:1], off
	s_mov_b32 s7, exec_lo
	s_wait_loadcnt 0x0
	v_clz_i32_u32_e32 v3, v5
	s_delay_alu instid0(VALU_DEP_1) | instskip(NEXT) | instid1(VALU_DEP_1)
	v_min_u32_e32 v3, 32, v3
	v_lshlrev_b64_e32 v[4:5], v3, v[4:5]
	v_sub_nc_u32_e32 v3, 32, v3
	s_delay_alu instid0(VALU_DEP_2) | instskip(NEXT) | instid1(VALU_DEP_1)
	v_min_u32_e32 v4, 1, v4
	v_or_b32_e32 v4, v5, v4
	s_delay_alu instid0(VALU_DEP_1) | instskip(NEXT) | instid1(VALU_DEP_1)
	v_cvt_f32_u32_e32 v4, v4
	v_ldexp_f32 v5, v4, v3
	s_delay_alu instid0(VALU_DEP_1) | instskip(SKIP_1) | instid1(VALU_DEP_1)
	v_dual_mov_b32 v4, 0xff :: v_dual_lshrrev_b32 v3, 23, v5
	s_wait_xcnt 0x0
	v_cmpx_ne_u32_e32 0xff, v3
; %bb.2939:
	v_and_b32_e32 v4, 0x400000, v5
	v_and_or_b32 v5, 0x3fffff, v5, v3
	s_delay_alu instid0(VALU_DEP_2) | instskip(NEXT) | instid1(VALU_DEP_2)
	v_cmp_ne_u32_e32 vcc_lo, 0, v4
	v_cmp_ne_u32_e64 s0, 0, v5
	s_and_b32 s0, vcc_lo, s0
	s_delay_alu instid0(SALU_CYCLE_1) | instskip(NEXT) | instid1(VALU_DEP_1)
	v_cndmask_b32_e64 v4, 0, 1, s0
	v_add_nc_u32_e32 v4, v3, v4
; %bb.2940:
	s_or_b32 exec_lo, exec_lo, s7
	s_mov_b32 s7, 0
	s_mov_b32 s0, -1
	s_branch .LBB315_2942
.LBB315_2941:
	s_mov_b32 s7, -1
                                        ; implicit-def: $vgpr4
.LBB315_2942:
	s_mov_b32 s14, 0
.LBB315_2943:
	s_delay_alu instid0(SALU_CYCLE_1)
	s_and_b32 vcc_lo, exec_lo, s14
	s_cbranch_vccz .LBB315_2969
; %bb.2944:
	s_cmp_lt_i32 s6, 27
	s_cbranch_scc1 .LBB315_2949
; %bb.2945:
	s_cmp_gt_i32 s6, 27
	s_cbranch_scc0 .LBB315_2950
; %bb.2946:
	global_load_b32 v3, v[0:1], off
	s_mov_b32 s14, exec_lo
	s_wait_loadcnt 0x1
	s_wait_xcnt 0x1
	v_mov_b32_e32 v4, 0xff
	s_wait_loadcnt 0x0
	v_cvt_f32_u32_e32 v5, v3
	s_delay_alu instid0(VALU_DEP_1) | instskip(SKIP_1) | instid1(VALU_DEP_1)
	v_lshrrev_b32_e32 v3, 23, v5
	s_wait_xcnt 0x0
	v_cmpx_ne_u32_e32 0xff, v3
; %bb.2947:
	v_and_b32_e32 v4, 0x400000, v5
	v_and_or_b32 v5, 0x3fffff, v5, v3
	s_delay_alu instid0(VALU_DEP_2) | instskip(NEXT) | instid1(VALU_DEP_2)
	v_cmp_ne_u32_e32 vcc_lo, 0, v4
	v_cmp_ne_u32_e64 s0, 0, v5
	s_and_b32 s0, vcc_lo, s0
	s_delay_alu instid0(SALU_CYCLE_1) | instskip(NEXT) | instid1(VALU_DEP_1)
	v_cndmask_b32_e64 v4, 0, 1, s0
	v_add_nc_u32_e32 v4, v3, v4
; %bb.2948:
	s_or_b32 exec_lo, exec_lo, s14
	s_mov_b32 s0, 0
	s_branch .LBB315_2951
.LBB315_2949:
	s_mov_b32 s0, -1
                                        ; implicit-def: $vgpr4
	s_branch .LBB315_2956
.LBB315_2950:
	s_mov_b32 s0, -1
                                        ; implicit-def: $vgpr4
.LBB315_2951:
	s_delay_alu instid0(SALU_CYCLE_1)
	s_and_not1_b32 vcc_lo, exec_lo, s0
	s_cbranch_vccnz .LBB315_2955
; %bb.2952:
	global_load_u16 v3, v[0:1], off
	s_mov_b32 s14, exec_lo
	s_wait_loadcnt 0x1
	s_wait_xcnt 0x1
	v_mov_b32_e32 v4, 0xff
	s_wait_loadcnt 0x0
	v_cvt_f32_u32_e32 v5, v3
	s_delay_alu instid0(VALU_DEP_1) | instskip(SKIP_1) | instid1(VALU_DEP_1)
	v_lshrrev_b32_e32 v3, 23, v5
	s_wait_xcnt 0x0
	v_cmpx_ne_u32_e32 0xff, v3
; %bb.2953:
	v_and_b32_e32 v4, 0x400000, v5
	v_and_or_b32 v5, 0x3fffff, v5, v3
	s_delay_alu instid0(VALU_DEP_2) | instskip(NEXT) | instid1(VALU_DEP_2)
	v_cmp_ne_u32_e32 vcc_lo, 0, v4
	v_cmp_ne_u32_e64 s0, 0, v5
	s_and_b32 s0, vcc_lo, s0
	s_delay_alu instid0(SALU_CYCLE_1) | instskip(NEXT) | instid1(VALU_DEP_1)
	v_cndmask_b32_e64 v4, 0, 1, s0
	v_add_nc_u32_e32 v4, v3, v4
; %bb.2954:
	s_or_b32 exec_lo, exec_lo, s14
.LBB315_2955:
	s_mov_b32 s0, 0
.LBB315_2956:
	s_delay_alu instid0(SALU_CYCLE_1)
	s_and_not1_b32 vcc_lo, exec_lo, s0
	s_cbranch_vccnz .LBB315_2968
; %bb.2957:
	global_load_u8 v3, v[0:1], off
	s_mov_b32 s0, 0
	s_mov_b32 s14, exec_lo
	s_wait_loadcnt 0x0
	v_cmpx_lt_i16_e32 0x7f, v3
	s_xor_b32 s14, exec_lo, s14
	s_cbranch_execz .LBB315_2961
; %bb.2958:
	s_mov_b32 s0, -1
	s_mov_b32 s16, exec_lo
	v_cmpx_eq_u16_e32 0x80, v3
; %bb.2959:
	s_xor_b32 s0, exec_lo, -1
; %bb.2960:
	s_or_b32 exec_lo, exec_lo, s16
	s_delay_alu instid0(SALU_CYCLE_1)
	s_and_b32 s0, s0, exec_lo
.LBB315_2961:
	s_or_saveexec_b32 s14, s14
	v_mov_b32_e32 v5, 0x7f800001
	v_and_b32_e32 v4, 0xffff, v3
	s_xor_b32 exec_lo, exec_lo, s14
; %bb.2962:
	v_cmp_ne_u16_e32 vcc_lo, 0, v3
	s_delay_alu instid0(VALU_DEP_2) | instskip(SKIP_2) | instid1(SALU_CYCLE_1)
	v_mov_b32_e32 v5, v4
	s_and_not1_b32 s0, s0, exec_lo
	s_and_b32 s16, vcc_lo, exec_lo
	s_or_b32 s0, s0, s16
; %bb.2963:
	s_or_b32 exec_lo, exec_lo, s14
	s_and_saveexec_b32 s14, s0
	s_cbranch_execz .LBB315_2965
; %bb.2964:
	v_and_b32_e32 v3, 7, v4
	s_delay_alu instid0(VALU_DEP_1) | instskip(NEXT) | instid1(VALU_DEP_1)
	v_clz_i32_u32_e32 v5, v3
	v_min_u32_e32 v5, 32, v5
	s_delay_alu instid0(VALU_DEP_1) | instskip(NEXT) | instid1(VALU_DEP_1)
	v_subrev_nc_u32_e32 v13, 28, v5
	v_lshlrev_b32_e32 v13, v13, v4
	v_bfe_u32 v4, v4, 3, 4
	s_delay_alu instid0(VALU_DEP_2) | instskip(NEXT) | instid1(VALU_DEP_2)
	v_and_b32_e32 v13, 7, v13
	v_cmp_eq_u32_e32 vcc_lo, 0, v4
	s_delay_alu instid0(VALU_DEP_2) | instskip(NEXT) | instid1(VALU_DEP_1)
	v_cndmask_b32_e32 v3, v3, v13, vcc_lo
	v_dual_sub_nc_u32 v5, 29, v5 :: v_dual_lshlrev_b32 v3, 20, v3
	s_delay_alu instid0(VALU_DEP_1) | instskip(NEXT) | instid1(VALU_DEP_1)
	v_cndmask_b32_e32 v4, v4, v5, vcc_lo
	v_lshl_or_b32 v3, v4, 23, v3
	s_delay_alu instid0(VALU_DEP_1)
	v_add_nc_u32_e32 v5, 0x3b800000, v3
.LBB315_2965:
	s_or_b32 exec_lo, exec_lo, s14
	s_delay_alu instid0(VALU_DEP_1) | instskip(SKIP_1) | instid1(VALU_DEP_1)
	v_dual_mov_b32 v4, 0xff :: v_dual_lshrrev_b32 v3, 23, v5
	s_mov_b32 s14, exec_lo
	v_cmpx_ne_u32_e32 0xff, v3
; %bb.2966:
	v_and_b32_e32 v4, 0x400000, v5
	v_and_or_b32 v5, 0x3fffff, v5, v3
	s_delay_alu instid0(VALU_DEP_2) | instskip(NEXT) | instid1(VALU_DEP_2)
	v_cmp_ne_u32_e32 vcc_lo, 0, v4
	v_cmp_ne_u32_e64 s0, 0, v5
	s_and_b32 s0, vcc_lo, s0
	s_delay_alu instid0(SALU_CYCLE_1) | instskip(NEXT) | instid1(VALU_DEP_1)
	v_cndmask_b32_e64 v4, 0, 1, s0
	v_add_nc_u32_e32 v4, v3, v4
; %bb.2967:
	s_or_b32 exec_lo, exec_lo, s14
.LBB315_2968:
	s_mov_b32 s0, -1
.LBB315_2969:
	s_mov_b32 s14, 0
.LBB315_2970:
	s_delay_alu instid0(SALU_CYCLE_1)
	s_and_b32 vcc_lo, exec_lo, s14
	s_cbranch_vccz .LBB315_3009
; %bb.2971:
	s_cmp_gt_i32 s6, 22
	s_cbranch_scc0 .LBB315_2985
; %bb.2972:
	s_cmp_lt_i32 s6, 24
	s_cbranch_scc1 .LBB315_2986
; %bb.2973:
	s_cmp_gt_i32 s6, 24
	s_cbranch_scc0 .LBB315_2987
; %bb.2974:
	global_load_u8 v3, v[0:1], off
	s_mov_b32 s0, 0
	s_mov_b32 s9, exec_lo
	s_wait_loadcnt 0x0
	v_cmpx_lt_i16_e32 0x7f, v3
	s_xor_b32 s9, exec_lo, s9
	s_cbranch_execz .LBB315_2978
; %bb.2975:
	s_mov_b32 s0, -1
	s_mov_b32 s14, exec_lo
	v_cmpx_eq_u16_e32 0x80, v3
; %bb.2976:
	s_xor_b32 s0, exec_lo, -1
; %bb.2977:
	s_or_b32 exec_lo, exec_lo, s14
	s_delay_alu instid0(SALU_CYCLE_1)
	s_and_b32 s0, s0, exec_lo
.LBB315_2978:
	s_or_saveexec_b32 s9, s9
	v_mov_b32_e32 v5, 0x7f800001
	v_and_b32_e32 v4, 0xffff, v3
	s_xor_b32 exec_lo, exec_lo, s9
; %bb.2979:
	v_cmp_ne_u16_e32 vcc_lo, 0, v3
	s_delay_alu instid0(VALU_DEP_2) | instskip(SKIP_2) | instid1(SALU_CYCLE_1)
	v_mov_b32_e32 v5, v4
	s_and_not1_b32 s0, s0, exec_lo
	s_and_b32 s14, vcc_lo, exec_lo
	s_or_b32 s0, s0, s14
; %bb.2980:
	s_or_b32 exec_lo, exec_lo, s9
	s_and_saveexec_b32 s9, s0
	s_cbranch_execz .LBB315_2982
; %bb.2981:
	v_and_b32_e32 v3, 3, v4
	s_delay_alu instid0(VALU_DEP_1) | instskip(NEXT) | instid1(VALU_DEP_1)
	v_clz_i32_u32_e32 v5, v3
	v_min_u32_e32 v5, 32, v5
	s_delay_alu instid0(VALU_DEP_1) | instskip(NEXT) | instid1(VALU_DEP_1)
	v_subrev_nc_u32_e32 v13, 29, v5
	v_lshlrev_b32_e32 v13, v13, v4
	v_bfe_u32 v4, v4, 2, 5
	s_delay_alu instid0(VALU_DEP_2) | instskip(NEXT) | instid1(VALU_DEP_2)
	v_and_b32_e32 v13, 3, v13
	v_cmp_eq_u32_e32 vcc_lo, 0, v4
	s_delay_alu instid0(VALU_DEP_2) | instskip(NEXT) | instid1(VALU_DEP_1)
	v_cndmask_b32_e32 v3, v3, v13, vcc_lo
	v_dual_sub_nc_u32 v5, 30, v5 :: v_dual_lshlrev_b32 v3, 21, v3
	s_delay_alu instid0(VALU_DEP_1) | instskip(NEXT) | instid1(VALU_DEP_1)
	v_cndmask_b32_e32 v4, v4, v5, vcc_lo
	v_lshl_or_b32 v3, v4, 23, v3
	s_delay_alu instid0(VALU_DEP_1)
	v_add_nc_u32_e32 v5, 0x37800000, v3
.LBB315_2982:
	s_or_b32 exec_lo, exec_lo, s9
	s_delay_alu instid0(VALU_DEP_1) | instskip(SKIP_1) | instid1(VALU_DEP_1)
	v_dual_mov_b32 v4, 0xff :: v_dual_lshrrev_b32 v3, 23, v5
	s_mov_b32 s9, exec_lo
	v_cmpx_ne_u32_e32 0xff, v3
; %bb.2983:
	v_and_b32_e32 v4, 0x400000, v5
	v_and_or_b32 v5, 0x3fffff, v5, v3
	s_delay_alu instid0(VALU_DEP_2) | instskip(NEXT) | instid1(VALU_DEP_2)
	v_cmp_ne_u32_e32 vcc_lo, 0, v4
	v_cmp_ne_u32_e64 s0, 0, v5
	s_and_b32 s0, vcc_lo, s0
	s_delay_alu instid0(SALU_CYCLE_1) | instskip(NEXT) | instid1(VALU_DEP_1)
	v_cndmask_b32_e64 v4, 0, 1, s0
	v_add_nc_u32_e32 v4, v3, v4
; %bb.2984:
	s_or_b32 exec_lo, exec_lo, s9
	s_mov_b32 s0, 0
	s_branch .LBB315_2988
.LBB315_2985:
	s_mov_b32 s9, -1
                                        ; implicit-def: $vgpr4
	s_branch .LBB315_2998
.LBB315_2986:
	s_mov_b32 s0, -1
                                        ; implicit-def: $vgpr4
	s_branch .LBB315_2993
.LBB315_2987:
	s_mov_b32 s0, -1
                                        ; implicit-def: $vgpr4
.LBB315_2988:
	s_delay_alu instid0(SALU_CYCLE_1)
	s_and_b32 vcc_lo, exec_lo, s0
	s_cbranch_vccz .LBB315_2992
; %bb.2989:
	global_load_u8 v3, v[0:1], off
	s_mov_b32 s9, exec_lo
	s_wait_loadcnt 0x0
	v_lshlrev_b32_e32 v3, 24, v3
	s_delay_alu instid0(VALU_DEP_1) | instskip(SKIP_1) | instid1(VALU_DEP_1)
	v_and_b32_e32 v3, 0x7f000000, v3
	s_wait_xcnt 0x1
	v_clz_i32_u32_e32 v4, v3
	v_add_nc_u32_e32 v13, 0x1000000, v3
	v_cmp_ne_u32_e32 vcc_lo, 0, v3
	s_delay_alu instid0(VALU_DEP_3) | instskip(NEXT) | instid1(VALU_DEP_1)
	v_min_u32_e32 v4, 32, v4
	v_sub_nc_u32_e64 v4, v4, 4 clamp
	s_delay_alu instid0(VALU_DEP_1) | instskip(NEXT) | instid1(VALU_DEP_1)
	v_dual_lshlrev_b32 v5, v4, v3 :: v_dual_lshlrev_b32 v4, 23, v4
	v_lshrrev_b32_e32 v5, 4, v5
	s_delay_alu instid0(VALU_DEP_1) | instskip(NEXT) | instid1(VALU_DEP_1)
	v_dual_sub_nc_u32 v4, v5, v4 :: v_dual_ashrrev_i32 v5, 8, v13
	v_add_nc_u32_e32 v4, 0x3c000000, v4
	s_delay_alu instid0(VALU_DEP_1) | instskip(NEXT) | instid1(VALU_DEP_1)
	v_and_or_b32 v4, 0x7f800000, v5, v4
	v_dual_cndmask_b32 v5, 0, v4 :: v_dual_mov_b32 v4, 0xff
	s_delay_alu instid0(VALU_DEP_1) | instskip(SKIP_1) | instid1(VALU_DEP_1)
	v_lshrrev_b32_e32 v3, 23, v5
	s_wait_xcnt 0x0
	v_cmpx_ne_u32_e32 0xff, v3
; %bb.2990:
	v_and_b32_e32 v4, 0x400000, v5
	v_and_or_b32 v5, 0x3fffff, v5, v3
	s_delay_alu instid0(VALU_DEP_2) | instskip(NEXT) | instid1(VALU_DEP_2)
	v_cmp_ne_u32_e32 vcc_lo, 0, v4
	v_cmp_ne_u32_e64 s0, 0, v5
	s_and_b32 s0, vcc_lo, s0
	s_delay_alu instid0(SALU_CYCLE_1) | instskip(NEXT) | instid1(VALU_DEP_1)
	v_cndmask_b32_e64 v4, 0, 1, s0
	v_add_nc_u32_e32 v4, v3, v4
; %bb.2991:
	s_or_b32 exec_lo, exec_lo, s9
.LBB315_2992:
	s_mov_b32 s0, 0
.LBB315_2993:
	s_delay_alu instid0(SALU_CYCLE_1)
	s_and_not1_b32 vcc_lo, exec_lo, s0
	s_cbranch_vccnz .LBB315_2997
; %bb.2994:
	global_load_u8 v3, v[0:1], off
	s_mov_b32 s9, exec_lo
	s_wait_loadcnt 0x0
	s_wait_xcnt 0x1
	v_dual_lshlrev_b32 v4, 25, v3 :: v_dual_lshlrev_b32 v3, 8, v3
	s_delay_alu instid0(VALU_DEP_1) | instskip(NEXT) | instid1(VALU_DEP_2)
	v_cmp_gt_u32_e32 vcc_lo, 0x8000000, v4
	v_and_or_b32 v3, 0x7f00, v3, 0.5
	v_dual_mov_b32 v4, 0xff :: v_dual_lshrrev_b32 v5, 4, v4
	s_delay_alu instid0(VALU_DEP_2) | instskip(NEXT) | instid1(VALU_DEP_2)
	v_add_f32_e32 v3, -0.5, v3
	v_or_b32_e32 v5, 0x70000000, v5
	s_delay_alu instid0(VALU_DEP_1) | instskip(NEXT) | instid1(VALU_DEP_1)
	v_mul_f32_e32 v5, 0x7800000, v5
	v_cndmask_b32_e32 v3, v5, v3, vcc_lo
	s_delay_alu instid0(VALU_DEP_1) | instskip(SKIP_1) | instid1(VALU_DEP_1)
	v_bfe_u32 v5, v3, 23, 8
	s_wait_xcnt 0x0
	v_cmpx_ne_u32_e32 0xff, v5
	s_cbranch_execz .LBB315_2996
; %bb.2995:
	v_and_b32_e32 v4, 0x400000, v3
	v_and_or_b32 v5, 0x3fffff, v3, v5
	v_lshrrev_b32_e32 v3, 23, v3
	s_delay_alu instid0(VALU_DEP_3) | instskip(NEXT) | instid1(VALU_DEP_3)
	v_cmp_ne_u32_e32 vcc_lo, 0, v4
	v_cmp_ne_u32_e64 s0, 0, v5
	s_and_b32 s0, vcc_lo, s0
	s_delay_alu instid0(SALU_CYCLE_1) | instskip(NEXT) | instid1(VALU_DEP_1)
	v_cndmask_b32_e64 v4, 0, 1, s0
	v_add_nc_u32_e32 v4, v3, v4
.LBB315_2996:
	s_or_b32 exec_lo, exec_lo, s9
.LBB315_2997:
	s_mov_b32 s9, 0
	s_mov_b32 s0, -1
.LBB315_2998:
	s_and_not1_b32 vcc_lo, exec_lo, s9
	s_mov_b32 s9, 0
	s_cbranch_vccnz .LBB315_3009
; %bb.2999:
	s_cmp_gt_i32 s6, 14
	s_cbranch_scc0 .LBB315_3004
; %bb.3000:
	s_cmp_eq_u32 s6, 15
	s_cbranch_scc0 .LBB315_3005
; %bb.3001:
	global_load_u16 v3, v[0:1], off
	s_wait_loadcnt 0x1
	s_wait_xcnt 0x1
	v_mov_b32_e32 v4, 0xff
	s_mov_b32 s7, exec_lo
	s_wait_loadcnt 0x0
	v_bfe_u32 v5, v3, 7, 8
	s_wait_xcnt 0x0
	s_delay_alu instid0(VALU_DEP_1)
	v_cmpx_ne_u32_e32 0xff, v5
	s_cbranch_execz .LBB315_3003
; %bb.3002:
	v_dual_lshlrev_b32 v4, 16, v3 :: v_dual_bitop2_b32 v13, 64, v3 bitop3:0x40
	v_lshrrev_b32_e32 v3, 7, v3
	s_delay_alu instid0(VALU_DEP_2) | instskip(NEXT) | instid1(VALU_DEP_3)
	v_and_or_b32 v4, 0x3f0000, v4, v5
	v_cmp_ne_u32_e32 vcc_lo, 0, v13
	s_delay_alu instid0(VALU_DEP_2) | instskip(SKIP_1) | instid1(SALU_CYCLE_1)
	v_cmp_ne_u32_e64 s0, 0, v4
	s_and_b32 s0, vcc_lo, s0
	v_cndmask_b32_e64 v4, 0, 1, s0
	s_delay_alu instid0(VALU_DEP_1)
	v_add_nc_u32_e32 v4, v3, v4
.LBB315_3003:
	s_or_b32 exec_lo, exec_lo, s7
	s_mov_b32 s7, 0
	s_mov_b32 s0, -1
	s_branch .LBB315_3007
.LBB315_3004:
	s_mov_b32 s9, -1
	s_branch .LBB315_3006
.LBB315_3005:
	s_mov_b32 s7, -1
.LBB315_3006:
                                        ; implicit-def: $vgpr4
.LBB315_3007:
	s_and_b32 vcc_lo, exec_lo, s9
	s_mov_b32 s9, 0
	s_cbranch_vccz .LBB315_3009
; %bb.3008:
	s_cmp_lg_u32 s6, 11
	s_mov_b32 s9, -1
	s_cselect_b32 s7, -1, 0
.LBB315_3009:
	s_delay_alu instid0(SALU_CYCLE_1)
	s_and_b32 vcc_lo, exec_lo, s7
	s_cbranch_vccnz .LBB315_3100
; %bb.3010:
	s_and_not1_b32 vcc_lo, exec_lo, s9
	s_cbranch_vccnz .LBB315_3014
.LBB315_3011:
	global_load_u8 v3, v[0:1], off
	s_mov_b32 s6, exec_lo
	s_wait_loadcnt 0x1
	s_wait_xcnt 0x1
	v_mov_b32_e32 v4, 0xff
	s_wait_loadcnt 0x0
	v_cmp_ne_u16_e32 vcc_lo, 0, v3
	v_cndmask_b32_e64 v5, 0, 1.0, vcc_lo
	s_delay_alu instid0(VALU_DEP_1) | instskip(SKIP_1) | instid1(VALU_DEP_1)
	v_lshrrev_b32_e32 v3, 23, v5
	s_wait_xcnt 0x0
	v_cmpx_ne_u32_e32 0xff, v3
; %bb.3012:
	v_and_b32_e32 v4, 0x400000, v5
	v_and_or_b32 v5, 0x3fffff, v5, v3
	s_delay_alu instid0(VALU_DEP_2) | instskip(NEXT) | instid1(VALU_DEP_2)
	v_cmp_ne_u32_e32 vcc_lo, 0, v4
	v_cmp_ne_u32_e64 s0, 0, v5
	s_and_b32 s0, vcc_lo, s0
	s_delay_alu instid0(SALU_CYCLE_1) | instskip(NEXT) | instid1(VALU_DEP_1)
	v_cndmask_b32_e64 v4, 0, 1, s0
	v_add_nc_u32_e32 v4, v3, v4
; %bb.3013:
	s_or_b32 exec_lo, exec_lo, s6
	s_mov_b32 s0, -1
.LBB315_3014:
	s_mov_b32 s6, 0
.LBB315_3015:
	s_delay_alu instid0(SALU_CYCLE_1)
	s_and_b32 vcc_lo, exec_lo, s6
	s_cbranch_vccz .LBB315_3086
; %bb.3016:
	s_and_b32 s1, 0xffff, s1
	s_delay_alu instid0(SALU_CYCLE_1)
	s_cmp_lt_i32 s1, 5
	s_cbranch_scc1 .LBB315_3023
; %bb.3017:
	s_cmp_lt_i32 s1, 8
	s_cbranch_scc1 .LBB315_3024
; %bb.3018:
	;; [unrolled: 3-line block ×3, first 2 shown]
	s_cmp_gt_i32 s1, 9
	s_cbranch_scc0 .LBB315_3026
; %bb.3020:
	s_wait_loadcnt 0x0
	global_load_b64 v[4:5], v[0:1], off
	s_mov_b32 s6, exec_lo
	s_wait_loadcnt 0x0
	v_cvt_f32_f64_e32 v3, v[4:5]
	v_mov_b32_e32 v4, 0xff
	s_delay_alu instid0(VALU_DEP_2) | instskip(SKIP_1) | instid1(VALU_DEP_1)
	v_bfe_u32 v5, v3, 23, 8
	s_wait_xcnt 0x0
	v_cmpx_ne_u32_e32 0xff, v5
	s_cbranch_execz .LBB315_3022
; %bb.3021:
	v_and_b32_e32 v4, 0x400000, v3
	v_and_or_b32 v5, 0x3fffff, v3, v5
	v_lshrrev_b32_e32 v3, 23, v3
	s_delay_alu instid0(VALU_DEP_3) | instskip(NEXT) | instid1(VALU_DEP_3)
	v_cmp_ne_u32_e32 vcc_lo, 0, v4
	v_cmp_ne_u32_e64 s0, 0, v5
	s_and_b32 s0, vcc_lo, s0
	s_delay_alu instid0(SALU_CYCLE_1) | instskip(NEXT) | instid1(VALU_DEP_1)
	v_cndmask_b32_e64 v4, 0, 1, s0
	v_add_nc_u32_e32 v4, v3, v4
.LBB315_3022:
	s_or_b32 exec_lo, exec_lo, s6
	s_mov_b32 s0, 0
	s_branch .LBB315_3027
.LBB315_3023:
	s_mov_b32 s0, -1
                                        ; implicit-def: $vgpr4
	s_branch .LBB315_3055
.LBB315_3024:
	s_mov_b32 s0, -1
                                        ; implicit-def: $vgpr4
	s_branch .LBB315_3037
.LBB315_3025:
	s_mov_b32 s0, -1
                                        ; implicit-def: $vgpr4
	s_branch .LBB315_3032
.LBB315_3026:
	s_mov_b32 s0, -1
                                        ; implicit-def: $vgpr4
.LBB315_3027:
	s_delay_alu instid0(SALU_CYCLE_1)
	s_and_not1_b32 vcc_lo, exec_lo, s0
	s_cbranch_vccnz .LBB315_3031
; %bb.3028:
	global_load_b32 v3, v[0:1], off
	s_wait_loadcnt 0x1
	s_wait_xcnt 0x1
	v_mov_b32_e32 v4, 0xff
	s_mov_b32 s6, exec_lo
	s_wait_loadcnt 0x0
	v_bfe_u32 v5, v3, 23, 8
	s_wait_xcnt 0x0
	s_delay_alu instid0(VALU_DEP_1)
	v_cmpx_ne_u32_e32 0xff, v5
	s_cbranch_execz .LBB315_3030
; %bb.3029:
	v_and_b32_e32 v4, 0x400000, v3
	v_and_or_b32 v5, 0x3fffff, v3, v5
	v_lshrrev_b32_e32 v3, 23, v3
	s_delay_alu instid0(VALU_DEP_3) | instskip(NEXT) | instid1(VALU_DEP_3)
	v_cmp_ne_u32_e32 vcc_lo, 0, v4
	v_cmp_ne_u32_e64 s0, 0, v5
	s_and_b32 s0, vcc_lo, s0
	s_delay_alu instid0(SALU_CYCLE_1) | instskip(NEXT) | instid1(VALU_DEP_1)
	v_cndmask_b32_e64 v4, 0, 1, s0
	v_add_nc_u32_e32 v4, v3, v4
.LBB315_3030:
	s_or_b32 exec_lo, exec_lo, s6
.LBB315_3031:
	s_mov_b32 s0, 0
.LBB315_3032:
	s_delay_alu instid0(SALU_CYCLE_1)
	s_and_not1_b32 vcc_lo, exec_lo, s0
	s_cbranch_vccnz .LBB315_3036
; %bb.3033:
	global_load_b32 v3, v[0:1], off
	s_wait_loadcnt 0x1
	s_wait_xcnt 0x1
	v_mov_b32_e32 v4, 0xff
	s_mov_b32 s6, exec_lo
	s_wait_loadcnt 0x0
	v_cvt_f32_f16_e32 v3, v3
	s_delay_alu instid0(VALU_DEP_1) | instskip(SKIP_1) | instid1(VALU_DEP_1)
	v_bfe_u32 v5, v3, 23, 8
	s_wait_xcnt 0x0
	v_cmpx_ne_u32_e32 0xff, v5
	s_cbranch_execz .LBB315_3035
; %bb.3034:
	v_and_b32_e32 v4, 0x400000, v3
	v_and_or_b32 v5, 0x3fffff, v3, v5
	v_lshrrev_b32_e32 v3, 23, v3
	s_delay_alu instid0(VALU_DEP_3) | instskip(NEXT) | instid1(VALU_DEP_3)
	v_cmp_ne_u32_e32 vcc_lo, 0, v4
	v_cmp_ne_u32_e64 s0, 0, v5
	s_and_b32 s0, vcc_lo, s0
	s_delay_alu instid0(SALU_CYCLE_1) | instskip(NEXT) | instid1(VALU_DEP_1)
	v_cndmask_b32_e64 v4, 0, 1, s0
	v_add_nc_u32_e32 v4, v3, v4
.LBB315_3035:
	s_or_b32 exec_lo, exec_lo, s6
.LBB315_3036:
	s_mov_b32 s0, 0
.LBB315_3037:
	s_delay_alu instid0(SALU_CYCLE_1)
	s_and_not1_b32 vcc_lo, exec_lo, s0
	s_cbranch_vccnz .LBB315_3054
; %bb.3038:
	s_cmp_lt_i32 s1, 6
	s_cbranch_scc1 .LBB315_3043
; %bb.3039:
	s_cmp_gt_i32 s1, 6
	s_cbranch_scc0 .LBB315_3044
; %bb.3040:
	s_wait_loadcnt 0x0
	global_load_b64 v[4:5], v[0:1], off
	s_mov_b32 s6, exec_lo
	s_wait_loadcnt 0x0
	v_cvt_f32_f64_e32 v3, v[4:5]
	v_mov_b32_e32 v4, 0xff
	s_delay_alu instid0(VALU_DEP_2) | instskip(SKIP_1) | instid1(VALU_DEP_1)
	v_bfe_u32 v5, v3, 23, 8
	s_wait_xcnt 0x0
	v_cmpx_ne_u32_e32 0xff, v5
	s_cbranch_execz .LBB315_3042
; %bb.3041:
	v_and_b32_e32 v4, 0x400000, v3
	v_and_or_b32 v5, 0x3fffff, v3, v5
	v_lshrrev_b32_e32 v3, 23, v3
	s_delay_alu instid0(VALU_DEP_3) | instskip(NEXT) | instid1(VALU_DEP_3)
	v_cmp_ne_u32_e32 vcc_lo, 0, v4
	v_cmp_ne_u32_e64 s0, 0, v5
	s_and_b32 s0, vcc_lo, s0
	s_delay_alu instid0(SALU_CYCLE_1) | instskip(NEXT) | instid1(VALU_DEP_1)
	v_cndmask_b32_e64 v4, 0, 1, s0
	v_add_nc_u32_e32 v4, v3, v4
.LBB315_3042:
	s_or_b32 exec_lo, exec_lo, s6
	s_mov_b32 s0, 0
	s_branch .LBB315_3045
.LBB315_3043:
	s_mov_b32 s0, -1
                                        ; implicit-def: $vgpr4
	s_branch .LBB315_3050
.LBB315_3044:
	s_mov_b32 s0, -1
                                        ; implicit-def: $vgpr4
.LBB315_3045:
	s_delay_alu instid0(SALU_CYCLE_1)
	s_and_not1_b32 vcc_lo, exec_lo, s0
	s_cbranch_vccnz .LBB315_3049
; %bb.3046:
	global_load_b32 v3, v[0:1], off
	s_wait_loadcnt 0x1
	s_wait_xcnt 0x1
	v_mov_b32_e32 v4, 0xff
	s_mov_b32 s6, exec_lo
	s_wait_loadcnt 0x0
	v_bfe_u32 v5, v3, 23, 8
	s_wait_xcnt 0x0
	s_delay_alu instid0(VALU_DEP_1)
	v_cmpx_ne_u32_e32 0xff, v5
	s_cbranch_execz .LBB315_3048
; %bb.3047:
	v_and_b32_e32 v4, 0x400000, v3
	v_and_or_b32 v5, 0x3fffff, v3, v5
	v_lshrrev_b32_e32 v3, 23, v3
	s_delay_alu instid0(VALU_DEP_3) | instskip(NEXT) | instid1(VALU_DEP_3)
	v_cmp_ne_u32_e32 vcc_lo, 0, v4
	v_cmp_ne_u32_e64 s0, 0, v5
	s_and_b32 s0, vcc_lo, s0
	s_delay_alu instid0(SALU_CYCLE_1) | instskip(NEXT) | instid1(VALU_DEP_1)
	v_cndmask_b32_e64 v4, 0, 1, s0
	v_add_nc_u32_e32 v4, v3, v4
.LBB315_3048:
	s_or_b32 exec_lo, exec_lo, s6
.LBB315_3049:
	s_mov_b32 s0, 0
.LBB315_3050:
	s_delay_alu instid0(SALU_CYCLE_1)
	s_and_not1_b32 vcc_lo, exec_lo, s0
	s_cbranch_vccnz .LBB315_3054
; %bb.3051:
	global_load_u16 v3, v[0:1], off
	s_wait_loadcnt 0x1
	s_wait_xcnt 0x1
	v_mov_b32_e32 v4, 0xff
	s_mov_b32 s6, exec_lo
	s_wait_loadcnt 0x0
	v_cvt_f32_f16_e32 v3, v3
	s_delay_alu instid0(VALU_DEP_1) | instskip(SKIP_1) | instid1(VALU_DEP_1)
	v_bfe_u32 v5, v3, 23, 8
	s_wait_xcnt 0x0
	v_cmpx_ne_u32_e32 0xff, v5
	s_cbranch_execz .LBB315_3053
; %bb.3052:
	v_and_b32_e32 v4, 0x400000, v3
	v_and_or_b32 v5, 0x3fffff, v3, v5
	v_lshrrev_b32_e32 v3, 23, v3
	s_delay_alu instid0(VALU_DEP_3) | instskip(NEXT) | instid1(VALU_DEP_3)
	v_cmp_ne_u32_e32 vcc_lo, 0, v4
	v_cmp_ne_u32_e64 s0, 0, v5
	s_and_b32 s0, vcc_lo, s0
	s_delay_alu instid0(SALU_CYCLE_1) | instskip(NEXT) | instid1(VALU_DEP_1)
	v_cndmask_b32_e64 v4, 0, 1, s0
	v_add_nc_u32_e32 v4, v3, v4
.LBB315_3053:
	s_or_b32 exec_lo, exec_lo, s6
.LBB315_3054:
	s_mov_b32 s0, 0
.LBB315_3055:
	s_delay_alu instid0(SALU_CYCLE_1)
	s_and_not1_b32 vcc_lo, exec_lo, s0
	s_cbranch_vccnz .LBB315_3085
; %bb.3056:
	s_cmp_lt_i32 s1, 2
	s_cbranch_scc1 .LBB315_3062
; %bb.3057:
	s_cmp_lt_i32 s1, 3
	s_cbranch_scc1 .LBB315_3063
; %bb.3058:
	s_cmp_gt_i32 s1, 3
	s_cbranch_scc0 .LBB315_3064
; %bb.3059:
	s_wait_loadcnt 0x0
	global_load_b64 v[4:5], v[0:1], off
	s_mov_b32 s6, exec_lo
	s_wait_loadcnt 0x0
	v_xor_b32_e32 v3, v4, v5
	v_cls_i32_e32 v13, v5
	s_delay_alu instid0(VALU_DEP_2) | instskip(NEXT) | instid1(VALU_DEP_1)
	v_ashrrev_i32_e32 v3, 31, v3
	v_add_nc_u32_e32 v3, 32, v3
	s_delay_alu instid0(VALU_DEP_1) | instskip(NEXT) | instid1(VALU_DEP_1)
	v_add_min_u32_e64 v3, v13, -1, v3
	v_lshlrev_b64_e32 v[4:5], v3, v[4:5]
	v_sub_nc_u32_e32 v3, 32, v3
	s_delay_alu instid0(VALU_DEP_2) | instskip(NEXT) | instid1(VALU_DEP_1)
	v_min_u32_e32 v4, 1, v4
	v_or_b32_e32 v4, v5, v4
	s_delay_alu instid0(VALU_DEP_1) | instskip(NEXT) | instid1(VALU_DEP_1)
	v_cvt_f32_i32_e32 v4, v4
	v_ldexp_f32 v3, v4, v3
	v_mov_b32_e32 v4, 0xff
	s_delay_alu instid0(VALU_DEP_2) | instskip(SKIP_1) | instid1(VALU_DEP_1)
	v_bfe_u32 v5, v3, 23, 8
	s_wait_xcnt 0x0
	v_cmpx_ne_u32_e32 0xff, v5
	s_cbranch_execz .LBB315_3061
; %bb.3060:
	v_and_b32_e32 v4, 0x400000, v3
	v_and_or_b32 v5, 0x3fffff, v3, v5
	v_lshrrev_b32_e32 v3, 23, v3
	s_delay_alu instid0(VALU_DEP_3) | instskip(NEXT) | instid1(VALU_DEP_3)
	v_cmp_ne_u32_e32 vcc_lo, 0, v4
	v_cmp_ne_u32_e64 s0, 0, v5
	s_and_b32 s0, vcc_lo, s0
	s_delay_alu instid0(SALU_CYCLE_1) | instskip(NEXT) | instid1(VALU_DEP_1)
	v_cndmask_b32_e64 v4, 0, 1, s0
	v_add_nc_u32_e32 v4, v3, v4
.LBB315_3061:
	s_or_b32 exec_lo, exec_lo, s6
	s_mov_b32 s0, 0
	s_branch .LBB315_3065
.LBB315_3062:
	s_mov_b32 s0, -1
                                        ; implicit-def: $vgpr4
	s_branch .LBB315_3075
.LBB315_3063:
	s_mov_b32 s0, -1
                                        ; implicit-def: $vgpr4
	s_branch .LBB315_3070
.LBB315_3064:
	s_mov_b32 s0, -1
                                        ; implicit-def: $vgpr4
.LBB315_3065:
	s_delay_alu instid0(SALU_CYCLE_1)
	s_and_not1_b32 vcc_lo, exec_lo, s0
	s_cbranch_vccnz .LBB315_3069
; %bb.3066:
	global_load_b32 v3, v[0:1], off
	s_wait_loadcnt 0x1
	s_wait_xcnt 0x1
	v_mov_b32_e32 v4, 0xff
	s_mov_b32 s6, exec_lo
	s_wait_loadcnt 0x0
	v_cvt_f32_i32_e32 v3, v3
	s_delay_alu instid0(VALU_DEP_1) | instskip(SKIP_1) | instid1(VALU_DEP_1)
	v_bfe_u32 v5, v3, 23, 8
	s_wait_xcnt 0x0
	v_cmpx_ne_u32_e32 0xff, v5
	s_cbranch_execz .LBB315_3068
; %bb.3067:
	v_and_b32_e32 v4, 0x400000, v3
	v_and_or_b32 v5, 0x3fffff, v3, v5
	v_lshrrev_b32_e32 v3, 23, v3
	s_delay_alu instid0(VALU_DEP_3) | instskip(NEXT) | instid1(VALU_DEP_3)
	v_cmp_ne_u32_e32 vcc_lo, 0, v4
	v_cmp_ne_u32_e64 s0, 0, v5
	s_and_b32 s0, vcc_lo, s0
	s_delay_alu instid0(SALU_CYCLE_1) | instskip(NEXT) | instid1(VALU_DEP_1)
	v_cndmask_b32_e64 v4, 0, 1, s0
	v_add_nc_u32_e32 v4, v3, v4
.LBB315_3068:
	s_or_b32 exec_lo, exec_lo, s6
.LBB315_3069:
	s_mov_b32 s0, 0
.LBB315_3070:
	s_delay_alu instid0(SALU_CYCLE_1)
	s_and_not1_b32 vcc_lo, exec_lo, s0
	s_cbranch_vccnz .LBB315_3074
; %bb.3071:
	global_load_i16 v3, v[0:1], off
	s_wait_loadcnt 0x1
	s_wait_xcnt 0x1
	v_mov_b32_e32 v4, 0xff
	s_mov_b32 s6, exec_lo
	s_wait_loadcnt 0x0
	v_cvt_f32_i32_e32 v3, v3
	s_delay_alu instid0(VALU_DEP_1) | instskip(SKIP_1) | instid1(VALU_DEP_1)
	v_bfe_u32 v5, v3, 23, 8
	s_wait_xcnt 0x0
	v_cmpx_ne_u32_e32 0xff, v5
	s_cbranch_execz .LBB315_3073
; %bb.3072:
	v_and_b32_e32 v4, 0x400000, v3
	v_and_or_b32 v5, 0x3fffff, v3, v5
	v_lshrrev_b32_e32 v3, 23, v3
	s_delay_alu instid0(VALU_DEP_3) | instskip(NEXT) | instid1(VALU_DEP_3)
	v_cmp_ne_u32_e32 vcc_lo, 0, v4
	v_cmp_ne_u32_e64 s0, 0, v5
	s_and_b32 s0, vcc_lo, s0
	s_delay_alu instid0(SALU_CYCLE_1) | instskip(NEXT) | instid1(VALU_DEP_1)
	v_cndmask_b32_e64 v4, 0, 1, s0
	v_add_nc_u32_e32 v4, v3, v4
.LBB315_3073:
	s_or_b32 exec_lo, exec_lo, s6
.LBB315_3074:
	s_mov_b32 s0, 0
.LBB315_3075:
	s_delay_alu instid0(SALU_CYCLE_1)
	s_and_not1_b32 vcc_lo, exec_lo, s0
	s_cbranch_vccnz .LBB315_3085
; %bb.3076:
	s_cmp_gt_i32 s1, 0
	s_cbranch_scc0 .LBB315_3080
; %bb.3077:
	global_load_i8 v3, v[0:1], off
	s_wait_loadcnt 0x1
	s_wait_xcnt 0x1
	v_mov_b32_e32 v4, 0xff
	s_mov_b32 s1, exec_lo
	s_wait_loadcnt 0x0
	v_cvt_f32_i32_e32 v3, v3
	s_delay_alu instid0(VALU_DEP_1) | instskip(SKIP_1) | instid1(VALU_DEP_1)
	v_bfe_u32 v5, v3, 23, 8
	s_wait_xcnt 0x0
	v_cmpx_ne_u32_e32 0xff, v5
	s_cbranch_execz .LBB315_3079
; %bb.3078:
	v_and_b32_e32 v4, 0x400000, v3
	v_and_or_b32 v5, 0x3fffff, v3, v5
	v_lshrrev_b32_e32 v3, 23, v3
	s_delay_alu instid0(VALU_DEP_3) | instskip(NEXT) | instid1(VALU_DEP_3)
	v_cmp_ne_u32_e32 vcc_lo, 0, v4
	v_cmp_ne_u32_e64 s0, 0, v5
	s_and_b32 s0, vcc_lo, s0
	s_delay_alu instid0(SALU_CYCLE_1) | instskip(NEXT) | instid1(VALU_DEP_1)
	v_cndmask_b32_e64 v4, 0, 1, s0
	v_add_nc_u32_e32 v4, v3, v4
.LBB315_3079:
	s_or_b32 exec_lo, exec_lo, s1
	s_mov_b32 s0, 0
	s_branch .LBB315_3081
.LBB315_3080:
	s_mov_b32 s0, -1
                                        ; implicit-def: $vgpr4
.LBB315_3081:
	s_delay_alu instid0(SALU_CYCLE_1)
	s_and_not1_b32 vcc_lo, exec_lo, s0
	s_cbranch_vccnz .LBB315_3085
; %bb.3082:
	global_load_u8 v0, v[0:1], off
	s_wait_loadcnt 0x1
	v_mov_b32_e32 v4, 0xff
	s_mov_b32 s1, exec_lo
	s_wait_loadcnt 0x0
	v_cvt_f32_ubyte0_e32 v1, v0
	s_delay_alu instid0(VALU_DEP_1) | instskip(NEXT) | instid1(VALU_DEP_1)
	v_lshrrev_b32_e32 v0, 23, v1
	v_cmpx_ne_u32_e32 0xff, v0
; %bb.3083:
	v_and_b32_e32 v3, 0x400000, v1
	v_and_or_b32 v1, 0x3fffff, v1, v0
	s_delay_alu instid0(VALU_DEP_2) | instskip(NEXT) | instid1(VALU_DEP_2)
	v_cmp_ne_u32_e32 vcc_lo, 0, v3
	v_cmp_ne_u32_e64 s0, 0, v1
	s_and_b32 s0, vcc_lo, s0
	s_delay_alu instid0(SALU_CYCLE_1) | instskip(NEXT) | instid1(VALU_DEP_1)
	v_cndmask_b32_e64 v1, 0, 1, s0
	v_add_nc_u32_e32 v4, v0, v1
; %bb.3084:
	s_or_b32 exec_lo, exec_lo, s1
.LBB315_3085:
	s_mov_b32 s0, -1
.LBB315_3086:
	s_delay_alu instid0(SALU_CYCLE_1)
	s_and_not1_b32 vcc_lo, exec_lo, s0
	s_cbranch_vccnz .LBB315_3690
; %bb.3087:
	s_wait_xcnt 0x0
	v_add_nc_u32_e32 v0, s10, v2
	s_cmp_lt_i32 s2, 11
	s_delay_alu instid0(VALU_DEP_1) | instskip(NEXT) | instid1(VALU_DEP_1)
	v_ashrrev_i32_e32 v1, 31, v0
	v_add_nc_u64_e32 v[0:1], s[12:13], v[0:1]
	s_cbranch_scc1 .LBB315_3096
; %bb.3088:
	s_and_b32 s1, 0xffff, s2
	s_mov_b32 s7, 0
	s_cmp_gt_i32 s1, 25
	s_cbranch_scc0 .LBB315_3097
; %bb.3089:
	s_cmp_gt_i32 s1, 28
	s_cbranch_scc0 .LBB315_3098
; %bb.3090:
	;; [unrolled: 3-line block ×4, first 2 shown]
	s_cmp_eq_u32 s1, 46
	s_mov_b32 s9, 0
	s_cbranch_scc0 .LBB315_3102
; %bb.3093:
	global_load_b32 v2, v[0:1], off
	v_mov_b32_e32 v5, 0xff
	s_mov_b32 s6, exec_lo
	s_wait_loadcnt 0x0
	v_lshlrev_b32_e32 v3, 16, v2
	s_delay_alu instid0(VALU_DEP_1) | instskip(SKIP_1) | instid1(VALU_DEP_1)
	v_bfe_u32 v13, v3, 23, 8
	s_wait_xcnt 0x0
	v_cmpx_ne_u32_e32 0xff, v13
	s_cbranch_execz .LBB315_3095
; %bb.3094:
	v_and_b32_e32 v5, 64, v2
	v_and_or_b32 v3, 0x3f0000, v3, v13
	v_bfe_u32 v2, v2, 7, 9
	s_delay_alu instid0(VALU_DEP_3) | instskip(NEXT) | instid1(VALU_DEP_3)
	v_cmp_ne_u32_e32 vcc_lo, 0, v5
	v_cmp_ne_u32_e64 s0, 0, v3
	s_and_b32 s0, vcc_lo, s0
	s_delay_alu instid0(SALU_CYCLE_1) | instskip(NEXT) | instid1(VALU_DEP_1)
	v_cndmask_b32_e64 v3, 0, 1, s0
	v_add_nc_u32_e32 v5, v2, v3
.LBB315_3095:
	s_or_b32 exec_lo, exec_lo, s6
	s_mov_b32 s6, 0
	s_mov_b32 s0, -1
	s_branch .LBB315_3104
.LBB315_3096:
	s_mov_b32 s1, -1
	s_mov_b32 s0, 0
                                        ; implicit-def: $vgpr5
	s_branch .LBB315_3188
.LBB315_3097:
	s_mov_b32 s9, -1
	s_mov_b32 s0, 0
	s_mov_b32 s6, 0
                                        ; implicit-def: $vgpr5
	s_branch .LBB315_3143
.LBB315_3098:
	s_mov_b32 s9, -1
	s_mov_b32 s0, 0
	s_mov_b32 s6, 0
                                        ; implicit-def: $vgpr5
	s_branch .LBB315_3116
.LBB315_3099:
	s_mov_b32 s9, -1
	s_mov_b32 s0, 0
	s_mov_b32 s6, 0
                                        ; implicit-def: $vgpr5
	s_branch .LBB315_3109
.LBB315_3100:
	s_or_b32 s15, s15, exec_lo
	s_trap 2
	s_cbranch_execz .LBB315_3011
	s_branch .LBB315_3014
.LBB315_3101:
	s_mov_b32 s9, -1
	s_mov_b32 s0, 0
	s_mov_b32 s6, 0
	s_branch .LBB315_3103
.LBB315_3102:
	s_mov_b32 s6, -1
	s_mov_b32 s0, 0
.LBB315_3103:
                                        ; implicit-def: $vgpr5
.LBB315_3104:
	s_and_b32 vcc_lo, exec_lo, s9
	s_cbranch_vccz .LBB315_3108
; %bb.3105:
	s_cmp_eq_u32 s1, 44
	s_cbranch_scc0 .LBB315_3107
; %bb.3106:
	global_load_u8 v5, v[0:1], off
	s_mov_b32 s6, 0
	s_mov_b32 s0, -1
	s_branch .LBB315_3108
.LBB315_3107:
	s_mov_b32 s6, -1
                                        ; implicit-def: $vgpr5
.LBB315_3108:
	s_mov_b32 s9, 0
.LBB315_3109:
	s_delay_alu instid0(SALU_CYCLE_1)
	s_and_b32 vcc_lo, exec_lo, s9
	s_cbranch_vccz .LBB315_3115
; %bb.3110:
	s_cmp_eq_u32 s1, 29
	s_cbranch_scc0 .LBB315_3114
; %bb.3111:
	global_load_b64 v[2:3], v[0:1], off
	s_mov_b32 s6, exec_lo
	s_wait_loadcnt 0x0
	v_clz_i32_u32_e32 v5, v3
	s_delay_alu instid0(VALU_DEP_1) | instskip(NEXT) | instid1(VALU_DEP_1)
	v_min_u32_e32 v5, 32, v5
	v_lshlrev_b64_e32 v[2:3], v5, v[2:3]
	s_delay_alu instid0(VALU_DEP_1) | instskip(NEXT) | instid1(VALU_DEP_1)
	v_min_u32_e32 v2, 1, v2
	v_dual_sub_nc_u32 v3, 32, v5 :: v_dual_bitop2_b32 v2, v3, v2 bitop3:0x54
	v_mov_b32_e32 v5, 0xff
	s_delay_alu instid0(VALU_DEP_2) | instskip(NEXT) | instid1(VALU_DEP_1)
	v_cvt_f32_u32_e32 v2, v2
	v_ldexp_f32 v3, v2, v3
	s_delay_alu instid0(VALU_DEP_1) | instskip(SKIP_1) | instid1(VALU_DEP_1)
	v_lshrrev_b32_e32 v2, 23, v3
	s_wait_xcnt 0x0
	v_cmpx_ne_u32_e32 0xff, v2
; %bb.3112:
	v_and_b32_e32 v5, 0x400000, v3
	v_and_or_b32 v3, 0x3fffff, v3, v2
	s_delay_alu instid0(VALU_DEP_2) | instskip(NEXT) | instid1(VALU_DEP_2)
	v_cmp_ne_u32_e32 vcc_lo, 0, v5
	v_cmp_ne_u32_e64 s0, 0, v3
	s_and_b32 s0, vcc_lo, s0
	s_delay_alu instid0(SALU_CYCLE_1) | instskip(NEXT) | instid1(VALU_DEP_1)
	v_cndmask_b32_e64 v3, 0, 1, s0
	v_add_nc_u32_e32 v5, v2, v3
; %bb.3113:
	s_or_b32 exec_lo, exec_lo, s6
	s_mov_b32 s6, 0
	s_mov_b32 s0, -1
	s_branch .LBB315_3115
.LBB315_3114:
	s_mov_b32 s6, -1
                                        ; implicit-def: $vgpr5
.LBB315_3115:
	s_mov_b32 s9, 0
.LBB315_3116:
	s_delay_alu instid0(SALU_CYCLE_1)
	s_and_b32 vcc_lo, exec_lo, s9
	s_cbranch_vccz .LBB315_3142
; %bb.3117:
	s_cmp_lt_i32 s1, 27
	s_cbranch_scc1 .LBB315_3122
; %bb.3118:
	s_cmp_gt_i32 s1, 27
	s_cbranch_scc0 .LBB315_3123
; %bb.3119:
	global_load_b32 v2, v[0:1], off
	s_mov_b32 s9, exec_lo
	s_wait_loadcnt 0x1
	v_mov_b32_e32 v5, 0xff
	s_wait_loadcnt 0x0
	v_cvt_f32_u32_e32 v3, v2
	s_delay_alu instid0(VALU_DEP_1) | instskip(SKIP_1) | instid1(VALU_DEP_1)
	v_lshrrev_b32_e32 v2, 23, v3
	s_wait_xcnt 0x0
	v_cmpx_ne_u32_e32 0xff, v2
; %bb.3120:
	v_and_b32_e32 v5, 0x400000, v3
	v_and_or_b32 v3, 0x3fffff, v3, v2
	s_delay_alu instid0(VALU_DEP_2) | instskip(NEXT) | instid1(VALU_DEP_2)
	v_cmp_ne_u32_e32 vcc_lo, 0, v5
	v_cmp_ne_u32_e64 s0, 0, v3
	s_and_b32 s0, vcc_lo, s0
	s_delay_alu instid0(SALU_CYCLE_1) | instskip(NEXT) | instid1(VALU_DEP_1)
	v_cndmask_b32_e64 v3, 0, 1, s0
	v_add_nc_u32_e32 v5, v2, v3
; %bb.3121:
	s_or_b32 exec_lo, exec_lo, s9
	s_mov_b32 s0, 0
	s_branch .LBB315_3124
.LBB315_3122:
	s_mov_b32 s0, -1
                                        ; implicit-def: $vgpr5
	s_branch .LBB315_3129
.LBB315_3123:
	s_mov_b32 s0, -1
                                        ; implicit-def: $vgpr5
.LBB315_3124:
	s_delay_alu instid0(SALU_CYCLE_1)
	s_and_not1_b32 vcc_lo, exec_lo, s0
	s_cbranch_vccnz .LBB315_3128
; %bb.3125:
	global_load_u16 v2, v[0:1], off
	s_mov_b32 s9, exec_lo
	s_wait_loadcnt 0x1
	v_mov_b32_e32 v5, 0xff
	s_wait_loadcnt 0x0
	v_cvt_f32_u32_e32 v3, v2
	s_delay_alu instid0(VALU_DEP_1) | instskip(SKIP_1) | instid1(VALU_DEP_1)
	v_lshrrev_b32_e32 v2, 23, v3
	s_wait_xcnt 0x0
	v_cmpx_ne_u32_e32 0xff, v2
; %bb.3126:
	v_and_b32_e32 v5, 0x400000, v3
	v_and_or_b32 v3, 0x3fffff, v3, v2
	s_delay_alu instid0(VALU_DEP_2) | instskip(NEXT) | instid1(VALU_DEP_2)
	v_cmp_ne_u32_e32 vcc_lo, 0, v5
	v_cmp_ne_u32_e64 s0, 0, v3
	s_and_b32 s0, vcc_lo, s0
	s_delay_alu instid0(SALU_CYCLE_1) | instskip(NEXT) | instid1(VALU_DEP_1)
	v_cndmask_b32_e64 v3, 0, 1, s0
	v_add_nc_u32_e32 v5, v2, v3
; %bb.3127:
	s_or_b32 exec_lo, exec_lo, s9
.LBB315_3128:
	s_mov_b32 s0, 0
.LBB315_3129:
	s_delay_alu instid0(SALU_CYCLE_1)
	s_and_not1_b32 vcc_lo, exec_lo, s0
	s_cbranch_vccnz .LBB315_3141
; %bb.3130:
	global_load_u8 v2, v[0:1], off
	s_mov_b32 s0, 0
	s_mov_b32 s9, exec_lo
	s_wait_loadcnt 0x0
	v_cmpx_lt_i16_e32 0x7f, v2
	s_xor_b32 s9, exec_lo, s9
	s_cbranch_execz .LBB315_3134
; %bb.3131:
	s_mov_b32 s0, -1
	s_mov_b32 s10, exec_lo
	v_cmpx_eq_u16_e32 0x80, v2
; %bb.3132:
	s_xor_b32 s0, exec_lo, -1
; %bb.3133:
	s_or_b32 exec_lo, exec_lo, s10
	s_delay_alu instid0(SALU_CYCLE_1)
	s_and_b32 s0, s0, exec_lo
.LBB315_3134:
	s_or_saveexec_b32 s9, s9
	v_mov_b32_e32 v3, 0x7f800001
	v_and_b32_e32 v5, 0xffff, v2
	s_xor_b32 exec_lo, exec_lo, s9
; %bb.3135:
	v_cmp_ne_u16_e32 vcc_lo, 0, v2
	s_delay_alu instid0(VALU_DEP_2) | instskip(SKIP_2) | instid1(SALU_CYCLE_1)
	v_mov_b32_e32 v3, v5
	s_and_not1_b32 s0, s0, exec_lo
	s_and_b32 s10, vcc_lo, exec_lo
	s_or_b32 s0, s0, s10
; %bb.3136:
	s_or_b32 exec_lo, exec_lo, s9
	s_and_saveexec_b32 s9, s0
	s_cbranch_execz .LBB315_3138
; %bb.3137:
	v_and_b32_e32 v2, 7, v5
	s_delay_alu instid0(VALU_DEP_1) | instskip(NEXT) | instid1(VALU_DEP_1)
	v_clz_i32_u32_e32 v3, v2
	v_min_u32_e32 v3, 32, v3
	s_delay_alu instid0(VALU_DEP_1) | instskip(NEXT) | instid1(VALU_DEP_1)
	v_subrev_nc_u32_e32 v13, 28, v3
	v_lshlrev_b32_e32 v13, v13, v5
	v_bfe_u32 v5, v5, 3, 4
	s_delay_alu instid0(VALU_DEP_2) | instskip(NEXT) | instid1(VALU_DEP_2)
	v_dual_sub_nc_u32 v3, 29, v3 :: v_dual_bitop2_b32 v13, 7, v13 bitop3:0x40
	v_cmp_eq_u32_e32 vcc_lo, 0, v5
	s_delay_alu instid0(VALU_DEP_2) | instskip(NEXT) | instid1(VALU_DEP_1)
	v_dual_cndmask_b32 v3, v5, v3 :: v_dual_cndmask_b32 v2, v2, v13
	v_lshlrev_b32_e32 v2, 20, v2
	s_delay_alu instid0(VALU_DEP_1) | instskip(NEXT) | instid1(VALU_DEP_1)
	v_lshl_or_b32 v2, v3, 23, v2
	v_add_nc_u32_e32 v3, 0x3b800000, v2
.LBB315_3138:
	s_or_b32 exec_lo, exec_lo, s9
	s_delay_alu instid0(VALU_DEP_1) | instskip(SKIP_1) | instid1(VALU_DEP_1)
	v_dual_mov_b32 v5, 0xff :: v_dual_lshrrev_b32 v2, 23, v3
	s_mov_b32 s9, exec_lo
	v_cmpx_ne_u32_e32 0xff, v2
; %bb.3139:
	v_and_b32_e32 v5, 0x400000, v3
	v_and_or_b32 v3, 0x3fffff, v3, v2
	s_delay_alu instid0(VALU_DEP_2) | instskip(NEXT) | instid1(VALU_DEP_2)
	v_cmp_ne_u32_e32 vcc_lo, 0, v5
	v_cmp_ne_u32_e64 s0, 0, v3
	s_and_b32 s0, vcc_lo, s0
	s_delay_alu instid0(SALU_CYCLE_1) | instskip(NEXT) | instid1(VALU_DEP_1)
	v_cndmask_b32_e64 v3, 0, 1, s0
	v_add_nc_u32_e32 v5, v2, v3
; %bb.3140:
	s_or_b32 exec_lo, exec_lo, s9
.LBB315_3141:
	s_mov_b32 s0, -1
.LBB315_3142:
	s_mov_b32 s9, 0
.LBB315_3143:
	s_delay_alu instid0(SALU_CYCLE_1)
	s_and_b32 vcc_lo, exec_lo, s9
	s_cbranch_vccz .LBB315_3182
; %bb.3144:
	s_cmp_gt_i32 s1, 22
	s_cbranch_scc0 .LBB315_3158
; %bb.3145:
	s_cmp_lt_i32 s1, 24
	s_cbranch_scc1 .LBB315_3159
; %bb.3146:
	s_cmp_gt_i32 s1, 24
	s_cbranch_scc0 .LBB315_3160
; %bb.3147:
	global_load_u8 v2, v[0:1], off
	s_mov_b32 s0, 0
	s_mov_b32 s7, exec_lo
	s_wait_loadcnt 0x0
	v_cmpx_lt_i16_e32 0x7f, v2
	s_xor_b32 s7, exec_lo, s7
	s_cbranch_execz .LBB315_3151
; %bb.3148:
	s_mov_b32 s0, -1
	s_mov_b32 s9, exec_lo
	v_cmpx_eq_u16_e32 0x80, v2
; %bb.3149:
	s_xor_b32 s0, exec_lo, -1
; %bb.3150:
	s_or_b32 exec_lo, exec_lo, s9
	s_delay_alu instid0(SALU_CYCLE_1)
	s_and_b32 s0, s0, exec_lo
.LBB315_3151:
	s_or_saveexec_b32 s7, s7
	v_mov_b32_e32 v3, 0x7f800001
	v_and_b32_e32 v5, 0xffff, v2
	s_xor_b32 exec_lo, exec_lo, s7
; %bb.3152:
	v_cmp_ne_u16_e32 vcc_lo, 0, v2
	s_delay_alu instid0(VALU_DEP_2) | instskip(SKIP_2) | instid1(SALU_CYCLE_1)
	v_mov_b32_e32 v3, v5
	s_and_not1_b32 s0, s0, exec_lo
	s_and_b32 s9, vcc_lo, exec_lo
	s_or_b32 s0, s0, s9
; %bb.3153:
	s_or_b32 exec_lo, exec_lo, s7
	s_and_saveexec_b32 s7, s0
	s_cbranch_execz .LBB315_3155
; %bb.3154:
	v_and_b32_e32 v2, 3, v5
	s_delay_alu instid0(VALU_DEP_1) | instskip(NEXT) | instid1(VALU_DEP_1)
	v_clz_i32_u32_e32 v3, v2
	v_min_u32_e32 v3, 32, v3
	s_delay_alu instid0(VALU_DEP_1) | instskip(NEXT) | instid1(VALU_DEP_1)
	v_subrev_nc_u32_e32 v13, 29, v3
	v_lshlrev_b32_e32 v13, v13, v5
	v_bfe_u32 v5, v5, 2, 5
	s_delay_alu instid0(VALU_DEP_2) | instskip(NEXT) | instid1(VALU_DEP_2)
	v_dual_sub_nc_u32 v3, 30, v3 :: v_dual_bitop2_b32 v13, 3, v13 bitop3:0x40
	v_cmp_eq_u32_e32 vcc_lo, 0, v5
	s_delay_alu instid0(VALU_DEP_2) | instskip(NEXT) | instid1(VALU_DEP_1)
	v_dual_cndmask_b32 v3, v5, v3 :: v_dual_cndmask_b32 v2, v2, v13
	v_lshlrev_b32_e32 v2, 21, v2
	s_delay_alu instid0(VALU_DEP_1) | instskip(NEXT) | instid1(VALU_DEP_1)
	v_lshl_or_b32 v2, v3, 23, v2
	v_add_nc_u32_e32 v3, 0x37800000, v2
.LBB315_3155:
	s_or_b32 exec_lo, exec_lo, s7
	s_delay_alu instid0(VALU_DEP_1) | instskip(SKIP_1) | instid1(VALU_DEP_1)
	v_dual_mov_b32 v5, 0xff :: v_dual_lshrrev_b32 v2, 23, v3
	s_mov_b32 s7, exec_lo
	v_cmpx_ne_u32_e32 0xff, v2
; %bb.3156:
	v_and_b32_e32 v5, 0x400000, v3
	v_and_or_b32 v3, 0x3fffff, v3, v2
	s_delay_alu instid0(VALU_DEP_2) | instskip(NEXT) | instid1(VALU_DEP_2)
	v_cmp_ne_u32_e32 vcc_lo, 0, v5
	v_cmp_ne_u32_e64 s0, 0, v3
	s_and_b32 s0, vcc_lo, s0
	s_delay_alu instid0(SALU_CYCLE_1) | instskip(NEXT) | instid1(VALU_DEP_1)
	v_cndmask_b32_e64 v3, 0, 1, s0
	v_add_nc_u32_e32 v5, v2, v3
; %bb.3157:
	s_or_b32 exec_lo, exec_lo, s7
	s_mov_b32 s0, 0
	s_branch .LBB315_3161
.LBB315_3158:
	s_mov_b32 s7, -1
                                        ; implicit-def: $vgpr5
	s_branch .LBB315_3171
.LBB315_3159:
	s_mov_b32 s0, -1
                                        ; implicit-def: $vgpr5
	s_branch .LBB315_3166
.LBB315_3160:
	s_mov_b32 s0, -1
                                        ; implicit-def: $vgpr5
.LBB315_3161:
	s_delay_alu instid0(SALU_CYCLE_1)
	s_and_b32 vcc_lo, exec_lo, s0
	s_cbranch_vccz .LBB315_3165
; %bb.3162:
	global_load_u8 v2, v[0:1], off
	s_mov_b32 s7, exec_lo
	s_wait_loadcnt 0x0
	v_lshlrev_b32_e32 v2, 24, v2
	s_delay_alu instid0(VALU_DEP_1) | instskip(NEXT) | instid1(VALU_DEP_1)
	v_and_b32_e32 v2, 0x7f000000, v2
	v_clz_i32_u32_e32 v3, v2
	v_cmp_ne_u32_e32 vcc_lo, 0, v2
	v_add_nc_u32_e32 v13, 0x1000000, v2
	s_delay_alu instid0(VALU_DEP_3) | instskip(NEXT) | instid1(VALU_DEP_1)
	v_min_u32_e32 v3, 32, v3
	v_sub_nc_u32_e64 v3, v3, 4 clamp
	s_delay_alu instid0(VALU_DEP_1) | instskip(NEXT) | instid1(VALU_DEP_1)
	v_dual_lshlrev_b32 v5, v3, v2 :: v_dual_lshlrev_b32 v3, 23, v3
	v_lshrrev_b32_e32 v5, 4, v5
	s_delay_alu instid0(VALU_DEP_1) | instskip(NEXT) | instid1(VALU_DEP_1)
	v_dual_sub_nc_u32 v3, v5, v3 :: v_dual_ashrrev_i32 v5, 8, v13
	v_add_nc_u32_e32 v3, 0x3c000000, v3
	s_delay_alu instid0(VALU_DEP_1) | instskip(SKIP_1) | instid1(VALU_DEP_2)
	v_and_or_b32 v3, 0x7f800000, v5, v3
	v_mov_b32_e32 v5, 0xff
	v_cndmask_b32_e32 v3, 0, v3, vcc_lo
	s_delay_alu instid0(VALU_DEP_1) | instskip(SKIP_1) | instid1(VALU_DEP_1)
	v_lshrrev_b32_e32 v2, 23, v3
	s_wait_xcnt 0x0
	v_cmpx_ne_u32_e32 0xff, v2
; %bb.3163:
	v_and_b32_e32 v5, 0x400000, v3
	v_and_or_b32 v3, 0x3fffff, v3, v2
	s_delay_alu instid0(VALU_DEP_2) | instskip(NEXT) | instid1(VALU_DEP_2)
	v_cmp_ne_u32_e32 vcc_lo, 0, v5
	v_cmp_ne_u32_e64 s0, 0, v3
	s_and_b32 s0, vcc_lo, s0
	s_delay_alu instid0(SALU_CYCLE_1) | instskip(NEXT) | instid1(VALU_DEP_1)
	v_cndmask_b32_e64 v3, 0, 1, s0
	v_add_nc_u32_e32 v5, v2, v3
; %bb.3164:
	s_or_b32 exec_lo, exec_lo, s7
.LBB315_3165:
	s_mov_b32 s0, 0
.LBB315_3166:
	s_delay_alu instid0(SALU_CYCLE_1)
	s_and_not1_b32 vcc_lo, exec_lo, s0
	s_cbranch_vccnz .LBB315_3170
; %bb.3167:
	global_load_u8 v2, v[0:1], off
	s_mov_b32 s7, exec_lo
	s_wait_loadcnt 0x0
	v_dual_lshlrev_b32 v3, 25, v2 :: v_dual_lshlrev_b32 v2, 8, v2
	s_delay_alu instid0(VALU_DEP_1) | instskip(NEXT) | instid1(VALU_DEP_2)
	v_cmp_gt_u32_e32 vcc_lo, 0x8000000, v3
	v_and_or_b32 v2, 0x7f00, v2, 0.5
	s_delay_alu instid0(VALU_DEP_1) | instskip(NEXT) | instid1(VALU_DEP_1)
	v_dual_add_f32 v2, -0.5, v2 :: v_dual_lshrrev_b32 v5, 4, v3
	v_or_b32_e32 v5, 0x70000000, v5
	s_delay_alu instid0(VALU_DEP_1) | instskip(NEXT) | instid1(VALU_DEP_1)
	v_mul_f32_e32 v5, 0x7800000, v5
	v_dual_cndmask_b32 v2, v5, v2 :: v_dual_mov_b32 v5, 0xff
	s_delay_alu instid0(VALU_DEP_1) | instskip(SKIP_1) | instid1(VALU_DEP_1)
	v_bfe_u32 v3, v2, 23, 8
	s_wait_xcnt 0x0
	v_cmpx_ne_u32_e32 0xff, v3
	s_cbranch_execz .LBB315_3169
; %bb.3168:
	v_and_b32_e32 v5, 0x400000, v2
	v_and_or_b32 v3, 0x3fffff, v2, v3
	v_lshrrev_b32_e32 v2, 23, v2
	s_delay_alu instid0(VALU_DEP_3) | instskip(NEXT) | instid1(VALU_DEP_3)
	v_cmp_ne_u32_e32 vcc_lo, 0, v5
	v_cmp_ne_u32_e64 s0, 0, v3
	s_and_b32 s0, vcc_lo, s0
	s_delay_alu instid0(SALU_CYCLE_1) | instskip(NEXT) | instid1(VALU_DEP_1)
	v_cndmask_b32_e64 v3, 0, 1, s0
	v_add_nc_u32_e32 v5, v2, v3
.LBB315_3169:
	s_or_b32 exec_lo, exec_lo, s7
.LBB315_3170:
	s_mov_b32 s7, 0
	s_mov_b32 s0, -1
.LBB315_3171:
	s_and_not1_b32 vcc_lo, exec_lo, s7
	s_mov_b32 s7, 0
	s_cbranch_vccnz .LBB315_3182
; %bb.3172:
	s_cmp_gt_i32 s1, 14
	s_cbranch_scc0 .LBB315_3177
; %bb.3173:
	s_cmp_eq_u32 s1, 15
	s_cbranch_scc0 .LBB315_3178
; %bb.3174:
	global_load_u16 v2, v[0:1], off
	s_wait_loadcnt 0x1
	v_mov_b32_e32 v5, 0xff
	s_mov_b32 s6, exec_lo
	s_wait_loadcnt 0x0
	v_bfe_u32 v3, v2, 7, 8
	s_wait_xcnt 0x0
	s_delay_alu instid0(VALU_DEP_1)
	v_cmpx_ne_u32_e32 0xff, v3
	s_cbranch_execz .LBB315_3176
; %bb.3175:
	v_dual_lshlrev_b32 v5, 16, v2 :: v_dual_bitop2_b32 v13, 64, v2 bitop3:0x40
	v_lshrrev_b32_e32 v2, 7, v2
	s_delay_alu instid0(VALU_DEP_2) | instskip(NEXT) | instid1(VALU_DEP_3)
	v_and_or_b32 v3, 0x3f0000, v5, v3
	v_cmp_ne_u32_e32 vcc_lo, 0, v13
	s_delay_alu instid0(VALU_DEP_2) | instskip(SKIP_1) | instid1(SALU_CYCLE_1)
	v_cmp_ne_u32_e64 s0, 0, v3
	s_and_b32 s0, vcc_lo, s0
	v_cndmask_b32_e64 v3, 0, 1, s0
	s_delay_alu instid0(VALU_DEP_1)
	v_add_nc_u32_e32 v5, v2, v3
.LBB315_3176:
	s_or_b32 exec_lo, exec_lo, s6
	s_mov_b32 s6, 0
	s_mov_b32 s0, -1
	s_branch .LBB315_3180
.LBB315_3177:
	s_mov_b32 s7, -1
	s_branch .LBB315_3179
.LBB315_3178:
	s_mov_b32 s6, -1
.LBB315_3179:
                                        ; implicit-def: $vgpr5
.LBB315_3180:
	s_and_b32 vcc_lo, exec_lo, s7
	s_mov_b32 s7, 0
	s_cbranch_vccz .LBB315_3182
; %bb.3181:
	s_cmp_lg_u32 s1, 11
	s_mov_b32 s7, -1
	s_cselect_b32 s6, -1, 0
.LBB315_3182:
	s_delay_alu instid0(SALU_CYCLE_1)
	s_and_b32 vcc_lo, exec_lo, s6
	s_cbranch_vccnz .LBB315_3732
; %bb.3183:
	s_and_not1_b32 vcc_lo, exec_lo, s7
	s_cbranch_vccnz .LBB315_3187
.LBB315_3184:
	global_load_u8 v2, v[0:1], off
	s_mov_b32 s1, exec_lo
	s_wait_loadcnt 0x1
	v_mov_b32_e32 v5, 0xff
	s_wait_loadcnt 0x0
	v_cmp_ne_u16_e32 vcc_lo, 0, v2
	v_cndmask_b32_e64 v3, 0, 1.0, vcc_lo
	s_delay_alu instid0(VALU_DEP_1) | instskip(SKIP_1) | instid1(VALU_DEP_1)
	v_lshrrev_b32_e32 v2, 23, v3
	s_wait_xcnt 0x0
	v_cmpx_ne_u32_e32 0xff, v2
; %bb.3185:
	v_and_b32_e32 v5, 0x400000, v3
	v_and_or_b32 v3, 0x3fffff, v3, v2
	s_delay_alu instid0(VALU_DEP_2) | instskip(NEXT) | instid1(VALU_DEP_2)
	v_cmp_ne_u32_e32 vcc_lo, 0, v5
	v_cmp_ne_u32_e64 s0, 0, v3
	s_and_b32 s0, vcc_lo, s0
	s_delay_alu instid0(SALU_CYCLE_1) | instskip(NEXT) | instid1(VALU_DEP_1)
	v_cndmask_b32_e64 v3, 0, 1, s0
	v_add_nc_u32_e32 v5, v2, v3
; %bb.3186:
	s_or_b32 exec_lo, exec_lo, s1
	s_mov_b32 s0, -1
.LBB315_3187:
	s_mov_b32 s1, 0
.LBB315_3188:
	s_delay_alu instid0(SALU_CYCLE_1)
	s_and_b32 vcc_lo, exec_lo, s1
	s_cbranch_vccz .LBB315_3259
; %bb.3189:
	s_and_b32 s1, 0xffff, s2
	s_delay_alu instid0(SALU_CYCLE_1)
	s_cmp_lt_i32 s1, 5
	s_cbranch_scc1 .LBB315_3196
; %bb.3190:
	s_cmp_lt_i32 s1, 8
	s_cbranch_scc1 .LBB315_3197
; %bb.3191:
	;; [unrolled: 3-line block ×3, first 2 shown]
	s_cmp_gt_i32 s1, 9
	s_cbranch_scc0 .LBB315_3199
; %bb.3193:
	global_load_b64 v[2:3], v[0:1], off
	s_wait_loadcnt 0x1
	v_mov_b32_e32 v5, 0xff
	s_mov_b32 s2, exec_lo
	s_wait_loadcnt 0x0
	v_cvt_f32_f64_e32 v2, v[2:3]
	s_delay_alu instid0(VALU_DEP_1) | instskip(SKIP_1) | instid1(VALU_DEP_1)
	v_bfe_u32 v3, v2, 23, 8
	s_wait_xcnt 0x0
	v_cmpx_ne_u32_e32 0xff, v3
	s_cbranch_execz .LBB315_3195
; %bb.3194:
	v_and_b32_e32 v5, 0x400000, v2
	v_and_or_b32 v3, 0x3fffff, v2, v3
	v_lshrrev_b32_e32 v2, 23, v2
	s_delay_alu instid0(VALU_DEP_3) | instskip(NEXT) | instid1(VALU_DEP_3)
	v_cmp_ne_u32_e32 vcc_lo, 0, v5
	v_cmp_ne_u32_e64 s0, 0, v3
	s_and_b32 s0, vcc_lo, s0
	s_delay_alu instid0(SALU_CYCLE_1) | instskip(NEXT) | instid1(VALU_DEP_1)
	v_cndmask_b32_e64 v3, 0, 1, s0
	v_add_nc_u32_e32 v5, v2, v3
.LBB315_3195:
	s_or_b32 exec_lo, exec_lo, s2
	s_mov_b32 s0, 0
	s_branch .LBB315_3200
.LBB315_3196:
	s_mov_b32 s0, -1
                                        ; implicit-def: $vgpr5
	s_branch .LBB315_3228
.LBB315_3197:
	s_mov_b32 s0, -1
                                        ; implicit-def: $vgpr5
	s_branch .LBB315_3210
.LBB315_3198:
	s_mov_b32 s0, -1
                                        ; implicit-def: $vgpr5
	s_branch .LBB315_3205
.LBB315_3199:
	s_mov_b32 s0, -1
                                        ; implicit-def: $vgpr5
.LBB315_3200:
	s_delay_alu instid0(SALU_CYCLE_1)
	s_and_not1_b32 vcc_lo, exec_lo, s0
	s_cbranch_vccnz .LBB315_3204
; %bb.3201:
	global_load_b32 v2, v[0:1], off
	s_wait_loadcnt 0x1
	v_mov_b32_e32 v5, 0xff
	s_mov_b32 s2, exec_lo
	s_wait_loadcnt 0x0
	v_bfe_u32 v3, v2, 23, 8
	s_wait_xcnt 0x0
	s_delay_alu instid0(VALU_DEP_1)
	v_cmpx_ne_u32_e32 0xff, v3
	s_cbranch_execz .LBB315_3203
; %bb.3202:
	v_and_b32_e32 v5, 0x400000, v2
	v_and_or_b32 v3, 0x3fffff, v2, v3
	v_lshrrev_b32_e32 v2, 23, v2
	s_delay_alu instid0(VALU_DEP_3) | instskip(NEXT) | instid1(VALU_DEP_3)
	v_cmp_ne_u32_e32 vcc_lo, 0, v5
	v_cmp_ne_u32_e64 s0, 0, v3
	s_and_b32 s0, vcc_lo, s0
	s_delay_alu instid0(SALU_CYCLE_1) | instskip(NEXT) | instid1(VALU_DEP_1)
	v_cndmask_b32_e64 v3, 0, 1, s0
	v_add_nc_u32_e32 v5, v2, v3
.LBB315_3203:
	s_or_b32 exec_lo, exec_lo, s2
.LBB315_3204:
	s_mov_b32 s0, 0
.LBB315_3205:
	s_delay_alu instid0(SALU_CYCLE_1)
	s_and_not1_b32 vcc_lo, exec_lo, s0
	s_cbranch_vccnz .LBB315_3209
; %bb.3206:
	global_load_b32 v2, v[0:1], off
	s_wait_loadcnt 0x1
	v_mov_b32_e32 v5, 0xff
	s_mov_b32 s2, exec_lo
	s_wait_loadcnt 0x0
	v_cvt_f32_f16_e32 v2, v2
	s_delay_alu instid0(VALU_DEP_1) | instskip(SKIP_1) | instid1(VALU_DEP_1)
	v_bfe_u32 v3, v2, 23, 8
	s_wait_xcnt 0x0
	v_cmpx_ne_u32_e32 0xff, v3
	s_cbranch_execz .LBB315_3208
; %bb.3207:
	v_and_b32_e32 v5, 0x400000, v2
	v_and_or_b32 v3, 0x3fffff, v2, v3
	v_lshrrev_b32_e32 v2, 23, v2
	s_delay_alu instid0(VALU_DEP_3) | instskip(NEXT) | instid1(VALU_DEP_3)
	v_cmp_ne_u32_e32 vcc_lo, 0, v5
	v_cmp_ne_u32_e64 s0, 0, v3
	s_and_b32 s0, vcc_lo, s0
	s_delay_alu instid0(SALU_CYCLE_1) | instskip(NEXT) | instid1(VALU_DEP_1)
	v_cndmask_b32_e64 v3, 0, 1, s0
	v_add_nc_u32_e32 v5, v2, v3
.LBB315_3208:
	s_or_b32 exec_lo, exec_lo, s2
.LBB315_3209:
	s_mov_b32 s0, 0
.LBB315_3210:
	s_delay_alu instid0(SALU_CYCLE_1)
	s_and_not1_b32 vcc_lo, exec_lo, s0
	s_cbranch_vccnz .LBB315_3227
; %bb.3211:
	s_cmp_lt_i32 s1, 6
	s_cbranch_scc1 .LBB315_3216
; %bb.3212:
	s_cmp_gt_i32 s1, 6
	s_cbranch_scc0 .LBB315_3217
; %bb.3213:
	global_load_b64 v[2:3], v[0:1], off
	s_wait_loadcnt 0x1
	v_mov_b32_e32 v5, 0xff
	s_mov_b32 s2, exec_lo
	s_wait_loadcnt 0x0
	v_cvt_f32_f64_e32 v2, v[2:3]
	s_delay_alu instid0(VALU_DEP_1) | instskip(SKIP_1) | instid1(VALU_DEP_1)
	v_bfe_u32 v3, v2, 23, 8
	s_wait_xcnt 0x0
	v_cmpx_ne_u32_e32 0xff, v3
	s_cbranch_execz .LBB315_3215
; %bb.3214:
	v_and_b32_e32 v5, 0x400000, v2
	v_and_or_b32 v3, 0x3fffff, v2, v3
	v_lshrrev_b32_e32 v2, 23, v2
	s_delay_alu instid0(VALU_DEP_3) | instskip(NEXT) | instid1(VALU_DEP_3)
	v_cmp_ne_u32_e32 vcc_lo, 0, v5
	v_cmp_ne_u32_e64 s0, 0, v3
	s_and_b32 s0, vcc_lo, s0
	s_delay_alu instid0(SALU_CYCLE_1) | instskip(NEXT) | instid1(VALU_DEP_1)
	v_cndmask_b32_e64 v3, 0, 1, s0
	v_add_nc_u32_e32 v5, v2, v3
.LBB315_3215:
	s_or_b32 exec_lo, exec_lo, s2
	s_mov_b32 s0, 0
	s_branch .LBB315_3218
.LBB315_3216:
	s_mov_b32 s0, -1
                                        ; implicit-def: $vgpr5
	s_branch .LBB315_3223
.LBB315_3217:
	s_mov_b32 s0, -1
                                        ; implicit-def: $vgpr5
.LBB315_3218:
	s_delay_alu instid0(SALU_CYCLE_1)
	s_and_not1_b32 vcc_lo, exec_lo, s0
	s_cbranch_vccnz .LBB315_3222
; %bb.3219:
	global_load_b32 v2, v[0:1], off
	s_wait_loadcnt 0x1
	v_mov_b32_e32 v5, 0xff
	s_mov_b32 s2, exec_lo
	s_wait_loadcnt 0x0
	v_bfe_u32 v3, v2, 23, 8
	s_wait_xcnt 0x0
	s_delay_alu instid0(VALU_DEP_1)
	v_cmpx_ne_u32_e32 0xff, v3
	s_cbranch_execz .LBB315_3221
; %bb.3220:
	v_and_b32_e32 v5, 0x400000, v2
	v_and_or_b32 v3, 0x3fffff, v2, v3
	v_lshrrev_b32_e32 v2, 23, v2
	s_delay_alu instid0(VALU_DEP_3) | instskip(NEXT) | instid1(VALU_DEP_3)
	v_cmp_ne_u32_e32 vcc_lo, 0, v5
	v_cmp_ne_u32_e64 s0, 0, v3
	s_and_b32 s0, vcc_lo, s0
	s_delay_alu instid0(SALU_CYCLE_1) | instskip(NEXT) | instid1(VALU_DEP_1)
	v_cndmask_b32_e64 v3, 0, 1, s0
	v_add_nc_u32_e32 v5, v2, v3
.LBB315_3221:
	s_or_b32 exec_lo, exec_lo, s2
.LBB315_3222:
	s_mov_b32 s0, 0
.LBB315_3223:
	s_delay_alu instid0(SALU_CYCLE_1)
	s_and_not1_b32 vcc_lo, exec_lo, s0
	s_cbranch_vccnz .LBB315_3227
; %bb.3224:
	global_load_u16 v2, v[0:1], off
	s_wait_loadcnt 0x1
	v_mov_b32_e32 v5, 0xff
	s_mov_b32 s2, exec_lo
	s_wait_loadcnt 0x0
	v_cvt_f32_f16_e32 v2, v2
	s_delay_alu instid0(VALU_DEP_1) | instskip(SKIP_1) | instid1(VALU_DEP_1)
	v_bfe_u32 v3, v2, 23, 8
	s_wait_xcnt 0x0
	v_cmpx_ne_u32_e32 0xff, v3
	s_cbranch_execz .LBB315_3226
; %bb.3225:
	v_and_b32_e32 v5, 0x400000, v2
	v_and_or_b32 v3, 0x3fffff, v2, v3
	v_lshrrev_b32_e32 v2, 23, v2
	s_delay_alu instid0(VALU_DEP_3) | instskip(NEXT) | instid1(VALU_DEP_3)
	v_cmp_ne_u32_e32 vcc_lo, 0, v5
	v_cmp_ne_u32_e64 s0, 0, v3
	s_and_b32 s0, vcc_lo, s0
	s_delay_alu instid0(SALU_CYCLE_1) | instskip(NEXT) | instid1(VALU_DEP_1)
	v_cndmask_b32_e64 v3, 0, 1, s0
	v_add_nc_u32_e32 v5, v2, v3
.LBB315_3226:
	s_or_b32 exec_lo, exec_lo, s2
.LBB315_3227:
	s_mov_b32 s0, 0
.LBB315_3228:
	s_delay_alu instid0(SALU_CYCLE_1)
	s_and_not1_b32 vcc_lo, exec_lo, s0
	s_cbranch_vccnz .LBB315_3258
; %bb.3229:
	s_cmp_lt_i32 s1, 2
	s_cbranch_scc1 .LBB315_3235
; %bb.3230:
	s_cmp_lt_i32 s1, 3
	s_cbranch_scc1 .LBB315_3236
; %bb.3231:
	s_cmp_gt_i32 s1, 3
	s_cbranch_scc0 .LBB315_3237
; %bb.3232:
	global_load_b64 v[2:3], v[0:1], off
	s_mov_b32 s2, exec_lo
	s_wait_loadcnt 0x0
	v_xor_b32_e32 v5, v2, v3
	v_cls_i32_e32 v13, v3
	s_delay_alu instid0(VALU_DEP_2) | instskip(NEXT) | instid1(VALU_DEP_1)
	v_ashrrev_i32_e32 v5, 31, v5
	v_add_nc_u32_e32 v5, 32, v5
	s_delay_alu instid0(VALU_DEP_1) | instskip(NEXT) | instid1(VALU_DEP_1)
	v_add_min_u32_e64 v5, v13, -1, v5
	v_lshlrev_b64_e32 v[2:3], v5, v[2:3]
	s_delay_alu instid0(VALU_DEP_1) | instskip(NEXT) | instid1(VALU_DEP_1)
	v_min_u32_e32 v2, 1, v2
	v_dual_sub_nc_u32 v3, 32, v5 :: v_dual_bitop2_b32 v2, v3, v2 bitop3:0x54
	v_mov_b32_e32 v5, 0xff
	s_delay_alu instid0(VALU_DEP_2) | instskip(NEXT) | instid1(VALU_DEP_1)
	v_cvt_f32_i32_e32 v2, v2
	v_ldexp_f32 v2, v2, v3
	s_delay_alu instid0(VALU_DEP_1) | instskip(SKIP_1) | instid1(VALU_DEP_1)
	v_bfe_u32 v3, v2, 23, 8
	s_wait_xcnt 0x0
	v_cmpx_ne_u32_e32 0xff, v3
	s_cbranch_execz .LBB315_3234
; %bb.3233:
	v_and_b32_e32 v5, 0x400000, v2
	v_and_or_b32 v3, 0x3fffff, v2, v3
	v_lshrrev_b32_e32 v2, 23, v2
	s_delay_alu instid0(VALU_DEP_3) | instskip(NEXT) | instid1(VALU_DEP_3)
	v_cmp_ne_u32_e32 vcc_lo, 0, v5
	v_cmp_ne_u32_e64 s0, 0, v3
	s_and_b32 s0, vcc_lo, s0
	s_delay_alu instid0(SALU_CYCLE_1) | instskip(NEXT) | instid1(VALU_DEP_1)
	v_cndmask_b32_e64 v3, 0, 1, s0
	v_add_nc_u32_e32 v5, v2, v3
.LBB315_3234:
	s_or_b32 exec_lo, exec_lo, s2
	s_mov_b32 s0, 0
	s_branch .LBB315_3238
.LBB315_3235:
	s_mov_b32 s0, -1
                                        ; implicit-def: $vgpr5
	s_branch .LBB315_3248
.LBB315_3236:
	s_mov_b32 s0, -1
                                        ; implicit-def: $vgpr5
	s_branch .LBB315_3243
.LBB315_3237:
	s_mov_b32 s0, -1
                                        ; implicit-def: $vgpr5
.LBB315_3238:
	s_delay_alu instid0(SALU_CYCLE_1)
	s_and_not1_b32 vcc_lo, exec_lo, s0
	s_cbranch_vccnz .LBB315_3242
; %bb.3239:
	global_load_b32 v2, v[0:1], off
	s_wait_loadcnt 0x1
	v_mov_b32_e32 v5, 0xff
	s_mov_b32 s2, exec_lo
	s_wait_loadcnt 0x0
	v_cvt_f32_i32_e32 v2, v2
	s_delay_alu instid0(VALU_DEP_1) | instskip(SKIP_1) | instid1(VALU_DEP_1)
	v_bfe_u32 v3, v2, 23, 8
	s_wait_xcnt 0x0
	v_cmpx_ne_u32_e32 0xff, v3
	s_cbranch_execz .LBB315_3241
; %bb.3240:
	v_and_b32_e32 v5, 0x400000, v2
	v_and_or_b32 v3, 0x3fffff, v2, v3
	v_lshrrev_b32_e32 v2, 23, v2
	s_delay_alu instid0(VALU_DEP_3) | instskip(NEXT) | instid1(VALU_DEP_3)
	v_cmp_ne_u32_e32 vcc_lo, 0, v5
	v_cmp_ne_u32_e64 s0, 0, v3
	s_and_b32 s0, vcc_lo, s0
	s_delay_alu instid0(SALU_CYCLE_1) | instskip(NEXT) | instid1(VALU_DEP_1)
	v_cndmask_b32_e64 v3, 0, 1, s0
	v_add_nc_u32_e32 v5, v2, v3
.LBB315_3241:
	s_or_b32 exec_lo, exec_lo, s2
.LBB315_3242:
	s_mov_b32 s0, 0
.LBB315_3243:
	s_delay_alu instid0(SALU_CYCLE_1)
	s_and_not1_b32 vcc_lo, exec_lo, s0
	s_cbranch_vccnz .LBB315_3247
; %bb.3244:
	global_load_i16 v2, v[0:1], off
	s_wait_loadcnt 0x1
	v_mov_b32_e32 v5, 0xff
	s_mov_b32 s2, exec_lo
	s_wait_loadcnt 0x0
	v_cvt_f32_i32_e32 v2, v2
	s_delay_alu instid0(VALU_DEP_1) | instskip(SKIP_1) | instid1(VALU_DEP_1)
	v_bfe_u32 v3, v2, 23, 8
	s_wait_xcnt 0x0
	v_cmpx_ne_u32_e32 0xff, v3
	s_cbranch_execz .LBB315_3246
; %bb.3245:
	v_and_b32_e32 v5, 0x400000, v2
	v_and_or_b32 v3, 0x3fffff, v2, v3
	v_lshrrev_b32_e32 v2, 23, v2
	s_delay_alu instid0(VALU_DEP_3) | instskip(NEXT) | instid1(VALU_DEP_3)
	v_cmp_ne_u32_e32 vcc_lo, 0, v5
	v_cmp_ne_u32_e64 s0, 0, v3
	s_and_b32 s0, vcc_lo, s0
	s_delay_alu instid0(SALU_CYCLE_1) | instskip(NEXT) | instid1(VALU_DEP_1)
	v_cndmask_b32_e64 v3, 0, 1, s0
	v_add_nc_u32_e32 v5, v2, v3
.LBB315_3246:
	s_or_b32 exec_lo, exec_lo, s2
.LBB315_3247:
	s_mov_b32 s0, 0
.LBB315_3248:
	s_delay_alu instid0(SALU_CYCLE_1)
	s_and_not1_b32 vcc_lo, exec_lo, s0
	s_cbranch_vccnz .LBB315_3258
; %bb.3249:
	s_cmp_gt_i32 s1, 0
	s_cbranch_scc0 .LBB315_3253
; %bb.3250:
	global_load_i8 v2, v[0:1], off
	s_wait_loadcnt 0x1
	v_mov_b32_e32 v5, 0xff
	s_mov_b32 s1, exec_lo
	s_wait_loadcnt 0x0
	v_cvt_f32_i32_e32 v2, v2
	s_delay_alu instid0(VALU_DEP_1) | instskip(SKIP_1) | instid1(VALU_DEP_1)
	v_bfe_u32 v3, v2, 23, 8
	s_wait_xcnt 0x0
	v_cmpx_ne_u32_e32 0xff, v3
	s_cbranch_execz .LBB315_3252
; %bb.3251:
	v_and_b32_e32 v5, 0x400000, v2
	v_and_or_b32 v3, 0x3fffff, v2, v3
	v_lshrrev_b32_e32 v2, 23, v2
	s_delay_alu instid0(VALU_DEP_3) | instskip(NEXT) | instid1(VALU_DEP_3)
	v_cmp_ne_u32_e32 vcc_lo, 0, v5
	v_cmp_ne_u32_e64 s0, 0, v3
	s_and_b32 s0, vcc_lo, s0
	s_delay_alu instid0(SALU_CYCLE_1) | instskip(NEXT) | instid1(VALU_DEP_1)
	v_cndmask_b32_e64 v3, 0, 1, s0
	v_add_nc_u32_e32 v5, v2, v3
.LBB315_3252:
	s_or_b32 exec_lo, exec_lo, s1
	s_mov_b32 s0, 0
	s_branch .LBB315_3254
.LBB315_3253:
	s_mov_b32 s0, -1
                                        ; implicit-def: $vgpr5
.LBB315_3254:
	s_delay_alu instid0(SALU_CYCLE_1)
	s_and_not1_b32 vcc_lo, exec_lo, s0
	s_cbranch_vccnz .LBB315_3258
; %bb.3255:
	global_load_u8 v0, v[0:1], off
	s_mov_b32 s1, exec_lo
	s_wait_loadcnt 0x1
	v_mov_b32_e32 v5, 0xff
	s_wait_loadcnt 0x0
	v_cvt_f32_ubyte0_e32 v1, v0
	s_delay_alu instid0(VALU_DEP_1) | instskip(NEXT) | instid1(VALU_DEP_1)
	v_lshrrev_b32_e32 v0, 23, v1
	v_cmpx_ne_u32_e32 0xff, v0
; %bb.3256:
	v_and_b32_e32 v2, 0x400000, v1
	v_and_or_b32 v1, 0x3fffff, v1, v0
	s_delay_alu instid0(VALU_DEP_2) | instskip(NEXT) | instid1(VALU_DEP_2)
	v_cmp_ne_u32_e32 vcc_lo, 0, v2
	v_cmp_ne_u32_e64 s0, 0, v1
	s_and_b32 s0, vcc_lo, s0
	s_delay_alu instid0(SALU_CYCLE_1) | instskip(NEXT) | instid1(VALU_DEP_1)
	v_cndmask_b32_e64 v1, 0, 1, s0
	v_add_nc_u32_e32 v5, v0, v1
; %bb.3257:
	s_or_b32 exec_lo, exec_lo, s1
.LBB315_3258:
	s_mov_b32 s0, -1
.LBB315_3259:
	s_delay_alu instid0(SALU_CYCLE_1)
	s_and_not1_b32 vcc_lo, exec_lo, s0
	s_cbranch_vccnz .LBB315_3690
; %bb.3260:
	s_wait_loadcnt 0x0
	v_and_b32_e32 v0, 0xff, v7
	v_and_b32_e32 v1, 0xff, v8
	s_cmp_eq_u32 s11, 0
	s_mov_b32 s7, 0
	s_cselect_b32 s0, -1, 0
	s_delay_alu instid0(VALU_DEP_1)
	v_dual_lshlrev_b32 v2, 23, v0 :: v_dual_lshlrev_b32 v3, 23, v1
	v_cmp_ne_u16_e32 vcc_lo, 0xff, v0
	s_and_b32 s19, s3, 0xff
	s_mov_b32 s2, -1
	s_cmp_lt_i32 s19, 11
	v_cndmask_b32_e32 v2, 0x7f800001, v2, vcc_lo
	v_cmp_ne_u16_e32 vcc_lo, 0xff, v1
	v_cndmask_b32_e32 v3, 0x7f800001, v3, vcc_lo
	v_cmp_ne_u16_e32 vcc_lo, 0, v0
	v_mul_lo_u32 v0, s8, v6
	v_cndmask_b32_e32 v2, 0x400000, v2, vcc_lo
	v_cmp_ne_u16_e32 vcc_lo, 0, v1
	v_cndmask_b32_e32 v1, 0x400000, v3, vcc_lo
	s_delay_alu instid0(VALU_DEP_1) | instskip(SKIP_3) | instid1(VALU_DEP_1)
	v_cmp_eq_f32_e32 vcc_lo, v2, v1
	v_cndmask_b32_e64 v3, 0, 1, vcc_lo
	v_cmp_neq_f32_e32 vcc_lo, v2, v1
	v_cndmask_b32_e64 v1, 0, 1, vcc_lo
	v_dual_cndmask_b32 v2, v1, v3, s0 :: v_dual_ashrrev_i32 v1, 31, v0
	s_delay_alu instid0(VALU_DEP_1) | instskip(NEXT) | instid1(VALU_DEP_2)
	v_and_b32_e32 v6, 1, v2
	v_add_nc_u64_e32 v[2:3], s[4:5], v[0:1]
	s_delay_alu instid0(VALU_DEP_2)
	v_cmp_eq_u32_e64 s1, 1, v6
	s_cbranch_scc1 .LBB315_3339
; %bb.3261:
	s_and_b32 s3, 0xffff, s19
	s_mov_b32 s9, -1
	s_mov_b32 s6, 0
	s_cmp_gt_i32 s3, 25
	s_mov_b32 s2, 0
	s_cbranch_scc0 .LBB315_3294
; %bb.3262:
	s_cmp_gt_i32 s3, 28
	s_cbranch_scc0 .LBB315_3277
; %bb.3263:
	s_cmp_gt_i32 s3, 43
	;; [unrolled: 3-line block ×3, first 2 shown]
	s_cbranch_scc0 .LBB315_3267
; %bb.3265:
	s_mov_b32 s2, -1
	s_mov_b32 s9, 0
	s_cmp_eq_u32 s3, 46
	s_cbranch_scc0 .LBB315_3267
; %bb.3266:
	v_cndmask_b32_e64 v1, 0, 1.0, s1
	s_mov_b32 s2, 0
	s_mov_b32 s7, -1
	s_delay_alu instid0(VALU_DEP_1) | instskip(NEXT) | instid1(VALU_DEP_1)
	v_bfe_u32 v6, v1, 16, 1
	v_add3_u32 v1, v1, v6, 0x7fff
	s_delay_alu instid0(VALU_DEP_1)
	v_lshrrev_b32_e32 v1, 16, v1
	global_store_b32 v[2:3], v1, off
.LBB315_3267:
	s_and_b32 vcc_lo, exec_lo, s9
	s_cbranch_vccz .LBB315_3272
; %bb.3268:
	s_cmp_eq_u32 s3, 44
	s_mov_b32 s2, -1
	s_cbranch_scc0 .LBB315_3272
; %bb.3269:
	v_cndmask_b32_e64 v7, 0, 1.0, s1
	s_mov_b32 s7, exec_lo
	s_wait_xcnt 0x0
	s_delay_alu instid0(VALU_DEP_1) | instskip(NEXT) | instid1(VALU_DEP_1)
	v_dual_mov_b32 v6, 0xff :: v_dual_lshrrev_b32 v1, 23, v7
	v_cmpx_ne_u32_e32 0xff, v1
; %bb.3270:
	v_and_b32_e32 v6, 0x400000, v7
	v_and_or_b32 v7, 0x3fffff, v7, v1
	s_delay_alu instid0(VALU_DEP_2) | instskip(NEXT) | instid1(VALU_DEP_2)
	v_cmp_ne_u32_e32 vcc_lo, 0, v6
	v_cmp_ne_u32_e64 s2, 0, v7
	s_and_b32 s2, vcc_lo, s2
	s_delay_alu instid0(SALU_CYCLE_1) | instskip(NEXT) | instid1(VALU_DEP_1)
	v_cndmask_b32_e64 v6, 0, 1, s2
	v_add_nc_u32_e32 v6, v1, v6
; %bb.3271:
	s_or_b32 exec_lo, exec_lo, s7
	s_mov_b32 s2, 0
	s_mov_b32 s7, -1
	global_store_b8 v[2:3], v6, off
.LBB315_3272:
	s_mov_b32 s9, 0
.LBB315_3273:
	s_delay_alu instid0(SALU_CYCLE_1)
	s_and_b32 vcc_lo, exec_lo, s9
	s_cbranch_vccz .LBB315_3276
; %bb.3274:
	s_cmp_eq_u32 s3, 29
	s_mov_b32 s2, -1
	s_cbranch_scc0 .LBB315_3276
; %bb.3275:
	s_mov_b32 s2, 0
	s_wait_xcnt 0x0
	v_cndmask_b32_e64 v6, 0, 1, s1
	v_mov_b32_e32 v7, s2
	s_mov_b32 s7, -1
	global_store_b64 v[2:3], v[6:7], off
.LBB315_3276:
	s_mov_b32 s9, 0
.LBB315_3277:
	s_delay_alu instid0(SALU_CYCLE_1)
	s_and_b32 vcc_lo, exec_lo, s9
	s_cbranch_vccz .LBB315_3293
; %bb.3278:
	s_cmp_lt_i32 s3, 27
	s_mov_b32 s7, -1
	s_cbranch_scc1 .LBB315_3284
; %bb.3279:
	s_cmp_gt_i32 s3, 27
	s_cbranch_scc0 .LBB315_3281
; %bb.3280:
	s_wait_xcnt 0x0
	v_cndmask_b32_e64 v1, 0, 1, s1
	s_mov_b32 s7, 0
	global_store_b32 v[2:3], v1, off
.LBB315_3281:
	s_and_not1_b32 vcc_lo, exec_lo, s7
	s_cbranch_vccnz .LBB315_3283
; %bb.3282:
	s_wait_xcnt 0x0
	v_cndmask_b32_e64 v1, 0, 1, s1
	global_store_b16 v[2:3], v1, off
.LBB315_3283:
	s_mov_b32 s7, 0
.LBB315_3284:
	s_delay_alu instid0(SALU_CYCLE_1)
	s_and_not1_b32 vcc_lo, exec_lo, s7
	s_cbranch_vccnz .LBB315_3292
; %bb.3285:
	s_wait_xcnt 0x0
	v_cndmask_b32_e64 v6, 0, 1.0, s1
	v_mov_b32_e32 v7, 0x80
	s_mov_b32 s7, exec_lo
	s_delay_alu instid0(VALU_DEP_2)
	v_cmpx_gt_u32_e32 0x43800000, v6
	s_cbranch_execz .LBB315_3291
; %bb.3286:
	s_mov_b32 s9, 0
	s_mov_b32 s10, exec_lo
                                        ; implicit-def: $vgpr1
	v_cmpx_lt_u32_e32 0x3bffffff, v6
	s_xor_b32 s10, exec_lo, s10
	s_cbranch_execz .LBB315_3733
; %bb.3287:
	v_bfe_u32 v1, v6, 20, 1
	s_mov_b32 s9, exec_lo
	s_delay_alu instid0(VALU_DEP_1) | instskip(NEXT) | instid1(VALU_DEP_1)
	v_add3_u32 v1, v6, v1, 0x487ffff
                                        ; implicit-def: $vgpr6
	v_lshrrev_b32_e32 v1, 20, v1
	s_and_not1_saveexec_b32 s10, s10
	s_cbranch_execnz .LBB315_3734
.LBB315_3288:
	s_or_b32 exec_lo, exec_lo, s10
	v_mov_b32_e32 v7, 0
	s_and_saveexec_b32 s10, s9
.LBB315_3289:
	v_mov_b32_e32 v7, v1
.LBB315_3290:
	s_or_b32 exec_lo, exec_lo, s10
.LBB315_3291:
	s_delay_alu instid0(SALU_CYCLE_1)
	s_or_b32 exec_lo, exec_lo, s7
	global_store_b8 v[2:3], v7, off
.LBB315_3292:
	s_mov_b32 s7, -1
.LBB315_3293:
	s_mov_b32 s9, 0
.LBB315_3294:
	s_delay_alu instid0(SALU_CYCLE_1)
	s_and_b32 vcc_lo, exec_lo, s9
	s_cbranch_vccz .LBB315_3334
; %bb.3295:
	s_cmp_gt_i32 s3, 22
	s_mov_b32 s6, -1
	s_cbranch_scc0 .LBB315_3327
; %bb.3296:
	s_cmp_lt_i32 s3, 24
	s_cbranch_scc1 .LBB315_3316
; %bb.3297:
	s_cmp_gt_i32 s3, 24
	s_cbranch_scc0 .LBB315_3305
; %bb.3298:
	s_wait_xcnt 0x0
	v_cndmask_b32_e64 v6, 0, 1.0, s1
	v_mov_b32_e32 v7, 0x80
	s_mov_b32 s6, exec_lo
	s_delay_alu instid0(VALU_DEP_2)
	v_cmpx_gt_u32_e32 0x47800000, v6
	s_cbranch_execz .LBB315_3304
; %bb.3299:
	s_mov_b32 s7, 0
	s_mov_b32 s9, exec_lo
                                        ; implicit-def: $vgpr1
	v_cmpx_lt_u32_e32 0x37ffffff, v6
	s_xor_b32 s9, exec_lo, s9
	s_cbranch_execz .LBB315_3736
; %bb.3300:
	v_bfe_u32 v1, v6, 21, 1
	s_mov_b32 s7, exec_lo
	s_delay_alu instid0(VALU_DEP_1) | instskip(NEXT) | instid1(VALU_DEP_1)
	v_add3_u32 v1, v6, v1, 0x88fffff
                                        ; implicit-def: $vgpr6
	v_lshrrev_b32_e32 v1, 21, v1
	s_and_not1_saveexec_b32 s9, s9
	s_cbranch_execnz .LBB315_3737
.LBB315_3301:
	s_or_b32 exec_lo, exec_lo, s9
	v_mov_b32_e32 v7, 0
	s_and_saveexec_b32 s9, s7
.LBB315_3302:
	v_mov_b32_e32 v7, v1
.LBB315_3303:
	s_or_b32 exec_lo, exec_lo, s9
.LBB315_3304:
	s_delay_alu instid0(SALU_CYCLE_1)
	s_or_b32 exec_lo, exec_lo, s6
	s_mov_b32 s6, 0
	global_store_b8 v[2:3], v7, off
.LBB315_3305:
	s_and_b32 vcc_lo, exec_lo, s6
	s_cbranch_vccz .LBB315_3315
; %bb.3306:
	s_wait_xcnt 0x0
	v_cndmask_b32_e64 v6, 0, 1.0, s1
	s_mov_b32 s6, exec_lo
                                        ; implicit-def: $vgpr1
	s_delay_alu instid0(VALU_DEP_1)
	v_cmpx_gt_u32_e32 0x43f00000, v6
	s_xor_b32 s6, exec_lo, s6
	s_cbranch_execz .LBB315_3312
; %bb.3307:
	s_mov_b32 s7, exec_lo
                                        ; implicit-def: $vgpr1
	v_cmpx_lt_u32_e32 0x3c7fffff, v6
	s_xor_b32 s7, exec_lo, s7
; %bb.3308:
	v_bfe_u32 v1, v6, 20, 1
	s_delay_alu instid0(VALU_DEP_1) | instskip(NEXT) | instid1(VALU_DEP_1)
	v_add3_u32 v1, v6, v1, 0x407ffff
	v_and_b32_e32 v6, 0xff00000, v1
	v_lshrrev_b32_e32 v1, 20, v1
	s_delay_alu instid0(VALU_DEP_2) | instskip(NEXT) | instid1(VALU_DEP_2)
	v_cmp_ne_u32_e32 vcc_lo, 0x7f00000, v6
                                        ; implicit-def: $vgpr6
	v_cndmask_b32_e32 v1, 0x7e, v1, vcc_lo
; %bb.3309:
	s_and_not1_saveexec_b32 s7, s7
; %bb.3310:
	v_add_f32_e32 v1, 0x46800000, v6
; %bb.3311:
	s_or_b32 exec_lo, exec_lo, s7
                                        ; implicit-def: $vgpr6
.LBB315_3312:
	s_and_not1_saveexec_b32 s6, s6
; %bb.3313:
	v_mov_b32_e32 v1, 0x7f
	v_cmp_lt_u32_e32 vcc_lo, 0x7f800000, v6
	s_delay_alu instid0(VALU_DEP_2)
	v_cndmask_b32_e32 v1, 0x7e, v1, vcc_lo
; %bb.3314:
	s_or_b32 exec_lo, exec_lo, s6
	global_store_b8 v[2:3], v1, off
.LBB315_3315:
	s_mov_b32 s6, 0
.LBB315_3316:
	s_delay_alu instid0(SALU_CYCLE_1)
	s_and_not1_b32 vcc_lo, exec_lo, s6
	s_cbranch_vccnz .LBB315_3326
; %bb.3317:
	s_wait_xcnt 0x0
	v_cndmask_b32_e64 v6, 0, 1.0, s1
	s_mov_b32 s6, exec_lo
                                        ; implicit-def: $vgpr1
	s_delay_alu instid0(VALU_DEP_1)
	v_cmpx_gt_u32_e32 0x47800000, v6
	s_xor_b32 s6, exec_lo, s6
	s_cbranch_execz .LBB315_3323
; %bb.3318:
	s_mov_b32 s7, exec_lo
                                        ; implicit-def: $vgpr1
	v_cmpx_lt_u32_e32 0x387fffff, v6
	s_xor_b32 s7, exec_lo, s7
; %bb.3319:
	v_bfe_u32 v1, v6, 21, 1
	s_delay_alu instid0(VALU_DEP_1) | instskip(NEXT) | instid1(VALU_DEP_1)
	v_add3_u32 v1, v6, v1, 0x80fffff
                                        ; implicit-def: $vgpr6
	v_lshrrev_b32_e32 v1, 21, v1
; %bb.3320:
	s_and_not1_saveexec_b32 s7, s7
; %bb.3321:
	v_add_f32_e32 v1, 0x43000000, v6
; %bb.3322:
	s_or_b32 exec_lo, exec_lo, s7
                                        ; implicit-def: $vgpr6
.LBB315_3323:
	s_and_not1_saveexec_b32 s6, s6
; %bb.3324:
	v_mov_b32_e32 v1, 0x7f
	v_cmp_lt_u32_e32 vcc_lo, 0x7f800000, v6
	s_delay_alu instid0(VALU_DEP_2)
	v_cndmask_b32_e32 v1, 0x7c, v1, vcc_lo
; %bb.3325:
	s_or_b32 exec_lo, exec_lo, s6
	global_store_b8 v[2:3], v1, off
.LBB315_3326:
	s_mov_b32 s6, 0
	s_mov_b32 s7, -1
.LBB315_3327:
	s_and_not1_b32 vcc_lo, exec_lo, s6
	s_mov_b32 s6, 0
	s_cbranch_vccnz .LBB315_3334
; %bb.3328:
	s_cmp_gt_i32 s3, 14
	s_mov_b32 s6, -1
	s_cbranch_scc0 .LBB315_3332
; %bb.3329:
	s_cmp_eq_u32 s3, 15
	s_mov_b32 s2, -1
	s_cbranch_scc0 .LBB315_3331
; %bb.3330:
	s_wait_xcnt 0x0
	v_cndmask_b32_e64 v1, 0, 1.0, s1
	s_mov_b32 s2, 0
	s_mov_b32 s7, -1
	s_delay_alu instid0(VALU_DEP_1) | instskip(NEXT) | instid1(VALU_DEP_1)
	v_bfe_u32 v6, v1, 16, 1
	v_add3_u32 v1, v1, v6, 0x7fff
	global_store_d16_hi_b16 v[2:3], v1, off
.LBB315_3331:
	s_mov_b32 s6, 0
.LBB315_3332:
	s_delay_alu instid0(SALU_CYCLE_1)
	s_and_b32 vcc_lo, exec_lo, s6
	s_mov_b32 s6, 0
	s_cbranch_vccz .LBB315_3334
; %bb.3333:
	s_cmp_lg_u32 s3, 11
	s_mov_b32 s6, -1
	s_cselect_b32 s2, -1, 0
.LBB315_3334:
	s_delay_alu instid0(SALU_CYCLE_1)
	s_and_b32 vcc_lo, exec_lo, s2
	s_cbranch_vccnz .LBB315_3735
; %bb.3335:
	s_and_not1_b32 vcc_lo, exec_lo, s6
	s_cbranch_vccnz .LBB315_3337
.LBB315_3336:
	s_wait_xcnt 0x0
	v_cndmask_b32_e64 v1, 0, 1, s1
	s_mov_b32 s7, -1
	global_store_b8 v[2:3], v1, off
.LBB315_3337:
.LBB315_3338:
	s_and_not1_b32 vcc_lo, exec_lo, s7
	s_cbranch_vccz .LBB315_3378
	s_branch .LBB315_3690
.LBB315_3339:
	s_and_b32 vcc_lo, exec_lo, s2
	s_cbranch_vccz .LBB315_3338
; %bb.3340:
	s_and_b32 s2, 0xffff, s19
	s_mov_b32 s3, -1
	s_cmp_lt_i32 s2, 5
	s_cbranch_scc1 .LBB315_3361
; %bb.3341:
	s_cmp_lt_i32 s2, 8
	s_cbranch_scc1 .LBB315_3351
; %bb.3342:
	;; [unrolled: 3-line block ×3, first 2 shown]
	s_cmp_gt_i32 s2, 9
	s_cbranch_scc0 .LBB315_3345
; %bb.3344:
	s_wait_xcnt 0x0
	v_cndmask_b32_e64 v1, 0, 1, s1
	v_mov_b32_e32 v16, 0
	s_mov_b32 s3, 0
	s_delay_alu instid0(VALU_DEP_2) | instskip(NEXT) | instid1(VALU_DEP_2)
	v_cvt_f64_u32_e32 v[14:15], v1
	v_mov_b32_e32 v17, v16
	global_store_b128 v[2:3], v[14:17], off
.LBB315_3345:
	s_and_not1_b32 vcc_lo, exec_lo, s3
	s_cbranch_vccnz .LBB315_3347
; %bb.3346:
	s_wait_xcnt 0x0
	v_cndmask_b32_e64 v6, 0, 1.0, s1
	v_mov_b32_e32 v7, 0
	global_store_b64 v[2:3], v[6:7], off
.LBB315_3347:
	s_mov_b32 s3, 0
.LBB315_3348:
	s_delay_alu instid0(SALU_CYCLE_1)
	s_and_not1_b32 vcc_lo, exec_lo, s3
	s_cbranch_vccnz .LBB315_3350
; %bb.3349:
	s_wait_xcnt 0x0
	v_cndmask_b32_e64 v1, 0, 1.0, s1
	s_delay_alu instid0(VALU_DEP_1) | instskip(NEXT) | instid1(VALU_DEP_1)
	v_cvt_f16_f32_e32 v1, v1
	v_and_b32_e32 v1, 0xffff, v1
	global_store_b32 v[2:3], v1, off
.LBB315_3350:
	s_mov_b32 s3, 0
.LBB315_3351:
	s_delay_alu instid0(SALU_CYCLE_1)
	s_and_not1_b32 vcc_lo, exec_lo, s3
	s_cbranch_vccnz .LBB315_3360
; %bb.3352:
	s_cmp_lt_i32 s2, 6
	s_mov_b32 s3, -1
	s_cbranch_scc1 .LBB315_3358
; %bb.3353:
	s_cmp_gt_i32 s2, 6
	s_cbranch_scc0 .LBB315_3355
; %bb.3354:
	s_wait_xcnt 0x0
	v_cndmask_b32_e64 v1, 0, 1, s1
	s_mov_b32 s3, 0
	s_delay_alu instid0(VALU_DEP_1)
	v_cvt_f64_u32_e32 v[6:7], v1
	global_store_b64 v[2:3], v[6:7], off
.LBB315_3355:
	s_and_not1_b32 vcc_lo, exec_lo, s3
	s_cbranch_vccnz .LBB315_3357
; %bb.3356:
	s_wait_xcnt 0x0
	v_cndmask_b32_e64 v1, 0, 1.0, s1
	global_store_b32 v[2:3], v1, off
.LBB315_3357:
	s_mov_b32 s3, 0
.LBB315_3358:
	s_delay_alu instid0(SALU_CYCLE_1)
	s_and_not1_b32 vcc_lo, exec_lo, s3
	s_cbranch_vccnz .LBB315_3360
; %bb.3359:
	s_wait_xcnt 0x0
	v_cndmask_b32_e64 v1, 0, 1.0, s1
	s_delay_alu instid0(VALU_DEP_1)
	v_cvt_f16_f32_e32 v1, v1
	global_store_b16 v[2:3], v1, off
.LBB315_3360:
	s_mov_b32 s3, 0
.LBB315_3361:
	s_delay_alu instid0(SALU_CYCLE_1)
	s_and_not1_b32 vcc_lo, exec_lo, s3
	s_cbranch_vccnz .LBB315_3377
; %bb.3362:
	s_cmp_lt_i32 s2, 2
	s_mov_b32 s3, -1
	s_cbranch_scc1 .LBB315_3372
; %bb.3363:
	s_cmp_lt_i32 s2, 3
	s_cbranch_scc1 .LBB315_3369
; %bb.3364:
	s_cmp_gt_i32 s2, 3
	s_cbranch_scc0 .LBB315_3366
; %bb.3365:
	s_mov_b32 s3, 0
	s_wait_xcnt 0x0
	v_cndmask_b32_e64 v6, 0, 1, s1
	v_mov_b32_e32 v7, s3
	global_store_b64 v[2:3], v[6:7], off
.LBB315_3366:
	s_and_not1_b32 vcc_lo, exec_lo, s3
	s_cbranch_vccnz .LBB315_3368
; %bb.3367:
	s_wait_xcnt 0x0
	v_cndmask_b32_e64 v1, 0, 1, s1
	global_store_b32 v[2:3], v1, off
.LBB315_3368:
	s_mov_b32 s3, 0
.LBB315_3369:
	s_delay_alu instid0(SALU_CYCLE_1)
	s_and_not1_b32 vcc_lo, exec_lo, s3
	s_cbranch_vccnz .LBB315_3371
; %bb.3370:
	s_wait_xcnt 0x0
	v_cndmask_b32_e64 v1, 0, 1, s1
	global_store_b16 v[2:3], v1, off
.LBB315_3371:
	s_mov_b32 s3, 0
.LBB315_3372:
	s_delay_alu instid0(SALU_CYCLE_1)
	s_and_not1_b32 vcc_lo, exec_lo, s3
	s_cbranch_vccnz .LBB315_3377
; %bb.3373:
	s_wait_xcnt 0x0
	v_cndmask_b32_e64 v1, 0, 1, s1
	s_cmp_gt_i32 s2, 0
	s_mov_b32 s1, -1
	s_cbranch_scc0 .LBB315_3375
; %bb.3374:
	s_mov_b32 s1, 0
	global_store_b8 v[2:3], v1, off
.LBB315_3375:
	s_and_not1_b32 vcc_lo, exec_lo, s1
	s_cbranch_vccnz .LBB315_3377
; %bb.3376:
	global_store_b8 v[2:3], v1, off
.LBB315_3377:
.LBB315_3378:
	s_wait_xcnt 0x0
	v_and_b32_e32 v1, 0xff, v9
	v_and_b32_e32 v2, 0xff, v10
	s_lshl_b32 s3, s8, 7
	s_mov_b32 s8, 0
	s_delay_alu instid0(VALU_DEP_2) | instskip(NEXT) | instid1(VALU_DEP_2)
	v_dual_add_nc_u32 v0, s3, v0 :: v_dual_lshlrev_b32 v3, 23, v1
	v_lshlrev_b32_e32 v6, 23, v2
	v_cmp_ne_u16_e32 vcc_lo, 0xff, v1
	s_cmp_lt_i32 s19, 11
	s_mov_b32 s2, -1
	v_cndmask_b32_e32 v3, 0x7f800001, v3, vcc_lo
	v_cmp_ne_u16_e32 vcc_lo, 0xff, v2
	v_cndmask_b32_e32 v6, 0x7f800001, v6, vcc_lo
	v_cmp_ne_u16_e32 vcc_lo, 0, v1
	s_delay_alu instid0(VALU_DEP_4) | instskip(SKIP_1) | instid1(VALU_DEP_4)
	v_cndmask_b32_e32 v1, 0x400000, v3, vcc_lo
	v_cmp_ne_u16_e32 vcc_lo, 0, v2
	v_cndmask_b32_e32 v2, 0x400000, v6, vcc_lo
	s_delay_alu instid0(VALU_DEP_1) | instskip(SKIP_3) | instid1(VALU_DEP_1)
	v_cmp_eq_f32_e32 vcc_lo, v1, v2
	v_cndmask_b32_e64 v3, 0, 1, vcc_lo
	v_cmp_neq_f32_e32 vcc_lo, v1, v2
	v_cndmask_b32_e64 v1, 0, 1, vcc_lo
	v_dual_cndmask_b32 v2, v1, v3, s0 :: v_dual_ashrrev_i32 v1, 31, v0
	s_delay_alu instid0(VALU_DEP_1) | instskip(NEXT) | instid1(VALU_DEP_2)
	v_and_b32_e32 v6, 1, v2
	v_add_nc_u64_e32 v[2:3], s[4:5], v[0:1]
	s_delay_alu instid0(VALU_DEP_2)
	v_cmp_eq_u32_e64 s1, 1, v6
	s_cbranch_scc1 .LBB315_3457
; %bb.3379:
	s_and_b32 s6, 0xffff, s19
	s_mov_b32 s9, -1
	s_mov_b32 s7, 0
	s_cmp_gt_i32 s6, 25
	s_mov_b32 s2, 0
	s_cbranch_scc0 .LBB315_3412
; %bb.3380:
	s_cmp_gt_i32 s6, 28
	s_cbranch_scc0 .LBB315_3395
; %bb.3381:
	s_cmp_gt_i32 s6, 43
	;; [unrolled: 3-line block ×3, first 2 shown]
	s_cbranch_scc0 .LBB315_3385
; %bb.3383:
	s_mov_b32 s2, -1
	s_mov_b32 s9, 0
	s_cmp_eq_u32 s6, 46
	s_cbranch_scc0 .LBB315_3385
; %bb.3384:
	v_cndmask_b32_e64 v1, 0, 1.0, s1
	s_mov_b32 s2, 0
	s_mov_b32 s8, -1
	s_delay_alu instid0(VALU_DEP_1) | instskip(NEXT) | instid1(VALU_DEP_1)
	v_bfe_u32 v6, v1, 16, 1
	v_add3_u32 v1, v1, v6, 0x7fff
	s_delay_alu instid0(VALU_DEP_1)
	v_lshrrev_b32_e32 v1, 16, v1
	global_store_b32 v[2:3], v1, off
.LBB315_3385:
	s_and_b32 vcc_lo, exec_lo, s9
	s_cbranch_vccz .LBB315_3390
; %bb.3386:
	s_cmp_eq_u32 s6, 44
	s_mov_b32 s2, -1
	s_cbranch_scc0 .LBB315_3390
; %bb.3387:
	v_cndmask_b32_e64 v7, 0, 1.0, s1
	s_mov_b32 s8, exec_lo
	s_wait_xcnt 0x0
	s_delay_alu instid0(VALU_DEP_1) | instskip(NEXT) | instid1(VALU_DEP_1)
	v_dual_mov_b32 v6, 0xff :: v_dual_lshrrev_b32 v1, 23, v7
	v_cmpx_ne_u32_e32 0xff, v1
; %bb.3388:
	v_and_b32_e32 v6, 0x400000, v7
	v_and_or_b32 v7, 0x3fffff, v7, v1
	s_delay_alu instid0(VALU_DEP_2) | instskip(NEXT) | instid1(VALU_DEP_2)
	v_cmp_ne_u32_e32 vcc_lo, 0, v6
	v_cmp_ne_u32_e64 s2, 0, v7
	s_and_b32 s2, vcc_lo, s2
	s_delay_alu instid0(SALU_CYCLE_1) | instskip(NEXT) | instid1(VALU_DEP_1)
	v_cndmask_b32_e64 v6, 0, 1, s2
	v_add_nc_u32_e32 v6, v1, v6
; %bb.3389:
	s_or_b32 exec_lo, exec_lo, s8
	s_mov_b32 s2, 0
	s_mov_b32 s8, -1
	global_store_b8 v[2:3], v6, off
.LBB315_3390:
	s_mov_b32 s9, 0
.LBB315_3391:
	s_delay_alu instid0(SALU_CYCLE_1)
	s_and_b32 vcc_lo, exec_lo, s9
	s_cbranch_vccz .LBB315_3394
; %bb.3392:
	s_cmp_eq_u32 s6, 29
	s_mov_b32 s2, -1
	s_cbranch_scc0 .LBB315_3394
; %bb.3393:
	s_mov_b32 s2, 0
	s_wait_xcnt 0x0
	v_cndmask_b32_e64 v6, 0, 1, s1
	v_mov_b32_e32 v7, s2
	s_mov_b32 s8, -1
	global_store_b64 v[2:3], v[6:7], off
.LBB315_3394:
	s_mov_b32 s9, 0
.LBB315_3395:
	s_delay_alu instid0(SALU_CYCLE_1)
	s_and_b32 vcc_lo, exec_lo, s9
	s_cbranch_vccz .LBB315_3411
; %bb.3396:
	s_cmp_lt_i32 s6, 27
	s_mov_b32 s8, -1
	s_cbranch_scc1 .LBB315_3402
; %bb.3397:
	s_cmp_gt_i32 s6, 27
	s_cbranch_scc0 .LBB315_3399
; %bb.3398:
	s_wait_xcnt 0x0
	v_cndmask_b32_e64 v1, 0, 1, s1
	s_mov_b32 s8, 0
	global_store_b32 v[2:3], v1, off
.LBB315_3399:
	s_and_not1_b32 vcc_lo, exec_lo, s8
	s_cbranch_vccnz .LBB315_3401
; %bb.3400:
	s_wait_xcnt 0x0
	v_cndmask_b32_e64 v1, 0, 1, s1
	global_store_b16 v[2:3], v1, off
.LBB315_3401:
	s_mov_b32 s8, 0
.LBB315_3402:
	s_delay_alu instid0(SALU_CYCLE_1)
	s_and_not1_b32 vcc_lo, exec_lo, s8
	s_cbranch_vccnz .LBB315_3410
; %bb.3403:
	s_wait_xcnt 0x0
	v_cndmask_b32_e64 v6, 0, 1.0, s1
	v_mov_b32_e32 v7, 0x80
	s_mov_b32 s8, exec_lo
	s_delay_alu instid0(VALU_DEP_2)
	v_cmpx_gt_u32_e32 0x43800000, v6
	s_cbranch_execz .LBB315_3409
; %bb.3404:
	s_mov_b32 s9, 0
	s_mov_b32 s10, exec_lo
                                        ; implicit-def: $vgpr1
	v_cmpx_lt_u32_e32 0x3bffffff, v6
	s_xor_b32 s10, exec_lo, s10
	s_cbranch_execz .LBB315_3738
; %bb.3405:
	v_bfe_u32 v1, v6, 20, 1
	s_mov_b32 s9, exec_lo
	s_delay_alu instid0(VALU_DEP_1) | instskip(NEXT) | instid1(VALU_DEP_1)
	v_add3_u32 v1, v6, v1, 0x487ffff
                                        ; implicit-def: $vgpr6
	v_lshrrev_b32_e32 v1, 20, v1
	s_and_not1_saveexec_b32 s10, s10
	s_cbranch_execnz .LBB315_3739
.LBB315_3406:
	s_or_b32 exec_lo, exec_lo, s10
	v_mov_b32_e32 v7, 0
	s_and_saveexec_b32 s10, s9
.LBB315_3407:
	v_mov_b32_e32 v7, v1
.LBB315_3408:
	s_or_b32 exec_lo, exec_lo, s10
.LBB315_3409:
	s_delay_alu instid0(SALU_CYCLE_1)
	s_or_b32 exec_lo, exec_lo, s8
	global_store_b8 v[2:3], v7, off
.LBB315_3410:
	s_mov_b32 s8, -1
.LBB315_3411:
	s_mov_b32 s9, 0
.LBB315_3412:
	s_delay_alu instid0(SALU_CYCLE_1)
	s_and_b32 vcc_lo, exec_lo, s9
	s_cbranch_vccz .LBB315_3452
; %bb.3413:
	s_cmp_gt_i32 s6, 22
	s_mov_b32 s7, -1
	s_cbranch_scc0 .LBB315_3445
; %bb.3414:
	s_cmp_lt_i32 s6, 24
	s_cbranch_scc1 .LBB315_3434
; %bb.3415:
	s_cmp_gt_i32 s6, 24
	s_cbranch_scc0 .LBB315_3423
; %bb.3416:
	s_wait_xcnt 0x0
	v_cndmask_b32_e64 v6, 0, 1.0, s1
	v_mov_b32_e32 v7, 0x80
	s_mov_b32 s7, exec_lo
	s_delay_alu instid0(VALU_DEP_2)
	v_cmpx_gt_u32_e32 0x47800000, v6
	s_cbranch_execz .LBB315_3422
; %bb.3417:
	s_mov_b32 s8, 0
	s_mov_b32 s9, exec_lo
                                        ; implicit-def: $vgpr1
	v_cmpx_lt_u32_e32 0x37ffffff, v6
	s_xor_b32 s9, exec_lo, s9
	s_cbranch_execz .LBB315_3741
; %bb.3418:
	v_bfe_u32 v1, v6, 21, 1
	s_mov_b32 s8, exec_lo
	s_delay_alu instid0(VALU_DEP_1) | instskip(NEXT) | instid1(VALU_DEP_1)
	v_add3_u32 v1, v6, v1, 0x88fffff
                                        ; implicit-def: $vgpr6
	v_lshrrev_b32_e32 v1, 21, v1
	s_and_not1_saveexec_b32 s9, s9
	s_cbranch_execnz .LBB315_3742
.LBB315_3419:
	s_or_b32 exec_lo, exec_lo, s9
	v_mov_b32_e32 v7, 0
	s_and_saveexec_b32 s9, s8
.LBB315_3420:
	v_mov_b32_e32 v7, v1
.LBB315_3421:
	s_or_b32 exec_lo, exec_lo, s9
.LBB315_3422:
	s_delay_alu instid0(SALU_CYCLE_1)
	s_or_b32 exec_lo, exec_lo, s7
	s_mov_b32 s7, 0
	global_store_b8 v[2:3], v7, off
.LBB315_3423:
	s_and_b32 vcc_lo, exec_lo, s7
	s_cbranch_vccz .LBB315_3433
; %bb.3424:
	s_wait_xcnt 0x0
	v_cndmask_b32_e64 v6, 0, 1.0, s1
	s_mov_b32 s7, exec_lo
                                        ; implicit-def: $vgpr1
	s_delay_alu instid0(VALU_DEP_1)
	v_cmpx_gt_u32_e32 0x43f00000, v6
	s_xor_b32 s7, exec_lo, s7
	s_cbranch_execz .LBB315_3430
; %bb.3425:
	s_mov_b32 s8, exec_lo
                                        ; implicit-def: $vgpr1
	v_cmpx_lt_u32_e32 0x3c7fffff, v6
	s_xor_b32 s8, exec_lo, s8
; %bb.3426:
	v_bfe_u32 v1, v6, 20, 1
	s_delay_alu instid0(VALU_DEP_1) | instskip(NEXT) | instid1(VALU_DEP_1)
	v_add3_u32 v1, v6, v1, 0x407ffff
	v_and_b32_e32 v6, 0xff00000, v1
	v_lshrrev_b32_e32 v1, 20, v1
	s_delay_alu instid0(VALU_DEP_2) | instskip(NEXT) | instid1(VALU_DEP_2)
	v_cmp_ne_u32_e32 vcc_lo, 0x7f00000, v6
                                        ; implicit-def: $vgpr6
	v_cndmask_b32_e32 v1, 0x7e, v1, vcc_lo
; %bb.3427:
	s_and_not1_saveexec_b32 s8, s8
; %bb.3428:
	v_add_f32_e32 v1, 0x46800000, v6
; %bb.3429:
	s_or_b32 exec_lo, exec_lo, s8
                                        ; implicit-def: $vgpr6
.LBB315_3430:
	s_and_not1_saveexec_b32 s7, s7
; %bb.3431:
	v_mov_b32_e32 v1, 0x7f
	v_cmp_lt_u32_e32 vcc_lo, 0x7f800000, v6
	s_delay_alu instid0(VALU_DEP_2)
	v_cndmask_b32_e32 v1, 0x7e, v1, vcc_lo
; %bb.3432:
	s_or_b32 exec_lo, exec_lo, s7
	global_store_b8 v[2:3], v1, off
.LBB315_3433:
	s_mov_b32 s7, 0
.LBB315_3434:
	s_delay_alu instid0(SALU_CYCLE_1)
	s_and_not1_b32 vcc_lo, exec_lo, s7
	s_cbranch_vccnz .LBB315_3444
; %bb.3435:
	s_wait_xcnt 0x0
	v_cndmask_b32_e64 v6, 0, 1.0, s1
	s_mov_b32 s7, exec_lo
                                        ; implicit-def: $vgpr1
	s_delay_alu instid0(VALU_DEP_1)
	v_cmpx_gt_u32_e32 0x47800000, v6
	s_xor_b32 s7, exec_lo, s7
	s_cbranch_execz .LBB315_3441
; %bb.3436:
	s_mov_b32 s8, exec_lo
                                        ; implicit-def: $vgpr1
	v_cmpx_lt_u32_e32 0x387fffff, v6
	s_xor_b32 s8, exec_lo, s8
; %bb.3437:
	v_bfe_u32 v1, v6, 21, 1
	s_delay_alu instid0(VALU_DEP_1) | instskip(NEXT) | instid1(VALU_DEP_1)
	v_add3_u32 v1, v6, v1, 0x80fffff
                                        ; implicit-def: $vgpr6
	v_lshrrev_b32_e32 v1, 21, v1
; %bb.3438:
	s_and_not1_saveexec_b32 s8, s8
; %bb.3439:
	v_add_f32_e32 v1, 0x43000000, v6
; %bb.3440:
	s_or_b32 exec_lo, exec_lo, s8
                                        ; implicit-def: $vgpr6
.LBB315_3441:
	s_and_not1_saveexec_b32 s7, s7
; %bb.3442:
	v_mov_b32_e32 v1, 0x7f
	v_cmp_lt_u32_e32 vcc_lo, 0x7f800000, v6
	s_delay_alu instid0(VALU_DEP_2)
	v_cndmask_b32_e32 v1, 0x7c, v1, vcc_lo
; %bb.3443:
	s_or_b32 exec_lo, exec_lo, s7
	global_store_b8 v[2:3], v1, off
.LBB315_3444:
	s_mov_b32 s7, 0
	s_mov_b32 s8, -1
.LBB315_3445:
	s_and_not1_b32 vcc_lo, exec_lo, s7
	s_mov_b32 s7, 0
	s_cbranch_vccnz .LBB315_3452
; %bb.3446:
	s_cmp_gt_i32 s6, 14
	s_mov_b32 s7, -1
	s_cbranch_scc0 .LBB315_3450
; %bb.3447:
	s_cmp_eq_u32 s6, 15
	s_mov_b32 s2, -1
	s_cbranch_scc0 .LBB315_3449
; %bb.3448:
	s_wait_xcnt 0x0
	v_cndmask_b32_e64 v1, 0, 1.0, s1
	s_mov_b32 s2, 0
	s_mov_b32 s8, -1
	s_delay_alu instid0(VALU_DEP_1) | instskip(NEXT) | instid1(VALU_DEP_1)
	v_bfe_u32 v6, v1, 16, 1
	v_add3_u32 v1, v1, v6, 0x7fff
	global_store_d16_hi_b16 v[2:3], v1, off
.LBB315_3449:
	s_mov_b32 s7, 0
.LBB315_3450:
	s_delay_alu instid0(SALU_CYCLE_1)
	s_and_b32 vcc_lo, exec_lo, s7
	s_mov_b32 s7, 0
	s_cbranch_vccz .LBB315_3452
; %bb.3451:
	s_cmp_lg_u32 s6, 11
	s_mov_b32 s7, -1
	s_cselect_b32 s2, -1, 0
.LBB315_3452:
	s_delay_alu instid0(SALU_CYCLE_1)
	s_and_b32 vcc_lo, exec_lo, s2
	s_cbranch_vccnz .LBB315_3740
; %bb.3453:
	s_and_not1_b32 vcc_lo, exec_lo, s7
	s_cbranch_vccnz .LBB315_3455
.LBB315_3454:
	s_wait_xcnt 0x0
	v_cndmask_b32_e64 v1, 0, 1, s1
	s_mov_b32 s8, -1
	global_store_b8 v[2:3], v1, off
.LBB315_3455:
.LBB315_3456:
	s_and_not1_b32 vcc_lo, exec_lo, s8
	s_cbranch_vccz .LBB315_3496
	s_branch .LBB315_3690
.LBB315_3457:
	s_and_b32 vcc_lo, exec_lo, s2
	s_cbranch_vccz .LBB315_3456
; %bb.3458:
	s_and_b32 s2, 0xffff, s19
	s_mov_b32 s6, -1
	s_cmp_lt_i32 s2, 5
	s_cbranch_scc1 .LBB315_3479
; %bb.3459:
	s_cmp_lt_i32 s2, 8
	s_cbranch_scc1 .LBB315_3469
; %bb.3460:
	;; [unrolled: 3-line block ×3, first 2 shown]
	s_cmp_gt_i32 s2, 9
	s_cbranch_scc0 .LBB315_3463
; %bb.3462:
	s_wait_xcnt 0x0
	v_cndmask_b32_e64 v1, 0, 1, s1
	v_mov_b32_e32 v8, 0
	s_mov_b32 s6, 0
	s_delay_alu instid0(VALU_DEP_2) | instskip(NEXT) | instid1(VALU_DEP_2)
	v_cvt_f64_u32_e32 v[6:7], v1
	v_mov_b32_e32 v9, v8
	global_store_b128 v[2:3], v[6:9], off
.LBB315_3463:
	s_and_not1_b32 vcc_lo, exec_lo, s6
	s_cbranch_vccnz .LBB315_3465
; %bb.3464:
	s_wait_xcnt 0x0
	v_cndmask_b32_e64 v6, 0, 1.0, s1
	v_mov_b32_e32 v7, 0
	global_store_b64 v[2:3], v[6:7], off
.LBB315_3465:
	s_mov_b32 s6, 0
.LBB315_3466:
	s_delay_alu instid0(SALU_CYCLE_1)
	s_and_not1_b32 vcc_lo, exec_lo, s6
	s_cbranch_vccnz .LBB315_3468
; %bb.3467:
	s_wait_xcnt 0x0
	v_cndmask_b32_e64 v1, 0, 1.0, s1
	s_delay_alu instid0(VALU_DEP_1) | instskip(NEXT) | instid1(VALU_DEP_1)
	v_cvt_f16_f32_e32 v1, v1
	v_and_b32_e32 v1, 0xffff, v1
	global_store_b32 v[2:3], v1, off
.LBB315_3468:
	s_mov_b32 s6, 0
.LBB315_3469:
	s_delay_alu instid0(SALU_CYCLE_1)
	s_and_not1_b32 vcc_lo, exec_lo, s6
	s_cbranch_vccnz .LBB315_3478
; %bb.3470:
	s_cmp_lt_i32 s2, 6
	s_mov_b32 s6, -1
	s_cbranch_scc1 .LBB315_3476
; %bb.3471:
	s_cmp_gt_i32 s2, 6
	s_cbranch_scc0 .LBB315_3473
; %bb.3472:
	s_wait_xcnt 0x0
	v_cndmask_b32_e64 v1, 0, 1, s1
	s_mov_b32 s6, 0
	s_delay_alu instid0(VALU_DEP_1)
	v_cvt_f64_u32_e32 v[6:7], v1
	global_store_b64 v[2:3], v[6:7], off
.LBB315_3473:
	s_and_not1_b32 vcc_lo, exec_lo, s6
	s_cbranch_vccnz .LBB315_3475
; %bb.3474:
	s_wait_xcnt 0x0
	v_cndmask_b32_e64 v1, 0, 1.0, s1
	global_store_b32 v[2:3], v1, off
.LBB315_3475:
	s_mov_b32 s6, 0
.LBB315_3476:
	s_delay_alu instid0(SALU_CYCLE_1)
	s_and_not1_b32 vcc_lo, exec_lo, s6
	s_cbranch_vccnz .LBB315_3478
; %bb.3477:
	s_wait_xcnt 0x0
	v_cndmask_b32_e64 v1, 0, 1.0, s1
	s_delay_alu instid0(VALU_DEP_1)
	v_cvt_f16_f32_e32 v1, v1
	global_store_b16 v[2:3], v1, off
.LBB315_3478:
	s_mov_b32 s6, 0
.LBB315_3479:
	s_delay_alu instid0(SALU_CYCLE_1)
	s_and_not1_b32 vcc_lo, exec_lo, s6
	s_cbranch_vccnz .LBB315_3495
; %bb.3480:
	s_cmp_lt_i32 s2, 2
	s_mov_b32 s6, -1
	s_cbranch_scc1 .LBB315_3490
; %bb.3481:
	s_cmp_lt_i32 s2, 3
	s_cbranch_scc1 .LBB315_3487
; %bb.3482:
	s_cmp_gt_i32 s2, 3
	s_cbranch_scc0 .LBB315_3484
; %bb.3483:
	s_mov_b32 s6, 0
	s_wait_xcnt 0x0
	v_cndmask_b32_e64 v6, 0, 1, s1
	v_mov_b32_e32 v7, s6
	global_store_b64 v[2:3], v[6:7], off
.LBB315_3484:
	s_and_not1_b32 vcc_lo, exec_lo, s6
	s_cbranch_vccnz .LBB315_3486
; %bb.3485:
	s_wait_xcnt 0x0
	v_cndmask_b32_e64 v1, 0, 1, s1
	global_store_b32 v[2:3], v1, off
.LBB315_3486:
	s_mov_b32 s6, 0
.LBB315_3487:
	s_delay_alu instid0(SALU_CYCLE_1)
	s_and_not1_b32 vcc_lo, exec_lo, s6
	s_cbranch_vccnz .LBB315_3489
; %bb.3488:
	s_wait_xcnt 0x0
	v_cndmask_b32_e64 v1, 0, 1, s1
	global_store_b16 v[2:3], v1, off
.LBB315_3489:
	s_mov_b32 s6, 0
.LBB315_3490:
	s_delay_alu instid0(SALU_CYCLE_1)
	s_and_not1_b32 vcc_lo, exec_lo, s6
	s_cbranch_vccnz .LBB315_3495
; %bb.3491:
	s_wait_xcnt 0x0
	v_cndmask_b32_e64 v1, 0, 1, s1
	s_cmp_gt_i32 s2, 0
	s_mov_b32 s1, -1
	s_cbranch_scc0 .LBB315_3493
; %bb.3492:
	s_mov_b32 s1, 0
	global_store_b8 v[2:3], v1, off
.LBB315_3493:
	s_and_not1_b32 vcc_lo, exec_lo, s1
	s_cbranch_vccnz .LBB315_3495
; %bb.3494:
	global_store_b8 v[2:3], v1, off
.LBB315_3495:
.LBB315_3496:
	s_wait_xcnt 0x0
	v_and_b32_e32 v1, 0xff, v11
	v_and_b32_e32 v2, 0xff, v12
	v_add_nc_u32_e32 v0, s3, v0
	s_mov_b32 s8, 0
	s_cmp_lt_i32 s19, 11
	s_delay_alu instid0(VALU_DEP_2) | instskip(SKIP_2) | instid1(VALU_DEP_2)
	v_dual_lshlrev_b32 v3, 23, v1 :: v_dual_lshlrev_b32 v6, 23, v2
	v_cmp_ne_u16_e32 vcc_lo, 0xff, v1
	s_mov_b32 s2, -1
	v_cndmask_b32_e32 v3, 0x7f800001, v3, vcc_lo
	v_cmp_ne_u16_e32 vcc_lo, 0xff, v2
	v_cndmask_b32_e32 v6, 0x7f800001, v6, vcc_lo
	v_cmp_ne_u16_e32 vcc_lo, 0, v1
	s_delay_alu instid0(VALU_DEP_4) | instskip(SKIP_1) | instid1(VALU_DEP_4)
	v_cndmask_b32_e32 v1, 0x400000, v3, vcc_lo
	v_cmp_ne_u16_e32 vcc_lo, 0, v2
	v_cndmask_b32_e32 v2, 0x400000, v6, vcc_lo
	s_delay_alu instid0(VALU_DEP_1) | instskip(SKIP_3) | instid1(VALU_DEP_1)
	v_cmp_eq_f32_e32 vcc_lo, v1, v2
	v_cndmask_b32_e64 v3, 0, 1, vcc_lo
	v_cmp_neq_f32_e32 vcc_lo, v1, v2
	v_cndmask_b32_e64 v1, 0, 1, vcc_lo
	v_dual_cndmask_b32 v2, v1, v3, s0 :: v_dual_ashrrev_i32 v1, 31, v0
	s_delay_alu instid0(VALU_DEP_1) | instskip(NEXT) | instid1(VALU_DEP_2)
	v_and_b32_e32 v6, 1, v2
	v_add_nc_u64_e32 v[2:3], s[4:5], v[0:1]
	s_delay_alu instid0(VALU_DEP_2)
	v_cmp_eq_u32_e64 s1, 1, v6
	s_cbranch_scc1 .LBB315_3651
; %bb.3497:
	s_and_b32 s6, 0xffff, s19
	s_mov_b32 s9, -1
	s_mov_b32 s7, 0
	s_cmp_gt_i32 s6, 25
	s_mov_b32 s2, 0
	s_cbranch_scc0 .LBB315_3530
; %bb.3498:
	s_cmp_gt_i32 s6, 28
	s_cbranch_scc0 .LBB315_3513
; %bb.3499:
	s_cmp_gt_i32 s6, 43
	;; [unrolled: 3-line block ×3, first 2 shown]
	s_cbranch_scc0 .LBB315_3503
; %bb.3501:
	s_mov_b32 s2, -1
	s_mov_b32 s9, 0
	s_cmp_eq_u32 s6, 46
	s_cbranch_scc0 .LBB315_3503
; %bb.3502:
	v_cndmask_b32_e64 v1, 0, 1.0, s1
	s_mov_b32 s2, 0
	s_mov_b32 s8, -1
	s_delay_alu instid0(VALU_DEP_1) | instskip(NEXT) | instid1(VALU_DEP_1)
	v_bfe_u32 v6, v1, 16, 1
	v_add3_u32 v1, v1, v6, 0x7fff
	s_delay_alu instid0(VALU_DEP_1)
	v_lshrrev_b32_e32 v1, 16, v1
	global_store_b32 v[2:3], v1, off
.LBB315_3503:
	s_and_b32 vcc_lo, exec_lo, s9
	s_cbranch_vccz .LBB315_3508
; %bb.3504:
	s_cmp_eq_u32 s6, 44
	s_mov_b32 s2, -1
	s_cbranch_scc0 .LBB315_3508
; %bb.3505:
	v_cndmask_b32_e64 v7, 0, 1.0, s1
	s_mov_b32 s8, exec_lo
	s_wait_xcnt 0x0
	s_delay_alu instid0(VALU_DEP_1) | instskip(NEXT) | instid1(VALU_DEP_1)
	v_dual_mov_b32 v6, 0xff :: v_dual_lshrrev_b32 v1, 23, v7
	v_cmpx_ne_u32_e32 0xff, v1
; %bb.3506:
	v_and_b32_e32 v6, 0x400000, v7
	v_and_or_b32 v7, 0x3fffff, v7, v1
	s_delay_alu instid0(VALU_DEP_2) | instskip(NEXT) | instid1(VALU_DEP_2)
	v_cmp_ne_u32_e32 vcc_lo, 0, v6
	v_cmp_ne_u32_e64 s2, 0, v7
	s_and_b32 s2, vcc_lo, s2
	s_delay_alu instid0(SALU_CYCLE_1) | instskip(NEXT) | instid1(VALU_DEP_1)
	v_cndmask_b32_e64 v6, 0, 1, s2
	v_add_nc_u32_e32 v6, v1, v6
; %bb.3507:
	s_or_b32 exec_lo, exec_lo, s8
	s_mov_b32 s2, 0
	s_mov_b32 s8, -1
	global_store_b8 v[2:3], v6, off
.LBB315_3508:
	s_mov_b32 s9, 0
.LBB315_3509:
	s_delay_alu instid0(SALU_CYCLE_1)
	s_and_b32 vcc_lo, exec_lo, s9
	s_cbranch_vccz .LBB315_3512
; %bb.3510:
	s_cmp_eq_u32 s6, 29
	s_mov_b32 s2, -1
	s_cbranch_scc0 .LBB315_3512
; %bb.3511:
	s_mov_b32 s2, 0
	s_wait_xcnt 0x0
	v_cndmask_b32_e64 v6, 0, 1, s1
	v_mov_b32_e32 v7, s2
	s_mov_b32 s8, -1
	global_store_b64 v[2:3], v[6:7], off
.LBB315_3512:
	s_mov_b32 s9, 0
.LBB315_3513:
	s_delay_alu instid0(SALU_CYCLE_1)
	s_and_b32 vcc_lo, exec_lo, s9
	s_cbranch_vccz .LBB315_3529
; %bb.3514:
	s_cmp_lt_i32 s6, 27
	s_mov_b32 s8, -1
	s_cbranch_scc1 .LBB315_3520
; %bb.3515:
	s_cmp_gt_i32 s6, 27
	s_cbranch_scc0 .LBB315_3517
; %bb.3516:
	s_wait_xcnt 0x0
	v_cndmask_b32_e64 v1, 0, 1, s1
	s_mov_b32 s8, 0
	global_store_b32 v[2:3], v1, off
.LBB315_3517:
	s_and_not1_b32 vcc_lo, exec_lo, s8
	s_cbranch_vccnz .LBB315_3519
; %bb.3518:
	s_wait_xcnt 0x0
	v_cndmask_b32_e64 v1, 0, 1, s1
	global_store_b16 v[2:3], v1, off
.LBB315_3519:
	s_mov_b32 s8, 0
.LBB315_3520:
	s_delay_alu instid0(SALU_CYCLE_1)
	s_and_not1_b32 vcc_lo, exec_lo, s8
	s_cbranch_vccnz .LBB315_3528
; %bb.3521:
	s_wait_xcnt 0x0
	v_cndmask_b32_e64 v6, 0, 1.0, s1
	v_mov_b32_e32 v7, 0x80
	s_mov_b32 s8, exec_lo
	s_delay_alu instid0(VALU_DEP_2)
	v_cmpx_gt_u32_e32 0x43800000, v6
	s_cbranch_execz .LBB315_3527
; %bb.3522:
	s_mov_b32 s9, 0
	s_mov_b32 s10, exec_lo
                                        ; implicit-def: $vgpr1
	v_cmpx_lt_u32_e32 0x3bffffff, v6
	s_xor_b32 s10, exec_lo, s10
	s_cbranch_execz .LBB315_3743
; %bb.3523:
	v_bfe_u32 v1, v6, 20, 1
	s_mov_b32 s9, exec_lo
	s_delay_alu instid0(VALU_DEP_1) | instskip(NEXT) | instid1(VALU_DEP_1)
	v_add3_u32 v1, v6, v1, 0x487ffff
                                        ; implicit-def: $vgpr6
	v_lshrrev_b32_e32 v1, 20, v1
	s_and_not1_saveexec_b32 s10, s10
	s_cbranch_execnz .LBB315_3744
.LBB315_3524:
	s_or_b32 exec_lo, exec_lo, s10
	v_mov_b32_e32 v7, 0
	s_and_saveexec_b32 s10, s9
.LBB315_3525:
	v_mov_b32_e32 v7, v1
.LBB315_3526:
	s_or_b32 exec_lo, exec_lo, s10
.LBB315_3527:
	s_delay_alu instid0(SALU_CYCLE_1)
	s_or_b32 exec_lo, exec_lo, s8
	global_store_b8 v[2:3], v7, off
.LBB315_3528:
	s_mov_b32 s8, -1
.LBB315_3529:
	s_mov_b32 s9, 0
.LBB315_3530:
	s_delay_alu instid0(SALU_CYCLE_1)
	s_and_b32 vcc_lo, exec_lo, s9
	s_cbranch_vccz .LBB315_3570
; %bb.3531:
	s_cmp_gt_i32 s6, 22
	s_mov_b32 s7, -1
	s_cbranch_scc0 .LBB315_3563
; %bb.3532:
	s_cmp_lt_i32 s6, 24
	s_cbranch_scc1 .LBB315_3552
; %bb.3533:
	s_cmp_gt_i32 s6, 24
	s_cbranch_scc0 .LBB315_3541
; %bb.3534:
	s_wait_xcnt 0x0
	v_cndmask_b32_e64 v6, 0, 1.0, s1
	v_mov_b32_e32 v7, 0x80
	s_mov_b32 s7, exec_lo
	s_delay_alu instid0(VALU_DEP_2)
	v_cmpx_gt_u32_e32 0x47800000, v6
	s_cbranch_execz .LBB315_3540
; %bb.3535:
	s_mov_b32 s8, 0
	s_mov_b32 s9, exec_lo
                                        ; implicit-def: $vgpr1
	v_cmpx_lt_u32_e32 0x37ffffff, v6
	s_xor_b32 s9, exec_lo, s9
	s_cbranch_execz .LBB315_3746
; %bb.3536:
	v_bfe_u32 v1, v6, 21, 1
	s_mov_b32 s8, exec_lo
	s_delay_alu instid0(VALU_DEP_1) | instskip(NEXT) | instid1(VALU_DEP_1)
	v_add3_u32 v1, v6, v1, 0x88fffff
                                        ; implicit-def: $vgpr6
	v_lshrrev_b32_e32 v1, 21, v1
	s_and_not1_saveexec_b32 s9, s9
	s_cbranch_execnz .LBB315_3747
.LBB315_3537:
	s_or_b32 exec_lo, exec_lo, s9
	v_mov_b32_e32 v7, 0
	s_and_saveexec_b32 s9, s8
.LBB315_3538:
	v_mov_b32_e32 v7, v1
.LBB315_3539:
	s_or_b32 exec_lo, exec_lo, s9
.LBB315_3540:
	s_delay_alu instid0(SALU_CYCLE_1)
	s_or_b32 exec_lo, exec_lo, s7
	s_mov_b32 s7, 0
	global_store_b8 v[2:3], v7, off
.LBB315_3541:
	s_and_b32 vcc_lo, exec_lo, s7
	s_cbranch_vccz .LBB315_3551
; %bb.3542:
	s_wait_xcnt 0x0
	v_cndmask_b32_e64 v6, 0, 1.0, s1
	s_mov_b32 s7, exec_lo
                                        ; implicit-def: $vgpr1
	s_delay_alu instid0(VALU_DEP_1)
	v_cmpx_gt_u32_e32 0x43f00000, v6
	s_xor_b32 s7, exec_lo, s7
	s_cbranch_execz .LBB315_3548
; %bb.3543:
	s_mov_b32 s8, exec_lo
                                        ; implicit-def: $vgpr1
	v_cmpx_lt_u32_e32 0x3c7fffff, v6
	s_xor_b32 s8, exec_lo, s8
; %bb.3544:
	v_bfe_u32 v1, v6, 20, 1
	s_delay_alu instid0(VALU_DEP_1) | instskip(NEXT) | instid1(VALU_DEP_1)
	v_add3_u32 v1, v6, v1, 0x407ffff
	v_and_b32_e32 v6, 0xff00000, v1
	v_lshrrev_b32_e32 v1, 20, v1
	s_delay_alu instid0(VALU_DEP_2) | instskip(NEXT) | instid1(VALU_DEP_2)
	v_cmp_ne_u32_e32 vcc_lo, 0x7f00000, v6
                                        ; implicit-def: $vgpr6
	v_cndmask_b32_e32 v1, 0x7e, v1, vcc_lo
; %bb.3545:
	s_and_not1_saveexec_b32 s8, s8
; %bb.3546:
	v_add_f32_e32 v1, 0x46800000, v6
; %bb.3547:
	s_or_b32 exec_lo, exec_lo, s8
                                        ; implicit-def: $vgpr6
.LBB315_3548:
	s_and_not1_saveexec_b32 s7, s7
; %bb.3549:
	v_mov_b32_e32 v1, 0x7f
	v_cmp_lt_u32_e32 vcc_lo, 0x7f800000, v6
	s_delay_alu instid0(VALU_DEP_2)
	v_cndmask_b32_e32 v1, 0x7e, v1, vcc_lo
; %bb.3550:
	s_or_b32 exec_lo, exec_lo, s7
	global_store_b8 v[2:3], v1, off
.LBB315_3551:
	s_mov_b32 s7, 0
.LBB315_3552:
	s_delay_alu instid0(SALU_CYCLE_1)
	s_and_not1_b32 vcc_lo, exec_lo, s7
	s_cbranch_vccnz .LBB315_3562
; %bb.3553:
	s_wait_xcnt 0x0
	v_cndmask_b32_e64 v6, 0, 1.0, s1
	s_mov_b32 s7, exec_lo
                                        ; implicit-def: $vgpr1
	s_delay_alu instid0(VALU_DEP_1)
	v_cmpx_gt_u32_e32 0x47800000, v6
	s_xor_b32 s7, exec_lo, s7
	s_cbranch_execz .LBB315_3559
; %bb.3554:
	s_mov_b32 s8, exec_lo
                                        ; implicit-def: $vgpr1
	v_cmpx_lt_u32_e32 0x387fffff, v6
	s_xor_b32 s8, exec_lo, s8
; %bb.3555:
	v_bfe_u32 v1, v6, 21, 1
	s_delay_alu instid0(VALU_DEP_1) | instskip(NEXT) | instid1(VALU_DEP_1)
	v_add3_u32 v1, v6, v1, 0x80fffff
                                        ; implicit-def: $vgpr6
	v_lshrrev_b32_e32 v1, 21, v1
; %bb.3556:
	s_and_not1_saveexec_b32 s8, s8
; %bb.3557:
	v_add_f32_e32 v1, 0x43000000, v6
; %bb.3558:
	s_or_b32 exec_lo, exec_lo, s8
                                        ; implicit-def: $vgpr6
.LBB315_3559:
	s_and_not1_saveexec_b32 s7, s7
; %bb.3560:
	v_mov_b32_e32 v1, 0x7f
	v_cmp_lt_u32_e32 vcc_lo, 0x7f800000, v6
	s_delay_alu instid0(VALU_DEP_2)
	v_cndmask_b32_e32 v1, 0x7c, v1, vcc_lo
; %bb.3561:
	s_or_b32 exec_lo, exec_lo, s7
	global_store_b8 v[2:3], v1, off
.LBB315_3562:
	s_mov_b32 s7, 0
	s_mov_b32 s8, -1
.LBB315_3563:
	s_and_not1_b32 vcc_lo, exec_lo, s7
	s_mov_b32 s7, 0
	s_cbranch_vccnz .LBB315_3570
; %bb.3564:
	s_cmp_gt_i32 s6, 14
	s_mov_b32 s7, -1
	s_cbranch_scc0 .LBB315_3568
; %bb.3565:
	s_cmp_eq_u32 s6, 15
	s_mov_b32 s2, -1
	s_cbranch_scc0 .LBB315_3567
; %bb.3566:
	s_wait_xcnt 0x0
	v_cndmask_b32_e64 v1, 0, 1.0, s1
	s_mov_b32 s2, 0
	s_mov_b32 s8, -1
	s_delay_alu instid0(VALU_DEP_1) | instskip(NEXT) | instid1(VALU_DEP_1)
	v_bfe_u32 v6, v1, 16, 1
	v_add3_u32 v1, v1, v6, 0x7fff
	global_store_d16_hi_b16 v[2:3], v1, off
.LBB315_3567:
	s_mov_b32 s7, 0
.LBB315_3568:
	s_delay_alu instid0(SALU_CYCLE_1)
	s_and_b32 vcc_lo, exec_lo, s7
	s_mov_b32 s7, 0
	s_cbranch_vccz .LBB315_3570
; %bb.3569:
	s_cmp_lg_u32 s6, 11
	s_mov_b32 s7, -1
	s_cselect_b32 s2, -1, 0
.LBB315_3570:
	s_delay_alu instid0(SALU_CYCLE_1)
	s_and_b32 vcc_lo, exec_lo, s2
	s_cbranch_vccnz .LBB315_3745
; %bb.3571:
	s_and_not1_b32 vcc_lo, exec_lo, s7
	s_cbranch_vccnz .LBB315_3573
.LBB315_3572:
	s_wait_xcnt 0x0
	v_cndmask_b32_e64 v1, 0, 1, s1
	s_mov_b32 s8, -1
	global_store_b8 v[2:3], v1, off
.LBB315_3573:
.LBB315_3574:
	s_and_not1_b32 vcc_lo, exec_lo, s8
	s_cbranch_vccnz .LBB315_3690
.LBB315_3575:
	s_wait_xcnt 0x0
	v_and_b32_e32 v1, 0xff, v4
	v_and_b32_e32 v2, 0xff, v5
	s_cmp_lt_i32 s19, 11
	s_delay_alu instid0(VALU_DEP_1) | instskip(SKIP_1) | instid1(VALU_DEP_2)
	v_dual_lshlrev_b32 v3, 23, v1 :: v_dual_lshlrev_b32 v4, 23, v2
	v_cmp_ne_u16_e32 vcc_lo, 0xff, v1
	v_cndmask_b32_e32 v3, 0x7f800001, v3, vcc_lo
	v_cmp_ne_u16_e32 vcc_lo, 0xff, v2
	s_delay_alu instid0(VALU_DEP_4) | instskip(SKIP_1) | instid1(VALU_DEP_4)
	v_cndmask_b32_e32 v4, 0x7f800001, v4, vcc_lo
	v_cmp_ne_u16_e32 vcc_lo, 0, v1
	v_cndmask_b32_e32 v1, 0x400000, v3, vcc_lo
	v_cmp_ne_u16_e32 vcc_lo, 0, v2
	s_delay_alu instid0(VALU_DEP_4) | instskip(NEXT) | instid1(VALU_DEP_1)
	v_cndmask_b32_e32 v2, 0x400000, v4, vcc_lo
	v_cmp_eq_f32_e32 vcc_lo, v1, v2
	v_cndmask_b32_e64 v3, 0, 1, vcc_lo
	v_cmp_neq_f32_e32 vcc_lo, v1, v2
	v_cndmask_b32_e64 v1, 0, 1, vcc_lo
	v_add_nc_u32_e32 v0, s3, v0
	s_mov_b32 s3, 0
	s_delay_alu instid0(VALU_DEP_1) | instskip(SKIP_1) | instid1(VALU_DEP_1)
	v_dual_cndmask_b32 v2, v1, v3, s0 :: v_dual_ashrrev_i32 v1, 31, v0
	s_mov_b32 s0, -1
	v_and_b32_e32 v2, 1, v2
	s_delay_alu instid0(VALU_DEP_2) | instskip(NEXT) | instid1(VALU_DEP_2)
	v_add_nc_u64_e32 v[0:1], s[4:5], v[0:1]
	v_cmp_eq_u32_e64 s1, 1, v2
	s_cbranch_scc1 .LBB315_3691
; %bb.3576:
	s_and_b32 s2, 0xffff, s19
	s_mov_b32 s4, -1
	s_cmp_gt_i32 s2, 25
	s_mov_b32 s0, 0
	s_cbranch_scc0 .LBB315_3609
; %bb.3577:
	s_cmp_gt_i32 s2, 28
	s_cbranch_scc0 .LBB315_3593
; %bb.3578:
	s_cmp_gt_i32 s2, 43
	;; [unrolled: 3-line block ×3, first 2 shown]
	s_cbranch_scc0 .LBB315_3583
; %bb.3580:
	s_cmp_eq_u32 s2, 46
	s_mov_b32 s0, -1
	s_cbranch_scc0 .LBB315_3582
; %bb.3581:
	v_cndmask_b32_e64 v2, 0, 1.0, s1
	s_mov_b32 s0, 0
	s_delay_alu instid0(VALU_DEP_1) | instskip(NEXT) | instid1(VALU_DEP_1)
	v_bfe_u32 v3, v2, 16, 1
	v_add3_u32 v2, v2, v3, 0x7fff
	s_delay_alu instid0(VALU_DEP_1)
	v_lshrrev_b32_e32 v2, 16, v2
	global_store_b32 v[0:1], v2, off
.LBB315_3582:
	s_mov_b32 s4, 0
.LBB315_3583:
	s_delay_alu instid0(SALU_CYCLE_1)
	s_and_b32 vcc_lo, exec_lo, s4
	s_cbranch_vccz .LBB315_3588
; %bb.3584:
	s_cmp_eq_u32 s2, 44
	s_mov_b32 s0, -1
	s_cbranch_scc0 .LBB315_3588
; %bb.3585:
	v_cndmask_b32_e64 v4, 0, 1.0, s1
	s_mov_b32 s4, exec_lo
	s_wait_xcnt 0x0
	s_delay_alu instid0(VALU_DEP_1) | instskip(NEXT) | instid1(VALU_DEP_1)
	v_dual_mov_b32 v3, 0xff :: v_dual_lshrrev_b32 v2, 23, v4
	v_cmpx_ne_u32_e32 0xff, v2
; %bb.3586:
	v_and_b32_e32 v3, 0x400000, v4
	v_and_or_b32 v4, 0x3fffff, v4, v2
	s_delay_alu instid0(VALU_DEP_2) | instskip(NEXT) | instid1(VALU_DEP_2)
	v_cmp_ne_u32_e32 vcc_lo, 0, v3
	v_cmp_ne_u32_e64 s0, 0, v4
	s_and_b32 s0, vcc_lo, s0
	s_delay_alu instid0(SALU_CYCLE_1) | instskip(NEXT) | instid1(VALU_DEP_1)
	v_cndmask_b32_e64 v3, 0, 1, s0
	v_add_nc_u32_e32 v3, v2, v3
; %bb.3587:
	s_or_b32 exec_lo, exec_lo, s4
	s_mov_b32 s0, 0
	global_store_b8 v[0:1], v3, off
.LBB315_3588:
	s_mov_b32 s4, 0
.LBB315_3589:
	s_delay_alu instid0(SALU_CYCLE_1)
	s_and_b32 vcc_lo, exec_lo, s4
	s_cbranch_vccz .LBB315_3592
; %bb.3590:
	s_cmp_eq_u32 s2, 29
	s_mov_b32 s0, -1
	s_cbranch_scc0 .LBB315_3592
; %bb.3591:
	s_mov_b32 s0, 0
	s_wait_xcnt 0x0
	v_cndmask_b32_e64 v2, 0, 1, s1
	v_mov_b32_e32 v3, s0
	global_store_b64 v[0:1], v[2:3], off
.LBB315_3592:
	s_mov_b32 s4, 0
.LBB315_3593:
	s_delay_alu instid0(SALU_CYCLE_1)
	s_and_b32 vcc_lo, exec_lo, s4
	s_cbranch_vccz .LBB315_3608
; %bb.3594:
	s_cmp_lt_i32 s2, 27
	s_mov_b32 s4, -1
	s_cbranch_scc1 .LBB315_3600
; %bb.3595:
	s_wait_xcnt 0x0
	v_cndmask_b32_e64 v2, 0, 1, s1
	s_cmp_gt_i32 s2, 27
	s_cbranch_scc0 .LBB315_3597
; %bb.3596:
	s_mov_b32 s4, 0
	global_store_b32 v[0:1], v2, off
.LBB315_3597:
	s_and_not1_b32 vcc_lo, exec_lo, s4
	s_cbranch_vccnz .LBB315_3599
; %bb.3598:
	global_store_b16 v[0:1], v2, off
.LBB315_3599:
	s_mov_b32 s4, 0
.LBB315_3600:
	s_delay_alu instid0(SALU_CYCLE_1)
	s_and_not1_b32 vcc_lo, exec_lo, s4
	s_cbranch_vccnz .LBB315_3608
; %bb.3601:
	s_wait_xcnt 0x0
	v_cndmask_b32_e64 v3, 0, 1.0, s1
	v_mov_b32_e32 v4, 0x80
	s_mov_b32 s4, exec_lo
	s_delay_alu instid0(VALU_DEP_2)
	v_cmpx_gt_u32_e32 0x43800000, v3
	s_cbranch_execz .LBB315_3607
; %bb.3602:
	s_mov_b32 s5, 0
	s_mov_b32 s6, exec_lo
                                        ; implicit-def: $vgpr2
	v_cmpx_lt_u32_e32 0x3bffffff, v3
	s_xor_b32 s6, exec_lo, s6
	s_cbranch_execz .LBB315_3748
; %bb.3603:
	v_bfe_u32 v2, v3, 20, 1
	s_mov_b32 s5, exec_lo
	s_delay_alu instid0(VALU_DEP_1) | instskip(NEXT) | instid1(VALU_DEP_1)
	v_add3_u32 v2, v3, v2, 0x487ffff
                                        ; implicit-def: $vgpr3
	v_lshrrev_b32_e32 v2, 20, v2
	s_and_not1_saveexec_b32 s6, s6
	s_cbranch_execnz .LBB315_3749
.LBB315_3604:
	s_or_b32 exec_lo, exec_lo, s6
	v_mov_b32_e32 v4, 0
	s_and_saveexec_b32 s6, s5
.LBB315_3605:
	v_mov_b32_e32 v4, v2
.LBB315_3606:
	s_or_b32 exec_lo, exec_lo, s6
.LBB315_3607:
	s_delay_alu instid0(SALU_CYCLE_1)
	s_or_b32 exec_lo, exec_lo, s4
	global_store_b8 v[0:1], v4, off
.LBB315_3608:
	s_mov_b32 s4, 0
.LBB315_3609:
	s_delay_alu instid0(SALU_CYCLE_1)
	s_and_b32 vcc_lo, exec_lo, s4
	s_cbranch_vccz .LBB315_3649
; %bb.3610:
	s_cmp_gt_i32 s2, 22
	s_mov_b32 s3, -1
	s_cbranch_scc0 .LBB315_3642
; %bb.3611:
	s_cmp_lt_i32 s2, 24
	s_cbranch_scc1 .LBB315_3631
; %bb.3612:
	s_cmp_gt_i32 s2, 24
	s_cbranch_scc0 .LBB315_3620
; %bb.3613:
	s_wait_xcnt 0x0
	v_cndmask_b32_e64 v3, 0, 1.0, s1
	v_mov_b32_e32 v4, 0x80
	s_mov_b32 s3, exec_lo
	s_delay_alu instid0(VALU_DEP_2)
	v_cmpx_gt_u32_e32 0x47800000, v3
	s_cbranch_execz .LBB315_3619
; %bb.3614:
	s_mov_b32 s4, 0
	s_mov_b32 s5, exec_lo
                                        ; implicit-def: $vgpr2
	v_cmpx_lt_u32_e32 0x37ffffff, v3
	s_xor_b32 s5, exec_lo, s5
	s_cbranch_execz .LBB315_3751
; %bb.3615:
	v_bfe_u32 v2, v3, 21, 1
	s_mov_b32 s4, exec_lo
	s_delay_alu instid0(VALU_DEP_1) | instskip(NEXT) | instid1(VALU_DEP_1)
	v_add3_u32 v2, v3, v2, 0x88fffff
                                        ; implicit-def: $vgpr3
	v_lshrrev_b32_e32 v2, 21, v2
	s_and_not1_saveexec_b32 s5, s5
	s_cbranch_execnz .LBB315_3752
.LBB315_3616:
	s_or_b32 exec_lo, exec_lo, s5
	v_mov_b32_e32 v4, 0
	s_and_saveexec_b32 s5, s4
.LBB315_3617:
	v_mov_b32_e32 v4, v2
.LBB315_3618:
	s_or_b32 exec_lo, exec_lo, s5
.LBB315_3619:
	s_delay_alu instid0(SALU_CYCLE_1)
	s_or_b32 exec_lo, exec_lo, s3
	s_mov_b32 s3, 0
	global_store_b8 v[0:1], v4, off
.LBB315_3620:
	s_and_b32 vcc_lo, exec_lo, s3
	s_cbranch_vccz .LBB315_3630
; %bb.3621:
	s_wait_xcnt 0x0
	v_cndmask_b32_e64 v3, 0, 1.0, s1
	s_mov_b32 s3, exec_lo
                                        ; implicit-def: $vgpr2
	s_delay_alu instid0(VALU_DEP_1)
	v_cmpx_gt_u32_e32 0x43f00000, v3
	s_xor_b32 s3, exec_lo, s3
	s_cbranch_execz .LBB315_3627
; %bb.3622:
	s_mov_b32 s4, exec_lo
                                        ; implicit-def: $vgpr2
	v_cmpx_lt_u32_e32 0x3c7fffff, v3
	s_xor_b32 s4, exec_lo, s4
; %bb.3623:
	v_bfe_u32 v2, v3, 20, 1
	s_delay_alu instid0(VALU_DEP_1) | instskip(NEXT) | instid1(VALU_DEP_1)
	v_add3_u32 v2, v3, v2, 0x407ffff
	v_and_b32_e32 v3, 0xff00000, v2
	v_lshrrev_b32_e32 v2, 20, v2
	s_delay_alu instid0(VALU_DEP_2) | instskip(NEXT) | instid1(VALU_DEP_2)
	v_cmp_ne_u32_e32 vcc_lo, 0x7f00000, v3
                                        ; implicit-def: $vgpr3
	v_cndmask_b32_e32 v2, 0x7e, v2, vcc_lo
; %bb.3624:
	s_and_not1_saveexec_b32 s4, s4
; %bb.3625:
	v_add_f32_e32 v2, 0x46800000, v3
; %bb.3626:
	s_or_b32 exec_lo, exec_lo, s4
                                        ; implicit-def: $vgpr3
.LBB315_3627:
	s_and_not1_saveexec_b32 s3, s3
; %bb.3628:
	v_mov_b32_e32 v2, 0x7f
	v_cmp_lt_u32_e32 vcc_lo, 0x7f800000, v3
	s_delay_alu instid0(VALU_DEP_2)
	v_cndmask_b32_e32 v2, 0x7e, v2, vcc_lo
; %bb.3629:
	s_or_b32 exec_lo, exec_lo, s3
	global_store_b8 v[0:1], v2, off
.LBB315_3630:
	s_mov_b32 s3, 0
.LBB315_3631:
	s_delay_alu instid0(SALU_CYCLE_1)
	s_and_not1_b32 vcc_lo, exec_lo, s3
	s_cbranch_vccnz .LBB315_3641
; %bb.3632:
	s_wait_xcnt 0x0
	v_cndmask_b32_e64 v3, 0, 1.0, s1
	s_mov_b32 s3, exec_lo
                                        ; implicit-def: $vgpr2
	s_delay_alu instid0(VALU_DEP_1)
	v_cmpx_gt_u32_e32 0x47800000, v3
	s_xor_b32 s3, exec_lo, s3
	s_cbranch_execz .LBB315_3638
; %bb.3633:
	s_mov_b32 s4, exec_lo
                                        ; implicit-def: $vgpr2
	v_cmpx_lt_u32_e32 0x387fffff, v3
	s_xor_b32 s4, exec_lo, s4
; %bb.3634:
	v_bfe_u32 v2, v3, 21, 1
	s_delay_alu instid0(VALU_DEP_1) | instskip(NEXT) | instid1(VALU_DEP_1)
	v_add3_u32 v2, v3, v2, 0x80fffff
                                        ; implicit-def: $vgpr3
	v_lshrrev_b32_e32 v2, 21, v2
; %bb.3635:
	s_and_not1_saveexec_b32 s4, s4
; %bb.3636:
	v_add_f32_e32 v2, 0x43000000, v3
; %bb.3637:
	s_or_b32 exec_lo, exec_lo, s4
                                        ; implicit-def: $vgpr3
.LBB315_3638:
	s_and_not1_saveexec_b32 s3, s3
; %bb.3639:
	v_mov_b32_e32 v2, 0x7f
	v_cmp_lt_u32_e32 vcc_lo, 0x7f800000, v3
	s_delay_alu instid0(VALU_DEP_2)
	v_cndmask_b32_e32 v2, 0x7c, v2, vcc_lo
; %bb.3640:
	s_or_b32 exec_lo, exec_lo, s3
	global_store_b8 v[0:1], v2, off
.LBB315_3641:
	s_mov_b32 s3, 0
.LBB315_3642:
	s_delay_alu instid0(SALU_CYCLE_1)
	s_and_not1_b32 vcc_lo, exec_lo, s3
	s_mov_b32 s3, 0
	s_cbranch_vccnz .LBB315_3649
; %bb.3643:
	s_cmp_gt_i32 s2, 14
	s_mov_b32 s3, -1
	s_cbranch_scc0 .LBB315_3647
; %bb.3644:
	s_cmp_eq_u32 s2, 15
	s_mov_b32 s0, -1
	s_cbranch_scc0 .LBB315_3646
; %bb.3645:
	s_wait_xcnt 0x0
	v_cndmask_b32_e64 v2, 0, 1.0, s1
	s_mov_b32 s0, 0
	s_delay_alu instid0(VALU_DEP_1) | instskip(NEXT) | instid1(VALU_DEP_1)
	v_bfe_u32 v3, v2, 16, 1
	v_add3_u32 v2, v2, v3, 0x7fff
	global_store_d16_hi_b16 v[0:1], v2, off
.LBB315_3646:
	s_mov_b32 s3, 0
.LBB315_3647:
	s_delay_alu instid0(SALU_CYCLE_1)
	s_and_b32 vcc_lo, exec_lo, s3
	s_mov_b32 s3, 0
	s_cbranch_vccz .LBB315_3649
; %bb.3648:
	s_cmp_lg_u32 s2, 11
	s_mov_b32 s3, -1
	s_cselect_b32 s0, -1, 0
.LBB315_3649:
	s_delay_alu instid0(SALU_CYCLE_1)
	s_and_b32 vcc_lo, exec_lo, s0
	s_cbranch_vccnz .LBB315_3750
.LBB315_3650:
	s_mov_b32 s0, 0
	s_branch .LBB315_3691
.LBB315_3651:
	s_and_b32 vcc_lo, exec_lo, s2
	s_cbranch_vccz .LBB315_3574
; %bb.3652:
	s_and_b32 s2, 0xffff, s19
	s_mov_b32 s6, -1
	s_cmp_lt_i32 s2, 5
	s_cbranch_scc1 .LBB315_3673
; %bb.3653:
	s_cmp_lt_i32 s2, 8
	s_cbranch_scc1 .LBB315_3663
; %bb.3654:
	;; [unrolled: 3-line block ×3, first 2 shown]
	s_cmp_gt_i32 s2, 9
	s_cbranch_scc0 .LBB315_3657
; %bb.3656:
	s_wait_xcnt 0x0
	v_cndmask_b32_e64 v1, 0, 1, s1
	v_mov_b32_e32 v8, 0
	s_mov_b32 s6, 0
	s_delay_alu instid0(VALU_DEP_2) | instskip(NEXT) | instid1(VALU_DEP_2)
	v_cvt_f64_u32_e32 v[6:7], v1
	v_mov_b32_e32 v9, v8
	global_store_b128 v[2:3], v[6:9], off
.LBB315_3657:
	s_and_not1_b32 vcc_lo, exec_lo, s6
	s_cbranch_vccnz .LBB315_3659
; %bb.3658:
	s_wait_xcnt 0x0
	v_cndmask_b32_e64 v6, 0, 1.0, s1
	v_mov_b32_e32 v7, 0
	global_store_b64 v[2:3], v[6:7], off
.LBB315_3659:
	s_mov_b32 s6, 0
.LBB315_3660:
	s_delay_alu instid0(SALU_CYCLE_1)
	s_and_not1_b32 vcc_lo, exec_lo, s6
	s_cbranch_vccnz .LBB315_3662
; %bb.3661:
	s_wait_xcnt 0x0
	v_cndmask_b32_e64 v1, 0, 1.0, s1
	s_delay_alu instid0(VALU_DEP_1) | instskip(NEXT) | instid1(VALU_DEP_1)
	v_cvt_f16_f32_e32 v1, v1
	v_and_b32_e32 v1, 0xffff, v1
	global_store_b32 v[2:3], v1, off
.LBB315_3662:
	s_mov_b32 s6, 0
.LBB315_3663:
	s_delay_alu instid0(SALU_CYCLE_1)
	s_and_not1_b32 vcc_lo, exec_lo, s6
	s_cbranch_vccnz .LBB315_3672
; %bb.3664:
	s_cmp_lt_i32 s2, 6
	s_mov_b32 s6, -1
	s_cbranch_scc1 .LBB315_3670
; %bb.3665:
	s_cmp_gt_i32 s2, 6
	s_cbranch_scc0 .LBB315_3667
; %bb.3666:
	s_wait_xcnt 0x0
	v_cndmask_b32_e64 v1, 0, 1, s1
	s_mov_b32 s6, 0
	s_delay_alu instid0(VALU_DEP_1)
	v_cvt_f64_u32_e32 v[6:7], v1
	global_store_b64 v[2:3], v[6:7], off
.LBB315_3667:
	s_and_not1_b32 vcc_lo, exec_lo, s6
	s_cbranch_vccnz .LBB315_3669
; %bb.3668:
	s_wait_xcnt 0x0
	v_cndmask_b32_e64 v1, 0, 1.0, s1
	global_store_b32 v[2:3], v1, off
.LBB315_3669:
	s_mov_b32 s6, 0
.LBB315_3670:
	s_delay_alu instid0(SALU_CYCLE_1)
	s_and_not1_b32 vcc_lo, exec_lo, s6
	s_cbranch_vccnz .LBB315_3672
; %bb.3671:
	s_wait_xcnt 0x0
	v_cndmask_b32_e64 v1, 0, 1.0, s1
	s_delay_alu instid0(VALU_DEP_1)
	v_cvt_f16_f32_e32 v1, v1
	global_store_b16 v[2:3], v1, off
.LBB315_3672:
	s_mov_b32 s6, 0
.LBB315_3673:
	s_delay_alu instid0(SALU_CYCLE_1)
	s_and_not1_b32 vcc_lo, exec_lo, s6
	s_cbranch_vccnz .LBB315_3689
; %bb.3674:
	s_cmp_lt_i32 s2, 2
	s_mov_b32 s6, -1
	s_cbranch_scc1 .LBB315_3684
; %bb.3675:
	s_cmp_lt_i32 s2, 3
	s_cbranch_scc1 .LBB315_3681
; %bb.3676:
	s_cmp_gt_i32 s2, 3
	s_cbranch_scc0 .LBB315_3678
; %bb.3677:
	s_mov_b32 s6, 0
	s_wait_xcnt 0x0
	v_cndmask_b32_e64 v6, 0, 1, s1
	v_mov_b32_e32 v7, s6
	global_store_b64 v[2:3], v[6:7], off
.LBB315_3678:
	s_and_not1_b32 vcc_lo, exec_lo, s6
	s_cbranch_vccnz .LBB315_3680
; %bb.3679:
	s_wait_xcnt 0x0
	v_cndmask_b32_e64 v1, 0, 1, s1
	global_store_b32 v[2:3], v1, off
.LBB315_3680:
	s_mov_b32 s6, 0
.LBB315_3681:
	s_delay_alu instid0(SALU_CYCLE_1)
	s_and_not1_b32 vcc_lo, exec_lo, s6
	s_cbranch_vccnz .LBB315_3683
; %bb.3682:
	s_wait_xcnt 0x0
	v_cndmask_b32_e64 v1, 0, 1, s1
	global_store_b16 v[2:3], v1, off
.LBB315_3683:
	s_mov_b32 s6, 0
.LBB315_3684:
	s_delay_alu instid0(SALU_CYCLE_1)
	s_and_not1_b32 vcc_lo, exec_lo, s6
	s_cbranch_vccnz .LBB315_3689
; %bb.3685:
	s_wait_xcnt 0x0
	v_cndmask_b32_e64 v1, 0, 1, s1
	s_cmp_gt_i32 s2, 0
	s_mov_b32 s1, -1
	s_cbranch_scc0 .LBB315_3687
; %bb.3686:
	s_mov_b32 s1, 0
	global_store_b8 v[2:3], v1, off
.LBB315_3687:
	s_and_not1_b32 vcc_lo, exec_lo, s1
	s_cbranch_vccnz .LBB315_3689
; %bb.3688:
	global_store_b8 v[2:3], v1, off
.LBB315_3689:
	s_branch .LBB315_3575
.LBB315_3690:
	s_mov_b32 s0, 0
	s_mov_b32 s3, 0
                                        ; implicit-def: $sgpr1
                                        ; implicit-def: $sgpr19
                                        ; implicit-def: $vgpr0_vgpr1
.LBB315_3691:
	s_and_not1_b32 s2, s18, exec_lo
	s_and_b32 s4, s15, exec_lo
	s_and_b32 s0, s0, exec_lo
	;; [unrolled: 1-line block ×3, first 2 shown]
	s_or_b32 s18, s2, s4
	s_wait_xcnt 0x0
	s_or_b32 exec_lo, exec_lo, s17
	s_and_saveexec_b32 s2, s18
	s_cbranch_execnz .LBB315_1890
.LBB315_3692:
	s_or_b32 exec_lo, exec_lo, s2
	s_and_saveexec_b32 s2, s15
	s_delay_alu instid0(SALU_CYCLE_1)
	s_xor_b32 s2, exec_lo, s2
	s_cbranch_execz .LBB315_1891
.LBB315_3693:
	s_wait_loadcnt 0x0
	v_cndmask_b32_e64 v2, 0, 1, s1
	global_store_b8 v[0:1], v2, off
	s_wait_xcnt 0x0
	s_or_b32 exec_lo, exec_lo, s2
	s_and_saveexec_b32 s2, s0
	s_cbranch_execz .LBB315_3731
.LBB315_3694:
	s_sext_i32_i16 s2, s19
	s_mov_b32 s0, -1
	s_cmp_lt_i32 s2, 5
	s_cbranch_scc1 .LBB315_3715
; %bb.3695:
	s_cmp_lt_i32 s2, 8
	s_cbranch_scc1 .LBB315_3705
; %bb.3696:
	;; [unrolled: 3-line block ×3, first 2 shown]
	s_cmp_gt_i32 s2, 9
	s_cbranch_scc0 .LBB315_3699
; %bb.3698:
	s_wait_loadcnt 0x0
	v_cndmask_b32_e64 v2, 0, 1, s1
	v_mov_b32_e32 v4, 0
	s_mov_b32 s0, 0
	s_delay_alu instid0(VALU_DEP_2) | instskip(NEXT) | instid1(VALU_DEP_2)
	v_cvt_f64_u32_e32 v[2:3], v2
	v_mov_b32_e32 v5, v4
	global_store_b128 v[0:1], v[2:5], off
.LBB315_3699:
	s_and_not1_b32 vcc_lo, exec_lo, s0
	s_cbranch_vccnz .LBB315_3701
; %bb.3700:
	s_wait_loadcnt 0x0
	v_cndmask_b32_e64 v2, 0, 1.0, s1
	v_mov_b32_e32 v3, 0
	global_store_b64 v[0:1], v[2:3], off
.LBB315_3701:
	s_mov_b32 s0, 0
.LBB315_3702:
	s_delay_alu instid0(SALU_CYCLE_1)
	s_and_not1_b32 vcc_lo, exec_lo, s0
	s_cbranch_vccnz .LBB315_3704
; %bb.3703:
	s_wait_loadcnt 0x0
	v_cndmask_b32_e64 v2, 0, 1.0, s1
	s_delay_alu instid0(VALU_DEP_1) | instskip(NEXT) | instid1(VALU_DEP_1)
	v_cvt_f16_f32_e32 v2, v2
	v_and_b32_e32 v2, 0xffff, v2
	global_store_b32 v[0:1], v2, off
.LBB315_3704:
	s_mov_b32 s0, 0
.LBB315_3705:
	s_delay_alu instid0(SALU_CYCLE_1)
	s_and_not1_b32 vcc_lo, exec_lo, s0
	s_cbranch_vccnz .LBB315_3714
; %bb.3706:
	s_sext_i32_i16 s2, s19
	s_mov_b32 s0, -1
	s_cmp_lt_i32 s2, 6
	s_cbranch_scc1 .LBB315_3712
; %bb.3707:
	s_cmp_gt_i32 s2, 6
	s_cbranch_scc0 .LBB315_3709
; %bb.3708:
	s_wait_loadcnt 0x0
	v_cndmask_b32_e64 v2, 0, 1, s1
	s_mov_b32 s0, 0
	s_delay_alu instid0(VALU_DEP_1)
	v_cvt_f64_u32_e32 v[2:3], v2
	global_store_b64 v[0:1], v[2:3], off
.LBB315_3709:
	s_and_not1_b32 vcc_lo, exec_lo, s0
	s_cbranch_vccnz .LBB315_3711
; %bb.3710:
	s_wait_loadcnt 0x0
	v_cndmask_b32_e64 v2, 0, 1.0, s1
	global_store_b32 v[0:1], v2, off
.LBB315_3711:
	s_mov_b32 s0, 0
.LBB315_3712:
	s_delay_alu instid0(SALU_CYCLE_1)
	s_and_not1_b32 vcc_lo, exec_lo, s0
	s_cbranch_vccnz .LBB315_3714
; %bb.3713:
	s_wait_loadcnt 0x0
	v_cndmask_b32_e64 v2, 0, 1.0, s1
	s_delay_alu instid0(VALU_DEP_1)
	v_cvt_f16_f32_e32 v2, v2
	global_store_b16 v[0:1], v2, off
.LBB315_3714:
	s_mov_b32 s0, 0
.LBB315_3715:
	s_delay_alu instid0(SALU_CYCLE_1)
	s_and_not1_b32 vcc_lo, exec_lo, s0
	s_cbranch_vccnz .LBB315_3731
; %bb.3716:
	s_sext_i32_i16 s2, s19
	s_mov_b32 s0, -1
	s_cmp_lt_i32 s2, 2
	s_cbranch_scc1 .LBB315_3726
; %bb.3717:
	s_cmp_lt_i32 s2, 3
	s_cbranch_scc1 .LBB315_3723
; %bb.3718:
	s_cmp_gt_i32 s2, 3
	s_cbranch_scc0 .LBB315_3720
; %bb.3719:
	s_mov_b32 s0, 0
	s_wait_loadcnt 0x0
	v_cndmask_b32_e64 v2, 0, 1, s1
	v_mov_b32_e32 v3, s0
	global_store_b64 v[0:1], v[2:3], off
.LBB315_3720:
	s_and_not1_b32 vcc_lo, exec_lo, s0
	s_cbranch_vccnz .LBB315_3722
; %bb.3721:
	s_wait_loadcnt 0x0
	v_cndmask_b32_e64 v2, 0, 1, s1
	global_store_b32 v[0:1], v2, off
.LBB315_3722:
	s_mov_b32 s0, 0
.LBB315_3723:
	s_delay_alu instid0(SALU_CYCLE_1)
	s_and_not1_b32 vcc_lo, exec_lo, s0
	s_cbranch_vccnz .LBB315_3725
; %bb.3724:
	s_wait_loadcnt 0x0
	v_cndmask_b32_e64 v2, 0, 1, s1
	global_store_b16 v[0:1], v2, off
.LBB315_3725:
	s_mov_b32 s0, 0
.LBB315_3726:
	s_delay_alu instid0(SALU_CYCLE_1)
	s_and_not1_b32 vcc_lo, exec_lo, s0
	s_cbranch_vccnz .LBB315_3731
; %bb.3727:
	s_wait_loadcnt 0x0
	v_cndmask_b32_e64 v2, 0, 1, s1
	s_sext_i32_i16 s0, s19
	s_delay_alu instid0(SALU_CYCLE_1)
	s_cmp_gt_i32 s0, 0
	s_mov_b32 s0, -1
	s_cbranch_scc0 .LBB315_3729
; %bb.3728:
	s_mov_b32 s0, 0
	global_store_b8 v[0:1], v2, off
.LBB315_3729:
	s_and_not1_b32 vcc_lo, exec_lo, s0
	s_cbranch_vccnz .LBB315_3731
; %bb.3730:
	global_store_b8 v[0:1], v2, off
	s_endpgm
.LBB315_3731:
	s_endpgm
.LBB315_3732:
	s_or_b32 s15, s15, exec_lo
	s_trap 2
	s_cbranch_execz .LBB315_3184
	s_branch .LBB315_3187
.LBB315_3733:
	s_and_not1_saveexec_b32 s10, s10
	s_cbranch_execz .LBB315_3288
.LBB315_3734:
	v_add_f32_e32 v1, 0x46000000, v6
	s_and_not1_b32 s9, s9, exec_lo
	s_delay_alu instid0(VALU_DEP_1) | instskip(NEXT) | instid1(VALU_DEP_1)
	v_and_b32_e32 v1, 0xff, v1
	v_cmp_ne_u32_e32 vcc_lo, 0, v1
	s_and_b32 s11, vcc_lo, exec_lo
	s_delay_alu instid0(SALU_CYCLE_1)
	s_or_b32 s9, s9, s11
	s_or_b32 exec_lo, exec_lo, s10
	v_mov_b32_e32 v7, 0
	s_and_saveexec_b32 s10, s9
	s_cbranch_execnz .LBB315_3289
	s_branch .LBB315_3290
.LBB315_3735:
	s_or_b32 s15, s15, exec_lo
	s_trap 2
	s_cbranch_execz .LBB315_3336
	s_branch .LBB315_3337
.LBB315_3736:
	s_and_not1_saveexec_b32 s9, s9
	s_cbranch_execz .LBB315_3301
.LBB315_3737:
	v_add_f32_e32 v1, 0x42800000, v6
	s_and_not1_b32 s7, s7, exec_lo
	s_delay_alu instid0(VALU_DEP_1) | instskip(NEXT) | instid1(VALU_DEP_1)
	v_and_b32_e32 v1, 0xff, v1
	v_cmp_ne_u32_e32 vcc_lo, 0, v1
	s_and_b32 s10, vcc_lo, exec_lo
	s_delay_alu instid0(SALU_CYCLE_1)
	s_or_b32 s7, s7, s10
	s_or_b32 exec_lo, exec_lo, s9
	v_mov_b32_e32 v7, 0
	s_and_saveexec_b32 s9, s7
	s_cbranch_execnz .LBB315_3302
	s_branch .LBB315_3303
.LBB315_3738:
	s_and_not1_saveexec_b32 s10, s10
	s_cbranch_execz .LBB315_3406
.LBB315_3739:
	v_add_f32_e32 v1, 0x46000000, v6
	s_and_not1_b32 s9, s9, exec_lo
	s_delay_alu instid0(VALU_DEP_1) | instskip(NEXT) | instid1(VALU_DEP_1)
	v_and_b32_e32 v1, 0xff, v1
	v_cmp_ne_u32_e32 vcc_lo, 0, v1
	s_and_b32 s11, vcc_lo, exec_lo
	s_delay_alu instid0(SALU_CYCLE_1)
	s_or_b32 s9, s9, s11
	s_or_b32 exec_lo, exec_lo, s10
	v_mov_b32_e32 v7, 0
	s_and_saveexec_b32 s10, s9
	s_cbranch_execnz .LBB315_3407
	s_branch .LBB315_3408
.LBB315_3740:
	s_or_b32 s15, s15, exec_lo
	s_trap 2
	s_cbranch_execz .LBB315_3454
	s_branch .LBB315_3455
.LBB315_3741:
	s_and_not1_saveexec_b32 s9, s9
	s_cbranch_execz .LBB315_3419
.LBB315_3742:
	v_add_f32_e32 v1, 0x42800000, v6
	s_and_not1_b32 s8, s8, exec_lo
	s_delay_alu instid0(VALU_DEP_1) | instskip(NEXT) | instid1(VALU_DEP_1)
	v_and_b32_e32 v1, 0xff, v1
	v_cmp_ne_u32_e32 vcc_lo, 0, v1
	s_and_b32 s10, vcc_lo, exec_lo
	s_delay_alu instid0(SALU_CYCLE_1)
	s_or_b32 s8, s8, s10
	s_or_b32 exec_lo, exec_lo, s9
	v_mov_b32_e32 v7, 0
	s_and_saveexec_b32 s9, s8
	s_cbranch_execnz .LBB315_3420
	s_branch .LBB315_3421
.LBB315_3743:
	s_and_not1_saveexec_b32 s10, s10
	s_cbranch_execz .LBB315_3524
.LBB315_3744:
	v_add_f32_e32 v1, 0x46000000, v6
	s_and_not1_b32 s9, s9, exec_lo
	s_delay_alu instid0(VALU_DEP_1) | instskip(NEXT) | instid1(VALU_DEP_1)
	v_and_b32_e32 v1, 0xff, v1
	v_cmp_ne_u32_e32 vcc_lo, 0, v1
	s_and_b32 s11, vcc_lo, exec_lo
	s_delay_alu instid0(SALU_CYCLE_1)
	s_or_b32 s9, s9, s11
	s_or_b32 exec_lo, exec_lo, s10
	v_mov_b32_e32 v7, 0
	s_and_saveexec_b32 s10, s9
	s_cbranch_execnz .LBB315_3525
	s_branch .LBB315_3526
.LBB315_3745:
	s_or_b32 s15, s15, exec_lo
	s_trap 2
	s_cbranch_execz .LBB315_3572
	s_branch .LBB315_3573
.LBB315_3746:
	s_and_not1_saveexec_b32 s9, s9
	s_cbranch_execz .LBB315_3537
.LBB315_3747:
	v_add_f32_e32 v1, 0x42800000, v6
	s_and_not1_b32 s8, s8, exec_lo
	s_delay_alu instid0(VALU_DEP_1) | instskip(NEXT) | instid1(VALU_DEP_1)
	v_and_b32_e32 v1, 0xff, v1
	v_cmp_ne_u32_e32 vcc_lo, 0, v1
	s_and_b32 s10, vcc_lo, exec_lo
	s_delay_alu instid0(SALU_CYCLE_1)
	s_or_b32 s8, s8, s10
	s_or_b32 exec_lo, exec_lo, s9
	v_mov_b32_e32 v7, 0
	s_and_saveexec_b32 s9, s8
	s_cbranch_execnz .LBB315_3538
	s_branch .LBB315_3539
.LBB315_3748:
	s_and_not1_saveexec_b32 s6, s6
	s_cbranch_execz .LBB315_3604
.LBB315_3749:
	v_add_f32_e32 v2, 0x46000000, v3
	s_and_not1_b32 s5, s5, exec_lo
	s_delay_alu instid0(VALU_DEP_1) | instskip(NEXT) | instid1(VALU_DEP_1)
	v_and_b32_e32 v2, 0xff, v2
	v_cmp_ne_u32_e32 vcc_lo, 0, v2
	s_and_b32 s7, vcc_lo, exec_lo
	s_delay_alu instid0(SALU_CYCLE_1)
	s_or_b32 s5, s5, s7
	s_or_b32 exec_lo, exec_lo, s6
	v_mov_b32_e32 v4, 0
	s_and_saveexec_b32 s6, s5
	s_cbranch_execnz .LBB315_3605
	s_branch .LBB315_3606
.LBB315_3750:
	s_mov_b32 s3, 0
	s_or_b32 s15, s15, exec_lo
	s_trap 2
	s_branch .LBB315_3650
.LBB315_3751:
	s_and_not1_saveexec_b32 s5, s5
	s_cbranch_execz .LBB315_3616
.LBB315_3752:
	v_add_f32_e32 v2, 0x42800000, v3
	s_and_not1_b32 s4, s4, exec_lo
	s_delay_alu instid0(VALU_DEP_1) | instskip(NEXT) | instid1(VALU_DEP_1)
	v_and_b32_e32 v2, 0xff, v2
	v_cmp_ne_u32_e32 vcc_lo, 0, v2
	s_and_b32 s6, vcc_lo, exec_lo
	s_delay_alu instid0(SALU_CYCLE_1)
	s_or_b32 s4, s4, s6
	s_or_b32 exec_lo, exec_lo, s5
	v_mov_b32_e32 v4, 0
	s_and_saveexec_b32 s5, s4
	s_cbranch_execnz .LBB315_3617
	s_branch .LBB315_3618
	.section	.rodata,"a",@progbits
	.p2align	6, 0x0
	.amdhsa_kernel _ZN2at6native32elementwise_kernel_manual_unrollILi128ELi4EZNS0_15gpu_kernel_implINS0_13BinaryFunctorIN3c1014Float8_e8m0fnuES5_bNS0_12_GLOBAL__N_116CompareEqFunctorIS5_EEEEEEvRNS_18TensorIteratorBaseERKT_EUlibE_EEviT1_
		.amdhsa_group_segment_fixed_size 0
		.amdhsa_private_segment_fixed_size 0
		.amdhsa_kernarg_size 56
		.amdhsa_user_sgpr_count 2
		.amdhsa_user_sgpr_dispatch_ptr 0
		.amdhsa_user_sgpr_queue_ptr 0
		.amdhsa_user_sgpr_kernarg_segment_ptr 1
		.amdhsa_user_sgpr_dispatch_id 0
		.amdhsa_user_sgpr_kernarg_preload_length 0
		.amdhsa_user_sgpr_kernarg_preload_offset 0
		.amdhsa_user_sgpr_private_segment_size 0
		.amdhsa_wavefront_size32 1
		.amdhsa_uses_dynamic_stack 0
		.amdhsa_enable_private_segment 0
		.amdhsa_system_sgpr_workgroup_id_x 1
		.amdhsa_system_sgpr_workgroup_id_y 0
		.amdhsa_system_sgpr_workgroup_id_z 0
		.amdhsa_system_sgpr_workgroup_info 0
		.amdhsa_system_vgpr_workitem_id 0
		.amdhsa_next_free_vgpr 18
		.amdhsa_next_free_sgpr 37
		.amdhsa_named_barrier_count 0
		.amdhsa_reserve_vcc 1
		.amdhsa_float_round_mode_32 0
		.amdhsa_float_round_mode_16_64 0
		.amdhsa_float_denorm_mode_32 3
		.amdhsa_float_denorm_mode_16_64 3
		.amdhsa_fp16_overflow 0
		.amdhsa_memory_ordered 1
		.amdhsa_forward_progress 1
		.amdhsa_inst_pref_size 255
		.amdhsa_round_robin_scheduling 0
		.amdhsa_exception_fp_ieee_invalid_op 0
		.amdhsa_exception_fp_denorm_src 0
		.amdhsa_exception_fp_ieee_div_zero 0
		.amdhsa_exception_fp_ieee_overflow 0
		.amdhsa_exception_fp_ieee_underflow 0
		.amdhsa_exception_fp_ieee_inexact 0
		.amdhsa_exception_int_div_zero 0
	.end_amdhsa_kernel
	.section	.text._ZN2at6native32elementwise_kernel_manual_unrollILi128ELi4EZNS0_15gpu_kernel_implINS0_13BinaryFunctorIN3c1014Float8_e8m0fnuES5_bNS0_12_GLOBAL__N_116CompareEqFunctorIS5_EEEEEEvRNS_18TensorIteratorBaseERKT_EUlibE_EEviT1_,"axG",@progbits,_ZN2at6native32elementwise_kernel_manual_unrollILi128ELi4EZNS0_15gpu_kernel_implINS0_13BinaryFunctorIN3c1014Float8_e8m0fnuES5_bNS0_12_GLOBAL__N_116CompareEqFunctorIS5_EEEEEEvRNS_18TensorIteratorBaseERKT_EUlibE_EEviT1_,comdat
.Lfunc_end315:
	.size	_ZN2at6native32elementwise_kernel_manual_unrollILi128ELi4EZNS0_15gpu_kernel_implINS0_13BinaryFunctorIN3c1014Float8_e8m0fnuES5_bNS0_12_GLOBAL__N_116CompareEqFunctorIS5_EEEEEEvRNS_18TensorIteratorBaseERKT_EUlibE_EEviT1_, .Lfunc_end315-_ZN2at6native32elementwise_kernel_manual_unrollILi128ELi4EZNS0_15gpu_kernel_implINS0_13BinaryFunctorIN3c1014Float8_e8m0fnuES5_bNS0_12_GLOBAL__N_116CompareEqFunctorIS5_EEEEEEvRNS_18TensorIteratorBaseERKT_EUlibE_EEviT1_
                                        ; -- End function
	.set _ZN2at6native32elementwise_kernel_manual_unrollILi128ELi4EZNS0_15gpu_kernel_implINS0_13BinaryFunctorIN3c1014Float8_e8m0fnuES5_bNS0_12_GLOBAL__N_116CompareEqFunctorIS5_EEEEEEvRNS_18TensorIteratorBaseERKT_EUlibE_EEviT1_.num_vgpr, 18
	.set _ZN2at6native32elementwise_kernel_manual_unrollILi128ELi4EZNS0_15gpu_kernel_implINS0_13BinaryFunctorIN3c1014Float8_e8m0fnuES5_bNS0_12_GLOBAL__N_116CompareEqFunctorIS5_EEEEEEvRNS_18TensorIteratorBaseERKT_EUlibE_EEviT1_.num_agpr, 0
	.set _ZN2at6native32elementwise_kernel_manual_unrollILi128ELi4EZNS0_15gpu_kernel_implINS0_13BinaryFunctorIN3c1014Float8_e8m0fnuES5_bNS0_12_GLOBAL__N_116CompareEqFunctorIS5_EEEEEEvRNS_18TensorIteratorBaseERKT_EUlibE_EEviT1_.numbered_sgpr, 37
	.set _ZN2at6native32elementwise_kernel_manual_unrollILi128ELi4EZNS0_15gpu_kernel_implINS0_13BinaryFunctorIN3c1014Float8_e8m0fnuES5_bNS0_12_GLOBAL__N_116CompareEqFunctorIS5_EEEEEEvRNS_18TensorIteratorBaseERKT_EUlibE_EEviT1_.num_named_barrier, 0
	.set _ZN2at6native32elementwise_kernel_manual_unrollILi128ELi4EZNS0_15gpu_kernel_implINS0_13BinaryFunctorIN3c1014Float8_e8m0fnuES5_bNS0_12_GLOBAL__N_116CompareEqFunctorIS5_EEEEEEvRNS_18TensorIteratorBaseERKT_EUlibE_EEviT1_.private_seg_size, 0
	.set _ZN2at6native32elementwise_kernel_manual_unrollILi128ELi4EZNS0_15gpu_kernel_implINS0_13BinaryFunctorIN3c1014Float8_e8m0fnuES5_bNS0_12_GLOBAL__N_116CompareEqFunctorIS5_EEEEEEvRNS_18TensorIteratorBaseERKT_EUlibE_EEviT1_.uses_vcc, 1
	.set _ZN2at6native32elementwise_kernel_manual_unrollILi128ELi4EZNS0_15gpu_kernel_implINS0_13BinaryFunctorIN3c1014Float8_e8m0fnuES5_bNS0_12_GLOBAL__N_116CompareEqFunctorIS5_EEEEEEvRNS_18TensorIteratorBaseERKT_EUlibE_EEviT1_.uses_flat_scratch, 0
	.set _ZN2at6native32elementwise_kernel_manual_unrollILi128ELi4EZNS0_15gpu_kernel_implINS0_13BinaryFunctorIN3c1014Float8_e8m0fnuES5_bNS0_12_GLOBAL__N_116CompareEqFunctorIS5_EEEEEEvRNS_18TensorIteratorBaseERKT_EUlibE_EEviT1_.has_dyn_sized_stack, 0
	.set _ZN2at6native32elementwise_kernel_manual_unrollILi128ELi4EZNS0_15gpu_kernel_implINS0_13BinaryFunctorIN3c1014Float8_e8m0fnuES5_bNS0_12_GLOBAL__N_116CompareEqFunctorIS5_EEEEEEvRNS_18TensorIteratorBaseERKT_EUlibE_EEviT1_.has_recursion, 0
	.set _ZN2at6native32elementwise_kernel_manual_unrollILi128ELi4EZNS0_15gpu_kernel_implINS0_13BinaryFunctorIN3c1014Float8_e8m0fnuES5_bNS0_12_GLOBAL__N_116CompareEqFunctorIS5_EEEEEEvRNS_18TensorIteratorBaseERKT_EUlibE_EEviT1_.has_indirect_call, 0
	.section	.AMDGPU.csdata,"",@progbits
; Kernel info:
; codeLenInByte = 85832
; TotalNumSgprs: 39
; NumVgprs: 18
; ScratchSize: 0
; MemoryBound: 0
; FloatMode: 240
; IeeeMode: 1
; LDSByteSize: 0 bytes/workgroup (compile time only)
; SGPRBlocks: 0
; VGPRBlocks: 1
; NumSGPRsForWavesPerEU: 39
; NumVGPRsForWavesPerEU: 18
; NamedBarCnt: 0
; Occupancy: 16
; WaveLimiterHint : 0
; COMPUTE_PGM_RSRC2:SCRATCH_EN: 0
; COMPUTE_PGM_RSRC2:USER_SGPR: 2
; COMPUTE_PGM_RSRC2:TRAP_HANDLER: 0
; COMPUTE_PGM_RSRC2:TGID_X_EN: 1
; COMPUTE_PGM_RSRC2:TGID_Y_EN: 0
; COMPUTE_PGM_RSRC2:TGID_Z_EN: 0
; COMPUTE_PGM_RSRC2:TIDIG_COMP_CNT: 0
	.section	.text._ZN2at6native32elementwise_kernel_manual_unrollILi128ELi4EZNS0_15gpu_kernel_implINS0_13BinaryFunctorIN3c1014Float8_e8m0fnuES5_bNS0_12_GLOBAL__N_116CompareEqFunctorIS5_EEEEEEvRNS_18TensorIteratorBaseERKT_EUlibE0_EEviT1_,"axG",@progbits,_ZN2at6native32elementwise_kernel_manual_unrollILi128ELi4EZNS0_15gpu_kernel_implINS0_13BinaryFunctorIN3c1014Float8_e8m0fnuES5_bNS0_12_GLOBAL__N_116CompareEqFunctorIS5_EEEEEEvRNS_18TensorIteratorBaseERKT_EUlibE0_EEviT1_,comdat
	.globl	_ZN2at6native32elementwise_kernel_manual_unrollILi128ELi4EZNS0_15gpu_kernel_implINS0_13BinaryFunctorIN3c1014Float8_e8m0fnuES5_bNS0_12_GLOBAL__N_116CompareEqFunctorIS5_EEEEEEvRNS_18TensorIteratorBaseERKT_EUlibE0_EEviT1_ ; -- Begin function _ZN2at6native32elementwise_kernel_manual_unrollILi128ELi4EZNS0_15gpu_kernel_implINS0_13BinaryFunctorIN3c1014Float8_e8m0fnuES5_bNS0_12_GLOBAL__N_116CompareEqFunctorIS5_EEEEEEvRNS_18TensorIteratorBaseERKT_EUlibE0_EEviT1_
	.p2align	8
	.type	_ZN2at6native32elementwise_kernel_manual_unrollILi128ELi4EZNS0_15gpu_kernel_implINS0_13BinaryFunctorIN3c1014Float8_e8m0fnuES5_bNS0_12_GLOBAL__N_116CompareEqFunctorIS5_EEEEEEvRNS_18TensorIteratorBaseERKT_EUlibE0_EEviT1_,@function
_ZN2at6native32elementwise_kernel_manual_unrollILi128ELi4EZNS0_15gpu_kernel_implINS0_13BinaryFunctorIN3c1014Float8_e8m0fnuES5_bNS0_12_GLOBAL__N_116CompareEqFunctorIS5_EEEEEEvRNS_18TensorIteratorBaseERKT_EUlibE0_EEviT1_: ; @_ZN2at6native32elementwise_kernel_manual_unrollILi128ELi4EZNS0_15gpu_kernel_implINS0_13BinaryFunctorIN3c1014Float8_e8m0fnuES5_bNS0_12_GLOBAL__N_116CompareEqFunctorIS5_EEEEEEvRNS_18TensorIteratorBaseERKT_EUlibE0_EEviT1_
; %bb.0:
	s_clause 0x1
	s_load_b32 s30, s[0:1], 0x8
	s_load_b32 s39, s[0:1], 0x0
	s_bfe_u32 s2, ttmp6, 0x4000c
	s_and_b32 s3, ttmp6, 15
	s_add_co_i32 s2, s2, 1
	s_getreg_b32 s4, hwreg(HW_REG_IB_STS2, 6, 4)
	s_mul_i32 s2, ttmp9, s2
	s_mov_b32 s33, 0
	s_add_co_i32 s3, s3, s2
	s_cmp_eq_u32 s4, 0
	s_mov_b32 s44, -1
	s_cselect_b32 s2, ttmp9, s3
	s_add_nc_u64 s[20:21], s[0:1], 8
	v_lshl_or_b32 v0, s2, 9, v0
	s_mov_b32 s8, 0
	s_wait_xcnt 0x0
	s_mov_b32 s0, exec_lo
	s_delay_alu instid0(VALU_DEP_1) | instskip(SKIP_2) | instid1(SALU_CYCLE_1)
	v_or_b32_e32 v1, 0x180, v0
	s_wait_kmcnt 0x0
	s_add_co_i32 s31, s30, -1
	s_cmp_gt_u32 s31, 1
	s_cselect_b32 s34, -1, 0
	v_cmpx_le_i32_e64 s39, v1
	s_xor_b32 s35, exec_lo, s0
	s_cbranch_execz .LBB316_1925
; %bb.1:
	s_clause 0x4
	s_load_b128 s[12:15], s[20:21], 0x4
	s_load_b256 s[4:11], s[20:21], 0x188
	s_load_b64 s[2:3], s[20:21], 0x14
	s_load_b128 s[16:19], s[20:21], 0xc4
	s_load_b64 s[24:25], s[20:21], 0xd4
	s_cmp_lg_u32 s30, 0
	s_mov_b32 s23, 0
	s_cselect_b32 s40, -1, 0
	s_min_u32 s38, s31, 15
	s_cmp_gt_u32 s30, 1
	s_mov_b32 s27, s23
	s_cselect_b32 s37, -1, 0
	s_mov_b32 s42, s23
	s_mov_b32 s41, s23
	s_mov_b32 s43, exec_lo
	s_wait_kmcnt 0x0
	s_mov_b32 s22, s13
	s_lshr_b32 s36, s11, 8
	s_lshr_b32 s13, s11, 16
	s_cmp_eq_u32 s10, 0
	s_mov_b32 s26, s2
	s_cselect_b32 s0, -1, 0
	s_mov_b32 s10, s23
	v_cmpx_gt_i32_e64 s39, v0
	s_cbranch_execz .LBB316_476
; %bb.2:
	s_and_not1_b32 vcc_lo, exec_lo, s34
	s_cbranch_vccnz .LBB316_8
; %bb.3:
	s_and_not1_b32 vcc_lo, exec_lo, s40
	s_cbranch_vccnz .LBB316_9
; %bb.4:
	v_dual_mov_b32 v2, 0 :: v_dual_mov_b32 v1, v0
	v_dual_mov_b32 v6, 0 :: v_dual_mov_b32 v4, 0
	s_add_co_i32 s1, s38, 1
	s_mov_b64 s[28:29], 0xffffffffffffffe8
	s_and_b32 s1, s1, 30
	s_add_nc_u64 s[28:29], s[20:21], s[28:29]
.LBB316_5:                              ; =>This Inner Loop Header: Depth=1
	s_clause 0x1
	s_load_b128 s[44:47], s[28:29], 0x1c
	s_load_b64 s[52:53], s[28:29], 0x2c
	s_add_co_i32 s1, s1, -2
	s_delay_alu instid0(SALU_CYCLE_1) | instskip(SKIP_2) | instid1(VALU_DEP_1)
	s_cmp_lg_u32 s1, 0
	s_wait_kmcnt 0x0
	v_mul_hi_u32 v3, s45, v1
	v_add_nc_u32_e32 v3, v1, v3
	s_delay_alu instid0(VALU_DEP_1) | instskip(NEXT) | instid1(VALU_DEP_1)
	v_lshrrev_b32_e32 v3, s46, v3
	v_mul_hi_u32 v5, s52, v3
	v_mul_lo_u32 v7, v3, s44
	s_clause 0x1
	s_load_b128 s[48:51], s[28:29], 0xdc
	s_load_b64 s[44:45], s[28:29], 0xec
	s_wait_xcnt 0x0
	s_add_nc_u64 s[28:29], s[28:29], 24
	s_delay_alu instid0(VALU_DEP_1) | instskip(NEXT) | instid1(VALU_DEP_1)
	v_dual_add_nc_u32 v5, v3, v5 :: v_dual_sub_nc_u32 v7, v1, v7
	v_lshrrev_b32_e32 v1, s53, v5
	s_wait_kmcnt 0x0
	s_delay_alu instid0(VALU_DEP_2) | instskip(NEXT) | instid1(VALU_DEP_2)
	v_mad_u32 v2, v7, s48, v2
	v_mul_lo_u32 v5, v1, s47
	v_mad_u32 v4, v7, s50, v4
	v_mad_u32 v6, v7, s49, v6
	s_delay_alu instid0(VALU_DEP_3) | instskip(NEXT) | instid1(VALU_DEP_1)
	v_sub_nc_u32_e32 v3, v3, v5
	v_mad_u32 v2, v3, s51, v2
	s_delay_alu instid0(VALU_DEP_4) | instskip(NEXT) | instid1(VALU_DEP_4)
	v_mad_u32 v4, v3, s45, v4
	v_mad_u32 v6, v3, s44, v6
	s_cbranch_scc1 .LBB316_5
; %bb.6:
	s_bitcmp1_b32 s38, 0
	s_cselect_b32 s1, -1, 0
	s_delay_alu instid0(SALU_CYCLE_1)
	s_and_b32 vcc_lo, exec_lo, s1
	s_cbranch_vccnz .LBB316_10
; %bb.7:
	s_clause 0x1
	s_load_b96 s[44:46], s[28:29], 0x1c
	s_load_b96 s[48:50], s[28:29], 0xdc
	s_wait_kmcnt 0x0
	v_mul_hi_u32 v3, s45, v1
	s_delay_alu instid0(VALU_DEP_1) | instskip(NEXT) | instid1(VALU_DEP_1)
	v_add_nc_u32_e32 v3, v1, v3
	v_lshrrev_b32_e32 v3, s46, v3
	s_delay_alu instid0(VALU_DEP_1) | instskip(NEXT) | instid1(VALU_DEP_1)
	v_mul_lo_u32 v3, v3, s44
	v_sub_nc_u32_e32 v1, v1, v3
	s_delay_alu instid0(VALU_DEP_1)
	v_mad_u32 v2, v1, s48, v2
	v_mad_u32 v6, v1, s49, v6
	;; [unrolled: 1-line block ×3, first 2 shown]
	s_cbranch_execz .LBB316_11
	s_branch .LBB316_13
.LBB316_8:
                                        ; implicit-def: $vgpr4
                                        ; implicit-def: $vgpr6
                                        ; implicit-def: $vgpr2
	s_branch .LBB316_11
.LBB316_9:
	v_dual_mov_b32 v4, 0 :: v_dual_mov_b32 v6, 0
	v_mov_b32_e32 v2, 0
.LBB316_10:
	s_cbranch_execnz .LBB316_13
.LBB316_11:
	v_mov_b32_e32 v1, 0
	s_and_not1_b32 vcc_lo, exec_lo, s37
	s_delay_alu instid0(VALU_DEP_1) | instskip(NEXT) | instid1(VALU_DEP_1)
	v_mul_u64_e32 v[2:3], s[22:23], v[0:1]
	v_add_nc_u32_e32 v2, v0, v3
	s_delay_alu instid0(VALU_DEP_1) | instskip(NEXT) | instid1(VALU_DEP_1)
	v_lshrrev_b32_e32 v8, s14, v2
	v_mul_lo_u32 v2, v8, s12
	s_delay_alu instid0(VALU_DEP_1) | instskip(NEXT) | instid1(VALU_DEP_1)
	v_sub_nc_u32_e32 v3, v0, v2
	v_mul_lo_u32 v2, v3, s16
	v_mul_lo_u32 v4, v3, s18
	;; [unrolled: 1-line block ×3, first 2 shown]
	s_cbranch_vccnz .LBB316_13
; %bb.12:
	v_mov_b32_e32 v9, v1
	s_delay_alu instid0(VALU_DEP_1) | instskip(NEXT) | instid1(VALU_DEP_1)
	v_mul_u64_e32 v[10:11], s[26:27], v[8:9]
	v_add_nc_u32_e32 v1, v8, v11
	s_delay_alu instid0(VALU_DEP_1) | instskip(NEXT) | instid1(VALU_DEP_1)
	v_lshrrev_b32_e32 v1, s3, v1
	v_mul_lo_u32 v1, v1, s15
	s_delay_alu instid0(VALU_DEP_1) | instskip(NEXT) | instid1(VALU_DEP_1)
	v_sub_nc_u32_e32 v1, v8, v1
	v_mad_u32 v2, v1, s19, v2
	v_mad_u32 v6, v1, s24, v6
	;; [unrolled: 1-line block ×3, first 2 shown]
.LBB316_13:
	v_mov_b32_e32 v7, 0
	s_and_b32 s2, s36, 0xff
	s_delay_alu instid0(SALU_CYCLE_1) | instskip(NEXT) | instid1(VALU_DEP_1)
	s_cmp_lt_i32 s2, 11
	v_add_nc_u64_e32 v[6:7], s[6:7], v[6:7]
	s_cbranch_scc1 .LBB316_22
; %bb.14:
	s_and_b32 s10, 0xffff, s2
	s_delay_alu instid0(SALU_CYCLE_1)
	s_cmp_gt_i32 s10, 25
	s_cbranch_scc0 .LBB316_33
; %bb.15:
	s_cmp_gt_i32 s10, 28
	s_cbranch_scc0 .LBB316_82
; %bb.16:
	;; [unrolled: 3-line block ×4, first 2 shown]
	s_cmp_eq_u32 s10, 46
	s_mov_b32 s29, 0
	s_cbranch_scc0 .LBB316_90
; %bb.19:
	global_load_b32 v3, v[6:7], off
	v_mov_b32_e32 v1, 0xff
	s_mov_b32 s28, exec_lo
	s_wait_loadcnt 0x0
	v_lshlrev_b32_e32 v5, 16, v3
	s_delay_alu instid0(VALU_DEP_1) | instskip(NEXT) | instid1(VALU_DEP_1)
	v_bfe_u32 v8, v5, 23, 8
	v_cmpx_ne_u32_e32 0xff, v8
	s_cbranch_execz .LBB316_21
; %bb.20:
	v_and_b32_e32 v1, 64, v3
	v_and_or_b32 v5, 0x3f0000, v5, v8
	s_delay_alu instid0(VALU_DEP_2) | instskip(NEXT) | instid1(VALU_DEP_2)
	v_cmp_ne_u32_e32 vcc_lo, 0, v1
	v_cmp_ne_u32_e64 s1, 0, v5
	v_bfe_u32 v1, v3, 7, 9
	s_and_b32 s1, vcc_lo, s1
	s_delay_alu instid0(SALU_CYCLE_1) | instskip(NEXT) | instid1(VALU_DEP_1)
	v_cndmask_b32_e64 v3, 0, 1, s1
	v_add_nc_u32_e32 v1, v1, v3
.LBB316_21:
	s_or_b32 exec_lo, exec_lo, s28
	s_mov_b32 s1, -1
	s_mov_b32 s28, 0
	s_branch .LBB316_92
.LBB316_22:
	s_mov_b32 s28, 0
	s_mov_b32 s1, 0
                                        ; implicit-def: $vgpr1
	s_cbranch_execnz .LBB316_176
.LBB316_23:
	s_and_not1_b32 vcc_lo, exec_lo, s1
	s_cbranch_vccnz .LBB316_245
.LBB316_24:
	v_mov_b32_e32 v5, 0
	s_and_b32 s2, s13, 0xff
	s_delay_alu instid0(SALU_CYCLE_1) | instskip(NEXT) | instid1(VALU_DEP_1)
	s_cmp_lt_i32 s2, 11
	v_add_nc_u64_e32 v[4:5], s[8:9], v[4:5]
	s_cbranch_scc1 .LBB316_34
; %bb.25:
	s_and_b32 s10, 0xffff, s2
	s_delay_alu instid0(SALU_CYCLE_1)
	s_cmp_gt_i32 s10, 25
	s_cbranch_scc0 .LBB316_83
; %bb.26:
	s_cmp_gt_i32 s10, 28
	s_cbranch_scc0 .LBB316_85
; %bb.27:
	s_cmp_gt_i32 s10, 43
	s_cbranch_scc0 .LBB316_88
; %bb.28:
	s_cmp_gt_i32 s10, 45
	s_cbranch_scc0 .LBB316_95
; %bb.29:
	s_cmp_eq_u32 s10, 46
	s_mov_b32 s41, 0
	s_cbranch_scc0 .LBB316_246
; %bb.30:
	global_load_b32 v6, v[4:5], off
	v_mov_b32_e32 v3, 0xff
	s_mov_b32 s29, exec_lo
	s_wait_loadcnt 0x0
	v_lshlrev_b32_e32 v7, 16, v6
	s_delay_alu instid0(VALU_DEP_1) | instskip(NEXT) | instid1(VALU_DEP_1)
	v_bfe_u32 v8, v7, 23, 8
	v_cmpx_ne_u32_e32 0xff, v8
	s_cbranch_execz .LBB316_32
; %bb.31:
	v_and_b32_e32 v3, 64, v6
	v_and_or_b32 v7, 0x3f0000, v7, v8
	s_delay_alu instid0(VALU_DEP_2) | instskip(NEXT) | instid1(VALU_DEP_2)
	v_cmp_ne_u32_e32 vcc_lo, 0, v3
	v_cmp_ne_u32_e64 s1, 0, v7
	v_bfe_u32 v3, v6, 7, 9
	s_and_b32 s1, vcc_lo, s1
	s_delay_alu instid0(SALU_CYCLE_1) | instskip(NEXT) | instid1(VALU_DEP_1)
	v_cndmask_b32_e64 v6, 0, 1, s1
	v_add_nc_u32_e32 v3, v3, v6
.LBB316_32:
	s_or_b32 exec_lo, exec_lo, s29
	s_mov_b32 s1, -1
	s_mov_b32 s29, 0
	s_branch .LBB316_248
.LBB316_33:
	s_mov_b32 s28, 0
	s_mov_b32 s1, 0
                                        ; implicit-def: $vgpr1
	s_cbranch_execnz .LBB316_131
	s_branch .LBB316_175
.LBB316_34:
	s_mov_b32 s29, 0
	s_mov_b32 s1, 0
                                        ; implicit-def: $vgpr3
	s_cbranch_execnz .LBB316_403
.LBB316_35:
	s_and_not1_b32 vcc_lo, exec_lo, s1
	s_cbranch_vccnz .LBB316_473
.LBB316_36:
	s_wait_loadcnt 0x0
	v_and_b32_e32 v1, 0xff, v1
	v_and_b32_e32 v3, 0xff, v3
	s_and_b32 s10, s11, 0xff
	s_mov_b32 s2, 0
	s_mov_b32 s41, -1
	s_delay_alu instid0(VALU_DEP_1) | instskip(SKIP_3) | instid1(VALU_DEP_2)
	v_dual_lshlrev_b32 v4, 23, v1 :: v_dual_lshlrev_b32 v5, 23, v3
	v_cmp_ne_u16_e32 vcc_lo, 0xff, v1
	s_cmp_lt_i32 s10, 11
	s_mov_b32 s42, 0
	v_cndmask_b32_e32 v4, 0x7f800001, v4, vcc_lo
	v_cmp_ne_u16_e32 vcc_lo, 0xff, v3
	v_cndmask_b32_e32 v5, 0x7f800001, v5, vcc_lo
	v_cmp_ne_u16_e32 vcc_lo, 0, v1
	s_delay_alu instid0(VALU_DEP_4) | instskip(SKIP_1) | instid1(VALU_DEP_4)
	v_cndmask_b32_e32 v1, 0x400000, v4, vcc_lo
	v_cmp_ne_u16_e32 vcc_lo, 0, v3
	v_cndmask_b32_e32 v3, 0x400000, v5, vcc_lo
	s_delay_alu instid0(VALU_DEP_1) | instskip(SKIP_4) | instid1(VALU_DEP_2)
	v_cmp_eq_f32_e32 vcc_lo, v1, v3
	v_cndmask_b32_e64 v4, 0, 1, vcc_lo
	v_cmp_neq_f32_e32 vcc_lo, v1, v3
	v_mov_b32_e32 v3, 0
	v_cndmask_b32_e64 v1, 0, 1, vcc_lo
	v_add_nc_u64_e32 v[2:3], s[4:5], v[2:3]
	s_delay_alu instid0(VALU_DEP_2) | instskip(NEXT) | instid1(VALU_DEP_1)
	v_cndmask_b32_e64 v1, v1, v4, s0
	v_and_b32_e32 v1, 1, v1
	s_delay_alu instid0(VALU_DEP_1)
	v_cmp_eq_u32_e64 s1, 1, v1
	s_cbranch_scc1 .LBB316_43
; %bb.37:
	s_and_b32 s41, 0xffff, s10
	s_delay_alu instid0(SALU_CYCLE_1)
	s_cmp_gt_i32 s41, 25
	s_cbranch_scc0 .LBB316_86
; %bb.38:
	s_cmp_gt_i32 s41, 28
	s_cbranch_scc0 .LBB316_89
; %bb.39:
	;; [unrolled: 3-line block ×4, first 2 shown]
	s_mov_b32 s44, 0
	s_mov_b32 s2, -1
	s_cmp_eq_u32 s41, 46
	s_cbranch_scc0 .LBB316_252
; %bb.42:
	v_cndmask_b32_e64 v1, 0, 1.0, s1
	s_mov_b32 s42, -1
	s_mov_b32 s2, 0
	s_delay_alu instid0(VALU_DEP_1) | instskip(NEXT) | instid1(VALU_DEP_1)
	v_bfe_u32 v4, v1, 16, 1
	v_add3_u32 v1, v1, v4, 0x7fff
	s_delay_alu instid0(VALU_DEP_1)
	v_lshrrev_b32_e32 v1, 16, v1
	global_store_b32 v[2:3], v1, off
	s_branch .LBB316_252
.LBB316_43:
	s_and_b32 vcc_lo, exec_lo, s41
	s_cbranch_vccz .LBB316_321
; %bb.44:
	s_and_b32 s10, 0xffff, s10
	s_mov_b32 s41, -1
	s_cmp_lt_i32 s10, 5
	s_cbranch_scc1 .LBB316_65
; %bb.45:
	s_cmp_lt_i32 s10, 8
	s_cbranch_scc1 .LBB316_55
; %bb.46:
	s_cmp_lt_i32 s10, 9
	s_cbranch_scc1 .LBB316_52
; %bb.47:
	s_cmp_gt_i32 s10, 9
	s_cbranch_scc0 .LBB316_49
; %bb.48:
	s_wait_xcnt 0x0
	v_cndmask_b32_e64 v1, 0, 1, s1
	v_mov_b32_e32 v6, 0
	s_mov_b32 s41, 0
	s_delay_alu instid0(VALU_DEP_2) | instskip(NEXT) | instid1(VALU_DEP_2)
	v_cvt_f64_u32_e32 v[4:5], v1
	v_mov_b32_e32 v7, v6
	global_store_b128 v[2:3], v[4:7], off
.LBB316_49:
	s_and_not1_b32 vcc_lo, exec_lo, s41
	s_cbranch_vccnz .LBB316_51
; %bb.50:
	s_wait_xcnt 0x0
	v_cndmask_b32_e64 v4, 0, 1.0, s1
	v_mov_b32_e32 v5, 0
	global_store_b64 v[2:3], v[4:5], off
.LBB316_51:
	s_mov_b32 s41, 0
.LBB316_52:
	s_delay_alu instid0(SALU_CYCLE_1)
	s_and_not1_b32 vcc_lo, exec_lo, s41
	s_cbranch_vccnz .LBB316_54
; %bb.53:
	s_wait_xcnt 0x0
	v_cndmask_b32_e64 v1, 0, 1.0, s1
	s_delay_alu instid0(VALU_DEP_1) | instskip(NEXT) | instid1(VALU_DEP_1)
	v_cvt_f16_f32_e32 v1, v1
	v_and_b32_e32 v1, 0xffff, v1
	global_store_b32 v[2:3], v1, off
.LBB316_54:
	s_mov_b32 s41, 0
.LBB316_55:
	s_delay_alu instid0(SALU_CYCLE_1)
	s_and_not1_b32 vcc_lo, exec_lo, s41
	s_cbranch_vccnz .LBB316_64
; %bb.56:
	s_cmp_lt_i32 s10, 6
	s_mov_b32 s41, -1
	s_cbranch_scc1 .LBB316_62
; %bb.57:
	s_cmp_gt_i32 s10, 6
	s_cbranch_scc0 .LBB316_59
; %bb.58:
	s_wait_xcnt 0x0
	v_cndmask_b32_e64 v1, 0, 1, s1
	s_mov_b32 s41, 0
	s_delay_alu instid0(VALU_DEP_1)
	v_cvt_f64_u32_e32 v[4:5], v1
	global_store_b64 v[2:3], v[4:5], off
.LBB316_59:
	s_and_not1_b32 vcc_lo, exec_lo, s41
	s_cbranch_vccnz .LBB316_61
; %bb.60:
	s_wait_xcnt 0x0
	v_cndmask_b32_e64 v1, 0, 1.0, s1
	global_store_b32 v[2:3], v1, off
.LBB316_61:
	s_mov_b32 s41, 0
.LBB316_62:
	s_delay_alu instid0(SALU_CYCLE_1)
	s_and_not1_b32 vcc_lo, exec_lo, s41
	s_cbranch_vccnz .LBB316_64
; %bb.63:
	s_wait_xcnt 0x0
	v_cndmask_b32_e64 v1, 0, 1.0, s1
	s_delay_alu instid0(VALU_DEP_1)
	v_cvt_f16_f32_e32 v1, v1
	global_store_b16 v[2:3], v1, off
.LBB316_64:
	s_mov_b32 s41, 0
.LBB316_65:
	s_delay_alu instid0(SALU_CYCLE_1)
	s_and_not1_b32 vcc_lo, exec_lo, s41
	s_cbranch_vccnz .LBB316_81
; %bb.66:
	s_cmp_lt_i32 s10, 2
	s_mov_b32 s41, -1
	s_cbranch_scc1 .LBB316_76
; %bb.67:
	s_cmp_lt_i32 s10, 3
	s_cbranch_scc1 .LBB316_73
; %bb.68:
	s_cmp_gt_i32 s10, 3
	s_cbranch_scc0 .LBB316_70
; %bb.69:
	s_mov_b32 s41, 0
	s_wait_xcnt 0x0
	v_cndmask_b32_e64 v4, 0, 1, s1
	v_mov_b32_e32 v5, s41
	global_store_b64 v[2:3], v[4:5], off
.LBB316_70:
	s_and_not1_b32 vcc_lo, exec_lo, s41
	s_cbranch_vccnz .LBB316_72
; %bb.71:
	s_wait_xcnt 0x0
	v_cndmask_b32_e64 v1, 0, 1, s1
	global_store_b32 v[2:3], v1, off
.LBB316_72:
	s_mov_b32 s41, 0
.LBB316_73:
	s_delay_alu instid0(SALU_CYCLE_1)
	s_and_not1_b32 vcc_lo, exec_lo, s41
	s_cbranch_vccnz .LBB316_75
; %bb.74:
	s_wait_xcnt 0x0
	v_cndmask_b32_e64 v1, 0, 1, s1
	global_store_b16 v[2:3], v1, off
.LBB316_75:
	s_mov_b32 s41, 0
.LBB316_76:
	s_delay_alu instid0(SALU_CYCLE_1)
	s_and_not1_b32 vcc_lo, exec_lo, s41
	s_cbranch_vccnz .LBB316_81
; %bb.77:
	s_cmp_gt_i32 s10, 0
	s_mov_b32 s10, -1
	s_cbranch_scc0 .LBB316_79
; %bb.78:
	s_wait_xcnt 0x0
	v_cndmask_b32_e64 v1, 0, 1, s1
	s_mov_b32 s10, 0
	global_store_b8 v[2:3], v1, off
.LBB316_79:
	s_and_not1_b32 vcc_lo, exec_lo, s10
	s_cbranch_vccnz .LBB316_81
; %bb.80:
	s_wait_xcnt 0x0
	v_cndmask_b32_e64 v1, 0, 1, s1
	global_store_b8 v[2:3], v1, off
.LBB316_81:
	s_branch .LBB316_322
.LBB316_82:
	s_mov_b32 s29, -1
	s_mov_b32 s28, 0
	s_mov_b32 s1, 0
                                        ; implicit-def: $vgpr1
	s_branch .LBB316_106
.LBB316_83:
	s_mov_b32 s41, -1
	s_mov_b32 s29, 0
	s_mov_b32 s1, 0
                                        ; implicit-def: $vgpr3
	s_branch .LBB316_357
.LBB316_84:
	s_mov_b32 s29, -1
	s_mov_b32 s28, 0
	s_mov_b32 s1, 0
                                        ; implicit-def: $vgpr1
	s_branch .LBB316_99
.LBB316_85:
	s_mov_b32 s41, -1
	s_mov_b32 s29, 0
	s_mov_b32 s1, 0
                                        ; implicit-def: $vgpr3
	s_branch .LBB316_332
.LBB316_86:
	s_mov_b32 s44, -1
	s_branch .LBB316_279
.LBB316_87:
	s_mov_b32 s29, -1
	s_mov_b32 s28, 0
	s_branch .LBB316_91
.LBB316_88:
	s_mov_b32 s41, -1
	s_mov_b32 s29, 0
	s_mov_b32 s1, 0
                                        ; implicit-def: $vgpr3
	s_branch .LBB316_325
.LBB316_89:
	s_mov_b32 s44, -1
	s_branch .LBB316_262
.LBB316_90:
	s_mov_b32 s28, -1
.LBB316_91:
	s_mov_b32 s1, 0
                                        ; implicit-def: $vgpr1
.LBB316_92:
	s_and_b32 vcc_lo, exec_lo, s29
	s_cbranch_vccz .LBB316_98
; %bb.93:
	s_cmp_eq_u32 s10, 44
	s_cbranch_scc0 .LBB316_97
; %bb.94:
	global_load_u8 v1, v[6:7], off
	s_mov_b32 s1, -1
	s_mov_b32 s28, 0
	s_branch .LBB316_98
.LBB316_95:
	s_mov_b32 s41, -1
	s_mov_b32 s29, 0
	s_branch .LBB316_247
.LBB316_96:
	s_mov_b32 s44, -1
	s_branch .LBB316_258
.LBB316_97:
	s_mov_b32 s28, -1
                                        ; implicit-def: $vgpr1
.LBB316_98:
	s_mov_b32 s29, 0
.LBB316_99:
	s_delay_alu instid0(SALU_CYCLE_1)
	s_and_b32 vcc_lo, exec_lo, s29
	s_cbranch_vccz .LBB316_105
; %bb.100:
	s_cmp_eq_u32 s10, 29
	s_cbranch_scc0 .LBB316_104
; %bb.101:
	global_load_b64 v[8:9], v[6:7], off
	s_mov_b32 s28, exec_lo
	s_wait_loadcnt 0x0
	v_clz_i32_u32_e32 v1, v9
	s_delay_alu instid0(VALU_DEP_1) | instskip(NEXT) | instid1(VALU_DEP_1)
	v_min_u32_e32 v1, 32, v1
	v_lshlrev_b64_e32 v[8:9], v1, v[8:9]
	v_sub_nc_u32_e32 v1, 32, v1
	s_delay_alu instid0(VALU_DEP_2) | instskip(NEXT) | instid1(VALU_DEP_1)
	v_min_u32_e32 v3, 1, v8
	v_or_b32_e32 v3, v9, v3
	s_delay_alu instid0(VALU_DEP_1) | instskip(NEXT) | instid1(VALU_DEP_1)
	v_cvt_f32_u32_e32 v3, v3
	v_ldexp_f32 v5, v3, v1
	v_mov_b32_e32 v1, 0xff
	s_delay_alu instid0(VALU_DEP_2) | instskip(NEXT) | instid1(VALU_DEP_1)
	v_lshrrev_b32_e32 v3, 23, v5
	v_cmpx_ne_u32_e32 0xff, v3
; %bb.102:
	v_and_b32_e32 v1, 0x400000, v5
	v_and_or_b32 v5, 0x3fffff, v5, v3
	s_delay_alu instid0(VALU_DEP_2) | instskip(NEXT) | instid1(VALU_DEP_2)
	v_cmp_ne_u32_e32 vcc_lo, 0, v1
	v_cmp_ne_u32_e64 s1, 0, v5
	s_and_b32 s1, vcc_lo, s1
	s_delay_alu instid0(SALU_CYCLE_1) | instskip(NEXT) | instid1(VALU_DEP_1)
	v_cndmask_b32_e64 v1, 0, 1, s1
	v_add_nc_u32_e32 v1, v3, v1
; %bb.103:
	s_or_b32 exec_lo, exec_lo, s28
	s_mov_b32 s1, -1
	s_mov_b32 s28, 0
	s_branch .LBB316_105
.LBB316_104:
	s_mov_b32 s28, -1
                                        ; implicit-def: $vgpr1
.LBB316_105:
	s_mov_b32 s29, 0
.LBB316_106:
	s_delay_alu instid0(SALU_CYCLE_1)
	s_and_b32 vcc_lo, exec_lo, s29
	s_cbranch_vccz .LBB316_130
; %bb.107:
	s_cmp_lt_i32 s10, 27
	s_cbranch_scc1 .LBB316_112
; %bb.108:
	s_cmp_gt_i32 s10, 27
	s_cbranch_scc0 .LBB316_113
; %bb.109:
	s_wait_loadcnt 0x0
	global_load_b32 v1, v[6:7], off
	s_mov_b32 s29, exec_lo
	s_wait_loadcnt 0x0
	v_cvt_f32_u32_e32 v5, v1
	v_mov_b32_e32 v1, 0xff
	s_delay_alu instid0(VALU_DEP_2) | instskip(NEXT) | instid1(VALU_DEP_1)
	v_lshrrev_b32_e32 v3, 23, v5
	v_cmpx_ne_u32_e32 0xff, v3
; %bb.110:
	v_and_b32_e32 v1, 0x400000, v5
	v_and_or_b32 v5, 0x3fffff, v5, v3
	s_delay_alu instid0(VALU_DEP_2) | instskip(NEXT) | instid1(VALU_DEP_2)
	v_cmp_ne_u32_e32 vcc_lo, 0, v1
	v_cmp_ne_u32_e64 s1, 0, v5
	s_and_b32 s1, vcc_lo, s1
	s_delay_alu instid0(SALU_CYCLE_1) | instskip(NEXT) | instid1(VALU_DEP_1)
	v_cndmask_b32_e64 v1, 0, 1, s1
	v_add_nc_u32_e32 v1, v3, v1
; %bb.111:
	s_or_b32 exec_lo, exec_lo, s29
	s_mov_b32 s1, 0
	s_branch .LBB316_114
.LBB316_112:
	s_mov_b32 s1, -1
                                        ; implicit-def: $vgpr1
	s_branch .LBB316_119
.LBB316_113:
	s_mov_b32 s1, -1
                                        ; implicit-def: $vgpr1
.LBB316_114:
	s_delay_alu instid0(SALU_CYCLE_1)
	s_and_not1_b32 vcc_lo, exec_lo, s1
	s_cbranch_vccnz .LBB316_118
; %bb.115:
	s_wait_loadcnt 0x0
	global_load_u16 v1, v[6:7], off
	s_mov_b32 s29, exec_lo
	s_wait_loadcnt 0x0
	v_cvt_f32_u32_e32 v5, v1
	v_mov_b32_e32 v1, 0xff
	s_delay_alu instid0(VALU_DEP_2) | instskip(NEXT) | instid1(VALU_DEP_1)
	v_lshrrev_b32_e32 v3, 23, v5
	v_cmpx_ne_u32_e32 0xff, v3
; %bb.116:
	v_and_b32_e32 v1, 0x400000, v5
	v_and_or_b32 v5, 0x3fffff, v5, v3
	s_delay_alu instid0(VALU_DEP_2) | instskip(NEXT) | instid1(VALU_DEP_2)
	v_cmp_ne_u32_e32 vcc_lo, 0, v1
	v_cmp_ne_u32_e64 s1, 0, v5
	s_and_b32 s1, vcc_lo, s1
	s_delay_alu instid0(SALU_CYCLE_1) | instskip(NEXT) | instid1(VALU_DEP_1)
	v_cndmask_b32_e64 v1, 0, 1, s1
	v_add_nc_u32_e32 v1, v3, v1
; %bb.117:
	s_or_b32 exec_lo, exec_lo, s29
.LBB316_118:
	s_mov_b32 s1, 0
.LBB316_119:
	s_delay_alu instid0(SALU_CYCLE_1)
	s_and_not1_b32 vcc_lo, exec_lo, s1
	s_cbranch_vccnz .LBB316_129
; %bb.120:
	s_wait_loadcnt 0x0
	global_load_u8 v1, v[6:7], off
	s_mov_b32 s1, 0
	s_mov_b32 s29, exec_lo
	s_wait_loadcnt 0x0
	v_cmpx_lt_i16_e32 0x7f, v1
	s_xor_b32 s29, exec_lo, s29
	s_cbranch_execz .LBB316_144
; %bb.121:
	s_mov_b32 s1, -1
	s_mov_b32 s41, exec_lo
	v_cmpx_eq_u16_e32 0x80, v1
; %bb.122:
	s_xor_b32 s1, exec_lo, -1
; %bb.123:
	s_or_b32 exec_lo, exec_lo, s41
	s_delay_alu instid0(SALU_CYCLE_1)
	s_and_b32 s1, s1, exec_lo
	s_or_saveexec_b32 s29, s29
	v_mov_b32_e32 v3, 0x7f800001
	s_xor_b32 exec_lo, exec_lo, s29
	s_cbranch_execnz .LBB316_145
.LBB316_124:
	s_or_b32 exec_lo, exec_lo, s29
	s_and_saveexec_b32 s29, s1
	s_cbranch_execz .LBB316_126
.LBB316_125:
	v_and_b32_e32 v1, 0xffff, v1
	s_delay_alu instid0(VALU_DEP_1) | instskip(NEXT) | instid1(VALU_DEP_1)
	v_and_b32_e32 v3, 7, v1
	v_clz_i32_u32_e32 v5, v3
	s_delay_alu instid0(VALU_DEP_1) | instskip(NEXT) | instid1(VALU_DEP_1)
	v_min_u32_e32 v5, 32, v5
	v_subrev_nc_u32_e32 v8, 28, v5
	s_delay_alu instid0(VALU_DEP_1) | instskip(SKIP_1) | instid1(VALU_DEP_2)
	v_lshlrev_b32_e32 v8, v8, v1
	v_bfe_u32 v1, v1, 3, 4
	v_dual_sub_nc_u32 v5, 29, v5 :: v_dual_bitop2_b32 v8, 7, v8 bitop3:0x40
	s_delay_alu instid0(VALU_DEP_2) | instskip(NEXT) | instid1(VALU_DEP_2)
	v_cmp_eq_u32_e32 vcc_lo, 0, v1
	v_dual_cndmask_b32 v1, v1, v5, vcc_lo :: v_dual_cndmask_b32 v3, v3, v8, vcc_lo
	s_delay_alu instid0(VALU_DEP_1) | instskip(NEXT) | instid1(VALU_DEP_1)
	v_lshlrev_b32_e32 v3, 20, v3
	v_lshl_or_b32 v1, v1, 23, v3
	s_delay_alu instid0(VALU_DEP_1)
	v_add_nc_u32_e32 v3, 0x3b800000, v1
.LBB316_126:
	s_or_b32 exec_lo, exec_lo, s29
	s_delay_alu instid0(VALU_DEP_1) | instskip(SKIP_2) | instid1(VALU_DEP_2)
	v_lshrrev_b32_e32 v5, 23, v3
	v_mov_b32_e32 v1, 0xff
	s_mov_b32 s29, exec_lo
	v_cmpx_ne_u32_e32 0xff, v5
; %bb.127:
	v_and_b32_e32 v1, 0x400000, v3
	v_and_or_b32 v3, 0x3fffff, v3, v5
	s_delay_alu instid0(VALU_DEP_2) | instskip(NEXT) | instid1(VALU_DEP_2)
	v_cmp_ne_u32_e32 vcc_lo, 0, v1
	v_cmp_ne_u32_e64 s1, 0, v3
	s_and_b32 s1, vcc_lo, s1
	s_delay_alu instid0(SALU_CYCLE_1) | instskip(NEXT) | instid1(VALU_DEP_1)
	v_cndmask_b32_e64 v1, 0, 1, s1
	v_add_nc_u32_e32 v1, v5, v1
; %bb.128:
	s_or_b32 exec_lo, exec_lo, s29
.LBB316_129:
	s_mov_b32 s1, -1
.LBB316_130:
	s_branch .LBB316_175
.LBB316_131:
	s_cmp_gt_i32 s10, 22
	s_cbranch_scc0 .LBB316_143
; %bb.132:
	s_cmp_lt_i32 s10, 24
	s_cbranch_scc1 .LBB316_146
; %bb.133:
	s_cmp_gt_i32 s10, 24
	s_cbranch_scc0 .LBB316_147
; %bb.134:
	s_wait_loadcnt 0x0
	global_load_u8 v1, v[6:7], off
	s_mov_b32 s1, 0
	s_mov_b32 s29, exec_lo
	s_wait_loadcnt 0x0
	v_cmpx_lt_i16_e32 0x7f, v1
	s_xor_b32 s29, exec_lo, s29
	s_cbranch_execz .LBB316_165
; %bb.135:
	s_mov_b32 s1, -1
	s_mov_b32 s41, exec_lo
	v_cmpx_eq_u16_e32 0x80, v1
; %bb.136:
	s_xor_b32 s1, exec_lo, -1
; %bb.137:
	s_or_b32 exec_lo, exec_lo, s41
	s_delay_alu instid0(SALU_CYCLE_1)
	s_and_b32 s1, s1, exec_lo
	s_or_saveexec_b32 s29, s29
	v_mov_b32_e32 v3, 0x7f800001
	s_xor_b32 exec_lo, exec_lo, s29
	s_cbranch_execnz .LBB316_166
.LBB316_138:
	s_or_b32 exec_lo, exec_lo, s29
	s_and_saveexec_b32 s29, s1
	s_cbranch_execz .LBB316_140
.LBB316_139:
	v_and_b32_e32 v1, 0xffff, v1
	s_delay_alu instid0(VALU_DEP_1) | instskip(NEXT) | instid1(VALU_DEP_1)
	v_and_b32_e32 v3, 3, v1
	v_clz_i32_u32_e32 v5, v3
	s_delay_alu instid0(VALU_DEP_1) | instskip(NEXT) | instid1(VALU_DEP_1)
	v_min_u32_e32 v5, 32, v5
	v_subrev_nc_u32_e32 v8, 29, v5
	s_delay_alu instid0(VALU_DEP_1) | instskip(SKIP_1) | instid1(VALU_DEP_2)
	v_lshlrev_b32_e32 v8, v8, v1
	v_bfe_u32 v1, v1, 2, 5
	v_dual_sub_nc_u32 v5, 30, v5 :: v_dual_bitop2_b32 v8, 3, v8 bitop3:0x40
	s_delay_alu instid0(VALU_DEP_2) | instskip(NEXT) | instid1(VALU_DEP_2)
	v_cmp_eq_u32_e32 vcc_lo, 0, v1
	v_dual_cndmask_b32 v1, v1, v5, vcc_lo :: v_dual_cndmask_b32 v3, v3, v8, vcc_lo
	s_delay_alu instid0(VALU_DEP_1) | instskip(NEXT) | instid1(VALU_DEP_1)
	v_lshlrev_b32_e32 v3, 21, v3
	v_lshl_or_b32 v1, v1, 23, v3
	s_delay_alu instid0(VALU_DEP_1)
	v_add_nc_u32_e32 v3, 0x37800000, v1
.LBB316_140:
	s_or_b32 exec_lo, exec_lo, s29
	s_delay_alu instid0(VALU_DEP_1) | instskip(SKIP_2) | instid1(VALU_DEP_2)
	v_lshrrev_b32_e32 v5, 23, v3
	v_mov_b32_e32 v1, 0xff
	s_mov_b32 s29, exec_lo
	v_cmpx_ne_u32_e32 0xff, v5
; %bb.141:
	v_and_b32_e32 v1, 0x400000, v3
	v_and_or_b32 v3, 0x3fffff, v3, v5
	s_delay_alu instid0(VALU_DEP_2) | instskip(NEXT) | instid1(VALU_DEP_2)
	v_cmp_ne_u32_e32 vcc_lo, 0, v1
	v_cmp_ne_u32_e64 s1, 0, v3
	s_and_b32 s1, vcc_lo, s1
	s_delay_alu instid0(SALU_CYCLE_1) | instskip(NEXT) | instid1(VALU_DEP_1)
	v_cndmask_b32_e64 v1, 0, 1, s1
	v_add_nc_u32_e32 v1, v5, v1
; %bb.142:
	s_or_b32 exec_lo, exec_lo, s29
	s_mov_b32 s1, 0
	s_branch .LBB316_148
.LBB316_143:
	s_mov_b32 s29, -1
                                        ; implicit-def: $vgpr1
	s_branch .LBB316_158
.LBB316_144:
	s_or_saveexec_b32 s29, s29
	v_mov_b32_e32 v3, 0x7f800001
	s_xor_b32 exec_lo, exec_lo, s29
	s_cbranch_execz .LBB316_124
.LBB316_145:
	v_cmp_ne_u16_e32 vcc_lo, 0, v1
	v_and_b32_e32 v3, 0xffff, v1
	s_and_not1_b32 s1, s1, exec_lo
	s_and_b32 s41, vcc_lo, exec_lo
	s_delay_alu instid0(SALU_CYCLE_1)
	s_or_b32 s1, s1, s41
	s_or_b32 exec_lo, exec_lo, s29
	s_and_saveexec_b32 s29, s1
	s_cbranch_execnz .LBB316_125
	s_branch .LBB316_126
.LBB316_146:
	s_mov_b32 s1, -1
                                        ; implicit-def: $vgpr1
	s_branch .LBB316_153
.LBB316_147:
	s_mov_b32 s1, -1
                                        ; implicit-def: $vgpr1
.LBB316_148:
	s_delay_alu instid0(SALU_CYCLE_1)
	s_and_b32 vcc_lo, exec_lo, s1
	s_cbranch_vccz .LBB316_152
; %bb.149:
	s_wait_loadcnt 0x0
	global_load_u8 v1, v[6:7], off
	s_mov_b32 s29, exec_lo
	s_wait_loadcnt 0x0
	v_lshlrev_b32_e32 v1, 24, v1
	s_delay_alu instid0(VALU_DEP_1) | instskip(NEXT) | instid1(VALU_DEP_1)
	v_and_b32_e32 v1, 0x7f000000, v1
	v_clz_i32_u32_e32 v3, v1
	v_cmp_ne_u32_e32 vcc_lo, 0, v1
	v_add_nc_u32_e32 v8, 0x1000000, v1
	s_delay_alu instid0(VALU_DEP_3) | instskip(NEXT) | instid1(VALU_DEP_1)
	v_min_u32_e32 v3, 32, v3
	v_sub_nc_u32_e64 v3, v3, 4 clamp
	s_delay_alu instid0(VALU_DEP_1) | instskip(SKIP_1) | instid1(VALU_DEP_2)
	v_dual_lshlrev_b32 v5, v3, v1 :: v_dual_lshlrev_b32 v3, 23, v3
	v_mov_b32_e32 v1, 0xff
	v_lshrrev_b32_e32 v5, 4, v5
	s_delay_alu instid0(VALU_DEP_1) | instskip(NEXT) | instid1(VALU_DEP_1)
	v_dual_sub_nc_u32 v3, v5, v3 :: v_dual_ashrrev_i32 v5, 8, v8
	v_add_nc_u32_e32 v3, 0x3c000000, v3
	s_delay_alu instid0(VALU_DEP_1) | instskip(NEXT) | instid1(VALU_DEP_1)
	v_and_or_b32 v3, 0x7f800000, v5, v3
	v_cndmask_b32_e32 v5, 0, v3, vcc_lo
	s_delay_alu instid0(VALU_DEP_1) | instskip(NEXT) | instid1(VALU_DEP_1)
	v_lshrrev_b32_e32 v3, 23, v5
	v_cmpx_ne_u32_e32 0xff, v3
; %bb.150:
	v_and_b32_e32 v1, 0x400000, v5
	v_and_or_b32 v5, 0x3fffff, v5, v3
	s_delay_alu instid0(VALU_DEP_2) | instskip(NEXT) | instid1(VALU_DEP_2)
	v_cmp_ne_u32_e32 vcc_lo, 0, v1
	v_cmp_ne_u32_e64 s1, 0, v5
	s_and_b32 s1, vcc_lo, s1
	s_delay_alu instid0(SALU_CYCLE_1) | instskip(NEXT) | instid1(VALU_DEP_1)
	v_cndmask_b32_e64 v1, 0, 1, s1
	v_add_nc_u32_e32 v1, v3, v1
; %bb.151:
	s_or_b32 exec_lo, exec_lo, s29
.LBB316_152:
	s_mov_b32 s1, 0
.LBB316_153:
	s_delay_alu instid0(SALU_CYCLE_1)
	s_and_not1_b32 vcc_lo, exec_lo, s1
	s_cbranch_vccnz .LBB316_157
; %bb.154:
	s_wait_loadcnt 0x0
	global_load_u8 v1, v[6:7], off
	s_mov_b32 s29, exec_lo
	s_wait_loadcnt 0x0
	v_dual_lshlrev_b32 v3, 25, v1 :: v_dual_lshlrev_b32 v1, 8, v1
	s_delay_alu instid0(VALU_DEP_1) | instskip(NEXT) | instid1(VALU_DEP_2)
	v_cmp_gt_u32_e32 vcc_lo, 0x8000000, v3
	v_and_or_b32 v1, 0x7f00, v1, 0.5
	s_delay_alu instid0(VALU_DEP_1) | instskip(NEXT) | instid1(VALU_DEP_1)
	v_dual_lshrrev_b32 v5, 4, v3 :: v_dual_add_f32 v1, -0.5, v1
	v_or_b32_e32 v5, 0x70000000, v5
	s_delay_alu instid0(VALU_DEP_1) | instskip(NEXT) | instid1(VALU_DEP_1)
	v_mul_f32_e32 v5, 0x7800000, v5
	v_cndmask_b32_e32 v3, v5, v1, vcc_lo
	v_mov_b32_e32 v1, 0xff
	s_delay_alu instid0(VALU_DEP_2) | instskip(NEXT) | instid1(VALU_DEP_1)
	v_bfe_u32 v5, v3, 23, 8
	v_cmpx_ne_u32_e32 0xff, v5
	s_cbranch_execz .LBB316_156
; %bb.155:
	v_and_b32_e32 v1, 0x400000, v3
	v_and_or_b32 v5, 0x3fffff, v3, v5
	s_delay_alu instid0(VALU_DEP_2) | instskip(NEXT) | instid1(VALU_DEP_2)
	v_cmp_ne_u32_e32 vcc_lo, 0, v1
	v_cmp_ne_u32_e64 s1, 0, v5
	v_lshrrev_b32_e32 v1, 23, v3
	s_and_b32 s1, vcc_lo, s1
	s_delay_alu instid0(SALU_CYCLE_1) | instskip(NEXT) | instid1(VALU_DEP_1)
	v_cndmask_b32_e64 v3, 0, 1, s1
	v_add_nc_u32_e32 v1, v1, v3
.LBB316_156:
	s_or_b32 exec_lo, exec_lo, s29
.LBB316_157:
	s_mov_b32 s29, 0
	s_mov_b32 s1, -1
.LBB316_158:
	s_and_not1_b32 vcc_lo, exec_lo, s29
	s_cbranch_vccnz .LBB316_175
; %bb.159:
	s_cmp_gt_i32 s10, 14
	s_cbranch_scc0 .LBB316_164
; %bb.160:
	s_cmp_eq_u32 s10, 15
	s_cbranch_scc0 .LBB316_167
; %bb.161:
	global_load_u16 v3, v[6:7], off
	s_wait_loadcnt 0x1
	v_mov_b32_e32 v1, 0xff
	s_mov_b32 s28, exec_lo
	s_wait_loadcnt 0x0
	v_bfe_u32 v5, v3, 7, 8
	s_delay_alu instid0(VALU_DEP_1)
	v_cmpx_ne_u32_e32 0xff, v5
	s_cbranch_execz .LBB316_163
; %bb.162:
	v_dual_lshlrev_b32 v1, 16, v3 :: v_dual_bitop2_b32 v8, 64, v3 bitop3:0x40
	s_delay_alu instid0(VALU_DEP_1) | instskip(NEXT) | instid1(VALU_DEP_2)
	v_and_or_b32 v1, 0x3f0000, v1, v5
	v_cmp_ne_u32_e32 vcc_lo, 0, v8
	s_delay_alu instid0(VALU_DEP_2) | instskip(SKIP_2) | instid1(SALU_CYCLE_1)
	v_cmp_ne_u32_e64 s1, 0, v1
	v_lshrrev_b32_e32 v1, 7, v3
	s_and_b32 s1, vcc_lo, s1
	v_cndmask_b32_e64 v3, 0, 1, s1
	s_delay_alu instid0(VALU_DEP_1)
	v_add_nc_u32_e32 v1, v1, v3
.LBB316_163:
	s_or_b32 exec_lo, exec_lo, s28
	s_mov_b32 s1, -1
	s_mov_b32 s28, 0
	s_branch .LBB316_168
.LBB316_164:
	s_mov_b32 s29, -1
                                        ; implicit-def: $vgpr1
	s_branch .LBB316_169
.LBB316_165:
	s_or_saveexec_b32 s29, s29
	v_mov_b32_e32 v3, 0x7f800001
	s_xor_b32 exec_lo, exec_lo, s29
	s_cbranch_execz .LBB316_138
.LBB316_166:
	v_cmp_ne_u16_e32 vcc_lo, 0, v1
	v_and_b32_e32 v3, 0xffff, v1
	s_and_not1_b32 s1, s1, exec_lo
	s_and_b32 s41, vcc_lo, exec_lo
	s_delay_alu instid0(SALU_CYCLE_1)
	s_or_b32 s1, s1, s41
	s_or_b32 exec_lo, exec_lo, s29
	s_and_saveexec_b32 s29, s1
	s_cbranch_execnz .LBB316_139
	s_branch .LBB316_140
.LBB316_167:
	s_mov_b32 s28, -1
                                        ; implicit-def: $vgpr1
.LBB316_168:
	s_mov_b32 s29, 0
.LBB316_169:
	s_delay_alu instid0(SALU_CYCLE_1)
	s_and_b32 vcc_lo, exec_lo, s29
	s_cbranch_vccz .LBB316_175
; %bb.170:
	s_cmp_eq_u32 s10, 11
	s_cbranch_scc0 .LBB316_174
; %bb.171:
	s_wait_loadcnt 0x0
	global_load_u8 v1, v[6:7], off
	s_mov_b32 s28, 0
	s_mov_b32 s10, exec_lo
	s_wait_loadcnt 0x0
	v_cmp_ne_u16_e32 vcc_lo, 0, v1
	v_mov_b32_e32 v1, 0xff
	v_cndmask_b32_e64 v5, 0, 1.0, vcc_lo
	s_delay_alu instid0(VALU_DEP_1) | instskip(NEXT) | instid1(VALU_DEP_1)
	v_lshrrev_b32_e32 v3, 23, v5
	v_cmpx_ne_u32_e32 0xff, v3
; %bb.172:
	v_and_b32_e32 v1, 0x400000, v5
	v_and_or_b32 v5, 0x3fffff, v5, v3
	s_delay_alu instid0(VALU_DEP_2) | instskip(NEXT) | instid1(VALU_DEP_2)
	v_cmp_ne_u32_e32 vcc_lo, 0, v1
	v_cmp_ne_u32_e64 s1, 0, v5
	s_and_b32 s1, vcc_lo, s1
	s_delay_alu instid0(SALU_CYCLE_1) | instskip(NEXT) | instid1(VALU_DEP_1)
	v_cndmask_b32_e64 v1, 0, 1, s1
	v_add_nc_u32_e32 v1, v3, v1
; %bb.173:
	s_or_b32 exec_lo, exec_lo, s10
	s_mov_b32 s1, -1
	s_branch .LBB316_175
.LBB316_174:
	s_mov_b32 s28, -1
                                        ; implicit-def: $vgpr1
.LBB316_175:
	s_branch .LBB316_23
.LBB316_176:
	s_and_b32 s2, 0xffff, s2
	s_delay_alu instid0(SALU_CYCLE_1)
	s_cmp_lt_i32 s2, 5
	s_cbranch_scc1 .LBB316_183
; %bb.177:
	s_cmp_lt_i32 s2, 8
	s_cbranch_scc1 .LBB316_184
; %bb.178:
	s_cmp_lt_i32 s2, 9
	s_cbranch_scc1 .LBB316_185
; %bb.179:
	s_cmp_gt_i32 s2, 9
	s_cbranch_scc0 .LBB316_186
; %bb.180:
	global_load_b64 v[8:9], v[6:7], off
	s_wait_loadcnt 0x1
	v_mov_b32_e32 v1, 0xff
	s_mov_b32 s10, exec_lo
	s_wait_loadcnt 0x0
	v_cvt_f32_f64_e32 v3, v[8:9]
	s_delay_alu instid0(VALU_DEP_1) | instskip(NEXT) | instid1(VALU_DEP_1)
	v_bfe_u32 v5, v3, 23, 8
	v_cmpx_ne_u32_e32 0xff, v5
	s_cbranch_execz .LBB316_182
; %bb.181:
	v_and_b32_e32 v1, 0x400000, v3
	v_and_or_b32 v5, 0x3fffff, v3, v5
	s_delay_alu instid0(VALU_DEP_2) | instskip(NEXT) | instid1(VALU_DEP_2)
	v_cmp_ne_u32_e32 vcc_lo, 0, v1
	v_cmp_ne_u32_e64 s1, 0, v5
	v_lshrrev_b32_e32 v1, 23, v3
	s_and_b32 s1, vcc_lo, s1
	s_delay_alu instid0(SALU_CYCLE_1) | instskip(NEXT) | instid1(VALU_DEP_1)
	v_cndmask_b32_e64 v3, 0, 1, s1
	v_add_nc_u32_e32 v1, v1, v3
.LBB316_182:
	s_or_b32 exec_lo, exec_lo, s10
	s_mov_b32 s1, 0
	s_branch .LBB316_187
.LBB316_183:
                                        ; implicit-def: $vgpr1
	s_branch .LBB316_215
.LBB316_184:
	s_mov_b32 s1, -1
                                        ; implicit-def: $vgpr1
	s_branch .LBB316_197
.LBB316_185:
	s_mov_b32 s1, -1
                                        ; implicit-def: $vgpr1
	s_branch .LBB316_192
.LBB316_186:
	s_mov_b32 s1, -1
                                        ; implicit-def: $vgpr1
.LBB316_187:
	s_delay_alu instid0(SALU_CYCLE_1)
	s_and_not1_b32 vcc_lo, exec_lo, s1
	s_cbranch_vccnz .LBB316_191
; %bb.188:
	global_load_b32 v3, v[6:7], off
	s_wait_loadcnt 0x1
	v_mov_b32_e32 v1, 0xff
	s_mov_b32 s10, exec_lo
	s_wait_loadcnt 0x0
	v_bfe_u32 v5, v3, 23, 8
	s_delay_alu instid0(VALU_DEP_1)
	v_cmpx_ne_u32_e32 0xff, v5
	s_cbranch_execz .LBB316_190
; %bb.189:
	v_and_b32_e32 v1, 0x400000, v3
	v_and_or_b32 v5, 0x3fffff, v3, v5
	s_delay_alu instid0(VALU_DEP_2) | instskip(NEXT) | instid1(VALU_DEP_2)
	v_cmp_ne_u32_e32 vcc_lo, 0, v1
	v_cmp_ne_u32_e64 s1, 0, v5
	v_lshrrev_b32_e32 v1, 23, v3
	s_and_b32 s1, vcc_lo, s1
	s_delay_alu instid0(SALU_CYCLE_1) | instskip(NEXT) | instid1(VALU_DEP_1)
	v_cndmask_b32_e64 v3, 0, 1, s1
	v_add_nc_u32_e32 v1, v1, v3
.LBB316_190:
	s_or_b32 exec_lo, exec_lo, s10
.LBB316_191:
	s_mov_b32 s1, 0
.LBB316_192:
	s_delay_alu instid0(SALU_CYCLE_1)
	s_and_not1_b32 vcc_lo, exec_lo, s1
	s_cbranch_vccnz .LBB316_196
; %bb.193:
	s_wait_loadcnt 0x0
	global_load_b32 v1, v[6:7], off
	s_mov_b32 s10, exec_lo
	s_wait_loadcnt 0x0
	v_cvt_f32_f16_e32 v3, v1
	v_mov_b32_e32 v1, 0xff
	s_delay_alu instid0(VALU_DEP_2) | instskip(NEXT) | instid1(VALU_DEP_1)
	v_bfe_u32 v5, v3, 23, 8
	v_cmpx_ne_u32_e32 0xff, v5
	s_cbranch_execz .LBB316_195
; %bb.194:
	v_and_b32_e32 v1, 0x400000, v3
	v_and_or_b32 v5, 0x3fffff, v3, v5
	s_delay_alu instid0(VALU_DEP_2) | instskip(NEXT) | instid1(VALU_DEP_2)
	v_cmp_ne_u32_e32 vcc_lo, 0, v1
	v_cmp_ne_u32_e64 s1, 0, v5
	v_lshrrev_b32_e32 v1, 23, v3
	s_and_b32 s1, vcc_lo, s1
	s_delay_alu instid0(SALU_CYCLE_1) | instskip(NEXT) | instid1(VALU_DEP_1)
	v_cndmask_b32_e64 v3, 0, 1, s1
	v_add_nc_u32_e32 v1, v1, v3
.LBB316_195:
	s_or_b32 exec_lo, exec_lo, s10
.LBB316_196:
	s_mov_b32 s1, 0
.LBB316_197:
	s_delay_alu instid0(SALU_CYCLE_1)
	s_and_not1_b32 vcc_lo, exec_lo, s1
	s_cbranch_vccnz .LBB316_214
; %bb.198:
	s_cmp_lt_i32 s2, 6
	s_cbranch_scc1 .LBB316_203
; %bb.199:
	s_cmp_gt_i32 s2, 6
	s_cbranch_scc0 .LBB316_204
; %bb.200:
	global_load_b64 v[8:9], v[6:7], off
	s_wait_loadcnt 0x1
	v_mov_b32_e32 v1, 0xff
	s_mov_b32 s10, exec_lo
	s_wait_loadcnt 0x0
	v_cvt_f32_f64_e32 v3, v[8:9]
	s_delay_alu instid0(VALU_DEP_1) | instskip(NEXT) | instid1(VALU_DEP_1)
	v_bfe_u32 v5, v3, 23, 8
	v_cmpx_ne_u32_e32 0xff, v5
	s_cbranch_execz .LBB316_202
; %bb.201:
	v_and_b32_e32 v1, 0x400000, v3
	v_and_or_b32 v5, 0x3fffff, v3, v5
	s_delay_alu instid0(VALU_DEP_2) | instskip(NEXT) | instid1(VALU_DEP_2)
	v_cmp_ne_u32_e32 vcc_lo, 0, v1
	v_cmp_ne_u32_e64 s1, 0, v5
	v_lshrrev_b32_e32 v1, 23, v3
	s_and_b32 s1, vcc_lo, s1
	s_delay_alu instid0(SALU_CYCLE_1) | instskip(NEXT) | instid1(VALU_DEP_1)
	v_cndmask_b32_e64 v3, 0, 1, s1
	v_add_nc_u32_e32 v1, v1, v3
.LBB316_202:
	s_or_b32 exec_lo, exec_lo, s10
	s_mov_b32 s1, 0
	s_branch .LBB316_205
.LBB316_203:
	s_mov_b32 s1, -1
                                        ; implicit-def: $vgpr1
	s_branch .LBB316_210
.LBB316_204:
	s_mov_b32 s1, -1
                                        ; implicit-def: $vgpr1
.LBB316_205:
	s_delay_alu instid0(SALU_CYCLE_1)
	s_and_not1_b32 vcc_lo, exec_lo, s1
	s_cbranch_vccnz .LBB316_209
; %bb.206:
	global_load_b32 v3, v[6:7], off
	s_wait_loadcnt 0x1
	v_mov_b32_e32 v1, 0xff
	s_mov_b32 s10, exec_lo
	s_wait_loadcnt 0x0
	v_bfe_u32 v5, v3, 23, 8
	s_delay_alu instid0(VALU_DEP_1)
	v_cmpx_ne_u32_e32 0xff, v5
	s_cbranch_execz .LBB316_208
; %bb.207:
	v_and_b32_e32 v1, 0x400000, v3
	v_and_or_b32 v5, 0x3fffff, v3, v5
	s_delay_alu instid0(VALU_DEP_2) | instskip(NEXT) | instid1(VALU_DEP_2)
	v_cmp_ne_u32_e32 vcc_lo, 0, v1
	v_cmp_ne_u32_e64 s1, 0, v5
	v_lshrrev_b32_e32 v1, 23, v3
	s_and_b32 s1, vcc_lo, s1
	s_delay_alu instid0(SALU_CYCLE_1) | instskip(NEXT) | instid1(VALU_DEP_1)
	v_cndmask_b32_e64 v3, 0, 1, s1
	v_add_nc_u32_e32 v1, v1, v3
.LBB316_208:
	s_or_b32 exec_lo, exec_lo, s10
.LBB316_209:
	s_mov_b32 s1, 0
.LBB316_210:
	s_delay_alu instid0(SALU_CYCLE_1)
	s_and_not1_b32 vcc_lo, exec_lo, s1
	s_cbranch_vccnz .LBB316_214
; %bb.211:
	s_wait_loadcnt 0x0
	global_load_u16 v1, v[6:7], off
	s_mov_b32 s10, exec_lo
	s_wait_loadcnt 0x0
	v_cvt_f32_f16_e32 v3, v1
	v_mov_b32_e32 v1, 0xff
	s_delay_alu instid0(VALU_DEP_2) | instskip(NEXT) | instid1(VALU_DEP_1)
	v_bfe_u32 v5, v3, 23, 8
	v_cmpx_ne_u32_e32 0xff, v5
	s_cbranch_execz .LBB316_213
; %bb.212:
	v_and_b32_e32 v1, 0x400000, v3
	v_and_or_b32 v5, 0x3fffff, v3, v5
	s_delay_alu instid0(VALU_DEP_2) | instskip(NEXT) | instid1(VALU_DEP_2)
	v_cmp_ne_u32_e32 vcc_lo, 0, v1
	v_cmp_ne_u32_e64 s1, 0, v5
	v_lshrrev_b32_e32 v1, 23, v3
	s_and_b32 s1, vcc_lo, s1
	s_delay_alu instid0(SALU_CYCLE_1) | instskip(NEXT) | instid1(VALU_DEP_1)
	v_cndmask_b32_e64 v3, 0, 1, s1
	v_add_nc_u32_e32 v1, v1, v3
.LBB316_213:
	s_or_b32 exec_lo, exec_lo, s10
.LBB316_214:
	s_cbranch_execnz .LBB316_244
.LBB316_215:
	s_cmp_lt_i32 s2, 2
	s_cbranch_scc1 .LBB316_221
; %bb.216:
	s_cmp_lt_i32 s2, 3
	s_cbranch_scc1 .LBB316_222
; %bb.217:
	s_cmp_gt_i32 s2, 3
	s_cbranch_scc0 .LBB316_223
; %bb.218:
	global_load_b64 v[8:9], v[6:7], off
	s_mov_b32 s10, exec_lo
	s_wait_loadcnt 0x0
	v_xor_b32_e32 v1, v8, v9
	v_cls_i32_e32 v3, v9
	s_delay_alu instid0(VALU_DEP_2) | instskip(NEXT) | instid1(VALU_DEP_1)
	v_ashrrev_i32_e32 v1, 31, v1
	v_add_nc_u32_e32 v1, 32, v1
	s_delay_alu instid0(VALU_DEP_1) | instskip(NEXT) | instid1(VALU_DEP_1)
	v_add_min_u32_e64 v1, v3, -1, v1
	v_lshlrev_b64_e32 v[8:9], v1, v[8:9]
	v_sub_nc_u32_e32 v1, 32, v1
	s_delay_alu instid0(VALU_DEP_2) | instskip(NEXT) | instid1(VALU_DEP_1)
	v_min_u32_e32 v3, 1, v8
	v_or_b32_e32 v3, v9, v3
	s_delay_alu instid0(VALU_DEP_1) | instskip(NEXT) | instid1(VALU_DEP_1)
	v_cvt_f32_i32_e32 v3, v3
	v_ldexp_f32 v3, v3, v1
	v_mov_b32_e32 v1, 0xff
	s_delay_alu instid0(VALU_DEP_2) | instskip(NEXT) | instid1(VALU_DEP_1)
	v_bfe_u32 v5, v3, 23, 8
	v_cmpx_ne_u32_e32 0xff, v5
	s_cbranch_execz .LBB316_220
; %bb.219:
	v_and_b32_e32 v1, 0x400000, v3
	v_and_or_b32 v5, 0x3fffff, v3, v5
	s_delay_alu instid0(VALU_DEP_2) | instskip(NEXT) | instid1(VALU_DEP_2)
	v_cmp_ne_u32_e32 vcc_lo, 0, v1
	v_cmp_ne_u32_e64 s1, 0, v5
	v_lshrrev_b32_e32 v1, 23, v3
	s_and_b32 s1, vcc_lo, s1
	s_delay_alu instid0(SALU_CYCLE_1) | instskip(NEXT) | instid1(VALU_DEP_1)
	v_cndmask_b32_e64 v3, 0, 1, s1
	v_add_nc_u32_e32 v1, v1, v3
.LBB316_220:
	s_or_b32 exec_lo, exec_lo, s10
	s_mov_b32 s1, 0
	s_branch .LBB316_224
.LBB316_221:
	s_mov_b32 s1, -1
                                        ; implicit-def: $vgpr1
	s_branch .LBB316_234
.LBB316_222:
	s_mov_b32 s1, -1
                                        ; implicit-def: $vgpr1
	s_branch .LBB316_229
.LBB316_223:
	s_mov_b32 s1, -1
                                        ; implicit-def: $vgpr1
.LBB316_224:
	s_delay_alu instid0(SALU_CYCLE_1)
	s_and_not1_b32 vcc_lo, exec_lo, s1
	s_cbranch_vccnz .LBB316_228
; %bb.225:
	s_wait_loadcnt 0x0
	global_load_b32 v1, v[6:7], off
	s_mov_b32 s10, exec_lo
	s_wait_loadcnt 0x0
	v_cvt_f32_i32_e32 v3, v1
	v_mov_b32_e32 v1, 0xff
	s_delay_alu instid0(VALU_DEP_2) | instskip(NEXT) | instid1(VALU_DEP_1)
	v_bfe_u32 v5, v3, 23, 8
	v_cmpx_ne_u32_e32 0xff, v5
	s_cbranch_execz .LBB316_227
; %bb.226:
	v_and_b32_e32 v1, 0x400000, v3
	v_and_or_b32 v5, 0x3fffff, v3, v5
	s_delay_alu instid0(VALU_DEP_2) | instskip(NEXT) | instid1(VALU_DEP_2)
	v_cmp_ne_u32_e32 vcc_lo, 0, v1
	v_cmp_ne_u32_e64 s1, 0, v5
	v_lshrrev_b32_e32 v1, 23, v3
	s_and_b32 s1, vcc_lo, s1
	s_delay_alu instid0(SALU_CYCLE_1) | instskip(NEXT) | instid1(VALU_DEP_1)
	v_cndmask_b32_e64 v3, 0, 1, s1
	v_add_nc_u32_e32 v1, v1, v3
.LBB316_227:
	s_or_b32 exec_lo, exec_lo, s10
.LBB316_228:
	s_mov_b32 s1, 0
.LBB316_229:
	s_delay_alu instid0(SALU_CYCLE_1)
	s_and_not1_b32 vcc_lo, exec_lo, s1
	s_cbranch_vccnz .LBB316_233
; %bb.230:
	s_wait_loadcnt 0x0
	global_load_i16 v1, v[6:7], off
	s_mov_b32 s10, exec_lo
	s_wait_loadcnt 0x0
	v_cvt_f32_i32_e32 v3, v1
	v_mov_b32_e32 v1, 0xff
	s_delay_alu instid0(VALU_DEP_2) | instskip(NEXT) | instid1(VALU_DEP_1)
	v_bfe_u32 v5, v3, 23, 8
	v_cmpx_ne_u32_e32 0xff, v5
	s_cbranch_execz .LBB316_232
; %bb.231:
	v_and_b32_e32 v1, 0x400000, v3
	v_and_or_b32 v5, 0x3fffff, v3, v5
	s_delay_alu instid0(VALU_DEP_2) | instskip(NEXT) | instid1(VALU_DEP_2)
	v_cmp_ne_u32_e32 vcc_lo, 0, v1
	v_cmp_ne_u32_e64 s1, 0, v5
	v_lshrrev_b32_e32 v1, 23, v3
	s_and_b32 s1, vcc_lo, s1
	s_delay_alu instid0(SALU_CYCLE_1) | instskip(NEXT) | instid1(VALU_DEP_1)
	v_cndmask_b32_e64 v3, 0, 1, s1
	v_add_nc_u32_e32 v1, v1, v3
.LBB316_232:
	s_or_b32 exec_lo, exec_lo, s10
.LBB316_233:
	s_mov_b32 s1, 0
.LBB316_234:
	s_delay_alu instid0(SALU_CYCLE_1)
	s_and_not1_b32 vcc_lo, exec_lo, s1
	s_cbranch_vccnz .LBB316_244
; %bb.235:
	s_cmp_gt_i32 s2, 0
	s_cbranch_scc0 .LBB316_239
; %bb.236:
	s_wait_loadcnt 0x0
	global_load_i8 v1, v[6:7], off
	s_mov_b32 s2, exec_lo
	s_wait_loadcnt 0x0
	v_cvt_f32_i32_e32 v3, v1
	v_mov_b32_e32 v1, 0xff
	s_delay_alu instid0(VALU_DEP_2) | instskip(NEXT) | instid1(VALU_DEP_1)
	v_bfe_u32 v5, v3, 23, 8
	v_cmpx_ne_u32_e32 0xff, v5
	s_cbranch_execz .LBB316_238
; %bb.237:
	v_and_b32_e32 v1, 0x400000, v3
	v_and_or_b32 v5, 0x3fffff, v3, v5
	s_delay_alu instid0(VALU_DEP_2) | instskip(NEXT) | instid1(VALU_DEP_2)
	v_cmp_ne_u32_e32 vcc_lo, 0, v1
	v_cmp_ne_u32_e64 s1, 0, v5
	v_lshrrev_b32_e32 v1, 23, v3
	s_and_b32 s1, vcc_lo, s1
	s_delay_alu instid0(SALU_CYCLE_1) | instskip(NEXT) | instid1(VALU_DEP_1)
	v_cndmask_b32_e64 v3, 0, 1, s1
	v_add_nc_u32_e32 v1, v1, v3
.LBB316_238:
	s_or_b32 exec_lo, exec_lo, s2
	s_mov_b32 s1, 0
	s_branch .LBB316_240
.LBB316_239:
	s_mov_b32 s1, -1
                                        ; implicit-def: $vgpr1
.LBB316_240:
	s_delay_alu instid0(SALU_CYCLE_1)
	s_and_not1_b32 vcc_lo, exec_lo, s1
	s_cbranch_vccnz .LBB316_244
; %bb.241:
	s_wait_loadcnt 0x0
	global_load_u8 v1, v[6:7], off
	s_mov_b32 s2, exec_lo
	s_wait_loadcnt 0x0
	v_cvt_f32_ubyte0_e32 v5, v1
	v_mov_b32_e32 v1, 0xff
	s_delay_alu instid0(VALU_DEP_2) | instskip(NEXT) | instid1(VALU_DEP_1)
	v_lshrrev_b32_e32 v3, 23, v5
	v_cmpx_ne_u32_e32 0xff, v3
; %bb.242:
	v_and_b32_e32 v1, 0x400000, v5
	v_and_or_b32 v5, 0x3fffff, v5, v3
	s_delay_alu instid0(VALU_DEP_2) | instskip(NEXT) | instid1(VALU_DEP_2)
	v_cmp_ne_u32_e32 vcc_lo, 0, v1
	v_cmp_ne_u32_e64 s1, 0, v5
	s_and_b32 s1, vcc_lo, s1
	s_delay_alu instid0(SALU_CYCLE_1) | instskip(NEXT) | instid1(VALU_DEP_1)
	v_cndmask_b32_e64 v1, 0, 1, s1
	v_add_nc_u32_e32 v1, v3, v1
; %bb.243:
	s_or_b32 exec_lo, exec_lo, s2
.LBB316_244:
	s_branch .LBB316_24
.LBB316_245:
	s_mov_b32 s2, 0
	s_mov_b32 s29, 0
	s_branch .LBB316_474
.LBB316_246:
	s_mov_b32 s29, -1
.LBB316_247:
	s_mov_b32 s1, 0
                                        ; implicit-def: $vgpr3
.LBB316_248:
	s_and_b32 vcc_lo, exec_lo, s41
	s_cbranch_vccz .LBB316_324
; %bb.249:
	s_cmp_eq_u32 s10, 44
	s_cbranch_scc0 .LBB316_323
; %bb.250:
	global_load_u8 v3, v[4:5], off
	s_mov_b32 s1, -1
	s_mov_b32 s29, 0
	s_branch .LBB316_324
.LBB316_251:
	s_mov_b32 s44, -1
.LBB316_252:
	s_delay_alu instid0(SALU_CYCLE_1)
	s_and_b32 vcc_lo, exec_lo, s44
	s_cbranch_vccz .LBB316_257
; %bb.253:
	s_cmp_eq_u32 s41, 44
	s_mov_b32 s2, -1
	s_cbranch_scc0 .LBB316_257
; %bb.254:
	v_cndmask_b32_e64 v5, 0, 1.0, s1
	s_mov_b32 s42, exec_lo
	s_wait_xcnt 0x0
	s_delay_alu instid0(VALU_DEP_1) | instskip(NEXT) | instid1(VALU_DEP_1)
	v_dual_mov_b32 v4, 0xff :: v_dual_lshrrev_b32 v1, 23, v5
	v_cmpx_ne_u32_e32 0xff, v1
; %bb.255:
	v_and_b32_e32 v4, 0x400000, v5
	v_and_or_b32 v5, 0x3fffff, v5, v1
	s_delay_alu instid0(VALU_DEP_2) | instskip(NEXT) | instid1(VALU_DEP_2)
	v_cmp_ne_u32_e32 vcc_lo, 0, v4
	v_cmp_ne_u32_e64 s2, 0, v5
	s_and_b32 s2, vcc_lo, s2
	s_delay_alu instid0(SALU_CYCLE_1) | instskip(NEXT) | instid1(VALU_DEP_1)
	v_cndmask_b32_e64 v4, 0, 1, s2
	v_add_nc_u32_e32 v4, v1, v4
; %bb.256:
	s_or_b32 exec_lo, exec_lo, s42
	s_mov_b32 s42, -1
	s_mov_b32 s2, 0
	global_store_b8 v[2:3], v4, off
.LBB316_257:
	s_mov_b32 s44, 0
.LBB316_258:
	s_delay_alu instid0(SALU_CYCLE_1)
	s_and_b32 vcc_lo, exec_lo, s44
	s_cbranch_vccz .LBB316_261
; %bb.259:
	s_cmp_eq_u32 s41, 29
	s_mov_b32 s2, -1
	s_cbranch_scc0 .LBB316_261
; %bb.260:
	s_mov_b32 s2, 0
	s_wait_xcnt 0x0
	v_cndmask_b32_e64 v4, 0, 1, s1
	v_mov_b32_e32 v5, s2
	s_mov_b32 s42, -1
	s_mov_b32 s44, 0
	global_store_b64 v[2:3], v[4:5], off
	s_branch .LBB316_262
.LBB316_261:
	s_mov_b32 s44, 0
.LBB316_262:
	s_delay_alu instid0(SALU_CYCLE_1)
	s_and_b32 vcc_lo, exec_lo, s44
	s_cbranch_vccz .LBB316_278
; %bb.263:
	s_cmp_lt_i32 s41, 27
	s_mov_b32 s42, -1
	s_cbranch_scc1 .LBB316_269
; %bb.264:
	s_cmp_gt_i32 s41, 27
	s_cbranch_scc0 .LBB316_266
; %bb.265:
	s_wait_xcnt 0x0
	v_cndmask_b32_e64 v1, 0, 1, s1
	s_mov_b32 s42, 0
	global_store_b32 v[2:3], v1, off
.LBB316_266:
	s_and_not1_b32 vcc_lo, exec_lo, s42
	s_cbranch_vccnz .LBB316_268
; %bb.267:
	s_wait_xcnt 0x0
	v_cndmask_b32_e64 v1, 0, 1, s1
	global_store_b16 v[2:3], v1, off
.LBB316_268:
	s_mov_b32 s42, 0
.LBB316_269:
	s_delay_alu instid0(SALU_CYCLE_1)
	s_and_not1_b32 vcc_lo, exec_lo, s42
	s_cbranch_vccnz .LBB316_277
; %bb.270:
	s_wait_xcnt 0x0
	v_cndmask_b32_e64 v4, 0, 1.0, s1
	v_mov_b32_e32 v5, 0x80
	s_mov_b32 s42, exec_lo
	s_delay_alu instid0(VALU_DEP_2)
	v_cmpx_gt_u32_e32 0x43800000, v4
	s_cbranch_execz .LBB316_276
; %bb.271:
	s_mov_b32 s44, 0
	s_mov_b32 s45, exec_lo
                                        ; implicit-def: $vgpr1
	v_cmpx_lt_u32_e32 0x3bffffff, v4
	s_xor_b32 s45, exec_lo, s45
	s_cbranch_execz .LBB316_522
; %bb.272:
	v_bfe_u32 v1, v4, 20, 1
	s_mov_b32 s44, exec_lo
	s_delay_alu instid0(VALU_DEP_1) | instskip(NEXT) | instid1(VALU_DEP_1)
	v_add3_u32 v1, v4, v1, 0x487ffff
                                        ; implicit-def: $vgpr4
	v_lshrrev_b32_e32 v1, 20, v1
	s_and_not1_saveexec_b32 s45, s45
	s_cbranch_execnz .LBB316_523
.LBB316_273:
	s_or_b32 exec_lo, exec_lo, s45
	v_mov_b32_e32 v5, 0
	s_and_saveexec_b32 s45, s44
.LBB316_274:
	v_mov_b32_e32 v5, v1
.LBB316_275:
	s_or_b32 exec_lo, exec_lo, s45
.LBB316_276:
	s_delay_alu instid0(SALU_CYCLE_1)
	s_or_b32 exec_lo, exec_lo, s42
	global_store_b8 v[2:3], v5, off
.LBB316_277:
	s_mov_b32 s42, -1
.LBB316_278:
	s_mov_b32 s44, 0
.LBB316_279:
	s_delay_alu instid0(SALU_CYCLE_1)
	s_and_b32 vcc_lo, exec_lo, s44
	s_cbranch_vccz .LBB316_320
; %bb.280:
	s_cmp_gt_i32 s41, 22
	s_mov_b32 s44, -1
	s_cbranch_scc0 .LBB316_312
; %bb.281:
	s_cmp_lt_i32 s41, 24
	s_mov_b32 s42, -1
	s_cbranch_scc1 .LBB316_301
; %bb.282:
	s_cmp_gt_i32 s41, 24
	s_cbranch_scc0 .LBB316_290
; %bb.283:
	s_wait_xcnt 0x0
	v_cndmask_b32_e64 v4, 0, 1.0, s1
	v_mov_b32_e32 v5, 0x80
	s_mov_b32 s42, exec_lo
	s_delay_alu instid0(VALU_DEP_2)
	v_cmpx_gt_u32_e32 0x47800000, v4
	s_cbranch_execz .LBB316_289
; %bb.284:
	s_mov_b32 s44, 0
	s_mov_b32 s45, exec_lo
                                        ; implicit-def: $vgpr1
	v_cmpx_lt_u32_e32 0x37ffffff, v4
	s_xor_b32 s45, exec_lo, s45
	s_cbranch_execz .LBB316_681
; %bb.285:
	v_bfe_u32 v1, v4, 21, 1
	s_mov_b32 s44, exec_lo
	s_delay_alu instid0(VALU_DEP_1) | instskip(NEXT) | instid1(VALU_DEP_1)
	v_add3_u32 v1, v4, v1, 0x88fffff
                                        ; implicit-def: $vgpr4
	v_lshrrev_b32_e32 v1, 21, v1
	s_and_not1_saveexec_b32 s45, s45
	s_cbranch_execnz .LBB316_682
.LBB316_286:
	s_or_b32 exec_lo, exec_lo, s45
	v_mov_b32_e32 v5, 0
	s_and_saveexec_b32 s45, s44
.LBB316_287:
	v_mov_b32_e32 v5, v1
.LBB316_288:
	s_or_b32 exec_lo, exec_lo, s45
.LBB316_289:
	s_delay_alu instid0(SALU_CYCLE_1)
	s_or_b32 exec_lo, exec_lo, s42
	s_mov_b32 s42, 0
	global_store_b8 v[2:3], v5, off
.LBB316_290:
	s_and_b32 vcc_lo, exec_lo, s42
	s_cbranch_vccz .LBB316_300
; %bb.291:
	s_wait_xcnt 0x0
	v_cndmask_b32_e64 v4, 0, 1.0, s1
	s_mov_b32 s42, exec_lo
                                        ; implicit-def: $vgpr1
	s_delay_alu instid0(VALU_DEP_1)
	v_cmpx_gt_u32_e32 0x43f00000, v4
	s_xor_b32 s42, exec_lo, s42
	s_cbranch_execz .LBB316_297
; %bb.292:
	s_mov_b32 s44, exec_lo
                                        ; implicit-def: $vgpr1
	v_cmpx_lt_u32_e32 0x3c7fffff, v4
	s_xor_b32 s44, exec_lo, s44
; %bb.293:
	v_bfe_u32 v1, v4, 20, 1
	s_delay_alu instid0(VALU_DEP_1) | instskip(NEXT) | instid1(VALU_DEP_1)
	v_add3_u32 v1, v4, v1, 0x407ffff
	v_and_b32_e32 v4, 0xff00000, v1
	v_lshrrev_b32_e32 v1, 20, v1
	s_delay_alu instid0(VALU_DEP_2) | instskip(NEXT) | instid1(VALU_DEP_2)
	v_cmp_ne_u32_e32 vcc_lo, 0x7f00000, v4
                                        ; implicit-def: $vgpr4
	v_cndmask_b32_e32 v1, 0x7e, v1, vcc_lo
; %bb.294:
	s_and_not1_saveexec_b32 s44, s44
; %bb.295:
	v_add_f32_e32 v1, 0x46800000, v4
; %bb.296:
	s_or_b32 exec_lo, exec_lo, s44
                                        ; implicit-def: $vgpr4
.LBB316_297:
	s_and_not1_saveexec_b32 s42, s42
; %bb.298:
	v_mov_b32_e32 v1, 0x7f
	v_cmp_lt_u32_e32 vcc_lo, 0x7f800000, v4
	s_delay_alu instid0(VALU_DEP_2)
	v_cndmask_b32_e32 v1, 0x7e, v1, vcc_lo
; %bb.299:
	s_or_b32 exec_lo, exec_lo, s42
	global_store_b8 v[2:3], v1, off
.LBB316_300:
	s_mov_b32 s42, 0
.LBB316_301:
	s_delay_alu instid0(SALU_CYCLE_1)
	s_and_not1_b32 vcc_lo, exec_lo, s42
	s_cbranch_vccnz .LBB316_311
; %bb.302:
	s_wait_xcnt 0x0
	v_cndmask_b32_e64 v4, 0, 1.0, s1
	s_mov_b32 s42, exec_lo
                                        ; implicit-def: $vgpr1
	s_delay_alu instid0(VALU_DEP_1)
	v_cmpx_gt_u32_e32 0x47800000, v4
	s_xor_b32 s42, exec_lo, s42
	s_cbranch_execz .LBB316_308
; %bb.303:
	s_mov_b32 s44, exec_lo
                                        ; implicit-def: $vgpr1
	v_cmpx_lt_u32_e32 0x387fffff, v4
	s_xor_b32 s44, exec_lo, s44
; %bb.304:
	v_bfe_u32 v1, v4, 21, 1
	s_delay_alu instid0(VALU_DEP_1) | instskip(NEXT) | instid1(VALU_DEP_1)
	v_add3_u32 v1, v4, v1, 0x80fffff
                                        ; implicit-def: $vgpr4
	v_lshrrev_b32_e32 v1, 21, v1
; %bb.305:
	s_and_not1_saveexec_b32 s44, s44
; %bb.306:
	v_add_f32_e32 v1, 0x43000000, v4
; %bb.307:
	s_or_b32 exec_lo, exec_lo, s44
                                        ; implicit-def: $vgpr4
.LBB316_308:
	s_and_not1_saveexec_b32 s42, s42
; %bb.309:
	v_mov_b32_e32 v1, 0x7f
	v_cmp_lt_u32_e32 vcc_lo, 0x7f800000, v4
	s_delay_alu instid0(VALU_DEP_2)
	v_cndmask_b32_e32 v1, 0x7c, v1, vcc_lo
; %bb.310:
	s_or_b32 exec_lo, exec_lo, s42
	global_store_b8 v[2:3], v1, off
.LBB316_311:
	s_mov_b32 s44, 0
	s_mov_b32 s42, -1
.LBB316_312:
	s_and_not1_b32 vcc_lo, exec_lo, s44
	s_cbranch_vccnz .LBB316_320
; %bb.313:
	s_cmp_gt_i32 s41, 14
	s_mov_b32 s44, -1
	s_cbranch_scc0 .LBB316_317
; %bb.314:
	s_cmp_eq_u32 s41, 15
	s_mov_b32 s2, -1
	s_cbranch_scc0 .LBB316_316
; %bb.315:
	s_wait_xcnt 0x0
	v_cndmask_b32_e64 v1, 0, 1.0, s1
	s_mov_b32 s42, -1
	s_mov_b32 s2, 0
	s_delay_alu instid0(VALU_DEP_1) | instskip(NEXT) | instid1(VALU_DEP_1)
	v_bfe_u32 v4, v1, 16, 1
	v_add3_u32 v1, v1, v4, 0x7fff
	global_store_d16_hi_b16 v[2:3], v1, off
.LBB316_316:
	s_mov_b32 s44, 0
.LBB316_317:
	s_delay_alu instid0(SALU_CYCLE_1)
	s_and_b32 vcc_lo, exec_lo, s44
	s_cbranch_vccz .LBB316_320
; %bb.318:
	s_cmp_eq_u32 s41, 11
	s_mov_b32 s2, -1
	s_cbranch_scc0 .LBB316_320
; %bb.319:
	s_wait_xcnt 0x0
	v_cndmask_b32_e64 v1, 0, 1, s1
	s_mov_b32 s42, -1
	s_mov_b32 s2, 0
	global_store_b8 v[2:3], v1, off
.LBB316_320:
.LBB316_321:
	s_and_not1_b32 vcc_lo, exec_lo, s42
	s_cbranch_vccnz .LBB316_474
.LBB316_322:
	v_add_nc_u32_e32 v0, 0x80, v0
	s_mov_b32 s1, -1
	s_branch .LBB316_475
.LBB316_323:
	s_mov_b32 s29, -1
                                        ; implicit-def: $vgpr3
.LBB316_324:
	s_mov_b32 s41, 0
.LBB316_325:
	s_delay_alu instid0(SALU_CYCLE_1)
	s_and_b32 vcc_lo, exec_lo, s41
	s_cbranch_vccz .LBB316_331
; %bb.326:
	s_cmp_eq_u32 s10, 29
	s_cbranch_scc0 .LBB316_330
; %bb.327:
	global_load_b64 v[6:7], v[4:5], off
	s_mov_b32 s29, exec_lo
	s_wait_loadcnt 0x0
	v_clz_i32_u32_e32 v3, v7
	s_delay_alu instid0(VALU_DEP_1) | instskip(NEXT) | instid1(VALU_DEP_1)
	v_min_u32_e32 v3, 32, v3
	v_lshlrev_b64_e32 v[6:7], v3, v[6:7]
	v_sub_nc_u32_e32 v3, 32, v3
	s_delay_alu instid0(VALU_DEP_2) | instskip(NEXT) | instid1(VALU_DEP_1)
	v_min_u32_e32 v6, 1, v6
	v_or_b32_e32 v6, v7, v6
	s_delay_alu instid0(VALU_DEP_1) | instskip(NEXT) | instid1(VALU_DEP_1)
	v_cvt_f32_u32_e32 v6, v6
	v_ldexp_f32 v7, v6, v3
	s_delay_alu instid0(VALU_DEP_1) | instskip(NEXT) | instid1(VALU_DEP_1)
	v_dual_mov_b32 v3, 0xff :: v_dual_lshrrev_b32 v6, 23, v7
	v_cmpx_ne_u32_e32 0xff, v6
; %bb.328:
	v_and_b32_e32 v3, 0x400000, v7
	v_and_or_b32 v7, 0x3fffff, v7, v6
	s_delay_alu instid0(VALU_DEP_2) | instskip(NEXT) | instid1(VALU_DEP_2)
	v_cmp_ne_u32_e32 vcc_lo, 0, v3
	v_cmp_ne_u32_e64 s1, 0, v7
	s_and_b32 s1, vcc_lo, s1
	s_delay_alu instid0(SALU_CYCLE_1) | instskip(NEXT) | instid1(VALU_DEP_1)
	v_cndmask_b32_e64 v3, 0, 1, s1
	v_add_nc_u32_e32 v3, v6, v3
; %bb.329:
	s_or_b32 exec_lo, exec_lo, s29
	s_mov_b32 s1, -1
	s_mov_b32 s29, 0
	s_branch .LBB316_331
.LBB316_330:
	s_mov_b32 s29, -1
                                        ; implicit-def: $vgpr3
.LBB316_331:
	s_mov_b32 s41, 0
.LBB316_332:
	s_delay_alu instid0(SALU_CYCLE_1)
	s_and_b32 vcc_lo, exec_lo, s41
	s_cbranch_vccz .LBB316_356
; %bb.333:
	s_cmp_lt_i32 s10, 27
	s_cbranch_scc1 .LBB316_338
; %bb.334:
	s_cmp_gt_i32 s10, 27
	s_cbranch_scc0 .LBB316_339
; %bb.335:
	s_wait_loadcnt 0x0
	global_load_b32 v3, v[4:5], off
	s_mov_b32 s41, exec_lo
	s_wait_loadcnt 0x0
	v_cvt_f32_u32_e32 v7, v3
	s_delay_alu instid0(VALU_DEP_1) | instskip(NEXT) | instid1(VALU_DEP_1)
	v_dual_mov_b32 v3, 0xff :: v_dual_lshrrev_b32 v6, 23, v7
	v_cmpx_ne_u32_e32 0xff, v6
; %bb.336:
	v_and_b32_e32 v3, 0x400000, v7
	v_and_or_b32 v7, 0x3fffff, v7, v6
	s_delay_alu instid0(VALU_DEP_2) | instskip(NEXT) | instid1(VALU_DEP_2)
	v_cmp_ne_u32_e32 vcc_lo, 0, v3
	v_cmp_ne_u32_e64 s1, 0, v7
	s_and_b32 s1, vcc_lo, s1
	s_delay_alu instid0(SALU_CYCLE_1) | instskip(NEXT) | instid1(VALU_DEP_1)
	v_cndmask_b32_e64 v3, 0, 1, s1
	v_add_nc_u32_e32 v3, v6, v3
; %bb.337:
	s_or_b32 exec_lo, exec_lo, s41
	s_mov_b32 s1, 0
	s_branch .LBB316_340
.LBB316_338:
	s_mov_b32 s1, -1
                                        ; implicit-def: $vgpr3
	s_branch .LBB316_345
.LBB316_339:
	s_mov_b32 s1, -1
                                        ; implicit-def: $vgpr3
.LBB316_340:
	s_delay_alu instid0(SALU_CYCLE_1)
	s_and_not1_b32 vcc_lo, exec_lo, s1
	s_cbranch_vccnz .LBB316_344
; %bb.341:
	s_wait_loadcnt 0x0
	global_load_u16 v3, v[4:5], off
	s_mov_b32 s41, exec_lo
	s_wait_loadcnt 0x0
	v_cvt_f32_u32_e32 v7, v3
	s_delay_alu instid0(VALU_DEP_1) | instskip(NEXT) | instid1(VALU_DEP_1)
	v_dual_mov_b32 v3, 0xff :: v_dual_lshrrev_b32 v6, 23, v7
	v_cmpx_ne_u32_e32 0xff, v6
; %bb.342:
	v_and_b32_e32 v3, 0x400000, v7
	v_and_or_b32 v7, 0x3fffff, v7, v6
	s_delay_alu instid0(VALU_DEP_2) | instskip(NEXT) | instid1(VALU_DEP_2)
	v_cmp_ne_u32_e32 vcc_lo, 0, v3
	v_cmp_ne_u32_e64 s1, 0, v7
	s_and_b32 s1, vcc_lo, s1
	s_delay_alu instid0(SALU_CYCLE_1) | instskip(NEXT) | instid1(VALU_DEP_1)
	v_cndmask_b32_e64 v3, 0, 1, s1
	v_add_nc_u32_e32 v3, v6, v3
; %bb.343:
	s_or_b32 exec_lo, exec_lo, s41
.LBB316_344:
	s_mov_b32 s1, 0
.LBB316_345:
	s_delay_alu instid0(SALU_CYCLE_1)
	s_and_not1_b32 vcc_lo, exec_lo, s1
	s_cbranch_vccnz .LBB316_355
; %bb.346:
	s_wait_loadcnt 0x0
	global_load_u8 v3, v[4:5], off
	s_mov_b32 s1, 0
	s_mov_b32 s41, exec_lo
	s_wait_loadcnt 0x0
	v_cmpx_lt_i16_e32 0x7f, v3
	s_xor_b32 s41, exec_lo, s41
	s_cbranch_execz .LBB316_373
; %bb.347:
	s_mov_b32 s1, -1
	s_mov_b32 s42, exec_lo
	v_cmpx_eq_u16_e32 0x80, v3
; %bb.348:
	s_xor_b32 s1, exec_lo, -1
; %bb.349:
	s_or_b32 exec_lo, exec_lo, s42
	s_delay_alu instid0(SALU_CYCLE_1)
	s_and_b32 s1, s1, exec_lo
	s_or_saveexec_b32 s41, s41
	v_mov_b32_e32 v6, 0x7f800001
	s_xor_b32 exec_lo, exec_lo, s41
	s_cbranch_execnz .LBB316_374
.LBB316_350:
	s_or_b32 exec_lo, exec_lo, s41
	s_and_saveexec_b32 s41, s1
	s_cbranch_execz .LBB316_352
.LBB316_351:
	v_and_b32_e32 v3, 0xffff, v3
	s_delay_alu instid0(VALU_DEP_1) | instskip(NEXT) | instid1(VALU_DEP_1)
	v_and_b32_e32 v6, 7, v3
	v_clz_i32_u32_e32 v7, v6
	s_delay_alu instid0(VALU_DEP_1) | instskip(NEXT) | instid1(VALU_DEP_1)
	v_min_u32_e32 v7, 32, v7
	v_subrev_nc_u32_e32 v8, 28, v7
	s_delay_alu instid0(VALU_DEP_1) | instskip(SKIP_1) | instid1(VALU_DEP_2)
	v_lshlrev_b32_e32 v8, v8, v3
	v_bfe_u32 v3, v3, 3, 4
	v_dual_sub_nc_u32 v7, 29, v7 :: v_dual_bitop2_b32 v8, 7, v8 bitop3:0x40
	s_delay_alu instid0(VALU_DEP_2) | instskip(NEXT) | instid1(VALU_DEP_2)
	v_cmp_eq_u32_e32 vcc_lo, 0, v3
	v_dual_cndmask_b32 v3, v3, v7 :: v_dual_cndmask_b32 v6, v6, v8
	s_delay_alu instid0(VALU_DEP_1) | instskip(NEXT) | instid1(VALU_DEP_1)
	v_lshlrev_b32_e32 v6, 20, v6
	v_lshl_or_b32 v3, v3, 23, v6
	s_delay_alu instid0(VALU_DEP_1)
	v_add_nc_u32_e32 v6, 0x3b800000, v3
.LBB316_352:
	s_or_b32 exec_lo, exec_lo, s41
	s_delay_alu instid0(VALU_DEP_1) | instskip(SKIP_2) | instid1(VALU_DEP_2)
	v_lshrrev_b32_e32 v7, 23, v6
	v_mov_b32_e32 v3, 0xff
	s_mov_b32 s41, exec_lo
	v_cmpx_ne_u32_e32 0xff, v7
; %bb.353:
	v_and_b32_e32 v3, 0x400000, v6
	v_and_or_b32 v6, 0x3fffff, v6, v7
	s_delay_alu instid0(VALU_DEP_2) | instskip(NEXT) | instid1(VALU_DEP_2)
	v_cmp_ne_u32_e32 vcc_lo, 0, v3
	v_cmp_ne_u32_e64 s1, 0, v6
	s_and_b32 s1, vcc_lo, s1
	s_delay_alu instid0(SALU_CYCLE_1) | instskip(NEXT) | instid1(VALU_DEP_1)
	v_cndmask_b32_e64 v3, 0, 1, s1
	v_add_nc_u32_e32 v3, v7, v3
; %bb.354:
	s_or_b32 exec_lo, exec_lo, s41
.LBB316_355:
	s_mov_b32 s1, -1
.LBB316_356:
	s_mov_b32 s41, 0
.LBB316_357:
	s_delay_alu instid0(SALU_CYCLE_1)
	s_and_b32 vcc_lo, exec_lo, s41
	s_cbranch_vccz .LBB316_402
; %bb.358:
	s_cmp_gt_i32 s10, 22
	s_cbranch_scc0 .LBB316_372
; %bb.359:
	s_cmp_lt_i32 s10, 24
	s_cbranch_scc1 .LBB316_375
; %bb.360:
	s_cmp_gt_i32 s10, 24
	s_cbranch_scc0 .LBB316_376
; %bb.361:
	s_wait_loadcnt 0x0
	global_load_u8 v3, v[4:5], off
	s_mov_b32 s1, 0
	s_mov_b32 s41, exec_lo
	s_wait_loadcnt 0x0
	v_cmpx_lt_i16_e32 0x7f, v3
	s_xor_b32 s41, exec_lo, s41
	s_cbranch_execz .LBB316_365
; %bb.362:
	s_mov_b32 s1, -1
	s_mov_b32 s42, exec_lo
	v_cmpx_eq_u16_e32 0x80, v3
; %bb.363:
	s_xor_b32 s1, exec_lo, -1
; %bb.364:
	s_or_b32 exec_lo, exec_lo, s42
	s_delay_alu instid0(SALU_CYCLE_1)
	s_and_b32 s1, s1, exec_lo
.LBB316_365:
	s_or_saveexec_b32 s41, s41
	v_mov_b32_e32 v6, 0x7f800001
	v_and_b32_e32 v7, 0xffff, v3
	s_xor_b32 exec_lo, exec_lo, s41
; %bb.366:
	v_cmp_ne_u16_e32 vcc_lo, 0, v3
	s_delay_alu instid0(VALU_DEP_2) | instskip(SKIP_2) | instid1(SALU_CYCLE_1)
	v_mov_b32_e32 v6, v7
	s_and_not1_b32 s1, s1, exec_lo
	s_and_b32 s42, vcc_lo, exec_lo
	s_or_b32 s1, s1, s42
; %bb.367:
	s_or_b32 exec_lo, exec_lo, s41
	s_and_saveexec_b32 s41, s1
	s_cbranch_execz .LBB316_369
; %bb.368:
	v_and_b32_e32 v3, 3, v7
	s_delay_alu instid0(VALU_DEP_1) | instskip(NEXT) | instid1(VALU_DEP_1)
	v_clz_i32_u32_e32 v6, v3
	v_min_u32_e32 v6, 32, v6
	s_delay_alu instid0(VALU_DEP_1) | instskip(NEXT) | instid1(VALU_DEP_1)
	v_subrev_nc_u32_e32 v8, 29, v6
	v_lshlrev_b32_e32 v8, v8, v7
	v_bfe_u32 v7, v7, 2, 5
	s_delay_alu instid0(VALU_DEP_2) | instskip(NEXT) | instid1(VALU_DEP_2)
	v_dual_sub_nc_u32 v6, 30, v6 :: v_dual_bitop2_b32 v8, 3, v8 bitop3:0x40
	v_cmp_eq_u32_e32 vcc_lo, 0, v7
	s_delay_alu instid0(VALU_DEP_2) | instskip(NEXT) | instid1(VALU_DEP_1)
	v_cndmask_b32_e32 v3, v3, v8, vcc_lo
	v_dual_cndmask_b32 v6, v7, v6 :: v_dual_lshlrev_b32 v3, 21, v3
	s_delay_alu instid0(VALU_DEP_1) | instskip(NEXT) | instid1(VALU_DEP_1)
	v_lshl_or_b32 v3, v6, 23, v3
	v_add_nc_u32_e32 v6, 0x37800000, v3
.LBB316_369:
	s_or_b32 exec_lo, exec_lo, s41
	s_delay_alu instid0(VALU_DEP_1) | instskip(SKIP_2) | instid1(VALU_DEP_2)
	v_lshrrev_b32_e32 v7, 23, v6
	v_mov_b32_e32 v3, 0xff
	s_mov_b32 s41, exec_lo
	v_cmpx_ne_u32_e32 0xff, v7
; %bb.370:
	v_and_b32_e32 v3, 0x400000, v6
	v_and_or_b32 v6, 0x3fffff, v6, v7
	s_delay_alu instid0(VALU_DEP_2) | instskip(NEXT) | instid1(VALU_DEP_2)
	v_cmp_ne_u32_e32 vcc_lo, 0, v3
	v_cmp_ne_u32_e64 s1, 0, v6
	s_and_b32 s1, vcc_lo, s1
	s_delay_alu instid0(SALU_CYCLE_1) | instskip(NEXT) | instid1(VALU_DEP_1)
	v_cndmask_b32_e64 v3, 0, 1, s1
	v_add_nc_u32_e32 v3, v7, v3
; %bb.371:
	s_or_b32 exec_lo, exec_lo, s41
	s_mov_b32 s1, 0
	s_branch .LBB316_377
.LBB316_372:
	s_mov_b32 s41, -1
                                        ; implicit-def: $vgpr3
	s_branch .LBB316_387
.LBB316_373:
	s_or_saveexec_b32 s41, s41
	v_mov_b32_e32 v6, 0x7f800001
	s_xor_b32 exec_lo, exec_lo, s41
	s_cbranch_execz .LBB316_350
.LBB316_374:
	v_cmp_ne_u16_e32 vcc_lo, 0, v3
	v_and_b32_e32 v6, 0xffff, v3
	s_and_not1_b32 s1, s1, exec_lo
	s_and_b32 s42, vcc_lo, exec_lo
	s_delay_alu instid0(SALU_CYCLE_1)
	s_or_b32 s1, s1, s42
	s_or_b32 exec_lo, exec_lo, s41
	s_and_saveexec_b32 s41, s1
	s_cbranch_execnz .LBB316_351
	s_branch .LBB316_352
.LBB316_375:
	s_mov_b32 s1, -1
                                        ; implicit-def: $vgpr3
	s_branch .LBB316_382
.LBB316_376:
	s_mov_b32 s1, -1
                                        ; implicit-def: $vgpr3
.LBB316_377:
	s_delay_alu instid0(SALU_CYCLE_1)
	s_and_b32 vcc_lo, exec_lo, s1
	s_cbranch_vccz .LBB316_381
; %bb.378:
	s_wait_loadcnt 0x0
	global_load_u8 v3, v[4:5], off
	s_mov_b32 s41, exec_lo
	s_wait_loadcnt 0x0
	v_lshlrev_b32_e32 v3, 24, v3
	s_delay_alu instid0(VALU_DEP_1) | instskip(NEXT) | instid1(VALU_DEP_1)
	v_and_b32_e32 v3, 0x7f000000, v3
	v_clz_i32_u32_e32 v6, v3
	v_cmp_ne_u32_e32 vcc_lo, 0, v3
	v_add_nc_u32_e32 v8, 0x1000000, v3
	s_delay_alu instid0(VALU_DEP_3) | instskip(NEXT) | instid1(VALU_DEP_1)
	v_min_u32_e32 v6, 32, v6
	v_sub_nc_u32_e64 v6, v6, 4 clamp
	s_delay_alu instid0(VALU_DEP_1) | instskip(SKIP_1) | instid1(VALU_DEP_2)
	v_dual_lshlrev_b32 v7, v6, v3 :: v_dual_lshlrev_b32 v6, 23, v6
	v_mov_b32_e32 v3, 0xff
	v_lshrrev_b32_e32 v7, 4, v7
	s_delay_alu instid0(VALU_DEP_1) | instskip(NEXT) | instid1(VALU_DEP_1)
	v_dual_sub_nc_u32 v6, v7, v6 :: v_dual_ashrrev_i32 v7, 8, v8
	v_add_nc_u32_e32 v6, 0x3c000000, v6
	s_delay_alu instid0(VALU_DEP_1) | instskip(NEXT) | instid1(VALU_DEP_1)
	v_and_or_b32 v6, 0x7f800000, v7, v6
	v_cndmask_b32_e32 v7, 0, v6, vcc_lo
	s_delay_alu instid0(VALU_DEP_1) | instskip(NEXT) | instid1(VALU_DEP_1)
	v_lshrrev_b32_e32 v6, 23, v7
	v_cmpx_ne_u32_e32 0xff, v6
; %bb.379:
	v_and_b32_e32 v3, 0x400000, v7
	v_and_or_b32 v7, 0x3fffff, v7, v6
	s_delay_alu instid0(VALU_DEP_2) | instskip(NEXT) | instid1(VALU_DEP_2)
	v_cmp_ne_u32_e32 vcc_lo, 0, v3
	v_cmp_ne_u32_e64 s1, 0, v7
	s_and_b32 s1, vcc_lo, s1
	s_delay_alu instid0(SALU_CYCLE_1) | instskip(NEXT) | instid1(VALU_DEP_1)
	v_cndmask_b32_e64 v3, 0, 1, s1
	v_add_nc_u32_e32 v3, v6, v3
; %bb.380:
	s_or_b32 exec_lo, exec_lo, s41
.LBB316_381:
	s_mov_b32 s1, 0
.LBB316_382:
	s_delay_alu instid0(SALU_CYCLE_1)
	s_and_not1_b32 vcc_lo, exec_lo, s1
	s_cbranch_vccnz .LBB316_386
; %bb.383:
	s_wait_loadcnt 0x0
	global_load_u8 v3, v[4:5], off
	s_mov_b32 s41, exec_lo
	s_wait_loadcnt 0x0
	v_dual_lshlrev_b32 v6, 25, v3 :: v_dual_lshlrev_b32 v3, 8, v3
	s_delay_alu instid0(VALU_DEP_1) | instskip(NEXT) | instid1(VALU_DEP_2)
	v_cmp_gt_u32_e32 vcc_lo, 0x8000000, v6
	v_and_or_b32 v3, 0x7f00, v3, 0.5
	s_delay_alu instid0(VALU_DEP_1) | instskip(NEXT) | instid1(VALU_DEP_1)
	v_dual_lshrrev_b32 v7, 4, v6 :: v_dual_add_f32 v3, -0.5, v3
	v_or_b32_e32 v7, 0x70000000, v7
	s_delay_alu instid0(VALU_DEP_1) | instskip(NEXT) | instid1(VALU_DEP_1)
	v_mul_f32_e32 v7, 0x7800000, v7
	v_dual_cndmask_b32 v6, v7, v3 :: v_dual_mov_b32 v3, 0xff
	s_delay_alu instid0(VALU_DEP_1) | instskip(NEXT) | instid1(VALU_DEP_1)
	v_bfe_u32 v7, v6, 23, 8
	v_cmpx_ne_u32_e32 0xff, v7
	s_cbranch_execz .LBB316_385
; %bb.384:
	v_and_b32_e32 v3, 0x400000, v6
	v_and_or_b32 v7, 0x3fffff, v6, v7
	s_delay_alu instid0(VALU_DEP_2) | instskip(NEXT) | instid1(VALU_DEP_2)
	v_cmp_ne_u32_e32 vcc_lo, 0, v3
	v_cmp_ne_u32_e64 s1, 0, v7
	v_lshrrev_b32_e32 v3, 23, v6
	s_and_b32 s1, vcc_lo, s1
	s_delay_alu instid0(SALU_CYCLE_1) | instskip(NEXT) | instid1(VALU_DEP_1)
	v_cndmask_b32_e64 v6, 0, 1, s1
	v_add_nc_u32_e32 v3, v3, v6
.LBB316_385:
	s_or_b32 exec_lo, exec_lo, s41
.LBB316_386:
	s_mov_b32 s41, 0
	s_mov_b32 s1, -1
.LBB316_387:
	s_and_not1_b32 vcc_lo, exec_lo, s41
	s_cbranch_vccnz .LBB316_402
; %bb.388:
	s_cmp_gt_i32 s10, 14
	s_cbranch_scc0 .LBB316_393
; %bb.389:
	s_cmp_eq_u32 s10, 15
	s_cbranch_scc0 .LBB316_394
; %bb.390:
	global_load_u16 v6, v[4:5], off
	s_wait_loadcnt 0x1
	v_mov_b32_e32 v3, 0xff
	s_mov_b32 s29, exec_lo
	s_wait_loadcnt 0x0
	v_bfe_u32 v7, v6, 7, 8
	s_delay_alu instid0(VALU_DEP_1)
	v_cmpx_ne_u32_e32 0xff, v7
	s_cbranch_execz .LBB316_392
; %bb.391:
	v_dual_lshlrev_b32 v3, 16, v6 :: v_dual_bitop2_b32 v8, 64, v6 bitop3:0x40
	s_delay_alu instid0(VALU_DEP_1) | instskip(NEXT) | instid1(VALU_DEP_2)
	v_and_or_b32 v3, 0x3f0000, v3, v7
	v_cmp_ne_u32_e32 vcc_lo, 0, v8
	s_delay_alu instid0(VALU_DEP_2) | instskip(SKIP_2) | instid1(SALU_CYCLE_1)
	v_cmp_ne_u32_e64 s1, 0, v3
	v_lshrrev_b32_e32 v3, 7, v6
	s_and_b32 s1, vcc_lo, s1
	v_cndmask_b32_e64 v6, 0, 1, s1
	s_delay_alu instid0(VALU_DEP_1)
	v_add_nc_u32_e32 v3, v3, v6
.LBB316_392:
	s_or_b32 exec_lo, exec_lo, s29
	s_mov_b32 s1, -1
	s_mov_b32 s29, 0
	s_branch .LBB316_395
.LBB316_393:
	s_mov_b32 s41, -1
                                        ; implicit-def: $vgpr3
	s_branch .LBB316_396
.LBB316_394:
	s_mov_b32 s29, -1
                                        ; implicit-def: $vgpr3
.LBB316_395:
	s_mov_b32 s41, 0
.LBB316_396:
	s_delay_alu instid0(SALU_CYCLE_1)
	s_and_b32 vcc_lo, exec_lo, s41
	s_cbranch_vccz .LBB316_402
; %bb.397:
	s_cmp_eq_u32 s10, 11
	s_cbranch_scc0 .LBB316_401
; %bb.398:
	s_wait_loadcnt 0x0
	global_load_u8 v3, v[4:5], off
	s_mov_b32 s29, 0
	s_mov_b32 s10, exec_lo
	s_wait_loadcnt 0x0
	v_cmp_ne_u16_e32 vcc_lo, 0, v3
	v_mov_b32_e32 v3, 0xff
	v_cndmask_b32_e64 v7, 0, 1.0, vcc_lo
	s_delay_alu instid0(VALU_DEP_1) | instskip(NEXT) | instid1(VALU_DEP_1)
	v_lshrrev_b32_e32 v6, 23, v7
	v_cmpx_ne_u32_e32 0xff, v6
; %bb.399:
	v_and_b32_e32 v3, 0x400000, v7
	v_and_or_b32 v7, 0x3fffff, v7, v6
	s_delay_alu instid0(VALU_DEP_2) | instskip(NEXT) | instid1(VALU_DEP_2)
	v_cmp_ne_u32_e32 vcc_lo, 0, v3
	v_cmp_ne_u32_e64 s1, 0, v7
	s_and_b32 s1, vcc_lo, s1
	s_delay_alu instid0(SALU_CYCLE_1) | instskip(NEXT) | instid1(VALU_DEP_1)
	v_cndmask_b32_e64 v3, 0, 1, s1
	v_add_nc_u32_e32 v3, v6, v3
; %bb.400:
	s_or_b32 exec_lo, exec_lo, s10
	s_mov_b32 s1, -1
	s_branch .LBB316_402
.LBB316_401:
	s_mov_b32 s29, -1
                                        ; implicit-def: $vgpr3
.LBB316_402:
	s_branch .LBB316_35
.LBB316_403:
	s_and_b32 s2, 0xffff, s2
	s_delay_alu instid0(SALU_CYCLE_1)
	s_cmp_lt_i32 s2, 5
	s_cbranch_scc1 .LBB316_410
; %bb.404:
	s_cmp_lt_i32 s2, 8
	s_cbranch_scc1 .LBB316_411
; %bb.405:
	;; [unrolled: 3-line block ×3, first 2 shown]
	s_cmp_gt_i32 s2, 9
	s_cbranch_scc0 .LBB316_413
; %bb.407:
	global_load_b64 v[6:7], v[4:5], off
	s_wait_loadcnt 0x1
	v_mov_b32_e32 v3, 0xff
	s_mov_b32 s10, exec_lo
	s_wait_loadcnt 0x0
	v_cvt_f32_f64_e32 v6, v[6:7]
	s_delay_alu instid0(VALU_DEP_1) | instskip(NEXT) | instid1(VALU_DEP_1)
	v_bfe_u32 v7, v6, 23, 8
	v_cmpx_ne_u32_e32 0xff, v7
	s_cbranch_execz .LBB316_409
; %bb.408:
	v_and_b32_e32 v3, 0x400000, v6
	v_and_or_b32 v7, 0x3fffff, v6, v7
	s_delay_alu instid0(VALU_DEP_2) | instskip(NEXT) | instid1(VALU_DEP_2)
	v_cmp_ne_u32_e32 vcc_lo, 0, v3
	v_cmp_ne_u32_e64 s1, 0, v7
	v_lshrrev_b32_e32 v3, 23, v6
	s_and_b32 s1, vcc_lo, s1
	s_delay_alu instid0(SALU_CYCLE_1) | instskip(NEXT) | instid1(VALU_DEP_1)
	v_cndmask_b32_e64 v6, 0, 1, s1
	v_add_nc_u32_e32 v3, v3, v6
.LBB316_409:
	s_or_b32 exec_lo, exec_lo, s10
	s_mov_b32 s1, 0
	s_branch .LBB316_414
.LBB316_410:
	s_mov_b32 s1, -1
                                        ; implicit-def: $vgpr3
	s_branch .LBB316_442
.LBB316_411:
	s_mov_b32 s1, -1
                                        ; implicit-def: $vgpr3
	s_branch .LBB316_424
.LBB316_412:
	s_mov_b32 s1, -1
                                        ; implicit-def: $vgpr3
	s_branch .LBB316_419
.LBB316_413:
	s_mov_b32 s1, -1
                                        ; implicit-def: $vgpr3
.LBB316_414:
	s_delay_alu instid0(SALU_CYCLE_1)
	s_and_not1_b32 vcc_lo, exec_lo, s1
	s_cbranch_vccnz .LBB316_418
; %bb.415:
	global_load_b32 v6, v[4:5], off
	s_wait_loadcnt 0x1
	v_mov_b32_e32 v3, 0xff
	s_mov_b32 s10, exec_lo
	s_wait_loadcnt 0x0
	v_bfe_u32 v7, v6, 23, 8
	s_delay_alu instid0(VALU_DEP_1)
	v_cmpx_ne_u32_e32 0xff, v7
	s_cbranch_execz .LBB316_417
; %bb.416:
	v_and_b32_e32 v3, 0x400000, v6
	v_and_or_b32 v7, 0x3fffff, v6, v7
	s_delay_alu instid0(VALU_DEP_2) | instskip(NEXT) | instid1(VALU_DEP_2)
	v_cmp_ne_u32_e32 vcc_lo, 0, v3
	v_cmp_ne_u32_e64 s1, 0, v7
	v_lshrrev_b32_e32 v3, 23, v6
	s_and_b32 s1, vcc_lo, s1
	s_delay_alu instid0(SALU_CYCLE_1) | instskip(NEXT) | instid1(VALU_DEP_1)
	v_cndmask_b32_e64 v6, 0, 1, s1
	v_add_nc_u32_e32 v3, v3, v6
.LBB316_417:
	s_or_b32 exec_lo, exec_lo, s10
.LBB316_418:
	s_mov_b32 s1, 0
.LBB316_419:
	s_delay_alu instid0(SALU_CYCLE_1)
	s_and_not1_b32 vcc_lo, exec_lo, s1
	s_cbranch_vccnz .LBB316_423
; %bb.420:
	s_wait_loadcnt 0x0
	global_load_b32 v3, v[4:5], off
	s_mov_b32 s10, exec_lo
	s_wait_loadcnt 0x0
	v_cvt_f32_f16_e32 v6, v3
	v_mov_b32_e32 v3, 0xff
	s_delay_alu instid0(VALU_DEP_2) | instskip(NEXT) | instid1(VALU_DEP_1)
	v_bfe_u32 v7, v6, 23, 8
	v_cmpx_ne_u32_e32 0xff, v7
	s_cbranch_execz .LBB316_422
; %bb.421:
	v_and_b32_e32 v3, 0x400000, v6
	v_and_or_b32 v7, 0x3fffff, v6, v7
	s_delay_alu instid0(VALU_DEP_2) | instskip(NEXT) | instid1(VALU_DEP_2)
	v_cmp_ne_u32_e32 vcc_lo, 0, v3
	v_cmp_ne_u32_e64 s1, 0, v7
	v_lshrrev_b32_e32 v3, 23, v6
	s_and_b32 s1, vcc_lo, s1
	s_delay_alu instid0(SALU_CYCLE_1) | instskip(NEXT) | instid1(VALU_DEP_1)
	v_cndmask_b32_e64 v6, 0, 1, s1
	v_add_nc_u32_e32 v3, v3, v6
.LBB316_422:
	s_or_b32 exec_lo, exec_lo, s10
.LBB316_423:
	s_mov_b32 s1, 0
.LBB316_424:
	s_delay_alu instid0(SALU_CYCLE_1)
	s_and_not1_b32 vcc_lo, exec_lo, s1
	s_cbranch_vccnz .LBB316_441
; %bb.425:
	s_cmp_lt_i32 s2, 6
	s_cbranch_scc1 .LBB316_430
; %bb.426:
	s_cmp_gt_i32 s2, 6
	s_cbranch_scc0 .LBB316_431
; %bb.427:
	global_load_b64 v[6:7], v[4:5], off
	s_wait_loadcnt 0x1
	v_mov_b32_e32 v3, 0xff
	s_mov_b32 s10, exec_lo
	s_wait_loadcnt 0x0
	v_cvt_f32_f64_e32 v6, v[6:7]
	s_delay_alu instid0(VALU_DEP_1) | instskip(NEXT) | instid1(VALU_DEP_1)
	v_bfe_u32 v7, v6, 23, 8
	v_cmpx_ne_u32_e32 0xff, v7
	s_cbranch_execz .LBB316_429
; %bb.428:
	v_and_b32_e32 v3, 0x400000, v6
	v_and_or_b32 v7, 0x3fffff, v6, v7
	s_delay_alu instid0(VALU_DEP_2) | instskip(NEXT) | instid1(VALU_DEP_2)
	v_cmp_ne_u32_e32 vcc_lo, 0, v3
	v_cmp_ne_u32_e64 s1, 0, v7
	v_lshrrev_b32_e32 v3, 23, v6
	s_and_b32 s1, vcc_lo, s1
	s_delay_alu instid0(SALU_CYCLE_1) | instskip(NEXT) | instid1(VALU_DEP_1)
	v_cndmask_b32_e64 v6, 0, 1, s1
	v_add_nc_u32_e32 v3, v3, v6
.LBB316_429:
	s_or_b32 exec_lo, exec_lo, s10
	s_mov_b32 s1, 0
	s_branch .LBB316_432
.LBB316_430:
	s_mov_b32 s1, -1
                                        ; implicit-def: $vgpr3
	s_branch .LBB316_437
.LBB316_431:
	s_mov_b32 s1, -1
                                        ; implicit-def: $vgpr3
.LBB316_432:
	s_delay_alu instid0(SALU_CYCLE_1)
	s_and_not1_b32 vcc_lo, exec_lo, s1
	s_cbranch_vccnz .LBB316_436
; %bb.433:
	global_load_b32 v6, v[4:5], off
	s_wait_loadcnt 0x1
	v_mov_b32_e32 v3, 0xff
	s_mov_b32 s10, exec_lo
	s_wait_loadcnt 0x0
	v_bfe_u32 v7, v6, 23, 8
	s_delay_alu instid0(VALU_DEP_1)
	v_cmpx_ne_u32_e32 0xff, v7
	s_cbranch_execz .LBB316_435
; %bb.434:
	v_and_b32_e32 v3, 0x400000, v6
	v_and_or_b32 v7, 0x3fffff, v6, v7
	s_delay_alu instid0(VALU_DEP_2) | instskip(NEXT) | instid1(VALU_DEP_2)
	v_cmp_ne_u32_e32 vcc_lo, 0, v3
	v_cmp_ne_u32_e64 s1, 0, v7
	v_lshrrev_b32_e32 v3, 23, v6
	s_and_b32 s1, vcc_lo, s1
	s_delay_alu instid0(SALU_CYCLE_1) | instskip(NEXT) | instid1(VALU_DEP_1)
	v_cndmask_b32_e64 v6, 0, 1, s1
	v_add_nc_u32_e32 v3, v3, v6
.LBB316_435:
	s_or_b32 exec_lo, exec_lo, s10
.LBB316_436:
	s_mov_b32 s1, 0
.LBB316_437:
	s_delay_alu instid0(SALU_CYCLE_1)
	s_and_not1_b32 vcc_lo, exec_lo, s1
	s_cbranch_vccnz .LBB316_441
; %bb.438:
	s_wait_loadcnt 0x0
	global_load_u16 v3, v[4:5], off
	s_mov_b32 s10, exec_lo
	s_wait_loadcnt 0x0
	v_cvt_f32_f16_e32 v6, v3
	v_mov_b32_e32 v3, 0xff
	s_delay_alu instid0(VALU_DEP_2) | instskip(NEXT) | instid1(VALU_DEP_1)
	v_bfe_u32 v7, v6, 23, 8
	v_cmpx_ne_u32_e32 0xff, v7
	s_cbranch_execz .LBB316_440
; %bb.439:
	v_and_b32_e32 v3, 0x400000, v6
	v_and_or_b32 v7, 0x3fffff, v6, v7
	s_delay_alu instid0(VALU_DEP_2) | instskip(NEXT) | instid1(VALU_DEP_2)
	v_cmp_ne_u32_e32 vcc_lo, 0, v3
	v_cmp_ne_u32_e64 s1, 0, v7
	v_lshrrev_b32_e32 v3, 23, v6
	s_and_b32 s1, vcc_lo, s1
	s_delay_alu instid0(SALU_CYCLE_1) | instskip(NEXT) | instid1(VALU_DEP_1)
	v_cndmask_b32_e64 v6, 0, 1, s1
	v_add_nc_u32_e32 v3, v3, v6
.LBB316_440:
	s_or_b32 exec_lo, exec_lo, s10
.LBB316_441:
	s_mov_b32 s1, 0
.LBB316_442:
	s_delay_alu instid0(SALU_CYCLE_1)
	s_and_not1_b32 vcc_lo, exec_lo, s1
	s_cbranch_vccnz .LBB316_472
; %bb.443:
	s_cmp_lt_i32 s2, 2
	s_cbranch_scc1 .LBB316_449
; %bb.444:
	s_cmp_lt_i32 s2, 3
	s_cbranch_scc1 .LBB316_450
; %bb.445:
	s_cmp_gt_i32 s2, 3
	s_cbranch_scc0 .LBB316_451
; %bb.446:
	global_load_b64 v[6:7], v[4:5], off
	s_mov_b32 s10, exec_lo
	s_wait_loadcnt 0x0
	v_xor_b32_e32 v3, v6, v7
	v_cls_i32_e32 v8, v7
	s_delay_alu instid0(VALU_DEP_2) | instskip(NEXT) | instid1(VALU_DEP_1)
	v_ashrrev_i32_e32 v3, 31, v3
	v_add_nc_u32_e32 v3, 32, v3
	s_delay_alu instid0(VALU_DEP_1) | instskip(NEXT) | instid1(VALU_DEP_1)
	v_add_min_u32_e64 v3, v8, -1, v3
	v_lshlrev_b64_e32 v[6:7], v3, v[6:7]
	v_sub_nc_u32_e32 v3, 32, v3
	s_delay_alu instid0(VALU_DEP_2) | instskip(NEXT) | instid1(VALU_DEP_1)
	v_min_u32_e32 v6, 1, v6
	v_or_b32_e32 v6, v7, v6
	s_delay_alu instid0(VALU_DEP_1) | instskip(NEXT) | instid1(VALU_DEP_1)
	v_cvt_f32_i32_e32 v6, v6
	v_ldexp_f32 v6, v6, v3
	v_mov_b32_e32 v3, 0xff
	s_delay_alu instid0(VALU_DEP_2) | instskip(NEXT) | instid1(VALU_DEP_1)
	v_bfe_u32 v7, v6, 23, 8
	v_cmpx_ne_u32_e32 0xff, v7
	s_cbranch_execz .LBB316_448
; %bb.447:
	v_and_b32_e32 v3, 0x400000, v6
	v_and_or_b32 v7, 0x3fffff, v6, v7
	s_delay_alu instid0(VALU_DEP_2) | instskip(NEXT) | instid1(VALU_DEP_2)
	v_cmp_ne_u32_e32 vcc_lo, 0, v3
	v_cmp_ne_u32_e64 s1, 0, v7
	v_lshrrev_b32_e32 v3, 23, v6
	s_and_b32 s1, vcc_lo, s1
	s_delay_alu instid0(SALU_CYCLE_1) | instskip(NEXT) | instid1(VALU_DEP_1)
	v_cndmask_b32_e64 v6, 0, 1, s1
	v_add_nc_u32_e32 v3, v3, v6
.LBB316_448:
	s_or_b32 exec_lo, exec_lo, s10
	s_mov_b32 s1, 0
	s_branch .LBB316_452
.LBB316_449:
	s_mov_b32 s1, -1
                                        ; implicit-def: $vgpr3
	s_branch .LBB316_462
.LBB316_450:
	s_mov_b32 s1, -1
                                        ; implicit-def: $vgpr3
	s_branch .LBB316_457
.LBB316_451:
	s_mov_b32 s1, -1
                                        ; implicit-def: $vgpr3
.LBB316_452:
	s_delay_alu instid0(SALU_CYCLE_1)
	s_and_not1_b32 vcc_lo, exec_lo, s1
	s_cbranch_vccnz .LBB316_456
; %bb.453:
	s_wait_loadcnt 0x0
	global_load_b32 v3, v[4:5], off
	s_mov_b32 s10, exec_lo
	s_wait_loadcnt 0x0
	v_cvt_f32_i32_e32 v6, v3
	v_mov_b32_e32 v3, 0xff
	s_delay_alu instid0(VALU_DEP_2) | instskip(NEXT) | instid1(VALU_DEP_1)
	v_bfe_u32 v7, v6, 23, 8
	v_cmpx_ne_u32_e32 0xff, v7
	s_cbranch_execz .LBB316_455
; %bb.454:
	v_and_b32_e32 v3, 0x400000, v6
	v_and_or_b32 v7, 0x3fffff, v6, v7
	s_delay_alu instid0(VALU_DEP_2) | instskip(NEXT) | instid1(VALU_DEP_2)
	v_cmp_ne_u32_e32 vcc_lo, 0, v3
	v_cmp_ne_u32_e64 s1, 0, v7
	v_lshrrev_b32_e32 v3, 23, v6
	s_and_b32 s1, vcc_lo, s1
	s_delay_alu instid0(SALU_CYCLE_1) | instskip(NEXT) | instid1(VALU_DEP_1)
	v_cndmask_b32_e64 v6, 0, 1, s1
	v_add_nc_u32_e32 v3, v3, v6
.LBB316_455:
	s_or_b32 exec_lo, exec_lo, s10
.LBB316_456:
	s_mov_b32 s1, 0
.LBB316_457:
	s_delay_alu instid0(SALU_CYCLE_1)
	s_and_not1_b32 vcc_lo, exec_lo, s1
	s_cbranch_vccnz .LBB316_461
; %bb.458:
	s_wait_loadcnt 0x0
	global_load_i16 v3, v[4:5], off
	s_mov_b32 s10, exec_lo
	s_wait_loadcnt 0x0
	v_cvt_f32_i32_e32 v6, v3
	v_mov_b32_e32 v3, 0xff
	s_delay_alu instid0(VALU_DEP_2) | instskip(NEXT) | instid1(VALU_DEP_1)
	v_bfe_u32 v7, v6, 23, 8
	v_cmpx_ne_u32_e32 0xff, v7
	s_cbranch_execz .LBB316_460
; %bb.459:
	v_and_b32_e32 v3, 0x400000, v6
	v_and_or_b32 v7, 0x3fffff, v6, v7
	s_delay_alu instid0(VALU_DEP_2) | instskip(NEXT) | instid1(VALU_DEP_2)
	v_cmp_ne_u32_e32 vcc_lo, 0, v3
	v_cmp_ne_u32_e64 s1, 0, v7
	v_lshrrev_b32_e32 v3, 23, v6
	s_and_b32 s1, vcc_lo, s1
	s_delay_alu instid0(SALU_CYCLE_1) | instskip(NEXT) | instid1(VALU_DEP_1)
	v_cndmask_b32_e64 v6, 0, 1, s1
	v_add_nc_u32_e32 v3, v3, v6
.LBB316_460:
	s_or_b32 exec_lo, exec_lo, s10
.LBB316_461:
	s_mov_b32 s1, 0
.LBB316_462:
	s_delay_alu instid0(SALU_CYCLE_1)
	s_and_not1_b32 vcc_lo, exec_lo, s1
	s_cbranch_vccnz .LBB316_472
; %bb.463:
	s_cmp_gt_i32 s2, 0
	s_cbranch_scc0 .LBB316_467
; %bb.464:
	s_wait_loadcnt 0x0
	global_load_i8 v3, v[4:5], off
	s_mov_b32 s2, exec_lo
	s_wait_loadcnt 0x0
	v_cvt_f32_i32_e32 v6, v3
	v_mov_b32_e32 v3, 0xff
	s_delay_alu instid0(VALU_DEP_2) | instskip(NEXT) | instid1(VALU_DEP_1)
	v_bfe_u32 v7, v6, 23, 8
	v_cmpx_ne_u32_e32 0xff, v7
	s_cbranch_execz .LBB316_466
; %bb.465:
	v_and_b32_e32 v3, 0x400000, v6
	v_and_or_b32 v7, 0x3fffff, v6, v7
	s_delay_alu instid0(VALU_DEP_2) | instskip(NEXT) | instid1(VALU_DEP_2)
	v_cmp_ne_u32_e32 vcc_lo, 0, v3
	v_cmp_ne_u32_e64 s1, 0, v7
	v_lshrrev_b32_e32 v3, 23, v6
	s_and_b32 s1, vcc_lo, s1
	s_delay_alu instid0(SALU_CYCLE_1) | instskip(NEXT) | instid1(VALU_DEP_1)
	v_cndmask_b32_e64 v6, 0, 1, s1
	v_add_nc_u32_e32 v3, v3, v6
.LBB316_466:
	s_or_b32 exec_lo, exec_lo, s2
	s_mov_b32 s1, 0
	s_branch .LBB316_468
.LBB316_467:
	s_mov_b32 s1, -1
                                        ; implicit-def: $vgpr3
.LBB316_468:
	s_delay_alu instid0(SALU_CYCLE_1)
	s_and_not1_b32 vcc_lo, exec_lo, s1
	s_cbranch_vccnz .LBB316_472
; %bb.469:
	s_wait_loadcnt 0x0
	global_load_u8 v3, v[4:5], off
	s_mov_b32 s2, exec_lo
	s_wait_loadcnt 0x0
	v_cvt_f32_ubyte0_e32 v5, v3
	s_delay_alu instid0(VALU_DEP_1) | instskip(NEXT) | instid1(VALU_DEP_1)
	v_dual_mov_b32 v3, 0xff :: v_dual_lshrrev_b32 v4, 23, v5
	v_cmpx_ne_u32_e32 0xff, v4
; %bb.470:
	v_and_b32_e32 v3, 0x400000, v5
	v_and_or_b32 v5, 0x3fffff, v5, v4
	s_delay_alu instid0(VALU_DEP_2) | instskip(NEXT) | instid1(VALU_DEP_2)
	v_cmp_ne_u32_e32 vcc_lo, 0, v3
	v_cmp_ne_u32_e64 s1, 0, v5
	s_and_b32 s1, vcc_lo, s1
	s_delay_alu instid0(SALU_CYCLE_1) | instskip(NEXT) | instid1(VALU_DEP_1)
	v_cndmask_b32_e64 v3, 0, 1, s1
	v_add_nc_u32_e32 v3, v4, v3
; %bb.471:
	s_or_b32 exec_lo, exec_lo, s2
.LBB316_472:
	s_branch .LBB316_36
.LBB316_473:
	s_mov_b32 s2, 0
.LBB316_474:
	s_mov_b32 s1, 0
                                        ; implicit-def: $vgpr0
.LBB316_475:
	s_and_b32 s10, s2, exec_lo
	s_and_b32 s41, s29, exec_lo
	;; [unrolled: 1-line block ×3, first 2 shown]
	s_or_not1_b32 s44, s1, exec_lo
.LBB316_476:
	s_wait_xcnt 0x0
	s_or_b32 exec_lo, exec_lo, s43
	s_mov_b32 s45, 0
	s_mov_b32 s29, 0
                                        ; implicit-def: $sgpr28
                                        ; implicit-def: $vgpr6_vgpr7
                                        ; implicit-def: $vgpr4
                                        ; implicit-def: $vgpr2
                                        ; implicit-def: $vgpr3
	s_and_saveexec_b32 s43, s44
	s_cbranch_execz .LBB316_484
; %bb.477:
	s_mov_b32 s2, -1
	s_mov_b32 s44, s42
	s_mov_b32 s46, s41
	s_mov_b32 s45, s10
	s_mov_b32 s47, exec_lo
	v_cmpx_gt_i32_e64 s39, v0
	s_cbranch_execz .LBB316_890
; %bb.478:
	s_and_not1_b32 vcc_lo, exec_lo, s34
	s_cbranch_vccnz .LBB316_489
; %bb.479:
	s_and_not1_b32 vcc_lo, exec_lo, s40
	s_cbranch_vccnz .LBB316_490
; %bb.480:
	s_wait_loadcnt 0x0
	v_dual_mov_b32 v2, 0 :: v_dual_mov_b32 v1, v0
	v_dual_mov_b32 v6, 0 :: v_dual_mov_b32 v4, 0
	s_add_co_i32 s1, s38, 1
	s_mov_b64 s[28:29], 0xffffffffffffffe8
	s_and_b32 s1, s1, 30
	s_add_nc_u64 s[28:29], s[20:21], s[28:29]
.LBB316_481:                            ; =>This Inner Loop Header: Depth=1
	s_clause 0x1
	s_load_b128 s[48:51], s[28:29], 0x1c
	s_load_b64 s[44:45], s[28:29], 0x2c
	s_add_co_i32 s1, s1, -2
	s_delay_alu instid0(SALU_CYCLE_1) | instskip(SKIP_2) | instid1(VALU_DEP_1)
	s_cmp_eq_u32 s1, 0
	s_wait_kmcnt 0x0
	v_mul_hi_u32 v3, s49, v1
	v_add_nc_u32_e32 v3, v1, v3
	s_delay_alu instid0(VALU_DEP_1) | instskip(NEXT) | instid1(VALU_DEP_1)
	v_lshrrev_b32_e32 v3, s50, v3
	v_mul_hi_u32 v5, s44, v3
	v_mul_lo_u32 v7, v3, s48
	s_clause 0x1
	s_load_b128 s[52:55], s[28:29], 0xdc
	s_load_b64 s[48:49], s[28:29], 0xec
	s_wait_xcnt 0x0
	s_add_nc_u64 s[28:29], s[28:29], 24
	s_delay_alu instid0(VALU_DEP_1) | instskip(NEXT) | instid1(VALU_DEP_1)
	v_dual_add_nc_u32 v5, v3, v5 :: v_dual_sub_nc_u32 v7, v1, v7
	v_lshrrev_b32_e32 v1, s45, v5
	s_wait_kmcnt 0x0
	s_delay_alu instid0(VALU_DEP_2) | instskip(NEXT) | instid1(VALU_DEP_2)
	v_mad_u32 v2, v7, s52, v2
	v_mul_lo_u32 v5, v1, s51
	v_mad_u32 v4, v7, s54, v4
	v_mad_u32 v6, v7, s53, v6
	s_delay_alu instid0(VALU_DEP_3) | instskip(NEXT) | instid1(VALU_DEP_1)
	v_sub_nc_u32_e32 v3, v3, v5
	v_mad_u32 v2, v3, s55, v2
	s_delay_alu instid0(VALU_DEP_4) | instskip(NEXT) | instid1(VALU_DEP_4)
	v_mad_u32 v4, v3, s49, v4
	v_mad_u32 v6, v3, s48, v6
	s_cbranch_scc0 .LBB316_481
; %bb.482:
	s_bitcmp1_b32 s38, 0
	s_cselect_b32 s1, -1, 0
	s_delay_alu instid0(SALU_CYCLE_1)
	s_and_b32 vcc_lo, exec_lo, s1
	s_cbranch_vccnz .LBB316_491
; %bb.483:
	s_clause 0x1
	s_load_b96 s[44:46], s[28:29], 0x1c
	s_load_b96 s[48:50], s[28:29], 0xdc
	s_wait_kmcnt 0x0
	v_mul_hi_u32 v3, s45, v1
	s_delay_alu instid0(VALU_DEP_1) | instskip(NEXT) | instid1(VALU_DEP_1)
	v_add_nc_u32_e32 v3, v1, v3
	v_lshrrev_b32_e32 v3, s46, v3
	s_delay_alu instid0(VALU_DEP_1) | instskip(NEXT) | instid1(VALU_DEP_1)
	v_mul_lo_u32 v3, v3, s44
	v_sub_nc_u32_e32 v1, v1, v3
	s_delay_alu instid0(VALU_DEP_1)
	v_mad_u32 v2, v1, s48, v2
	v_mad_u32 v6, v1, s49, v6
	;; [unrolled: 1-line block ×3, first 2 shown]
	s_branch .LBB316_491
.LBB316_484:
	s_or_b32 exec_lo, exec_lo, s43
	s_mov_b32 s2, 0
	s_and_saveexec_b32 s1, s42
	s_cbranch_execnz .LBB316_1566
.LBB316_485:
	s_or_b32 exec_lo, exec_lo, s1
	s_and_saveexec_b32 s1, s23
	s_delay_alu instid0(SALU_CYCLE_1)
	s_xor_b32 s3, exec_lo, s1
	s_cbranch_execz .LBB316_1567
.LBB316_486:
	global_load_u8 v0, v[6:7], off
	s_mov_b32 s6, exec_lo
	s_wait_loadcnt 0x1
	v_mov_b32_e32 v3, 0xff
	s_wait_loadcnt 0x0
	v_cmp_ne_u16_e32 vcc_lo, 0, v0
	v_cndmask_b32_e64 v1, 0, 1.0, vcc_lo
	s_delay_alu instid0(VALU_DEP_1) | instskip(SKIP_1) | instid1(VALU_DEP_1)
	v_lshrrev_b32_e32 v0, 23, v1
	s_wait_xcnt 0x0
	v_cmpx_ne_u32_e32 0xff, v0
; %bb.487:
	v_and_b32_e32 v3, 0x400000, v1
	v_and_or_b32 v1, 0x3fffff, v1, v0
	s_delay_alu instid0(VALU_DEP_2) | instskip(NEXT) | instid1(VALU_DEP_2)
	v_cmp_ne_u32_e32 vcc_lo, 0, v3
	v_cmp_ne_u32_e64 s1, 0, v1
	s_and_b32 s1, vcc_lo, s1
	s_delay_alu instid0(SALU_CYCLE_1) | instskip(NEXT) | instid1(VALU_DEP_1)
	v_cndmask_b32_e64 v1, 0, 1, s1
	v_add_nc_u32_e32 v3, v0, v1
; %bb.488:
	s_or_b32 exec_lo, exec_lo, s6
	s_delay_alu instid0(SALU_CYCLE_1)
	s_or_b32 s29, s29, exec_lo
	s_or_b32 exec_lo, exec_lo, s3
	s_and_saveexec_b32 s3, s45
	s_cbranch_execz .LBB316_1635
	s_branch .LBB316_1568
.LBB316_489:
                                        ; implicit-def: $vgpr4
                                        ; implicit-def: $vgpr6
                                        ; implicit-def: $vgpr2
	s_branch .LBB316_492
.LBB316_490:
	v_dual_mov_b32 v4, 0 :: v_dual_mov_b32 v6, 0
	v_mov_b32_e32 v2, 0
.LBB316_491:
	s_cbranch_execnz .LBB316_494
.LBB316_492:
	s_wait_loadcnt 0x0
	v_mov_b32_e32 v1, 0
	s_and_not1_b32 vcc_lo, exec_lo, s37
	s_delay_alu instid0(VALU_DEP_1) | instskip(NEXT) | instid1(VALU_DEP_1)
	v_mul_u64_e32 v[2:3], s[22:23], v[0:1]
	v_add_nc_u32_e32 v2, v0, v3
	s_delay_alu instid0(VALU_DEP_1) | instskip(NEXT) | instid1(VALU_DEP_1)
	v_lshrrev_b32_e32 v8, s14, v2
	v_mul_lo_u32 v2, v8, s12
	s_delay_alu instid0(VALU_DEP_1) | instskip(NEXT) | instid1(VALU_DEP_1)
	v_sub_nc_u32_e32 v3, v0, v2
	v_mul_lo_u32 v2, v3, s16
	v_mul_lo_u32 v4, v3, s18
	;; [unrolled: 1-line block ×3, first 2 shown]
	s_cbranch_vccnz .LBB316_494
; %bb.493:
	v_mov_b32_e32 v9, v1
	s_delay_alu instid0(VALU_DEP_1) | instskip(NEXT) | instid1(VALU_DEP_1)
	v_mul_u64_e32 v[10:11], s[26:27], v[8:9]
	v_add_nc_u32_e32 v1, v8, v11
	s_delay_alu instid0(VALU_DEP_1) | instskip(NEXT) | instid1(VALU_DEP_1)
	v_lshrrev_b32_e32 v1, s3, v1
	v_mul_lo_u32 v1, v1, s15
	s_delay_alu instid0(VALU_DEP_1) | instskip(NEXT) | instid1(VALU_DEP_1)
	v_sub_nc_u32_e32 v1, v8, v1
	v_mad_u32 v2, v1, s19, v2
	v_mad_u32 v6, v1, s24, v6
	;; [unrolled: 1-line block ×3, first 2 shown]
.LBB316_494:
	v_mov_b32_e32 v7, 0
	s_and_b32 s2, s36, 0xff
	s_delay_alu instid0(SALU_CYCLE_1) | instskip(NEXT) | instid1(VALU_DEP_1)
	s_cmp_lt_i32 s2, 11
	v_add_nc_u64_e32 v[6:7], s[6:7], v[6:7]
	s_cbranch_scc1 .LBB316_503
; %bb.495:
	s_and_b32 s29, 0xffff, s2
	s_delay_alu instid0(SALU_CYCLE_1)
	s_cmp_gt_i32 s29, 25
	s_cbranch_scc0 .LBB316_514
; %bb.496:
	s_cmp_gt_i32 s29, 28
	s_cbranch_scc0 .LBB316_516
; %bb.497:
	;; [unrolled: 3-line block ×4, first 2 shown]
	s_cmp_eq_u32 s29, 46
	s_mov_b32 s44, 0
	s_cbranch_scc0 .LBB316_524
; %bb.500:
	s_wait_loadcnt 0x0
	global_load_b32 v3, v[6:7], off
	v_mov_b32_e32 v1, 0xff
	s_mov_b32 s28, exec_lo
	s_wait_loadcnt 0x0
	v_lshlrev_b32_e32 v5, 16, v3
	s_delay_alu instid0(VALU_DEP_1) | instskip(SKIP_1) | instid1(VALU_DEP_1)
	v_bfe_u32 v8, v5, 23, 8
	s_wait_xcnt 0x0
	v_cmpx_ne_u32_e32 0xff, v8
	s_cbranch_execz .LBB316_502
; %bb.501:
	v_and_b32_e32 v1, 64, v3
	v_and_or_b32 v5, 0x3f0000, v5, v8
	s_delay_alu instid0(VALU_DEP_2) | instskip(NEXT) | instid1(VALU_DEP_2)
	v_cmp_ne_u32_e32 vcc_lo, 0, v1
	v_cmp_ne_u32_e64 s1, 0, v5
	v_bfe_u32 v1, v3, 7, 9
	s_and_b32 s1, vcc_lo, s1
	s_delay_alu instid0(SALU_CYCLE_1) | instskip(NEXT) | instid1(VALU_DEP_1)
	v_cndmask_b32_e64 v3, 0, 1, s1
	v_add_nc_u32_e32 v1, v1, v3
.LBB316_502:
	s_or_b32 exec_lo, exec_lo, s28
	s_mov_b32 s1, -1
	s_mov_b32 s28, 0
	s_branch .LBB316_526
.LBB316_503:
	s_mov_b32 s1, 0
	s_mov_b32 s28, s42
                                        ; implicit-def: $vgpr1
	s_cbranch_execnz .LBB316_610
.LBB316_504:
	s_and_not1_b32 vcc_lo, exec_lo, s1
	s_cbranch_vccnz .LBB316_680
.LBB316_505:
	v_mov_b32_e32 v5, 0
	s_and_b32 s2, s13, 0xff
	s_delay_alu instid0(SALU_CYCLE_1) | instskip(NEXT) | instid1(VALU_DEP_1)
	s_cmp_lt_i32 s2, 11
	v_add_nc_u64_e32 v[4:5], s[8:9], v[4:5]
	s_cbranch_scc1 .LBB316_515
; %bb.506:
	s_and_b32 s44, 0xffff, s2
	s_delay_alu instid0(SALU_CYCLE_1)
	s_cmp_gt_i32 s44, 25
	s_cbranch_scc0 .LBB316_517
; %bb.507:
	s_cmp_gt_i32 s44, 28
	s_cbranch_scc0 .LBB316_519
; %bb.508:
	s_cmp_gt_i32 s44, 43
	s_cbranch_scc0 .LBB316_521
; %bb.509:
	s_cmp_gt_i32 s44, 45
	s_cbranch_scc0 .LBB316_529
; %bb.510:
	s_cmp_eq_u32 s44, 46
	s_mov_b32 s45, 0
	s_cbranch_scc0 .LBB316_683
; %bb.511:
	global_load_b32 v6, v[4:5], off
	s_wait_loadcnt 0x1
	v_mov_b32_e32 v3, 0xff
	s_mov_b32 s29, exec_lo
	s_wait_loadcnt 0x0
	v_lshlrev_b32_e32 v7, 16, v6
	s_delay_alu instid0(VALU_DEP_1) | instskip(SKIP_1) | instid1(VALU_DEP_1)
	v_bfe_u32 v8, v7, 23, 8
	s_wait_xcnt 0x0
	v_cmpx_ne_u32_e32 0xff, v8
	s_cbranch_execz .LBB316_513
; %bb.512:
	v_and_b32_e32 v3, 64, v6
	v_and_or_b32 v7, 0x3f0000, v7, v8
	s_delay_alu instid0(VALU_DEP_2) | instskip(NEXT) | instid1(VALU_DEP_2)
	v_cmp_ne_u32_e32 vcc_lo, 0, v3
	v_cmp_ne_u32_e64 s1, 0, v7
	v_bfe_u32 v3, v6, 7, 9
	s_and_b32 s1, vcc_lo, s1
	s_delay_alu instid0(SALU_CYCLE_1) | instskip(NEXT) | instid1(VALU_DEP_1)
	v_cndmask_b32_e64 v6, 0, 1, s1
	v_add_nc_u32_e32 v3, v3, v6
.LBB316_513:
	s_or_b32 exec_lo, exec_lo, s29
	s_mov_b32 s1, -1
	s_mov_b32 s29, 0
	s_branch .LBB316_685
.LBB316_514:
	s_mov_b32 s44, -1
	s_mov_b32 s1, 0
	s_mov_b32 s28, s42
                                        ; implicit-def: $vgpr1
	s_branch .LBB316_564
.LBB316_515:
	s_mov_b32 s44, -1
	s_mov_b32 s1, 0
	s_mov_b32 s29, s41
                                        ; implicit-def: $vgpr3
	s_branch .LBB316_768
.LBB316_516:
	s_mov_b32 s44, -1
	s_mov_b32 s1, 0
	s_mov_b32 s28, s42
                                        ; implicit-def: $vgpr1
	s_branch .LBB316_539
.LBB316_517:
	s_mov_b32 s45, -1
	s_mov_b32 s1, 0
	s_mov_b32 s29, s41
                                        ; implicit-def: $vgpr3
	s_branch .LBB316_724
.LBB316_518:
	s_mov_b32 s44, -1
	s_mov_b32 s1, 0
	s_mov_b32 s28, s42
                                        ; implicit-def: $vgpr1
	s_branch .LBB316_532
.LBB316_519:
	s_mov_b32 s45, -1
	s_mov_b32 s1, 0
	s_mov_b32 s29, s41
                                        ; implicit-def: $vgpr3
	s_branch .LBB316_697
.LBB316_520:
	s_mov_b32 s44, -1
	s_mov_b32 s1, 0
	s_mov_b32 s28, s42
	s_branch .LBB316_525
.LBB316_521:
	s_mov_b32 s45, -1
	s_mov_b32 s1, 0
	s_mov_b32 s29, s41
                                        ; implicit-def: $vgpr3
	s_branch .LBB316_690
.LBB316_522:
	s_and_not1_saveexec_b32 s45, s45
	s_cbranch_execz .LBB316_273
.LBB316_523:
	v_add_f32_e32 v1, 0x46000000, v4
	s_and_not1_b32 s44, s44, exec_lo
	s_delay_alu instid0(VALU_DEP_1) | instskip(NEXT) | instid1(VALU_DEP_1)
	v_and_b32_e32 v1, 0xff, v1
	v_cmp_ne_u32_e32 vcc_lo, 0, v1
	s_and_b32 s46, vcc_lo, exec_lo
	s_delay_alu instid0(SALU_CYCLE_1)
	s_or_b32 s44, s44, s46
	s_or_b32 exec_lo, exec_lo, s45
	v_mov_b32_e32 v5, 0
	s_and_saveexec_b32 s45, s44
	s_cbranch_execnz .LBB316_274
	s_branch .LBB316_275
.LBB316_524:
	s_mov_b32 s28, -1
	s_mov_b32 s1, 0
.LBB316_525:
                                        ; implicit-def: $vgpr1
.LBB316_526:
	s_and_b32 vcc_lo, exec_lo, s44
	s_cbranch_vccz .LBB316_531
; %bb.527:
	s_cmp_eq_u32 s29, 44
	s_cbranch_scc0 .LBB316_530
; %bb.528:
	s_wait_loadcnt 0x0
	global_load_u8 v1, v[6:7], off
	s_mov_b32 s1, -1
	s_mov_b32 s28, 0
	s_branch .LBB316_531
.LBB316_529:
	s_mov_b32 s45, -1
	s_mov_b32 s1, 0
	s_mov_b32 s29, s41
	s_branch .LBB316_684
.LBB316_530:
	s_mov_b32 s28, -1
                                        ; implicit-def: $vgpr1
.LBB316_531:
	s_mov_b32 s44, 0
.LBB316_532:
	s_delay_alu instid0(SALU_CYCLE_1)
	s_and_b32 vcc_lo, exec_lo, s44
	s_cbranch_vccz .LBB316_538
; %bb.533:
	s_cmp_eq_u32 s29, 29
	s_cbranch_scc0 .LBB316_537
; %bb.534:
	global_load_b64 v[8:9], v[6:7], off
	s_mov_b32 s28, exec_lo
	s_wait_loadcnt 0x0
	v_clz_i32_u32_e32 v1, v9
	s_delay_alu instid0(VALU_DEP_1) | instskip(NEXT) | instid1(VALU_DEP_1)
	v_min_u32_e32 v1, 32, v1
	v_lshlrev_b64_e32 v[8:9], v1, v[8:9]
	v_sub_nc_u32_e32 v1, 32, v1
	s_delay_alu instid0(VALU_DEP_2) | instskip(NEXT) | instid1(VALU_DEP_1)
	v_min_u32_e32 v3, 1, v8
	v_or_b32_e32 v3, v9, v3
	s_delay_alu instid0(VALU_DEP_1) | instskip(NEXT) | instid1(VALU_DEP_1)
	v_cvt_f32_u32_e32 v3, v3
	v_ldexp_f32 v5, v3, v1
	v_mov_b32_e32 v1, 0xff
	s_delay_alu instid0(VALU_DEP_2) | instskip(SKIP_1) | instid1(VALU_DEP_1)
	v_lshrrev_b32_e32 v3, 23, v5
	s_wait_xcnt 0x0
	v_cmpx_ne_u32_e32 0xff, v3
; %bb.535:
	v_and_b32_e32 v1, 0x400000, v5
	v_and_or_b32 v5, 0x3fffff, v5, v3
	s_delay_alu instid0(VALU_DEP_2) | instskip(NEXT) | instid1(VALU_DEP_2)
	v_cmp_ne_u32_e32 vcc_lo, 0, v1
	v_cmp_ne_u32_e64 s1, 0, v5
	s_and_b32 s1, vcc_lo, s1
	s_delay_alu instid0(SALU_CYCLE_1) | instskip(NEXT) | instid1(VALU_DEP_1)
	v_cndmask_b32_e64 v1, 0, 1, s1
	v_add_nc_u32_e32 v1, v3, v1
; %bb.536:
	s_or_b32 exec_lo, exec_lo, s28
	s_mov_b32 s1, -1
	s_mov_b32 s28, 0
	s_branch .LBB316_538
.LBB316_537:
	s_mov_b32 s28, -1
                                        ; implicit-def: $vgpr1
.LBB316_538:
	s_mov_b32 s44, 0
.LBB316_539:
	s_delay_alu instid0(SALU_CYCLE_1)
	s_and_b32 vcc_lo, exec_lo, s44
	s_cbranch_vccz .LBB316_563
; %bb.540:
	s_cmp_lt_i32 s29, 27
	s_cbranch_scc1 .LBB316_545
; %bb.541:
	s_cmp_gt_i32 s29, 27
	s_cbranch_scc0 .LBB316_546
; %bb.542:
	s_wait_loadcnt 0x0
	global_load_b32 v1, v[6:7], off
	s_mov_b32 s44, exec_lo
	s_wait_loadcnt 0x0
	v_cvt_f32_u32_e32 v5, v1
	v_mov_b32_e32 v1, 0xff
	s_delay_alu instid0(VALU_DEP_2) | instskip(SKIP_1) | instid1(VALU_DEP_1)
	v_lshrrev_b32_e32 v3, 23, v5
	s_wait_xcnt 0x0
	v_cmpx_ne_u32_e32 0xff, v3
; %bb.543:
	v_and_b32_e32 v1, 0x400000, v5
	v_and_or_b32 v5, 0x3fffff, v5, v3
	s_delay_alu instid0(VALU_DEP_2) | instskip(NEXT) | instid1(VALU_DEP_2)
	v_cmp_ne_u32_e32 vcc_lo, 0, v1
	v_cmp_ne_u32_e64 s1, 0, v5
	s_and_b32 s1, vcc_lo, s1
	s_delay_alu instid0(SALU_CYCLE_1) | instskip(NEXT) | instid1(VALU_DEP_1)
	v_cndmask_b32_e64 v1, 0, 1, s1
	v_add_nc_u32_e32 v1, v3, v1
; %bb.544:
	s_or_b32 exec_lo, exec_lo, s44
	s_mov_b32 s1, 0
	s_branch .LBB316_547
.LBB316_545:
	s_mov_b32 s1, -1
                                        ; implicit-def: $vgpr1
	s_branch .LBB316_552
.LBB316_546:
	s_mov_b32 s1, -1
                                        ; implicit-def: $vgpr1
.LBB316_547:
	s_delay_alu instid0(SALU_CYCLE_1)
	s_and_not1_b32 vcc_lo, exec_lo, s1
	s_cbranch_vccnz .LBB316_551
; %bb.548:
	s_wait_loadcnt 0x0
	global_load_u16 v1, v[6:7], off
	s_mov_b32 s44, exec_lo
	s_wait_loadcnt 0x0
	v_cvt_f32_u32_e32 v5, v1
	v_mov_b32_e32 v1, 0xff
	s_delay_alu instid0(VALU_DEP_2) | instskip(SKIP_1) | instid1(VALU_DEP_1)
	v_lshrrev_b32_e32 v3, 23, v5
	s_wait_xcnt 0x0
	v_cmpx_ne_u32_e32 0xff, v3
; %bb.549:
	v_and_b32_e32 v1, 0x400000, v5
	v_and_or_b32 v5, 0x3fffff, v5, v3
	s_delay_alu instid0(VALU_DEP_2) | instskip(NEXT) | instid1(VALU_DEP_2)
	v_cmp_ne_u32_e32 vcc_lo, 0, v1
	v_cmp_ne_u32_e64 s1, 0, v5
	s_and_b32 s1, vcc_lo, s1
	s_delay_alu instid0(SALU_CYCLE_1) | instskip(NEXT) | instid1(VALU_DEP_1)
	v_cndmask_b32_e64 v1, 0, 1, s1
	v_add_nc_u32_e32 v1, v3, v1
; %bb.550:
	s_or_b32 exec_lo, exec_lo, s44
.LBB316_551:
	s_mov_b32 s1, 0
.LBB316_552:
	s_delay_alu instid0(SALU_CYCLE_1)
	s_and_not1_b32 vcc_lo, exec_lo, s1
	s_cbranch_vccnz .LBB316_562
; %bb.553:
	s_wait_loadcnt 0x0
	global_load_u8 v1, v[6:7], off
	s_mov_b32 s1, 0
	s_mov_b32 s44, exec_lo
	s_wait_loadcnt 0x0
	v_cmpx_lt_i16_e32 0x7f, v1
	s_xor_b32 s44, exec_lo, s44
	s_cbranch_execz .LBB316_580
; %bb.554:
	s_mov_b32 s1, -1
	s_mov_b32 s45, exec_lo
	v_cmpx_eq_u16_e32 0x80, v1
; %bb.555:
	s_xor_b32 s1, exec_lo, -1
; %bb.556:
	s_or_b32 exec_lo, exec_lo, s45
	s_delay_alu instid0(SALU_CYCLE_1)
	s_and_b32 s1, s1, exec_lo
	s_or_saveexec_b32 s44, s44
	v_mov_b32_e32 v3, 0x7f800001
	s_xor_b32 exec_lo, exec_lo, s44
	s_cbranch_execnz .LBB316_581
.LBB316_557:
	s_or_b32 exec_lo, exec_lo, s44
	s_and_saveexec_b32 s44, s1
	s_cbranch_execz .LBB316_559
.LBB316_558:
	v_and_b32_e32 v1, 0xffff, v1
	s_delay_alu instid0(VALU_DEP_1) | instskip(NEXT) | instid1(VALU_DEP_1)
	v_and_b32_e32 v3, 7, v1
	v_clz_i32_u32_e32 v5, v3
	s_delay_alu instid0(VALU_DEP_1) | instskip(NEXT) | instid1(VALU_DEP_1)
	v_min_u32_e32 v5, 32, v5
	v_subrev_nc_u32_e32 v8, 28, v5
	s_delay_alu instid0(VALU_DEP_1) | instskip(SKIP_1) | instid1(VALU_DEP_2)
	v_lshlrev_b32_e32 v8, v8, v1
	v_bfe_u32 v1, v1, 3, 4
	v_dual_sub_nc_u32 v5, 29, v5 :: v_dual_bitop2_b32 v8, 7, v8 bitop3:0x40
	s_delay_alu instid0(VALU_DEP_2) | instskip(NEXT) | instid1(VALU_DEP_2)
	v_cmp_eq_u32_e32 vcc_lo, 0, v1
	v_dual_cndmask_b32 v1, v1, v5, vcc_lo :: v_dual_cndmask_b32 v3, v3, v8, vcc_lo
	s_delay_alu instid0(VALU_DEP_1) | instskip(NEXT) | instid1(VALU_DEP_1)
	v_lshlrev_b32_e32 v3, 20, v3
	v_lshl_or_b32 v1, v1, 23, v3
	s_delay_alu instid0(VALU_DEP_1)
	v_add_nc_u32_e32 v3, 0x3b800000, v1
.LBB316_559:
	s_or_b32 exec_lo, exec_lo, s44
	s_delay_alu instid0(VALU_DEP_1) | instskip(SKIP_2) | instid1(VALU_DEP_2)
	v_lshrrev_b32_e32 v5, 23, v3
	v_mov_b32_e32 v1, 0xff
	s_mov_b32 s44, exec_lo
	v_cmpx_ne_u32_e32 0xff, v5
; %bb.560:
	v_and_b32_e32 v1, 0x400000, v3
	v_and_or_b32 v3, 0x3fffff, v3, v5
	s_delay_alu instid0(VALU_DEP_2) | instskip(NEXT) | instid1(VALU_DEP_2)
	v_cmp_ne_u32_e32 vcc_lo, 0, v1
	v_cmp_ne_u32_e64 s1, 0, v3
	s_and_b32 s1, vcc_lo, s1
	s_delay_alu instid0(SALU_CYCLE_1) | instskip(NEXT) | instid1(VALU_DEP_1)
	v_cndmask_b32_e64 v1, 0, 1, s1
	v_add_nc_u32_e32 v1, v5, v1
; %bb.561:
	s_or_b32 exec_lo, exec_lo, s44
.LBB316_562:
	s_mov_b32 s1, -1
.LBB316_563:
	s_mov_b32 s44, 0
.LBB316_564:
	s_delay_alu instid0(SALU_CYCLE_1)
	s_and_b32 vcc_lo, exec_lo, s44
	s_cbranch_vccz .LBB316_609
; %bb.565:
	s_cmp_gt_i32 s29, 22
	s_cbranch_scc0 .LBB316_579
; %bb.566:
	s_cmp_lt_i32 s29, 24
	s_cbranch_scc1 .LBB316_582
; %bb.567:
	s_cmp_gt_i32 s29, 24
	s_cbranch_scc0 .LBB316_583
; %bb.568:
	s_wait_loadcnt 0x0
	global_load_u8 v1, v[6:7], off
	s_mov_b32 s1, 0
	s_mov_b32 s44, exec_lo
	s_wait_loadcnt 0x0
	v_cmpx_lt_i16_e32 0x7f, v1
	s_xor_b32 s44, exec_lo, s44
	s_cbranch_execz .LBB316_572
; %bb.569:
	s_mov_b32 s1, -1
	s_mov_b32 s45, exec_lo
	v_cmpx_eq_u16_e32 0x80, v1
; %bb.570:
	s_xor_b32 s1, exec_lo, -1
; %bb.571:
	s_or_b32 exec_lo, exec_lo, s45
	s_delay_alu instid0(SALU_CYCLE_1)
	s_and_b32 s1, s1, exec_lo
.LBB316_572:
	s_or_saveexec_b32 s44, s44
	v_mov_b32_e32 v3, 0x7f800001
	v_and_b32_e32 v5, 0xffff, v1
	s_xor_b32 exec_lo, exec_lo, s44
; %bb.573:
	v_cmp_ne_u16_e32 vcc_lo, 0, v1
	s_delay_alu instid0(VALU_DEP_2) | instskip(SKIP_2) | instid1(SALU_CYCLE_1)
	v_mov_b32_e32 v3, v5
	s_and_not1_b32 s1, s1, exec_lo
	s_and_b32 s45, vcc_lo, exec_lo
	s_or_b32 s1, s1, s45
; %bb.574:
	s_or_b32 exec_lo, exec_lo, s44
	s_and_saveexec_b32 s44, s1
	s_cbranch_execz .LBB316_576
; %bb.575:
	v_and_b32_e32 v1, 3, v5
	s_delay_alu instid0(VALU_DEP_1) | instskip(NEXT) | instid1(VALU_DEP_1)
	v_clz_i32_u32_e32 v3, v1
	v_min_u32_e32 v3, 32, v3
	s_delay_alu instid0(VALU_DEP_1) | instskip(NEXT) | instid1(VALU_DEP_1)
	v_subrev_nc_u32_e32 v8, 29, v3
	v_lshlrev_b32_e32 v8, v8, v5
	v_bfe_u32 v5, v5, 2, 5
	s_delay_alu instid0(VALU_DEP_2) | instskip(NEXT) | instid1(VALU_DEP_2)
	v_dual_sub_nc_u32 v3, 30, v3 :: v_dual_bitop2_b32 v8, 3, v8 bitop3:0x40
	v_cmp_eq_u32_e32 vcc_lo, 0, v5
	s_delay_alu instid0(VALU_DEP_2) | instskip(NEXT) | instid1(VALU_DEP_1)
	v_cndmask_b32_e32 v1, v1, v8, vcc_lo
	v_dual_cndmask_b32 v3, v5, v3, vcc_lo :: v_dual_lshlrev_b32 v1, 21, v1
	s_delay_alu instid0(VALU_DEP_1) | instskip(NEXT) | instid1(VALU_DEP_1)
	v_lshl_or_b32 v1, v3, 23, v1
	v_add_nc_u32_e32 v3, 0x37800000, v1
.LBB316_576:
	s_or_b32 exec_lo, exec_lo, s44
	s_delay_alu instid0(VALU_DEP_1) | instskip(SKIP_2) | instid1(VALU_DEP_2)
	v_lshrrev_b32_e32 v5, 23, v3
	v_mov_b32_e32 v1, 0xff
	s_mov_b32 s44, exec_lo
	v_cmpx_ne_u32_e32 0xff, v5
; %bb.577:
	v_and_b32_e32 v1, 0x400000, v3
	v_and_or_b32 v3, 0x3fffff, v3, v5
	s_delay_alu instid0(VALU_DEP_2) | instskip(NEXT) | instid1(VALU_DEP_2)
	v_cmp_ne_u32_e32 vcc_lo, 0, v1
	v_cmp_ne_u32_e64 s1, 0, v3
	s_and_b32 s1, vcc_lo, s1
	s_delay_alu instid0(SALU_CYCLE_1) | instskip(NEXT) | instid1(VALU_DEP_1)
	v_cndmask_b32_e64 v1, 0, 1, s1
	v_add_nc_u32_e32 v1, v5, v1
; %bb.578:
	s_or_b32 exec_lo, exec_lo, s44
	s_mov_b32 s1, 0
	s_branch .LBB316_584
.LBB316_579:
	s_mov_b32 s44, -1
                                        ; implicit-def: $vgpr1
	s_branch .LBB316_594
.LBB316_580:
	s_or_saveexec_b32 s44, s44
	v_mov_b32_e32 v3, 0x7f800001
	s_xor_b32 exec_lo, exec_lo, s44
	s_cbranch_execz .LBB316_557
.LBB316_581:
	v_cmp_ne_u16_e32 vcc_lo, 0, v1
	v_and_b32_e32 v3, 0xffff, v1
	s_and_not1_b32 s1, s1, exec_lo
	s_and_b32 s45, vcc_lo, exec_lo
	s_delay_alu instid0(SALU_CYCLE_1)
	s_or_b32 s1, s1, s45
	s_or_b32 exec_lo, exec_lo, s44
	s_and_saveexec_b32 s44, s1
	s_cbranch_execnz .LBB316_558
	s_branch .LBB316_559
.LBB316_582:
	s_mov_b32 s1, -1
                                        ; implicit-def: $vgpr1
	s_branch .LBB316_589
.LBB316_583:
	s_mov_b32 s1, -1
                                        ; implicit-def: $vgpr1
.LBB316_584:
	s_delay_alu instid0(SALU_CYCLE_1)
	s_and_b32 vcc_lo, exec_lo, s1
	s_cbranch_vccz .LBB316_588
; %bb.585:
	s_wait_loadcnt 0x0
	global_load_u8 v1, v[6:7], off
	s_mov_b32 s44, exec_lo
	s_wait_loadcnt 0x0
	v_lshlrev_b32_e32 v1, 24, v1
	s_delay_alu instid0(VALU_DEP_1) | instskip(NEXT) | instid1(VALU_DEP_1)
	v_and_b32_e32 v1, 0x7f000000, v1
	v_clz_i32_u32_e32 v3, v1
	v_cmp_ne_u32_e32 vcc_lo, 0, v1
	v_add_nc_u32_e32 v8, 0x1000000, v1
	s_delay_alu instid0(VALU_DEP_3) | instskip(NEXT) | instid1(VALU_DEP_1)
	v_min_u32_e32 v3, 32, v3
	v_sub_nc_u32_e64 v3, v3, 4 clamp
	s_delay_alu instid0(VALU_DEP_1) | instskip(SKIP_1) | instid1(VALU_DEP_2)
	v_dual_lshlrev_b32 v5, v3, v1 :: v_dual_lshlrev_b32 v3, 23, v3
	v_mov_b32_e32 v1, 0xff
	v_lshrrev_b32_e32 v5, 4, v5
	s_delay_alu instid0(VALU_DEP_1) | instskip(NEXT) | instid1(VALU_DEP_1)
	v_dual_sub_nc_u32 v3, v5, v3 :: v_dual_ashrrev_i32 v5, 8, v8
	v_add_nc_u32_e32 v3, 0x3c000000, v3
	s_delay_alu instid0(VALU_DEP_1) | instskip(NEXT) | instid1(VALU_DEP_1)
	v_and_or_b32 v3, 0x7f800000, v5, v3
	v_cndmask_b32_e32 v5, 0, v3, vcc_lo
	s_delay_alu instid0(VALU_DEP_1) | instskip(SKIP_1) | instid1(VALU_DEP_1)
	v_lshrrev_b32_e32 v3, 23, v5
	s_wait_xcnt 0x0
	v_cmpx_ne_u32_e32 0xff, v3
; %bb.586:
	v_and_b32_e32 v1, 0x400000, v5
	v_and_or_b32 v5, 0x3fffff, v5, v3
	s_delay_alu instid0(VALU_DEP_2) | instskip(NEXT) | instid1(VALU_DEP_2)
	v_cmp_ne_u32_e32 vcc_lo, 0, v1
	v_cmp_ne_u32_e64 s1, 0, v5
	s_and_b32 s1, vcc_lo, s1
	s_delay_alu instid0(SALU_CYCLE_1) | instskip(NEXT) | instid1(VALU_DEP_1)
	v_cndmask_b32_e64 v1, 0, 1, s1
	v_add_nc_u32_e32 v1, v3, v1
; %bb.587:
	s_or_b32 exec_lo, exec_lo, s44
.LBB316_588:
	s_mov_b32 s1, 0
.LBB316_589:
	s_delay_alu instid0(SALU_CYCLE_1)
	s_and_not1_b32 vcc_lo, exec_lo, s1
	s_cbranch_vccnz .LBB316_593
; %bb.590:
	s_wait_loadcnt 0x0
	global_load_u8 v1, v[6:7], off
	s_mov_b32 s44, exec_lo
	s_wait_loadcnt 0x0
	v_dual_lshlrev_b32 v3, 25, v1 :: v_dual_lshlrev_b32 v1, 8, v1
	s_delay_alu instid0(VALU_DEP_1) | instskip(NEXT) | instid1(VALU_DEP_2)
	v_cmp_gt_u32_e32 vcc_lo, 0x8000000, v3
	v_and_or_b32 v1, 0x7f00, v1, 0.5
	s_delay_alu instid0(VALU_DEP_1) | instskip(NEXT) | instid1(VALU_DEP_1)
	v_dual_lshrrev_b32 v5, 4, v3 :: v_dual_add_f32 v1, -0.5, v1
	v_or_b32_e32 v5, 0x70000000, v5
	s_delay_alu instid0(VALU_DEP_1) | instskip(NEXT) | instid1(VALU_DEP_1)
	v_mul_f32_e32 v5, 0x7800000, v5
	v_cndmask_b32_e32 v3, v5, v1, vcc_lo
	v_mov_b32_e32 v1, 0xff
	s_delay_alu instid0(VALU_DEP_2) | instskip(SKIP_1) | instid1(VALU_DEP_1)
	v_bfe_u32 v5, v3, 23, 8
	s_wait_xcnt 0x0
	v_cmpx_ne_u32_e32 0xff, v5
	s_cbranch_execz .LBB316_592
; %bb.591:
	v_and_b32_e32 v1, 0x400000, v3
	v_and_or_b32 v5, 0x3fffff, v3, v5
	s_delay_alu instid0(VALU_DEP_2) | instskip(NEXT) | instid1(VALU_DEP_2)
	v_cmp_ne_u32_e32 vcc_lo, 0, v1
	v_cmp_ne_u32_e64 s1, 0, v5
	v_lshrrev_b32_e32 v1, 23, v3
	s_and_b32 s1, vcc_lo, s1
	s_delay_alu instid0(SALU_CYCLE_1) | instskip(NEXT) | instid1(VALU_DEP_1)
	v_cndmask_b32_e64 v3, 0, 1, s1
	v_add_nc_u32_e32 v1, v1, v3
.LBB316_592:
	s_or_b32 exec_lo, exec_lo, s44
.LBB316_593:
	s_mov_b32 s44, 0
	s_mov_b32 s1, -1
.LBB316_594:
	s_and_not1_b32 vcc_lo, exec_lo, s44
	s_cbranch_vccnz .LBB316_609
; %bb.595:
	s_cmp_gt_i32 s29, 14
	s_cbranch_scc0 .LBB316_600
; %bb.596:
	s_cmp_eq_u32 s29, 15
	s_cbranch_scc0 .LBB316_601
; %bb.597:
	s_wait_loadcnt 0x0
	global_load_u16 v3, v[6:7], off
	v_mov_b32_e32 v1, 0xff
	s_mov_b32 s28, exec_lo
	s_wait_loadcnt 0x0
	v_bfe_u32 v5, v3, 7, 8
	s_wait_xcnt 0x0
	s_delay_alu instid0(VALU_DEP_1)
	v_cmpx_ne_u32_e32 0xff, v5
	s_cbranch_execz .LBB316_599
; %bb.598:
	v_dual_lshlrev_b32 v1, 16, v3 :: v_dual_bitop2_b32 v8, 64, v3 bitop3:0x40
	s_delay_alu instid0(VALU_DEP_1) | instskip(NEXT) | instid1(VALU_DEP_2)
	v_and_or_b32 v1, 0x3f0000, v1, v5
	v_cmp_ne_u32_e32 vcc_lo, 0, v8
	s_delay_alu instid0(VALU_DEP_2) | instskip(SKIP_2) | instid1(SALU_CYCLE_1)
	v_cmp_ne_u32_e64 s1, 0, v1
	v_lshrrev_b32_e32 v1, 7, v3
	s_and_b32 s1, vcc_lo, s1
	v_cndmask_b32_e64 v3, 0, 1, s1
	s_delay_alu instid0(VALU_DEP_1)
	v_add_nc_u32_e32 v1, v1, v3
.LBB316_599:
	s_or_b32 exec_lo, exec_lo, s28
	s_mov_b32 s1, -1
	s_mov_b32 s28, 0
	s_branch .LBB316_602
.LBB316_600:
	s_mov_b32 s44, -1
                                        ; implicit-def: $vgpr1
	s_branch .LBB316_603
.LBB316_601:
	s_mov_b32 s28, -1
                                        ; implicit-def: $vgpr1
.LBB316_602:
	s_mov_b32 s44, 0
.LBB316_603:
	s_delay_alu instid0(SALU_CYCLE_1)
	s_and_b32 vcc_lo, exec_lo, s44
	s_cbranch_vccz .LBB316_609
; %bb.604:
	s_cmp_eq_u32 s29, 11
	s_cbranch_scc0 .LBB316_608
; %bb.605:
	s_wait_loadcnt 0x0
	global_load_u8 v1, v[6:7], off
	s_mov_b32 s28, 0
	s_mov_b32 s29, exec_lo
	s_wait_loadcnt 0x0
	v_cmp_ne_u16_e32 vcc_lo, 0, v1
	v_mov_b32_e32 v1, 0xff
	v_cndmask_b32_e64 v5, 0, 1.0, vcc_lo
	s_delay_alu instid0(VALU_DEP_1) | instskip(SKIP_1) | instid1(VALU_DEP_1)
	v_lshrrev_b32_e32 v3, 23, v5
	s_wait_xcnt 0x0
	v_cmpx_ne_u32_e32 0xff, v3
; %bb.606:
	v_and_b32_e32 v1, 0x400000, v5
	v_and_or_b32 v5, 0x3fffff, v5, v3
	s_delay_alu instid0(VALU_DEP_2) | instskip(NEXT) | instid1(VALU_DEP_2)
	v_cmp_ne_u32_e32 vcc_lo, 0, v1
	v_cmp_ne_u32_e64 s1, 0, v5
	s_and_b32 s1, vcc_lo, s1
	s_delay_alu instid0(SALU_CYCLE_1) | instskip(NEXT) | instid1(VALU_DEP_1)
	v_cndmask_b32_e64 v1, 0, 1, s1
	v_add_nc_u32_e32 v1, v3, v1
; %bb.607:
	s_or_b32 exec_lo, exec_lo, s29
	s_mov_b32 s1, -1
	s_branch .LBB316_609
.LBB316_608:
	s_mov_b32 s28, -1
                                        ; implicit-def: $vgpr1
.LBB316_609:
	s_branch .LBB316_504
.LBB316_610:
	s_and_b32 s2, 0xffff, s2
	s_delay_alu instid0(SALU_CYCLE_1)
	s_cmp_lt_i32 s2, 5
	s_cbranch_scc1 .LBB316_617
; %bb.611:
	s_cmp_lt_i32 s2, 8
	s_cbranch_scc1 .LBB316_618
; %bb.612:
	;; [unrolled: 3-line block ×3, first 2 shown]
	s_cmp_gt_i32 s2, 9
	s_cbranch_scc0 .LBB316_620
; %bb.614:
	global_load_b64 v[8:9], v[6:7], off
	s_wait_loadcnt 0x1
	v_mov_b32_e32 v1, 0xff
	s_mov_b32 s29, exec_lo
	s_wait_loadcnt 0x0
	v_cvt_f32_f64_e32 v3, v[8:9]
	s_delay_alu instid0(VALU_DEP_1) | instskip(SKIP_1) | instid1(VALU_DEP_1)
	v_bfe_u32 v5, v3, 23, 8
	s_wait_xcnt 0x0
	v_cmpx_ne_u32_e32 0xff, v5
	s_cbranch_execz .LBB316_616
; %bb.615:
	v_and_b32_e32 v1, 0x400000, v3
	v_and_or_b32 v5, 0x3fffff, v3, v5
	s_delay_alu instid0(VALU_DEP_2) | instskip(NEXT) | instid1(VALU_DEP_2)
	v_cmp_ne_u32_e32 vcc_lo, 0, v1
	v_cmp_ne_u32_e64 s1, 0, v5
	v_lshrrev_b32_e32 v1, 23, v3
	s_and_b32 s1, vcc_lo, s1
	s_delay_alu instid0(SALU_CYCLE_1) | instskip(NEXT) | instid1(VALU_DEP_1)
	v_cndmask_b32_e64 v3, 0, 1, s1
	v_add_nc_u32_e32 v1, v1, v3
.LBB316_616:
	s_or_b32 exec_lo, exec_lo, s29
	s_mov_b32 s1, 0
	s_branch .LBB316_621
.LBB316_617:
	s_mov_b32 s1, -1
                                        ; implicit-def: $vgpr1
	s_branch .LBB316_649
.LBB316_618:
	s_mov_b32 s1, -1
                                        ; implicit-def: $vgpr1
	s_branch .LBB316_631
.LBB316_619:
	s_mov_b32 s1, -1
                                        ; implicit-def: $vgpr1
	s_branch .LBB316_626
.LBB316_620:
	s_mov_b32 s1, -1
                                        ; implicit-def: $vgpr1
.LBB316_621:
	s_delay_alu instid0(SALU_CYCLE_1)
	s_and_not1_b32 vcc_lo, exec_lo, s1
	s_cbranch_vccnz .LBB316_625
; %bb.622:
	s_wait_loadcnt 0x0
	global_load_b32 v3, v[6:7], off
	v_mov_b32_e32 v1, 0xff
	s_mov_b32 s29, exec_lo
	s_wait_loadcnt 0x0
	v_bfe_u32 v5, v3, 23, 8
	s_wait_xcnt 0x0
	s_delay_alu instid0(VALU_DEP_1)
	v_cmpx_ne_u32_e32 0xff, v5
	s_cbranch_execz .LBB316_624
; %bb.623:
	v_and_b32_e32 v1, 0x400000, v3
	v_and_or_b32 v5, 0x3fffff, v3, v5
	s_delay_alu instid0(VALU_DEP_2) | instskip(NEXT) | instid1(VALU_DEP_2)
	v_cmp_ne_u32_e32 vcc_lo, 0, v1
	v_cmp_ne_u32_e64 s1, 0, v5
	v_lshrrev_b32_e32 v1, 23, v3
	s_and_b32 s1, vcc_lo, s1
	s_delay_alu instid0(SALU_CYCLE_1) | instskip(NEXT) | instid1(VALU_DEP_1)
	v_cndmask_b32_e64 v3, 0, 1, s1
	v_add_nc_u32_e32 v1, v1, v3
.LBB316_624:
	s_or_b32 exec_lo, exec_lo, s29
.LBB316_625:
	s_mov_b32 s1, 0
.LBB316_626:
	s_delay_alu instid0(SALU_CYCLE_1)
	s_and_not1_b32 vcc_lo, exec_lo, s1
	s_cbranch_vccnz .LBB316_630
; %bb.627:
	s_wait_loadcnt 0x0
	global_load_b32 v1, v[6:7], off
	s_mov_b32 s29, exec_lo
	s_wait_loadcnt 0x0
	v_cvt_f32_f16_e32 v3, v1
	v_mov_b32_e32 v1, 0xff
	s_delay_alu instid0(VALU_DEP_2) | instskip(SKIP_1) | instid1(VALU_DEP_1)
	v_bfe_u32 v5, v3, 23, 8
	s_wait_xcnt 0x0
	v_cmpx_ne_u32_e32 0xff, v5
	s_cbranch_execz .LBB316_629
; %bb.628:
	v_and_b32_e32 v1, 0x400000, v3
	v_and_or_b32 v5, 0x3fffff, v3, v5
	s_delay_alu instid0(VALU_DEP_2) | instskip(NEXT) | instid1(VALU_DEP_2)
	v_cmp_ne_u32_e32 vcc_lo, 0, v1
	v_cmp_ne_u32_e64 s1, 0, v5
	v_lshrrev_b32_e32 v1, 23, v3
	s_and_b32 s1, vcc_lo, s1
	s_delay_alu instid0(SALU_CYCLE_1) | instskip(NEXT) | instid1(VALU_DEP_1)
	v_cndmask_b32_e64 v3, 0, 1, s1
	v_add_nc_u32_e32 v1, v1, v3
.LBB316_629:
	s_or_b32 exec_lo, exec_lo, s29
.LBB316_630:
	s_mov_b32 s1, 0
.LBB316_631:
	s_delay_alu instid0(SALU_CYCLE_1)
	s_and_not1_b32 vcc_lo, exec_lo, s1
	s_cbranch_vccnz .LBB316_648
; %bb.632:
	s_cmp_lt_i32 s2, 6
	s_cbranch_scc1 .LBB316_637
; %bb.633:
	s_cmp_gt_i32 s2, 6
	s_cbranch_scc0 .LBB316_638
; %bb.634:
	global_load_b64 v[8:9], v[6:7], off
	s_wait_loadcnt 0x1
	v_mov_b32_e32 v1, 0xff
	s_mov_b32 s29, exec_lo
	s_wait_loadcnt 0x0
	v_cvt_f32_f64_e32 v3, v[8:9]
	s_delay_alu instid0(VALU_DEP_1) | instskip(SKIP_1) | instid1(VALU_DEP_1)
	v_bfe_u32 v5, v3, 23, 8
	s_wait_xcnt 0x0
	v_cmpx_ne_u32_e32 0xff, v5
	s_cbranch_execz .LBB316_636
; %bb.635:
	v_and_b32_e32 v1, 0x400000, v3
	v_and_or_b32 v5, 0x3fffff, v3, v5
	s_delay_alu instid0(VALU_DEP_2) | instskip(NEXT) | instid1(VALU_DEP_2)
	v_cmp_ne_u32_e32 vcc_lo, 0, v1
	v_cmp_ne_u32_e64 s1, 0, v5
	v_lshrrev_b32_e32 v1, 23, v3
	s_and_b32 s1, vcc_lo, s1
	s_delay_alu instid0(SALU_CYCLE_1) | instskip(NEXT) | instid1(VALU_DEP_1)
	v_cndmask_b32_e64 v3, 0, 1, s1
	v_add_nc_u32_e32 v1, v1, v3
.LBB316_636:
	s_or_b32 exec_lo, exec_lo, s29
	s_mov_b32 s1, 0
	s_branch .LBB316_639
.LBB316_637:
	s_mov_b32 s1, -1
                                        ; implicit-def: $vgpr1
	s_branch .LBB316_644
.LBB316_638:
	s_mov_b32 s1, -1
                                        ; implicit-def: $vgpr1
.LBB316_639:
	s_delay_alu instid0(SALU_CYCLE_1)
	s_and_not1_b32 vcc_lo, exec_lo, s1
	s_cbranch_vccnz .LBB316_643
; %bb.640:
	s_wait_loadcnt 0x0
	global_load_b32 v3, v[6:7], off
	v_mov_b32_e32 v1, 0xff
	s_mov_b32 s29, exec_lo
	s_wait_loadcnt 0x0
	v_bfe_u32 v5, v3, 23, 8
	s_wait_xcnt 0x0
	s_delay_alu instid0(VALU_DEP_1)
	v_cmpx_ne_u32_e32 0xff, v5
	s_cbranch_execz .LBB316_642
; %bb.641:
	v_and_b32_e32 v1, 0x400000, v3
	v_and_or_b32 v5, 0x3fffff, v3, v5
	s_delay_alu instid0(VALU_DEP_2) | instskip(NEXT) | instid1(VALU_DEP_2)
	v_cmp_ne_u32_e32 vcc_lo, 0, v1
	v_cmp_ne_u32_e64 s1, 0, v5
	v_lshrrev_b32_e32 v1, 23, v3
	s_and_b32 s1, vcc_lo, s1
	s_delay_alu instid0(SALU_CYCLE_1) | instskip(NEXT) | instid1(VALU_DEP_1)
	v_cndmask_b32_e64 v3, 0, 1, s1
	v_add_nc_u32_e32 v1, v1, v3
.LBB316_642:
	s_or_b32 exec_lo, exec_lo, s29
.LBB316_643:
	s_mov_b32 s1, 0
.LBB316_644:
	s_delay_alu instid0(SALU_CYCLE_1)
	s_and_not1_b32 vcc_lo, exec_lo, s1
	s_cbranch_vccnz .LBB316_648
; %bb.645:
	s_wait_loadcnt 0x0
	global_load_u16 v1, v[6:7], off
	s_mov_b32 s29, exec_lo
	s_wait_loadcnt 0x0
	v_cvt_f32_f16_e32 v3, v1
	v_mov_b32_e32 v1, 0xff
	s_delay_alu instid0(VALU_DEP_2) | instskip(SKIP_1) | instid1(VALU_DEP_1)
	v_bfe_u32 v5, v3, 23, 8
	s_wait_xcnt 0x0
	v_cmpx_ne_u32_e32 0xff, v5
	s_cbranch_execz .LBB316_647
; %bb.646:
	v_and_b32_e32 v1, 0x400000, v3
	v_and_or_b32 v5, 0x3fffff, v3, v5
	s_delay_alu instid0(VALU_DEP_2) | instskip(NEXT) | instid1(VALU_DEP_2)
	v_cmp_ne_u32_e32 vcc_lo, 0, v1
	v_cmp_ne_u32_e64 s1, 0, v5
	v_lshrrev_b32_e32 v1, 23, v3
	s_and_b32 s1, vcc_lo, s1
	s_delay_alu instid0(SALU_CYCLE_1) | instskip(NEXT) | instid1(VALU_DEP_1)
	v_cndmask_b32_e64 v3, 0, 1, s1
	v_add_nc_u32_e32 v1, v1, v3
.LBB316_647:
	s_or_b32 exec_lo, exec_lo, s29
.LBB316_648:
	s_mov_b32 s1, 0
.LBB316_649:
	s_delay_alu instid0(SALU_CYCLE_1)
	s_and_not1_b32 vcc_lo, exec_lo, s1
	s_cbranch_vccnz .LBB316_679
; %bb.650:
	s_cmp_lt_i32 s2, 2
	s_cbranch_scc1 .LBB316_656
; %bb.651:
	s_cmp_lt_i32 s2, 3
	s_cbranch_scc1 .LBB316_657
; %bb.652:
	s_cmp_gt_i32 s2, 3
	s_cbranch_scc0 .LBB316_658
; %bb.653:
	global_load_b64 v[8:9], v[6:7], off
	s_mov_b32 s29, exec_lo
	s_wait_loadcnt 0x0
	v_xor_b32_e32 v1, v8, v9
	v_cls_i32_e32 v3, v9
	s_delay_alu instid0(VALU_DEP_2) | instskip(NEXT) | instid1(VALU_DEP_1)
	v_ashrrev_i32_e32 v1, 31, v1
	v_add_nc_u32_e32 v1, 32, v1
	s_delay_alu instid0(VALU_DEP_1) | instskip(NEXT) | instid1(VALU_DEP_1)
	v_add_min_u32_e64 v1, v3, -1, v1
	v_lshlrev_b64_e32 v[8:9], v1, v[8:9]
	v_sub_nc_u32_e32 v1, 32, v1
	s_delay_alu instid0(VALU_DEP_2) | instskip(NEXT) | instid1(VALU_DEP_1)
	v_min_u32_e32 v3, 1, v8
	v_or_b32_e32 v3, v9, v3
	s_delay_alu instid0(VALU_DEP_1) | instskip(NEXT) | instid1(VALU_DEP_1)
	v_cvt_f32_i32_e32 v3, v3
	v_ldexp_f32 v3, v3, v1
	v_mov_b32_e32 v1, 0xff
	s_delay_alu instid0(VALU_DEP_2) | instskip(SKIP_1) | instid1(VALU_DEP_1)
	v_bfe_u32 v5, v3, 23, 8
	s_wait_xcnt 0x0
	v_cmpx_ne_u32_e32 0xff, v5
	s_cbranch_execz .LBB316_655
; %bb.654:
	v_and_b32_e32 v1, 0x400000, v3
	v_and_or_b32 v5, 0x3fffff, v3, v5
	s_delay_alu instid0(VALU_DEP_2) | instskip(NEXT) | instid1(VALU_DEP_2)
	v_cmp_ne_u32_e32 vcc_lo, 0, v1
	v_cmp_ne_u32_e64 s1, 0, v5
	v_lshrrev_b32_e32 v1, 23, v3
	s_and_b32 s1, vcc_lo, s1
	s_delay_alu instid0(SALU_CYCLE_1) | instskip(NEXT) | instid1(VALU_DEP_1)
	v_cndmask_b32_e64 v3, 0, 1, s1
	v_add_nc_u32_e32 v1, v1, v3
.LBB316_655:
	s_or_b32 exec_lo, exec_lo, s29
	s_mov_b32 s1, 0
	s_branch .LBB316_659
.LBB316_656:
	s_mov_b32 s1, -1
                                        ; implicit-def: $vgpr1
	s_branch .LBB316_669
.LBB316_657:
	s_mov_b32 s1, -1
                                        ; implicit-def: $vgpr1
	s_branch .LBB316_664
.LBB316_658:
	s_mov_b32 s1, -1
                                        ; implicit-def: $vgpr1
.LBB316_659:
	s_delay_alu instid0(SALU_CYCLE_1)
	s_and_not1_b32 vcc_lo, exec_lo, s1
	s_cbranch_vccnz .LBB316_663
; %bb.660:
	s_wait_loadcnt 0x0
	global_load_b32 v1, v[6:7], off
	s_mov_b32 s29, exec_lo
	s_wait_loadcnt 0x0
	v_cvt_f32_i32_e32 v3, v1
	v_mov_b32_e32 v1, 0xff
	s_delay_alu instid0(VALU_DEP_2) | instskip(SKIP_1) | instid1(VALU_DEP_1)
	v_bfe_u32 v5, v3, 23, 8
	s_wait_xcnt 0x0
	v_cmpx_ne_u32_e32 0xff, v5
	s_cbranch_execz .LBB316_662
; %bb.661:
	v_and_b32_e32 v1, 0x400000, v3
	v_and_or_b32 v5, 0x3fffff, v3, v5
	s_delay_alu instid0(VALU_DEP_2) | instskip(NEXT) | instid1(VALU_DEP_2)
	v_cmp_ne_u32_e32 vcc_lo, 0, v1
	v_cmp_ne_u32_e64 s1, 0, v5
	v_lshrrev_b32_e32 v1, 23, v3
	s_and_b32 s1, vcc_lo, s1
	s_delay_alu instid0(SALU_CYCLE_1) | instskip(NEXT) | instid1(VALU_DEP_1)
	v_cndmask_b32_e64 v3, 0, 1, s1
	v_add_nc_u32_e32 v1, v1, v3
.LBB316_662:
	s_or_b32 exec_lo, exec_lo, s29
.LBB316_663:
	s_mov_b32 s1, 0
.LBB316_664:
	s_delay_alu instid0(SALU_CYCLE_1)
	s_and_not1_b32 vcc_lo, exec_lo, s1
	s_cbranch_vccnz .LBB316_668
; %bb.665:
	s_wait_loadcnt 0x0
	global_load_i16 v1, v[6:7], off
	s_mov_b32 s29, exec_lo
	s_wait_loadcnt 0x0
	v_cvt_f32_i32_e32 v3, v1
	v_mov_b32_e32 v1, 0xff
	s_delay_alu instid0(VALU_DEP_2) | instskip(SKIP_1) | instid1(VALU_DEP_1)
	v_bfe_u32 v5, v3, 23, 8
	s_wait_xcnt 0x0
	v_cmpx_ne_u32_e32 0xff, v5
	s_cbranch_execz .LBB316_667
; %bb.666:
	v_and_b32_e32 v1, 0x400000, v3
	v_and_or_b32 v5, 0x3fffff, v3, v5
	s_delay_alu instid0(VALU_DEP_2) | instskip(NEXT) | instid1(VALU_DEP_2)
	v_cmp_ne_u32_e32 vcc_lo, 0, v1
	v_cmp_ne_u32_e64 s1, 0, v5
	v_lshrrev_b32_e32 v1, 23, v3
	s_and_b32 s1, vcc_lo, s1
	s_delay_alu instid0(SALU_CYCLE_1) | instskip(NEXT) | instid1(VALU_DEP_1)
	v_cndmask_b32_e64 v3, 0, 1, s1
	v_add_nc_u32_e32 v1, v1, v3
.LBB316_667:
	s_or_b32 exec_lo, exec_lo, s29
.LBB316_668:
	s_mov_b32 s1, 0
.LBB316_669:
	s_delay_alu instid0(SALU_CYCLE_1)
	s_and_not1_b32 vcc_lo, exec_lo, s1
	s_cbranch_vccnz .LBB316_679
; %bb.670:
	s_cmp_gt_i32 s2, 0
	s_cbranch_scc0 .LBB316_674
; %bb.671:
	s_wait_loadcnt 0x0
	global_load_i8 v1, v[6:7], off
	s_mov_b32 s2, exec_lo
	s_wait_loadcnt 0x0
	v_cvt_f32_i32_e32 v3, v1
	v_mov_b32_e32 v1, 0xff
	s_delay_alu instid0(VALU_DEP_2) | instskip(SKIP_1) | instid1(VALU_DEP_1)
	v_bfe_u32 v5, v3, 23, 8
	s_wait_xcnt 0x0
	v_cmpx_ne_u32_e32 0xff, v5
	s_cbranch_execz .LBB316_673
; %bb.672:
	v_and_b32_e32 v1, 0x400000, v3
	v_and_or_b32 v5, 0x3fffff, v3, v5
	s_delay_alu instid0(VALU_DEP_2) | instskip(NEXT) | instid1(VALU_DEP_2)
	v_cmp_ne_u32_e32 vcc_lo, 0, v1
	v_cmp_ne_u32_e64 s1, 0, v5
	v_lshrrev_b32_e32 v1, 23, v3
	s_and_b32 s1, vcc_lo, s1
	s_delay_alu instid0(SALU_CYCLE_1) | instskip(NEXT) | instid1(VALU_DEP_1)
	v_cndmask_b32_e64 v3, 0, 1, s1
	v_add_nc_u32_e32 v1, v1, v3
.LBB316_673:
	s_or_b32 exec_lo, exec_lo, s2
	s_mov_b32 s1, 0
	s_branch .LBB316_675
.LBB316_674:
	s_mov_b32 s1, -1
                                        ; implicit-def: $vgpr1
.LBB316_675:
	s_delay_alu instid0(SALU_CYCLE_1)
	s_and_not1_b32 vcc_lo, exec_lo, s1
	s_cbranch_vccnz .LBB316_679
; %bb.676:
	s_wait_loadcnt 0x0
	global_load_u8 v1, v[6:7], off
	s_mov_b32 s2, exec_lo
	s_wait_loadcnt 0x0
	v_cvt_f32_ubyte0_e32 v5, v1
	v_mov_b32_e32 v1, 0xff
	s_delay_alu instid0(VALU_DEP_2) | instskip(SKIP_1) | instid1(VALU_DEP_1)
	v_lshrrev_b32_e32 v3, 23, v5
	s_wait_xcnt 0x0
	v_cmpx_ne_u32_e32 0xff, v3
; %bb.677:
	v_and_b32_e32 v1, 0x400000, v5
	v_and_or_b32 v5, 0x3fffff, v5, v3
	s_delay_alu instid0(VALU_DEP_2) | instskip(NEXT) | instid1(VALU_DEP_2)
	v_cmp_ne_u32_e32 vcc_lo, 0, v1
	v_cmp_ne_u32_e64 s1, 0, v5
	s_and_b32 s1, vcc_lo, s1
	s_delay_alu instid0(SALU_CYCLE_1) | instskip(NEXT) | instid1(VALU_DEP_1)
	v_cndmask_b32_e64 v1, 0, 1, s1
	v_add_nc_u32_e32 v1, v3, v1
; %bb.678:
	s_or_b32 exec_lo, exec_lo, s2
.LBB316_679:
	s_branch .LBB316_505
.LBB316_680:
	s_mov_b32 s1, 0
	s_mov_b32 s2, s10
	s_mov_b32 s29, s41
	s_branch .LBB316_888
.LBB316_681:
	s_and_not1_saveexec_b32 s45, s45
	s_cbranch_execz .LBB316_286
.LBB316_682:
	v_add_f32_e32 v1, 0x42800000, v4
	s_and_not1_b32 s44, s44, exec_lo
	s_delay_alu instid0(VALU_DEP_1) | instskip(NEXT) | instid1(VALU_DEP_1)
	v_and_b32_e32 v1, 0xff, v1
	v_cmp_ne_u32_e32 vcc_lo, 0, v1
	s_and_b32 s46, vcc_lo, exec_lo
	s_delay_alu instid0(SALU_CYCLE_1)
	s_or_b32 s44, s44, s46
	s_or_b32 exec_lo, exec_lo, s45
	v_mov_b32_e32 v5, 0
	s_and_saveexec_b32 s45, s44
	s_cbranch_execnz .LBB316_287
	s_branch .LBB316_288
.LBB316_683:
	s_mov_b32 s29, -1
	s_mov_b32 s1, 0
.LBB316_684:
                                        ; implicit-def: $vgpr3
.LBB316_685:
	s_and_b32 vcc_lo, exec_lo, s45
	s_cbranch_vccz .LBB316_689
; %bb.686:
	s_cmp_eq_u32 s44, 44
	s_cbranch_scc0 .LBB316_688
; %bb.687:
	s_wait_loadcnt 0x0
	global_load_u8 v3, v[4:5], off
	s_mov_b32 s1, -1
	s_mov_b32 s29, 0
	s_branch .LBB316_689
.LBB316_688:
	s_mov_b32 s29, -1
                                        ; implicit-def: $vgpr3
.LBB316_689:
	s_mov_b32 s45, 0
.LBB316_690:
	s_delay_alu instid0(SALU_CYCLE_1)
	s_and_b32 vcc_lo, exec_lo, s45
	s_cbranch_vccz .LBB316_696
; %bb.691:
	s_cmp_eq_u32 s44, 29
	s_cbranch_scc0 .LBB316_695
; %bb.692:
	global_load_b64 v[6:7], v[4:5], off
	s_mov_b32 s29, exec_lo
	s_wait_loadcnt 0x0
	v_clz_i32_u32_e32 v3, v7
	s_delay_alu instid0(VALU_DEP_1) | instskip(NEXT) | instid1(VALU_DEP_1)
	v_min_u32_e32 v3, 32, v3
	v_lshlrev_b64_e32 v[6:7], v3, v[6:7]
	v_sub_nc_u32_e32 v3, 32, v3
	s_delay_alu instid0(VALU_DEP_2) | instskip(NEXT) | instid1(VALU_DEP_1)
	v_min_u32_e32 v6, 1, v6
	v_or_b32_e32 v6, v7, v6
	s_delay_alu instid0(VALU_DEP_1) | instskip(NEXT) | instid1(VALU_DEP_1)
	v_cvt_f32_u32_e32 v6, v6
	v_ldexp_f32 v7, v6, v3
	s_delay_alu instid0(VALU_DEP_1) | instskip(SKIP_1) | instid1(VALU_DEP_1)
	v_dual_mov_b32 v3, 0xff :: v_dual_lshrrev_b32 v6, 23, v7
	s_wait_xcnt 0x0
	v_cmpx_ne_u32_e32 0xff, v6
; %bb.693:
	v_and_b32_e32 v3, 0x400000, v7
	v_and_or_b32 v7, 0x3fffff, v7, v6
	s_delay_alu instid0(VALU_DEP_2) | instskip(NEXT) | instid1(VALU_DEP_2)
	v_cmp_ne_u32_e32 vcc_lo, 0, v3
	v_cmp_ne_u32_e64 s1, 0, v7
	s_and_b32 s1, vcc_lo, s1
	s_delay_alu instid0(SALU_CYCLE_1) | instskip(NEXT) | instid1(VALU_DEP_1)
	v_cndmask_b32_e64 v3, 0, 1, s1
	v_add_nc_u32_e32 v3, v6, v3
; %bb.694:
	s_or_b32 exec_lo, exec_lo, s29
	s_mov_b32 s1, -1
	s_mov_b32 s29, 0
	s_branch .LBB316_696
.LBB316_695:
	s_mov_b32 s29, -1
                                        ; implicit-def: $vgpr3
.LBB316_696:
	s_mov_b32 s45, 0
.LBB316_697:
	s_delay_alu instid0(SALU_CYCLE_1)
	s_and_b32 vcc_lo, exec_lo, s45
	s_cbranch_vccz .LBB316_723
; %bb.698:
	s_cmp_lt_i32 s44, 27
	s_cbranch_scc1 .LBB316_703
; %bb.699:
	s_cmp_gt_i32 s44, 27
	s_cbranch_scc0 .LBB316_704
; %bb.700:
	s_wait_loadcnt 0x0
	global_load_b32 v3, v[4:5], off
	s_mov_b32 s45, exec_lo
	s_wait_loadcnt 0x0
	s_wait_xcnt 0x1
	v_cvt_f32_u32_e32 v7, v3
	s_delay_alu instid0(VALU_DEP_1) | instskip(SKIP_1) | instid1(VALU_DEP_1)
	v_dual_mov_b32 v3, 0xff :: v_dual_lshrrev_b32 v6, 23, v7
	s_wait_xcnt 0x0
	v_cmpx_ne_u32_e32 0xff, v6
; %bb.701:
	v_and_b32_e32 v3, 0x400000, v7
	v_and_or_b32 v7, 0x3fffff, v7, v6
	s_delay_alu instid0(VALU_DEP_2) | instskip(NEXT) | instid1(VALU_DEP_2)
	v_cmp_ne_u32_e32 vcc_lo, 0, v3
	v_cmp_ne_u32_e64 s1, 0, v7
	s_and_b32 s1, vcc_lo, s1
	s_delay_alu instid0(SALU_CYCLE_1) | instskip(NEXT) | instid1(VALU_DEP_1)
	v_cndmask_b32_e64 v3, 0, 1, s1
	v_add_nc_u32_e32 v3, v6, v3
; %bb.702:
	s_or_b32 exec_lo, exec_lo, s45
	s_mov_b32 s1, 0
	s_branch .LBB316_705
.LBB316_703:
	s_mov_b32 s1, -1
                                        ; implicit-def: $vgpr3
	s_branch .LBB316_710
.LBB316_704:
	s_mov_b32 s1, -1
                                        ; implicit-def: $vgpr3
.LBB316_705:
	s_delay_alu instid0(SALU_CYCLE_1)
	s_and_not1_b32 vcc_lo, exec_lo, s1
	s_cbranch_vccnz .LBB316_709
; %bb.706:
	s_wait_loadcnt 0x0
	global_load_u16 v3, v[4:5], off
	s_mov_b32 s45, exec_lo
	s_wait_loadcnt 0x0
	s_wait_xcnt 0x1
	v_cvt_f32_u32_e32 v7, v3
	s_delay_alu instid0(VALU_DEP_1) | instskip(SKIP_1) | instid1(VALU_DEP_1)
	v_dual_mov_b32 v3, 0xff :: v_dual_lshrrev_b32 v6, 23, v7
	s_wait_xcnt 0x0
	v_cmpx_ne_u32_e32 0xff, v6
; %bb.707:
	v_and_b32_e32 v3, 0x400000, v7
	v_and_or_b32 v7, 0x3fffff, v7, v6
	s_delay_alu instid0(VALU_DEP_2) | instskip(NEXT) | instid1(VALU_DEP_2)
	v_cmp_ne_u32_e32 vcc_lo, 0, v3
	v_cmp_ne_u32_e64 s1, 0, v7
	s_and_b32 s1, vcc_lo, s1
	s_delay_alu instid0(SALU_CYCLE_1) | instskip(NEXT) | instid1(VALU_DEP_1)
	v_cndmask_b32_e64 v3, 0, 1, s1
	v_add_nc_u32_e32 v3, v6, v3
; %bb.708:
	s_or_b32 exec_lo, exec_lo, s45
.LBB316_709:
	s_mov_b32 s1, 0
.LBB316_710:
	s_delay_alu instid0(SALU_CYCLE_1)
	s_and_not1_b32 vcc_lo, exec_lo, s1
	s_cbranch_vccnz .LBB316_722
; %bb.711:
	s_wait_loadcnt 0x0
	global_load_u8 v3, v[4:5], off
	s_mov_b32 s1, 0
	s_mov_b32 s45, exec_lo
	s_wait_loadcnt 0x0
	v_cmpx_lt_i16_e32 0x7f, v3
	s_xor_b32 s45, exec_lo, s45
	s_cbranch_execz .LBB316_715
; %bb.712:
	s_mov_b32 s1, -1
	s_mov_b32 s46, exec_lo
	v_cmpx_eq_u16_e32 0x80, v3
; %bb.713:
	s_xor_b32 s1, exec_lo, -1
; %bb.714:
	s_or_b32 exec_lo, exec_lo, s46
	s_delay_alu instid0(SALU_CYCLE_1)
	s_and_b32 s1, s1, exec_lo
.LBB316_715:
	s_or_saveexec_b32 s45, s45
	v_mov_b32_e32 v6, 0x7f800001
	v_and_b32_e32 v7, 0xffff, v3
	s_xor_b32 exec_lo, exec_lo, s45
; %bb.716:
	v_cmp_ne_u16_e32 vcc_lo, 0, v3
	s_delay_alu instid0(VALU_DEP_2) | instskip(SKIP_2) | instid1(SALU_CYCLE_1)
	v_mov_b32_e32 v6, v7
	s_and_not1_b32 s1, s1, exec_lo
	s_and_b32 s46, vcc_lo, exec_lo
	s_or_b32 s1, s1, s46
; %bb.717:
	s_or_b32 exec_lo, exec_lo, s45
	s_and_saveexec_b32 s45, s1
	s_cbranch_execz .LBB316_719
; %bb.718:
	v_and_b32_e32 v3, 7, v7
	s_delay_alu instid0(VALU_DEP_1) | instskip(NEXT) | instid1(VALU_DEP_1)
	v_clz_i32_u32_e32 v6, v3
	v_min_u32_e32 v6, 32, v6
	s_delay_alu instid0(VALU_DEP_1) | instskip(NEXT) | instid1(VALU_DEP_1)
	v_subrev_nc_u32_e32 v8, 28, v6
	v_lshlrev_b32_e32 v8, v8, v7
	v_bfe_u32 v7, v7, 3, 4
	s_delay_alu instid0(VALU_DEP_2) | instskip(NEXT) | instid1(VALU_DEP_2)
	v_dual_sub_nc_u32 v6, 29, v6 :: v_dual_bitop2_b32 v8, 7, v8 bitop3:0x40
	v_cmp_eq_u32_e32 vcc_lo, 0, v7
	s_delay_alu instid0(VALU_DEP_2) | instskip(NEXT) | instid1(VALU_DEP_1)
	v_cndmask_b32_e32 v3, v3, v8, vcc_lo
	v_dual_cndmask_b32 v6, v7, v6 :: v_dual_lshlrev_b32 v3, 20, v3
	s_delay_alu instid0(VALU_DEP_1) | instskip(NEXT) | instid1(VALU_DEP_1)
	v_lshl_or_b32 v3, v6, 23, v3
	v_add_nc_u32_e32 v6, 0x3b800000, v3
.LBB316_719:
	s_or_b32 exec_lo, exec_lo, s45
	s_delay_alu instid0(VALU_DEP_1) | instskip(SKIP_2) | instid1(VALU_DEP_2)
	v_lshrrev_b32_e32 v7, 23, v6
	v_mov_b32_e32 v3, 0xff
	s_mov_b32 s45, exec_lo
	v_cmpx_ne_u32_e32 0xff, v7
; %bb.720:
	v_and_b32_e32 v3, 0x400000, v6
	v_and_or_b32 v6, 0x3fffff, v6, v7
	s_delay_alu instid0(VALU_DEP_2) | instskip(NEXT) | instid1(VALU_DEP_2)
	v_cmp_ne_u32_e32 vcc_lo, 0, v3
	v_cmp_ne_u32_e64 s1, 0, v6
	s_and_b32 s1, vcc_lo, s1
	s_delay_alu instid0(SALU_CYCLE_1) | instskip(NEXT) | instid1(VALU_DEP_1)
	v_cndmask_b32_e64 v3, 0, 1, s1
	v_add_nc_u32_e32 v3, v7, v3
; %bb.721:
	s_or_b32 exec_lo, exec_lo, s45
.LBB316_722:
	s_mov_b32 s1, -1
.LBB316_723:
	s_mov_b32 s45, 0
.LBB316_724:
	s_delay_alu instid0(SALU_CYCLE_1)
	s_and_b32 vcc_lo, exec_lo, s45
	s_cbranch_vccz .LBB316_767
; %bb.725:
	s_cmp_gt_i32 s44, 22
	s_cbranch_scc0 .LBB316_739
; %bb.726:
	s_cmp_lt_i32 s44, 24
	s_cbranch_scc1 .LBB316_740
; %bb.727:
	s_cmp_gt_i32 s44, 24
	s_cbranch_scc0 .LBB316_741
; %bb.728:
	s_wait_loadcnt 0x0
	global_load_u8 v3, v[4:5], off
	s_mov_b32 s1, 0
	s_mov_b32 s45, exec_lo
	s_wait_loadcnt 0x0
	v_cmpx_lt_i16_e32 0x7f, v3
	s_xor_b32 s45, exec_lo, s45
	s_cbranch_execz .LBB316_732
; %bb.729:
	s_mov_b32 s1, -1
	s_mov_b32 s46, exec_lo
	v_cmpx_eq_u16_e32 0x80, v3
; %bb.730:
	s_xor_b32 s1, exec_lo, -1
; %bb.731:
	s_or_b32 exec_lo, exec_lo, s46
	s_delay_alu instid0(SALU_CYCLE_1)
	s_and_b32 s1, s1, exec_lo
.LBB316_732:
	s_or_saveexec_b32 s45, s45
	v_mov_b32_e32 v6, 0x7f800001
	v_and_b32_e32 v7, 0xffff, v3
	s_xor_b32 exec_lo, exec_lo, s45
; %bb.733:
	v_cmp_ne_u16_e32 vcc_lo, 0, v3
	s_delay_alu instid0(VALU_DEP_2) | instskip(SKIP_2) | instid1(SALU_CYCLE_1)
	v_mov_b32_e32 v6, v7
	s_and_not1_b32 s1, s1, exec_lo
	s_and_b32 s46, vcc_lo, exec_lo
	s_or_b32 s1, s1, s46
; %bb.734:
	s_or_b32 exec_lo, exec_lo, s45
	s_and_saveexec_b32 s45, s1
	s_cbranch_execz .LBB316_736
; %bb.735:
	v_and_b32_e32 v3, 3, v7
	s_delay_alu instid0(VALU_DEP_1) | instskip(NEXT) | instid1(VALU_DEP_1)
	v_clz_i32_u32_e32 v6, v3
	v_min_u32_e32 v6, 32, v6
	s_delay_alu instid0(VALU_DEP_1) | instskip(NEXT) | instid1(VALU_DEP_1)
	v_subrev_nc_u32_e32 v8, 29, v6
	v_lshlrev_b32_e32 v8, v8, v7
	v_bfe_u32 v7, v7, 2, 5
	s_delay_alu instid0(VALU_DEP_2) | instskip(NEXT) | instid1(VALU_DEP_2)
	v_dual_sub_nc_u32 v6, 30, v6 :: v_dual_bitop2_b32 v8, 3, v8 bitop3:0x40
	v_cmp_eq_u32_e32 vcc_lo, 0, v7
	s_delay_alu instid0(VALU_DEP_2) | instskip(NEXT) | instid1(VALU_DEP_1)
	v_cndmask_b32_e32 v3, v3, v8, vcc_lo
	v_dual_cndmask_b32 v6, v7, v6 :: v_dual_lshlrev_b32 v3, 21, v3
	s_delay_alu instid0(VALU_DEP_1) | instskip(NEXT) | instid1(VALU_DEP_1)
	v_lshl_or_b32 v3, v6, 23, v3
	v_add_nc_u32_e32 v6, 0x37800000, v3
.LBB316_736:
	s_or_b32 exec_lo, exec_lo, s45
	s_delay_alu instid0(VALU_DEP_1) | instskip(SKIP_2) | instid1(VALU_DEP_2)
	v_lshrrev_b32_e32 v7, 23, v6
	v_mov_b32_e32 v3, 0xff
	s_mov_b32 s45, exec_lo
	v_cmpx_ne_u32_e32 0xff, v7
; %bb.737:
	v_and_b32_e32 v3, 0x400000, v6
	v_and_or_b32 v6, 0x3fffff, v6, v7
	s_delay_alu instid0(VALU_DEP_2) | instskip(NEXT) | instid1(VALU_DEP_2)
	v_cmp_ne_u32_e32 vcc_lo, 0, v3
	v_cmp_ne_u32_e64 s1, 0, v6
	s_and_b32 s1, vcc_lo, s1
	s_delay_alu instid0(SALU_CYCLE_1) | instskip(NEXT) | instid1(VALU_DEP_1)
	v_cndmask_b32_e64 v3, 0, 1, s1
	v_add_nc_u32_e32 v3, v7, v3
; %bb.738:
	s_or_b32 exec_lo, exec_lo, s45
	s_mov_b32 s1, 0
	s_branch .LBB316_742
.LBB316_739:
	s_mov_b32 s45, -1
                                        ; implicit-def: $vgpr3
	s_branch .LBB316_752
.LBB316_740:
	s_mov_b32 s1, -1
                                        ; implicit-def: $vgpr3
	s_branch .LBB316_747
.LBB316_741:
	s_mov_b32 s1, -1
                                        ; implicit-def: $vgpr3
.LBB316_742:
	s_delay_alu instid0(SALU_CYCLE_1)
	s_and_b32 vcc_lo, exec_lo, s1
	s_cbranch_vccz .LBB316_746
; %bb.743:
	s_wait_loadcnt 0x0
	global_load_u8 v3, v[4:5], off
	s_mov_b32 s45, exec_lo
	s_wait_loadcnt 0x0
	v_lshlrev_b32_e32 v3, 24, v3
	s_delay_alu instid0(VALU_DEP_1) | instskip(SKIP_1) | instid1(VALU_DEP_1)
	v_and_b32_e32 v3, 0x7f000000, v3
	s_wait_xcnt 0x1
	v_clz_i32_u32_e32 v6, v3
	v_cmp_ne_u32_e32 vcc_lo, 0, v3
	v_add_nc_u32_e32 v8, 0x1000000, v3
	s_delay_alu instid0(VALU_DEP_3) | instskip(NEXT) | instid1(VALU_DEP_1)
	v_min_u32_e32 v6, 32, v6
	v_sub_nc_u32_e64 v6, v6, 4 clamp
	s_delay_alu instid0(VALU_DEP_1) | instskip(SKIP_1) | instid1(VALU_DEP_2)
	v_dual_lshlrev_b32 v7, v6, v3 :: v_dual_lshlrev_b32 v6, 23, v6
	v_mov_b32_e32 v3, 0xff
	v_lshrrev_b32_e32 v7, 4, v7
	s_delay_alu instid0(VALU_DEP_1) | instskip(NEXT) | instid1(VALU_DEP_1)
	v_dual_sub_nc_u32 v6, v7, v6 :: v_dual_ashrrev_i32 v7, 8, v8
	v_add_nc_u32_e32 v6, 0x3c000000, v6
	s_delay_alu instid0(VALU_DEP_1) | instskip(NEXT) | instid1(VALU_DEP_1)
	v_and_or_b32 v6, 0x7f800000, v7, v6
	v_cndmask_b32_e32 v7, 0, v6, vcc_lo
	s_delay_alu instid0(VALU_DEP_1) | instskip(SKIP_1) | instid1(VALU_DEP_1)
	v_lshrrev_b32_e32 v6, 23, v7
	s_wait_xcnt 0x0
	v_cmpx_ne_u32_e32 0xff, v6
; %bb.744:
	v_and_b32_e32 v3, 0x400000, v7
	v_and_or_b32 v7, 0x3fffff, v7, v6
	s_delay_alu instid0(VALU_DEP_2) | instskip(NEXT) | instid1(VALU_DEP_2)
	v_cmp_ne_u32_e32 vcc_lo, 0, v3
	v_cmp_ne_u32_e64 s1, 0, v7
	s_and_b32 s1, vcc_lo, s1
	s_delay_alu instid0(SALU_CYCLE_1) | instskip(NEXT) | instid1(VALU_DEP_1)
	v_cndmask_b32_e64 v3, 0, 1, s1
	v_add_nc_u32_e32 v3, v6, v3
; %bb.745:
	s_or_b32 exec_lo, exec_lo, s45
.LBB316_746:
	s_mov_b32 s1, 0
.LBB316_747:
	s_delay_alu instid0(SALU_CYCLE_1)
	s_and_not1_b32 vcc_lo, exec_lo, s1
	s_cbranch_vccnz .LBB316_751
; %bb.748:
	s_wait_loadcnt 0x0
	global_load_u8 v3, v[4:5], off
	s_mov_b32 s45, exec_lo
	s_wait_loadcnt 0x0
	s_wait_xcnt 0x1
	v_dual_lshlrev_b32 v6, 25, v3 :: v_dual_lshlrev_b32 v3, 8, v3
	s_delay_alu instid0(VALU_DEP_1) | instskip(NEXT) | instid1(VALU_DEP_2)
	v_cmp_gt_u32_e32 vcc_lo, 0x8000000, v6
	v_and_or_b32 v3, 0x7f00, v3, 0.5
	s_delay_alu instid0(VALU_DEP_1) | instskip(NEXT) | instid1(VALU_DEP_1)
	v_dual_lshrrev_b32 v7, 4, v6 :: v_dual_add_f32 v3, -0.5, v3
	v_or_b32_e32 v7, 0x70000000, v7
	s_delay_alu instid0(VALU_DEP_1) | instskip(NEXT) | instid1(VALU_DEP_1)
	v_mul_f32_e32 v7, 0x7800000, v7
	v_dual_cndmask_b32 v6, v7, v3 :: v_dual_mov_b32 v3, 0xff
	s_delay_alu instid0(VALU_DEP_1) | instskip(SKIP_1) | instid1(VALU_DEP_1)
	v_bfe_u32 v7, v6, 23, 8
	s_wait_xcnt 0x0
	v_cmpx_ne_u32_e32 0xff, v7
	s_cbranch_execz .LBB316_750
; %bb.749:
	v_and_b32_e32 v3, 0x400000, v6
	v_and_or_b32 v7, 0x3fffff, v6, v7
	s_delay_alu instid0(VALU_DEP_2) | instskip(NEXT) | instid1(VALU_DEP_2)
	v_cmp_ne_u32_e32 vcc_lo, 0, v3
	v_cmp_ne_u32_e64 s1, 0, v7
	v_lshrrev_b32_e32 v3, 23, v6
	s_and_b32 s1, vcc_lo, s1
	s_delay_alu instid0(SALU_CYCLE_1) | instskip(NEXT) | instid1(VALU_DEP_1)
	v_cndmask_b32_e64 v6, 0, 1, s1
	v_add_nc_u32_e32 v3, v3, v6
.LBB316_750:
	s_or_b32 exec_lo, exec_lo, s45
.LBB316_751:
	s_mov_b32 s45, 0
	s_mov_b32 s1, -1
.LBB316_752:
	s_and_not1_b32 vcc_lo, exec_lo, s45
	s_cbranch_vccnz .LBB316_767
; %bb.753:
	s_cmp_gt_i32 s44, 14
	s_cbranch_scc0 .LBB316_758
; %bb.754:
	s_cmp_eq_u32 s44, 15
	s_cbranch_scc0 .LBB316_759
; %bb.755:
	global_load_u16 v6, v[4:5], off
	s_wait_loadcnt 0x1
	v_mov_b32_e32 v3, 0xff
	s_mov_b32 s29, exec_lo
	s_wait_loadcnt 0x0
	v_bfe_u32 v7, v6, 7, 8
	s_wait_xcnt 0x0
	s_delay_alu instid0(VALU_DEP_1)
	v_cmpx_ne_u32_e32 0xff, v7
	s_cbranch_execz .LBB316_757
; %bb.756:
	v_dual_lshlrev_b32 v3, 16, v6 :: v_dual_bitop2_b32 v8, 64, v6 bitop3:0x40
	s_delay_alu instid0(VALU_DEP_1) | instskip(NEXT) | instid1(VALU_DEP_2)
	v_and_or_b32 v3, 0x3f0000, v3, v7
	v_cmp_ne_u32_e32 vcc_lo, 0, v8
	s_delay_alu instid0(VALU_DEP_2) | instskip(SKIP_2) | instid1(SALU_CYCLE_1)
	v_cmp_ne_u32_e64 s1, 0, v3
	v_lshrrev_b32_e32 v3, 7, v6
	s_and_b32 s1, vcc_lo, s1
	v_cndmask_b32_e64 v6, 0, 1, s1
	s_delay_alu instid0(VALU_DEP_1)
	v_add_nc_u32_e32 v3, v3, v6
.LBB316_757:
	s_or_b32 exec_lo, exec_lo, s29
	s_mov_b32 s1, -1
	s_mov_b32 s29, 0
	s_branch .LBB316_760
.LBB316_758:
	s_mov_b32 s45, -1
                                        ; implicit-def: $vgpr3
	s_branch .LBB316_761
.LBB316_759:
	s_mov_b32 s29, -1
                                        ; implicit-def: $vgpr3
.LBB316_760:
	s_mov_b32 s45, 0
.LBB316_761:
	s_delay_alu instid0(SALU_CYCLE_1)
	s_and_b32 vcc_lo, exec_lo, s45
	s_cbranch_vccz .LBB316_767
; %bb.762:
	s_cmp_eq_u32 s44, 11
	s_cbranch_scc0 .LBB316_766
; %bb.763:
	s_wait_loadcnt 0x0
	global_load_u8 v3, v[4:5], off
	s_mov_b32 s29, 0
	s_mov_b32 s44, exec_lo
	s_wait_loadcnt 0x0
	v_cmp_ne_u16_e32 vcc_lo, 0, v3
	v_mov_b32_e32 v3, 0xff
	s_wait_xcnt 0x1
	v_cndmask_b32_e64 v7, 0, 1.0, vcc_lo
	s_delay_alu instid0(VALU_DEP_1) | instskip(SKIP_1) | instid1(VALU_DEP_1)
	v_lshrrev_b32_e32 v6, 23, v7
	s_wait_xcnt 0x0
	v_cmpx_ne_u32_e32 0xff, v6
; %bb.764:
	v_and_b32_e32 v3, 0x400000, v7
	v_and_or_b32 v7, 0x3fffff, v7, v6
	s_delay_alu instid0(VALU_DEP_2) | instskip(NEXT) | instid1(VALU_DEP_2)
	v_cmp_ne_u32_e32 vcc_lo, 0, v3
	v_cmp_ne_u32_e64 s1, 0, v7
	s_and_b32 s1, vcc_lo, s1
	s_delay_alu instid0(SALU_CYCLE_1) | instskip(NEXT) | instid1(VALU_DEP_1)
	v_cndmask_b32_e64 v3, 0, 1, s1
	v_add_nc_u32_e32 v3, v6, v3
; %bb.765:
	s_or_b32 exec_lo, exec_lo, s44
	s_mov_b32 s1, -1
	s_branch .LBB316_767
.LBB316_766:
	s_mov_b32 s29, -1
                                        ; implicit-def: $vgpr3
.LBB316_767:
	s_mov_b32 s44, 0
.LBB316_768:
	s_delay_alu instid0(SALU_CYCLE_1)
	s_and_b32 vcc_lo, exec_lo, s44
	s_cbranch_vccz .LBB316_839
; %bb.769:
	s_and_b32 s2, 0xffff, s2
	s_delay_alu instid0(SALU_CYCLE_1)
	s_cmp_lt_i32 s2, 5
	s_cbranch_scc1 .LBB316_776
; %bb.770:
	s_cmp_lt_i32 s2, 8
	s_cbranch_scc1 .LBB316_777
; %bb.771:
	;; [unrolled: 3-line block ×3, first 2 shown]
	s_cmp_gt_i32 s2, 9
	s_cbranch_scc0 .LBB316_779
; %bb.773:
	global_load_b64 v[6:7], v[4:5], off
	s_wait_loadcnt 0x1
	v_mov_b32_e32 v3, 0xff
	s_mov_b32 s44, exec_lo
	s_wait_loadcnt 0x0
	v_cvt_f32_f64_e32 v6, v[6:7]
	s_delay_alu instid0(VALU_DEP_1) | instskip(SKIP_1) | instid1(VALU_DEP_1)
	v_bfe_u32 v7, v6, 23, 8
	s_wait_xcnt 0x0
	v_cmpx_ne_u32_e32 0xff, v7
	s_cbranch_execz .LBB316_775
; %bb.774:
	v_and_b32_e32 v3, 0x400000, v6
	v_and_or_b32 v7, 0x3fffff, v6, v7
	s_delay_alu instid0(VALU_DEP_2) | instskip(NEXT) | instid1(VALU_DEP_2)
	v_cmp_ne_u32_e32 vcc_lo, 0, v3
	v_cmp_ne_u32_e64 s1, 0, v7
	v_lshrrev_b32_e32 v3, 23, v6
	s_and_b32 s1, vcc_lo, s1
	s_delay_alu instid0(SALU_CYCLE_1) | instskip(NEXT) | instid1(VALU_DEP_1)
	v_cndmask_b32_e64 v6, 0, 1, s1
	v_add_nc_u32_e32 v3, v3, v6
.LBB316_775:
	s_or_b32 exec_lo, exec_lo, s44
	s_mov_b32 s1, 0
	s_branch .LBB316_780
.LBB316_776:
	s_mov_b32 s1, -1
                                        ; implicit-def: $vgpr3
	s_branch .LBB316_808
.LBB316_777:
	s_mov_b32 s1, -1
                                        ; implicit-def: $vgpr3
	s_branch .LBB316_790
.LBB316_778:
	s_mov_b32 s1, -1
                                        ; implicit-def: $vgpr3
	s_branch .LBB316_785
.LBB316_779:
	s_mov_b32 s1, -1
                                        ; implicit-def: $vgpr3
.LBB316_780:
	s_delay_alu instid0(SALU_CYCLE_1)
	s_and_not1_b32 vcc_lo, exec_lo, s1
	s_cbranch_vccnz .LBB316_784
; %bb.781:
	global_load_b32 v6, v[4:5], off
	s_wait_loadcnt 0x1
	v_mov_b32_e32 v3, 0xff
	s_mov_b32 s44, exec_lo
	s_wait_loadcnt 0x0
	v_bfe_u32 v7, v6, 23, 8
	s_wait_xcnt 0x0
	s_delay_alu instid0(VALU_DEP_1)
	v_cmpx_ne_u32_e32 0xff, v7
	s_cbranch_execz .LBB316_783
; %bb.782:
	v_and_b32_e32 v3, 0x400000, v6
	v_and_or_b32 v7, 0x3fffff, v6, v7
	s_delay_alu instid0(VALU_DEP_2) | instskip(NEXT) | instid1(VALU_DEP_2)
	v_cmp_ne_u32_e32 vcc_lo, 0, v3
	v_cmp_ne_u32_e64 s1, 0, v7
	v_lshrrev_b32_e32 v3, 23, v6
	s_and_b32 s1, vcc_lo, s1
	s_delay_alu instid0(SALU_CYCLE_1) | instskip(NEXT) | instid1(VALU_DEP_1)
	v_cndmask_b32_e64 v6, 0, 1, s1
	v_add_nc_u32_e32 v3, v3, v6
.LBB316_783:
	s_or_b32 exec_lo, exec_lo, s44
.LBB316_784:
	s_mov_b32 s1, 0
.LBB316_785:
	s_delay_alu instid0(SALU_CYCLE_1)
	s_and_not1_b32 vcc_lo, exec_lo, s1
	s_cbranch_vccnz .LBB316_789
; %bb.786:
	s_wait_loadcnt 0x0
	global_load_b32 v3, v[4:5], off
	s_mov_b32 s44, exec_lo
	s_wait_loadcnt 0x0
	s_wait_xcnt 0x1
	v_cvt_f32_f16_e32 v6, v3
	v_mov_b32_e32 v3, 0xff
	s_delay_alu instid0(VALU_DEP_2) | instskip(SKIP_1) | instid1(VALU_DEP_1)
	v_bfe_u32 v7, v6, 23, 8
	s_wait_xcnt 0x0
	v_cmpx_ne_u32_e32 0xff, v7
	s_cbranch_execz .LBB316_788
; %bb.787:
	v_and_b32_e32 v3, 0x400000, v6
	v_and_or_b32 v7, 0x3fffff, v6, v7
	s_delay_alu instid0(VALU_DEP_2) | instskip(NEXT) | instid1(VALU_DEP_2)
	v_cmp_ne_u32_e32 vcc_lo, 0, v3
	v_cmp_ne_u32_e64 s1, 0, v7
	v_lshrrev_b32_e32 v3, 23, v6
	s_and_b32 s1, vcc_lo, s1
	s_delay_alu instid0(SALU_CYCLE_1) | instskip(NEXT) | instid1(VALU_DEP_1)
	v_cndmask_b32_e64 v6, 0, 1, s1
	v_add_nc_u32_e32 v3, v3, v6
.LBB316_788:
	s_or_b32 exec_lo, exec_lo, s44
.LBB316_789:
	s_mov_b32 s1, 0
.LBB316_790:
	s_delay_alu instid0(SALU_CYCLE_1)
	s_and_not1_b32 vcc_lo, exec_lo, s1
	s_cbranch_vccnz .LBB316_807
; %bb.791:
	s_cmp_lt_i32 s2, 6
	s_cbranch_scc1 .LBB316_796
; %bb.792:
	s_cmp_gt_i32 s2, 6
	s_cbranch_scc0 .LBB316_797
; %bb.793:
	global_load_b64 v[6:7], v[4:5], off
	s_wait_loadcnt 0x1
	v_mov_b32_e32 v3, 0xff
	s_mov_b32 s44, exec_lo
	s_wait_loadcnt 0x0
	v_cvt_f32_f64_e32 v6, v[6:7]
	s_delay_alu instid0(VALU_DEP_1) | instskip(SKIP_1) | instid1(VALU_DEP_1)
	v_bfe_u32 v7, v6, 23, 8
	s_wait_xcnt 0x0
	v_cmpx_ne_u32_e32 0xff, v7
	s_cbranch_execz .LBB316_795
; %bb.794:
	v_and_b32_e32 v3, 0x400000, v6
	v_and_or_b32 v7, 0x3fffff, v6, v7
	s_delay_alu instid0(VALU_DEP_2) | instskip(NEXT) | instid1(VALU_DEP_2)
	v_cmp_ne_u32_e32 vcc_lo, 0, v3
	v_cmp_ne_u32_e64 s1, 0, v7
	v_lshrrev_b32_e32 v3, 23, v6
	s_and_b32 s1, vcc_lo, s1
	s_delay_alu instid0(SALU_CYCLE_1) | instskip(NEXT) | instid1(VALU_DEP_1)
	v_cndmask_b32_e64 v6, 0, 1, s1
	v_add_nc_u32_e32 v3, v3, v6
.LBB316_795:
	s_or_b32 exec_lo, exec_lo, s44
	s_mov_b32 s1, 0
	s_branch .LBB316_798
.LBB316_796:
	s_mov_b32 s1, -1
                                        ; implicit-def: $vgpr3
	s_branch .LBB316_803
.LBB316_797:
	s_mov_b32 s1, -1
                                        ; implicit-def: $vgpr3
.LBB316_798:
	s_delay_alu instid0(SALU_CYCLE_1)
	s_and_not1_b32 vcc_lo, exec_lo, s1
	s_cbranch_vccnz .LBB316_802
; %bb.799:
	global_load_b32 v6, v[4:5], off
	s_wait_loadcnt 0x1
	v_mov_b32_e32 v3, 0xff
	s_mov_b32 s44, exec_lo
	s_wait_loadcnt 0x0
	v_bfe_u32 v7, v6, 23, 8
	s_wait_xcnt 0x0
	s_delay_alu instid0(VALU_DEP_1)
	v_cmpx_ne_u32_e32 0xff, v7
	s_cbranch_execz .LBB316_801
; %bb.800:
	v_and_b32_e32 v3, 0x400000, v6
	v_and_or_b32 v7, 0x3fffff, v6, v7
	s_delay_alu instid0(VALU_DEP_2) | instskip(NEXT) | instid1(VALU_DEP_2)
	v_cmp_ne_u32_e32 vcc_lo, 0, v3
	v_cmp_ne_u32_e64 s1, 0, v7
	v_lshrrev_b32_e32 v3, 23, v6
	s_and_b32 s1, vcc_lo, s1
	s_delay_alu instid0(SALU_CYCLE_1) | instskip(NEXT) | instid1(VALU_DEP_1)
	v_cndmask_b32_e64 v6, 0, 1, s1
	v_add_nc_u32_e32 v3, v3, v6
.LBB316_801:
	s_or_b32 exec_lo, exec_lo, s44
.LBB316_802:
	s_mov_b32 s1, 0
.LBB316_803:
	s_delay_alu instid0(SALU_CYCLE_1)
	s_and_not1_b32 vcc_lo, exec_lo, s1
	s_cbranch_vccnz .LBB316_807
; %bb.804:
	s_wait_loadcnt 0x0
	global_load_u16 v3, v[4:5], off
	s_mov_b32 s44, exec_lo
	s_wait_loadcnt 0x0
	s_wait_xcnt 0x1
	v_cvt_f32_f16_e32 v6, v3
	v_mov_b32_e32 v3, 0xff
	s_delay_alu instid0(VALU_DEP_2) | instskip(SKIP_1) | instid1(VALU_DEP_1)
	v_bfe_u32 v7, v6, 23, 8
	s_wait_xcnt 0x0
	v_cmpx_ne_u32_e32 0xff, v7
	s_cbranch_execz .LBB316_806
; %bb.805:
	v_and_b32_e32 v3, 0x400000, v6
	v_and_or_b32 v7, 0x3fffff, v6, v7
	s_delay_alu instid0(VALU_DEP_2) | instskip(NEXT) | instid1(VALU_DEP_2)
	v_cmp_ne_u32_e32 vcc_lo, 0, v3
	v_cmp_ne_u32_e64 s1, 0, v7
	v_lshrrev_b32_e32 v3, 23, v6
	s_and_b32 s1, vcc_lo, s1
	s_delay_alu instid0(SALU_CYCLE_1) | instskip(NEXT) | instid1(VALU_DEP_1)
	v_cndmask_b32_e64 v6, 0, 1, s1
	v_add_nc_u32_e32 v3, v3, v6
.LBB316_806:
	s_or_b32 exec_lo, exec_lo, s44
.LBB316_807:
	s_mov_b32 s1, 0
.LBB316_808:
	s_delay_alu instid0(SALU_CYCLE_1)
	s_and_not1_b32 vcc_lo, exec_lo, s1
	s_cbranch_vccnz .LBB316_838
; %bb.809:
	s_cmp_lt_i32 s2, 2
	s_cbranch_scc1 .LBB316_815
; %bb.810:
	s_cmp_lt_i32 s2, 3
	s_cbranch_scc1 .LBB316_816
; %bb.811:
	s_cmp_gt_i32 s2, 3
	s_cbranch_scc0 .LBB316_817
; %bb.812:
	global_load_b64 v[6:7], v[4:5], off
	s_mov_b32 s44, exec_lo
	s_wait_loadcnt 0x0
	v_xor_b32_e32 v3, v6, v7
	v_cls_i32_e32 v8, v7
	s_delay_alu instid0(VALU_DEP_2) | instskip(NEXT) | instid1(VALU_DEP_1)
	v_ashrrev_i32_e32 v3, 31, v3
	v_add_nc_u32_e32 v3, 32, v3
	s_delay_alu instid0(VALU_DEP_1) | instskip(NEXT) | instid1(VALU_DEP_1)
	v_add_min_u32_e64 v3, v8, -1, v3
	v_lshlrev_b64_e32 v[6:7], v3, v[6:7]
	v_sub_nc_u32_e32 v3, 32, v3
	s_delay_alu instid0(VALU_DEP_2) | instskip(NEXT) | instid1(VALU_DEP_1)
	v_min_u32_e32 v6, 1, v6
	v_or_b32_e32 v6, v7, v6
	s_delay_alu instid0(VALU_DEP_1) | instskip(NEXT) | instid1(VALU_DEP_1)
	v_cvt_f32_i32_e32 v6, v6
	v_ldexp_f32 v6, v6, v3
	v_mov_b32_e32 v3, 0xff
	s_delay_alu instid0(VALU_DEP_2) | instskip(SKIP_1) | instid1(VALU_DEP_1)
	v_bfe_u32 v7, v6, 23, 8
	s_wait_xcnt 0x0
	v_cmpx_ne_u32_e32 0xff, v7
	s_cbranch_execz .LBB316_814
; %bb.813:
	v_and_b32_e32 v3, 0x400000, v6
	v_and_or_b32 v7, 0x3fffff, v6, v7
	s_delay_alu instid0(VALU_DEP_2) | instskip(NEXT) | instid1(VALU_DEP_2)
	v_cmp_ne_u32_e32 vcc_lo, 0, v3
	v_cmp_ne_u32_e64 s1, 0, v7
	v_lshrrev_b32_e32 v3, 23, v6
	s_and_b32 s1, vcc_lo, s1
	s_delay_alu instid0(SALU_CYCLE_1) | instskip(NEXT) | instid1(VALU_DEP_1)
	v_cndmask_b32_e64 v6, 0, 1, s1
	v_add_nc_u32_e32 v3, v3, v6
.LBB316_814:
	s_or_b32 exec_lo, exec_lo, s44
	s_mov_b32 s1, 0
	s_branch .LBB316_818
.LBB316_815:
	s_mov_b32 s1, -1
                                        ; implicit-def: $vgpr3
	s_branch .LBB316_828
.LBB316_816:
	s_mov_b32 s1, -1
                                        ; implicit-def: $vgpr3
	s_branch .LBB316_823
.LBB316_817:
	s_mov_b32 s1, -1
                                        ; implicit-def: $vgpr3
.LBB316_818:
	s_delay_alu instid0(SALU_CYCLE_1)
	s_and_not1_b32 vcc_lo, exec_lo, s1
	s_cbranch_vccnz .LBB316_822
; %bb.819:
	s_wait_loadcnt 0x0
	global_load_b32 v3, v[4:5], off
	s_mov_b32 s44, exec_lo
	s_wait_loadcnt 0x0
	s_wait_xcnt 0x1
	v_cvt_f32_i32_e32 v6, v3
	v_mov_b32_e32 v3, 0xff
	s_delay_alu instid0(VALU_DEP_2) | instskip(SKIP_1) | instid1(VALU_DEP_1)
	v_bfe_u32 v7, v6, 23, 8
	s_wait_xcnt 0x0
	v_cmpx_ne_u32_e32 0xff, v7
	s_cbranch_execz .LBB316_821
; %bb.820:
	v_and_b32_e32 v3, 0x400000, v6
	v_and_or_b32 v7, 0x3fffff, v6, v7
	s_delay_alu instid0(VALU_DEP_2) | instskip(NEXT) | instid1(VALU_DEP_2)
	v_cmp_ne_u32_e32 vcc_lo, 0, v3
	v_cmp_ne_u32_e64 s1, 0, v7
	v_lshrrev_b32_e32 v3, 23, v6
	s_and_b32 s1, vcc_lo, s1
	s_delay_alu instid0(SALU_CYCLE_1) | instskip(NEXT) | instid1(VALU_DEP_1)
	v_cndmask_b32_e64 v6, 0, 1, s1
	v_add_nc_u32_e32 v3, v3, v6
.LBB316_821:
	s_or_b32 exec_lo, exec_lo, s44
.LBB316_822:
	s_mov_b32 s1, 0
.LBB316_823:
	s_delay_alu instid0(SALU_CYCLE_1)
	s_and_not1_b32 vcc_lo, exec_lo, s1
	s_cbranch_vccnz .LBB316_827
; %bb.824:
	s_wait_loadcnt 0x0
	global_load_i16 v3, v[4:5], off
	s_mov_b32 s44, exec_lo
	s_wait_loadcnt 0x0
	s_wait_xcnt 0x1
	v_cvt_f32_i32_e32 v6, v3
	v_mov_b32_e32 v3, 0xff
	s_delay_alu instid0(VALU_DEP_2) | instskip(SKIP_1) | instid1(VALU_DEP_1)
	v_bfe_u32 v7, v6, 23, 8
	s_wait_xcnt 0x0
	v_cmpx_ne_u32_e32 0xff, v7
	s_cbranch_execz .LBB316_826
; %bb.825:
	v_and_b32_e32 v3, 0x400000, v6
	v_and_or_b32 v7, 0x3fffff, v6, v7
	s_delay_alu instid0(VALU_DEP_2) | instskip(NEXT) | instid1(VALU_DEP_2)
	v_cmp_ne_u32_e32 vcc_lo, 0, v3
	v_cmp_ne_u32_e64 s1, 0, v7
	v_lshrrev_b32_e32 v3, 23, v6
	s_and_b32 s1, vcc_lo, s1
	s_delay_alu instid0(SALU_CYCLE_1) | instskip(NEXT) | instid1(VALU_DEP_1)
	v_cndmask_b32_e64 v6, 0, 1, s1
	v_add_nc_u32_e32 v3, v3, v6
.LBB316_826:
	s_or_b32 exec_lo, exec_lo, s44
.LBB316_827:
	s_mov_b32 s1, 0
.LBB316_828:
	s_delay_alu instid0(SALU_CYCLE_1)
	s_and_not1_b32 vcc_lo, exec_lo, s1
	s_cbranch_vccnz .LBB316_838
; %bb.829:
	s_cmp_gt_i32 s2, 0
	s_cbranch_scc0 .LBB316_833
; %bb.830:
	s_wait_loadcnt 0x0
	global_load_i8 v3, v[4:5], off
	s_mov_b32 s2, exec_lo
	s_wait_loadcnt 0x0
	s_wait_xcnt 0x1
	v_cvt_f32_i32_e32 v6, v3
	v_mov_b32_e32 v3, 0xff
	s_delay_alu instid0(VALU_DEP_2) | instskip(SKIP_1) | instid1(VALU_DEP_1)
	v_bfe_u32 v7, v6, 23, 8
	s_wait_xcnt 0x0
	v_cmpx_ne_u32_e32 0xff, v7
	s_cbranch_execz .LBB316_832
; %bb.831:
	v_and_b32_e32 v3, 0x400000, v6
	v_and_or_b32 v7, 0x3fffff, v6, v7
	s_delay_alu instid0(VALU_DEP_2) | instskip(NEXT) | instid1(VALU_DEP_2)
	v_cmp_ne_u32_e32 vcc_lo, 0, v3
	v_cmp_ne_u32_e64 s1, 0, v7
	v_lshrrev_b32_e32 v3, 23, v6
	s_and_b32 s1, vcc_lo, s1
	s_delay_alu instid0(SALU_CYCLE_1) | instskip(NEXT) | instid1(VALU_DEP_1)
	v_cndmask_b32_e64 v6, 0, 1, s1
	v_add_nc_u32_e32 v3, v3, v6
.LBB316_832:
	s_or_b32 exec_lo, exec_lo, s2
	s_mov_b32 s1, 0
	s_branch .LBB316_834
.LBB316_833:
	s_mov_b32 s1, -1
                                        ; implicit-def: $vgpr3
.LBB316_834:
	s_delay_alu instid0(SALU_CYCLE_1)
	s_and_not1_b32 vcc_lo, exec_lo, s1
	s_cbranch_vccnz .LBB316_838
; %bb.835:
	s_wait_loadcnt 0x0
	global_load_u8 v3, v[4:5], off
	s_mov_b32 s2, exec_lo
	s_wait_loadcnt 0x0
	v_cvt_f32_ubyte0_e32 v5, v3
	s_delay_alu instid0(VALU_DEP_1) | instskip(NEXT) | instid1(VALU_DEP_1)
	v_dual_mov_b32 v3, 0xff :: v_dual_lshrrev_b32 v4, 23, v5
	v_cmpx_ne_u32_e32 0xff, v4
; %bb.836:
	v_and_b32_e32 v3, 0x400000, v5
	v_and_or_b32 v5, 0x3fffff, v5, v4
	s_delay_alu instid0(VALU_DEP_2) | instskip(NEXT) | instid1(VALU_DEP_2)
	v_cmp_ne_u32_e32 vcc_lo, 0, v3
	v_cmp_ne_u32_e64 s1, 0, v5
	s_and_b32 s1, vcc_lo, s1
	s_delay_alu instid0(SALU_CYCLE_1) | instskip(NEXT) | instid1(VALU_DEP_1)
	v_cndmask_b32_e64 v3, 0, 1, s1
	v_add_nc_u32_e32 v3, v4, v3
; %bb.837:
	s_or_b32 exec_lo, exec_lo, s2
.LBB316_838:
	s_mov_b32 s1, -1
.LBB316_839:
	s_delay_alu instid0(SALU_CYCLE_1)
	s_and_not1_b32 vcc_lo, exec_lo, s1
	s_cbranch_vccnz .LBB316_847
; %bb.840:
	s_wait_loadcnt 0x0
	v_and_b32_e32 v1, 0xff, v1
	v_and_b32_e32 v3, 0xff, v3
	s_and_b32 s44, s11, 0xff
	s_mov_b32 s46, 0
	s_mov_b32 s45, -1
	s_wait_xcnt 0x0
	v_dual_lshlrev_b32 v4, 23, v1 :: v_dual_lshlrev_b32 v5, 23, v3
	v_cmp_ne_u16_e32 vcc_lo, 0xff, v1
	s_cmp_lt_i32 s44, 11
	s_mov_b32 s2, s10
	s_delay_alu instid0(VALU_DEP_2) | instskip(SKIP_3) | instid1(VALU_DEP_4)
	v_cndmask_b32_e32 v4, 0x7f800001, v4, vcc_lo
	v_cmp_ne_u16_e32 vcc_lo, 0xff, v3
	v_cndmask_b32_e32 v5, 0x7f800001, v5, vcc_lo
	v_cmp_ne_u16_e32 vcc_lo, 0, v1
	v_cndmask_b32_e32 v1, 0x400000, v4, vcc_lo
	v_cmp_ne_u16_e32 vcc_lo, 0, v3
	s_delay_alu instid0(VALU_DEP_4) | instskip(NEXT) | instid1(VALU_DEP_1)
	v_cndmask_b32_e32 v3, 0x400000, v5, vcc_lo
	v_cmp_eq_f32_e32 vcc_lo, v1, v3
	v_cndmask_b32_e64 v4, 0, 1, vcc_lo
	v_cmp_neq_f32_e32 vcc_lo, v1, v3
	v_mov_b32_e32 v3, 0
	v_cndmask_b32_e64 v1, 0, 1, vcc_lo
	s_delay_alu instid0(VALU_DEP_2) | instskip(NEXT) | instid1(VALU_DEP_2)
	v_add_nc_u64_e32 v[2:3], s[4:5], v[2:3]
	v_cndmask_b32_e64 v1, v1, v4, s0
	s_delay_alu instid0(VALU_DEP_1) | instskip(NEXT) | instid1(VALU_DEP_1)
	v_and_b32_e32 v1, 1, v1
	v_cmp_eq_u32_e64 s1, 1, v1
	s_cbranch_scc1 .LBB316_848
; %bb.841:
	s_and_b32 s45, 0xffff, s44
	s_delay_alu instid0(SALU_CYCLE_1)
	s_cmp_gt_i32 s45, 25
	s_cbranch_scc0 .LBB316_915
; %bb.842:
	s_cmp_gt_i32 s45, 28
	s_cbranch_scc0 .LBB316_917
; %bb.843:
	;; [unrolled: 3-line block ×4, first 2 shown]
	s_mov_b32 s48, 0
	s_mov_b32 s2, -1
	s_cmp_eq_u32 s45, 46
	s_cbranch_scc0 .LBB316_922
; %bb.846:
	v_cndmask_b32_e64 v1, 0, 1.0, s1
	s_mov_b32 s46, -1
	s_mov_b32 s2, 0
	s_delay_alu instid0(VALU_DEP_1) | instskip(NEXT) | instid1(VALU_DEP_1)
	v_bfe_u32 v4, v1, 16, 1
	v_add3_u32 v1, v1, v4, 0x7fff
	s_delay_alu instid0(VALU_DEP_1)
	v_lshrrev_b32_e32 v1, 16, v1
	global_store_b32 v[2:3], v1, off
	s_branch .LBB316_922
.LBB316_847:
	s_mov_b32 s1, 0
	s_mov_b32 s2, s10
	s_branch .LBB316_888
.LBB316_848:
	s_and_b32 vcc_lo, exec_lo, s45
	s_cbranch_vccz .LBB316_991
; %bb.849:
	s_and_b32 s44, 0xffff, s44
	s_mov_b32 s45, -1
	s_cmp_lt_i32 s44, 5
	s_cbranch_scc1 .LBB316_870
; %bb.850:
	s_cmp_lt_i32 s44, 8
	s_cbranch_scc1 .LBB316_860
; %bb.851:
	;; [unrolled: 3-line block ×3, first 2 shown]
	s_cmp_gt_i32 s44, 9
	s_cbranch_scc0 .LBB316_854
; %bb.853:
	s_wait_xcnt 0x0
	v_cndmask_b32_e64 v1, 0, 1, s1
	v_mov_b32_e32 v6, 0
	s_mov_b32 s45, 0
	s_delay_alu instid0(VALU_DEP_2) | instskip(NEXT) | instid1(VALU_DEP_2)
	v_cvt_f64_u32_e32 v[4:5], v1
	v_mov_b32_e32 v7, v6
	global_store_b128 v[2:3], v[4:7], off
.LBB316_854:
	s_and_not1_b32 vcc_lo, exec_lo, s45
	s_cbranch_vccnz .LBB316_856
; %bb.855:
	s_wait_xcnt 0x0
	v_cndmask_b32_e64 v4, 0, 1.0, s1
	v_mov_b32_e32 v5, 0
	global_store_b64 v[2:3], v[4:5], off
.LBB316_856:
	s_mov_b32 s45, 0
.LBB316_857:
	s_delay_alu instid0(SALU_CYCLE_1)
	s_and_not1_b32 vcc_lo, exec_lo, s45
	s_cbranch_vccnz .LBB316_859
; %bb.858:
	s_wait_xcnt 0x0
	v_cndmask_b32_e64 v1, 0, 1.0, s1
	s_delay_alu instid0(VALU_DEP_1) | instskip(NEXT) | instid1(VALU_DEP_1)
	v_cvt_f16_f32_e32 v1, v1
	v_and_b32_e32 v1, 0xffff, v1
	global_store_b32 v[2:3], v1, off
.LBB316_859:
	s_mov_b32 s45, 0
.LBB316_860:
	s_delay_alu instid0(SALU_CYCLE_1)
	s_and_not1_b32 vcc_lo, exec_lo, s45
	s_cbranch_vccnz .LBB316_869
; %bb.861:
	s_cmp_lt_i32 s44, 6
	s_mov_b32 s45, -1
	s_cbranch_scc1 .LBB316_867
; %bb.862:
	s_cmp_gt_i32 s44, 6
	s_cbranch_scc0 .LBB316_864
; %bb.863:
	s_wait_xcnt 0x0
	v_cndmask_b32_e64 v1, 0, 1, s1
	s_mov_b32 s45, 0
	s_delay_alu instid0(VALU_DEP_1)
	v_cvt_f64_u32_e32 v[4:5], v1
	global_store_b64 v[2:3], v[4:5], off
.LBB316_864:
	s_and_not1_b32 vcc_lo, exec_lo, s45
	s_cbranch_vccnz .LBB316_866
; %bb.865:
	s_wait_xcnt 0x0
	v_cndmask_b32_e64 v1, 0, 1.0, s1
	global_store_b32 v[2:3], v1, off
.LBB316_866:
	s_mov_b32 s45, 0
.LBB316_867:
	s_delay_alu instid0(SALU_CYCLE_1)
	s_and_not1_b32 vcc_lo, exec_lo, s45
	s_cbranch_vccnz .LBB316_869
; %bb.868:
	s_wait_xcnt 0x0
	v_cndmask_b32_e64 v1, 0, 1.0, s1
	s_delay_alu instid0(VALU_DEP_1)
	v_cvt_f16_f32_e32 v1, v1
	global_store_b16 v[2:3], v1, off
.LBB316_869:
	s_mov_b32 s45, 0
.LBB316_870:
	s_delay_alu instid0(SALU_CYCLE_1)
	s_and_not1_b32 vcc_lo, exec_lo, s45
	s_cbranch_vccnz .LBB316_886
; %bb.871:
	s_cmp_lt_i32 s44, 2
	s_mov_b32 s45, -1
	s_cbranch_scc1 .LBB316_881
; %bb.872:
	s_cmp_lt_i32 s44, 3
	s_cbranch_scc1 .LBB316_878
; %bb.873:
	s_cmp_gt_i32 s44, 3
	s_cbranch_scc0 .LBB316_875
; %bb.874:
	s_mov_b32 s45, 0
	s_wait_xcnt 0x0
	v_cndmask_b32_e64 v4, 0, 1, s1
	v_mov_b32_e32 v5, s45
	global_store_b64 v[2:3], v[4:5], off
.LBB316_875:
	s_and_not1_b32 vcc_lo, exec_lo, s45
	s_cbranch_vccnz .LBB316_877
; %bb.876:
	s_wait_xcnt 0x0
	v_cndmask_b32_e64 v1, 0, 1, s1
	global_store_b32 v[2:3], v1, off
.LBB316_877:
	s_mov_b32 s45, 0
.LBB316_878:
	s_delay_alu instid0(SALU_CYCLE_1)
	s_and_not1_b32 vcc_lo, exec_lo, s45
	s_cbranch_vccnz .LBB316_880
; %bb.879:
	s_wait_xcnt 0x0
	v_cndmask_b32_e64 v1, 0, 1, s1
	global_store_b16 v[2:3], v1, off
.LBB316_880:
	s_mov_b32 s45, 0
.LBB316_881:
	s_delay_alu instid0(SALU_CYCLE_1)
	s_and_not1_b32 vcc_lo, exec_lo, s45
	s_cbranch_vccnz .LBB316_886
; %bb.882:
	s_wait_xcnt 0x0
	v_cndmask_b32_e64 v1, 0, 1, s1
	s_cmp_gt_i32 s44, 0
	s_mov_b32 s1, -1
	s_cbranch_scc0 .LBB316_884
; %bb.883:
	s_mov_b32 s1, 0
	global_store_b8 v[2:3], v1, off
.LBB316_884:
	s_and_not1_b32 vcc_lo, exec_lo, s1
	s_cbranch_vccnz .LBB316_886
; %bb.885:
	global_store_b8 v[2:3], v1, off
.LBB316_886:
	s_branch .LBB316_992
.LBB316_887:
	s_mov_b32 s1, 0
.LBB316_888:
                                        ; implicit-def: $vgpr0
.LBB316_889:
	s_and_not1_b32 s44, s10, exec_lo
	s_and_b32 s2, s2, exec_lo
	s_and_b32 s29, s29, exec_lo
	s_or_b32 s45, s44, s2
	s_and_not1_b32 s2, s41, exec_lo
	s_and_not1_b32 s44, s42, exec_lo
	s_and_b32 s28, s28, exec_lo
	s_or_b32 s46, s2, s29
	s_or_b32 s44, s44, s28
	s_or_not1_b32 s2, s1, exec_lo
.LBB316_890:
	s_wait_xcnt 0x0
	s_or_b32 exec_lo, exec_lo, s47
	s_mov_b32 s1, 0
	s_mov_b32 s48, 0
	;; [unrolled: 1-line block ×3, first 2 shown]
                                        ; implicit-def: $sgpr28
                                        ; implicit-def: $vgpr6_vgpr7
                                        ; implicit-def: $vgpr4
                                        ; implicit-def: $vgpr2
                                        ; implicit-def: $vgpr3
	s_and_saveexec_b32 s47, s2
	s_cbranch_execz .LBB316_1565
; %bb.891:
	s_mov_b32 s52, -1
	s_mov_b32 s2, s44
	s_mov_b32 s50, s46
	;; [unrolled: 1-line block ×3, first 2 shown]
	s_mov_b32 s48, exec_lo
	v_cmpx_gt_i32_e64 s39, v0
	s_cbranch_execz .LBB316_1376
; %bb.892:
	s_and_not1_b32 vcc_lo, exec_lo, s34
	s_cbranch_vccnz .LBB316_898
; %bb.893:
	s_and_not1_b32 vcc_lo, exec_lo, s40
	s_cbranch_vccnz .LBB316_899
; %bb.894:
	s_wait_loadcnt 0x0
	v_dual_mov_b32 v2, 0 :: v_dual_mov_b32 v1, v0
	v_dual_mov_b32 v6, 0 :: v_dual_mov_b32 v4, 0
	s_add_co_i32 s1, s38, 1
	s_mov_b64 s[28:29], 0xffffffffffffffe8
	s_and_b32 s1, s1, 30
	s_add_nc_u64 s[28:29], s[20:21], s[28:29]
.LBB316_895:                            ; =>This Inner Loop Header: Depth=1
	s_clause 0x1
	s_load_b128 s[52:55], s[28:29], 0x1c
	s_load_b64 s[50:51], s[28:29], 0x2c
	s_add_co_i32 s1, s1, -2
	s_delay_alu instid0(SALU_CYCLE_1) | instskip(SKIP_2) | instid1(VALU_DEP_1)
	s_cmp_eq_u32 s1, 0
	s_wait_kmcnt 0x0
	v_mul_hi_u32 v3, s53, v1
	v_add_nc_u32_e32 v3, v1, v3
	s_delay_alu instid0(VALU_DEP_1) | instskip(NEXT) | instid1(VALU_DEP_1)
	v_lshrrev_b32_e32 v3, s54, v3
	v_mul_hi_u32 v5, s50, v3
	v_mul_lo_u32 v7, v3, s52
	s_clause 0x1
	s_load_b128 s[56:59], s[28:29], 0xdc
	s_load_b64 s[52:53], s[28:29], 0xec
	s_wait_xcnt 0x0
	s_add_nc_u64 s[28:29], s[28:29], 24
	s_delay_alu instid0(VALU_DEP_1) | instskip(NEXT) | instid1(VALU_DEP_1)
	v_dual_add_nc_u32 v5, v3, v5 :: v_dual_sub_nc_u32 v7, v1, v7
	v_lshrrev_b32_e32 v1, s51, v5
	s_wait_kmcnt 0x0
	s_delay_alu instid0(VALU_DEP_2) | instskip(NEXT) | instid1(VALU_DEP_2)
	v_mad_u32 v2, v7, s56, v2
	v_mul_lo_u32 v5, v1, s55
	v_mad_u32 v4, v7, s58, v4
	v_mad_u32 v6, v7, s57, v6
	s_delay_alu instid0(VALU_DEP_3) | instskip(NEXT) | instid1(VALU_DEP_1)
	v_sub_nc_u32_e32 v3, v3, v5
	v_mad_u32 v2, v3, s59, v2
	s_delay_alu instid0(VALU_DEP_4) | instskip(NEXT) | instid1(VALU_DEP_4)
	v_mad_u32 v4, v3, s53, v4
	v_mad_u32 v6, v3, s52, v6
	s_cbranch_scc0 .LBB316_895
; %bb.896:
	s_bitcmp1_b32 s38, 0
	s_cselect_b32 s1, -1, 0
	s_delay_alu instid0(SALU_CYCLE_1)
	s_and_b32 vcc_lo, exec_lo, s1
	s_cbranch_vccnz .LBB316_900
; %bb.897:
	s_clause 0x1
	s_load_b96 s[52:54], s[28:29], 0x1c
	s_load_b96 s[56:58], s[28:29], 0xdc
	s_wait_kmcnt 0x0
	v_mul_hi_u32 v3, s53, v1
	s_delay_alu instid0(VALU_DEP_1) | instskip(NEXT) | instid1(VALU_DEP_1)
	v_add_nc_u32_e32 v3, v1, v3
	v_lshrrev_b32_e32 v3, s54, v3
	s_delay_alu instid0(VALU_DEP_1) | instskip(NEXT) | instid1(VALU_DEP_1)
	v_mul_lo_u32 v3, v3, s52
	v_sub_nc_u32_e32 v1, v1, v3
	s_delay_alu instid0(VALU_DEP_1)
	v_mad_u32 v2, v1, s56, v2
	v_mad_u32 v6, v1, s57, v6
	;; [unrolled: 1-line block ×3, first 2 shown]
	s_branch .LBB316_900
.LBB316_898:
	s_mov_b32 s1, -1
                                        ; implicit-def: $vgpr4
                                        ; implicit-def: $vgpr6
                                        ; implicit-def: $vgpr2
	s_branch .LBB316_901
.LBB316_899:
	v_dual_mov_b32 v4, 0 :: v_dual_mov_b32 v6, 0
	v_mov_b32_e32 v2, 0
.LBB316_900:
	s_mov_b32 s1, 0
.LBB316_901:
	s_delay_alu instid0(SALU_CYCLE_1)
	s_and_not1_b32 vcc_lo, exec_lo, s1
	s_cbranch_vccnz .LBB316_904
; %bb.902:
	s_wait_loadcnt 0x0
	v_mov_b32_e32 v1, 0
	s_and_not1_b32 vcc_lo, exec_lo, s37
	s_delay_alu instid0(VALU_DEP_1) | instskip(NEXT) | instid1(VALU_DEP_1)
	v_mul_u64_e32 v[2:3], s[22:23], v[0:1]
	v_add_nc_u32_e32 v2, v0, v3
	s_delay_alu instid0(VALU_DEP_1) | instskip(NEXT) | instid1(VALU_DEP_1)
	v_lshrrev_b32_e32 v8, s14, v2
	v_mul_lo_u32 v2, v8, s12
	s_delay_alu instid0(VALU_DEP_1) | instskip(NEXT) | instid1(VALU_DEP_1)
	v_sub_nc_u32_e32 v3, v0, v2
	v_mul_lo_u32 v2, v3, s16
	v_mul_lo_u32 v4, v3, s18
	;; [unrolled: 1-line block ×3, first 2 shown]
	s_cbranch_vccnz .LBB316_904
; %bb.903:
	v_mov_b32_e32 v9, v1
	s_delay_alu instid0(VALU_DEP_1) | instskip(NEXT) | instid1(VALU_DEP_1)
	v_mul_u64_e32 v[10:11], s[26:27], v[8:9]
	v_add_nc_u32_e32 v1, v8, v11
	s_delay_alu instid0(VALU_DEP_1) | instskip(NEXT) | instid1(VALU_DEP_1)
	v_lshrrev_b32_e32 v1, s3, v1
	v_mul_lo_u32 v1, v1, s15
	s_delay_alu instid0(VALU_DEP_1) | instskip(NEXT) | instid1(VALU_DEP_1)
	v_sub_nc_u32_e32 v1, v8, v1
	v_mad_u32 v2, v1, s19, v2
	v_mad_u32 v6, v1, s24, v6
	;; [unrolled: 1-line block ×3, first 2 shown]
.LBB316_904:
	v_mov_b32_e32 v7, 0
	s_and_b32 s2, s36, 0xff
	s_delay_alu instid0(SALU_CYCLE_1) | instskip(NEXT) | instid1(VALU_DEP_1)
	s_cmp_lt_i32 s2, 11
	v_add_nc_u64_e32 v[6:7], s[6:7], v[6:7]
	s_cbranch_scc1 .LBB316_913
; %bb.905:
	s_and_b32 s29, 0xffff, s2
	s_delay_alu instid0(SALU_CYCLE_1)
	s_cmp_gt_i32 s29, 25
	s_cbranch_scc0 .LBB316_914
; %bb.906:
	s_cmp_gt_i32 s29, 28
	s_cbranch_scc0 .LBB316_916
; %bb.907:
	;; [unrolled: 3-line block ×4, first 2 shown]
	s_cmp_eq_u32 s29, 46
	s_mov_b32 s49, 0
	s_cbranch_scc0 .LBB316_993
; %bb.910:
	s_wait_loadcnt 0x0
	global_load_b32 v3, v[6:7], off
	v_mov_b32_e32 v1, 0xff
	s_mov_b32 s28, exec_lo
	s_wait_loadcnt 0x0
	v_lshlrev_b32_e32 v5, 16, v3
	s_delay_alu instid0(VALU_DEP_1) | instskip(SKIP_1) | instid1(VALU_DEP_1)
	v_bfe_u32 v8, v5, 23, 8
	s_wait_xcnt 0x0
	v_cmpx_ne_u32_e32 0xff, v8
	s_cbranch_execz .LBB316_912
; %bb.911:
	v_and_b32_e32 v1, 64, v3
	v_and_or_b32 v5, 0x3f0000, v5, v8
	s_delay_alu instid0(VALU_DEP_2) | instskip(NEXT) | instid1(VALU_DEP_2)
	v_cmp_ne_u32_e32 vcc_lo, 0, v1
	v_cmp_ne_u32_e64 s1, 0, v5
	v_bfe_u32 v1, v3, 7, 9
	s_and_b32 s1, vcc_lo, s1
	s_delay_alu instid0(SALU_CYCLE_1) | instskip(NEXT) | instid1(VALU_DEP_1)
	v_cndmask_b32_e64 v3, 0, 1, s1
	v_add_nc_u32_e32 v1, v1, v3
.LBB316_912:
	s_or_b32 exec_lo, exec_lo, s28
	s_mov_b32 s1, -1
	s_mov_b32 s28, 0
	s_branch .LBB316_995
.LBB316_913:
	s_mov_b32 s29, -1
	s_mov_b32 s1, 0
	s_mov_b32 s28, s44
                                        ; implicit-def: $vgpr1
	s_branch .LBB316_1080
.LBB316_914:
	s_mov_b32 s49, -1
	s_mov_b32 s1, 0
	s_mov_b32 s28, s44
                                        ; implicit-def: $vgpr1
	s_branch .LBB316_1036
.LBB316_915:
	s_mov_b32 s48, -1
	s_mov_b32 s2, s10
	s_branch .LBB316_949
.LBB316_916:
	s_mov_b32 s49, -1
	s_mov_b32 s1, 0
	s_mov_b32 s28, s44
                                        ; implicit-def: $vgpr1
	s_branch .LBB316_1009
.LBB316_917:
	s_mov_b32 s48, -1
	s_mov_b32 s2, s10
	s_branch .LBB316_932
.LBB316_918:
	s_mov_b32 s49, -1
	s_mov_b32 s1, 0
	s_mov_b32 s28, s44
                                        ; implicit-def: $vgpr1
	s_branch .LBB316_1002
.LBB316_919:
	s_mov_b32 s48, -1
	s_mov_b32 s2, s10
	s_branch .LBB316_928
.LBB316_920:
	s_mov_b32 s49, -1
	s_mov_b32 s1, 0
	s_mov_b32 s28, s44
	s_branch .LBB316_994
.LBB316_921:
	s_mov_b32 s48, -1
	s_mov_b32 s2, s10
.LBB316_922:
	s_and_b32 vcc_lo, exec_lo, s48
	s_cbranch_vccz .LBB316_927
; %bb.923:
	s_cmp_eq_u32 s45, 44
	s_mov_b32 s2, -1
	s_cbranch_scc0 .LBB316_927
; %bb.924:
	v_cndmask_b32_e64 v5, 0, 1.0, s1
	s_mov_b32 s46, exec_lo
	s_wait_xcnt 0x0
	s_delay_alu instid0(VALU_DEP_1) | instskip(NEXT) | instid1(VALU_DEP_1)
	v_dual_mov_b32 v4, 0xff :: v_dual_lshrrev_b32 v1, 23, v5
	v_cmpx_ne_u32_e32 0xff, v1
; %bb.925:
	v_and_b32_e32 v4, 0x400000, v5
	v_and_or_b32 v5, 0x3fffff, v5, v1
	s_delay_alu instid0(VALU_DEP_2) | instskip(NEXT) | instid1(VALU_DEP_2)
	v_cmp_ne_u32_e32 vcc_lo, 0, v4
	v_cmp_ne_u32_e64 s2, 0, v5
	s_and_b32 s2, vcc_lo, s2
	s_delay_alu instid0(SALU_CYCLE_1) | instskip(NEXT) | instid1(VALU_DEP_1)
	v_cndmask_b32_e64 v4, 0, 1, s2
	v_add_nc_u32_e32 v4, v1, v4
; %bb.926:
	s_or_b32 exec_lo, exec_lo, s46
	s_mov_b32 s46, -1
	s_mov_b32 s2, 0
	global_store_b8 v[2:3], v4, off
.LBB316_927:
	s_mov_b32 s48, 0
.LBB316_928:
	s_delay_alu instid0(SALU_CYCLE_1)
	s_and_b32 vcc_lo, exec_lo, s48
	s_cbranch_vccz .LBB316_931
; %bb.929:
	s_cmp_eq_u32 s45, 29
	s_mov_b32 s2, -1
	s_cbranch_scc0 .LBB316_931
; %bb.930:
	s_mov_b32 s2, 0
	s_wait_xcnt 0x0
	v_cndmask_b32_e64 v4, 0, 1, s1
	v_mov_b32_e32 v5, s2
	s_mov_b32 s46, -1
	s_mov_b32 s48, 0
	global_store_b64 v[2:3], v[4:5], off
	s_branch .LBB316_932
.LBB316_931:
	s_mov_b32 s48, 0
.LBB316_932:
	s_delay_alu instid0(SALU_CYCLE_1)
	s_and_b32 vcc_lo, exec_lo, s48
	s_cbranch_vccz .LBB316_948
; %bb.933:
	s_cmp_lt_i32 s45, 27
	s_mov_b32 s46, -1
	s_cbranch_scc1 .LBB316_939
; %bb.934:
	s_cmp_gt_i32 s45, 27
	s_cbranch_scc0 .LBB316_936
; %bb.935:
	s_wait_xcnt 0x0
	v_cndmask_b32_e64 v1, 0, 1, s1
	s_mov_b32 s46, 0
	global_store_b32 v[2:3], v1, off
.LBB316_936:
	s_and_not1_b32 vcc_lo, exec_lo, s46
	s_cbranch_vccnz .LBB316_938
; %bb.937:
	s_wait_xcnt 0x0
	v_cndmask_b32_e64 v1, 0, 1, s1
	global_store_b16 v[2:3], v1, off
.LBB316_938:
	s_mov_b32 s46, 0
.LBB316_939:
	s_delay_alu instid0(SALU_CYCLE_1)
	s_and_not1_b32 vcc_lo, exec_lo, s46
	s_cbranch_vccnz .LBB316_947
; %bb.940:
	s_wait_xcnt 0x0
	v_cndmask_b32_e64 v4, 0, 1.0, s1
	v_mov_b32_e32 v5, 0x80
	s_mov_b32 s46, exec_lo
	s_delay_alu instid0(VALU_DEP_2)
	v_cmpx_gt_u32_e32 0x43800000, v4
	s_cbranch_execz .LBB316_946
; %bb.941:
	s_mov_b32 s48, 0
	s_mov_b32 s49, exec_lo
                                        ; implicit-def: $vgpr1
	v_cmpx_lt_u32_e32 0x3bffffff, v4
	s_xor_b32 s49, exec_lo, s49
	s_cbranch_execz .LBB316_998
; %bb.942:
	v_bfe_u32 v1, v4, 20, 1
	s_mov_b32 s48, exec_lo
	s_delay_alu instid0(VALU_DEP_1) | instskip(NEXT) | instid1(VALU_DEP_1)
	v_add3_u32 v1, v4, v1, 0x487ffff
                                        ; implicit-def: $vgpr4
	v_lshrrev_b32_e32 v1, 20, v1
	s_and_not1_saveexec_b32 s49, s49
	s_cbranch_execnz .LBB316_999
.LBB316_943:
	s_or_b32 exec_lo, exec_lo, s49
	v_mov_b32_e32 v5, 0
	s_and_saveexec_b32 s49, s48
.LBB316_944:
	v_mov_b32_e32 v5, v1
.LBB316_945:
	s_or_b32 exec_lo, exec_lo, s49
.LBB316_946:
	s_delay_alu instid0(SALU_CYCLE_1)
	s_or_b32 exec_lo, exec_lo, s46
	global_store_b8 v[2:3], v5, off
.LBB316_947:
	s_mov_b32 s46, -1
.LBB316_948:
	s_mov_b32 s48, 0
.LBB316_949:
	s_delay_alu instid0(SALU_CYCLE_1)
	s_and_b32 vcc_lo, exec_lo, s48
	s_cbranch_vccz .LBB316_990
; %bb.950:
	s_cmp_gt_i32 s45, 22
	s_mov_b32 s48, -1
	s_cbranch_scc0 .LBB316_982
; %bb.951:
	s_cmp_lt_i32 s45, 24
	s_mov_b32 s46, -1
	s_cbranch_scc1 .LBB316_971
; %bb.952:
	s_cmp_gt_i32 s45, 24
	s_cbranch_scc0 .LBB316_960
; %bb.953:
	s_wait_xcnt 0x0
	v_cndmask_b32_e64 v4, 0, 1.0, s1
	v_mov_b32_e32 v5, 0x80
	s_mov_b32 s46, exec_lo
	s_delay_alu instid0(VALU_DEP_2)
	v_cmpx_gt_u32_e32 0x47800000, v4
	s_cbranch_execz .LBB316_959
; %bb.954:
	s_mov_b32 s48, 0
	s_mov_b32 s49, exec_lo
                                        ; implicit-def: $vgpr1
	v_cmpx_lt_u32_e32 0x37ffffff, v4
	s_xor_b32 s49, exec_lo, s49
	s_cbranch_execz .LBB316_1167
; %bb.955:
	v_bfe_u32 v1, v4, 21, 1
	s_mov_b32 s48, exec_lo
	s_delay_alu instid0(VALU_DEP_1) | instskip(NEXT) | instid1(VALU_DEP_1)
	v_add3_u32 v1, v4, v1, 0x88fffff
                                        ; implicit-def: $vgpr4
	v_lshrrev_b32_e32 v1, 21, v1
	s_and_not1_saveexec_b32 s49, s49
	s_cbranch_execnz .LBB316_1168
.LBB316_956:
	s_or_b32 exec_lo, exec_lo, s49
	v_mov_b32_e32 v5, 0
	s_and_saveexec_b32 s49, s48
.LBB316_957:
	v_mov_b32_e32 v5, v1
.LBB316_958:
	s_or_b32 exec_lo, exec_lo, s49
.LBB316_959:
	s_delay_alu instid0(SALU_CYCLE_1)
	s_or_b32 exec_lo, exec_lo, s46
	s_mov_b32 s46, 0
	global_store_b8 v[2:3], v5, off
.LBB316_960:
	s_and_b32 vcc_lo, exec_lo, s46
	s_cbranch_vccz .LBB316_970
; %bb.961:
	s_wait_xcnt 0x0
	v_cndmask_b32_e64 v4, 0, 1.0, s1
	s_mov_b32 s46, exec_lo
                                        ; implicit-def: $vgpr1
	s_delay_alu instid0(VALU_DEP_1)
	v_cmpx_gt_u32_e32 0x43f00000, v4
	s_xor_b32 s46, exec_lo, s46
	s_cbranch_execz .LBB316_967
; %bb.962:
	s_mov_b32 s48, exec_lo
                                        ; implicit-def: $vgpr1
	v_cmpx_lt_u32_e32 0x3c7fffff, v4
	s_xor_b32 s48, exec_lo, s48
; %bb.963:
	v_bfe_u32 v1, v4, 20, 1
	s_delay_alu instid0(VALU_DEP_1) | instskip(NEXT) | instid1(VALU_DEP_1)
	v_add3_u32 v1, v4, v1, 0x407ffff
	v_and_b32_e32 v4, 0xff00000, v1
	v_lshrrev_b32_e32 v1, 20, v1
	s_delay_alu instid0(VALU_DEP_2) | instskip(NEXT) | instid1(VALU_DEP_2)
	v_cmp_ne_u32_e32 vcc_lo, 0x7f00000, v4
                                        ; implicit-def: $vgpr4
	v_cndmask_b32_e32 v1, 0x7e, v1, vcc_lo
; %bb.964:
	s_and_not1_saveexec_b32 s48, s48
; %bb.965:
	v_add_f32_e32 v1, 0x46800000, v4
; %bb.966:
	s_or_b32 exec_lo, exec_lo, s48
                                        ; implicit-def: $vgpr4
.LBB316_967:
	s_and_not1_saveexec_b32 s46, s46
; %bb.968:
	v_mov_b32_e32 v1, 0x7f
	v_cmp_lt_u32_e32 vcc_lo, 0x7f800000, v4
	s_delay_alu instid0(VALU_DEP_2)
	v_cndmask_b32_e32 v1, 0x7e, v1, vcc_lo
; %bb.969:
	s_or_b32 exec_lo, exec_lo, s46
	global_store_b8 v[2:3], v1, off
.LBB316_970:
	s_mov_b32 s46, 0
.LBB316_971:
	s_delay_alu instid0(SALU_CYCLE_1)
	s_and_not1_b32 vcc_lo, exec_lo, s46
	s_cbranch_vccnz .LBB316_981
; %bb.972:
	s_wait_xcnt 0x0
	v_cndmask_b32_e64 v4, 0, 1.0, s1
	s_mov_b32 s46, exec_lo
                                        ; implicit-def: $vgpr1
	s_delay_alu instid0(VALU_DEP_1)
	v_cmpx_gt_u32_e32 0x47800000, v4
	s_xor_b32 s46, exec_lo, s46
	s_cbranch_execz .LBB316_978
; %bb.973:
	s_mov_b32 s48, exec_lo
                                        ; implicit-def: $vgpr1
	v_cmpx_lt_u32_e32 0x387fffff, v4
	s_xor_b32 s48, exec_lo, s48
; %bb.974:
	v_bfe_u32 v1, v4, 21, 1
	s_delay_alu instid0(VALU_DEP_1) | instskip(NEXT) | instid1(VALU_DEP_1)
	v_add3_u32 v1, v4, v1, 0x80fffff
                                        ; implicit-def: $vgpr4
	v_lshrrev_b32_e32 v1, 21, v1
; %bb.975:
	s_and_not1_saveexec_b32 s48, s48
; %bb.976:
	v_add_f32_e32 v1, 0x43000000, v4
; %bb.977:
	s_or_b32 exec_lo, exec_lo, s48
                                        ; implicit-def: $vgpr4
.LBB316_978:
	s_and_not1_saveexec_b32 s46, s46
; %bb.979:
	v_mov_b32_e32 v1, 0x7f
	v_cmp_lt_u32_e32 vcc_lo, 0x7f800000, v4
	s_delay_alu instid0(VALU_DEP_2)
	v_cndmask_b32_e32 v1, 0x7c, v1, vcc_lo
; %bb.980:
	s_or_b32 exec_lo, exec_lo, s46
	global_store_b8 v[2:3], v1, off
.LBB316_981:
	s_mov_b32 s48, 0
	s_mov_b32 s46, -1
.LBB316_982:
	s_and_not1_b32 vcc_lo, exec_lo, s48
	s_cbranch_vccnz .LBB316_990
; %bb.983:
	s_cmp_gt_i32 s45, 14
	s_mov_b32 s48, -1
	s_cbranch_scc0 .LBB316_987
; %bb.984:
	s_cmp_eq_u32 s45, 15
	s_mov_b32 s2, -1
	s_cbranch_scc0 .LBB316_986
; %bb.985:
	s_wait_xcnt 0x0
	v_cndmask_b32_e64 v1, 0, 1.0, s1
	s_mov_b32 s46, -1
	s_mov_b32 s2, 0
	s_delay_alu instid0(VALU_DEP_1) | instskip(NEXT) | instid1(VALU_DEP_1)
	v_bfe_u32 v4, v1, 16, 1
	v_add3_u32 v1, v1, v4, 0x7fff
	global_store_d16_hi_b16 v[2:3], v1, off
.LBB316_986:
	s_mov_b32 s48, 0
.LBB316_987:
	s_delay_alu instid0(SALU_CYCLE_1)
	s_and_b32 vcc_lo, exec_lo, s48
	s_cbranch_vccz .LBB316_990
; %bb.988:
	s_cmp_eq_u32 s45, 11
	s_mov_b32 s2, -1
	s_cbranch_scc0 .LBB316_990
; %bb.989:
	s_wait_xcnt 0x0
	v_cndmask_b32_e64 v1, 0, 1, s1
	s_mov_b32 s46, -1
	s_mov_b32 s2, 0
	global_store_b8 v[2:3], v1, off
.LBB316_990:
.LBB316_991:
	s_and_not1_b32 vcc_lo, exec_lo, s46
	s_cbranch_vccnz .LBB316_887
.LBB316_992:
	v_add_nc_u32_e32 v0, 0x80, v0
	s_mov_b32 s1, -1
	s_branch .LBB316_889
.LBB316_993:
	s_mov_b32 s28, -1
	s_mov_b32 s1, 0
.LBB316_994:
                                        ; implicit-def: $vgpr1
.LBB316_995:
	s_and_b32 vcc_lo, exec_lo, s49
	s_cbranch_vccz .LBB316_1001
; %bb.996:
	s_cmp_eq_u32 s29, 44
	s_cbranch_scc0 .LBB316_1000
; %bb.997:
	s_wait_loadcnt 0x0
	global_load_u8 v1, v[6:7], off
	s_mov_b32 s1, -1
	s_mov_b32 s28, 0
	s_branch .LBB316_1001
.LBB316_998:
	s_and_not1_saveexec_b32 s49, s49
	s_cbranch_execz .LBB316_943
.LBB316_999:
	v_add_f32_e32 v1, 0x46000000, v4
	s_and_not1_b32 s48, s48, exec_lo
	s_delay_alu instid0(VALU_DEP_1) | instskip(NEXT) | instid1(VALU_DEP_1)
	v_and_b32_e32 v1, 0xff, v1
	v_cmp_ne_u32_e32 vcc_lo, 0, v1
	s_and_b32 s50, vcc_lo, exec_lo
	s_delay_alu instid0(SALU_CYCLE_1)
	s_or_b32 s48, s48, s50
	s_or_b32 exec_lo, exec_lo, s49
	v_mov_b32_e32 v5, 0
	s_and_saveexec_b32 s49, s48
	s_cbranch_execnz .LBB316_944
	s_branch .LBB316_945
.LBB316_1000:
	s_mov_b32 s28, -1
                                        ; implicit-def: $vgpr1
.LBB316_1001:
	s_mov_b32 s49, 0
.LBB316_1002:
	s_delay_alu instid0(SALU_CYCLE_1)
	s_and_b32 vcc_lo, exec_lo, s49
	s_cbranch_vccz .LBB316_1008
; %bb.1003:
	s_cmp_eq_u32 s29, 29
	s_cbranch_scc0 .LBB316_1007
; %bb.1004:
	global_load_b64 v[8:9], v[6:7], off
	s_mov_b32 s28, exec_lo
	s_wait_loadcnt 0x0
	v_clz_i32_u32_e32 v1, v9
	s_delay_alu instid0(VALU_DEP_1) | instskip(NEXT) | instid1(VALU_DEP_1)
	v_min_u32_e32 v1, 32, v1
	v_lshlrev_b64_e32 v[8:9], v1, v[8:9]
	v_sub_nc_u32_e32 v1, 32, v1
	s_delay_alu instid0(VALU_DEP_2) | instskip(NEXT) | instid1(VALU_DEP_1)
	v_min_u32_e32 v3, 1, v8
	v_or_b32_e32 v3, v9, v3
	s_delay_alu instid0(VALU_DEP_1) | instskip(NEXT) | instid1(VALU_DEP_1)
	v_cvt_f32_u32_e32 v3, v3
	v_ldexp_f32 v5, v3, v1
	v_mov_b32_e32 v1, 0xff
	s_delay_alu instid0(VALU_DEP_2) | instskip(SKIP_1) | instid1(VALU_DEP_1)
	v_lshrrev_b32_e32 v3, 23, v5
	s_wait_xcnt 0x0
	v_cmpx_ne_u32_e32 0xff, v3
; %bb.1005:
	v_and_b32_e32 v1, 0x400000, v5
	v_and_or_b32 v5, 0x3fffff, v5, v3
	s_delay_alu instid0(VALU_DEP_2) | instskip(NEXT) | instid1(VALU_DEP_2)
	v_cmp_ne_u32_e32 vcc_lo, 0, v1
	v_cmp_ne_u32_e64 s1, 0, v5
	s_and_b32 s1, vcc_lo, s1
	s_delay_alu instid0(SALU_CYCLE_1) | instskip(NEXT) | instid1(VALU_DEP_1)
	v_cndmask_b32_e64 v1, 0, 1, s1
	v_add_nc_u32_e32 v1, v3, v1
; %bb.1006:
	s_or_b32 exec_lo, exec_lo, s28
	s_mov_b32 s1, -1
	s_mov_b32 s28, 0
	s_branch .LBB316_1008
.LBB316_1007:
	s_mov_b32 s28, -1
                                        ; implicit-def: $vgpr1
.LBB316_1008:
	s_mov_b32 s49, 0
.LBB316_1009:
	s_delay_alu instid0(SALU_CYCLE_1)
	s_and_b32 vcc_lo, exec_lo, s49
	s_cbranch_vccz .LBB316_1035
; %bb.1010:
	s_cmp_lt_i32 s29, 27
	s_cbranch_scc1 .LBB316_1015
; %bb.1011:
	s_cmp_gt_i32 s29, 27
	s_cbranch_scc0 .LBB316_1016
; %bb.1012:
	s_wait_loadcnt 0x0
	global_load_b32 v1, v[6:7], off
	s_mov_b32 s49, exec_lo
	s_wait_loadcnt 0x0
	v_cvt_f32_u32_e32 v5, v1
	v_mov_b32_e32 v1, 0xff
	s_delay_alu instid0(VALU_DEP_2) | instskip(SKIP_1) | instid1(VALU_DEP_1)
	v_lshrrev_b32_e32 v3, 23, v5
	s_wait_xcnt 0x0
	v_cmpx_ne_u32_e32 0xff, v3
; %bb.1013:
	v_and_b32_e32 v1, 0x400000, v5
	v_and_or_b32 v5, 0x3fffff, v5, v3
	s_delay_alu instid0(VALU_DEP_2) | instskip(NEXT) | instid1(VALU_DEP_2)
	v_cmp_ne_u32_e32 vcc_lo, 0, v1
	v_cmp_ne_u32_e64 s1, 0, v5
	s_and_b32 s1, vcc_lo, s1
	s_delay_alu instid0(SALU_CYCLE_1) | instskip(NEXT) | instid1(VALU_DEP_1)
	v_cndmask_b32_e64 v1, 0, 1, s1
	v_add_nc_u32_e32 v1, v3, v1
; %bb.1014:
	s_or_b32 exec_lo, exec_lo, s49
	s_mov_b32 s1, 0
	s_branch .LBB316_1017
.LBB316_1015:
	s_mov_b32 s1, -1
                                        ; implicit-def: $vgpr1
	s_branch .LBB316_1022
.LBB316_1016:
	s_mov_b32 s1, -1
                                        ; implicit-def: $vgpr1
.LBB316_1017:
	s_delay_alu instid0(SALU_CYCLE_1)
	s_and_not1_b32 vcc_lo, exec_lo, s1
	s_cbranch_vccnz .LBB316_1021
; %bb.1018:
	s_wait_loadcnt 0x0
	global_load_u16 v1, v[6:7], off
	s_mov_b32 s49, exec_lo
	s_wait_loadcnt 0x0
	v_cvt_f32_u32_e32 v5, v1
	v_mov_b32_e32 v1, 0xff
	s_delay_alu instid0(VALU_DEP_2) | instskip(SKIP_1) | instid1(VALU_DEP_1)
	v_lshrrev_b32_e32 v3, 23, v5
	s_wait_xcnt 0x0
	v_cmpx_ne_u32_e32 0xff, v3
; %bb.1019:
	v_and_b32_e32 v1, 0x400000, v5
	v_and_or_b32 v5, 0x3fffff, v5, v3
	s_delay_alu instid0(VALU_DEP_2) | instskip(NEXT) | instid1(VALU_DEP_2)
	v_cmp_ne_u32_e32 vcc_lo, 0, v1
	v_cmp_ne_u32_e64 s1, 0, v5
	s_and_b32 s1, vcc_lo, s1
	s_delay_alu instid0(SALU_CYCLE_1) | instskip(NEXT) | instid1(VALU_DEP_1)
	v_cndmask_b32_e64 v1, 0, 1, s1
	v_add_nc_u32_e32 v1, v3, v1
; %bb.1020:
	s_or_b32 exec_lo, exec_lo, s49
.LBB316_1021:
	s_mov_b32 s1, 0
.LBB316_1022:
	s_delay_alu instid0(SALU_CYCLE_1)
	s_and_not1_b32 vcc_lo, exec_lo, s1
	s_cbranch_vccnz .LBB316_1034
; %bb.1023:
	s_wait_loadcnt 0x0
	global_load_u8 v1, v[6:7], off
	s_mov_b32 s1, 0
	s_mov_b32 s49, exec_lo
	s_wait_loadcnt 0x0
	v_cmpx_lt_i16_e32 0x7f, v1
	s_xor_b32 s49, exec_lo, s49
	s_cbranch_execz .LBB316_1027
; %bb.1024:
	s_mov_b32 s1, -1
	s_mov_b32 s50, exec_lo
	v_cmpx_eq_u16_e32 0x80, v1
; %bb.1025:
	s_xor_b32 s1, exec_lo, -1
; %bb.1026:
	s_or_b32 exec_lo, exec_lo, s50
	s_delay_alu instid0(SALU_CYCLE_1)
	s_and_b32 s1, s1, exec_lo
.LBB316_1027:
	s_or_saveexec_b32 s49, s49
	v_mov_b32_e32 v3, 0x7f800001
	v_and_b32_e32 v5, 0xffff, v1
	s_xor_b32 exec_lo, exec_lo, s49
; %bb.1028:
	v_cmp_ne_u16_e32 vcc_lo, 0, v1
	s_delay_alu instid0(VALU_DEP_2) | instskip(SKIP_2) | instid1(SALU_CYCLE_1)
	v_mov_b32_e32 v3, v5
	s_and_not1_b32 s1, s1, exec_lo
	s_and_b32 s50, vcc_lo, exec_lo
	s_or_b32 s1, s1, s50
; %bb.1029:
	s_or_b32 exec_lo, exec_lo, s49
	s_and_saveexec_b32 s49, s1
	s_cbranch_execz .LBB316_1031
; %bb.1030:
	v_and_b32_e32 v1, 7, v5
	s_delay_alu instid0(VALU_DEP_1) | instskip(NEXT) | instid1(VALU_DEP_1)
	v_clz_i32_u32_e32 v3, v1
	v_min_u32_e32 v3, 32, v3
	s_delay_alu instid0(VALU_DEP_1) | instskip(NEXT) | instid1(VALU_DEP_1)
	v_subrev_nc_u32_e32 v8, 28, v3
	v_lshlrev_b32_e32 v8, v8, v5
	v_bfe_u32 v5, v5, 3, 4
	s_delay_alu instid0(VALU_DEP_2) | instskip(NEXT) | instid1(VALU_DEP_2)
	v_dual_sub_nc_u32 v3, 29, v3 :: v_dual_bitop2_b32 v8, 7, v8 bitop3:0x40
	v_cmp_eq_u32_e32 vcc_lo, 0, v5
	s_delay_alu instid0(VALU_DEP_2) | instskip(NEXT) | instid1(VALU_DEP_1)
	v_cndmask_b32_e32 v1, v1, v8, vcc_lo
	v_dual_cndmask_b32 v3, v5, v3, vcc_lo :: v_dual_lshlrev_b32 v1, 20, v1
	s_delay_alu instid0(VALU_DEP_1) | instskip(NEXT) | instid1(VALU_DEP_1)
	v_lshl_or_b32 v1, v3, 23, v1
	v_add_nc_u32_e32 v3, 0x3b800000, v1
.LBB316_1031:
	s_or_b32 exec_lo, exec_lo, s49
	s_delay_alu instid0(VALU_DEP_1) | instskip(SKIP_2) | instid1(VALU_DEP_2)
	v_lshrrev_b32_e32 v5, 23, v3
	v_mov_b32_e32 v1, 0xff
	s_mov_b32 s49, exec_lo
	v_cmpx_ne_u32_e32 0xff, v5
; %bb.1032:
	v_and_b32_e32 v1, 0x400000, v3
	v_and_or_b32 v3, 0x3fffff, v3, v5
	s_delay_alu instid0(VALU_DEP_2) | instskip(NEXT) | instid1(VALU_DEP_2)
	v_cmp_ne_u32_e32 vcc_lo, 0, v1
	v_cmp_ne_u32_e64 s1, 0, v3
	s_and_b32 s1, vcc_lo, s1
	s_delay_alu instid0(SALU_CYCLE_1) | instskip(NEXT) | instid1(VALU_DEP_1)
	v_cndmask_b32_e64 v1, 0, 1, s1
	v_add_nc_u32_e32 v1, v5, v1
; %bb.1033:
	s_or_b32 exec_lo, exec_lo, s49
.LBB316_1034:
	s_mov_b32 s1, -1
.LBB316_1035:
	s_mov_b32 s49, 0
.LBB316_1036:
	s_delay_alu instid0(SALU_CYCLE_1)
	s_and_b32 vcc_lo, exec_lo, s49
	s_cbranch_vccz .LBB316_1079
; %bb.1037:
	s_cmp_gt_i32 s29, 22
	s_cbranch_scc0 .LBB316_1051
; %bb.1038:
	s_cmp_lt_i32 s29, 24
	s_cbranch_scc1 .LBB316_1052
; %bb.1039:
	s_cmp_gt_i32 s29, 24
	s_cbranch_scc0 .LBB316_1053
; %bb.1040:
	s_wait_loadcnt 0x0
	global_load_u8 v1, v[6:7], off
	s_mov_b32 s1, 0
	s_mov_b32 s49, exec_lo
	s_wait_loadcnt 0x0
	v_cmpx_lt_i16_e32 0x7f, v1
	s_xor_b32 s49, exec_lo, s49
	s_cbranch_execz .LBB316_1044
; %bb.1041:
	s_mov_b32 s1, -1
	s_mov_b32 s50, exec_lo
	v_cmpx_eq_u16_e32 0x80, v1
; %bb.1042:
	s_xor_b32 s1, exec_lo, -1
; %bb.1043:
	s_or_b32 exec_lo, exec_lo, s50
	s_delay_alu instid0(SALU_CYCLE_1)
	s_and_b32 s1, s1, exec_lo
.LBB316_1044:
	s_or_saveexec_b32 s49, s49
	v_mov_b32_e32 v3, 0x7f800001
	v_and_b32_e32 v5, 0xffff, v1
	s_xor_b32 exec_lo, exec_lo, s49
; %bb.1045:
	v_cmp_ne_u16_e32 vcc_lo, 0, v1
	s_delay_alu instid0(VALU_DEP_2) | instskip(SKIP_2) | instid1(SALU_CYCLE_1)
	v_mov_b32_e32 v3, v5
	s_and_not1_b32 s1, s1, exec_lo
	s_and_b32 s50, vcc_lo, exec_lo
	s_or_b32 s1, s1, s50
; %bb.1046:
	s_or_b32 exec_lo, exec_lo, s49
	s_and_saveexec_b32 s49, s1
	s_cbranch_execz .LBB316_1048
; %bb.1047:
	v_and_b32_e32 v1, 3, v5
	s_delay_alu instid0(VALU_DEP_1) | instskip(NEXT) | instid1(VALU_DEP_1)
	v_clz_i32_u32_e32 v3, v1
	v_min_u32_e32 v3, 32, v3
	s_delay_alu instid0(VALU_DEP_1) | instskip(NEXT) | instid1(VALU_DEP_1)
	v_subrev_nc_u32_e32 v8, 29, v3
	v_lshlrev_b32_e32 v8, v8, v5
	v_bfe_u32 v5, v5, 2, 5
	s_delay_alu instid0(VALU_DEP_2) | instskip(NEXT) | instid1(VALU_DEP_2)
	v_dual_sub_nc_u32 v3, 30, v3 :: v_dual_bitop2_b32 v8, 3, v8 bitop3:0x40
	v_cmp_eq_u32_e32 vcc_lo, 0, v5
	s_delay_alu instid0(VALU_DEP_2) | instskip(NEXT) | instid1(VALU_DEP_1)
	v_cndmask_b32_e32 v1, v1, v8, vcc_lo
	v_dual_cndmask_b32 v3, v5, v3, vcc_lo :: v_dual_lshlrev_b32 v1, 21, v1
	s_delay_alu instid0(VALU_DEP_1) | instskip(NEXT) | instid1(VALU_DEP_1)
	v_lshl_or_b32 v1, v3, 23, v1
	v_add_nc_u32_e32 v3, 0x37800000, v1
.LBB316_1048:
	s_or_b32 exec_lo, exec_lo, s49
	s_delay_alu instid0(VALU_DEP_1) | instskip(SKIP_2) | instid1(VALU_DEP_2)
	v_lshrrev_b32_e32 v5, 23, v3
	v_mov_b32_e32 v1, 0xff
	s_mov_b32 s49, exec_lo
	v_cmpx_ne_u32_e32 0xff, v5
; %bb.1049:
	v_and_b32_e32 v1, 0x400000, v3
	v_and_or_b32 v3, 0x3fffff, v3, v5
	s_delay_alu instid0(VALU_DEP_2) | instskip(NEXT) | instid1(VALU_DEP_2)
	v_cmp_ne_u32_e32 vcc_lo, 0, v1
	v_cmp_ne_u32_e64 s1, 0, v3
	s_and_b32 s1, vcc_lo, s1
	s_delay_alu instid0(SALU_CYCLE_1) | instskip(NEXT) | instid1(VALU_DEP_1)
	v_cndmask_b32_e64 v1, 0, 1, s1
	v_add_nc_u32_e32 v1, v5, v1
; %bb.1050:
	s_or_b32 exec_lo, exec_lo, s49
	s_mov_b32 s1, 0
	s_branch .LBB316_1054
.LBB316_1051:
	s_mov_b32 s49, -1
                                        ; implicit-def: $vgpr1
	s_branch .LBB316_1064
.LBB316_1052:
	s_mov_b32 s1, -1
                                        ; implicit-def: $vgpr1
	s_branch .LBB316_1059
.LBB316_1053:
	s_mov_b32 s1, -1
                                        ; implicit-def: $vgpr1
.LBB316_1054:
	s_delay_alu instid0(SALU_CYCLE_1)
	s_and_b32 vcc_lo, exec_lo, s1
	s_cbranch_vccz .LBB316_1058
; %bb.1055:
	s_wait_loadcnt 0x0
	global_load_u8 v1, v[6:7], off
	s_mov_b32 s49, exec_lo
	s_wait_loadcnt 0x0
	v_lshlrev_b32_e32 v1, 24, v1
	s_delay_alu instid0(VALU_DEP_1) | instskip(NEXT) | instid1(VALU_DEP_1)
	v_and_b32_e32 v1, 0x7f000000, v1
	v_clz_i32_u32_e32 v3, v1
	v_cmp_ne_u32_e32 vcc_lo, 0, v1
	v_add_nc_u32_e32 v8, 0x1000000, v1
	s_delay_alu instid0(VALU_DEP_3) | instskip(NEXT) | instid1(VALU_DEP_1)
	v_min_u32_e32 v3, 32, v3
	v_sub_nc_u32_e64 v3, v3, 4 clamp
	s_delay_alu instid0(VALU_DEP_1) | instskip(SKIP_1) | instid1(VALU_DEP_2)
	v_dual_lshlrev_b32 v5, v3, v1 :: v_dual_lshlrev_b32 v3, 23, v3
	v_mov_b32_e32 v1, 0xff
	v_lshrrev_b32_e32 v5, 4, v5
	s_delay_alu instid0(VALU_DEP_1) | instskip(NEXT) | instid1(VALU_DEP_1)
	v_dual_sub_nc_u32 v3, v5, v3 :: v_dual_ashrrev_i32 v5, 8, v8
	v_add_nc_u32_e32 v3, 0x3c000000, v3
	s_delay_alu instid0(VALU_DEP_1) | instskip(NEXT) | instid1(VALU_DEP_1)
	v_and_or_b32 v3, 0x7f800000, v5, v3
	v_cndmask_b32_e32 v5, 0, v3, vcc_lo
	s_delay_alu instid0(VALU_DEP_1) | instskip(SKIP_1) | instid1(VALU_DEP_1)
	v_lshrrev_b32_e32 v3, 23, v5
	s_wait_xcnt 0x0
	v_cmpx_ne_u32_e32 0xff, v3
; %bb.1056:
	v_and_b32_e32 v1, 0x400000, v5
	v_and_or_b32 v5, 0x3fffff, v5, v3
	s_delay_alu instid0(VALU_DEP_2) | instskip(NEXT) | instid1(VALU_DEP_2)
	v_cmp_ne_u32_e32 vcc_lo, 0, v1
	v_cmp_ne_u32_e64 s1, 0, v5
	s_and_b32 s1, vcc_lo, s1
	s_delay_alu instid0(SALU_CYCLE_1) | instskip(NEXT) | instid1(VALU_DEP_1)
	v_cndmask_b32_e64 v1, 0, 1, s1
	v_add_nc_u32_e32 v1, v3, v1
; %bb.1057:
	s_or_b32 exec_lo, exec_lo, s49
.LBB316_1058:
	s_mov_b32 s1, 0
.LBB316_1059:
	s_delay_alu instid0(SALU_CYCLE_1)
	s_and_not1_b32 vcc_lo, exec_lo, s1
	s_cbranch_vccnz .LBB316_1063
; %bb.1060:
	s_wait_loadcnt 0x0
	global_load_u8 v1, v[6:7], off
	s_mov_b32 s49, exec_lo
	s_wait_loadcnt 0x0
	v_dual_lshlrev_b32 v3, 25, v1 :: v_dual_lshlrev_b32 v1, 8, v1
	s_delay_alu instid0(VALU_DEP_1) | instskip(NEXT) | instid1(VALU_DEP_2)
	v_cmp_gt_u32_e32 vcc_lo, 0x8000000, v3
	v_and_or_b32 v1, 0x7f00, v1, 0.5
	s_delay_alu instid0(VALU_DEP_1) | instskip(NEXT) | instid1(VALU_DEP_1)
	v_dual_lshrrev_b32 v5, 4, v3 :: v_dual_add_f32 v1, -0.5, v1
	v_or_b32_e32 v5, 0x70000000, v5
	s_delay_alu instid0(VALU_DEP_1) | instskip(NEXT) | instid1(VALU_DEP_1)
	v_mul_f32_e32 v5, 0x7800000, v5
	v_cndmask_b32_e32 v3, v5, v1, vcc_lo
	v_mov_b32_e32 v1, 0xff
	s_delay_alu instid0(VALU_DEP_2) | instskip(SKIP_1) | instid1(VALU_DEP_1)
	v_bfe_u32 v5, v3, 23, 8
	s_wait_xcnt 0x0
	v_cmpx_ne_u32_e32 0xff, v5
	s_cbranch_execz .LBB316_1062
; %bb.1061:
	v_and_b32_e32 v1, 0x400000, v3
	v_and_or_b32 v5, 0x3fffff, v3, v5
	s_delay_alu instid0(VALU_DEP_2) | instskip(NEXT) | instid1(VALU_DEP_2)
	v_cmp_ne_u32_e32 vcc_lo, 0, v1
	v_cmp_ne_u32_e64 s1, 0, v5
	v_lshrrev_b32_e32 v1, 23, v3
	s_and_b32 s1, vcc_lo, s1
	s_delay_alu instid0(SALU_CYCLE_1) | instskip(NEXT) | instid1(VALU_DEP_1)
	v_cndmask_b32_e64 v3, 0, 1, s1
	v_add_nc_u32_e32 v1, v1, v3
.LBB316_1062:
	s_or_b32 exec_lo, exec_lo, s49
.LBB316_1063:
	s_mov_b32 s49, 0
	s_mov_b32 s1, -1
.LBB316_1064:
	s_and_not1_b32 vcc_lo, exec_lo, s49
	s_cbranch_vccnz .LBB316_1079
; %bb.1065:
	s_cmp_gt_i32 s29, 14
	s_cbranch_scc0 .LBB316_1070
; %bb.1066:
	s_cmp_eq_u32 s29, 15
	s_cbranch_scc0 .LBB316_1071
; %bb.1067:
	s_wait_loadcnt 0x0
	global_load_u16 v3, v[6:7], off
	v_mov_b32_e32 v1, 0xff
	s_mov_b32 s28, exec_lo
	s_wait_loadcnt 0x0
	v_bfe_u32 v5, v3, 7, 8
	s_wait_xcnt 0x0
	s_delay_alu instid0(VALU_DEP_1)
	v_cmpx_ne_u32_e32 0xff, v5
	s_cbranch_execz .LBB316_1069
; %bb.1068:
	v_dual_lshlrev_b32 v1, 16, v3 :: v_dual_bitop2_b32 v8, 64, v3 bitop3:0x40
	s_delay_alu instid0(VALU_DEP_1) | instskip(NEXT) | instid1(VALU_DEP_2)
	v_and_or_b32 v1, 0x3f0000, v1, v5
	v_cmp_ne_u32_e32 vcc_lo, 0, v8
	s_delay_alu instid0(VALU_DEP_2) | instskip(SKIP_2) | instid1(SALU_CYCLE_1)
	v_cmp_ne_u32_e64 s1, 0, v1
	v_lshrrev_b32_e32 v1, 7, v3
	s_and_b32 s1, vcc_lo, s1
	v_cndmask_b32_e64 v3, 0, 1, s1
	s_delay_alu instid0(VALU_DEP_1)
	v_add_nc_u32_e32 v1, v1, v3
.LBB316_1069:
	s_or_b32 exec_lo, exec_lo, s28
	s_mov_b32 s1, -1
	s_mov_b32 s28, 0
	s_branch .LBB316_1072
.LBB316_1070:
	s_mov_b32 s49, -1
                                        ; implicit-def: $vgpr1
	s_branch .LBB316_1073
.LBB316_1071:
	s_mov_b32 s28, -1
                                        ; implicit-def: $vgpr1
.LBB316_1072:
	s_mov_b32 s49, 0
.LBB316_1073:
	s_delay_alu instid0(SALU_CYCLE_1)
	s_and_b32 vcc_lo, exec_lo, s49
	s_cbranch_vccz .LBB316_1079
; %bb.1074:
	s_cmp_eq_u32 s29, 11
	s_cbranch_scc0 .LBB316_1078
; %bb.1075:
	s_wait_loadcnt 0x0
	global_load_u8 v1, v[6:7], off
	s_mov_b32 s28, 0
	s_mov_b32 s29, exec_lo
	s_wait_loadcnt 0x0
	v_cmp_ne_u16_e32 vcc_lo, 0, v1
	v_mov_b32_e32 v1, 0xff
	v_cndmask_b32_e64 v5, 0, 1.0, vcc_lo
	s_delay_alu instid0(VALU_DEP_1) | instskip(SKIP_1) | instid1(VALU_DEP_1)
	v_lshrrev_b32_e32 v3, 23, v5
	s_wait_xcnt 0x0
	v_cmpx_ne_u32_e32 0xff, v3
; %bb.1076:
	v_and_b32_e32 v1, 0x400000, v5
	v_and_or_b32 v5, 0x3fffff, v5, v3
	s_delay_alu instid0(VALU_DEP_2) | instskip(NEXT) | instid1(VALU_DEP_2)
	v_cmp_ne_u32_e32 vcc_lo, 0, v1
	v_cmp_ne_u32_e64 s1, 0, v5
	s_and_b32 s1, vcc_lo, s1
	s_delay_alu instid0(SALU_CYCLE_1) | instskip(NEXT) | instid1(VALU_DEP_1)
	v_cndmask_b32_e64 v1, 0, 1, s1
	v_add_nc_u32_e32 v1, v3, v1
; %bb.1077:
	s_or_b32 exec_lo, exec_lo, s29
	s_mov_b32 s1, -1
	s_branch .LBB316_1079
.LBB316_1078:
	s_mov_b32 s28, -1
                                        ; implicit-def: $vgpr1
.LBB316_1079:
	s_mov_b32 s29, 0
.LBB316_1080:
	s_delay_alu instid0(SALU_CYCLE_1)
	s_and_b32 vcc_lo, exec_lo, s29
	s_cbranch_vccz .LBB316_1151
; %bb.1081:
	s_and_b32 s2, 0xffff, s2
	s_delay_alu instid0(SALU_CYCLE_1)
	s_cmp_lt_i32 s2, 5
	s_cbranch_scc1 .LBB316_1088
; %bb.1082:
	s_cmp_lt_i32 s2, 8
	s_cbranch_scc1 .LBB316_1089
; %bb.1083:
	;; [unrolled: 3-line block ×3, first 2 shown]
	s_cmp_gt_i32 s2, 9
	s_cbranch_scc0 .LBB316_1091
; %bb.1085:
	global_load_b64 v[8:9], v[6:7], off
	s_wait_loadcnt 0x1
	v_mov_b32_e32 v1, 0xff
	s_mov_b32 s29, exec_lo
	s_wait_loadcnt 0x0
	v_cvt_f32_f64_e32 v3, v[8:9]
	s_delay_alu instid0(VALU_DEP_1) | instskip(SKIP_1) | instid1(VALU_DEP_1)
	v_bfe_u32 v5, v3, 23, 8
	s_wait_xcnt 0x0
	v_cmpx_ne_u32_e32 0xff, v5
	s_cbranch_execz .LBB316_1087
; %bb.1086:
	v_and_b32_e32 v1, 0x400000, v3
	v_and_or_b32 v5, 0x3fffff, v3, v5
	s_delay_alu instid0(VALU_DEP_2) | instskip(NEXT) | instid1(VALU_DEP_2)
	v_cmp_ne_u32_e32 vcc_lo, 0, v1
	v_cmp_ne_u32_e64 s1, 0, v5
	v_lshrrev_b32_e32 v1, 23, v3
	s_and_b32 s1, vcc_lo, s1
	s_delay_alu instid0(SALU_CYCLE_1) | instskip(NEXT) | instid1(VALU_DEP_1)
	v_cndmask_b32_e64 v3, 0, 1, s1
	v_add_nc_u32_e32 v1, v1, v3
.LBB316_1087:
	s_or_b32 exec_lo, exec_lo, s29
	s_mov_b32 s1, 0
	s_branch .LBB316_1092
.LBB316_1088:
	s_mov_b32 s1, -1
                                        ; implicit-def: $vgpr1
	s_branch .LBB316_1120
.LBB316_1089:
	s_mov_b32 s1, -1
                                        ; implicit-def: $vgpr1
	s_branch .LBB316_1102
.LBB316_1090:
	s_mov_b32 s1, -1
                                        ; implicit-def: $vgpr1
	s_branch .LBB316_1097
.LBB316_1091:
	s_mov_b32 s1, -1
                                        ; implicit-def: $vgpr1
.LBB316_1092:
	s_delay_alu instid0(SALU_CYCLE_1)
	s_and_not1_b32 vcc_lo, exec_lo, s1
	s_cbranch_vccnz .LBB316_1096
; %bb.1093:
	s_wait_loadcnt 0x0
	global_load_b32 v3, v[6:7], off
	v_mov_b32_e32 v1, 0xff
	s_mov_b32 s29, exec_lo
	s_wait_loadcnt 0x0
	v_bfe_u32 v5, v3, 23, 8
	s_wait_xcnt 0x0
	s_delay_alu instid0(VALU_DEP_1)
	v_cmpx_ne_u32_e32 0xff, v5
	s_cbranch_execz .LBB316_1095
; %bb.1094:
	v_and_b32_e32 v1, 0x400000, v3
	v_and_or_b32 v5, 0x3fffff, v3, v5
	s_delay_alu instid0(VALU_DEP_2) | instskip(NEXT) | instid1(VALU_DEP_2)
	v_cmp_ne_u32_e32 vcc_lo, 0, v1
	v_cmp_ne_u32_e64 s1, 0, v5
	v_lshrrev_b32_e32 v1, 23, v3
	s_and_b32 s1, vcc_lo, s1
	s_delay_alu instid0(SALU_CYCLE_1) | instskip(NEXT) | instid1(VALU_DEP_1)
	v_cndmask_b32_e64 v3, 0, 1, s1
	v_add_nc_u32_e32 v1, v1, v3
.LBB316_1095:
	s_or_b32 exec_lo, exec_lo, s29
.LBB316_1096:
	s_mov_b32 s1, 0
.LBB316_1097:
	s_delay_alu instid0(SALU_CYCLE_1)
	s_and_not1_b32 vcc_lo, exec_lo, s1
	s_cbranch_vccnz .LBB316_1101
; %bb.1098:
	s_wait_loadcnt 0x0
	global_load_b32 v1, v[6:7], off
	s_mov_b32 s29, exec_lo
	s_wait_loadcnt 0x0
	v_cvt_f32_f16_e32 v3, v1
	v_mov_b32_e32 v1, 0xff
	s_delay_alu instid0(VALU_DEP_2) | instskip(SKIP_1) | instid1(VALU_DEP_1)
	v_bfe_u32 v5, v3, 23, 8
	s_wait_xcnt 0x0
	v_cmpx_ne_u32_e32 0xff, v5
	s_cbranch_execz .LBB316_1100
; %bb.1099:
	v_and_b32_e32 v1, 0x400000, v3
	v_and_or_b32 v5, 0x3fffff, v3, v5
	s_delay_alu instid0(VALU_DEP_2) | instskip(NEXT) | instid1(VALU_DEP_2)
	v_cmp_ne_u32_e32 vcc_lo, 0, v1
	v_cmp_ne_u32_e64 s1, 0, v5
	v_lshrrev_b32_e32 v1, 23, v3
	s_and_b32 s1, vcc_lo, s1
	s_delay_alu instid0(SALU_CYCLE_1) | instskip(NEXT) | instid1(VALU_DEP_1)
	v_cndmask_b32_e64 v3, 0, 1, s1
	v_add_nc_u32_e32 v1, v1, v3
.LBB316_1100:
	s_or_b32 exec_lo, exec_lo, s29
.LBB316_1101:
	s_mov_b32 s1, 0
.LBB316_1102:
	s_delay_alu instid0(SALU_CYCLE_1)
	s_and_not1_b32 vcc_lo, exec_lo, s1
	s_cbranch_vccnz .LBB316_1119
; %bb.1103:
	s_cmp_lt_i32 s2, 6
	s_cbranch_scc1 .LBB316_1108
; %bb.1104:
	s_cmp_gt_i32 s2, 6
	s_cbranch_scc0 .LBB316_1109
; %bb.1105:
	global_load_b64 v[8:9], v[6:7], off
	s_wait_loadcnt 0x1
	v_mov_b32_e32 v1, 0xff
	s_mov_b32 s29, exec_lo
	s_wait_loadcnt 0x0
	v_cvt_f32_f64_e32 v3, v[8:9]
	s_delay_alu instid0(VALU_DEP_1) | instskip(SKIP_1) | instid1(VALU_DEP_1)
	v_bfe_u32 v5, v3, 23, 8
	s_wait_xcnt 0x0
	v_cmpx_ne_u32_e32 0xff, v5
	s_cbranch_execz .LBB316_1107
; %bb.1106:
	v_and_b32_e32 v1, 0x400000, v3
	v_and_or_b32 v5, 0x3fffff, v3, v5
	s_delay_alu instid0(VALU_DEP_2) | instskip(NEXT) | instid1(VALU_DEP_2)
	v_cmp_ne_u32_e32 vcc_lo, 0, v1
	v_cmp_ne_u32_e64 s1, 0, v5
	v_lshrrev_b32_e32 v1, 23, v3
	s_and_b32 s1, vcc_lo, s1
	s_delay_alu instid0(SALU_CYCLE_1) | instskip(NEXT) | instid1(VALU_DEP_1)
	v_cndmask_b32_e64 v3, 0, 1, s1
	v_add_nc_u32_e32 v1, v1, v3
.LBB316_1107:
	s_or_b32 exec_lo, exec_lo, s29
	s_mov_b32 s1, 0
	s_branch .LBB316_1110
.LBB316_1108:
	s_mov_b32 s1, -1
                                        ; implicit-def: $vgpr1
	s_branch .LBB316_1115
.LBB316_1109:
	s_mov_b32 s1, -1
                                        ; implicit-def: $vgpr1
.LBB316_1110:
	s_delay_alu instid0(SALU_CYCLE_1)
	s_and_not1_b32 vcc_lo, exec_lo, s1
	s_cbranch_vccnz .LBB316_1114
; %bb.1111:
	s_wait_loadcnt 0x0
	global_load_b32 v3, v[6:7], off
	v_mov_b32_e32 v1, 0xff
	s_mov_b32 s29, exec_lo
	s_wait_loadcnt 0x0
	v_bfe_u32 v5, v3, 23, 8
	s_wait_xcnt 0x0
	s_delay_alu instid0(VALU_DEP_1)
	v_cmpx_ne_u32_e32 0xff, v5
	s_cbranch_execz .LBB316_1113
; %bb.1112:
	v_and_b32_e32 v1, 0x400000, v3
	v_and_or_b32 v5, 0x3fffff, v3, v5
	s_delay_alu instid0(VALU_DEP_2) | instskip(NEXT) | instid1(VALU_DEP_2)
	v_cmp_ne_u32_e32 vcc_lo, 0, v1
	v_cmp_ne_u32_e64 s1, 0, v5
	v_lshrrev_b32_e32 v1, 23, v3
	s_and_b32 s1, vcc_lo, s1
	s_delay_alu instid0(SALU_CYCLE_1) | instskip(NEXT) | instid1(VALU_DEP_1)
	v_cndmask_b32_e64 v3, 0, 1, s1
	v_add_nc_u32_e32 v1, v1, v3
.LBB316_1113:
	s_or_b32 exec_lo, exec_lo, s29
.LBB316_1114:
	s_mov_b32 s1, 0
.LBB316_1115:
	s_delay_alu instid0(SALU_CYCLE_1)
	s_and_not1_b32 vcc_lo, exec_lo, s1
	s_cbranch_vccnz .LBB316_1119
; %bb.1116:
	s_wait_loadcnt 0x0
	global_load_u16 v1, v[6:7], off
	s_mov_b32 s29, exec_lo
	s_wait_loadcnt 0x0
	v_cvt_f32_f16_e32 v3, v1
	v_mov_b32_e32 v1, 0xff
	s_delay_alu instid0(VALU_DEP_2) | instskip(SKIP_1) | instid1(VALU_DEP_1)
	v_bfe_u32 v5, v3, 23, 8
	s_wait_xcnt 0x0
	v_cmpx_ne_u32_e32 0xff, v5
	s_cbranch_execz .LBB316_1118
; %bb.1117:
	v_and_b32_e32 v1, 0x400000, v3
	v_and_or_b32 v5, 0x3fffff, v3, v5
	s_delay_alu instid0(VALU_DEP_2) | instskip(NEXT) | instid1(VALU_DEP_2)
	v_cmp_ne_u32_e32 vcc_lo, 0, v1
	v_cmp_ne_u32_e64 s1, 0, v5
	v_lshrrev_b32_e32 v1, 23, v3
	s_and_b32 s1, vcc_lo, s1
	s_delay_alu instid0(SALU_CYCLE_1) | instskip(NEXT) | instid1(VALU_DEP_1)
	v_cndmask_b32_e64 v3, 0, 1, s1
	v_add_nc_u32_e32 v1, v1, v3
.LBB316_1118:
	s_or_b32 exec_lo, exec_lo, s29
.LBB316_1119:
	s_mov_b32 s1, 0
.LBB316_1120:
	s_delay_alu instid0(SALU_CYCLE_1)
	s_and_not1_b32 vcc_lo, exec_lo, s1
	s_cbranch_vccnz .LBB316_1150
; %bb.1121:
	s_cmp_lt_i32 s2, 2
	s_cbranch_scc1 .LBB316_1127
; %bb.1122:
	s_cmp_lt_i32 s2, 3
	s_cbranch_scc1 .LBB316_1128
; %bb.1123:
	s_cmp_gt_i32 s2, 3
	s_cbranch_scc0 .LBB316_1129
; %bb.1124:
	global_load_b64 v[8:9], v[6:7], off
	s_mov_b32 s29, exec_lo
	s_wait_loadcnt 0x0
	v_xor_b32_e32 v1, v8, v9
	v_cls_i32_e32 v3, v9
	s_delay_alu instid0(VALU_DEP_2) | instskip(NEXT) | instid1(VALU_DEP_1)
	v_ashrrev_i32_e32 v1, 31, v1
	v_add_nc_u32_e32 v1, 32, v1
	s_delay_alu instid0(VALU_DEP_1) | instskip(NEXT) | instid1(VALU_DEP_1)
	v_add_min_u32_e64 v1, v3, -1, v1
	v_lshlrev_b64_e32 v[8:9], v1, v[8:9]
	v_sub_nc_u32_e32 v1, 32, v1
	s_delay_alu instid0(VALU_DEP_2) | instskip(NEXT) | instid1(VALU_DEP_1)
	v_min_u32_e32 v3, 1, v8
	v_or_b32_e32 v3, v9, v3
	s_delay_alu instid0(VALU_DEP_1) | instskip(NEXT) | instid1(VALU_DEP_1)
	v_cvt_f32_i32_e32 v3, v3
	v_ldexp_f32 v3, v3, v1
	v_mov_b32_e32 v1, 0xff
	s_delay_alu instid0(VALU_DEP_2) | instskip(SKIP_1) | instid1(VALU_DEP_1)
	v_bfe_u32 v5, v3, 23, 8
	s_wait_xcnt 0x0
	v_cmpx_ne_u32_e32 0xff, v5
	s_cbranch_execz .LBB316_1126
; %bb.1125:
	v_and_b32_e32 v1, 0x400000, v3
	v_and_or_b32 v5, 0x3fffff, v3, v5
	s_delay_alu instid0(VALU_DEP_2) | instskip(NEXT) | instid1(VALU_DEP_2)
	v_cmp_ne_u32_e32 vcc_lo, 0, v1
	v_cmp_ne_u32_e64 s1, 0, v5
	v_lshrrev_b32_e32 v1, 23, v3
	s_and_b32 s1, vcc_lo, s1
	s_delay_alu instid0(SALU_CYCLE_1) | instskip(NEXT) | instid1(VALU_DEP_1)
	v_cndmask_b32_e64 v3, 0, 1, s1
	v_add_nc_u32_e32 v1, v1, v3
.LBB316_1126:
	s_or_b32 exec_lo, exec_lo, s29
	s_mov_b32 s1, 0
	s_branch .LBB316_1130
.LBB316_1127:
	s_mov_b32 s1, -1
                                        ; implicit-def: $vgpr1
	s_branch .LBB316_1140
.LBB316_1128:
	s_mov_b32 s1, -1
                                        ; implicit-def: $vgpr1
	s_branch .LBB316_1135
.LBB316_1129:
	s_mov_b32 s1, -1
                                        ; implicit-def: $vgpr1
.LBB316_1130:
	s_delay_alu instid0(SALU_CYCLE_1)
	s_and_not1_b32 vcc_lo, exec_lo, s1
	s_cbranch_vccnz .LBB316_1134
; %bb.1131:
	s_wait_loadcnt 0x0
	global_load_b32 v1, v[6:7], off
	s_mov_b32 s29, exec_lo
	s_wait_loadcnt 0x0
	v_cvt_f32_i32_e32 v3, v1
	v_mov_b32_e32 v1, 0xff
	s_delay_alu instid0(VALU_DEP_2) | instskip(SKIP_1) | instid1(VALU_DEP_1)
	v_bfe_u32 v5, v3, 23, 8
	s_wait_xcnt 0x0
	v_cmpx_ne_u32_e32 0xff, v5
	s_cbranch_execz .LBB316_1133
; %bb.1132:
	v_and_b32_e32 v1, 0x400000, v3
	v_and_or_b32 v5, 0x3fffff, v3, v5
	s_delay_alu instid0(VALU_DEP_2) | instskip(NEXT) | instid1(VALU_DEP_2)
	v_cmp_ne_u32_e32 vcc_lo, 0, v1
	v_cmp_ne_u32_e64 s1, 0, v5
	v_lshrrev_b32_e32 v1, 23, v3
	s_and_b32 s1, vcc_lo, s1
	s_delay_alu instid0(SALU_CYCLE_1) | instskip(NEXT) | instid1(VALU_DEP_1)
	v_cndmask_b32_e64 v3, 0, 1, s1
	v_add_nc_u32_e32 v1, v1, v3
.LBB316_1133:
	s_or_b32 exec_lo, exec_lo, s29
.LBB316_1134:
	s_mov_b32 s1, 0
.LBB316_1135:
	s_delay_alu instid0(SALU_CYCLE_1)
	s_and_not1_b32 vcc_lo, exec_lo, s1
	s_cbranch_vccnz .LBB316_1139
; %bb.1136:
	s_wait_loadcnt 0x0
	global_load_i16 v1, v[6:7], off
	s_mov_b32 s29, exec_lo
	s_wait_loadcnt 0x0
	v_cvt_f32_i32_e32 v3, v1
	v_mov_b32_e32 v1, 0xff
	s_delay_alu instid0(VALU_DEP_2) | instskip(SKIP_1) | instid1(VALU_DEP_1)
	v_bfe_u32 v5, v3, 23, 8
	s_wait_xcnt 0x0
	v_cmpx_ne_u32_e32 0xff, v5
	s_cbranch_execz .LBB316_1138
; %bb.1137:
	v_and_b32_e32 v1, 0x400000, v3
	v_and_or_b32 v5, 0x3fffff, v3, v5
	s_delay_alu instid0(VALU_DEP_2) | instskip(NEXT) | instid1(VALU_DEP_2)
	v_cmp_ne_u32_e32 vcc_lo, 0, v1
	v_cmp_ne_u32_e64 s1, 0, v5
	v_lshrrev_b32_e32 v1, 23, v3
	s_and_b32 s1, vcc_lo, s1
	s_delay_alu instid0(SALU_CYCLE_1) | instskip(NEXT) | instid1(VALU_DEP_1)
	v_cndmask_b32_e64 v3, 0, 1, s1
	v_add_nc_u32_e32 v1, v1, v3
.LBB316_1138:
	s_or_b32 exec_lo, exec_lo, s29
.LBB316_1139:
	s_mov_b32 s1, 0
.LBB316_1140:
	s_delay_alu instid0(SALU_CYCLE_1)
	s_and_not1_b32 vcc_lo, exec_lo, s1
	s_cbranch_vccnz .LBB316_1150
; %bb.1141:
	s_cmp_gt_i32 s2, 0
	s_cbranch_scc0 .LBB316_1145
; %bb.1142:
	s_wait_loadcnt 0x0
	global_load_i8 v1, v[6:7], off
	s_mov_b32 s2, exec_lo
	s_wait_loadcnt 0x0
	v_cvt_f32_i32_e32 v3, v1
	v_mov_b32_e32 v1, 0xff
	s_delay_alu instid0(VALU_DEP_2) | instskip(SKIP_1) | instid1(VALU_DEP_1)
	v_bfe_u32 v5, v3, 23, 8
	s_wait_xcnt 0x0
	v_cmpx_ne_u32_e32 0xff, v5
	s_cbranch_execz .LBB316_1144
; %bb.1143:
	v_and_b32_e32 v1, 0x400000, v3
	v_and_or_b32 v5, 0x3fffff, v3, v5
	s_delay_alu instid0(VALU_DEP_2) | instskip(NEXT) | instid1(VALU_DEP_2)
	v_cmp_ne_u32_e32 vcc_lo, 0, v1
	v_cmp_ne_u32_e64 s1, 0, v5
	v_lshrrev_b32_e32 v1, 23, v3
	s_and_b32 s1, vcc_lo, s1
	s_delay_alu instid0(SALU_CYCLE_1) | instskip(NEXT) | instid1(VALU_DEP_1)
	v_cndmask_b32_e64 v3, 0, 1, s1
	v_add_nc_u32_e32 v1, v1, v3
.LBB316_1144:
	s_or_b32 exec_lo, exec_lo, s2
	s_mov_b32 s1, 0
	s_branch .LBB316_1146
.LBB316_1145:
	s_mov_b32 s1, -1
                                        ; implicit-def: $vgpr1
.LBB316_1146:
	s_delay_alu instid0(SALU_CYCLE_1)
	s_and_not1_b32 vcc_lo, exec_lo, s1
	s_cbranch_vccnz .LBB316_1150
; %bb.1147:
	s_wait_loadcnt 0x0
	global_load_u8 v1, v[6:7], off
	s_mov_b32 s2, exec_lo
	s_wait_loadcnt 0x0
	v_cvt_f32_ubyte0_e32 v5, v1
	v_mov_b32_e32 v1, 0xff
	s_delay_alu instid0(VALU_DEP_2) | instskip(SKIP_1) | instid1(VALU_DEP_1)
	v_lshrrev_b32_e32 v3, 23, v5
	s_wait_xcnt 0x0
	v_cmpx_ne_u32_e32 0xff, v3
; %bb.1148:
	v_and_b32_e32 v1, 0x400000, v5
	v_and_or_b32 v5, 0x3fffff, v5, v3
	s_delay_alu instid0(VALU_DEP_2) | instskip(NEXT) | instid1(VALU_DEP_2)
	v_cmp_ne_u32_e32 vcc_lo, 0, v1
	v_cmp_ne_u32_e64 s1, 0, v5
	s_and_b32 s1, vcc_lo, s1
	s_delay_alu instid0(SALU_CYCLE_1) | instskip(NEXT) | instid1(VALU_DEP_1)
	v_cndmask_b32_e64 v1, 0, 1, s1
	v_add_nc_u32_e32 v1, v3, v1
; %bb.1149:
	s_or_b32 exec_lo, exec_lo, s2
.LBB316_1150:
	s_mov_b32 s1, -1
.LBB316_1151:
	s_delay_alu instid0(SALU_CYCLE_1)
	s_and_not1_b32 vcc_lo, exec_lo, s1
	s_cbranch_vccnz .LBB316_1161
; %bb.1152:
	v_mov_b32_e32 v5, 0
	s_and_b32 s2, s13, 0xff
	s_delay_alu instid0(SALU_CYCLE_1) | instskip(NEXT) | instid1(VALU_DEP_1)
	s_cmp_lt_i32 s2, 11
	v_add_nc_u64_e32 v[4:5], s[8:9], v[4:5]
	s_cbranch_scc1 .LBB316_1162
; %bb.1153:
	s_and_b32 s49, 0xffff, s2
	s_delay_alu instid0(SALU_CYCLE_1)
	s_cmp_gt_i32 s49, 25
	s_cbranch_scc0 .LBB316_1163
; %bb.1154:
	s_cmp_gt_i32 s49, 28
	s_cbranch_scc0 .LBB316_1164
; %bb.1155:
	;; [unrolled: 3-line block ×4, first 2 shown]
	s_cmp_eq_u32 s49, 46
	s_mov_b32 s50, 0
	s_cbranch_scc0 .LBB316_1169
; %bb.1158:
	global_load_b32 v6, v[4:5], off
	s_wait_loadcnt 0x1
	v_mov_b32_e32 v3, 0xff
	s_mov_b32 s29, exec_lo
	s_wait_loadcnt 0x0
	v_lshlrev_b32_e32 v7, 16, v6
	s_delay_alu instid0(VALU_DEP_1) | instskip(SKIP_1) | instid1(VALU_DEP_1)
	v_bfe_u32 v8, v7, 23, 8
	s_wait_xcnt 0x0
	v_cmpx_ne_u32_e32 0xff, v8
	s_cbranch_execz .LBB316_1160
; %bb.1159:
	v_and_b32_e32 v3, 64, v6
	v_and_or_b32 v7, 0x3f0000, v7, v8
	s_delay_alu instid0(VALU_DEP_2) | instskip(NEXT) | instid1(VALU_DEP_2)
	v_cmp_ne_u32_e32 vcc_lo, 0, v3
	v_cmp_ne_u32_e64 s1, 0, v7
	v_bfe_u32 v3, v6, 7, 9
	s_and_b32 s1, vcc_lo, s1
	s_delay_alu instid0(SALU_CYCLE_1) | instskip(NEXT) | instid1(VALU_DEP_1)
	v_cndmask_b32_e64 v6, 0, 1, s1
	v_add_nc_u32_e32 v3, v3, v6
.LBB316_1160:
	s_or_b32 exec_lo, exec_lo, s29
	s_mov_b32 s1, -1
	s_mov_b32 s29, 0
	s_branch .LBB316_1171
.LBB316_1161:
	s_mov_b32 s1, 0
	s_mov_b32 s2, s45
	;; [unrolled: 1-line block ×3, first 2 shown]
	s_branch .LBB316_1374
.LBB316_1162:
	s_mov_b32 s49, -1
	s_mov_b32 s1, 0
	s_mov_b32 s29, s46
                                        ; implicit-def: $vgpr3
	s_branch .LBB316_1254
.LBB316_1163:
	s_mov_b32 s50, -1
	s_mov_b32 s1, 0
	s_mov_b32 s29, s46
                                        ; implicit-def: $vgpr3
	s_branch .LBB316_1210
.LBB316_1164:
	s_mov_b32 s50, -1
	s_mov_b32 s1, 0
	s_mov_b32 s29, s46
                                        ; implicit-def: $vgpr3
	s_branch .LBB316_1183
.LBB316_1165:
	s_mov_b32 s50, -1
	s_mov_b32 s1, 0
	s_mov_b32 s29, s46
                                        ; implicit-def: $vgpr3
	s_branch .LBB316_1176
.LBB316_1166:
	s_mov_b32 s50, -1
	s_mov_b32 s1, 0
	s_mov_b32 s29, s46
	s_branch .LBB316_1170
.LBB316_1167:
	s_and_not1_saveexec_b32 s49, s49
	s_cbranch_execz .LBB316_956
.LBB316_1168:
	v_add_f32_e32 v1, 0x42800000, v4
	s_and_not1_b32 s48, s48, exec_lo
	s_delay_alu instid0(VALU_DEP_1) | instskip(NEXT) | instid1(VALU_DEP_1)
	v_and_b32_e32 v1, 0xff, v1
	v_cmp_ne_u32_e32 vcc_lo, 0, v1
	s_and_b32 s50, vcc_lo, exec_lo
	s_delay_alu instid0(SALU_CYCLE_1)
	s_or_b32 s48, s48, s50
	s_or_b32 exec_lo, exec_lo, s49
	v_mov_b32_e32 v5, 0
	s_and_saveexec_b32 s49, s48
	s_cbranch_execnz .LBB316_957
	s_branch .LBB316_958
.LBB316_1169:
	s_mov_b32 s29, -1
	s_mov_b32 s1, 0
.LBB316_1170:
                                        ; implicit-def: $vgpr3
.LBB316_1171:
	s_and_b32 vcc_lo, exec_lo, s50
	s_cbranch_vccz .LBB316_1175
; %bb.1172:
	s_cmp_eq_u32 s49, 44
	s_cbranch_scc0 .LBB316_1174
; %bb.1173:
	s_wait_loadcnt 0x0
	global_load_u8 v3, v[4:5], off
	s_mov_b32 s1, -1
	s_mov_b32 s29, 0
	s_branch .LBB316_1175
.LBB316_1174:
	s_mov_b32 s29, -1
                                        ; implicit-def: $vgpr3
.LBB316_1175:
	s_mov_b32 s50, 0
.LBB316_1176:
	s_delay_alu instid0(SALU_CYCLE_1)
	s_and_b32 vcc_lo, exec_lo, s50
	s_cbranch_vccz .LBB316_1182
; %bb.1177:
	s_cmp_eq_u32 s49, 29
	s_cbranch_scc0 .LBB316_1181
; %bb.1178:
	global_load_b64 v[6:7], v[4:5], off
	s_mov_b32 s29, exec_lo
	s_wait_loadcnt 0x0
	v_clz_i32_u32_e32 v3, v7
	s_delay_alu instid0(VALU_DEP_1) | instskip(NEXT) | instid1(VALU_DEP_1)
	v_min_u32_e32 v3, 32, v3
	v_lshlrev_b64_e32 v[6:7], v3, v[6:7]
	v_sub_nc_u32_e32 v3, 32, v3
	s_delay_alu instid0(VALU_DEP_2) | instskip(NEXT) | instid1(VALU_DEP_1)
	v_min_u32_e32 v6, 1, v6
	v_or_b32_e32 v6, v7, v6
	s_delay_alu instid0(VALU_DEP_1) | instskip(NEXT) | instid1(VALU_DEP_1)
	v_cvt_f32_u32_e32 v6, v6
	v_ldexp_f32 v7, v6, v3
	s_delay_alu instid0(VALU_DEP_1) | instskip(SKIP_1) | instid1(VALU_DEP_1)
	v_dual_mov_b32 v3, 0xff :: v_dual_lshrrev_b32 v6, 23, v7
	s_wait_xcnt 0x0
	v_cmpx_ne_u32_e32 0xff, v6
; %bb.1179:
	v_and_b32_e32 v3, 0x400000, v7
	v_and_or_b32 v7, 0x3fffff, v7, v6
	s_delay_alu instid0(VALU_DEP_2) | instskip(NEXT) | instid1(VALU_DEP_2)
	v_cmp_ne_u32_e32 vcc_lo, 0, v3
	v_cmp_ne_u32_e64 s1, 0, v7
	s_and_b32 s1, vcc_lo, s1
	s_delay_alu instid0(SALU_CYCLE_1) | instskip(NEXT) | instid1(VALU_DEP_1)
	v_cndmask_b32_e64 v3, 0, 1, s1
	v_add_nc_u32_e32 v3, v6, v3
; %bb.1180:
	s_or_b32 exec_lo, exec_lo, s29
	s_mov_b32 s1, -1
	s_mov_b32 s29, 0
	s_branch .LBB316_1182
.LBB316_1181:
	s_mov_b32 s29, -1
                                        ; implicit-def: $vgpr3
.LBB316_1182:
	s_mov_b32 s50, 0
.LBB316_1183:
	s_delay_alu instid0(SALU_CYCLE_1)
	s_and_b32 vcc_lo, exec_lo, s50
	s_cbranch_vccz .LBB316_1209
; %bb.1184:
	s_cmp_lt_i32 s49, 27
	s_cbranch_scc1 .LBB316_1189
; %bb.1185:
	s_cmp_gt_i32 s49, 27
	s_cbranch_scc0 .LBB316_1190
; %bb.1186:
	s_wait_loadcnt 0x0
	global_load_b32 v3, v[4:5], off
	s_mov_b32 s50, exec_lo
	s_wait_loadcnt 0x0
	s_wait_xcnt 0x1
	v_cvt_f32_u32_e32 v7, v3
	s_delay_alu instid0(VALU_DEP_1) | instskip(SKIP_1) | instid1(VALU_DEP_1)
	v_dual_mov_b32 v3, 0xff :: v_dual_lshrrev_b32 v6, 23, v7
	s_wait_xcnt 0x0
	v_cmpx_ne_u32_e32 0xff, v6
; %bb.1187:
	v_and_b32_e32 v3, 0x400000, v7
	v_and_or_b32 v7, 0x3fffff, v7, v6
	s_delay_alu instid0(VALU_DEP_2) | instskip(NEXT) | instid1(VALU_DEP_2)
	v_cmp_ne_u32_e32 vcc_lo, 0, v3
	v_cmp_ne_u32_e64 s1, 0, v7
	s_and_b32 s1, vcc_lo, s1
	s_delay_alu instid0(SALU_CYCLE_1) | instskip(NEXT) | instid1(VALU_DEP_1)
	v_cndmask_b32_e64 v3, 0, 1, s1
	v_add_nc_u32_e32 v3, v6, v3
; %bb.1188:
	s_or_b32 exec_lo, exec_lo, s50
	s_mov_b32 s1, 0
	s_branch .LBB316_1191
.LBB316_1189:
	s_mov_b32 s1, -1
                                        ; implicit-def: $vgpr3
	s_branch .LBB316_1196
.LBB316_1190:
	s_mov_b32 s1, -1
                                        ; implicit-def: $vgpr3
.LBB316_1191:
	s_delay_alu instid0(SALU_CYCLE_1)
	s_and_not1_b32 vcc_lo, exec_lo, s1
	s_cbranch_vccnz .LBB316_1195
; %bb.1192:
	s_wait_loadcnt 0x0
	global_load_u16 v3, v[4:5], off
	s_mov_b32 s50, exec_lo
	s_wait_loadcnt 0x0
	s_wait_xcnt 0x1
	v_cvt_f32_u32_e32 v7, v3
	s_delay_alu instid0(VALU_DEP_1) | instskip(SKIP_1) | instid1(VALU_DEP_1)
	v_dual_mov_b32 v3, 0xff :: v_dual_lshrrev_b32 v6, 23, v7
	s_wait_xcnt 0x0
	v_cmpx_ne_u32_e32 0xff, v6
; %bb.1193:
	v_and_b32_e32 v3, 0x400000, v7
	v_and_or_b32 v7, 0x3fffff, v7, v6
	s_delay_alu instid0(VALU_DEP_2) | instskip(NEXT) | instid1(VALU_DEP_2)
	v_cmp_ne_u32_e32 vcc_lo, 0, v3
	v_cmp_ne_u32_e64 s1, 0, v7
	s_and_b32 s1, vcc_lo, s1
	s_delay_alu instid0(SALU_CYCLE_1) | instskip(NEXT) | instid1(VALU_DEP_1)
	v_cndmask_b32_e64 v3, 0, 1, s1
	v_add_nc_u32_e32 v3, v6, v3
; %bb.1194:
	s_or_b32 exec_lo, exec_lo, s50
.LBB316_1195:
	s_mov_b32 s1, 0
.LBB316_1196:
	s_delay_alu instid0(SALU_CYCLE_1)
	s_and_not1_b32 vcc_lo, exec_lo, s1
	s_cbranch_vccnz .LBB316_1208
; %bb.1197:
	s_wait_loadcnt 0x0
	global_load_u8 v3, v[4:5], off
	s_mov_b32 s1, 0
	s_mov_b32 s50, exec_lo
	s_wait_loadcnt 0x0
	v_cmpx_lt_i16_e32 0x7f, v3
	s_xor_b32 s50, exec_lo, s50
	s_cbranch_execz .LBB316_1201
; %bb.1198:
	s_mov_b32 s1, -1
	s_mov_b32 s51, exec_lo
	v_cmpx_eq_u16_e32 0x80, v3
; %bb.1199:
	s_xor_b32 s1, exec_lo, -1
; %bb.1200:
	s_or_b32 exec_lo, exec_lo, s51
	s_delay_alu instid0(SALU_CYCLE_1)
	s_and_b32 s1, s1, exec_lo
.LBB316_1201:
	s_or_saveexec_b32 s50, s50
	v_mov_b32_e32 v6, 0x7f800001
	v_and_b32_e32 v7, 0xffff, v3
	s_xor_b32 exec_lo, exec_lo, s50
; %bb.1202:
	v_cmp_ne_u16_e32 vcc_lo, 0, v3
	s_delay_alu instid0(VALU_DEP_2) | instskip(SKIP_2) | instid1(SALU_CYCLE_1)
	v_mov_b32_e32 v6, v7
	s_and_not1_b32 s1, s1, exec_lo
	s_and_b32 s51, vcc_lo, exec_lo
	s_or_b32 s1, s1, s51
; %bb.1203:
	s_or_b32 exec_lo, exec_lo, s50
	s_and_saveexec_b32 s50, s1
	s_cbranch_execz .LBB316_1205
; %bb.1204:
	v_and_b32_e32 v3, 7, v7
	s_delay_alu instid0(VALU_DEP_1) | instskip(NEXT) | instid1(VALU_DEP_1)
	v_clz_i32_u32_e32 v6, v3
	v_min_u32_e32 v6, 32, v6
	s_delay_alu instid0(VALU_DEP_1) | instskip(NEXT) | instid1(VALU_DEP_1)
	v_subrev_nc_u32_e32 v8, 28, v6
	v_lshlrev_b32_e32 v8, v8, v7
	v_bfe_u32 v7, v7, 3, 4
	s_delay_alu instid0(VALU_DEP_2) | instskip(NEXT) | instid1(VALU_DEP_2)
	v_dual_sub_nc_u32 v6, 29, v6 :: v_dual_bitop2_b32 v8, 7, v8 bitop3:0x40
	v_cmp_eq_u32_e32 vcc_lo, 0, v7
	s_delay_alu instid0(VALU_DEP_2) | instskip(NEXT) | instid1(VALU_DEP_1)
	v_cndmask_b32_e32 v3, v3, v8, vcc_lo
	v_dual_cndmask_b32 v6, v7, v6 :: v_dual_lshlrev_b32 v3, 20, v3
	s_delay_alu instid0(VALU_DEP_1) | instskip(NEXT) | instid1(VALU_DEP_1)
	v_lshl_or_b32 v3, v6, 23, v3
	v_add_nc_u32_e32 v6, 0x3b800000, v3
.LBB316_1205:
	s_or_b32 exec_lo, exec_lo, s50
	s_delay_alu instid0(VALU_DEP_1) | instskip(SKIP_2) | instid1(VALU_DEP_2)
	v_lshrrev_b32_e32 v7, 23, v6
	v_mov_b32_e32 v3, 0xff
	s_mov_b32 s50, exec_lo
	v_cmpx_ne_u32_e32 0xff, v7
; %bb.1206:
	v_and_b32_e32 v3, 0x400000, v6
	v_and_or_b32 v6, 0x3fffff, v6, v7
	s_delay_alu instid0(VALU_DEP_2) | instskip(NEXT) | instid1(VALU_DEP_2)
	v_cmp_ne_u32_e32 vcc_lo, 0, v3
	v_cmp_ne_u32_e64 s1, 0, v6
	s_and_b32 s1, vcc_lo, s1
	s_delay_alu instid0(SALU_CYCLE_1) | instskip(NEXT) | instid1(VALU_DEP_1)
	v_cndmask_b32_e64 v3, 0, 1, s1
	v_add_nc_u32_e32 v3, v7, v3
; %bb.1207:
	s_or_b32 exec_lo, exec_lo, s50
.LBB316_1208:
	s_mov_b32 s1, -1
.LBB316_1209:
	s_mov_b32 s50, 0
.LBB316_1210:
	s_delay_alu instid0(SALU_CYCLE_1)
	s_and_b32 vcc_lo, exec_lo, s50
	s_cbranch_vccz .LBB316_1253
; %bb.1211:
	s_cmp_gt_i32 s49, 22
	s_cbranch_scc0 .LBB316_1223
; %bb.1212:
	s_cmp_lt_i32 s49, 24
	s_cbranch_scc1 .LBB316_1224
; %bb.1213:
	s_cmp_gt_i32 s49, 24
	s_cbranch_scc0 .LBB316_1225
; %bb.1214:
	s_wait_loadcnt 0x0
	global_load_u8 v3, v[4:5], off
	s_mov_b32 s1, 0
	s_mov_b32 s50, exec_lo
	s_wait_loadcnt 0x0
	v_cmpx_lt_i16_e32 0x7f, v3
	s_xor_b32 s50, exec_lo, s50
	s_cbranch_execz .LBB316_1243
; %bb.1215:
	s_mov_b32 s1, -1
	s_mov_b32 s51, exec_lo
	v_cmpx_eq_u16_e32 0x80, v3
; %bb.1216:
	s_xor_b32 s1, exec_lo, -1
; %bb.1217:
	s_or_b32 exec_lo, exec_lo, s51
	s_delay_alu instid0(SALU_CYCLE_1)
	s_and_b32 s1, s1, exec_lo
	s_or_saveexec_b32 s50, s50
	v_mov_b32_e32 v6, 0x7f800001
	s_xor_b32 exec_lo, exec_lo, s50
	s_cbranch_execnz .LBB316_1244
.LBB316_1218:
	s_or_b32 exec_lo, exec_lo, s50
	s_and_saveexec_b32 s50, s1
	s_cbranch_execz .LBB316_1220
.LBB316_1219:
	v_and_b32_e32 v3, 0xffff, v3
	s_delay_alu instid0(VALU_DEP_1) | instskip(NEXT) | instid1(VALU_DEP_1)
	v_and_b32_e32 v6, 3, v3
	v_clz_i32_u32_e32 v7, v6
	s_delay_alu instid0(VALU_DEP_1) | instskip(NEXT) | instid1(VALU_DEP_1)
	v_min_u32_e32 v7, 32, v7
	v_subrev_nc_u32_e32 v8, 29, v7
	s_delay_alu instid0(VALU_DEP_1) | instskip(SKIP_1) | instid1(VALU_DEP_2)
	v_lshlrev_b32_e32 v8, v8, v3
	v_bfe_u32 v3, v3, 2, 5
	v_dual_sub_nc_u32 v7, 30, v7 :: v_dual_bitop2_b32 v8, 3, v8 bitop3:0x40
	s_delay_alu instid0(VALU_DEP_2) | instskip(NEXT) | instid1(VALU_DEP_2)
	v_cmp_eq_u32_e32 vcc_lo, 0, v3
	v_dual_cndmask_b32 v3, v3, v7 :: v_dual_cndmask_b32 v6, v6, v8
	s_delay_alu instid0(VALU_DEP_1) | instskip(NEXT) | instid1(VALU_DEP_1)
	v_lshlrev_b32_e32 v6, 21, v6
	v_lshl_or_b32 v3, v3, 23, v6
	s_delay_alu instid0(VALU_DEP_1)
	v_add_nc_u32_e32 v6, 0x37800000, v3
.LBB316_1220:
	s_or_b32 exec_lo, exec_lo, s50
	s_delay_alu instid0(VALU_DEP_1) | instskip(SKIP_2) | instid1(VALU_DEP_2)
	v_lshrrev_b32_e32 v7, 23, v6
	v_mov_b32_e32 v3, 0xff
	s_mov_b32 s50, exec_lo
	v_cmpx_ne_u32_e32 0xff, v7
; %bb.1221:
	v_and_b32_e32 v3, 0x400000, v6
	v_and_or_b32 v6, 0x3fffff, v6, v7
	s_delay_alu instid0(VALU_DEP_2) | instskip(NEXT) | instid1(VALU_DEP_2)
	v_cmp_ne_u32_e32 vcc_lo, 0, v3
	v_cmp_ne_u32_e64 s1, 0, v6
	s_and_b32 s1, vcc_lo, s1
	s_delay_alu instid0(SALU_CYCLE_1) | instskip(NEXT) | instid1(VALU_DEP_1)
	v_cndmask_b32_e64 v3, 0, 1, s1
	v_add_nc_u32_e32 v3, v7, v3
; %bb.1222:
	s_or_b32 exec_lo, exec_lo, s50
	s_mov_b32 s1, 0
	s_branch .LBB316_1226
.LBB316_1223:
	s_mov_b32 s50, -1
                                        ; implicit-def: $vgpr3
	s_branch .LBB316_1236
.LBB316_1224:
	s_mov_b32 s1, -1
                                        ; implicit-def: $vgpr3
	s_branch .LBB316_1231
.LBB316_1225:
	s_mov_b32 s1, -1
                                        ; implicit-def: $vgpr3
.LBB316_1226:
	s_delay_alu instid0(SALU_CYCLE_1)
	s_and_b32 vcc_lo, exec_lo, s1
	s_cbranch_vccz .LBB316_1230
; %bb.1227:
	s_wait_loadcnt 0x0
	global_load_u8 v3, v[4:5], off
	s_mov_b32 s50, exec_lo
	s_wait_loadcnt 0x0
	v_lshlrev_b32_e32 v3, 24, v3
	s_delay_alu instid0(VALU_DEP_1) | instskip(SKIP_1) | instid1(VALU_DEP_1)
	v_and_b32_e32 v3, 0x7f000000, v3
	s_wait_xcnt 0x1
	v_clz_i32_u32_e32 v6, v3
	v_cmp_ne_u32_e32 vcc_lo, 0, v3
	v_add_nc_u32_e32 v8, 0x1000000, v3
	s_delay_alu instid0(VALU_DEP_3) | instskip(NEXT) | instid1(VALU_DEP_1)
	v_min_u32_e32 v6, 32, v6
	v_sub_nc_u32_e64 v6, v6, 4 clamp
	s_delay_alu instid0(VALU_DEP_1) | instskip(SKIP_1) | instid1(VALU_DEP_2)
	v_dual_lshlrev_b32 v7, v6, v3 :: v_dual_lshlrev_b32 v6, 23, v6
	v_mov_b32_e32 v3, 0xff
	v_lshrrev_b32_e32 v7, 4, v7
	s_delay_alu instid0(VALU_DEP_1) | instskip(NEXT) | instid1(VALU_DEP_1)
	v_dual_sub_nc_u32 v6, v7, v6 :: v_dual_ashrrev_i32 v7, 8, v8
	v_add_nc_u32_e32 v6, 0x3c000000, v6
	s_delay_alu instid0(VALU_DEP_1) | instskip(NEXT) | instid1(VALU_DEP_1)
	v_and_or_b32 v6, 0x7f800000, v7, v6
	v_cndmask_b32_e32 v7, 0, v6, vcc_lo
	s_delay_alu instid0(VALU_DEP_1) | instskip(SKIP_1) | instid1(VALU_DEP_1)
	v_lshrrev_b32_e32 v6, 23, v7
	s_wait_xcnt 0x0
	v_cmpx_ne_u32_e32 0xff, v6
; %bb.1228:
	v_and_b32_e32 v3, 0x400000, v7
	v_and_or_b32 v7, 0x3fffff, v7, v6
	s_delay_alu instid0(VALU_DEP_2) | instskip(NEXT) | instid1(VALU_DEP_2)
	v_cmp_ne_u32_e32 vcc_lo, 0, v3
	v_cmp_ne_u32_e64 s1, 0, v7
	s_and_b32 s1, vcc_lo, s1
	s_delay_alu instid0(SALU_CYCLE_1) | instskip(NEXT) | instid1(VALU_DEP_1)
	v_cndmask_b32_e64 v3, 0, 1, s1
	v_add_nc_u32_e32 v3, v6, v3
; %bb.1229:
	s_or_b32 exec_lo, exec_lo, s50
.LBB316_1230:
	s_mov_b32 s1, 0
.LBB316_1231:
	s_delay_alu instid0(SALU_CYCLE_1)
	s_and_not1_b32 vcc_lo, exec_lo, s1
	s_cbranch_vccnz .LBB316_1235
; %bb.1232:
	s_wait_loadcnt 0x0
	global_load_u8 v3, v[4:5], off
	s_mov_b32 s50, exec_lo
	s_wait_loadcnt 0x0
	s_wait_xcnt 0x1
	v_dual_lshlrev_b32 v6, 25, v3 :: v_dual_lshlrev_b32 v3, 8, v3
	s_delay_alu instid0(VALU_DEP_1) | instskip(NEXT) | instid1(VALU_DEP_2)
	v_cmp_gt_u32_e32 vcc_lo, 0x8000000, v6
	v_and_or_b32 v3, 0x7f00, v3, 0.5
	s_delay_alu instid0(VALU_DEP_1) | instskip(NEXT) | instid1(VALU_DEP_1)
	v_dual_lshrrev_b32 v7, 4, v6 :: v_dual_add_f32 v3, -0.5, v3
	v_or_b32_e32 v7, 0x70000000, v7
	s_delay_alu instid0(VALU_DEP_1) | instskip(NEXT) | instid1(VALU_DEP_1)
	v_mul_f32_e32 v7, 0x7800000, v7
	v_dual_cndmask_b32 v6, v7, v3 :: v_dual_mov_b32 v3, 0xff
	s_delay_alu instid0(VALU_DEP_1) | instskip(SKIP_1) | instid1(VALU_DEP_1)
	v_bfe_u32 v7, v6, 23, 8
	s_wait_xcnt 0x0
	v_cmpx_ne_u32_e32 0xff, v7
	s_cbranch_execz .LBB316_1234
; %bb.1233:
	v_and_b32_e32 v3, 0x400000, v6
	v_and_or_b32 v7, 0x3fffff, v6, v7
	s_delay_alu instid0(VALU_DEP_2) | instskip(NEXT) | instid1(VALU_DEP_2)
	v_cmp_ne_u32_e32 vcc_lo, 0, v3
	v_cmp_ne_u32_e64 s1, 0, v7
	v_lshrrev_b32_e32 v3, 23, v6
	s_and_b32 s1, vcc_lo, s1
	s_delay_alu instid0(SALU_CYCLE_1) | instskip(NEXT) | instid1(VALU_DEP_1)
	v_cndmask_b32_e64 v6, 0, 1, s1
	v_add_nc_u32_e32 v3, v3, v6
.LBB316_1234:
	s_or_b32 exec_lo, exec_lo, s50
.LBB316_1235:
	s_mov_b32 s50, 0
	s_mov_b32 s1, -1
.LBB316_1236:
	s_and_not1_b32 vcc_lo, exec_lo, s50
	s_cbranch_vccnz .LBB316_1253
; %bb.1237:
	s_cmp_gt_i32 s49, 14
	s_cbranch_scc0 .LBB316_1242
; %bb.1238:
	s_cmp_eq_u32 s49, 15
	s_cbranch_scc0 .LBB316_1245
; %bb.1239:
	global_load_u16 v6, v[4:5], off
	s_wait_loadcnt 0x1
	v_mov_b32_e32 v3, 0xff
	s_mov_b32 s29, exec_lo
	s_wait_loadcnt 0x0
	v_bfe_u32 v7, v6, 7, 8
	s_wait_xcnt 0x0
	s_delay_alu instid0(VALU_DEP_1)
	v_cmpx_ne_u32_e32 0xff, v7
	s_cbranch_execz .LBB316_1241
; %bb.1240:
	v_dual_lshlrev_b32 v3, 16, v6 :: v_dual_bitop2_b32 v8, 64, v6 bitop3:0x40
	s_delay_alu instid0(VALU_DEP_1) | instskip(NEXT) | instid1(VALU_DEP_2)
	v_and_or_b32 v3, 0x3f0000, v3, v7
	v_cmp_ne_u32_e32 vcc_lo, 0, v8
	s_delay_alu instid0(VALU_DEP_2) | instskip(SKIP_2) | instid1(SALU_CYCLE_1)
	v_cmp_ne_u32_e64 s1, 0, v3
	v_lshrrev_b32_e32 v3, 7, v6
	s_and_b32 s1, vcc_lo, s1
	v_cndmask_b32_e64 v6, 0, 1, s1
	s_delay_alu instid0(VALU_DEP_1)
	v_add_nc_u32_e32 v3, v3, v6
.LBB316_1241:
	s_or_b32 exec_lo, exec_lo, s29
	s_mov_b32 s1, -1
	s_mov_b32 s29, 0
	s_branch .LBB316_1246
.LBB316_1242:
	s_mov_b32 s50, -1
                                        ; implicit-def: $vgpr3
	s_branch .LBB316_1247
.LBB316_1243:
	s_or_saveexec_b32 s50, s50
	v_mov_b32_e32 v6, 0x7f800001
	s_xor_b32 exec_lo, exec_lo, s50
	s_cbranch_execz .LBB316_1218
.LBB316_1244:
	v_cmp_ne_u16_e32 vcc_lo, 0, v3
	v_and_b32_e32 v6, 0xffff, v3
	s_and_not1_b32 s1, s1, exec_lo
	s_and_b32 s51, vcc_lo, exec_lo
	s_delay_alu instid0(SALU_CYCLE_1)
	s_or_b32 s1, s1, s51
	s_or_b32 exec_lo, exec_lo, s50
	s_and_saveexec_b32 s50, s1
	s_cbranch_execnz .LBB316_1219
	s_branch .LBB316_1220
.LBB316_1245:
	s_mov_b32 s29, -1
                                        ; implicit-def: $vgpr3
.LBB316_1246:
	s_mov_b32 s50, 0
.LBB316_1247:
	s_delay_alu instid0(SALU_CYCLE_1)
	s_and_b32 vcc_lo, exec_lo, s50
	s_cbranch_vccz .LBB316_1253
; %bb.1248:
	s_cmp_eq_u32 s49, 11
	s_cbranch_scc0 .LBB316_1252
; %bb.1249:
	s_wait_loadcnt 0x0
	global_load_u8 v3, v[4:5], off
	s_mov_b32 s29, 0
	s_mov_b32 s49, exec_lo
	s_wait_loadcnt 0x0
	v_cmp_ne_u16_e32 vcc_lo, 0, v3
	v_mov_b32_e32 v3, 0xff
	s_wait_xcnt 0x1
	v_cndmask_b32_e64 v7, 0, 1.0, vcc_lo
	s_delay_alu instid0(VALU_DEP_1) | instskip(SKIP_1) | instid1(VALU_DEP_1)
	v_lshrrev_b32_e32 v6, 23, v7
	s_wait_xcnt 0x0
	v_cmpx_ne_u32_e32 0xff, v6
; %bb.1250:
	v_and_b32_e32 v3, 0x400000, v7
	v_and_or_b32 v7, 0x3fffff, v7, v6
	s_delay_alu instid0(VALU_DEP_2) | instskip(NEXT) | instid1(VALU_DEP_2)
	v_cmp_ne_u32_e32 vcc_lo, 0, v3
	v_cmp_ne_u32_e64 s1, 0, v7
	s_and_b32 s1, vcc_lo, s1
	s_delay_alu instid0(SALU_CYCLE_1) | instskip(NEXT) | instid1(VALU_DEP_1)
	v_cndmask_b32_e64 v3, 0, 1, s1
	v_add_nc_u32_e32 v3, v6, v3
; %bb.1251:
	s_or_b32 exec_lo, exec_lo, s49
	s_mov_b32 s1, -1
	s_branch .LBB316_1253
.LBB316_1252:
	s_mov_b32 s29, -1
                                        ; implicit-def: $vgpr3
.LBB316_1253:
	s_mov_b32 s49, 0
.LBB316_1254:
	s_delay_alu instid0(SALU_CYCLE_1)
	s_and_b32 vcc_lo, exec_lo, s49
	s_cbranch_vccz .LBB316_1325
; %bb.1255:
	s_and_b32 s2, 0xffff, s2
	s_delay_alu instid0(SALU_CYCLE_1)
	s_cmp_lt_i32 s2, 5
	s_cbranch_scc1 .LBB316_1262
; %bb.1256:
	s_cmp_lt_i32 s2, 8
	s_cbranch_scc1 .LBB316_1263
; %bb.1257:
	;; [unrolled: 3-line block ×3, first 2 shown]
	s_cmp_gt_i32 s2, 9
	s_cbranch_scc0 .LBB316_1265
; %bb.1259:
	global_load_b64 v[6:7], v[4:5], off
	s_wait_loadcnt 0x1
	v_mov_b32_e32 v3, 0xff
	s_mov_b32 s49, exec_lo
	s_wait_loadcnt 0x0
	v_cvt_f32_f64_e32 v6, v[6:7]
	s_delay_alu instid0(VALU_DEP_1) | instskip(SKIP_1) | instid1(VALU_DEP_1)
	v_bfe_u32 v7, v6, 23, 8
	s_wait_xcnt 0x0
	v_cmpx_ne_u32_e32 0xff, v7
	s_cbranch_execz .LBB316_1261
; %bb.1260:
	v_and_b32_e32 v3, 0x400000, v6
	v_and_or_b32 v7, 0x3fffff, v6, v7
	s_delay_alu instid0(VALU_DEP_2) | instskip(NEXT) | instid1(VALU_DEP_2)
	v_cmp_ne_u32_e32 vcc_lo, 0, v3
	v_cmp_ne_u32_e64 s1, 0, v7
	v_lshrrev_b32_e32 v3, 23, v6
	s_and_b32 s1, vcc_lo, s1
	s_delay_alu instid0(SALU_CYCLE_1) | instskip(NEXT) | instid1(VALU_DEP_1)
	v_cndmask_b32_e64 v6, 0, 1, s1
	v_add_nc_u32_e32 v3, v3, v6
.LBB316_1261:
	s_or_b32 exec_lo, exec_lo, s49
	s_mov_b32 s1, 0
	s_branch .LBB316_1266
.LBB316_1262:
	s_mov_b32 s1, -1
                                        ; implicit-def: $vgpr3
	s_branch .LBB316_1294
.LBB316_1263:
	s_mov_b32 s1, -1
                                        ; implicit-def: $vgpr3
	s_branch .LBB316_1276
.LBB316_1264:
	s_mov_b32 s1, -1
                                        ; implicit-def: $vgpr3
	s_branch .LBB316_1271
.LBB316_1265:
	s_mov_b32 s1, -1
                                        ; implicit-def: $vgpr3
.LBB316_1266:
	s_delay_alu instid0(SALU_CYCLE_1)
	s_and_not1_b32 vcc_lo, exec_lo, s1
	s_cbranch_vccnz .LBB316_1270
; %bb.1267:
	global_load_b32 v6, v[4:5], off
	s_wait_loadcnt 0x1
	v_mov_b32_e32 v3, 0xff
	s_mov_b32 s49, exec_lo
	s_wait_loadcnt 0x0
	v_bfe_u32 v7, v6, 23, 8
	s_wait_xcnt 0x0
	s_delay_alu instid0(VALU_DEP_1)
	v_cmpx_ne_u32_e32 0xff, v7
	s_cbranch_execz .LBB316_1269
; %bb.1268:
	v_and_b32_e32 v3, 0x400000, v6
	v_and_or_b32 v7, 0x3fffff, v6, v7
	s_delay_alu instid0(VALU_DEP_2) | instskip(NEXT) | instid1(VALU_DEP_2)
	v_cmp_ne_u32_e32 vcc_lo, 0, v3
	v_cmp_ne_u32_e64 s1, 0, v7
	v_lshrrev_b32_e32 v3, 23, v6
	s_and_b32 s1, vcc_lo, s1
	s_delay_alu instid0(SALU_CYCLE_1) | instskip(NEXT) | instid1(VALU_DEP_1)
	v_cndmask_b32_e64 v6, 0, 1, s1
	v_add_nc_u32_e32 v3, v3, v6
.LBB316_1269:
	s_or_b32 exec_lo, exec_lo, s49
.LBB316_1270:
	s_mov_b32 s1, 0
.LBB316_1271:
	s_delay_alu instid0(SALU_CYCLE_1)
	s_and_not1_b32 vcc_lo, exec_lo, s1
	s_cbranch_vccnz .LBB316_1275
; %bb.1272:
	s_wait_loadcnt 0x0
	global_load_b32 v3, v[4:5], off
	s_mov_b32 s49, exec_lo
	s_wait_loadcnt 0x0
	s_wait_xcnt 0x1
	v_cvt_f32_f16_e32 v6, v3
	v_mov_b32_e32 v3, 0xff
	s_delay_alu instid0(VALU_DEP_2) | instskip(SKIP_1) | instid1(VALU_DEP_1)
	v_bfe_u32 v7, v6, 23, 8
	s_wait_xcnt 0x0
	v_cmpx_ne_u32_e32 0xff, v7
	s_cbranch_execz .LBB316_1274
; %bb.1273:
	v_and_b32_e32 v3, 0x400000, v6
	v_and_or_b32 v7, 0x3fffff, v6, v7
	s_delay_alu instid0(VALU_DEP_2) | instskip(NEXT) | instid1(VALU_DEP_2)
	v_cmp_ne_u32_e32 vcc_lo, 0, v3
	v_cmp_ne_u32_e64 s1, 0, v7
	v_lshrrev_b32_e32 v3, 23, v6
	s_and_b32 s1, vcc_lo, s1
	s_delay_alu instid0(SALU_CYCLE_1) | instskip(NEXT) | instid1(VALU_DEP_1)
	v_cndmask_b32_e64 v6, 0, 1, s1
	v_add_nc_u32_e32 v3, v3, v6
.LBB316_1274:
	s_or_b32 exec_lo, exec_lo, s49
.LBB316_1275:
	s_mov_b32 s1, 0
.LBB316_1276:
	s_delay_alu instid0(SALU_CYCLE_1)
	s_and_not1_b32 vcc_lo, exec_lo, s1
	s_cbranch_vccnz .LBB316_1293
; %bb.1277:
	s_cmp_lt_i32 s2, 6
	s_cbranch_scc1 .LBB316_1282
; %bb.1278:
	s_cmp_gt_i32 s2, 6
	s_cbranch_scc0 .LBB316_1283
; %bb.1279:
	global_load_b64 v[6:7], v[4:5], off
	s_wait_loadcnt 0x1
	v_mov_b32_e32 v3, 0xff
	s_mov_b32 s49, exec_lo
	s_wait_loadcnt 0x0
	v_cvt_f32_f64_e32 v6, v[6:7]
	s_delay_alu instid0(VALU_DEP_1) | instskip(SKIP_1) | instid1(VALU_DEP_1)
	v_bfe_u32 v7, v6, 23, 8
	s_wait_xcnt 0x0
	v_cmpx_ne_u32_e32 0xff, v7
	s_cbranch_execz .LBB316_1281
; %bb.1280:
	v_and_b32_e32 v3, 0x400000, v6
	v_and_or_b32 v7, 0x3fffff, v6, v7
	s_delay_alu instid0(VALU_DEP_2) | instskip(NEXT) | instid1(VALU_DEP_2)
	v_cmp_ne_u32_e32 vcc_lo, 0, v3
	v_cmp_ne_u32_e64 s1, 0, v7
	v_lshrrev_b32_e32 v3, 23, v6
	s_and_b32 s1, vcc_lo, s1
	s_delay_alu instid0(SALU_CYCLE_1) | instskip(NEXT) | instid1(VALU_DEP_1)
	v_cndmask_b32_e64 v6, 0, 1, s1
	v_add_nc_u32_e32 v3, v3, v6
.LBB316_1281:
	s_or_b32 exec_lo, exec_lo, s49
	s_mov_b32 s1, 0
	s_branch .LBB316_1284
.LBB316_1282:
	s_mov_b32 s1, -1
                                        ; implicit-def: $vgpr3
	s_branch .LBB316_1289
.LBB316_1283:
	s_mov_b32 s1, -1
                                        ; implicit-def: $vgpr3
.LBB316_1284:
	s_delay_alu instid0(SALU_CYCLE_1)
	s_and_not1_b32 vcc_lo, exec_lo, s1
	s_cbranch_vccnz .LBB316_1288
; %bb.1285:
	global_load_b32 v6, v[4:5], off
	s_wait_loadcnt 0x1
	v_mov_b32_e32 v3, 0xff
	s_mov_b32 s49, exec_lo
	s_wait_loadcnt 0x0
	v_bfe_u32 v7, v6, 23, 8
	s_wait_xcnt 0x0
	s_delay_alu instid0(VALU_DEP_1)
	v_cmpx_ne_u32_e32 0xff, v7
	s_cbranch_execz .LBB316_1287
; %bb.1286:
	v_and_b32_e32 v3, 0x400000, v6
	v_and_or_b32 v7, 0x3fffff, v6, v7
	s_delay_alu instid0(VALU_DEP_2) | instskip(NEXT) | instid1(VALU_DEP_2)
	v_cmp_ne_u32_e32 vcc_lo, 0, v3
	v_cmp_ne_u32_e64 s1, 0, v7
	v_lshrrev_b32_e32 v3, 23, v6
	s_and_b32 s1, vcc_lo, s1
	s_delay_alu instid0(SALU_CYCLE_1) | instskip(NEXT) | instid1(VALU_DEP_1)
	v_cndmask_b32_e64 v6, 0, 1, s1
	v_add_nc_u32_e32 v3, v3, v6
.LBB316_1287:
	s_or_b32 exec_lo, exec_lo, s49
.LBB316_1288:
	s_mov_b32 s1, 0
.LBB316_1289:
	s_delay_alu instid0(SALU_CYCLE_1)
	s_and_not1_b32 vcc_lo, exec_lo, s1
	s_cbranch_vccnz .LBB316_1293
; %bb.1290:
	s_wait_loadcnt 0x0
	global_load_u16 v3, v[4:5], off
	s_mov_b32 s49, exec_lo
	s_wait_loadcnt 0x0
	s_wait_xcnt 0x1
	v_cvt_f32_f16_e32 v6, v3
	v_mov_b32_e32 v3, 0xff
	s_delay_alu instid0(VALU_DEP_2) | instskip(SKIP_1) | instid1(VALU_DEP_1)
	v_bfe_u32 v7, v6, 23, 8
	s_wait_xcnt 0x0
	v_cmpx_ne_u32_e32 0xff, v7
	s_cbranch_execz .LBB316_1292
; %bb.1291:
	v_and_b32_e32 v3, 0x400000, v6
	v_and_or_b32 v7, 0x3fffff, v6, v7
	s_delay_alu instid0(VALU_DEP_2) | instskip(NEXT) | instid1(VALU_DEP_2)
	v_cmp_ne_u32_e32 vcc_lo, 0, v3
	v_cmp_ne_u32_e64 s1, 0, v7
	v_lshrrev_b32_e32 v3, 23, v6
	s_and_b32 s1, vcc_lo, s1
	s_delay_alu instid0(SALU_CYCLE_1) | instskip(NEXT) | instid1(VALU_DEP_1)
	v_cndmask_b32_e64 v6, 0, 1, s1
	v_add_nc_u32_e32 v3, v3, v6
.LBB316_1292:
	s_or_b32 exec_lo, exec_lo, s49
.LBB316_1293:
	s_mov_b32 s1, 0
.LBB316_1294:
	s_delay_alu instid0(SALU_CYCLE_1)
	s_and_not1_b32 vcc_lo, exec_lo, s1
	s_cbranch_vccnz .LBB316_1324
; %bb.1295:
	s_cmp_lt_i32 s2, 2
	s_cbranch_scc1 .LBB316_1301
; %bb.1296:
	s_cmp_lt_i32 s2, 3
	s_cbranch_scc1 .LBB316_1302
; %bb.1297:
	s_cmp_gt_i32 s2, 3
	s_cbranch_scc0 .LBB316_1303
; %bb.1298:
	global_load_b64 v[6:7], v[4:5], off
	s_mov_b32 s49, exec_lo
	s_wait_loadcnt 0x0
	v_xor_b32_e32 v3, v6, v7
	v_cls_i32_e32 v8, v7
	s_delay_alu instid0(VALU_DEP_2) | instskip(NEXT) | instid1(VALU_DEP_1)
	v_ashrrev_i32_e32 v3, 31, v3
	v_add_nc_u32_e32 v3, 32, v3
	s_delay_alu instid0(VALU_DEP_1) | instskip(NEXT) | instid1(VALU_DEP_1)
	v_add_min_u32_e64 v3, v8, -1, v3
	v_lshlrev_b64_e32 v[6:7], v3, v[6:7]
	v_sub_nc_u32_e32 v3, 32, v3
	s_delay_alu instid0(VALU_DEP_2) | instskip(NEXT) | instid1(VALU_DEP_1)
	v_min_u32_e32 v6, 1, v6
	v_or_b32_e32 v6, v7, v6
	s_delay_alu instid0(VALU_DEP_1) | instskip(NEXT) | instid1(VALU_DEP_1)
	v_cvt_f32_i32_e32 v6, v6
	v_ldexp_f32 v6, v6, v3
	v_mov_b32_e32 v3, 0xff
	s_delay_alu instid0(VALU_DEP_2) | instskip(SKIP_1) | instid1(VALU_DEP_1)
	v_bfe_u32 v7, v6, 23, 8
	s_wait_xcnt 0x0
	v_cmpx_ne_u32_e32 0xff, v7
	s_cbranch_execz .LBB316_1300
; %bb.1299:
	v_and_b32_e32 v3, 0x400000, v6
	v_and_or_b32 v7, 0x3fffff, v6, v7
	s_delay_alu instid0(VALU_DEP_2) | instskip(NEXT) | instid1(VALU_DEP_2)
	v_cmp_ne_u32_e32 vcc_lo, 0, v3
	v_cmp_ne_u32_e64 s1, 0, v7
	v_lshrrev_b32_e32 v3, 23, v6
	s_and_b32 s1, vcc_lo, s1
	s_delay_alu instid0(SALU_CYCLE_1) | instskip(NEXT) | instid1(VALU_DEP_1)
	v_cndmask_b32_e64 v6, 0, 1, s1
	v_add_nc_u32_e32 v3, v3, v6
.LBB316_1300:
	s_or_b32 exec_lo, exec_lo, s49
	s_mov_b32 s1, 0
	s_branch .LBB316_1304
.LBB316_1301:
	s_mov_b32 s1, -1
                                        ; implicit-def: $vgpr3
	s_branch .LBB316_1314
.LBB316_1302:
	s_mov_b32 s1, -1
                                        ; implicit-def: $vgpr3
	s_branch .LBB316_1309
.LBB316_1303:
	s_mov_b32 s1, -1
                                        ; implicit-def: $vgpr3
.LBB316_1304:
	s_delay_alu instid0(SALU_CYCLE_1)
	s_and_not1_b32 vcc_lo, exec_lo, s1
	s_cbranch_vccnz .LBB316_1308
; %bb.1305:
	s_wait_loadcnt 0x0
	global_load_b32 v3, v[4:5], off
	s_mov_b32 s49, exec_lo
	s_wait_loadcnt 0x0
	s_wait_xcnt 0x1
	v_cvt_f32_i32_e32 v6, v3
	v_mov_b32_e32 v3, 0xff
	s_delay_alu instid0(VALU_DEP_2) | instskip(SKIP_1) | instid1(VALU_DEP_1)
	v_bfe_u32 v7, v6, 23, 8
	s_wait_xcnt 0x0
	v_cmpx_ne_u32_e32 0xff, v7
	s_cbranch_execz .LBB316_1307
; %bb.1306:
	v_and_b32_e32 v3, 0x400000, v6
	v_and_or_b32 v7, 0x3fffff, v6, v7
	s_delay_alu instid0(VALU_DEP_2) | instskip(NEXT) | instid1(VALU_DEP_2)
	v_cmp_ne_u32_e32 vcc_lo, 0, v3
	v_cmp_ne_u32_e64 s1, 0, v7
	v_lshrrev_b32_e32 v3, 23, v6
	s_and_b32 s1, vcc_lo, s1
	s_delay_alu instid0(SALU_CYCLE_1) | instskip(NEXT) | instid1(VALU_DEP_1)
	v_cndmask_b32_e64 v6, 0, 1, s1
	v_add_nc_u32_e32 v3, v3, v6
.LBB316_1307:
	s_or_b32 exec_lo, exec_lo, s49
.LBB316_1308:
	s_mov_b32 s1, 0
.LBB316_1309:
	s_delay_alu instid0(SALU_CYCLE_1)
	s_and_not1_b32 vcc_lo, exec_lo, s1
	s_cbranch_vccnz .LBB316_1313
; %bb.1310:
	s_wait_loadcnt 0x0
	global_load_i16 v3, v[4:5], off
	s_mov_b32 s49, exec_lo
	s_wait_loadcnt 0x0
	s_wait_xcnt 0x1
	v_cvt_f32_i32_e32 v6, v3
	v_mov_b32_e32 v3, 0xff
	s_delay_alu instid0(VALU_DEP_2) | instskip(SKIP_1) | instid1(VALU_DEP_1)
	v_bfe_u32 v7, v6, 23, 8
	s_wait_xcnt 0x0
	v_cmpx_ne_u32_e32 0xff, v7
	s_cbranch_execz .LBB316_1312
; %bb.1311:
	v_and_b32_e32 v3, 0x400000, v6
	v_and_or_b32 v7, 0x3fffff, v6, v7
	s_delay_alu instid0(VALU_DEP_2) | instskip(NEXT) | instid1(VALU_DEP_2)
	v_cmp_ne_u32_e32 vcc_lo, 0, v3
	v_cmp_ne_u32_e64 s1, 0, v7
	v_lshrrev_b32_e32 v3, 23, v6
	s_and_b32 s1, vcc_lo, s1
	s_delay_alu instid0(SALU_CYCLE_1) | instskip(NEXT) | instid1(VALU_DEP_1)
	v_cndmask_b32_e64 v6, 0, 1, s1
	v_add_nc_u32_e32 v3, v3, v6
.LBB316_1312:
	s_or_b32 exec_lo, exec_lo, s49
.LBB316_1313:
	s_mov_b32 s1, 0
.LBB316_1314:
	s_delay_alu instid0(SALU_CYCLE_1)
	s_and_not1_b32 vcc_lo, exec_lo, s1
	s_cbranch_vccnz .LBB316_1324
; %bb.1315:
	s_cmp_gt_i32 s2, 0
	s_cbranch_scc0 .LBB316_1319
; %bb.1316:
	s_wait_loadcnt 0x0
	global_load_i8 v3, v[4:5], off
	s_mov_b32 s2, exec_lo
	s_wait_loadcnt 0x0
	s_wait_xcnt 0x1
	v_cvt_f32_i32_e32 v6, v3
	v_mov_b32_e32 v3, 0xff
	s_delay_alu instid0(VALU_DEP_2) | instskip(SKIP_1) | instid1(VALU_DEP_1)
	v_bfe_u32 v7, v6, 23, 8
	s_wait_xcnt 0x0
	v_cmpx_ne_u32_e32 0xff, v7
	s_cbranch_execz .LBB316_1318
; %bb.1317:
	v_and_b32_e32 v3, 0x400000, v6
	v_and_or_b32 v7, 0x3fffff, v6, v7
	s_delay_alu instid0(VALU_DEP_2) | instskip(NEXT) | instid1(VALU_DEP_2)
	v_cmp_ne_u32_e32 vcc_lo, 0, v3
	v_cmp_ne_u32_e64 s1, 0, v7
	v_lshrrev_b32_e32 v3, 23, v6
	s_and_b32 s1, vcc_lo, s1
	s_delay_alu instid0(SALU_CYCLE_1) | instskip(NEXT) | instid1(VALU_DEP_1)
	v_cndmask_b32_e64 v6, 0, 1, s1
	v_add_nc_u32_e32 v3, v3, v6
.LBB316_1318:
	s_or_b32 exec_lo, exec_lo, s2
	s_mov_b32 s1, 0
	s_branch .LBB316_1320
.LBB316_1319:
	s_mov_b32 s1, -1
                                        ; implicit-def: $vgpr3
.LBB316_1320:
	s_delay_alu instid0(SALU_CYCLE_1)
	s_and_not1_b32 vcc_lo, exec_lo, s1
	s_cbranch_vccnz .LBB316_1324
; %bb.1321:
	s_wait_loadcnt 0x0
	global_load_u8 v3, v[4:5], off
	s_mov_b32 s2, exec_lo
	s_wait_loadcnt 0x0
	v_cvt_f32_ubyte0_e32 v5, v3
	s_delay_alu instid0(VALU_DEP_1) | instskip(NEXT) | instid1(VALU_DEP_1)
	v_dual_mov_b32 v3, 0xff :: v_dual_lshrrev_b32 v4, 23, v5
	v_cmpx_ne_u32_e32 0xff, v4
; %bb.1322:
	v_and_b32_e32 v3, 0x400000, v5
	v_and_or_b32 v5, 0x3fffff, v5, v4
	s_delay_alu instid0(VALU_DEP_2) | instskip(NEXT) | instid1(VALU_DEP_2)
	v_cmp_ne_u32_e32 vcc_lo, 0, v3
	v_cmp_ne_u32_e64 s1, 0, v5
	s_and_b32 s1, vcc_lo, s1
	s_delay_alu instid0(SALU_CYCLE_1) | instskip(NEXT) | instid1(VALU_DEP_1)
	v_cndmask_b32_e64 v3, 0, 1, s1
	v_add_nc_u32_e32 v3, v4, v3
; %bb.1323:
	s_or_b32 exec_lo, exec_lo, s2
.LBB316_1324:
	s_mov_b32 s1, -1
.LBB316_1325:
	s_delay_alu instid0(SALU_CYCLE_1)
	s_and_not1_b32 vcc_lo, exec_lo, s1
	s_cbranch_vccnz .LBB316_1333
; %bb.1326:
	s_wait_loadcnt 0x0
	v_and_b32_e32 v1, 0xff, v1
	v_and_b32_e32 v3, 0xff, v3
	s_and_b32 s49, s11, 0xff
	s_mov_b32 s51, 0
	s_mov_b32 s50, -1
	s_wait_xcnt 0x0
	v_dual_lshlrev_b32 v4, 23, v1 :: v_dual_lshlrev_b32 v5, 23, v3
	v_cmp_ne_u16_e32 vcc_lo, 0xff, v1
	s_cmp_lt_i32 s49, 11
	s_mov_b32 s2, s45
	s_delay_alu instid0(VALU_DEP_2) | instskip(SKIP_3) | instid1(VALU_DEP_4)
	v_cndmask_b32_e32 v4, 0x7f800001, v4, vcc_lo
	v_cmp_ne_u16_e32 vcc_lo, 0xff, v3
	v_cndmask_b32_e32 v5, 0x7f800001, v5, vcc_lo
	v_cmp_ne_u16_e32 vcc_lo, 0, v1
	;; [unrolled: 2-line block ×3, first 2 shown]
	s_delay_alu instid0(VALU_DEP_4) | instskip(NEXT) | instid1(VALU_DEP_1)
	v_cndmask_b32_e32 v3, 0x400000, v5, vcc_lo
	v_cmp_eq_f32_e32 vcc_lo, v1, v3
	v_cndmask_b32_e64 v4, 0, 1, vcc_lo
	v_cmp_neq_f32_e32 vcc_lo, v1, v3
	v_mov_b32_e32 v3, 0
	v_cndmask_b32_e64 v1, 0, 1, vcc_lo
	s_delay_alu instid0(VALU_DEP_2) | instskip(NEXT) | instid1(VALU_DEP_2)
	v_add_nc_u64_e32 v[2:3], s[4:5], v[2:3]
	v_cndmask_b32_e64 v1, v1, v4, s0
	s_delay_alu instid0(VALU_DEP_1) | instskip(NEXT) | instid1(VALU_DEP_1)
	v_and_b32_e32 v1, 1, v1
	v_cmp_eq_u32_e64 s1, 1, v1
	s_cbranch_scc1 .LBB316_1334
; %bb.1327:
	s_and_b32 s50, 0xffff, s49
	s_delay_alu instid0(SALU_CYCLE_1)
	s_cmp_gt_i32 s50, 25
	s_cbranch_scc0 .LBB316_1401
; %bb.1328:
	s_cmp_gt_i32 s50, 28
	s_cbranch_scc0 .LBB316_1403
; %bb.1329:
	;; [unrolled: 3-line block ×4, first 2 shown]
	s_mov_b32 s52, 0
	s_mov_b32 s2, -1
	s_cmp_eq_u32 s50, 46
	s_cbranch_scc0 .LBB316_1408
; %bb.1332:
	v_cndmask_b32_e64 v1, 0, 1.0, s1
	s_mov_b32 s51, -1
	s_mov_b32 s2, 0
	s_delay_alu instid0(VALU_DEP_1) | instskip(NEXT) | instid1(VALU_DEP_1)
	v_bfe_u32 v4, v1, 16, 1
	v_add3_u32 v1, v1, v4, 0x7fff
	s_delay_alu instid0(VALU_DEP_1)
	v_lshrrev_b32_e32 v1, 16, v1
	global_store_b32 v[2:3], v1, off
	s_branch .LBB316_1408
.LBB316_1333:
	s_mov_b32 s1, 0
	s_mov_b32 s2, s45
	s_branch .LBB316_1374
.LBB316_1334:
	s_and_b32 vcc_lo, exec_lo, s50
	s_cbranch_vccz .LBB316_1477
; %bb.1335:
	s_and_b32 s49, 0xffff, s49
	s_mov_b32 s50, -1
	s_cmp_lt_i32 s49, 5
	s_cbranch_scc1 .LBB316_1356
; %bb.1336:
	s_cmp_lt_i32 s49, 8
	s_cbranch_scc1 .LBB316_1346
; %bb.1337:
	;; [unrolled: 3-line block ×3, first 2 shown]
	s_cmp_gt_i32 s49, 9
	s_cbranch_scc0 .LBB316_1340
; %bb.1339:
	s_wait_xcnt 0x0
	v_cndmask_b32_e64 v1, 0, 1, s1
	v_mov_b32_e32 v6, 0
	s_mov_b32 s50, 0
	s_delay_alu instid0(VALU_DEP_2) | instskip(NEXT) | instid1(VALU_DEP_2)
	v_cvt_f64_u32_e32 v[4:5], v1
	v_mov_b32_e32 v7, v6
	global_store_b128 v[2:3], v[4:7], off
.LBB316_1340:
	s_and_not1_b32 vcc_lo, exec_lo, s50
	s_cbranch_vccnz .LBB316_1342
; %bb.1341:
	s_wait_xcnt 0x0
	v_cndmask_b32_e64 v4, 0, 1.0, s1
	v_mov_b32_e32 v5, 0
	global_store_b64 v[2:3], v[4:5], off
.LBB316_1342:
	s_mov_b32 s50, 0
.LBB316_1343:
	s_delay_alu instid0(SALU_CYCLE_1)
	s_and_not1_b32 vcc_lo, exec_lo, s50
	s_cbranch_vccnz .LBB316_1345
; %bb.1344:
	s_wait_xcnt 0x0
	v_cndmask_b32_e64 v1, 0, 1.0, s1
	s_delay_alu instid0(VALU_DEP_1) | instskip(NEXT) | instid1(VALU_DEP_1)
	v_cvt_f16_f32_e32 v1, v1
	v_and_b32_e32 v1, 0xffff, v1
	global_store_b32 v[2:3], v1, off
.LBB316_1345:
	s_mov_b32 s50, 0
.LBB316_1346:
	s_delay_alu instid0(SALU_CYCLE_1)
	s_and_not1_b32 vcc_lo, exec_lo, s50
	s_cbranch_vccnz .LBB316_1355
; %bb.1347:
	s_cmp_lt_i32 s49, 6
	s_mov_b32 s50, -1
	s_cbranch_scc1 .LBB316_1353
; %bb.1348:
	s_cmp_gt_i32 s49, 6
	s_cbranch_scc0 .LBB316_1350
; %bb.1349:
	s_wait_xcnt 0x0
	v_cndmask_b32_e64 v1, 0, 1, s1
	s_mov_b32 s50, 0
	s_delay_alu instid0(VALU_DEP_1)
	v_cvt_f64_u32_e32 v[4:5], v1
	global_store_b64 v[2:3], v[4:5], off
.LBB316_1350:
	s_and_not1_b32 vcc_lo, exec_lo, s50
	s_cbranch_vccnz .LBB316_1352
; %bb.1351:
	s_wait_xcnt 0x0
	v_cndmask_b32_e64 v1, 0, 1.0, s1
	global_store_b32 v[2:3], v1, off
.LBB316_1352:
	s_mov_b32 s50, 0
.LBB316_1353:
	s_delay_alu instid0(SALU_CYCLE_1)
	s_and_not1_b32 vcc_lo, exec_lo, s50
	s_cbranch_vccnz .LBB316_1355
; %bb.1354:
	s_wait_xcnt 0x0
	v_cndmask_b32_e64 v1, 0, 1.0, s1
	s_delay_alu instid0(VALU_DEP_1)
	v_cvt_f16_f32_e32 v1, v1
	global_store_b16 v[2:3], v1, off
.LBB316_1355:
	s_mov_b32 s50, 0
.LBB316_1356:
	s_delay_alu instid0(SALU_CYCLE_1)
	s_and_not1_b32 vcc_lo, exec_lo, s50
	s_cbranch_vccnz .LBB316_1372
; %bb.1357:
	s_cmp_lt_i32 s49, 2
	s_mov_b32 s50, -1
	s_cbranch_scc1 .LBB316_1367
; %bb.1358:
	s_cmp_lt_i32 s49, 3
	s_cbranch_scc1 .LBB316_1364
; %bb.1359:
	s_cmp_gt_i32 s49, 3
	s_cbranch_scc0 .LBB316_1361
; %bb.1360:
	s_mov_b32 s50, 0
	s_wait_xcnt 0x0
	v_cndmask_b32_e64 v4, 0, 1, s1
	v_mov_b32_e32 v5, s50
	global_store_b64 v[2:3], v[4:5], off
.LBB316_1361:
	s_and_not1_b32 vcc_lo, exec_lo, s50
	s_cbranch_vccnz .LBB316_1363
; %bb.1362:
	s_wait_xcnt 0x0
	v_cndmask_b32_e64 v1, 0, 1, s1
	global_store_b32 v[2:3], v1, off
.LBB316_1363:
	s_mov_b32 s50, 0
.LBB316_1364:
	s_delay_alu instid0(SALU_CYCLE_1)
	s_and_not1_b32 vcc_lo, exec_lo, s50
	s_cbranch_vccnz .LBB316_1366
; %bb.1365:
	s_wait_xcnt 0x0
	v_cndmask_b32_e64 v1, 0, 1, s1
	global_store_b16 v[2:3], v1, off
.LBB316_1366:
	s_mov_b32 s50, 0
.LBB316_1367:
	s_delay_alu instid0(SALU_CYCLE_1)
	s_and_not1_b32 vcc_lo, exec_lo, s50
	s_cbranch_vccnz .LBB316_1372
; %bb.1368:
	s_wait_xcnt 0x0
	v_cndmask_b32_e64 v1, 0, 1, s1
	s_cmp_gt_i32 s49, 0
	s_mov_b32 s1, -1
	s_cbranch_scc0 .LBB316_1370
; %bb.1369:
	s_mov_b32 s1, 0
	global_store_b8 v[2:3], v1, off
.LBB316_1370:
	s_and_not1_b32 vcc_lo, exec_lo, s1
	s_cbranch_vccnz .LBB316_1372
; %bb.1371:
	global_store_b8 v[2:3], v1, off
.LBB316_1372:
	s_branch .LBB316_1478
.LBB316_1373:
	s_mov_b32 s1, 0
.LBB316_1374:
                                        ; implicit-def: $vgpr0
.LBB316_1375:
	s_and_not1_b32 s49, s45, exec_lo
	s_and_b32 s2, s2, exec_lo
	s_and_b32 s29, s29, exec_lo
	s_or_b32 s49, s49, s2
	s_and_not1_b32 s2, s46, exec_lo
	s_and_not1_b32 s51, s44, exec_lo
	s_and_b32 s28, s28, exec_lo
	s_or_b32 s50, s2, s29
	s_or_b32 s2, s51, s28
	s_or_not1_b32 s52, s1, exec_lo
.LBB316_1376:
	s_wait_xcnt 0x0
	s_or_b32 exec_lo, exec_lo, s48
	s_mov_b32 s1, 0
	s_mov_b32 s51, 0
	;; [unrolled: 1-line block ×3, first 2 shown]
                                        ; implicit-def: $sgpr28
                                        ; implicit-def: $vgpr6_vgpr7
                                        ; implicit-def: $vgpr4
                                        ; implicit-def: $vgpr2
                                        ; implicit-def: $vgpr3
	s_and_saveexec_b32 s48, s52
	s_cbranch_execz .LBB316_1564
; %bb.1377:
	v_cmp_gt_i32_e32 vcc_lo, s39, v0
	s_mov_b32 s52, s2
                                        ; implicit-def: $sgpr28
                                        ; implicit-def: $vgpr6_vgpr7
                                        ; implicit-def: $vgpr4
                                        ; implicit-def: $vgpr2
                                        ; implicit-def: $vgpr3
	s_and_saveexec_b32 s39, vcc_lo
	s_cbranch_execz .LBB316_1563
; %bb.1378:
	s_and_not1_b32 vcc_lo, exec_lo, s34
	s_cbranch_vccnz .LBB316_1384
; %bb.1379:
	s_and_not1_b32 vcc_lo, exec_lo, s40
	s_cbranch_vccnz .LBB316_1385
; %bb.1380:
	s_wait_loadcnt 0x0
	v_dual_mov_b32 v2, 0 :: v_dual_mov_b32 v1, v0
	v_dual_mov_b32 v6, 0 :: v_dual_mov_b32 v4, 0
	s_add_co_i32 s1, s38, 1
	s_mov_b64 s[28:29], 0xffffffffffffffe8
	s_and_b32 s1, s1, 30
	s_add_nc_u64 s[28:29], s[20:21], s[28:29]
.LBB316_1381:                           ; =>This Inner Loop Header: Depth=1
	s_clause 0x1
	s_load_b128 s[52:55], s[28:29], 0x1c
	s_load_b64 s[60:61], s[28:29], 0x2c
	s_add_co_i32 s1, s1, -2
	s_delay_alu instid0(SALU_CYCLE_1) | instskip(SKIP_2) | instid1(VALU_DEP_1)
	s_cmp_eq_u32 s1, 0
	s_wait_kmcnt 0x0
	v_mul_hi_u32 v3, s53, v1
	v_add_nc_u32_e32 v3, v1, v3
	s_delay_alu instid0(VALU_DEP_1) | instskip(NEXT) | instid1(VALU_DEP_1)
	v_lshrrev_b32_e32 v3, s54, v3
	v_mul_hi_u32 v5, s60, v3
	v_mul_lo_u32 v7, v3, s52
	s_clause 0x1
	s_load_b128 s[56:59], s[28:29], 0xdc
	s_load_b64 s[52:53], s[28:29], 0xec
	s_wait_xcnt 0x0
	s_add_nc_u64 s[28:29], s[28:29], 24
	s_delay_alu instid0(VALU_DEP_1) | instskip(NEXT) | instid1(VALU_DEP_1)
	v_dual_add_nc_u32 v5, v3, v5 :: v_dual_sub_nc_u32 v7, v1, v7
	v_lshrrev_b32_e32 v1, s61, v5
	s_wait_kmcnt 0x0
	s_delay_alu instid0(VALU_DEP_2) | instskip(NEXT) | instid1(VALU_DEP_2)
	v_mad_u32 v2, v7, s56, v2
	v_mul_lo_u32 v5, v1, s55
	v_mad_u32 v4, v7, s58, v4
	v_mad_u32 v6, v7, s57, v6
	s_delay_alu instid0(VALU_DEP_3) | instskip(NEXT) | instid1(VALU_DEP_1)
	v_sub_nc_u32_e32 v3, v3, v5
	v_mad_u32 v2, v3, s59, v2
	s_delay_alu instid0(VALU_DEP_4) | instskip(NEXT) | instid1(VALU_DEP_4)
	v_mad_u32 v4, v3, s53, v4
	v_mad_u32 v6, v3, s52, v6
	s_cbranch_scc0 .LBB316_1381
; %bb.1382:
	s_bitcmp1_b32 s38, 0
	s_cselect_b32 s1, -1, 0
	s_delay_alu instid0(SALU_CYCLE_1)
	s_and_b32 vcc_lo, exec_lo, s1
	s_cbranch_vccnz .LBB316_1386
; %bb.1383:
	s_clause 0x1
	s_load_b96 s[52:54], s[28:29], 0x1c
	s_load_b96 s[56:58], s[28:29], 0xdc
	s_wait_kmcnt 0x0
	v_mul_hi_u32 v3, s53, v1
	s_delay_alu instid0(VALU_DEP_1) | instskip(NEXT) | instid1(VALU_DEP_1)
	v_add_nc_u32_e32 v3, v1, v3
	v_lshrrev_b32_e32 v3, s54, v3
	s_delay_alu instid0(VALU_DEP_1) | instskip(NEXT) | instid1(VALU_DEP_1)
	v_mul_lo_u32 v3, v3, s52
	v_sub_nc_u32_e32 v1, v1, v3
	s_delay_alu instid0(VALU_DEP_1)
	v_mad_u32 v2, v1, s56, v2
	v_mad_u32 v6, v1, s57, v6
	;; [unrolled: 1-line block ×3, first 2 shown]
	s_branch .LBB316_1386
.LBB316_1384:
	s_mov_b32 s1, -1
                                        ; implicit-def: $vgpr4
                                        ; implicit-def: $vgpr6
                                        ; implicit-def: $vgpr2
	s_branch .LBB316_1387
.LBB316_1385:
	v_dual_mov_b32 v4, 0 :: v_dual_mov_b32 v6, 0
	v_mov_b32_e32 v2, 0
.LBB316_1386:
	s_mov_b32 s1, 0
.LBB316_1387:
	s_delay_alu instid0(SALU_CYCLE_1)
	s_and_not1_b32 vcc_lo, exec_lo, s1
	s_cbranch_vccnz .LBB316_1390
; %bb.1388:
	s_wait_loadcnt 0x0
	v_mov_b32_e32 v1, 0
	s_and_not1_b32 vcc_lo, exec_lo, s37
	s_delay_alu instid0(VALU_DEP_1) | instskip(NEXT) | instid1(VALU_DEP_1)
	v_mul_u64_e32 v[2:3], s[22:23], v[0:1]
	v_add_nc_u32_e32 v2, v0, v3
	s_delay_alu instid0(VALU_DEP_1) | instskip(NEXT) | instid1(VALU_DEP_1)
	v_lshrrev_b32_e32 v8, s14, v2
	v_mul_lo_u32 v2, v8, s12
	s_delay_alu instid0(VALU_DEP_1) | instskip(NEXT) | instid1(VALU_DEP_1)
	v_sub_nc_u32_e32 v0, v0, v2
	v_mul_lo_u32 v2, v0, s16
	v_mul_lo_u32 v4, v0, s18
	;; [unrolled: 1-line block ×3, first 2 shown]
	s_cbranch_vccnz .LBB316_1390
; %bb.1389:
	v_mov_b32_e32 v9, v1
	s_delay_alu instid0(VALU_DEP_1) | instskip(NEXT) | instid1(VALU_DEP_1)
	v_mul_u64_e32 v[0:1], s[26:27], v[8:9]
	v_add_nc_u32_e32 v0, v8, v1
	s_delay_alu instid0(VALU_DEP_1) | instskip(NEXT) | instid1(VALU_DEP_1)
	v_lshrrev_b32_e32 v0, s3, v0
	v_mul_lo_u32 v0, v0, s15
	s_delay_alu instid0(VALU_DEP_1) | instskip(NEXT) | instid1(VALU_DEP_1)
	v_sub_nc_u32_e32 v0, v8, v0
	v_mad_u32 v2, v0, s19, v2
	v_mad_u32 v6, v0, s24, v6
	;; [unrolled: 1-line block ×3, first 2 shown]
.LBB316_1390:
	v_mov_b32_e32 v7, 0
	s_and_b32 s28, s36, 0xff
	s_delay_alu instid0(SALU_CYCLE_1) | instskip(NEXT) | instid1(VALU_DEP_1)
	s_cmp_lt_i32 s28, 11
	v_add_nc_u64_e32 v[6:7], s[6:7], v[6:7]
	s_cbranch_scc1 .LBB316_1399
; %bb.1391:
	s_and_b32 s3, 0xffff, s28
	s_mov_b32 s7, 0
	s_cmp_gt_i32 s3, 25
	s_cbranch_scc0 .LBB316_1400
; %bb.1392:
	s_cmp_gt_i32 s3, 28
	s_cbranch_scc0 .LBB316_1402
; %bb.1393:
	;; [unrolled: 3-line block ×4, first 2 shown]
	s_cmp_eq_u32 s3, 46
	s_mov_b32 s12, 0
	s_cbranch_scc0 .LBB316_1479
; %bb.1396:
	global_load_b32 v0, v[6:7], off
	s_wait_loadcnt 0x1
	v_mov_b32_e32 v3, 0xff
	s_mov_b32 s6, exec_lo
	s_wait_loadcnt 0x0
	v_lshlrev_b32_e32 v1, 16, v0
	s_delay_alu instid0(VALU_DEP_1) | instskip(SKIP_1) | instid1(VALU_DEP_1)
	v_bfe_u32 v5, v1, 23, 8
	s_wait_xcnt 0x0
	v_cmpx_ne_u32_e32 0xff, v5
	s_cbranch_execz .LBB316_1398
; %bb.1397:
	v_and_b32_e32 v3, 64, v0
	v_and_or_b32 v1, 0x3f0000, v1, v5
	v_bfe_u32 v0, v0, 7, 9
	s_delay_alu instid0(VALU_DEP_3) | instskip(NEXT) | instid1(VALU_DEP_3)
	v_cmp_ne_u32_e32 vcc_lo, 0, v3
	v_cmp_ne_u32_e64 s1, 0, v1
	s_and_b32 s1, vcc_lo, s1
	s_delay_alu instid0(SALU_CYCLE_1) | instskip(NEXT) | instid1(VALU_DEP_1)
	v_cndmask_b32_e64 v1, 0, 1, s1
	v_add_nc_u32_e32 v3, v0, v1
.LBB316_1398:
	s_or_b32 exec_lo, exec_lo, s6
	s_mov_b32 s6, 0
	s_mov_b32 s1, -1
	s_branch .LBB316_1481
.LBB316_1399:
	s_mov_b32 s3, -1
	s_mov_b32 s1, 0
	s_mov_b32 s7, 0
	;; [unrolled: 1-line block ×3, first 2 shown]
                                        ; implicit-def: $vgpr3
	s_branch .LBB316_1562
.LBB316_1400:
	s_mov_b32 s12, -1
	s_mov_b32 s1, 0
	s_mov_b32 s6, s2
                                        ; implicit-def: $vgpr3
	s_branch .LBB316_1522
.LBB316_1401:
	s_mov_b32 s52, -1
	s_mov_b32 s2, s45
	s_branch .LBB316_1435
.LBB316_1402:
	s_mov_b32 s12, -1
	s_mov_b32 s1, 0
	s_mov_b32 s6, s2
                                        ; implicit-def: $vgpr3
	s_branch .LBB316_1495
.LBB316_1403:
	s_mov_b32 s52, -1
	s_mov_b32 s2, s45
	s_branch .LBB316_1418
.LBB316_1404:
	s_mov_b32 s12, -1
	s_mov_b32 s1, 0
	s_mov_b32 s6, s2
                                        ; implicit-def: $vgpr3
	s_branch .LBB316_1488
.LBB316_1405:
	s_mov_b32 s52, -1
	s_mov_b32 s2, s45
	s_branch .LBB316_1414
.LBB316_1406:
	s_mov_b32 s12, -1
	s_mov_b32 s1, 0
	s_mov_b32 s6, s2
	s_branch .LBB316_1480
.LBB316_1407:
	s_mov_b32 s52, -1
	s_mov_b32 s2, s45
.LBB316_1408:
	s_and_b32 vcc_lo, exec_lo, s52
	s_cbranch_vccz .LBB316_1413
; %bb.1409:
	s_cmp_eq_u32 s50, 44
	s_mov_b32 s2, -1
	s_cbranch_scc0 .LBB316_1413
; %bb.1410:
	v_cndmask_b32_e64 v5, 0, 1.0, s1
	s_mov_b32 s51, exec_lo
	s_wait_xcnt 0x0
	s_delay_alu instid0(VALU_DEP_1) | instskip(NEXT) | instid1(VALU_DEP_1)
	v_dual_mov_b32 v4, 0xff :: v_dual_lshrrev_b32 v1, 23, v5
	v_cmpx_ne_u32_e32 0xff, v1
; %bb.1411:
	v_and_b32_e32 v4, 0x400000, v5
	v_and_or_b32 v5, 0x3fffff, v5, v1
	s_delay_alu instid0(VALU_DEP_2) | instskip(NEXT) | instid1(VALU_DEP_2)
	v_cmp_ne_u32_e32 vcc_lo, 0, v4
	v_cmp_ne_u32_e64 s2, 0, v5
	s_and_b32 s2, vcc_lo, s2
	s_delay_alu instid0(SALU_CYCLE_1) | instskip(NEXT) | instid1(VALU_DEP_1)
	v_cndmask_b32_e64 v4, 0, 1, s2
	v_add_nc_u32_e32 v4, v1, v4
; %bb.1412:
	s_or_b32 exec_lo, exec_lo, s51
	s_mov_b32 s51, -1
	s_mov_b32 s2, 0
	global_store_b8 v[2:3], v4, off
.LBB316_1413:
	s_mov_b32 s52, 0
.LBB316_1414:
	s_delay_alu instid0(SALU_CYCLE_1)
	s_and_b32 vcc_lo, exec_lo, s52
	s_cbranch_vccz .LBB316_1417
; %bb.1415:
	s_cmp_eq_u32 s50, 29
	s_mov_b32 s2, -1
	s_cbranch_scc0 .LBB316_1417
; %bb.1416:
	s_mov_b32 s2, 0
	s_wait_xcnt 0x0
	v_cndmask_b32_e64 v4, 0, 1, s1
	v_mov_b32_e32 v5, s2
	s_mov_b32 s51, -1
	s_mov_b32 s52, 0
	global_store_b64 v[2:3], v[4:5], off
	s_branch .LBB316_1418
.LBB316_1417:
	s_mov_b32 s52, 0
.LBB316_1418:
	s_delay_alu instid0(SALU_CYCLE_1)
	s_and_b32 vcc_lo, exec_lo, s52
	s_cbranch_vccz .LBB316_1434
; %bb.1419:
	s_cmp_lt_i32 s50, 27
	s_mov_b32 s51, -1
	s_cbranch_scc1 .LBB316_1425
; %bb.1420:
	s_cmp_gt_i32 s50, 27
	s_cbranch_scc0 .LBB316_1422
; %bb.1421:
	s_wait_xcnt 0x0
	v_cndmask_b32_e64 v1, 0, 1, s1
	s_mov_b32 s51, 0
	global_store_b32 v[2:3], v1, off
.LBB316_1422:
	s_and_not1_b32 vcc_lo, exec_lo, s51
	s_cbranch_vccnz .LBB316_1424
; %bb.1423:
	s_wait_xcnt 0x0
	v_cndmask_b32_e64 v1, 0, 1, s1
	global_store_b16 v[2:3], v1, off
.LBB316_1424:
	s_mov_b32 s51, 0
.LBB316_1425:
	s_delay_alu instid0(SALU_CYCLE_1)
	s_and_not1_b32 vcc_lo, exec_lo, s51
	s_cbranch_vccnz .LBB316_1433
; %bb.1426:
	s_wait_xcnt 0x0
	v_cndmask_b32_e64 v4, 0, 1.0, s1
	v_mov_b32_e32 v5, 0x80
	s_mov_b32 s51, exec_lo
	s_delay_alu instid0(VALU_DEP_2)
	v_cmpx_gt_u32_e32 0x43800000, v4
	s_cbranch_execz .LBB316_1432
; %bb.1427:
	s_mov_b32 s52, 0
	s_mov_b32 s53, exec_lo
                                        ; implicit-def: $vgpr1
	v_cmpx_lt_u32_e32 0x3bffffff, v4
	s_xor_b32 s53, exec_lo, s53
	s_cbranch_execz .LBB316_1484
; %bb.1428:
	v_bfe_u32 v1, v4, 20, 1
	s_mov_b32 s52, exec_lo
	s_delay_alu instid0(VALU_DEP_1) | instskip(NEXT) | instid1(VALU_DEP_1)
	v_add3_u32 v1, v4, v1, 0x487ffff
                                        ; implicit-def: $vgpr4
	v_lshrrev_b32_e32 v1, 20, v1
	s_and_not1_saveexec_b32 s53, s53
	s_cbranch_execnz .LBB316_1485
.LBB316_1429:
	s_or_b32 exec_lo, exec_lo, s53
	v_mov_b32_e32 v5, 0
	s_and_saveexec_b32 s53, s52
.LBB316_1430:
	v_mov_b32_e32 v5, v1
.LBB316_1431:
	s_or_b32 exec_lo, exec_lo, s53
.LBB316_1432:
	s_delay_alu instid0(SALU_CYCLE_1)
	s_or_b32 exec_lo, exec_lo, s51
	global_store_b8 v[2:3], v5, off
.LBB316_1433:
	s_mov_b32 s51, -1
.LBB316_1434:
	s_mov_b32 s52, 0
.LBB316_1435:
	s_delay_alu instid0(SALU_CYCLE_1)
	s_and_b32 vcc_lo, exec_lo, s52
	s_cbranch_vccz .LBB316_1476
; %bb.1436:
	s_cmp_gt_i32 s50, 22
	s_mov_b32 s52, -1
	s_cbranch_scc0 .LBB316_1468
; %bb.1437:
	s_cmp_lt_i32 s50, 24
	s_mov_b32 s51, -1
	s_cbranch_scc1 .LBB316_1457
; %bb.1438:
	s_cmp_gt_i32 s50, 24
	s_cbranch_scc0 .LBB316_1446
; %bb.1439:
	s_wait_xcnt 0x0
	v_cndmask_b32_e64 v4, 0, 1.0, s1
	v_mov_b32_e32 v5, 0x80
	s_mov_b32 s51, exec_lo
	s_delay_alu instid0(VALU_DEP_2)
	v_cmpx_gt_u32_e32 0x47800000, v4
	s_cbranch_execz .LBB316_1445
; %bb.1440:
	s_mov_b32 s52, 0
	s_mov_b32 s53, exec_lo
                                        ; implicit-def: $vgpr1
	v_cmpx_lt_u32_e32 0x37ffffff, v4
	s_xor_b32 s53, exec_lo, s53
	s_cbranch_execz .LBB316_2841
; %bb.1441:
	v_bfe_u32 v1, v4, 21, 1
	s_mov_b32 s52, exec_lo
	s_delay_alu instid0(VALU_DEP_1) | instskip(NEXT) | instid1(VALU_DEP_1)
	v_add3_u32 v1, v4, v1, 0x88fffff
                                        ; implicit-def: $vgpr4
	v_lshrrev_b32_e32 v1, 21, v1
	s_and_not1_saveexec_b32 s53, s53
	s_cbranch_execnz .LBB316_2842
.LBB316_1442:
	s_or_b32 exec_lo, exec_lo, s53
	v_mov_b32_e32 v5, 0
	s_and_saveexec_b32 s53, s52
.LBB316_1443:
	v_mov_b32_e32 v5, v1
.LBB316_1444:
	s_or_b32 exec_lo, exec_lo, s53
.LBB316_1445:
	s_delay_alu instid0(SALU_CYCLE_1)
	s_or_b32 exec_lo, exec_lo, s51
	s_mov_b32 s51, 0
	global_store_b8 v[2:3], v5, off
.LBB316_1446:
	s_and_b32 vcc_lo, exec_lo, s51
	s_cbranch_vccz .LBB316_1456
; %bb.1447:
	s_wait_xcnt 0x0
	v_cndmask_b32_e64 v4, 0, 1.0, s1
	s_mov_b32 s51, exec_lo
                                        ; implicit-def: $vgpr1
	s_delay_alu instid0(VALU_DEP_1)
	v_cmpx_gt_u32_e32 0x43f00000, v4
	s_xor_b32 s51, exec_lo, s51
	s_cbranch_execz .LBB316_1453
; %bb.1448:
	s_mov_b32 s52, exec_lo
                                        ; implicit-def: $vgpr1
	v_cmpx_lt_u32_e32 0x3c7fffff, v4
	s_xor_b32 s52, exec_lo, s52
; %bb.1449:
	v_bfe_u32 v1, v4, 20, 1
	s_delay_alu instid0(VALU_DEP_1) | instskip(NEXT) | instid1(VALU_DEP_1)
	v_add3_u32 v1, v4, v1, 0x407ffff
	v_and_b32_e32 v4, 0xff00000, v1
	v_lshrrev_b32_e32 v1, 20, v1
	s_delay_alu instid0(VALU_DEP_2) | instskip(NEXT) | instid1(VALU_DEP_2)
	v_cmp_ne_u32_e32 vcc_lo, 0x7f00000, v4
                                        ; implicit-def: $vgpr4
	v_cndmask_b32_e32 v1, 0x7e, v1, vcc_lo
; %bb.1450:
	s_and_not1_saveexec_b32 s52, s52
; %bb.1451:
	v_add_f32_e32 v1, 0x46800000, v4
; %bb.1452:
	s_or_b32 exec_lo, exec_lo, s52
                                        ; implicit-def: $vgpr4
.LBB316_1453:
	s_and_not1_saveexec_b32 s51, s51
; %bb.1454:
	v_mov_b32_e32 v1, 0x7f
	v_cmp_lt_u32_e32 vcc_lo, 0x7f800000, v4
	s_delay_alu instid0(VALU_DEP_2)
	v_cndmask_b32_e32 v1, 0x7e, v1, vcc_lo
; %bb.1455:
	s_or_b32 exec_lo, exec_lo, s51
	global_store_b8 v[2:3], v1, off
.LBB316_1456:
	s_mov_b32 s51, 0
.LBB316_1457:
	s_delay_alu instid0(SALU_CYCLE_1)
	s_and_not1_b32 vcc_lo, exec_lo, s51
	s_cbranch_vccnz .LBB316_1467
; %bb.1458:
	s_wait_xcnt 0x0
	v_cndmask_b32_e64 v4, 0, 1.0, s1
	s_mov_b32 s51, exec_lo
                                        ; implicit-def: $vgpr1
	s_delay_alu instid0(VALU_DEP_1)
	v_cmpx_gt_u32_e32 0x47800000, v4
	s_xor_b32 s51, exec_lo, s51
	s_cbranch_execz .LBB316_1464
; %bb.1459:
	s_mov_b32 s52, exec_lo
                                        ; implicit-def: $vgpr1
	v_cmpx_lt_u32_e32 0x387fffff, v4
	s_xor_b32 s52, exec_lo, s52
; %bb.1460:
	v_bfe_u32 v1, v4, 21, 1
	s_delay_alu instid0(VALU_DEP_1) | instskip(NEXT) | instid1(VALU_DEP_1)
	v_add3_u32 v1, v4, v1, 0x80fffff
                                        ; implicit-def: $vgpr4
	v_lshrrev_b32_e32 v1, 21, v1
; %bb.1461:
	s_and_not1_saveexec_b32 s52, s52
; %bb.1462:
	v_add_f32_e32 v1, 0x43000000, v4
; %bb.1463:
	s_or_b32 exec_lo, exec_lo, s52
                                        ; implicit-def: $vgpr4
.LBB316_1464:
	s_and_not1_saveexec_b32 s51, s51
; %bb.1465:
	v_mov_b32_e32 v1, 0x7f
	v_cmp_lt_u32_e32 vcc_lo, 0x7f800000, v4
	s_delay_alu instid0(VALU_DEP_2)
	v_cndmask_b32_e32 v1, 0x7c, v1, vcc_lo
; %bb.1466:
	s_or_b32 exec_lo, exec_lo, s51
	global_store_b8 v[2:3], v1, off
.LBB316_1467:
	s_mov_b32 s52, 0
	s_mov_b32 s51, -1
.LBB316_1468:
	s_and_not1_b32 vcc_lo, exec_lo, s52
	s_cbranch_vccnz .LBB316_1476
; %bb.1469:
	s_cmp_gt_i32 s50, 14
	s_mov_b32 s52, -1
	s_cbranch_scc0 .LBB316_1473
; %bb.1470:
	s_cmp_eq_u32 s50, 15
	s_mov_b32 s2, -1
	s_cbranch_scc0 .LBB316_1472
; %bb.1471:
	s_wait_xcnt 0x0
	v_cndmask_b32_e64 v1, 0, 1.0, s1
	s_mov_b32 s51, -1
	s_mov_b32 s2, 0
	s_delay_alu instid0(VALU_DEP_1) | instskip(NEXT) | instid1(VALU_DEP_1)
	v_bfe_u32 v4, v1, 16, 1
	v_add3_u32 v1, v1, v4, 0x7fff
	global_store_d16_hi_b16 v[2:3], v1, off
.LBB316_1472:
	s_mov_b32 s52, 0
.LBB316_1473:
	s_delay_alu instid0(SALU_CYCLE_1)
	s_and_b32 vcc_lo, exec_lo, s52
	s_cbranch_vccz .LBB316_1476
; %bb.1474:
	s_cmp_eq_u32 s50, 11
	s_mov_b32 s2, -1
	s_cbranch_scc0 .LBB316_1476
; %bb.1475:
	s_wait_xcnt 0x0
	v_cndmask_b32_e64 v1, 0, 1, s1
	s_mov_b32 s51, -1
	s_mov_b32 s2, 0
	global_store_b8 v[2:3], v1, off
.LBB316_1476:
.LBB316_1477:
	s_and_not1_b32 vcc_lo, exec_lo, s51
	s_cbranch_vccnz .LBB316_1373
.LBB316_1478:
	v_add_nc_u32_e32 v0, 0x80, v0
	s_mov_b32 s1, -1
	s_branch .LBB316_1375
.LBB316_1479:
	s_mov_b32 s6, -1
	s_mov_b32 s1, 0
.LBB316_1480:
                                        ; implicit-def: $vgpr3
.LBB316_1481:
	s_and_b32 vcc_lo, exec_lo, s12
	s_cbranch_vccz .LBB316_1487
; %bb.1482:
	s_cmp_eq_u32 s3, 44
	s_cbranch_scc0 .LBB316_1486
; %bb.1483:
	s_wait_loadcnt 0x0
	global_load_u8 v3, v[6:7], off
	s_mov_b32 s6, 0
	s_mov_b32 s1, -1
	s_branch .LBB316_1487
.LBB316_1484:
	s_and_not1_saveexec_b32 s53, s53
	s_cbranch_execz .LBB316_1429
.LBB316_1485:
	v_add_f32_e32 v1, 0x46000000, v4
	s_and_not1_b32 s52, s52, exec_lo
	s_delay_alu instid0(VALU_DEP_1) | instskip(NEXT) | instid1(VALU_DEP_1)
	v_and_b32_e32 v1, 0xff, v1
	v_cmp_ne_u32_e32 vcc_lo, 0, v1
	s_and_b32 s54, vcc_lo, exec_lo
	s_delay_alu instid0(SALU_CYCLE_1)
	s_or_b32 s52, s52, s54
	s_or_b32 exec_lo, exec_lo, s53
	v_mov_b32_e32 v5, 0
	s_and_saveexec_b32 s53, s52
	s_cbranch_execnz .LBB316_1430
	s_branch .LBB316_1431
.LBB316_1486:
	s_mov_b32 s6, -1
                                        ; implicit-def: $vgpr3
.LBB316_1487:
	s_mov_b32 s12, 0
.LBB316_1488:
	s_delay_alu instid0(SALU_CYCLE_1)
	s_and_b32 vcc_lo, exec_lo, s12
	s_cbranch_vccz .LBB316_1494
; %bb.1489:
	s_cmp_eq_u32 s3, 29
	s_cbranch_scc0 .LBB316_1493
; %bb.1490:
	s_wait_loadcnt 0x0
	global_load_b64 v[0:1], v[6:7], off
	s_mov_b32 s6, exec_lo
	s_wait_loadcnt 0x0
	v_clz_i32_u32_e32 v3, v1
	s_delay_alu instid0(VALU_DEP_1) | instskip(NEXT) | instid1(VALU_DEP_1)
	v_min_u32_e32 v3, 32, v3
	v_lshlrev_b64_e32 v[0:1], v3, v[0:1]
	s_delay_alu instid0(VALU_DEP_1) | instskip(NEXT) | instid1(VALU_DEP_1)
	v_min_u32_e32 v0, 1, v0
	v_dual_sub_nc_u32 v1, 32, v3 :: v_dual_bitop2_b32 v0, v1, v0 bitop3:0x54
	v_mov_b32_e32 v3, 0xff
	s_delay_alu instid0(VALU_DEP_2) | instskip(NEXT) | instid1(VALU_DEP_1)
	v_cvt_f32_u32_e32 v0, v0
	v_ldexp_f32 v1, v0, v1
	s_delay_alu instid0(VALU_DEP_1) | instskip(SKIP_1) | instid1(VALU_DEP_1)
	v_lshrrev_b32_e32 v0, 23, v1
	s_wait_xcnt 0x0
	v_cmpx_ne_u32_e32 0xff, v0
; %bb.1491:
	v_and_b32_e32 v3, 0x400000, v1
	v_and_or_b32 v1, 0x3fffff, v1, v0
	s_delay_alu instid0(VALU_DEP_2) | instskip(NEXT) | instid1(VALU_DEP_2)
	v_cmp_ne_u32_e32 vcc_lo, 0, v3
	v_cmp_ne_u32_e64 s1, 0, v1
	s_and_b32 s1, vcc_lo, s1
	s_delay_alu instid0(SALU_CYCLE_1) | instskip(NEXT) | instid1(VALU_DEP_1)
	v_cndmask_b32_e64 v1, 0, 1, s1
	v_add_nc_u32_e32 v3, v0, v1
; %bb.1492:
	s_or_b32 exec_lo, exec_lo, s6
	s_mov_b32 s6, 0
	s_mov_b32 s1, -1
	s_branch .LBB316_1494
.LBB316_1493:
	s_mov_b32 s6, -1
                                        ; implicit-def: $vgpr3
.LBB316_1494:
	s_mov_b32 s12, 0
.LBB316_1495:
	s_delay_alu instid0(SALU_CYCLE_1)
	s_and_b32 vcc_lo, exec_lo, s12
	s_cbranch_vccz .LBB316_1521
; %bb.1496:
	s_cmp_lt_i32 s3, 27
	s_cbranch_scc1 .LBB316_1501
; %bb.1497:
	s_cmp_gt_i32 s3, 27
	s_cbranch_scc0 .LBB316_1502
; %bb.1498:
	global_load_b32 v0, v[6:7], off
	s_mov_b32 s12, exec_lo
	s_wait_loadcnt 0x1
	v_mov_b32_e32 v3, 0xff
	s_wait_loadcnt 0x0
	v_cvt_f32_u32_e32 v1, v0
	s_delay_alu instid0(VALU_DEP_1) | instskip(SKIP_1) | instid1(VALU_DEP_1)
	v_lshrrev_b32_e32 v0, 23, v1
	s_wait_xcnt 0x0
	v_cmpx_ne_u32_e32 0xff, v0
; %bb.1499:
	v_and_b32_e32 v3, 0x400000, v1
	v_and_or_b32 v1, 0x3fffff, v1, v0
	s_delay_alu instid0(VALU_DEP_2) | instskip(NEXT) | instid1(VALU_DEP_2)
	v_cmp_ne_u32_e32 vcc_lo, 0, v3
	v_cmp_ne_u32_e64 s1, 0, v1
	s_and_b32 s1, vcc_lo, s1
	s_delay_alu instid0(SALU_CYCLE_1) | instskip(NEXT) | instid1(VALU_DEP_1)
	v_cndmask_b32_e64 v1, 0, 1, s1
	v_add_nc_u32_e32 v3, v0, v1
; %bb.1500:
	s_or_b32 exec_lo, exec_lo, s12
	s_mov_b32 s1, 0
	s_branch .LBB316_1503
.LBB316_1501:
	s_mov_b32 s1, -1
                                        ; implicit-def: $vgpr3
	s_branch .LBB316_1508
.LBB316_1502:
	s_mov_b32 s1, -1
                                        ; implicit-def: $vgpr3
.LBB316_1503:
	s_delay_alu instid0(SALU_CYCLE_1)
	s_and_not1_b32 vcc_lo, exec_lo, s1
	s_cbranch_vccnz .LBB316_1507
; %bb.1504:
	global_load_u16 v0, v[6:7], off
	s_mov_b32 s12, exec_lo
	s_wait_loadcnt 0x1
	v_mov_b32_e32 v3, 0xff
	s_wait_loadcnt 0x0
	v_cvt_f32_u32_e32 v1, v0
	s_delay_alu instid0(VALU_DEP_1) | instskip(SKIP_1) | instid1(VALU_DEP_1)
	v_lshrrev_b32_e32 v0, 23, v1
	s_wait_xcnt 0x0
	v_cmpx_ne_u32_e32 0xff, v0
; %bb.1505:
	v_and_b32_e32 v3, 0x400000, v1
	v_and_or_b32 v1, 0x3fffff, v1, v0
	s_delay_alu instid0(VALU_DEP_2) | instskip(NEXT) | instid1(VALU_DEP_2)
	v_cmp_ne_u32_e32 vcc_lo, 0, v3
	v_cmp_ne_u32_e64 s1, 0, v1
	s_and_b32 s1, vcc_lo, s1
	s_delay_alu instid0(SALU_CYCLE_1) | instskip(NEXT) | instid1(VALU_DEP_1)
	v_cndmask_b32_e64 v1, 0, 1, s1
	v_add_nc_u32_e32 v3, v0, v1
; %bb.1506:
	s_or_b32 exec_lo, exec_lo, s12
.LBB316_1507:
	s_mov_b32 s1, 0
.LBB316_1508:
	s_delay_alu instid0(SALU_CYCLE_1)
	s_and_not1_b32 vcc_lo, exec_lo, s1
	s_cbranch_vccnz .LBB316_1520
; %bb.1509:
	global_load_u8 v0, v[6:7], off
	s_mov_b32 s1, 0
	s_mov_b32 s12, exec_lo
	s_wait_loadcnt 0x0
	v_cmpx_lt_i16_e32 0x7f, v0
	s_xor_b32 s12, exec_lo, s12
	s_cbranch_execz .LBB316_1513
; %bb.1510:
	s_mov_b32 s1, -1
	s_mov_b32 s14, exec_lo
	v_cmpx_eq_u16_e32 0x80, v0
; %bb.1511:
	s_xor_b32 s1, exec_lo, -1
; %bb.1512:
	s_or_b32 exec_lo, exec_lo, s14
	s_delay_alu instid0(SALU_CYCLE_1)
	s_and_b32 s1, s1, exec_lo
.LBB316_1513:
	s_or_saveexec_b32 s12, s12
	v_mov_b32_e32 v1, 0x7f800001
	v_and_b32_e32 v3, 0xffff, v0
	s_xor_b32 exec_lo, exec_lo, s12
; %bb.1514:
	v_cmp_ne_u16_e32 vcc_lo, 0, v0
	s_delay_alu instid0(VALU_DEP_2) | instskip(SKIP_2) | instid1(SALU_CYCLE_1)
	v_mov_b32_e32 v1, v3
	s_and_not1_b32 s1, s1, exec_lo
	s_and_b32 s14, vcc_lo, exec_lo
	s_or_b32 s1, s1, s14
; %bb.1515:
	s_or_b32 exec_lo, exec_lo, s12
	s_and_saveexec_b32 s12, s1
	s_cbranch_execz .LBB316_1517
; %bb.1516:
	v_and_b32_e32 v0, 7, v3
	s_delay_alu instid0(VALU_DEP_1) | instskip(NEXT) | instid1(VALU_DEP_1)
	v_clz_i32_u32_e32 v1, v0
	v_min_u32_e32 v1, 32, v1
	s_delay_alu instid0(VALU_DEP_1) | instskip(NEXT) | instid1(VALU_DEP_1)
	v_subrev_nc_u32_e32 v5, 28, v1
	v_lshlrev_b32_e32 v5, v5, v3
	v_bfe_u32 v3, v3, 3, 4
	s_delay_alu instid0(VALU_DEP_2) | instskip(NEXT) | instid1(VALU_DEP_2)
	v_and_b32_e32 v5, 7, v5
	v_cmp_eq_u32_e32 vcc_lo, 0, v3
	s_delay_alu instid0(VALU_DEP_2) | instskip(NEXT) | instid1(VALU_DEP_1)
	v_cndmask_b32_e32 v0, v0, v5, vcc_lo
	v_dual_sub_nc_u32 v1, 29, v1 :: v_dual_lshlrev_b32 v0, 20, v0
	s_delay_alu instid0(VALU_DEP_1) | instskip(NEXT) | instid1(VALU_DEP_1)
	v_cndmask_b32_e32 v1, v3, v1, vcc_lo
	v_lshl_or_b32 v0, v1, 23, v0
	s_delay_alu instid0(VALU_DEP_1)
	v_add_nc_u32_e32 v1, 0x3b800000, v0
.LBB316_1517:
	s_or_b32 exec_lo, exec_lo, s12
	s_delay_alu instid0(VALU_DEP_1) | instskip(SKIP_1) | instid1(VALU_DEP_1)
	v_dual_mov_b32 v3, 0xff :: v_dual_lshrrev_b32 v0, 23, v1
	s_mov_b32 s12, exec_lo
	v_cmpx_ne_u32_e32 0xff, v0
; %bb.1518:
	v_and_b32_e32 v3, 0x400000, v1
	v_and_or_b32 v1, 0x3fffff, v1, v0
	s_delay_alu instid0(VALU_DEP_2) | instskip(NEXT) | instid1(VALU_DEP_2)
	v_cmp_ne_u32_e32 vcc_lo, 0, v3
	v_cmp_ne_u32_e64 s1, 0, v1
	s_and_b32 s1, vcc_lo, s1
	s_delay_alu instid0(SALU_CYCLE_1) | instskip(NEXT) | instid1(VALU_DEP_1)
	v_cndmask_b32_e64 v1, 0, 1, s1
	v_add_nc_u32_e32 v3, v0, v1
; %bb.1519:
	s_or_b32 exec_lo, exec_lo, s12
.LBB316_1520:
	s_mov_b32 s1, -1
.LBB316_1521:
	s_mov_b32 s12, 0
.LBB316_1522:
	s_delay_alu instid0(SALU_CYCLE_1)
	s_and_b32 vcc_lo, exec_lo, s12
	s_cbranch_vccz .LBB316_1561
; %bb.1523:
	s_cmp_gt_i32 s3, 22
	s_cbranch_scc0 .LBB316_1535
; %bb.1524:
	s_cmp_lt_i32 s3, 24
	s_cbranch_scc1 .LBB316_1536
; %bb.1525:
	s_cmp_gt_i32 s3, 24
	s_cbranch_scc0 .LBB316_1537
; %bb.1526:
	global_load_u8 v0, v[6:7], off
	s_mov_b32 s1, 0
	s_mov_b32 s7, exec_lo
	s_wait_loadcnt 0x0
	v_cmpx_lt_i16_e32 0x7f, v0
	s_xor_b32 s7, exec_lo, s7
	s_cbranch_execz .LBB316_1555
; %bb.1527:
	s_mov_b32 s1, -1
	s_mov_b32 s12, exec_lo
	v_cmpx_eq_u16_e32 0x80, v0
; %bb.1528:
	s_xor_b32 s1, exec_lo, -1
; %bb.1529:
	s_or_b32 exec_lo, exec_lo, s12
	s_delay_alu instid0(SALU_CYCLE_1)
	s_and_b32 s1, s1, exec_lo
	s_or_saveexec_b32 s7, s7
	v_mov_b32_e32 v1, 0x7f800001
	s_xor_b32 exec_lo, exec_lo, s7
	s_cbranch_execnz .LBB316_1556
.LBB316_1530:
	s_or_b32 exec_lo, exec_lo, s7
	s_and_saveexec_b32 s7, s1
	s_cbranch_execz .LBB316_1532
.LBB316_1531:
	v_and_b32_e32 v0, 0xffff, v0
	s_delay_alu instid0(VALU_DEP_1) | instskip(NEXT) | instid1(VALU_DEP_1)
	v_and_b32_e32 v1, 3, v0
	v_clz_i32_u32_e32 v3, v1
	s_delay_alu instid0(VALU_DEP_1) | instskip(NEXT) | instid1(VALU_DEP_1)
	v_min_u32_e32 v3, 32, v3
	v_subrev_nc_u32_e32 v5, 29, v3
	s_delay_alu instid0(VALU_DEP_1) | instskip(SKIP_1) | instid1(VALU_DEP_2)
	v_lshlrev_b32_e32 v5, v5, v0
	v_bfe_u32 v0, v0, 2, 5
	v_dual_sub_nc_u32 v3, 30, v3 :: v_dual_bitop2_b32 v5, 3, v5 bitop3:0x40
	s_delay_alu instid0(VALU_DEP_2) | instskip(NEXT) | instid1(VALU_DEP_2)
	v_cmp_eq_u32_e32 vcc_lo, 0, v0
	v_dual_cndmask_b32 v0, v0, v3 :: v_dual_cndmask_b32 v1, v1, v5
	s_delay_alu instid0(VALU_DEP_1) | instskip(NEXT) | instid1(VALU_DEP_1)
	v_lshlrev_b32_e32 v1, 21, v1
	v_lshl_or_b32 v0, v0, 23, v1
	s_delay_alu instid0(VALU_DEP_1)
	v_add_nc_u32_e32 v1, 0x37800000, v0
.LBB316_1532:
	s_or_b32 exec_lo, exec_lo, s7
	s_delay_alu instid0(VALU_DEP_1) | instskip(SKIP_1) | instid1(VALU_DEP_1)
	v_dual_mov_b32 v3, 0xff :: v_dual_lshrrev_b32 v0, 23, v1
	s_mov_b32 s7, exec_lo
	v_cmpx_ne_u32_e32 0xff, v0
; %bb.1533:
	v_and_b32_e32 v3, 0x400000, v1
	v_and_or_b32 v1, 0x3fffff, v1, v0
	s_delay_alu instid0(VALU_DEP_2) | instskip(NEXT) | instid1(VALU_DEP_2)
	v_cmp_ne_u32_e32 vcc_lo, 0, v3
	v_cmp_ne_u32_e64 s1, 0, v1
	s_and_b32 s1, vcc_lo, s1
	s_delay_alu instid0(SALU_CYCLE_1) | instskip(NEXT) | instid1(VALU_DEP_1)
	v_cndmask_b32_e64 v1, 0, 1, s1
	v_add_nc_u32_e32 v3, v0, v1
; %bb.1534:
	s_or_b32 exec_lo, exec_lo, s7
	s_mov_b32 s1, 0
	s_branch .LBB316_1538
.LBB316_1535:
	s_mov_b32 s7, -1
                                        ; implicit-def: $vgpr3
	s_branch .LBB316_1548
.LBB316_1536:
	s_mov_b32 s1, -1
                                        ; implicit-def: $vgpr3
	s_branch .LBB316_1543
.LBB316_1537:
	s_mov_b32 s1, -1
                                        ; implicit-def: $vgpr3
.LBB316_1538:
	s_delay_alu instid0(SALU_CYCLE_1)
	s_and_b32 vcc_lo, exec_lo, s1
	s_cbranch_vccz .LBB316_1542
; %bb.1539:
	global_load_u8 v0, v[6:7], off
	s_mov_b32 s7, exec_lo
	s_wait_loadcnt 0x0
	v_lshlrev_b32_e32 v0, 24, v0
	s_delay_alu instid0(VALU_DEP_1) | instskip(NEXT) | instid1(VALU_DEP_1)
	v_and_b32_e32 v0, 0x7f000000, v0
	v_clz_i32_u32_e32 v1, v0
	v_cmp_ne_u32_e32 vcc_lo, 0, v0
	v_add_nc_u32_e32 v5, 0x1000000, v0
	s_delay_alu instid0(VALU_DEP_3) | instskip(NEXT) | instid1(VALU_DEP_1)
	v_min_u32_e32 v1, 32, v1
	v_sub_nc_u32_e64 v1, v1, 4 clamp
	s_delay_alu instid0(VALU_DEP_1) | instskip(NEXT) | instid1(VALU_DEP_1)
	v_dual_lshlrev_b32 v3, v1, v0 :: v_dual_lshlrev_b32 v1, 23, v1
	v_lshrrev_b32_e32 v3, 4, v3
	s_delay_alu instid0(VALU_DEP_1) | instskip(SKIP_1) | instid1(VALU_DEP_2)
	v_sub_nc_u32_e32 v1, v3, v1
	v_ashrrev_i32_e32 v3, 8, v5
	v_add_nc_u32_e32 v1, 0x3c000000, v1
	s_delay_alu instid0(VALU_DEP_1) | instskip(SKIP_1) | instid1(VALU_DEP_2)
	v_and_or_b32 v1, 0x7f800000, v3, v1
	v_mov_b32_e32 v3, 0xff
	v_cndmask_b32_e32 v1, 0, v1, vcc_lo
	s_delay_alu instid0(VALU_DEP_1) | instskip(SKIP_1) | instid1(VALU_DEP_1)
	v_lshrrev_b32_e32 v0, 23, v1
	s_wait_xcnt 0x0
	v_cmpx_ne_u32_e32 0xff, v0
; %bb.1540:
	v_and_b32_e32 v3, 0x400000, v1
	v_and_or_b32 v1, 0x3fffff, v1, v0
	s_delay_alu instid0(VALU_DEP_2) | instskip(NEXT) | instid1(VALU_DEP_2)
	v_cmp_ne_u32_e32 vcc_lo, 0, v3
	v_cmp_ne_u32_e64 s1, 0, v1
	s_and_b32 s1, vcc_lo, s1
	s_delay_alu instid0(SALU_CYCLE_1) | instskip(NEXT) | instid1(VALU_DEP_1)
	v_cndmask_b32_e64 v1, 0, 1, s1
	v_add_nc_u32_e32 v3, v0, v1
; %bb.1541:
	s_or_b32 exec_lo, exec_lo, s7
.LBB316_1542:
	s_mov_b32 s1, 0
.LBB316_1543:
	s_delay_alu instid0(SALU_CYCLE_1)
	s_and_not1_b32 vcc_lo, exec_lo, s1
	s_cbranch_vccnz .LBB316_1547
; %bb.1544:
	global_load_u8 v0, v[6:7], off
	s_mov_b32 s7, exec_lo
	s_wait_loadcnt 0x0
	v_dual_lshlrev_b32 v1, 25, v0 :: v_dual_lshlrev_b32 v0, 8, v0
	s_delay_alu instid0(VALU_DEP_1) | instskip(NEXT) | instid1(VALU_DEP_2)
	v_cmp_gt_u32_e32 vcc_lo, 0x8000000, v1
	v_and_or_b32 v0, 0x7f00, v0, 0.5
	s_delay_alu instid0(VALU_DEP_1) | instskip(NEXT) | instid1(VALU_DEP_1)
	v_dual_add_f32 v0, -0.5, v0 :: v_dual_lshrrev_b32 v3, 4, v1
	v_or_b32_e32 v3, 0x70000000, v3
	s_delay_alu instid0(VALU_DEP_1) | instskip(NEXT) | instid1(VALU_DEP_1)
	v_mul_f32_e32 v3, 0x7800000, v3
	v_dual_cndmask_b32 v0, v3, v0 :: v_dual_mov_b32 v3, 0xff
	s_delay_alu instid0(VALU_DEP_1) | instskip(SKIP_1) | instid1(VALU_DEP_1)
	v_bfe_u32 v1, v0, 23, 8
	s_wait_xcnt 0x0
	v_cmpx_ne_u32_e32 0xff, v1
	s_cbranch_execz .LBB316_1546
; %bb.1545:
	v_and_b32_e32 v3, 0x400000, v0
	v_and_or_b32 v1, 0x3fffff, v0, v1
	v_lshrrev_b32_e32 v0, 23, v0
	s_delay_alu instid0(VALU_DEP_3) | instskip(NEXT) | instid1(VALU_DEP_3)
	v_cmp_ne_u32_e32 vcc_lo, 0, v3
	v_cmp_ne_u32_e64 s1, 0, v1
	s_and_b32 s1, vcc_lo, s1
	s_delay_alu instid0(SALU_CYCLE_1) | instskip(NEXT) | instid1(VALU_DEP_1)
	v_cndmask_b32_e64 v1, 0, 1, s1
	v_add_nc_u32_e32 v3, v0, v1
.LBB316_1546:
	s_or_b32 exec_lo, exec_lo, s7
.LBB316_1547:
	s_mov_b32 s7, 0
	s_mov_b32 s1, -1
.LBB316_1548:
	s_and_not1_b32 vcc_lo, exec_lo, s7
	s_mov_b32 s7, 0
	s_cbranch_vccnz .LBB316_1561
; %bb.1549:
	s_cmp_gt_i32 s3, 14
	s_cbranch_scc0 .LBB316_1554
; %bb.1550:
	s_cmp_eq_u32 s3, 15
	s_cbranch_scc0 .LBB316_1557
; %bb.1551:
	global_load_u16 v0, v[6:7], off
	s_wait_loadcnt 0x1
	v_mov_b32_e32 v3, 0xff
	s_mov_b32 s6, exec_lo
	s_wait_loadcnt 0x0
	v_bfe_u32 v1, v0, 7, 8
	s_wait_xcnt 0x0
	s_delay_alu instid0(VALU_DEP_1)
	v_cmpx_ne_u32_e32 0xff, v1
	s_cbranch_execz .LBB316_1553
; %bb.1552:
	v_dual_lshlrev_b32 v3, 16, v0 :: v_dual_bitop2_b32 v5, 64, v0 bitop3:0x40
	v_lshrrev_b32_e32 v0, 7, v0
	s_delay_alu instid0(VALU_DEP_2) | instskip(NEXT) | instid1(VALU_DEP_3)
	v_and_or_b32 v1, 0x3f0000, v3, v1
	v_cmp_ne_u32_e32 vcc_lo, 0, v5
	s_delay_alu instid0(VALU_DEP_2) | instskip(SKIP_1) | instid1(SALU_CYCLE_1)
	v_cmp_ne_u32_e64 s1, 0, v1
	s_and_b32 s1, vcc_lo, s1
	v_cndmask_b32_e64 v1, 0, 1, s1
	s_delay_alu instid0(VALU_DEP_1)
	v_add_nc_u32_e32 v3, v0, v1
.LBB316_1553:
	s_or_b32 exec_lo, exec_lo, s6
	s_mov_b32 s6, 0
	s_mov_b32 s1, -1
	s_branch .LBB316_1559
.LBB316_1554:
	s_mov_b32 s7, -1
	s_branch .LBB316_1558
.LBB316_1555:
	s_or_saveexec_b32 s7, s7
	v_mov_b32_e32 v1, 0x7f800001
	s_xor_b32 exec_lo, exec_lo, s7
	s_cbranch_execz .LBB316_1530
.LBB316_1556:
	v_cmp_ne_u16_e32 vcc_lo, 0, v0
	v_and_b32_e32 v1, 0xffff, v0
	s_and_not1_b32 s1, s1, exec_lo
	s_and_b32 s12, vcc_lo, exec_lo
	s_delay_alu instid0(SALU_CYCLE_1)
	s_or_b32 s1, s1, s12
	s_or_b32 exec_lo, exec_lo, s7
	s_and_saveexec_b32 s7, s1
	s_cbranch_execnz .LBB316_1531
	s_branch .LBB316_1532
.LBB316_1557:
	s_mov_b32 s6, -1
.LBB316_1558:
                                        ; implicit-def: $vgpr3
.LBB316_1559:
	s_and_b32 vcc_lo, exec_lo, s7
	s_mov_b32 s7, 0
	s_cbranch_vccz .LBB316_1561
; %bb.1560:
	s_cmp_lg_u32 s3, 11
	s_mov_b32 s7, -1
	s_cselect_b32 s3, -1, 0
	s_and_not1_b32 s6, s6, exec_lo
	s_and_b32 s3, s3, exec_lo
	s_delay_alu instid0(SALU_CYCLE_1)
	s_or_b32 s6, s6, s3
.LBB316_1561:
	s_mov_b32 s3, 0
.LBB316_1562:
	s_delay_alu instid0(SALU_CYCLE_1)
	s_and_b32 s51, s3, exec_lo
	s_and_not1_b32 s3, s2, exec_lo
	s_and_b32 s6, s6, exec_lo
	s_and_b32 s29, s1, exec_lo
	;; [unrolled: 1-line block ×3, first 2 shown]
	s_or_b32 s52, s3, s6
.LBB316_1563:
	s_wait_xcnt 0x0
	s_or_b32 exec_lo, exec_lo, s39
	s_delay_alu instid0(SALU_CYCLE_1)
	s_and_not1_b32 s2, s2, exec_lo
	s_and_b32 s3, s52, exec_lo
	s_and_b32 s29, s29, exec_lo
	;; [unrolled: 1-line block ×4, first 2 shown]
	s_or_b32 s2, s2, s3
.LBB316_1564:
	s_or_b32 exec_lo, exec_lo, s48
	s_delay_alu instid0(SALU_CYCLE_1)
	s_and_not1_b32 s3, s45, exec_lo
	s_and_b32 s6, s49, exec_lo
	s_and_not1_b32 s7, s46, exec_lo
	s_and_b32 s12, s50, exec_lo
	s_or_b32 s45, s3, s6
	s_and_not1_b32 s3, s44, exec_lo
	s_and_b32 s2, s2, exec_lo
	s_or_b32 s46, s7, s12
	s_and_b32 s29, s29, exec_lo
	s_and_b32 s48, s51, exec_lo
	;; [unrolled: 1-line block ×3, first 2 shown]
	s_or_b32 s44, s3, s2
.LBB316_1565:
	s_or_b32 exec_lo, exec_lo, s47
	s_delay_alu instid0(SALU_CYCLE_1)
	s_and_not1_b32 s2, s10, exec_lo
	s_and_b32 s3, s45, exec_lo
	s_and_not1_b32 s6, s41, exec_lo
	s_and_b32 s7, s46, exec_lo
	s_or_b32 s10, s2, s3
	s_and_not1_b32 s2, s42, exec_lo
	s_and_b32 s3, s44, exec_lo
	s_or_b32 s41, s6, s7
	s_and_b32 s29, s29, exec_lo
	s_and_b32 s45, s48, exec_lo
	;; [unrolled: 1-line block ×3, first 2 shown]
	s_or_b32 s42, s2, s3
	s_or_b32 exec_lo, exec_lo, s43
	s_mov_b32 s2, 0
	s_and_saveexec_b32 s1, s42
	s_cbranch_execz .LBB316_485
.LBB316_1566:
	s_mov_b32 s2, exec_lo
	s_and_not1_b32 s23, s23, exec_lo
	s_trap 2
	s_or_b32 exec_lo, exec_lo, s1
	s_and_saveexec_b32 s1, s23
	s_delay_alu instid0(SALU_CYCLE_1)
	s_xor_b32 s3, exec_lo, s1
	s_cbranch_execnz .LBB316_486
.LBB316_1567:
	s_or_b32 exec_lo, exec_lo, s3
	s_and_saveexec_b32 s3, s45
	s_cbranch_execz .LBB316_1635
.LBB316_1568:
	s_sext_i32_i16 s1, s28
	s_delay_alu instid0(SALU_CYCLE_1)
	s_cmp_lt_i32 s1, 5
	s_cbranch_scc1 .LBB316_1575
; %bb.1569:
	s_cmp_lt_i32 s1, 8
	s_cbranch_scc1 .LBB316_1576
; %bb.1570:
	;; [unrolled: 3-line block ×3, first 2 shown]
	s_cmp_gt_i32 s1, 9
	s_cbranch_scc0 .LBB316_1578
; %bb.1572:
	s_wait_loadcnt 0x0
	global_load_b64 v[0:1], v[6:7], off
	v_mov_b32_e32 v3, 0xff
	s_mov_b32 s6, exec_lo
	s_wait_loadcnt 0x0
	v_cvt_f32_f64_e32 v0, v[0:1]
	s_delay_alu instid0(VALU_DEP_1) | instskip(SKIP_1) | instid1(VALU_DEP_1)
	v_bfe_u32 v1, v0, 23, 8
	s_wait_xcnt 0x0
	v_cmpx_ne_u32_e32 0xff, v1
	s_cbranch_execz .LBB316_1574
; %bb.1573:
	v_and_b32_e32 v3, 0x400000, v0
	v_and_or_b32 v1, 0x3fffff, v0, v1
	v_lshrrev_b32_e32 v0, 23, v0
	s_delay_alu instid0(VALU_DEP_3) | instskip(NEXT) | instid1(VALU_DEP_3)
	v_cmp_ne_u32_e32 vcc_lo, 0, v3
	v_cmp_ne_u32_e64 s1, 0, v1
	s_and_b32 s1, vcc_lo, s1
	s_delay_alu instid0(SALU_CYCLE_1) | instskip(NEXT) | instid1(VALU_DEP_1)
	v_cndmask_b32_e64 v1, 0, 1, s1
	v_add_nc_u32_e32 v3, v0, v1
.LBB316_1574:
	s_or_b32 exec_lo, exec_lo, s6
	s_mov_b32 s1, 0
	s_branch .LBB316_1579
.LBB316_1575:
                                        ; implicit-def: $vgpr3
	s_branch .LBB316_1606
.LBB316_1576:
                                        ; implicit-def: $vgpr3
	s_branch .LBB316_1589
.LBB316_1577:
	s_mov_b32 s1, -1
                                        ; implicit-def: $vgpr3
	s_branch .LBB316_1584
.LBB316_1578:
	s_mov_b32 s1, -1
                                        ; implicit-def: $vgpr3
.LBB316_1579:
	s_delay_alu instid0(SALU_CYCLE_1)
	s_and_not1_b32 vcc_lo, exec_lo, s1
	s_cbranch_vccnz .LBB316_1583
; %bb.1580:
	global_load_b32 v0, v[6:7], off
	s_wait_loadcnt 0x1
	v_mov_b32_e32 v3, 0xff
	s_mov_b32 s6, exec_lo
	s_wait_loadcnt 0x0
	v_bfe_u32 v1, v0, 23, 8
	s_wait_xcnt 0x0
	s_delay_alu instid0(VALU_DEP_1)
	v_cmpx_ne_u32_e32 0xff, v1
	s_cbranch_execz .LBB316_1582
; %bb.1581:
	v_and_b32_e32 v3, 0x400000, v0
	v_and_or_b32 v1, 0x3fffff, v0, v1
	v_lshrrev_b32_e32 v0, 23, v0
	s_delay_alu instid0(VALU_DEP_3) | instskip(NEXT) | instid1(VALU_DEP_3)
	v_cmp_ne_u32_e32 vcc_lo, 0, v3
	v_cmp_ne_u32_e64 s1, 0, v1
	s_and_b32 s1, vcc_lo, s1
	s_delay_alu instid0(SALU_CYCLE_1) | instskip(NEXT) | instid1(VALU_DEP_1)
	v_cndmask_b32_e64 v1, 0, 1, s1
	v_add_nc_u32_e32 v3, v0, v1
.LBB316_1582:
	s_or_b32 exec_lo, exec_lo, s6
.LBB316_1583:
	s_mov_b32 s1, 0
.LBB316_1584:
	s_delay_alu instid0(SALU_CYCLE_1)
	s_and_not1_b32 vcc_lo, exec_lo, s1
	s_cbranch_vccnz .LBB316_1588
; %bb.1585:
	global_load_b32 v0, v[6:7], off
	s_wait_loadcnt 0x1
	v_mov_b32_e32 v3, 0xff
	s_mov_b32 s6, exec_lo
	s_wait_loadcnt 0x0
	v_cvt_f32_f16_e32 v0, v0
	s_delay_alu instid0(VALU_DEP_1) | instskip(SKIP_1) | instid1(VALU_DEP_1)
	v_bfe_u32 v1, v0, 23, 8
	s_wait_xcnt 0x0
	v_cmpx_ne_u32_e32 0xff, v1
	s_cbranch_execz .LBB316_1587
; %bb.1586:
	v_and_b32_e32 v3, 0x400000, v0
	v_and_or_b32 v1, 0x3fffff, v0, v1
	v_lshrrev_b32_e32 v0, 23, v0
	s_delay_alu instid0(VALU_DEP_3) | instskip(NEXT) | instid1(VALU_DEP_3)
	v_cmp_ne_u32_e32 vcc_lo, 0, v3
	v_cmp_ne_u32_e64 s1, 0, v1
	s_and_b32 s1, vcc_lo, s1
	s_delay_alu instid0(SALU_CYCLE_1) | instskip(NEXT) | instid1(VALU_DEP_1)
	v_cndmask_b32_e64 v1, 0, 1, s1
	v_add_nc_u32_e32 v3, v0, v1
.LBB316_1587:
	s_or_b32 exec_lo, exec_lo, s6
.LBB316_1588:
	s_cbranch_execnz .LBB316_1605
.LBB316_1589:
	s_sext_i32_i16 s1, s28
	s_delay_alu instid0(SALU_CYCLE_1)
	s_cmp_lt_i32 s1, 6
	s_cbranch_scc1 .LBB316_1594
; %bb.1590:
	s_cmp_gt_i32 s1, 6
	s_cbranch_scc0 .LBB316_1595
; %bb.1591:
	s_wait_loadcnt 0x0
	global_load_b64 v[0:1], v[6:7], off
	v_mov_b32_e32 v3, 0xff
	s_mov_b32 s6, exec_lo
	s_wait_loadcnt 0x0
	v_cvt_f32_f64_e32 v0, v[0:1]
	s_delay_alu instid0(VALU_DEP_1) | instskip(SKIP_1) | instid1(VALU_DEP_1)
	v_bfe_u32 v1, v0, 23, 8
	s_wait_xcnt 0x0
	v_cmpx_ne_u32_e32 0xff, v1
	s_cbranch_execz .LBB316_1593
; %bb.1592:
	v_and_b32_e32 v3, 0x400000, v0
	v_and_or_b32 v1, 0x3fffff, v0, v1
	v_lshrrev_b32_e32 v0, 23, v0
	s_delay_alu instid0(VALU_DEP_3) | instskip(NEXT) | instid1(VALU_DEP_3)
	v_cmp_ne_u32_e32 vcc_lo, 0, v3
	v_cmp_ne_u32_e64 s1, 0, v1
	s_and_b32 s1, vcc_lo, s1
	s_delay_alu instid0(SALU_CYCLE_1) | instskip(NEXT) | instid1(VALU_DEP_1)
	v_cndmask_b32_e64 v1, 0, 1, s1
	v_add_nc_u32_e32 v3, v0, v1
.LBB316_1593:
	s_or_b32 exec_lo, exec_lo, s6
	s_mov_b32 s1, 0
	s_branch .LBB316_1596
.LBB316_1594:
	s_mov_b32 s1, -1
                                        ; implicit-def: $vgpr3
	s_branch .LBB316_1601
.LBB316_1595:
	s_mov_b32 s1, -1
                                        ; implicit-def: $vgpr3
.LBB316_1596:
	s_delay_alu instid0(SALU_CYCLE_1)
	s_and_not1_b32 vcc_lo, exec_lo, s1
	s_cbranch_vccnz .LBB316_1600
; %bb.1597:
	global_load_b32 v0, v[6:7], off
	s_wait_loadcnt 0x1
	v_mov_b32_e32 v3, 0xff
	s_mov_b32 s6, exec_lo
	s_wait_loadcnt 0x0
	v_bfe_u32 v1, v0, 23, 8
	s_wait_xcnt 0x0
	s_delay_alu instid0(VALU_DEP_1)
	v_cmpx_ne_u32_e32 0xff, v1
	s_cbranch_execz .LBB316_1599
; %bb.1598:
	v_and_b32_e32 v3, 0x400000, v0
	v_and_or_b32 v1, 0x3fffff, v0, v1
	v_lshrrev_b32_e32 v0, 23, v0
	s_delay_alu instid0(VALU_DEP_3) | instskip(NEXT) | instid1(VALU_DEP_3)
	v_cmp_ne_u32_e32 vcc_lo, 0, v3
	v_cmp_ne_u32_e64 s1, 0, v1
	s_and_b32 s1, vcc_lo, s1
	s_delay_alu instid0(SALU_CYCLE_1) | instskip(NEXT) | instid1(VALU_DEP_1)
	v_cndmask_b32_e64 v1, 0, 1, s1
	v_add_nc_u32_e32 v3, v0, v1
.LBB316_1599:
	s_or_b32 exec_lo, exec_lo, s6
.LBB316_1600:
	s_mov_b32 s1, 0
.LBB316_1601:
	s_delay_alu instid0(SALU_CYCLE_1)
	s_and_not1_b32 vcc_lo, exec_lo, s1
	s_cbranch_vccnz .LBB316_1605
; %bb.1602:
	global_load_u16 v0, v[6:7], off
	s_wait_loadcnt 0x1
	v_mov_b32_e32 v3, 0xff
	s_mov_b32 s6, exec_lo
	s_wait_loadcnt 0x0
	v_cvt_f32_f16_e32 v0, v0
	s_delay_alu instid0(VALU_DEP_1) | instskip(SKIP_1) | instid1(VALU_DEP_1)
	v_bfe_u32 v1, v0, 23, 8
	s_wait_xcnt 0x0
	v_cmpx_ne_u32_e32 0xff, v1
	s_cbranch_execz .LBB316_1604
; %bb.1603:
	v_and_b32_e32 v3, 0x400000, v0
	v_and_or_b32 v1, 0x3fffff, v0, v1
	v_lshrrev_b32_e32 v0, 23, v0
	s_delay_alu instid0(VALU_DEP_3) | instskip(NEXT) | instid1(VALU_DEP_3)
	v_cmp_ne_u32_e32 vcc_lo, 0, v3
	v_cmp_ne_u32_e64 s1, 0, v1
	s_and_b32 s1, vcc_lo, s1
	s_delay_alu instid0(SALU_CYCLE_1) | instskip(NEXT) | instid1(VALU_DEP_1)
	v_cndmask_b32_e64 v1, 0, 1, s1
	v_add_nc_u32_e32 v3, v0, v1
.LBB316_1604:
	s_or_b32 exec_lo, exec_lo, s6
.LBB316_1605:
	s_cbranch_execnz .LBB316_1634
.LBB316_1606:
	s_sext_i32_i16 s1, s28
	s_delay_alu instid0(SALU_CYCLE_1)
	s_cmp_lt_i32 s1, 2
	s_cbranch_scc1 .LBB316_1612
; %bb.1607:
	s_cmp_lt_i32 s1, 3
	s_cbranch_scc1 .LBB316_1613
; %bb.1608:
	s_cmp_gt_i32 s1, 3
	s_cbranch_scc0 .LBB316_1614
; %bb.1609:
	s_wait_loadcnt 0x0
	global_load_b64 v[0:1], v[6:7], off
	s_mov_b32 s6, exec_lo
	s_wait_loadcnt 0x0
	v_xor_b32_e32 v3, v0, v1
	v_cls_i32_e32 v5, v1
	s_delay_alu instid0(VALU_DEP_2) | instskip(NEXT) | instid1(VALU_DEP_1)
	v_ashrrev_i32_e32 v3, 31, v3
	v_add_nc_u32_e32 v3, 32, v3
	s_delay_alu instid0(VALU_DEP_1) | instskip(NEXT) | instid1(VALU_DEP_1)
	v_add_min_u32_e64 v3, v5, -1, v3
	v_lshlrev_b64_e32 v[0:1], v3, v[0:1]
	s_delay_alu instid0(VALU_DEP_1) | instskip(NEXT) | instid1(VALU_DEP_1)
	v_min_u32_e32 v0, 1, v0
	v_dual_sub_nc_u32 v1, 32, v3 :: v_dual_bitop2_b32 v0, v1, v0 bitop3:0x54
	v_mov_b32_e32 v3, 0xff
	s_delay_alu instid0(VALU_DEP_2) | instskip(NEXT) | instid1(VALU_DEP_1)
	v_cvt_f32_i32_e32 v0, v0
	v_ldexp_f32 v0, v0, v1
	s_delay_alu instid0(VALU_DEP_1) | instskip(SKIP_1) | instid1(VALU_DEP_1)
	v_bfe_u32 v1, v0, 23, 8
	s_wait_xcnt 0x0
	v_cmpx_ne_u32_e32 0xff, v1
	s_cbranch_execz .LBB316_1611
; %bb.1610:
	v_and_b32_e32 v3, 0x400000, v0
	v_and_or_b32 v1, 0x3fffff, v0, v1
	v_lshrrev_b32_e32 v0, 23, v0
	s_delay_alu instid0(VALU_DEP_3) | instskip(NEXT) | instid1(VALU_DEP_3)
	v_cmp_ne_u32_e32 vcc_lo, 0, v3
	v_cmp_ne_u32_e64 s1, 0, v1
	s_and_b32 s1, vcc_lo, s1
	s_delay_alu instid0(SALU_CYCLE_1) | instskip(NEXT) | instid1(VALU_DEP_1)
	v_cndmask_b32_e64 v1, 0, 1, s1
	v_add_nc_u32_e32 v3, v0, v1
.LBB316_1611:
	s_or_b32 exec_lo, exec_lo, s6
	s_mov_b32 s1, 0
	s_branch .LBB316_1615
.LBB316_1612:
                                        ; implicit-def: $vgpr3
	s_branch .LBB316_1625
.LBB316_1613:
	s_mov_b32 s1, -1
                                        ; implicit-def: $vgpr3
	s_branch .LBB316_1620
.LBB316_1614:
	s_mov_b32 s1, -1
                                        ; implicit-def: $vgpr3
.LBB316_1615:
	s_delay_alu instid0(SALU_CYCLE_1)
	s_and_not1_b32 vcc_lo, exec_lo, s1
	s_cbranch_vccnz .LBB316_1619
; %bb.1616:
	global_load_b32 v0, v[6:7], off
	s_wait_loadcnt 0x1
	v_mov_b32_e32 v3, 0xff
	s_mov_b32 s6, exec_lo
	s_wait_loadcnt 0x0
	v_cvt_f32_i32_e32 v0, v0
	s_delay_alu instid0(VALU_DEP_1) | instskip(SKIP_1) | instid1(VALU_DEP_1)
	v_bfe_u32 v1, v0, 23, 8
	s_wait_xcnt 0x0
	v_cmpx_ne_u32_e32 0xff, v1
	s_cbranch_execz .LBB316_1618
; %bb.1617:
	v_and_b32_e32 v3, 0x400000, v0
	v_and_or_b32 v1, 0x3fffff, v0, v1
	v_lshrrev_b32_e32 v0, 23, v0
	s_delay_alu instid0(VALU_DEP_3) | instskip(NEXT) | instid1(VALU_DEP_3)
	v_cmp_ne_u32_e32 vcc_lo, 0, v3
	v_cmp_ne_u32_e64 s1, 0, v1
	s_and_b32 s1, vcc_lo, s1
	s_delay_alu instid0(SALU_CYCLE_1) | instskip(NEXT) | instid1(VALU_DEP_1)
	v_cndmask_b32_e64 v1, 0, 1, s1
	v_add_nc_u32_e32 v3, v0, v1
.LBB316_1618:
	s_or_b32 exec_lo, exec_lo, s6
.LBB316_1619:
	s_mov_b32 s1, 0
.LBB316_1620:
	s_delay_alu instid0(SALU_CYCLE_1)
	s_and_not1_b32 vcc_lo, exec_lo, s1
	s_cbranch_vccnz .LBB316_1624
; %bb.1621:
	global_load_i16 v0, v[6:7], off
	s_wait_loadcnt 0x1
	v_mov_b32_e32 v3, 0xff
	s_mov_b32 s6, exec_lo
	s_wait_loadcnt 0x0
	v_cvt_f32_i32_e32 v0, v0
	s_delay_alu instid0(VALU_DEP_1) | instskip(SKIP_1) | instid1(VALU_DEP_1)
	v_bfe_u32 v1, v0, 23, 8
	s_wait_xcnt 0x0
	v_cmpx_ne_u32_e32 0xff, v1
	s_cbranch_execz .LBB316_1623
; %bb.1622:
	v_and_b32_e32 v3, 0x400000, v0
	v_and_or_b32 v1, 0x3fffff, v0, v1
	v_lshrrev_b32_e32 v0, 23, v0
	s_delay_alu instid0(VALU_DEP_3) | instskip(NEXT) | instid1(VALU_DEP_3)
	v_cmp_ne_u32_e32 vcc_lo, 0, v3
	v_cmp_ne_u32_e64 s1, 0, v1
	s_and_b32 s1, vcc_lo, s1
	s_delay_alu instid0(SALU_CYCLE_1) | instskip(NEXT) | instid1(VALU_DEP_1)
	v_cndmask_b32_e64 v1, 0, 1, s1
	v_add_nc_u32_e32 v3, v0, v1
.LBB316_1623:
	s_or_b32 exec_lo, exec_lo, s6
.LBB316_1624:
	s_cbranch_execnz .LBB316_1634
.LBB316_1625:
	s_sext_i32_i16 s1, s28
	s_delay_alu instid0(SALU_CYCLE_1)
	s_cmp_gt_i32 s1, 0
	s_cbranch_scc0 .LBB316_1629
; %bb.1626:
	global_load_i8 v0, v[6:7], off
	s_wait_loadcnt 0x1
	v_mov_b32_e32 v3, 0xff
	s_mov_b32 s6, exec_lo
	s_wait_loadcnt 0x0
	v_cvt_f32_i32_e32 v0, v0
	s_delay_alu instid0(VALU_DEP_1) | instskip(SKIP_1) | instid1(VALU_DEP_1)
	v_bfe_u32 v1, v0, 23, 8
	s_wait_xcnt 0x0
	v_cmpx_ne_u32_e32 0xff, v1
	s_cbranch_execz .LBB316_1628
; %bb.1627:
	v_and_b32_e32 v3, 0x400000, v0
	v_and_or_b32 v1, 0x3fffff, v0, v1
	v_lshrrev_b32_e32 v0, 23, v0
	s_delay_alu instid0(VALU_DEP_3) | instskip(NEXT) | instid1(VALU_DEP_3)
	v_cmp_ne_u32_e32 vcc_lo, 0, v3
	v_cmp_ne_u32_e64 s1, 0, v1
	s_and_b32 s1, vcc_lo, s1
	s_delay_alu instid0(SALU_CYCLE_1) | instskip(NEXT) | instid1(VALU_DEP_1)
	v_cndmask_b32_e64 v1, 0, 1, s1
	v_add_nc_u32_e32 v3, v0, v1
.LBB316_1628:
	s_or_b32 exec_lo, exec_lo, s6
	s_mov_b32 s1, 0
	s_branch .LBB316_1630
.LBB316_1629:
	s_mov_b32 s1, -1
                                        ; implicit-def: $vgpr3
.LBB316_1630:
	s_delay_alu instid0(SALU_CYCLE_1)
	s_and_not1_b32 vcc_lo, exec_lo, s1
	s_cbranch_vccnz .LBB316_1634
; %bb.1631:
	global_load_u8 v0, v[6:7], off
	s_mov_b32 s6, exec_lo
	s_wait_loadcnt 0x1
	v_mov_b32_e32 v3, 0xff
	s_wait_loadcnt 0x0
	v_cvt_f32_ubyte0_e32 v1, v0
	s_delay_alu instid0(VALU_DEP_1) | instskip(SKIP_1) | instid1(VALU_DEP_1)
	v_lshrrev_b32_e32 v0, 23, v1
	s_wait_xcnt 0x0
	v_cmpx_ne_u32_e32 0xff, v0
; %bb.1632:
	v_and_b32_e32 v3, 0x400000, v1
	v_and_or_b32 v1, 0x3fffff, v1, v0
	s_delay_alu instid0(VALU_DEP_2) | instskip(NEXT) | instid1(VALU_DEP_2)
	v_cmp_ne_u32_e32 vcc_lo, 0, v3
	v_cmp_ne_u32_e64 s1, 0, v1
	s_and_b32 s1, vcc_lo, s1
	s_delay_alu instid0(SALU_CYCLE_1) | instskip(NEXT) | instid1(VALU_DEP_1)
	v_cndmask_b32_e64 v1, 0, 1, s1
	v_add_nc_u32_e32 v3, v0, v1
; %bb.1633:
	s_or_b32 exec_lo, exec_lo, s6
.LBB316_1634:
	s_delay_alu instid0(SALU_CYCLE_1)
	s_or_b32 s29, s29, exec_lo
.LBB316_1635:
	s_or_b32 exec_lo, exec_lo, s3
	s_mov_b32 s1, 0
	s_mov_b32 s12, 0
	;; [unrolled: 1-line block ×3, first 2 shown]
                                        ; implicit-def: $sgpr3
                                        ; implicit-def: $vgpr0_vgpr1
                                        ; implicit-def: $vgpr5
	s_and_saveexec_b32 s6, s29
	s_cbranch_execz .LBB316_1645
; %bb.1636:
	v_mov_b32_e32 v5, 0
	s_and_b32 s3, s13, 0xff
	s_delay_alu instid0(SALU_CYCLE_1) | instskip(SKIP_1) | instid1(VALU_DEP_1)
	s_cmp_lt_i32 s3, 11
	s_wait_loadcnt 0x0
	v_add_nc_u64_e32 v[0:1], s[8:9], v[4:5]
	s_cbranch_scc1 .LBB316_1650
; %bb.1637:
	s_and_b32 s7, 0xffff, s3
	s_mov_b32 s9, 0
	s_cmp_gt_i32 s7, 25
	s_cbranch_scc0 .LBB316_1651
; %bb.1638:
	s_cmp_gt_i32 s7, 28
	s_cbranch_scc0 .LBB316_1652
; %bb.1639:
	;; [unrolled: 3-line block ×4, first 2 shown]
	s_cmp_eq_u32 s7, 46
	s_cbranch_scc0 .LBB316_1655
; %bb.1642:
	global_load_b32 v4, v[0:1], off
	s_mov_b32 s8, exec_lo
	s_wait_loadcnt 0x0
	v_dual_mov_b32 v5, 0xff :: v_dual_lshlrev_b32 v6, 16, v4
	s_delay_alu instid0(VALU_DEP_1) | instskip(SKIP_1) | instid1(VALU_DEP_1)
	v_bfe_u32 v7, v6, 23, 8
	s_wait_xcnt 0x0
	v_cmpx_ne_u32_e32 0xff, v7
	s_cbranch_execz .LBB316_1644
; %bb.1643:
	v_and_b32_e32 v5, 64, v4
	v_and_or_b32 v6, 0x3f0000, v6, v7
	v_bfe_u32 v4, v4, 7, 9
	s_delay_alu instid0(VALU_DEP_3) | instskip(NEXT) | instid1(VALU_DEP_3)
	v_cmp_ne_u32_e32 vcc_lo, 0, v5
	v_cmp_ne_u32_e64 s1, 0, v6
	s_and_b32 s1, vcc_lo, s1
	s_delay_alu instid0(SALU_CYCLE_1) | instskip(NEXT) | instid1(VALU_DEP_1)
	v_cndmask_b32_e64 v5, 0, 1, s1
	v_add_nc_u32_e32 v5, v4, v5
.LBB316_1644:
	s_or_b32 exec_lo, exec_lo, s8
	s_mov_b32 s8, 0
	s_mov_b32 s1, -1
	s_branch .LBB316_1657
.LBB316_1645:
	s_or_b32 exec_lo, exec_lo, s6
	s_and_saveexec_b32 s6, s41
	s_cbranch_execnz .LBB316_1736
.LBB316_1646:
	s_or_b32 exec_lo, exec_lo, s6
	s_and_saveexec_b32 s6, s1
	s_delay_alu instid0(SALU_CYCLE_1)
	s_xor_b32 s6, exec_lo, s6
	s_cbranch_execz .LBB316_1737
.LBB316_1647:
	s_wait_loadcnt 0x0
	global_load_u8 v4, v[0:1], off
	s_mov_b32 s8, exec_lo
	v_mov_b32_e32 v5, 0xff
	s_wait_loadcnt 0x0
	v_cmp_ne_u16_e32 vcc_lo, 0, v4
	v_cndmask_b32_e64 v6, 0, 1.0, vcc_lo
	s_delay_alu instid0(VALU_DEP_1) | instskip(SKIP_1) | instid1(VALU_DEP_1)
	v_lshrrev_b32_e32 v4, 23, v6
	s_wait_xcnt 0x0
	v_cmpx_ne_u32_e32 0xff, v4
; %bb.1648:
	v_and_b32_e32 v5, 0x400000, v6
	v_and_or_b32 v6, 0x3fffff, v6, v4
	s_delay_alu instid0(VALU_DEP_2) | instskip(NEXT) | instid1(VALU_DEP_2)
	v_cmp_ne_u32_e32 vcc_lo, 0, v5
	v_cmp_ne_u32_e64 s1, 0, v6
	s_and_b32 s1, vcc_lo, s1
	s_delay_alu instid0(SALU_CYCLE_1) | instskip(NEXT) | instid1(VALU_DEP_1)
	v_cndmask_b32_e64 v5, 0, 1, s1
	v_add_nc_u32_e32 v5, v4, v5
; %bb.1649:
	s_or_b32 exec_lo, exec_lo, s8
	s_delay_alu instid0(SALU_CYCLE_1)
	s_or_b32 s7, s7, exec_lo
	s_or_b32 exec_lo, exec_lo, s6
	s_and_saveexec_b32 s6, s12
	s_cbranch_execz .LBB316_1805
	s_branch .LBB316_1738
.LBB316_1650:
	s_mov_b32 s12, -1
	s_mov_b32 s9, 0
	s_mov_b32 s8, s41
                                        ; implicit-def: $vgpr5
	s_branch .LBB316_1735
.LBB316_1651:
	s_mov_b32 s8, s41
                                        ; implicit-def: $vgpr5
	s_cbranch_execnz .LBB316_1694
	s_branch .LBB316_1734
.LBB316_1652:
	s_mov_b32 s12, -1
	s_mov_b32 s8, s41
                                        ; implicit-def: $vgpr5
	s_branch .LBB316_1669
.LBB316_1653:
	s_mov_b32 s12, -1
	s_mov_b32 s8, s41
                                        ; implicit-def: $vgpr5
	s_branch .LBB316_1662
.LBB316_1654:
	s_mov_b32 s12, -1
	s_mov_b32 s8, s41
	s_branch .LBB316_1656
.LBB316_1655:
	s_mov_b32 s8, -1
.LBB316_1656:
                                        ; implicit-def: $vgpr5
.LBB316_1657:
	s_and_b32 vcc_lo, exec_lo, s12
	s_cbranch_vccz .LBB316_1661
; %bb.1658:
	s_cmp_eq_u32 s7, 44
	s_cbranch_scc0 .LBB316_1660
; %bb.1659:
	global_load_u8 v5, v[0:1], off
	s_mov_b32 s8, 0
	s_mov_b32 s1, -1
	s_branch .LBB316_1661
.LBB316_1660:
	s_mov_b32 s8, -1
                                        ; implicit-def: $vgpr5
.LBB316_1661:
	s_mov_b32 s12, 0
.LBB316_1662:
	s_delay_alu instid0(SALU_CYCLE_1)
	s_and_b32 vcc_lo, exec_lo, s12
	s_cbranch_vccz .LBB316_1668
; %bb.1663:
	s_cmp_eq_u32 s7, 29
	s_cbranch_scc0 .LBB316_1667
; %bb.1664:
	s_wait_loadcnt 0x0
	global_load_b64 v[4:5], v[0:1], off
	s_mov_b32 s8, exec_lo
	s_wait_loadcnt 0x0
	v_clz_i32_u32_e32 v6, v5
	s_delay_alu instid0(VALU_DEP_1) | instskip(NEXT) | instid1(VALU_DEP_1)
	v_min_u32_e32 v6, 32, v6
	v_lshlrev_b64_e32 v[4:5], v6, v[4:5]
	s_delay_alu instid0(VALU_DEP_1) | instskip(NEXT) | instid1(VALU_DEP_1)
	v_min_u32_e32 v4, 1, v4
	v_dual_sub_nc_u32 v5, 32, v6 :: v_dual_bitop2_b32 v4, v5, v4 bitop3:0x54
	s_delay_alu instid0(VALU_DEP_1) | instskip(NEXT) | instid1(VALU_DEP_1)
	v_cvt_f32_u32_e32 v4, v4
	v_ldexp_f32 v6, v4, v5
	s_delay_alu instid0(VALU_DEP_1) | instskip(SKIP_1) | instid1(VALU_DEP_1)
	v_dual_mov_b32 v5, 0xff :: v_dual_lshrrev_b32 v4, 23, v6
	s_wait_xcnt 0x0
	v_cmpx_ne_u32_e32 0xff, v4
; %bb.1665:
	v_and_b32_e32 v5, 0x400000, v6
	v_and_or_b32 v6, 0x3fffff, v6, v4
	s_delay_alu instid0(VALU_DEP_2) | instskip(NEXT) | instid1(VALU_DEP_2)
	v_cmp_ne_u32_e32 vcc_lo, 0, v5
	v_cmp_ne_u32_e64 s1, 0, v6
	s_and_b32 s1, vcc_lo, s1
	s_delay_alu instid0(SALU_CYCLE_1) | instskip(NEXT) | instid1(VALU_DEP_1)
	v_cndmask_b32_e64 v5, 0, 1, s1
	v_add_nc_u32_e32 v5, v4, v5
; %bb.1666:
	s_or_b32 exec_lo, exec_lo, s8
	s_mov_b32 s8, 0
	s_mov_b32 s1, -1
	s_branch .LBB316_1668
.LBB316_1667:
	s_mov_b32 s8, -1
                                        ; implicit-def: $vgpr5
.LBB316_1668:
	s_mov_b32 s12, 0
.LBB316_1669:
	s_delay_alu instid0(SALU_CYCLE_1)
	s_and_b32 vcc_lo, exec_lo, s12
	s_cbranch_vccz .LBB316_1693
; %bb.1670:
	s_cmp_lt_i32 s7, 27
	s_cbranch_scc1 .LBB316_1675
; %bb.1671:
	s_cmp_gt_i32 s7, 27
	s_cbranch_scc0 .LBB316_1676
; %bb.1672:
	global_load_b32 v4, v[0:1], off
	s_mov_b32 s12, exec_lo
	s_wait_loadcnt 0x1
	v_mov_b32_e32 v5, 0xff
	s_wait_loadcnt 0x0
	v_cvt_f32_u32_e32 v6, v4
	s_delay_alu instid0(VALU_DEP_1) | instskip(SKIP_1) | instid1(VALU_DEP_1)
	v_lshrrev_b32_e32 v4, 23, v6
	s_wait_xcnt 0x0
	v_cmpx_ne_u32_e32 0xff, v4
; %bb.1673:
	v_and_b32_e32 v5, 0x400000, v6
	v_and_or_b32 v6, 0x3fffff, v6, v4
	s_delay_alu instid0(VALU_DEP_2) | instskip(NEXT) | instid1(VALU_DEP_2)
	v_cmp_ne_u32_e32 vcc_lo, 0, v5
	v_cmp_ne_u32_e64 s1, 0, v6
	s_and_b32 s1, vcc_lo, s1
	s_delay_alu instid0(SALU_CYCLE_1) | instskip(NEXT) | instid1(VALU_DEP_1)
	v_cndmask_b32_e64 v5, 0, 1, s1
	v_add_nc_u32_e32 v5, v4, v5
; %bb.1674:
	s_or_b32 exec_lo, exec_lo, s12
	s_mov_b32 s1, 0
	s_branch .LBB316_1677
.LBB316_1675:
	s_mov_b32 s1, -1
                                        ; implicit-def: $vgpr5
	s_branch .LBB316_1682
.LBB316_1676:
	s_mov_b32 s1, -1
                                        ; implicit-def: $vgpr5
.LBB316_1677:
	s_delay_alu instid0(SALU_CYCLE_1)
	s_and_not1_b32 vcc_lo, exec_lo, s1
	s_cbranch_vccnz .LBB316_1681
; %bb.1678:
	global_load_u16 v4, v[0:1], off
	s_mov_b32 s12, exec_lo
	s_wait_loadcnt 0x1
	v_mov_b32_e32 v5, 0xff
	s_wait_loadcnt 0x0
	v_cvt_f32_u32_e32 v6, v4
	s_delay_alu instid0(VALU_DEP_1) | instskip(SKIP_1) | instid1(VALU_DEP_1)
	v_lshrrev_b32_e32 v4, 23, v6
	s_wait_xcnt 0x0
	v_cmpx_ne_u32_e32 0xff, v4
; %bb.1679:
	v_and_b32_e32 v5, 0x400000, v6
	v_and_or_b32 v6, 0x3fffff, v6, v4
	s_delay_alu instid0(VALU_DEP_2) | instskip(NEXT) | instid1(VALU_DEP_2)
	v_cmp_ne_u32_e32 vcc_lo, 0, v5
	v_cmp_ne_u32_e64 s1, 0, v6
	s_and_b32 s1, vcc_lo, s1
	s_delay_alu instid0(SALU_CYCLE_1) | instskip(NEXT) | instid1(VALU_DEP_1)
	v_cndmask_b32_e64 v5, 0, 1, s1
	v_add_nc_u32_e32 v5, v4, v5
; %bb.1680:
	s_or_b32 exec_lo, exec_lo, s12
.LBB316_1681:
	s_mov_b32 s1, 0
.LBB316_1682:
	s_delay_alu instid0(SALU_CYCLE_1)
	s_and_not1_b32 vcc_lo, exec_lo, s1
	s_cbranch_vccnz .LBB316_1692
; %bb.1683:
	global_load_u8 v4, v[0:1], off
	s_mov_b32 s1, 0
	s_mov_b32 s12, exec_lo
	s_wait_loadcnt 0x0
	v_cmpx_lt_i16_e32 0x7f, v4
	s_xor_b32 s12, exec_lo, s12
	s_cbranch_execz .LBB316_1707
; %bb.1684:
	s_mov_b32 s1, -1
	s_mov_b32 s13, exec_lo
	v_cmpx_eq_u16_e32 0x80, v4
; %bb.1685:
	s_xor_b32 s1, exec_lo, -1
; %bb.1686:
	s_or_b32 exec_lo, exec_lo, s13
	s_delay_alu instid0(SALU_CYCLE_1)
	s_and_b32 s1, s1, exec_lo
	s_or_saveexec_b32 s12, s12
	v_mov_b32_e32 v6, 0x7f800001
	s_xor_b32 exec_lo, exec_lo, s12
	s_cbranch_execnz .LBB316_1708
.LBB316_1687:
	s_or_b32 exec_lo, exec_lo, s12
	s_and_saveexec_b32 s12, s1
	s_cbranch_execz .LBB316_1689
.LBB316_1688:
	v_and_b32_e32 v4, 0xffff, v4
	s_delay_alu instid0(VALU_DEP_1) | instskip(NEXT) | instid1(VALU_DEP_1)
	v_and_b32_e32 v5, 7, v4
	v_clz_i32_u32_e32 v6, v5
	s_delay_alu instid0(VALU_DEP_1) | instskip(NEXT) | instid1(VALU_DEP_1)
	v_min_u32_e32 v6, 32, v6
	v_subrev_nc_u32_e32 v7, 28, v6
	s_delay_alu instid0(VALU_DEP_1) | instskip(SKIP_1) | instid1(VALU_DEP_2)
	v_lshlrev_b32_e32 v7, v7, v4
	v_bfe_u32 v4, v4, 3, 4
	v_dual_sub_nc_u32 v6, 29, v6 :: v_dual_bitop2_b32 v7, 7, v7 bitop3:0x40
	s_delay_alu instid0(VALU_DEP_2) | instskip(NEXT) | instid1(VALU_DEP_2)
	v_cmp_eq_u32_e32 vcc_lo, 0, v4
	v_dual_cndmask_b32 v4, v4, v6 :: v_dual_cndmask_b32 v5, v5, v7
	s_delay_alu instid0(VALU_DEP_1) | instskip(NEXT) | instid1(VALU_DEP_1)
	v_lshlrev_b32_e32 v5, 20, v5
	v_lshl_or_b32 v4, v4, 23, v5
	s_delay_alu instid0(VALU_DEP_1)
	v_add_nc_u32_e32 v6, 0x3b800000, v4
.LBB316_1689:
	s_or_b32 exec_lo, exec_lo, s12
	s_delay_alu instid0(VALU_DEP_1) | instskip(SKIP_1) | instid1(VALU_DEP_1)
	v_dual_mov_b32 v5, 0xff :: v_dual_lshrrev_b32 v4, 23, v6
	s_mov_b32 s12, exec_lo
	v_cmpx_ne_u32_e32 0xff, v4
; %bb.1690:
	v_and_b32_e32 v5, 0x400000, v6
	v_and_or_b32 v6, 0x3fffff, v6, v4
	s_delay_alu instid0(VALU_DEP_2) | instskip(NEXT) | instid1(VALU_DEP_2)
	v_cmp_ne_u32_e32 vcc_lo, 0, v5
	v_cmp_ne_u32_e64 s1, 0, v6
	s_and_b32 s1, vcc_lo, s1
	s_delay_alu instid0(SALU_CYCLE_1) | instskip(NEXT) | instid1(VALU_DEP_1)
	v_cndmask_b32_e64 v5, 0, 1, s1
	v_add_nc_u32_e32 v5, v4, v5
; %bb.1691:
	s_or_b32 exec_lo, exec_lo, s12
.LBB316_1692:
	s_mov_b32 s1, -1
.LBB316_1693:
	s_branch .LBB316_1734
.LBB316_1694:
	s_cmp_gt_i32 s7, 22
	s_cbranch_scc0 .LBB316_1706
; %bb.1695:
	s_cmp_lt_i32 s7, 24
	s_cbranch_scc1 .LBB316_1709
; %bb.1696:
	s_cmp_gt_i32 s7, 24
	s_cbranch_scc0 .LBB316_1710
; %bb.1697:
	global_load_u8 v4, v[0:1], off
	s_mov_b32 s1, 0
	s_mov_b32 s9, exec_lo
	s_wait_loadcnt 0x0
	v_cmpx_lt_i16_e32 0x7f, v4
	s_xor_b32 s9, exec_lo, s9
	s_cbranch_execz .LBB316_1728
; %bb.1698:
	s_mov_b32 s1, -1
	s_mov_b32 s12, exec_lo
	v_cmpx_eq_u16_e32 0x80, v4
; %bb.1699:
	s_xor_b32 s1, exec_lo, -1
; %bb.1700:
	s_or_b32 exec_lo, exec_lo, s12
	s_delay_alu instid0(SALU_CYCLE_1)
	s_and_b32 s1, s1, exec_lo
	s_or_saveexec_b32 s9, s9
	v_mov_b32_e32 v6, 0x7f800001
	s_xor_b32 exec_lo, exec_lo, s9
	s_cbranch_execnz .LBB316_1729
.LBB316_1701:
	s_or_b32 exec_lo, exec_lo, s9
	s_and_saveexec_b32 s9, s1
	s_cbranch_execz .LBB316_1703
.LBB316_1702:
	v_and_b32_e32 v4, 0xffff, v4
	s_delay_alu instid0(VALU_DEP_1) | instskip(NEXT) | instid1(VALU_DEP_1)
	v_and_b32_e32 v5, 3, v4
	v_clz_i32_u32_e32 v6, v5
	s_delay_alu instid0(VALU_DEP_1) | instskip(NEXT) | instid1(VALU_DEP_1)
	v_min_u32_e32 v6, 32, v6
	v_subrev_nc_u32_e32 v7, 29, v6
	s_delay_alu instid0(VALU_DEP_1) | instskip(SKIP_1) | instid1(VALU_DEP_2)
	v_lshlrev_b32_e32 v7, v7, v4
	v_bfe_u32 v4, v4, 2, 5
	v_dual_sub_nc_u32 v6, 30, v6 :: v_dual_bitop2_b32 v7, 3, v7 bitop3:0x40
	s_delay_alu instid0(VALU_DEP_2) | instskip(NEXT) | instid1(VALU_DEP_2)
	v_cmp_eq_u32_e32 vcc_lo, 0, v4
	v_dual_cndmask_b32 v4, v4, v6 :: v_dual_cndmask_b32 v5, v5, v7
	s_delay_alu instid0(VALU_DEP_1) | instskip(NEXT) | instid1(VALU_DEP_1)
	v_lshlrev_b32_e32 v5, 21, v5
	v_lshl_or_b32 v4, v4, 23, v5
	s_delay_alu instid0(VALU_DEP_1)
	v_add_nc_u32_e32 v6, 0x37800000, v4
.LBB316_1703:
	s_or_b32 exec_lo, exec_lo, s9
	s_delay_alu instid0(VALU_DEP_1) | instskip(SKIP_1) | instid1(VALU_DEP_1)
	v_dual_mov_b32 v5, 0xff :: v_dual_lshrrev_b32 v4, 23, v6
	s_mov_b32 s9, exec_lo
	v_cmpx_ne_u32_e32 0xff, v4
; %bb.1704:
	v_and_b32_e32 v5, 0x400000, v6
	v_and_or_b32 v6, 0x3fffff, v6, v4
	s_delay_alu instid0(VALU_DEP_2) | instskip(NEXT) | instid1(VALU_DEP_2)
	v_cmp_ne_u32_e32 vcc_lo, 0, v5
	v_cmp_ne_u32_e64 s1, 0, v6
	s_and_b32 s1, vcc_lo, s1
	s_delay_alu instid0(SALU_CYCLE_1) | instskip(NEXT) | instid1(VALU_DEP_1)
	v_cndmask_b32_e64 v5, 0, 1, s1
	v_add_nc_u32_e32 v5, v4, v5
; %bb.1705:
	s_or_b32 exec_lo, exec_lo, s9
	s_mov_b32 s1, 0
	s_branch .LBB316_1711
.LBB316_1706:
	s_mov_b32 s9, -1
                                        ; implicit-def: $vgpr5
	s_branch .LBB316_1721
.LBB316_1707:
	s_or_saveexec_b32 s12, s12
	v_mov_b32_e32 v6, 0x7f800001
	s_xor_b32 exec_lo, exec_lo, s12
	s_cbranch_execz .LBB316_1687
.LBB316_1708:
	v_cmp_ne_u16_e32 vcc_lo, 0, v4
	v_and_b32_e32 v6, 0xffff, v4
	s_and_not1_b32 s1, s1, exec_lo
	s_and_b32 s13, vcc_lo, exec_lo
	s_delay_alu instid0(SALU_CYCLE_1)
	s_or_b32 s1, s1, s13
	s_or_b32 exec_lo, exec_lo, s12
	s_and_saveexec_b32 s12, s1
	s_cbranch_execnz .LBB316_1688
	s_branch .LBB316_1689
.LBB316_1709:
	s_mov_b32 s1, -1
                                        ; implicit-def: $vgpr5
	s_branch .LBB316_1716
.LBB316_1710:
	s_mov_b32 s1, -1
                                        ; implicit-def: $vgpr5
.LBB316_1711:
	s_delay_alu instid0(SALU_CYCLE_1)
	s_and_b32 vcc_lo, exec_lo, s1
	s_cbranch_vccz .LBB316_1715
; %bb.1712:
	global_load_u8 v4, v[0:1], off
	s_mov_b32 s9, exec_lo
	s_wait_loadcnt 0x0
	v_lshlrev_b32_e32 v4, 24, v4
	s_delay_alu instid0(VALU_DEP_1) | instskip(NEXT) | instid1(VALU_DEP_1)
	v_and_b32_e32 v4, 0x7f000000, v4
	v_clz_i32_u32_e32 v5, v4
	v_cmp_ne_u32_e32 vcc_lo, 0, v4
	v_add_nc_u32_e32 v7, 0x1000000, v4
	s_delay_alu instid0(VALU_DEP_3) | instskip(NEXT) | instid1(VALU_DEP_1)
	v_min_u32_e32 v5, 32, v5
	v_sub_nc_u32_e64 v5, v5, 4 clamp
	s_delay_alu instid0(VALU_DEP_1) | instskip(NEXT) | instid1(VALU_DEP_1)
	v_dual_lshlrev_b32 v6, v5, v4 :: v_dual_lshlrev_b32 v5, 23, v5
	v_lshrrev_b32_e32 v6, 4, v6
	s_delay_alu instid0(VALU_DEP_1) | instskip(NEXT) | instid1(VALU_DEP_1)
	v_dual_sub_nc_u32 v5, v6, v5 :: v_dual_ashrrev_i32 v6, 8, v7
	v_add_nc_u32_e32 v5, 0x3c000000, v5
	s_delay_alu instid0(VALU_DEP_1) | instskip(NEXT) | instid1(VALU_DEP_1)
	v_and_or_b32 v5, 0x7f800000, v6, v5
	v_dual_cndmask_b32 v6, 0, v5 :: v_dual_mov_b32 v5, 0xff
	s_delay_alu instid0(VALU_DEP_1) | instskip(SKIP_1) | instid1(VALU_DEP_1)
	v_lshrrev_b32_e32 v4, 23, v6
	s_wait_xcnt 0x0
	v_cmpx_ne_u32_e32 0xff, v4
; %bb.1713:
	v_and_b32_e32 v5, 0x400000, v6
	v_and_or_b32 v6, 0x3fffff, v6, v4
	s_delay_alu instid0(VALU_DEP_2) | instskip(NEXT) | instid1(VALU_DEP_2)
	v_cmp_ne_u32_e32 vcc_lo, 0, v5
	v_cmp_ne_u32_e64 s1, 0, v6
	s_and_b32 s1, vcc_lo, s1
	s_delay_alu instid0(SALU_CYCLE_1) | instskip(NEXT) | instid1(VALU_DEP_1)
	v_cndmask_b32_e64 v5, 0, 1, s1
	v_add_nc_u32_e32 v5, v4, v5
; %bb.1714:
	s_or_b32 exec_lo, exec_lo, s9
.LBB316_1715:
	s_mov_b32 s1, 0
.LBB316_1716:
	s_delay_alu instid0(SALU_CYCLE_1)
	s_and_not1_b32 vcc_lo, exec_lo, s1
	s_cbranch_vccnz .LBB316_1720
; %bb.1717:
	global_load_u8 v4, v[0:1], off
	s_mov_b32 s9, exec_lo
	s_wait_loadcnt 0x0
	v_dual_lshlrev_b32 v5, 25, v4 :: v_dual_lshlrev_b32 v4, 8, v4
	s_delay_alu instid0(VALU_DEP_1) | instskip(NEXT) | instid1(VALU_DEP_2)
	v_cmp_gt_u32_e32 vcc_lo, 0x8000000, v5
	v_and_or_b32 v4, 0x7f00, v4, 0.5
	v_dual_mov_b32 v5, 0xff :: v_dual_lshrrev_b32 v6, 4, v5
	s_delay_alu instid0(VALU_DEP_2) | instskip(NEXT) | instid1(VALU_DEP_2)
	v_add_f32_e32 v4, -0.5, v4
	v_or_b32_e32 v6, 0x70000000, v6
	s_delay_alu instid0(VALU_DEP_1) | instskip(NEXT) | instid1(VALU_DEP_1)
	v_mul_f32_e32 v6, 0x7800000, v6
	v_cndmask_b32_e32 v4, v6, v4, vcc_lo
	s_delay_alu instid0(VALU_DEP_1) | instskip(SKIP_1) | instid1(VALU_DEP_1)
	v_bfe_u32 v6, v4, 23, 8
	s_wait_xcnt 0x0
	v_cmpx_ne_u32_e32 0xff, v6
	s_cbranch_execz .LBB316_1719
; %bb.1718:
	v_and_b32_e32 v5, 0x400000, v4
	v_and_or_b32 v6, 0x3fffff, v4, v6
	v_lshrrev_b32_e32 v4, 23, v4
	s_delay_alu instid0(VALU_DEP_3) | instskip(NEXT) | instid1(VALU_DEP_3)
	v_cmp_ne_u32_e32 vcc_lo, 0, v5
	v_cmp_ne_u32_e64 s1, 0, v6
	s_and_b32 s1, vcc_lo, s1
	s_delay_alu instid0(SALU_CYCLE_1) | instskip(NEXT) | instid1(VALU_DEP_1)
	v_cndmask_b32_e64 v5, 0, 1, s1
	v_add_nc_u32_e32 v5, v4, v5
.LBB316_1719:
	s_or_b32 exec_lo, exec_lo, s9
.LBB316_1720:
	s_mov_b32 s9, 0
	s_mov_b32 s1, -1
.LBB316_1721:
	s_and_not1_b32 vcc_lo, exec_lo, s9
	s_mov_b32 s9, 0
	s_cbranch_vccnz .LBB316_1734
; %bb.1722:
	s_cmp_gt_i32 s7, 14
	s_cbranch_scc0 .LBB316_1727
; %bb.1723:
	s_cmp_eq_u32 s7, 15
	s_cbranch_scc0 .LBB316_1730
; %bb.1724:
	global_load_u16 v4, v[0:1], off
	s_wait_loadcnt 0x1
	v_mov_b32_e32 v5, 0xff
	s_mov_b32 s8, exec_lo
	s_wait_loadcnt 0x0
	v_bfe_u32 v6, v4, 7, 8
	s_wait_xcnt 0x0
	s_delay_alu instid0(VALU_DEP_1)
	v_cmpx_ne_u32_e32 0xff, v6
	s_cbranch_execz .LBB316_1726
; %bb.1725:
	v_dual_lshlrev_b32 v5, 16, v4 :: v_dual_bitop2_b32 v7, 64, v4 bitop3:0x40
	v_lshrrev_b32_e32 v4, 7, v4
	s_delay_alu instid0(VALU_DEP_2) | instskip(NEXT) | instid1(VALU_DEP_3)
	v_and_or_b32 v5, 0x3f0000, v5, v6
	v_cmp_ne_u32_e32 vcc_lo, 0, v7
	s_delay_alu instid0(VALU_DEP_2) | instskip(SKIP_1) | instid1(SALU_CYCLE_1)
	v_cmp_ne_u32_e64 s1, 0, v5
	s_and_b32 s1, vcc_lo, s1
	v_cndmask_b32_e64 v5, 0, 1, s1
	s_delay_alu instid0(VALU_DEP_1)
	v_add_nc_u32_e32 v5, v4, v5
.LBB316_1726:
	s_or_b32 exec_lo, exec_lo, s8
	s_mov_b32 s8, 0
	s_mov_b32 s1, -1
	s_branch .LBB316_1732
.LBB316_1727:
	s_mov_b32 s9, -1
	s_branch .LBB316_1731
.LBB316_1728:
	s_or_saveexec_b32 s9, s9
	v_mov_b32_e32 v6, 0x7f800001
	s_xor_b32 exec_lo, exec_lo, s9
	s_cbranch_execz .LBB316_1701
.LBB316_1729:
	v_cmp_ne_u16_e32 vcc_lo, 0, v4
	v_and_b32_e32 v6, 0xffff, v4
	s_and_not1_b32 s1, s1, exec_lo
	s_and_b32 s12, vcc_lo, exec_lo
	s_delay_alu instid0(SALU_CYCLE_1)
	s_or_b32 s1, s1, s12
	s_or_b32 exec_lo, exec_lo, s9
	s_and_saveexec_b32 s9, s1
	s_cbranch_execnz .LBB316_1702
	s_branch .LBB316_1703
.LBB316_1730:
	s_mov_b32 s8, -1
.LBB316_1731:
                                        ; implicit-def: $vgpr5
.LBB316_1732:
	s_and_b32 vcc_lo, exec_lo, s9
	s_mov_b32 s9, 0
	s_cbranch_vccz .LBB316_1734
; %bb.1733:
	s_cmp_lg_u32 s7, 11
	s_mov_b32 s9, -1
	s_cselect_b32 s7, -1, 0
	s_and_not1_b32 s8, s8, exec_lo
	s_and_b32 s7, s7, exec_lo
	s_delay_alu instid0(SALU_CYCLE_1)
	s_or_b32 s8, s8, s7
.LBB316_1734:
	s_mov_b32 s12, 0
.LBB316_1735:
	s_and_not1_b32 s13, s41, exec_lo
	s_and_b32 s8, s8, exec_lo
	s_and_b32 s7, s1, exec_lo
	;; [unrolled: 1-line block ×4, first 2 shown]
	s_or_b32 s41, s13, s8
	s_wait_xcnt 0x0
	s_or_b32 exec_lo, exec_lo, s6
	s_and_saveexec_b32 s6, s41
	s_cbranch_execz .LBB316_1646
.LBB316_1736:
	s_or_b32 s2, s2, exec_lo
	s_and_not1_b32 s1, s1, exec_lo
	s_trap 2
	s_or_b32 exec_lo, exec_lo, s6
	s_and_saveexec_b32 s6, s1
	s_delay_alu instid0(SALU_CYCLE_1)
	s_xor_b32 s6, exec_lo, s6
	s_cbranch_execnz .LBB316_1647
.LBB316_1737:
	s_or_b32 exec_lo, exec_lo, s6
	s_and_saveexec_b32 s6, s12
	s_cbranch_execz .LBB316_1805
.LBB316_1738:
	s_sext_i32_i16 s1, s3
	s_delay_alu instid0(SALU_CYCLE_1)
	s_cmp_lt_i32 s1, 5
	s_cbranch_scc1 .LBB316_1745
; %bb.1739:
	s_cmp_lt_i32 s1, 8
	s_cbranch_scc1 .LBB316_1746
; %bb.1740:
	;; [unrolled: 3-line block ×3, first 2 shown]
	s_cmp_gt_i32 s1, 9
	s_cbranch_scc0 .LBB316_1748
; %bb.1742:
	s_wait_loadcnt 0x0
	global_load_b64 v[4:5], v[0:1], off
	s_mov_b32 s8, exec_lo
	s_wait_loadcnt 0x0
	v_cvt_f32_f64_e32 v4, v[4:5]
	v_mov_b32_e32 v5, 0xff
	s_delay_alu instid0(VALU_DEP_2) | instskip(SKIP_1) | instid1(VALU_DEP_1)
	v_bfe_u32 v6, v4, 23, 8
	s_wait_xcnt 0x0
	v_cmpx_ne_u32_e32 0xff, v6
	s_cbranch_execz .LBB316_1744
; %bb.1743:
	v_and_b32_e32 v5, 0x400000, v4
	v_and_or_b32 v6, 0x3fffff, v4, v6
	v_lshrrev_b32_e32 v4, 23, v4
	s_delay_alu instid0(VALU_DEP_3) | instskip(NEXT) | instid1(VALU_DEP_3)
	v_cmp_ne_u32_e32 vcc_lo, 0, v5
	v_cmp_ne_u32_e64 s1, 0, v6
	s_and_b32 s1, vcc_lo, s1
	s_delay_alu instid0(SALU_CYCLE_1) | instskip(NEXT) | instid1(VALU_DEP_1)
	v_cndmask_b32_e64 v5, 0, 1, s1
	v_add_nc_u32_e32 v5, v4, v5
.LBB316_1744:
	s_or_b32 exec_lo, exec_lo, s8
	s_mov_b32 s1, 0
	s_branch .LBB316_1749
.LBB316_1745:
                                        ; implicit-def: $vgpr5
	s_branch .LBB316_1776
.LBB316_1746:
                                        ; implicit-def: $vgpr5
	s_branch .LBB316_1759
.LBB316_1747:
	s_mov_b32 s1, -1
                                        ; implicit-def: $vgpr5
	s_branch .LBB316_1754
.LBB316_1748:
	s_mov_b32 s1, -1
                                        ; implicit-def: $vgpr5
.LBB316_1749:
	s_delay_alu instid0(SALU_CYCLE_1)
	s_and_not1_b32 vcc_lo, exec_lo, s1
	s_cbranch_vccnz .LBB316_1753
; %bb.1750:
	s_wait_loadcnt 0x0
	global_load_b32 v4, v[0:1], off
	v_mov_b32_e32 v5, 0xff
	s_mov_b32 s8, exec_lo
	s_wait_loadcnt 0x0
	v_bfe_u32 v6, v4, 23, 8
	s_wait_xcnt 0x0
	s_delay_alu instid0(VALU_DEP_1)
	v_cmpx_ne_u32_e32 0xff, v6
	s_cbranch_execz .LBB316_1752
; %bb.1751:
	v_and_b32_e32 v5, 0x400000, v4
	v_and_or_b32 v6, 0x3fffff, v4, v6
	v_lshrrev_b32_e32 v4, 23, v4
	s_delay_alu instid0(VALU_DEP_3) | instskip(NEXT) | instid1(VALU_DEP_3)
	v_cmp_ne_u32_e32 vcc_lo, 0, v5
	v_cmp_ne_u32_e64 s1, 0, v6
	s_and_b32 s1, vcc_lo, s1
	s_delay_alu instid0(SALU_CYCLE_1) | instskip(NEXT) | instid1(VALU_DEP_1)
	v_cndmask_b32_e64 v5, 0, 1, s1
	v_add_nc_u32_e32 v5, v4, v5
.LBB316_1752:
	s_or_b32 exec_lo, exec_lo, s8
.LBB316_1753:
	s_mov_b32 s1, 0
.LBB316_1754:
	s_delay_alu instid0(SALU_CYCLE_1)
	s_and_not1_b32 vcc_lo, exec_lo, s1
	s_cbranch_vccnz .LBB316_1758
; %bb.1755:
	s_wait_loadcnt 0x0
	global_load_b32 v4, v[0:1], off
	v_mov_b32_e32 v5, 0xff
	s_mov_b32 s8, exec_lo
	s_wait_loadcnt 0x0
	v_cvt_f32_f16_e32 v4, v4
	s_delay_alu instid0(VALU_DEP_1) | instskip(SKIP_1) | instid1(VALU_DEP_1)
	v_bfe_u32 v6, v4, 23, 8
	s_wait_xcnt 0x0
	v_cmpx_ne_u32_e32 0xff, v6
	s_cbranch_execz .LBB316_1757
; %bb.1756:
	v_and_b32_e32 v5, 0x400000, v4
	v_and_or_b32 v6, 0x3fffff, v4, v6
	v_lshrrev_b32_e32 v4, 23, v4
	s_delay_alu instid0(VALU_DEP_3) | instskip(NEXT) | instid1(VALU_DEP_3)
	v_cmp_ne_u32_e32 vcc_lo, 0, v5
	v_cmp_ne_u32_e64 s1, 0, v6
	s_and_b32 s1, vcc_lo, s1
	s_delay_alu instid0(SALU_CYCLE_1) | instskip(NEXT) | instid1(VALU_DEP_1)
	v_cndmask_b32_e64 v5, 0, 1, s1
	v_add_nc_u32_e32 v5, v4, v5
.LBB316_1757:
	s_or_b32 exec_lo, exec_lo, s8
.LBB316_1758:
	s_cbranch_execnz .LBB316_1775
.LBB316_1759:
	s_sext_i32_i16 s1, s3
	s_delay_alu instid0(SALU_CYCLE_1)
	s_cmp_lt_i32 s1, 6
	s_cbranch_scc1 .LBB316_1764
; %bb.1760:
	s_cmp_gt_i32 s1, 6
	s_cbranch_scc0 .LBB316_1765
; %bb.1761:
	s_wait_loadcnt 0x0
	global_load_b64 v[4:5], v[0:1], off
	s_mov_b32 s8, exec_lo
	s_wait_loadcnt 0x0
	v_cvt_f32_f64_e32 v4, v[4:5]
	v_mov_b32_e32 v5, 0xff
	s_delay_alu instid0(VALU_DEP_2) | instskip(SKIP_1) | instid1(VALU_DEP_1)
	v_bfe_u32 v6, v4, 23, 8
	s_wait_xcnt 0x0
	v_cmpx_ne_u32_e32 0xff, v6
	s_cbranch_execz .LBB316_1763
; %bb.1762:
	v_and_b32_e32 v5, 0x400000, v4
	v_and_or_b32 v6, 0x3fffff, v4, v6
	v_lshrrev_b32_e32 v4, 23, v4
	s_delay_alu instid0(VALU_DEP_3) | instskip(NEXT) | instid1(VALU_DEP_3)
	v_cmp_ne_u32_e32 vcc_lo, 0, v5
	v_cmp_ne_u32_e64 s1, 0, v6
	s_and_b32 s1, vcc_lo, s1
	s_delay_alu instid0(SALU_CYCLE_1) | instskip(NEXT) | instid1(VALU_DEP_1)
	v_cndmask_b32_e64 v5, 0, 1, s1
	v_add_nc_u32_e32 v5, v4, v5
.LBB316_1763:
	s_or_b32 exec_lo, exec_lo, s8
	s_mov_b32 s1, 0
	s_branch .LBB316_1766
.LBB316_1764:
	s_mov_b32 s1, -1
                                        ; implicit-def: $vgpr5
	s_branch .LBB316_1771
.LBB316_1765:
	s_mov_b32 s1, -1
                                        ; implicit-def: $vgpr5
.LBB316_1766:
	s_delay_alu instid0(SALU_CYCLE_1)
	s_and_not1_b32 vcc_lo, exec_lo, s1
	s_cbranch_vccnz .LBB316_1770
; %bb.1767:
	s_wait_loadcnt 0x0
	global_load_b32 v4, v[0:1], off
	v_mov_b32_e32 v5, 0xff
	s_mov_b32 s8, exec_lo
	s_wait_loadcnt 0x0
	v_bfe_u32 v6, v4, 23, 8
	s_wait_xcnt 0x0
	s_delay_alu instid0(VALU_DEP_1)
	v_cmpx_ne_u32_e32 0xff, v6
	s_cbranch_execz .LBB316_1769
; %bb.1768:
	v_and_b32_e32 v5, 0x400000, v4
	v_and_or_b32 v6, 0x3fffff, v4, v6
	v_lshrrev_b32_e32 v4, 23, v4
	s_delay_alu instid0(VALU_DEP_3) | instskip(NEXT) | instid1(VALU_DEP_3)
	v_cmp_ne_u32_e32 vcc_lo, 0, v5
	v_cmp_ne_u32_e64 s1, 0, v6
	s_and_b32 s1, vcc_lo, s1
	s_delay_alu instid0(SALU_CYCLE_1) | instskip(NEXT) | instid1(VALU_DEP_1)
	v_cndmask_b32_e64 v5, 0, 1, s1
	v_add_nc_u32_e32 v5, v4, v5
.LBB316_1769:
	s_or_b32 exec_lo, exec_lo, s8
.LBB316_1770:
	s_mov_b32 s1, 0
.LBB316_1771:
	s_delay_alu instid0(SALU_CYCLE_1)
	s_and_not1_b32 vcc_lo, exec_lo, s1
	s_cbranch_vccnz .LBB316_1775
; %bb.1772:
	s_wait_loadcnt 0x0
	global_load_u16 v4, v[0:1], off
	v_mov_b32_e32 v5, 0xff
	s_mov_b32 s8, exec_lo
	s_wait_loadcnt 0x0
	v_cvt_f32_f16_e32 v4, v4
	s_delay_alu instid0(VALU_DEP_1) | instskip(SKIP_1) | instid1(VALU_DEP_1)
	v_bfe_u32 v6, v4, 23, 8
	s_wait_xcnt 0x0
	v_cmpx_ne_u32_e32 0xff, v6
	s_cbranch_execz .LBB316_1774
; %bb.1773:
	v_and_b32_e32 v5, 0x400000, v4
	v_and_or_b32 v6, 0x3fffff, v4, v6
	v_lshrrev_b32_e32 v4, 23, v4
	s_delay_alu instid0(VALU_DEP_3) | instskip(NEXT) | instid1(VALU_DEP_3)
	v_cmp_ne_u32_e32 vcc_lo, 0, v5
	v_cmp_ne_u32_e64 s1, 0, v6
	s_and_b32 s1, vcc_lo, s1
	s_delay_alu instid0(SALU_CYCLE_1) | instskip(NEXT) | instid1(VALU_DEP_1)
	v_cndmask_b32_e64 v5, 0, 1, s1
	v_add_nc_u32_e32 v5, v4, v5
.LBB316_1774:
	s_or_b32 exec_lo, exec_lo, s8
.LBB316_1775:
	s_cbranch_execnz .LBB316_1804
.LBB316_1776:
	s_sext_i32_i16 s1, s3
	s_delay_alu instid0(SALU_CYCLE_1)
	s_cmp_lt_i32 s1, 2
	s_cbranch_scc1 .LBB316_1782
; %bb.1777:
	s_cmp_lt_i32 s1, 3
	s_cbranch_scc1 .LBB316_1783
; %bb.1778:
	s_cmp_gt_i32 s1, 3
	s_cbranch_scc0 .LBB316_1784
; %bb.1779:
	s_wait_loadcnt 0x0
	global_load_b64 v[4:5], v[0:1], off
	s_mov_b32 s8, exec_lo
	s_wait_loadcnt 0x0
	v_xor_b32_e32 v6, v4, v5
	v_cls_i32_e32 v7, v5
	s_delay_alu instid0(VALU_DEP_2) | instskip(NEXT) | instid1(VALU_DEP_1)
	v_ashrrev_i32_e32 v6, 31, v6
	v_add_nc_u32_e32 v6, 32, v6
	s_delay_alu instid0(VALU_DEP_1) | instskip(NEXT) | instid1(VALU_DEP_1)
	v_add_min_u32_e64 v6, v7, -1, v6
	v_lshlrev_b64_e32 v[4:5], v6, v[4:5]
	s_delay_alu instid0(VALU_DEP_1) | instskip(NEXT) | instid1(VALU_DEP_1)
	v_min_u32_e32 v4, 1, v4
	v_dual_sub_nc_u32 v5, 32, v6 :: v_dual_bitop2_b32 v4, v5, v4 bitop3:0x54
	s_delay_alu instid0(VALU_DEP_1) | instskip(NEXT) | instid1(VALU_DEP_1)
	v_cvt_f32_i32_e32 v4, v4
	v_ldexp_f32 v4, v4, v5
	v_mov_b32_e32 v5, 0xff
	s_delay_alu instid0(VALU_DEP_2) | instskip(SKIP_1) | instid1(VALU_DEP_1)
	v_bfe_u32 v6, v4, 23, 8
	s_wait_xcnt 0x0
	v_cmpx_ne_u32_e32 0xff, v6
	s_cbranch_execz .LBB316_1781
; %bb.1780:
	v_and_b32_e32 v5, 0x400000, v4
	v_and_or_b32 v6, 0x3fffff, v4, v6
	v_lshrrev_b32_e32 v4, 23, v4
	s_delay_alu instid0(VALU_DEP_3) | instskip(NEXT) | instid1(VALU_DEP_3)
	v_cmp_ne_u32_e32 vcc_lo, 0, v5
	v_cmp_ne_u32_e64 s1, 0, v6
	s_and_b32 s1, vcc_lo, s1
	s_delay_alu instid0(SALU_CYCLE_1) | instskip(NEXT) | instid1(VALU_DEP_1)
	v_cndmask_b32_e64 v5, 0, 1, s1
	v_add_nc_u32_e32 v5, v4, v5
.LBB316_1781:
	s_or_b32 exec_lo, exec_lo, s8
	s_mov_b32 s1, 0
	s_branch .LBB316_1785
.LBB316_1782:
                                        ; implicit-def: $vgpr5
	s_branch .LBB316_1795
.LBB316_1783:
	s_mov_b32 s1, -1
                                        ; implicit-def: $vgpr5
	s_branch .LBB316_1790
.LBB316_1784:
	s_mov_b32 s1, -1
                                        ; implicit-def: $vgpr5
.LBB316_1785:
	s_delay_alu instid0(SALU_CYCLE_1)
	s_and_not1_b32 vcc_lo, exec_lo, s1
	s_cbranch_vccnz .LBB316_1789
; %bb.1786:
	s_wait_loadcnt 0x0
	global_load_b32 v4, v[0:1], off
	v_mov_b32_e32 v5, 0xff
	s_mov_b32 s8, exec_lo
	s_wait_loadcnt 0x0
	v_cvt_f32_i32_e32 v4, v4
	s_delay_alu instid0(VALU_DEP_1) | instskip(SKIP_1) | instid1(VALU_DEP_1)
	v_bfe_u32 v6, v4, 23, 8
	s_wait_xcnt 0x0
	v_cmpx_ne_u32_e32 0xff, v6
	s_cbranch_execz .LBB316_1788
; %bb.1787:
	v_and_b32_e32 v5, 0x400000, v4
	v_and_or_b32 v6, 0x3fffff, v4, v6
	v_lshrrev_b32_e32 v4, 23, v4
	s_delay_alu instid0(VALU_DEP_3) | instskip(NEXT) | instid1(VALU_DEP_3)
	v_cmp_ne_u32_e32 vcc_lo, 0, v5
	v_cmp_ne_u32_e64 s1, 0, v6
	s_and_b32 s1, vcc_lo, s1
	s_delay_alu instid0(SALU_CYCLE_1) | instskip(NEXT) | instid1(VALU_DEP_1)
	v_cndmask_b32_e64 v5, 0, 1, s1
	v_add_nc_u32_e32 v5, v4, v5
.LBB316_1788:
	s_or_b32 exec_lo, exec_lo, s8
.LBB316_1789:
	s_mov_b32 s1, 0
.LBB316_1790:
	s_delay_alu instid0(SALU_CYCLE_1)
	s_and_not1_b32 vcc_lo, exec_lo, s1
	s_cbranch_vccnz .LBB316_1794
; %bb.1791:
	s_wait_loadcnt 0x0
	global_load_i16 v4, v[0:1], off
	v_mov_b32_e32 v5, 0xff
	s_mov_b32 s8, exec_lo
	s_wait_loadcnt 0x0
	v_cvt_f32_i32_e32 v4, v4
	s_delay_alu instid0(VALU_DEP_1) | instskip(SKIP_1) | instid1(VALU_DEP_1)
	v_bfe_u32 v6, v4, 23, 8
	s_wait_xcnt 0x0
	v_cmpx_ne_u32_e32 0xff, v6
	s_cbranch_execz .LBB316_1793
; %bb.1792:
	v_and_b32_e32 v5, 0x400000, v4
	v_and_or_b32 v6, 0x3fffff, v4, v6
	v_lshrrev_b32_e32 v4, 23, v4
	s_delay_alu instid0(VALU_DEP_3) | instskip(NEXT) | instid1(VALU_DEP_3)
	v_cmp_ne_u32_e32 vcc_lo, 0, v5
	v_cmp_ne_u32_e64 s1, 0, v6
	s_and_b32 s1, vcc_lo, s1
	s_delay_alu instid0(SALU_CYCLE_1) | instskip(NEXT) | instid1(VALU_DEP_1)
	v_cndmask_b32_e64 v5, 0, 1, s1
	v_add_nc_u32_e32 v5, v4, v5
.LBB316_1793:
	s_or_b32 exec_lo, exec_lo, s8
.LBB316_1794:
	s_cbranch_execnz .LBB316_1804
.LBB316_1795:
	s_sext_i32_i16 s1, s3
	s_delay_alu instid0(SALU_CYCLE_1)
	s_cmp_gt_i32 s1, 0
	s_cbranch_scc0 .LBB316_1799
; %bb.1796:
	s_wait_loadcnt 0x0
	global_load_i8 v4, v[0:1], off
	v_mov_b32_e32 v5, 0xff
	s_mov_b32 s3, exec_lo
	s_wait_loadcnt 0x0
	v_cvt_f32_i32_e32 v4, v4
	s_delay_alu instid0(VALU_DEP_1) | instskip(SKIP_1) | instid1(VALU_DEP_1)
	v_bfe_u32 v6, v4, 23, 8
	s_wait_xcnt 0x0
	v_cmpx_ne_u32_e32 0xff, v6
	s_cbranch_execz .LBB316_1798
; %bb.1797:
	v_and_b32_e32 v5, 0x400000, v4
	v_and_or_b32 v6, 0x3fffff, v4, v6
	v_lshrrev_b32_e32 v4, 23, v4
	s_delay_alu instid0(VALU_DEP_3) | instskip(NEXT) | instid1(VALU_DEP_3)
	v_cmp_ne_u32_e32 vcc_lo, 0, v5
	v_cmp_ne_u32_e64 s1, 0, v6
	s_and_b32 s1, vcc_lo, s1
	s_delay_alu instid0(SALU_CYCLE_1) | instskip(NEXT) | instid1(VALU_DEP_1)
	v_cndmask_b32_e64 v5, 0, 1, s1
	v_add_nc_u32_e32 v5, v4, v5
.LBB316_1798:
	s_or_b32 exec_lo, exec_lo, s3
	s_mov_b32 s1, 0
	s_branch .LBB316_1800
.LBB316_1799:
	s_mov_b32 s1, -1
                                        ; implicit-def: $vgpr5
.LBB316_1800:
	s_delay_alu instid0(SALU_CYCLE_1)
	s_and_not1_b32 vcc_lo, exec_lo, s1
	s_cbranch_vccnz .LBB316_1804
; %bb.1801:
	s_wait_loadcnt 0x0
	global_load_u8 v0, v[0:1], off
	s_mov_b32 s3, exec_lo
	v_mov_b32_e32 v5, 0xff
	s_wait_loadcnt 0x0
	v_cvt_f32_ubyte0_e32 v1, v0
	s_delay_alu instid0(VALU_DEP_1) | instskip(NEXT) | instid1(VALU_DEP_1)
	v_lshrrev_b32_e32 v0, 23, v1
	v_cmpx_ne_u32_e32 0xff, v0
; %bb.1802:
	v_and_b32_e32 v4, 0x400000, v1
	v_and_or_b32 v1, 0x3fffff, v1, v0
	s_delay_alu instid0(VALU_DEP_2) | instskip(NEXT) | instid1(VALU_DEP_2)
	v_cmp_ne_u32_e32 vcc_lo, 0, v4
	v_cmp_ne_u32_e64 s1, 0, v1
	s_and_b32 s1, vcc_lo, s1
	s_delay_alu instid0(SALU_CYCLE_1) | instskip(NEXT) | instid1(VALU_DEP_1)
	v_cndmask_b32_e64 v1, 0, 1, s1
	v_add_nc_u32_e32 v5, v0, v1
; %bb.1803:
	s_or_b32 exec_lo, exec_lo, s3
.LBB316_1804:
	s_delay_alu instid0(SALU_CYCLE_1)
	s_or_b32 s7, s7, exec_lo
.LBB316_1805:
	s_or_b32 exec_lo, exec_lo, s6
	s_mov_b32 s9, 0
	s_mov_b32 s8, 0
                                        ; implicit-def: $sgpr1
                                        ; implicit-def: $sgpr3
                                        ; implicit-def: $vgpr0_vgpr1
	s_and_saveexec_b32 s6, s7
	s_cbranch_execz .LBB316_1880
; %bb.1806:
	s_wait_loadcnt 0x0
	v_and_b32_e32 v0, 0xff, v3
	v_and_b32_e32 v1, 0xff, v5
	s_and_b32 s3, s11, 0xff
	s_mov_b32 s7, 0
	s_cmp_lt_i32 s3, 11
	s_delay_alu instid0(VALU_DEP_1) | instskip(SKIP_1) | instid1(VALU_DEP_2)
	v_dual_lshlrev_b32 v3, 23, v0 :: v_dual_lshlrev_b32 v4, 23, v1
	v_cmp_ne_u16_e32 vcc_lo, 0xff, v0
	v_cndmask_b32_e32 v3, 0x7f800001, v3, vcc_lo
	v_cmp_ne_u16_e32 vcc_lo, 0xff, v1
	s_delay_alu instid0(VALU_DEP_4) | instskip(SKIP_1) | instid1(VALU_DEP_4)
	v_cndmask_b32_e32 v4, 0x7f800001, v4, vcc_lo
	v_cmp_ne_u16_e32 vcc_lo, 0, v0
	v_cndmask_b32_e32 v0, 0x400000, v3, vcc_lo
	v_cmp_ne_u16_e32 vcc_lo, 0, v1
	s_delay_alu instid0(VALU_DEP_4) | instskip(NEXT) | instid1(VALU_DEP_1)
	v_cndmask_b32_e32 v1, 0x400000, v4, vcc_lo
	v_cmp_eq_f32_e32 vcc_lo, v0, v1
	v_cndmask_b32_e64 v3, 0, 1, vcc_lo
	v_cmp_neq_f32_e32 vcc_lo, v0, v1
	v_cndmask_b32_e64 v0, 0, 1, vcc_lo
	s_delay_alu instid0(VALU_DEP_1) | instskip(SKIP_1) | instid1(VALU_DEP_1)
	v_dual_cndmask_b32 v0, v0, v3, s0 :: v_dual_mov_b32 v3, 0
	s_mov_b32 s0, s10
	v_and_b32_e32 v4, 1, v0
	s_delay_alu instid0(VALU_DEP_2) | instskip(SKIP_1) | instid1(VALU_DEP_2)
	v_add_nc_u64_e32 v[0:1], s[4:5], v[2:3]
	s_mov_b32 s5, -1
	v_cmp_eq_u32_e64 s1, 1, v4
	s_cbranch_scc1 .LBB316_1884
; %bb.1807:
	s_and_b32 s4, 0xffff, s3
	s_mov_b32 s0, s10
	s_cmp_gt_i32 s4, 25
	s_cbranch_scc0 .LBB316_1840
; %bb.1808:
	s_cmp_gt_i32 s4, 28
	s_mov_b32 s0, s10
	s_cbranch_scc0 .LBB316_1824
; %bb.1809:
	s_cmp_gt_i32 s4, 43
	s_mov_b32 s0, s10
	s_cbranch_scc0 .LBB316_1820
; %bb.1810:
	s_cmp_gt_i32 s4, 45
	s_mov_b32 s0, s10
	s_cbranch_scc0 .LBB316_1814
; %bb.1811:
	s_cmp_eq_u32 s4, 46
	s_mov_b32 s0, -1
	s_cbranch_scc0 .LBB316_1813
; %bb.1812:
	v_cndmask_b32_e64 v2, 0, 1.0, s1
	s_mov_b32 s0, 0
	s_delay_alu instid0(VALU_DEP_1) | instskip(NEXT) | instid1(VALU_DEP_1)
	v_bfe_u32 v3, v2, 16, 1
	v_add3_u32 v2, v2, v3, 0x7fff
	s_delay_alu instid0(VALU_DEP_1)
	v_lshrrev_b32_e32 v2, 16, v2
	global_store_b32 v[0:1], v2, off
.LBB316_1813:
	s_mov_b32 s5, 0
.LBB316_1814:
	s_delay_alu instid0(SALU_CYCLE_1)
	s_and_b32 vcc_lo, exec_lo, s5
	s_cbranch_vccz .LBB316_1819
; %bb.1815:
	s_cmp_eq_u32 s4, 44
	s_mov_b32 s0, -1
	s_cbranch_scc0 .LBB316_1819
; %bb.1816:
	v_cndmask_b32_e64 v4, 0, 1.0, s1
	s_mov_b32 s5, exec_lo
	s_wait_xcnt 0x0
	s_delay_alu instid0(VALU_DEP_1) | instskip(NEXT) | instid1(VALU_DEP_1)
	v_dual_mov_b32 v3, 0xff :: v_dual_lshrrev_b32 v2, 23, v4
	v_cmpx_ne_u32_e32 0xff, v2
; %bb.1817:
	v_and_b32_e32 v3, 0x400000, v4
	v_and_or_b32 v4, 0x3fffff, v4, v2
	s_delay_alu instid0(VALU_DEP_2) | instskip(NEXT) | instid1(VALU_DEP_2)
	v_cmp_ne_u32_e32 vcc_lo, 0, v3
	v_cmp_ne_u32_e64 s0, 0, v4
	s_and_b32 s0, vcc_lo, s0
	s_delay_alu instid0(SALU_CYCLE_1) | instskip(NEXT) | instid1(VALU_DEP_1)
	v_cndmask_b32_e64 v3, 0, 1, s0
	v_add_nc_u32_e32 v3, v2, v3
; %bb.1818:
	s_or_b32 exec_lo, exec_lo, s5
	s_mov_b32 s0, 0
	global_store_b8 v[0:1], v3, off
.LBB316_1819:
	s_mov_b32 s5, 0
.LBB316_1820:
	s_delay_alu instid0(SALU_CYCLE_1)
	s_and_b32 vcc_lo, exec_lo, s5
	s_cbranch_vccz .LBB316_1823
; %bb.1821:
	s_cmp_eq_u32 s4, 29
	s_mov_b32 s0, -1
	s_cbranch_scc0 .LBB316_1823
; %bb.1822:
	s_mov_b32 s0, 0
	s_wait_xcnt 0x0
	v_cndmask_b32_e64 v2, 0, 1, s1
	v_mov_b32_e32 v3, s0
	global_store_b64 v[0:1], v[2:3], off
.LBB316_1823:
	s_mov_b32 s5, 0
.LBB316_1824:
	s_delay_alu instid0(SALU_CYCLE_1)
	s_and_b32 vcc_lo, exec_lo, s5
	s_cbranch_vccz .LBB316_1839
; %bb.1825:
	s_cmp_lt_i32 s4, 27
	s_mov_b32 s5, -1
	s_cbranch_scc1 .LBB316_1831
; %bb.1826:
	s_cmp_gt_i32 s4, 27
	s_cbranch_scc0 .LBB316_1828
; %bb.1827:
	s_wait_xcnt 0x0
	v_cndmask_b32_e64 v2, 0, 1, s1
	s_mov_b32 s5, 0
	global_store_b32 v[0:1], v2, off
.LBB316_1828:
	s_and_not1_b32 vcc_lo, exec_lo, s5
	s_cbranch_vccnz .LBB316_1830
; %bb.1829:
	s_wait_xcnt 0x0
	v_cndmask_b32_e64 v2, 0, 1, s1
	global_store_b16 v[0:1], v2, off
.LBB316_1830:
	s_mov_b32 s5, 0
.LBB316_1831:
	s_delay_alu instid0(SALU_CYCLE_1)
	s_and_not1_b32 vcc_lo, exec_lo, s5
	s_cbranch_vccnz .LBB316_1839
; %bb.1832:
	s_wait_xcnt 0x0
	v_cndmask_b32_e64 v3, 0, 1.0, s1
	v_mov_b32_e32 v4, 0x80
	s_mov_b32 s5, exec_lo
	s_delay_alu instid0(VALU_DEP_2)
	v_cmpx_gt_u32_e32 0x43800000, v3
	s_cbranch_execz .LBB316_1838
; %bb.1833:
	s_mov_b32 s8, exec_lo
                                        ; implicit-def: $vgpr2
	v_cmpx_lt_u32_e32 0x3bffffff, v3
	s_xor_b32 s8, exec_lo, s8
	s_cbranch_execz .LBB316_1985
; %bb.1834:
	v_bfe_u32 v2, v3, 20, 1
	s_mov_b32 s7, exec_lo
	s_delay_alu instid0(VALU_DEP_1) | instskip(NEXT) | instid1(VALU_DEP_1)
	v_add3_u32 v2, v3, v2, 0x487ffff
                                        ; implicit-def: $vgpr3
	v_lshrrev_b32_e32 v2, 20, v2
	s_and_not1_saveexec_b32 s8, s8
	s_cbranch_execnz .LBB316_1986
.LBB316_1835:
	s_or_b32 exec_lo, exec_lo, s8
	v_mov_b32_e32 v4, 0
	s_and_saveexec_b32 s8, s7
.LBB316_1836:
	v_mov_b32_e32 v4, v2
.LBB316_1837:
	s_or_b32 exec_lo, exec_lo, s8
.LBB316_1838:
	s_delay_alu instid0(SALU_CYCLE_1)
	s_or_b32 exec_lo, exec_lo, s5
	global_store_b8 v[0:1], v4, off
.LBB316_1839:
	s_mov_b32 s5, 0
.LBB316_1840:
	s_delay_alu instid0(SALU_CYCLE_1)
	s_and_b32 vcc_lo, exec_lo, s5
	s_mov_b32 s5, 0
	s_cbranch_vccz .LBB316_1883
; %bb.1841:
	s_cmp_gt_i32 s4, 22
	s_mov_b32 s7, -1
	s_cbranch_scc0 .LBB316_1873
; %bb.1842:
	s_cmp_lt_i32 s4, 24
	s_cbranch_scc1 .LBB316_1862
; %bb.1843:
	s_cmp_gt_i32 s4, 24
	s_cbranch_scc0 .LBB316_1851
; %bb.1844:
	s_wait_xcnt 0x0
	v_cndmask_b32_e64 v3, 0, 1.0, s1
	v_mov_b32_e32 v4, 0x80
	s_mov_b32 s7, exec_lo
	s_delay_alu instid0(VALU_DEP_2)
	v_cmpx_gt_u32_e32 0x47800000, v3
	s_cbranch_execz .LBB316_1850
; %bb.1845:
	s_mov_b32 s8, 0
	s_mov_b32 s9, exec_lo
                                        ; implicit-def: $vgpr2
	v_cmpx_lt_u32_e32 0x37ffffff, v3
	s_xor_b32 s9, exec_lo, s9
	s_cbranch_execz .LBB316_2152
; %bb.1846:
	v_bfe_u32 v2, v3, 21, 1
	s_mov_b32 s8, exec_lo
	s_delay_alu instid0(VALU_DEP_1) | instskip(NEXT) | instid1(VALU_DEP_1)
	v_add3_u32 v2, v3, v2, 0x88fffff
                                        ; implicit-def: $vgpr3
	v_lshrrev_b32_e32 v2, 21, v2
	s_and_not1_saveexec_b32 s9, s9
	s_cbranch_execnz .LBB316_2153
.LBB316_1847:
	s_or_b32 exec_lo, exec_lo, s9
	v_mov_b32_e32 v4, 0
	s_and_saveexec_b32 s9, s8
.LBB316_1848:
	v_mov_b32_e32 v4, v2
.LBB316_1849:
	s_or_b32 exec_lo, exec_lo, s9
.LBB316_1850:
	s_delay_alu instid0(SALU_CYCLE_1)
	s_or_b32 exec_lo, exec_lo, s7
	s_mov_b32 s7, 0
	global_store_b8 v[0:1], v4, off
.LBB316_1851:
	s_and_b32 vcc_lo, exec_lo, s7
	s_cbranch_vccz .LBB316_1861
; %bb.1852:
	s_wait_xcnt 0x0
	v_cndmask_b32_e64 v3, 0, 1.0, s1
	s_mov_b32 s7, exec_lo
                                        ; implicit-def: $vgpr2
	s_delay_alu instid0(VALU_DEP_1)
	v_cmpx_gt_u32_e32 0x43f00000, v3
	s_xor_b32 s7, exec_lo, s7
	s_cbranch_execz .LBB316_1858
; %bb.1853:
	s_mov_b32 s8, exec_lo
                                        ; implicit-def: $vgpr2
	v_cmpx_lt_u32_e32 0x3c7fffff, v3
	s_xor_b32 s8, exec_lo, s8
; %bb.1854:
	v_bfe_u32 v2, v3, 20, 1
	s_delay_alu instid0(VALU_DEP_1) | instskip(NEXT) | instid1(VALU_DEP_1)
	v_add3_u32 v2, v3, v2, 0x407ffff
	v_and_b32_e32 v3, 0xff00000, v2
	v_lshrrev_b32_e32 v2, 20, v2
	s_delay_alu instid0(VALU_DEP_2) | instskip(NEXT) | instid1(VALU_DEP_2)
	v_cmp_ne_u32_e32 vcc_lo, 0x7f00000, v3
                                        ; implicit-def: $vgpr3
	v_cndmask_b32_e32 v2, 0x7e, v2, vcc_lo
; %bb.1855:
	s_and_not1_saveexec_b32 s8, s8
; %bb.1856:
	v_add_f32_e32 v2, 0x46800000, v3
; %bb.1857:
	s_or_b32 exec_lo, exec_lo, s8
                                        ; implicit-def: $vgpr3
.LBB316_1858:
	s_and_not1_saveexec_b32 s7, s7
; %bb.1859:
	v_mov_b32_e32 v2, 0x7f
	v_cmp_lt_u32_e32 vcc_lo, 0x7f800000, v3
	s_delay_alu instid0(VALU_DEP_2)
	v_cndmask_b32_e32 v2, 0x7e, v2, vcc_lo
; %bb.1860:
	s_or_b32 exec_lo, exec_lo, s7
	global_store_b8 v[0:1], v2, off
.LBB316_1861:
	s_mov_b32 s7, 0
.LBB316_1862:
	s_delay_alu instid0(SALU_CYCLE_1)
	s_and_not1_b32 vcc_lo, exec_lo, s7
	s_cbranch_vccnz .LBB316_1872
; %bb.1863:
	s_wait_xcnt 0x0
	v_cndmask_b32_e64 v3, 0, 1.0, s1
	s_mov_b32 s7, exec_lo
                                        ; implicit-def: $vgpr2
	s_delay_alu instid0(VALU_DEP_1)
	v_cmpx_gt_u32_e32 0x47800000, v3
	s_xor_b32 s7, exec_lo, s7
	s_cbranch_execz .LBB316_1869
; %bb.1864:
	s_mov_b32 s8, exec_lo
                                        ; implicit-def: $vgpr2
	v_cmpx_lt_u32_e32 0x387fffff, v3
	s_xor_b32 s8, exec_lo, s8
; %bb.1865:
	v_bfe_u32 v2, v3, 21, 1
	s_delay_alu instid0(VALU_DEP_1) | instskip(NEXT) | instid1(VALU_DEP_1)
	v_add3_u32 v2, v3, v2, 0x80fffff
                                        ; implicit-def: $vgpr3
	v_lshrrev_b32_e32 v2, 21, v2
; %bb.1866:
	s_and_not1_saveexec_b32 s8, s8
; %bb.1867:
	v_add_f32_e32 v2, 0x43000000, v3
; %bb.1868:
	s_or_b32 exec_lo, exec_lo, s8
                                        ; implicit-def: $vgpr3
.LBB316_1869:
	s_and_not1_saveexec_b32 s7, s7
; %bb.1870:
	v_mov_b32_e32 v2, 0x7f
	v_cmp_lt_u32_e32 vcc_lo, 0x7f800000, v3
	s_delay_alu instid0(VALU_DEP_2)
	v_cndmask_b32_e32 v2, 0x7c, v2, vcc_lo
; %bb.1871:
	s_or_b32 exec_lo, exec_lo, s7
	global_store_b8 v[0:1], v2, off
.LBB316_1872:
	s_mov_b32 s7, 0
.LBB316_1873:
	s_delay_alu instid0(SALU_CYCLE_1)
	s_and_not1_b32 vcc_lo, exec_lo, s7
	s_mov_b32 s7, 0
	s_cbranch_vccnz .LBB316_1884
; %bb.1874:
	s_cmp_gt_i32 s4, 14
	s_mov_b32 s7, -1
	s_cbranch_scc0 .LBB316_1878
; %bb.1875:
	s_cmp_eq_u32 s4, 15
	s_mov_b32 s0, -1
	s_cbranch_scc0 .LBB316_1877
; %bb.1876:
	s_wait_xcnt 0x0
	v_cndmask_b32_e64 v2, 0, 1.0, s1
	s_mov_b32 s0, 0
	s_delay_alu instid0(VALU_DEP_1) | instskip(NEXT) | instid1(VALU_DEP_1)
	v_bfe_u32 v3, v2, 16, 1
	v_add3_u32 v2, v2, v3, 0x7fff
	global_store_d16_hi_b16 v[0:1], v2, off
.LBB316_1877:
	s_mov_b32 s7, 0
.LBB316_1878:
	s_delay_alu instid0(SALU_CYCLE_1)
	s_and_b32 vcc_lo, exec_lo, s7
	s_mov_b32 s7, 0
	s_cbranch_vccz .LBB316_1884
; %bb.1879:
	s_cmp_lg_u32 s4, 11
	s_mov_b32 s7, -1
	s_cselect_b32 s4, -1, 0
	s_and_not1_b32 s0, s0, exec_lo
	s_and_b32 s4, s4, exec_lo
	s_delay_alu instid0(SALU_CYCLE_1)
	s_or_b32 s0, s0, s4
	s_branch .LBB316_1884
.LBB316_1880:
	s_or_b32 exec_lo, exec_lo, s6
	s_and_saveexec_b32 s0, s10
	s_cbranch_execnz .LBB316_1885
.LBB316_1881:
	s_or_b32 exec_lo, exec_lo, s0
	s_and_saveexec_b32 s0, s9
	s_delay_alu instid0(SALU_CYCLE_1)
	s_xor_b32 s0, exec_lo, s0
	s_cbranch_execz .LBB316_1886
.LBB316_1882:
	v_cndmask_b32_e64 v2, 0, 1, s1
	s_wait_loadcnt 0x0
	global_store_b8 v[0:1], v2, off
	s_wait_xcnt 0x0
	s_or_b32 exec_lo, exec_lo, s0
	s_and_saveexec_b32 s0, s8
	s_delay_alu instid0(SALU_CYCLE_1)
	s_xor_b32 s0, exec_lo, s0
	s_cbranch_execz .LBB316_1924
	s_branch .LBB316_1887
.LBB316_1883:
	s_mov_b32 s7, 0
.LBB316_1884:
	s_and_not1_b32 s4, s10, exec_lo
	s_and_b32 s0, s0, exec_lo
	s_and_b32 s8, s5, exec_lo
	;; [unrolled: 1-line block ×3, first 2 shown]
	s_or_b32 s10, s4, s0
	s_wait_xcnt 0x0
	s_or_b32 exec_lo, exec_lo, s6
	s_and_saveexec_b32 s0, s10
	s_cbranch_execz .LBB316_1881
.LBB316_1885:
	s_or_b32 s2, s2, exec_lo
	s_and_not1_b32 s9, s9, exec_lo
	s_trap 2
	s_or_b32 exec_lo, exec_lo, s0
	s_and_saveexec_b32 s0, s9
	s_delay_alu instid0(SALU_CYCLE_1)
	s_xor_b32 s0, exec_lo, s0
	s_cbranch_execnz .LBB316_1882
.LBB316_1886:
	s_or_b32 exec_lo, exec_lo, s0
	s_and_saveexec_b32 s0, s8
	s_delay_alu instid0(SALU_CYCLE_1)
	s_xor_b32 s0, exec_lo, s0
	s_cbranch_execz .LBB316_1924
.LBB316_1887:
	s_sext_i32_i16 s5, s3
	s_mov_b32 s4, -1
	s_cmp_lt_i32 s5, 5
	s_cbranch_scc1 .LBB316_1908
; %bb.1888:
	s_cmp_lt_i32 s5, 8
	s_cbranch_scc1 .LBB316_1898
; %bb.1889:
	;; [unrolled: 3-line block ×3, first 2 shown]
	s_cmp_gt_i32 s5, 9
	s_cbranch_scc0 .LBB316_1892
; %bb.1891:
	v_cndmask_b32_e64 v2, 0, 1, s1
	v_mov_b32_e32 v4, 0
	s_mov_b32 s4, 0
	s_wait_loadcnt 0x0
	s_delay_alu instid0(VALU_DEP_2) | instskip(NEXT) | instid1(VALU_DEP_2)
	v_cvt_f64_u32_e32 v[2:3], v2
	v_mov_b32_e32 v5, v4
	global_store_b128 v[0:1], v[2:5], off
.LBB316_1892:
	s_and_not1_b32 vcc_lo, exec_lo, s4
	s_cbranch_vccnz .LBB316_1894
; %bb.1893:
	s_wait_xcnt 0x0
	v_cndmask_b32_e64 v2, 0, 1.0, s1
	s_wait_loadcnt 0x0
	v_mov_b32_e32 v3, 0
	global_store_b64 v[0:1], v[2:3], off
.LBB316_1894:
	s_mov_b32 s4, 0
.LBB316_1895:
	s_delay_alu instid0(SALU_CYCLE_1)
	s_and_not1_b32 vcc_lo, exec_lo, s4
	s_cbranch_vccnz .LBB316_1897
; %bb.1896:
	s_wait_xcnt 0x0
	v_cndmask_b32_e64 v2, 0, 1.0, s1
	s_delay_alu instid0(VALU_DEP_1) | instskip(NEXT) | instid1(VALU_DEP_1)
	v_cvt_f16_f32_e32 v2, v2
	v_and_b32_e32 v2, 0xffff, v2
	s_wait_loadcnt 0x0
	global_store_b32 v[0:1], v2, off
.LBB316_1897:
	s_mov_b32 s4, 0
.LBB316_1898:
	s_delay_alu instid0(SALU_CYCLE_1)
	s_and_not1_b32 vcc_lo, exec_lo, s4
	s_cbranch_vccnz .LBB316_1907
; %bb.1899:
	s_sext_i32_i16 s5, s3
	s_mov_b32 s4, -1
	s_cmp_lt_i32 s5, 6
	s_cbranch_scc1 .LBB316_1905
; %bb.1900:
	s_cmp_gt_i32 s5, 6
	s_cbranch_scc0 .LBB316_1902
; %bb.1901:
	s_wait_xcnt 0x0
	v_cndmask_b32_e64 v2, 0, 1, s1
	s_mov_b32 s4, 0
	s_wait_loadcnt 0x0
	s_delay_alu instid0(VALU_DEP_1)
	v_cvt_f64_u32_e32 v[2:3], v2
	global_store_b64 v[0:1], v[2:3], off
.LBB316_1902:
	s_and_not1_b32 vcc_lo, exec_lo, s4
	s_cbranch_vccnz .LBB316_1904
; %bb.1903:
	s_wait_xcnt 0x0
	v_cndmask_b32_e64 v2, 0, 1.0, s1
	s_wait_loadcnt 0x0
	global_store_b32 v[0:1], v2, off
.LBB316_1904:
	s_mov_b32 s4, 0
.LBB316_1905:
	s_delay_alu instid0(SALU_CYCLE_1)
	s_and_not1_b32 vcc_lo, exec_lo, s4
	s_cbranch_vccnz .LBB316_1907
; %bb.1906:
	s_wait_xcnt 0x0
	v_cndmask_b32_e64 v2, 0, 1.0, s1
	s_delay_alu instid0(VALU_DEP_1)
	v_cvt_f16_f32_e32 v2, v2
	s_wait_loadcnt 0x0
	global_store_b16 v[0:1], v2, off
.LBB316_1907:
	s_mov_b32 s4, 0
.LBB316_1908:
	s_delay_alu instid0(SALU_CYCLE_1)
	s_and_not1_b32 vcc_lo, exec_lo, s4
	s_cbranch_vccnz .LBB316_1924
; %bb.1909:
	s_sext_i32_i16 s5, s3
	s_mov_b32 s4, -1
	s_cmp_lt_i32 s5, 2
	s_cbranch_scc1 .LBB316_1919
; %bb.1910:
	s_cmp_lt_i32 s5, 3
	s_cbranch_scc1 .LBB316_1916
; %bb.1911:
	s_cmp_gt_i32 s5, 3
	s_cbranch_scc0 .LBB316_1913
; %bb.1912:
	s_mov_b32 s4, 0
	s_wait_xcnt 0x0
	v_cndmask_b32_e64 v2, 0, 1, s1
	s_wait_loadcnt 0x0
	v_mov_b32_e32 v3, s4
	global_store_b64 v[0:1], v[2:3], off
.LBB316_1913:
	s_and_not1_b32 vcc_lo, exec_lo, s4
	s_cbranch_vccnz .LBB316_1915
; %bb.1914:
	s_wait_xcnt 0x0
	v_cndmask_b32_e64 v2, 0, 1, s1
	s_wait_loadcnt 0x0
	global_store_b32 v[0:1], v2, off
.LBB316_1915:
	s_mov_b32 s4, 0
.LBB316_1916:
	s_delay_alu instid0(SALU_CYCLE_1)
	s_and_not1_b32 vcc_lo, exec_lo, s4
	s_cbranch_vccnz .LBB316_1918
; %bb.1917:
	s_wait_xcnt 0x0
	v_cndmask_b32_e64 v2, 0, 1, s1
	s_wait_loadcnt 0x0
	global_store_b16 v[0:1], v2, off
.LBB316_1918:
	s_mov_b32 s4, 0
.LBB316_1919:
	s_delay_alu instid0(SALU_CYCLE_1)
	s_and_not1_b32 vcc_lo, exec_lo, s4
	s_cbranch_vccnz .LBB316_1924
; %bb.1920:
	s_wait_xcnt 0x0
	v_cndmask_b32_e64 v2, 0, 1, s1
	s_sext_i32_i16 s3, s3
	s_mov_b32 s1, -1
	s_cmp_gt_i32 s3, 0
	s_cbranch_scc0 .LBB316_1922
; %bb.1921:
	s_mov_b32 s1, 0
	s_wait_loadcnt 0x0
	global_store_b8 v[0:1], v2, off
.LBB316_1922:
	s_and_not1_b32 vcc_lo, exec_lo, s1
	s_cbranch_vccnz .LBB316_1924
; %bb.1923:
	s_wait_loadcnt 0x0
	global_store_b8 v[0:1], v2, off
.LBB316_1924:
	s_wait_xcnt 0x0
	s_or_b32 exec_lo, exec_lo, s0
	s_delay_alu instid0(SALU_CYCLE_1)
	s_and_b32 s8, s2, exec_lo
                                        ; implicit-def: $vgpr1
                                        ; implicit-def: $vgpr0
.LBB316_1925:
	s_or_saveexec_b32 s9, s35
	s_mov_b32 s0, 0
                                        ; implicit-def: $sgpr1
                                        ; implicit-def: $vgpr2_vgpr3
                                        ; implicit-def: $sgpr3
	s_xor_b32 exec_lo, exec_lo, s9
	s_cbranch_execz .LBB316_3779
; %bb.1926:
	s_wait_loadcnt 0x0
	v_cndmask_b32_e64 v3, 0, 1, s34
	s_and_not1_b32 vcc_lo, exec_lo, s34
	s_cbranch_vccnz .LBB316_1932
; %bb.1927:
	s_cmp_lg_u32 s30, 0
	s_mov_b32 s2, 0
	s_cbranch_scc0 .LBB316_1936
; %bb.1928:
	s_min_u32 s3, s31, 15
	v_dual_mov_b32 v6, 0 :: v_dual_mov_b32 v2, v0
	v_dual_mov_b32 v22, 0 :: v_dual_mov_b32 v20, 0
	s_add_co_i32 s4, s3, 1
	s_mov_b64 s[0:1], 0xffffffffffffffe8
	s_and_b32 s4, s4, 30
	s_add_nc_u64 s[0:1], s[20:21], s[0:1]
.LBB316_1929:                           ; =>This Inner Loop Header: Depth=1
	s_clause 0x3
	s_load_b128 s[12:15], s[0:1], 0x1c
	s_load_b64 s[6:7], s[0:1], 0x2c
	s_load_b128 s[16:19], s[0:1], 0xdc
	s_load_b64 s[10:11], s[0:1], 0xec
	s_add_co_i32 s4, s4, -2
	s_wait_xcnt 0x0
	s_add_nc_u64 s[0:1], s[0:1], 24
	s_cmp_lg_u32 s4, 0
	s_wait_kmcnt 0x0
	v_mul_hi_u32 v4, s13, v2
	s_delay_alu instid0(VALU_DEP_1) | instskip(NEXT) | instid1(VALU_DEP_1)
	v_add_nc_u32_e32 v4, v2, v4
	v_lshrrev_b32_e32 v4, s14, v4
	s_delay_alu instid0(VALU_DEP_1) | instskip(SKIP_1) | instid1(VALU_DEP_1)
	v_mul_hi_u32 v5, s6, v4
	v_mul_lo_u32 v7, v4, s12
	v_dual_add_nc_u32 v5, v4, v5 :: v_dual_sub_nc_u32 v7, v2, v7
	s_delay_alu instid0(VALU_DEP_1) | instskip(NEXT) | instid1(VALU_DEP_2)
	v_lshrrev_b32_e32 v2, s7, v5
	v_mad_u32 v6, v7, s16, v6
	v_mad_u32 v8, v7, s18, v20
	;; [unrolled: 1-line block ×3, first 2 shown]
	s_delay_alu instid0(VALU_DEP_4) | instskip(NEXT) | instid1(VALU_DEP_1)
	v_mul_lo_u32 v5, v2, s15
	v_sub_nc_u32_e32 v4, v4, v5
	s_delay_alu instid0(VALU_DEP_1)
	v_mad_u32 v6, v4, s19, v6
	v_mad_u32 v20, v4, s11, v8
	;; [unrolled: 1-line block ×3, first 2 shown]
	s_cbranch_scc1 .LBB316_1929
; %bb.1930:
	s_bitcmp1_b32 s3, 0
	s_cselect_b32 s3, -1, 0
	s_delay_alu instid0(SALU_CYCLE_1)
	s_and_b32 vcc_lo, exec_lo, s3
	s_cbranch_vccnz .LBB316_1933
; %bb.1931:
	s_clause 0x1
	s_load_b96 s[4:6], s[0:1], 0x1c
	s_load_b96 s[12:14], s[0:1], 0xdc
	s_wait_kmcnt 0x0
	v_mul_hi_u32 v4, s5, v2
	s_delay_alu instid0(VALU_DEP_1) | instskip(NEXT) | instid1(VALU_DEP_1)
	v_add_nc_u32_e32 v4, v2, v4
	v_lshrrev_b32_e32 v4, s6, v4
	s_delay_alu instid0(VALU_DEP_1) | instskip(NEXT) | instid1(VALU_DEP_1)
	v_mul_lo_u32 v4, v4, s4
	v_sub_nc_u32_e32 v2, v2, v4
	s_delay_alu instid0(VALU_DEP_1)
	v_mad_u32 v6, v2, s12, v6
	v_mad_u32 v22, v2, s13, v22
	v_mad_u32 v20, v2, s14, v20
	s_and_not1_b32 vcc_lo, exec_lo, s2
	s_cbranch_vccz .LBB316_1934
	s_branch .LBB316_1937
.LBB316_1932:
	s_mov_b32 s2, -1
                                        ; implicit-def: $vgpr20
                                        ; implicit-def: $vgpr22
                                        ; implicit-def: $vgpr6
.LBB316_1933:
	s_delay_alu instid0(SALU_CYCLE_1)
	s_and_not1_b32 vcc_lo, exec_lo, s2
	s_cbranch_vccnz .LBB316_1937
.LBB316_1934:
	s_clause 0x1
	s_load_b96 s[0:2], s[20:21], 0x4
	s_load_b96 s[4:6], s[20:21], 0xc4
	s_cmp_lt_u32 s30, 2
	s_wait_kmcnt 0x0
	v_mul_hi_u32 v2, s1, v0
	s_delay_alu instid0(VALU_DEP_1) | instskip(NEXT) | instid1(VALU_DEP_1)
	v_add_nc_u32_e32 v2, v0, v2
	v_lshrrev_b32_e32 v2, s2, v2
	s_delay_alu instid0(VALU_DEP_1) | instskip(NEXT) | instid1(VALU_DEP_1)
	v_mul_lo_u32 v4, v2, s0
	v_sub_nc_u32_e32 v4, v0, v4
	s_delay_alu instid0(VALU_DEP_1)
	v_mul_lo_u32 v6, v4, s4
	v_mul_lo_u32 v20, v4, s6
	;; [unrolled: 1-line block ×3, first 2 shown]
	s_cbranch_scc1 .LBB316_1937
; %bb.1935:
	s_clause 0x1
	s_load_b96 s[0:2], s[20:21], 0x10
	s_load_b96 s[4:6], s[20:21], 0xd0
	s_wait_kmcnt 0x0
	v_mul_hi_u32 v4, s1, v2
	s_delay_alu instid0(VALU_DEP_1) | instskip(NEXT) | instid1(VALU_DEP_1)
	v_add_nc_u32_e32 v4, v2, v4
	v_lshrrev_b32_e32 v4, s2, v4
	s_delay_alu instid0(VALU_DEP_1) | instskip(NEXT) | instid1(VALU_DEP_1)
	v_mul_lo_u32 v4, v4, s0
	v_sub_nc_u32_e32 v2, v2, v4
	s_delay_alu instid0(VALU_DEP_1)
	v_mad_u32 v6, v2, s4, v6
	v_mad_u32 v22, v2, s5, v22
	;; [unrolled: 1-line block ×3, first 2 shown]
	s_branch .LBB316_1937
.LBB316_1936:
	v_dual_mov_b32 v20, 0 :: v_dual_mov_b32 v22, 0
	v_mov_b32_e32 v6, 0
	s_and_not1_b32 vcc_lo, exec_lo, s2
	s_cbranch_vccz .LBB316_1934
.LBB316_1937:
	v_cmp_ne_u32_e32 vcc_lo, 1, v3
	v_add_nc_u32_e32 v2, 0x80, v0
	s_cbranch_vccnz .LBB316_1943
; %bb.1938:
	s_cmp_lg_u32 s30, 0
	s_mov_b32 s2, 0
	s_cbranch_scc0 .LBB316_1947
; %bb.1939:
	s_min_u32 s3, s31, 15
	v_dual_mov_b32 v4, 0 :: v_dual_mov_b32 v5, v2
	v_dual_mov_b32 v18, 0 :: v_dual_mov_b32 v16, 0
	s_add_co_i32 s4, s3, 1
	s_mov_b64 s[0:1], 0xffffffffffffffe8
	s_and_b32 s4, s4, 30
	s_add_nc_u64 s[0:1], s[20:21], s[0:1]
.LBB316_1940:                           ; =>This Inner Loop Header: Depth=1
	s_clause 0x3
	s_load_b128 s[12:15], s[0:1], 0x1c
	s_load_b64 s[6:7], s[0:1], 0x2c
	s_load_b128 s[16:19], s[0:1], 0xdc
	s_load_b64 s[10:11], s[0:1], 0xec
	s_add_co_i32 s4, s4, -2
	s_wait_xcnt 0x0
	s_add_nc_u64 s[0:1], s[0:1], 24
	s_cmp_lg_u32 s4, 0
	s_wait_kmcnt 0x0
	v_mul_hi_u32 v7, s13, v5
	s_delay_alu instid0(VALU_DEP_1) | instskip(NEXT) | instid1(VALU_DEP_1)
	v_add_nc_u32_e32 v7, v5, v7
	v_lshrrev_b32_e32 v7, s14, v7
	s_delay_alu instid0(VALU_DEP_1) | instskip(SKIP_1) | instid1(VALU_DEP_1)
	v_mul_hi_u32 v8, s6, v7
	v_mul_lo_u32 v9, v7, s12
	v_dual_add_nc_u32 v8, v7, v8 :: v_dual_sub_nc_u32 v9, v5, v9
	s_delay_alu instid0(VALU_DEP_1) | instskip(NEXT) | instid1(VALU_DEP_2)
	v_lshrrev_b32_e32 v5, s7, v8
	v_mad_u32 v4, v9, s16, v4
	v_mad_u32 v10, v9, s18, v16
	;; [unrolled: 1-line block ×3, first 2 shown]
	s_delay_alu instid0(VALU_DEP_4) | instskip(NEXT) | instid1(VALU_DEP_1)
	v_mul_lo_u32 v8, v5, s15
	v_sub_nc_u32_e32 v7, v7, v8
	s_delay_alu instid0(VALU_DEP_1)
	v_mad_u32 v4, v7, s19, v4
	v_mad_u32 v16, v7, s11, v10
	;; [unrolled: 1-line block ×3, first 2 shown]
	s_cbranch_scc1 .LBB316_1940
; %bb.1941:
	s_bitcmp1_b32 s3, 0
	s_cselect_b32 s3, -1, 0
	s_delay_alu instid0(SALU_CYCLE_1)
	s_and_b32 vcc_lo, exec_lo, s3
	s_cbranch_vccnz .LBB316_1944
; %bb.1942:
	s_clause 0x1
	s_load_b96 s[4:6], s[0:1], 0x1c
	s_load_b96 s[12:14], s[0:1], 0xdc
	s_wait_kmcnt 0x0
	v_mul_hi_u32 v7, s5, v5
	s_delay_alu instid0(VALU_DEP_1) | instskip(NEXT) | instid1(VALU_DEP_1)
	v_add_nc_u32_e32 v7, v5, v7
	v_lshrrev_b32_e32 v7, s6, v7
	s_delay_alu instid0(VALU_DEP_1) | instskip(NEXT) | instid1(VALU_DEP_1)
	v_mul_lo_u32 v7, v7, s4
	v_sub_nc_u32_e32 v5, v5, v7
	s_delay_alu instid0(VALU_DEP_1)
	v_mad_u32 v4, v5, s12, v4
	v_mad_u32 v18, v5, s13, v18
	;; [unrolled: 1-line block ×3, first 2 shown]
	s_and_not1_b32 vcc_lo, exec_lo, s2
	s_cbranch_vccz .LBB316_1945
	s_branch .LBB316_1948
.LBB316_1943:
	s_mov_b32 s2, -1
                                        ; implicit-def: $vgpr16
                                        ; implicit-def: $vgpr18
                                        ; implicit-def: $vgpr4
.LBB316_1944:
	s_delay_alu instid0(SALU_CYCLE_1)
	s_and_not1_b32 vcc_lo, exec_lo, s2
	s_cbranch_vccnz .LBB316_1948
.LBB316_1945:
	s_clause 0x1
	s_load_b96 s[0:2], s[20:21], 0x4
	s_load_b96 s[4:6], s[20:21], 0xc4
	s_cmp_lt_u32 s30, 2
	s_wait_kmcnt 0x0
	v_mul_hi_u32 v4, s1, v2
	s_delay_alu instid0(VALU_DEP_1) | instskip(NEXT) | instid1(VALU_DEP_1)
	v_add_nc_u32_e32 v4, v2, v4
	v_lshrrev_b32_e32 v5, s2, v4
	s_delay_alu instid0(VALU_DEP_1) | instskip(NEXT) | instid1(VALU_DEP_1)
	v_mul_lo_u32 v4, v5, s0
	v_sub_nc_u32_e32 v2, v2, v4
	s_delay_alu instid0(VALU_DEP_1)
	v_mul_lo_u32 v4, v2, s4
	v_mul_lo_u32 v16, v2, s6
	;; [unrolled: 1-line block ×3, first 2 shown]
	s_cbranch_scc1 .LBB316_1948
; %bb.1946:
	s_clause 0x1
	s_load_b96 s[0:2], s[20:21], 0x10
	s_load_b96 s[4:6], s[20:21], 0xd0
	s_wait_kmcnt 0x0
	v_mul_hi_u32 v2, s1, v5
	s_delay_alu instid0(VALU_DEP_1) | instskip(NEXT) | instid1(VALU_DEP_1)
	v_add_nc_u32_e32 v2, v5, v2
	v_lshrrev_b32_e32 v2, s2, v2
	s_delay_alu instid0(VALU_DEP_1) | instskip(NEXT) | instid1(VALU_DEP_1)
	v_mul_lo_u32 v2, v2, s0
	v_sub_nc_u32_e32 v2, v5, v2
	s_delay_alu instid0(VALU_DEP_1)
	v_mad_u32 v4, v2, s4, v4
	v_mad_u32 v18, v2, s5, v18
	;; [unrolled: 1-line block ×3, first 2 shown]
	s_branch .LBB316_1948
.LBB316_1947:
	v_dual_mov_b32 v16, 0 :: v_dual_mov_b32 v18, 0
	v_mov_b32_e32 v4, 0
	s_and_not1_b32 vcc_lo, exec_lo, s2
	s_cbranch_vccz .LBB316_1945
.LBB316_1948:
	v_cmp_ne_u32_e32 vcc_lo, 1, v3
	v_add_nc_u32_e32 v0, 0x100, v0
	s_cbranch_vccnz .LBB316_1954
; %bb.1949:
	s_cmp_lg_u32 s30, 0
	s_mov_b32 s2, 0
	s_cbranch_scc0 .LBB316_1958
; %bb.1950:
	s_min_u32 s3, s31, 15
	v_dual_mov_b32 v2, 0 :: v_dual_mov_b32 v5, v0
	v_dual_mov_b32 v14, 0 :: v_dual_mov_b32 v12, 0
	s_add_co_i32 s4, s3, 1
	s_mov_b64 s[0:1], 0xffffffffffffffe8
	s_and_b32 s4, s4, 30
	s_add_nc_u64 s[0:1], s[20:21], s[0:1]
.LBB316_1951:                           ; =>This Inner Loop Header: Depth=1
	s_clause 0x3
	s_load_b128 s[12:15], s[0:1], 0x1c
	s_load_b64 s[6:7], s[0:1], 0x2c
	s_load_b128 s[16:19], s[0:1], 0xdc
	s_load_b64 s[10:11], s[0:1], 0xec
	s_add_co_i32 s4, s4, -2
	s_wait_xcnt 0x0
	s_add_nc_u64 s[0:1], s[0:1], 24
	s_cmp_lg_u32 s4, 0
	s_wait_kmcnt 0x0
	v_mul_hi_u32 v7, s13, v5
	s_delay_alu instid0(VALU_DEP_1) | instskip(NEXT) | instid1(VALU_DEP_1)
	v_add_nc_u32_e32 v7, v5, v7
	v_lshrrev_b32_e32 v7, s14, v7
	s_delay_alu instid0(VALU_DEP_1) | instskip(SKIP_1) | instid1(VALU_DEP_1)
	v_mul_hi_u32 v8, s6, v7
	v_mul_lo_u32 v9, v7, s12
	v_dual_add_nc_u32 v8, v7, v8 :: v_dual_sub_nc_u32 v9, v5, v9
	s_delay_alu instid0(VALU_DEP_1) | instskip(NEXT) | instid1(VALU_DEP_2)
	v_lshrrev_b32_e32 v5, s7, v8
	v_mad_u32 v2, v9, s16, v2
	v_mad_u32 v10, v9, s18, v12
	;; [unrolled: 1-line block ×3, first 2 shown]
	s_delay_alu instid0(VALU_DEP_4) | instskip(NEXT) | instid1(VALU_DEP_1)
	v_mul_lo_u32 v8, v5, s15
	v_sub_nc_u32_e32 v7, v7, v8
	s_delay_alu instid0(VALU_DEP_1)
	v_mad_u32 v2, v7, s19, v2
	v_mad_u32 v12, v7, s11, v10
	;; [unrolled: 1-line block ×3, first 2 shown]
	s_cbranch_scc1 .LBB316_1951
; %bb.1952:
	s_bitcmp1_b32 s3, 0
	s_cselect_b32 s3, -1, 0
	s_delay_alu instid0(SALU_CYCLE_1)
	s_and_b32 vcc_lo, exec_lo, s3
	s_cbranch_vccnz .LBB316_1955
; %bb.1953:
	s_clause 0x1
	s_load_b96 s[4:6], s[0:1], 0x1c
	s_load_b96 s[12:14], s[0:1], 0xdc
	s_wait_kmcnt 0x0
	v_mul_hi_u32 v7, s5, v5
	s_delay_alu instid0(VALU_DEP_1) | instskip(NEXT) | instid1(VALU_DEP_1)
	v_add_nc_u32_e32 v7, v5, v7
	v_lshrrev_b32_e32 v7, s6, v7
	s_delay_alu instid0(VALU_DEP_1) | instskip(NEXT) | instid1(VALU_DEP_1)
	v_mul_lo_u32 v7, v7, s4
	v_sub_nc_u32_e32 v5, v5, v7
	s_delay_alu instid0(VALU_DEP_1)
	v_mad_u32 v2, v5, s12, v2
	v_mad_u32 v14, v5, s13, v14
	;; [unrolled: 1-line block ×3, first 2 shown]
	s_and_not1_b32 vcc_lo, exec_lo, s2
	s_cbranch_vccz .LBB316_1956
	s_branch .LBB316_1959
.LBB316_1954:
	s_mov_b32 s2, -1
                                        ; implicit-def: $vgpr12
                                        ; implicit-def: $vgpr14
                                        ; implicit-def: $vgpr2
.LBB316_1955:
	s_delay_alu instid0(SALU_CYCLE_1)
	s_and_not1_b32 vcc_lo, exec_lo, s2
	s_cbranch_vccnz .LBB316_1959
.LBB316_1956:
	s_clause 0x1
	s_load_b96 s[0:2], s[20:21], 0x4
	s_load_b96 s[4:6], s[20:21], 0xc4
	s_cmp_lt_u32 s30, 2
	s_wait_kmcnt 0x0
	v_mul_hi_u32 v2, s1, v0
	s_delay_alu instid0(VALU_DEP_1) | instskip(NEXT) | instid1(VALU_DEP_1)
	v_add_nc_u32_e32 v2, v0, v2
	v_lshrrev_b32_e32 v5, s2, v2
	s_delay_alu instid0(VALU_DEP_1) | instskip(NEXT) | instid1(VALU_DEP_1)
	v_mul_lo_u32 v2, v5, s0
	v_sub_nc_u32_e32 v0, v0, v2
	s_delay_alu instid0(VALU_DEP_1)
	v_mul_lo_u32 v2, v0, s4
	v_mul_lo_u32 v12, v0, s6
	;; [unrolled: 1-line block ×3, first 2 shown]
	s_cbranch_scc1 .LBB316_1959
; %bb.1957:
	s_clause 0x1
	s_load_b96 s[0:2], s[20:21], 0x10
	s_load_b96 s[4:6], s[20:21], 0xd0
	s_wait_kmcnt 0x0
	v_mul_hi_u32 v0, s1, v5
	s_delay_alu instid0(VALU_DEP_1) | instskip(NEXT) | instid1(VALU_DEP_1)
	v_add_nc_u32_e32 v0, v5, v0
	v_lshrrev_b32_e32 v0, s2, v0
	s_delay_alu instid0(VALU_DEP_1) | instskip(NEXT) | instid1(VALU_DEP_1)
	v_mul_lo_u32 v0, v0, s0
	v_sub_nc_u32_e32 v0, v5, v0
	s_delay_alu instid0(VALU_DEP_1)
	v_mad_u32 v2, v0, s4, v2
	v_mad_u32 v14, v0, s5, v14
	;; [unrolled: 1-line block ×3, first 2 shown]
	s_branch .LBB316_1959
.LBB316_1958:
	v_dual_mov_b32 v12, 0 :: v_dual_mov_b32 v14, 0
	v_mov_b32_e32 v2, 0
	s_and_not1_b32 vcc_lo, exec_lo, s2
	s_cbranch_vccz .LBB316_1956
.LBB316_1959:
	v_cmp_ne_u32_e32 vcc_lo, 1, v3
	s_cbranch_vccnz .LBB316_1965
; %bb.1960:
	s_cmp_lg_u32 s30, 0
	s_mov_b32 s2, 0
	s_cbranch_scc0 .LBB316_1969
; %bb.1961:
	s_min_u32 s3, s31, 15
	v_dual_mov_b32 v0, 0 :: v_dual_mov_b32 v3, v1
	v_dual_mov_b32 v10, 0 :: v_dual_mov_b32 v8, 0
	s_add_co_i32 s4, s3, 1
	s_mov_b64 s[0:1], 0xffffffffffffffe8
	s_and_b32 s4, s4, 30
	s_add_nc_u64 s[0:1], s[20:21], s[0:1]
.LBB316_1962:                           ; =>This Inner Loop Header: Depth=1
	s_clause 0x3
	s_load_b128 s[12:15], s[0:1], 0x1c
	s_load_b64 s[6:7], s[0:1], 0x2c
	s_load_b128 s[16:19], s[0:1], 0xdc
	s_load_b64 s[10:11], s[0:1], 0xec
	s_add_co_i32 s4, s4, -2
	s_wait_xcnt 0x0
	s_add_nc_u64 s[0:1], s[0:1], 24
	s_cmp_lg_u32 s4, 0
	s_wait_kmcnt 0x0
	v_mul_hi_u32 v5, s13, v3
	s_delay_alu instid0(VALU_DEP_1) | instskip(NEXT) | instid1(VALU_DEP_1)
	v_add_nc_u32_e32 v5, v3, v5
	v_lshrrev_b32_e32 v5, s14, v5
	s_delay_alu instid0(VALU_DEP_1) | instskip(SKIP_1) | instid1(VALU_DEP_1)
	v_mul_hi_u32 v7, s6, v5
	v_mul_lo_u32 v9, v5, s12
	v_dual_add_nc_u32 v7, v5, v7 :: v_dual_sub_nc_u32 v9, v3, v9
	s_delay_alu instid0(VALU_DEP_1) | instskip(NEXT) | instid1(VALU_DEP_2)
	v_lshrrev_b32_e32 v3, s7, v7
	v_mad_u32 v0, v9, s16, v0
	v_mad_u32 v8, v9, s18, v8
	;; [unrolled: 1-line block ×3, first 2 shown]
	s_delay_alu instid0(VALU_DEP_4) | instskip(NEXT) | instid1(VALU_DEP_1)
	v_mul_lo_u32 v7, v3, s15
	v_sub_nc_u32_e32 v5, v5, v7
	s_delay_alu instid0(VALU_DEP_1)
	v_mad_u32 v0, v5, s19, v0
	v_mad_u32 v8, v5, s11, v8
	;; [unrolled: 1-line block ×3, first 2 shown]
	s_cbranch_scc1 .LBB316_1962
; %bb.1963:
	s_bitcmp1_b32 s3, 0
	s_cselect_b32 s3, -1, 0
	s_delay_alu instid0(SALU_CYCLE_1)
	s_and_b32 vcc_lo, exec_lo, s3
	s_cbranch_vccnz .LBB316_1966
; %bb.1964:
	s_clause 0x1
	s_load_b96 s[4:6], s[0:1], 0x1c
	s_load_b96 s[12:14], s[0:1], 0xdc
	s_wait_kmcnt 0x0
	v_mul_hi_u32 v5, s5, v3
	s_delay_alu instid0(VALU_DEP_1) | instskip(NEXT) | instid1(VALU_DEP_1)
	v_add_nc_u32_e32 v5, v3, v5
	v_lshrrev_b32_e32 v5, s6, v5
	s_delay_alu instid0(VALU_DEP_1) | instskip(NEXT) | instid1(VALU_DEP_1)
	v_mul_lo_u32 v5, v5, s4
	v_sub_nc_u32_e32 v3, v3, v5
	s_delay_alu instid0(VALU_DEP_1)
	v_mad_u32 v0, v3, s12, v0
	v_mad_u32 v10, v3, s13, v10
	v_mad_u32 v8, v3, s14, v8
	s_and_not1_b32 vcc_lo, exec_lo, s2
	s_cbranch_vccz .LBB316_1967
	s_branch .LBB316_1970
.LBB316_1965:
	s_mov_b32 s2, -1
                                        ; implicit-def: $vgpr8
                                        ; implicit-def: $vgpr10
                                        ; implicit-def: $vgpr0
.LBB316_1966:
	s_delay_alu instid0(SALU_CYCLE_1)
	s_and_not1_b32 vcc_lo, exec_lo, s2
	s_cbranch_vccnz .LBB316_1970
.LBB316_1967:
	s_clause 0x1
	s_load_b96 s[0:2], s[20:21], 0x4
	s_load_b96 s[4:6], s[20:21], 0xc4
	s_cmp_lt_u32 s30, 2
	s_wait_kmcnt 0x0
	v_mul_hi_u32 v0, s1, v1
	s_delay_alu instid0(VALU_DEP_1) | instskip(NEXT) | instid1(VALU_DEP_1)
	v_add_nc_u32_e32 v0, v1, v0
	v_lshrrev_b32_e32 v3, s2, v0
	s_delay_alu instid0(VALU_DEP_1) | instskip(NEXT) | instid1(VALU_DEP_1)
	v_mul_lo_u32 v0, v3, s0
	v_sub_nc_u32_e32 v1, v1, v0
	s_delay_alu instid0(VALU_DEP_1)
	v_mul_lo_u32 v0, v1, s4
	v_mul_lo_u32 v8, v1, s6
	;; [unrolled: 1-line block ×3, first 2 shown]
	s_cbranch_scc1 .LBB316_1970
; %bb.1968:
	s_clause 0x1
	s_load_b96 s[0:2], s[20:21], 0x10
	s_load_b96 s[4:6], s[20:21], 0xd0
	s_wait_kmcnt 0x0
	v_mul_hi_u32 v1, s1, v3
	s_delay_alu instid0(VALU_DEP_1) | instskip(NEXT) | instid1(VALU_DEP_1)
	v_add_nc_u32_e32 v1, v3, v1
	v_lshrrev_b32_e32 v1, s2, v1
	s_delay_alu instid0(VALU_DEP_1) | instskip(NEXT) | instid1(VALU_DEP_1)
	v_mul_lo_u32 v1, v1, s0
	v_sub_nc_u32_e32 v1, v3, v1
	s_delay_alu instid0(VALU_DEP_1)
	v_mad_u32 v0, v1, s4, v0
	v_mad_u32 v10, v1, s5, v10
	;; [unrolled: 1-line block ×3, first 2 shown]
	s_branch .LBB316_1970
.LBB316_1969:
	v_dual_mov_b32 v8, 0 :: v_dual_mov_b32 v10, 0
	v_mov_b32_e32 v0, 0
	s_and_not1_b32 vcc_lo, exec_lo, s2
	s_cbranch_vccz .LBB316_1967
.LBB316_1970:
	v_mov_b32_e32 v23, 0
	s_load_b128 s[4:7], s[20:21], 0x188
	global_load_u8 v1, v23, s[20:21] offset:421
	s_wait_kmcnt 0x0
	v_add_nc_u64_e32 v[22:23], s[6:7], v[22:23]
	s_wait_loadcnt 0x0
	v_and_b32_e32 v3, 0xffff, v1
	v_readfirstlane_b32 s1, v1
	s_delay_alu instid0(VALU_DEP_2)
	v_cmp_gt_i32_e32 vcc_lo, 11, v3
	s_cbranch_vccnz .LBB316_1979
; %bb.1971:
	s_and_b32 s2, 0xffff, s1
	s_mov_b32 s11, 0
	s_cmp_gt_i32 s2, 25
	s_cbranch_scc0 .LBB316_1981
; %bb.1972:
	s_cmp_gt_i32 s2, 28
	s_cbranch_scc0 .LBB316_1982
; %bb.1973:
	;; [unrolled: 3-line block ×4, first 2 shown]
	s_cmp_eq_u32 s2, 46
	s_mov_b32 s10, 0
	s_cbranch_scc0 .LBB316_1987
; %bb.1976:
	global_load_b32 v3, v[22:23], off
	v_mov_b32_e32 v1, 0xff
	s_mov_b32 s3, exec_lo
	s_wait_loadcnt 0x0
	v_lshlrev_b32_e32 v5, 16, v3
	s_delay_alu instid0(VALU_DEP_1) | instskip(SKIP_1) | instid1(VALU_DEP_1)
	v_bfe_u32 v7, v5, 23, 8
	s_wait_xcnt 0x0
	v_cmpx_ne_u32_e32 0xff, v7
	s_cbranch_execz .LBB316_1978
; %bb.1977:
	v_and_b32_e32 v1, 64, v3
	v_and_or_b32 v5, 0x3f0000, v5, v7
	s_delay_alu instid0(VALU_DEP_2) | instskip(NEXT) | instid1(VALU_DEP_2)
	v_cmp_ne_u32_e32 vcc_lo, 0, v1
	v_cmp_ne_u32_e64 s0, 0, v5
	v_bfe_u32 v1, v3, 7, 9
	s_and_b32 s0, vcc_lo, s0
	s_delay_alu instid0(SALU_CYCLE_1) | instskip(NEXT) | instid1(VALU_DEP_1)
	v_cndmask_b32_e64 v3, 0, 1, s0
	v_add_nc_u32_e32 v1, v1, v3
.LBB316_1978:
	s_or_b32 exec_lo, exec_lo, s3
	s_mov_b32 s3, 0
	s_mov_b32 s0, -1
	s_branch .LBB316_1989
.LBB316_1979:
	s_mov_b32 s0, 0
	s_mov_b32 s10, s8
                                        ; implicit-def: $vgpr1
	s_cbranch_execnz .LBB316_2069
.LBB316_1980:
	s_and_not1_b32 vcc_lo, exec_lo, s0
	s_cbranch_vccz .LBB316_2136
	s_branch .LBB316_3777
.LBB316_1981:
	s_mov_b32 s0, 0
	s_mov_b32 s3, 0
                                        ; implicit-def: $vgpr1
	s_cbranch_execnz .LBB316_2026
	s_branch .LBB316_2063
.LBB316_1982:
	s_mov_b32 s0, 0
	s_mov_b32 s3, 0
                                        ; implicit-def: $vgpr1
	s_cbranch_execz .LBB316_2025
	s_branch .LBB316_2000
.LBB316_1983:
	s_mov_b32 s0, 0
	s_mov_b32 s3, 0
                                        ; implicit-def: $vgpr1
	s_cbranch_execnz .LBB316_1994
	s_branch .LBB316_1999
.LBB316_1984:
	s_mov_b32 s10, -1
	s_mov_b32 s0, 0
	s_mov_b32 s3, 0
	s_branch .LBB316_1988
.LBB316_1985:
	s_and_not1_saveexec_b32 s8, s8
	s_cbranch_execz .LBB316_1835
.LBB316_1986:
	v_add_f32_e32 v2, 0x46000000, v3
	s_and_not1_b32 s7, s7, exec_lo
	s_delay_alu instid0(VALU_DEP_1) | instskip(NEXT) | instid1(VALU_DEP_1)
	v_and_b32_e32 v2, 0xff, v2
	v_cmp_ne_u32_e32 vcc_lo, 0, v2
	s_and_b32 s9, vcc_lo, exec_lo
	s_delay_alu instid0(SALU_CYCLE_1)
	s_or_b32 s7, s7, s9
	s_or_b32 exec_lo, exec_lo, s8
	v_mov_b32_e32 v4, 0
	s_and_saveexec_b32 s8, s7
	s_cbranch_execnz .LBB316_1836
	s_branch .LBB316_1837
.LBB316_1987:
	s_mov_b32 s3, -1
	s_mov_b32 s0, 0
.LBB316_1988:
                                        ; implicit-def: $vgpr1
.LBB316_1989:
	s_and_b32 vcc_lo, exec_lo, s10
	s_cbranch_vccz .LBB316_1992
; %bb.1990:
	s_cmp_eq_u32 s2, 44
	s_cbranch_scc0 .LBB316_1993
; %bb.1991:
	global_load_u8 v1, v[22:23], off
	s_mov_b32 s3, 0
	s_mov_b32 s0, -1
.LBB316_1992:
	s_branch .LBB316_1999
.LBB316_1993:
	s_mov_b32 s3, -1
                                        ; implicit-def: $vgpr1
	s_branch .LBB316_1999
.LBB316_1994:
	s_cmp_eq_u32 s2, 29
	s_cbranch_scc0 .LBB316_1998
; %bb.1995:
	global_load_b64 v[24:25], v[22:23], off
	s_mov_b32 s3, exec_lo
	s_wait_loadcnt 0x0
	v_clz_i32_u32_e32 v1, v25
	s_delay_alu instid0(VALU_DEP_1) | instskip(NEXT) | instid1(VALU_DEP_1)
	v_min_u32_e32 v1, 32, v1
	v_lshlrev_b64_e32 v[24:25], v1, v[24:25]
	v_sub_nc_u32_e32 v1, 32, v1
	s_delay_alu instid0(VALU_DEP_2) | instskip(NEXT) | instid1(VALU_DEP_1)
	v_min_u32_e32 v3, 1, v24
	v_or_b32_e32 v3, v25, v3
	s_delay_alu instid0(VALU_DEP_1) | instskip(NEXT) | instid1(VALU_DEP_1)
	v_cvt_f32_u32_e32 v3, v3
	v_ldexp_f32 v5, v3, v1
	v_mov_b32_e32 v1, 0xff
	s_delay_alu instid0(VALU_DEP_2) | instskip(SKIP_1) | instid1(VALU_DEP_1)
	v_lshrrev_b32_e32 v3, 23, v5
	s_wait_xcnt 0x0
	v_cmpx_ne_u32_e32 0xff, v3
; %bb.1996:
	v_and_b32_e32 v1, 0x400000, v5
	v_and_or_b32 v5, 0x3fffff, v5, v3
	s_delay_alu instid0(VALU_DEP_2) | instskip(NEXT) | instid1(VALU_DEP_2)
	v_cmp_ne_u32_e32 vcc_lo, 0, v1
	v_cmp_ne_u32_e64 s0, 0, v5
	s_and_b32 s0, vcc_lo, s0
	s_delay_alu instid0(SALU_CYCLE_1) | instskip(NEXT) | instid1(VALU_DEP_1)
	v_cndmask_b32_e64 v1, 0, 1, s0
	v_add_nc_u32_e32 v1, v3, v1
; %bb.1997:
	s_or_b32 exec_lo, exec_lo, s3
	s_mov_b32 s3, 0
	s_mov_b32 s0, -1
	s_branch .LBB316_1999
.LBB316_1998:
	s_mov_b32 s3, -1
                                        ; implicit-def: $vgpr1
.LBB316_1999:
	s_branch .LBB316_2025
.LBB316_2000:
	s_cmp_lt_i32 s2, 27
	s_cbranch_scc1 .LBB316_2005
; %bb.2001:
	s_cmp_gt_i32 s2, 27
	s_cbranch_scc0 .LBB316_2006
; %bb.2002:
	s_wait_loadcnt 0x0
	global_load_b32 v1, v[22:23], off
	s_mov_b32 s10, exec_lo
	s_wait_loadcnt 0x0
	v_cvt_f32_u32_e32 v5, v1
	v_mov_b32_e32 v1, 0xff
	s_delay_alu instid0(VALU_DEP_2) | instskip(SKIP_1) | instid1(VALU_DEP_1)
	v_lshrrev_b32_e32 v3, 23, v5
	s_wait_xcnt 0x0
	v_cmpx_ne_u32_e32 0xff, v3
; %bb.2003:
	v_and_b32_e32 v1, 0x400000, v5
	v_and_or_b32 v5, 0x3fffff, v5, v3
	s_delay_alu instid0(VALU_DEP_2) | instskip(NEXT) | instid1(VALU_DEP_2)
	v_cmp_ne_u32_e32 vcc_lo, 0, v1
	v_cmp_ne_u32_e64 s0, 0, v5
	s_and_b32 s0, vcc_lo, s0
	s_delay_alu instid0(SALU_CYCLE_1) | instskip(NEXT) | instid1(VALU_DEP_1)
	v_cndmask_b32_e64 v1, 0, 1, s0
	v_add_nc_u32_e32 v1, v3, v1
; %bb.2004:
	s_or_b32 exec_lo, exec_lo, s10
	s_mov_b32 s0, 0
	s_branch .LBB316_2007
.LBB316_2005:
	s_mov_b32 s0, -1
                                        ; implicit-def: $vgpr1
	s_branch .LBB316_2012
.LBB316_2006:
	s_mov_b32 s0, -1
                                        ; implicit-def: $vgpr1
.LBB316_2007:
	s_delay_alu instid0(SALU_CYCLE_1)
	s_and_not1_b32 vcc_lo, exec_lo, s0
	s_cbranch_vccnz .LBB316_2011
; %bb.2008:
	s_wait_loadcnt 0x0
	global_load_u16 v1, v[22:23], off
	s_mov_b32 s10, exec_lo
	s_wait_loadcnt 0x0
	v_cvt_f32_u32_e32 v5, v1
	v_mov_b32_e32 v1, 0xff
	s_delay_alu instid0(VALU_DEP_2) | instskip(SKIP_1) | instid1(VALU_DEP_1)
	v_lshrrev_b32_e32 v3, 23, v5
	s_wait_xcnt 0x0
	v_cmpx_ne_u32_e32 0xff, v3
; %bb.2009:
	v_and_b32_e32 v1, 0x400000, v5
	v_and_or_b32 v5, 0x3fffff, v5, v3
	s_delay_alu instid0(VALU_DEP_2) | instskip(NEXT) | instid1(VALU_DEP_2)
	v_cmp_ne_u32_e32 vcc_lo, 0, v1
	v_cmp_ne_u32_e64 s0, 0, v5
	s_and_b32 s0, vcc_lo, s0
	s_delay_alu instid0(SALU_CYCLE_1) | instskip(NEXT) | instid1(VALU_DEP_1)
	v_cndmask_b32_e64 v1, 0, 1, s0
	v_add_nc_u32_e32 v1, v3, v1
; %bb.2010:
	s_or_b32 exec_lo, exec_lo, s10
.LBB316_2011:
	s_mov_b32 s0, 0
.LBB316_2012:
	s_delay_alu instid0(SALU_CYCLE_1)
	s_and_not1_b32 vcc_lo, exec_lo, s0
	s_cbranch_vccnz .LBB316_2024
; %bb.2013:
	s_wait_loadcnt 0x0
	global_load_u8 v1, v[22:23], off
	s_mov_b32 s0, 0
	s_mov_b32 s10, exec_lo
	s_wait_loadcnt 0x0
	v_cmpx_lt_i16_e32 0x7f, v1
	s_xor_b32 s10, exec_lo, s10
	s_cbranch_execz .LBB316_2017
; %bb.2014:
	s_mov_b32 s0, -1
	s_mov_b32 s12, exec_lo
	v_cmpx_eq_u16_e32 0x80, v1
; %bb.2015:
	s_xor_b32 s0, exec_lo, -1
; %bb.2016:
	s_or_b32 exec_lo, exec_lo, s12
	s_delay_alu instid0(SALU_CYCLE_1)
	s_and_b32 s0, s0, exec_lo
.LBB316_2017:
	s_or_saveexec_b32 s10, s10
	v_mov_b32_e32 v3, 0x7f800001
	v_and_b32_e32 v5, 0xffff, v1
	s_xor_b32 exec_lo, exec_lo, s10
; %bb.2018:
	v_cmp_ne_u16_e32 vcc_lo, 0, v1
	s_delay_alu instid0(VALU_DEP_2) | instskip(SKIP_2) | instid1(SALU_CYCLE_1)
	v_mov_b32_e32 v3, v5
	s_and_not1_b32 s0, s0, exec_lo
	s_and_b32 s12, vcc_lo, exec_lo
	s_or_b32 s0, s0, s12
; %bb.2019:
	s_or_b32 exec_lo, exec_lo, s10
	s_and_saveexec_b32 s10, s0
	s_cbranch_execz .LBB316_2021
; %bb.2020:
	v_and_b32_e32 v1, 7, v5
	s_delay_alu instid0(VALU_DEP_1) | instskip(NEXT) | instid1(VALU_DEP_1)
	v_clz_i32_u32_e32 v3, v1
	v_min_u32_e32 v3, 32, v3
	s_delay_alu instid0(VALU_DEP_1) | instskip(NEXT) | instid1(VALU_DEP_1)
	v_subrev_nc_u32_e32 v7, 28, v3
	v_lshlrev_b32_e32 v7, v7, v5
	v_bfe_u32 v5, v5, 3, 4
	s_delay_alu instid0(VALU_DEP_2) | instskip(NEXT) | instid1(VALU_DEP_2)
	v_and_b32_e32 v7, 7, v7
	v_cmp_eq_u32_e32 vcc_lo, 0, v5
	s_delay_alu instid0(VALU_DEP_2) | instskip(NEXT) | instid1(VALU_DEP_1)
	v_cndmask_b32_e32 v1, v1, v7, vcc_lo
	v_dual_sub_nc_u32 v3, 29, v3 :: v_dual_lshlrev_b32 v1, 20, v1
	s_delay_alu instid0(VALU_DEP_1) | instskip(NEXT) | instid1(VALU_DEP_1)
	v_cndmask_b32_e32 v3, v5, v3, vcc_lo
	v_lshl_or_b32 v1, v3, 23, v1
	s_delay_alu instid0(VALU_DEP_1)
	v_add_nc_u32_e32 v3, 0x3b800000, v1
.LBB316_2021:
	s_or_b32 exec_lo, exec_lo, s10
	s_delay_alu instid0(VALU_DEP_1) | instskip(SKIP_2) | instid1(VALU_DEP_2)
	v_lshrrev_b32_e32 v5, 23, v3
	v_mov_b32_e32 v1, 0xff
	s_mov_b32 s10, exec_lo
	v_cmpx_ne_u32_e32 0xff, v5
; %bb.2022:
	v_and_b32_e32 v1, 0x400000, v3
	v_and_or_b32 v3, 0x3fffff, v3, v5
	s_delay_alu instid0(VALU_DEP_2) | instskip(NEXT) | instid1(VALU_DEP_2)
	v_cmp_ne_u32_e32 vcc_lo, 0, v1
	v_cmp_ne_u32_e64 s0, 0, v3
	s_and_b32 s0, vcc_lo, s0
	s_delay_alu instid0(SALU_CYCLE_1) | instskip(NEXT) | instid1(VALU_DEP_1)
	v_cndmask_b32_e64 v1, 0, 1, s0
	v_add_nc_u32_e32 v1, v5, v1
; %bb.2023:
	s_or_b32 exec_lo, exec_lo, s10
.LBB316_2024:
	s_mov_b32 s0, -1
.LBB316_2025:
	s_branch .LBB316_2063
.LBB316_2026:
	s_cmp_gt_i32 s2, 22
	s_cbranch_scc0 .LBB316_2038
; %bb.2027:
	s_cmp_lt_i32 s2, 24
	s_cbranch_scc1 .LBB316_2039
; %bb.2028:
	s_cmp_gt_i32 s2, 24
	s_cbranch_scc0 .LBB316_2040
; %bb.2029:
	s_wait_loadcnt 0x0
	global_load_u8 v1, v[22:23], off
	s_mov_b32 s0, 0
	s_mov_b32 s10, exec_lo
	s_wait_loadcnt 0x0
	v_cmpx_lt_i16_e32 0x7f, v1
	s_xor_b32 s10, exec_lo, s10
	s_cbranch_execz .LBB316_2057
; %bb.2030:
	s_mov_b32 s0, -1
	s_mov_b32 s11, exec_lo
	v_cmpx_eq_u16_e32 0x80, v1
; %bb.2031:
	s_xor_b32 s0, exec_lo, -1
; %bb.2032:
	s_or_b32 exec_lo, exec_lo, s11
	s_delay_alu instid0(SALU_CYCLE_1)
	s_and_b32 s0, s0, exec_lo
	s_or_saveexec_b32 s10, s10
	v_mov_b32_e32 v3, 0x7f800001
	s_xor_b32 exec_lo, exec_lo, s10
	s_cbranch_execnz .LBB316_2058
.LBB316_2033:
	s_or_b32 exec_lo, exec_lo, s10
	s_and_saveexec_b32 s10, s0
	s_cbranch_execz .LBB316_2035
.LBB316_2034:
	v_and_b32_e32 v1, 0xffff, v1
	s_delay_alu instid0(VALU_DEP_1) | instskip(NEXT) | instid1(VALU_DEP_1)
	v_and_b32_e32 v3, 3, v1
	v_clz_i32_u32_e32 v5, v3
	s_delay_alu instid0(VALU_DEP_1) | instskip(NEXT) | instid1(VALU_DEP_1)
	v_min_u32_e32 v5, 32, v5
	v_subrev_nc_u32_e32 v7, 29, v5
	s_delay_alu instid0(VALU_DEP_1) | instskip(SKIP_1) | instid1(VALU_DEP_2)
	v_lshlrev_b32_e32 v7, v7, v1
	v_bfe_u32 v1, v1, 2, 5
	v_dual_sub_nc_u32 v5, 30, v5 :: v_dual_bitop2_b32 v7, 3, v7 bitop3:0x40
	s_delay_alu instid0(VALU_DEP_2) | instskip(NEXT) | instid1(VALU_DEP_2)
	v_cmp_eq_u32_e32 vcc_lo, 0, v1
	v_dual_cndmask_b32 v1, v1, v5, vcc_lo :: v_dual_cndmask_b32 v3, v3, v7, vcc_lo
	s_delay_alu instid0(VALU_DEP_1) | instskip(NEXT) | instid1(VALU_DEP_1)
	v_lshlrev_b32_e32 v3, 21, v3
	v_lshl_or_b32 v1, v1, 23, v3
	s_delay_alu instid0(VALU_DEP_1)
	v_add_nc_u32_e32 v3, 0x37800000, v1
.LBB316_2035:
	s_or_b32 exec_lo, exec_lo, s10
	s_delay_alu instid0(VALU_DEP_1) | instskip(SKIP_2) | instid1(VALU_DEP_2)
	v_lshrrev_b32_e32 v5, 23, v3
	v_mov_b32_e32 v1, 0xff
	s_mov_b32 s10, exec_lo
	v_cmpx_ne_u32_e32 0xff, v5
; %bb.2036:
	v_and_b32_e32 v1, 0x400000, v3
	v_and_or_b32 v3, 0x3fffff, v3, v5
	s_delay_alu instid0(VALU_DEP_2) | instskip(NEXT) | instid1(VALU_DEP_2)
	v_cmp_ne_u32_e32 vcc_lo, 0, v1
	v_cmp_ne_u32_e64 s0, 0, v3
	s_and_b32 s0, vcc_lo, s0
	s_delay_alu instid0(SALU_CYCLE_1) | instskip(NEXT) | instid1(VALU_DEP_1)
	v_cndmask_b32_e64 v1, 0, 1, s0
	v_add_nc_u32_e32 v1, v5, v1
; %bb.2037:
	s_or_b32 exec_lo, exec_lo, s10
	s_mov_b32 s0, 0
	s_branch .LBB316_2041
.LBB316_2038:
                                        ; implicit-def: $vgpr1
	s_mov_b32 s11, 0
	s_branch .LBB316_2051
.LBB316_2039:
	s_mov_b32 s0, -1
                                        ; implicit-def: $vgpr1
	s_branch .LBB316_2046
.LBB316_2040:
	s_mov_b32 s0, -1
                                        ; implicit-def: $vgpr1
.LBB316_2041:
	s_delay_alu instid0(SALU_CYCLE_1)
	s_and_b32 vcc_lo, exec_lo, s0
	s_cbranch_vccz .LBB316_2045
; %bb.2042:
	s_wait_loadcnt 0x0
	global_load_u8 v1, v[22:23], off
	s_mov_b32 s10, exec_lo
	s_wait_loadcnt 0x0
	v_lshlrev_b32_e32 v1, 24, v1
	s_delay_alu instid0(VALU_DEP_1) | instskip(NEXT) | instid1(VALU_DEP_1)
	v_and_b32_e32 v1, 0x7f000000, v1
	v_clz_i32_u32_e32 v3, v1
	v_add_nc_u32_e32 v7, 0x1000000, v1
	v_cmp_ne_u32_e32 vcc_lo, 0, v1
	s_delay_alu instid0(VALU_DEP_3) | instskip(NEXT) | instid1(VALU_DEP_1)
	v_min_u32_e32 v3, 32, v3
	v_sub_nc_u32_e64 v3, v3, 4 clamp
	s_delay_alu instid0(VALU_DEP_1) | instskip(SKIP_1) | instid1(VALU_DEP_2)
	v_dual_lshlrev_b32 v5, v3, v1 :: v_dual_lshlrev_b32 v3, 23, v3
	v_mov_b32_e32 v1, 0xff
	v_lshrrev_b32_e32 v5, 4, v5
	s_delay_alu instid0(VALU_DEP_1) | instskip(SKIP_1) | instid1(VALU_DEP_2)
	v_sub_nc_u32_e32 v3, v5, v3
	v_ashrrev_i32_e32 v5, 8, v7
	v_add_nc_u32_e32 v3, 0x3c000000, v3
	s_delay_alu instid0(VALU_DEP_1) | instskip(NEXT) | instid1(VALU_DEP_1)
	v_and_or_b32 v3, 0x7f800000, v5, v3
	v_cndmask_b32_e32 v5, 0, v3, vcc_lo
	s_delay_alu instid0(VALU_DEP_1) | instskip(SKIP_1) | instid1(VALU_DEP_1)
	v_lshrrev_b32_e32 v3, 23, v5
	s_wait_xcnt 0x0
	v_cmpx_ne_u32_e32 0xff, v3
; %bb.2043:
	v_and_b32_e32 v1, 0x400000, v5
	v_and_or_b32 v5, 0x3fffff, v5, v3
	s_delay_alu instid0(VALU_DEP_2) | instskip(NEXT) | instid1(VALU_DEP_2)
	v_cmp_ne_u32_e32 vcc_lo, 0, v1
	v_cmp_ne_u32_e64 s0, 0, v5
	s_and_b32 s0, vcc_lo, s0
	s_delay_alu instid0(SALU_CYCLE_1) | instskip(NEXT) | instid1(VALU_DEP_1)
	v_cndmask_b32_e64 v1, 0, 1, s0
	v_add_nc_u32_e32 v1, v3, v1
; %bb.2044:
	s_or_b32 exec_lo, exec_lo, s10
.LBB316_2045:
	s_mov_b32 s0, 0
.LBB316_2046:
	s_delay_alu instid0(SALU_CYCLE_1)
	s_and_not1_b32 vcc_lo, exec_lo, s0
	s_cbranch_vccnz .LBB316_2050
; %bb.2047:
	s_wait_loadcnt 0x0
	global_load_u8 v1, v[22:23], off
	s_mov_b32 s10, exec_lo
	s_wait_loadcnt 0x0
	v_dual_lshlrev_b32 v3, 25, v1 :: v_dual_lshlrev_b32 v1, 8, v1
	s_delay_alu instid0(VALU_DEP_1) | instskip(NEXT) | instid1(VALU_DEP_2)
	v_cmp_gt_u32_e32 vcc_lo, 0x8000000, v3
	v_and_or_b32 v1, 0x7f00, v1, 0.5
	s_delay_alu instid0(VALU_DEP_1) | instskip(NEXT) | instid1(VALU_DEP_1)
	v_dual_lshrrev_b32 v5, 4, v3 :: v_dual_add_f32 v1, -0.5, v1
	v_or_b32_e32 v5, 0x70000000, v5
	s_delay_alu instid0(VALU_DEP_1) | instskip(NEXT) | instid1(VALU_DEP_1)
	v_mul_f32_e32 v5, 0x7800000, v5
	v_cndmask_b32_e32 v3, v5, v1, vcc_lo
	v_mov_b32_e32 v1, 0xff
	s_delay_alu instid0(VALU_DEP_2) | instskip(SKIP_1) | instid1(VALU_DEP_1)
	v_bfe_u32 v5, v3, 23, 8
	s_wait_xcnt 0x0
	v_cmpx_ne_u32_e32 0xff, v5
	s_cbranch_execz .LBB316_2049
; %bb.2048:
	v_and_b32_e32 v1, 0x400000, v3
	v_and_or_b32 v5, 0x3fffff, v3, v5
	s_delay_alu instid0(VALU_DEP_2) | instskip(NEXT) | instid1(VALU_DEP_2)
	v_cmp_ne_u32_e32 vcc_lo, 0, v1
	v_cmp_ne_u32_e64 s0, 0, v5
	v_lshrrev_b32_e32 v1, 23, v3
	s_and_b32 s0, vcc_lo, s0
	s_delay_alu instid0(SALU_CYCLE_1) | instskip(NEXT) | instid1(VALU_DEP_1)
	v_cndmask_b32_e64 v3, 0, 1, s0
	v_add_nc_u32_e32 v1, v1, v3
.LBB316_2049:
	s_or_b32 exec_lo, exec_lo, s10
.LBB316_2050:
	s_mov_b32 s0, -1
	s_mov_b32 s11, 0
	s_cbranch_execnz .LBB316_2063
.LBB316_2051:
	s_cmp_gt_i32 s2, 14
	s_cbranch_scc0 .LBB316_2056
; %bb.2052:
	s_cmp_eq_u32 s2, 15
	s_cbranch_scc0 .LBB316_2059
; %bb.2053:
	global_load_u16 v3, v[22:23], off
	s_wait_loadcnt 0x1
	v_mov_b32_e32 v1, 0xff
	s_mov_b32 s3, exec_lo
	s_wait_loadcnt 0x0
	v_bfe_u32 v5, v3, 7, 8
	s_wait_xcnt 0x0
	s_delay_alu instid0(VALU_DEP_1)
	v_cmpx_ne_u32_e32 0xff, v5
	s_cbranch_execz .LBB316_2055
; %bb.2054:
	v_dual_lshlrev_b32 v1, 16, v3 :: v_dual_bitop2_b32 v7, 64, v3 bitop3:0x40
	s_delay_alu instid0(VALU_DEP_1) | instskip(NEXT) | instid1(VALU_DEP_2)
	v_and_or_b32 v1, 0x3f0000, v1, v5
	v_cmp_ne_u32_e32 vcc_lo, 0, v7
	s_delay_alu instid0(VALU_DEP_2) | instskip(SKIP_2) | instid1(SALU_CYCLE_1)
	v_cmp_ne_u32_e64 s0, 0, v1
	v_lshrrev_b32_e32 v1, 7, v3
	s_and_b32 s0, vcc_lo, s0
	v_cndmask_b32_e64 v3, 0, 1, s0
	s_delay_alu instid0(VALU_DEP_1)
	v_add_nc_u32_e32 v1, v1, v3
.LBB316_2055:
	s_or_b32 exec_lo, exec_lo, s3
	s_mov_b32 s3, 0
	s_mov_b32 s0, -1
	s_branch .LBB316_2060
.LBB316_2056:
	s_mov_b32 s10, -1
                                        ; implicit-def: $vgpr1
	s_branch .LBB316_2061
.LBB316_2057:
	s_or_saveexec_b32 s10, s10
	v_mov_b32_e32 v3, 0x7f800001
	s_xor_b32 exec_lo, exec_lo, s10
	s_cbranch_execz .LBB316_2033
.LBB316_2058:
	v_cmp_ne_u16_e32 vcc_lo, 0, v1
	v_and_b32_e32 v3, 0xffff, v1
	s_and_not1_b32 s0, s0, exec_lo
	s_and_b32 s11, vcc_lo, exec_lo
	s_delay_alu instid0(SALU_CYCLE_1)
	s_or_b32 s0, s0, s11
	s_or_b32 exec_lo, exec_lo, s10
	s_and_saveexec_b32 s10, s0
	s_cbranch_execnz .LBB316_2034
	s_branch .LBB316_2035
.LBB316_2059:
	s_mov_b32 s3, -1
                                        ; implicit-def: $vgpr1
.LBB316_2060:
	s_mov_b32 s10, 0
.LBB316_2061:
	s_delay_alu instid0(SALU_CYCLE_1)
	s_and_b32 vcc_lo, exec_lo, s10
	s_cbranch_vccz .LBB316_2063
; %bb.2062:
	s_cmp_lg_u32 s2, 11
	s_mov_b32 s11, -1
	s_cselect_b32 s3, -1, 0
.LBB316_2063:
	s_delay_alu instid0(SALU_CYCLE_1)
	s_and_b32 vcc_lo, exec_lo, s3
	s_mov_b32 s10, s8
	s_cbranch_vccnz .LBB316_2150
; %bb.2064:
	s_and_not1_b32 vcc_lo, exec_lo, s11
	s_cbranch_vccnz .LBB316_2068
.LBB316_2065:
	s_wait_loadcnt 0x0
	global_load_u8 v1, v[22:23], off
	s_mov_b32 s2, exec_lo
	s_wait_loadcnt 0x0
	v_cmp_ne_u16_e32 vcc_lo, 0, v1
	v_mov_b32_e32 v1, 0xff
	v_cndmask_b32_e64 v5, 0, 1.0, vcc_lo
	s_delay_alu instid0(VALU_DEP_1) | instskip(SKIP_1) | instid1(VALU_DEP_1)
	v_lshrrev_b32_e32 v3, 23, v5
	s_wait_xcnt 0x0
	v_cmpx_ne_u32_e32 0xff, v3
; %bb.2066:
	v_and_b32_e32 v1, 0x400000, v5
	v_and_or_b32 v5, 0x3fffff, v5, v3
	s_delay_alu instid0(VALU_DEP_2) | instskip(NEXT) | instid1(VALU_DEP_2)
	v_cmp_ne_u32_e32 vcc_lo, 0, v1
	v_cmp_ne_u32_e64 s0, 0, v5
	s_and_b32 s0, vcc_lo, s0
	s_delay_alu instid0(SALU_CYCLE_1) | instskip(NEXT) | instid1(VALU_DEP_1)
	v_cndmask_b32_e64 v1, 0, 1, s0
	v_add_nc_u32_e32 v1, v3, v1
; %bb.2067:
	s_or_b32 exec_lo, exec_lo, s2
	s_mov_b32 s0, -1
.LBB316_2068:
	s_branch .LBB316_1980
.LBB316_2069:
	s_and_b32 s2, 0xffff, s1
	s_delay_alu instid0(SALU_CYCLE_1)
	s_cmp_lt_i32 s2, 5
	s_cbranch_scc1 .LBB316_2076
; %bb.2070:
	s_cmp_lt_i32 s2, 8
	s_cbranch_scc1 .LBB316_2077
; %bb.2071:
	;; [unrolled: 3-line block ×3, first 2 shown]
	s_cmp_gt_i32 s2, 9
	s_cbranch_scc0 .LBB316_2079
; %bb.2073:
	global_load_b64 v[24:25], v[22:23], off
	s_wait_loadcnt 0x1
	v_mov_b32_e32 v1, 0xff
	s_mov_b32 s3, exec_lo
	s_wait_loadcnt 0x0
	v_cvt_f32_f64_e32 v3, v[24:25]
	s_delay_alu instid0(VALU_DEP_1) | instskip(SKIP_1) | instid1(VALU_DEP_1)
	v_bfe_u32 v5, v3, 23, 8
	s_wait_xcnt 0x0
	v_cmpx_ne_u32_e32 0xff, v5
	s_cbranch_execz .LBB316_2075
; %bb.2074:
	v_and_b32_e32 v1, 0x400000, v3
	v_and_or_b32 v5, 0x3fffff, v3, v5
	s_delay_alu instid0(VALU_DEP_2) | instskip(NEXT) | instid1(VALU_DEP_2)
	v_cmp_ne_u32_e32 vcc_lo, 0, v1
	v_cmp_ne_u32_e64 s0, 0, v5
	v_lshrrev_b32_e32 v1, 23, v3
	s_and_b32 s0, vcc_lo, s0
	s_delay_alu instid0(SALU_CYCLE_1) | instskip(NEXT) | instid1(VALU_DEP_1)
	v_cndmask_b32_e64 v3, 0, 1, s0
	v_add_nc_u32_e32 v1, v1, v3
.LBB316_2075:
	s_or_b32 exec_lo, exec_lo, s3
	s_mov_b32 s0, 0
	s_branch .LBB316_2080
.LBB316_2076:
                                        ; implicit-def: $vgpr1
	s_branch .LBB316_2107
.LBB316_2077:
                                        ; implicit-def: $vgpr1
	s_branch .LBB316_2090
.LBB316_2078:
	s_mov_b32 s0, -1
                                        ; implicit-def: $vgpr1
	s_branch .LBB316_2085
.LBB316_2079:
	s_mov_b32 s0, -1
                                        ; implicit-def: $vgpr1
.LBB316_2080:
	s_delay_alu instid0(SALU_CYCLE_1)
	s_and_not1_b32 vcc_lo, exec_lo, s0
	s_cbranch_vccnz .LBB316_2084
; %bb.2081:
	global_load_b32 v3, v[22:23], off
	s_wait_loadcnt 0x1
	v_mov_b32_e32 v1, 0xff
	s_mov_b32 s3, exec_lo
	s_wait_loadcnt 0x0
	v_bfe_u32 v5, v3, 23, 8
	s_wait_xcnt 0x0
	s_delay_alu instid0(VALU_DEP_1)
	v_cmpx_ne_u32_e32 0xff, v5
	s_cbranch_execz .LBB316_2083
; %bb.2082:
	v_and_b32_e32 v1, 0x400000, v3
	v_and_or_b32 v5, 0x3fffff, v3, v5
	s_delay_alu instid0(VALU_DEP_2) | instskip(NEXT) | instid1(VALU_DEP_2)
	v_cmp_ne_u32_e32 vcc_lo, 0, v1
	v_cmp_ne_u32_e64 s0, 0, v5
	v_lshrrev_b32_e32 v1, 23, v3
	s_and_b32 s0, vcc_lo, s0
	s_delay_alu instid0(SALU_CYCLE_1) | instskip(NEXT) | instid1(VALU_DEP_1)
	v_cndmask_b32_e64 v3, 0, 1, s0
	v_add_nc_u32_e32 v1, v1, v3
.LBB316_2083:
	s_or_b32 exec_lo, exec_lo, s3
.LBB316_2084:
	s_mov_b32 s0, 0
.LBB316_2085:
	s_delay_alu instid0(SALU_CYCLE_1)
	s_and_not1_b32 vcc_lo, exec_lo, s0
	s_cbranch_vccnz .LBB316_2089
; %bb.2086:
	s_wait_loadcnt 0x0
	global_load_b32 v1, v[22:23], off
	s_mov_b32 s3, exec_lo
	s_wait_loadcnt 0x0
	v_cvt_f32_f16_e32 v3, v1
	v_mov_b32_e32 v1, 0xff
	s_delay_alu instid0(VALU_DEP_2) | instskip(SKIP_1) | instid1(VALU_DEP_1)
	v_bfe_u32 v5, v3, 23, 8
	s_wait_xcnt 0x0
	v_cmpx_ne_u32_e32 0xff, v5
	s_cbranch_execz .LBB316_2088
; %bb.2087:
	v_and_b32_e32 v1, 0x400000, v3
	v_and_or_b32 v5, 0x3fffff, v3, v5
	s_delay_alu instid0(VALU_DEP_2) | instskip(NEXT) | instid1(VALU_DEP_2)
	v_cmp_ne_u32_e32 vcc_lo, 0, v1
	v_cmp_ne_u32_e64 s0, 0, v5
	v_lshrrev_b32_e32 v1, 23, v3
	s_and_b32 s0, vcc_lo, s0
	s_delay_alu instid0(SALU_CYCLE_1) | instskip(NEXT) | instid1(VALU_DEP_1)
	v_cndmask_b32_e64 v3, 0, 1, s0
	v_add_nc_u32_e32 v1, v1, v3
.LBB316_2088:
	s_or_b32 exec_lo, exec_lo, s3
.LBB316_2089:
	s_cbranch_execnz .LBB316_2106
.LBB316_2090:
	s_cmp_lt_i32 s2, 6
	s_cbranch_scc1 .LBB316_2095
; %bb.2091:
	s_cmp_gt_i32 s2, 6
	s_cbranch_scc0 .LBB316_2096
; %bb.2092:
	global_load_b64 v[24:25], v[22:23], off
	s_wait_loadcnt 0x1
	v_mov_b32_e32 v1, 0xff
	s_mov_b32 s3, exec_lo
	s_wait_loadcnt 0x0
	v_cvt_f32_f64_e32 v3, v[24:25]
	s_delay_alu instid0(VALU_DEP_1) | instskip(SKIP_1) | instid1(VALU_DEP_1)
	v_bfe_u32 v5, v3, 23, 8
	s_wait_xcnt 0x0
	v_cmpx_ne_u32_e32 0xff, v5
	s_cbranch_execz .LBB316_2094
; %bb.2093:
	v_and_b32_e32 v1, 0x400000, v3
	v_and_or_b32 v5, 0x3fffff, v3, v5
	s_delay_alu instid0(VALU_DEP_2) | instskip(NEXT) | instid1(VALU_DEP_2)
	v_cmp_ne_u32_e32 vcc_lo, 0, v1
	v_cmp_ne_u32_e64 s0, 0, v5
	v_lshrrev_b32_e32 v1, 23, v3
	s_and_b32 s0, vcc_lo, s0
	s_delay_alu instid0(SALU_CYCLE_1) | instskip(NEXT) | instid1(VALU_DEP_1)
	v_cndmask_b32_e64 v3, 0, 1, s0
	v_add_nc_u32_e32 v1, v1, v3
.LBB316_2094:
	s_or_b32 exec_lo, exec_lo, s3
	s_mov_b32 s0, 0
	s_branch .LBB316_2097
.LBB316_2095:
	s_mov_b32 s0, -1
                                        ; implicit-def: $vgpr1
	s_branch .LBB316_2102
.LBB316_2096:
	s_mov_b32 s0, -1
                                        ; implicit-def: $vgpr1
.LBB316_2097:
	s_delay_alu instid0(SALU_CYCLE_1)
	s_and_not1_b32 vcc_lo, exec_lo, s0
	s_cbranch_vccnz .LBB316_2101
; %bb.2098:
	global_load_b32 v3, v[22:23], off
	s_wait_loadcnt 0x1
	v_mov_b32_e32 v1, 0xff
	s_mov_b32 s3, exec_lo
	s_wait_loadcnt 0x0
	v_bfe_u32 v5, v3, 23, 8
	s_wait_xcnt 0x0
	s_delay_alu instid0(VALU_DEP_1)
	v_cmpx_ne_u32_e32 0xff, v5
	s_cbranch_execz .LBB316_2100
; %bb.2099:
	v_and_b32_e32 v1, 0x400000, v3
	v_and_or_b32 v5, 0x3fffff, v3, v5
	s_delay_alu instid0(VALU_DEP_2) | instskip(NEXT) | instid1(VALU_DEP_2)
	v_cmp_ne_u32_e32 vcc_lo, 0, v1
	v_cmp_ne_u32_e64 s0, 0, v5
	v_lshrrev_b32_e32 v1, 23, v3
	s_and_b32 s0, vcc_lo, s0
	s_delay_alu instid0(SALU_CYCLE_1) | instskip(NEXT) | instid1(VALU_DEP_1)
	v_cndmask_b32_e64 v3, 0, 1, s0
	v_add_nc_u32_e32 v1, v1, v3
.LBB316_2100:
	s_or_b32 exec_lo, exec_lo, s3
.LBB316_2101:
	s_mov_b32 s0, 0
.LBB316_2102:
	s_delay_alu instid0(SALU_CYCLE_1)
	s_and_not1_b32 vcc_lo, exec_lo, s0
	s_cbranch_vccnz .LBB316_2106
; %bb.2103:
	s_wait_loadcnt 0x0
	global_load_u16 v1, v[22:23], off
	s_mov_b32 s3, exec_lo
	s_wait_loadcnt 0x0
	v_cvt_f32_f16_e32 v3, v1
	v_mov_b32_e32 v1, 0xff
	s_delay_alu instid0(VALU_DEP_2) | instskip(SKIP_1) | instid1(VALU_DEP_1)
	v_bfe_u32 v5, v3, 23, 8
	s_wait_xcnt 0x0
	v_cmpx_ne_u32_e32 0xff, v5
	s_cbranch_execz .LBB316_2105
; %bb.2104:
	v_and_b32_e32 v1, 0x400000, v3
	v_and_or_b32 v5, 0x3fffff, v3, v5
	s_delay_alu instid0(VALU_DEP_2) | instskip(NEXT) | instid1(VALU_DEP_2)
	v_cmp_ne_u32_e32 vcc_lo, 0, v1
	v_cmp_ne_u32_e64 s0, 0, v5
	v_lshrrev_b32_e32 v1, 23, v3
	s_and_b32 s0, vcc_lo, s0
	s_delay_alu instid0(SALU_CYCLE_1) | instskip(NEXT) | instid1(VALU_DEP_1)
	v_cndmask_b32_e64 v3, 0, 1, s0
	v_add_nc_u32_e32 v1, v1, v3
.LBB316_2105:
	s_or_b32 exec_lo, exec_lo, s3
.LBB316_2106:
	s_cbranch_execnz .LBB316_2135
.LBB316_2107:
	s_cmp_lt_i32 s2, 2
	s_cbranch_scc1 .LBB316_2113
; %bb.2108:
	s_cmp_lt_i32 s2, 3
	s_cbranch_scc1 .LBB316_2114
; %bb.2109:
	s_cmp_gt_i32 s2, 3
	s_cbranch_scc0 .LBB316_2115
; %bb.2110:
	global_load_b64 v[24:25], v[22:23], off
	s_mov_b32 s3, exec_lo
	s_wait_loadcnt 0x0
	v_xor_b32_e32 v1, v24, v25
	v_cls_i32_e32 v3, v25
	s_delay_alu instid0(VALU_DEP_2) | instskip(NEXT) | instid1(VALU_DEP_1)
	v_ashrrev_i32_e32 v1, 31, v1
	v_add_nc_u32_e32 v1, 32, v1
	s_delay_alu instid0(VALU_DEP_1) | instskip(NEXT) | instid1(VALU_DEP_1)
	v_add_min_u32_e64 v1, v3, -1, v1
	v_lshlrev_b64_e32 v[24:25], v1, v[24:25]
	v_sub_nc_u32_e32 v1, 32, v1
	s_delay_alu instid0(VALU_DEP_2) | instskip(NEXT) | instid1(VALU_DEP_1)
	v_min_u32_e32 v3, 1, v24
	v_or_b32_e32 v3, v25, v3
	s_delay_alu instid0(VALU_DEP_1) | instskip(NEXT) | instid1(VALU_DEP_1)
	v_cvt_f32_i32_e32 v3, v3
	v_ldexp_f32 v3, v3, v1
	v_mov_b32_e32 v1, 0xff
	s_delay_alu instid0(VALU_DEP_2) | instskip(SKIP_1) | instid1(VALU_DEP_1)
	v_bfe_u32 v5, v3, 23, 8
	s_wait_xcnt 0x0
	v_cmpx_ne_u32_e32 0xff, v5
	s_cbranch_execz .LBB316_2112
; %bb.2111:
	v_and_b32_e32 v1, 0x400000, v3
	v_and_or_b32 v5, 0x3fffff, v3, v5
	s_delay_alu instid0(VALU_DEP_2) | instskip(NEXT) | instid1(VALU_DEP_2)
	v_cmp_ne_u32_e32 vcc_lo, 0, v1
	v_cmp_ne_u32_e64 s0, 0, v5
	v_lshrrev_b32_e32 v1, 23, v3
	s_and_b32 s0, vcc_lo, s0
	s_delay_alu instid0(SALU_CYCLE_1) | instskip(NEXT) | instid1(VALU_DEP_1)
	v_cndmask_b32_e64 v3, 0, 1, s0
	v_add_nc_u32_e32 v1, v1, v3
.LBB316_2112:
	s_or_b32 exec_lo, exec_lo, s3
	s_mov_b32 s0, 0
	s_branch .LBB316_2116
.LBB316_2113:
                                        ; implicit-def: $vgpr1
	s_branch .LBB316_2126
.LBB316_2114:
	s_mov_b32 s0, -1
                                        ; implicit-def: $vgpr1
	s_branch .LBB316_2121
.LBB316_2115:
	s_mov_b32 s0, -1
                                        ; implicit-def: $vgpr1
.LBB316_2116:
	s_delay_alu instid0(SALU_CYCLE_1)
	s_and_not1_b32 vcc_lo, exec_lo, s0
	s_cbranch_vccnz .LBB316_2120
; %bb.2117:
	s_wait_loadcnt 0x0
	global_load_b32 v1, v[22:23], off
	s_mov_b32 s3, exec_lo
	s_wait_loadcnt 0x0
	v_cvt_f32_i32_e32 v3, v1
	v_mov_b32_e32 v1, 0xff
	s_delay_alu instid0(VALU_DEP_2) | instskip(SKIP_1) | instid1(VALU_DEP_1)
	v_bfe_u32 v5, v3, 23, 8
	s_wait_xcnt 0x0
	v_cmpx_ne_u32_e32 0xff, v5
	s_cbranch_execz .LBB316_2119
; %bb.2118:
	v_and_b32_e32 v1, 0x400000, v3
	v_and_or_b32 v5, 0x3fffff, v3, v5
	s_delay_alu instid0(VALU_DEP_2) | instskip(NEXT) | instid1(VALU_DEP_2)
	v_cmp_ne_u32_e32 vcc_lo, 0, v1
	v_cmp_ne_u32_e64 s0, 0, v5
	v_lshrrev_b32_e32 v1, 23, v3
	s_and_b32 s0, vcc_lo, s0
	s_delay_alu instid0(SALU_CYCLE_1) | instskip(NEXT) | instid1(VALU_DEP_1)
	v_cndmask_b32_e64 v3, 0, 1, s0
	v_add_nc_u32_e32 v1, v1, v3
.LBB316_2119:
	s_or_b32 exec_lo, exec_lo, s3
.LBB316_2120:
	s_mov_b32 s0, 0
.LBB316_2121:
	s_delay_alu instid0(SALU_CYCLE_1)
	s_and_not1_b32 vcc_lo, exec_lo, s0
	s_cbranch_vccnz .LBB316_2125
; %bb.2122:
	s_wait_loadcnt 0x0
	global_load_i16 v1, v[22:23], off
	s_mov_b32 s3, exec_lo
	s_wait_loadcnt 0x0
	v_cvt_f32_i32_e32 v3, v1
	v_mov_b32_e32 v1, 0xff
	s_delay_alu instid0(VALU_DEP_2) | instskip(SKIP_1) | instid1(VALU_DEP_1)
	v_bfe_u32 v5, v3, 23, 8
	s_wait_xcnt 0x0
	v_cmpx_ne_u32_e32 0xff, v5
	s_cbranch_execz .LBB316_2124
; %bb.2123:
	v_and_b32_e32 v1, 0x400000, v3
	v_and_or_b32 v5, 0x3fffff, v3, v5
	s_delay_alu instid0(VALU_DEP_2) | instskip(NEXT) | instid1(VALU_DEP_2)
	v_cmp_ne_u32_e32 vcc_lo, 0, v1
	v_cmp_ne_u32_e64 s0, 0, v5
	v_lshrrev_b32_e32 v1, 23, v3
	s_and_b32 s0, vcc_lo, s0
	s_delay_alu instid0(SALU_CYCLE_1) | instskip(NEXT) | instid1(VALU_DEP_1)
	v_cndmask_b32_e64 v3, 0, 1, s0
	v_add_nc_u32_e32 v1, v1, v3
.LBB316_2124:
	s_or_b32 exec_lo, exec_lo, s3
.LBB316_2125:
	s_cbranch_execnz .LBB316_2135
.LBB316_2126:
	s_cmp_gt_i32 s2, 0
	s_cbranch_scc0 .LBB316_2130
; %bb.2127:
	s_wait_loadcnt 0x0
	global_load_i8 v1, v[22:23], off
	s_mov_b32 s2, exec_lo
	s_wait_loadcnt 0x0
	v_cvt_f32_i32_e32 v3, v1
	v_mov_b32_e32 v1, 0xff
	s_delay_alu instid0(VALU_DEP_2) | instskip(SKIP_1) | instid1(VALU_DEP_1)
	v_bfe_u32 v5, v3, 23, 8
	s_wait_xcnt 0x0
	v_cmpx_ne_u32_e32 0xff, v5
	s_cbranch_execz .LBB316_2129
; %bb.2128:
	v_and_b32_e32 v1, 0x400000, v3
	v_and_or_b32 v5, 0x3fffff, v3, v5
	s_delay_alu instid0(VALU_DEP_2) | instskip(NEXT) | instid1(VALU_DEP_2)
	v_cmp_ne_u32_e32 vcc_lo, 0, v1
	v_cmp_ne_u32_e64 s0, 0, v5
	v_lshrrev_b32_e32 v1, 23, v3
	s_and_b32 s0, vcc_lo, s0
	s_delay_alu instid0(SALU_CYCLE_1) | instskip(NEXT) | instid1(VALU_DEP_1)
	v_cndmask_b32_e64 v3, 0, 1, s0
	v_add_nc_u32_e32 v1, v1, v3
.LBB316_2129:
	s_or_b32 exec_lo, exec_lo, s2
	s_mov_b32 s0, 0
	s_branch .LBB316_2131
.LBB316_2130:
	s_mov_b32 s0, -1
                                        ; implicit-def: $vgpr1
.LBB316_2131:
	s_delay_alu instid0(SALU_CYCLE_1)
	s_and_not1_b32 vcc_lo, exec_lo, s0
	s_cbranch_vccnz .LBB316_2135
; %bb.2132:
	s_wait_loadcnt 0x0
	global_load_u8 v1, v[22:23], off
	s_mov_b32 s2, exec_lo
	s_wait_loadcnt 0x0
	v_cvt_f32_ubyte0_e32 v5, v1
	v_mov_b32_e32 v1, 0xff
	s_delay_alu instid0(VALU_DEP_2) | instskip(SKIP_1) | instid1(VALU_DEP_1)
	v_lshrrev_b32_e32 v3, 23, v5
	s_wait_xcnt 0x0
	v_cmpx_ne_u32_e32 0xff, v3
; %bb.2133:
	v_and_b32_e32 v1, 0x400000, v5
	v_and_or_b32 v5, 0x3fffff, v5, v3
	s_delay_alu instid0(VALU_DEP_2) | instskip(NEXT) | instid1(VALU_DEP_2)
	v_cmp_ne_u32_e32 vcc_lo, 0, v1
	v_cmp_ne_u32_e64 s0, 0, v5
	s_and_b32 s0, vcc_lo, s0
	s_delay_alu instid0(SALU_CYCLE_1) | instskip(NEXT) | instid1(VALU_DEP_1)
	v_cndmask_b32_e64 v1, 0, 1, s0
	v_add_nc_u32_e32 v1, v3, v1
; %bb.2134:
	s_or_b32 exec_lo, exec_lo, s2
.LBB316_2135:
.LBB316_2136:
	v_mov_b32_e32 v21, 0
	s_load_b64 s[2:3], s[20:21], 0x198
	global_load_u8 v3, v21, s[20:21] offset:422
	s_wait_kmcnt 0x0
	v_add_nc_u64_e32 v[20:21], s[2:3], v[20:21]
	s_wait_loadcnt 0x0
	v_and_b32_e32 v5, 0xffff, v3
	v_readfirstlane_b32 s11, v3
	s_delay_alu instid0(VALU_DEP_2)
	v_cmp_gt_i32_e32 vcc_lo, 11, v5
	s_cbranch_vccnz .LBB316_2145
; %bb.2137:
	s_and_b32 s12, 0xffff, s11
	s_mov_b32 s14, 0
	s_cmp_gt_i32 s12, 25
	s_cbranch_scc0 .LBB316_2147
; %bb.2138:
	s_cmp_gt_i32 s12, 28
	s_cbranch_scc0 .LBB316_2148
; %bb.2139:
	;; [unrolled: 3-line block ×4, first 2 shown]
	s_cmp_eq_u32 s12, 46
	s_mov_b32 s15, 0
	s_cbranch_scc0 .LBB316_2154
; %bb.2142:
	global_load_b32 v5, v[20:21], off
	v_mov_b32_e32 v3, 0xff
	s_mov_b32 s13, exec_lo
	s_wait_loadcnt 0x0
	v_lshlrev_b32_e32 v7, 16, v5
	s_delay_alu instid0(VALU_DEP_1) | instskip(SKIP_1) | instid1(VALU_DEP_1)
	v_bfe_u32 v9, v7, 23, 8
	s_wait_xcnt 0x0
	v_cmpx_ne_u32_e32 0xff, v9
	s_cbranch_execz .LBB316_2144
; %bb.2143:
	v_and_b32_e32 v3, 64, v5
	v_and_or_b32 v7, 0x3f0000, v7, v9
	s_delay_alu instid0(VALU_DEP_2) | instskip(NEXT) | instid1(VALU_DEP_2)
	v_cmp_ne_u32_e32 vcc_lo, 0, v3
	v_cmp_ne_u32_e64 s0, 0, v7
	v_bfe_u32 v3, v5, 7, 9
	s_and_b32 s0, vcc_lo, s0
	s_delay_alu instid0(SALU_CYCLE_1) | instskip(NEXT) | instid1(VALU_DEP_1)
	v_cndmask_b32_e64 v5, 0, 1, s0
	v_add_nc_u32_e32 v3, v3, v5
.LBB316_2144:
	s_or_b32 exec_lo, exec_lo, s13
	s_mov_b32 s13, 0
	s_mov_b32 s0, -1
	s_branch .LBB316_2156
.LBB316_2145:
	s_mov_b32 s0, 0
                                        ; implicit-def: $vgpr3
	s_cbranch_execnz .LBB316_2239
.LBB316_2146:
	s_and_not1_b32 vcc_lo, exec_lo, s0
	s_cbranch_vccz .LBB316_2308
	s_branch .LBB316_3777
.LBB316_2147:
	s_mov_b32 s0, 0
	s_mov_b32 s13, 0
                                        ; implicit-def: $vgpr3
	s_cbranch_execnz .LBB316_2193
	s_branch .LBB316_2233
.LBB316_2148:
	s_mov_b32 s15, -1
	s_mov_b32 s0, 0
	s_mov_b32 s13, 0
                                        ; implicit-def: $vgpr3
	s_branch .LBB316_2168
.LBB316_2149:
	s_mov_b32 s15, -1
	s_mov_b32 s0, 0
	s_mov_b32 s13, 0
                                        ; implicit-def: $vgpr3
	s_branch .LBB316_2161
.LBB316_2150:
	s_or_b32 s10, s8, exec_lo
	s_trap 2
	s_cbranch_execz .LBB316_2065
	s_branch .LBB316_2068
.LBB316_2151:
	s_mov_b32 s15, -1
	s_mov_b32 s0, 0
	s_mov_b32 s13, 0
	s_branch .LBB316_2155
.LBB316_2152:
	s_and_not1_saveexec_b32 s9, s9
	s_cbranch_execz .LBB316_1847
.LBB316_2153:
	v_add_f32_e32 v2, 0x42800000, v3
	s_and_not1_b32 s8, s8, exec_lo
	s_delay_alu instid0(VALU_DEP_1) | instskip(NEXT) | instid1(VALU_DEP_1)
	v_and_b32_e32 v2, 0xff, v2
	v_cmp_ne_u32_e32 vcc_lo, 0, v2
	s_and_b32 s11, vcc_lo, exec_lo
	s_delay_alu instid0(SALU_CYCLE_1)
	s_or_b32 s8, s8, s11
	s_or_b32 exec_lo, exec_lo, s9
	v_mov_b32_e32 v4, 0
	s_and_saveexec_b32 s9, s8
	s_cbranch_execnz .LBB316_1848
	s_branch .LBB316_1849
.LBB316_2154:
	s_mov_b32 s13, -1
	s_mov_b32 s0, 0
.LBB316_2155:
                                        ; implicit-def: $vgpr3
.LBB316_2156:
	s_and_b32 vcc_lo, exec_lo, s15
	s_cbranch_vccz .LBB316_2160
; %bb.2157:
	s_cmp_eq_u32 s12, 44
	s_cbranch_scc0 .LBB316_2159
; %bb.2158:
	global_load_u8 v3, v[20:21], off
	s_mov_b32 s13, 0
	s_mov_b32 s0, -1
	s_branch .LBB316_2160
.LBB316_2159:
	s_mov_b32 s13, -1
                                        ; implicit-def: $vgpr3
.LBB316_2160:
	s_mov_b32 s15, 0
.LBB316_2161:
	s_delay_alu instid0(SALU_CYCLE_1)
	s_and_b32 vcc_lo, exec_lo, s15
	s_cbranch_vccz .LBB316_2167
; %bb.2162:
	s_cmp_eq_u32 s12, 29
	s_cbranch_scc0 .LBB316_2166
; %bb.2163:
	global_load_b64 v[22:23], v[20:21], off
	s_mov_b32 s13, exec_lo
	s_wait_loadcnt 0x0
	v_clz_i32_u32_e32 v3, v23
	s_delay_alu instid0(VALU_DEP_1) | instskip(NEXT) | instid1(VALU_DEP_1)
	v_min_u32_e32 v3, 32, v3
	v_lshlrev_b64_e32 v[22:23], v3, v[22:23]
	v_sub_nc_u32_e32 v3, 32, v3
	s_delay_alu instid0(VALU_DEP_2) | instskip(NEXT) | instid1(VALU_DEP_1)
	v_min_u32_e32 v5, 1, v22
	v_or_b32_e32 v5, v23, v5
	s_delay_alu instid0(VALU_DEP_1) | instskip(NEXT) | instid1(VALU_DEP_1)
	v_cvt_f32_u32_e32 v5, v5
	v_ldexp_f32 v7, v5, v3
	v_mov_b32_e32 v3, 0xff
	s_delay_alu instid0(VALU_DEP_2) | instskip(SKIP_1) | instid1(VALU_DEP_1)
	v_lshrrev_b32_e32 v5, 23, v7
	s_wait_xcnt 0x0
	v_cmpx_ne_u32_e32 0xff, v5
; %bb.2164:
	v_and_b32_e32 v3, 0x400000, v7
	v_and_or_b32 v7, 0x3fffff, v7, v5
	s_delay_alu instid0(VALU_DEP_2) | instskip(NEXT) | instid1(VALU_DEP_2)
	v_cmp_ne_u32_e32 vcc_lo, 0, v3
	v_cmp_ne_u32_e64 s0, 0, v7
	s_and_b32 s0, vcc_lo, s0
	s_delay_alu instid0(SALU_CYCLE_1) | instskip(NEXT) | instid1(VALU_DEP_1)
	v_cndmask_b32_e64 v3, 0, 1, s0
	v_add_nc_u32_e32 v3, v5, v3
; %bb.2165:
	s_or_b32 exec_lo, exec_lo, s13
	s_mov_b32 s13, 0
	s_mov_b32 s0, -1
	s_branch .LBB316_2167
.LBB316_2166:
	s_mov_b32 s13, -1
                                        ; implicit-def: $vgpr3
.LBB316_2167:
	s_mov_b32 s15, 0
.LBB316_2168:
	s_delay_alu instid0(SALU_CYCLE_1)
	s_and_b32 vcc_lo, exec_lo, s15
	s_cbranch_vccz .LBB316_2192
; %bb.2169:
	s_cmp_lt_i32 s12, 27
	s_cbranch_scc1 .LBB316_2174
; %bb.2170:
	s_cmp_gt_i32 s12, 27
	s_cbranch_scc0 .LBB316_2175
; %bb.2171:
	s_wait_loadcnt 0x0
	global_load_b32 v3, v[20:21], off
	s_mov_b32 s15, exec_lo
	s_wait_loadcnt 0x0
	v_cvt_f32_u32_e32 v7, v3
	v_mov_b32_e32 v3, 0xff
	s_delay_alu instid0(VALU_DEP_2) | instskip(SKIP_1) | instid1(VALU_DEP_1)
	v_lshrrev_b32_e32 v5, 23, v7
	s_wait_xcnt 0x0
	v_cmpx_ne_u32_e32 0xff, v5
; %bb.2172:
	v_and_b32_e32 v3, 0x400000, v7
	v_and_or_b32 v7, 0x3fffff, v7, v5
	s_delay_alu instid0(VALU_DEP_2) | instskip(NEXT) | instid1(VALU_DEP_2)
	v_cmp_ne_u32_e32 vcc_lo, 0, v3
	v_cmp_ne_u32_e64 s0, 0, v7
	s_and_b32 s0, vcc_lo, s0
	s_delay_alu instid0(SALU_CYCLE_1) | instskip(NEXT) | instid1(VALU_DEP_1)
	v_cndmask_b32_e64 v3, 0, 1, s0
	v_add_nc_u32_e32 v3, v5, v3
; %bb.2173:
	s_or_b32 exec_lo, exec_lo, s15
	s_mov_b32 s0, 0
	s_branch .LBB316_2176
.LBB316_2174:
	s_mov_b32 s0, -1
                                        ; implicit-def: $vgpr3
	s_branch .LBB316_2181
.LBB316_2175:
	s_mov_b32 s0, -1
                                        ; implicit-def: $vgpr3
.LBB316_2176:
	s_delay_alu instid0(SALU_CYCLE_1)
	s_and_not1_b32 vcc_lo, exec_lo, s0
	s_cbranch_vccnz .LBB316_2180
; %bb.2177:
	s_wait_loadcnt 0x0
	global_load_u16 v3, v[20:21], off
	s_mov_b32 s15, exec_lo
	s_wait_loadcnt 0x0
	v_cvt_f32_u32_e32 v7, v3
	v_mov_b32_e32 v3, 0xff
	s_delay_alu instid0(VALU_DEP_2) | instskip(SKIP_1) | instid1(VALU_DEP_1)
	v_lshrrev_b32_e32 v5, 23, v7
	s_wait_xcnt 0x0
	v_cmpx_ne_u32_e32 0xff, v5
; %bb.2178:
	v_and_b32_e32 v3, 0x400000, v7
	v_and_or_b32 v7, 0x3fffff, v7, v5
	s_delay_alu instid0(VALU_DEP_2) | instskip(NEXT) | instid1(VALU_DEP_2)
	v_cmp_ne_u32_e32 vcc_lo, 0, v3
	v_cmp_ne_u32_e64 s0, 0, v7
	s_and_b32 s0, vcc_lo, s0
	s_delay_alu instid0(SALU_CYCLE_1) | instskip(NEXT) | instid1(VALU_DEP_1)
	v_cndmask_b32_e64 v3, 0, 1, s0
	v_add_nc_u32_e32 v3, v5, v3
; %bb.2179:
	s_or_b32 exec_lo, exec_lo, s15
.LBB316_2180:
	s_mov_b32 s0, 0
.LBB316_2181:
	s_delay_alu instid0(SALU_CYCLE_1)
	s_and_not1_b32 vcc_lo, exec_lo, s0
	s_cbranch_vccnz .LBB316_2191
; %bb.2182:
	s_wait_loadcnt 0x0
	global_load_u8 v3, v[20:21], off
	s_mov_b32 s0, 0
	s_mov_b32 s15, exec_lo
	s_wait_loadcnt 0x0
	v_cmpx_lt_i16_e32 0x7f, v3
	s_xor_b32 s15, exec_lo, s15
	s_cbranch_execz .LBB316_2206
; %bb.2183:
	s_mov_b32 s0, -1
	s_mov_b32 s16, exec_lo
	v_cmpx_eq_u16_e32 0x80, v3
; %bb.2184:
	s_xor_b32 s0, exec_lo, -1
; %bb.2185:
	s_or_b32 exec_lo, exec_lo, s16
	s_delay_alu instid0(SALU_CYCLE_1)
	s_and_b32 s0, s0, exec_lo
	s_or_saveexec_b32 s15, s15
	v_mov_b32_e32 v5, 0x7f800001
	s_xor_b32 exec_lo, exec_lo, s15
	s_cbranch_execnz .LBB316_2207
.LBB316_2186:
	s_or_b32 exec_lo, exec_lo, s15
	s_and_saveexec_b32 s15, s0
	s_cbranch_execz .LBB316_2188
.LBB316_2187:
	v_and_b32_e32 v3, 0xffff, v3
	s_delay_alu instid0(VALU_DEP_1) | instskip(NEXT) | instid1(VALU_DEP_1)
	v_and_b32_e32 v5, 7, v3
	v_clz_i32_u32_e32 v7, v5
	s_delay_alu instid0(VALU_DEP_1) | instskip(NEXT) | instid1(VALU_DEP_1)
	v_min_u32_e32 v7, 32, v7
	v_subrev_nc_u32_e32 v9, 28, v7
	s_delay_alu instid0(VALU_DEP_1) | instskip(SKIP_1) | instid1(VALU_DEP_2)
	v_lshlrev_b32_e32 v9, v9, v3
	v_bfe_u32 v3, v3, 3, 4
	v_dual_sub_nc_u32 v7, 29, v7 :: v_dual_bitop2_b32 v9, 7, v9 bitop3:0x40
	s_delay_alu instid0(VALU_DEP_2) | instskip(NEXT) | instid1(VALU_DEP_2)
	v_cmp_eq_u32_e32 vcc_lo, 0, v3
	v_dual_cndmask_b32 v3, v3, v7, vcc_lo :: v_dual_cndmask_b32 v5, v5, v9, vcc_lo
	s_delay_alu instid0(VALU_DEP_1) | instskip(NEXT) | instid1(VALU_DEP_1)
	v_lshlrev_b32_e32 v5, 20, v5
	v_lshl_or_b32 v3, v3, 23, v5
	s_delay_alu instid0(VALU_DEP_1)
	v_add_nc_u32_e32 v5, 0x3b800000, v3
.LBB316_2188:
	s_or_b32 exec_lo, exec_lo, s15
	s_delay_alu instid0(VALU_DEP_1) | instskip(SKIP_2) | instid1(VALU_DEP_2)
	v_lshrrev_b32_e32 v7, 23, v5
	v_mov_b32_e32 v3, 0xff
	s_mov_b32 s15, exec_lo
	v_cmpx_ne_u32_e32 0xff, v7
; %bb.2189:
	v_and_b32_e32 v3, 0x400000, v5
	v_and_or_b32 v5, 0x3fffff, v5, v7
	s_delay_alu instid0(VALU_DEP_2) | instskip(NEXT) | instid1(VALU_DEP_2)
	v_cmp_ne_u32_e32 vcc_lo, 0, v3
	v_cmp_ne_u32_e64 s0, 0, v5
	s_and_b32 s0, vcc_lo, s0
	s_delay_alu instid0(SALU_CYCLE_1) | instskip(NEXT) | instid1(VALU_DEP_1)
	v_cndmask_b32_e64 v3, 0, 1, s0
	v_add_nc_u32_e32 v3, v7, v3
; %bb.2190:
	s_or_b32 exec_lo, exec_lo, s15
.LBB316_2191:
	s_mov_b32 s0, -1
.LBB316_2192:
	s_branch .LBB316_2233
.LBB316_2193:
	s_cmp_gt_i32 s12, 22
	s_cbranch_scc0 .LBB316_2205
; %bb.2194:
	s_cmp_lt_i32 s12, 24
	s_cbranch_scc1 .LBB316_2208
; %bb.2195:
	s_cmp_gt_i32 s12, 24
	s_cbranch_scc0 .LBB316_2209
; %bb.2196:
	s_wait_loadcnt 0x0
	global_load_u8 v3, v[20:21], off
	s_mov_b32 s0, 0
	s_mov_b32 s14, exec_lo
	s_wait_loadcnt 0x0
	v_cmpx_lt_i16_e32 0x7f, v3
	s_xor_b32 s14, exec_lo, s14
	s_cbranch_execz .LBB316_2227
; %bb.2197:
	s_mov_b32 s0, -1
	s_mov_b32 s15, exec_lo
	v_cmpx_eq_u16_e32 0x80, v3
; %bb.2198:
	s_xor_b32 s0, exec_lo, -1
; %bb.2199:
	s_or_b32 exec_lo, exec_lo, s15
	s_delay_alu instid0(SALU_CYCLE_1)
	s_and_b32 s0, s0, exec_lo
	s_or_saveexec_b32 s14, s14
	v_mov_b32_e32 v5, 0x7f800001
	s_xor_b32 exec_lo, exec_lo, s14
	s_cbranch_execnz .LBB316_2228
.LBB316_2200:
	s_or_b32 exec_lo, exec_lo, s14
	s_and_saveexec_b32 s14, s0
	s_cbranch_execz .LBB316_2202
.LBB316_2201:
	v_and_b32_e32 v3, 0xffff, v3
	s_delay_alu instid0(VALU_DEP_1) | instskip(NEXT) | instid1(VALU_DEP_1)
	v_and_b32_e32 v5, 3, v3
	v_clz_i32_u32_e32 v7, v5
	s_delay_alu instid0(VALU_DEP_1) | instskip(NEXT) | instid1(VALU_DEP_1)
	v_min_u32_e32 v7, 32, v7
	v_subrev_nc_u32_e32 v9, 29, v7
	s_delay_alu instid0(VALU_DEP_1) | instskip(SKIP_1) | instid1(VALU_DEP_2)
	v_lshlrev_b32_e32 v9, v9, v3
	v_bfe_u32 v3, v3, 2, 5
	v_dual_sub_nc_u32 v7, 30, v7 :: v_dual_bitop2_b32 v9, 3, v9 bitop3:0x40
	s_delay_alu instid0(VALU_DEP_2) | instskip(NEXT) | instid1(VALU_DEP_2)
	v_cmp_eq_u32_e32 vcc_lo, 0, v3
	v_dual_cndmask_b32 v3, v3, v7, vcc_lo :: v_dual_cndmask_b32 v5, v5, v9, vcc_lo
	s_delay_alu instid0(VALU_DEP_1) | instskip(NEXT) | instid1(VALU_DEP_1)
	v_lshlrev_b32_e32 v5, 21, v5
	v_lshl_or_b32 v3, v3, 23, v5
	s_delay_alu instid0(VALU_DEP_1)
	v_add_nc_u32_e32 v5, 0x37800000, v3
.LBB316_2202:
	s_or_b32 exec_lo, exec_lo, s14
	s_delay_alu instid0(VALU_DEP_1) | instskip(SKIP_2) | instid1(VALU_DEP_2)
	v_lshrrev_b32_e32 v7, 23, v5
	v_mov_b32_e32 v3, 0xff
	s_mov_b32 s14, exec_lo
	v_cmpx_ne_u32_e32 0xff, v7
; %bb.2203:
	v_and_b32_e32 v3, 0x400000, v5
	v_and_or_b32 v5, 0x3fffff, v5, v7
	s_delay_alu instid0(VALU_DEP_2) | instskip(NEXT) | instid1(VALU_DEP_2)
	v_cmp_ne_u32_e32 vcc_lo, 0, v3
	v_cmp_ne_u32_e64 s0, 0, v5
	s_and_b32 s0, vcc_lo, s0
	s_delay_alu instid0(SALU_CYCLE_1) | instskip(NEXT) | instid1(VALU_DEP_1)
	v_cndmask_b32_e64 v3, 0, 1, s0
	v_add_nc_u32_e32 v3, v7, v3
; %bb.2204:
	s_or_b32 exec_lo, exec_lo, s14
	s_mov_b32 s0, 0
	s_branch .LBB316_2210
.LBB316_2205:
	s_mov_b32 s14, -1
                                        ; implicit-def: $vgpr3
	s_branch .LBB316_2220
.LBB316_2206:
	s_or_saveexec_b32 s15, s15
	v_mov_b32_e32 v5, 0x7f800001
	s_xor_b32 exec_lo, exec_lo, s15
	s_cbranch_execz .LBB316_2186
.LBB316_2207:
	v_cmp_ne_u16_e32 vcc_lo, 0, v3
	v_and_b32_e32 v5, 0xffff, v3
	s_and_not1_b32 s0, s0, exec_lo
	s_and_b32 s16, vcc_lo, exec_lo
	s_delay_alu instid0(SALU_CYCLE_1)
	s_or_b32 s0, s0, s16
	s_or_b32 exec_lo, exec_lo, s15
	s_and_saveexec_b32 s15, s0
	s_cbranch_execnz .LBB316_2187
	s_branch .LBB316_2188
.LBB316_2208:
	s_mov_b32 s0, -1
                                        ; implicit-def: $vgpr3
	s_branch .LBB316_2215
.LBB316_2209:
	s_mov_b32 s0, -1
                                        ; implicit-def: $vgpr3
.LBB316_2210:
	s_delay_alu instid0(SALU_CYCLE_1)
	s_and_b32 vcc_lo, exec_lo, s0
	s_cbranch_vccz .LBB316_2214
; %bb.2211:
	s_wait_loadcnt 0x0
	global_load_u8 v3, v[20:21], off
	s_mov_b32 s14, exec_lo
	s_wait_loadcnt 0x0
	v_lshlrev_b32_e32 v3, 24, v3
	s_delay_alu instid0(VALU_DEP_1) | instskip(NEXT) | instid1(VALU_DEP_1)
	v_and_b32_e32 v3, 0x7f000000, v3
	v_clz_i32_u32_e32 v5, v3
	v_add_nc_u32_e32 v9, 0x1000000, v3
	v_cmp_ne_u32_e32 vcc_lo, 0, v3
	s_delay_alu instid0(VALU_DEP_3) | instskip(NEXT) | instid1(VALU_DEP_1)
	v_min_u32_e32 v5, 32, v5
	v_sub_nc_u32_e64 v5, v5, 4 clamp
	s_delay_alu instid0(VALU_DEP_1) | instskip(SKIP_1) | instid1(VALU_DEP_2)
	v_dual_lshlrev_b32 v7, v5, v3 :: v_dual_lshlrev_b32 v5, 23, v5
	v_mov_b32_e32 v3, 0xff
	v_lshrrev_b32_e32 v7, 4, v7
	s_delay_alu instid0(VALU_DEP_1) | instskip(SKIP_1) | instid1(VALU_DEP_2)
	v_sub_nc_u32_e32 v5, v7, v5
	v_ashrrev_i32_e32 v7, 8, v9
	v_add_nc_u32_e32 v5, 0x3c000000, v5
	s_delay_alu instid0(VALU_DEP_1) | instskip(NEXT) | instid1(VALU_DEP_1)
	v_and_or_b32 v5, 0x7f800000, v7, v5
	v_cndmask_b32_e32 v7, 0, v5, vcc_lo
	s_delay_alu instid0(VALU_DEP_1) | instskip(SKIP_1) | instid1(VALU_DEP_1)
	v_lshrrev_b32_e32 v5, 23, v7
	s_wait_xcnt 0x0
	v_cmpx_ne_u32_e32 0xff, v5
; %bb.2212:
	v_and_b32_e32 v3, 0x400000, v7
	v_and_or_b32 v7, 0x3fffff, v7, v5
	s_delay_alu instid0(VALU_DEP_2) | instskip(NEXT) | instid1(VALU_DEP_2)
	v_cmp_ne_u32_e32 vcc_lo, 0, v3
	v_cmp_ne_u32_e64 s0, 0, v7
	s_and_b32 s0, vcc_lo, s0
	s_delay_alu instid0(SALU_CYCLE_1) | instskip(NEXT) | instid1(VALU_DEP_1)
	v_cndmask_b32_e64 v3, 0, 1, s0
	v_add_nc_u32_e32 v3, v5, v3
; %bb.2213:
	s_or_b32 exec_lo, exec_lo, s14
.LBB316_2214:
	s_mov_b32 s0, 0
.LBB316_2215:
	s_delay_alu instid0(SALU_CYCLE_1)
	s_and_not1_b32 vcc_lo, exec_lo, s0
	s_cbranch_vccnz .LBB316_2219
; %bb.2216:
	s_wait_loadcnt 0x0
	global_load_u8 v3, v[20:21], off
	s_mov_b32 s14, exec_lo
	s_wait_loadcnt 0x0
	v_dual_lshlrev_b32 v5, 25, v3 :: v_dual_lshlrev_b32 v3, 8, v3
	s_delay_alu instid0(VALU_DEP_1) | instskip(NEXT) | instid1(VALU_DEP_2)
	v_cmp_gt_u32_e32 vcc_lo, 0x8000000, v5
	v_and_or_b32 v3, 0x7f00, v3, 0.5
	s_delay_alu instid0(VALU_DEP_1) | instskip(NEXT) | instid1(VALU_DEP_1)
	v_dual_lshrrev_b32 v7, 4, v5 :: v_dual_add_f32 v3, -0.5, v3
	v_or_b32_e32 v7, 0x70000000, v7
	s_delay_alu instid0(VALU_DEP_1) | instskip(NEXT) | instid1(VALU_DEP_1)
	v_mul_f32_e32 v7, 0x7800000, v7
	v_cndmask_b32_e32 v5, v7, v3, vcc_lo
	v_mov_b32_e32 v3, 0xff
	s_delay_alu instid0(VALU_DEP_2) | instskip(SKIP_1) | instid1(VALU_DEP_1)
	v_bfe_u32 v7, v5, 23, 8
	s_wait_xcnt 0x0
	v_cmpx_ne_u32_e32 0xff, v7
	s_cbranch_execz .LBB316_2218
; %bb.2217:
	v_and_b32_e32 v3, 0x400000, v5
	v_and_or_b32 v7, 0x3fffff, v5, v7
	s_delay_alu instid0(VALU_DEP_2) | instskip(NEXT) | instid1(VALU_DEP_2)
	v_cmp_ne_u32_e32 vcc_lo, 0, v3
	v_cmp_ne_u32_e64 s0, 0, v7
	v_lshrrev_b32_e32 v3, 23, v5
	s_and_b32 s0, vcc_lo, s0
	s_delay_alu instid0(SALU_CYCLE_1) | instskip(NEXT) | instid1(VALU_DEP_1)
	v_cndmask_b32_e64 v5, 0, 1, s0
	v_add_nc_u32_e32 v3, v3, v5
.LBB316_2218:
	s_or_b32 exec_lo, exec_lo, s14
.LBB316_2219:
	s_mov_b32 s14, 0
	s_mov_b32 s0, -1
.LBB316_2220:
	s_and_not1_b32 vcc_lo, exec_lo, s14
	s_mov_b32 s14, 0
	s_cbranch_vccnz .LBB316_2233
; %bb.2221:
	s_cmp_gt_i32 s12, 14
	s_cbranch_scc0 .LBB316_2226
; %bb.2222:
	s_cmp_eq_u32 s12, 15
	s_cbranch_scc0 .LBB316_2229
; %bb.2223:
	global_load_u16 v5, v[20:21], off
	s_wait_loadcnt 0x1
	v_mov_b32_e32 v3, 0xff
	s_mov_b32 s13, exec_lo
	s_wait_loadcnt 0x0
	v_bfe_u32 v7, v5, 7, 8
	s_wait_xcnt 0x0
	s_delay_alu instid0(VALU_DEP_1)
	v_cmpx_ne_u32_e32 0xff, v7
	s_cbranch_execz .LBB316_2225
; %bb.2224:
	v_dual_lshlrev_b32 v3, 16, v5 :: v_dual_bitop2_b32 v9, 64, v5 bitop3:0x40
	s_delay_alu instid0(VALU_DEP_1) | instskip(NEXT) | instid1(VALU_DEP_2)
	v_and_or_b32 v3, 0x3f0000, v3, v7
	v_cmp_ne_u32_e32 vcc_lo, 0, v9
	s_delay_alu instid0(VALU_DEP_2) | instskip(SKIP_2) | instid1(SALU_CYCLE_1)
	v_cmp_ne_u32_e64 s0, 0, v3
	v_lshrrev_b32_e32 v3, 7, v5
	s_and_b32 s0, vcc_lo, s0
	v_cndmask_b32_e64 v5, 0, 1, s0
	s_delay_alu instid0(VALU_DEP_1)
	v_add_nc_u32_e32 v3, v3, v5
.LBB316_2225:
	s_or_b32 exec_lo, exec_lo, s13
	s_mov_b32 s13, 0
	s_mov_b32 s0, -1
	s_branch .LBB316_2231
.LBB316_2226:
	s_mov_b32 s14, -1
	s_branch .LBB316_2230
.LBB316_2227:
	s_or_saveexec_b32 s14, s14
	v_mov_b32_e32 v5, 0x7f800001
	s_xor_b32 exec_lo, exec_lo, s14
	s_cbranch_execz .LBB316_2200
.LBB316_2228:
	v_cmp_ne_u16_e32 vcc_lo, 0, v3
	v_and_b32_e32 v5, 0xffff, v3
	s_and_not1_b32 s0, s0, exec_lo
	s_and_b32 s15, vcc_lo, exec_lo
	s_delay_alu instid0(SALU_CYCLE_1)
	s_or_b32 s0, s0, s15
	s_or_b32 exec_lo, exec_lo, s14
	s_and_saveexec_b32 s14, s0
	s_cbranch_execnz .LBB316_2201
	s_branch .LBB316_2202
.LBB316_2229:
	s_mov_b32 s13, -1
.LBB316_2230:
                                        ; implicit-def: $vgpr3
.LBB316_2231:
	s_and_b32 vcc_lo, exec_lo, s14
	s_mov_b32 s14, 0
	s_cbranch_vccz .LBB316_2233
; %bb.2232:
	s_cmp_lg_u32 s12, 11
	s_mov_b32 s14, -1
	s_cselect_b32 s13, -1, 0
.LBB316_2233:
	s_delay_alu instid0(SALU_CYCLE_1)
	s_and_b32 vcc_lo, exec_lo, s13
	s_cbranch_vccnz .LBB316_2322
; %bb.2234:
	s_and_not1_b32 vcc_lo, exec_lo, s14
	s_cbranch_vccnz .LBB316_2238
.LBB316_2235:
	s_wait_loadcnt 0x0
	global_load_u8 v3, v[20:21], off
	s_mov_b32 s12, exec_lo
	s_wait_loadcnt 0x0
	v_cmp_ne_u16_e32 vcc_lo, 0, v3
	v_mov_b32_e32 v3, 0xff
	v_cndmask_b32_e64 v7, 0, 1.0, vcc_lo
	s_delay_alu instid0(VALU_DEP_1) | instskip(SKIP_1) | instid1(VALU_DEP_1)
	v_lshrrev_b32_e32 v5, 23, v7
	s_wait_xcnt 0x0
	v_cmpx_ne_u32_e32 0xff, v5
; %bb.2236:
	v_and_b32_e32 v3, 0x400000, v7
	v_and_or_b32 v7, 0x3fffff, v7, v5
	s_delay_alu instid0(VALU_DEP_2) | instskip(NEXT) | instid1(VALU_DEP_2)
	v_cmp_ne_u32_e32 vcc_lo, 0, v3
	v_cmp_ne_u32_e64 s0, 0, v7
	s_and_b32 s0, vcc_lo, s0
	s_delay_alu instid0(SALU_CYCLE_1) | instskip(NEXT) | instid1(VALU_DEP_1)
	v_cndmask_b32_e64 v3, 0, 1, s0
	v_add_nc_u32_e32 v3, v5, v3
; %bb.2237:
	s_or_b32 exec_lo, exec_lo, s12
	s_mov_b32 s0, -1
.LBB316_2238:
	s_branch .LBB316_2146
.LBB316_2239:
	s_and_b32 s12, 0xffff, s11
	s_delay_alu instid0(SALU_CYCLE_1)
	s_cmp_lt_i32 s12, 5
	s_cbranch_scc1 .LBB316_2246
; %bb.2240:
	s_cmp_lt_i32 s12, 8
	s_cbranch_scc1 .LBB316_2247
; %bb.2241:
	;; [unrolled: 3-line block ×3, first 2 shown]
	s_cmp_gt_i32 s12, 9
	s_cbranch_scc0 .LBB316_2249
; %bb.2243:
	global_load_b64 v[22:23], v[20:21], off
	s_wait_loadcnt 0x1
	v_mov_b32_e32 v3, 0xff
	s_mov_b32 s13, exec_lo
	s_wait_loadcnt 0x0
	v_cvt_f32_f64_e32 v5, v[22:23]
	s_delay_alu instid0(VALU_DEP_1) | instskip(SKIP_1) | instid1(VALU_DEP_1)
	v_bfe_u32 v7, v5, 23, 8
	s_wait_xcnt 0x0
	v_cmpx_ne_u32_e32 0xff, v7
	s_cbranch_execz .LBB316_2245
; %bb.2244:
	v_and_b32_e32 v3, 0x400000, v5
	v_and_or_b32 v7, 0x3fffff, v5, v7
	s_delay_alu instid0(VALU_DEP_2) | instskip(NEXT) | instid1(VALU_DEP_2)
	v_cmp_ne_u32_e32 vcc_lo, 0, v3
	v_cmp_ne_u32_e64 s0, 0, v7
	v_lshrrev_b32_e32 v3, 23, v5
	s_and_b32 s0, vcc_lo, s0
	s_delay_alu instid0(SALU_CYCLE_1) | instskip(NEXT) | instid1(VALU_DEP_1)
	v_cndmask_b32_e64 v5, 0, 1, s0
	v_add_nc_u32_e32 v3, v3, v5
.LBB316_2245:
	s_or_b32 exec_lo, exec_lo, s13
	s_mov_b32 s0, 0
	s_branch .LBB316_2250
.LBB316_2246:
                                        ; implicit-def: $vgpr3
	s_branch .LBB316_2278
.LBB316_2247:
	s_mov_b32 s0, -1
                                        ; implicit-def: $vgpr3
	s_branch .LBB316_2260
.LBB316_2248:
	s_mov_b32 s0, -1
                                        ; implicit-def: $vgpr3
	s_branch .LBB316_2255
.LBB316_2249:
	s_mov_b32 s0, -1
                                        ; implicit-def: $vgpr3
.LBB316_2250:
	s_delay_alu instid0(SALU_CYCLE_1)
	s_and_not1_b32 vcc_lo, exec_lo, s0
	s_cbranch_vccnz .LBB316_2254
; %bb.2251:
	global_load_b32 v5, v[20:21], off
	s_wait_loadcnt 0x1
	v_mov_b32_e32 v3, 0xff
	s_mov_b32 s13, exec_lo
	s_wait_loadcnt 0x0
	v_bfe_u32 v7, v5, 23, 8
	s_wait_xcnt 0x0
	s_delay_alu instid0(VALU_DEP_1)
	v_cmpx_ne_u32_e32 0xff, v7
	s_cbranch_execz .LBB316_2253
; %bb.2252:
	v_and_b32_e32 v3, 0x400000, v5
	v_and_or_b32 v7, 0x3fffff, v5, v7
	s_delay_alu instid0(VALU_DEP_2) | instskip(NEXT) | instid1(VALU_DEP_2)
	v_cmp_ne_u32_e32 vcc_lo, 0, v3
	v_cmp_ne_u32_e64 s0, 0, v7
	v_lshrrev_b32_e32 v3, 23, v5
	s_and_b32 s0, vcc_lo, s0
	s_delay_alu instid0(SALU_CYCLE_1) | instskip(NEXT) | instid1(VALU_DEP_1)
	v_cndmask_b32_e64 v5, 0, 1, s0
	v_add_nc_u32_e32 v3, v3, v5
.LBB316_2253:
	s_or_b32 exec_lo, exec_lo, s13
.LBB316_2254:
	s_mov_b32 s0, 0
.LBB316_2255:
	s_delay_alu instid0(SALU_CYCLE_1)
	s_and_not1_b32 vcc_lo, exec_lo, s0
	s_cbranch_vccnz .LBB316_2259
; %bb.2256:
	s_wait_loadcnt 0x0
	global_load_b32 v3, v[20:21], off
	s_mov_b32 s13, exec_lo
	s_wait_loadcnt 0x0
	v_cvt_f32_f16_e32 v5, v3
	v_mov_b32_e32 v3, 0xff
	s_delay_alu instid0(VALU_DEP_2) | instskip(SKIP_1) | instid1(VALU_DEP_1)
	v_bfe_u32 v7, v5, 23, 8
	s_wait_xcnt 0x0
	v_cmpx_ne_u32_e32 0xff, v7
	s_cbranch_execz .LBB316_2258
; %bb.2257:
	v_and_b32_e32 v3, 0x400000, v5
	v_and_or_b32 v7, 0x3fffff, v5, v7
	s_delay_alu instid0(VALU_DEP_2) | instskip(NEXT) | instid1(VALU_DEP_2)
	v_cmp_ne_u32_e32 vcc_lo, 0, v3
	v_cmp_ne_u32_e64 s0, 0, v7
	v_lshrrev_b32_e32 v3, 23, v5
	s_and_b32 s0, vcc_lo, s0
	s_delay_alu instid0(SALU_CYCLE_1) | instskip(NEXT) | instid1(VALU_DEP_1)
	v_cndmask_b32_e64 v5, 0, 1, s0
	v_add_nc_u32_e32 v3, v3, v5
.LBB316_2258:
	s_or_b32 exec_lo, exec_lo, s13
.LBB316_2259:
	s_mov_b32 s0, 0
.LBB316_2260:
	s_delay_alu instid0(SALU_CYCLE_1)
	s_and_not1_b32 vcc_lo, exec_lo, s0
	s_cbranch_vccnz .LBB316_2277
; %bb.2261:
	s_cmp_lt_i32 s12, 6
	s_cbranch_scc1 .LBB316_2266
; %bb.2262:
	s_cmp_gt_i32 s12, 6
	s_cbranch_scc0 .LBB316_2267
; %bb.2263:
	global_load_b64 v[22:23], v[20:21], off
	s_wait_loadcnt 0x1
	v_mov_b32_e32 v3, 0xff
	s_mov_b32 s13, exec_lo
	s_wait_loadcnt 0x0
	v_cvt_f32_f64_e32 v5, v[22:23]
	s_delay_alu instid0(VALU_DEP_1) | instskip(SKIP_1) | instid1(VALU_DEP_1)
	v_bfe_u32 v7, v5, 23, 8
	s_wait_xcnt 0x0
	v_cmpx_ne_u32_e32 0xff, v7
	s_cbranch_execz .LBB316_2265
; %bb.2264:
	v_and_b32_e32 v3, 0x400000, v5
	v_and_or_b32 v7, 0x3fffff, v5, v7
	s_delay_alu instid0(VALU_DEP_2) | instskip(NEXT) | instid1(VALU_DEP_2)
	v_cmp_ne_u32_e32 vcc_lo, 0, v3
	v_cmp_ne_u32_e64 s0, 0, v7
	v_lshrrev_b32_e32 v3, 23, v5
	s_and_b32 s0, vcc_lo, s0
	s_delay_alu instid0(SALU_CYCLE_1) | instskip(NEXT) | instid1(VALU_DEP_1)
	v_cndmask_b32_e64 v5, 0, 1, s0
	v_add_nc_u32_e32 v3, v3, v5
.LBB316_2265:
	s_or_b32 exec_lo, exec_lo, s13
	s_mov_b32 s0, 0
	s_branch .LBB316_2268
.LBB316_2266:
	s_mov_b32 s0, -1
                                        ; implicit-def: $vgpr3
	s_branch .LBB316_2273
.LBB316_2267:
	s_mov_b32 s0, -1
                                        ; implicit-def: $vgpr3
.LBB316_2268:
	s_delay_alu instid0(SALU_CYCLE_1)
	s_and_not1_b32 vcc_lo, exec_lo, s0
	s_cbranch_vccnz .LBB316_2272
; %bb.2269:
	global_load_b32 v5, v[20:21], off
	s_wait_loadcnt 0x1
	v_mov_b32_e32 v3, 0xff
	s_mov_b32 s13, exec_lo
	s_wait_loadcnt 0x0
	v_bfe_u32 v7, v5, 23, 8
	s_wait_xcnt 0x0
	s_delay_alu instid0(VALU_DEP_1)
	v_cmpx_ne_u32_e32 0xff, v7
	s_cbranch_execz .LBB316_2271
; %bb.2270:
	v_and_b32_e32 v3, 0x400000, v5
	v_and_or_b32 v7, 0x3fffff, v5, v7
	s_delay_alu instid0(VALU_DEP_2) | instskip(NEXT) | instid1(VALU_DEP_2)
	v_cmp_ne_u32_e32 vcc_lo, 0, v3
	v_cmp_ne_u32_e64 s0, 0, v7
	v_lshrrev_b32_e32 v3, 23, v5
	s_and_b32 s0, vcc_lo, s0
	s_delay_alu instid0(SALU_CYCLE_1) | instskip(NEXT) | instid1(VALU_DEP_1)
	v_cndmask_b32_e64 v5, 0, 1, s0
	v_add_nc_u32_e32 v3, v3, v5
.LBB316_2271:
	s_or_b32 exec_lo, exec_lo, s13
.LBB316_2272:
	s_mov_b32 s0, 0
.LBB316_2273:
	s_delay_alu instid0(SALU_CYCLE_1)
	s_and_not1_b32 vcc_lo, exec_lo, s0
	s_cbranch_vccnz .LBB316_2277
; %bb.2274:
	s_wait_loadcnt 0x0
	global_load_u16 v3, v[20:21], off
	s_mov_b32 s13, exec_lo
	s_wait_loadcnt 0x0
	v_cvt_f32_f16_e32 v5, v3
	v_mov_b32_e32 v3, 0xff
	s_delay_alu instid0(VALU_DEP_2) | instskip(SKIP_1) | instid1(VALU_DEP_1)
	v_bfe_u32 v7, v5, 23, 8
	s_wait_xcnt 0x0
	v_cmpx_ne_u32_e32 0xff, v7
	s_cbranch_execz .LBB316_2276
; %bb.2275:
	v_and_b32_e32 v3, 0x400000, v5
	v_and_or_b32 v7, 0x3fffff, v5, v7
	s_delay_alu instid0(VALU_DEP_2) | instskip(NEXT) | instid1(VALU_DEP_2)
	v_cmp_ne_u32_e32 vcc_lo, 0, v3
	v_cmp_ne_u32_e64 s0, 0, v7
	v_lshrrev_b32_e32 v3, 23, v5
	s_and_b32 s0, vcc_lo, s0
	s_delay_alu instid0(SALU_CYCLE_1) | instskip(NEXT) | instid1(VALU_DEP_1)
	v_cndmask_b32_e64 v5, 0, 1, s0
	v_add_nc_u32_e32 v3, v3, v5
.LBB316_2276:
	s_or_b32 exec_lo, exec_lo, s13
.LBB316_2277:
	s_cbranch_execnz .LBB316_2307
.LBB316_2278:
	s_cmp_lt_i32 s12, 2
	s_cbranch_scc1 .LBB316_2284
; %bb.2279:
	s_cmp_lt_i32 s12, 3
	s_cbranch_scc1 .LBB316_2285
; %bb.2280:
	s_cmp_gt_i32 s12, 3
	s_cbranch_scc0 .LBB316_2286
; %bb.2281:
	global_load_b64 v[22:23], v[20:21], off
	s_mov_b32 s13, exec_lo
	s_wait_loadcnt 0x0
	v_xor_b32_e32 v3, v22, v23
	v_cls_i32_e32 v5, v23
	s_delay_alu instid0(VALU_DEP_2) | instskip(NEXT) | instid1(VALU_DEP_1)
	v_ashrrev_i32_e32 v3, 31, v3
	v_add_nc_u32_e32 v3, 32, v3
	s_delay_alu instid0(VALU_DEP_1) | instskip(NEXT) | instid1(VALU_DEP_1)
	v_add_min_u32_e64 v3, v5, -1, v3
	v_lshlrev_b64_e32 v[22:23], v3, v[22:23]
	v_sub_nc_u32_e32 v3, 32, v3
	s_delay_alu instid0(VALU_DEP_2) | instskip(NEXT) | instid1(VALU_DEP_1)
	v_min_u32_e32 v5, 1, v22
	v_or_b32_e32 v5, v23, v5
	s_delay_alu instid0(VALU_DEP_1) | instskip(NEXT) | instid1(VALU_DEP_1)
	v_cvt_f32_i32_e32 v5, v5
	v_ldexp_f32 v5, v5, v3
	v_mov_b32_e32 v3, 0xff
	s_delay_alu instid0(VALU_DEP_2) | instskip(SKIP_1) | instid1(VALU_DEP_1)
	v_bfe_u32 v7, v5, 23, 8
	s_wait_xcnt 0x0
	v_cmpx_ne_u32_e32 0xff, v7
	s_cbranch_execz .LBB316_2283
; %bb.2282:
	v_and_b32_e32 v3, 0x400000, v5
	v_and_or_b32 v7, 0x3fffff, v5, v7
	s_delay_alu instid0(VALU_DEP_2) | instskip(NEXT) | instid1(VALU_DEP_2)
	v_cmp_ne_u32_e32 vcc_lo, 0, v3
	v_cmp_ne_u32_e64 s0, 0, v7
	v_lshrrev_b32_e32 v3, 23, v5
	s_and_b32 s0, vcc_lo, s0
	s_delay_alu instid0(SALU_CYCLE_1) | instskip(NEXT) | instid1(VALU_DEP_1)
	v_cndmask_b32_e64 v5, 0, 1, s0
	v_add_nc_u32_e32 v3, v3, v5
.LBB316_2283:
	s_or_b32 exec_lo, exec_lo, s13
	s_mov_b32 s0, 0
	s_branch .LBB316_2287
.LBB316_2284:
	s_mov_b32 s0, -1
                                        ; implicit-def: $vgpr3
	s_branch .LBB316_2297
.LBB316_2285:
	s_mov_b32 s0, -1
                                        ; implicit-def: $vgpr3
	s_branch .LBB316_2292
.LBB316_2286:
	s_mov_b32 s0, -1
                                        ; implicit-def: $vgpr3
.LBB316_2287:
	s_delay_alu instid0(SALU_CYCLE_1)
	s_and_not1_b32 vcc_lo, exec_lo, s0
	s_cbranch_vccnz .LBB316_2291
; %bb.2288:
	s_wait_loadcnt 0x0
	global_load_b32 v3, v[20:21], off
	s_mov_b32 s13, exec_lo
	s_wait_loadcnt 0x0
	v_cvt_f32_i32_e32 v5, v3
	v_mov_b32_e32 v3, 0xff
	s_delay_alu instid0(VALU_DEP_2) | instskip(SKIP_1) | instid1(VALU_DEP_1)
	v_bfe_u32 v7, v5, 23, 8
	s_wait_xcnt 0x0
	v_cmpx_ne_u32_e32 0xff, v7
	s_cbranch_execz .LBB316_2290
; %bb.2289:
	v_and_b32_e32 v3, 0x400000, v5
	v_and_or_b32 v7, 0x3fffff, v5, v7
	s_delay_alu instid0(VALU_DEP_2) | instskip(NEXT) | instid1(VALU_DEP_2)
	v_cmp_ne_u32_e32 vcc_lo, 0, v3
	v_cmp_ne_u32_e64 s0, 0, v7
	v_lshrrev_b32_e32 v3, 23, v5
	s_and_b32 s0, vcc_lo, s0
	s_delay_alu instid0(SALU_CYCLE_1) | instskip(NEXT) | instid1(VALU_DEP_1)
	v_cndmask_b32_e64 v5, 0, 1, s0
	v_add_nc_u32_e32 v3, v3, v5
.LBB316_2290:
	s_or_b32 exec_lo, exec_lo, s13
.LBB316_2291:
	s_mov_b32 s0, 0
.LBB316_2292:
	s_delay_alu instid0(SALU_CYCLE_1)
	s_and_not1_b32 vcc_lo, exec_lo, s0
	s_cbranch_vccnz .LBB316_2296
; %bb.2293:
	s_wait_loadcnt 0x0
	global_load_i16 v3, v[20:21], off
	s_mov_b32 s13, exec_lo
	s_wait_loadcnt 0x0
	v_cvt_f32_i32_e32 v5, v3
	v_mov_b32_e32 v3, 0xff
	s_delay_alu instid0(VALU_DEP_2) | instskip(SKIP_1) | instid1(VALU_DEP_1)
	v_bfe_u32 v7, v5, 23, 8
	s_wait_xcnt 0x0
	v_cmpx_ne_u32_e32 0xff, v7
	s_cbranch_execz .LBB316_2295
; %bb.2294:
	v_and_b32_e32 v3, 0x400000, v5
	v_and_or_b32 v7, 0x3fffff, v5, v7
	s_delay_alu instid0(VALU_DEP_2) | instskip(NEXT) | instid1(VALU_DEP_2)
	v_cmp_ne_u32_e32 vcc_lo, 0, v3
	v_cmp_ne_u32_e64 s0, 0, v7
	v_lshrrev_b32_e32 v3, 23, v5
	s_and_b32 s0, vcc_lo, s0
	s_delay_alu instid0(SALU_CYCLE_1) | instskip(NEXT) | instid1(VALU_DEP_1)
	v_cndmask_b32_e64 v5, 0, 1, s0
	v_add_nc_u32_e32 v3, v3, v5
.LBB316_2295:
	s_or_b32 exec_lo, exec_lo, s13
.LBB316_2296:
	s_mov_b32 s0, 0
.LBB316_2297:
	s_delay_alu instid0(SALU_CYCLE_1)
	s_and_not1_b32 vcc_lo, exec_lo, s0
	s_cbranch_vccnz .LBB316_2307
; %bb.2298:
	s_cmp_gt_i32 s12, 0
	s_cbranch_scc0 .LBB316_2302
; %bb.2299:
	s_wait_loadcnt 0x0
	global_load_i8 v3, v[20:21], off
	s_mov_b32 s12, exec_lo
	s_wait_loadcnt 0x0
	v_cvt_f32_i32_e32 v5, v3
	v_mov_b32_e32 v3, 0xff
	s_delay_alu instid0(VALU_DEP_2) | instskip(SKIP_1) | instid1(VALU_DEP_1)
	v_bfe_u32 v7, v5, 23, 8
	s_wait_xcnt 0x0
	v_cmpx_ne_u32_e32 0xff, v7
	s_cbranch_execz .LBB316_2301
; %bb.2300:
	v_and_b32_e32 v3, 0x400000, v5
	v_and_or_b32 v7, 0x3fffff, v5, v7
	s_delay_alu instid0(VALU_DEP_2) | instskip(NEXT) | instid1(VALU_DEP_2)
	v_cmp_ne_u32_e32 vcc_lo, 0, v3
	v_cmp_ne_u32_e64 s0, 0, v7
	v_lshrrev_b32_e32 v3, 23, v5
	s_and_b32 s0, vcc_lo, s0
	s_delay_alu instid0(SALU_CYCLE_1) | instskip(NEXT) | instid1(VALU_DEP_1)
	v_cndmask_b32_e64 v5, 0, 1, s0
	v_add_nc_u32_e32 v3, v3, v5
.LBB316_2301:
	s_or_b32 exec_lo, exec_lo, s12
	s_mov_b32 s0, 0
	s_branch .LBB316_2303
.LBB316_2302:
	s_mov_b32 s0, -1
                                        ; implicit-def: $vgpr3
.LBB316_2303:
	s_delay_alu instid0(SALU_CYCLE_1)
	s_and_not1_b32 vcc_lo, exec_lo, s0
	s_cbranch_vccnz .LBB316_2307
; %bb.2304:
	s_wait_loadcnt 0x0
	global_load_u8 v3, v[20:21], off
	s_mov_b32 s12, exec_lo
	s_wait_loadcnt 0x0
	v_cvt_f32_ubyte0_e32 v7, v3
	v_mov_b32_e32 v3, 0xff
	s_delay_alu instid0(VALU_DEP_2) | instskip(SKIP_1) | instid1(VALU_DEP_1)
	v_lshrrev_b32_e32 v5, 23, v7
	s_wait_xcnt 0x0
	v_cmpx_ne_u32_e32 0xff, v5
; %bb.2305:
	v_and_b32_e32 v3, 0x400000, v7
	v_and_or_b32 v7, 0x3fffff, v7, v5
	s_delay_alu instid0(VALU_DEP_2) | instskip(NEXT) | instid1(VALU_DEP_2)
	v_cmp_ne_u32_e32 vcc_lo, 0, v3
	v_cmp_ne_u32_e64 s0, 0, v7
	s_and_b32 s0, vcc_lo, s0
	s_delay_alu instid0(SALU_CYCLE_1) | instskip(NEXT) | instid1(VALU_DEP_1)
	v_cndmask_b32_e64 v3, 0, 1, s0
	v_add_nc_u32_e32 v3, v5, v3
; %bb.2306:
	s_or_b32 exec_lo, exec_lo, s12
.LBB316_2307:
.LBB316_2308:
	v_mov_b32_e32 v19, 0
	s_and_b32 s1, 0xffff, s1
	s_delay_alu instid0(SALU_CYCLE_1) | instskip(NEXT) | instid1(VALU_DEP_1)
	s_cmp_lt_i32 s1, 11
	v_add_nc_u64_e32 v[18:19], s[6:7], v[18:19]
	s_cbranch_scc1 .LBB316_2317
; %bb.2309:
	s_cmp_gt_i32 s1, 25
	s_mov_b32 s13, 0
	s_cbranch_scc0 .LBB316_2319
; %bb.2310:
	s_cmp_gt_i32 s1, 28
	s_cbranch_scc0 .LBB316_2320
; %bb.2311:
	s_cmp_gt_i32 s1, 43
	;; [unrolled: 3-line block ×3, first 2 shown]
	s_cbranch_scc0 .LBB316_2323
; %bb.2313:
	s_cmp_eq_u32 s1, 46
	s_mov_b32 s14, 0
	s_cbranch_scc0 .LBB316_2324
; %bb.2314:
	global_load_b32 v7, v[18:19], off
	v_mov_b32_e32 v5, 0xff
	s_mov_b32 s12, exec_lo
	s_wait_loadcnt 0x0
	v_lshlrev_b32_e32 v9, 16, v7
	s_delay_alu instid0(VALU_DEP_1) | instskip(SKIP_1) | instid1(VALU_DEP_1)
	v_bfe_u32 v11, v9, 23, 8
	s_wait_xcnt 0x0
	v_cmpx_ne_u32_e32 0xff, v11
	s_cbranch_execz .LBB316_2316
; %bb.2315:
	v_and_b32_e32 v5, 64, v7
	v_and_or_b32 v9, 0x3f0000, v9, v11
	s_delay_alu instid0(VALU_DEP_2) | instskip(NEXT) | instid1(VALU_DEP_2)
	v_cmp_ne_u32_e32 vcc_lo, 0, v5
	v_cmp_ne_u32_e64 s0, 0, v9
	v_bfe_u32 v5, v7, 7, 9
	s_and_b32 s0, vcc_lo, s0
	s_delay_alu instid0(SALU_CYCLE_1) | instskip(NEXT) | instid1(VALU_DEP_1)
	v_cndmask_b32_e64 v7, 0, 1, s0
	v_add_nc_u32_e32 v5, v5, v7
.LBB316_2316:
	s_or_b32 exec_lo, exec_lo, s12
	s_mov_b32 s12, 0
	s_mov_b32 s0, -1
	s_branch .LBB316_2326
.LBB316_2317:
	s_mov_b32 s0, 0
                                        ; implicit-def: $vgpr5
	s_cbranch_execnz .LBB316_2410
.LBB316_2318:
	s_and_not1_b32 vcc_lo, exec_lo, s0
	s_cbranch_vccz .LBB316_2480
	s_branch .LBB316_3777
.LBB316_2319:
	s_mov_b32 s14, -1
	s_mov_b32 s0, 0
	s_mov_b32 s12, 0
                                        ; implicit-def: $vgpr5
	s_branch .LBB316_2363
.LBB316_2320:
	s_mov_b32 s14, -1
	s_mov_b32 s0, 0
	s_mov_b32 s12, 0
                                        ; implicit-def: $vgpr5
	s_branch .LBB316_2338
.LBB316_2321:
	s_mov_b32 s14, -1
	s_mov_b32 s0, 0
	s_mov_b32 s12, 0
                                        ; implicit-def: $vgpr5
	s_branch .LBB316_2331
.LBB316_2322:
	s_or_b32 s10, s10, exec_lo
	s_trap 2
	s_cbranch_execz .LBB316_2235
	s_branch .LBB316_2238
.LBB316_2323:
	s_mov_b32 s14, -1
	s_mov_b32 s0, 0
	s_mov_b32 s12, 0
	s_branch .LBB316_2325
.LBB316_2324:
	s_mov_b32 s12, -1
	s_mov_b32 s0, 0
.LBB316_2325:
                                        ; implicit-def: $vgpr5
.LBB316_2326:
	s_and_b32 vcc_lo, exec_lo, s14
	s_cbranch_vccz .LBB316_2330
; %bb.2327:
	s_cmp_eq_u32 s1, 44
	s_cbranch_scc0 .LBB316_2329
; %bb.2328:
	global_load_u8 v5, v[18:19], off
	s_mov_b32 s12, 0
	s_mov_b32 s0, -1
	s_branch .LBB316_2330
.LBB316_2329:
	s_mov_b32 s12, -1
                                        ; implicit-def: $vgpr5
.LBB316_2330:
	s_mov_b32 s14, 0
.LBB316_2331:
	s_delay_alu instid0(SALU_CYCLE_1)
	s_and_b32 vcc_lo, exec_lo, s14
	s_cbranch_vccz .LBB316_2337
; %bb.2332:
	s_cmp_eq_u32 s1, 29
	s_cbranch_scc0 .LBB316_2336
; %bb.2333:
	global_load_b64 v[20:21], v[18:19], off
	s_mov_b32 s12, exec_lo
	s_wait_loadcnt 0x0
	v_clz_i32_u32_e32 v5, v21
	s_delay_alu instid0(VALU_DEP_1) | instskip(NEXT) | instid1(VALU_DEP_1)
	v_min_u32_e32 v5, 32, v5
	v_lshlrev_b64_e32 v[20:21], v5, v[20:21]
	v_sub_nc_u32_e32 v5, 32, v5
	s_delay_alu instid0(VALU_DEP_2) | instskip(NEXT) | instid1(VALU_DEP_1)
	v_min_u32_e32 v7, 1, v20
	v_or_b32_e32 v7, v21, v7
	s_delay_alu instid0(VALU_DEP_1) | instskip(NEXT) | instid1(VALU_DEP_1)
	v_cvt_f32_u32_e32 v7, v7
	v_ldexp_f32 v9, v7, v5
	v_mov_b32_e32 v5, 0xff
	s_delay_alu instid0(VALU_DEP_2) | instskip(SKIP_1) | instid1(VALU_DEP_1)
	v_lshrrev_b32_e32 v7, 23, v9
	s_wait_xcnt 0x0
	v_cmpx_ne_u32_e32 0xff, v7
; %bb.2334:
	v_and_b32_e32 v5, 0x400000, v9
	v_and_or_b32 v9, 0x3fffff, v9, v7
	s_delay_alu instid0(VALU_DEP_2) | instskip(NEXT) | instid1(VALU_DEP_2)
	v_cmp_ne_u32_e32 vcc_lo, 0, v5
	v_cmp_ne_u32_e64 s0, 0, v9
	s_and_b32 s0, vcc_lo, s0
	s_delay_alu instid0(SALU_CYCLE_1) | instskip(NEXT) | instid1(VALU_DEP_1)
	v_cndmask_b32_e64 v5, 0, 1, s0
	v_add_nc_u32_e32 v5, v7, v5
; %bb.2335:
	s_or_b32 exec_lo, exec_lo, s12
	s_mov_b32 s12, 0
	s_mov_b32 s0, -1
	s_branch .LBB316_2337
.LBB316_2336:
	s_mov_b32 s12, -1
                                        ; implicit-def: $vgpr5
.LBB316_2337:
	s_mov_b32 s14, 0
.LBB316_2338:
	s_delay_alu instid0(SALU_CYCLE_1)
	s_and_b32 vcc_lo, exec_lo, s14
	s_cbranch_vccz .LBB316_2362
; %bb.2339:
	s_cmp_lt_i32 s1, 27
	s_cbranch_scc1 .LBB316_2344
; %bb.2340:
	s_cmp_gt_i32 s1, 27
	s_cbranch_scc0 .LBB316_2345
; %bb.2341:
	s_wait_loadcnt 0x0
	global_load_b32 v5, v[18:19], off
	s_mov_b32 s14, exec_lo
	s_wait_loadcnt 0x0
	v_cvt_f32_u32_e32 v9, v5
	v_mov_b32_e32 v5, 0xff
	s_delay_alu instid0(VALU_DEP_2) | instskip(SKIP_1) | instid1(VALU_DEP_1)
	v_lshrrev_b32_e32 v7, 23, v9
	s_wait_xcnt 0x0
	v_cmpx_ne_u32_e32 0xff, v7
; %bb.2342:
	v_and_b32_e32 v5, 0x400000, v9
	v_and_or_b32 v9, 0x3fffff, v9, v7
	s_delay_alu instid0(VALU_DEP_2) | instskip(NEXT) | instid1(VALU_DEP_2)
	v_cmp_ne_u32_e32 vcc_lo, 0, v5
	v_cmp_ne_u32_e64 s0, 0, v9
	s_and_b32 s0, vcc_lo, s0
	s_delay_alu instid0(SALU_CYCLE_1) | instskip(NEXT) | instid1(VALU_DEP_1)
	v_cndmask_b32_e64 v5, 0, 1, s0
	v_add_nc_u32_e32 v5, v7, v5
; %bb.2343:
	s_or_b32 exec_lo, exec_lo, s14
	s_mov_b32 s0, 0
	s_branch .LBB316_2346
.LBB316_2344:
	s_mov_b32 s0, -1
                                        ; implicit-def: $vgpr5
	s_branch .LBB316_2351
.LBB316_2345:
	s_mov_b32 s0, -1
                                        ; implicit-def: $vgpr5
.LBB316_2346:
	s_delay_alu instid0(SALU_CYCLE_1)
	s_and_not1_b32 vcc_lo, exec_lo, s0
	s_cbranch_vccnz .LBB316_2350
; %bb.2347:
	s_wait_loadcnt 0x0
	global_load_u16 v5, v[18:19], off
	s_mov_b32 s14, exec_lo
	s_wait_loadcnt 0x0
	v_cvt_f32_u32_e32 v9, v5
	v_mov_b32_e32 v5, 0xff
	s_delay_alu instid0(VALU_DEP_2) | instskip(SKIP_1) | instid1(VALU_DEP_1)
	v_lshrrev_b32_e32 v7, 23, v9
	s_wait_xcnt 0x0
	v_cmpx_ne_u32_e32 0xff, v7
; %bb.2348:
	v_and_b32_e32 v5, 0x400000, v9
	v_and_or_b32 v9, 0x3fffff, v9, v7
	s_delay_alu instid0(VALU_DEP_2) | instskip(NEXT) | instid1(VALU_DEP_2)
	v_cmp_ne_u32_e32 vcc_lo, 0, v5
	v_cmp_ne_u32_e64 s0, 0, v9
	s_and_b32 s0, vcc_lo, s0
	s_delay_alu instid0(SALU_CYCLE_1) | instskip(NEXT) | instid1(VALU_DEP_1)
	v_cndmask_b32_e64 v5, 0, 1, s0
	v_add_nc_u32_e32 v5, v7, v5
; %bb.2349:
	s_or_b32 exec_lo, exec_lo, s14
.LBB316_2350:
	s_mov_b32 s0, 0
.LBB316_2351:
	s_delay_alu instid0(SALU_CYCLE_1)
	s_and_not1_b32 vcc_lo, exec_lo, s0
	s_cbranch_vccnz .LBB316_2361
; %bb.2352:
	s_wait_loadcnt 0x0
	global_load_u8 v5, v[18:19], off
	s_mov_b32 s0, 0
	s_mov_b32 s14, exec_lo
	s_wait_loadcnt 0x0
	v_cmpx_lt_i16_e32 0x7f, v5
	s_xor_b32 s14, exec_lo, s14
	s_cbranch_execz .LBB316_2379
; %bb.2353:
	s_mov_b32 s0, -1
	s_mov_b32 s15, exec_lo
	v_cmpx_eq_u16_e32 0x80, v5
; %bb.2354:
	s_xor_b32 s0, exec_lo, -1
; %bb.2355:
	s_or_b32 exec_lo, exec_lo, s15
	s_delay_alu instid0(SALU_CYCLE_1)
	s_and_b32 s0, s0, exec_lo
	s_or_saveexec_b32 s14, s14
	v_mov_b32_e32 v7, 0x7f800001
	s_xor_b32 exec_lo, exec_lo, s14
	s_cbranch_execnz .LBB316_2380
.LBB316_2356:
	s_or_b32 exec_lo, exec_lo, s14
	s_and_saveexec_b32 s14, s0
	s_cbranch_execz .LBB316_2358
.LBB316_2357:
	v_and_b32_e32 v5, 0xffff, v5
	s_delay_alu instid0(VALU_DEP_1) | instskip(NEXT) | instid1(VALU_DEP_1)
	v_and_b32_e32 v7, 7, v5
	v_clz_i32_u32_e32 v9, v7
	s_delay_alu instid0(VALU_DEP_1) | instskip(NEXT) | instid1(VALU_DEP_1)
	v_min_u32_e32 v9, 32, v9
	v_subrev_nc_u32_e32 v11, 28, v9
	s_delay_alu instid0(VALU_DEP_1) | instskip(SKIP_1) | instid1(VALU_DEP_2)
	v_lshlrev_b32_e32 v11, v11, v5
	v_bfe_u32 v5, v5, 3, 4
	v_dual_sub_nc_u32 v9, 29, v9 :: v_dual_bitop2_b32 v11, 7, v11 bitop3:0x40
	s_delay_alu instid0(VALU_DEP_2) | instskip(NEXT) | instid1(VALU_DEP_2)
	v_cmp_eq_u32_e32 vcc_lo, 0, v5
	v_dual_cndmask_b32 v5, v5, v9, vcc_lo :: v_dual_cndmask_b32 v7, v7, v11, vcc_lo
	s_delay_alu instid0(VALU_DEP_1) | instskip(NEXT) | instid1(VALU_DEP_1)
	v_lshlrev_b32_e32 v7, 20, v7
	v_lshl_or_b32 v5, v5, 23, v7
	s_delay_alu instid0(VALU_DEP_1)
	v_add_nc_u32_e32 v7, 0x3b800000, v5
.LBB316_2358:
	s_or_b32 exec_lo, exec_lo, s14
	s_delay_alu instid0(VALU_DEP_1) | instskip(SKIP_2) | instid1(VALU_DEP_2)
	v_lshrrev_b32_e32 v9, 23, v7
	v_mov_b32_e32 v5, 0xff
	s_mov_b32 s14, exec_lo
	v_cmpx_ne_u32_e32 0xff, v9
; %bb.2359:
	v_and_b32_e32 v5, 0x400000, v7
	v_and_or_b32 v7, 0x3fffff, v7, v9
	s_delay_alu instid0(VALU_DEP_2) | instskip(NEXT) | instid1(VALU_DEP_2)
	v_cmp_ne_u32_e32 vcc_lo, 0, v5
	v_cmp_ne_u32_e64 s0, 0, v7
	s_and_b32 s0, vcc_lo, s0
	s_delay_alu instid0(SALU_CYCLE_1) | instskip(NEXT) | instid1(VALU_DEP_1)
	v_cndmask_b32_e64 v5, 0, 1, s0
	v_add_nc_u32_e32 v5, v9, v5
; %bb.2360:
	s_or_b32 exec_lo, exec_lo, s14
.LBB316_2361:
	s_mov_b32 s0, -1
.LBB316_2362:
	s_mov_b32 s14, 0
.LBB316_2363:
	s_delay_alu instid0(SALU_CYCLE_1)
	s_and_b32 vcc_lo, exec_lo, s14
	s_cbranch_vccz .LBB316_2404
; %bb.2364:
	s_cmp_gt_i32 s1, 22
	s_cbranch_scc0 .LBB316_2378
; %bb.2365:
	s_cmp_lt_i32 s1, 24
	s_cbranch_scc1 .LBB316_2381
; %bb.2366:
	s_cmp_gt_i32 s1, 24
	s_cbranch_scc0 .LBB316_2382
; %bb.2367:
	s_wait_loadcnt 0x0
	global_load_u8 v5, v[18:19], off
	s_mov_b32 s0, 0
	s_mov_b32 s13, exec_lo
	s_wait_loadcnt 0x0
	v_cmpx_lt_i16_e32 0x7f, v5
	s_xor_b32 s13, exec_lo, s13
	s_cbranch_execz .LBB316_2371
; %bb.2368:
	s_mov_b32 s0, -1
	s_mov_b32 s14, exec_lo
	v_cmpx_eq_u16_e32 0x80, v5
; %bb.2369:
	s_xor_b32 s0, exec_lo, -1
; %bb.2370:
	s_or_b32 exec_lo, exec_lo, s14
	s_delay_alu instid0(SALU_CYCLE_1)
	s_and_b32 s0, s0, exec_lo
.LBB316_2371:
	s_or_saveexec_b32 s13, s13
	v_mov_b32_e32 v7, 0x7f800001
	v_and_b32_e32 v9, 0xffff, v5
	s_xor_b32 exec_lo, exec_lo, s13
; %bb.2372:
	v_cmp_ne_u16_e32 vcc_lo, 0, v5
	s_delay_alu instid0(VALU_DEP_2) | instskip(SKIP_2) | instid1(SALU_CYCLE_1)
	v_mov_b32_e32 v7, v9
	s_and_not1_b32 s0, s0, exec_lo
	s_and_b32 s14, vcc_lo, exec_lo
	s_or_b32 s0, s0, s14
; %bb.2373:
	s_or_b32 exec_lo, exec_lo, s13
	s_and_saveexec_b32 s13, s0
	s_cbranch_execz .LBB316_2375
; %bb.2374:
	v_and_b32_e32 v5, 3, v9
	s_delay_alu instid0(VALU_DEP_1) | instskip(NEXT) | instid1(VALU_DEP_1)
	v_clz_i32_u32_e32 v7, v5
	v_min_u32_e32 v7, 32, v7
	s_delay_alu instid0(VALU_DEP_1) | instskip(NEXT) | instid1(VALU_DEP_1)
	v_subrev_nc_u32_e32 v11, 29, v7
	v_lshlrev_b32_e32 v11, v11, v9
	v_bfe_u32 v9, v9, 2, 5
	s_delay_alu instid0(VALU_DEP_2) | instskip(NEXT) | instid1(VALU_DEP_2)
	v_and_b32_e32 v11, 3, v11
	v_cmp_eq_u32_e32 vcc_lo, 0, v9
	s_delay_alu instid0(VALU_DEP_2) | instskip(NEXT) | instid1(VALU_DEP_1)
	v_cndmask_b32_e32 v5, v5, v11, vcc_lo
	v_dual_sub_nc_u32 v7, 30, v7 :: v_dual_lshlrev_b32 v5, 21, v5
	s_delay_alu instid0(VALU_DEP_1) | instskip(NEXT) | instid1(VALU_DEP_1)
	v_cndmask_b32_e32 v7, v9, v7, vcc_lo
	v_lshl_or_b32 v5, v7, 23, v5
	s_delay_alu instid0(VALU_DEP_1)
	v_add_nc_u32_e32 v7, 0x37800000, v5
.LBB316_2375:
	s_or_b32 exec_lo, exec_lo, s13
	s_delay_alu instid0(VALU_DEP_1) | instskip(SKIP_2) | instid1(VALU_DEP_2)
	v_lshrrev_b32_e32 v9, 23, v7
	v_mov_b32_e32 v5, 0xff
	s_mov_b32 s13, exec_lo
	v_cmpx_ne_u32_e32 0xff, v9
; %bb.2376:
	v_and_b32_e32 v5, 0x400000, v7
	v_and_or_b32 v7, 0x3fffff, v7, v9
	s_delay_alu instid0(VALU_DEP_2) | instskip(NEXT) | instid1(VALU_DEP_2)
	v_cmp_ne_u32_e32 vcc_lo, 0, v5
	v_cmp_ne_u32_e64 s0, 0, v7
	s_and_b32 s0, vcc_lo, s0
	s_delay_alu instid0(SALU_CYCLE_1) | instskip(NEXT) | instid1(VALU_DEP_1)
	v_cndmask_b32_e64 v5, 0, 1, s0
	v_add_nc_u32_e32 v5, v9, v5
; %bb.2377:
	s_or_b32 exec_lo, exec_lo, s13
	s_mov_b32 s0, 0
	s_branch .LBB316_2383
.LBB316_2378:
	s_mov_b32 s13, -1
                                        ; implicit-def: $vgpr5
	s_branch .LBB316_2393
.LBB316_2379:
	s_or_saveexec_b32 s14, s14
	v_mov_b32_e32 v7, 0x7f800001
	s_xor_b32 exec_lo, exec_lo, s14
	s_cbranch_execz .LBB316_2356
.LBB316_2380:
	v_cmp_ne_u16_e32 vcc_lo, 0, v5
	v_and_b32_e32 v7, 0xffff, v5
	s_and_not1_b32 s0, s0, exec_lo
	s_and_b32 s15, vcc_lo, exec_lo
	s_delay_alu instid0(SALU_CYCLE_1)
	s_or_b32 s0, s0, s15
	s_or_b32 exec_lo, exec_lo, s14
	s_and_saveexec_b32 s14, s0
	s_cbranch_execnz .LBB316_2357
	s_branch .LBB316_2358
.LBB316_2381:
	s_mov_b32 s0, -1
                                        ; implicit-def: $vgpr5
	s_branch .LBB316_2388
.LBB316_2382:
	s_mov_b32 s0, -1
                                        ; implicit-def: $vgpr5
.LBB316_2383:
	s_delay_alu instid0(SALU_CYCLE_1)
	s_and_b32 vcc_lo, exec_lo, s0
	s_cbranch_vccz .LBB316_2387
; %bb.2384:
	s_wait_loadcnt 0x0
	global_load_u8 v5, v[18:19], off
	s_mov_b32 s13, exec_lo
	s_wait_loadcnt 0x0
	v_lshlrev_b32_e32 v5, 24, v5
	s_delay_alu instid0(VALU_DEP_1) | instskip(NEXT) | instid1(VALU_DEP_1)
	v_and_b32_e32 v5, 0x7f000000, v5
	v_clz_i32_u32_e32 v7, v5
	v_add_nc_u32_e32 v11, 0x1000000, v5
	v_cmp_ne_u32_e32 vcc_lo, 0, v5
	s_delay_alu instid0(VALU_DEP_3) | instskip(NEXT) | instid1(VALU_DEP_1)
	v_min_u32_e32 v7, 32, v7
	v_sub_nc_u32_e64 v7, v7, 4 clamp
	s_delay_alu instid0(VALU_DEP_1) | instskip(SKIP_1) | instid1(VALU_DEP_2)
	v_dual_lshlrev_b32 v9, v7, v5 :: v_dual_lshlrev_b32 v7, 23, v7
	v_mov_b32_e32 v5, 0xff
	v_lshrrev_b32_e32 v9, 4, v9
	s_delay_alu instid0(VALU_DEP_1) | instskip(SKIP_1) | instid1(VALU_DEP_2)
	v_sub_nc_u32_e32 v7, v9, v7
	v_ashrrev_i32_e32 v9, 8, v11
	v_add_nc_u32_e32 v7, 0x3c000000, v7
	s_delay_alu instid0(VALU_DEP_1) | instskip(NEXT) | instid1(VALU_DEP_1)
	v_and_or_b32 v7, 0x7f800000, v9, v7
	v_cndmask_b32_e32 v9, 0, v7, vcc_lo
	s_delay_alu instid0(VALU_DEP_1) | instskip(SKIP_1) | instid1(VALU_DEP_1)
	v_lshrrev_b32_e32 v7, 23, v9
	s_wait_xcnt 0x0
	v_cmpx_ne_u32_e32 0xff, v7
; %bb.2385:
	v_and_b32_e32 v5, 0x400000, v9
	v_and_or_b32 v9, 0x3fffff, v9, v7
	s_delay_alu instid0(VALU_DEP_2) | instskip(NEXT) | instid1(VALU_DEP_2)
	v_cmp_ne_u32_e32 vcc_lo, 0, v5
	v_cmp_ne_u32_e64 s0, 0, v9
	s_and_b32 s0, vcc_lo, s0
	s_delay_alu instid0(SALU_CYCLE_1) | instskip(NEXT) | instid1(VALU_DEP_1)
	v_cndmask_b32_e64 v5, 0, 1, s0
	v_add_nc_u32_e32 v5, v7, v5
; %bb.2386:
	s_or_b32 exec_lo, exec_lo, s13
.LBB316_2387:
	s_mov_b32 s0, 0
.LBB316_2388:
	s_delay_alu instid0(SALU_CYCLE_1)
	s_and_not1_b32 vcc_lo, exec_lo, s0
	s_cbranch_vccnz .LBB316_2392
; %bb.2389:
	s_wait_loadcnt 0x0
	global_load_u8 v5, v[18:19], off
	s_mov_b32 s13, exec_lo
	s_wait_loadcnt 0x0
	v_dual_lshlrev_b32 v7, 25, v5 :: v_dual_lshlrev_b32 v5, 8, v5
	s_delay_alu instid0(VALU_DEP_1) | instskip(NEXT) | instid1(VALU_DEP_2)
	v_cmp_gt_u32_e32 vcc_lo, 0x8000000, v7
	v_and_or_b32 v5, 0x7f00, v5, 0.5
	s_delay_alu instid0(VALU_DEP_1) | instskip(NEXT) | instid1(VALU_DEP_1)
	v_dual_lshrrev_b32 v9, 4, v7 :: v_dual_add_f32 v5, -0.5, v5
	v_or_b32_e32 v9, 0x70000000, v9
	s_delay_alu instid0(VALU_DEP_1) | instskip(NEXT) | instid1(VALU_DEP_1)
	v_mul_f32_e32 v9, 0x7800000, v9
	v_cndmask_b32_e32 v7, v9, v5, vcc_lo
	v_mov_b32_e32 v5, 0xff
	s_delay_alu instid0(VALU_DEP_2) | instskip(SKIP_1) | instid1(VALU_DEP_1)
	v_bfe_u32 v9, v7, 23, 8
	s_wait_xcnt 0x0
	v_cmpx_ne_u32_e32 0xff, v9
	s_cbranch_execz .LBB316_2391
; %bb.2390:
	v_and_b32_e32 v5, 0x400000, v7
	v_and_or_b32 v9, 0x3fffff, v7, v9
	s_delay_alu instid0(VALU_DEP_2) | instskip(NEXT) | instid1(VALU_DEP_2)
	v_cmp_ne_u32_e32 vcc_lo, 0, v5
	v_cmp_ne_u32_e64 s0, 0, v9
	v_lshrrev_b32_e32 v5, 23, v7
	s_and_b32 s0, vcc_lo, s0
	s_delay_alu instid0(SALU_CYCLE_1) | instskip(NEXT) | instid1(VALU_DEP_1)
	v_cndmask_b32_e64 v7, 0, 1, s0
	v_add_nc_u32_e32 v5, v5, v7
.LBB316_2391:
	s_or_b32 exec_lo, exec_lo, s13
.LBB316_2392:
	s_mov_b32 s13, 0
	s_mov_b32 s0, -1
.LBB316_2393:
	s_and_not1_b32 vcc_lo, exec_lo, s13
	s_mov_b32 s13, 0
	s_cbranch_vccnz .LBB316_2404
; %bb.2394:
	s_cmp_gt_i32 s1, 14
	s_cbranch_scc0 .LBB316_2399
; %bb.2395:
	s_cmp_eq_u32 s1, 15
	s_cbranch_scc0 .LBB316_2400
; %bb.2396:
	global_load_u16 v7, v[18:19], off
	s_wait_loadcnt 0x1
	v_mov_b32_e32 v5, 0xff
	s_mov_b32 s12, exec_lo
	s_wait_loadcnt 0x0
	v_bfe_u32 v9, v7, 7, 8
	s_wait_xcnt 0x0
	s_delay_alu instid0(VALU_DEP_1)
	v_cmpx_ne_u32_e32 0xff, v9
	s_cbranch_execz .LBB316_2398
; %bb.2397:
	v_dual_lshlrev_b32 v5, 16, v7 :: v_dual_bitop2_b32 v11, 64, v7 bitop3:0x40
	s_delay_alu instid0(VALU_DEP_1) | instskip(NEXT) | instid1(VALU_DEP_2)
	v_and_or_b32 v5, 0x3f0000, v5, v9
	v_cmp_ne_u32_e32 vcc_lo, 0, v11
	s_delay_alu instid0(VALU_DEP_2) | instskip(SKIP_2) | instid1(SALU_CYCLE_1)
	v_cmp_ne_u32_e64 s0, 0, v5
	v_lshrrev_b32_e32 v5, 7, v7
	s_and_b32 s0, vcc_lo, s0
	v_cndmask_b32_e64 v7, 0, 1, s0
	s_delay_alu instid0(VALU_DEP_1)
	v_add_nc_u32_e32 v5, v5, v7
.LBB316_2398:
	s_or_b32 exec_lo, exec_lo, s12
	s_mov_b32 s12, 0
	s_mov_b32 s0, -1
	s_branch .LBB316_2402
.LBB316_2399:
	s_mov_b32 s13, -1
	s_branch .LBB316_2401
.LBB316_2400:
	s_mov_b32 s12, -1
.LBB316_2401:
                                        ; implicit-def: $vgpr5
.LBB316_2402:
	s_and_b32 vcc_lo, exec_lo, s13
	s_mov_b32 s13, 0
	s_cbranch_vccz .LBB316_2404
; %bb.2403:
	s_cmp_lg_u32 s1, 11
	s_mov_b32 s13, -1
	s_cselect_b32 s12, -1, 0
.LBB316_2404:
	s_delay_alu instid0(SALU_CYCLE_1)
	s_and_b32 vcc_lo, exec_lo, s12
	s_cbranch_vccnz .LBB316_2493
; %bb.2405:
	s_and_not1_b32 vcc_lo, exec_lo, s13
	s_cbranch_vccnz .LBB316_2409
.LBB316_2406:
	s_wait_loadcnt 0x0
	global_load_u8 v5, v[18:19], off
	s_mov_b32 s12, exec_lo
	s_wait_loadcnt 0x0
	v_cmp_ne_u16_e32 vcc_lo, 0, v5
	v_mov_b32_e32 v5, 0xff
	v_cndmask_b32_e64 v9, 0, 1.0, vcc_lo
	s_delay_alu instid0(VALU_DEP_1) | instskip(SKIP_1) | instid1(VALU_DEP_1)
	v_lshrrev_b32_e32 v7, 23, v9
	s_wait_xcnt 0x0
	v_cmpx_ne_u32_e32 0xff, v7
; %bb.2407:
	v_and_b32_e32 v5, 0x400000, v9
	v_and_or_b32 v9, 0x3fffff, v9, v7
	s_delay_alu instid0(VALU_DEP_2) | instskip(NEXT) | instid1(VALU_DEP_2)
	v_cmp_ne_u32_e32 vcc_lo, 0, v5
	v_cmp_ne_u32_e64 s0, 0, v9
	s_and_b32 s0, vcc_lo, s0
	s_delay_alu instid0(SALU_CYCLE_1) | instskip(NEXT) | instid1(VALU_DEP_1)
	v_cndmask_b32_e64 v5, 0, 1, s0
	v_add_nc_u32_e32 v5, v7, v5
; %bb.2408:
	s_or_b32 exec_lo, exec_lo, s12
	s_mov_b32 s0, -1
.LBB316_2409:
	s_branch .LBB316_2318
.LBB316_2410:
	s_cmp_lt_i32 s1, 5
	s_cbranch_scc1 .LBB316_2417
; %bb.2411:
	s_cmp_lt_i32 s1, 8
	s_cbranch_scc1 .LBB316_2418
; %bb.2412:
	s_cmp_lt_i32 s1, 9
	s_cbranch_scc1 .LBB316_2419
; %bb.2413:
	s_cmp_gt_i32 s1, 9
	s_cbranch_scc0 .LBB316_2420
; %bb.2414:
	global_load_b64 v[20:21], v[18:19], off
	s_wait_loadcnt 0x1
	v_mov_b32_e32 v5, 0xff
	s_mov_b32 s12, exec_lo
	s_wait_loadcnt 0x0
	v_cvt_f32_f64_e32 v7, v[20:21]
	s_delay_alu instid0(VALU_DEP_1) | instskip(SKIP_1) | instid1(VALU_DEP_1)
	v_bfe_u32 v9, v7, 23, 8
	s_wait_xcnt 0x0
	v_cmpx_ne_u32_e32 0xff, v9
	s_cbranch_execz .LBB316_2416
; %bb.2415:
	v_and_b32_e32 v5, 0x400000, v7
	v_and_or_b32 v9, 0x3fffff, v7, v9
	s_delay_alu instid0(VALU_DEP_2) | instskip(NEXT) | instid1(VALU_DEP_2)
	v_cmp_ne_u32_e32 vcc_lo, 0, v5
	v_cmp_ne_u32_e64 s0, 0, v9
	v_lshrrev_b32_e32 v5, 23, v7
	s_and_b32 s0, vcc_lo, s0
	s_delay_alu instid0(SALU_CYCLE_1) | instskip(NEXT) | instid1(VALU_DEP_1)
	v_cndmask_b32_e64 v7, 0, 1, s0
	v_add_nc_u32_e32 v5, v5, v7
.LBB316_2416:
	s_or_b32 exec_lo, exec_lo, s12
	s_mov_b32 s0, 0
	s_branch .LBB316_2421
.LBB316_2417:
	s_mov_b32 s0, -1
                                        ; implicit-def: $vgpr5
	s_branch .LBB316_2449
.LBB316_2418:
	s_mov_b32 s0, -1
                                        ; implicit-def: $vgpr5
	s_branch .LBB316_2431
.LBB316_2419:
	s_mov_b32 s0, -1
                                        ; implicit-def: $vgpr5
	s_branch .LBB316_2426
.LBB316_2420:
	s_mov_b32 s0, -1
                                        ; implicit-def: $vgpr5
.LBB316_2421:
	s_delay_alu instid0(SALU_CYCLE_1)
	s_and_not1_b32 vcc_lo, exec_lo, s0
	s_cbranch_vccnz .LBB316_2425
; %bb.2422:
	global_load_b32 v7, v[18:19], off
	s_wait_loadcnt 0x1
	v_mov_b32_e32 v5, 0xff
	s_mov_b32 s12, exec_lo
	s_wait_loadcnt 0x0
	v_bfe_u32 v9, v7, 23, 8
	s_wait_xcnt 0x0
	s_delay_alu instid0(VALU_DEP_1)
	v_cmpx_ne_u32_e32 0xff, v9
	s_cbranch_execz .LBB316_2424
; %bb.2423:
	v_and_b32_e32 v5, 0x400000, v7
	v_and_or_b32 v9, 0x3fffff, v7, v9
	s_delay_alu instid0(VALU_DEP_2) | instskip(NEXT) | instid1(VALU_DEP_2)
	v_cmp_ne_u32_e32 vcc_lo, 0, v5
	v_cmp_ne_u32_e64 s0, 0, v9
	v_lshrrev_b32_e32 v5, 23, v7
	s_and_b32 s0, vcc_lo, s0
	s_delay_alu instid0(SALU_CYCLE_1) | instskip(NEXT) | instid1(VALU_DEP_1)
	v_cndmask_b32_e64 v7, 0, 1, s0
	v_add_nc_u32_e32 v5, v5, v7
.LBB316_2424:
	s_or_b32 exec_lo, exec_lo, s12
.LBB316_2425:
	s_mov_b32 s0, 0
.LBB316_2426:
	s_delay_alu instid0(SALU_CYCLE_1)
	s_and_not1_b32 vcc_lo, exec_lo, s0
	s_cbranch_vccnz .LBB316_2430
; %bb.2427:
	s_wait_loadcnt 0x0
	global_load_b32 v5, v[18:19], off
	s_mov_b32 s12, exec_lo
	s_wait_loadcnt 0x0
	v_cvt_f32_f16_e32 v7, v5
	v_mov_b32_e32 v5, 0xff
	s_delay_alu instid0(VALU_DEP_2) | instskip(SKIP_1) | instid1(VALU_DEP_1)
	v_bfe_u32 v9, v7, 23, 8
	s_wait_xcnt 0x0
	v_cmpx_ne_u32_e32 0xff, v9
	s_cbranch_execz .LBB316_2429
; %bb.2428:
	v_and_b32_e32 v5, 0x400000, v7
	v_and_or_b32 v9, 0x3fffff, v7, v9
	s_delay_alu instid0(VALU_DEP_2) | instskip(NEXT) | instid1(VALU_DEP_2)
	v_cmp_ne_u32_e32 vcc_lo, 0, v5
	v_cmp_ne_u32_e64 s0, 0, v9
	v_lshrrev_b32_e32 v5, 23, v7
	s_and_b32 s0, vcc_lo, s0
	s_delay_alu instid0(SALU_CYCLE_1) | instskip(NEXT) | instid1(VALU_DEP_1)
	v_cndmask_b32_e64 v7, 0, 1, s0
	v_add_nc_u32_e32 v5, v5, v7
.LBB316_2429:
	s_or_b32 exec_lo, exec_lo, s12
.LBB316_2430:
	s_mov_b32 s0, 0
.LBB316_2431:
	s_delay_alu instid0(SALU_CYCLE_1)
	s_and_not1_b32 vcc_lo, exec_lo, s0
	s_cbranch_vccnz .LBB316_2448
; %bb.2432:
	s_cmp_lt_i32 s1, 6
	s_cbranch_scc1 .LBB316_2437
; %bb.2433:
	s_cmp_gt_i32 s1, 6
	s_cbranch_scc0 .LBB316_2438
; %bb.2434:
	global_load_b64 v[20:21], v[18:19], off
	s_wait_loadcnt 0x1
	v_mov_b32_e32 v5, 0xff
	s_mov_b32 s12, exec_lo
	s_wait_loadcnt 0x0
	v_cvt_f32_f64_e32 v7, v[20:21]
	s_delay_alu instid0(VALU_DEP_1) | instskip(SKIP_1) | instid1(VALU_DEP_1)
	v_bfe_u32 v9, v7, 23, 8
	s_wait_xcnt 0x0
	v_cmpx_ne_u32_e32 0xff, v9
	s_cbranch_execz .LBB316_2436
; %bb.2435:
	v_and_b32_e32 v5, 0x400000, v7
	v_and_or_b32 v9, 0x3fffff, v7, v9
	s_delay_alu instid0(VALU_DEP_2) | instskip(NEXT) | instid1(VALU_DEP_2)
	v_cmp_ne_u32_e32 vcc_lo, 0, v5
	v_cmp_ne_u32_e64 s0, 0, v9
	v_lshrrev_b32_e32 v5, 23, v7
	s_and_b32 s0, vcc_lo, s0
	s_delay_alu instid0(SALU_CYCLE_1) | instskip(NEXT) | instid1(VALU_DEP_1)
	v_cndmask_b32_e64 v7, 0, 1, s0
	v_add_nc_u32_e32 v5, v5, v7
.LBB316_2436:
	s_or_b32 exec_lo, exec_lo, s12
	s_mov_b32 s0, 0
	s_branch .LBB316_2439
.LBB316_2437:
	s_mov_b32 s0, -1
                                        ; implicit-def: $vgpr5
	s_branch .LBB316_2444
.LBB316_2438:
	s_mov_b32 s0, -1
                                        ; implicit-def: $vgpr5
.LBB316_2439:
	s_delay_alu instid0(SALU_CYCLE_1)
	s_and_not1_b32 vcc_lo, exec_lo, s0
	s_cbranch_vccnz .LBB316_2443
; %bb.2440:
	global_load_b32 v7, v[18:19], off
	s_wait_loadcnt 0x1
	v_mov_b32_e32 v5, 0xff
	s_mov_b32 s12, exec_lo
	s_wait_loadcnt 0x0
	v_bfe_u32 v9, v7, 23, 8
	s_wait_xcnt 0x0
	s_delay_alu instid0(VALU_DEP_1)
	v_cmpx_ne_u32_e32 0xff, v9
	s_cbranch_execz .LBB316_2442
; %bb.2441:
	v_and_b32_e32 v5, 0x400000, v7
	v_and_or_b32 v9, 0x3fffff, v7, v9
	s_delay_alu instid0(VALU_DEP_2) | instskip(NEXT) | instid1(VALU_DEP_2)
	v_cmp_ne_u32_e32 vcc_lo, 0, v5
	v_cmp_ne_u32_e64 s0, 0, v9
	v_lshrrev_b32_e32 v5, 23, v7
	s_and_b32 s0, vcc_lo, s0
	s_delay_alu instid0(SALU_CYCLE_1) | instskip(NEXT) | instid1(VALU_DEP_1)
	v_cndmask_b32_e64 v7, 0, 1, s0
	v_add_nc_u32_e32 v5, v5, v7
.LBB316_2442:
	s_or_b32 exec_lo, exec_lo, s12
.LBB316_2443:
	s_mov_b32 s0, 0
.LBB316_2444:
	s_delay_alu instid0(SALU_CYCLE_1)
	s_and_not1_b32 vcc_lo, exec_lo, s0
	s_cbranch_vccnz .LBB316_2448
; %bb.2445:
	s_wait_loadcnt 0x0
	global_load_u16 v5, v[18:19], off
	s_mov_b32 s12, exec_lo
	s_wait_loadcnt 0x0
	v_cvt_f32_f16_e32 v7, v5
	v_mov_b32_e32 v5, 0xff
	s_delay_alu instid0(VALU_DEP_2) | instskip(SKIP_1) | instid1(VALU_DEP_1)
	v_bfe_u32 v9, v7, 23, 8
	s_wait_xcnt 0x0
	v_cmpx_ne_u32_e32 0xff, v9
	s_cbranch_execz .LBB316_2447
; %bb.2446:
	v_and_b32_e32 v5, 0x400000, v7
	v_and_or_b32 v9, 0x3fffff, v7, v9
	s_delay_alu instid0(VALU_DEP_2) | instskip(NEXT) | instid1(VALU_DEP_2)
	v_cmp_ne_u32_e32 vcc_lo, 0, v5
	v_cmp_ne_u32_e64 s0, 0, v9
	v_lshrrev_b32_e32 v5, 23, v7
	s_and_b32 s0, vcc_lo, s0
	s_delay_alu instid0(SALU_CYCLE_1) | instskip(NEXT) | instid1(VALU_DEP_1)
	v_cndmask_b32_e64 v7, 0, 1, s0
	v_add_nc_u32_e32 v5, v5, v7
.LBB316_2447:
	s_or_b32 exec_lo, exec_lo, s12
.LBB316_2448:
	s_mov_b32 s0, 0
.LBB316_2449:
	s_delay_alu instid0(SALU_CYCLE_1)
	s_and_not1_b32 vcc_lo, exec_lo, s0
	s_cbranch_vccnz .LBB316_2479
; %bb.2450:
	s_cmp_lt_i32 s1, 2
	s_cbranch_scc1 .LBB316_2456
; %bb.2451:
	s_cmp_lt_i32 s1, 3
	s_cbranch_scc1 .LBB316_2457
; %bb.2452:
	s_cmp_gt_i32 s1, 3
	s_cbranch_scc0 .LBB316_2458
; %bb.2453:
	global_load_b64 v[20:21], v[18:19], off
	s_mov_b32 s12, exec_lo
	s_wait_loadcnt 0x0
	v_xor_b32_e32 v5, v20, v21
	v_cls_i32_e32 v7, v21
	s_delay_alu instid0(VALU_DEP_2) | instskip(NEXT) | instid1(VALU_DEP_1)
	v_ashrrev_i32_e32 v5, 31, v5
	v_add_nc_u32_e32 v5, 32, v5
	s_delay_alu instid0(VALU_DEP_1) | instskip(NEXT) | instid1(VALU_DEP_1)
	v_add_min_u32_e64 v5, v7, -1, v5
	v_lshlrev_b64_e32 v[20:21], v5, v[20:21]
	v_sub_nc_u32_e32 v5, 32, v5
	s_delay_alu instid0(VALU_DEP_2) | instskip(NEXT) | instid1(VALU_DEP_1)
	v_min_u32_e32 v7, 1, v20
	v_or_b32_e32 v7, v21, v7
	s_delay_alu instid0(VALU_DEP_1) | instskip(NEXT) | instid1(VALU_DEP_1)
	v_cvt_f32_i32_e32 v7, v7
	v_ldexp_f32 v7, v7, v5
	v_mov_b32_e32 v5, 0xff
	s_delay_alu instid0(VALU_DEP_2) | instskip(SKIP_1) | instid1(VALU_DEP_1)
	v_bfe_u32 v9, v7, 23, 8
	s_wait_xcnt 0x0
	v_cmpx_ne_u32_e32 0xff, v9
	s_cbranch_execz .LBB316_2455
; %bb.2454:
	v_and_b32_e32 v5, 0x400000, v7
	v_and_or_b32 v9, 0x3fffff, v7, v9
	s_delay_alu instid0(VALU_DEP_2) | instskip(NEXT) | instid1(VALU_DEP_2)
	v_cmp_ne_u32_e32 vcc_lo, 0, v5
	v_cmp_ne_u32_e64 s0, 0, v9
	v_lshrrev_b32_e32 v5, 23, v7
	s_and_b32 s0, vcc_lo, s0
	s_delay_alu instid0(SALU_CYCLE_1) | instskip(NEXT) | instid1(VALU_DEP_1)
	v_cndmask_b32_e64 v7, 0, 1, s0
	v_add_nc_u32_e32 v5, v5, v7
.LBB316_2455:
	s_or_b32 exec_lo, exec_lo, s12
	s_mov_b32 s0, 0
	s_branch .LBB316_2459
.LBB316_2456:
	s_mov_b32 s0, -1
                                        ; implicit-def: $vgpr5
	s_branch .LBB316_2469
.LBB316_2457:
	s_mov_b32 s0, -1
                                        ; implicit-def: $vgpr5
	s_branch .LBB316_2464
.LBB316_2458:
	s_mov_b32 s0, -1
                                        ; implicit-def: $vgpr5
.LBB316_2459:
	s_delay_alu instid0(SALU_CYCLE_1)
	s_and_not1_b32 vcc_lo, exec_lo, s0
	s_cbranch_vccnz .LBB316_2463
; %bb.2460:
	s_wait_loadcnt 0x0
	global_load_b32 v5, v[18:19], off
	s_mov_b32 s12, exec_lo
	s_wait_loadcnt 0x0
	v_cvt_f32_i32_e32 v7, v5
	v_mov_b32_e32 v5, 0xff
	s_delay_alu instid0(VALU_DEP_2) | instskip(SKIP_1) | instid1(VALU_DEP_1)
	v_bfe_u32 v9, v7, 23, 8
	s_wait_xcnt 0x0
	v_cmpx_ne_u32_e32 0xff, v9
	s_cbranch_execz .LBB316_2462
; %bb.2461:
	v_and_b32_e32 v5, 0x400000, v7
	v_and_or_b32 v9, 0x3fffff, v7, v9
	s_delay_alu instid0(VALU_DEP_2) | instskip(NEXT) | instid1(VALU_DEP_2)
	v_cmp_ne_u32_e32 vcc_lo, 0, v5
	v_cmp_ne_u32_e64 s0, 0, v9
	v_lshrrev_b32_e32 v5, 23, v7
	s_and_b32 s0, vcc_lo, s0
	s_delay_alu instid0(SALU_CYCLE_1) | instskip(NEXT) | instid1(VALU_DEP_1)
	v_cndmask_b32_e64 v7, 0, 1, s0
	v_add_nc_u32_e32 v5, v5, v7
.LBB316_2462:
	s_or_b32 exec_lo, exec_lo, s12
.LBB316_2463:
	s_mov_b32 s0, 0
.LBB316_2464:
	s_delay_alu instid0(SALU_CYCLE_1)
	s_and_not1_b32 vcc_lo, exec_lo, s0
	s_cbranch_vccnz .LBB316_2468
; %bb.2465:
	s_wait_loadcnt 0x0
	global_load_i16 v5, v[18:19], off
	s_mov_b32 s12, exec_lo
	s_wait_loadcnt 0x0
	v_cvt_f32_i32_e32 v7, v5
	v_mov_b32_e32 v5, 0xff
	s_delay_alu instid0(VALU_DEP_2) | instskip(SKIP_1) | instid1(VALU_DEP_1)
	v_bfe_u32 v9, v7, 23, 8
	s_wait_xcnt 0x0
	v_cmpx_ne_u32_e32 0xff, v9
	s_cbranch_execz .LBB316_2467
; %bb.2466:
	v_and_b32_e32 v5, 0x400000, v7
	v_and_or_b32 v9, 0x3fffff, v7, v9
	s_delay_alu instid0(VALU_DEP_2) | instskip(NEXT) | instid1(VALU_DEP_2)
	v_cmp_ne_u32_e32 vcc_lo, 0, v5
	v_cmp_ne_u32_e64 s0, 0, v9
	v_lshrrev_b32_e32 v5, 23, v7
	s_and_b32 s0, vcc_lo, s0
	s_delay_alu instid0(SALU_CYCLE_1) | instskip(NEXT) | instid1(VALU_DEP_1)
	v_cndmask_b32_e64 v7, 0, 1, s0
	v_add_nc_u32_e32 v5, v5, v7
.LBB316_2467:
	s_or_b32 exec_lo, exec_lo, s12
.LBB316_2468:
	s_mov_b32 s0, 0
.LBB316_2469:
	s_delay_alu instid0(SALU_CYCLE_1)
	s_and_not1_b32 vcc_lo, exec_lo, s0
	s_cbranch_vccnz .LBB316_2479
; %bb.2470:
	s_cmp_gt_i32 s1, 0
	s_cbranch_scc0 .LBB316_2474
; %bb.2471:
	s_wait_loadcnt 0x0
	global_load_i8 v5, v[18:19], off
	s_mov_b32 s12, exec_lo
	s_wait_loadcnt 0x0
	v_cvt_f32_i32_e32 v7, v5
	v_mov_b32_e32 v5, 0xff
	s_delay_alu instid0(VALU_DEP_2) | instskip(SKIP_1) | instid1(VALU_DEP_1)
	v_bfe_u32 v9, v7, 23, 8
	s_wait_xcnt 0x0
	v_cmpx_ne_u32_e32 0xff, v9
	s_cbranch_execz .LBB316_2473
; %bb.2472:
	v_and_b32_e32 v5, 0x400000, v7
	v_and_or_b32 v9, 0x3fffff, v7, v9
	s_delay_alu instid0(VALU_DEP_2) | instskip(NEXT) | instid1(VALU_DEP_2)
	v_cmp_ne_u32_e32 vcc_lo, 0, v5
	v_cmp_ne_u32_e64 s0, 0, v9
	v_lshrrev_b32_e32 v5, 23, v7
	s_and_b32 s0, vcc_lo, s0
	s_delay_alu instid0(SALU_CYCLE_1) | instskip(NEXT) | instid1(VALU_DEP_1)
	v_cndmask_b32_e64 v7, 0, 1, s0
	v_add_nc_u32_e32 v5, v5, v7
.LBB316_2473:
	s_or_b32 exec_lo, exec_lo, s12
	s_mov_b32 s0, 0
	s_branch .LBB316_2475
.LBB316_2474:
	s_mov_b32 s0, -1
                                        ; implicit-def: $vgpr5
.LBB316_2475:
	s_delay_alu instid0(SALU_CYCLE_1)
	s_and_not1_b32 vcc_lo, exec_lo, s0
	s_cbranch_vccnz .LBB316_2479
; %bb.2476:
	s_wait_loadcnt 0x0
	global_load_u8 v5, v[18:19], off
	s_mov_b32 s12, exec_lo
	s_wait_loadcnt 0x0
	v_cvt_f32_ubyte0_e32 v9, v5
	v_mov_b32_e32 v5, 0xff
	s_delay_alu instid0(VALU_DEP_2) | instskip(SKIP_1) | instid1(VALU_DEP_1)
	v_lshrrev_b32_e32 v7, 23, v9
	s_wait_xcnt 0x0
	v_cmpx_ne_u32_e32 0xff, v7
; %bb.2477:
	v_and_b32_e32 v5, 0x400000, v9
	v_and_or_b32 v9, 0x3fffff, v9, v7
	s_delay_alu instid0(VALU_DEP_2) | instskip(NEXT) | instid1(VALU_DEP_2)
	v_cmp_ne_u32_e32 vcc_lo, 0, v5
	v_cmp_ne_u32_e64 s0, 0, v9
	s_and_b32 s0, vcc_lo, s0
	s_delay_alu instid0(SALU_CYCLE_1) | instskip(NEXT) | instid1(VALU_DEP_1)
	v_cndmask_b32_e64 v5, 0, 1, s0
	v_add_nc_u32_e32 v5, v7, v5
; %bb.2478:
	s_or_b32 exec_lo, exec_lo, s12
.LBB316_2479:
.LBB316_2480:
	v_mov_b32_e32 v17, 0
	s_and_b32 s11, 0xffff, s11
	s_delay_alu instid0(SALU_CYCLE_1) | instskip(NEXT) | instid1(VALU_DEP_1)
	s_cmp_lt_i32 s11, 11
	v_add_nc_u64_e32 v[16:17], s[2:3], v[16:17]
	s_cbranch_scc1 .LBB316_2489
; %bb.2481:
	s_cmp_gt_i32 s11, 25
	s_mov_b32 s13, 0
	s_cbranch_scc0 .LBB316_2490
; %bb.2482:
	s_cmp_gt_i32 s11, 28
	s_cbranch_scc0 .LBB316_2491
; %bb.2483:
	s_cmp_gt_i32 s11, 43
	;; [unrolled: 3-line block ×3, first 2 shown]
	s_cbranch_scc0 .LBB316_2494
; %bb.2485:
	s_cmp_eq_u32 s11, 46
	s_mov_b32 s14, 0
	s_cbranch_scc0 .LBB316_2495
; %bb.2486:
	global_load_b32 v7, v[16:17], off
	s_mov_b32 s12, exec_lo
	s_wait_loadcnt 0x0
	s_wait_xcnt 0x1
	v_dual_mov_b32 v18, 0xff :: v_dual_lshlrev_b32 v9, 16, v7
	s_delay_alu instid0(VALU_DEP_1) | instskip(SKIP_1) | instid1(VALU_DEP_1)
	v_bfe_u32 v11, v9, 23, 8
	s_wait_xcnt 0x0
	v_cmpx_ne_u32_e32 0xff, v11
	s_cbranch_execz .LBB316_2488
; %bb.2487:
	v_and_b32_e32 v13, 64, v7
	v_and_or_b32 v9, 0x3f0000, v9, v11
	v_bfe_u32 v7, v7, 7, 9
	s_delay_alu instid0(VALU_DEP_3) | instskip(NEXT) | instid1(VALU_DEP_3)
	v_cmp_ne_u32_e32 vcc_lo, 0, v13
	v_cmp_ne_u32_e64 s0, 0, v9
	s_and_b32 s0, vcc_lo, s0
	s_delay_alu instid0(SALU_CYCLE_1) | instskip(NEXT) | instid1(VALU_DEP_1)
	v_cndmask_b32_e64 v9, 0, 1, s0
	v_add_nc_u32_e32 v18, v7, v9
.LBB316_2488:
	s_or_b32 exec_lo, exec_lo, s12
	s_mov_b32 s12, 0
	s_mov_b32 s0, -1
	s_branch .LBB316_2497
.LBB316_2489:
	s_mov_b32 s12, -1
	s_mov_b32 s0, 0
                                        ; implicit-def: $vgpr18
	s_branch .LBB316_2581
.LBB316_2490:
	s_mov_b32 s14, -1
	s_mov_b32 s0, 0
	s_mov_b32 s12, 0
                                        ; implicit-def: $vgpr18
	s_branch .LBB316_2536
.LBB316_2491:
	s_mov_b32 s14, -1
	s_mov_b32 s0, 0
	s_mov_b32 s12, 0
                                        ; implicit-def: $vgpr18
	s_branch .LBB316_2509
.LBB316_2492:
	s_mov_b32 s14, -1
	s_mov_b32 s0, 0
	s_mov_b32 s12, 0
                                        ; implicit-def: $vgpr18
	s_branch .LBB316_2502
.LBB316_2493:
	s_or_b32 s10, s10, exec_lo
	s_trap 2
	s_cbranch_execz .LBB316_2406
	s_branch .LBB316_2409
.LBB316_2494:
	s_mov_b32 s14, -1
	s_mov_b32 s0, 0
	s_mov_b32 s12, 0
	s_branch .LBB316_2496
.LBB316_2495:
	s_mov_b32 s12, -1
	s_mov_b32 s0, 0
.LBB316_2496:
                                        ; implicit-def: $vgpr18
.LBB316_2497:
	s_and_b32 vcc_lo, exec_lo, s14
	s_cbranch_vccz .LBB316_2501
; %bb.2498:
	s_cmp_eq_u32 s11, 44
	s_cbranch_scc0 .LBB316_2500
; %bb.2499:
	global_load_u8 v18, v[16:17], off
	s_mov_b32 s12, 0
	s_mov_b32 s0, -1
	s_branch .LBB316_2501
.LBB316_2500:
	s_mov_b32 s12, -1
                                        ; implicit-def: $vgpr18
.LBB316_2501:
	s_mov_b32 s14, 0
.LBB316_2502:
	s_delay_alu instid0(SALU_CYCLE_1)
	s_and_b32 vcc_lo, exec_lo, s14
	s_cbranch_vccz .LBB316_2508
; %bb.2503:
	s_cmp_eq_u32 s11, 29
	s_cbranch_scc0 .LBB316_2507
; %bb.2504:
	s_wait_loadcnt 0x0
	global_load_b64 v[18:19], v[16:17], off
	s_mov_b32 s12, exec_lo
	s_wait_loadcnt 0x0
	v_clz_i32_u32_e32 v7, v19
	s_delay_alu instid0(VALU_DEP_1) | instskip(NEXT) | instid1(VALU_DEP_1)
	v_min_u32_e32 v7, 32, v7
	v_lshlrev_b64_e32 v[18:19], v7, v[18:19]
	v_sub_nc_u32_e32 v7, 32, v7
	s_delay_alu instid0(VALU_DEP_2) | instskip(SKIP_1) | instid1(VALU_DEP_2)
	v_min_u32_e32 v9, 1, v18
	v_mov_b32_e32 v18, 0xff
	v_or_b32_e32 v9, v19, v9
	s_delay_alu instid0(VALU_DEP_1) | instskip(NEXT) | instid1(VALU_DEP_1)
	v_cvt_f32_u32_e32 v9, v9
	v_ldexp_f32 v9, v9, v7
	s_delay_alu instid0(VALU_DEP_1) | instskip(SKIP_1) | instid1(VALU_DEP_1)
	v_lshrrev_b32_e32 v7, 23, v9
	s_wait_xcnt 0x0
	v_cmpx_ne_u32_e32 0xff, v7
; %bb.2505:
	v_and_b32_e32 v11, 0x400000, v9
	v_and_or_b32 v9, 0x3fffff, v9, v7
	s_delay_alu instid0(VALU_DEP_2) | instskip(NEXT) | instid1(VALU_DEP_2)
	v_cmp_ne_u32_e32 vcc_lo, 0, v11
	v_cmp_ne_u32_e64 s0, 0, v9
	s_and_b32 s0, vcc_lo, s0
	s_delay_alu instid0(SALU_CYCLE_1) | instskip(NEXT) | instid1(VALU_DEP_1)
	v_cndmask_b32_e64 v9, 0, 1, s0
	v_add_nc_u32_e32 v18, v7, v9
; %bb.2506:
	s_or_b32 exec_lo, exec_lo, s12
	s_mov_b32 s12, 0
	s_mov_b32 s0, -1
	s_branch .LBB316_2508
.LBB316_2507:
	s_mov_b32 s12, -1
                                        ; implicit-def: $vgpr18
.LBB316_2508:
	s_mov_b32 s14, 0
.LBB316_2509:
	s_delay_alu instid0(SALU_CYCLE_1)
	s_and_b32 vcc_lo, exec_lo, s14
	s_cbranch_vccz .LBB316_2535
; %bb.2510:
	s_cmp_lt_i32 s11, 27
	s_cbranch_scc1 .LBB316_2515
; %bb.2511:
	s_cmp_gt_i32 s11, 27
	s_cbranch_scc0 .LBB316_2516
; %bb.2512:
	global_load_b32 v7, v[16:17], off
	s_mov_b32 s14, exec_lo
	s_wait_loadcnt 0x1
	s_wait_xcnt 0x1
	v_mov_b32_e32 v18, 0xff
	s_wait_loadcnt 0x0
	v_cvt_f32_u32_e32 v9, v7
	s_delay_alu instid0(VALU_DEP_1) | instskip(SKIP_1) | instid1(VALU_DEP_1)
	v_lshrrev_b32_e32 v7, 23, v9
	s_wait_xcnt 0x0
	v_cmpx_ne_u32_e32 0xff, v7
; %bb.2513:
	v_and_b32_e32 v11, 0x400000, v9
	v_and_or_b32 v9, 0x3fffff, v9, v7
	s_delay_alu instid0(VALU_DEP_2) | instskip(NEXT) | instid1(VALU_DEP_2)
	v_cmp_ne_u32_e32 vcc_lo, 0, v11
	v_cmp_ne_u32_e64 s0, 0, v9
	s_and_b32 s0, vcc_lo, s0
	s_delay_alu instid0(SALU_CYCLE_1) | instskip(NEXT) | instid1(VALU_DEP_1)
	v_cndmask_b32_e64 v9, 0, 1, s0
	v_add_nc_u32_e32 v18, v7, v9
; %bb.2514:
	s_or_b32 exec_lo, exec_lo, s14
	s_mov_b32 s0, 0
	s_branch .LBB316_2517
.LBB316_2515:
	s_mov_b32 s0, -1
                                        ; implicit-def: $vgpr18
	s_branch .LBB316_2522
.LBB316_2516:
	s_mov_b32 s0, -1
                                        ; implicit-def: $vgpr18
.LBB316_2517:
	s_delay_alu instid0(SALU_CYCLE_1)
	s_and_not1_b32 vcc_lo, exec_lo, s0
	s_cbranch_vccnz .LBB316_2521
; %bb.2518:
	global_load_u16 v7, v[16:17], off
	s_mov_b32 s14, exec_lo
	s_wait_loadcnt 0x1
	s_wait_xcnt 0x1
	v_mov_b32_e32 v18, 0xff
	s_wait_loadcnt 0x0
	v_cvt_f32_u32_e32 v9, v7
	s_delay_alu instid0(VALU_DEP_1) | instskip(SKIP_1) | instid1(VALU_DEP_1)
	v_lshrrev_b32_e32 v7, 23, v9
	s_wait_xcnt 0x0
	v_cmpx_ne_u32_e32 0xff, v7
; %bb.2519:
	v_and_b32_e32 v11, 0x400000, v9
	v_and_or_b32 v9, 0x3fffff, v9, v7
	s_delay_alu instid0(VALU_DEP_2) | instskip(NEXT) | instid1(VALU_DEP_2)
	v_cmp_ne_u32_e32 vcc_lo, 0, v11
	v_cmp_ne_u32_e64 s0, 0, v9
	s_and_b32 s0, vcc_lo, s0
	s_delay_alu instid0(SALU_CYCLE_1) | instskip(NEXT) | instid1(VALU_DEP_1)
	v_cndmask_b32_e64 v9, 0, 1, s0
	v_add_nc_u32_e32 v18, v7, v9
; %bb.2520:
	s_or_b32 exec_lo, exec_lo, s14
.LBB316_2521:
	s_mov_b32 s0, 0
.LBB316_2522:
	s_delay_alu instid0(SALU_CYCLE_1)
	s_and_not1_b32 vcc_lo, exec_lo, s0
	s_cbranch_vccnz .LBB316_2534
; %bb.2523:
	global_load_u8 v7, v[16:17], off
	s_mov_b32 s0, 0
	s_mov_b32 s14, exec_lo
	s_wait_loadcnt 0x0
	v_cmpx_lt_i16_e32 0x7f, v7
	s_xor_b32 s14, exec_lo, s14
	s_cbranch_execz .LBB316_2527
; %bb.2524:
	s_mov_b32 s0, -1
	s_mov_b32 s15, exec_lo
	v_cmpx_eq_u16_e32 0x80, v7
; %bb.2525:
	s_xor_b32 s0, exec_lo, -1
; %bb.2526:
	s_or_b32 exec_lo, exec_lo, s15
	s_delay_alu instid0(SALU_CYCLE_1)
	s_and_b32 s0, s0, exec_lo
.LBB316_2527:
	s_or_saveexec_b32 s14, s14
	v_mov_b32_e32 v9, 0x7f800001
	v_and_b32_e32 v11, 0xffff, v7
	s_xor_b32 exec_lo, exec_lo, s14
; %bb.2528:
	v_cmp_ne_u16_e32 vcc_lo, 0, v7
	s_delay_alu instid0(VALU_DEP_2) | instskip(SKIP_2) | instid1(SALU_CYCLE_1)
	v_mov_b32_e32 v9, v11
	s_and_not1_b32 s0, s0, exec_lo
	s_and_b32 s15, vcc_lo, exec_lo
	s_or_b32 s0, s0, s15
; %bb.2529:
	s_or_b32 exec_lo, exec_lo, s14
	s_and_saveexec_b32 s14, s0
	s_cbranch_execz .LBB316_2531
; %bb.2530:
	v_and_b32_e32 v7, 7, v11
	s_delay_alu instid0(VALU_DEP_1) | instskip(NEXT) | instid1(VALU_DEP_1)
	v_clz_i32_u32_e32 v9, v7
	v_min_u32_e32 v9, 32, v9
	s_delay_alu instid0(VALU_DEP_1) | instskip(NEXT) | instid1(VALU_DEP_1)
	v_subrev_nc_u32_e32 v13, 28, v9
	v_lshlrev_b32_e32 v13, v13, v11
	v_bfe_u32 v11, v11, 3, 4
	s_delay_alu instid0(VALU_DEP_2) | instskip(NEXT) | instid1(VALU_DEP_2)
	v_and_b32_e32 v13, 7, v13
	v_cmp_eq_u32_e32 vcc_lo, 0, v11
	s_delay_alu instid0(VALU_DEP_2) | instskip(NEXT) | instid1(VALU_DEP_1)
	v_cndmask_b32_e32 v7, v7, v13, vcc_lo
	v_dual_sub_nc_u32 v9, 29, v9 :: v_dual_lshlrev_b32 v7, 20, v7
	s_delay_alu instid0(VALU_DEP_1) | instskip(NEXT) | instid1(VALU_DEP_1)
	v_cndmask_b32_e32 v9, v11, v9, vcc_lo
	v_lshl_or_b32 v7, v9, 23, v7
	s_delay_alu instid0(VALU_DEP_1)
	v_add_nc_u32_e32 v9, 0x3b800000, v7
.LBB316_2531:
	s_or_b32 exec_lo, exec_lo, s14
	s_delay_alu instid0(VALU_DEP_1) | instskip(SKIP_1) | instid1(VALU_DEP_1)
	v_dual_mov_b32 v18, 0xff :: v_dual_lshrrev_b32 v7, 23, v9
	s_mov_b32 s14, exec_lo
	v_cmpx_ne_u32_e32 0xff, v7
; %bb.2532:
	v_and_b32_e32 v11, 0x400000, v9
	v_and_or_b32 v9, 0x3fffff, v9, v7
	s_delay_alu instid0(VALU_DEP_2) | instskip(NEXT) | instid1(VALU_DEP_2)
	v_cmp_ne_u32_e32 vcc_lo, 0, v11
	v_cmp_ne_u32_e64 s0, 0, v9
	s_and_b32 s0, vcc_lo, s0
	s_delay_alu instid0(SALU_CYCLE_1) | instskip(NEXT) | instid1(VALU_DEP_1)
	v_cndmask_b32_e64 v9, 0, 1, s0
	v_add_nc_u32_e32 v18, v7, v9
; %bb.2533:
	s_or_b32 exec_lo, exec_lo, s14
.LBB316_2534:
	s_mov_b32 s0, -1
.LBB316_2535:
	s_mov_b32 s14, 0
.LBB316_2536:
	s_delay_alu instid0(SALU_CYCLE_1)
	s_and_b32 vcc_lo, exec_lo, s14
	s_cbranch_vccz .LBB316_2575
; %bb.2537:
	s_cmp_gt_i32 s11, 22
	s_cbranch_scc0 .LBB316_2551
; %bb.2538:
	s_cmp_lt_i32 s11, 24
	s_cbranch_scc1 .LBB316_2552
; %bb.2539:
	s_cmp_gt_i32 s11, 24
	s_cbranch_scc0 .LBB316_2553
; %bb.2540:
	global_load_u8 v7, v[16:17], off
	s_mov_b32 s0, 0
	s_mov_b32 s13, exec_lo
	s_wait_loadcnt 0x0
	v_cmpx_lt_i16_e32 0x7f, v7
	s_xor_b32 s13, exec_lo, s13
	s_cbranch_execz .LBB316_2544
; %bb.2541:
	s_mov_b32 s0, -1
	s_mov_b32 s14, exec_lo
	v_cmpx_eq_u16_e32 0x80, v7
; %bb.2542:
	s_xor_b32 s0, exec_lo, -1
; %bb.2543:
	s_or_b32 exec_lo, exec_lo, s14
	s_delay_alu instid0(SALU_CYCLE_1)
	s_and_b32 s0, s0, exec_lo
.LBB316_2544:
	s_or_saveexec_b32 s13, s13
	v_mov_b32_e32 v9, 0x7f800001
	v_and_b32_e32 v11, 0xffff, v7
	s_xor_b32 exec_lo, exec_lo, s13
; %bb.2545:
	v_cmp_ne_u16_e32 vcc_lo, 0, v7
	s_delay_alu instid0(VALU_DEP_2) | instskip(SKIP_2) | instid1(SALU_CYCLE_1)
	v_mov_b32_e32 v9, v11
	s_and_not1_b32 s0, s0, exec_lo
	s_and_b32 s14, vcc_lo, exec_lo
	s_or_b32 s0, s0, s14
; %bb.2546:
	s_or_b32 exec_lo, exec_lo, s13
	s_and_saveexec_b32 s13, s0
	s_cbranch_execz .LBB316_2548
; %bb.2547:
	v_and_b32_e32 v7, 3, v11
	s_delay_alu instid0(VALU_DEP_1) | instskip(NEXT) | instid1(VALU_DEP_1)
	v_clz_i32_u32_e32 v9, v7
	v_min_u32_e32 v9, 32, v9
	s_delay_alu instid0(VALU_DEP_1) | instskip(NEXT) | instid1(VALU_DEP_1)
	v_subrev_nc_u32_e32 v13, 29, v9
	v_lshlrev_b32_e32 v13, v13, v11
	v_bfe_u32 v11, v11, 2, 5
	s_delay_alu instid0(VALU_DEP_2) | instskip(NEXT) | instid1(VALU_DEP_2)
	v_and_b32_e32 v13, 3, v13
	v_cmp_eq_u32_e32 vcc_lo, 0, v11
	s_delay_alu instid0(VALU_DEP_2) | instskip(NEXT) | instid1(VALU_DEP_1)
	v_cndmask_b32_e32 v7, v7, v13, vcc_lo
	v_dual_sub_nc_u32 v9, 30, v9 :: v_dual_lshlrev_b32 v7, 21, v7
	s_delay_alu instid0(VALU_DEP_1) | instskip(NEXT) | instid1(VALU_DEP_1)
	v_cndmask_b32_e32 v9, v11, v9, vcc_lo
	v_lshl_or_b32 v7, v9, 23, v7
	s_delay_alu instid0(VALU_DEP_1)
	v_add_nc_u32_e32 v9, 0x37800000, v7
.LBB316_2548:
	s_or_b32 exec_lo, exec_lo, s13
	s_delay_alu instid0(VALU_DEP_1) | instskip(SKIP_1) | instid1(VALU_DEP_1)
	v_dual_mov_b32 v18, 0xff :: v_dual_lshrrev_b32 v7, 23, v9
	s_mov_b32 s13, exec_lo
	v_cmpx_ne_u32_e32 0xff, v7
; %bb.2549:
	v_and_b32_e32 v11, 0x400000, v9
	v_and_or_b32 v9, 0x3fffff, v9, v7
	s_delay_alu instid0(VALU_DEP_2) | instskip(NEXT) | instid1(VALU_DEP_2)
	v_cmp_ne_u32_e32 vcc_lo, 0, v11
	v_cmp_ne_u32_e64 s0, 0, v9
	s_and_b32 s0, vcc_lo, s0
	s_delay_alu instid0(SALU_CYCLE_1) | instskip(NEXT) | instid1(VALU_DEP_1)
	v_cndmask_b32_e64 v9, 0, 1, s0
	v_add_nc_u32_e32 v18, v7, v9
; %bb.2550:
	s_or_b32 exec_lo, exec_lo, s13
	s_mov_b32 s0, 0
	s_branch .LBB316_2554
.LBB316_2551:
	s_mov_b32 s13, -1
                                        ; implicit-def: $vgpr18
	s_branch .LBB316_2564
.LBB316_2552:
	s_mov_b32 s0, -1
                                        ; implicit-def: $vgpr18
	s_branch .LBB316_2559
.LBB316_2553:
	s_mov_b32 s0, -1
                                        ; implicit-def: $vgpr18
.LBB316_2554:
	s_delay_alu instid0(SALU_CYCLE_1)
	s_and_b32 vcc_lo, exec_lo, s0
	s_cbranch_vccz .LBB316_2558
; %bb.2555:
	global_load_u8 v7, v[16:17], off
	s_mov_b32 s13, exec_lo
	s_wait_loadcnt 0x0
	s_wait_xcnt 0x1
	v_dual_mov_b32 v18, 0xff :: v_dual_lshlrev_b32 v7, 24, v7
	s_delay_alu instid0(VALU_DEP_1) | instskip(NEXT) | instid1(VALU_DEP_1)
	v_and_b32_e32 v7, 0x7f000000, v7
	v_clz_i32_u32_e32 v9, v7
	v_cmp_ne_u32_e32 vcc_lo, 0, v7
	v_add_nc_u32_e32 v13, 0x1000000, v7
	s_delay_alu instid0(VALU_DEP_3) | instskip(NEXT) | instid1(VALU_DEP_1)
	v_min_u32_e32 v9, 32, v9
	v_sub_nc_u32_e64 v9, v9, 4 clamp
	s_delay_alu instid0(VALU_DEP_1) | instskip(NEXT) | instid1(VALU_DEP_1)
	v_dual_lshlrev_b32 v11, v9, v7 :: v_dual_lshlrev_b32 v9, 23, v9
	v_lshrrev_b32_e32 v11, 4, v11
	s_delay_alu instid0(VALU_DEP_1) | instskip(SKIP_1) | instid1(VALU_DEP_2)
	v_sub_nc_u32_e32 v9, v11, v9
	v_ashrrev_i32_e32 v11, 8, v13
	v_add_nc_u32_e32 v9, 0x3c000000, v9
	s_delay_alu instid0(VALU_DEP_1) | instskip(NEXT) | instid1(VALU_DEP_1)
	v_and_or_b32 v9, 0x7f800000, v11, v9
	v_cndmask_b32_e32 v9, 0, v9, vcc_lo
	s_delay_alu instid0(VALU_DEP_1) | instskip(SKIP_1) | instid1(VALU_DEP_1)
	v_lshrrev_b32_e32 v7, 23, v9
	s_wait_xcnt 0x0
	v_cmpx_ne_u32_e32 0xff, v7
; %bb.2556:
	v_and_b32_e32 v11, 0x400000, v9
	v_and_or_b32 v9, 0x3fffff, v9, v7
	s_delay_alu instid0(VALU_DEP_2) | instskip(NEXT) | instid1(VALU_DEP_2)
	v_cmp_ne_u32_e32 vcc_lo, 0, v11
	v_cmp_ne_u32_e64 s0, 0, v9
	s_and_b32 s0, vcc_lo, s0
	s_delay_alu instid0(SALU_CYCLE_1) | instskip(NEXT) | instid1(VALU_DEP_1)
	v_cndmask_b32_e64 v9, 0, 1, s0
	v_add_nc_u32_e32 v18, v7, v9
; %bb.2557:
	s_or_b32 exec_lo, exec_lo, s13
.LBB316_2558:
	s_mov_b32 s0, 0
.LBB316_2559:
	s_delay_alu instid0(SALU_CYCLE_1)
	s_and_not1_b32 vcc_lo, exec_lo, s0
	s_cbranch_vccnz .LBB316_2563
; %bb.2560:
	global_load_u8 v7, v[16:17], off
	s_mov_b32 s13, exec_lo
	s_wait_loadcnt 0x0
	s_wait_xcnt 0x1
	v_dual_mov_b32 v18, 0xff :: v_dual_lshlrev_b32 v9, 25, v7
	v_lshlrev_b32_e32 v7, 8, v7
	s_delay_alu instid0(VALU_DEP_2) | instskip(NEXT) | instid1(VALU_DEP_2)
	v_cmp_gt_u32_e32 vcc_lo, 0x8000000, v9
	v_and_or_b32 v7, 0x7f00, v7, 0.5
	s_delay_alu instid0(VALU_DEP_1) | instskip(NEXT) | instid1(VALU_DEP_1)
	v_dual_lshrrev_b32 v11, 4, v9 :: v_dual_add_f32 v7, -0.5, v7
	v_or_b32_e32 v11, 0x70000000, v11
	s_delay_alu instid0(VALU_DEP_1) | instskip(NEXT) | instid1(VALU_DEP_1)
	v_mul_f32_e32 v11, 0x7800000, v11
	v_cndmask_b32_e32 v7, v11, v7, vcc_lo
	s_delay_alu instid0(VALU_DEP_1) | instskip(SKIP_1) | instid1(VALU_DEP_1)
	v_bfe_u32 v9, v7, 23, 8
	s_wait_xcnt 0x0
	v_cmpx_ne_u32_e32 0xff, v9
	s_cbranch_execz .LBB316_2562
; %bb.2561:
	v_and_b32_e32 v11, 0x400000, v7
	v_and_or_b32 v9, 0x3fffff, v7, v9
	v_lshrrev_b32_e32 v7, 23, v7
	s_delay_alu instid0(VALU_DEP_3) | instskip(NEXT) | instid1(VALU_DEP_3)
	v_cmp_ne_u32_e32 vcc_lo, 0, v11
	v_cmp_ne_u32_e64 s0, 0, v9
	s_and_b32 s0, vcc_lo, s0
	s_delay_alu instid0(SALU_CYCLE_1) | instskip(NEXT) | instid1(VALU_DEP_1)
	v_cndmask_b32_e64 v9, 0, 1, s0
	v_add_nc_u32_e32 v18, v7, v9
.LBB316_2562:
	s_or_b32 exec_lo, exec_lo, s13
.LBB316_2563:
	s_mov_b32 s13, 0
	s_mov_b32 s0, -1
.LBB316_2564:
	s_and_not1_b32 vcc_lo, exec_lo, s13
	s_mov_b32 s13, 0
	s_cbranch_vccnz .LBB316_2575
; %bb.2565:
	s_cmp_gt_i32 s11, 14
	s_cbranch_scc0 .LBB316_2570
; %bb.2566:
	s_cmp_eq_u32 s11, 15
	s_cbranch_scc0 .LBB316_2571
; %bb.2567:
	global_load_u16 v7, v[16:17], off
	s_wait_loadcnt 0x1
	s_wait_xcnt 0x1
	v_mov_b32_e32 v18, 0xff
	s_mov_b32 s12, exec_lo
	s_wait_loadcnt 0x0
	v_bfe_u32 v9, v7, 7, 8
	s_wait_xcnt 0x0
	s_delay_alu instid0(VALU_DEP_1)
	v_cmpx_ne_u32_e32 0xff, v9
	s_cbranch_execz .LBB316_2569
; %bb.2568:
	v_dual_lshlrev_b32 v11, 16, v7 :: v_dual_bitop2_b32 v13, 64, v7 bitop3:0x40
	v_lshrrev_b32_e32 v7, 7, v7
	s_delay_alu instid0(VALU_DEP_2) | instskip(NEXT) | instid1(VALU_DEP_3)
	v_and_or_b32 v9, 0x3f0000, v11, v9
	v_cmp_ne_u32_e32 vcc_lo, 0, v13
	s_delay_alu instid0(VALU_DEP_2) | instskip(SKIP_1) | instid1(SALU_CYCLE_1)
	v_cmp_ne_u32_e64 s0, 0, v9
	s_and_b32 s0, vcc_lo, s0
	v_cndmask_b32_e64 v9, 0, 1, s0
	s_delay_alu instid0(VALU_DEP_1)
	v_add_nc_u32_e32 v18, v7, v9
.LBB316_2569:
	s_or_b32 exec_lo, exec_lo, s12
	s_mov_b32 s12, 0
	s_mov_b32 s0, -1
	s_branch .LBB316_2573
.LBB316_2570:
	s_mov_b32 s13, -1
	s_branch .LBB316_2572
.LBB316_2571:
	s_mov_b32 s12, -1
.LBB316_2572:
                                        ; implicit-def: $vgpr18
.LBB316_2573:
	s_and_b32 vcc_lo, exec_lo, s13
	s_mov_b32 s13, 0
	s_cbranch_vccz .LBB316_2575
; %bb.2574:
	s_cmp_lg_u32 s11, 11
	s_mov_b32 s13, -1
	s_cselect_b32 s12, -1, 0
.LBB316_2575:
	s_delay_alu instid0(SALU_CYCLE_1)
	s_and_b32 vcc_lo, exec_lo, s12
	s_cbranch_vccnz .LBB316_2666
; %bb.2576:
	s_and_not1_b32 vcc_lo, exec_lo, s13
	s_cbranch_vccnz .LBB316_2580
.LBB316_2577:
	global_load_u8 v7, v[16:17], off
	s_mov_b32 s12, exec_lo
	s_wait_loadcnt 0x1
	s_wait_xcnt 0x1
	v_mov_b32_e32 v18, 0xff
	s_wait_loadcnt 0x0
	v_cmp_ne_u16_e32 vcc_lo, 0, v7
	v_cndmask_b32_e64 v9, 0, 1.0, vcc_lo
	s_delay_alu instid0(VALU_DEP_1) | instskip(SKIP_1) | instid1(VALU_DEP_1)
	v_lshrrev_b32_e32 v7, 23, v9
	s_wait_xcnt 0x0
	v_cmpx_ne_u32_e32 0xff, v7
; %bb.2578:
	v_and_b32_e32 v11, 0x400000, v9
	v_and_or_b32 v9, 0x3fffff, v9, v7
	s_delay_alu instid0(VALU_DEP_2) | instskip(NEXT) | instid1(VALU_DEP_2)
	v_cmp_ne_u32_e32 vcc_lo, 0, v11
	v_cmp_ne_u32_e64 s0, 0, v9
	s_and_b32 s0, vcc_lo, s0
	s_delay_alu instid0(SALU_CYCLE_1) | instskip(NEXT) | instid1(VALU_DEP_1)
	v_cndmask_b32_e64 v9, 0, 1, s0
	v_add_nc_u32_e32 v18, v7, v9
; %bb.2579:
	s_or_b32 exec_lo, exec_lo, s12
	s_mov_b32 s0, -1
.LBB316_2580:
	s_mov_b32 s12, 0
.LBB316_2581:
	s_delay_alu instid0(SALU_CYCLE_1)
	s_and_b32 vcc_lo, exec_lo, s12
	s_cbranch_vccz .LBB316_2652
; %bb.2582:
	s_cmp_lt_i32 s11, 5
	s_cbranch_scc1 .LBB316_2589
; %bb.2583:
	s_cmp_lt_i32 s11, 8
	s_cbranch_scc1 .LBB316_2590
	;; [unrolled: 3-line block ×3, first 2 shown]
; %bb.2585:
	s_cmp_gt_i32 s11, 9
	s_cbranch_scc0 .LBB316_2592
; %bb.2586:
	s_wait_loadcnt 0x0
	global_load_b64 v[18:19], v[16:17], off
	s_mov_b32 s12, exec_lo
	s_wait_loadcnt 0x0
	v_cvt_f32_f64_e32 v7, v[18:19]
	v_mov_b32_e32 v18, 0xff
	s_delay_alu instid0(VALU_DEP_2) | instskip(SKIP_1) | instid1(VALU_DEP_1)
	v_bfe_u32 v9, v7, 23, 8
	s_wait_xcnt 0x0
	v_cmpx_ne_u32_e32 0xff, v9
	s_cbranch_execz .LBB316_2588
; %bb.2587:
	v_and_b32_e32 v11, 0x400000, v7
	v_and_or_b32 v9, 0x3fffff, v7, v9
	v_lshrrev_b32_e32 v7, 23, v7
	s_delay_alu instid0(VALU_DEP_3) | instskip(NEXT) | instid1(VALU_DEP_3)
	v_cmp_ne_u32_e32 vcc_lo, 0, v11
	v_cmp_ne_u32_e64 s0, 0, v9
	s_and_b32 s0, vcc_lo, s0
	s_delay_alu instid0(SALU_CYCLE_1) | instskip(NEXT) | instid1(VALU_DEP_1)
	v_cndmask_b32_e64 v9, 0, 1, s0
	v_add_nc_u32_e32 v18, v7, v9
.LBB316_2588:
	s_or_b32 exec_lo, exec_lo, s12
	s_mov_b32 s0, 0
	s_branch .LBB316_2593
.LBB316_2589:
	s_mov_b32 s0, -1
                                        ; implicit-def: $vgpr18
	s_branch .LBB316_2621
.LBB316_2590:
	s_mov_b32 s0, -1
                                        ; implicit-def: $vgpr18
	s_branch .LBB316_2603
.LBB316_2591:
	s_mov_b32 s0, -1
                                        ; implicit-def: $vgpr18
	s_branch .LBB316_2598
.LBB316_2592:
	s_mov_b32 s0, -1
                                        ; implicit-def: $vgpr18
.LBB316_2593:
	s_delay_alu instid0(SALU_CYCLE_1)
	s_and_not1_b32 vcc_lo, exec_lo, s0
	s_cbranch_vccnz .LBB316_2597
; %bb.2594:
	global_load_b32 v7, v[16:17], off
	s_wait_loadcnt 0x1
	s_wait_xcnt 0x1
	v_mov_b32_e32 v18, 0xff
	s_mov_b32 s12, exec_lo
	s_wait_loadcnt 0x0
	v_bfe_u32 v9, v7, 23, 8
	s_wait_xcnt 0x0
	s_delay_alu instid0(VALU_DEP_1)
	v_cmpx_ne_u32_e32 0xff, v9
	s_cbranch_execz .LBB316_2596
; %bb.2595:
	v_and_b32_e32 v11, 0x400000, v7
	v_and_or_b32 v9, 0x3fffff, v7, v9
	v_lshrrev_b32_e32 v7, 23, v7
	s_delay_alu instid0(VALU_DEP_3) | instskip(NEXT) | instid1(VALU_DEP_3)
	v_cmp_ne_u32_e32 vcc_lo, 0, v11
	v_cmp_ne_u32_e64 s0, 0, v9
	s_and_b32 s0, vcc_lo, s0
	s_delay_alu instid0(SALU_CYCLE_1) | instskip(NEXT) | instid1(VALU_DEP_1)
	v_cndmask_b32_e64 v9, 0, 1, s0
	v_add_nc_u32_e32 v18, v7, v9
.LBB316_2596:
	s_or_b32 exec_lo, exec_lo, s12
.LBB316_2597:
	s_mov_b32 s0, 0
.LBB316_2598:
	s_delay_alu instid0(SALU_CYCLE_1)
	s_and_not1_b32 vcc_lo, exec_lo, s0
	s_cbranch_vccnz .LBB316_2602
; %bb.2599:
	global_load_b32 v7, v[16:17], off
	s_wait_loadcnt 0x1
	s_wait_xcnt 0x1
	v_mov_b32_e32 v18, 0xff
	s_mov_b32 s12, exec_lo
	s_wait_loadcnt 0x0
	v_cvt_f32_f16_e32 v7, v7
	s_delay_alu instid0(VALU_DEP_1) | instskip(SKIP_1) | instid1(VALU_DEP_1)
	v_bfe_u32 v9, v7, 23, 8
	s_wait_xcnt 0x0
	v_cmpx_ne_u32_e32 0xff, v9
	s_cbranch_execz .LBB316_2601
; %bb.2600:
	v_and_b32_e32 v11, 0x400000, v7
	v_and_or_b32 v9, 0x3fffff, v7, v9
	v_lshrrev_b32_e32 v7, 23, v7
	s_delay_alu instid0(VALU_DEP_3) | instskip(NEXT) | instid1(VALU_DEP_3)
	v_cmp_ne_u32_e32 vcc_lo, 0, v11
	v_cmp_ne_u32_e64 s0, 0, v9
	s_and_b32 s0, vcc_lo, s0
	s_delay_alu instid0(SALU_CYCLE_1) | instskip(NEXT) | instid1(VALU_DEP_1)
	v_cndmask_b32_e64 v9, 0, 1, s0
	v_add_nc_u32_e32 v18, v7, v9
.LBB316_2601:
	s_or_b32 exec_lo, exec_lo, s12
.LBB316_2602:
	s_mov_b32 s0, 0
.LBB316_2603:
	s_delay_alu instid0(SALU_CYCLE_1)
	s_and_not1_b32 vcc_lo, exec_lo, s0
	s_cbranch_vccnz .LBB316_2620
; %bb.2604:
	s_cmp_lt_i32 s11, 6
	s_cbranch_scc1 .LBB316_2609
; %bb.2605:
	s_cmp_gt_i32 s11, 6
	s_cbranch_scc0 .LBB316_2610
; %bb.2606:
	s_wait_loadcnt 0x0
	global_load_b64 v[18:19], v[16:17], off
	s_mov_b32 s12, exec_lo
	s_wait_loadcnt 0x0
	v_cvt_f32_f64_e32 v7, v[18:19]
	v_mov_b32_e32 v18, 0xff
	s_delay_alu instid0(VALU_DEP_2) | instskip(SKIP_1) | instid1(VALU_DEP_1)
	v_bfe_u32 v9, v7, 23, 8
	s_wait_xcnt 0x0
	v_cmpx_ne_u32_e32 0xff, v9
	s_cbranch_execz .LBB316_2608
; %bb.2607:
	v_and_b32_e32 v11, 0x400000, v7
	v_and_or_b32 v9, 0x3fffff, v7, v9
	v_lshrrev_b32_e32 v7, 23, v7
	s_delay_alu instid0(VALU_DEP_3) | instskip(NEXT) | instid1(VALU_DEP_3)
	v_cmp_ne_u32_e32 vcc_lo, 0, v11
	v_cmp_ne_u32_e64 s0, 0, v9
	s_and_b32 s0, vcc_lo, s0
	s_delay_alu instid0(SALU_CYCLE_1) | instskip(NEXT) | instid1(VALU_DEP_1)
	v_cndmask_b32_e64 v9, 0, 1, s0
	v_add_nc_u32_e32 v18, v7, v9
.LBB316_2608:
	s_or_b32 exec_lo, exec_lo, s12
	s_mov_b32 s0, 0
	s_branch .LBB316_2611
.LBB316_2609:
	s_mov_b32 s0, -1
                                        ; implicit-def: $vgpr18
	s_branch .LBB316_2616
.LBB316_2610:
	s_mov_b32 s0, -1
                                        ; implicit-def: $vgpr18
.LBB316_2611:
	s_delay_alu instid0(SALU_CYCLE_1)
	s_and_not1_b32 vcc_lo, exec_lo, s0
	s_cbranch_vccnz .LBB316_2615
; %bb.2612:
	global_load_b32 v7, v[16:17], off
	s_wait_loadcnt 0x1
	s_wait_xcnt 0x1
	v_mov_b32_e32 v18, 0xff
	s_mov_b32 s12, exec_lo
	s_wait_loadcnt 0x0
	v_bfe_u32 v9, v7, 23, 8
	s_wait_xcnt 0x0
	s_delay_alu instid0(VALU_DEP_1)
	v_cmpx_ne_u32_e32 0xff, v9
	s_cbranch_execz .LBB316_2614
; %bb.2613:
	v_and_b32_e32 v11, 0x400000, v7
	v_and_or_b32 v9, 0x3fffff, v7, v9
	v_lshrrev_b32_e32 v7, 23, v7
	s_delay_alu instid0(VALU_DEP_3) | instskip(NEXT) | instid1(VALU_DEP_3)
	v_cmp_ne_u32_e32 vcc_lo, 0, v11
	v_cmp_ne_u32_e64 s0, 0, v9
	s_and_b32 s0, vcc_lo, s0
	s_delay_alu instid0(SALU_CYCLE_1) | instskip(NEXT) | instid1(VALU_DEP_1)
	v_cndmask_b32_e64 v9, 0, 1, s0
	v_add_nc_u32_e32 v18, v7, v9
.LBB316_2614:
	s_or_b32 exec_lo, exec_lo, s12
.LBB316_2615:
	s_mov_b32 s0, 0
.LBB316_2616:
	s_delay_alu instid0(SALU_CYCLE_1)
	s_and_not1_b32 vcc_lo, exec_lo, s0
	s_cbranch_vccnz .LBB316_2620
; %bb.2617:
	global_load_u16 v7, v[16:17], off
	s_wait_loadcnt 0x1
	s_wait_xcnt 0x1
	v_mov_b32_e32 v18, 0xff
	s_mov_b32 s12, exec_lo
	s_wait_loadcnt 0x0
	v_cvt_f32_f16_e32 v7, v7
	s_delay_alu instid0(VALU_DEP_1) | instskip(SKIP_1) | instid1(VALU_DEP_1)
	v_bfe_u32 v9, v7, 23, 8
	s_wait_xcnt 0x0
	v_cmpx_ne_u32_e32 0xff, v9
	s_cbranch_execz .LBB316_2619
; %bb.2618:
	v_and_b32_e32 v11, 0x400000, v7
	v_and_or_b32 v9, 0x3fffff, v7, v9
	v_lshrrev_b32_e32 v7, 23, v7
	s_delay_alu instid0(VALU_DEP_3) | instskip(NEXT) | instid1(VALU_DEP_3)
	v_cmp_ne_u32_e32 vcc_lo, 0, v11
	v_cmp_ne_u32_e64 s0, 0, v9
	s_and_b32 s0, vcc_lo, s0
	s_delay_alu instid0(SALU_CYCLE_1) | instskip(NEXT) | instid1(VALU_DEP_1)
	v_cndmask_b32_e64 v9, 0, 1, s0
	v_add_nc_u32_e32 v18, v7, v9
.LBB316_2619:
	s_or_b32 exec_lo, exec_lo, s12
.LBB316_2620:
	s_mov_b32 s0, 0
.LBB316_2621:
	s_delay_alu instid0(SALU_CYCLE_1)
	s_and_not1_b32 vcc_lo, exec_lo, s0
	s_cbranch_vccnz .LBB316_2651
; %bb.2622:
	s_cmp_lt_i32 s11, 2
	s_cbranch_scc1 .LBB316_2628
; %bb.2623:
	s_cmp_lt_i32 s11, 3
	s_cbranch_scc1 .LBB316_2629
; %bb.2624:
	s_cmp_gt_i32 s11, 3
	s_cbranch_scc0 .LBB316_2630
; %bb.2625:
	s_wait_loadcnt 0x0
	global_load_b64 v[18:19], v[16:17], off
	s_mov_b32 s12, exec_lo
	s_wait_loadcnt 0x0
	v_xor_b32_e32 v7, v18, v19
	v_cls_i32_e32 v9, v19
	s_delay_alu instid0(VALU_DEP_2) | instskip(NEXT) | instid1(VALU_DEP_1)
	v_ashrrev_i32_e32 v7, 31, v7
	v_add_nc_u32_e32 v7, 32, v7
	s_delay_alu instid0(VALU_DEP_1) | instskip(NEXT) | instid1(VALU_DEP_1)
	v_add_min_u32_e64 v7, v9, -1, v7
	v_lshlrev_b64_e32 v[18:19], v7, v[18:19]
	v_sub_nc_u32_e32 v7, 32, v7
	s_delay_alu instid0(VALU_DEP_2) | instskip(SKIP_1) | instid1(VALU_DEP_2)
	v_min_u32_e32 v9, 1, v18
	v_mov_b32_e32 v18, 0xff
	v_or_b32_e32 v9, v19, v9
	s_delay_alu instid0(VALU_DEP_1) | instskip(NEXT) | instid1(VALU_DEP_1)
	v_cvt_f32_i32_e32 v9, v9
	v_ldexp_f32 v7, v9, v7
	s_delay_alu instid0(VALU_DEP_1) | instskip(SKIP_1) | instid1(VALU_DEP_1)
	v_bfe_u32 v9, v7, 23, 8
	s_wait_xcnt 0x0
	v_cmpx_ne_u32_e32 0xff, v9
	s_cbranch_execz .LBB316_2627
; %bb.2626:
	v_and_b32_e32 v11, 0x400000, v7
	v_and_or_b32 v9, 0x3fffff, v7, v9
	v_lshrrev_b32_e32 v7, 23, v7
	s_delay_alu instid0(VALU_DEP_3) | instskip(NEXT) | instid1(VALU_DEP_3)
	v_cmp_ne_u32_e32 vcc_lo, 0, v11
	v_cmp_ne_u32_e64 s0, 0, v9
	s_and_b32 s0, vcc_lo, s0
	s_delay_alu instid0(SALU_CYCLE_1) | instskip(NEXT) | instid1(VALU_DEP_1)
	v_cndmask_b32_e64 v9, 0, 1, s0
	v_add_nc_u32_e32 v18, v7, v9
.LBB316_2627:
	s_or_b32 exec_lo, exec_lo, s12
	s_mov_b32 s0, 0
	s_branch .LBB316_2631
.LBB316_2628:
	s_mov_b32 s0, -1
                                        ; implicit-def: $vgpr18
	s_branch .LBB316_2641
.LBB316_2629:
	s_mov_b32 s0, -1
                                        ; implicit-def: $vgpr18
	s_branch .LBB316_2636
.LBB316_2630:
	s_mov_b32 s0, -1
                                        ; implicit-def: $vgpr18
.LBB316_2631:
	s_delay_alu instid0(SALU_CYCLE_1)
	s_and_not1_b32 vcc_lo, exec_lo, s0
	s_cbranch_vccnz .LBB316_2635
; %bb.2632:
	global_load_b32 v7, v[16:17], off
	s_wait_loadcnt 0x1
	s_wait_xcnt 0x1
	v_mov_b32_e32 v18, 0xff
	s_mov_b32 s12, exec_lo
	s_wait_loadcnt 0x0
	v_cvt_f32_i32_e32 v7, v7
	s_delay_alu instid0(VALU_DEP_1) | instskip(SKIP_1) | instid1(VALU_DEP_1)
	v_bfe_u32 v9, v7, 23, 8
	s_wait_xcnt 0x0
	v_cmpx_ne_u32_e32 0xff, v9
	s_cbranch_execz .LBB316_2634
; %bb.2633:
	v_and_b32_e32 v11, 0x400000, v7
	v_and_or_b32 v9, 0x3fffff, v7, v9
	v_lshrrev_b32_e32 v7, 23, v7
	s_delay_alu instid0(VALU_DEP_3) | instskip(NEXT) | instid1(VALU_DEP_3)
	v_cmp_ne_u32_e32 vcc_lo, 0, v11
	v_cmp_ne_u32_e64 s0, 0, v9
	s_and_b32 s0, vcc_lo, s0
	s_delay_alu instid0(SALU_CYCLE_1) | instskip(NEXT) | instid1(VALU_DEP_1)
	v_cndmask_b32_e64 v9, 0, 1, s0
	v_add_nc_u32_e32 v18, v7, v9
.LBB316_2634:
	s_or_b32 exec_lo, exec_lo, s12
.LBB316_2635:
	s_mov_b32 s0, 0
.LBB316_2636:
	s_delay_alu instid0(SALU_CYCLE_1)
	s_and_not1_b32 vcc_lo, exec_lo, s0
	s_cbranch_vccnz .LBB316_2640
; %bb.2637:
	global_load_i16 v7, v[16:17], off
	s_wait_loadcnt 0x1
	s_wait_xcnt 0x1
	v_mov_b32_e32 v18, 0xff
	s_mov_b32 s12, exec_lo
	s_wait_loadcnt 0x0
	v_cvt_f32_i32_e32 v7, v7
	s_delay_alu instid0(VALU_DEP_1) | instskip(SKIP_1) | instid1(VALU_DEP_1)
	v_bfe_u32 v9, v7, 23, 8
	s_wait_xcnt 0x0
	v_cmpx_ne_u32_e32 0xff, v9
	s_cbranch_execz .LBB316_2639
; %bb.2638:
	v_and_b32_e32 v11, 0x400000, v7
	v_and_or_b32 v9, 0x3fffff, v7, v9
	v_lshrrev_b32_e32 v7, 23, v7
	s_delay_alu instid0(VALU_DEP_3) | instskip(NEXT) | instid1(VALU_DEP_3)
	v_cmp_ne_u32_e32 vcc_lo, 0, v11
	v_cmp_ne_u32_e64 s0, 0, v9
	s_and_b32 s0, vcc_lo, s0
	s_delay_alu instid0(SALU_CYCLE_1) | instskip(NEXT) | instid1(VALU_DEP_1)
	v_cndmask_b32_e64 v9, 0, 1, s0
	v_add_nc_u32_e32 v18, v7, v9
.LBB316_2639:
	s_or_b32 exec_lo, exec_lo, s12
.LBB316_2640:
	s_mov_b32 s0, 0
.LBB316_2641:
	s_delay_alu instid0(SALU_CYCLE_1)
	s_and_not1_b32 vcc_lo, exec_lo, s0
	s_cbranch_vccnz .LBB316_2651
; %bb.2642:
	s_cmp_gt_i32 s11, 0
	s_cbranch_scc0 .LBB316_2646
; %bb.2643:
	global_load_i8 v7, v[16:17], off
	s_wait_loadcnt 0x1
	s_wait_xcnt 0x1
	v_mov_b32_e32 v18, 0xff
	s_mov_b32 s12, exec_lo
	s_wait_loadcnt 0x0
	v_cvt_f32_i32_e32 v7, v7
	s_delay_alu instid0(VALU_DEP_1) | instskip(SKIP_1) | instid1(VALU_DEP_1)
	v_bfe_u32 v9, v7, 23, 8
	s_wait_xcnt 0x0
	v_cmpx_ne_u32_e32 0xff, v9
	s_cbranch_execz .LBB316_2645
; %bb.2644:
	v_and_b32_e32 v11, 0x400000, v7
	v_and_or_b32 v9, 0x3fffff, v7, v9
	v_lshrrev_b32_e32 v7, 23, v7
	s_delay_alu instid0(VALU_DEP_3) | instskip(NEXT) | instid1(VALU_DEP_3)
	v_cmp_ne_u32_e32 vcc_lo, 0, v11
	v_cmp_ne_u32_e64 s0, 0, v9
	s_and_b32 s0, vcc_lo, s0
	s_delay_alu instid0(SALU_CYCLE_1) | instskip(NEXT) | instid1(VALU_DEP_1)
	v_cndmask_b32_e64 v9, 0, 1, s0
	v_add_nc_u32_e32 v18, v7, v9
.LBB316_2645:
	s_or_b32 exec_lo, exec_lo, s12
	s_mov_b32 s0, 0
	s_branch .LBB316_2647
.LBB316_2646:
	s_mov_b32 s0, -1
                                        ; implicit-def: $vgpr18
.LBB316_2647:
	s_delay_alu instid0(SALU_CYCLE_1)
	s_and_not1_b32 vcc_lo, exec_lo, s0
	s_cbranch_vccnz .LBB316_2651
; %bb.2648:
	global_load_u8 v7, v[16:17], off
	s_mov_b32 s12, exec_lo
	s_wait_loadcnt 0x1
	s_wait_xcnt 0x1
	v_mov_b32_e32 v18, 0xff
	s_wait_loadcnt 0x0
	v_cvt_f32_ubyte0_e32 v9, v7
	s_delay_alu instid0(VALU_DEP_1) | instskip(SKIP_1) | instid1(VALU_DEP_1)
	v_lshrrev_b32_e32 v7, 23, v9
	s_wait_xcnt 0x0
	v_cmpx_ne_u32_e32 0xff, v7
; %bb.2649:
	v_and_b32_e32 v11, 0x400000, v9
	v_and_or_b32 v9, 0x3fffff, v9, v7
	s_delay_alu instid0(VALU_DEP_2) | instskip(NEXT) | instid1(VALU_DEP_2)
	v_cmp_ne_u32_e32 vcc_lo, 0, v11
	v_cmp_ne_u32_e64 s0, 0, v9
	s_and_b32 s0, vcc_lo, s0
	s_delay_alu instid0(SALU_CYCLE_1) | instskip(NEXT) | instid1(VALU_DEP_1)
	v_cndmask_b32_e64 v9, 0, 1, s0
	v_add_nc_u32_e32 v18, v7, v9
; %bb.2650:
	s_or_b32 exec_lo, exec_lo, s12
.LBB316_2651:
	s_mov_b32 s0, -1
.LBB316_2652:
	s_delay_alu instid0(SALU_CYCLE_1)
	s_and_not1_b32 vcc_lo, exec_lo, s0
	s_cbranch_vccnz .LBB316_3777
; %bb.2653:
	v_mov_b32_e32 v15, 0
	s_cmp_lt_i32 s1, 11
	s_delay_alu instid0(VALU_DEP_1)
	v_add_nc_u64_e32 v[14:15], s[6:7], v[14:15]
	s_cbranch_scc1 .LBB316_2662
; %bb.2654:
	s_cmp_gt_i32 s1, 25
	s_mov_b32 s13, 0
	s_cbranch_scc0 .LBB316_2663
; %bb.2655:
	s_cmp_gt_i32 s1, 28
	s_cbranch_scc0 .LBB316_2664
; %bb.2656:
	s_cmp_gt_i32 s1, 43
	;; [unrolled: 3-line block ×3, first 2 shown]
	s_cbranch_scc0 .LBB316_2667
; %bb.2658:
	s_cmp_eq_u32 s1, 46
	s_mov_b32 s14, 0
	s_cbranch_scc0 .LBB316_2668
; %bb.2659:
	global_load_b32 v7, v[14:15], off
	s_mov_b32 s12, exec_lo
	s_wait_loadcnt 0x0
	s_wait_xcnt 0x1
	v_dual_mov_b32 v16, 0xff :: v_dual_lshlrev_b32 v9, 16, v7
	s_delay_alu instid0(VALU_DEP_1) | instskip(SKIP_1) | instid1(VALU_DEP_1)
	v_bfe_u32 v11, v9, 23, 8
	s_wait_xcnt 0x0
	v_cmpx_ne_u32_e32 0xff, v11
	s_cbranch_execz .LBB316_2661
; %bb.2660:
	v_and_b32_e32 v13, 64, v7
	v_and_or_b32 v9, 0x3f0000, v9, v11
	v_bfe_u32 v7, v7, 7, 9
	s_delay_alu instid0(VALU_DEP_3) | instskip(NEXT) | instid1(VALU_DEP_3)
	v_cmp_ne_u32_e32 vcc_lo, 0, v13
	v_cmp_ne_u32_e64 s0, 0, v9
	s_and_b32 s0, vcc_lo, s0
	s_delay_alu instid0(SALU_CYCLE_1) | instskip(NEXT) | instid1(VALU_DEP_1)
	v_cndmask_b32_e64 v9, 0, 1, s0
	v_add_nc_u32_e32 v16, v7, v9
.LBB316_2661:
	s_or_b32 exec_lo, exec_lo, s12
	s_mov_b32 s12, 0
	s_mov_b32 s0, -1
	s_branch .LBB316_2670
.LBB316_2662:
	s_mov_b32 s12, -1
	s_mov_b32 s0, 0
                                        ; implicit-def: $vgpr16
	s_branch .LBB316_2754
.LBB316_2663:
	s_mov_b32 s14, -1
	s_mov_b32 s0, 0
	s_mov_b32 s12, 0
                                        ; implicit-def: $vgpr16
	s_branch .LBB316_2709
.LBB316_2664:
	s_mov_b32 s14, -1
	s_mov_b32 s0, 0
	s_mov_b32 s12, 0
                                        ; implicit-def: $vgpr16
	s_branch .LBB316_2682
.LBB316_2665:
	s_mov_b32 s14, -1
	s_mov_b32 s0, 0
	s_mov_b32 s12, 0
                                        ; implicit-def: $vgpr16
	s_branch .LBB316_2675
.LBB316_2666:
	s_or_b32 s10, s10, exec_lo
	s_trap 2
	s_cbranch_execz .LBB316_2577
	s_branch .LBB316_2580
.LBB316_2667:
	s_mov_b32 s14, -1
	s_mov_b32 s0, 0
	s_mov_b32 s12, 0
	s_branch .LBB316_2669
.LBB316_2668:
	s_mov_b32 s12, -1
	s_mov_b32 s0, 0
.LBB316_2669:
                                        ; implicit-def: $vgpr16
.LBB316_2670:
	s_and_b32 vcc_lo, exec_lo, s14
	s_cbranch_vccz .LBB316_2674
; %bb.2671:
	s_cmp_eq_u32 s1, 44
	s_cbranch_scc0 .LBB316_2673
; %bb.2672:
	global_load_u8 v16, v[14:15], off
	s_mov_b32 s12, 0
	s_mov_b32 s0, -1
	s_branch .LBB316_2674
.LBB316_2673:
	s_mov_b32 s12, -1
                                        ; implicit-def: $vgpr16
.LBB316_2674:
	s_mov_b32 s14, 0
.LBB316_2675:
	s_delay_alu instid0(SALU_CYCLE_1)
	s_and_b32 vcc_lo, exec_lo, s14
	s_cbranch_vccz .LBB316_2681
; %bb.2676:
	s_cmp_eq_u32 s1, 29
	s_cbranch_scc0 .LBB316_2680
; %bb.2677:
	s_wait_loadcnt 0x0
	global_load_b64 v[16:17], v[14:15], off
	s_mov_b32 s12, exec_lo
	s_wait_loadcnt 0x0
	v_clz_i32_u32_e32 v7, v17
	s_delay_alu instid0(VALU_DEP_1) | instskip(NEXT) | instid1(VALU_DEP_1)
	v_min_u32_e32 v7, 32, v7
	v_lshlrev_b64_e32 v[16:17], v7, v[16:17]
	v_sub_nc_u32_e32 v7, 32, v7
	s_delay_alu instid0(VALU_DEP_2) | instskip(SKIP_1) | instid1(VALU_DEP_2)
	v_min_u32_e32 v9, 1, v16
	v_mov_b32_e32 v16, 0xff
	v_or_b32_e32 v9, v17, v9
	s_delay_alu instid0(VALU_DEP_1) | instskip(NEXT) | instid1(VALU_DEP_1)
	v_cvt_f32_u32_e32 v9, v9
	v_ldexp_f32 v9, v9, v7
	s_delay_alu instid0(VALU_DEP_1) | instskip(SKIP_1) | instid1(VALU_DEP_1)
	v_lshrrev_b32_e32 v7, 23, v9
	s_wait_xcnt 0x0
	v_cmpx_ne_u32_e32 0xff, v7
; %bb.2678:
	v_and_b32_e32 v11, 0x400000, v9
	v_and_or_b32 v9, 0x3fffff, v9, v7
	s_delay_alu instid0(VALU_DEP_2) | instskip(NEXT) | instid1(VALU_DEP_2)
	v_cmp_ne_u32_e32 vcc_lo, 0, v11
	v_cmp_ne_u32_e64 s0, 0, v9
	s_and_b32 s0, vcc_lo, s0
	s_delay_alu instid0(SALU_CYCLE_1) | instskip(NEXT) | instid1(VALU_DEP_1)
	v_cndmask_b32_e64 v9, 0, 1, s0
	v_add_nc_u32_e32 v16, v7, v9
; %bb.2679:
	s_or_b32 exec_lo, exec_lo, s12
	s_mov_b32 s12, 0
	s_mov_b32 s0, -1
	s_branch .LBB316_2681
.LBB316_2680:
	s_mov_b32 s12, -1
                                        ; implicit-def: $vgpr16
.LBB316_2681:
	s_mov_b32 s14, 0
.LBB316_2682:
	s_delay_alu instid0(SALU_CYCLE_1)
	s_and_b32 vcc_lo, exec_lo, s14
	s_cbranch_vccz .LBB316_2708
; %bb.2683:
	s_cmp_lt_i32 s1, 27
	s_cbranch_scc1 .LBB316_2688
; %bb.2684:
	s_cmp_gt_i32 s1, 27
	s_cbranch_scc0 .LBB316_2689
; %bb.2685:
	global_load_b32 v7, v[14:15], off
	s_mov_b32 s14, exec_lo
	s_wait_loadcnt 0x1
	s_wait_xcnt 0x1
	v_mov_b32_e32 v16, 0xff
	s_wait_loadcnt 0x0
	v_cvt_f32_u32_e32 v9, v7
	s_delay_alu instid0(VALU_DEP_1) | instskip(SKIP_1) | instid1(VALU_DEP_1)
	v_lshrrev_b32_e32 v7, 23, v9
	s_wait_xcnt 0x0
	v_cmpx_ne_u32_e32 0xff, v7
; %bb.2686:
	v_and_b32_e32 v11, 0x400000, v9
	v_and_or_b32 v9, 0x3fffff, v9, v7
	s_delay_alu instid0(VALU_DEP_2) | instskip(NEXT) | instid1(VALU_DEP_2)
	v_cmp_ne_u32_e32 vcc_lo, 0, v11
	v_cmp_ne_u32_e64 s0, 0, v9
	s_and_b32 s0, vcc_lo, s0
	s_delay_alu instid0(SALU_CYCLE_1) | instskip(NEXT) | instid1(VALU_DEP_1)
	v_cndmask_b32_e64 v9, 0, 1, s0
	v_add_nc_u32_e32 v16, v7, v9
; %bb.2687:
	s_or_b32 exec_lo, exec_lo, s14
	s_mov_b32 s0, 0
	s_branch .LBB316_2690
.LBB316_2688:
	s_mov_b32 s0, -1
                                        ; implicit-def: $vgpr16
	s_branch .LBB316_2695
.LBB316_2689:
	s_mov_b32 s0, -1
                                        ; implicit-def: $vgpr16
.LBB316_2690:
	s_delay_alu instid0(SALU_CYCLE_1)
	s_and_not1_b32 vcc_lo, exec_lo, s0
	s_cbranch_vccnz .LBB316_2694
; %bb.2691:
	global_load_u16 v7, v[14:15], off
	s_mov_b32 s14, exec_lo
	s_wait_loadcnt 0x1
	s_wait_xcnt 0x1
	v_mov_b32_e32 v16, 0xff
	s_wait_loadcnt 0x0
	v_cvt_f32_u32_e32 v9, v7
	s_delay_alu instid0(VALU_DEP_1) | instskip(SKIP_1) | instid1(VALU_DEP_1)
	v_lshrrev_b32_e32 v7, 23, v9
	s_wait_xcnt 0x0
	v_cmpx_ne_u32_e32 0xff, v7
; %bb.2692:
	v_and_b32_e32 v11, 0x400000, v9
	v_and_or_b32 v9, 0x3fffff, v9, v7
	s_delay_alu instid0(VALU_DEP_2) | instskip(NEXT) | instid1(VALU_DEP_2)
	v_cmp_ne_u32_e32 vcc_lo, 0, v11
	v_cmp_ne_u32_e64 s0, 0, v9
	s_and_b32 s0, vcc_lo, s0
	s_delay_alu instid0(SALU_CYCLE_1) | instskip(NEXT) | instid1(VALU_DEP_1)
	v_cndmask_b32_e64 v9, 0, 1, s0
	v_add_nc_u32_e32 v16, v7, v9
; %bb.2693:
	s_or_b32 exec_lo, exec_lo, s14
.LBB316_2694:
	s_mov_b32 s0, 0
.LBB316_2695:
	s_delay_alu instid0(SALU_CYCLE_1)
	s_and_not1_b32 vcc_lo, exec_lo, s0
	s_cbranch_vccnz .LBB316_2707
; %bb.2696:
	global_load_u8 v7, v[14:15], off
	s_mov_b32 s0, 0
	s_mov_b32 s14, exec_lo
	s_wait_loadcnt 0x0
	v_cmpx_lt_i16_e32 0x7f, v7
	s_xor_b32 s14, exec_lo, s14
	s_cbranch_execz .LBB316_2700
; %bb.2697:
	s_mov_b32 s0, -1
	s_mov_b32 s15, exec_lo
	v_cmpx_eq_u16_e32 0x80, v7
; %bb.2698:
	s_xor_b32 s0, exec_lo, -1
; %bb.2699:
	s_or_b32 exec_lo, exec_lo, s15
	s_delay_alu instid0(SALU_CYCLE_1)
	s_and_b32 s0, s0, exec_lo
.LBB316_2700:
	s_or_saveexec_b32 s14, s14
	v_mov_b32_e32 v9, 0x7f800001
	v_and_b32_e32 v11, 0xffff, v7
	s_xor_b32 exec_lo, exec_lo, s14
; %bb.2701:
	v_cmp_ne_u16_e32 vcc_lo, 0, v7
	s_delay_alu instid0(VALU_DEP_2) | instskip(SKIP_2) | instid1(SALU_CYCLE_1)
	v_mov_b32_e32 v9, v11
	s_and_not1_b32 s0, s0, exec_lo
	s_and_b32 s15, vcc_lo, exec_lo
	s_or_b32 s0, s0, s15
; %bb.2702:
	s_or_b32 exec_lo, exec_lo, s14
	s_and_saveexec_b32 s14, s0
	s_cbranch_execz .LBB316_2704
; %bb.2703:
	v_and_b32_e32 v7, 7, v11
	s_delay_alu instid0(VALU_DEP_1) | instskip(NEXT) | instid1(VALU_DEP_1)
	v_clz_i32_u32_e32 v9, v7
	v_min_u32_e32 v9, 32, v9
	s_delay_alu instid0(VALU_DEP_1) | instskip(NEXT) | instid1(VALU_DEP_1)
	v_subrev_nc_u32_e32 v13, 28, v9
	v_lshlrev_b32_e32 v13, v13, v11
	v_bfe_u32 v11, v11, 3, 4
	s_delay_alu instid0(VALU_DEP_2) | instskip(NEXT) | instid1(VALU_DEP_2)
	v_and_b32_e32 v13, 7, v13
	v_cmp_eq_u32_e32 vcc_lo, 0, v11
	s_delay_alu instid0(VALU_DEP_2) | instskip(NEXT) | instid1(VALU_DEP_1)
	v_cndmask_b32_e32 v7, v7, v13, vcc_lo
	v_dual_sub_nc_u32 v9, 29, v9 :: v_dual_lshlrev_b32 v7, 20, v7
	s_delay_alu instid0(VALU_DEP_1) | instskip(NEXT) | instid1(VALU_DEP_1)
	v_cndmask_b32_e32 v9, v11, v9, vcc_lo
	v_lshl_or_b32 v7, v9, 23, v7
	s_delay_alu instid0(VALU_DEP_1)
	v_add_nc_u32_e32 v9, 0x3b800000, v7
.LBB316_2704:
	s_or_b32 exec_lo, exec_lo, s14
	s_delay_alu instid0(VALU_DEP_1) | instskip(SKIP_1) | instid1(VALU_DEP_1)
	v_dual_mov_b32 v16, 0xff :: v_dual_lshrrev_b32 v7, 23, v9
	s_mov_b32 s14, exec_lo
	v_cmpx_ne_u32_e32 0xff, v7
; %bb.2705:
	v_and_b32_e32 v11, 0x400000, v9
	v_and_or_b32 v9, 0x3fffff, v9, v7
	s_delay_alu instid0(VALU_DEP_2) | instskip(NEXT) | instid1(VALU_DEP_2)
	v_cmp_ne_u32_e32 vcc_lo, 0, v11
	v_cmp_ne_u32_e64 s0, 0, v9
	s_and_b32 s0, vcc_lo, s0
	s_delay_alu instid0(SALU_CYCLE_1) | instskip(NEXT) | instid1(VALU_DEP_1)
	v_cndmask_b32_e64 v9, 0, 1, s0
	v_add_nc_u32_e32 v16, v7, v9
; %bb.2706:
	s_or_b32 exec_lo, exec_lo, s14
.LBB316_2707:
	s_mov_b32 s0, -1
.LBB316_2708:
	s_mov_b32 s14, 0
.LBB316_2709:
	s_delay_alu instid0(SALU_CYCLE_1)
	s_and_b32 vcc_lo, exec_lo, s14
	s_cbranch_vccz .LBB316_2748
; %bb.2710:
	s_cmp_gt_i32 s1, 22
	s_cbranch_scc0 .LBB316_2722
; %bb.2711:
	s_cmp_lt_i32 s1, 24
	s_cbranch_scc1 .LBB316_2723
; %bb.2712:
	s_cmp_gt_i32 s1, 24
	s_cbranch_scc0 .LBB316_2724
; %bb.2713:
	global_load_u8 v7, v[14:15], off
	s_mov_b32 s0, 0
	s_mov_b32 s13, exec_lo
	s_wait_loadcnt 0x0
	v_cmpx_lt_i16_e32 0x7f, v7
	s_xor_b32 s13, exec_lo, s13
	s_cbranch_execz .LBB316_2742
; %bb.2714:
	s_mov_b32 s0, -1
	s_mov_b32 s14, exec_lo
	v_cmpx_eq_u16_e32 0x80, v7
; %bb.2715:
	s_xor_b32 s0, exec_lo, -1
; %bb.2716:
	s_or_b32 exec_lo, exec_lo, s14
	s_delay_alu instid0(SALU_CYCLE_1)
	s_and_b32 s0, s0, exec_lo
	s_or_saveexec_b32 s13, s13
	v_mov_b32_e32 v9, 0x7f800001
	s_xor_b32 exec_lo, exec_lo, s13
	s_cbranch_execnz .LBB316_2743
.LBB316_2717:
	s_or_b32 exec_lo, exec_lo, s13
	s_and_saveexec_b32 s13, s0
	s_cbranch_execz .LBB316_2719
.LBB316_2718:
	v_and_b32_e32 v7, 0xffff, v7
	s_delay_alu instid0(VALU_DEP_1) | instskip(NEXT) | instid1(VALU_DEP_1)
	v_and_b32_e32 v9, 3, v7
	v_clz_i32_u32_e32 v11, v9
	s_delay_alu instid0(VALU_DEP_1) | instskip(NEXT) | instid1(VALU_DEP_1)
	v_min_u32_e32 v11, 32, v11
	v_subrev_nc_u32_e32 v13, 29, v11
	s_delay_alu instid0(VALU_DEP_1) | instskip(SKIP_1) | instid1(VALU_DEP_2)
	v_lshlrev_b32_e32 v13, v13, v7
	v_bfe_u32 v7, v7, 2, 5
	v_dual_sub_nc_u32 v11, 30, v11 :: v_dual_bitop2_b32 v13, 3, v13 bitop3:0x40
	s_delay_alu instid0(VALU_DEP_2) | instskip(NEXT) | instid1(VALU_DEP_2)
	v_cmp_eq_u32_e32 vcc_lo, 0, v7
	v_dual_cndmask_b32 v7, v7, v11, vcc_lo :: v_dual_cndmask_b32 v9, v9, v13, vcc_lo
	s_delay_alu instid0(VALU_DEP_1) | instskip(NEXT) | instid1(VALU_DEP_1)
	v_lshlrev_b32_e32 v9, 21, v9
	v_lshl_or_b32 v7, v7, 23, v9
	s_delay_alu instid0(VALU_DEP_1)
	v_add_nc_u32_e32 v9, 0x37800000, v7
.LBB316_2719:
	s_or_b32 exec_lo, exec_lo, s13
	s_delay_alu instid0(VALU_DEP_1) | instskip(SKIP_1) | instid1(VALU_DEP_1)
	v_dual_mov_b32 v16, 0xff :: v_dual_lshrrev_b32 v7, 23, v9
	s_mov_b32 s13, exec_lo
	v_cmpx_ne_u32_e32 0xff, v7
; %bb.2720:
	v_and_b32_e32 v11, 0x400000, v9
	v_and_or_b32 v9, 0x3fffff, v9, v7
	s_delay_alu instid0(VALU_DEP_2) | instskip(NEXT) | instid1(VALU_DEP_2)
	v_cmp_ne_u32_e32 vcc_lo, 0, v11
	v_cmp_ne_u32_e64 s0, 0, v9
	s_and_b32 s0, vcc_lo, s0
	s_delay_alu instid0(SALU_CYCLE_1) | instskip(NEXT) | instid1(VALU_DEP_1)
	v_cndmask_b32_e64 v9, 0, 1, s0
	v_add_nc_u32_e32 v16, v7, v9
; %bb.2721:
	s_or_b32 exec_lo, exec_lo, s13
	s_mov_b32 s0, 0
	s_branch .LBB316_2725
.LBB316_2722:
	s_mov_b32 s13, -1
                                        ; implicit-def: $vgpr16
	s_branch .LBB316_2735
.LBB316_2723:
	s_mov_b32 s0, -1
                                        ; implicit-def: $vgpr16
	s_branch .LBB316_2730
.LBB316_2724:
	s_mov_b32 s0, -1
                                        ; implicit-def: $vgpr16
.LBB316_2725:
	s_delay_alu instid0(SALU_CYCLE_1)
	s_and_b32 vcc_lo, exec_lo, s0
	s_cbranch_vccz .LBB316_2729
; %bb.2726:
	global_load_u8 v7, v[14:15], off
	s_mov_b32 s13, exec_lo
	s_wait_loadcnt 0x0
	s_wait_xcnt 0x1
	v_dual_mov_b32 v16, 0xff :: v_dual_lshlrev_b32 v7, 24, v7
	s_delay_alu instid0(VALU_DEP_1) | instskip(NEXT) | instid1(VALU_DEP_1)
	v_and_b32_e32 v7, 0x7f000000, v7
	v_clz_i32_u32_e32 v9, v7
	v_cmp_ne_u32_e32 vcc_lo, 0, v7
	v_add_nc_u32_e32 v13, 0x1000000, v7
	s_delay_alu instid0(VALU_DEP_3) | instskip(NEXT) | instid1(VALU_DEP_1)
	v_min_u32_e32 v9, 32, v9
	v_sub_nc_u32_e64 v9, v9, 4 clamp
	s_delay_alu instid0(VALU_DEP_1) | instskip(NEXT) | instid1(VALU_DEP_1)
	v_dual_lshlrev_b32 v11, v9, v7 :: v_dual_lshlrev_b32 v9, 23, v9
	v_lshrrev_b32_e32 v11, 4, v11
	s_delay_alu instid0(VALU_DEP_1) | instskip(SKIP_1) | instid1(VALU_DEP_2)
	v_sub_nc_u32_e32 v9, v11, v9
	v_ashrrev_i32_e32 v11, 8, v13
	v_add_nc_u32_e32 v9, 0x3c000000, v9
	s_delay_alu instid0(VALU_DEP_1) | instskip(NEXT) | instid1(VALU_DEP_1)
	v_and_or_b32 v9, 0x7f800000, v11, v9
	v_cndmask_b32_e32 v9, 0, v9, vcc_lo
	s_delay_alu instid0(VALU_DEP_1) | instskip(SKIP_1) | instid1(VALU_DEP_1)
	v_lshrrev_b32_e32 v7, 23, v9
	s_wait_xcnt 0x0
	v_cmpx_ne_u32_e32 0xff, v7
; %bb.2727:
	v_and_b32_e32 v11, 0x400000, v9
	v_and_or_b32 v9, 0x3fffff, v9, v7
	s_delay_alu instid0(VALU_DEP_2) | instskip(NEXT) | instid1(VALU_DEP_2)
	v_cmp_ne_u32_e32 vcc_lo, 0, v11
	v_cmp_ne_u32_e64 s0, 0, v9
	s_and_b32 s0, vcc_lo, s0
	s_delay_alu instid0(SALU_CYCLE_1) | instskip(NEXT) | instid1(VALU_DEP_1)
	v_cndmask_b32_e64 v9, 0, 1, s0
	v_add_nc_u32_e32 v16, v7, v9
; %bb.2728:
	s_or_b32 exec_lo, exec_lo, s13
.LBB316_2729:
	s_mov_b32 s0, 0
.LBB316_2730:
	s_delay_alu instid0(SALU_CYCLE_1)
	s_and_not1_b32 vcc_lo, exec_lo, s0
	s_cbranch_vccnz .LBB316_2734
; %bb.2731:
	global_load_u8 v7, v[14:15], off
	s_mov_b32 s13, exec_lo
	s_wait_loadcnt 0x0
	s_wait_xcnt 0x1
	v_dual_mov_b32 v16, 0xff :: v_dual_lshlrev_b32 v9, 25, v7
	v_lshlrev_b32_e32 v7, 8, v7
	s_delay_alu instid0(VALU_DEP_2) | instskip(NEXT) | instid1(VALU_DEP_2)
	v_cmp_gt_u32_e32 vcc_lo, 0x8000000, v9
	v_and_or_b32 v7, 0x7f00, v7, 0.5
	s_delay_alu instid0(VALU_DEP_1) | instskip(NEXT) | instid1(VALU_DEP_1)
	v_dual_lshrrev_b32 v11, 4, v9 :: v_dual_add_f32 v7, -0.5, v7
	v_or_b32_e32 v11, 0x70000000, v11
	s_delay_alu instid0(VALU_DEP_1) | instskip(NEXT) | instid1(VALU_DEP_1)
	v_mul_f32_e32 v11, 0x7800000, v11
	v_cndmask_b32_e32 v7, v11, v7, vcc_lo
	s_delay_alu instid0(VALU_DEP_1) | instskip(SKIP_1) | instid1(VALU_DEP_1)
	v_bfe_u32 v9, v7, 23, 8
	s_wait_xcnt 0x0
	v_cmpx_ne_u32_e32 0xff, v9
	s_cbranch_execz .LBB316_2733
; %bb.2732:
	v_and_b32_e32 v11, 0x400000, v7
	v_and_or_b32 v9, 0x3fffff, v7, v9
	v_lshrrev_b32_e32 v7, 23, v7
	s_delay_alu instid0(VALU_DEP_3) | instskip(NEXT) | instid1(VALU_DEP_3)
	v_cmp_ne_u32_e32 vcc_lo, 0, v11
	v_cmp_ne_u32_e64 s0, 0, v9
	s_and_b32 s0, vcc_lo, s0
	s_delay_alu instid0(SALU_CYCLE_1) | instskip(NEXT) | instid1(VALU_DEP_1)
	v_cndmask_b32_e64 v9, 0, 1, s0
	v_add_nc_u32_e32 v16, v7, v9
.LBB316_2733:
	s_or_b32 exec_lo, exec_lo, s13
.LBB316_2734:
	s_mov_b32 s13, 0
	s_mov_b32 s0, -1
.LBB316_2735:
	s_and_not1_b32 vcc_lo, exec_lo, s13
	s_mov_b32 s13, 0
	s_cbranch_vccnz .LBB316_2748
; %bb.2736:
	s_cmp_gt_i32 s1, 14
	s_cbranch_scc0 .LBB316_2741
; %bb.2737:
	s_cmp_eq_u32 s1, 15
	s_cbranch_scc0 .LBB316_2744
; %bb.2738:
	global_load_u16 v7, v[14:15], off
	s_wait_loadcnt 0x1
	s_wait_xcnt 0x1
	v_mov_b32_e32 v16, 0xff
	s_mov_b32 s12, exec_lo
	s_wait_loadcnt 0x0
	v_bfe_u32 v9, v7, 7, 8
	s_wait_xcnt 0x0
	s_delay_alu instid0(VALU_DEP_1)
	v_cmpx_ne_u32_e32 0xff, v9
	s_cbranch_execz .LBB316_2740
; %bb.2739:
	v_dual_lshlrev_b32 v11, 16, v7 :: v_dual_bitop2_b32 v13, 64, v7 bitop3:0x40
	v_lshrrev_b32_e32 v7, 7, v7
	s_delay_alu instid0(VALU_DEP_2) | instskip(NEXT) | instid1(VALU_DEP_3)
	v_and_or_b32 v9, 0x3f0000, v11, v9
	v_cmp_ne_u32_e32 vcc_lo, 0, v13
	s_delay_alu instid0(VALU_DEP_2) | instskip(SKIP_1) | instid1(SALU_CYCLE_1)
	v_cmp_ne_u32_e64 s0, 0, v9
	s_and_b32 s0, vcc_lo, s0
	v_cndmask_b32_e64 v9, 0, 1, s0
	s_delay_alu instid0(VALU_DEP_1)
	v_add_nc_u32_e32 v16, v7, v9
.LBB316_2740:
	s_or_b32 exec_lo, exec_lo, s12
	s_mov_b32 s12, 0
	s_mov_b32 s0, -1
	s_branch .LBB316_2746
.LBB316_2741:
	s_mov_b32 s13, -1
	s_branch .LBB316_2745
.LBB316_2742:
	s_or_saveexec_b32 s13, s13
	v_mov_b32_e32 v9, 0x7f800001
	s_xor_b32 exec_lo, exec_lo, s13
	s_cbranch_execz .LBB316_2717
.LBB316_2743:
	v_cmp_ne_u16_e32 vcc_lo, 0, v7
	v_and_b32_e32 v9, 0xffff, v7
	s_and_not1_b32 s0, s0, exec_lo
	s_and_b32 s14, vcc_lo, exec_lo
	s_delay_alu instid0(SALU_CYCLE_1)
	s_or_b32 s0, s0, s14
	s_or_b32 exec_lo, exec_lo, s13
	s_and_saveexec_b32 s13, s0
	s_cbranch_execnz .LBB316_2718
	s_branch .LBB316_2719
.LBB316_2744:
	s_mov_b32 s12, -1
.LBB316_2745:
                                        ; implicit-def: $vgpr16
.LBB316_2746:
	s_and_b32 vcc_lo, exec_lo, s13
	s_mov_b32 s13, 0
	s_cbranch_vccz .LBB316_2748
; %bb.2747:
	s_cmp_lg_u32 s1, 11
	s_mov_b32 s13, -1
	s_cselect_b32 s12, -1, 0
.LBB316_2748:
	s_delay_alu instid0(SALU_CYCLE_1)
	s_and_b32 vcc_lo, exec_lo, s12
	s_cbranch_vccnz .LBB316_2839
; %bb.2749:
	s_and_not1_b32 vcc_lo, exec_lo, s13
	s_cbranch_vccnz .LBB316_2753
.LBB316_2750:
	global_load_u8 v7, v[14:15], off
	s_mov_b32 s12, exec_lo
	s_wait_loadcnt 0x1
	s_wait_xcnt 0x1
	v_mov_b32_e32 v16, 0xff
	s_wait_loadcnt 0x0
	v_cmp_ne_u16_e32 vcc_lo, 0, v7
	v_cndmask_b32_e64 v9, 0, 1.0, vcc_lo
	s_delay_alu instid0(VALU_DEP_1) | instskip(SKIP_1) | instid1(VALU_DEP_1)
	v_lshrrev_b32_e32 v7, 23, v9
	s_wait_xcnt 0x0
	v_cmpx_ne_u32_e32 0xff, v7
; %bb.2751:
	v_and_b32_e32 v11, 0x400000, v9
	v_and_or_b32 v9, 0x3fffff, v9, v7
	s_delay_alu instid0(VALU_DEP_2) | instskip(NEXT) | instid1(VALU_DEP_2)
	v_cmp_ne_u32_e32 vcc_lo, 0, v11
	v_cmp_ne_u32_e64 s0, 0, v9
	s_and_b32 s0, vcc_lo, s0
	s_delay_alu instid0(SALU_CYCLE_1) | instskip(NEXT) | instid1(VALU_DEP_1)
	v_cndmask_b32_e64 v9, 0, 1, s0
	v_add_nc_u32_e32 v16, v7, v9
; %bb.2752:
	s_or_b32 exec_lo, exec_lo, s12
	s_mov_b32 s0, -1
.LBB316_2753:
	s_mov_b32 s12, 0
.LBB316_2754:
	s_delay_alu instid0(SALU_CYCLE_1)
	s_and_b32 vcc_lo, exec_lo, s12
	s_cbranch_vccz .LBB316_2825
; %bb.2755:
	s_cmp_lt_i32 s1, 5
	s_cbranch_scc1 .LBB316_2762
; %bb.2756:
	s_cmp_lt_i32 s1, 8
	s_cbranch_scc1 .LBB316_2763
	;; [unrolled: 3-line block ×3, first 2 shown]
; %bb.2758:
	s_cmp_gt_i32 s1, 9
	s_cbranch_scc0 .LBB316_2765
; %bb.2759:
	s_wait_loadcnt 0x0
	global_load_b64 v[16:17], v[14:15], off
	s_mov_b32 s12, exec_lo
	s_wait_loadcnt 0x0
	v_cvt_f32_f64_e32 v7, v[16:17]
	v_mov_b32_e32 v16, 0xff
	s_delay_alu instid0(VALU_DEP_2) | instskip(SKIP_1) | instid1(VALU_DEP_1)
	v_bfe_u32 v9, v7, 23, 8
	s_wait_xcnt 0x0
	v_cmpx_ne_u32_e32 0xff, v9
	s_cbranch_execz .LBB316_2761
; %bb.2760:
	v_and_b32_e32 v11, 0x400000, v7
	v_and_or_b32 v9, 0x3fffff, v7, v9
	v_lshrrev_b32_e32 v7, 23, v7
	s_delay_alu instid0(VALU_DEP_3) | instskip(NEXT) | instid1(VALU_DEP_3)
	v_cmp_ne_u32_e32 vcc_lo, 0, v11
	v_cmp_ne_u32_e64 s0, 0, v9
	s_and_b32 s0, vcc_lo, s0
	s_delay_alu instid0(SALU_CYCLE_1) | instskip(NEXT) | instid1(VALU_DEP_1)
	v_cndmask_b32_e64 v9, 0, 1, s0
	v_add_nc_u32_e32 v16, v7, v9
.LBB316_2761:
	s_or_b32 exec_lo, exec_lo, s12
	s_mov_b32 s0, 0
	s_branch .LBB316_2766
.LBB316_2762:
	s_mov_b32 s0, -1
                                        ; implicit-def: $vgpr16
	s_branch .LBB316_2794
.LBB316_2763:
	s_mov_b32 s0, -1
                                        ; implicit-def: $vgpr16
	s_branch .LBB316_2776
.LBB316_2764:
	s_mov_b32 s0, -1
                                        ; implicit-def: $vgpr16
	s_branch .LBB316_2771
.LBB316_2765:
	s_mov_b32 s0, -1
                                        ; implicit-def: $vgpr16
.LBB316_2766:
	s_delay_alu instid0(SALU_CYCLE_1)
	s_and_not1_b32 vcc_lo, exec_lo, s0
	s_cbranch_vccnz .LBB316_2770
; %bb.2767:
	global_load_b32 v7, v[14:15], off
	s_wait_loadcnt 0x1
	s_wait_xcnt 0x1
	v_mov_b32_e32 v16, 0xff
	s_mov_b32 s12, exec_lo
	s_wait_loadcnt 0x0
	v_bfe_u32 v9, v7, 23, 8
	s_wait_xcnt 0x0
	s_delay_alu instid0(VALU_DEP_1)
	v_cmpx_ne_u32_e32 0xff, v9
	s_cbranch_execz .LBB316_2769
; %bb.2768:
	v_and_b32_e32 v11, 0x400000, v7
	v_and_or_b32 v9, 0x3fffff, v7, v9
	v_lshrrev_b32_e32 v7, 23, v7
	s_delay_alu instid0(VALU_DEP_3) | instskip(NEXT) | instid1(VALU_DEP_3)
	v_cmp_ne_u32_e32 vcc_lo, 0, v11
	v_cmp_ne_u32_e64 s0, 0, v9
	s_and_b32 s0, vcc_lo, s0
	s_delay_alu instid0(SALU_CYCLE_1) | instskip(NEXT) | instid1(VALU_DEP_1)
	v_cndmask_b32_e64 v9, 0, 1, s0
	v_add_nc_u32_e32 v16, v7, v9
.LBB316_2769:
	s_or_b32 exec_lo, exec_lo, s12
.LBB316_2770:
	s_mov_b32 s0, 0
.LBB316_2771:
	s_delay_alu instid0(SALU_CYCLE_1)
	s_and_not1_b32 vcc_lo, exec_lo, s0
	s_cbranch_vccnz .LBB316_2775
; %bb.2772:
	global_load_b32 v7, v[14:15], off
	s_wait_loadcnt 0x1
	s_wait_xcnt 0x1
	v_mov_b32_e32 v16, 0xff
	s_mov_b32 s12, exec_lo
	s_wait_loadcnt 0x0
	v_cvt_f32_f16_e32 v7, v7
	s_delay_alu instid0(VALU_DEP_1) | instskip(SKIP_1) | instid1(VALU_DEP_1)
	v_bfe_u32 v9, v7, 23, 8
	s_wait_xcnt 0x0
	v_cmpx_ne_u32_e32 0xff, v9
	s_cbranch_execz .LBB316_2774
; %bb.2773:
	v_and_b32_e32 v11, 0x400000, v7
	v_and_or_b32 v9, 0x3fffff, v7, v9
	v_lshrrev_b32_e32 v7, 23, v7
	s_delay_alu instid0(VALU_DEP_3) | instskip(NEXT) | instid1(VALU_DEP_3)
	v_cmp_ne_u32_e32 vcc_lo, 0, v11
	v_cmp_ne_u32_e64 s0, 0, v9
	s_and_b32 s0, vcc_lo, s0
	s_delay_alu instid0(SALU_CYCLE_1) | instskip(NEXT) | instid1(VALU_DEP_1)
	v_cndmask_b32_e64 v9, 0, 1, s0
	v_add_nc_u32_e32 v16, v7, v9
.LBB316_2774:
	s_or_b32 exec_lo, exec_lo, s12
.LBB316_2775:
	s_mov_b32 s0, 0
.LBB316_2776:
	s_delay_alu instid0(SALU_CYCLE_1)
	s_and_not1_b32 vcc_lo, exec_lo, s0
	s_cbranch_vccnz .LBB316_2793
; %bb.2777:
	s_cmp_lt_i32 s1, 6
	s_cbranch_scc1 .LBB316_2782
; %bb.2778:
	s_cmp_gt_i32 s1, 6
	s_cbranch_scc0 .LBB316_2783
; %bb.2779:
	s_wait_loadcnt 0x0
	global_load_b64 v[16:17], v[14:15], off
	s_mov_b32 s12, exec_lo
	s_wait_loadcnt 0x0
	v_cvt_f32_f64_e32 v7, v[16:17]
	v_mov_b32_e32 v16, 0xff
	s_delay_alu instid0(VALU_DEP_2) | instskip(SKIP_1) | instid1(VALU_DEP_1)
	v_bfe_u32 v9, v7, 23, 8
	s_wait_xcnt 0x0
	v_cmpx_ne_u32_e32 0xff, v9
	s_cbranch_execz .LBB316_2781
; %bb.2780:
	v_and_b32_e32 v11, 0x400000, v7
	v_and_or_b32 v9, 0x3fffff, v7, v9
	v_lshrrev_b32_e32 v7, 23, v7
	s_delay_alu instid0(VALU_DEP_3) | instskip(NEXT) | instid1(VALU_DEP_3)
	v_cmp_ne_u32_e32 vcc_lo, 0, v11
	v_cmp_ne_u32_e64 s0, 0, v9
	s_and_b32 s0, vcc_lo, s0
	s_delay_alu instid0(SALU_CYCLE_1) | instskip(NEXT) | instid1(VALU_DEP_1)
	v_cndmask_b32_e64 v9, 0, 1, s0
	v_add_nc_u32_e32 v16, v7, v9
.LBB316_2781:
	s_or_b32 exec_lo, exec_lo, s12
	s_mov_b32 s0, 0
	s_branch .LBB316_2784
.LBB316_2782:
	s_mov_b32 s0, -1
                                        ; implicit-def: $vgpr16
	s_branch .LBB316_2789
.LBB316_2783:
	s_mov_b32 s0, -1
                                        ; implicit-def: $vgpr16
.LBB316_2784:
	s_delay_alu instid0(SALU_CYCLE_1)
	s_and_not1_b32 vcc_lo, exec_lo, s0
	s_cbranch_vccnz .LBB316_2788
; %bb.2785:
	global_load_b32 v7, v[14:15], off
	s_wait_loadcnt 0x1
	s_wait_xcnt 0x1
	v_mov_b32_e32 v16, 0xff
	s_mov_b32 s12, exec_lo
	s_wait_loadcnt 0x0
	v_bfe_u32 v9, v7, 23, 8
	s_wait_xcnt 0x0
	s_delay_alu instid0(VALU_DEP_1)
	v_cmpx_ne_u32_e32 0xff, v9
	s_cbranch_execz .LBB316_2787
; %bb.2786:
	v_and_b32_e32 v11, 0x400000, v7
	v_and_or_b32 v9, 0x3fffff, v7, v9
	v_lshrrev_b32_e32 v7, 23, v7
	s_delay_alu instid0(VALU_DEP_3) | instskip(NEXT) | instid1(VALU_DEP_3)
	v_cmp_ne_u32_e32 vcc_lo, 0, v11
	v_cmp_ne_u32_e64 s0, 0, v9
	s_and_b32 s0, vcc_lo, s0
	s_delay_alu instid0(SALU_CYCLE_1) | instskip(NEXT) | instid1(VALU_DEP_1)
	v_cndmask_b32_e64 v9, 0, 1, s0
	v_add_nc_u32_e32 v16, v7, v9
.LBB316_2787:
	s_or_b32 exec_lo, exec_lo, s12
.LBB316_2788:
	s_mov_b32 s0, 0
.LBB316_2789:
	s_delay_alu instid0(SALU_CYCLE_1)
	s_and_not1_b32 vcc_lo, exec_lo, s0
	s_cbranch_vccnz .LBB316_2793
; %bb.2790:
	global_load_u16 v7, v[14:15], off
	s_wait_loadcnt 0x1
	s_wait_xcnt 0x1
	v_mov_b32_e32 v16, 0xff
	s_mov_b32 s12, exec_lo
	s_wait_loadcnt 0x0
	v_cvt_f32_f16_e32 v7, v7
	s_delay_alu instid0(VALU_DEP_1) | instskip(SKIP_1) | instid1(VALU_DEP_1)
	v_bfe_u32 v9, v7, 23, 8
	s_wait_xcnt 0x0
	v_cmpx_ne_u32_e32 0xff, v9
	s_cbranch_execz .LBB316_2792
; %bb.2791:
	v_and_b32_e32 v11, 0x400000, v7
	v_and_or_b32 v9, 0x3fffff, v7, v9
	v_lshrrev_b32_e32 v7, 23, v7
	s_delay_alu instid0(VALU_DEP_3) | instskip(NEXT) | instid1(VALU_DEP_3)
	v_cmp_ne_u32_e32 vcc_lo, 0, v11
	v_cmp_ne_u32_e64 s0, 0, v9
	s_and_b32 s0, vcc_lo, s0
	s_delay_alu instid0(SALU_CYCLE_1) | instskip(NEXT) | instid1(VALU_DEP_1)
	v_cndmask_b32_e64 v9, 0, 1, s0
	v_add_nc_u32_e32 v16, v7, v9
.LBB316_2792:
	s_or_b32 exec_lo, exec_lo, s12
.LBB316_2793:
	s_mov_b32 s0, 0
.LBB316_2794:
	s_delay_alu instid0(SALU_CYCLE_1)
	s_and_not1_b32 vcc_lo, exec_lo, s0
	s_cbranch_vccnz .LBB316_2824
; %bb.2795:
	s_cmp_lt_i32 s1, 2
	s_cbranch_scc1 .LBB316_2801
; %bb.2796:
	s_cmp_lt_i32 s1, 3
	s_cbranch_scc1 .LBB316_2802
; %bb.2797:
	s_cmp_gt_i32 s1, 3
	s_cbranch_scc0 .LBB316_2803
; %bb.2798:
	s_wait_loadcnt 0x0
	global_load_b64 v[16:17], v[14:15], off
	s_mov_b32 s12, exec_lo
	s_wait_loadcnt 0x0
	v_xor_b32_e32 v7, v16, v17
	v_cls_i32_e32 v9, v17
	s_delay_alu instid0(VALU_DEP_2) | instskip(NEXT) | instid1(VALU_DEP_1)
	v_ashrrev_i32_e32 v7, 31, v7
	v_add_nc_u32_e32 v7, 32, v7
	s_delay_alu instid0(VALU_DEP_1) | instskip(NEXT) | instid1(VALU_DEP_1)
	v_add_min_u32_e64 v7, v9, -1, v7
	v_lshlrev_b64_e32 v[16:17], v7, v[16:17]
	v_sub_nc_u32_e32 v7, 32, v7
	s_delay_alu instid0(VALU_DEP_2) | instskip(SKIP_1) | instid1(VALU_DEP_2)
	v_min_u32_e32 v9, 1, v16
	v_mov_b32_e32 v16, 0xff
	v_or_b32_e32 v9, v17, v9
	s_delay_alu instid0(VALU_DEP_1) | instskip(NEXT) | instid1(VALU_DEP_1)
	v_cvt_f32_i32_e32 v9, v9
	v_ldexp_f32 v7, v9, v7
	s_delay_alu instid0(VALU_DEP_1) | instskip(SKIP_1) | instid1(VALU_DEP_1)
	v_bfe_u32 v9, v7, 23, 8
	s_wait_xcnt 0x0
	v_cmpx_ne_u32_e32 0xff, v9
	s_cbranch_execz .LBB316_2800
; %bb.2799:
	v_and_b32_e32 v11, 0x400000, v7
	v_and_or_b32 v9, 0x3fffff, v7, v9
	v_lshrrev_b32_e32 v7, 23, v7
	s_delay_alu instid0(VALU_DEP_3) | instskip(NEXT) | instid1(VALU_DEP_3)
	v_cmp_ne_u32_e32 vcc_lo, 0, v11
	v_cmp_ne_u32_e64 s0, 0, v9
	s_and_b32 s0, vcc_lo, s0
	s_delay_alu instid0(SALU_CYCLE_1) | instskip(NEXT) | instid1(VALU_DEP_1)
	v_cndmask_b32_e64 v9, 0, 1, s0
	v_add_nc_u32_e32 v16, v7, v9
.LBB316_2800:
	s_or_b32 exec_lo, exec_lo, s12
	s_mov_b32 s0, 0
	s_branch .LBB316_2804
.LBB316_2801:
	s_mov_b32 s0, -1
                                        ; implicit-def: $vgpr16
	s_branch .LBB316_2814
.LBB316_2802:
	s_mov_b32 s0, -1
                                        ; implicit-def: $vgpr16
	s_branch .LBB316_2809
.LBB316_2803:
	s_mov_b32 s0, -1
                                        ; implicit-def: $vgpr16
.LBB316_2804:
	s_delay_alu instid0(SALU_CYCLE_1)
	s_and_not1_b32 vcc_lo, exec_lo, s0
	s_cbranch_vccnz .LBB316_2808
; %bb.2805:
	global_load_b32 v7, v[14:15], off
	s_wait_loadcnt 0x1
	s_wait_xcnt 0x1
	v_mov_b32_e32 v16, 0xff
	s_mov_b32 s12, exec_lo
	s_wait_loadcnt 0x0
	v_cvt_f32_i32_e32 v7, v7
	s_delay_alu instid0(VALU_DEP_1) | instskip(SKIP_1) | instid1(VALU_DEP_1)
	v_bfe_u32 v9, v7, 23, 8
	s_wait_xcnt 0x0
	v_cmpx_ne_u32_e32 0xff, v9
	s_cbranch_execz .LBB316_2807
; %bb.2806:
	v_and_b32_e32 v11, 0x400000, v7
	v_and_or_b32 v9, 0x3fffff, v7, v9
	v_lshrrev_b32_e32 v7, 23, v7
	s_delay_alu instid0(VALU_DEP_3) | instskip(NEXT) | instid1(VALU_DEP_3)
	v_cmp_ne_u32_e32 vcc_lo, 0, v11
	v_cmp_ne_u32_e64 s0, 0, v9
	s_and_b32 s0, vcc_lo, s0
	s_delay_alu instid0(SALU_CYCLE_1) | instskip(NEXT) | instid1(VALU_DEP_1)
	v_cndmask_b32_e64 v9, 0, 1, s0
	v_add_nc_u32_e32 v16, v7, v9
.LBB316_2807:
	s_or_b32 exec_lo, exec_lo, s12
.LBB316_2808:
	s_mov_b32 s0, 0
.LBB316_2809:
	s_delay_alu instid0(SALU_CYCLE_1)
	s_and_not1_b32 vcc_lo, exec_lo, s0
	s_cbranch_vccnz .LBB316_2813
; %bb.2810:
	global_load_i16 v7, v[14:15], off
	s_wait_loadcnt 0x1
	s_wait_xcnt 0x1
	v_mov_b32_e32 v16, 0xff
	s_mov_b32 s12, exec_lo
	s_wait_loadcnt 0x0
	v_cvt_f32_i32_e32 v7, v7
	s_delay_alu instid0(VALU_DEP_1) | instskip(SKIP_1) | instid1(VALU_DEP_1)
	v_bfe_u32 v9, v7, 23, 8
	s_wait_xcnt 0x0
	v_cmpx_ne_u32_e32 0xff, v9
	s_cbranch_execz .LBB316_2812
; %bb.2811:
	v_and_b32_e32 v11, 0x400000, v7
	v_and_or_b32 v9, 0x3fffff, v7, v9
	v_lshrrev_b32_e32 v7, 23, v7
	s_delay_alu instid0(VALU_DEP_3) | instskip(NEXT) | instid1(VALU_DEP_3)
	v_cmp_ne_u32_e32 vcc_lo, 0, v11
	v_cmp_ne_u32_e64 s0, 0, v9
	s_and_b32 s0, vcc_lo, s0
	s_delay_alu instid0(SALU_CYCLE_1) | instskip(NEXT) | instid1(VALU_DEP_1)
	v_cndmask_b32_e64 v9, 0, 1, s0
	v_add_nc_u32_e32 v16, v7, v9
.LBB316_2812:
	s_or_b32 exec_lo, exec_lo, s12
.LBB316_2813:
	s_mov_b32 s0, 0
.LBB316_2814:
	s_delay_alu instid0(SALU_CYCLE_1)
	s_and_not1_b32 vcc_lo, exec_lo, s0
	s_cbranch_vccnz .LBB316_2824
; %bb.2815:
	s_cmp_gt_i32 s1, 0
	s_cbranch_scc0 .LBB316_2819
; %bb.2816:
	global_load_i8 v7, v[14:15], off
	s_wait_loadcnt 0x1
	s_wait_xcnt 0x1
	v_mov_b32_e32 v16, 0xff
	s_mov_b32 s12, exec_lo
	s_wait_loadcnt 0x0
	v_cvt_f32_i32_e32 v7, v7
	s_delay_alu instid0(VALU_DEP_1) | instskip(SKIP_1) | instid1(VALU_DEP_1)
	v_bfe_u32 v9, v7, 23, 8
	s_wait_xcnt 0x0
	v_cmpx_ne_u32_e32 0xff, v9
	s_cbranch_execz .LBB316_2818
; %bb.2817:
	v_and_b32_e32 v11, 0x400000, v7
	v_and_or_b32 v9, 0x3fffff, v7, v9
	v_lshrrev_b32_e32 v7, 23, v7
	s_delay_alu instid0(VALU_DEP_3) | instskip(NEXT) | instid1(VALU_DEP_3)
	v_cmp_ne_u32_e32 vcc_lo, 0, v11
	v_cmp_ne_u32_e64 s0, 0, v9
	s_and_b32 s0, vcc_lo, s0
	s_delay_alu instid0(SALU_CYCLE_1) | instskip(NEXT) | instid1(VALU_DEP_1)
	v_cndmask_b32_e64 v9, 0, 1, s0
	v_add_nc_u32_e32 v16, v7, v9
.LBB316_2818:
	s_or_b32 exec_lo, exec_lo, s12
	s_mov_b32 s0, 0
	s_branch .LBB316_2820
.LBB316_2819:
	s_mov_b32 s0, -1
                                        ; implicit-def: $vgpr16
.LBB316_2820:
	s_delay_alu instid0(SALU_CYCLE_1)
	s_and_not1_b32 vcc_lo, exec_lo, s0
	s_cbranch_vccnz .LBB316_2824
; %bb.2821:
	global_load_u8 v7, v[14:15], off
	s_mov_b32 s12, exec_lo
	s_wait_loadcnt 0x1
	s_wait_xcnt 0x1
	v_mov_b32_e32 v16, 0xff
	s_wait_loadcnt 0x0
	v_cvt_f32_ubyte0_e32 v9, v7
	s_delay_alu instid0(VALU_DEP_1) | instskip(SKIP_1) | instid1(VALU_DEP_1)
	v_lshrrev_b32_e32 v7, 23, v9
	s_wait_xcnt 0x0
	v_cmpx_ne_u32_e32 0xff, v7
; %bb.2822:
	v_and_b32_e32 v11, 0x400000, v9
	v_and_or_b32 v9, 0x3fffff, v9, v7
	s_delay_alu instid0(VALU_DEP_2) | instskip(NEXT) | instid1(VALU_DEP_2)
	v_cmp_ne_u32_e32 vcc_lo, 0, v11
	v_cmp_ne_u32_e64 s0, 0, v9
	s_and_b32 s0, vcc_lo, s0
	s_delay_alu instid0(SALU_CYCLE_1) | instskip(NEXT) | instid1(VALU_DEP_1)
	v_cndmask_b32_e64 v9, 0, 1, s0
	v_add_nc_u32_e32 v16, v7, v9
; %bb.2823:
	s_or_b32 exec_lo, exec_lo, s12
.LBB316_2824:
	s_mov_b32 s0, -1
.LBB316_2825:
	s_delay_alu instid0(SALU_CYCLE_1)
	s_and_not1_b32 vcc_lo, exec_lo, s0
	s_cbranch_vccnz .LBB316_3777
; %bb.2826:
	v_mov_b32_e32 v13, 0
	s_cmp_lt_i32 s11, 11
	s_delay_alu instid0(VALU_DEP_1)
	v_add_nc_u64_e32 v[12:13], s[2:3], v[12:13]
	s_cbranch_scc1 .LBB316_2835
; %bb.2827:
	s_cmp_gt_i32 s11, 25
	s_mov_b32 s13, 0
	s_cbranch_scc0 .LBB316_2836
; %bb.2828:
	s_cmp_gt_i32 s11, 28
	s_cbranch_scc0 .LBB316_2837
; %bb.2829:
	s_cmp_gt_i32 s11, 43
	;; [unrolled: 3-line block ×3, first 2 shown]
	s_cbranch_scc0 .LBB316_2840
; %bb.2831:
	s_cmp_eq_u32 s11, 46
	s_mov_b32 s14, 0
	s_cbranch_scc0 .LBB316_2843
; %bb.2832:
	global_load_b32 v7, v[12:13], off
	s_mov_b32 s12, exec_lo
	s_wait_loadcnt 0x0
	s_wait_xcnt 0x1
	v_dual_mov_b32 v14, 0xff :: v_dual_lshlrev_b32 v9, 16, v7
	s_delay_alu instid0(VALU_DEP_1) | instskip(SKIP_1) | instid1(VALU_DEP_1)
	v_bfe_u32 v11, v9, 23, 8
	s_wait_xcnt 0x0
	v_cmpx_ne_u32_e32 0xff, v11
	s_cbranch_execz .LBB316_2834
; %bb.2833:
	v_and_b32_e32 v14, 64, v7
	v_and_or_b32 v9, 0x3f0000, v9, v11
	v_bfe_u32 v7, v7, 7, 9
	s_delay_alu instid0(VALU_DEP_3) | instskip(NEXT) | instid1(VALU_DEP_3)
	v_cmp_ne_u32_e32 vcc_lo, 0, v14
	v_cmp_ne_u32_e64 s0, 0, v9
	s_and_b32 s0, vcc_lo, s0
	s_delay_alu instid0(SALU_CYCLE_1) | instskip(NEXT) | instid1(VALU_DEP_1)
	v_cndmask_b32_e64 v9, 0, 1, s0
	v_add_nc_u32_e32 v14, v7, v9
.LBB316_2834:
	s_or_b32 exec_lo, exec_lo, s12
	s_mov_b32 s12, 0
	s_mov_b32 s0, -1
	s_branch .LBB316_2845
.LBB316_2835:
	s_mov_b32 s12, -1
	s_mov_b32 s0, 0
                                        ; implicit-def: $vgpr14
	s_branch .LBB316_2929
.LBB316_2836:
	s_mov_b32 s14, -1
	s_mov_b32 s0, 0
	s_mov_b32 s12, 0
                                        ; implicit-def: $vgpr14
	s_branch .LBB316_2882
.LBB316_2837:
	s_mov_b32 s14, -1
	s_mov_b32 s0, 0
	s_mov_b32 s12, 0
                                        ; implicit-def: $vgpr14
	s_branch .LBB316_2857
.LBB316_2838:
	s_mov_b32 s14, -1
	s_mov_b32 s0, 0
	s_mov_b32 s12, 0
                                        ; implicit-def: $vgpr14
	s_branch .LBB316_2850
.LBB316_2839:
	s_or_b32 s10, s10, exec_lo
	s_trap 2
	s_cbranch_execz .LBB316_2750
	s_branch .LBB316_2753
.LBB316_2840:
	s_mov_b32 s14, -1
	s_mov_b32 s0, 0
	s_mov_b32 s12, 0
	s_branch .LBB316_2844
.LBB316_2841:
	s_and_not1_saveexec_b32 s53, s53
	s_cbranch_execz .LBB316_1442
.LBB316_2842:
	v_add_f32_e32 v1, 0x42800000, v4
	s_and_not1_b32 s52, s52, exec_lo
	s_delay_alu instid0(VALU_DEP_1) | instskip(NEXT) | instid1(VALU_DEP_1)
	v_and_b32_e32 v1, 0xff, v1
	v_cmp_ne_u32_e32 vcc_lo, 0, v1
	s_and_b32 s54, vcc_lo, exec_lo
	s_delay_alu instid0(SALU_CYCLE_1)
	s_or_b32 s52, s52, s54
	s_or_b32 exec_lo, exec_lo, s53
	v_mov_b32_e32 v5, 0
	s_and_saveexec_b32 s53, s52
	s_cbranch_execnz .LBB316_1443
	s_branch .LBB316_1444
.LBB316_2843:
	s_mov_b32 s12, -1
	s_mov_b32 s0, 0
.LBB316_2844:
                                        ; implicit-def: $vgpr14
.LBB316_2845:
	s_and_b32 vcc_lo, exec_lo, s14
	s_cbranch_vccz .LBB316_2849
; %bb.2846:
	s_cmp_eq_u32 s11, 44
	s_cbranch_scc0 .LBB316_2848
; %bb.2847:
	global_load_u8 v14, v[12:13], off
	s_mov_b32 s12, 0
	s_mov_b32 s0, -1
	s_branch .LBB316_2849
.LBB316_2848:
	s_mov_b32 s12, -1
                                        ; implicit-def: $vgpr14
.LBB316_2849:
	s_mov_b32 s14, 0
.LBB316_2850:
	s_delay_alu instid0(SALU_CYCLE_1)
	s_and_b32 vcc_lo, exec_lo, s14
	s_cbranch_vccz .LBB316_2856
; %bb.2851:
	s_cmp_eq_u32 s11, 29
	s_cbranch_scc0 .LBB316_2855
; %bb.2852:
	s_wait_loadcnt 0x0
	global_load_b64 v[14:15], v[12:13], off
	s_mov_b32 s12, exec_lo
	s_wait_loadcnt 0x0
	v_clz_i32_u32_e32 v7, v15
	s_delay_alu instid0(VALU_DEP_1) | instskip(NEXT) | instid1(VALU_DEP_1)
	v_min_u32_e32 v7, 32, v7
	v_lshlrev_b64_e32 v[14:15], v7, v[14:15]
	v_sub_nc_u32_e32 v7, 32, v7
	s_delay_alu instid0(VALU_DEP_2) | instskip(SKIP_1) | instid1(VALU_DEP_2)
	v_min_u32_e32 v9, 1, v14
	v_mov_b32_e32 v14, 0xff
	v_or_b32_e32 v9, v15, v9
	s_delay_alu instid0(VALU_DEP_1) | instskip(NEXT) | instid1(VALU_DEP_1)
	v_cvt_f32_u32_e32 v9, v9
	v_ldexp_f32 v9, v9, v7
	s_delay_alu instid0(VALU_DEP_1) | instskip(SKIP_1) | instid1(VALU_DEP_1)
	v_lshrrev_b32_e32 v7, 23, v9
	s_wait_xcnt 0x0
	v_cmpx_ne_u32_e32 0xff, v7
; %bb.2853:
	v_and_b32_e32 v11, 0x400000, v9
	v_and_or_b32 v9, 0x3fffff, v9, v7
	s_delay_alu instid0(VALU_DEP_2) | instskip(NEXT) | instid1(VALU_DEP_2)
	v_cmp_ne_u32_e32 vcc_lo, 0, v11
	v_cmp_ne_u32_e64 s0, 0, v9
	s_and_b32 s0, vcc_lo, s0
	s_delay_alu instid0(SALU_CYCLE_1) | instskip(NEXT) | instid1(VALU_DEP_1)
	v_cndmask_b32_e64 v9, 0, 1, s0
	v_add_nc_u32_e32 v14, v7, v9
; %bb.2854:
	s_or_b32 exec_lo, exec_lo, s12
	s_mov_b32 s12, 0
	s_mov_b32 s0, -1
	s_branch .LBB316_2856
.LBB316_2855:
	s_mov_b32 s12, -1
                                        ; implicit-def: $vgpr14
.LBB316_2856:
	s_mov_b32 s14, 0
.LBB316_2857:
	s_delay_alu instid0(SALU_CYCLE_1)
	s_and_b32 vcc_lo, exec_lo, s14
	s_cbranch_vccz .LBB316_2881
; %bb.2858:
	s_cmp_lt_i32 s11, 27
	s_cbranch_scc1 .LBB316_2863
; %bb.2859:
	s_cmp_gt_i32 s11, 27
	s_cbranch_scc0 .LBB316_2864
; %bb.2860:
	global_load_b32 v7, v[12:13], off
	s_mov_b32 s14, exec_lo
	s_wait_loadcnt 0x1
	s_wait_xcnt 0x1
	v_mov_b32_e32 v14, 0xff
	s_wait_loadcnt 0x0
	v_cvt_f32_u32_e32 v9, v7
	s_delay_alu instid0(VALU_DEP_1) | instskip(SKIP_1) | instid1(VALU_DEP_1)
	v_lshrrev_b32_e32 v7, 23, v9
	s_wait_xcnt 0x0
	v_cmpx_ne_u32_e32 0xff, v7
; %bb.2861:
	v_and_b32_e32 v11, 0x400000, v9
	v_and_or_b32 v9, 0x3fffff, v9, v7
	s_delay_alu instid0(VALU_DEP_2) | instskip(NEXT) | instid1(VALU_DEP_2)
	v_cmp_ne_u32_e32 vcc_lo, 0, v11
	v_cmp_ne_u32_e64 s0, 0, v9
	s_and_b32 s0, vcc_lo, s0
	s_delay_alu instid0(SALU_CYCLE_1) | instskip(NEXT) | instid1(VALU_DEP_1)
	v_cndmask_b32_e64 v9, 0, 1, s0
	v_add_nc_u32_e32 v14, v7, v9
; %bb.2862:
	s_or_b32 exec_lo, exec_lo, s14
	s_mov_b32 s0, 0
	s_branch .LBB316_2865
.LBB316_2863:
	s_mov_b32 s0, -1
                                        ; implicit-def: $vgpr14
	s_branch .LBB316_2870
.LBB316_2864:
	s_mov_b32 s0, -1
                                        ; implicit-def: $vgpr14
.LBB316_2865:
	s_delay_alu instid0(SALU_CYCLE_1)
	s_and_not1_b32 vcc_lo, exec_lo, s0
	s_cbranch_vccnz .LBB316_2869
; %bb.2866:
	global_load_u16 v7, v[12:13], off
	s_mov_b32 s14, exec_lo
	s_wait_loadcnt 0x1
	s_wait_xcnt 0x1
	v_mov_b32_e32 v14, 0xff
	s_wait_loadcnt 0x0
	v_cvt_f32_u32_e32 v9, v7
	s_delay_alu instid0(VALU_DEP_1) | instskip(SKIP_1) | instid1(VALU_DEP_1)
	v_lshrrev_b32_e32 v7, 23, v9
	s_wait_xcnt 0x0
	v_cmpx_ne_u32_e32 0xff, v7
; %bb.2867:
	v_and_b32_e32 v11, 0x400000, v9
	v_and_or_b32 v9, 0x3fffff, v9, v7
	s_delay_alu instid0(VALU_DEP_2) | instskip(NEXT) | instid1(VALU_DEP_2)
	v_cmp_ne_u32_e32 vcc_lo, 0, v11
	v_cmp_ne_u32_e64 s0, 0, v9
	s_and_b32 s0, vcc_lo, s0
	s_delay_alu instid0(SALU_CYCLE_1) | instskip(NEXT) | instid1(VALU_DEP_1)
	v_cndmask_b32_e64 v9, 0, 1, s0
	v_add_nc_u32_e32 v14, v7, v9
; %bb.2868:
	s_or_b32 exec_lo, exec_lo, s14
.LBB316_2869:
	s_mov_b32 s0, 0
.LBB316_2870:
	s_delay_alu instid0(SALU_CYCLE_1)
	s_and_not1_b32 vcc_lo, exec_lo, s0
	s_cbranch_vccnz .LBB316_2880
; %bb.2871:
	global_load_u8 v7, v[12:13], off
	s_mov_b32 s0, 0
	s_mov_b32 s14, exec_lo
	s_wait_loadcnt 0x0
	v_cmpx_lt_i16_e32 0x7f, v7
	s_xor_b32 s14, exec_lo, s14
	s_cbranch_execz .LBB316_2896
; %bb.2872:
	s_mov_b32 s0, -1
	s_mov_b32 s15, exec_lo
	v_cmpx_eq_u16_e32 0x80, v7
; %bb.2873:
	s_xor_b32 s0, exec_lo, -1
; %bb.2874:
	s_or_b32 exec_lo, exec_lo, s15
	s_delay_alu instid0(SALU_CYCLE_1)
	s_and_b32 s0, s0, exec_lo
	s_or_saveexec_b32 s14, s14
	v_mov_b32_e32 v9, 0x7f800001
	s_xor_b32 exec_lo, exec_lo, s14
	s_cbranch_execnz .LBB316_2897
.LBB316_2875:
	s_or_b32 exec_lo, exec_lo, s14
	s_and_saveexec_b32 s14, s0
	s_cbranch_execz .LBB316_2877
.LBB316_2876:
	v_and_b32_e32 v7, 0xffff, v7
	s_delay_alu instid0(VALU_DEP_1) | instskip(NEXT) | instid1(VALU_DEP_1)
	v_and_b32_e32 v9, 7, v7
	v_clz_i32_u32_e32 v11, v9
	s_delay_alu instid0(VALU_DEP_1) | instskip(NEXT) | instid1(VALU_DEP_1)
	v_min_u32_e32 v11, 32, v11
	v_subrev_nc_u32_e32 v14, 28, v11
	s_delay_alu instid0(VALU_DEP_1) | instskip(SKIP_1) | instid1(VALU_DEP_2)
	v_lshlrev_b32_e32 v14, v14, v7
	v_bfe_u32 v7, v7, 3, 4
	v_dual_sub_nc_u32 v11, 29, v11 :: v_dual_bitop2_b32 v14, 7, v14 bitop3:0x40
	s_delay_alu instid0(VALU_DEP_2) | instskip(NEXT) | instid1(VALU_DEP_2)
	v_cmp_eq_u32_e32 vcc_lo, 0, v7
	v_dual_cndmask_b32 v7, v7, v11, vcc_lo :: v_dual_cndmask_b32 v9, v9, v14, vcc_lo
	s_delay_alu instid0(VALU_DEP_1) | instskip(NEXT) | instid1(VALU_DEP_1)
	v_lshlrev_b32_e32 v9, 20, v9
	v_lshl_or_b32 v7, v7, 23, v9
	s_delay_alu instid0(VALU_DEP_1)
	v_add_nc_u32_e32 v9, 0x3b800000, v7
.LBB316_2877:
	s_or_b32 exec_lo, exec_lo, s14
	s_delay_alu instid0(VALU_DEP_1) | instskip(SKIP_1) | instid1(VALU_DEP_1)
	v_dual_mov_b32 v14, 0xff :: v_dual_lshrrev_b32 v7, 23, v9
	s_mov_b32 s14, exec_lo
	v_cmpx_ne_u32_e32 0xff, v7
; %bb.2878:
	v_and_b32_e32 v11, 0x400000, v9
	v_and_or_b32 v9, 0x3fffff, v9, v7
	s_delay_alu instid0(VALU_DEP_2) | instskip(NEXT) | instid1(VALU_DEP_2)
	v_cmp_ne_u32_e32 vcc_lo, 0, v11
	v_cmp_ne_u32_e64 s0, 0, v9
	s_and_b32 s0, vcc_lo, s0
	s_delay_alu instid0(SALU_CYCLE_1) | instskip(NEXT) | instid1(VALU_DEP_1)
	v_cndmask_b32_e64 v9, 0, 1, s0
	v_add_nc_u32_e32 v14, v7, v9
; %bb.2879:
	s_or_b32 exec_lo, exec_lo, s14
.LBB316_2880:
	s_mov_b32 s0, -1
.LBB316_2881:
	s_mov_b32 s14, 0
.LBB316_2882:
	s_delay_alu instid0(SALU_CYCLE_1)
	s_and_b32 vcc_lo, exec_lo, s14
	s_cbranch_vccz .LBB316_2923
; %bb.2883:
	s_cmp_gt_i32 s11, 22
	s_cbranch_scc0 .LBB316_2895
; %bb.2884:
	s_cmp_lt_i32 s11, 24
	s_cbranch_scc1 .LBB316_2898
; %bb.2885:
	s_cmp_gt_i32 s11, 24
	s_cbranch_scc0 .LBB316_2899
; %bb.2886:
	global_load_u8 v7, v[12:13], off
	s_mov_b32 s0, 0
	s_mov_b32 s13, exec_lo
	s_wait_loadcnt 0x0
	v_cmpx_lt_i16_e32 0x7f, v7
	s_xor_b32 s13, exec_lo, s13
	s_cbranch_execz .LBB316_2917
; %bb.2887:
	s_mov_b32 s0, -1
	s_mov_b32 s14, exec_lo
	v_cmpx_eq_u16_e32 0x80, v7
; %bb.2888:
	s_xor_b32 s0, exec_lo, -1
; %bb.2889:
	s_or_b32 exec_lo, exec_lo, s14
	s_delay_alu instid0(SALU_CYCLE_1)
	s_and_b32 s0, s0, exec_lo
	s_or_saveexec_b32 s13, s13
	v_mov_b32_e32 v9, 0x7f800001
	s_xor_b32 exec_lo, exec_lo, s13
	s_cbranch_execnz .LBB316_2918
.LBB316_2890:
	s_or_b32 exec_lo, exec_lo, s13
	s_and_saveexec_b32 s13, s0
	s_cbranch_execz .LBB316_2892
.LBB316_2891:
	v_and_b32_e32 v7, 0xffff, v7
	s_delay_alu instid0(VALU_DEP_1) | instskip(NEXT) | instid1(VALU_DEP_1)
	v_and_b32_e32 v9, 3, v7
	v_clz_i32_u32_e32 v11, v9
	s_delay_alu instid0(VALU_DEP_1) | instskip(NEXT) | instid1(VALU_DEP_1)
	v_min_u32_e32 v11, 32, v11
	v_subrev_nc_u32_e32 v14, 29, v11
	s_delay_alu instid0(VALU_DEP_1) | instskip(SKIP_1) | instid1(VALU_DEP_2)
	v_lshlrev_b32_e32 v14, v14, v7
	v_bfe_u32 v7, v7, 2, 5
	v_dual_sub_nc_u32 v11, 30, v11 :: v_dual_bitop2_b32 v14, 3, v14 bitop3:0x40
	s_delay_alu instid0(VALU_DEP_2) | instskip(NEXT) | instid1(VALU_DEP_2)
	v_cmp_eq_u32_e32 vcc_lo, 0, v7
	v_dual_cndmask_b32 v7, v7, v11, vcc_lo :: v_dual_cndmask_b32 v9, v9, v14, vcc_lo
	s_delay_alu instid0(VALU_DEP_1) | instskip(NEXT) | instid1(VALU_DEP_1)
	v_lshlrev_b32_e32 v9, 21, v9
	v_lshl_or_b32 v7, v7, 23, v9
	s_delay_alu instid0(VALU_DEP_1)
	v_add_nc_u32_e32 v9, 0x37800000, v7
.LBB316_2892:
	s_or_b32 exec_lo, exec_lo, s13
	s_delay_alu instid0(VALU_DEP_1) | instskip(SKIP_1) | instid1(VALU_DEP_1)
	v_dual_mov_b32 v14, 0xff :: v_dual_lshrrev_b32 v7, 23, v9
	s_mov_b32 s13, exec_lo
	v_cmpx_ne_u32_e32 0xff, v7
; %bb.2893:
	v_and_b32_e32 v11, 0x400000, v9
	v_and_or_b32 v9, 0x3fffff, v9, v7
	s_delay_alu instid0(VALU_DEP_2) | instskip(NEXT) | instid1(VALU_DEP_2)
	v_cmp_ne_u32_e32 vcc_lo, 0, v11
	v_cmp_ne_u32_e64 s0, 0, v9
	s_and_b32 s0, vcc_lo, s0
	s_delay_alu instid0(SALU_CYCLE_1) | instskip(NEXT) | instid1(VALU_DEP_1)
	v_cndmask_b32_e64 v9, 0, 1, s0
	v_add_nc_u32_e32 v14, v7, v9
; %bb.2894:
	s_or_b32 exec_lo, exec_lo, s13
	s_mov_b32 s0, 0
	s_branch .LBB316_2900
.LBB316_2895:
	s_mov_b32 s13, -1
                                        ; implicit-def: $vgpr14
	s_branch .LBB316_2910
.LBB316_2896:
	s_or_saveexec_b32 s14, s14
	v_mov_b32_e32 v9, 0x7f800001
	s_xor_b32 exec_lo, exec_lo, s14
	s_cbranch_execz .LBB316_2875
.LBB316_2897:
	v_cmp_ne_u16_e32 vcc_lo, 0, v7
	v_and_b32_e32 v9, 0xffff, v7
	s_and_not1_b32 s0, s0, exec_lo
	s_and_b32 s15, vcc_lo, exec_lo
	s_delay_alu instid0(SALU_CYCLE_1)
	s_or_b32 s0, s0, s15
	s_or_b32 exec_lo, exec_lo, s14
	s_and_saveexec_b32 s14, s0
	s_cbranch_execnz .LBB316_2876
	s_branch .LBB316_2877
.LBB316_2898:
	s_mov_b32 s0, -1
                                        ; implicit-def: $vgpr14
	s_branch .LBB316_2905
.LBB316_2899:
	s_mov_b32 s0, -1
                                        ; implicit-def: $vgpr14
.LBB316_2900:
	s_delay_alu instid0(SALU_CYCLE_1)
	s_and_b32 vcc_lo, exec_lo, s0
	s_cbranch_vccz .LBB316_2904
; %bb.2901:
	global_load_u8 v7, v[12:13], off
	s_mov_b32 s13, exec_lo
	s_wait_loadcnt 0x0
	v_lshlrev_b32_e32 v7, 24, v7
	s_delay_alu instid0(VALU_DEP_1) | instskip(NEXT) | instid1(VALU_DEP_1)
	v_and_b32_e32 v7, 0x7f000000, v7
	v_clz_i32_u32_e32 v9, v7
	v_cmp_ne_u32_e32 vcc_lo, 0, v7
	s_wait_xcnt 0x1
	v_add_nc_u32_e32 v14, 0x1000000, v7
	s_delay_alu instid0(VALU_DEP_3) | instskip(NEXT) | instid1(VALU_DEP_1)
	v_min_u32_e32 v9, 32, v9
	v_sub_nc_u32_e64 v9, v9, 4 clamp
	s_delay_alu instid0(VALU_DEP_1) | instskip(NEXT) | instid1(VALU_DEP_1)
	v_dual_lshlrev_b32 v11, v9, v7 :: v_dual_lshlrev_b32 v9, 23, v9
	v_lshrrev_b32_e32 v11, 4, v11
	s_delay_alu instid0(VALU_DEP_1) | instskip(SKIP_1) | instid1(VALU_DEP_2)
	v_dual_sub_nc_u32 v9, v11, v9 :: v_dual_ashrrev_i32 v11, 8, v14
	v_mov_b32_e32 v14, 0xff
	v_add_nc_u32_e32 v9, 0x3c000000, v9
	s_delay_alu instid0(VALU_DEP_1) | instskip(NEXT) | instid1(VALU_DEP_1)
	v_and_or_b32 v9, 0x7f800000, v11, v9
	v_cndmask_b32_e32 v9, 0, v9, vcc_lo
	s_delay_alu instid0(VALU_DEP_1) | instskip(SKIP_1) | instid1(VALU_DEP_1)
	v_lshrrev_b32_e32 v7, 23, v9
	s_wait_xcnt 0x0
	v_cmpx_ne_u32_e32 0xff, v7
; %bb.2902:
	v_and_b32_e32 v11, 0x400000, v9
	v_and_or_b32 v9, 0x3fffff, v9, v7
	s_delay_alu instid0(VALU_DEP_2) | instskip(NEXT) | instid1(VALU_DEP_2)
	v_cmp_ne_u32_e32 vcc_lo, 0, v11
	v_cmp_ne_u32_e64 s0, 0, v9
	s_and_b32 s0, vcc_lo, s0
	s_delay_alu instid0(SALU_CYCLE_1) | instskip(NEXT) | instid1(VALU_DEP_1)
	v_cndmask_b32_e64 v9, 0, 1, s0
	v_add_nc_u32_e32 v14, v7, v9
; %bb.2903:
	s_or_b32 exec_lo, exec_lo, s13
.LBB316_2904:
	s_mov_b32 s0, 0
.LBB316_2905:
	s_delay_alu instid0(SALU_CYCLE_1)
	s_and_not1_b32 vcc_lo, exec_lo, s0
	s_cbranch_vccnz .LBB316_2909
; %bb.2906:
	global_load_u8 v7, v[12:13], off
	s_mov_b32 s13, exec_lo
	s_wait_loadcnt 0x0
	s_wait_xcnt 0x1
	v_dual_mov_b32 v14, 0xff :: v_dual_lshlrev_b32 v9, 25, v7
	v_lshlrev_b32_e32 v7, 8, v7
	s_delay_alu instid0(VALU_DEP_2) | instskip(NEXT) | instid1(VALU_DEP_2)
	v_cmp_gt_u32_e32 vcc_lo, 0x8000000, v9
	v_and_or_b32 v7, 0x7f00, v7, 0.5
	s_delay_alu instid0(VALU_DEP_1) | instskip(NEXT) | instid1(VALU_DEP_1)
	v_dual_lshrrev_b32 v11, 4, v9 :: v_dual_add_f32 v7, -0.5, v7
	v_or_b32_e32 v11, 0x70000000, v11
	s_delay_alu instid0(VALU_DEP_1) | instskip(NEXT) | instid1(VALU_DEP_1)
	v_mul_f32_e32 v11, 0x7800000, v11
	v_cndmask_b32_e32 v7, v11, v7, vcc_lo
	s_delay_alu instid0(VALU_DEP_1) | instskip(SKIP_1) | instid1(VALU_DEP_1)
	v_bfe_u32 v9, v7, 23, 8
	s_wait_xcnt 0x0
	v_cmpx_ne_u32_e32 0xff, v9
	s_cbranch_execz .LBB316_2908
; %bb.2907:
	v_and_b32_e32 v11, 0x400000, v7
	v_and_or_b32 v9, 0x3fffff, v7, v9
	v_lshrrev_b32_e32 v7, 23, v7
	s_delay_alu instid0(VALU_DEP_3) | instskip(NEXT) | instid1(VALU_DEP_3)
	v_cmp_ne_u32_e32 vcc_lo, 0, v11
	v_cmp_ne_u32_e64 s0, 0, v9
	s_and_b32 s0, vcc_lo, s0
	s_delay_alu instid0(SALU_CYCLE_1) | instskip(NEXT) | instid1(VALU_DEP_1)
	v_cndmask_b32_e64 v9, 0, 1, s0
	v_add_nc_u32_e32 v14, v7, v9
.LBB316_2908:
	s_or_b32 exec_lo, exec_lo, s13
.LBB316_2909:
	s_mov_b32 s13, 0
	s_mov_b32 s0, -1
.LBB316_2910:
	s_and_not1_b32 vcc_lo, exec_lo, s13
	s_mov_b32 s13, 0
	s_cbranch_vccnz .LBB316_2923
; %bb.2911:
	s_cmp_gt_i32 s11, 14
	s_cbranch_scc0 .LBB316_2916
; %bb.2912:
	s_cmp_eq_u32 s11, 15
	s_cbranch_scc0 .LBB316_2919
; %bb.2913:
	global_load_u16 v7, v[12:13], off
	s_wait_loadcnt 0x1
	s_wait_xcnt 0x1
	v_mov_b32_e32 v14, 0xff
	s_mov_b32 s12, exec_lo
	s_wait_loadcnt 0x0
	v_bfe_u32 v9, v7, 7, 8
	s_wait_xcnt 0x0
	s_delay_alu instid0(VALU_DEP_1)
	v_cmpx_ne_u32_e32 0xff, v9
	s_cbranch_execz .LBB316_2915
; %bb.2914:
	v_dual_lshlrev_b32 v11, 16, v7 :: v_dual_bitop2_b32 v14, 64, v7 bitop3:0x40
	v_lshrrev_b32_e32 v7, 7, v7
	s_delay_alu instid0(VALU_DEP_2) | instskip(NEXT) | instid1(VALU_DEP_3)
	v_and_or_b32 v9, 0x3f0000, v11, v9
	v_cmp_ne_u32_e32 vcc_lo, 0, v14
	s_delay_alu instid0(VALU_DEP_2) | instskip(SKIP_1) | instid1(SALU_CYCLE_1)
	v_cmp_ne_u32_e64 s0, 0, v9
	s_and_b32 s0, vcc_lo, s0
	v_cndmask_b32_e64 v9, 0, 1, s0
	s_delay_alu instid0(VALU_DEP_1)
	v_add_nc_u32_e32 v14, v7, v9
.LBB316_2915:
	s_or_b32 exec_lo, exec_lo, s12
	s_mov_b32 s12, 0
	s_mov_b32 s0, -1
	s_branch .LBB316_2921
.LBB316_2916:
	s_mov_b32 s13, -1
	s_branch .LBB316_2920
.LBB316_2917:
	s_or_saveexec_b32 s13, s13
	v_mov_b32_e32 v9, 0x7f800001
	s_xor_b32 exec_lo, exec_lo, s13
	s_cbranch_execz .LBB316_2890
.LBB316_2918:
	v_cmp_ne_u16_e32 vcc_lo, 0, v7
	v_and_b32_e32 v9, 0xffff, v7
	s_and_not1_b32 s0, s0, exec_lo
	s_and_b32 s14, vcc_lo, exec_lo
	s_delay_alu instid0(SALU_CYCLE_1)
	s_or_b32 s0, s0, s14
	s_or_b32 exec_lo, exec_lo, s13
	s_and_saveexec_b32 s13, s0
	s_cbranch_execnz .LBB316_2891
	s_branch .LBB316_2892
.LBB316_2919:
	s_mov_b32 s12, -1
.LBB316_2920:
                                        ; implicit-def: $vgpr14
.LBB316_2921:
	s_and_b32 vcc_lo, exec_lo, s13
	s_mov_b32 s13, 0
	s_cbranch_vccz .LBB316_2923
; %bb.2922:
	s_cmp_lg_u32 s11, 11
	s_mov_b32 s13, -1
	s_cselect_b32 s12, -1, 0
.LBB316_2923:
	s_delay_alu instid0(SALU_CYCLE_1)
	s_and_b32 vcc_lo, exec_lo, s12
	s_cbranch_vccnz .LBB316_3014
; %bb.2924:
	s_and_not1_b32 vcc_lo, exec_lo, s13
	s_cbranch_vccnz .LBB316_2928
.LBB316_2925:
	global_load_u8 v7, v[12:13], off
	s_mov_b32 s12, exec_lo
	s_wait_loadcnt 0x1
	s_wait_xcnt 0x1
	v_mov_b32_e32 v14, 0xff
	s_wait_loadcnt 0x0
	v_cmp_ne_u16_e32 vcc_lo, 0, v7
	v_cndmask_b32_e64 v9, 0, 1.0, vcc_lo
	s_delay_alu instid0(VALU_DEP_1) | instskip(SKIP_1) | instid1(VALU_DEP_1)
	v_lshrrev_b32_e32 v7, 23, v9
	s_wait_xcnt 0x0
	v_cmpx_ne_u32_e32 0xff, v7
; %bb.2926:
	v_and_b32_e32 v11, 0x400000, v9
	v_and_or_b32 v9, 0x3fffff, v9, v7
	s_delay_alu instid0(VALU_DEP_2) | instskip(NEXT) | instid1(VALU_DEP_2)
	v_cmp_ne_u32_e32 vcc_lo, 0, v11
	v_cmp_ne_u32_e64 s0, 0, v9
	s_and_b32 s0, vcc_lo, s0
	s_delay_alu instid0(SALU_CYCLE_1) | instskip(NEXT) | instid1(VALU_DEP_1)
	v_cndmask_b32_e64 v9, 0, 1, s0
	v_add_nc_u32_e32 v14, v7, v9
; %bb.2927:
	s_or_b32 exec_lo, exec_lo, s12
	s_mov_b32 s0, -1
.LBB316_2928:
	s_mov_b32 s12, 0
.LBB316_2929:
	s_delay_alu instid0(SALU_CYCLE_1)
	s_and_b32 vcc_lo, exec_lo, s12
	s_cbranch_vccz .LBB316_3000
; %bb.2930:
	s_cmp_lt_i32 s11, 5
	s_cbranch_scc1 .LBB316_2937
; %bb.2931:
	s_cmp_lt_i32 s11, 8
	s_cbranch_scc1 .LBB316_2938
	;; [unrolled: 3-line block ×3, first 2 shown]
; %bb.2933:
	s_cmp_gt_i32 s11, 9
	s_cbranch_scc0 .LBB316_2940
; %bb.2934:
	s_wait_loadcnt 0x0
	global_load_b64 v[14:15], v[12:13], off
	s_mov_b32 s12, exec_lo
	s_wait_loadcnt 0x0
	v_cvt_f32_f64_e32 v7, v[14:15]
	v_mov_b32_e32 v14, 0xff
	s_delay_alu instid0(VALU_DEP_2) | instskip(SKIP_1) | instid1(VALU_DEP_1)
	v_bfe_u32 v9, v7, 23, 8
	s_wait_xcnt 0x0
	v_cmpx_ne_u32_e32 0xff, v9
	s_cbranch_execz .LBB316_2936
; %bb.2935:
	v_and_b32_e32 v11, 0x400000, v7
	v_and_or_b32 v9, 0x3fffff, v7, v9
	v_lshrrev_b32_e32 v7, 23, v7
	s_delay_alu instid0(VALU_DEP_3) | instskip(NEXT) | instid1(VALU_DEP_3)
	v_cmp_ne_u32_e32 vcc_lo, 0, v11
	v_cmp_ne_u32_e64 s0, 0, v9
	s_and_b32 s0, vcc_lo, s0
	s_delay_alu instid0(SALU_CYCLE_1) | instskip(NEXT) | instid1(VALU_DEP_1)
	v_cndmask_b32_e64 v9, 0, 1, s0
	v_add_nc_u32_e32 v14, v7, v9
.LBB316_2936:
	s_or_b32 exec_lo, exec_lo, s12
	s_mov_b32 s0, 0
	s_branch .LBB316_2941
.LBB316_2937:
	s_mov_b32 s0, -1
                                        ; implicit-def: $vgpr14
	s_branch .LBB316_2969
.LBB316_2938:
	s_mov_b32 s0, -1
                                        ; implicit-def: $vgpr14
	s_branch .LBB316_2951
.LBB316_2939:
	s_mov_b32 s0, -1
                                        ; implicit-def: $vgpr14
	s_branch .LBB316_2946
.LBB316_2940:
	s_mov_b32 s0, -1
                                        ; implicit-def: $vgpr14
.LBB316_2941:
	s_delay_alu instid0(SALU_CYCLE_1)
	s_and_not1_b32 vcc_lo, exec_lo, s0
	s_cbranch_vccnz .LBB316_2945
; %bb.2942:
	global_load_b32 v7, v[12:13], off
	s_wait_loadcnt 0x1
	s_wait_xcnt 0x1
	v_mov_b32_e32 v14, 0xff
	s_mov_b32 s12, exec_lo
	s_wait_loadcnt 0x0
	v_bfe_u32 v9, v7, 23, 8
	s_wait_xcnt 0x0
	s_delay_alu instid0(VALU_DEP_1)
	v_cmpx_ne_u32_e32 0xff, v9
	s_cbranch_execz .LBB316_2944
; %bb.2943:
	v_and_b32_e32 v11, 0x400000, v7
	v_and_or_b32 v9, 0x3fffff, v7, v9
	v_lshrrev_b32_e32 v7, 23, v7
	s_delay_alu instid0(VALU_DEP_3) | instskip(NEXT) | instid1(VALU_DEP_3)
	v_cmp_ne_u32_e32 vcc_lo, 0, v11
	v_cmp_ne_u32_e64 s0, 0, v9
	s_and_b32 s0, vcc_lo, s0
	s_delay_alu instid0(SALU_CYCLE_1) | instskip(NEXT) | instid1(VALU_DEP_1)
	v_cndmask_b32_e64 v9, 0, 1, s0
	v_add_nc_u32_e32 v14, v7, v9
.LBB316_2944:
	s_or_b32 exec_lo, exec_lo, s12
.LBB316_2945:
	s_mov_b32 s0, 0
.LBB316_2946:
	s_delay_alu instid0(SALU_CYCLE_1)
	s_and_not1_b32 vcc_lo, exec_lo, s0
	s_cbranch_vccnz .LBB316_2950
; %bb.2947:
	global_load_b32 v7, v[12:13], off
	s_wait_loadcnt 0x1
	s_wait_xcnt 0x1
	v_mov_b32_e32 v14, 0xff
	s_mov_b32 s12, exec_lo
	s_wait_loadcnt 0x0
	v_cvt_f32_f16_e32 v7, v7
	s_delay_alu instid0(VALU_DEP_1) | instskip(SKIP_1) | instid1(VALU_DEP_1)
	v_bfe_u32 v9, v7, 23, 8
	s_wait_xcnt 0x0
	v_cmpx_ne_u32_e32 0xff, v9
	s_cbranch_execz .LBB316_2949
; %bb.2948:
	v_and_b32_e32 v11, 0x400000, v7
	v_and_or_b32 v9, 0x3fffff, v7, v9
	v_lshrrev_b32_e32 v7, 23, v7
	s_delay_alu instid0(VALU_DEP_3) | instskip(NEXT) | instid1(VALU_DEP_3)
	v_cmp_ne_u32_e32 vcc_lo, 0, v11
	v_cmp_ne_u32_e64 s0, 0, v9
	s_and_b32 s0, vcc_lo, s0
	s_delay_alu instid0(SALU_CYCLE_1) | instskip(NEXT) | instid1(VALU_DEP_1)
	v_cndmask_b32_e64 v9, 0, 1, s0
	v_add_nc_u32_e32 v14, v7, v9
.LBB316_2949:
	s_or_b32 exec_lo, exec_lo, s12
.LBB316_2950:
	s_mov_b32 s0, 0
.LBB316_2951:
	s_delay_alu instid0(SALU_CYCLE_1)
	s_and_not1_b32 vcc_lo, exec_lo, s0
	s_cbranch_vccnz .LBB316_2968
; %bb.2952:
	s_cmp_lt_i32 s11, 6
	s_cbranch_scc1 .LBB316_2957
; %bb.2953:
	s_cmp_gt_i32 s11, 6
	s_cbranch_scc0 .LBB316_2958
; %bb.2954:
	s_wait_loadcnt 0x0
	global_load_b64 v[14:15], v[12:13], off
	s_mov_b32 s12, exec_lo
	s_wait_loadcnt 0x0
	v_cvt_f32_f64_e32 v7, v[14:15]
	v_mov_b32_e32 v14, 0xff
	s_delay_alu instid0(VALU_DEP_2) | instskip(SKIP_1) | instid1(VALU_DEP_1)
	v_bfe_u32 v9, v7, 23, 8
	s_wait_xcnt 0x0
	v_cmpx_ne_u32_e32 0xff, v9
	s_cbranch_execz .LBB316_2956
; %bb.2955:
	v_and_b32_e32 v11, 0x400000, v7
	v_and_or_b32 v9, 0x3fffff, v7, v9
	v_lshrrev_b32_e32 v7, 23, v7
	s_delay_alu instid0(VALU_DEP_3) | instskip(NEXT) | instid1(VALU_DEP_3)
	v_cmp_ne_u32_e32 vcc_lo, 0, v11
	v_cmp_ne_u32_e64 s0, 0, v9
	s_and_b32 s0, vcc_lo, s0
	s_delay_alu instid0(SALU_CYCLE_1) | instskip(NEXT) | instid1(VALU_DEP_1)
	v_cndmask_b32_e64 v9, 0, 1, s0
	v_add_nc_u32_e32 v14, v7, v9
.LBB316_2956:
	s_or_b32 exec_lo, exec_lo, s12
	s_mov_b32 s0, 0
	s_branch .LBB316_2959
.LBB316_2957:
	s_mov_b32 s0, -1
                                        ; implicit-def: $vgpr14
	s_branch .LBB316_2964
.LBB316_2958:
	s_mov_b32 s0, -1
                                        ; implicit-def: $vgpr14
.LBB316_2959:
	s_delay_alu instid0(SALU_CYCLE_1)
	s_and_not1_b32 vcc_lo, exec_lo, s0
	s_cbranch_vccnz .LBB316_2963
; %bb.2960:
	global_load_b32 v7, v[12:13], off
	s_wait_loadcnt 0x1
	s_wait_xcnt 0x1
	v_mov_b32_e32 v14, 0xff
	s_mov_b32 s12, exec_lo
	s_wait_loadcnt 0x0
	v_bfe_u32 v9, v7, 23, 8
	s_wait_xcnt 0x0
	s_delay_alu instid0(VALU_DEP_1)
	v_cmpx_ne_u32_e32 0xff, v9
	s_cbranch_execz .LBB316_2962
; %bb.2961:
	v_and_b32_e32 v11, 0x400000, v7
	v_and_or_b32 v9, 0x3fffff, v7, v9
	v_lshrrev_b32_e32 v7, 23, v7
	s_delay_alu instid0(VALU_DEP_3) | instskip(NEXT) | instid1(VALU_DEP_3)
	v_cmp_ne_u32_e32 vcc_lo, 0, v11
	v_cmp_ne_u32_e64 s0, 0, v9
	s_and_b32 s0, vcc_lo, s0
	s_delay_alu instid0(SALU_CYCLE_1) | instskip(NEXT) | instid1(VALU_DEP_1)
	v_cndmask_b32_e64 v9, 0, 1, s0
	v_add_nc_u32_e32 v14, v7, v9
.LBB316_2962:
	s_or_b32 exec_lo, exec_lo, s12
.LBB316_2963:
	s_mov_b32 s0, 0
.LBB316_2964:
	s_delay_alu instid0(SALU_CYCLE_1)
	s_and_not1_b32 vcc_lo, exec_lo, s0
	s_cbranch_vccnz .LBB316_2968
; %bb.2965:
	global_load_u16 v7, v[12:13], off
	s_wait_loadcnt 0x1
	s_wait_xcnt 0x1
	v_mov_b32_e32 v14, 0xff
	s_mov_b32 s12, exec_lo
	s_wait_loadcnt 0x0
	v_cvt_f32_f16_e32 v7, v7
	s_delay_alu instid0(VALU_DEP_1) | instskip(SKIP_1) | instid1(VALU_DEP_1)
	v_bfe_u32 v9, v7, 23, 8
	s_wait_xcnt 0x0
	v_cmpx_ne_u32_e32 0xff, v9
	s_cbranch_execz .LBB316_2967
; %bb.2966:
	v_and_b32_e32 v11, 0x400000, v7
	v_and_or_b32 v9, 0x3fffff, v7, v9
	v_lshrrev_b32_e32 v7, 23, v7
	s_delay_alu instid0(VALU_DEP_3) | instskip(NEXT) | instid1(VALU_DEP_3)
	v_cmp_ne_u32_e32 vcc_lo, 0, v11
	v_cmp_ne_u32_e64 s0, 0, v9
	s_and_b32 s0, vcc_lo, s0
	s_delay_alu instid0(SALU_CYCLE_1) | instskip(NEXT) | instid1(VALU_DEP_1)
	v_cndmask_b32_e64 v9, 0, 1, s0
	v_add_nc_u32_e32 v14, v7, v9
.LBB316_2967:
	s_or_b32 exec_lo, exec_lo, s12
.LBB316_2968:
	s_mov_b32 s0, 0
.LBB316_2969:
	s_delay_alu instid0(SALU_CYCLE_1)
	s_and_not1_b32 vcc_lo, exec_lo, s0
	s_cbranch_vccnz .LBB316_2999
; %bb.2970:
	s_cmp_lt_i32 s11, 2
	s_cbranch_scc1 .LBB316_2976
; %bb.2971:
	s_cmp_lt_i32 s11, 3
	s_cbranch_scc1 .LBB316_2977
; %bb.2972:
	s_cmp_gt_i32 s11, 3
	s_cbranch_scc0 .LBB316_2978
; %bb.2973:
	s_wait_loadcnt 0x0
	global_load_b64 v[14:15], v[12:13], off
	s_mov_b32 s12, exec_lo
	s_wait_loadcnt 0x0
	v_xor_b32_e32 v7, v14, v15
	v_cls_i32_e32 v9, v15
	s_delay_alu instid0(VALU_DEP_2) | instskip(NEXT) | instid1(VALU_DEP_1)
	v_ashrrev_i32_e32 v7, 31, v7
	v_add_nc_u32_e32 v7, 32, v7
	s_delay_alu instid0(VALU_DEP_1) | instskip(NEXT) | instid1(VALU_DEP_1)
	v_add_min_u32_e64 v7, v9, -1, v7
	v_lshlrev_b64_e32 v[14:15], v7, v[14:15]
	v_sub_nc_u32_e32 v7, 32, v7
	s_delay_alu instid0(VALU_DEP_2) | instskip(SKIP_1) | instid1(VALU_DEP_2)
	v_min_u32_e32 v9, 1, v14
	v_mov_b32_e32 v14, 0xff
	v_or_b32_e32 v9, v15, v9
	s_delay_alu instid0(VALU_DEP_1) | instskip(NEXT) | instid1(VALU_DEP_1)
	v_cvt_f32_i32_e32 v9, v9
	v_ldexp_f32 v7, v9, v7
	s_delay_alu instid0(VALU_DEP_1) | instskip(SKIP_1) | instid1(VALU_DEP_1)
	v_bfe_u32 v9, v7, 23, 8
	s_wait_xcnt 0x0
	v_cmpx_ne_u32_e32 0xff, v9
	s_cbranch_execz .LBB316_2975
; %bb.2974:
	v_and_b32_e32 v11, 0x400000, v7
	v_and_or_b32 v9, 0x3fffff, v7, v9
	v_lshrrev_b32_e32 v7, 23, v7
	s_delay_alu instid0(VALU_DEP_3) | instskip(NEXT) | instid1(VALU_DEP_3)
	v_cmp_ne_u32_e32 vcc_lo, 0, v11
	v_cmp_ne_u32_e64 s0, 0, v9
	s_and_b32 s0, vcc_lo, s0
	s_delay_alu instid0(SALU_CYCLE_1) | instskip(NEXT) | instid1(VALU_DEP_1)
	v_cndmask_b32_e64 v9, 0, 1, s0
	v_add_nc_u32_e32 v14, v7, v9
.LBB316_2975:
	s_or_b32 exec_lo, exec_lo, s12
	s_mov_b32 s0, 0
	s_branch .LBB316_2979
.LBB316_2976:
	s_mov_b32 s0, -1
                                        ; implicit-def: $vgpr14
	s_branch .LBB316_2989
.LBB316_2977:
	s_mov_b32 s0, -1
                                        ; implicit-def: $vgpr14
	s_branch .LBB316_2984
.LBB316_2978:
	s_mov_b32 s0, -1
                                        ; implicit-def: $vgpr14
.LBB316_2979:
	s_delay_alu instid0(SALU_CYCLE_1)
	s_and_not1_b32 vcc_lo, exec_lo, s0
	s_cbranch_vccnz .LBB316_2983
; %bb.2980:
	global_load_b32 v7, v[12:13], off
	s_wait_loadcnt 0x1
	s_wait_xcnt 0x1
	v_mov_b32_e32 v14, 0xff
	s_mov_b32 s12, exec_lo
	s_wait_loadcnt 0x0
	v_cvt_f32_i32_e32 v7, v7
	s_delay_alu instid0(VALU_DEP_1) | instskip(SKIP_1) | instid1(VALU_DEP_1)
	v_bfe_u32 v9, v7, 23, 8
	s_wait_xcnt 0x0
	v_cmpx_ne_u32_e32 0xff, v9
	s_cbranch_execz .LBB316_2982
; %bb.2981:
	v_and_b32_e32 v11, 0x400000, v7
	v_and_or_b32 v9, 0x3fffff, v7, v9
	v_lshrrev_b32_e32 v7, 23, v7
	s_delay_alu instid0(VALU_DEP_3) | instskip(NEXT) | instid1(VALU_DEP_3)
	v_cmp_ne_u32_e32 vcc_lo, 0, v11
	v_cmp_ne_u32_e64 s0, 0, v9
	s_and_b32 s0, vcc_lo, s0
	s_delay_alu instid0(SALU_CYCLE_1) | instskip(NEXT) | instid1(VALU_DEP_1)
	v_cndmask_b32_e64 v9, 0, 1, s0
	v_add_nc_u32_e32 v14, v7, v9
.LBB316_2982:
	s_or_b32 exec_lo, exec_lo, s12
.LBB316_2983:
	s_mov_b32 s0, 0
.LBB316_2984:
	s_delay_alu instid0(SALU_CYCLE_1)
	s_and_not1_b32 vcc_lo, exec_lo, s0
	s_cbranch_vccnz .LBB316_2988
; %bb.2985:
	global_load_i16 v7, v[12:13], off
	s_wait_loadcnt 0x1
	s_wait_xcnt 0x1
	v_mov_b32_e32 v14, 0xff
	s_mov_b32 s12, exec_lo
	s_wait_loadcnt 0x0
	v_cvt_f32_i32_e32 v7, v7
	s_delay_alu instid0(VALU_DEP_1) | instskip(SKIP_1) | instid1(VALU_DEP_1)
	v_bfe_u32 v9, v7, 23, 8
	s_wait_xcnt 0x0
	v_cmpx_ne_u32_e32 0xff, v9
	s_cbranch_execz .LBB316_2987
; %bb.2986:
	v_and_b32_e32 v11, 0x400000, v7
	v_and_or_b32 v9, 0x3fffff, v7, v9
	v_lshrrev_b32_e32 v7, 23, v7
	s_delay_alu instid0(VALU_DEP_3) | instskip(NEXT) | instid1(VALU_DEP_3)
	v_cmp_ne_u32_e32 vcc_lo, 0, v11
	v_cmp_ne_u32_e64 s0, 0, v9
	s_and_b32 s0, vcc_lo, s0
	s_delay_alu instid0(SALU_CYCLE_1) | instskip(NEXT) | instid1(VALU_DEP_1)
	v_cndmask_b32_e64 v9, 0, 1, s0
	v_add_nc_u32_e32 v14, v7, v9
.LBB316_2987:
	s_or_b32 exec_lo, exec_lo, s12
.LBB316_2988:
	s_mov_b32 s0, 0
.LBB316_2989:
	s_delay_alu instid0(SALU_CYCLE_1)
	s_and_not1_b32 vcc_lo, exec_lo, s0
	s_cbranch_vccnz .LBB316_2999
; %bb.2990:
	s_cmp_gt_i32 s11, 0
	s_cbranch_scc0 .LBB316_2994
; %bb.2991:
	global_load_i8 v7, v[12:13], off
	s_wait_loadcnt 0x1
	s_wait_xcnt 0x1
	v_mov_b32_e32 v14, 0xff
	s_mov_b32 s12, exec_lo
	s_wait_loadcnt 0x0
	v_cvt_f32_i32_e32 v7, v7
	s_delay_alu instid0(VALU_DEP_1) | instskip(SKIP_1) | instid1(VALU_DEP_1)
	v_bfe_u32 v9, v7, 23, 8
	s_wait_xcnt 0x0
	v_cmpx_ne_u32_e32 0xff, v9
	s_cbranch_execz .LBB316_2993
; %bb.2992:
	v_and_b32_e32 v11, 0x400000, v7
	v_and_or_b32 v9, 0x3fffff, v7, v9
	v_lshrrev_b32_e32 v7, 23, v7
	s_delay_alu instid0(VALU_DEP_3) | instskip(NEXT) | instid1(VALU_DEP_3)
	v_cmp_ne_u32_e32 vcc_lo, 0, v11
	v_cmp_ne_u32_e64 s0, 0, v9
	s_and_b32 s0, vcc_lo, s0
	s_delay_alu instid0(SALU_CYCLE_1) | instskip(NEXT) | instid1(VALU_DEP_1)
	v_cndmask_b32_e64 v9, 0, 1, s0
	v_add_nc_u32_e32 v14, v7, v9
.LBB316_2993:
	s_or_b32 exec_lo, exec_lo, s12
	s_mov_b32 s0, 0
	s_branch .LBB316_2995
.LBB316_2994:
	s_mov_b32 s0, -1
                                        ; implicit-def: $vgpr14
.LBB316_2995:
	s_delay_alu instid0(SALU_CYCLE_1)
	s_and_not1_b32 vcc_lo, exec_lo, s0
	s_cbranch_vccnz .LBB316_2999
; %bb.2996:
	global_load_u8 v7, v[12:13], off
	s_mov_b32 s12, exec_lo
	s_wait_loadcnt 0x1
	s_wait_xcnt 0x1
	v_mov_b32_e32 v14, 0xff
	s_wait_loadcnt 0x0
	v_cvt_f32_ubyte0_e32 v9, v7
	s_delay_alu instid0(VALU_DEP_1) | instskip(SKIP_1) | instid1(VALU_DEP_1)
	v_lshrrev_b32_e32 v7, 23, v9
	s_wait_xcnt 0x0
	v_cmpx_ne_u32_e32 0xff, v7
; %bb.2997:
	v_and_b32_e32 v11, 0x400000, v9
	v_and_or_b32 v9, 0x3fffff, v9, v7
	s_delay_alu instid0(VALU_DEP_2) | instskip(NEXT) | instid1(VALU_DEP_2)
	v_cmp_ne_u32_e32 vcc_lo, 0, v11
	v_cmp_ne_u32_e64 s0, 0, v9
	s_and_b32 s0, vcc_lo, s0
	s_delay_alu instid0(SALU_CYCLE_1) | instskip(NEXT) | instid1(VALU_DEP_1)
	v_cndmask_b32_e64 v9, 0, 1, s0
	v_add_nc_u32_e32 v14, v7, v9
; %bb.2998:
	s_or_b32 exec_lo, exec_lo, s12
.LBB316_2999:
	s_mov_b32 s0, -1
.LBB316_3000:
	s_delay_alu instid0(SALU_CYCLE_1)
	s_and_not1_b32 vcc_lo, exec_lo, s0
	s_cbranch_vccnz .LBB316_3777
; %bb.3001:
	v_mov_b32_e32 v11, 0
	s_cmp_lt_i32 s1, 11
	s_delay_alu instid0(VALU_DEP_1)
	v_add_nc_u64_e32 v[10:11], s[6:7], v[10:11]
	s_cbranch_scc1 .LBB316_3010
; %bb.3002:
	s_cmp_gt_i32 s1, 25
	s_mov_b32 s7, 0
	s_cbranch_scc0 .LBB316_3011
; %bb.3003:
	s_cmp_gt_i32 s1, 28
	s_cbranch_scc0 .LBB316_3012
; %bb.3004:
	s_cmp_gt_i32 s1, 43
	;; [unrolled: 3-line block ×3, first 2 shown]
	s_cbranch_scc0 .LBB316_3015
; %bb.3006:
	s_cmp_eq_u32 s1, 46
	s_mov_b32 s12, 0
	s_cbranch_scc0 .LBB316_3016
; %bb.3007:
	global_load_b32 v7, v[10:11], off
	s_mov_b32 s6, exec_lo
	s_wait_loadcnt 0x0
	s_wait_xcnt 0x1
	v_dual_mov_b32 v12, 0xff :: v_dual_lshlrev_b32 v9, 16, v7
	s_delay_alu instid0(VALU_DEP_1) | instskip(SKIP_1) | instid1(VALU_DEP_1)
	v_bfe_u32 v13, v9, 23, 8
	s_wait_xcnt 0x0
	v_cmpx_ne_u32_e32 0xff, v13
	s_cbranch_execz .LBB316_3009
; %bb.3008:
	v_and_b32_e32 v12, 64, v7
	v_and_or_b32 v9, 0x3f0000, v9, v13
	v_bfe_u32 v7, v7, 7, 9
	s_delay_alu instid0(VALU_DEP_3) | instskip(NEXT) | instid1(VALU_DEP_3)
	v_cmp_ne_u32_e32 vcc_lo, 0, v12
	v_cmp_ne_u32_e64 s0, 0, v9
	s_and_b32 s0, vcc_lo, s0
	s_delay_alu instid0(SALU_CYCLE_1) | instskip(NEXT) | instid1(VALU_DEP_1)
	v_cndmask_b32_e64 v9, 0, 1, s0
	v_add_nc_u32_e32 v12, v7, v9
.LBB316_3009:
	s_or_b32 exec_lo, exec_lo, s6
	s_mov_b32 s6, 0
	s_mov_b32 s0, -1
	s_branch .LBB316_3018
.LBB316_3010:
	s_mov_b32 s6, -1
	s_mov_b32 s0, 0
                                        ; implicit-def: $vgpr12
	s_branch .LBB316_3102
.LBB316_3011:
	s_mov_b32 s12, -1
	s_mov_b32 s0, 0
	s_mov_b32 s6, 0
                                        ; implicit-def: $vgpr12
	s_branch .LBB316_3055
.LBB316_3012:
	s_mov_b32 s12, -1
	s_mov_b32 s0, 0
	s_mov_b32 s6, 0
                                        ; implicit-def: $vgpr12
	s_branch .LBB316_3030
.LBB316_3013:
	s_mov_b32 s12, -1
	s_mov_b32 s0, 0
	s_mov_b32 s6, 0
                                        ; implicit-def: $vgpr12
	s_branch .LBB316_3023
.LBB316_3014:
	s_or_b32 s10, s10, exec_lo
	s_trap 2
	s_cbranch_execz .LBB316_2925
	s_branch .LBB316_2928
.LBB316_3015:
	s_mov_b32 s12, -1
	s_mov_b32 s0, 0
	s_mov_b32 s6, 0
	s_branch .LBB316_3017
.LBB316_3016:
	s_mov_b32 s6, -1
	s_mov_b32 s0, 0
.LBB316_3017:
                                        ; implicit-def: $vgpr12
.LBB316_3018:
	s_and_b32 vcc_lo, exec_lo, s12
	s_cbranch_vccz .LBB316_3022
; %bb.3019:
	s_cmp_eq_u32 s1, 44
	s_cbranch_scc0 .LBB316_3021
; %bb.3020:
	global_load_u8 v12, v[10:11], off
	s_mov_b32 s6, 0
	s_mov_b32 s0, -1
	s_branch .LBB316_3022
.LBB316_3021:
	s_mov_b32 s6, -1
                                        ; implicit-def: $vgpr12
.LBB316_3022:
	s_mov_b32 s12, 0
.LBB316_3023:
	s_delay_alu instid0(SALU_CYCLE_1)
	s_and_b32 vcc_lo, exec_lo, s12
	s_cbranch_vccz .LBB316_3029
; %bb.3024:
	s_cmp_eq_u32 s1, 29
	s_cbranch_scc0 .LBB316_3028
; %bb.3025:
	s_wait_loadcnt 0x0
	global_load_b64 v[12:13], v[10:11], off
	s_mov_b32 s6, exec_lo
	s_wait_loadcnt 0x0
	v_clz_i32_u32_e32 v7, v13
	s_delay_alu instid0(VALU_DEP_1) | instskip(NEXT) | instid1(VALU_DEP_1)
	v_min_u32_e32 v7, 32, v7
	v_lshlrev_b64_e32 v[12:13], v7, v[12:13]
	v_sub_nc_u32_e32 v7, 32, v7
	s_delay_alu instid0(VALU_DEP_2) | instskip(SKIP_1) | instid1(VALU_DEP_2)
	v_min_u32_e32 v9, 1, v12
	v_mov_b32_e32 v12, 0xff
	v_or_b32_e32 v9, v13, v9
	s_delay_alu instid0(VALU_DEP_1) | instskip(NEXT) | instid1(VALU_DEP_1)
	v_cvt_f32_u32_e32 v9, v9
	v_ldexp_f32 v9, v9, v7
	s_delay_alu instid0(VALU_DEP_1) | instskip(SKIP_1) | instid1(VALU_DEP_1)
	v_lshrrev_b32_e32 v7, 23, v9
	s_wait_xcnt 0x0
	v_cmpx_ne_u32_e32 0xff, v7
; %bb.3026:
	v_and_b32_e32 v12, 0x400000, v9
	v_and_or_b32 v9, 0x3fffff, v9, v7
	s_delay_alu instid0(VALU_DEP_2) | instskip(NEXT) | instid1(VALU_DEP_2)
	v_cmp_ne_u32_e32 vcc_lo, 0, v12
	v_cmp_ne_u32_e64 s0, 0, v9
	s_and_b32 s0, vcc_lo, s0
	s_delay_alu instid0(SALU_CYCLE_1) | instskip(NEXT) | instid1(VALU_DEP_1)
	v_cndmask_b32_e64 v9, 0, 1, s0
	v_add_nc_u32_e32 v12, v7, v9
; %bb.3027:
	s_or_b32 exec_lo, exec_lo, s6
	s_mov_b32 s6, 0
	s_mov_b32 s0, -1
	s_branch .LBB316_3029
.LBB316_3028:
	s_mov_b32 s6, -1
                                        ; implicit-def: $vgpr12
.LBB316_3029:
	s_mov_b32 s12, 0
.LBB316_3030:
	s_delay_alu instid0(SALU_CYCLE_1)
	s_and_b32 vcc_lo, exec_lo, s12
	s_cbranch_vccz .LBB316_3054
; %bb.3031:
	s_cmp_lt_i32 s1, 27
	s_cbranch_scc1 .LBB316_3036
; %bb.3032:
	s_cmp_gt_i32 s1, 27
	s_cbranch_scc0 .LBB316_3037
; %bb.3033:
	global_load_b32 v7, v[10:11], off
	s_mov_b32 s12, exec_lo
	s_wait_loadcnt 0x1
	s_wait_xcnt 0x1
	v_mov_b32_e32 v12, 0xff
	s_wait_loadcnt 0x0
	v_cvt_f32_u32_e32 v9, v7
	s_delay_alu instid0(VALU_DEP_1) | instskip(SKIP_1) | instid1(VALU_DEP_1)
	v_lshrrev_b32_e32 v7, 23, v9
	s_wait_xcnt 0x0
	v_cmpx_ne_u32_e32 0xff, v7
; %bb.3034:
	v_and_b32_e32 v12, 0x400000, v9
	v_and_or_b32 v9, 0x3fffff, v9, v7
	s_delay_alu instid0(VALU_DEP_2) | instskip(NEXT) | instid1(VALU_DEP_2)
	v_cmp_ne_u32_e32 vcc_lo, 0, v12
	v_cmp_ne_u32_e64 s0, 0, v9
	s_and_b32 s0, vcc_lo, s0
	s_delay_alu instid0(SALU_CYCLE_1) | instskip(NEXT) | instid1(VALU_DEP_1)
	v_cndmask_b32_e64 v9, 0, 1, s0
	v_add_nc_u32_e32 v12, v7, v9
; %bb.3035:
	s_or_b32 exec_lo, exec_lo, s12
	s_mov_b32 s0, 0
	s_branch .LBB316_3038
.LBB316_3036:
	s_mov_b32 s0, -1
                                        ; implicit-def: $vgpr12
	s_branch .LBB316_3043
.LBB316_3037:
	s_mov_b32 s0, -1
                                        ; implicit-def: $vgpr12
.LBB316_3038:
	s_delay_alu instid0(SALU_CYCLE_1)
	s_and_not1_b32 vcc_lo, exec_lo, s0
	s_cbranch_vccnz .LBB316_3042
; %bb.3039:
	global_load_u16 v7, v[10:11], off
	s_mov_b32 s12, exec_lo
	s_wait_loadcnt 0x1
	s_wait_xcnt 0x1
	v_mov_b32_e32 v12, 0xff
	s_wait_loadcnt 0x0
	v_cvt_f32_u32_e32 v9, v7
	s_delay_alu instid0(VALU_DEP_1) | instskip(SKIP_1) | instid1(VALU_DEP_1)
	v_lshrrev_b32_e32 v7, 23, v9
	s_wait_xcnt 0x0
	v_cmpx_ne_u32_e32 0xff, v7
; %bb.3040:
	v_and_b32_e32 v12, 0x400000, v9
	v_and_or_b32 v9, 0x3fffff, v9, v7
	s_delay_alu instid0(VALU_DEP_2) | instskip(NEXT) | instid1(VALU_DEP_2)
	v_cmp_ne_u32_e32 vcc_lo, 0, v12
	v_cmp_ne_u32_e64 s0, 0, v9
	s_and_b32 s0, vcc_lo, s0
	s_delay_alu instid0(SALU_CYCLE_1) | instskip(NEXT) | instid1(VALU_DEP_1)
	v_cndmask_b32_e64 v9, 0, 1, s0
	v_add_nc_u32_e32 v12, v7, v9
; %bb.3041:
	s_or_b32 exec_lo, exec_lo, s12
.LBB316_3042:
	s_mov_b32 s0, 0
.LBB316_3043:
	s_delay_alu instid0(SALU_CYCLE_1)
	s_and_not1_b32 vcc_lo, exec_lo, s0
	s_cbranch_vccnz .LBB316_3053
; %bb.3044:
	global_load_u8 v7, v[10:11], off
	s_mov_b32 s0, 0
	s_mov_b32 s12, exec_lo
	s_wait_loadcnt 0x0
	v_cmpx_lt_i16_e32 0x7f, v7
	s_xor_b32 s12, exec_lo, s12
	s_cbranch_execz .LBB316_3071
; %bb.3045:
	s_mov_b32 s0, -1
	s_mov_b32 s13, exec_lo
	v_cmpx_eq_u16_e32 0x80, v7
; %bb.3046:
	s_xor_b32 s0, exec_lo, -1
; %bb.3047:
	s_or_b32 exec_lo, exec_lo, s13
	s_delay_alu instid0(SALU_CYCLE_1)
	s_and_b32 s0, s0, exec_lo
	s_or_saveexec_b32 s12, s12
	v_mov_b32_e32 v9, 0x7f800001
	s_xor_b32 exec_lo, exec_lo, s12
	s_cbranch_execnz .LBB316_3072
.LBB316_3048:
	s_or_b32 exec_lo, exec_lo, s12
	s_and_saveexec_b32 s12, s0
	s_cbranch_execz .LBB316_3050
.LBB316_3049:
	v_and_b32_e32 v7, 0xffff, v7
	s_delay_alu instid0(VALU_DEP_1) | instskip(NEXT) | instid1(VALU_DEP_1)
	v_and_b32_e32 v9, 7, v7
	v_clz_i32_u32_e32 v12, v9
	s_delay_alu instid0(VALU_DEP_1) | instskip(NEXT) | instid1(VALU_DEP_1)
	v_min_u32_e32 v12, 32, v12
	v_subrev_nc_u32_e32 v13, 28, v12
	s_delay_alu instid0(VALU_DEP_1) | instskip(SKIP_1) | instid1(VALU_DEP_2)
	v_lshlrev_b32_e32 v13, v13, v7
	v_bfe_u32 v7, v7, 3, 4
	v_dual_sub_nc_u32 v12, 29, v12 :: v_dual_bitop2_b32 v13, 7, v13 bitop3:0x40
	s_delay_alu instid0(VALU_DEP_2) | instskip(NEXT) | instid1(VALU_DEP_2)
	v_cmp_eq_u32_e32 vcc_lo, 0, v7
	v_dual_cndmask_b32 v7, v7, v12, vcc_lo :: v_dual_cndmask_b32 v9, v9, v13, vcc_lo
	s_delay_alu instid0(VALU_DEP_1) | instskip(NEXT) | instid1(VALU_DEP_1)
	v_lshlrev_b32_e32 v9, 20, v9
	v_lshl_or_b32 v7, v7, 23, v9
	s_delay_alu instid0(VALU_DEP_1)
	v_add_nc_u32_e32 v9, 0x3b800000, v7
.LBB316_3050:
	s_or_b32 exec_lo, exec_lo, s12
	s_delay_alu instid0(VALU_DEP_1) | instskip(SKIP_1) | instid1(VALU_DEP_1)
	v_dual_mov_b32 v12, 0xff :: v_dual_lshrrev_b32 v7, 23, v9
	s_mov_b32 s12, exec_lo
	v_cmpx_ne_u32_e32 0xff, v7
; %bb.3051:
	v_and_b32_e32 v12, 0x400000, v9
	v_and_or_b32 v9, 0x3fffff, v9, v7
	s_delay_alu instid0(VALU_DEP_2) | instskip(NEXT) | instid1(VALU_DEP_2)
	v_cmp_ne_u32_e32 vcc_lo, 0, v12
	v_cmp_ne_u32_e64 s0, 0, v9
	s_and_b32 s0, vcc_lo, s0
	s_delay_alu instid0(SALU_CYCLE_1) | instskip(NEXT) | instid1(VALU_DEP_1)
	v_cndmask_b32_e64 v9, 0, 1, s0
	v_add_nc_u32_e32 v12, v7, v9
; %bb.3052:
	s_or_b32 exec_lo, exec_lo, s12
.LBB316_3053:
	s_mov_b32 s0, -1
.LBB316_3054:
	s_mov_b32 s12, 0
.LBB316_3055:
	s_delay_alu instid0(SALU_CYCLE_1)
	s_and_b32 vcc_lo, exec_lo, s12
	s_cbranch_vccz .LBB316_3096
; %bb.3056:
	s_cmp_gt_i32 s1, 22
	s_cbranch_scc0 .LBB316_3070
; %bb.3057:
	s_cmp_lt_i32 s1, 24
	s_cbranch_scc1 .LBB316_3073
; %bb.3058:
	s_cmp_gt_i32 s1, 24
	s_cbranch_scc0 .LBB316_3074
; %bb.3059:
	global_load_u8 v7, v[10:11], off
	s_mov_b32 s0, 0
	s_mov_b32 s7, exec_lo
	s_wait_loadcnt 0x0
	v_cmpx_lt_i16_e32 0x7f, v7
	s_xor_b32 s7, exec_lo, s7
	s_cbranch_execz .LBB316_3063
; %bb.3060:
	s_mov_b32 s0, -1
	s_mov_b32 s12, exec_lo
	v_cmpx_eq_u16_e32 0x80, v7
; %bb.3061:
	s_xor_b32 s0, exec_lo, -1
; %bb.3062:
	s_or_b32 exec_lo, exec_lo, s12
	s_delay_alu instid0(SALU_CYCLE_1)
	s_and_b32 s0, s0, exec_lo
.LBB316_3063:
	s_or_saveexec_b32 s7, s7
	v_mov_b32_e32 v9, 0x7f800001
	v_and_b32_e32 v12, 0xffff, v7
	s_xor_b32 exec_lo, exec_lo, s7
; %bb.3064:
	v_cmp_ne_u16_e32 vcc_lo, 0, v7
	s_delay_alu instid0(VALU_DEP_2) | instskip(SKIP_2) | instid1(SALU_CYCLE_1)
	v_mov_b32_e32 v9, v12
	s_and_not1_b32 s0, s0, exec_lo
	s_and_b32 s12, vcc_lo, exec_lo
	s_or_b32 s0, s0, s12
; %bb.3065:
	s_or_b32 exec_lo, exec_lo, s7
	s_and_saveexec_b32 s7, s0
	s_cbranch_execz .LBB316_3067
; %bb.3066:
	v_and_b32_e32 v7, 3, v12
	s_delay_alu instid0(VALU_DEP_1) | instskip(NEXT) | instid1(VALU_DEP_1)
	v_clz_i32_u32_e32 v9, v7
	v_min_u32_e32 v9, 32, v9
	s_delay_alu instid0(VALU_DEP_1) | instskip(NEXT) | instid1(VALU_DEP_1)
	v_subrev_nc_u32_e32 v13, 29, v9
	v_lshlrev_b32_e32 v13, v13, v12
	v_bfe_u32 v12, v12, 2, 5
	s_delay_alu instid0(VALU_DEP_2) | instskip(NEXT) | instid1(VALU_DEP_2)
	v_and_b32_e32 v13, 3, v13
	v_cmp_eq_u32_e32 vcc_lo, 0, v12
	s_delay_alu instid0(VALU_DEP_2) | instskip(NEXT) | instid1(VALU_DEP_1)
	v_cndmask_b32_e32 v7, v7, v13, vcc_lo
	v_dual_sub_nc_u32 v9, 30, v9 :: v_dual_lshlrev_b32 v7, 21, v7
	s_delay_alu instid0(VALU_DEP_1) | instskip(NEXT) | instid1(VALU_DEP_1)
	v_cndmask_b32_e32 v9, v12, v9, vcc_lo
	v_lshl_or_b32 v7, v9, 23, v7
	s_delay_alu instid0(VALU_DEP_1)
	v_add_nc_u32_e32 v9, 0x37800000, v7
.LBB316_3067:
	s_or_b32 exec_lo, exec_lo, s7
	s_delay_alu instid0(VALU_DEP_1) | instskip(SKIP_1) | instid1(VALU_DEP_1)
	v_dual_mov_b32 v12, 0xff :: v_dual_lshrrev_b32 v7, 23, v9
	s_mov_b32 s7, exec_lo
	v_cmpx_ne_u32_e32 0xff, v7
; %bb.3068:
	v_and_b32_e32 v12, 0x400000, v9
	v_and_or_b32 v9, 0x3fffff, v9, v7
	s_delay_alu instid0(VALU_DEP_2) | instskip(NEXT) | instid1(VALU_DEP_2)
	v_cmp_ne_u32_e32 vcc_lo, 0, v12
	v_cmp_ne_u32_e64 s0, 0, v9
	s_and_b32 s0, vcc_lo, s0
	s_delay_alu instid0(SALU_CYCLE_1) | instskip(NEXT) | instid1(VALU_DEP_1)
	v_cndmask_b32_e64 v9, 0, 1, s0
	v_add_nc_u32_e32 v12, v7, v9
; %bb.3069:
	s_or_b32 exec_lo, exec_lo, s7
	s_mov_b32 s0, 0
	s_branch .LBB316_3075
.LBB316_3070:
	s_mov_b32 s7, -1
                                        ; implicit-def: $vgpr12
	s_branch .LBB316_3085
.LBB316_3071:
	s_or_saveexec_b32 s12, s12
	v_mov_b32_e32 v9, 0x7f800001
	s_xor_b32 exec_lo, exec_lo, s12
	s_cbranch_execz .LBB316_3048
.LBB316_3072:
	v_cmp_ne_u16_e32 vcc_lo, 0, v7
	v_and_b32_e32 v9, 0xffff, v7
	s_and_not1_b32 s0, s0, exec_lo
	s_and_b32 s13, vcc_lo, exec_lo
	s_delay_alu instid0(SALU_CYCLE_1)
	s_or_b32 s0, s0, s13
	s_or_b32 exec_lo, exec_lo, s12
	s_and_saveexec_b32 s12, s0
	s_cbranch_execnz .LBB316_3049
	s_branch .LBB316_3050
.LBB316_3073:
	s_mov_b32 s0, -1
                                        ; implicit-def: $vgpr12
	s_branch .LBB316_3080
.LBB316_3074:
	s_mov_b32 s0, -1
                                        ; implicit-def: $vgpr12
.LBB316_3075:
	s_delay_alu instid0(SALU_CYCLE_1)
	s_and_b32 vcc_lo, exec_lo, s0
	s_cbranch_vccz .LBB316_3079
; %bb.3076:
	global_load_u8 v7, v[10:11], off
	s_mov_b32 s7, exec_lo
	s_wait_loadcnt 0x0
	v_lshlrev_b32_e32 v7, 24, v7
	s_delay_alu instid0(VALU_DEP_1) | instskip(NEXT) | instid1(VALU_DEP_1)
	v_and_b32_e32 v7, 0x7f000000, v7
	v_clz_i32_u32_e32 v9, v7
	v_cmp_ne_u32_e32 vcc_lo, 0, v7
	s_wait_xcnt 0x1
	v_add_nc_u32_e32 v13, 0x1000000, v7
	s_delay_alu instid0(VALU_DEP_3) | instskip(NEXT) | instid1(VALU_DEP_1)
	v_min_u32_e32 v9, 32, v9
	v_sub_nc_u32_e64 v9, v9, 4 clamp
	s_delay_alu instid0(VALU_DEP_1) | instskip(NEXT) | instid1(VALU_DEP_1)
	v_dual_lshlrev_b32 v12, v9, v7 :: v_dual_lshlrev_b32 v9, 23, v9
	v_lshrrev_b32_e32 v12, 4, v12
	s_delay_alu instid0(VALU_DEP_1) | instskip(SKIP_1) | instid1(VALU_DEP_2)
	v_sub_nc_u32_e32 v9, v12, v9
	v_ashrrev_i32_e32 v12, 8, v13
	v_add_nc_u32_e32 v9, 0x3c000000, v9
	s_delay_alu instid0(VALU_DEP_1) | instskip(NEXT) | instid1(VALU_DEP_1)
	v_and_or_b32 v9, 0x7f800000, v12, v9
	v_dual_mov_b32 v12, 0xff :: v_dual_cndmask_b32 v9, 0, v9
	s_delay_alu instid0(VALU_DEP_1) | instskip(SKIP_1) | instid1(VALU_DEP_1)
	v_lshrrev_b32_e32 v7, 23, v9
	s_wait_xcnt 0x0
	v_cmpx_ne_u32_e32 0xff, v7
; %bb.3077:
	v_and_b32_e32 v12, 0x400000, v9
	v_and_or_b32 v9, 0x3fffff, v9, v7
	s_delay_alu instid0(VALU_DEP_2) | instskip(NEXT) | instid1(VALU_DEP_2)
	v_cmp_ne_u32_e32 vcc_lo, 0, v12
	v_cmp_ne_u32_e64 s0, 0, v9
	s_and_b32 s0, vcc_lo, s0
	s_delay_alu instid0(SALU_CYCLE_1) | instskip(NEXT) | instid1(VALU_DEP_1)
	v_cndmask_b32_e64 v9, 0, 1, s0
	v_add_nc_u32_e32 v12, v7, v9
; %bb.3078:
	s_or_b32 exec_lo, exec_lo, s7
.LBB316_3079:
	s_mov_b32 s0, 0
.LBB316_3080:
	s_delay_alu instid0(SALU_CYCLE_1)
	s_and_not1_b32 vcc_lo, exec_lo, s0
	s_cbranch_vccnz .LBB316_3084
; %bb.3081:
	global_load_u8 v7, v[10:11], off
	s_mov_b32 s7, exec_lo
	s_wait_loadcnt 0x0
	v_dual_lshlrev_b32 v9, 25, v7 :: v_dual_lshlrev_b32 v7, 8, v7
	s_delay_alu instid0(VALU_DEP_1) | instskip(NEXT) | instid1(VALU_DEP_2)
	v_cmp_gt_u32_e32 vcc_lo, 0x8000000, v9
	v_and_or_b32 v7, 0x7f00, v7, 0.5
	s_wait_xcnt 0x1
	s_delay_alu instid0(VALU_DEP_1) | instskip(NEXT) | instid1(VALU_DEP_1)
	v_dual_add_f32 v7, -0.5, v7 :: v_dual_lshrrev_b32 v12, 4, v9
	v_or_b32_e32 v12, 0x70000000, v12
	s_delay_alu instid0(VALU_DEP_1) | instskip(NEXT) | instid1(VALU_DEP_1)
	v_mul_f32_e32 v12, 0x7800000, v12
	v_dual_cndmask_b32 v7, v12, v7 :: v_dual_mov_b32 v12, 0xff
	s_delay_alu instid0(VALU_DEP_1) | instskip(SKIP_1) | instid1(VALU_DEP_1)
	v_bfe_u32 v9, v7, 23, 8
	s_wait_xcnt 0x0
	v_cmpx_ne_u32_e32 0xff, v9
	s_cbranch_execz .LBB316_3083
; %bb.3082:
	v_and_b32_e32 v12, 0x400000, v7
	v_and_or_b32 v9, 0x3fffff, v7, v9
	v_lshrrev_b32_e32 v7, 23, v7
	s_delay_alu instid0(VALU_DEP_3) | instskip(NEXT) | instid1(VALU_DEP_3)
	v_cmp_ne_u32_e32 vcc_lo, 0, v12
	v_cmp_ne_u32_e64 s0, 0, v9
	s_and_b32 s0, vcc_lo, s0
	s_delay_alu instid0(SALU_CYCLE_1) | instskip(NEXT) | instid1(VALU_DEP_1)
	v_cndmask_b32_e64 v9, 0, 1, s0
	v_add_nc_u32_e32 v12, v7, v9
.LBB316_3083:
	s_or_b32 exec_lo, exec_lo, s7
.LBB316_3084:
	s_mov_b32 s7, 0
	s_mov_b32 s0, -1
.LBB316_3085:
	s_and_not1_b32 vcc_lo, exec_lo, s7
	s_mov_b32 s7, 0
	s_cbranch_vccnz .LBB316_3096
; %bb.3086:
	s_cmp_gt_i32 s1, 14
	s_cbranch_scc0 .LBB316_3091
; %bb.3087:
	s_cmp_eq_u32 s1, 15
	s_cbranch_scc0 .LBB316_3092
; %bb.3088:
	global_load_u16 v7, v[10:11], off
	s_wait_loadcnt 0x1
	s_wait_xcnt 0x1
	v_mov_b32_e32 v12, 0xff
	s_mov_b32 s6, exec_lo
	s_wait_loadcnt 0x0
	v_bfe_u32 v9, v7, 7, 8
	s_wait_xcnt 0x0
	s_delay_alu instid0(VALU_DEP_1)
	v_cmpx_ne_u32_e32 0xff, v9
	s_cbranch_execz .LBB316_3090
; %bb.3089:
	v_dual_lshlrev_b32 v12, 16, v7 :: v_dual_bitop2_b32 v13, 64, v7 bitop3:0x40
	v_lshrrev_b32_e32 v7, 7, v7
	s_delay_alu instid0(VALU_DEP_2) | instskip(NEXT) | instid1(VALU_DEP_3)
	v_and_or_b32 v9, 0x3f0000, v12, v9
	v_cmp_ne_u32_e32 vcc_lo, 0, v13
	s_delay_alu instid0(VALU_DEP_2) | instskip(SKIP_1) | instid1(SALU_CYCLE_1)
	v_cmp_ne_u32_e64 s0, 0, v9
	s_and_b32 s0, vcc_lo, s0
	v_cndmask_b32_e64 v9, 0, 1, s0
	s_delay_alu instid0(VALU_DEP_1)
	v_add_nc_u32_e32 v12, v7, v9
.LBB316_3090:
	s_or_b32 exec_lo, exec_lo, s6
	s_mov_b32 s6, 0
	s_mov_b32 s0, -1
	s_branch .LBB316_3094
.LBB316_3091:
	s_mov_b32 s7, -1
	s_branch .LBB316_3093
.LBB316_3092:
	s_mov_b32 s6, -1
.LBB316_3093:
                                        ; implicit-def: $vgpr12
.LBB316_3094:
	s_and_b32 vcc_lo, exec_lo, s7
	s_mov_b32 s7, 0
	s_cbranch_vccz .LBB316_3096
; %bb.3095:
	s_cmp_lg_u32 s1, 11
	s_mov_b32 s7, -1
	s_cselect_b32 s6, -1, 0
.LBB316_3096:
	s_delay_alu instid0(SALU_CYCLE_1)
	s_and_b32 vcc_lo, exec_lo, s6
	s_cbranch_vccnz .LBB316_3187
; %bb.3097:
	s_and_not1_b32 vcc_lo, exec_lo, s7
	s_cbranch_vccnz .LBB316_3101
.LBB316_3098:
	global_load_u8 v7, v[10:11], off
	s_mov_b32 s6, exec_lo
	s_wait_loadcnt 0x1
	s_wait_xcnt 0x1
	v_mov_b32_e32 v12, 0xff
	s_wait_loadcnt 0x0
	v_cmp_ne_u16_e32 vcc_lo, 0, v7
	v_cndmask_b32_e64 v9, 0, 1.0, vcc_lo
	s_delay_alu instid0(VALU_DEP_1) | instskip(SKIP_1) | instid1(VALU_DEP_1)
	v_lshrrev_b32_e32 v7, 23, v9
	s_wait_xcnt 0x0
	v_cmpx_ne_u32_e32 0xff, v7
; %bb.3099:
	v_and_b32_e32 v12, 0x400000, v9
	v_and_or_b32 v9, 0x3fffff, v9, v7
	s_delay_alu instid0(VALU_DEP_2) | instskip(NEXT) | instid1(VALU_DEP_2)
	v_cmp_ne_u32_e32 vcc_lo, 0, v12
	v_cmp_ne_u32_e64 s0, 0, v9
	s_and_b32 s0, vcc_lo, s0
	s_delay_alu instid0(SALU_CYCLE_1) | instskip(NEXT) | instid1(VALU_DEP_1)
	v_cndmask_b32_e64 v9, 0, 1, s0
	v_add_nc_u32_e32 v12, v7, v9
; %bb.3100:
	s_or_b32 exec_lo, exec_lo, s6
	s_mov_b32 s0, -1
.LBB316_3101:
	s_mov_b32 s6, 0
.LBB316_3102:
	s_delay_alu instid0(SALU_CYCLE_1)
	s_and_b32 vcc_lo, exec_lo, s6
	s_cbranch_vccz .LBB316_3173
; %bb.3103:
	s_cmp_lt_i32 s1, 5
	s_cbranch_scc1 .LBB316_3110
; %bb.3104:
	s_cmp_lt_i32 s1, 8
	s_cbranch_scc1 .LBB316_3111
	;; [unrolled: 3-line block ×3, first 2 shown]
; %bb.3106:
	s_cmp_gt_i32 s1, 9
	s_cbranch_scc0 .LBB316_3113
; %bb.3107:
	s_wait_loadcnt 0x0
	global_load_b64 v[12:13], v[10:11], off
	s_mov_b32 s6, exec_lo
	s_wait_loadcnt 0x0
	v_cvt_f32_f64_e32 v7, v[12:13]
	v_mov_b32_e32 v12, 0xff
	s_delay_alu instid0(VALU_DEP_2) | instskip(SKIP_1) | instid1(VALU_DEP_1)
	v_bfe_u32 v9, v7, 23, 8
	s_wait_xcnt 0x0
	v_cmpx_ne_u32_e32 0xff, v9
	s_cbranch_execz .LBB316_3109
; %bb.3108:
	v_and_b32_e32 v12, 0x400000, v7
	v_and_or_b32 v9, 0x3fffff, v7, v9
	v_lshrrev_b32_e32 v7, 23, v7
	s_delay_alu instid0(VALU_DEP_3) | instskip(NEXT) | instid1(VALU_DEP_3)
	v_cmp_ne_u32_e32 vcc_lo, 0, v12
	v_cmp_ne_u32_e64 s0, 0, v9
	s_and_b32 s0, vcc_lo, s0
	s_delay_alu instid0(SALU_CYCLE_1) | instskip(NEXT) | instid1(VALU_DEP_1)
	v_cndmask_b32_e64 v9, 0, 1, s0
	v_add_nc_u32_e32 v12, v7, v9
.LBB316_3109:
	s_or_b32 exec_lo, exec_lo, s6
	s_mov_b32 s0, 0
	s_branch .LBB316_3114
.LBB316_3110:
	s_mov_b32 s0, -1
                                        ; implicit-def: $vgpr12
	s_branch .LBB316_3142
.LBB316_3111:
	s_mov_b32 s0, -1
                                        ; implicit-def: $vgpr12
	s_branch .LBB316_3124
.LBB316_3112:
	s_mov_b32 s0, -1
                                        ; implicit-def: $vgpr12
	s_branch .LBB316_3119
.LBB316_3113:
	s_mov_b32 s0, -1
                                        ; implicit-def: $vgpr12
.LBB316_3114:
	s_delay_alu instid0(SALU_CYCLE_1)
	s_and_not1_b32 vcc_lo, exec_lo, s0
	s_cbranch_vccnz .LBB316_3118
; %bb.3115:
	global_load_b32 v7, v[10:11], off
	s_wait_loadcnt 0x1
	s_wait_xcnt 0x1
	v_mov_b32_e32 v12, 0xff
	s_mov_b32 s6, exec_lo
	s_wait_loadcnt 0x0
	v_bfe_u32 v9, v7, 23, 8
	s_wait_xcnt 0x0
	s_delay_alu instid0(VALU_DEP_1)
	v_cmpx_ne_u32_e32 0xff, v9
	s_cbranch_execz .LBB316_3117
; %bb.3116:
	v_and_b32_e32 v12, 0x400000, v7
	v_and_or_b32 v9, 0x3fffff, v7, v9
	v_lshrrev_b32_e32 v7, 23, v7
	s_delay_alu instid0(VALU_DEP_3) | instskip(NEXT) | instid1(VALU_DEP_3)
	v_cmp_ne_u32_e32 vcc_lo, 0, v12
	v_cmp_ne_u32_e64 s0, 0, v9
	s_and_b32 s0, vcc_lo, s0
	s_delay_alu instid0(SALU_CYCLE_1) | instskip(NEXT) | instid1(VALU_DEP_1)
	v_cndmask_b32_e64 v9, 0, 1, s0
	v_add_nc_u32_e32 v12, v7, v9
.LBB316_3117:
	s_or_b32 exec_lo, exec_lo, s6
.LBB316_3118:
	s_mov_b32 s0, 0
.LBB316_3119:
	s_delay_alu instid0(SALU_CYCLE_1)
	s_and_not1_b32 vcc_lo, exec_lo, s0
	s_cbranch_vccnz .LBB316_3123
; %bb.3120:
	global_load_b32 v7, v[10:11], off
	s_wait_loadcnt 0x1
	s_wait_xcnt 0x1
	v_mov_b32_e32 v12, 0xff
	s_mov_b32 s6, exec_lo
	s_wait_loadcnt 0x0
	v_cvt_f32_f16_e32 v7, v7
	s_delay_alu instid0(VALU_DEP_1) | instskip(SKIP_1) | instid1(VALU_DEP_1)
	v_bfe_u32 v9, v7, 23, 8
	s_wait_xcnt 0x0
	v_cmpx_ne_u32_e32 0xff, v9
	s_cbranch_execz .LBB316_3122
; %bb.3121:
	v_and_b32_e32 v12, 0x400000, v7
	v_and_or_b32 v9, 0x3fffff, v7, v9
	v_lshrrev_b32_e32 v7, 23, v7
	s_delay_alu instid0(VALU_DEP_3) | instskip(NEXT) | instid1(VALU_DEP_3)
	v_cmp_ne_u32_e32 vcc_lo, 0, v12
	v_cmp_ne_u32_e64 s0, 0, v9
	s_and_b32 s0, vcc_lo, s0
	s_delay_alu instid0(SALU_CYCLE_1) | instskip(NEXT) | instid1(VALU_DEP_1)
	v_cndmask_b32_e64 v9, 0, 1, s0
	v_add_nc_u32_e32 v12, v7, v9
.LBB316_3122:
	s_or_b32 exec_lo, exec_lo, s6
.LBB316_3123:
	s_mov_b32 s0, 0
.LBB316_3124:
	s_delay_alu instid0(SALU_CYCLE_1)
	s_and_not1_b32 vcc_lo, exec_lo, s0
	s_cbranch_vccnz .LBB316_3141
; %bb.3125:
	s_cmp_lt_i32 s1, 6
	s_cbranch_scc1 .LBB316_3130
; %bb.3126:
	s_cmp_gt_i32 s1, 6
	s_cbranch_scc0 .LBB316_3131
; %bb.3127:
	s_wait_loadcnt 0x0
	global_load_b64 v[12:13], v[10:11], off
	s_mov_b32 s6, exec_lo
	s_wait_loadcnt 0x0
	v_cvt_f32_f64_e32 v7, v[12:13]
	v_mov_b32_e32 v12, 0xff
	s_delay_alu instid0(VALU_DEP_2) | instskip(SKIP_1) | instid1(VALU_DEP_1)
	v_bfe_u32 v9, v7, 23, 8
	s_wait_xcnt 0x0
	v_cmpx_ne_u32_e32 0xff, v9
	s_cbranch_execz .LBB316_3129
; %bb.3128:
	v_and_b32_e32 v12, 0x400000, v7
	v_and_or_b32 v9, 0x3fffff, v7, v9
	v_lshrrev_b32_e32 v7, 23, v7
	s_delay_alu instid0(VALU_DEP_3) | instskip(NEXT) | instid1(VALU_DEP_3)
	v_cmp_ne_u32_e32 vcc_lo, 0, v12
	v_cmp_ne_u32_e64 s0, 0, v9
	s_and_b32 s0, vcc_lo, s0
	s_delay_alu instid0(SALU_CYCLE_1) | instskip(NEXT) | instid1(VALU_DEP_1)
	v_cndmask_b32_e64 v9, 0, 1, s0
	v_add_nc_u32_e32 v12, v7, v9
.LBB316_3129:
	s_or_b32 exec_lo, exec_lo, s6
	s_mov_b32 s0, 0
	s_branch .LBB316_3132
.LBB316_3130:
	s_mov_b32 s0, -1
                                        ; implicit-def: $vgpr12
	s_branch .LBB316_3137
.LBB316_3131:
	s_mov_b32 s0, -1
                                        ; implicit-def: $vgpr12
.LBB316_3132:
	s_delay_alu instid0(SALU_CYCLE_1)
	s_and_not1_b32 vcc_lo, exec_lo, s0
	s_cbranch_vccnz .LBB316_3136
; %bb.3133:
	global_load_b32 v7, v[10:11], off
	s_wait_loadcnt 0x1
	s_wait_xcnt 0x1
	v_mov_b32_e32 v12, 0xff
	s_mov_b32 s6, exec_lo
	s_wait_loadcnt 0x0
	v_bfe_u32 v9, v7, 23, 8
	s_wait_xcnt 0x0
	s_delay_alu instid0(VALU_DEP_1)
	v_cmpx_ne_u32_e32 0xff, v9
	s_cbranch_execz .LBB316_3135
; %bb.3134:
	v_and_b32_e32 v12, 0x400000, v7
	v_and_or_b32 v9, 0x3fffff, v7, v9
	v_lshrrev_b32_e32 v7, 23, v7
	s_delay_alu instid0(VALU_DEP_3) | instskip(NEXT) | instid1(VALU_DEP_3)
	v_cmp_ne_u32_e32 vcc_lo, 0, v12
	v_cmp_ne_u32_e64 s0, 0, v9
	s_and_b32 s0, vcc_lo, s0
	s_delay_alu instid0(SALU_CYCLE_1) | instskip(NEXT) | instid1(VALU_DEP_1)
	v_cndmask_b32_e64 v9, 0, 1, s0
	v_add_nc_u32_e32 v12, v7, v9
.LBB316_3135:
	s_or_b32 exec_lo, exec_lo, s6
.LBB316_3136:
	s_mov_b32 s0, 0
.LBB316_3137:
	s_delay_alu instid0(SALU_CYCLE_1)
	s_and_not1_b32 vcc_lo, exec_lo, s0
	s_cbranch_vccnz .LBB316_3141
; %bb.3138:
	global_load_u16 v7, v[10:11], off
	s_wait_loadcnt 0x1
	s_wait_xcnt 0x1
	v_mov_b32_e32 v12, 0xff
	s_mov_b32 s6, exec_lo
	s_wait_loadcnt 0x0
	v_cvt_f32_f16_e32 v7, v7
	s_delay_alu instid0(VALU_DEP_1) | instskip(SKIP_1) | instid1(VALU_DEP_1)
	v_bfe_u32 v9, v7, 23, 8
	s_wait_xcnt 0x0
	v_cmpx_ne_u32_e32 0xff, v9
	s_cbranch_execz .LBB316_3140
; %bb.3139:
	v_and_b32_e32 v12, 0x400000, v7
	v_and_or_b32 v9, 0x3fffff, v7, v9
	v_lshrrev_b32_e32 v7, 23, v7
	s_delay_alu instid0(VALU_DEP_3) | instskip(NEXT) | instid1(VALU_DEP_3)
	v_cmp_ne_u32_e32 vcc_lo, 0, v12
	v_cmp_ne_u32_e64 s0, 0, v9
	s_and_b32 s0, vcc_lo, s0
	s_delay_alu instid0(SALU_CYCLE_1) | instskip(NEXT) | instid1(VALU_DEP_1)
	v_cndmask_b32_e64 v9, 0, 1, s0
	v_add_nc_u32_e32 v12, v7, v9
.LBB316_3140:
	s_or_b32 exec_lo, exec_lo, s6
.LBB316_3141:
	s_mov_b32 s0, 0
.LBB316_3142:
	s_delay_alu instid0(SALU_CYCLE_1)
	s_and_not1_b32 vcc_lo, exec_lo, s0
	s_cbranch_vccnz .LBB316_3172
; %bb.3143:
	s_cmp_lt_i32 s1, 2
	s_cbranch_scc1 .LBB316_3149
; %bb.3144:
	s_cmp_lt_i32 s1, 3
	s_cbranch_scc1 .LBB316_3150
; %bb.3145:
	s_cmp_gt_i32 s1, 3
	s_cbranch_scc0 .LBB316_3151
; %bb.3146:
	s_wait_loadcnt 0x0
	global_load_b64 v[12:13], v[10:11], off
	s_mov_b32 s6, exec_lo
	s_wait_loadcnt 0x0
	v_xor_b32_e32 v7, v12, v13
	v_cls_i32_e32 v9, v13
	s_delay_alu instid0(VALU_DEP_2) | instskip(NEXT) | instid1(VALU_DEP_1)
	v_ashrrev_i32_e32 v7, 31, v7
	v_add_nc_u32_e32 v7, 32, v7
	s_delay_alu instid0(VALU_DEP_1) | instskip(NEXT) | instid1(VALU_DEP_1)
	v_add_min_u32_e64 v7, v9, -1, v7
	v_lshlrev_b64_e32 v[12:13], v7, v[12:13]
	v_sub_nc_u32_e32 v7, 32, v7
	s_delay_alu instid0(VALU_DEP_2) | instskip(SKIP_1) | instid1(VALU_DEP_2)
	v_min_u32_e32 v9, 1, v12
	v_mov_b32_e32 v12, 0xff
	v_or_b32_e32 v9, v13, v9
	s_delay_alu instid0(VALU_DEP_1) | instskip(NEXT) | instid1(VALU_DEP_1)
	v_cvt_f32_i32_e32 v9, v9
	v_ldexp_f32 v7, v9, v7
	s_delay_alu instid0(VALU_DEP_1) | instskip(SKIP_1) | instid1(VALU_DEP_1)
	v_bfe_u32 v9, v7, 23, 8
	s_wait_xcnt 0x0
	v_cmpx_ne_u32_e32 0xff, v9
	s_cbranch_execz .LBB316_3148
; %bb.3147:
	v_and_b32_e32 v12, 0x400000, v7
	v_and_or_b32 v9, 0x3fffff, v7, v9
	v_lshrrev_b32_e32 v7, 23, v7
	s_delay_alu instid0(VALU_DEP_3) | instskip(NEXT) | instid1(VALU_DEP_3)
	v_cmp_ne_u32_e32 vcc_lo, 0, v12
	v_cmp_ne_u32_e64 s0, 0, v9
	s_and_b32 s0, vcc_lo, s0
	s_delay_alu instid0(SALU_CYCLE_1) | instskip(NEXT) | instid1(VALU_DEP_1)
	v_cndmask_b32_e64 v9, 0, 1, s0
	v_add_nc_u32_e32 v12, v7, v9
.LBB316_3148:
	s_or_b32 exec_lo, exec_lo, s6
	s_mov_b32 s0, 0
	s_branch .LBB316_3152
.LBB316_3149:
	s_mov_b32 s0, -1
                                        ; implicit-def: $vgpr12
	s_branch .LBB316_3162
.LBB316_3150:
	s_mov_b32 s0, -1
                                        ; implicit-def: $vgpr12
	s_branch .LBB316_3157
.LBB316_3151:
	s_mov_b32 s0, -1
                                        ; implicit-def: $vgpr12
.LBB316_3152:
	s_delay_alu instid0(SALU_CYCLE_1)
	s_and_not1_b32 vcc_lo, exec_lo, s0
	s_cbranch_vccnz .LBB316_3156
; %bb.3153:
	global_load_b32 v7, v[10:11], off
	s_wait_loadcnt 0x1
	s_wait_xcnt 0x1
	v_mov_b32_e32 v12, 0xff
	s_mov_b32 s6, exec_lo
	s_wait_loadcnt 0x0
	v_cvt_f32_i32_e32 v7, v7
	s_delay_alu instid0(VALU_DEP_1) | instskip(SKIP_1) | instid1(VALU_DEP_1)
	v_bfe_u32 v9, v7, 23, 8
	s_wait_xcnt 0x0
	v_cmpx_ne_u32_e32 0xff, v9
	s_cbranch_execz .LBB316_3155
; %bb.3154:
	v_and_b32_e32 v12, 0x400000, v7
	v_and_or_b32 v9, 0x3fffff, v7, v9
	v_lshrrev_b32_e32 v7, 23, v7
	s_delay_alu instid0(VALU_DEP_3) | instskip(NEXT) | instid1(VALU_DEP_3)
	v_cmp_ne_u32_e32 vcc_lo, 0, v12
	v_cmp_ne_u32_e64 s0, 0, v9
	s_and_b32 s0, vcc_lo, s0
	s_delay_alu instid0(SALU_CYCLE_1) | instskip(NEXT) | instid1(VALU_DEP_1)
	v_cndmask_b32_e64 v9, 0, 1, s0
	v_add_nc_u32_e32 v12, v7, v9
.LBB316_3155:
	s_or_b32 exec_lo, exec_lo, s6
.LBB316_3156:
	s_mov_b32 s0, 0
.LBB316_3157:
	s_delay_alu instid0(SALU_CYCLE_1)
	s_and_not1_b32 vcc_lo, exec_lo, s0
	s_cbranch_vccnz .LBB316_3161
; %bb.3158:
	global_load_i16 v7, v[10:11], off
	s_wait_loadcnt 0x1
	s_wait_xcnt 0x1
	v_mov_b32_e32 v12, 0xff
	s_mov_b32 s6, exec_lo
	s_wait_loadcnt 0x0
	v_cvt_f32_i32_e32 v7, v7
	s_delay_alu instid0(VALU_DEP_1) | instskip(SKIP_1) | instid1(VALU_DEP_1)
	v_bfe_u32 v9, v7, 23, 8
	s_wait_xcnt 0x0
	v_cmpx_ne_u32_e32 0xff, v9
	s_cbranch_execz .LBB316_3160
; %bb.3159:
	v_and_b32_e32 v12, 0x400000, v7
	v_and_or_b32 v9, 0x3fffff, v7, v9
	v_lshrrev_b32_e32 v7, 23, v7
	s_delay_alu instid0(VALU_DEP_3) | instskip(NEXT) | instid1(VALU_DEP_3)
	v_cmp_ne_u32_e32 vcc_lo, 0, v12
	v_cmp_ne_u32_e64 s0, 0, v9
	s_and_b32 s0, vcc_lo, s0
	s_delay_alu instid0(SALU_CYCLE_1) | instskip(NEXT) | instid1(VALU_DEP_1)
	v_cndmask_b32_e64 v9, 0, 1, s0
	v_add_nc_u32_e32 v12, v7, v9
.LBB316_3160:
	s_or_b32 exec_lo, exec_lo, s6
.LBB316_3161:
	s_mov_b32 s0, 0
.LBB316_3162:
	s_delay_alu instid0(SALU_CYCLE_1)
	s_and_not1_b32 vcc_lo, exec_lo, s0
	s_cbranch_vccnz .LBB316_3172
; %bb.3163:
	s_cmp_gt_i32 s1, 0
	s_cbranch_scc0 .LBB316_3167
; %bb.3164:
	global_load_i8 v7, v[10:11], off
	s_wait_loadcnt 0x1
	s_wait_xcnt 0x1
	v_mov_b32_e32 v12, 0xff
	s_mov_b32 s1, exec_lo
	s_wait_loadcnt 0x0
	v_cvt_f32_i32_e32 v7, v7
	s_delay_alu instid0(VALU_DEP_1) | instskip(SKIP_1) | instid1(VALU_DEP_1)
	v_bfe_u32 v9, v7, 23, 8
	s_wait_xcnt 0x0
	v_cmpx_ne_u32_e32 0xff, v9
	s_cbranch_execz .LBB316_3166
; %bb.3165:
	v_and_b32_e32 v12, 0x400000, v7
	v_and_or_b32 v9, 0x3fffff, v7, v9
	v_lshrrev_b32_e32 v7, 23, v7
	s_delay_alu instid0(VALU_DEP_3) | instskip(NEXT) | instid1(VALU_DEP_3)
	v_cmp_ne_u32_e32 vcc_lo, 0, v12
	v_cmp_ne_u32_e64 s0, 0, v9
	s_and_b32 s0, vcc_lo, s0
	s_delay_alu instid0(SALU_CYCLE_1) | instskip(NEXT) | instid1(VALU_DEP_1)
	v_cndmask_b32_e64 v9, 0, 1, s0
	v_add_nc_u32_e32 v12, v7, v9
.LBB316_3166:
	s_or_b32 exec_lo, exec_lo, s1
	s_mov_b32 s0, 0
	s_branch .LBB316_3168
.LBB316_3167:
	s_mov_b32 s0, -1
                                        ; implicit-def: $vgpr12
.LBB316_3168:
	s_delay_alu instid0(SALU_CYCLE_1)
	s_and_not1_b32 vcc_lo, exec_lo, s0
	s_cbranch_vccnz .LBB316_3172
; %bb.3169:
	global_load_u8 v7, v[10:11], off
	s_mov_b32 s1, exec_lo
	s_wait_loadcnt 0x1
	s_wait_xcnt 0x1
	v_mov_b32_e32 v12, 0xff
	s_wait_loadcnt 0x0
	v_cvt_f32_ubyte0_e32 v9, v7
	s_delay_alu instid0(VALU_DEP_1) | instskip(SKIP_1) | instid1(VALU_DEP_1)
	v_lshrrev_b32_e32 v7, 23, v9
	s_wait_xcnt 0x0
	v_cmpx_ne_u32_e32 0xff, v7
; %bb.3170:
	v_and_b32_e32 v10, 0x400000, v9
	v_and_or_b32 v9, 0x3fffff, v9, v7
	s_delay_alu instid0(VALU_DEP_2) | instskip(NEXT) | instid1(VALU_DEP_2)
	v_cmp_ne_u32_e32 vcc_lo, 0, v10
	v_cmp_ne_u32_e64 s0, 0, v9
	s_and_b32 s0, vcc_lo, s0
	s_delay_alu instid0(SALU_CYCLE_1) | instskip(NEXT) | instid1(VALU_DEP_1)
	v_cndmask_b32_e64 v9, 0, 1, s0
	v_add_nc_u32_e32 v12, v7, v9
; %bb.3171:
	s_or_b32 exec_lo, exec_lo, s1
.LBB316_3172:
	s_mov_b32 s0, -1
.LBB316_3173:
	s_delay_alu instid0(SALU_CYCLE_1)
	s_and_not1_b32 vcc_lo, exec_lo, s0
	s_cbranch_vccnz .LBB316_3777
; %bb.3174:
	v_mov_b32_e32 v9, 0
	s_cmp_lt_i32 s11, 11
	s_delay_alu instid0(VALU_DEP_1)
	v_add_nc_u64_e32 v[8:9], s[2:3], v[8:9]
	s_cbranch_scc1 .LBB316_3183
; %bb.3175:
	s_cmp_gt_i32 s11, 25
	s_mov_b32 s2, 0
	s_cbranch_scc0 .LBB316_3184
; %bb.3176:
	s_cmp_gt_i32 s11, 28
	s_cbranch_scc0 .LBB316_3185
; %bb.3177:
	s_cmp_gt_i32 s11, 43
	;; [unrolled: 3-line block ×3, first 2 shown]
	s_cbranch_scc0 .LBB316_3188
; %bb.3179:
	s_cmp_eq_u32 s11, 46
	s_mov_b32 s3, 0
	s_cbranch_scc0 .LBB316_3189
; %bb.3180:
	global_load_b32 v7, v[8:9], off
	s_mov_b32 s1, exec_lo
	s_wait_loadcnt 0x0
	s_wait_xcnt 0x1
	v_dual_mov_b32 v10, 0xff :: v_dual_lshlrev_b32 v11, 16, v7
	s_delay_alu instid0(VALU_DEP_1) | instskip(SKIP_1) | instid1(VALU_DEP_1)
	v_bfe_u32 v13, v11, 23, 8
	s_wait_xcnt 0x0
	v_cmpx_ne_u32_e32 0xff, v13
	s_cbranch_execz .LBB316_3182
; %bb.3181:
	v_and_b32_e32 v10, 64, v7
	v_and_or_b32 v11, 0x3f0000, v11, v13
	v_bfe_u32 v7, v7, 7, 9
	s_delay_alu instid0(VALU_DEP_3) | instskip(NEXT) | instid1(VALU_DEP_3)
	v_cmp_ne_u32_e32 vcc_lo, 0, v10
	v_cmp_ne_u32_e64 s0, 0, v11
	s_and_b32 s0, vcc_lo, s0
	s_delay_alu instid0(SALU_CYCLE_1) | instskip(NEXT) | instid1(VALU_DEP_1)
	v_cndmask_b32_e64 v10, 0, 1, s0
	v_add_nc_u32_e32 v10, v7, v10
.LBB316_3182:
	s_or_b32 exec_lo, exec_lo, s1
	s_mov_b32 s1, 0
	s_mov_b32 s0, -1
	s_branch .LBB316_3191
.LBB316_3183:
	s_mov_b32 s1, -1
	s_mov_b32 s0, 0
                                        ; implicit-def: $vgpr10
	s_branch .LBB316_3275
.LBB316_3184:
	s_mov_b32 s3, -1
	s_mov_b32 s0, 0
	s_mov_b32 s1, 0
                                        ; implicit-def: $vgpr10
	s_branch .LBB316_3230
.LBB316_3185:
	s_mov_b32 s3, -1
	s_mov_b32 s0, 0
	s_mov_b32 s1, 0
                                        ; implicit-def: $vgpr10
	s_branch .LBB316_3203
.LBB316_3186:
	s_mov_b32 s3, -1
	s_mov_b32 s0, 0
	s_mov_b32 s1, 0
                                        ; implicit-def: $vgpr10
	s_branch .LBB316_3196
.LBB316_3187:
	s_or_b32 s10, s10, exec_lo
	s_trap 2
	s_cbranch_execz .LBB316_3098
	s_branch .LBB316_3101
.LBB316_3188:
	s_mov_b32 s3, -1
	s_mov_b32 s0, 0
	s_mov_b32 s1, 0
	s_branch .LBB316_3190
.LBB316_3189:
	s_mov_b32 s1, -1
	s_mov_b32 s0, 0
.LBB316_3190:
                                        ; implicit-def: $vgpr10
.LBB316_3191:
	s_and_b32 vcc_lo, exec_lo, s3
	s_cbranch_vccz .LBB316_3195
; %bb.3192:
	s_cmp_eq_u32 s11, 44
	s_cbranch_scc0 .LBB316_3194
; %bb.3193:
	global_load_u8 v10, v[8:9], off
	s_mov_b32 s1, 0
	s_mov_b32 s0, -1
	s_branch .LBB316_3195
.LBB316_3194:
	s_mov_b32 s1, -1
                                        ; implicit-def: $vgpr10
.LBB316_3195:
	s_mov_b32 s3, 0
.LBB316_3196:
	s_delay_alu instid0(SALU_CYCLE_1)
	s_and_b32 vcc_lo, exec_lo, s3
	s_cbranch_vccz .LBB316_3202
; %bb.3197:
	s_cmp_eq_u32 s11, 29
	s_cbranch_scc0 .LBB316_3201
; %bb.3198:
	s_wait_loadcnt 0x0
	global_load_b64 v[10:11], v[8:9], off
	s_mov_b32 s1, exec_lo
	s_wait_loadcnt 0x0
	v_clz_i32_u32_e32 v7, v11
	s_delay_alu instid0(VALU_DEP_1) | instskip(NEXT) | instid1(VALU_DEP_1)
	v_min_u32_e32 v7, 32, v7
	v_lshlrev_b64_e32 v[10:11], v7, v[10:11]
	v_sub_nc_u32_e32 v7, 32, v7
	s_delay_alu instid0(VALU_DEP_2) | instskip(NEXT) | instid1(VALU_DEP_1)
	v_min_u32_e32 v10, 1, v10
	v_or_b32_e32 v10, v11, v10
	s_delay_alu instid0(VALU_DEP_1) | instskip(NEXT) | instid1(VALU_DEP_1)
	v_cvt_f32_u32_e32 v10, v10
	v_ldexp_f32 v11, v10, v7
	s_delay_alu instid0(VALU_DEP_1) | instskip(SKIP_1) | instid1(VALU_DEP_1)
	v_dual_mov_b32 v10, 0xff :: v_dual_lshrrev_b32 v7, 23, v11
	s_wait_xcnt 0x0
	v_cmpx_ne_u32_e32 0xff, v7
; %bb.3199:
	v_and_b32_e32 v10, 0x400000, v11
	v_and_or_b32 v11, 0x3fffff, v11, v7
	s_delay_alu instid0(VALU_DEP_2) | instskip(NEXT) | instid1(VALU_DEP_2)
	v_cmp_ne_u32_e32 vcc_lo, 0, v10
	v_cmp_ne_u32_e64 s0, 0, v11
	s_and_b32 s0, vcc_lo, s0
	s_delay_alu instid0(SALU_CYCLE_1) | instskip(NEXT) | instid1(VALU_DEP_1)
	v_cndmask_b32_e64 v10, 0, 1, s0
	v_add_nc_u32_e32 v10, v7, v10
; %bb.3200:
	s_or_b32 exec_lo, exec_lo, s1
	s_mov_b32 s1, 0
	s_mov_b32 s0, -1
	s_branch .LBB316_3202
.LBB316_3201:
	s_mov_b32 s1, -1
                                        ; implicit-def: $vgpr10
.LBB316_3202:
	s_mov_b32 s3, 0
.LBB316_3203:
	s_delay_alu instid0(SALU_CYCLE_1)
	s_and_b32 vcc_lo, exec_lo, s3
	s_cbranch_vccz .LBB316_3229
; %bb.3204:
	s_cmp_lt_i32 s11, 27
	s_cbranch_scc1 .LBB316_3209
; %bb.3205:
	s_cmp_gt_i32 s11, 27
	s_cbranch_scc0 .LBB316_3210
; %bb.3206:
	global_load_b32 v7, v[8:9], off
	s_mov_b32 s3, exec_lo
	s_wait_loadcnt 0x1
	s_wait_xcnt 0x1
	v_mov_b32_e32 v10, 0xff
	s_wait_loadcnt 0x0
	v_cvt_f32_u32_e32 v11, v7
	s_delay_alu instid0(VALU_DEP_1) | instskip(SKIP_1) | instid1(VALU_DEP_1)
	v_lshrrev_b32_e32 v7, 23, v11
	s_wait_xcnt 0x0
	v_cmpx_ne_u32_e32 0xff, v7
; %bb.3207:
	v_and_b32_e32 v10, 0x400000, v11
	v_and_or_b32 v11, 0x3fffff, v11, v7
	s_delay_alu instid0(VALU_DEP_2) | instskip(NEXT) | instid1(VALU_DEP_2)
	v_cmp_ne_u32_e32 vcc_lo, 0, v10
	v_cmp_ne_u32_e64 s0, 0, v11
	s_and_b32 s0, vcc_lo, s0
	s_delay_alu instid0(SALU_CYCLE_1) | instskip(NEXT) | instid1(VALU_DEP_1)
	v_cndmask_b32_e64 v10, 0, 1, s0
	v_add_nc_u32_e32 v10, v7, v10
; %bb.3208:
	s_or_b32 exec_lo, exec_lo, s3
	s_mov_b32 s0, 0
	s_branch .LBB316_3211
.LBB316_3209:
	s_mov_b32 s0, -1
                                        ; implicit-def: $vgpr10
	s_branch .LBB316_3216
.LBB316_3210:
	s_mov_b32 s0, -1
                                        ; implicit-def: $vgpr10
.LBB316_3211:
	s_delay_alu instid0(SALU_CYCLE_1)
	s_and_not1_b32 vcc_lo, exec_lo, s0
	s_cbranch_vccnz .LBB316_3215
; %bb.3212:
	global_load_u16 v7, v[8:9], off
	s_mov_b32 s3, exec_lo
	s_wait_loadcnt 0x1
	s_wait_xcnt 0x1
	v_mov_b32_e32 v10, 0xff
	s_wait_loadcnt 0x0
	v_cvt_f32_u32_e32 v11, v7
	s_delay_alu instid0(VALU_DEP_1) | instskip(SKIP_1) | instid1(VALU_DEP_1)
	v_lshrrev_b32_e32 v7, 23, v11
	s_wait_xcnt 0x0
	v_cmpx_ne_u32_e32 0xff, v7
; %bb.3213:
	v_and_b32_e32 v10, 0x400000, v11
	v_and_or_b32 v11, 0x3fffff, v11, v7
	s_delay_alu instid0(VALU_DEP_2) | instskip(NEXT) | instid1(VALU_DEP_2)
	v_cmp_ne_u32_e32 vcc_lo, 0, v10
	v_cmp_ne_u32_e64 s0, 0, v11
	s_and_b32 s0, vcc_lo, s0
	s_delay_alu instid0(SALU_CYCLE_1) | instskip(NEXT) | instid1(VALU_DEP_1)
	v_cndmask_b32_e64 v10, 0, 1, s0
	v_add_nc_u32_e32 v10, v7, v10
; %bb.3214:
	s_or_b32 exec_lo, exec_lo, s3
.LBB316_3215:
	s_mov_b32 s0, 0
.LBB316_3216:
	s_delay_alu instid0(SALU_CYCLE_1)
	s_and_not1_b32 vcc_lo, exec_lo, s0
	s_cbranch_vccnz .LBB316_3228
; %bb.3217:
	global_load_u8 v7, v[8:9], off
	s_mov_b32 s0, 0
	s_mov_b32 s3, exec_lo
	s_wait_loadcnt 0x0
	v_cmpx_lt_i16_e32 0x7f, v7
	s_xor_b32 s3, exec_lo, s3
	s_cbranch_execz .LBB316_3221
; %bb.3218:
	s_mov_b32 s0, -1
	s_mov_b32 s6, exec_lo
	v_cmpx_eq_u16_e32 0x80, v7
; %bb.3219:
	s_xor_b32 s0, exec_lo, -1
; %bb.3220:
	s_or_b32 exec_lo, exec_lo, s6
	s_delay_alu instid0(SALU_CYCLE_1)
	s_and_b32 s0, s0, exec_lo
.LBB316_3221:
	s_or_saveexec_b32 s3, s3
	v_mov_b32_e32 v11, 0x7f800001
	v_and_b32_e32 v10, 0xffff, v7
	s_xor_b32 exec_lo, exec_lo, s3
; %bb.3222:
	v_cmp_ne_u16_e32 vcc_lo, 0, v7
	s_delay_alu instid0(VALU_DEP_2) | instskip(SKIP_2) | instid1(SALU_CYCLE_1)
	v_mov_b32_e32 v11, v10
	s_and_not1_b32 s0, s0, exec_lo
	s_and_b32 s6, vcc_lo, exec_lo
	s_or_b32 s0, s0, s6
; %bb.3223:
	s_or_b32 exec_lo, exec_lo, s3
	s_and_saveexec_b32 s3, s0
	s_cbranch_execz .LBB316_3225
; %bb.3224:
	v_and_b32_e32 v7, 7, v10
	s_delay_alu instid0(VALU_DEP_1) | instskip(NEXT) | instid1(VALU_DEP_1)
	v_clz_i32_u32_e32 v11, v7
	v_min_u32_e32 v11, 32, v11
	s_delay_alu instid0(VALU_DEP_1) | instskip(NEXT) | instid1(VALU_DEP_1)
	v_subrev_nc_u32_e32 v13, 28, v11
	v_lshlrev_b32_e32 v13, v13, v10
	v_bfe_u32 v10, v10, 3, 4
	s_delay_alu instid0(VALU_DEP_2) | instskip(NEXT) | instid1(VALU_DEP_2)
	v_dual_sub_nc_u32 v11, 29, v11 :: v_dual_bitop2_b32 v13, 7, v13 bitop3:0x40
	v_cmp_eq_u32_e32 vcc_lo, 0, v10
	s_delay_alu instid0(VALU_DEP_2) | instskip(NEXT) | instid1(VALU_DEP_1)
	v_dual_cndmask_b32 v10, v10, v11 :: v_dual_cndmask_b32 v7, v7, v13
	v_lshlrev_b32_e32 v7, 20, v7
	s_delay_alu instid0(VALU_DEP_1) | instskip(NEXT) | instid1(VALU_DEP_1)
	v_lshl_or_b32 v7, v10, 23, v7
	v_add_nc_u32_e32 v11, 0x3b800000, v7
.LBB316_3225:
	s_or_b32 exec_lo, exec_lo, s3
	s_delay_alu instid0(VALU_DEP_1) | instskip(SKIP_1) | instid1(VALU_DEP_1)
	v_dual_mov_b32 v10, 0xff :: v_dual_lshrrev_b32 v7, 23, v11
	s_mov_b32 s3, exec_lo
	v_cmpx_ne_u32_e32 0xff, v7
; %bb.3226:
	v_and_b32_e32 v10, 0x400000, v11
	v_and_or_b32 v11, 0x3fffff, v11, v7
	s_delay_alu instid0(VALU_DEP_2) | instskip(NEXT) | instid1(VALU_DEP_2)
	v_cmp_ne_u32_e32 vcc_lo, 0, v10
	v_cmp_ne_u32_e64 s0, 0, v11
	s_and_b32 s0, vcc_lo, s0
	s_delay_alu instid0(SALU_CYCLE_1) | instskip(NEXT) | instid1(VALU_DEP_1)
	v_cndmask_b32_e64 v10, 0, 1, s0
	v_add_nc_u32_e32 v10, v7, v10
; %bb.3227:
	s_or_b32 exec_lo, exec_lo, s3
.LBB316_3228:
	s_mov_b32 s0, -1
.LBB316_3229:
	s_mov_b32 s3, 0
.LBB316_3230:
	s_delay_alu instid0(SALU_CYCLE_1)
	s_and_b32 vcc_lo, exec_lo, s3
	s_cbranch_vccz .LBB316_3269
; %bb.3231:
	s_cmp_gt_i32 s11, 22
	s_cbranch_scc0 .LBB316_3245
; %bb.3232:
	s_cmp_lt_i32 s11, 24
	s_cbranch_scc1 .LBB316_3246
; %bb.3233:
	s_cmp_gt_i32 s11, 24
	s_cbranch_scc0 .LBB316_3247
; %bb.3234:
	global_load_u8 v7, v[8:9], off
	s_mov_b32 s0, 0
	s_mov_b32 s2, exec_lo
	s_wait_loadcnt 0x0
	v_cmpx_lt_i16_e32 0x7f, v7
	s_xor_b32 s2, exec_lo, s2
	s_cbranch_execz .LBB316_3238
; %bb.3235:
	s_mov_b32 s0, -1
	s_mov_b32 s3, exec_lo
	v_cmpx_eq_u16_e32 0x80, v7
; %bb.3236:
	s_xor_b32 s0, exec_lo, -1
; %bb.3237:
	s_or_b32 exec_lo, exec_lo, s3
	s_delay_alu instid0(SALU_CYCLE_1)
	s_and_b32 s0, s0, exec_lo
.LBB316_3238:
	s_or_saveexec_b32 s2, s2
	v_mov_b32_e32 v11, 0x7f800001
	v_and_b32_e32 v10, 0xffff, v7
	s_xor_b32 exec_lo, exec_lo, s2
; %bb.3239:
	v_cmp_ne_u16_e32 vcc_lo, 0, v7
	s_delay_alu instid0(VALU_DEP_2) | instskip(SKIP_2) | instid1(SALU_CYCLE_1)
	v_mov_b32_e32 v11, v10
	s_and_not1_b32 s0, s0, exec_lo
	s_and_b32 s3, vcc_lo, exec_lo
	s_or_b32 s0, s0, s3
; %bb.3240:
	s_or_b32 exec_lo, exec_lo, s2
	s_and_saveexec_b32 s2, s0
	s_cbranch_execz .LBB316_3242
; %bb.3241:
	v_and_b32_e32 v7, 3, v10
	s_delay_alu instid0(VALU_DEP_1) | instskip(NEXT) | instid1(VALU_DEP_1)
	v_clz_i32_u32_e32 v11, v7
	v_min_u32_e32 v11, 32, v11
	s_delay_alu instid0(VALU_DEP_1) | instskip(NEXT) | instid1(VALU_DEP_1)
	v_subrev_nc_u32_e32 v13, 29, v11
	v_lshlrev_b32_e32 v13, v13, v10
	v_bfe_u32 v10, v10, 2, 5
	s_delay_alu instid0(VALU_DEP_2) | instskip(NEXT) | instid1(VALU_DEP_2)
	v_dual_sub_nc_u32 v11, 30, v11 :: v_dual_bitop2_b32 v13, 3, v13 bitop3:0x40
	v_cmp_eq_u32_e32 vcc_lo, 0, v10
	s_delay_alu instid0(VALU_DEP_2) | instskip(NEXT) | instid1(VALU_DEP_1)
	v_dual_cndmask_b32 v10, v10, v11 :: v_dual_cndmask_b32 v7, v7, v13
	v_lshlrev_b32_e32 v7, 21, v7
	s_delay_alu instid0(VALU_DEP_1) | instskip(NEXT) | instid1(VALU_DEP_1)
	v_lshl_or_b32 v7, v10, 23, v7
	v_add_nc_u32_e32 v11, 0x37800000, v7
.LBB316_3242:
	s_or_b32 exec_lo, exec_lo, s2
	s_delay_alu instid0(VALU_DEP_1) | instskip(SKIP_1) | instid1(VALU_DEP_1)
	v_dual_mov_b32 v10, 0xff :: v_dual_lshrrev_b32 v7, 23, v11
	s_mov_b32 s2, exec_lo
	v_cmpx_ne_u32_e32 0xff, v7
; %bb.3243:
	v_and_b32_e32 v10, 0x400000, v11
	v_and_or_b32 v11, 0x3fffff, v11, v7
	s_delay_alu instid0(VALU_DEP_2) | instskip(NEXT) | instid1(VALU_DEP_2)
	v_cmp_ne_u32_e32 vcc_lo, 0, v10
	v_cmp_ne_u32_e64 s0, 0, v11
	s_and_b32 s0, vcc_lo, s0
	s_delay_alu instid0(SALU_CYCLE_1) | instskip(NEXT) | instid1(VALU_DEP_1)
	v_cndmask_b32_e64 v10, 0, 1, s0
	v_add_nc_u32_e32 v10, v7, v10
; %bb.3244:
	s_or_b32 exec_lo, exec_lo, s2
	s_mov_b32 s0, 0
	s_branch .LBB316_3248
.LBB316_3245:
	s_mov_b32 s2, -1
                                        ; implicit-def: $vgpr10
	s_branch .LBB316_3258
.LBB316_3246:
	s_mov_b32 s0, -1
                                        ; implicit-def: $vgpr10
	s_branch .LBB316_3253
.LBB316_3247:
	s_mov_b32 s0, -1
                                        ; implicit-def: $vgpr10
.LBB316_3248:
	s_delay_alu instid0(SALU_CYCLE_1)
	s_and_b32 vcc_lo, exec_lo, s0
	s_cbranch_vccz .LBB316_3252
; %bb.3249:
	global_load_u8 v7, v[8:9], off
	s_mov_b32 s2, exec_lo
	s_wait_loadcnt 0x0
	v_lshlrev_b32_e32 v7, 24, v7
	s_delay_alu instid0(VALU_DEP_1) | instskip(SKIP_1) | instid1(VALU_DEP_1)
	v_and_b32_e32 v7, 0x7f000000, v7
	s_wait_xcnt 0x1
	v_clz_i32_u32_e32 v10, v7
	v_add_nc_u32_e32 v13, 0x1000000, v7
	v_cmp_ne_u32_e32 vcc_lo, 0, v7
	s_delay_alu instid0(VALU_DEP_3) | instskip(NEXT) | instid1(VALU_DEP_1)
	v_min_u32_e32 v10, 32, v10
	v_sub_nc_u32_e64 v10, v10, 4 clamp
	s_delay_alu instid0(VALU_DEP_1) | instskip(NEXT) | instid1(VALU_DEP_1)
	v_dual_lshlrev_b32 v11, v10, v7 :: v_dual_lshlrev_b32 v10, 23, v10
	v_lshrrev_b32_e32 v11, 4, v11
	s_delay_alu instid0(VALU_DEP_1) | instskip(NEXT) | instid1(VALU_DEP_1)
	v_dual_sub_nc_u32 v10, v11, v10 :: v_dual_ashrrev_i32 v11, 8, v13
	v_add_nc_u32_e32 v10, 0x3c000000, v10
	s_delay_alu instid0(VALU_DEP_1) | instskip(NEXT) | instid1(VALU_DEP_1)
	v_and_or_b32 v10, 0x7f800000, v11, v10
	v_dual_cndmask_b32 v11, 0, v10 :: v_dual_mov_b32 v10, 0xff
	s_delay_alu instid0(VALU_DEP_1) | instskip(SKIP_1) | instid1(VALU_DEP_1)
	v_lshrrev_b32_e32 v7, 23, v11
	s_wait_xcnt 0x0
	v_cmpx_ne_u32_e32 0xff, v7
; %bb.3250:
	v_and_b32_e32 v10, 0x400000, v11
	v_and_or_b32 v11, 0x3fffff, v11, v7
	s_delay_alu instid0(VALU_DEP_2) | instskip(NEXT) | instid1(VALU_DEP_2)
	v_cmp_ne_u32_e32 vcc_lo, 0, v10
	v_cmp_ne_u32_e64 s0, 0, v11
	s_and_b32 s0, vcc_lo, s0
	s_delay_alu instid0(SALU_CYCLE_1) | instskip(NEXT) | instid1(VALU_DEP_1)
	v_cndmask_b32_e64 v10, 0, 1, s0
	v_add_nc_u32_e32 v10, v7, v10
; %bb.3251:
	s_or_b32 exec_lo, exec_lo, s2
.LBB316_3252:
	s_mov_b32 s0, 0
.LBB316_3253:
	s_delay_alu instid0(SALU_CYCLE_1)
	s_and_not1_b32 vcc_lo, exec_lo, s0
	s_cbranch_vccnz .LBB316_3257
; %bb.3254:
	global_load_u8 v7, v[8:9], off
	s_mov_b32 s2, exec_lo
	s_wait_loadcnt 0x0
	s_wait_xcnt 0x1
	v_dual_lshlrev_b32 v10, 25, v7 :: v_dual_lshlrev_b32 v7, 8, v7
	s_delay_alu instid0(VALU_DEP_1) | instskip(NEXT) | instid1(VALU_DEP_2)
	v_cmp_gt_u32_e32 vcc_lo, 0x8000000, v10
	v_and_or_b32 v7, 0x7f00, v7, 0.5
	v_dual_mov_b32 v10, 0xff :: v_dual_lshrrev_b32 v11, 4, v10
	s_delay_alu instid0(VALU_DEP_2) | instskip(NEXT) | instid1(VALU_DEP_2)
	v_add_f32_e32 v7, -0.5, v7
	v_or_b32_e32 v11, 0x70000000, v11
	s_delay_alu instid0(VALU_DEP_1) | instskip(NEXT) | instid1(VALU_DEP_1)
	v_mul_f32_e32 v11, 0x7800000, v11
	v_cndmask_b32_e32 v7, v11, v7, vcc_lo
	s_delay_alu instid0(VALU_DEP_1) | instskip(SKIP_1) | instid1(VALU_DEP_1)
	v_bfe_u32 v11, v7, 23, 8
	s_wait_xcnt 0x0
	v_cmpx_ne_u32_e32 0xff, v11
	s_cbranch_execz .LBB316_3256
; %bb.3255:
	v_and_b32_e32 v10, 0x400000, v7
	v_and_or_b32 v11, 0x3fffff, v7, v11
	v_lshrrev_b32_e32 v7, 23, v7
	s_delay_alu instid0(VALU_DEP_3) | instskip(NEXT) | instid1(VALU_DEP_3)
	v_cmp_ne_u32_e32 vcc_lo, 0, v10
	v_cmp_ne_u32_e64 s0, 0, v11
	s_and_b32 s0, vcc_lo, s0
	s_delay_alu instid0(SALU_CYCLE_1) | instskip(NEXT) | instid1(VALU_DEP_1)
	v_cndmask_b32_e64 v10, 0, 1, s0
	v_add_nc_u32_e32 v10, v7, v10
.LBB316_3256:
	s_or_b32 exec_lo, exec_lo, s2
.LBB316_3257:
	s_mov_b32 s2, 0
	s_mov_b32 s0, -1
.LBB316_3258:
	s_and_not1_b32 vcc_lo, exec_lo, s2
	s_mov_b32 s2, 0
	s_cbranch_vccnz .LBB316_3269
; %bb.3259:
	s_cmp_gt_i32 s11, 14
	s_cbranch_scc0 .LBB316_3264
; %bb.3260:
	s_cmp_eq_u32 s11, 15
	s_cbranch_scc0 .LBB316_3265
; %bb.3261:
	global_load_u16 v7, v[8:9], off
	s_wait_loadcnt 0x1
	s_wait_xcnt 0x1
	v_mov_b32_e32 v10, 0xff
	s_mov_b32 s1, exec_lo
	s_wait_loadcnt 0x0
	v_bfe_u32 v11, v7, 7, 8
	s_wait_xcnt 0x0
	s_delay_alu instid0(VALU_DEP_1)
	v_cmpx_ne_u32_e32 0xff, v11
	s_cbranch_execz .LBB316_3263
; %bb.3262:
	v_dual_lshlrev_b32 v10, 16, v7 :: v_dual_bitop2_b32 v13, 64, v7 bitop3:0x40
	v_lshrrev_b32_e32 v7, 7, v7
	s_delay_alu instid0(VALU_DEP_2) | instskip(NEXT) | instid1(VALU_DEP_3)
	v_and_or_b32 v10, 0x3f0000, v10, v11
	v_cmp_ne_u32_e32 vcc_lo, 0, v13
	s_delay_alu instid0(VALU_DEP_2) | instskip(SKIP_1) | instid1(SALU_CYCLE_1)
	v_cmp_ne_u32_e64 s0, 0, v10
	s_and_b32 s0, vcc_lo, s0
	v_cndmask_b32_e64 v10, 0, 1, s0
	s_delay_alu instid0(VALU_DEP_1)
	v_add_nc_u32_e32 v10, v7, v10
.LBB316_3263:
	s_or_b32 exec_lo, exec_lo, s1
	s_mov_b32 s1, 0
	s_mov_b32 s0, -1
	s_branch .LBB316_3267
.LBB316_3264:
	s_mov_b32 s2, -1
	s_branch .LBB316_3266
.LBB316_3265:
	s_mov_b32 s1, -1
.LBB316_3266:
                                        ; implicit-def: $vgpr10
.LBB316_3267:
	s_and_b32 vcc_lo, exec_lo, s2
	s_mov_b32 s2, 0
	s_cbranch_vccz .LBB316_3269
; %bb.3268:
	s_cmp_lg_u32 s11, 11
	s_mov_b32 s2, -1
	s_cselect_b32 s1, -1, 0
.LBB316_3269:
	s_delay_alu instid0(SALU_CYCLE_1)
	s_and_b32 vcc_lo, exec_lo, s1
	s_cbranch_vccnz .LBB316_3822
; %bb.3270:
	s_and_not1_b32 vcc_lo, exec_lo, s2
	s_cbranch_vccnz .LBB316_3274
.LBB316_3271:
	global_load_u8 v7, v[8:9], off
	s_mov_b32 s1, exec_lo
	s_wait_loadcnt 0x1
	s_wait_xcnt 0x1
	v_mov_b32_e32 v10, 0xff
	s_wait_loadcnt 0x0
	v_cmp_ne_u16_e32 vcc_lo, 0, v7
	v_cndmask_b32_e64 v11, 0, 1.0, vcc_lo
	s_delay_alu instid0(VALU_DEP_1) | instskip(SKIP_1) | instid1(VALU_DEP_1)
	v_lshrrev_b32_e32 v7, 23, v11
	s_wait_xcnt 0x0
	v_cmpx_ne_u32_e32 0xff, v7
; %bb.3272:
	v_and_b32_e32 v10, 0x400000, v11
	v_and_or_b32 v11, 0x3fffff, v11, v7
	s_delay_alu instid0(VALU_DEP_2) | instskip(NEXT) | instid1(VALU_DEP_2)
	v_cmp_ne_u32_e32 vcc_lo, 0, v10
	v_cmp_ne_u32_e64 s0, 0, v11
	s_and_b32 s0, vcc_lo, s0
	s_delay_alu instid0(SALU_CYCLE_1) | instskip(NEXT) | instid1(VALU_DEP_1)
	v_cndmask_b32_e64 v10, 0, 1, s0
	v_add_nc_u32_e32 v10, v7, v10
; %bb.3273:
	s_or_b32 exec_lo, exec_lo, s1
	s_mov_b32 s0, -1
.LBB316_3274:
	s_mov_b32 s1, 0
.LBB316_3275:
	s_delay_alu instid0(SALU_CYCLE_1)
	s_and_b32 vcc_lo, exec_lo, s1
	s_cbranch_vccz .LBB316_3346
; %bb.3276:
	s_cmp_lt_i32 s11, 5
	s_cbranch_scc1 .LBB316_3283
; %bb.3277:
	s_cmp_lt_i32 s11, 8
	s_cbranch_scc1 .LBB316_3284
	;; [unrolled: 3-line block ×3, first 2 shown]
; %bb.3279:
	s_cmp_gt_i32 s11, 9
	s_cbranch_scc0 .LBB316_3286
; %bb.3280:
	s_wait_loadcnt 0x0
	global_load_b64 v[10:11], v[8:9], off
	s_mov_b32 s1, exec_lo
	s_wait_loadcnt 0x0
	v_cvt_f32_f64_e32 v7, v[10:11]
	v_mov_b32_e32 v10, 0xff
	s_delay_alu instid0(VALU_DEP_2) | instskip(SKIP_1) | instid1(VALU_DEP_1)
	v_bfe_u32 v11, v7, 23, 8
	s_wait_xcnt 0x0
	v_cmpx_ne_u32_e32 0xff, v11
	s_cbranch_execz .LBB316_3282
; %bb.3281:
	v_and_b32_e32 v10, 0x400000, v7
	v_and_or_b32 v11, 0x3fffff, v7, v11
	v_lshrrev_b32_e32 v7, 23, v7
	s_delay_alu instid0(VALU_DEP_3) | instskip(NEXT) | instid1(VALU_DEP_3)
	v_cmp_ne_u32_e32 vcc_lo, 0, v10
	v_cmp_ne_u32_e64 s0, 0, v11
	s_and_b32 s0, vcc_lo, s0
	s_delay_alu instid0(SALU_CYCLE_1) | instskip(NEXT) | instid1(VALU_DEP_1)
	v_cndmask_b32_e64 v10, 0, 1, s0
	v_add_nc_u32_e32 v10, v7, v10
.LBB316_3282:
	s_or_b32 exec_lo, exec_lo, s1
	s_mov_b32 s0, 0
	s_branch .LBB316_3287
.LBB316_3283:
	s_mov_b32 s0, -1
                                        ; implicit-def: $vgpr10
	s_branch .LBB316_3315
.LBB316_3284:
	s_mov_b32 s0, -1
                                        ; implicit-def: $vgpr10
	s_branch .LBB316_3297
.LBB316_3285:
	s_mov_b32 s0, -1
                                        ; implicit-def: $vgpr10
	s_branch .LBB316_3292
.LBB316_3286:
	s_mov_b32 s0, -1
                                        ; implicit-def: $vgpr10
.LBB316_3287:
	s_delay_alu instid0(SALU_CYCLE_1)
	s_and_not1_b32 vcc_lo, exec_lo, s0
	s_cbranch_vccnz .LBB316_3291
; %bb.3288:
	global_load_b32 v7, v[8:9], off
	s_wait_loadcnt 0x1
	s_wait_xcnt 0x1
	v_mov_b32_e32 v10, 0xff
	s_mov_b32 s1, exec_lo
	s_wait_loadcnt 0x0
	v_bfe_u32 v11, v7, 23, 8
	s_wait_xcnt 0x0
	s_delay_alu instid0(VALU_DEP_1)
	v_cmpx_ne_u32_e32 0xff, v11
	s_cbranch_execz .LBB316_3290
; %bb.3289:
	v_and_b32_e32 v10, 0x400000, v7
	v_and_or_b32 v11, 0x3fffff, v7, v11
	v_lshrrev_b32_e32 v7, 23, v7
	s_delay_alu instid0(VALU_DEP_3) | instskip(NEXT) | instid1(VALU_DEP_3)
	v_cmp_ne_u32_e32 vcc_lo, 0, v10
	v_cmp_ne_u32_e64 s0, 0, v11
	s_and_b32 s0, vcc_lo, s0
	s_delay_alu instid0(SALU_CYCLE_1) | instskip(NEXT) | instid1(VALU_DEP_1)
	v_cndmask_b32_e64 v10, 0, 1, s0
	v_add_nc_u32_e32 v10, v7, v10
.LBB316_3290:
	s_or_b32 exec_lo, exec_lo, s1
.LBB316_3291:
	s_mov_b32 s0, 0
.LBB316_3292:
	s_delay_alu instid0(SALU_CYCLE_1)
	s_and_not1_b32 vcc_lo, exec_lo, s0
	s_cbranch_vccnz .LBB316_3296
; %bb.3293:
	global_load_b32 v7, v[8:9], off
	s_wait_loadcnt 0x1
	s_wait_xcnt 0x1
	v_mov_b32_e32 v10, 0xff
	s_mov_b32 s1, exec_lo
	s_wait_loadcnt 0x0
	v_cvt_f32_f16_e32 v7, v7
	s_delay_alu instid0(VALU_DEP_1) | instskip(SKIP_1) | instid1(VALU_DEP_1)
	v_bfe_u32 v11, v7, 23, 8
	s_wait_xcnt 0x0
	v_cmpx_ne_u32_e32 0xff, v11
	s_cbranch_execz .LBB316_3295
; %bb.3294:
	v_and_b32_e32 v10, 0x400000, v7
	v_and_or_b32 v11, 0x3fffff, v7, v11
	v_lshrrev_b32_e32 v7, 23, v7
	s_delay_alu instid0(VALU_DEP_3) | instskip(NEXT) | instid1(VALU_DEP_3)
	v_cmp_ne_u32_e32 vcc_lo, 0, v10
	v_cmp_ne_u32_e64 s0, 0, v11
	s_and_b32 s0, vcc_lo, s0
	s_delay_alu instid0(SALU_CYCLE_1) | instskip(NEXT) | instid1(VALU_DEP_1)
	v_cndmask_b32_e64 v10, 0, 1, s0
	v_add_nc_u32_e32 v10, v7, v10
.LBB316_3295:
	s_or_b32 exec_lo, exec_lo, s1
.LBB316_3296:
	s_mov_b32 s0, 0
.LBB316_3297:
	s_delay_alu instid0(SALU_CYCLE_1)
	s_and_not1_b32 vcc_lo, exec_lo, s0
	s_cbranch_vccnz .LBB316_3314
; %bb.3298:
	s_cmp_lt_i32 s11, 6
	s_cbranch_scc1 .LBB316_3303
; %bb.3299:
	s_cmp_gt_i32 s11, 6
	s_cbranch_scc0 .LBB316_3304
; %bb.3300:
	s_wait_loadcnt 0x0
	global_load_b64 v[10:11], v[8:9], off
	s_mov_b32 s1, exec_lo
	s_wait_loadcnt 0x0
	v_cvt_f32_f64_e32 v7, v[10:11]
	v_mov_b32_e32 v10, 0xff
	s_delay_alu instid0(VALU_DEP_2) | instskip(SKIP_1) | instid1(VALU_DEP_1)
	v_bfe_u32 v11, v7, 23, 8
	s_wait_xcnt 0x0
	v_cmpx_ne_u32_e32 0xff, v11
	s_cbranch_execz .LBB316_3302
; %bb.3301:
	v_and_b32_e32 v10, 0x400000, v7
	v_and_or_b32 v11, 0x3fffff, v7, v11
	v_lshrrev_b32_e32 v7, 23, v7
	s_delay_alu instid0(VALU_DEP_3) | instskip(NEXT) | instid1(VALU_DEP_3)
	v_cmp_ne_u32_e32 vcc_lo, 0, v10
	v_cmp_ne_u32_e64 s0, 0, v11
	s_and_b32 s0, vcc_lo, s0
	s_delay_alu instid0(SALU_CYCLE_1) | instskip(NEXT) | instid1(VALU_DEP_1)
	v_cndmask_b32_e64 v10, 0, 1, s0
	v_add_nc_u32_e32 v10, v7, v10
.LBB316_3302:
	s_or_b32 exec_lo, exec_lo, s1
	s_mov_b32 s0, 0
	s_branch .LBB316_3305
.LBB316_3303:
	s_mov_b32 s0, -1
                                        ; implicit-def: $vgpr10
	s_branch .LBB316_3310
.LBB316_3304:
	s_mov_b32 s0, -1
                                        ; implicit-def: $vgpr10
.LBB316_3305:
	s_delay_alu instid0(SALU_CYCLE_1)
	s_and_not1_b32 vcc_lo, exec_lo, s0
	s_cbranch_vccnz .LBB316_3309
; %bb.3306:
	global_load_b32 v7, v[8:9], off
	s_wait_loadcnt 0x1
	s_wait_xcnt 0x1
	v_mov_b32_e32 v10, 0xff
	s_mov_b32 s1, exec_lo
	s_wait_loadcnt 0x0
	v_bfe_u32 v11, v7, 23, 8
	s_wait_xcnt 0x0
	s_delay_alu instid0(VALU_DEP_1)
	v_cmpx_ne_u32_e32 0xff, v11
	s_cbranch_execz .LBB316_3308
; %bb.3307:
	v_and_b32_e32 v10, 0x400000, v7
	v_and_or_b32 v11, 0x3fffff, v7, v11
	v_lshrrev_b32_e32 v7, 23, v7
	s_delay_alu instid0(VALU_DEP_3) | instskip(NEXT) | instid1(VALU_DEP_3)
	v_cmp_ne_u32_e32 vcc_lo, 0, v10
	v_cmp_ne_u32_e64 s0, 0, v11
	s_and_b32 s0, vcc_lo, s0
	s_delay_alu instid0(SALU_CYCLE_1) | instskip(NEXT) | instid1(VALU_DEP_1)
	v_cndmask_b32_e64 v10, 0, 1, s0
	v_add_nc_u32_e32 v10, v7, v10
.LBB316_3308:
	s_or_b32 exec_lo, exec_lo, s1
.LBB316_3309:
	s_mov_b32 s0, 0
.LBB316_3310:
	s_delay_alu instid0(SALU_CYCLE_1)
	s_and_not1_b32 vcc_lo, exec_lo, s0
	s_cbranch_vccnz .LBB316_3314
; %bb.3311:
	global_load_u16 v7, v[8:9], off
	s_wait_loadcnt 0x1
	s_wait_xcnt 0x1
	v_mov_b32_e32 v10, 0xff
	s_mov_b32 s1, exec_lo
	s_wait_loadcnt 0x0
	v_cvt_f32_f16_e32 v7, v7
	s_delay_alu instid0(VALU_DEP_1) | instskip(SKIP_1) | instid1(VALU_DEP_1)
	v_bfe_u32 v11, v7, 23, 8
	s_wait_xcnt 0x0
	v_cmpx_ne_u32_e32 0xff, v11
	s_cbranch_execz .LBB316_3313
; %bb.3312:
	v_and_b32_e32 v10, 0x400000, v7
	v_and_or_b32 v11, 0x3fffff, v7, v11
	v_lshrrev_b32_e32 v7, 23, v7
	s_delay_alu instid0(VALU_DEP_3) | instskip(NEXT) | instid1(VALU_DEP_3)
	v_cmp_ne_u32_e32 vcc_lo, 0, v10
	v_cmp_ne_u32_e64 s0, 0, v11
	s_and_b32 s0, vcc_lo, s0
	s_delay_alu instid0(SALU_CYCLE_1) | instskip(NEXT) | instid1(VALU_DEP_1)
	v_cndmask_b32_e64 v10, 0, 1, s0
	v_add_nc_u32_e32 v10, v7, v10
.LBB316_3313:
	s_or_b32 exec_lo, exec_lo, s1
.LBB316_3314:
	s_mov_b32 s0, 0
.LBB316_3315:
	s_delay_alu instid0(SALU_CYCLE_1)
	s_and_not1_b32 vcc_lo, exec_lo, s0
	s_cbranch_vccnz .LBB316_3345
; %bb.3316:
	s_cmp_lt_i32 s11, 2
	s_cbranch_scc1 .LBB316_3322
; %bb.3317:
	s_cmp_lt_i32 s11, 3
	s_cbranch_scc1 .LBB316_3323
; %bb.3318:
	s_cmp_gt_i32 s11, 3
	s_cbranch_scc0 .LBB316_3324
; %bb.3319:
	s_wait_loadcnt 0x0
	global_load_b64 v[10:11], v[8:9], off
	s_mov_b32 s1, exec_lo
	s_wait_loadcnt 0x0
	v_xor_b32_e32 v7, v10, v11
	v_cls_i32_e32 v13, v11
	s_delay_alu instid0(VALU_DEP_2) | instskip(NEXT) | instid1(VALU_DEP_1)
	v_ashrrev_i32_e32 v7, 31, v7
	v_add_nc_u32_e32 v7, 32, v7
	s_delay_alu instid0(VALU_DEP_1) | instskip(NEXT) | instid1(VALU_DEP_1)
	v_add_min_u32_e64 v7, v13, -1, v7
	v_lshlrev_b64_e32 v[10:11], v7, v[10:11]
	v_sub_nc_u32_e32 v7, 32, v7
	s_delay_alu instid0(VALU_DEP_2) | instskip(NEXT) | instid1(VALU_DEP_1)
	v_min_u32_e32 v10, 1, v10
	v_or_b32_e32 v10, v11, v10
	s_delay_alu instid0(VALU_DEP_1) | instskip(NEXT) | instid1(VALU_DEP_1)
	v_cvt_f32_i32_e32 v10, v10
	v_ldexp_f32 v7, v10, v7
	v_mov_b32_e32 v10, 0xff
	s_delay_alu instid0(VALU_DEP_2) | instskip(SKIP_1) | instid1(VALU_DEP_1)
	v_bfe_u32 v11, v7, 23, 8
	s_wait_xcnt 0x0
	v_cmpx_ne_u32_e32 0xff, v11
	s_cbranch_execz .LBB316_3321
; %bb.3320:
	v_and_b32_e32 v10, 0x400000, v7
	v_and_or_b32 v11, 0x3fffff, v7, v11
	v_lshrrev_b32_e32 v7, 23, v7
	s_delay_alu instid0(VALU_DEP_3) | instskip(NEXT) | instid1(VALU_DEP_3)
	v_cmp_ne_u32_e32 vcc_lo, 0, v10
	v_cmp_ne_u32_e64 s0, 0, v11
	s_and_b32 s0, vcc_lo, s0
	s_delay_alu instid0(SALU_CYCLE_1) | instskip(NEXT) | instid1(VALU_DEP_1)
	v_cndmask_b32_e64 v10, 0, 1, s0
	v_add_nc_u32_e32 v10, v7, v10
.LBB316_3321:
	s_or_b32 exec_lo, exec_lo, s1
	s_mov_b32 s0, 0
	s_branch .LBB316_3325
.LBB316_3322:
	s_mov_b32 s0, -1
                                        ; implicit-def: $vgpr10
	s_branch .LBB316_3335
.LBB316_3323:
	s_mov_b32 s0, -1
                                        ; implicit-def: $vgpr10
	s_branch .LBB316_3330
.LBB316_3324:
	s_mov_b32 s0, -1
                                        ; implicit-def: $vgpr10
.LBB316_3325:
	s_delay_alu instid0(SALU_CYCLE_1)
	s_and_not1_b32 vcc_lo, exec_lo, s0
	s_cbranch_vccnz .LBB316_3329
; %bb.3326:
	global_load_b32 v7, v[8:9], off
	s_wait_loadcnt 0x1
	s_wait_xcnt 0x1
	v_mov_b32_e32 v10, 0xff
	s_mov_b32 s1, exec_lo
	s_wait_loadcnt 0x0
	v_cvt_f32_i32_e32 v7, v7
	s_delay_alu instid0(VALU_DEP_1) | instskip(SKIP_1) | instid1(VALU_DEP_1)
	v_bfe_u32 v11, v7, 23, 8
	s_wait_xcnt 0x0
	v_cmpx_ne_u32_e32 0xff, v11
	s_cbranch_execz .LBB316_3328
; %bb.3327:
	v_and_b32_e32 v10, 0x400000, v7
	v_and_or_b32 v11, 0x3fffff, v7, v11
	v_lshrrev_b32_e32 v7, 23, v7
	s_delay_alu instid0(VALU_DEP_3) | instskip(NEXT) | instid1(VALU_DEP_3)
	v_cmp_ne_u32_e32 vcc_lo, 0, v10
	v_cmp_ne_u32_e64 s0, 0, v11
	s_and_b32 s0, vcc_lo, s0
	s_delay_alu instid0(SALU_CYCLE_1) | instskip(NEXT) | instid1(VALU_DEP_1)
	v_cndmask_b32_e64 v10, 0, 1, s0
	v_add_nc_u32_e32 v10, v7, v10
.LBB316_3328:
	s_or_b32 exec_lo, exec_lo, s1
.LBB316_3329:
	s_mov_b32 s0, 0
.LBB316_3330:
	s_delay_alu instid0(SALU_CYCLE_1)
	s_and_not1_b32 vcc_lo, exec_lo, s0
	s_cbranch_vccnz .LBB316_3334
; %bb.3331:
	global_load_i16 v7, v[8:9], off
	s_wait_loadcnt 0x1
	s_wait_xcnt 0x1
	v_mov_b32_e32 v10, 0xff
	s_mov_b32 s1, exec_lo
	s_wait_loadcnt 0x0
	v_cvt_f32_i32_e32 v7, v7
	s_delay_alu instid0(VALU_DEP_1) | instskip(SKIP_1) | instid1(VALU_DEP_1)
	v_bfe_u32 v11, v7, 23, 8
	s_wait_xcnt 0x0
	v_cmpx_ne_u32_e32 0xff, v11
	s_cbranch_execz .LBB316_3333
; %bb.3332:
	v_and_b32_e32 v10, 0x400000, v7
	v_and_or_b32 v11, 0x3fffff, v7, v11
	v_lshrrev_b32_e32 v7, 23, v7
	s_delay_alu instid0(VALU_DEP_3) | instskip(NEXT) | instid1(VALU_DEP_3)
	v_cmp_ne_u32_e32 vcc_lo, 0, v10
	v_cmp_ne_u32_e64 s0, 0, v11
	s_and_b32 s0, vcc_lo, s0
	s_delay_alu instid0(SALU_CYCLE_1) | instskip(NEXT) | instid1(VALU_DEP_1)
	v_cndmask_b32_e64 v10, 0, 1, s0
	v_add_nc_u32_e32 v10, v7, v10
.LBB316_3333:
	s_or_b32 exec_lo, exec_lo, s1
.LBB316_3334:
	s_mov_b32 s0, 0
.LBB316_3335:
	s_delay_alu instid0(SALU_CYCLE_1)
	s_and_not1_b32 vcc_lo, exec_lo, s0
	s_cbranch_vccnz .LBB316_3345
; %bb.3336:
	s_cmp_gt_i32 s11, 0
	s_cbranch_scc0 .LBB316_3340
; %bb.3337:
	global_load_i8 v7, v[8:9], off
	s_wait_loadcnt 0x1
	s_wait_xcnt 0x1
	v_mov_b32_e32 v10, 0xff
	s_mov_b32 s1, exec_lo
	s_wait_loadcnt 0x0
	v_cvt_f32_i32_e32 v7, v7
	s_delay_alu instid0(VALU_DEP_1) | instskip(SKIP_1) | instid1(VALU_DEP_1)
	v_bfe_u32 v11, v7, 23, 8
	s_wait_xcnt 0x0
	v_cmpx_ne_u32_e32 0xff, v11
	s_cbranch_execz .LBB316_3339
; %bb.3338:
	v_and_b32_e32 v10, 0x400000, v7
	v_and_or_b32 v11, 0x3fffff, v7, v11
	v_lshrrev_b32_e32 v7, 23, v7
	s_delay_alu instid0(VALU_DEP_3) | instskip(NEXT) | instid1(VALU_DEP_3)
	v_cmp_ne_u32_e32 vcc_lo, 0, v10
	v_cmp_ne_u32_e64 s0, 0, v11
	s_and_b32 s0, vcc_lo, s0
	s_delay_alu instid0(SALU_CYCLE_1) | instskip(NEXT) | instid1(VALU_DEP_1)
	v_cndmask_b32_e64 v10, 0, 1, s0
	v_add_nc_u32_e32 v10, v7, v10
.LBB316_3339:
	s_or_b32 exec_lo, exec_lo, s1
	s_mov_b32 s0, 0
	s_branch .LBB316_3341
.LBB316_3340:
	s_mov_b32 s0, -1
                                        ; implicit-def: $vgpr10
.LBB316_3341:
	s_delay_alu instid0(SALU_CYCLE_1)
	s_and_not1_b32 vcc_lo, exec_lo, s0
	s_cbranch_vccnz .LBB316_3345
; %bb.3342:
	global_load_u8 v7, v[8:9], off
	s_mov_b32 s1, exec_lo
	s_wait_loadcnt 0x1
	s_wait_xcnt 0x1
	v_mov_b32_e32 v10, 0xff
	s_wait_loadcnt 0x0
	v_cvt_f32_ubyte0_e32 v8, v7
	s_delay_alu instid0(VALU_DEP_1) | instskip(NEXT) | instid1(VALU_DEP_1)
	v_lshrrev_b32_e32 v7, 23, v8
	v_cmpx_ne_u32_e32 0xff, v7
; %bb.3343:
	v_and_b32_e32 v9, 0x400000, v8
	v_and_or_b32 v8, 0x3fffff, v8, v7
	s_delay_alu instid0(VALU_DEP_2) | instskip(NEXT) | instid1(VALU_DEP_2)
	v_cmp_ne_u32_e32 vcc_lo, 0, v9
	v_cmp_ne_u32_e64 s0, 0, v8
	s_and_b32 s0, vcc_lo, s0
	s_delay_alu instid0(SALU_CYCLE_1) | instskip(NEXT) | instid1(VALU_DEP_1)
	v_cndmask_b32_e64 v8, 0, 1, s0
	v_add_nc_u32_e32 v10, v7, v8
; %bb.3344:
	s_or_b32 exec_lo, exec_lo, s1
.LBB316_3345:
	s_mov_b32 s0, -1
.LBB316_3346:
	s_delay_alu instid0(SALU_CYCLE_1)
	s_and_not1_b32 vcc_lo, exec_lo, s0
	s_cbranch_vccnz .LBB316_3777
; %bb.3347:
	v_and_b32_e32 v1, 0xff, v1
	s_wait_loadcnt 0x0
	v_and_b32_e32 v3, 0xff, v3
	s_load_b64 s[0:1], s[20:21], 0x1a0
	s_mov_b32 s11, 0
	s_mov_b32 s2, -1
	s_delay_alu instid0(VALU_DEP_1) | instskip(SKIP_1) | instid1(VALU_DEP_2)
	v_dual_lshlrev_b32 v7, 23, v1 :: v_dual_lshlrev_b32 v8, 23, v3
	v_cmp_ne_u16_e32 vcc_lo, 0xff, v1
	v_cndmask_b32_e32 v7, 0x7f800001, v7, vcc_lo
	v_cmp_ne_u16_e32 vcc_lo, 0xff, v3
	s_delay_alu instid0(VALU_DEP_4)
	v_cndmask_b32_e32 v8, 0x7f800001, v8, vcc_lo
	v_cmp_ne_u16_e32 vcc_lo, 0, v1
	s_wait_kmcnt 0x0
	s_cmp_eq_u32 s0, 0
	v_cndmask_b32_e32 v1, 0x400000, v7, vcc_lo
	v_cmp_ne_u16_e32 vcc_lo, 0, v3
	s_cselect_b32 s0, -1, 0
	s_and_b32 s3, s1, 0xff
	s_delay_alu instid0(SALU_CYCLE_1) | instskip(SKIP_1) | instid1(VALU_DEP_1)
	s_cmp_lt_i32 s3, 11
	v_cndmask_b32_e32 v3, 0x400000, v8, vcc_lo
	v_cmp_eq_f32_e32 vcc_lo, v1, v3
	v_cndmask_b32_e64 v7, 0, 1, vcc_lo
	v_cmp_neq_f32_e32 vcc_lo, v1, v3
	v_cndmask_b32_e64 v1, 0, 1, vcc_lo
	s_delay_alu instid0(VALU_DEP_1) | instskip(NEXT) | instid1(VALU_DEP_1)
	v_dual_cndmask_b32 v1, v1, v7, s0 :: v_dual_mov_b32 v7, 0
	v_and_b32_e32 v1, 1, v1
	s_delay_alu instid0(VALU_DEP_2) | instskip(NEXT) | instid1(VALU_DEP_2)
	v_add_nc_u64_e32 v[6:7], s[4:5], v[6:7]
	v_cmp_eq_u32_e64 s1, 1, v1
	s_cbranch_scc1 .LBB316_3426
; %bb.3348:
	s_and_b32 s6, 0xffff, s3
	s_mov_b32 s12, -1
	s_mov_b32 s7, 0
	s_cmp_gt_i32 s6, 25
	s_mov_b32 s2, 0
	s_cbranch_scc0 .LBB316_3381
; %bb.3349:
	s_cmp_gt_i32 s6, 28
	s_cbranch_scc0 .LBB316_3364
; %bb.3350:
	s_cmp_gt_i32 s6, 43
	;; [unrolled: 3-line block ×3, first 2 shown]
	s_cbranch_scc0 .LBB316_3354
; %bb.3352:
	s_mov_b32 s2, -1
	s_mov_b32 s12, 0
	s_cmp_eq_u32 s6, 46
	s_cbranch_scc0 .LBB316_3354
; %bb.3353:
	v_cndmask_b32_e64 v1, 0, 1.0, s1
	s_mov_b32 s2, 0
	s_mov_b32 s11, -1
	s_delay_alu instid0(VALU_DEP_1) | instskip(NEXT) | instid1(VALU_DEP_1)
	v_bfe_u32 v3, v1, 16, 1
	v_add3_u32 v1, v1, v3, 0x7fff
	s_delay_alu instid0(VALU_DEP_1)
	v_lshrrev_b32_e32 v1, 16, v1
	global_store_b32 v[6:7], v1, off
.LBB316_3354:
	s_and_b32 vcc_lo, exec_lo, s12
	s_cbranch_vccz .LBB316_3359
; %bb.3355:
	s_cmp_eq_u32 s6, 44
	s_mov_b32 s2, -1
	s_cbranch_scc0 .LBB316_3359
; %bb.3356:
	v_cndmask_b32_e64 v8, 0, 1.0, s1
	v_mov_b32_e32 v3, 0xff
	s_mov_b32 s11, exec_lo
	s_wait_xcnt 0x0
	s_delay_alu instid0(VALU_DEP_2) | instskip(NEXT) | instid1(VALU_DEP_1)
	v_lshrrev_b32_e32 v1, 23, v8
	v_cmpx_ne_u32_e32 0xff, v1
; %bb.3357:
	v_and_b32_e32 v3, 0x400000, v8
	v_and_or_b32 v8, 0x3fffff, v8, v1
	s_delay_alu instid0(VALU_DEP_2) | instskip(NEXT) | instid1(VALU_DEP_2)
	v_cmp_ne_u32_e32 vcc_lo, 0, v3
	v_cmp_ne_u32_e64 s2, 0, v8
	s_and_b32 s2, vcc_lo, s2
	s_delay_alu instid0(SALU_CYCLE_1) | instskip(NEXT) | instid1(VALU_DEP_1)
	v_cndmask_b32_e64 v3, 0, 1, s2
	v_add_nc_u32_e32 v3, v1, v3
; %bb.3358:
	s_or_b32 exec_lo, exec_lo, s11
	s_mov_b32 s2, 0
	s_mov_b32 s11, -1
	global_store_b8 v[6:7], v3, off
.LBB316_3359:
	s_mov_b32 s12, 0
.LBB316_3360:
	s_delay_alu instid0(SALU_CYCLE_1)
	s_and_b32 vcc_lo, exec_lo, s12
	s_cbranch_vccz .LBB316_3363
; %bb.3361:
	s_cmp_eq_u32 s6, 29
	s_mov_b32 s2, -1
	s_cbranch_scc0 .LBB316_3363
; %bb.3362:
	s_mov_b32 s2, 0
	v_cndmask_b32_e64 v8, 0, 1, s1
	v_mov_b32_e32 v9, s2
	s_mov_b32 s11, -1
	global_store_b64 v[6:7], v[8:9], off
.LBB316_3363:
	s_mov_b32 s12, 0
.LBB316_3364:
	s_delay_alu instid0(SALU_CYCLE_1)
	s_and_b32 vcc_lo, exec_lo, s12
	s_cbranch_vccz .LBB316_3380
; %bb.3365:
	s_cmp_lt_i32 s6, 27
	s_mov_b32 s11, -1
	s_cbranch_scc1 .LBB316_3371
; %bb.3366:
	s_cmp_gt_i32 s6, 27
	s_cbranch_scc0 .LBB316_3368
; %bb.3367:
	s_wait_xcnt 0x0
	v_cndmask_b32_e64 v1, 0, 1, s1
	s_mov_b32 s11, 0
	global_store_b32 v[6:7], v1, off
.LBB316_3368:
	s_and_not1_b32 vcc_lo, exec_lo, s11
	s_cbranch_vccnz .LBB316_3370
; %bb.3369:
	s_wait_xcnt 0x0
	v_cndmask_b32_e64 v1, 0, 1, s1
	global_store_b16 v[6:7], v1, off
.LBB316_3370:
	s_mov_b32 s11, 0
.LBB316_3371:
	s_delay_alu instid0(SALU_CYCLE_1)
	s_and_not1_b32 vcc_lo, exec_lo, s11
	s_cbranch_vccnz .LBB316_3379
; %bb.3372:
	s_wait_xcnt 0x0
	v_cndmask_b32_e64 v3, 0, 1.0, s1
	v_mov_b32_e32 v8, 0x80
	s_mov_b32 s11, exec_lo
	s_delay_alu instid0(VALU_DEP_2)
	v_cmpx_gt_u32_e32 0x43800000, v3
	s_cbranch_execz .LBB316_3378
; %bb.3373:
	s_mov_b32 s12, 0
	s_mov_b32 s13, exec_lo
                                        ; implicit-def: $vgpr1
	v_cmpx_lt_u32_e32 0x3bffffff, v3
	s_xor_b32 s13, exec_lo, s13
	s_cbranch_execz .LBB316_3823
; %bb.3374:
	v_bfe_u32 v1, v3, 20, 1
	s_mov_b32 s12, exec_lo
	s_delay_alu instid0(VALU_DEP_1) | instskip(NEXT) | instid1(VALU_DEP_1)
	v_add3_u32 v1, v3, v1, 0x487ffff
                                        ; implicit-def: $vgpr3
	v_lshrrev_b32_e32 v1, 20, v1
	s_and_not1_saveexec_b32 s13, s13
	s_cbranch_execnz .LBB316_3824
.LBB316_3375:
	s_or_b32 exec_lo, exec_lo, s13
	v_mov_b32_e32 v8, 0
	s_and_saveexec_b32 s13, s12
.LBB316_3376:
	v_mov_b32_e32 v8, v1
.LBB316_3377:
	s_or_b32 exec_lo, exec_lo, s13
.LBB316_3378:
	s_delay_alu instid0(SALU_CYCLE_1)
	s_or_b32 exec_lo, exec_lo, s11
	global_store_b8 v[6:7], v8, off
.LBB316_3379:
	s_mov_b32 s11, -1
.LBB316_3380:
	s_mov_b32 s12, 0
.LBB316_3381:
	s_delay_alu instid0(SALU_CYCLE_1)
	s_and_b32 vcc_lo, exec_lo, s12
	s_cbranch_vccz .LBB316_3421
; %bb.3382:
	s_cmp_gt_i32 s6, 22
	s_mov_b32 s7, -1
	s_cbranch_scc0 .LBB316_3414
; %bb.3383:
	s_cmp_lt_i32 s6, 24
	s_cbranch_scc1 .LBB316_3403
; %bb.3384:
	s_cmp_gt_i32 s6, 24
	s_cbranch_scc0 .LBB316_3392
; %bb.3385:
	s_wait_xcnt 0x0
	v_cndmask_b32_e64 v3, 0, 1.0, s1
	v_mov_b32_e32 v8, 0x80
	s_mov_b32 s7, exec_lo
	s_delay_alu instid0(VALU_DEP_2)
	v_cmpx_gt_u32_e32 0x47800000, v3
	s_cbranch_execz .LBB316_3391
; %bb.3386:
	s_mov_b32 s11, 0
	s_mov_b32 s12, exec_lo
                                        ; implicit-def: $vgpr1
	v_cmpx_lt_u32_e32 0x37ffffff, v3
	s_xor_b32 s12, exec_lo, s12
	s_cbranch_execz .LBB316_3826
; %bb.3387:
	v_bfe_u32 v1, v3, 21, 1
	s_mov_b32 s11, exec_lo
	s_delay_alu instid0(VALU_DEP_1) | instskip(NEXT) | instid1(VALU_DEP_1)
	v_add3_u32 v1, v3, v1, 0x88fffff
                                        ; implicit-def: $vgpr3
	v_lshrrev_b32_e32 v1, 21, v1
	s_and_not1_saveexec_b32 s12, s12
	s_cbranch_execnz .LBB316_3827
.LBB316_3388:
	s_or_b32 exec_lo, exec_lo, s12
	v_mov_b32_e32 v8, 0
	s_and_saveexec_b32 s12, s11
.LBB316_3389:
	v_mov_b32_e32 v8, v1
.LBB316_3390:
	s_or_b32 exec_lo, exec_lo, s12
.LBB316_3391:
	s_delay_alu instid0(SALU_CYCLE_1)
	s_or_b32 exec_lo, exec_lo, s7
	s_mov_b32 s7, 0
	global_store_b8 v[6:7], v8, off
.LBB316_3392:
	s_and_b32 vcc_lo, exec_lo, s7
	s_cbranch_vccz .LBB316_3402
; %bb.3393:
	s_wait_xcnt 0x0
	v_cndmask_b32_e64 v3, 0, 1.0, s1
	s_mov_b32 s7, exec_lo
                                        ; implicit-def: $vgpr1
	s_delay_alu instid0(VALU_DEP_1)
	v_cmpx_gt_u32_e32 0x43f00000, v3
	s_xor_b32 s7, exec_lo, s7
	s_cbranch_execz .LBB316_3399
; %bb.3394:
	s_mov_b32 s11, exec_lo
                                        ; implicit-def: $vgpr1
	v_cmpx_lt_u32_e32 0x3c7fffff, v3
	s_xor_b32 s11, exec_lo, s11
; %bb.3395:
	v_bfe_u32 v1, v3, 20, 1
	s_delay_alu instid0(VALU_DEP_1) | instskip(NEXT) | instid1(VALU_DEP_1)
	v_add3_u32 v1, v3, v1, 0x407ffff
	v_and_b32_e32 v3, 0xff00000, v1
	v_lshrrev_b32_e32 v1, 20, v1
	s_delay_alu instid0(VALU_DEP_2) | instskip(NEXT) | instid1(VALU_DEP_2)
	v_cmp_ne_u32_e32 vcc_lo, 0x7f00000, v3
                                        ; implicit-def: $vgpr3
	v_cndmask_b32_e32 v1, 0x7e, v1, vcc_lo
; %bb.3396:
	s_and_not1_saveexec_b32 s11, s11
; %bb.3397:
	v_add_f32_e32 v1, 0x46800000, v3
; %bb.3398:
	s_or_b32 exec_lo, exec_lo, s11
                                        ; implicit-def: $vgpr3
.LBB316_3399:
	s_and_not1_saveexec_b32 s7, s7
; %bb.3400:
	v_mov_b32_e32 v1, 0x7f
	v_cmp_lt_u32_e32 vcc_lo, 0x7f800000, v3
	s_delay_alu instid0(VALU_DEP_2)
	v_cndmask_b32_e32 v1, 0x7e, v1, vcc_lo
; %bb.3401:
	s_or_b32 exec_lo, exec_lo, s7
	global_store_b8 v[6:7], v1, off
.LBB316_3402:
	s_mov_b32 s7, 0
.LBB316_3403:
	s_delay_alu instid0(SALU_CYCLE_1)
	s_and_not1_b32 vcc_lo, exec_lo, s7
	s_cbranch_vccnz .LBB316_3413
; %bb.3404:
	s_wait_xcnt 0x0
	v_cndmask_b32_e64 v3, 0, 1.0, s1
	s_mov_b32 s7, exec_lo
                                        ; implicit-def: $vgpr1
	s_delay_alu instid0(VALU_DEP_1)
	v_cmpx_gt_u32_e32 0x47800000, v3
	s_xor_b32 s7, exec_lo, s7
	s_cbranch_execz .LBB316_3410
; %bb.3405:
	s_mov_b32 s11, exec_lo
                                        ; implicit-def: $vgpr1
	v_cmpx_lt_u32_e32 0x387fffff, v3
	s_xor_b32 s11, exec_lo, s11
; %bb.3406:
	v_bfe_u32 v1, v3, 21, 1
	s_delay_alu instid0(VALU_DEP_1) | instskip(NEXT) | instid1(VALU_DEP_1)
	v_add3_u32 v1, v3, v1, 0x80fffff
                                        ; implicit-def: $vgpr3
	v_lshrrev_b32_e32 v1, 21, v1
; %bb.3407:
	s_and_not1_saveexec_b32 s11, s11
; %bb.3408:
	v_add_f32_e32 v1, 0x43000000, v3
; %bb.3409:
	s_or_b32 exec_lo, exec_lo, s11
                                        ; implicit-def: $vgpr3
.LBB316_3410:
	s_and_not1_saveexec_b32 s7, s7
; %bb.3411:
	v_mov_b32_e32 v1, 0x7f
	v_cmp_lt_u32_e32 vcc_lo, 0x7f800000, v3
	s_delay_alu instid0(VALU_DEP_2)
	v_cndmask_b32_e32 v1, 0x7c, v1, vcc_lo
; %bb.3412:
	s_or_b32 exec_lo, exec_lo, s7
	global_store_b8 v[6:7], v1, off
.LBB316_3413:
	s_mov_b32 s7, 0
	s_mov_b32 s11, -1
.LBB316_3414:
	s_and_not1_b32 vcc_lo, exec_lo, s7
	s_mov_b32 s7, 0
	s_cbranch_vccnz .LBB316_3421
; %bb.3415:
	s_cmp_gt_i32 s6, 14
	s_mov_b32 s7, -1
	s_cbranch_scc0 .LBB316_3419
; %bb.3416:
	s_cmp_eq_u32 s6, 15
	s_mov_b32 s2, -1
	s_cbranch_scc0 .LBB316_3418
; %bb.3417:
	s_wait_xcnt 0x0
	v_cndmask_b32_e64 v1, 0, 1.0, s1
	s_mov_b32 s2, 0
	s_mov_b32 s11, -1
	s_delay_alu instid0(VALU_DEP_1) | instskip(NEXT) | instid1(VALU_DEP_1)
	v_bfe_u32 v3, v1, 16, 1
	v_add3_u32 v1, v1, v3, 0x7fff
	global_store_d16_hi_b16 v[6:7], v1, off
.LBB316_3418:
	s_mov_b32 s7, 0
.LBB316_3419:
	s_delay_alu instid0(SALU_CYCLE_1)
	s_and_b32 vcc_lo, exec_lo, s7
	s_mov_b32 s7, 0
	s_cbranch_vccz .LBB316_3421
; %bb.3420:
	s_cmp_lg_u32 s6, 11
	s_mov_b32 s7, -1
	s_cselect_b32 s2, -1, 0
.LBB316_3421:
	s_delay_alu instid0(SALU_CYCLE_1)
	s_and_b32 vcc_lo, exec_lo, s2
	s_cbranch_vccnz .LBB316_3825
; %bb.3422:
	s_and_not1_b32 vcc_lo, exec_lo, s7
	s_cbranch_vccnz .LBB316_3424
.LBB316_3423:
	s_wait_xcnt 0x0
	v_cndmask_b32_e64 v1, 0, 1, s1
	s_mov_b32 s11, -1
	global_store_b8 v[6:7], v1, off
.LBB316_3424:
.LBB316_3425:
	s_and_not1_b32 vcc_lo, exec_lo, s11
	s_cbranch_vccz .LBB316_3465
	s_branch .LBB316_3777
.LBB316_3426:
	s_and_b32 vcc_lo, exec_lo, s2
	s_cbranch_vccz .LBB316_3425
; %bb.3427:
	s_and_b32 s2, 0xffff, s3
	s_mov_b32 s6, -1
	s_cmp_lt_i32 s2, 5
	s_cbranch_scc1 .LBB316_3448
; %bb.3428:
	s_cmp_lt_i32 s2, 8
	s_cbranch_scc1 .LBB316_3438
; %bb.3429:
	;; [unrolled: 3-line block ×3, first 2 shown]
	s_cmp_gt_i32 s2, 9
	s_cbranch_scc0 .LBB316_3432
; %bb.3431:
	s_wait_xcnt 0x0
	v_cndmask_b32_e64 v1, 0, 1, s1
	v_mov_b32_e32 v22, 0
	s_mov_b32 s6, 0
	s_delay_alu instid0(VALU_DEP_2) | instskip(NEXT) | instid1(VALU_DEP_2)
	v_cvt_f64_u32_e32 v[20:21], v1
	v_mov_b32_e32 v23, v22
	global_store_b128 v[6:7], v[20:23], off
.LBB316_3432:
	s_and_not1_b32 vcc_lo, exec_lo, s6
	s_cbranch_vccnz .LBB316_3434
; %bb.3433:
	s_wait_xcnt 0x0
	v_cndmask_b32_e64 v8, 0, 1.0, s1
	v_mov_b32_e32 v9, 0
	global_store_b64 v[6:7], v[8:9], off
.LBB316_3434:
	s_mov_b32 s6, 0
.LBB316_3435:
	s_delay_alu instid0(SALU_CYCLE_1)
	s_and_not1_b32 vcc_lo, exec_lo, s6
	s_cbranch_vccnz .LBB316_3437
; %bb.3436:
	s_wait_xcnt 0x0
	v_cndmask_b32_e64 v1, 0, 1.0, s1
	s_delay_alu instid0(VALU_DEP_1) | instskip(NEXT) | instid1(VALU_DEP_1)
	v_cvt_f16_f32_e32 v1, v1
	v_and_b32_e32 v1, 0xffff, v1
	global_store_b32 v[6:7], v1, off
.LBB316_3437:
	s_mov_b32 s6, 0
.LBB316_3438:
	s_delay_alu instid0(SALU_CYCLE_1)
	s_and_not1_b32 vcc_lo, exec_lo, s6
	s_cbranch_vccnz .LBB316_3447
; %bb.3439:
	s_cmp_lt_i32 s2, 6
	s_mov_b32 s6, -1
	s_cbranch_scc1 .LBB316_3445
; %bb.3440:
	s_cmp_gt_i32 s2, 6
	s_cbranch_scc0 .LBB316_3442
; %bb.3441:
	s_wait_xcnt 0x0
	v_cndmask_b32_e64 v1, 0, 1, s1
	s_mov_b32 s6, 0
	s_delay_alu instid0(VALU_DEP_1)
	v_cvt_f64_u32_e32 v[8:9], v1
	global_store_b64 v[6:7], v[8:9], off
.LBB316_3442:
	s_and_not1_b32 vcc_lo, exec_lo, s6
	s_cbranch_vccnz .LBB316_3444
; %bb.3443:
	s_wait_xcnt 0x0
	v_cndmask_b32_e64 v1, 0, 1.0, s1
	global_store_b32 v[6:7], v1, off
.LBB316_3444:
	s_mov_b32 s6, 0
.LBB316_3445:
	s_delay_alu instid0(SALU_CYCLE_1)
	s_and_not1_b32 vcc_lo, exec_lo, s6
	s_cbranch_vccnz .LBB316_3447
; %bb.3446:
	s_wait_xcnt 0x0
	v_cndmask_b32_e64 v1, 0, 1.0, s1
	s_delay_alu instid0(VALU_DEP_1)
	v_cvt_f16_f32_e32 v1, v1
	global_store_b16 v[6:7], v1, off
.LBB316_3447:
	s_mov_b32 s6, 0
.LBB316_3448:
	s_delay_alu instid0(SALU_CYCLE_1)
	s_and_not1_b32 vcc_lo, exec_lo, s6
	s_cbranch_vccnz .LBB316_3464
; %bb.3449:
	s_cmp_lt_i32 s2, 2
	s_mov_b32 s6, -1
	s_cbranch_scc1 .LBB316_3459
; %bb.3450:
	s_cmp_lt_i32 s2, 3
	s_cbranch_scc1 .LBB316_3456
; %bb.3451:
	s_cmp_gt_i32 s2, 3
	s_cbranch_scc0 .LBB316_3453
; %bb.3452:
	s_mov_b32 s6, 0
	s_wait_xcnt 0x0
	v_cndmask_b32_e64 v8, 0, 1, s1
	v_mov_b32_e32 v9, s6
	global_store_b64 v[6:7], v[8:9], off
.LBB316_3453:
	s_and_not1_b32 vcc_lo, exec_lo, s6
	s_cbranch_vccnz .LBB316_3455
; %bb.3454:
	s_wait_xcnt 0x0
	v_cndmask_b32_e64 v1, 0, 1, s1
	global_store_b32 v[6:7], v1, off
.LBB316_3455:
	s_mov_b32 s6, 0
.LBB316_3456:
	s_delay_alu instid0(SALU_CYCLE_1)
	s_and_not1_b32 vcc_lo, exec_lo, s6
	s_cbranch_vccnz .LBB316_3458
; %bb.3457:
	s_wait_xcnt 0x0
	v_cndmask_b32_e64 v1, 0, 1, s1
	global_store_b16 v[6:7], v1, off
.LBB316_3458:
	s_mov_b32 s6, 0
.LBB316_3459:
	s_delay_alu instid0(SALU_CYCLE_1)
	s_and_not1_b32 vcc_lo, exec_lo, s6
	s_cbranch_vccnz .LBB316_3464
; %bb.3460:
	s_wait_xcnt 0x0
	v_cndmask_b32_e64 v1, 0, 1, s1
	s_cmp_gt_i32 s2, 0
	s_mov_b32 s1, -1
	s_cbranch_scc0 .LBB316_3462
; %bb.3461:
	s_mov_b32 s1, 0
	global_store_b8 v[6:7], v1, off
.LBB316_3462:
	s_and_not1_b32 vcc_lo, exec_lo, s1
	s_cbranch_vccnz .LBB316_3464
; %bb.3463:
	global_store_b8 v[6:7], v1, off
.LBB316_3464:
.LBB316_3465:
	s_wait_xcnt 0x0
	v_and_b32_e32 v1, 0xff, v5
	v_and_b32_e32 v3, 0xff, v18
	s_and_b32 s6, 0xffff, s3
	s_mov_b32 s11, 0
	s_cmp_lt_i32 s6, 11
	s_delay_alu instid0(VALU_DEP_1) | instskip(SKIP_2) | instid1(VALU_DEP_2)
	v_dual_lshlrev_b32 v5, 23, v1 :: v_dual_lshlrev_b32 v6, 23, v3
	v_cmp_ne_u16_e32 vcc_lo, 0xff, v1
	s_mov_b32 s2, -1
	v_cndmask_b32_e32 v5, 0x7f800001, v5, vcc_lo
	v_cmp_ne_u16_e32 vcc_lo, 0xff, v3
	v_cndmask_b32_e32 v6, 0x7f800001, v6, vcc_lo
	v_cmp_ne_u16_e32 vcc_lo, 0, v1
	s_delay_alu instid0(VALU_DEP_4) | instskip(SKIP_1) | instid1(VALU_DEP_4)
	v_cndmask_b32_e32 v1, 0x400000, v5, vcc_lo
	v_cmp_ne_u16_e32 vcc_lo, 0, v3
	v_cndmask_b32_e32 v3, 0x400000, v6, vcc_lo
	s_delay_alu instid0(VALU_DEP_1) | instskip(SKIP_3) | instid1(VALU_DEP_1)
	v_cmp_eq_f32_e32 vcc_lo, v1, v3
	v_cndmask_b32_e64 v5, 0, 1, vcc_lo
	v_cmp_neq_f32_e32 vcc_lo, v1, v3
	v_cndmask_b32_e64 v1, 0, 1, vcc_lo
	v_dual_cndmask_b32 v1, v1, v5, s0 :: v_dual_mov_b32 v5, 0
	s_delay_alu instid0(VALU_DEP_1) | instskip(NEXT) | instid1(VALU_DEP_2)
	v_and_b32_e32 v1, 1, v1
	v_add_nc_u64_e32 v[4:5], s[4:5], v[4:5]
	s_delay_alu instid0(VALU_DEP_2)
	v_cmp_eq_u32_e64 s1, 1, v1
	s_cbranch_scc1 .LBB316_3544
; %bb.3466:
	s_mov_b32 s12, -1
	s_mov_b32 s7, 0
	s_cmp_gt_i32 s6, 25
	s_mov_b32 s2, 0
	s_cbranch_scc0 .LBB316_3499
; %bb.3467:
	s_cmp_gt_i32 s6, 28
	s_cbranch_scc0 .LBB316_3482
; %bb.3468:
	s_cmp_gt_i32 s6, 43
	;; [unrolled: 3-line block ×3, first 2 shown]
	s_cbranch_scc0 .LBB316_3472
; %bb.3470:
	s_mov_b32 s2, -1
	s_mov_b32 s12, 0
	s_cmp_eq_u32 s6, 46
	s_cbranch_scc0 .LBB316_3472
; %bb.3471:
	v_cndmask_b32_e64 v1, 0, 1.0, s1
	s_mov_b32 s2, 0
	s_mov_b32 s11, -1
	s_delay_alu instid0(VALU_DEP_1) | instskip(NEXT) | instid1(VALU_DEP_1)
	v_bfe_u32 v3, v1, 16, 1
	v_add3_u32 v1, v1, v3, 0x7fff
	s_delay_alu instid0(VALU_DEP_1)
	v_lshrrev_b32_e32 v1, 16, v1
	global_store_b32 v[4:5], v1, off
.LBB316_3472:
	s_and_b32 vcc_lo, exec_lo, s12
	s_cbranch_vccz .LBB316_3477
; %bb.3473:
	s_cmp_eq_u32 s6, 44
	s_mov_b32 s2, -1
	s_cbranch_scc0 .LBB316_3477
; %bb.3474:
	v_cndmask_b32_e64 v6, 0, 1.0, s1
	v_mov_b32_e32 v3, 0xff
	s_mov_b32 s11, exec_lo
	s_wait_xcnt 0x0
	s_delay_alu instid0(VALU_DEP_2) | instskip(NEXT) | instid1(VALU_DEP_1)
	v_lshrrev_b32_e32 v1, 23, v6
	v_cmpx_ne_u32_e32 0xff, v1
; %bb.3475:
	v_and_b32_e32 v3, 0x400000, v6
	v_and_or_b32 v6, 0x3fffff, v6, v1
	s_delay_alu instid0(VALU_DEP_2) | instskip(NEXT) | instid1(VALU_DEP_2)
	v_cmp_ne_u32_e32 vcc_lo, 0, v3
	v_cmp_ne_u32_e64 s2, 0, v6
	s_and_b32 s2, vcc_lo, s2
	s_delay_alu instid0(SALU_CYCLE_1) | instskip(NEXT) | instid1(VALU_DEP_1)
	v_cndmask_b32_e64 v3, 0, 1, s2
	v_add_nc_u32_e32 v3, v1, v3
; %bb.3476:
	s_or_b32 exec_lo, exec_lo, s11
	s_mov_b32 s2, 0
	s_mov_b32 s11, -1
	global_store_b8 v[4:5], v3, off
.LBB316_3477:
	s_mov_b32 s12, 0
.LBB316_3478:
	s_delay_alu instid0(SALU_CYCLE_1)
	s_and_b32 vcc_lo, exec_lo, s12
	s_cbranch_vccz .LBB316_3481
; %bb.3479:
	s_cmp_eq_u32 s6, 29
	s_mov_b32 s2, -1
	s_cbranch_scc0 .LBB316_3481
; %bb.3480:
	s_mov_b32 s2, 0
	v_cndmask_b32_e64 v6, 0, 1, s1
	v_mov_b32_e32 v7, s2
	s_mov_b32 s11, -1
	global_store_b64 v[4:5], v[6:7], off
.LBB316_3481:
	s_mov_b32 s12, 0
.LBB316_3482:
	s_delay_alu instid0(SALU_CYCLE_1)
	s_and_b32 vcc_lo, exec_lo, s12
	s_cbranch_vccz .LBB316_3498
; %bb.3483:
	s_cmp_lt_i32 s6, 27
	s_mov_b32 s11, -1
	s_cbranch_scc1 .LBB316_3489
; %bb.3484:
	s_cmp_gt_i32 s6, 27
	s_cbranch_scc0 .LBB316_3486
; %bb.3485:
	s_wait_xcnt 0x0
	v_cndmask_b32_e64 v1, 0, 1, s1
	s_mov_b32 s11, 0
	global_store_b32 v[4:5], v1, off
.LBB316_3486:
	s_and_not1_b32 vcc_lo, exec_lo, s11
	s_cbranch_vccnz .LBB316_3488
; %bb.3487:
	s_wait_xcnt 0x0
	v_cndmask_b32_e64 v1, 0, 1, s1
	global_store_b16 v[4:5], v1, off
.LBB316_3488:
	s_mov_b32 s11, 0
.LBB316_3489:
	s_delay_alu instid0(SALU_CYCLE_1)
	s_and_not1_b32 vcc_lo, exec_lo, s11
	s_cbranch_vccnz .LBB316_3497
; %bb.3490:
	s_wait_xcnt 0x0
	v_cndmask_b32_e64 v3, 0, 1.0, s1
	v_mov_b32_e32 v6, 0x80
	s_mov_b32 s11, exec_lo
	s_delay_alu instid0(VALU_DEP_2)
	v_cmpx_gt_u32_e32 0x43800000, v3
	s_cbranch_execz .LBB316_3496
; %bb.3491:
	s_mov_b32 s12, 0
	s_mov_b32 s13, exec_lo
                                        ; implicit-def: $vgpr1
	v_cmpx_lt_u32_e32 0x3bffffff, v3
	s_xor_b32 s13, exec_lo, s13
	s_cbranch_execz .LBB316_3828
; %bb.3492:
	v_bfe_u32 v1, v3, 20, 1
	s_mov_b32 s12, exec_lo
	s_delay_alu instid0(VALU_DEP_1) | instskip(NEXT) | instid1(VALU_DEP_1)
	v_add3_u32 v1, v3, v1, 0x487ffff
                                        ; implicit-def: $vgpr3
	v_lshrrev_b32_e32 v1, 20, v1
	s_and_not1_saveexec_b32 s13, s13
	s_cbranch_execnz .LBB316_3829
.LBB316_3493:
	s_or_b32 exec_lo, exec_lo, s13
	v_mov_b32_e32 v6, 0
	s_and_saveexec_b32 s13, s12
.LBB316_3494:
	v_mov_b32_e32 v6, v1
.LBB316_3495:
	s_or_b32 exec_lo, exec_lo, s13
.LBB316_3496:
	s_delay_alu instid0(SALU_CYCLE_1)
	s_or_b32 exec_lo, exec_lo, s11
	global_store_b8 v[4:5], v6, off
.LBB316_3497:
	s_mov_b32 s11, -1
.LBB316_3498:
	s_mov_b32 s12, 0
.LBB316_3499:
	s_delay_alu instid0(SALU_CYCLE_1)
	s_and_b32 vcc_lo, exec_lo, s12
	s_cbranch_vccz .LBB316_3539
; %bb.3500:
	s_cmp_gt_i32 s6, 22
	s_mov_b32 s7, -1
	s_cbranch_scc0 .LBB316_3532
; %bb.3501:
	s_cmp_lt_i32 s6, 24
	s_cbranch_scc1 .LBB316_3521
; %bb.3502:
	s_cmp_gt_i32 s6, 24
	s_cbranch_scc0 .LBB316_3510
; %bb.3503:
	s_wait_xcnt 0x0
	v_cndmask_b32_e64 v3, 0, 1.0, s1
	v_mov_b32_e32 v6, 0x80
	s_mov_b32 s7, exec_lo
	s_delay_alu instid0(VALU_DEP_2)
	v_cmpx_gt_u32_e32 0x47800000, v3
	s_cbranch_execz .LBB316_3509
; %bb.3504:
	s_mov_b32 s11, 0
	s_mov_b32 s12, exec_lo
                                        ; implicit-def: $vgpr1
	v_cmpx_lt_u32_e32 0x37ffffff, v3
	s_xor_b32 s12, exec_lo, s12
	s_cbranch_execz .LBB316_3831
; %bb.3505:
	v_bfe_u32 v1, v3, 21, 1
	s_mov_b32 s11, exec_lo
	s_delay_alu instid0(VALU_DEP_1) | instskip(NEXT) | instid1(VALU_DEP_1)
	v_add3_u32 v1, v3, v1, 0x88fffff
                                        ; implicit-def: $vgpr3
	v_lshrrev_b32_e32 v1, 21, v1
	s_and_not1_saveexec_b32 s12, s12
	s_cbranch_execnz .LBB316_3832
.LBB316_3506:
	s_or_b32 exec_lo, exec_lo, s12
	v_mov_b32_e32 v6, 0
	s_and_saveexec_b32 s12, s11
.LBB316_3507:
	v_mov_b32_e32 v6, v1
.LBB316_3508:
	s_or_b32 exec_lo, exec_lo, s12
.LBB316_3509:
	s_delay_alu instid0(SALU_CYCLE_1)
	s_or_b32 exec_lo, exec_lo, s7
	s_mov_b32 s7, 0
	global_store_b8 v[4:5], v6, off
.LBB316_3510:
	s_and_b32 vcc_lo, exec_lo, s7
	s_cbranch_vccz .LBB316_3520
; %bb.3511:
	s_wait_xcnt 0x0
	v_cndmask_b32_e64 v3, 0, 1.0, s1
	s_mov_b32 s7, exec_lo
                                        ; implicit-def: $vgpr1
	s_delay_alu instid0(VALU_DEP_1)
	v_cmpx_gt_u32_e32 0x43f00000, v3
	s_xor_b32 s7, exec_lo, s7
	s_cbranch_execz .LBB316_3517
; %bb.3512:
	s_mov_b32 s11, exec_lo
                                        ; implicit-def: $vgpr1
	v_cmpx_lt_u32_e32 0x3c7fffff, v3
	s_xor_b32 s11, exec_lo, s11
; %bb.3513:
	v_bfe_u32 v1, v3, 20, 1
	s_delay_alu instid0(VALU_DEP_1) | instskip(NEXT) | instid1(VALU_DEP_1)
	v_add3_u32 v1, v3, v1, 0x407ffff
	v_and_b32_e32 v3, 0xff00000, v1
	v_lshrrev_b32_e32 v1, 20, v1
	s_delay_alu instid0(VALU_DEP_2) | instskip(NEXT) | instid1(VALU_DEP_2)
	v_cmp_ne_u32_e32 vcc_lo, 0x7f00000, v3
                                        ; implicit-def: $vgpr3
	v_cndmask_b32_e32 v1, 0x7e, v1, vcc_lo
; %bb.3514:
	s_and_not1_saveexec_b32 s11, s11
; %bb.3515:
	v_add_f32_e32 v1, 0x46800000, v3
; %bb.3516:
	s_or_b32 exec_lo, exec_lo, s11
                                        ; implicit-def: $vgpr3
.LBB316_3517:
	s_and_not1_saveexec_b32 s7, s7
; %bb.3518:
	v_mov_b32_e32 v1, 0x7f
	v_cmp_lt_u32_e32 vcc_lo, 0x7f800000, v3
	s_delay_alu instid0(VALU_DEP_2)
	v_cndmask_b32_e32 v1, 0x7e, v1, vcc_lo
; %bb.3519:
	s_or_b32 exec_lo, exec_lo, s7
	global_store_b8 v[4:5], v1, off
.LBB316_3520:
	s_mov_b32 s7, 0
.LBB316_3521:
	s_delay_alu instid0(SALU_CYCLE_1)
	s_and_not1_b32 vcc_lo, exec_lo, s7
	s_cbranch_vccnz .LBB316_3531
; %bb.3522:
	s_wait_xcnt 0x0
	v_cndmask_b32_e64 v3, 0, 1.0, s1
	s_mov_b32 s7, exec_lo
                                        ; implicit-def: $vgpr1
	s_delay_alu instid0(VALU_DEP_1)
	v_cmpx_gt_u32_e32 0x47800000, v3
	s_xor_b32 s7, exec_lo, s7
	s_cbranch_execz .LBB316_3528
; %bb.3523:
	s_mov_b32 s11, exec_lo
                                        ; implicit-def: $vgpr1
	v_cmpx_lt_u32_e32 0x387fffff, v3
	s_xor_b32 s11, exec_lo, s11
; %bb.3524:
	v_bfe_u32 v1, v3, 21, 1
	s_delay_alu instid0(VALU_DEP_1) | instskip(NEXT) | instid1(VALU_DEP_1)
	v_add3_u32 v1, v3, v1, 0x80fffff
                                        ; implicit-def: $vgpr3
	v_lshrrev_b32_e32 v1, 21, v1
; %bb.3525:
	s_and_not1_saveexec_b32 s11, s11
; %bb.3526:
	v_add_f32_e32 v1, 0x43000000, v3
; %bb.3527:
	s_or_b32 exec_lo, exec_lo, s11
                                        ; implicit-def: $vgpr3
.LBB316_3528:
	s_and_not1_saveexec_b32 s7, s7
; %bb.3529:
	v_mov_b32_e32 v1, 0x7f
	v_cmp_lt_u32_e32 vcc_lo, 0x7f800000, v3
	s_delay_alu instid0(VALU_DEP_2)
	v_cndmask_b32_e32 v1, 0x7c, v1, vcc_lo
; %bb.3530:
	s_or_b32 exec_lo, exec_lo, s7
	global_store_b8 v[4:5], v1, off
.LBB316_3531:
	s_mov_b32 s7, 0
	s_mov_b32 s11, -1
.LBB316_3532:
	s_and_not1_b32 vcc_lo, exec_lo, s7
	s_mov_b32 s7, 0
	s_cbranch_vccnz .LBB316_3539
; %bb.3533:
	s_cmp_gt_i32 s6, 14
	s_mov_b32 s7, -1
	s_cbranch_scc0 .LBB316_3537
; %bb.3534:
	s_cmp_eq_u32 s6, 15
	s_mov_b32 s2, -1
	s_cbranch_scc0 .LBB316_3536
; %bb.3535:
	s_wait_xcnt 0x0
	v_cndmask_b32_e64 v1, 0, 1.0, s1
	s_mov_b32 s2, 0
	s_mov_b32 s11, -1
	s_delay_alu instid0(VALU_DEP_1) | instskip(NEXT) | instid1(VALU_DEP_1)
	v_bfe_u32 v3, v1, 16, 1
	v_add3_u32 v1, v1, v3, 0x7fff
	global_store_d16_hi_b16 v[4:5], v1, off
.LBB316_3536:
	s_mov_b32 s7, 0
.LBB316_3537:
	s_delay_alu instid0(SALU_CYCLE_1)
	s_and_b32 vcc_lo, exec_lo, s7
	s_mov_b32 s7, 0
	s_cbranch_vccz .LBB316_3539
; %bb.3538:
	s_cmp_lg_u32 s6, 11
	s_mov_b32 s7, -1
	s_cselect_b32 s2, -1, 0
.LBB316_3539:
	s_delay_alu instid0(SALU_CYCLE_1)
	s_and_b32 vcc_lo, exec_lo, s2
	s_cbranch_vccnz .LBB316_3830
; %bb.3540:
	s_and_not1_b32 vcc_lo, exec_lo, s7
	s_cbranch_vccnz .LBB316_3542
.LBB316_3541:
	s_wait_xcnt 0x0
	v_cndmask_b32_e64 v1, 0, 1, s1
	s_mov_b32 s11, -1
	global_store_b8 v[4:5], v1, off
.LBB316_3542:
.LBB316_3543:
	s_and_not1_b32 vcc_lo, exec_lo, s11
	s_cbranch_vccz .LBB316_3583
	s_branch .LBB316_3777
.LBB316_3544:
	s_and_b32 vcc_lo, exec_lo, s2
	s_cbranch_vccz .LBB316_3543
; %bb.3545:
	s_cmp_lt_i32 s6, 5
	s_mov_b32 s2, -1
	s_cbranch_scc1 .LBB316_3566
; %bb.3546:
	s_cmp_lt_i32 s6, 8
	s_cbranch_scc1 .LBB316_3556
; %bb.3547:
	s_cmp_lt_i32 s6, 9
	s_cbranch_scc1 .LBB316_3553
; %bb.3548:
	s_cmp_gt_i32 s6, 9
	s_cbranch_scc0 .LBB316_3550
; %bb.3549:
	s_wait_xcnt 0x0
	v_cndmask_b32_e64 v1, 0, 1, s1
	v_mov_b32_e32 v8, 0
	s_mov_b32 s2, 0
	s_delay_alu instid0(VALU_DEP_2) | instskip(NEXT) | instid1(VALU_DEP_2)
	v_cvt_f64_u32_e32 v[6:7], v1
	v_mov_b32_e32 v9, v8
	global_store_b128 v[4:5], v[6:9], off
.LBB316_3550:
	s_and_not1_b32 vcc_lo, exec_lo, s2
	s_cbranch_vccnz .LBB316_3552
; %bb.3551:
	s_wait_xcnt 0x0
	v_cndmask_b32_e64 v6, 0, 1.0, s1
	v_mov_b32_e32 v7, 0
	global_store_b64 v[4:5], v[6:7], off
.LBB316_3552:
	s_mov_b32 s2, 0
.LBB316_3553:
	s_delay_alu instid0(SALU_CYCLE_1)
	s_and_not1_b32 vcc_lo, exec_lo, s2
	s_cbranch_vccnz .LBB316_3555
; %bb.3554:
	s_wait_xcnt 0x0
	v_cndmask_b32_e64 v1, 0, 1.0, s1
	s_delay_alu instid0(VALU_DEP_1) | instskip(NEXT) | instid1(VALU_DEP_1)
	v_cvt_f16_f32_e32 v1, v1
	v_and_b32_e32 v1, 0xffff, v1
	global_store_b32 v[4:5], v1, off
.LBB316_3555:
	s_mov_b32 s2, 0
.LBB316_3556:
	s_delay_alu instid0(SALU_CYCLE_1)
	s_and_not1_b32 vcc_lo, exec_lo, s2
	s_cbranch_vccnz .LBB316_3565
; %bb.3557:
	s_cmp_lt_i32 s6, 6
	s_mov_b32 s2, -1
	s_cbranch_scc1 .LBB316_3563
; %bb.3558:
	s_cmp_gt_i32 s6, 6
	s_cbranch_scc0 .LBB316_3560
; %bb.3559:
	s_wait_xcnt 0x0
	v_cndmask_b32_e64 v1, 0, 1, s1
	s_mov_b32 s2, 0
	s_delay_alu instid0(VALU_DEP_1)
	v_cvt_f64_u32_e32 v[6:7], v1
	global_store_b64 v[4:5], v[6:7], off
.LBB316_3560:
	s_and_not1_b32 vcc_lo, exec_lo, s2
	s_cbranch_vccnz .LBB316_3562
; %bb.3561:
	s_wait_xcnt 0x0
	v_cndmask_b32_e64 v1, 0, 1.0, s1
	global_store_b32 v[4:5], v1, off
.LBB316_3562:
	s_mov_b32 s2, 0
.LBB316_3563:
	s_delay_alu instid0(SALU_CYCLE_1)
	s_and_not1_b32 vcc_lo, exec_lo, s2
	s_cbranch_vccnz .LBB316_3565
; %bb.3564:
	s_wait_xcnt 0x0
	v_cndmask_b32_e64 v1, 0, 1.0, s1
	s_delay_alu instid0(VALU_DEP_1)
	v_cvt_f16_f32_e32 v1, v1
	global_store_b16 v[4:5], v1, off
.LBB316_3565:
	s_mov_b32 s2, 0
.LBB316_3566:
	s_delay_alu instid0(SALU_CYCLE_1)
	s_and_not1_b32 vcc_lo, exec_lo, s2
	s_cbranch_vccnz .LBB316_3582
; %bb.3567:
	s_cmp_lt_i32 s6, 2
	s_mov_b32 s2, -1
	s_cbranch_scc1 .LBB316_3577
; %bb.3568:
	s_cmp_lt_i32 s6, 3
	s_cbranch_scc1 .LBB316_3574
; %bb.3569:
	s_cmp_gt_i32 s6, 3
	s_cbranch_scc0 .LBB316_3571
; %bb.3570:
	s_mov_b32 s2, 0
	s_wait_xcnt 0x0
	v_cndmask_b32_e64 v6, 0, 1, s1
	v_mov_b32_e32 v7, s2
	global_store_b64 v[4:5], v[6:7], off
.LBB316_3571:
	s_and_not1_b32 vcc_lo, exec_lo, s2
	s_cbranch_vccnz .LBB316_3573
; %bb.3572:
	s_wait_xcnt 0x0
	v_cndmask_b32_e64 v1, 0, 1, s1
	global_store_b32 v[4:5], v1, off
.LBB316_3573:
	s_mov_b32 s2, 0
.LBB316_3574:
	s_delay_alu instid0(SALU_CYCLE_1)
	s_and_not1_b32 vcc_lo, exec_lo, s2
	s_cbranch_vccnz .LBB316_3576
; %bb.3575:
	s_wait_xcnt 0x0
	v_cndmask_b32_e64 v1, 0, 1, s1
	global_store_b16 v[4:5], v1, off
.LBB316_3576:
	s_mov_b32 s2, 0
.LBB316_3577:
	s_delay_alu instid0(SALU_CYCLE_1)
	s_and_not1_b32 vcc_lo, exec_lo, s2
	s_cbranch_vccnz .LBB316_3582
; %bb.3578:
	s_wait_xcnt 0x0
	v_cndmask_b32_e64 v1, 0, 1, s1
	s_cmp_gt_i32 s6, 0
	s_mov_b32 s1, -1
	s_cbranch_scc0 .LBB316_3580
; %bb.3579:
	s_mov_b32 s1, 0
	global_store_b8 v[4:5], v1, off
.LBB316_3580:
	s_and_not1_b32 vcc_lo, exec_lo, s1
	s_cbranch_vccnz .LBB316_3582
; %bb.3581:
	global_store_b8 v[4:5], v1, off
.LBB316_3582:
.LBB316_3583:
	s_wait_xcnt 0x0
	v_and_b32_e32 v1, 0xff, v16
	v_and_b32_e32 v3, 0xff, v14
	s_mov_b32 s11, 0
	s_cmp_lt_i32 s6, 11
	s_mov_b32 s2, -1
	s_delay_alu instid0(VALU_DEP_1) | instskip(SKIP_1) | instid1(VALU_DEP_2)
	v_dual_lshlrev_b32 v4, 23, v1 :: v_dual_lshlrev_b32 v5, 23, v3
	v_cmp_ne_u16_e32 vcc_lo, 0xff, v1
	v_cndmask_b32_e32 v4, 0x7f800001, v4, vcc_lo
	v_cmp_ne_u16_e32 vcc_lo, 0xff, v3
	s_delay_alu instid0(VALU_DEP_4) | instskip(SKIP_1) | instid1(VALU_DEP_4)
	v_cndmask_b32_e32 v5, 0x7f800001, v5, vcc_lo
	v_cmp_ne_u16_e32 vcc_lo, 0, v1
	v_cndmask_b32_e32 v1, 0x400000, v4, vcc_lo
	v_cmp_ne_u16_e32 vcc_lo, 0, v3
	s_delay_alu instid0(VALU_DEP_4) | instskip(NEXT) | instid1(VALU_DEP_1)
	v_cndmask_b32_e32 v3, 0x400000, v5, vcc_lo
	v_cmp_eq_f32_e32 vcc_lo, v1, v3
	v_cndmask_b32_e64 v4, 0, 1, vcc_lo
	v_cmp_neq_f32_e32 vcc_lo, v1, v3
	v_mov_b32_e32 v3, 0
	v_cndmask_b32_e64 v1, 0, 1, vcc_lo
	s_delay_alu instid0(VALU_DEP_2) | instskip(NEXT) | instid1(VALU_DEP_2)
	v_add_nc_u64_e32 v[2:3], s[4:5], v[2:3]
	v_cndmask_b32_e64 v1, v1, v4, s0
	s_delay_alu instid0(VALU_DEP_1) | instskip(NEXT) | instid1(VALU_DEP_1)
	v_and_b32_e32 v1, 1, v1
	v_cmp_eq_u32_e64 s1, 1, v1
	s_cbranch_scc1 .LBB316_3738
; %bb.3584:
	s_mov_b32 s12, -1
	s_mov_b32 s7, 0
	s_cmp_gt_i32 s6, 25
	s_mov_b32 s2, 0
	s_cbranch_scc0 .LBB316_3617
; %bb.3585:
	s_cmp_gt_i32 s6, 28
	s_cbranch_scc0 .LBB316_3600
; %bb.3586:
	s_cmp_gt_i32 s6, 43
	;; [unrolled: 3-line block ×3, first 2 shown]
	s_cbranch_scc0 .LBB316_3590
; %bb.3588:
	s_mov_b32 s2, -1
	s_mov_b32 s12, 0
	s_cmp_eq_u32 s6, 46
	s_cbranch_scc0 .LBB316_3590
; %bb.3589:
	v_cndmask_b32_e64 v1, 0, 1.0, s1
	s_mov_b32 s2, 0
	s_mov_b32 s11, -1
	s_delay_alu instid0(VALU_DEP_1) | instskip(NEXT) | instid1(VALU_DEP_1)
	v_bfe_u32 v4, v1, 16, 1
	v_add3_u32 v1, v1, v4, 0x7fff
	s_delay_alu instid0(VALU_DEP_1)
	v_lshrrev_b32_e32 v1, 16, v1
	global_store_b32 v[2:3], v1, off
.LBB316_3590:
	s_and_b32 vcc_lo, exec_lo, s12
	s_cbranch_vccz .LBB316_3595
; %bb.3591:
	s_cmp_eq_u32 s6, 44
	s_mov_b32 s2, -1
	s_cbranch_scc0 .LBB316_3595
; %bb.3592:
	v_cndmask_b32_e64 v5, 0, 1.0, s1
	s_mov_b32 s11, exec_lo
	s_wait_xcnt 0x0
	s_delay_alu instid0(VALU_DEP_1) | instskip(NEXT) | instid1(VALU_DEP_1)
	v_dual_mov_b32 v4, 0xff :: v_dual_lshrrev_b32 v1, 23, v5
	v_cmpx_ne_u32_e32 0xff, v1
; %bb.3593:
	v_and_b32_e32 v4, 0x400000, v5
	v_and_or_b32 v5, 0x3fffff, v5, v1
	s_delay_alu instid0(VALU_DEP_2) | instskip(NEXT) | instid1(VALU_DEP_2)
	v_cmp_ne_u32_e32 vcc_lo, 0, v4
	v_cmp_ne_u32_e64 s2, 0, v5
	s_and_b32 s2, vcc_lo, s2
	s_delay_alu instid0(SALU_CYCLE_1) | instskip(NEXT) | instid1(VALU_DEP_1)
	v_cndmask_b32_e64 v4, 0, 1, s2
	v_add_nc_u32_e32 v4, v1, v4
; %bb.3594:
	s_or_b32 exec_lo, exec_lo, s11
	s_mov_b32 s2, 0
	s_mov_b32 s11, -1
	global_store_b8 v[2:3], v4, off
.LBB316_3595:
	s_mov_b32 s12, 0
.LBB316_3596:
	s_delay_alu instid0(SALU_CYCLE_1)
	s_and_b32 vcc_lo, exec_lo, s12
	s_cbranch_vccz .LBB316_3599
; %bb.3597:
	s_cmp_eq_u32 s6, 29
	s_mov_b32 s2, -1
	s_cbranch_scc0 .LBB316_3599
; %bb.3598:
	s_mov_b32 s2, 0
	s_wait_xcnt 0x0
	v_cndmask_b32_e64 v4, 0, 1, s1
	v_mov_b32_e32 v5, s2
	s_mov_b32 s11, -1
	global_store_b64 v[2:3], v[4:5], off
.LBB316_3599:
	s_mov_b32 s12, 0
.LBB316_3600:
	s_delay_alu instid0(SALU_CYCLE_1)
	s_and_b32 vcc_lo, exec_lo, s12
	s_cbranch_vccz .LBB316_3616
; %bb.3601:
	s_cmp_lt_i32 s6, 27
	s_mov_b32 s11, -1
	s_cbranch_scc1 .LBB316_3607
; %bb.3602:
	s_cmp_gt_i32 s6, 27
	s_cbranch_scc0 .LBB316_3604
; %bb.3603:
	s_wait_xcnt 0x0
	v_cndmask_b32_e64 v1, 0, 1, s1
	s_mov_b32 s11, 0
	global_store_b32 v[2:3], v1, off
.LBB316_3604:
	s_and_not1_b32 vcc_lo, exec_lo, s11
	s_cbranch_vccnz .LBB316_3606
; %bb.3605:
	s_wait_xcnt 0x0
	v_cndmask_b32_e64 v1, 0, 1, s1
	global_store_b16 v[2:3], v1, off
.LBB316_3606:
	s_mov_b32 s11, 0
.LBB316_3607:
	s_delay_alu instid0(SALU_CYCLE_1)
	s_and_not1_b32 vcc_lo, exec_lo, s11
	s_cbranch_vccnz .LBB316_3615
; %bb.3608:
	s_wait_xcnt 0x0
	v_cndmask_b32_e64 v4, 0, 1.0, s1
	v_mov_b32_e32 v5, 0x80
	s_mov_b32 s11, exec_lo
	s_delay_alu instid0(VALU_DEP_2)
	v_cmpx_gt_u32_e32 0x43800000, v4
	s_cbranch_execz .LBB316_3614
; %bb.3609:
	s_mov_b32 s12, 0
	s_mov_b32 s13, exec_lo
                                        ; implicit-def: $vgpr1
	v_cmpx_lt_u32_e32 0x3bffffff, v4
	s_xor_b32 s13, exec_lo, s13
	s_cbranch_execz .LBB316_3833
; %bb.3610:
	v_bfe_u32 v1, v4, 20, 1
	s_mov_b32 s12, exec_lo
	s_delay_alu instid0(VALU_DEP_1) | instskip(NEXT) | instid1(VALU_DEP_1)
	v_add3_u32 v1, v4, v1, 0x487ffff
                                        ; implicit-def: $vgpr4
	v_lshrrev_b32_e32 v1, 20, v1
	s_and_not1_saveexec_b32 s13, s13
	s_cbranch_execnz .LBB316_3834
.LBB316_3611:
	s_or_b32 exec_lo, exec_lo, s13
	v_mov_b32_e32 v5, 0
	s_and_saveexec_b32 s13, s12
.LBB316_3612:
	v_mov_b32_e32 v5, v1
.LBB316_3613:
	s_or_b32 exec_lo, exec_lo, s13
.LBB316_3614:
	s_delay_alu instid0(SALU_CYCLE_1)
	s_or_b32 exec_lo, exec_lo, s11
	global_store_b8 v[2:3], v5, off
.LBB316_3615:
	s_mov_b32 s11, -1
.LBB316_3616:
	s_mov_b32 s12, 0
.LBB316_3617:
	s_delay_alu instid0(SALU_CYCLE_1)
	s_and_b32 vcc_lo, exec_lo, s12
	s_cbranch_vccz .LBB316_3657
; %bb.3618:
	s_cmp_gt_i32 s6, 22
	s_mov_b32 s7, -1
	s_cbranch_scc0 .LBB316_3650
; %bb.3619:
	s_cmp_lt_i32 s6, 24
	s_cbranch_scc1 .LBB316_3639
; %bb.3620:
	s_cmp_gt_i32 s6, 24
	s_cbranch_scc0 .LBB316_3628
; %bb.3621:
	s_wait_xcnt 0x0
	v_cndmask_b32_e64 v4, 0, 1.0, s1
	v_mov_b32_e32 v5, 0x80
	s_mov_b32 s7, exec_lo
	s_delay_alu instid0(VALU_DEP_2)
	v_cmpx_gt_u32_e32 0x47800000, v4
	s_cbranch_execz .LBB316_3627
; %bb.3622:
	s_mov_b32 s11, 0
	s_mov_b32 s12, exec_lo
                                        ; implicit-def: $vgpr1
	v_cmpx_lt_u32_e32 0x37ffffff, v4
	s_xor_b32 s12, exec_lo, s12
	s_cbranch_execz .LBB316_3836
; %bb.3623:
	v_bfe_u32 v1, v4, 21, 1
	s_mov_b32 s11, exec_lo
	s_delay_alu instid0(VALU_DEP_1) | instskip(NEXT) | instid1(VALU_DEP_1)
	v_add3_u32 v1, v4, v1, 0x88fffff
                                        ; implicit-def: $vgpr4
	v_lshrrev_b32_e32 v1, 21, v1
	s_and_not1_saveexec_b32 s12, s12
	s_cbranch_execnz .LBB316_3837
.LBB316_3624:
	s_or_b32 exec_lo, exec_lo, s12
	v_mov_b32_e32 v5, 0
	s_and_saveexec_b32 s12, s11
.LBB316_3625:
	v_mov_b32_e32 v5, v1
.LBB316_3626:
	s_or_b32 exec_lo, exec_lo, s12
.LBB316_3627:
	s_delay_alu instid0(SALU_CYCLE_1)
	s_or_b32 exec_lo, exec_lo, s7
	s_mov_b32 s7, 0
	global_store_b8 v[2:3], v5, off
.LBB316_3628:
	s_and_b32 vcc_lo, exec_lo, s7
	s_cbranch_vccz .LBB316_3638
; %bb.3629:
	s_wait_xcnt 0x0
	v_cndmask_b32_e64 v4, 0, 1.0, s1
	s_mov_b32 s7, exec_lo
                                        ; implicit-def: $vgpr1
	s_delay_alu instid0(VALU_DEP_1)
	v_cmpx_gt_u32_e32 0x43f00000, v4
	s_xor_b32 s7, exec_lo, s7
	s_cbranch_execz .LBB316_3635
; %bb.3630:
	s_mov_b32 s11, exec_lo
                                        ; implicit-def: $vgpr1
	v_cmpx_lt_u32_e32 0x3c7fffff, v4
	s_xor_b32 s11, exec_lo, s11
; %bb.3631:
	v_bfe_u32 v1, v4, 20, 1
	s_delay_alu instid0(VALU_DEP_1) | instskip(NEXT) | instid1(VALU_DEP_1)
	v_add3_u32 v1, v4, v1, 0x407ffff
	v_and_b32_e32 v4, 0xff00000, v1
	v_lshrrev_b32_e32 v1, 20, v1
	s_delay_alu instid0(VALU_DEP_2) | instskip(NEXT) | instid1(VALU_DEP_2)
	v_cmp_ne_u32_e32 vcc_lo, 0x7f00000, v4
                                        ; implicit-def: $vgpr4
	v_cndmask_b32_e32 v1, 0x7e, v1, vcc_lo
; %bb.3632:
	s_and_not1_saveexec_b32 s11, s11
; %bb.3633:
	v_add_f32_e32 v1, 0x46800000, v4
; %bb.3634:
	s_or_b32 exec_lo, exec_lo, s11
                                        ; implicit-def: $vgpr4
.LBB316_3635:
	s_and_not1_saveexec_b32 s7, s7
; %bb.3636:
	v_mov_b32_e32 v1, 0x7f
	v_cmp_lt_u32_e32 vcc_lo, 0x7f800000, v4
	s_delay_alu instid0(VALU_DEP_2)
	v_cndmask_b32_e32 v1, 0x7e, v1, vcc_lo
; %bb.3637:
	s_or_b32 exec_lo, exec_lo, s7
	global_store_b8 v[2:3], v1, off
.LBB316_3638:
	s_mov_b32 s7, 0
.LBB316_3639:
	s_delay_alu instid0(SALU_CYCLE_1)
	s_and_not1_b32 vcc_lo, exec_lo, s7
	s_cbranch_vccnz .LBB316_3649
; %bb.3640:
	s_wait_xcnt 0x0
	v_cndmask_b32_e64 v4, 0, 1.0, s1
	s_mov_b32 s7, exec_lo
                                        ; implicit-def: $vgpr1
	s_delay_alu instid0(VALU_DEP_1)
	v_cmpx_gt_u32_e32 0x47800000, v4
	s_xor_b32 s7, exec_lo, s7
	s_cbranch_execz .LBB316_3646
; %bb.3641:
	s_mov_b32 s11, exec_lo
                                        ; implicit-def: $vgpr1
	v_cmpx_lt_u32_e32 0x387fffff, v4
	s_xor_b32 s11, exec_lo, s11
; %bb.3642:
	v_bfe_u32 v1, v4, 21, 1
	s_delay_alu instid0(VALU_DEP_1) | instskip(NEXT) | instid1(VALU_DEP_1)
	v_add3_u32 v1, v4, v1, 0x80fffff
                                        ; implicit-def: $vgpr4
	v_lshrrev_b32_e32 v1, 21, v1
; %bb.3643:
	s_and_not1_saveexec_b32 s11, s11
; %bb.3644:
	v_add_f32_e32 v1, 0x43000000, v4
; %bb.3645:
	s_or_b32 exec_lo, exec_lo, s11
                                        ; implicit-def: $vgpr4
.LBB316_3646:
	s_and_not1_saveexec_b32 s7, s7
; %bb.3647:
	v_mov_b32_e32 v1, 0x7f
	v_cmp_lt_u32_e32 vcc_lo, 0x7f800000, v4
	s_delay_alu instid0(VALU_DEP_2)
	v_cndmask_b32_e32 v1, 0x7c, v1, vcc_lo
; %bb.3648:
	s_or_b32 exec_lo, exec_lo, s7
	global_store_b8 v[2:3], v1, off
.LBB316_3649:
	s_mov_b32 s7, 0
	s_mov_b32 s11, -1
.LBB316_3650:
	s_and_not1_b32 vcc_lo, exec_lo, s7
	s_mov_b32 s7, 0
	s_cbranch_vccnz .LBB316_3657
; %bb.3651:
	s_cmp_gt_i32 s6, 14
	s_mov_b32 s7, -1
	s_cbranch_scc0 .LBB316_3655
; %bb.3652:
	s_cmp_eq_u32 s6, 15
	s_mov_b32 s2, -1
	s_cbranch_scc0 .LBB316_3654
; %bb.3653:
	s_wait_xcnt 0x0
	v_cndmask_b32_e64 v1, 0, 1.0, s1
	s_mov_b32 s2, 0
	s_mov_b32 s11, -1
	s_delay_alu instid0(VALU_DEP_1) | instskip(NEXT) | instid1(VALU_DEP_1)
	v_bfe_u32 v4, v1, 16, 1
	v_add3_u32 v1, v1, v4, 0x7fff
	global_store_d16_hi_b16 v[2:3], v1, off
.LBB316_3654:
	s_mov_b32 s7, 0
.LBB316_3655:
	s_delay_alu instid0(SALU_CYCLE_1)
	s_and_b32 vcc_lo, exec_lo, s7
	s_mov_b32 s7, 0
	s_cbranch_vccz .LBB316_3657
; %bb.3656:
	s_cmp_lg_u32 s6, 11
	s_mov_b32 s7, -1
	s_cselect_b32 s2, -1, 0
.LBB316_3657:
	s_delay_alu instid0(SALU_CYCLE_1)
	s_and_b32 vcc_lo, exec_lo, s2
	s_cbranch_vccnz .LBB316_3835
; %bb.3658:
	s_and_not1_b32 vcc_lo, exec_lo, s7
	s_cbranch_vccnz .LBB316_3660
.LBB316_3659:
	s_wait_xcnt 0x0
	v_cndmask_b32_e64 v1, 0, 1, s1
	s_mov_b32 s11, -1
	global_store_b8 v[2:3], v1, off
.LBB316_3660:
.LBB316_3661:
	s_and_not1_b32 vcc_lo, exec_lo, s11
	s_cbranch_vccnz .LBB316_3777
.LBB316_3662:
	s_wait_xcnt 0x0
	v_and_b32_e32 v1, 0xff, v12
	v_and_b32_e32 v2, 0xff, v10
	s_mov_b32 s2, 0
	s_cmp_lt_i32 s6, 11
	s_delay_alu instid0(VALU_DEP_1) | instskip(SKIP_1) | instid1(VALU_DEP_2)
	v_dual_lshlrev_b32 v3, 23, v1 :: v_dual_lshlrev_b32 v4, 23, v2
	v_cmp_ne_u16_e32 vcc_lo, 0xff, v1
	v_cndmask_b32_e32 v3, 0x7f800001, v3, vcc_lo
	v_cmp_ne_u16_e32 vcc_lo, 0xff, v2
	s_delay_alu instid0(VALU_DEP_4) | instskip(SKIP_1) | instid1(VALU_DEP_4)
	v_cndmask_b32_e32 v4, 0x7f800001, v4, vcc_lo
	v_cmp_ne_u16_e32 vcc_lo, 0, v1
	v_cndmask_b32_e32 v1, 0x400000, v3, vcc_lo
	v_cmp_ne_u16_e32 vcc_lo, 0, v2
	s_delay_alu instid0(VALU_DEP_4) | instskip(NEXT) | instid1(VALU_DEP_1)
	v_cndmask_b32_e32 v2, 0x400000, v4, vcc_lo
	v_cmp_eq_f32_e32 vcc_lo, v1, v2
	v_cndmask_b32_e64 v3, 0, 1, vcc_lo
	v_cmp_neq_f32_e32 vcc_lo, v1, v2
	v_cndmask_b32_e64 v1, 0, 1, vcc_lo
	s_delay_alu instid0(VALU_DEP_1) | instskip(SKIP_1) | instid1(VALU_DEP_1)
	v_dual_cndmask_b32 v2, v1, v3, s0 :: v_dual_mov_b32 v1, 0
	s_mov_b32 s0, -1
	v_and_b32_e32 v4, 1, v2
	s_delay_alu instid0(VALU_DEP_2) | instskip(NEXT) | instid1(VALU_DEP_2)
	v_add_nc_u64_e32 v[2:3], s[4:5], v[0:1]
	v_cmp_eq_u32_e64 s1, 1, v4
	s_cbranch_scc1 .LBB316_3778
; %bb.3663:
	s_mov_b32 s4, -1
	s_cmp_gt_i32 s6, 25
	s_mov_b32 s0, 0
	s_cbranch_scc0 .LBB316_3696
; %bb.3664:
	s_cmp_gt_i32 s6, 28
	s_cbranch_scc0 .LBB316_3680
; %bb.3665:
	s_cmp_gt_i32 s6, 43
	;; [unrolled: 3-line block ×3, first 2 shown]
	s_cbranch_scc0 .LBB316_3670
; %bb.3667:
	s_cmp_eq_u32 s6, 46
	s_mov_b32 s0, -1
	s_cbranch_scc0 .LBB316_3669
; %bb.3668:
	v_cndmask_b32_e64 v0, 0, 1.0, s1
	s_mov_b32 s0, 0
	s_delay_alu instid0(VALU_DEP_1) | instskip(NEXT) | instid1(VALU_DEP_1)
	v_bfe_u32 v1, v0, 16, 1
	v_add3_u32 v0, v0, v1, 0x7fff
	s_delay_alu instid0(VALU_DEP_1)
	v_lshrrev_b32_e32 v0, 16, v0
	global_store_b32 v[2:3], v0, off
.LBB316_3669:
	s_mov_b32 s4, 0
.LBB316_3670:
	s_delay_alu instid0(SALU_CYCLE_1)
	s_and_b32 vcc_lo, exec_lo, s4
	s_cbranch_vccz .LBB316_3675
; %bb.3671:
	s_cmp_eq_u32 s6, 44
	s_mov_b32 s0, -1
	s_cbranch_scc0 .LBB316_3675
; %bb.3672:
	v_cndmask_b32_e64 v4, 0, 1.0, s1
	s_mov_b32 s4, exec_lo
	s_wait_xcnt 0x0
	s_delay_alu instid0(VALU_DEP_1) | instskip(NEXT) | instid1(VALU_DEP_1)
	v_dual_mov_b32 v1, 0xff :: v_dual_lshrrev_b32 v0, 23, v4
	v_cmpx_ne_u32_e32 0xff, v0
; %bb.3673:
	v_and_b32_e32 v1, 0x400000, v4
	v_and_or_b32 v4, 0x3fffff, v4, v0
	s_delay_alu instid0(VALU_DEP_2) | instskip(NEXT) | instid1(VALU_DEP_2)
	v_cmp_ne_u32_e32 vcc_lo, 0, v1
	v_cmp_ne_u32_e64 s0, 0, v4
	s_and_b32 s0, vcc_lo, s0
	s_delay_alu instid0(SALU_CYCLE_1) | instskip(NEXT) | instid1(VALU_DEP_1)
	v_cndmask_b32_e64 v1, 0, 1, s0
	v_add_nc_u32_e32 v1, v0, v1
; %bb.3674:
	s_or_b32 exec_lo, exec_lo, s4
	s_mov_b32 s0, 0
	global_store_b8 v[2:3], v1, off
.LBB316_3675:
	s_mov_b32 s4, 0
.LBB316_3676:
	s_delay_alu instid0(SALU_CYCLE_1)
	s_and_b32 vcc_lo, exec_lo, s4
	s_cbranch_vccz .LBB316_3679
; %bb.3677:
	s_cmp_eq_u32 s6, 29
	s_mov_b32 s0, -1
	s_cbranch_scc0 .LBB316_3679
; %bb.3678:
	s_mov_b32 s0, 0
	s_wait_xcnt 0x0
	v_cndmask_b32_e64 v0, 0, 1, s1
	v_mov_b32_e32 v1, s0
	global_store_b64 v[2:3], v[0:1], off
.LBB316_3679:
	s_mov_b32 s4, 0
.LBB316_3680:
	s_delay_alu instid0(SALU_CYCLE_1)
	s_and_b32 vcc_lo, exec_lo, s4
	s_cbranch_vccz .LBB316_3695
; %bb.3681:
	s_cmp_lt_i32 s6, 27
	s_mov_b32 s4, -1
	s_cbranch_scc1 .LBB316_3687
; %bb.3682:
	s_wait_xcnt 0x0
	v_cndmask_b32_e64 v0, 0, 1, s1
	s_cmp_gt_i32 s6, 27
	s_cbranch_scc0 .LBB316_3684
; %bb.3683:
	s_mov_b32 s4, 0
	global_store_b32 v[2:3], v0, off
.LBB316_3684:
	s_and_not1_b32 vcc_lo, exec_lo, s4
	s_cbranch_vccnz .LBB316_3686
; %bb.3685:
	global_store_b16 v[2:3], v0, off
.LBB316_3686:
	s_mov_b32 s4, 0
.LBB316_3687:
	s_delay_alu instid0(SALU_CYCLE_1)
	s_and_not1_b32 vcc_lo, exec_lo, s4
	s_cbranch_vccnz .LBB316_3695
; %bb.3688:
	s_wait_xcnt 0x0
	v_cndmask_b32_e64 v1, 0, 1.0, s1
	v_mov_b32_e32 v4, 0x80
	s_mov_b32 s4, exec_lo
	s_delay_alu instid0(VALU_DEP_2)
	v_cmpx_gt_u32_e32 0x43800000, v1
	s_cbranch_execz .LBB316_3694
; %bb.3689:
	s_mov_b32 s5, 0
	s_mov_b32 s7, exec_lo
                                        ; implicit-def: $vgpr0
	v_cmpx_lt_u32_e32 0x3bffffff, v1
	s_xor_b32 s7, exec_lo, s7
	s_cbranch_execz .LBB316_3838
; %bb.3690:
	v_bfe_u32 v0, v1, 20, 1
	s_mov_b32 s5, exec_lo
	s_delay_alu instid0(VALU_DEP_1) | instskip(NEXT) | instid1(VALU_DEP_1)
	v_add3_u32 v0, v1, v0, 0x487ffff
                                        ; implicit-def: $vgpr1
	v_lshrrev_b32_e32 v0, 20, v0
	s_and_not1_saveexec_b32 s7, s7
	s_cbranch_execnz .LBB316_3839
.LBB316_3691:
	s_or_b32 exec_lo, exec_lo, s7
	v_mov_b32_e32 v4, 0
	s_and_saveexec_b32 s7, s5
.LBB316_3692:
	v_mov_b32_e32 v4, v0
.LBB316_3693:
	s_or_b32 exec_lo, exec_lo, s7
.LBB316_3694:
	s_delay_alu instid0(SALU_CYCLE_1)
	s_or_b32 exec_lo, exec_lo, s4
	global_store_b8 v[2:3], v4, off
.LBB316_3695:
	s_mov_b32 s4, 0
.LBB316_3696:
	s_delay_alu instid0(SALU_CYCLE_1)
	s_and_b32 vcc_lo, exec_lo, s4
	s_cbranch_vccz .LBB316_3736
; %bb.3697:
	s_cmp_gt_i32 s6, 22
	s_mov_b32 s2, -1
	s_cbranch_scc0 .LBB316_3729
; %bb.3698:
	s_cmp_lt_i32 s6, 24
	s_cbranch_scc1 .LBB316_3718
; %bb.3699:
	s_cmp_gt_i32 s6, 24
	s_cbranch_scc0 .LBB316_3707
; %bb.3700:
	s_wait_xcnt 0x0
	v_cndmask_b32_e64 v1, 0, 1.0, s1
	v_mov_b32_e32 v4, 0x80
	s_mov_b32 s2, exec_lo
	s_delay_alu instid0(VALU_DEP_2)
	v_cmpx_gt_u32_e32 0x47800000, v1
	s_cbranch_execz .LBB316_3706
; %bb.3701:
	s_mov_b32 s4, 0
	s_mov_b32 s5, exec_lo
                                        ; implicit-def: $vgpr0
	v_cmpx_lt_u32_e32 0x37ffffff, v1
	s_xor_b32 s5, exec_lo, s5
	s_cbranch_execz .LBB316_3841
; %bb.3702:
	v_bfe_u32 v0, v1, 21, 1
	s_mov_b32 s4, exec_lo
	s_delay_alu instid0(VALU_DEP_1) | instskip(NEXT) | instid1(VALU_DEP_1)
	v_add3_u32 v0, v1, v0, 0x88fffff
                                        ; implicit-def: $vgpr1
	v_lshrrev_b32_e32 v0, 21, v0
	s_and_not1_saveexec_b32 s5, s5
	s_cbranch_execnz .LBB316_3842
.LBB316_3703:
	s_or_b32 exec_lo, exec_lo, s5
	v_mov_b32_e32 v4, 0
	s_and_saveexec_b32 s5, s4
.LBB316_3704:
	v_mov_b32_e32 v4, v0
.LBB316_3705:
	s_or_b32 exec_lo, exec_lo, s5
.LBB316_3706:
	s_delay_alu instid0(SALU_CYCLE_1)
	s_or_b32 exec_lo, exec_lo, s2
	s_mov_b32 s2, 0
	global_store_b8 v[2:3], v4, off
.LBB316_3707:
	s_and_b32 vcc_lo, exec_lo, s2
	s_cbranch_vccz .LBB316_3717
; %bb.3708:
	s_wait_xcnt 0x0
	v_cndmask_b32_e64 v1, 0, 1.0, s1
	s_mov_b32 s2, exec_lo
                                        ; implicit-def: $vgpr0
	s_delay_alu instid0(VALU_DEP_1)
	v_cmpx_gt_u32_e32 0x43f00000, v1
	s_xor_b32 s2, exec_lo, s2
	s_cbranch_execz .LBB316_3714
; %bb.3709:
	s_mov_b32 s4, exec_lo
                                        ; implicit-def: $vgpr0
	v_cmpx_lt_u32_e32 0x3c7fffff, v1
	s_xor_b32 s4, exec_lo, s4
; %bb.3710:
	v_bfe_u32 v0, v1, 20, 1
	s_delay_alu instid0(VALU_DEP_1) | instskip(NEXT) | instid1(VALU_DEP_1)
	v_add3_u32 v0, v1, v0, 0x407ffff
	v_and_b32_e32 v1, 0xff00000, v0
	v_lshrrev_b32_e32 v0, 20, v0
	s_delay_alu instid0(VALU_DEP_2) | instskip(NEXT) | instid1(VALU_DEP_2)
	v_cmp_ne_u32_e32 vcc_lo, 0x7f00000, v1
                                        ; implicit-def: $vgpr1
	v_cndmask_b32_e32 v0, 0x7e, v0, vcc_lo
; %bb.3711:
	s_and_not1_saveexec_b32 s4, s4
; %bb.3712:
	v_add_f32_e32 v0, 0x46800000, v1
; %bb.3713:
	s_or_b32 exec_lo, exec_lo, s4
                                        ; implicit-def: $vgpr1
.LBB316_3714:
	s_and_not1_saveexec_b32 s2, s2
; %bb.3715:
	v_mov_b32_e32 v0, 0x7f
	v_cmp_lt_u32_e32 vcc_lo, 0x7f800000, v1
	s_delay_alu instid0(VALU_DEP_2)
	v_cndmask_b32_e32 v0, 0x7e, v0, vcc_lo
; %bb.3716:
	s_or_b32 exec_lo, exec_lo, s2
	global_store_b8 v[2:3], v0, off
.LBB316_3717:
	s_mov_b32 s2, 0
.LBB316_3718:
	s_delay_alu instid0(SALU_CYCLE_1)
	s_and_not1_b32 vcc_lo, exec_lo, s2
	s_cbranch_vccnz .LBB316_3728
; %bb.3719:
	s_wait_xcnt 0x0
	v_cndmask_b32_e64 v1, 0, 1.0, s1
	s_mov_b32 s2, exec_lo
                                        ; implicit-def: $vgpr0
	s_delay_alu instid0(VALU_DEP_1)
	v_cmpx_gt_u32_e32 0x47800000, v1
	s_xor_b32 s2, exec_lo, s2
	s_cbranch_execz .LBB316_3725
; %bb.3720:
	s_mov_b32 s4, exec_lo
                                        ; implicit-def: $vgpr0
	v_cmpx_lt_u32_e32 0x387fffff, v1
	s_xor_b32 s4, exec_lo, s4
; %bb.3721:
	v_bfe_u32 v0, v1, 21, 1
	s_delay_alu instid0(VALU_DEP_1) | instskip(NEXT) | instid1(VALU_DEP_1)
	v_add3_u32 v0, v1, v0, 0x80fffff
                                        ; implicit-def: $vgpr1
	v_lshrrev_b32_e32 v0, 21, v0
; %bb.3722:
	s_and_not1_saveexec_b32 s4, s4
; %bb.3723:
	v_add_f32_e32 v0, 0x43000000, v1
; %bb.3724:
	s_or_b32 exec_lo, exec_lo, s4
                                        ; implicit-def: $vgpr1
.LBB316_3725:
	s_and_not1_saveexec_b32 s2, s2
; %bb.3726:
	v_mov_b32_e32 v0, 0x7f
	v_cmp_lt_u32_e32 vcc_lo, 0x7f800000, v1
	s_delay_alu instid0(VALU_DEP_2)
	v_cndmask_b32_e32 v0, 0x7c, v0, vcc_lo
; %bb.3727:
	s_or_b32 exec_lo, exec_lo, s2
	global_store_b8 v[2:3], v0, off
.LBB316_3728:
	s_mov_b32 s2, 0
.LBB316_3729:
	s_delay_alu instid0(SALU_CYCLE_1)
	s_and_not1_b32 vcc_lo, exec_lo, s2
	s_mov_b32 s2, 0
	s_cbranch_vccnz .LBB316_3736
; %bb.3730:
	s_cmp_gt_i32 s6, 14
	s_mov_b32 s2, -1
	s_cbranch_scc0 .LBB316_3734
; %bb.3731:
	s_cmp_eq_u32 s6, 15
	s_mov_b32 s0, -1
	s_cbranch_scc0 .LBB316_3733
; %bb.3732:
	s_wait_xcnt 0x0
	v_cndmask_b32_e64 v0, 0, 1.0, s1
	s_mov_b32 s0, 0
	s_delay_alu instid0(VALU_DEP_1) | instskip(NEXT) | instid1(VALU_DEP_1)
	v_bfe_u32 v1, v0, 16, 1
	v_add3_u32 v0, v0, v1, 0x7fff
	global_store_d16_hi_b16 v[2:3], v0, off
.LBB316_3733:
	s_mov_b32 s2, 0
.LBB316_3734:
	s_delay_alu instid0(SALU_CYCLE_1)
	s_and_b32 vcc_lo, exec_lo, s2
	s_mov_b32 s2, 0
	s_cbranch_vccz .LBB316_3736
; %bb.3735:
	s_cmp_lg_u32 s6, 11
	s_mov_b32 s2, -1
	s_cselect_b32 s0, -1, 0
.LBB316_3736:
	s_delay_alu instid0(SALU_CYCLE_1)
	s_and_b32 vcc_lo, exec_lo, s0
	s_cbranch_vccnz .LBB316_3840
.LBB316_3737:
	s_mov_b32 s0, 0
	s_branch .LBB316_3778
.LBB316_3738:
	s_and_b32 vcc_lo, exec_lo, s2
	s_cbranch_vccz .LBB316_3661
; %bb.3739:
	s_cmp_lt_i32 s6, 5
	s_mov_b32 s2, -1
	s_cbranch_scc1 .LBB316_3760
; %bb.3740:
	s_cmp_lt_i32 s6, 8
	s_cbranch_scc1 .LBB316_3750
; %bb.3741:
	s_cmp_lt_i32 s6, 9
	s_cbranch_scc1 .LBB316_3747
; %bb.3742:
	s_cmp_gt_i32 s6, 9
	s_cbranch_scc0 .LBB316_3744
; %bb.3743:
	s_wait_xcnt 0x0
	v_cndmask_b32_e64 v1, 0, 1, s1
	v_mov_b32_e32 v6, 0
	s_mov_b32 s2, 0
	s_delay_alu instid0(VALU_DEP_2) | instskip(NEXT) | instid1(VALU_DEP_2)
	v_cvt_f64_u32_e32 v[4:5], v1
	v_mov_b32_e32 v7, v6
	global_store_b128 v[2:3], v[4:7], off
.LBB316_3744:
	s_and_not1_b32 vcc_lo, exec_lo, s2
	s_cbranch_vccnz .LBB316_3746
; %bb.3745:
	s_wait_xcnt 0x0
	v_cndmask_b32_e64 v4, 0, 1.0, s1
	v_mov_b32_e32 v5, 0
	global_store_b64 v[2:3], v[4:5], off
.LBB316_3746:
	s_mov_b32 s2, 0
.LBB316_3747:
	s_delay_alu instid0(SALU_CYCLE_1)
	s_and_not1_b32 vcc_lo, exec_lo, s2
	s_cbranch_vccnz .LBB316_3749
; %bb.3748:
	s_wait_xcnt 0x0
	v_cndmask_b32_e64 v1, 0, 1.0, s1
	s_delay_alu instid0(VALU_DEP_1) | instskip(NEXT) | instid1(VALU_DEP_1)
	v_cvt_f16_f32_e32 v1, v1
	v_and_b32_e32 v1, 0xffff, v1
	global_store_b32 v[2:3], v1, off
.LBB316_3749:
	s_mov_b32 s2, 0
.LBB316_3750:
	s_delay_alu instid0(SALU_CYCLE_1)
	s_and_not1_b32 vcc_lo, exec_lo, s2
	s_cbranch_vccnz .LBB316_3759
; %bb.3751:
	s_cmp_lt_i32 s6, 6
	s_mov_b32 s2, -1
	s_cbranch_scc1 .LBB316_3757
; %bb.3752:
	s_cmp_gt_i32 s6, 6
	s_cbranch_scc0 .LBB316_3754
; %bb.3753:
	s_wait_xcnt 0x0
	v_cndmask_b32_e64 v1, 0, 1, s1
	s_mov_b32 s2, 0
	s_delay_alu instid0(VALU_DEP_1)
	v_cvt_f64_u32_e32 v[4:5], v1
	global_store_b64 v[2:3], v[4:5], off
.LBB316_3754:
	s_and_not1_b32 vcc_lo, exec_lo, s2
	s_cbranch_vccnz .LBB316_3756
; %bb.3755:
	s_wait_xcnt 0x0
	v_cndmask_b32_e64 v1, 0, 1.0, s1
	global_store_b32 v[2:3], v1, off
.LBB316_3756:
	s_mov_b32 s2, 0
.LBB316_3757:
	s_delay_alu instid0(SALU_CYCLE_1)
	s_and_not1_b32 vcc_lo, exec_lo, s2
	s_cbranch_vccnz .LBB316_3759
; %bb.3758:
	s_wait_xcnt 0x0
	v_cndmask_b32_e64 v1, 0, 1.0, s1
	s_delay_alu instid0(VALU_DEP_1)
	v_cvt_f16_f32_e32 v1, v1
	global_store_b16 v[2:3], v1, off
.LBB316_3759:
	s_mov_b32 s2, 0
.LBB316_3760:
	s_delay_alu instid0(SALU_CYCLE_1)
	s_and_not1_b32 vcc_lo, exec_lo, s2
	s_cbranch_vccnz .LBB316_3776
; %bb.3761:
	s_cmp_lt_i32 s6, 2
	s_mov_b32 s2, -1
	s_cbranch_scc1 .LBB316_3771
; %bb.3762:
	s_cmp_lt_i32 s6, 3
	s_cbranch_scc1 .LBB316_3768
; %bb.3763:
	s_cmp_gt_i32 s6, 3
	s_cbranch_scc0 .LBB316_3765
; %bb.3764:
	s_mov_b32 s2, 0
	s_wait_xcnt 0x0
	v_cndmask_b32_e64 v4, 0, 1, s1
	v_mov_b32_e32 v5, s2
	global_store_b64 v[2:3], v[4:5], off
.LBB316_3765:
	s_and_not1_b32 vcc_lo, exec_lo, s2
	s_cbranch_vccnz .LBB316_3767
; %bb.3766:
	s_wait_xcnt 0x0
	v_cndmask_b32_e64 v1, 0, 1, s1
	global_store_b32 v[2:3], v1, off
.LBB316_3767:
	s_mov_b32 s2, 0
.LBB316_3768:
	s_delay_alu instid0(SALU_CYCLE_1)
	s_and_not1_b32 vcc_lo, exec_lo, s2
	s_cbranch_vccnz .LBB316_3770
; %bb.3769:
	s_wait_xcnt 0x0
	v_cndmask_b32_e64 v1, 0, 1, s1
	global_store_b16 v[2:3], v1, off
.LBB316_3770:
	s_mov_b32 s2, 0
.LBB316_3771:
	s_delay_alu instid0(SALU_CYCLE_1)
	s_and_not1_b32 vcc_lo, exec_lo, s2
	s_cbranch_vccnz .LBB316_3776
; %bb.3772:
	s_cmp_gt_i32 s6, 0
	s_mov_b32 s2, -1
	s_cbranch_scc0 .LBB316_3774
; %bb.3773:
	s_wait_xcnt 0x0
	v_cndmask_b32_e64 v1, 0, 1, s1
	s_mov_b32 s2, 0
	global_store_b8 v[2:3], v1, off
.LBB316_3774:
	s_and_not1_b32 vcc_lo, exec_lo, s2
	s_cbranch_vccnz .LBB316_3776
; %bb.3775:
	s_wait_xcnt 0x0
	v_cndmask_b32_e64 v1, 0, 1, s1
	global_store_b8 v[2:3], v1, off
.LBB316_3776:
	s_branch .LBB316_3662
.LBB316_3777:
	s_mov_b32 s0, 0
	s_mov_b32 s2, 0
                                        ; implicit-def: $sgpr1
                                        ; implicit-def: $vgpr2_vgpr3
                                        ; implicit-def: $sgpr3
.LBB316_3778:
	s_and_not1_b32 s4, s8, exec_lo
	s_and_b32 s5, s10, exec_lo
	s_and_b32 s0, s0, exec_lo
	;; [unrolled: 1-line block ×3, first 2 shown]
	s_or_b32 s8, s4, s5
.LBB316_3779:
	s_wait_xcnt 0x0
	s_or_b32 exec_lo, exec_lo, s9
	s_and_saveexec_b32 s2, s8
	s_cbranch_execz .LBB316_3782
; %bb.3780:
	; divergent unreachable
	s_or_b32 exec_lo, exec_lo, s2
	s_and_saveexec_b32 s2, s33
	s_delay_alu instid0(SALU_CYCLE_1)
	s_xor_b32 s2, exec_lo, s2
	s_cbranch_execnz .LBB316_3783
.LBB316_3781:
	s_or_b32 exec_lo, exec_lo, s2
	s_and_saveexec_b32 s2, s0
	s_cbranch_execnz .LBB316_3784
	s_branch .LBB316_3821
.LBB316_3782:
	s_or_b32 exec_lo, exec_lo, s2
	s_and_saveexec_b32 s2, s33
	s_delay_alu instid0(SALU_CYCLE_1)
	s_xor_b32 s2, exec_lo, s2
	s_cbranch_execz .LBB316_3781
.LBB316_3783:
	v_cndmask_b32_e64 v0, 0, 1, s1
	s_wait_loadcnt 0x0
	global_store_b8 v[2:3], v0, off
	s_wait_xcnt 0x0
	s_or_b32 exec_lo, exec_lo, s2
	s_and_saveexec_b32 s2, s0
	s_cbranch_execz .LBB316_3821
.LBB316_3784:
	s_sext_i32_i16 s2, s3
	s_mov_b32 s0, -1
	s_cmp_lt_i32 s2, 5
	s_cbranch_scc1 .LBB316_3805
; %bb.3785:
	s_cmp_lt_i32 s2, 8
	s_cbranch_scc1 .LBB316_3795
; %bb.3786:
	;; [unrolled: 3-line block ×3, first 2 shown]
	s_cmp_gt_i32 s2, 9
	s_cbranch_scc0 .LBB316_3789
; %bb.3788:
	v_cndmask_b32_e64 v0, 0, 1, s1
	v_mov_b32_e32 v6, 0
	s_mov_b32 s0, 0
	s_wait_loadcnt 0x0
	s_delay_alu instid0(VALU_DEP_2) | instskip(NEXT) | instid1(VALU_DEP_2)
	v_cvt_f64_u32_e32 v[4:5], v0
	v_mov_b32_e32 v7, v6
	global_store_b128 v[2:3], v[4:7], off
.LBB316_3789:
	s_and_not1_b32 vcc_lo, exec_lo, s0
	s_cbranch_vccnz .LBB316_3791
; %bb.3790:
	v_cndmask_b32_e64 v0, 0, 1.0, s1
	s_wait_loadcnt 0x0
	v_mov_b32_e32 v1, 0
	global_store_b64 v[2:3], v[0:1], off
.LBB316_3791:
	s_mov_b32 s0, 0
.LBB316_3792:
	s_delay_alu instid0(SALU_CYCLE_1)
	s_and_not1_b32 vcc_lo, exec_lo, s0
	s_cbranch_vccnz .LBB316_3794
; %bb.3793:
	s_wait_xcnt 0x0
	v_cndmask_b32_e64 v0, 0, 1.0, s1
	s_delay_alu instid0(VALU_DEP_1) | instskip(NEXT) | instid1(VALU_DEP_1)
	v_cvt_f16_f32_e32 v0, v0
	v_and_b32_e32 v0, 0xffff, v0
	s_wait_loadcnt 0x0
	global_store_b32 v[2:3], v0, off
.LBB316_3794:
	s_mov_b32 s0, 0
.LBB316_3795:
	s_delay_alu instid0(SALU_CYCLE_1)
	s_and_not1_b32 vcc_lo, exec_lo, s0
	s_cbranch_vccnz .LBB316_3804
; %bb.3796:
	s_sext_i32_i16 s2, s3
	s_mov_b32 s0, -1
	s_cmp_lt_i32 s2, 6
	s_cbranch_scc1 .LBB316_3802
; %bb.3797:
	s_cmp_gt_i32 s2, 6
	s_cbranch_scc0 .LBB316_3799
; %bb.3798:
	s_wait_xcnt 0x0
	v_cndmask_b32_e64 v0, 0, 1, s1
	s_mov_b32 s0, 0
	s_wait_loadcnt 0x0
	s_delay_alu instid0(VALU_DEP_1)
	v_cvt_f64_u32_e32 v[0:1], v0
	global_store_b64 v[2:3], v[0:1], off
.LBB316_3799:
	s_and_not1_b32 vcc_lo, exec_lo, s0
	s_cbranch_vccnz .LBB316_3801
; %bb.3800:
	s_wait_xcnt 0x0
	v_cndmask_b32_e64 v0, 0, 1.0, s1
	s_wait_loadcnt 0x0
	global_store_b32 v[2:3], v0, off
.LBB316_3801:
	s_mov_b32 s0, 0
.LBB316_3802:
	s_delay_alu instid0(SALU_CYCLE_1)
	s_and_not1_b32 vcc_lo, exec_lo, s0
	s_cbranch_vccnz .LBB316_3804
; %bb.3803:
	s_wait_xcnt 0x0
	v_cndmask_b32_e64 v0, 0, 1.0, s1
	s_delay_alu instid0(VALU_DEP_1)
	v_cvt_f16_f32_e32 v0, v0
	s_wait_loadcnt 0x0
	global_store_b16 v[2:3], v0, off
.LBB316_3804:
	s_mov_b32 s0, 0
.LBB316_3805:
	s_delay_alu instid0(SALU_CYCLE_1)
	s_and_not1_b32 vcc_lo, exec_lo, s0
	s_cbranch_vccnz .LBB316_3821
; %bb.3806:
	s_sext_i32_i16 s2, s3
	s_mov_b32 s0, -1
	s_cmp_lt_i32 s2, 2
	s_cbranch_scc1 .LBB316_3816
; %bb.3807:
	s_cmp_lt_i32 s2, 3
	s_cbranch_scc1 .LBB316_3813
; %bb.3808:
	s_cmp_gt_i32 s2, 3
	s_cbranch_scc0 .LBB316_3810
; %bb.3809:
	s_mov_b32 s0, 0
	s_wait_xcnt 0x0
	v_cndmask_b32_e64 v0, 0, 1, s1
	s_wait_loadcnt 0x0
	v_mov_b32_e32 v1, s0
	global_store_b64 v[2:3], v[0:1], off
.LBB316_3810:
	s_and_not1_b32 vcc_lo, exec_lo, s0
	s_cbranch_vccnz .LBB316_3812
; %bb.3811:
	s_wait_xcnt 0x0
	v_cndmask_b32_e64 v0, 0, 1, s1
	s_wait_loadcnt 0x0
	global_store_b32 v[2:3], v0, off
.LBB316_3812:
	s_mov_b32 s0, 0
.LBB316_3813:
	s_delay_alu instid0(SALU_CYCLE_1)
	s_and_not1_b32 vcc_lo, exec_lo, s0
	s_cbranch_vccnz .LBB316_3815
; %bb.3814:
	s_wait_xcnt 0x0
	v_cndmask_b32_e64 v0, 0, 1, s1
	s_wait_loadcnt 0x0
	global_store_b16 v[2:3], v0, off
.LBB316_3815:
	s_mov_b32 s0, 0
.LBB316_3816:
	s_delay_alu instid0(SALU_CYCLE_1)
	s_and_not1_b32 vcc_lo, exec_lo, s0
	s_cbranch_vccnz .LBB316_3821
; %bb.3817:
	s_sext_i32_i16 s0, s3
	s_delay_alu instid0(SALU_CYCLE_1)
	s_cmp_gt_i32 s0, 0
	s_mov_b32 s0, -1
	s_cbranch_scc0 .LBB316_3819
; %bb.3818:
	s_wait_xcnt 0x0
	v_cndmask_b32_e64 v0, 0, 1, s1
	s_mov_b32 s0, 0
	s_wait_loadcnt 0x0
	global_store_b8 v[2:3], v0, off
.LBB316_3819:
	s_and_not1_b32 vcc_lo, exec_lo, s0
	s_cbranch_vccnz .LBB316_3821
; %bb.3820:
	s_wait_xcnt 0x0
	v_cndmask_b32_e64 v0, 0, 1, s1
	s_wait_loadcnt 0x0
	global_store_b8 v[2:3], v0, off
	s_endpgm
.LBB316_3821:
	s_endpgm
.LBB316_3822:
	s_or_b32 s10, s10, exec_lo
	s_trap 2
	s_cbranch_execz .LBB316_3271
	s_branch .LBB316_3274
.LBB316_3823:
	s_and_not1_saveexec_b32 s13, s13
	s_cbranch_execz .LBB316_3375
.LBB316_3824:
	v_add_f32_e32 v1, 0x46000000, v3
	s_and_not1_b32 s12, s12, exec_lo
	s_delay_alu instid0(VALU_DEP_1) | instskip(NEXT) | instid1(VALU_DEP_1)
	v_and_b32_e32 v1, 0xff, v1
	v_cmp_ne_u32_e32 vcc_lo, 0, v1
	s_and_b32 s14, vcc_lo, exec_lo
	s_delay_alu instid0(SALU_CYCLE_1)
	s_or_b32 s12, s12, s14
	s_or_b32 exec_lo, exec_lo, s13
	v_mov_b32_e32 v8, 0
	s_and_saveexec_b32 s13, s12
	s_cbranch_execnz .LBB316_3376
	s_branch .LBB316_3377
.LBB316_3825:
	s_or_b32 s10, s10, exec_lo
	s_trap 2
	s_cbranch_execz .LBB316_3423
	s_branch .LBB316_3424
.LBB316_3826:
	s_and_not1_saveexec_b32 s12, s12
	s_cbranch_execz .LBB316_3388
.LBB316_3827:
	v_add_f32_e32 v1, 0x42800000, v3
	s_and_not1_b32 s11, s11, exec_lo
	s_delay_alu instid0(VALU_DEP_1) | instskip(NEXT) | instid1(VALU_DEP_1)
	v_and_b32_e32 v1, 0xff, v1
	v_cmp_ne_u32_e32 vcc_lo, 0, v1
	s_and_b32 s13, vcc_lo, exec_lo
	s_delay_alu instid0(SALU_CYCLE_1)
	s_or_b32 s11, s11, s13
	s_or_b32 exec_lo, exec_lo, s12
	v_mov_b32_e32 v8, 0
	s_and_saveexec_b32 s12, s11
	s_cbranch_execnz .LBB316_3389
	s_branch .LBB316_3390
.LBB316_3828:
	s_and_not1_saveexec_b32 s13, s13
	s_cbranch_execz .LBB316_3493
.LBB316_3829:
	v_add_f32_e32 v1, 0x46000000, v3
	s_and_not1_b32 s12, s12, exec_lo
	s_delay_alu instid0(VALU_DEP_1) | instskip(NEXT) | instid1(VALU_DEP_1)
	v_and_b32_e32 v1, 0xff, v1
	v_cmp_ne_u32_e32 vcc_lo, 0, v1
	s_and_b32 s14, vcc_lo, exec_lo
	s_delay_alu instid0(SALU_CYCLE_1)
	s_or_b32 s12, s12, s14
	s_or_b32 exec_lo, exec_lo, s13
	v_mov_b32_e32 v6, 0
	s_and_saveexec_b32 s13, s12
	s_cbranch_execnz .LBB316_3494
	s_branch .LBB316_3495
.LBB316_3830:
	s_or_b32 s10, s10, exec_lo
	s_trap 2
	s_cbranch_execz .LBB316_3541
	s_branch .LBB316_3542
.LBB316_3831:
	s_and_not1_saveexec_b32 s12, s12
	s_cbranch_execz .LBB316_3506
.LBB316_3832:
	v_add_f32_e32 v1, 0x42800000, v3
	s_and_not1_b32 s11, s11, exec_lo
	s_delay_alu instid0(VALU_DEP_1) | instskip(NEXT) | instid1(VALU_DEP_1)
	v_and_b32_e32 v1, 0xff, v1
	v_cmp_ne_u32_e32 vcc_lo, 0, v1
	s_and_b32 s13, vcc_lo, exec_lo
	s_delay_alu instid0(SALU_CYCLE_1)
	s_or_b32 s11, s11, s13
	s_or_b32 exec_lo, exec_lo, s12
	v_mov_b32_e32 v6, 0
	s_and_saveexec_b32 s12, s11
	s_cbranch_execnz .LBB316_3507
	s_branch .LBB316_3508
.LBB316_3833:
	s_and_not1_saveexec_b32 s13, s13
	s_cbranch_execz .LBB316_3611
.LBB316_3834:
	v_add_f32_e32 v1, 0x46000000, v4
	s_and_not1_b32 s12, s12, exec_lo
	s_delay_alu instid0(VALU_DEP_1) | instskip(NEXT) | instid1(VALU_DEP_1)
	v_and_b32_e32 v1, 0xff, v1
	v_cmp_ne_u32_e32 vcc_lo, 0, v1
	s_and_b32 s14, vcc_lo, exec_lo
	s_delay_alu instid0(SALU_CYCLE_1)
	s_or_b32 s12, s12, s14
	s_or_b32 exec_lo, exec_lo, s13
	v_mov_b32_e32 v5, 0
	s_and_saveexec_b32 s13, s12
	s_cbranch_execnz .LBB316_3612
	s_branch .LBB316_3613
.LBB316_3835:
	s_or_b32 s10, s10, exec_lo
	s_trap 2
	s_cbranch_execz .LBB316_3659
	s_branch .LBB316_3660
.LBB316_3836:
	s_and_not1_saveexec_b32 s12, s12
	s_cbranch_execz .LBB316_3624
.LBB316_3837:
	v_add_f32_e32 v1, 0x42800000, v4
	s_and_not1_b32 s11, s11, exec_lo
	s_delay_alu instid0(VALU_DEP_1) | instskip(NEXT) | instid1(VALU_DEP_1)
	v_and_b32_e32 v1, 0xff, v1
	v_cmp_ne_u32_e32 vcc_lo, 0, v1
	s_and_b32 s13, vcc_lo, exec_lo
	s_delay_alu instid0(SALU_CYCLE_1)
	s_or_b32 s11, s11, s13
	s_or_b32 exec_lo, exec_lo, s12
	v_mov_b32_e32 v5, 0
	s_and_saveexec_b32 s12, s11
	s_cbranch_execnz .LBB316_3625
	s_branch .LBB316_3626
.LBB316_3838:
	s_and_not1_saveexec_b32 s7, s7
	s_cbranch_execz .LBB316_3691
.LBB316_3839:
	v_add_f32_e32 v0, 0x46000000, v1
	s_and_not1_b32 s5, s5, exec_lo
	s_delay_alu instid0(VALU_DEP_1) | instskip(NEXT) | instid1(VALU_DEP_1)
	v_and_b32_e32 v0, 0xff, v0
	v_cmp_ne_u32_e32 vcc_lo, 0, v0
	s_and_b32 s11, vcc_lo, exec_lo
	s_delay_alu instid0(SALU_CYCLE_1)
	s_or_b32 s5, s5, s11
	s_or_b32 exec_lo, exec_lo, s7
	v_mov_b32_e32 v4, 0
	s_and_saveexec_b32 s7, s5
	s_cbranch_execnz .LBB316_3692
	s_branch .LBB316_3693
.LBB316_3840:
	s_mov_b32 s2, 0
	s_or_b32 s10, s10, exec_lo
	s_trap 2
	s_branch .LBB316_3737
.LBB316_3841:
	s_and_not1_saveexec_b32 s5, s5
	s_cbranch_execz .LBB316_3703
.LBB316_3842:
	v_add_f32_e32 v0, 0x42800000, v1
	s_and_not1_b32 s4, s4, exec_lo
	s_delay_alu instid0(VALU_DEP_1) | instskip(NEXT) | instid1(VALU_DEP_1)
	v_and_b32_e32 v0, 0xff, v0
	v_cmp_ne_u32_e32 vcc_lo, 0, v0
	s_and_b32 s7, vcc_lo, exec_lo
	s_delay_alu instid0(SALU_CYCLE_1)
	s_or_b32 s4, s4, s7
	s_or_b32 exec_lo, exec_lo, s5
	v_mov_b32_e32 v4, 0
	s_and_saveexec_b32 s5, s4
	s_cbranch_execnz .LBB316_3704
	s_branch .LBB316_3705
	.section	.rodata,"a",@progbits
	.p2align	6, 0x0
	.amdhsa_kernel _ZN2at6native32elementwise_kernel_manual_unrollILi128ELi4EZNS0_15gpu_kernel_implINS0_13BinaryFunctorIN3c1014Float8_e8m0fnuES5_bNS0_12_GLOBAL__N_116CompareEqFunctorIS5_EEEEEEvRNS_18TensorIteratorBaseERKT_EUlibE0_EEviT1_
		.amdhsa_group_segment_fixed_size 0
		.amdhsa_private_segment_fixed_size 0
		.amdhsa_kernarg_size 432
		.amdhsa_user_sgpr_count 2
		.amdhsa_user_sgpr_dispatch_ptr 0
		.amdhsa_user_sgpr_queue_ptr 0
		.amdhsa_user_sgpr_kernarg_segment_ptr 1
		.amdhsa_user_sgpr_dispatch_id 0
		.amdhsa_user_sgpr_kernarg_preload_length 0
		.amdhsa_user_sgpr_kernarg_preload_offset 0
		.amdhsa_user_sgpr_private_segment_size 0
		.amdhsa_wavefront_size32 1
		.amdhsa_uses_dynamic_stack 0
		.amdhsa_enable_private_segment 0
		.amdhsa_system_sgpr_workgroup_id_x 1
		.amdhsa_system_sgpr_workgroup_id_y 0
		.amdhsa_system_sgpr_workgroup_id_z 0
		.amdhsa_system_sgpr_workgroup_info 0
		.amdhsa_system_vgpr_workitem_id 0
		.amdhsa_next_free_vgpr 26
		.amdhsa_next_free_sgpr 62
		.amdhsa_named_barrier_count 0
		.amdhsa_reserve_vcc 1
		.amdhsa_float_round_mode_32 0
		.amdhsa_float_round_mode_16_64 0
		.amdhsa_float_denorm_mode_32 3
		.amdhsa_float_denorm_mode_16_64 3
		.amdhsa_fp16_overflow 0
		.amdhsa_memory_ordered 1
		.amdhsa_forward_progress 1
		.amdhsa_inst_pref_size 255
		.amdhsa_round_robin_scheduling 0
		.amdhsa_exception_fp_ieee_invalid_op 0
		.amdhsa_exception_fp_denorm_src 0
		.amdhsa_exception_fp_ieee_div_zero 0
		.amdhsa_exception_fp_ieee_overflow 0
		.amdhsa_exception_fp_ieee_underflow 0
		.amdhsa_exception_fp_ieee_inexact 0
		.amdhsa_exception_int_div_zero 0
	.end_amdhsa_kernel
	.section	.text._ZN2at6native32elementwise_kernel_manual_unrollILi128ELi4EZNS0_15gpu_kernel_implINS0_13BinaryFunctorIN3c1014Float8_e8m0fnuES5_bNS0_12_GLOBAL__N_116CompareEqFunctorIS5_EEEEEEvRNS_18TensorIteratorBaseERKT_EUlibE0_EEviT1_,"axG",@progbits,_ZN2at6native32elementwise_kernel_manual_unrollILi128ELi4EZNS0_15gpu_kernel_implINS0_13BinaryFunctorIN3c1014Float8_e8m0fnuES5_bNS0_12_GLOBAL__N_116CompareEqFunctorIS5_EEEEEEvRNS_18TensorIteratorBaseERKT_EUlibE0_EEviT1_,comdat
.Lfunc_end316:
	.size	_ZN2at6native32elementwise_kernel_manual_unrollILi128ELi4EZNS0_15gpu_kernel_implINS0_13BinaryFunctorIN3c1014Float8_e8m0fnuES5_bNS0_12_GLOBAL__N_116CompareEqFunctorIS5_EEEEEEvRNS_18TensorIteratorBaseERKT_EUlibE0_EEviT1_, .Lfunc_end316-_ZN2at6native32elementwise_kernel_manual_unrollILi128ELi4EZNS0_15gpu_kernel_implINS0_13BinaryFunctorIN3c1014Float8_e8m0fnuES5_bNS0_12_GLOBAL__N_116CompareEqFunctorIS5_EEEEEEvRNS_18TensorIteratorBaseERKT_EUlibE0_EEviT1_
                                        ; -- End function
	.set _ZN2at6native32elementwise_kernel_manual_unrollILi128ELi4EZNS0_15gpu_kernel_implINS0_13BinaryFunctorIN3c1014Float8_e8m0fnuES5_bNS0_12_GLOBAL__N_116CompareEqFunctorIS5_EEEEEEvRNS_18TensorIteratorBaseERKT_EUlibE0_EEviT1_.num_vgpr, 26
	.set _ZN2at6native32elementwise_kernel_manual_unrollILi128ELi4EZNS0_15gpu_kernel_implINS0_13BinaryFunctorIN3c1014Float8_e8m0fnuES5_bNS0_12_GLOBAL__N_116CompareEqFunctorIS5_EEEEEEvRNS_18TensorIteratorBaseERKT_EUlibE0_EEviT1_.num_agpr, 0
	.set _ZN2at6native32elementwise_kernel_manual_unrollILi128ELi4EZNS0_15gpu_kernel_implINS0_13BinaryFunctorIN3c1014Float8_e8m0fnuES5_bNS0_12_GLOBAL__N_116CompareEqFunctorIS5_EEEEEEvRNS_18TensorIteratorBaseERKT_EUlibE0_EEviT1_.numbered_sgpr, 62
	.set _ZN2at6native32elementwise_kernel_manual_unrollILi128ELi4EZNS0_15gpu_kernel_implINS0_13BinaryFunctorIN3c1014Float8_e8m0fnuES5_bNS0_12_GLOBAL__N_116CompareEqFunctorIS5_EEEEEEvRNS_18TensorIteratorBaseERKT_EUlibE0_EEviT1_.num_named_barrier, 0
	.set _ZN2at6native32elementwise_kernel_manual_unrollILi128ELi4EZNS0_15gpu_kernel_implINS0_13BinaryFunctorIN3c1014Float8_e8m0fnuES5_bNS0_12_GLOBAL__N_116CompareEqFunctorIS5_EEEEEEvRNS_18TensorIteratorBaseERKT_EUlibE0_EEviT1_.private_seg_size, 0
	.set _ZN2at6native32elementwise_kernel_manual_unrollILi128ELi4EZNS0_15gpu_kernel_implINS0_13BinaryFunctorIN3c1014Float8_e8m0fnuES5_bNS0_12_GLOBAL__N_116CompareEqFunctorIS5_EEEEEEvRNS_18TensorIteratorBaseERKT_EUlibE0_EEviT1_.uses_vcc, 1
	.set _ZN2at6native32elementwise_kernel_manual_unrollILi128ELi4EZNS0_15gpu_kernel_implINS0_13BinaryFunctorIN3c1014Float8_e8m0fnuES5_bNS0_12_GLOBAL__N_116CompareEqFunctorIS5_EEEEEEvRNS_18TensorIteratorBaseERKT_EUlibE0_EEviT1_.uses_flat_scratch, 0
	.set _ZN2at6native32elementwise_kernel_manual_unrollILi128ELi4EZNS0_15gpu_kernel_implINS0_13BinaryFunctorIN3c1014Float8_e8m0fnuES5_bNS0_12_GLOBAL__N_116CompareEqFunctorIS5_EEEEEEvRNS_18TensorIteratorBaseERKT_EUlibE0_EEviT1_.has_dyn_sized_stack, 0
	.set _ZN2at6native32elementwise_kernel_manual_unrollILi128ELi4EZNS0_15gpu_kernel_implINS0_13BinaryFunctorIN3c1014Float8_e8m0fnuES5_bNS0_12_GLOBAL__N_116CompareEqFunctorIS5_EEEEEEvRNS_18TensorIteratorBaseERKT_EUlibE0_EEviT1_.has_recursion, 0
	.set _ZN2at6native32elementwise_kernel_manual_unrollILi128ELi4EZNS0_15gpu_kernel_implINS0_13BinaryFunctorIN3c1014Float8_e8m0fnuES5_bNS0_12_GLOBAL__N_116CompareEqFunctorIS5_EEEEEEvRNS_18TensorIteratorBaseERKT_EUlibE0_EEviT1_.has_indirect_call, 0
	.section	.AMDGPU.csdata,"",@progbits
; Kernel info:
; codeLenInByte = 91528
; TotalNumSgprs: 64
; NumVgprs: 26
; ScratchSize: 0
; MemoryBound: 0
; FloatMode: 240
; IeeeMode: 1
; LDSByteSize: 0 bytes/workgroup (compile time only)
; SGPRBlocks: 0
; VGPRBlocks: 1
; NumSGPRsForWavesPerEU: 64
; NumVGPRsForWavesPerEU: 26
; NamedBarCnt: 0
; Occupancy: 16
; WaveLimiterHint : 1
; COMPUTE_PGM_RSRC2:SCRATCH_EN: 0
; COMPUTE_PGM_RSRC2:USER_SGPR: 2
; COMPUTE_PGM_RSRC2:TRAP_HANDLER: 0
; COMPUTE_PGM_RSRC2:TGID_X_EN: 1
; COMPUTE_PGM_RSRC2:TGID_Y_EN: 0
; COMPUTE_PGM_RSRC2:TGID_Z_EN: 0
; COMPUTE_PGM_RSRC2:TIDIG_COMP_CNT: 0
	.section	.text._ZN2at6native29vectorized_elementwise_kernelILi16ENS0_13AUnaryFunctorIN3c1014Float8_e8m0fnuES4_bNS0_12_GLOBAL__N_116CompareEqFunctorIS4_EEEESt5arrayIPcLm2EEEEviT0_T1_,"axG",@progbits,_ZN2at6native29vectorized_elementwise_kernelILi16ENS0_13AUnaryFunctorIN3c1014Float8_e8m0fnuES4_bNS0_12_GLOBAL__N_116CompareEqFunctorIS4_EEEESt5arrayIPcLm2EEEEviT0_T1_,comdat
	.globl	_ZN2at6native29vectorized_elementwise_kernelILi16ENS0_13AUnaryFunctorIN3c1014Float8_e8m0fnuES4_bNS0_12_GLOBAL__N_116CompareEqFunctorIS4_EEEESt5arrayIPcLm2EEEEviT0_T1_ ; -- Begin function _ZN2at6native29vectorized_elementwise_kernelILi16ENS0_13AUnaryFunctorIN3c1014Float8_e8m0fnuES4_bNS0_12_GLOBAL__N_116CompareEqFunctorIS4_EEEESt5arrayIPcLm2EEEEviT0_T1_
	.p2align	8
	.type	_ZN2at6native29vectorized_elementwise_kernelILi16ENS0_13AUnaryFunctorIN3c1014Float8_e8m0fnuES4_bNS0_12_GLOBAL__N_116CompareEqFunctorIS4_EEEESt5arrayIPcLm2EEEEviT0_T1_,@function
_ZN2at6native29vectorized_elementwise_kernelILi16ENS0_13AUnaryFunctorIN3c1014Float8_e8m0fnuES4_bNS0_12_GLOBAL__N_116CompareEqFunctorIS4_EEEESt5arrayIPcLm2EEEEviT0_T1_: ; @_ZN2at6native29vectorized_elementwise_kernelILi16ENS0_13AUnaryFunctorIN3c1014Float8_e8m0fnuES4_bNS0_12_GLOBAL__N_116CompareEqFunctorIS4_EEEESt5arrayIPcLm2EEEEviT0_T1_
; %bb.0:
	s_clause 0x1
	s_load_b96 s[8:10], s[0:1], 0x0
	s_load_b128 s[4:7], s[0:1], 0x10
	s_wait_xcnt 0x0
	s_bfe_u32 s0, ttmp6, 0x4000c
	s_and_b32 s1, ttmp6, 15
	s_add_co_i32 s0, s0, 1
	s_getreg_b32 s2, hwreg(HW_REG_IB_STS2, 6, 4)
	s_mul_i32 s0, ttmp9, s0
	s_delay_alu instid0(SALU_CYCLE_1) | instskip(SKIP_2) | instid1(SALU_CYCLE_1)
	s_add_co_i32 s1, s1, s0
	s_cmp_eq_u32 s2, 0
	s_cselect_b32 s0, ttmp9, s1
	s_lshl_b32 s2, s0, 12
	s_mov_b32 s0, -1
	s_wait_kmcnt 0x0
	s_sub_co_i32 s8, s8, s2
	s_delay_alu instid0(SALU_CYCLE_1)
	s_cmp_gt_i32 s8, 0xfff
	s_cbranch_scc0 .LBB317_2
; %bb.1:
	s_ashr_i32 s3, s2, 31
	s_cmp_eq_u32 s9, 0
	s_add_nc_u64 s[0:1], s[6:7], s[2:3]
	s_cselect_b32 vcc_lo, -1, 0
	global_load_b128 v[2:5], v0, s[0:1] scale_offset
	s_wait_xcnt 0x0
	s_lshl_b32 s0, s10, 23
	s_and_b32 s1, s10, 0xff
	s_and_b32 s0, s0, 0x7f800000
	s_cmp_lg_u32 s1, 0xff
	s_add_nc_u64 s[12:13], s[4:5], s[2:3]
	s_cselect_b32 s0, s0, 0x7f800001
	s_cmp_lg_u32 s1, 0
	s_cselect_b32 s1, s0, 0x400000
	s_wait_loadcnt 0x0
	v_and_b32_e32 v1, 0xff, v2
	v_dual_lshrrev_b32 v6, 8, v2 :: v_dual_lshrrev_b32 v7, 16, v2
	v_dual_lshrrev_b32 v8, 24, v2 :: v_dual_lshrrev_b32 v10, 8, v3
	v_dual_lshlrev_b32 v21, 15, v2 :: v_dual_lshlrev_b32 v2, 7, v2
	s_delay_alu instid0(VALU_DEP_3) | instskip(NEXT) | instid1(VALU_DEP_3)
	v_and_b32_e32 v6, 0xff, v6
	v_dual_lshlrev_b32 v25, 23, v1 :: v_dual_lshlrev_b32 v26, 23, v8
	v_cmp_ne_u16_e64 s0, 0xff, v1
	v_and_b32_e32 v7, 0xff, v7
	v_and_b32_e32 v21, 0x7f800000, v21
	;; [unrolled: 1-line block ×4, first 2 shown]
	v_cndmask_b32_e64 v25, 0x7f800001, v25, s0
	v_cmp_ne_u16_e64 s0, 0xff, v6
	v_dual_lshrrev_b32 v11, 16, v3 :: v_dual_lshrrev_b32 v12, 24, v3
	v_dual_lshlrev_b32 v22, 15, v3 :: v_dual_lshlrev_b32 v3, 7, v3
	s_delay_alu instid0(VALU_DEP_3) | instskip(SKIP_4) | instid1(VALU_DEP_4)
	v_cndmask_b32_e64 v21, 0x7f800001, v21, s0
	v_cmp_ne_u16_e64 s0, 0xff, v7
	v_and_b32_e32 v10, 0xff, v10
	v_dual_lshlrev_b32 v27, 23, v9 :: v_dual_lshlrev_b32 v28, 23, v12
	v_and_b32_e32 v11, 0xff, v11
	v_cndmask_b32_e64 v2, 0x7f800001, v2, s0
	v_cmp_ne_u16_e64 s0, 0xff, v8
	v_and_b32_e32 v22, 0x7f800000, v22
	v_and_b32_e32 v3, 0x7f800000, v3
	;; [unrolled: 1-line block ×3, first 2 shown]
	v_dual_lshrrev_b32 v14, 8, v4 :: v_dual_lshrrev_b32 v15, 16, v4
	v_cndmask_b32_e64 v26, 0x7f800001, v26, s0
	v_cmp_ne_u16_e64 s0, 0xff, v9
	v_dual_lshrrev_b32 v16, 24, v4 :: v_dual_lshrrev_b32 v18, 8, v5
	v_dual_lshlrev_b32 v23, 15, v4 :: v_dual_lshlrev_b32 v4, 7, v4
	s_delay_alu instid0(VALU_DEP_3) | instskip(SKIP_4) | instid1(VALU_DEP_4)
	v_cndmask_b32_e64 v27, 0x7f800001, v27, s0
	v_cmp_ne_u16_e64 s0, 0xff, v10
	v_and_b32_e32 v14, 0xff, v14
	v_dual_lshlrev_b32 v29, 23, v13 :: v_dual_lshlrev_b32 v30, 23, v16
	v_and_b32_e32 v15, 0xff, v15
	v_cndmask_b32_e64 v22, 0x7f800001, v22, s0
	v_cmp_ne_u16_e64 s0, 0xff, v11
	v_and_b32_e32 v23, 0x7f800000, v23
	v_and_b32_e32 v4, 0x7f800000, v4
	;; [unrolled: 1-line block ×3, first 2 shown]
	v_dual_lshrrev_b32 v19, 16, v5 :: v_dual_lshrrev_b32 v20, 24, v5
	v_cndmask_b32_e64 v3, 0x7f800001, v3, s0
	v_cmp_ne_u16_e64 s0, 0xff, v12
	v_dual_lshlrev_b32 v24, 15, v5 :: v_dual_lshlrev_b32 v5, 7, v5
	v_and_b32_e32 v18, 0xff, v18
	v_dual_lshlrev_b32 v31, 23, v17 :: v_dual_lshlrev_b32 v32, 23, v20
	s_delay_alu instid0(VALU_DEP_4) | instskip(SKIP_4) | instid1(VALU_DEP_4)
	v_cndmask_b32_e64 v28, 0x7f800001, v28, s0
	v_cmp_ne_u16_e64 s0, 0xff, v13
	v_and_b32_e32 v19, 0xff, v19
	v_and_b32_e32 v24, 0x7f800000, v24
	;; [unrolled: 1-line block ×3, first 2 shown]
	v_cndmask_b32_e64 v29, 0x7f800001, v29, s0
	v_cmp_ne_u16_e64 s0, 0xff, v14
	s_delay_alu instid0(VALU_DEP_1) | instskip(SKIP_1) | instid1(VALU_DEP_1)
	v_cndmask_b32_e64 v23, 0x7f800001, v23, s0
	v_cmp_ne_u16_e64 s0, 0xff, v15
	v_cndmask_b32_e64 v4, 0x7f800001, v4, s0
	v_cmp_ne_u16_e64 s0, 0xff, v16
	s_delay_alu instid0(VALU_DEP_1) | instskip(SKIP_1) | instid1(VALU_DEP_1)
	v_cndmask_b32_e64 v30, 0x7f800001, v30, s0
	v_cmp_ne_u16_e64 s0, 0xff, v17
	;; [unrolled: 5-line block ×11, first 2 shown]
	v_cndmask_b32_e64 v5, 0x400000, v5, s0
	v_cmp_ne_u16_e64 s0, 0, v20
	s_delay_alu instid0(VALU_DEP_1) | instskip(SKIP_1) | instid1(VALU_DEP_1)
	v_cndmask_b32_e64 v16, 0x400000, v32, s0
	v_cmp_eq_f32_e64 s0, s1, v1
	v_cndmask_b32_e64 v17, 0, 1, s0
	v_cmp_neq_f32_e64 s0, s1, v1
	s_delay_alu instid0(VALU_DEP_1) | instskip(SKIP_1) | instid1(VALU_DEP_1)
	v_cndmask_b32_e64 v1, 0, 1, s0
	v_cmp_eq_f32_e64 s0, s1, v6
	v_cndmask_b32_e64 v18, 0, 1, s0
	v_cmp_neq_f32_e64 s0, s1, v6
	s_delay_alu instid0(VALU_DEP_1) | instskip(SKIP_1) | instid1(VALU_DEP_2)
	v_cndmask_b32_e64 v6, 0, 1, s0
	v_cmp_eq_f32_e64 s0, s1, v2
	v_dual_cndmask_b32 v1, v1, v17 :: v_dual_cndmask_b32 v6, v6, v18
	s_delay_alu instid0(VALU_DEP_2) | instskip(SKIP_1) | instid1(VALU_DEP_1)
	v_cndmask_b32_e64 v19, 0, 1, s0
	v_cmp_neq_f32_e64 s0, s1, v2
	v_cndmask_b32_e64 v2, 0, 1, s0
	v_cmp_eq_f32_e64 s0, s1, v7
	s_delay_alu instid0(VALU_DEP_1) | instskip(SKIP_1) | instid1(VALU_DEP_1)
	v_cndmask_b32_e64 v20, 0, 1, s0
	v_cmp_neq_f32_e64 s0, s1, v7
	v_cndmask_b32_e64 v7, 0, 1, s0
	v_cmp_eq_f32_e64 s0, s1, v8
	s_delay_alu instid0(VALU_DEP_2) | instskip(NEXT) | instid1(VALU_DEP_2)
	v_dual_cndmask_b32 v2, v2, v19 :: v_dual_cndmask_b32 v7, v7, v20
	v_cndmask_b32_e64 v21, 0, 1, s0
	v_cmp_neq_f32_e64 s0, s1, v8
	s_delay_alu instid0(VALU_DEP_1) | instskip(SKIP_1) | instid1(VALU_DEP_1)
	v_cndmask_b32_e64 v8, 0, 1, s0
	v_cmp_eq_f32_e64 s0, s1, v9
	v_cndmask_b32_e64 v22, 0, 1, s0
	v_cmp_neq_f32_e64 s0, s1, v9
	s_delay_alu instid0(VALU_DEP_1) | instskip(SKIP_1) | instid1(VALU_DEP_2)
	v_cndmask_b32_e64 v9, 0, 1, s0
	v_cmp_eq_f32_e64 s0, s1, v3
	v_dual_cndmask_b32 v8, v8, v21 :: v_dual_cndmask_b32 v9, v9, v22
	s_delay_alu instid0(VALU_DEP_2) | instskip(SKIP_1) | instid1(VALU_DEP_1)
	v_cndmask_b32_e64 v23, 0, 1, s0
	v_cmp_neq_f32_e64 s0, s1, v3
	v_cndmask_b32_e64 v3, 0, 1, s0
	v_cmp_eq_f32_e64 s0, s1, v10
	s_delay_alu instid0(VALU_DEP_1) | instskip(SKIP_1) | instid1(VALU_DEP_1)
	v_cndmask_b32_e64 v24, 0, 1, s0
	v_cmp_neq_f32_e64 s0, s1, v10
	v_cndmask_b32_e64 v10, 0, 1, s0
	v_cmp_eq_f32_e64 s0, s1, v11
	s_delay_alu instid0(VALU_DEP_2) | instskip(NEXT) | instid1(VALU_DEP_2)
	v_dual_cndmask_b32 v3, v3, v23 :: v_dual_cndmask_b32 v10, v10, v24
	v_cndmask_b32_e64 v25, 0, 1, s0
	v_cmp_neq_f32_e64 s0, s1, v11
	s_delay_alu instid0(VALU_DEP_3) | instskip(NEXT) | instid1(VALU_DEP_2)
	v_and_b32_e32 v10, 1, v10
	v_cndmask_b32_e64 v11, 0, 1, s0
	v_cmp_eq_f32_e64 s0, s1, v12
	s_delay_alu instid0(VALU_DEP_3) | instskip(NEXT) | instid1(VALU_DEP_2)
	v_lshlrev_b16 v10, 8, v10
	v_cndmask_b32_e64 v26, 0, 1, s0
	v_cmp_neq_f32_e64 s0, s1, v12
	s_delay_alu instid0(VALU_DEP_3) | instskip(SKIP_1) | instid1(VALU_DEP_3)
	v_bitop3_b16 v3, v3, v10, 1 bitop3:0xec
	v_and_b32_e32 v9, 1, v9
	v_cndmask_b32_e64 v12, 0, 1, s0
	v_cmp_eq_f32_e64 s0, s1, v4
	s_delay_alu instid0(VALU_DEP_4) | instskip(NEXT) | instid1(VALU_DEP_4)
	v_dual_cndmask_b32 v11, v11, v25, vcc_lo :: v_dual_lshlrev_b32 v3, 16, v3
	v_lshlrev_b16 v9, 8, v9
	s_delay_alu instid0(VALU_DEP_4) | instskip(NEXT) | instid1(VALU_DEP_4)
	v_cndmask_b32_e32 v12, v12, v26, vcc_lo
	v_cndmask_b32_e64 v27, 0, 1, s0
	v_cmp_neq_f32_e64 s0, s1, v4
	s_delay_alu instid0(VALU_DEP_4) | instskip(NEXT) | instid1(VALU_DEP_4)
	v_bitop3_b16 v8, v8, v9, 1 bitop3:0xec
	v_and_b32_e32 v12, 1, v12
	s_delay_alu instid0(VALU_DEP_3) | instskip(SKIP_1) | instid1(VALU_DEP_4)
	v_cndmask_b32_e64 v4, 0, 1, s0
	v_cmp_eq_f32_e64 s0, s1, v13
	v_and_b32_e32 v8, 0xffff, v8
	s_delay_alu instid0(VALU_DEP_4) | instskip(NEXT) | instid1(VALU_DEP_3)
	v_lshlrev_b16 v12, 8, v12
	v_cndmask_b32_e64 v28, 0, 1, s0
	v_cmp_neq_f32_e64 s0, s1, v13
	s_delay_alu instid0(VALU_DEP_3) | instskip(SKIP_1) | instid1(VALU_DEP_3)
	v_bitop3_b16 v11, v11, v12, 1 bitop3:0xec
	v_or_b32_e32 v3, v8, v3
	v_cndmask_b32_e64 v13, 0, 1, s0
	v_cmp_eq_f32_e64 s0, s1, v14
	s_delay_alu instid0(VALU_DEP_2) | instskip(NEXT) | instid1(VALU_DEP_2)
	v_dual_cndmask_b32 v4, v4, v27 :: v_dual_cndmask_b32 v13, v13, v28
	v_cndmask_b32_e64 v29, 0, 1, s0
	v_cmp_neq_f32_e64 s0, s1, v14
	s_delay_alu instid0(VALU_DEP_3) | instskip(NEXT) | instid1(VALU_DEP_2)
	v_and_b32_e32 v13, 1, v13
	v_cndmask_b32_e64 v14, 0, 1, s0
	v_cmp_eq_f32_e64 s0, s1, v15
	s_delay_alu instid0(VALU_DEP_3) | instskip(NEXT) | instid1(VALU_DEP_2)
	v_lshlrev_b16 v13, 8, v13
	v_cndmask_b32_e64 v30, 0, 1, s0
	v_cmp_neq_f32_e64 s0, s1, v15
	s_delay_alu instid0(VALU_DEP_3) | instskip(SKIP_1) | instid1(VALU_DEP_3)
	v_bitop3_b16 v4, v4, v13, 1 bitop3:0xec
	v_and_b32_e32 v7, 1, v7
	v_cndmask_b32_e64 v15, 0, 1, s0
	v_cmp_eq_f32_e64 s0, s1, v5
	s_delay_alu instid0(VALU_DEP_4) | instskip(NEXT) | instid1(VALU_DEP_4)
	v_dual_cndmask_b32 v14, v14, v29, vcc_lo :: v_dual_lshlrev_b32 v4, 16, v4
	v_lshlrev_b16 v7, 8, v7
	s_delay_alu instid0(VALU_DEP_4) | instskip(NEXT) | instid1(VALU_DEP_4)
	v_cndmask_b32_e32 v15, v15, v30, vcc_lo
	v_cndmask_b32_e64 v31, 0, 1, s0
	v_cmp_neq_f32_e64 s0, s1, v5
	s_delay_alu instid0(VALU_DEP_4) | instskip(NEXT) | instid1(VALU_DEP_4)
	v_bitop3_b16 v2, v2, v7, 1 bitop3:0xec
	v_and_b32_e32 v15, 1, v15
	v_and_b32_e32 v7, 0xffff, v11
	s_delay_alu instid0(VALU_DEP_4) | instskip(SKIP_4) | instid1(VALU_DEP_4)
	v_cndmask_b32_e64 v5, 0, 1, s0
	v_cmp_eq_f32_e64 s0, s1, v16
	v_lshlrev_b32_e32 v2, 16, v2
	v_lshlrev_b16 v15, 8, v15
	v_or_b32_e32 v4, v7, v4
	v_cndmask_b32_e64 v32, 0, 1, s0
	v_cmp_neq_f32_e64 s0, s1, v16
	s_delay_alu instid0(VALU_DEP_4) | instskip(NEXT) | instid1(VALU_DEP_2)
	v_bitop3_b16 v14, v14, v15, 1 bitop3:0xec
	v_cndmask_b32_e64 v16, 0, 1, s0
	v_cndmask_b32_e32 v5, v5, v31, vcc_lo
	s_mov_b32 s0, 0
	s_delay_alu instid0(VALU_DEP_2) | instskip(NEXT) | instid1(VALU_DEP_1)
	v_cndmask_b32_e32 v16, v16, v32, vcc_lo
	v_and_b32_e32 v16, 1, v16
	s_delay_alu instid0(VALU_DEP_1) | instskip(NEXT) | instid1(VALU_DEP_1)
	v_lshlrev_b16 v16, 8, v16
	v_bitop3_b16 v5, v5, v16, 1 bitop3:0xec
	s_delay_alu instid0(VALU_DEP_1) | instskip(NEXT) | instid1(VALU_DEP_1)
	v_dual_lshlrev_b32 v5, 16, v5 :: v_dual_bitop2_b32 v6, 1, v6 bitop3:0x40
	v_lshlrev_b16 v6, 8, v6
	s_delay_alu instid0(VALU_DEP_1) | instskip(SKIP_1) | instid1(VALU_DEP_2)
	v_bitop3_b16 v1, v1, v6, 1 bitop3:0xec
	v_and_b32_e32 v6, 0xffff, v14
	v_and_b32_e32 v1, 0xffff, v1
	s_delay_alu instid0(VALU_DEP_2) | instskip(NEXT) | instid1(VALU_DEP_2)
	v_or_b32_e32 v5, v6, v5
	v_or_b32_e32 v2, v1, v2
	global_store_b128 v0, v[2:5], s[12:13] scale_offset
.LBB317_2:
	s_and_not1_b32 vcc_lo, exec_lo, s0
	s_cbranch_vccnz .LBB317_83
; %bb.3:
	v_cmp_gt_i32_e32 vcc_lo, s8, v0
	s_wait_xcnt 0x0
	v_dual_mov_b32 v2, 0 :: v_dual_bitop2_b32 v8, s2, v0 bitop3:0x54
	v_or_b32_e32 v9, 0x100, v0
	v_dual_mov_b32 v10, 0 :: v_dual_mov_b32 v11, 0
	v_dual_mov_b32 v12, 0 :: v_dual_mov_b32 v13, 0
	;; [unrolled: 1-line block ×8, first 2 shown]
	s_and_saveexec_b32 s1, vcc_lo
	s_cbranch_execz .LBB317_35
; %bb.4:
	global_load_u8 v23, v8, s[6:7]
	v_or_b32_e32 v1, 0x100, v0
	v_dual_mov_b32 v22, 0 :: v_dual_mov_b32 v5, 0
	v_dual_mov_b32 v6, 0 :: v_dual_mov_b32 v21, 0
	;; [unrolled: 1-line block ×7, first 2 shown]
	v_mov_b32_e32 v10, 0
	s_mov_b32 s3, exec_lo
	s_wait_xcnt 0x0
	v_cmpx_gt_u32_e64 s8, v1
	s_cbranch_execz .LBB317_34
; %bb.5:
	v_dual_mov_b32 v5, 0 :: v_dual_add_nc_u32 v4, s2, v0
	v_or_b32_e32 v1, 0x200, v0
	v_dual_mov_b32 v6, 0 :: v_dual_mov_b32 v21, 0
	global_load_u8 v22, v4, s[6:7] offset:256
	v_dual_mov_b32 v20, 0 :: v_dual_mov_b32 v19, 0
	v_dual_mov_b32 v18, 0 :: v_dual_mov_b32 v17, 0
	;; [unrolled: 1-line block ×5, first 2 shown]
	v_mov_b32_e32 v10, 0
	s_mov_b32 s11, exec_lo
	s_wait_xcnt 0x0
	v_cmpx_gt_u32_e64 s8, v1
	s_cbranch_execz .LBB317_33
; %bb.6:
	v_add_nc_u64_e32 v[6:7], s[6:7], v[4:5]
	v_or_b32_e32 v3, 0x300, v0
	v_dual_mov_b32 v21, 0 :: v_dual_mov_b32 v20, 0
	v_dual_mov_b32 v19, 0 :: v_dual_mov_b32 v18, 0
	;; [unrolled: 1-line block ×3, first 2 shown]
	global_load_u8 v1, v[6:7], off offset:512
	v_dual_mov_b32 v15, 0 :: v_dual_mov_b32 v14, 0
	v_dual_mov_b32 v13, 0 :: v_dual_mov_b32 v12, 0
	;; [unrolled: 1-line block ×3, first 2 shown]
	s_mov_b32 s6, exec_lo
	s_wait_xcnt 0x0
	v_cmpx_gt_u32_e64 s8, v3
	s_cbranch_execz .LBB317_32
; %bb.7:
	global_load_u8 v5, v[6:7], off offset:768
	v_or_b32_e32 v3, 0x400, v0
	v_dual_mov_b32 v21, 0 :: v_dual_mov_b32 v20, 0
	v_dual_mov_b32 v19, 0 :: v_dual_mov_b32 v18, 0
	v_dual_mov_b32 v17, 0 :: v_dual_mov_b32 v16, 0
	v_dual_mov_b32 v15, 0 :: v_dual_mov_b32 v14, 0
	v_dual_mov_b32 v13, 0 :: v_dual_mov_b32 v12, 0
	v_dual_mov_b32 v11, 0 :: v_dual_mov_b32 v10, 0
	s_mov_b32 s7, exec_lo
	s_wait_xcnt 0x0
	v_cmpx_gt_u32_e64 s8, v3
	s_cbranch_execz .LBB317_31
; %bb.8:
	global_load_u8 v21, v[6:7], off offset:1024
	v_or_b32_e32 v3, 0x500, v0
	v_dual_mov_b32 v20, 0 :: v_dual_mov_b32 v19, 0
	v_dual_mov_b32 v18, 0 :: v_dual_mov_b32 v17, 0
	;; [unrolled: 1-line block ×5, first 2 shown]
	v_mov_b32_e32 v10, 0
	s_mov_b32 s12, exec_lo
	s_wait_xcnt 0x0
	v_cmpx_gt_u32_e64 s8, v3
	s_cbranch_execz .LBB317_30
; %bb.9:
	global_load_u8 v20, v[6:7], off offset:1280
	v_or_b32_e32 v3, 0x600, v0
	v_dual_mov_b32 v19, 0 :: v_dual_mov_b32 v18, 0
	v_dual_mov_b32 v17, 0 :: v_dual_mov_b32 v16, 0
	;; [unrolled: 1-line block ×5, first 2 shown]
	s_mov_b32 s13, exec_lo
	s_wait_xcnt 0x0
	v_cmpx_gt_u32_e64 s8, v3
	s_cbranch_execz .LBB317_29
; %bb.10:
	global_load_u8 v19, v[6:7], off offset:1536
	v_or_b32_e32 v3, 0x700, v0
	v_dual_mov_b32 v18, 0 :: v_dual_mov_b32 v17, 0
	v_dual_mov_b32 v16, 0 :: v_dual_mov_b32 v15, 0
	;; [unrolled: 1-line block ×4, first 2 shown]
	v_mov_b32_e32 v10, 0
	s_mov_b32 s14, exec_lo
	s_wait_xcnt 0x0
	v_cmpx_gt_u32_e64 s8, v3
	s_cbranch_execz .LBB317_28
; %bb.11:
	global_load_u8 v18, v[6:7], off offset:1792
	v_or_b32_e32 v3, 0x800, v0
	v_dual_mov_b32 v17, 0 :: v_dual_mov_b32 v16, 0
	v_dual_mov_b32 v15, 0 :: v_dual_mov_b32 v14, 0
	;; [unrolled: 1-line block ×4, first 2 shown]
	s_mov_b32 s15, exec_lo
	s_wait_xcnt 0x0
	v_cmpx_gt_u32_e64 s8, v3
	s_cbranch_execz .LBB317_27
; %bb.12:
	global_load_u8 v17, v[6:7], off offset:2048
	v_or_b32_e32 v3, 0x900, v0
	v_dual_mov_b32 v16, 0 :: v_dual_mov_b32 v15, 0
	v_dual_mov_b32 v14, 0 :: v_dual_mov_b32 v13, 0
	;; [unrolled: 1-line block ×3, first 2 shown]
	v_mov_b32_e32 v10, 0
	s_mov_b32 s16, exec_lo
	s_wait_xcnt 0x0
	v_cmpx_gt_u32_e64 s8, v3
	s_cbranch_execz .LBB317_26
; %bb.13:
	global_load_u8 v16, v[6:7], off offset:2304
	v_or_b32_e32 v3, 0xa00, v0
	v_dual_mov_b32 v15, 0 :: v_dual_mov_b32 v14, 0
	v_dual_mov_b32 v13, 0 :: v_dual_mov_b32 v12, 0
	;; [unrolled: 1-line block ×3, first 2 shown]
	s_mov_b32 s17, exec_lo
	s_wait_xcnt 0x0
	v_cmpx_gt_u32_e64 s8, v3
	s_cbranch_execz .LBB317_25
; %bb.14:
	global_load_u8 v15, v[6:7], off offset:2560
	v_or_b32_e32 v3, 0xb00, v0
	v_dual_mov_b32 v14, 0 :: v_dual_mov_b32 v13, 0
	v_dual_mov_b32 v12, 0 :: v_dual_mov_b32 v11, 0
	v_mov_b32_e32 v10, 0
	s_mov_b32 s18, exec_lo
	s_wait_xcnt 0x0
	v_cmpx_gt_u32_e64 s8, v3
	s_cbranch_execz .LBB317_24
; %bb.15:
	global_load_u8 v14, v[6:7], off offset:2816
	v_or_b32_e32 v3, 0xc00, v0
	v_dual_mov_b32 v13, 0 :: v_dual_mov_b32 v12, 0
	v_dual_mov_b32 v11, 0 :: v_dual_mov_b32 v10, 0
	s_mov_b32 s19, exec_lo
	s_wait_xcnt 0x0
	v_cmpx_gt_u32_e64 s8, v3
	s_cbranch_execz .LBB317_23
; %bb.16:
	global_load_u8 v13, v[6:7], off offset:3072
	v_or_b32_e32 v3, 0xd00, v0
	v_dual_mov_b32 v12, 0 :: v_dual_mov_b32 v11, 0
	v_mov_b32_e32 v10, 0
	s_mov_b32 s20, exec_lo
	s_wait_xcnt 0x0
	v_cmpx_gt_u32_e64 s8, v3
	s_cbranch_execz .LBB317_22
; %bb.17:
	global_load_u8 v12, v[6:7], off offset:3328
	v_or_b32_e32 v3, 0xe00, v0
	v_dual_mov_b32 v11, 0 :: v_dual_mov_b32 v10, 0
	s_mov_b32 s21, exec_lo
	s_wait_xcnt 0x0
	s_delay_alu instid0(VALU_DEP_2)
	v_cmpx_gt_u32_e64 s8, v3
	s_cbranch_execz .LBB317_21
; %bb.18:
	global_load_u8 v11, v[6:7], off offset:3584
	v_or_b32_e32 v3, 0xf00, v0
	v_mov_b32_e32 v10, 0
	s_mov_b32 s22, exec_lo
	s_wait_xcnt 0x0
	s_delay_alu instid0(VALU_DEP_2)
	v_cmpx_gt_u32_e64 s8, v3
	s_cbranch_execz .LBB317_20
; %bb.19:
	global_load_u8 v10, v[6:7], off offset:3840
.LBB317_20:
	s_wait_xcnt 0x0
	s_or_b32 exec_lo, exec_lo, s22
.LBB317_21:
	s_delay_alu instid0(SALU_CYCLE_1)
	s_or_b32 exec_lo, exec_lo, s21
.LBB317_22:
	s_delay_alu instid0(SALU_CYCLE_1)
	s_or_b32 exec_lo, exec_lo, s20
.LBB317_23:
	s_delay_alu instid0(SALU_CYCLE_1)
	s_or_b32 exec_lo, exec_lo, s19
.LBB317_24:
	s_delay_alu instid0(SALU_CYCLE_1)
	s_or_b32 exec_lo, exec_lo, s18
.LBB317_25:
	s_delay_alu instid0(SALU_CYCLE_1)
	s_or_b32 exec_lo, exec_lo, s17
.LBB317_26:
	s_delay_alu instid0(SALU_CYCLE_1)
	s_or_b32 exec_lo, exec_lo, s16
.LBB317_27:
	s_delay_alu instid0(SALU_CYCLE_1)
	s_or_b32 exec_lo, exec_lo, s15
.LBB317_28:
	s_delay_alu instid0(SALU_CYCLE_1)
	s_or_b32 exec_lo, exec_lo, s14
.LBB317_29:
	s_delay_alu instid0(SALU_CYCLE_1)
	s_or_b32 exec_lo, exec_lo, s13
.LBB317_30:
	s_delay_alu instid0(SALU_CYCLE_1)
	s_or_b32 exec_lo, exec_lo, s12
.LBB317_31:
	s_delay_alu instid0(SALU_CYCLE_1)
	s_or_b32 exec_lo, exec_lo, s7
.LBB317_32:
	s_delay_alu instid0(SALU_CYCLE_1)
	s_or_b32 exec_lo, exec_lo, s6
	s_wait_loadcnt 0x0
	v_dual_mov_b32 v6, v5 :: v_dual_mov_b32 v5, v1
.LBB317_33:
	s_or_b32 exec_lo, exec_lo, s11
.LBB317_34:
	s_delay_alu instid0(SALU_CYCLE_1)
	s_or_b32 exec_lo, exec_lo, s3
.LBB317_35:
	s_delay_alu instid0(SALU_CYCLE_1)
	s_or_b32 exec_lo, exec_lo, s1
	s_cmp_eq_u32 s9, 0
	v_dual_mov_b32 v1, v2 :: v_dual_mov_b32 v4, v2
	s_cselect_b32 s0, -1, 0
	s_lshl_b32 s1, s10, 23
	s_and_b32 s3, s10, 0xff
	s_and_b32 s1, s1, 0x7f800000
	s_cmp_lg_u32 s3, 0xff
	v_mov_b32_e32 v3, v2
	s_cselect_b32 s1, s1, 0x7f800001
	s_cmp_lg_u32 s3, 0
	s_cselect_b32 s3, s1, 0x400000
	s_and_saveexec_b32 s6, vcc_lo
	s_cbranch_execz .LBB317_37
; %bb.36:
	s_wait_loadcnt 0x0
	v_and_b32_e32 v1, 0xff, v23
	s_delay_alu instid0(VALU_DEP_1) | instskip(SKIP_1) | instid1(VALU_DEP_1)
	v_lshlrev_b32_e32 v2, 23, v1
	v_cmp_ne_u16_e64 s1, 0xff, v1
	v_cndmask_b32_e64 v2, 0x7f800001, v2, s1
	v_cmp_ne_u16_e64 s1, 0, v1
	s_delay_alu instid0(VALU_DEP_1) | instskip(NEXT) | instid1(VALU_DEP_1)
	v_cndmask_b32_e64 v1, 0x400000, v2, s1
	v_cmp_eq_f32_e64 s1, s3, v1
	s_delay_alu instid0(VALU_DEP_1) | instskip(SKIP_1) | instid1(VALU_DEP_1)
	v_cndmask_b32_e64 v2, 0, 1, s1
	v_cmp_neq_f32_e64 s1, s3, v1
	v_cndmask_b32_e64 v1, 0, 1, s1
	s_delay_alu instid0(VALU_DEP_1) | instskip(NEXT) | instid1(VALU_DEP_1)
	v_dual_cndmask_b32 v2, v1, v2, s0 :: v_dual_mov_b32 v1, 0
	v_dual_mov_b32 v4, v1 :: v_dual_bitop2_b32 v2, 1, v2 bitop3:0x40
	v_mov_b32_e32 v3, v1
	s_delay_alu instid0(VALU_DEP_2)
	v_and_b32_e32 v2, 0xffff, v2
.LBB317_37:
	s_or_b32 exec_lo, exec_lo, s6
	s_delay_alu instid0(SALU_CYCLE_1)
	s_mov_b32 s6, exec_lo
	v_cmpx_gt_i32_e64 s8, v9
	s_cbranch_execz .LBB317_39
; %bb.38:
	s_wait_loadcnt 0x0
	v_and_b32_e32 v7, 0xff, v22
	s_delay_alu instid0(VALU_DEP_1) | instskip(SKIP_1) | instid1(VALU_DEP_1)
	v_lshlrev_b32_e32 v22, 23, v7
	v_cmp_ne_u16_e64 s1, 0xff, v7
	v_cndmask_b32_e64 v22, 0x7f800001, v22, s1
	v_cmp_ne_u16_e64 s1, 0, v7
	s_delay_alu instid0(VALU_DEP_1) | instskip(NEXT) | instid1(VALU_DEP_1)
	v_cndmask_b32_e64 v7, 0x400000, v22, s1
	v_cmp_eq_f32_e64 s1, s3, v7
	s_delay_alu instid0(VALU_DEP_1) | instskip(SKIP_1) | instid1(VALU_DEP_1)
	v_cndmask_b32_e64 v22, 0, 1, s1
	v_cmp_neq_f32_e64 s1, s3, v7
	v_cndmask_b32_e64 v7, 0, 1, s1
	s_delay_alu instid0(VALU_DEP_1) | instskip(NEXT) | instid1(VALU_DEP_1)
	v_cndmask_b32_e64 v7, v7, v22, s0
	v_and_b32_e32 v7, 1, v7
	s_delay_alu instid0(VALU_DEP_1) | instskip(NEXT) | instid1(VALU_DEP_1)
	v_lshlrev_b16 v7, 8, v7
	v_bitop3_b16 v7, v2, v7, 0xff bitop3:0xec
	s_delay_alu instid0(VALU_DEP_1) | instskip(NEXT) | instid1(VALU_DEP_1)
	v_and_b32_e32 v7, 0xffff, v7
	v_and_or_b32 v2, 0xffff0000, v2, v7
.LBB317_39:
	s_or_b32 exec_lo, exec_lo, s6
	v_or_b32_e32 v7, 0x200, v0
	s_mov_b32 s6, exec_lo
	s_delay_alu instid0(VALU_DEP_1)
	v_cmpx_gt_i32_e64 s8, v7
	s_cbranch_execz .LBB317_41
; %bb.40:
	v_and_b32_e32 v5, 0xff, v5
	s_delay_alu instid0(VALU_DEP_1) | instskip(SKIP_1) | instid1(VALU_DEP_1)
	v_lshlrev_b32_e32 v7, 23, v5
	v_cmp_ne_u16_e64 s1, 0xff, v5
	v_cndmask_b32_e64 v7, 0x7f800001, v7, s1
	v_cmp_ne_u16_e64 s1, 0, v5
	s_delay_alu instid0(VALU_DEP_1) | instskip(SKIP_1) | instid1(VALU_DEP_2)
	v_cndmask_b32_e64 v5, 0x400000, v7, s1
	v_lshrrev_b32_e32 v7, 16, v2
	v_cmp_eq_f32_e64 s1, s3, v5
	s_delay_alu instid0(VALU_DEP_2) | instskip(SKIP_1) | instid1(VALU_DEP_2)
	v_and_b32_e32 v7, 0xffffff00, v7
	s_wait_loadcnt 0x0
	v_cndmask_b32_e64 v22, 0, 1, s1
	v_cmp_neq_f32_e64 s1, s3, v5
	s_delay_alu instid0(VALU_DEP_1) | instskip(NEXT) | instid1(VALU_DEP_1)
	v_cndmask_b32_e64 v5, 0, 1, s1
	v_cndmask_b32_e64 v5, v5, v22, s0
	s_delay_alu instid0(VALU_DEP_1) | instskip(NEXT) | instid1(VALU_DEP_1)
	v_bitop3_b16 v5, v5, v7, 1 bitop3:0xec
	v_lshlrev_b32_e32 v5, 16, v5
	s_delay_alu instid0(VALU_DEP_1)
	v_and_or_b32 v2, 0xffff, v2, v5
.LBB317_41:
	s_or_b32 exec_lo, exec_lo, s6
	v_or_b32_e32 v5, 0x300, v0
	s_mov_b32 s6, exec_lo
	s_delay_alu instid0(VALU_DEP_1)
	v_cmpx_gt_i32_e64 s8, v5
	s_cbranch_execz .LBB317_43
; %bb.42:
	v_and_b32_e32 v5, 0xff, v6
	s_delay_alu instid0(VALU_DEP_1) | instskip(SKIP_1) | instid1(VALU_DEP_1)
	v_lshlrev_b32_e32 v6, 23, v5
	v_cmp_ne_u16_e64 s1, 0xff, v5
	v_cndmask_b32_e64 v6, 0x7f800001, v6, s1
	v_cmp_ne_u16_e64 s1, 0, v5
	s_delay_alu instid0(VALU_DEP_1) | instskip(NEXT) | instid1(VALU_DEP_1)
	v_cndmask_b32_e64 v5, 0x400000, v6, s1
	v_cmp_eq_f32_e64 s1, s3, v5
	s_delay_alu instid0(VALU_DEP_1) | instskip(SKIP_1) | instid1(VALU_DEP_1)
	v_cndmask_b32_e64 v6, 0, 1, s1
	v_cmp_neq_f32_e64 s1, s3, v5
	v_cndmask_b32_e64 v5, 0, 1, s1
	s_delay_alu instid0(VALU_DEP_1) | instskip(NEXT) | instid1(VALU_DEP_1)
	v_cndmask_b32_e64 v5, v5, v6, s0
	v_dual_lshrrev_b32 v6, 16, v2 :: v_dual_bitop2_b32 v5, 1, v5 bitop3:0x40
	s_delay_alu instid0(VALU_DEP_1) | instskip(NEXT) | instid1(VALU_DEP_1)
	v_lshlrev_b16 v5, 8, v5
	v_bitop3_b16 v5, v6, v5, 0xff bitop3:0xec
	s_delay_alu instid0(VALU_DEP_1) | instskip(NEXT) | instid1(VALU_DEP_1)
	v_lshlrev_b32_e32 v5, 16, v5
	v_and_or_b32 v2, 0xffff, v2, v5
.LBB317_43:
	s_or_b32 exec_lo, exec_lo, s6
	v_or_b32_e32 v5, 0x400, v0
	s_mov_b32 s6, exec_lo
	s_delay_alu instid0(VALU_DEP_1)
	v_cmpx_gt_i32_e64 s8, v5
	s_cbranch_execz .LBB317_45
; %bb.44:
	v_and_b32_e32 v5, 0xff, v21
	v_and_b32_e32 v7, 0xffffff00, v1
	s_delay_alu instid0(VALU_DEP_2) | instskip(SKIP_1) | instid1(VALU_DEP_1)
	v_lshlrev_b32_e32 v6, 23, v5
	v_cmp_ne_u16_e64 s1, 0xff, v5
	v_cndmask_b32_e64 v6, 0x7f800001, v6, s1
	v_cmp_ne_u16_e64 s1, 0, v5
	s_delay_alu instid0(VALU_DEP_1) | instskip(NEXT) | instid1(VALU_DEP_1)
	v_cndmask_b32_e64 v5, 0x400000, v6, s1
	v_cmp_eq_f32_e64 s1, s3, v5
	s_delay_alu instid0(VALU_DEP_1) | instskip(SKIP_1) | instid1(VALU_DEP_1)
	v_cndmask_b32_e64 v6, 0, 1, s1
	v_cmp_neq_f32_e64 s1, s3, v5
	v_cndmask_b32_e64 v5, 0, 1, s1
	s_delay_alu instid0(VALU_DEP_1) | instskip(NEXT) | instid1(VALU_DEP_1)
	v_cndmask_b32_e64 v5, v5, v6, s0
	v_bitop3_b16 v5, v5, v7, 1 bitop3:0xec
	s_delay_alu instid0(VALU_DEP_1) | instskip(NEXT) | instid1(VALU_DEP_1)
	v_and_b32_e32 v5, 0xffff, v5
	v_and_or_b32 v1, 0xffff0000, v1, v5
.LBB317_45:
	s_or_b32 exec_lo, exec_lo, s6
	v_or_b32_e32 v5, 0x500, v0
	s_mov_b32 s6, exec_lo
	s_delay_alu instid0(VALU_DEP_1)
	v_cmpx_gt_i32_e64 s8, v5
	s_cbranch_execz .LBB317_47
; %bb.46:
	v_and_b32_e32 v5, 0xff, v20
	s_delay_alu instid0(VALU_DEP_1) | instskip(SKIP_1) | instid1(VALU_DEP_1)
	v_lshlrev_b32_e32 v6, 23, v5
	v_cmp_ne_u16_e64 s1, 0xff, v5
	v_cndmask_b32_e64 v6, 0x7f800001, v6, s1
	v_cmp_ne_u16_e64 s1, 0, v5
	s_delay_alu instid0(VALU_DEP_1) | instskip(NEXT) | instid1(VALU_DEP_1)
	v_cndmask_b32_e64 v5, 0x400000, v6, s1
	v_cmp_eq_f32_e64 s1, s3, v5
	s_delay_alu instid0(VALU_DEP_1) | instskip(SKIP_1) | instid1(VALU_DEP_1)
	v_cndmask_b32_e64 v6, 0, 1, s1
	v_cmp_neq_f32_e64 s1, s3, v5
	v_cndmask_b32_e64 v5, 0, 1, s1
	s_delay_alu instid0(VALU_DEP_1) | instskip(NEXT) | instid1(VALU_DEP_1)
	v_cndmask_b32_e64 v5, v5, v6, s0
	v_and_b32_e32 v5, 1, v5
	s_delay_alu instid0(VALU_DEP_1) | instskip(NEXT) | instid1(VALU_DEP_1)
	v_lshlrev_b16 v5, 8, v5
	v_bitop3_b16 v5, v1, v5, 0xff bitop3:0xec
	s_delay_alu instid0(VALU_DEP_1) | instskip(NEXT) | instid1(VALU_DEP_1)
	v_and_b32_e32 v5, 0xffff, v5
	v_and_or_b32 v1, 0xffff0000, v1, v5
.LBB317_47:
	s_or_b32 exec_lo, exec_lo, s6
	v_or_b32_e32 v5, 0x600, v0
	s_mov_b32 s6, exec_lo
	s_delay_alu instid0(VALU_DEP_1)
	v_cmpx_gt_i32_e64 s8, v5
	s_cbranch_execz .LBB317_49
; %bb.48:
	v_and_b32_e32 v5, 0xff, v19
	s_delay_alu instid0(VALU_DEP_1) | instskip(SKIP_1) | instid1(VALU_DEP_1)
	v_lshlrev_b32_e32 v6, 23, v5
	v_cmp_ne_u16_e64 s1, 0xff, v5
	v_cndmask_b32_e64 v6, 0x7f800001, v6, s1
	v_cmp_ne_u16_e64 s1, 0, v5
	s_delay_alu instid0(VALU_DEP_1) | instskip(SKIP_1) | instid1(VALU_DEP_2)
	v_cndmask_b32_e64 v5, 0x400000, v6, s1
	v_lshrrev_b32_e32 v6, 16, v1
	v_cmp_eq_f32_e64 s1, s3, v5
	s_delay_alu instid0(VALU_DEP_2) | instskip(NEXT) | instid1(VALU_DEP_2)
	v_and_b32_e32 v6, 0xffffff00, v6
	v_cndmask_b32_e64 v7, 0, 1, s1
	v_cmp_neq_f32_e64 s1, s3, v5
	s_delay_alu instid0(VALU_DEP_1) | instskip(NEXT) | instid1(VALU_DEP_1)
	v_cndmask_b32_e64 v5, 0, 1, s1
	v_cndmask_b32_e64 v5, v5, v7, s0
	s_delay_alu instid0(VALU_DEP_1) | instskip(NEXT) | instid1(VALU_DEP_1)
	v_bitop3_b16 v5, v5, v6, 1 bitop3:0xec
	v_lshlrev_b32_e32 v5, 16, v5
	s_delay_alu instid0(VALU_DEP_1)
	v_and_or_b32 v1, 0xffff, v1, v5
.LBB317_49:
	s_or_b32 exec_lo, exec_lo, s6
	v_or_b32_e32 v5, 0x700, v0
	s_mov_b32 s6, exec_lo
	s_delay_alu instid0(VALU_DEP_1)
	v_cmpx_gt_i32_e64 s8, v5
	s_cbranch_execz .LBB317_51
; %bb.50:
	v_and_b32_e32 v5, 0xff, v18
	s_delay_alu instid0(VALU_DEP_1) | instskip(SKIP_1) | instid1(VALU_DEP_1)
	v_lshlrev_b32_e32 v6, 23, v5
	v_cmp_ne_u16_e64 s1, 0xff, v5
	v_cndmask_b32_e64 v6, 0x7f800001, v6, s1
	v_cmp_ne_u16_e64 s1, 0, v5
	s_delay_alu instid0(VALU_DEP_1) | instskip(NEXT) | instid1(VALU_DEP_1)
	v_cndmask_b32_e64 v5, 0x400000, v6, s1
	v_cmp_eq_f32_e64 s1, s3, v5
	s_delay_alu instid0(VALU_DEP_1) | instskip(SKIP_1) | instid1(VALU_DEP_1)
	v_cndmask_b32_e64 v6, 0, 1, s1
	v_cmp_neq_f32_e64 s1, s3, v5
	v_cndmask_b32_e64 v5, 0, 1, s1
	s_delay_alu instid0(VALU_DEP_1) | instskip(NEXT) | instid1(VALU_DEP_1)
	v_dual_cndmask_b32 v5, v5, v6, s0 :: v_dual_lshrrev_b32 v6, 16, v1
	v_and_b32_e32 v5, 1, v5
	s_delay_alu instid0(VALU_DEP_1) | instskip(NEXT) | instid1(VALU_DEP_1)
	v_lshlrev_b16 v5, 8, v5
	v_bitop3_b16 v5, v6, v5, 0xff bitop3:0xec
	s_delay_alu instid0(VALU_DEP_1) | instskip(NEXT) | instid1(VALU_DEP_1)
	v_lshlrev_b32_e32 v5, 16, v5
	v_and_or_b32 v1, 0xffff, v1, v5
.LBB317_51:
	s_or_b32 exec_lo, exec_lo, s6
	v_or_b32_e32 v5, 0x800, v0
	s_mov_b32 s6, exec_lo
	s_delay_alu instid0(VALU_DEP_1)
	v_cmpx_gt_i32_e64 s8, v5
	s_cbranch_execz .LBB317_53
; %bb.52:
	v_and_b32_e32 v5, 0xff, v17
	v_and_b32_e32 v7, 0xffffff00, v4
	s_delay_alu instid0(VALU_DEP_2) | instskip(SKIP_1) | instid1(VALU_DEP_1)
	v_lshlrev_b32_e32 v6, 23, v5
	v_cmp_ne_u16_e64 s1, 0xff, v5
	v_cndmask_b32_e64 v6, 0x7f800001, v6, s1
	v_cmp_ne_u16_e64 s1, 0, v5
	s_delay_alu instid0(VALU_DEP_1) | instskip(NEXT) | instid1(VALU_DEP_1)
	v_cndmask_b32_e64 v5, 0x400000, v6, s1
	v_cmp_eq_f32_e64 s1, s3, v5
	s_delay_alu instid0(VALU_DEP_1) | instskip(SKIP_1) | instid1(VALU_DEP_1)
	v_cndmask_b32_e64 v6, 0, 1, s1
	v_cmp_neq_f32_e64 s1, s3, v5
	v_cndmask_b32_e64 v5, 0, 1, s1
	s_delay_alu instid0(VALU_DEP_1) | instskip(NEXT) | instid1(VALU_DEP_1)
	v_cndmask_b32_e64 v5, v5, v6, s0
	v_bitop3_b16 v5, v5, v7, 1 bitop3:0xec
	s_delay_alu instid0(VALU_DEP_1) | instskip(NEXT) | instid1(VALU_DEP_1)
	v_and_b32_e32 v5, 0xffff, v5
	v_and_or_b32 v4, 0xffff0000, v4, v5
.LBB317_53:
	s_or_b32 exec_lo, exec_lo, s6
	v_or_b32_e32 v5, 0x900, v0
	s_mov_b32 s6, exec_lo
	s_delay_alu instid0(VALU_DEP_1)
	v_cmpx_gt_i32_e64 s8, v5
	s_cbranch_execz .LBB317_55
; %bb.54:
	v_and_b32_e32 v5, 0xff, v16
	s_delay_alu instid0(VALU_DEP_1) | instskip(SKIP_1) | instid1(VALU_DEP_1)
	v_lshlrev_b32_e32 v6, 23, v5
	v_cmp_ne_u16_e64 s1, 0xff, v5
	v_cndmask_b32_e64 v6, 0x7f800001, v6, s1
	v_cmp_ne_u16_e64 s1, 0, v5
	s_delay_alu instid0(VALU_DEP_1) | instskip(NEXT) | instid1(VALU_DEP_1)
	v_cndmask_b32_e64 v5, 0x400000, v6, s1
	v_cmp_eq_f32_e64 s1, s3, v5
	s_delay_alu instid0(VALU_DEP_1) | instskip(SKIP_1) | instid1(VALU_DEP_1)
	v_cndmask_b32_e64 v6, 0, 1, s1
	v_cmp_neq_f32_e64 s1, s3, v5
	v_cndmask_b32_e64 v5, 0, 1, s1
	s_delay_alu instid0(VALU_DEP_1) | instskip(NEXT) | instid1(VALU_DEP_1)
	v_cndmask_b32_e64 v5, v5, v6, s0
	v_and_b32_e32 v5, 1, v5
	s_delay_alu instid0(VALU_DEP_1) | instskip(NEXT) | instid1(VALU_DEP_1)
	v_lshlrev_b16 v5, 8, v5
	v_bitop3_b16 v5, v4, v5, 0xff bitop3:0xec
	s_delay_alu instid0(VALU_DEP_1) | instskip(NEXT) | instid1(VALU_DEP_1)
	v_and_b32_e32 v5, 0xffff, v5
	v_and_or_b32 v4, 0xffff0000, v4, v5
.LBB317_55:
	s_or_b32 exec_lo, exec_lo, s6
	v_or_b32_e32 v5, 0xa00, v0
	s_mov_b32 s6, exec_lo
	s_delay_alu instid0(VALU_DEP_1)
	v_cmpx_gt_i32_e64 s8, v5
	s_cbranch_execz .LBB317_57
; %bb.56:
	v_and_b32_e32 v5, 0xff, v15
	s_delay_alu instid0(VALU_DEP_1) | instskip(SKIP_1) | instid1(VALU_DEP_1)
	v_lshlrev_b32_e32 v6, 23, v5
	v_cmp_ne_u16_e64 s1, 0xff, v5
	v_cndmask_b32_e64 v6, 0x7f800001, v6, s1
	v_cmp_ne_u16_e64 s1, 0, v5
	s_delay_alu instid0(VALU_DEP_1) | instskip(SKIP_1) | instid1(VALU_DEP_2)
	v_cndmask_b32_e64 v5, 0x400000, v6, s1
	v_lshrrev_b32_e32 v6, 16, v4
	v_cmp_eq_f32_e64 s1, s3, v5
	s_delay_alu instid0(VALU_DEP_2) | instskip(NEXT) | instid1(VALU_DEP_2)
	v_and_b32_e32 v6, 0xffffff00, v6
	v_cndmask_b32_e64 v7, 0, 1, s1
	v_cmp_neq_f32_e64 s1, s3, v5
	s_delay_alu instid0(VALU_DEP_1) | instskip(NEXT) | instid1(VALU_DEP_1)
	v_cndmask_b32_e64 v5, 0, 1, s1
	v_cndmask_b32_e64 v5, v5, v7, s0
	s_delay_alu instid0(VALU_DEP_1) | instskip(NEXT) | instid1(VALU_DEP_1)
	v_bitop3_b16 v5, v5, v6, 1 bitop3:0xec
	v_lshlrev_b32_e32 v5, 16, v5
	s_delay_alu instid0(VALU_DEP_1)
	v_and_or_b32 v4, 0xffff, v4, v5
.LBB317_57:
	s_or_b32 exec_lo, exec_lo, s6
	v_or_b32_e32 v5, 0xb00, v0
	s_mov_b32 s6, exec_lo
	s_delay_alu instid0(VALU_DEP_1)
	v_cmpx_gt_i32_e64 s8, v5
	s_cbranch_execz .LBB317_59
; %bb.58:
	v_and_b32_e32 v5, 0xff, v14
	s_delay_alu instid0(VALU_DEP_1) | instskip(SKIP_1) | instid1(VALU_DEP_1)
	v_lshlrev_b32_e32 v6, 23, v5
	v_cmp_ne_u16_e64 s1, 0xff, v5
	v_cndmask_b32_e64 v6, 0x7f800001, v6, s1
	v_cmp_ne_u16_e64 s1, 0, v5
	s_delay_alu instid0(VALU_DEP_1) | instskip(NEXT) | instid1(VALU_DEP_1)
	v_cndmask_b32_e64 v5, 0x400000, v6, s1
	v_cmp_eq_f32_e64 s1, s3, v5
	s_delay_alu instid0(VALU_DEP_1) | instskip(SKIP_1) | instid1(VALU_DEP_1)
	v_cndmask_b32_e64 v6, 0, 1, s1
	v_cmp_neq_f32_e64 s1, s3, v5
	v_cndmask_b32_e64 v5, 0, 1, s1
	s_delay_alu instid0(VALU_DEP_1) | instskip(NEXT) | instid1(VALU_DEP_1)
	v_dual_cndmask_b32 v5, v5, v6, s0 :: v_dual_lshrrev_b32 v6, 16, v4
	v_and_b32_e32 v5, 1, v5
	s_delay_alu instid0(VALU_DEP_1) | instskip(NEXT) | instid1(VALU_DEP_1)
	v_lshlrev_b16 v5, 8, v5
	v_bitop3_b16 v5, v6, v5, 0xff bitop3:0xec
	s_delay_alu instid0(VALU_DEP_1) | instskip(NEXT) | instid1(VALU_DEP_1)
	v_lshlrev_b32_e32 v5, 16, v5
	v_and_or_b32 v4, 0xffff, v4, v5
.LBB317_59:
	s_or_b32 exec_lo, exec_lo, s6
	v_or_b32_e32 v5, 0xc00, v0
	s_mov_b32 s6, exec_lo
	s_delay_alu instid0(VALU_DEP_1)
	v_cmpx_gt_i32_e64 s8, v5
	s_cbranch_execz .LBB317_61
; %bb.60:
	v_and_b32_e32 v5, 0xff, v13
	v_and_b32_e32 v7, 0xffffff00, v3
	s_delay_alu instid0(VALU_DEP_2) | instskip(SKIP_1) | instid1(VALU_DEP_1)
	v_lshlrev_b32_e32 v6, 23, v5
	v_cmp_ne_u16_e64 s1, 0xff, v5
	v_cndmask_b32_e64 v6, 0x7f800001, v6, s1
	v_cmp_ne_u16_e64 s1, 0, v5
	s_delay_alu instid0(VALU_DEP_1) | instskip(NEXT) | instid1(VALU_DEP_1)
	v_cndmask_b32_e64 v5, 0x400000, v6, s1
	v_cmp_eq_f32_e64 s1, s3, v5
	s_delay_alu instid0(VALU_DEP_1) | instskip(SKIP_1) | instid1(VALU_DEP_1)
	v_cndmask_b32_e64 v6, 0, 1, s1
	v_cmp_neq_f32_e64 s1, s3, v5
	v_cndmask_b32_e64 v5, 0, 1, s1
	s_delay_alu instid0(VALU_DEP_1) | instskip(NEXT) | instid1(VALU_DEP_1)
	v_cndmask_b32_e64 v5, v5, v6, s0
	v_bitop3_b16 v5, v5, v7, 1 bitop3:0xec
	s_delay_alu instid0(VALU_DEP_1) | instskip(NEXT) | instid1(VALU_DEP_1)
	v_and_b32_e32 v5, 0xffff, v5
	v_and_or_b32 v3, 0xffff0000, v3, v5
.LBB317_61:
	s_or_b32 exec_lo, exec_lo, s6
	v_or_b32_e32 v5, 0xd00, v0
	s_mov_b32 s6, exec_lo
	s_delay_alu instid0(VALU_DEP_1)
	v_cmpx_gt_i32_e64 s8, v5
	s_cbranch_execz .LBB317_63
; %bb.62:
	v_and_b32_e32 v5, 0xff, v12
	s_delay_alu instid0(VALU_DEP_1) | instskip(SKIP_1) | instid1(VALU_DEP_1)
	v_lshlrev_b32_e32 v6, 23, v5
	v_cmp_ne_u16_e64 s1, 0xff, v5
	v_cndmask_b32_e64 v6, 0x7f800001, v6, s1
	v_cmp_ne_u16_e64 s1, 0, v5
	s_delay_alu instid0(VALU_DEP_1) | instskip(NEXT) | instid1(VALU_DEP_1)
	v_cndmask_b32_e64 v5, 0x400000, v6, s1
	v_cmp_eq_f32_e64 s1, s3, v5
	s_delay_alu instid0(VALU_DEP_1) | instskip(SKIP_1) | instid1(VALU_DEP_1)
	v_cndmask_b32_e64 v6, 0, 1, s1
	v_cmp_neq_f32_e64 s1, s3, v5
	v_cndmask_b32_e64 v5, 0, 1, s1
	s_delay_alu instid0(VALU_DEP_1) | instskip(NEXT) | instid1(VALU_DEP_1)
	v_cndmask_b32_e64 v5, v5, v6, s0
	v_and_b32_e32 v5, 1, v5
	s_delay_alu instid0(VALU_DEP_1) | instskip(NEXT) | instid1(VALU_DEP_1)
	v_lshlrev_b16 v5, 8, v5
	v_bitop3_b16 v5, v3, v5, 0xff bitop3:0xec
	s_delay_alu instid0(VALU_DEP_1) | instskip(NEXT) | instid1(VALU_DEP_1)
	v_and_b32_e32 v5, 0xffff, v5
	v_and_or_b32 v3, 0xffff0000, v3, v5
.LBB317_63:
	s_or_b32 exec_lo, exec_lo, s6
	v_or_b32_e32 v5, 0xe00, v0
	s_mov_b32 s6, exec_lo
	s_delay_alu instid0(VALU_DEP_1)
	v_cmpx_gt_i32_e64 s8, v5
	s_cbranch_execz .LBB317_65
; %bb.64:
	v_and_b32_e32 v5, 0xff, v11
	s_delay_alu instid0(VALU_DEP_1) | instskip(SKIP_1) | instid1(VALU_DEP_1)
	v_lshlrev_b32_e32 v6, 23, v5
	v_cmp_ne_u16_e64 s1, 0xff, v5
	v_cndmask_b32_e64 v6, 0x7f800001, v6, s1
	v_cmp_ne_u16_e64 s1, 0, v5
	s_delay_alu instid0(VALU_DEP_1) | instskip(SKIP_1) | instid1(VALU_DEP_2)
	v_cndmask_b32_e64 v5, 0x400000, v6, s1
	v_lshrrev_b32_e32 v6, 16, v3
	v_cmp_eq_f32_e64 s1, s3, v5
	s_delay_alu instid0(VALU_DEP_2) | instskip(NEXT) | instid1(VALU_DEP_2)
	v_and_b32_e32 v6, 0xffffff00, v6
	v_cndmask_b32_e64 v7, 0, 1, s1
	v_cmp_neq_f32_e64 s1, s3, v5
	s_delay_alu instid0(VALU_DEP_1) | instskip(NEXT) | instid1(VALU_DEP_1)
	v_cndmask_b32_e64 v5, 0, 1, s1
	v_cndmask_b32_e64 v5, v5, v7, s0
	s_delay_alu instid0(VALU_DEP_1) | instskip(NEXT) | instid1(VALU_DEP_1)
	v_bitop3_b16 v5, v5, v6, 1 bitop3:0xec
	v_lshlrev_b32_e32 v5, 16, v5
	s_delay_alu instid0(VALU_DEP_1)
	v_and_or_b32 v3, 0xffff, v3, v5
.LBB317_65:
	s_or_b32 exec_lo, exec_lo, s6
	v_or_b32_e32 v5, 0xf00, v0
	s_mov_b32 s6, exec_lo
	s_delay_alu instid0(VALU_DEP_1)
	v_cmpx_gt_i32_e64 s8, v5
	s_cbranch_execnz .LBB317_84
; %bb.66:
	s_or_b32 exec_lo, exec_lo, s6
	s_and_saveexec_b32 s0, vcc_lo
	s_delay_alu instid0(SALU_CYCLE_1)
	s_xor_b32 s0, exec_lo, s0
	s_cbranch_execnz .LBB317_85
.LBB317_67:
	s_or_b32 exec_lo, exec_lo, s0
	s_delay_alu instid0(SALU_CYCLE_1)
	s_mov_b32 s0, exec_lo
	v_cmpx_gt_i32_e64 s8, v0
	s_cbranch_execnz .LBB317_86
.LBB317_68:
	s_or_b32 exec_lo, exec_lo, s0
	s_delay_alu instid0(SALU_CYCLE_1)
	s_mov_b32 s0, exec_lo
	v_cmpx_gt_i32_e64 s8, v0
	s_cbranch_execnz .LBB317_87
.LBB317_69:
	s_or_b32 exec_lo, exec_lo, s0
	s_delay_alu instid0(SALU_CYCLE_1)
	s_mov_b32 s0, exec_lo
	v_cmpx_gt_i32_e64 s8, v0
	s_cbranch_execnz .LBB317_88
.LBB317_70:
	s_or_b32 exec_lo, exec_lo, s0
	s_delay_alu instid0(SALU_CYCLE_1)
	s_mov_b32 s0, exec_lo
	v_cmpx_gt_i32_e64 s8, v0
	s_cbranch_execnz .LBB317_89
.LBB317_71:
	s_or_b32 exec_lo, exec_lo, s0
	s_delay_alu instid0(SALU_CYCLE_1)
	s_mov_b32 s0, exec_lo
	v_cmpx_gt_i32_e64 s8, v0
	s_cbranch_execnz .LBB317_90
.LBB317_72:
	s_or_b32 exec_lo, exec_lo, s0
	s_delay_alu instid0(SALU_CYCLE_1)
	s_mov_b32 s0, exec_lo
	v_cmpx_gt_i32_e64 s8, v0
	s_cbranch_execnz .LBB317_91
.LBB317_73:
	s_or_b32 exec_lo, exec_lo, s0
	s_delay_alu instid0(SALU_CYCLE_1)
	s_mov_b32 s0, exec_lo
	v_cmpx_gt_i32_e64 s8, v0
	s_cbranch_execnz .LBB317_92
.LBB317_74:
	s_or_b32 exec_lo, exec_lo, s0
	s_delay_alu instid0(SALU_CYCLE_1)
	s_mov_b32 s0, exec_lo
	v_cmpx_gt_i32_e64 s8, v0
	s_cbranch_execnz .LBB317_93
.LBB317_75:
	s_or_b32 exec_lo, exec_lo, s0
	s_delay_alu instid0(SALU_CYCLE_1)
	s_mov_b32 s0, exec_lo
	v_cmpx_gt_i32_e64 s8, v0
	s_cbranch_execnz .LBB317_94
.LBB317_76:
	s_or_b32 exec_lo, exec_lo, s0
	s_delay_alu instid0(SALU_CYCLE_1)
	s_mov_b32 s0, exec_lo
	v_cmpx_gt_i32_e64 s8, v0
	s_cbranch_execnz .LBB317_95
.LBB317_77:
	s_or_b32 exec_lo, exec_lo, s0
	s_delay_alu instid0(SALU_CYCLE_1)
	s_mov_b32 s0, exec_lo
	v_cmpx_gt_i32_e64 s8, v0
	s_cbranch_execnz .LBB317_96
.LBB317_78:
	s_or_b32 exec_lo, exec_lo, s0
	s_delay_alu instid0(SALU_CYCLE_1)
	s_mov_b32 s0, exec_lo
	v_cmpx_gt_i32_e64 s8, v0
	s_cbranch_execnz .LBB317_97
.LBB317_79:
	s_or_b32 exec_lo, exec_lo, s0
	s_delay_alu instid0(SALU_CYCLE_1)
	s_mov_b32 s0, exec_lo
	v_cmpx_gt_i32_e64 s8, v0
	s_cbranch_execnz .LBB317_98
.LBB317_80:
	s_or_b32 exec_lo, exec_lo, s0
	s_delay_alu instid0(SALU_CYCLE_1)
	s_mov_b32 s0, exec_lo
	v_cmpx_gt_i32_e64 s8, v0
	s_cbranch_execnz .LBB317_99
.LBB317_81:
	s_or_b32 exec_lo, exec_lo, s0
	s_delay_alu instid0(SALU_CYCLE_1)
	s_mov_b32 s0, exec_lo
	v_cmpx_gt_i32_e64 s8, v0
	s_cbranch_execz .LBB317_83
.LBB317_82:
	v_dual_lshrrev_b32 v1, 24, v3 :: v_dual_add_nc_u32 v0, s2, v0
	global_store_b8 v0, v1, s[4:5]
.LBB317_83:
	s_endpgm
.LBB317_84:
	v_and_b32_e32 v5, 0xff, v10
	s_delay_alu instid0(VALU_DEP_1) | instskip(SKIP_1) | instid1(VALU_DEP_1)
	v_lshlrev_b32_e32 v6, 23, v5
	v_cmp_ne_u16_e64 s1, 0xff, v5
	v_cndmask_b32_e64 v6, 0x7f800001, v6, s1
	v_cmp_ne_u16_e64 s1, 0, v5
	s_delay_alu instid0(VALU_DEP_1) | instskip(NEXT) | instid1(VALU_DEP_1)
	v_cndmask_b32_e64 v5, 0x400000, v6, s1
	v_cmp_eq_f32_e64 s1, s3, v5
	s_delay_alu instid0(VALU_DEP_1) | instskip(SKIP_1) | instid1(VALU_DEP_1)
	v_cndmask_b32_e64 v6, 0, 1, s1
	v_cmp_neq_f32_e64 s1, s3, v5
	v_cndmask_b32_e64 v5, 0, 1, s1
	s_delay_alu instid0(VALU_DEP_1) | instskip(NEXT) | instid1(VALU_DEP_1)
	v_dual_cndmask_b32 v5, v5, v6, s0 :: v_dual_lshrrev_b32 v6, 16, v3
	v_and_b32_e32 v5, 1, v5
	s_delay_alu instid0(VALU_DEP_1) | instskip(NEXT) | instid1(VALU_DEP_1)
	v_lshlrev_b16 v5, 8, v5
	v_bitop3_b16 v5, v6, v5, 0xff bitop3:0xec
	s_delay_alu instid0(VALU_DEP_1) | instskip(NEXT) | instid1(VALU_DEP_1)
	v_lshlrev_b32_e32 v5, 16, v5
	v_and_or_b32 v3, 0xffff, v3, v5
	s_or_b32 exec_lo, exec_lo, s6
	s_and_saveexec_b32 s0, vcc_lo
	s_delay_alu instid0(SALU_CYCLE_1)
	s_xor_b32 s0, exec_lo, s0
	s_cbranch_execz .LBB317_67
.LBB317_85:
	v_mov_b32_e32 v0, v9
	global_store_b8 v8, v2, s[4:5]
	s_wait_xcnt 0x0
	s_or_b32 exec_lo, exec_lo, s0
	s_delay_alu instid0(SALU_CYCLE_1)
	s_mov_b32 s0, exec_lo
	v_cmpx_gt_i32_e64 s8, v0
	s_cbranch_execz .LBB317_68
.LBB317_86:
	v_dual_lshrrev_b32 v5, 8, v2 :: v_dual_add_nc_u32 v6, s2, v0
	v_add_nc_u32_e32 v0, 0x100, v0
	global_store_b8 v6, v5, s[4:5]
	s_wait_xcnt 0x0
	s_or_b32 exec_lo, exec_lo, s0
	s_delay_alu instid0(SALU_CYCLE_1)
	s_mov_b32 s0, exec_lo
	v_cmpx_gt_i32_e64 s8, v0
	s_cbranch_execz .LBB317_69
.LBB317_87:
	v_add_nc_u32_e32 v5, s2, v0
	v_add_nc_u32_e32 v0, 0x100, v0
	global_store_d16_hi_b8 v5, v2, s[4:5]
	s_wait_xcnt 0x0
	s_or_b32 exec_lo, exec_lo, s0
	s_delay_alu instid0(SALU_CYCLE_1)
	s_mov_b32 s0, exec_lo
	v_cmpx_gt_i32_e64 s8, v0
	s_cbranch_execz .LBB317_70
.LBB317_88:
	v_dual_lshrrev_b32 v2, 24, v2 :: v_dual_add_nc_u32 v5, s2, v0
	v_add_nc_u32_e32 v0, 0x100, v0
	global_store_b8 v5, v2, s[4:5]
	s_wait_xcnt 0x0
	s_or_b32 exec_lo, exec_lo, s0
	s_delay_alu instid0(SALU_CYCLE_1)
	s_mov_b32 s0, exec_lo
	v_cmpx_gt_i32_e64 s8, v0
	s_cbranch_execz .LBB317_71
.LBB317_89:
	v_add_nc_u32_e32 v2, s2, v0
	v_add_nc_u32_e32 v0, 0x100, v0
	global_store_b8 v2, v1, s[4:5]
	s_wait_xcnt 0x0
	s_or_b32 exec_lo, exec_lo, s0
	s_delay_alu instid0(SALU_CYCLE_1)
	s_mov_b32 s0, exec_lo
	v_cmpx_gt_i32_e64 s8, v0
	s_cbranch_execz .LBB317_72
.LBB317_90:
	v_dual_lshrrev_b32 v2, 8, v1 :: v_dual_add_nc_u32 v5, s2, v0
	v_add_nc_u32_e32 v0, 0x100, v0
	global_store_b8 v5, v2, s[4:5]
	s_wait_xcnt 0x0
	s_or_b32 exec_lo, exec_lo, s0
	s_delay_alu instid0(SALU_CYCLE_1)
	s_mov_b32 s0, exec_lo
	v_cmpx_gt_i32_e64 s8, v0
	s_cbranch_execz .LBB317_73
.LBB317_91:
	v_add_nc_u32_e32 v2, s2, v0
	v_add_nc_u32_e32 v0, 0x100, v0
	global_store_d16_hi_b8 v2, v1, s[4:5]
	s_wait_xcnt 0x0
	s_or_b32 exec_lo, exec_lo, s0
	s_delay_alu instid0(SALU_CYCLE_1)
	s_mov_b32 s0, exec_lo
	v_cmpx_gt_i32_e64 s8, v0
	s_cbranch_execz .LBB317_74
.LBB317_92:
	v_dual_lshrrev_b32 v1, 24, v1 :: v_dual_add_nc_u32 v2, s2, v0
	v_add_nc_u32_e32 v0, 0x100, v0
	global_store_b8 v2, v1, s[4:5]
	s_wait_xcnt 0x0
	s_or_b32 exec_lo, exec_lo, s0
	s_delay_alu instid0(SALU_CYCLE_1)
	s_mov_b32 s0, exec_lo
	v_cmpx_gt_i32_e64 s8, v0
	s_cbranch_execz .LBB317_75
.LBB317_93:
	v_add_nc_u32_e32 v1, s2, v0
	v_add_nc_u32_e32 v0, 0x100, v0
	global_store_b8 v1, v4, s[4:5]
	s_wait_xcnt 0x0
	s_or_b32 exec_lo, exec_lo, s0
	s_delay_alu instid0(SALU_CYCLE_1)
	s_mov_b32 s0, exec_lo
	v_cmpx_gt_i32_e64 s8, v0
	s_cbranch_execz .LBB317_76
.LBB317_94:
	v_lshrrev_b32_e32 v1, 8, v4
	v_add_nc_u32_e32 v2, s2, v0
	v_add_nc_u32_e32 v0, 0x100, v0
	global_store_b8 v2, v1, s[4:5]
	s_wait_xcnt 0x0
	s_or_b32 exec_lo, exec_lo, s0
	s_delay_alu instid0(SALU_CYCLE_1)
	s_mov_b32 s0, exec_lo
	v_cmpx_gt_i32_e64 s8, v0
	s_cbranch_execz .LBB317_77
.LBB317_95:
	v_add_nc_u32_e32 v1, s2, v0
	v_add_nc_u32_e32 v0, 0x100, v0
	global_store_d16_hi_b8 v1, v4, s[4:5]
	s_wait_xcnt 0x0
	s_or_b32 exec_lo, exec_lo, s0
	s_delay_alu instid0(SALU_CYCLE_1)
	s_mov_b32 s0, exec_lo
	v_cmpx_gt_i32_e64 s8, v0
	s_cbranch_execz .LBB317_78
.LBB317_96:
	v_lshrrev_b32_e32 v1, 24, v4
	v_add_nc_u32_e32 v2, s2, v0
	v_add_nc_u32_e32 v0, 0x100, v0
	global_store_b8 v2, v1, s[4:5]
	s_wait_xcnt 0x0
	s_or_b32 exec_lo, exec_lo, s0
	s_delay_alu instid0(SALU_CYCLE_1)
	s_mov_b32 s0, exec_lo
	v_cmpx_gt_i32_e64 s8, v0
	s_cbranch_execz .LBB317_79
.LBB317_97:
	v_add_nc_u32_e32 v1, s2, v0
	v_add_nc_u32_e32 v0, 0x100, v0
	global_store_b8 v1, v3, s[4:5]
	s_wait_xcnt 0x0
	s_or_b32 exec_lo, exec_lo, s0
	s_delay_alu instid0(SALU_CYCLE_1)
	s_mov_b32 s0, exec_lo
	v_cmpx_gt_i32_e64 s8, v0
	s_cbranch_execz .LBB317_80
.LBB317_98:
	v_dual_lshrrev_b32 v1, 8, v3 :: v_dual_add_nc_u32 v2, s2, v0
	v_add_nc_u32_e32 v0, 0x100, v0
	global_store_b8 v2, v1, s[4:5]
	s_wait_xcnt 0x0
	s_or_b32 exec_lo, exec_lo, s0
	s_delay_alu instid0(SALU_CYCLE_1)
	s_mov_b32 s0, exec_lo
	v_cmpx_gt_i32_e64 s8, v0
	s_cbranch_execz .LBB317_81
.LBB317_99:
	v_add_nc_u32_e32 v1, s2, v0
	v_add_nc_u32_e32 v0, 0x100, v0
	global_store_d16_hi_b8 v1, v3, s[4:5]
	s_wait_xcnt 0x0
	s_or_b32 exec_lo, exec_lo, s0
	s_delay_alu instid0(SALU_CYCLE_1)
	s_mov_b32 s0, exec_lo
	v_cmpx_gt_i32_e64 s8, v0
	s_cbranch_execnz .LBB317_82
	s_branch .LBB317_83
	.section	.rodata,"a",@progbits
	.p2align	6, 0x0
	.amdhsa_kernel _ZN2at6native29vectorized_elementwise_kernelILi16ENS0_13AUnaryFunctorIN3c1014Float8_e8m0fnuES4_bNS0_12_GLOBAL__N_116CompareEqFunctorIS4_EEEESt5arrayIPcLm2EEEEviT0_T1_
		.amdhsa_group_segment_fixed_size 0
		.amdhsa_private_segment_fixed_size 0
		.amdhsa_kernarg_size 32
		.amdhsa_user_sgpr_count 2
		.amdhsa_user_sgpr_dispatch_ptr 0
		.amdhsa_user_sgpr_queue_ptr 0
		.amdhsa_user_sgpr_kernarg_segment_ptr 1
		.amdhsa_user_sgpr_dispatch_id 0
		.amdhsa_user_sgpr_kernarg_preload_length 0
		.amdhsa_user_sgpr_kernarg_preload_offset 0
		.amdhsa_user_sgpr_private_segment_size 0
		.amdhsa_wavefront_size32 1
		.amdhsa_uses_dynamic_stack 0
		.amdhsa_enable_private_segment 0
		.amdhsa_system_sgpr_workgroup_id_x 1
		.amdhsa_system_sgpr_workgroup_id_y 0
		.amdhsa_system_sgpr_workgroup_id_z 0
		.amdhsa_system_sgpr_workgroup_info 0
		.amdhsa_system_vgpr_workitem_id 0
		.amdhsa_next_free_vgpr 33
		.amdhsa_next_free_sgpr 23
		.amdhsa_named_barrier_count 0
		.amdhsa_reserve_vcc 1
		.amdhsa_float_round_mode_32 0
		.amdhsa_float_round_mode_16_64 0
		.amdhsa_float_denorm_mode_32 3
		.amdhsa_float_denorm_mode_16_64 3
		.amdhsa_fp16_overflow 0
		.amdhsa_memory_ordered 1
		.amdhsa_forward_progress 1
		.amdhsa_inst_pref_size 63
		.amdhsa_round_robin_scheduling 0
		.amdhsa_exception_fp_ieee_invalid_op 0
		.amdhsa_exception_fp_denorm_src 0
		.amdhsa_exception_fp_ieee_div_zero 0
		.amdhsa_exception_fp_ieee_overflow 0
		.amdhsa_exception_fp_ieee_underflow 0
		.amdhsa_exception_fp_ieee_inexact 0
		.amdhsa_exception_int_div_zero 0
	.end_amdhsa_kernel
	.section	.text._ZN2at6native29vectorized_elementwise_kernelILi16ENS0_13AUnaryFunctorIN3c1014Float8_e8m0fnuES4_bNS0_12_GLOBAL__N_116CompareEqFunctorIS4_EEEESt5arrayIPcLm2EEEEviT0_T1_,"axG",@progbits,_ZN2at6native29vectorized_elementwise_kernelILi16ENS0_13AUnaryFunctorIN3c1014Float8_e8m0fnuES4_bNS0_12_GLOBAL__N_116CompareEqFunctorIS4_EEEESt5arrayIPcLm2EEEEviT0_T1_,comdat
.Lfunc_end317:
	.size	_ZN2at6native29vectorized_elementwise_kernelILi16ENS0_13AUnaryFunctorIN3c1014Float8_e8m0fnuES4_bNS0_12_GLOBAL__N_116CompareEqFunctorIS4_EEEESt5arrayIPcLm2EEEEviT0_T1_, .Lfunc_end317-_ZN2at6native29vectorized_elementwise_kernelILi16ENS0_13AUnaryFunctorIN3c1014Float8_e8m0fnuES4_bNS0_12_GLOBAL__N_116CompareEqFunctorIS4_EEEESt5arrayIPcLm2EEEEviT0_T1_
                                        ; -- End function
	.set _ZN2at6native29vectorized_elementwise_kernelILi16ENS0_13AUnaryFunctorIN3c1014Float8_e8m0fnuES4_bNS0_12_GLOBAL__N_116CompareEqFunctorIS4_EEEESt5arrayIPcLm2EEEEviT0_T1_.num_vgpr, 33
	.set _ZN2at6native29vectorized_elementwise_kernelILi16ENS0_13AUnaryFunctorIN3c1014Float8_e8m0fnuES4_bNS0_12_GLOBAL__N_116CompareEqFunctorIS4_EEEESt5arrayIPcLm2EEEEviT0_T1_.num_agpr, 0
	.set _ZN2at6native29vectorized_elementwise_kernelILi16ENS0_13AUnaryFunctorIN3c1014Float8_e8m0fnuES4_bNS0_12_GLOBAL__N_116CompareEqFunctorIS4_EEEESt5arrayIPcLm2EEEEviT0_T1_.numbered_sgpr, 23
	.set _ZN2at6native29vectorized_elementwise_kernelILi16ENS0_13AUnaryFunctorIN3c1014Float8_e8m0fnuES4_bNS0_12_GLOBAL__N_116CompareEqFunctorIS4_EEEESt5arrayIPcLm2EEEEviT0_T1_.num_named_barrier, 0
	.set _ZN2at6native29vectorized_elementwise_kernelILi16ENS0_13AUnaryFunctorIN3c1014Float8_e8m0fnuES4_bNS0_12_GLOBAL__N_116CompareEqFunctorIS4_EEEESt5arrayIPcLm2EEEEviT0_T1_.private_seg_size, 0
	.set _ZN2at6native29vectorized_elementwise_kernelILi16ENS0_13AUnaryFunctorIN3c1014Float8_e8m0fnuES4_bNS0_12_GLOBAL__N_116CompareEqFunctorIS4_EEEESt5arrayIPcLm2EEEEviT0_T1_.uses_vcc, 1
	.set _ZN2at6native29vectorized_elementwise_kernelILi16ENS0_13AUnaryFunctorIN3c1014Float8_e8m0fnuES4_bNS0_12_GLOBAL__N_116CompareEqFunctorIS4_EEEESt5arrayIPcLm2EEEEviT0_T1_.uses_flat_scratch, 0
	.set _ZN2at6native29vectorized_elementwise_kernelILi16ENS0_13AUnaryFunctorIN3c1014Float8_e8m0fnuES4_bNS0_12_GLOBAL__N_116CompareEqFunctorIS4_EEEESt5arrayIPcLm2EEEEviT0_T1_.has_dyn_sized_stack, 0
	.set _ZN2at6native29vectorized_elementwise_kernelILi16ENS0_13AUnaryFunctorIN3c1014Float8_e8m0fnuES4_bNS0_12_GLOBAL__N_116CompareEqFunctorIS4_EEEESt5arrayIPcLm2EEEEviT0_T1_.has_recursion, 0
	.set _ZN2at6native29vectorized_elementwise_kernelILi16ENS0_13AUnaryFunctorIN3c1014Float8_e8m0fnuES4_bNS0_12_GLOBAL__N_116CompareEqFunctorIS4_EEEESt5arrayIPcLm2EEEEviT0_T1_.has_indirect_call, 0
	.section	.AMDGPU.csdata,"",@progbits
; Kernel info:
; codeLenInByte = 7940
; TotalNumSgprs: 25
; NumVgprs: 33
; ScratchSize: 0
; MemoryBound: 0
; FloatMode: 240
; IeeeMode: 1
; LDSByteSize: 0 bytes/workgroup (compile time only)
; SGPRBlocks: 0
; VGPRBlocks: 2
; NumSGPRsForWavesPerEU: 25
; NumVGPRsForWavesPerEU: 33
; NamedBarCnt: 0
; Occupancy: 16
; WaveLimiterHint : 0
; COMPUTE_PGM_RSRC2:SCRATCH_EN: 0
; COMPUTE_PGM_RSRC2:USER_SGPR: 2
; COMPUTE_PGM_RSRC2:TRAP_HANDLER: 0
; COMPUTE_PGM_RSRC2:TGID_X_EN: 1
; COMPUTE_PGM_RSRC2:TGID_Y_EN: 0
; COMPUTE_PGM_RSRC2:TGID_Z_EN: 0
; COMPUTE_PGM_RSRC2:TIDIG_COMP_CNT: 0
	.section	.text._ZN2at6native29vectorized_elementwise_kernelILi8ENS0_13AUnaryFunctorIN3c1014Float8_e8m0fnuES4_bNS0_12_GLOBAL__N_116CompareEqFunctorIS4_EEEESt5arrayIPcLm2EEEEviT0_T1_,"axG",@progbits,_ZN2at6native29vectorized_elementwise_kernelILi8ENS0_13AUnaryFunctorIN3c1014Float8_e8m0fnuES4_bNS0_12_GLOBAL__N_116CompareEqFunctorIS4_EEEESt5arrayIPcLm2EEEEviT0_T1_,comdat
	.globl	_ZN2at6native29vectorized_elementwise_kernelILi8ENS0_13AUnaryFunctorIN3c1014Float8_e8m0fnuES4_bNS0_12_GLOBAL__N_116CompareEqFunctorIS4_EEEESt5arrayIPcLm2EEEEviT0_T1_ ; -- Begin function _ZN2at6native29vectorized_elementwise_kernelILi8ENS0_13AUnaryFunctorIN3c1014Float8_e8m0fnuES4_bNS0_12_GLOBAL__N_116CompareEqFunctorIS4_EEEESt5arrayIPcLm2EEEEviT0_T1_
	.p2align	8
	.type	_ZN2at6native29vectorized_elementwise_kernelILi8ENS0_13AUnaryFunctorIN3c1014Float8_e8m0fnuES4_bNS0_12_GLOBAL__N_116CompareEqFunctorIS4_EEEESt5arrayIPcLm2EEEEviT0_T1_,@function
_ZN2at6native29vectorized_elementwise_kernelILi8ENS0_13AUnaryFunctorIN3c1014Float8_e8m0fnuES4_bNS0_12_GLOBAL__N_116CompareEqFunctorIS4_EEEESt5arrayIPcLm2EEEEviT0_T1_: ; @_ZN2at6native29vectorized_elementwise_kernelILi8ENS0_13AUnaryFunctorIN3c1014Float8_e8m0fnuES4_bNS0_12_GLOBAL__N_116CompareEqFunctorIS4_EEEESt5arrayIPcLm2EEEEviT0_T1_
; %bb.0:
	s_clause 0x1
	s_load_b96 s[8:10], s[0:1], 0x0
	s_load_b128 s[4:7], s[0:1], 0x10
	s_wait_xcnt 0x0
	s_bfe_u32 s0, ttmp6, 0x4000c
	s_and_b32 s1, ttmp6, 15
	s_add_co_i32 s0, s0, 1
	s_getreg_b32 s2, hwreg(HW_REG_IB_STS2, 6, 4)
	s_mul_i32 s0, ttmp9, s0
	s_delay_alu instid0(SALU_CYCLE_1) | instskip(SKIP_2) | instid1(SALU_CYCLE_1)
	s_add_co_i32 s1, s1, s0
	s_cmp_eq_u32 s2, 0
	s_cselect_b32 s0, ttmp9, s1
	s_lshl_b32 s2, s0, 12
	s_mov_b32 s0, -1
	s_wait_kmcnt 0x0
	s_sub_co_i32 s8, s8, s2
	s_delay_alu instid0(SALU_CYCLE_1)
	s_cmp_gt_i32 s8, 0xfff
	s_cbranch_scc0 .LBB318_2
; %bb.1:
	s_ashr_i32 s3, s2, 31
	s_cmp_eq_u32 s9, 0
	s_add_nc_u64 s[0:1], s[6:7], s[2:3]
	s_cselect_b32 vcc_lo, -1, 0
	s_clause 0x1
	global_load_b64 v[2:3], v0, s[0:1] scale_offset
	global_load_b64 v[4:5], v0, s[0:1] offset:2048 scale_offset
	s_wait_xcnt 0x0
	s_lshl_b32 s0, s10, 23
	s_and_b32 s1, s10, 0xff
	s_and_b32 s0, s0, 0x7f800000
	s_cmp_lg_u32 s1, 0xff
	s_add_nc_u64 s[12:13], s[4:5], s[2:3]
	s_cselect_b32 s0, s0, 0x7f800001
	s_cmp_lg_u32 s1, 0
	s_cselect_b32 s1, s0, 0x400000
	s_wait_loadcnt 0x1
	v_and_b32_e32 v1, 0xff, v2
	v_dual_lshlrev_b32 v6, 23, v2 :: v_dual_lshrrev_b32 v7, 8, v2
	v_dual_lshlrev_b32 v8, 15, v2 :: v_dual_lshrrev_b32 v9, 16, v2
	s_delay_alu instid0(VALU_DEP_3) | instskip(NEXT) | instid1(VALU_DEP_3)
	v_cmp_ne_u16_e64 s0, 0xff, v1
	v_and_b32_e32 v6, 0x7f800000, v6
	s_delay_alu instid0(VALU_DEP_4)
	v_and_b32_e32 v7, 0xff, v7
	v_dual_lshlrev_b32 v10, 7, v2 :: v_dual_lshrrev_b32 v11, 24, v2
	v_and_b32_e32 v8, 0x7f800000, v8
	v_and_b32_e32 v9, 0xff, v9
	v_cndmask_b32_e64 v6, 0x7f800001, v6, s0
	v_cmp_ne_u16_e64 s0, 0xff, v7
	v_and_b32_e32 v10, 0x7f800000, v10
	v_and_b32_e32 v12, 0xff, v3
	v_dual_lshlrev_b32 v13, 23, v3 :: v_dual_lshrrev_b32 v14, 8, v3
	s_delay_alu instid0(VALU_DEP_4) | instskip(SKIP_4) | instid1(VALU_DEP_4)
	v_cndmask_b32_e64 v8, 0x7f800001, v8, s0
	v_cmp_ne_u16_e64 s0, 0xff, v9
	v_dual_lshlrev_b32 v17, 7, v3 :: v_dual_lshrrev_b32 v18, 24, v3
	v_lshlrev_b32_e32 v33, 23, v11
	v_dual_lshlrev_b32 v15, 15, v3 :: v_dual_lshrrev_b32 v16, 16, v3
	v_cndmask_b32_e64 v10, 0x7f800001, v10, s0
	v_cmp_ne_u32_e64 s0, 0xff, v11
	v_and_b32_e32 v13, 0x7f800000, v13
	v_and_b32_e32 v14, 0xff, v14
	v_lshlrev_b32_e32 v34, 23, v18
	v_and_b32_e32 v15, 0x7f800000, v15
	v_cndmask_b32_e64 v11, 0x7f800001, v33, s0
	v_cmp_ne_u16_e64 s0, 0xff, v12
	v_and_b32_e32 v16, 0xff, v16
	v_and_b32_e32 v17, 0x7f800000, v17
	s_wait_loadcnt 0x0
	v_and_b32_e32 v19, 0xff, v4
	v_dual_lshlrev_b32 v20, 23, v4 :: v_dual_lshrrev_b32 v21, 8, v4
	v_cndmask_b32_e64 v13, 0x7f800001, v13, s0
	v_cmp_ne_u16_e64 s0, 0xff, v14
	v_dual_lshlrev_b32 v22, 15, v4 :: v_dual_lshrrev_b32 v23, 16, v4
	s_delay_alu instid0(VALU_DEP_4) | instskip(SKIP_1) | instid1(VALU_DEP_4)
	v_and_b32_e32 v20, 0x7f800000, v20
	v_and_b32_e32 v21, 0xff, v21
	v_cndmask_b32_e64 v15, 0x7f800001, v15, s0
	v_cmp_ne_u16_e64 s0, 0xff, v16
	v_dual_lshlrev_b32 v24, 7, v4 :: v_dual_lshrrev_b32 v25, 24, v4
	v_and_b32_e32 v22, 0x7f800000, v22
	v_and_b32_e32 v23, 0xff, v23
	s_delay_alu instid0(VALU_DEP_4) | instskip(SKIP_4) | instid1(VALU_DEP_4)
	v_cndmask_b32_e64 v17, 0x7f800001, v17, s0
	v_cmp_ne_u32_e64 s0, 0xff, v18
	v_and_b32_e32 v24, 0x7f800000, v24
	v_and_b32_e32 v26, 0xff, v5
	v_dual_lshlrev_b32 v27, 23, v5 :: v_dual_lshrrev_b32 v28, 8, v5
	v_cndmask_b32_e64 v18, 0x7f800001, v34, s0
	v_cmp_ne_u16_e64 s0, 0xff, v19
	v_dual_lshlrev_b32 v31, 7, v5 :: v_dual_lshrrev_b32 v32, 24, v5
	v_lshlrev_b32_e32 v35, 23, v25
	v_dual_lshlrev_b32 v29, 15, v5 :: v_dual_lshrrev_b32 v30, 16, v5
	s_delay_alu instid0(VALU_DEP_4)
	v_cndmask_b32_e64 v20, 0x7f800001, v20, s0
	v_cmp_ne_u16_e64 s0, 0xff, v21
	v_and_b32_e32 v27, 0x7f800000, v27
	v_and_b32_e32 v28, 0xff, v28
	v_lshlrev_b32_e32 v36, 23, v32
	v_and_b32_e32 v29, 0x7f800000, v29
	v_cndmask_b32_e64 v22, 0x7f800001, v22, s0
	v_cmp_ne_u16_e64 s0, 0xff, v23
	v_and_b32_e32 v30, 0xff, v30
	v_and_b32_e32 v31, 0x7f800000, v31
	s_delay_alu instid0(VALU_DEP_3) | instskip(SKIP_1) | instid1(VALU_DEP_1)
	v_cndmask_b32_e64 v24, 0x7f800001, v24, s0
	v_cmp_ne_u32_e64 s0, 0xff, v25
	v_cndmask_b32_e64 v25, 0x7f800001, v35, s0
	v_cmp_ne_u16_e64 s0, 0xff, v26
	s_delay_alu instid0(VALU_DEP_1) | instskip(SKIP_1) | instid1(VALU_DEP_1)
	v_cndmask_b32_e64 v27, 0x7f800001, v27, s0
	v_cmp_ne_u16_e64 s0, 0xff, v28
	v_cndmask_b32_e64 v29, 0x7f800001, v29, s0
	v_cmp_ne_u16_e64 s0, 0xff, v30
	s_delay_alu instid0(VALU_DEP_1) | instskip(SKIP_1) | instid1(VALU_DEP_1)
	v_cndmask_b32_e64 v31, 0x7f800001, v31, s0
	v_cmp_ne_u32_e64 s0, 0xff, v32
	v_cndmask_b32_e64 v32, 0x7f800001, v36, s0
	v_cmp_ne_u16_e64 s0, 0, v1
	s_delay_alu instid0(VALU_DEP_1) | instskip(SKIP_1) | instid1(VALU_DEP_1)
	v_cndmask_b32_e64 v1, 0x400000, v6, s0
	v_cmp_ne_u16_e64 s0, 0, v7
	v_cndmask_b32_e64 v6, 0x400000, v8, s0
	v_cmp_ne_u16_e64 s0, 0, v9
	s_delay_alu instid0(VALU_DEP_1) | instskip(SKIP_1) | instid1(VALU_DEP_1)
	v_cndmask_b32_e64 v7, 0x400000, v10, s0
	v_cmp_lt_u32_e64 s0, 0xffffff, v2
	v_cndmask_b32_e64 v2, 0x400000, v11, s0
	v_cmp_ne_u16_e64 s0, 0, v12
	s_delay_alu instid0(VALU_DEP_1) | instskip(SKIP_1) | instid1(VALU_DEP_1)
	v_cndmask_b32_e64 v8, 0x400000, v13, s0
	v_cmp_ne_u16_e64 s0, 0, v14
	v_cndmask_b32_e64 v9, 0x400000, v15, s0
	v_cmp_ne_u16_e64 s0, 0, v16
	s_delay_alu instid0(VALU_DEP_1) | instskip(SKIP_1) | instid1(VALU_DEP_1)
	v_cndmask_b32_e64 v10, 0x400000, v17, s0
	v_cmp_lt_u32_e64 s0, 0xffffff, v3
	;; [unrolled: 10-line block ×4, first 2 shown]
	v_cndmask_b32_e64 v5, 0x400000, v32, s0
	v_cmp_eq_f32_e64 s0, s1, v1
	s_delay_alu instid0(VALU_DEP_1) | instskip(SKIP_1) | instid1(VALU_DEP_1)
	v_cndmask_b32_e64 v17, 0, 1, s0
	v_cmp_neq_f32_e64 s0, s1, v1
	v_cndmask_b32_e64 v1, 0, 1, s0
	v_cmp_eq_f32_e64 s0, s1, v6
	s_delay_alu instid0(VALU_DEP_1) | instskip(SKIP_1) | instid1(VALU_DEP_1)
	v_cndmask_b32_e64 v18, 0, 1, s0
	v_cmp_neq_f32_e64 s0, s1, v6
	v_cndmask_b32_e64 v6, 0, 1, s0
	v_cmp_eq_f32_e64 s0, s1, v7
	s_delay_alu instid0(VALU_DEP_2) | instskip(NEXT) | instid1(VALU_DEP_2)
	v_dual_cndmask_b32 v1, v1, v17 :: v_dual_cndmask_b32 v6, v6, v18
	v_cndmask_b32_e64 v19, 0, 1, s0
	v_cmp_neq_f32_e64 s0, s1, v7
	s_delay_alu instid0(VALU_DEP_1) | instskip(SKIP_1) | instid1(VALU_DEP_1)
	v_cndmask_b32_e64 v7, 0, 1, s0
	v_cmp_eq_f32_e64 s0, s1, v2
	v_cndmask_b32_e64 v20, 0, 1, s0
	v_cmp_neq_f32_e64 s0, s1, v2
	s_delay_alu instid0(VALU_DEP_1) | instskip(SKIP_1) | instid1(VALU_DEP_2)
	v_cndmask_b32_e64 v2, 0, 1, s0
	v_cmp_eq_f32_e64 s0, s1, v8
	v_dual_cndmask_b32 v7, v7, v19 :: v_dual_cndmask_b32 v2, v2, v20
	s_delay_alu instid0(VALU_DEP_2) | instskip(SKIP_1) | instid1(VALU_DEP_1)
	v_cndmask_b32_e64 v21, 0, 1, s0
	v_cmp_neq_f32_e64 s0, s1, v8
	v_cndmask_b32_e64 v8, 0, 1, s0
	v_cmp_eq_f32_e64 s0, s1, v9
	s_delay_alu instid0(VALU_DEP_1) | instskip(SKIP_1) | instid1(VALU_DEP_1)
	v_cndmask_b32_e64 v22, 0, 1, s0
	v_cmp_neq_f32_e64 s0, s1, v9
	v_cndmask_b32_e64 v9, 0, 1, s0
	v_cmp_eq_f32_e64 s0, s1, v10
	s_delay_alu instid0(VALU_DEP_2) | instskip(NEXT) | instid1(VALU_DEP_2)
	v_dual_cndmask_b32 v8, v8, v21 :: v_dual_cndmask_b32 v9, v9, v22
	v_cndmask_b32_e64 v23, 0, 1, s0
	v_cmp_neq_f32_e64 s0, s1, v10
	s_delay_alu instid0(VALU_DEP_3) | instskip(NEXT) | instid1(VALU_DEP_2)
	v_and_b32_e32 v9, 1, v9
	v_cndmask_b32_e64 v10, 0, 1, s0
	v_cmp_eq_f32_e64 s0, s1, v3
	s_delay_alu instid0(VALU_DEP_3) | instskip(NEXT) | instid1(VALU_DEP_2)
	v_lshlrev_b16 v9, 8, v9
	v_cndmask_b32_e64 v24, 0, 1, s0
	v_cmp_neq_f32_e64 s0, s1, v3
	s_delay_alu instid0(VALU_DEP_3) | instskip(NEXT) | instid1(VALU_DEP_2)
	v_bitop3_b16 v8, v8, v9, 1 bitop3:0xec
	v_cndmask_b32_e64 v3, 0, 1, s0
	v_cmp_eq_f32_e64 s0, s1, v11
	v_cndmask_b32_e32 v10, v10, v23, vcc_lo
	s_delay_alu instid0(VALU_DEP_4) | instskip(NEXT) | instid1(VALU_DEP_4)
	v_and_b32_e32 v8, 0xffff, v8
	v_cndmask_b32_e32 v3, v3, v24, vcc_lo
	s_delay_alu instid0(VALU_DEP_4) | instskip(SKIP_1) | instid1(VALU_DEP_3)
	v_cndmask_b32_e64 v25, 0, 1, s0
	v_cmp_neq_f32_e64 s0, s1, v11
	v_and_b32_e32 v3, 1, v3
	s_delay_alu instid0(VALU_DEP_2) | instskip(SKIP_1) | instid1(VALU_DEP_3)
	v_cndmask_b32_e64 v11, 0, 1, s0
	v_cmp_eq_f32_e64 s0, s1, v12
	v_lshlrev_b16 v3, 8, v3
	s_delay_alu instid0(VALU_DEP_2) | instskip(SKIP_1) | instid1(VALU_DEP_3)
	v_cndmask_b32_e64 v26, 0, 1, s0
	v_cmp_neq_f32_e64 s0, s1, v12
	v_bitop3_b16 v3, v10, v3, 1 bitop3:0xec
	v_and_b32_e32 v2, 1, v2
	s_delay_alu instid0(VALU_DEP_3) | instskip(SKIP_1) | instid1(VALU_DEP_4)
	v_cndmask_b32_e64 v12, 0, 1, s0
	v_cmp_eq_f32_e64 s0, s1, v13
	v_dual_cndmask_b32 v11, v11, v25, vcc_lo :: v_dual_lshlrev_b32 v9, 16, v3
	s_delay_alu instid0(VALU_DEP_4) | instskip(NEXT) | instid1(VALU_DEP_4)
	v_lshlrev_b16 v2, 8, v2
	v_cndmask_b32_e32 v12, v12, v26, vcc_lo
	s_delay_alu instid0(VALU_DEP_4) | instskip(SKIP_1) | instid1(VALU_DEP_4)
	v_cndmask_b32_e64 v27, 0, 1, s0
	v_cmp_neq_f32_e64 s0, s1, v13
	v_bitop3_b16 v2, v7, v2, 1 bitop3:0xec
	s_delay_alu instid0(VALU_DEP_4) | instskip(NEXT) | instid1(VALU_DEP_3)
	v_and_b32_e32 v12, 1, v12
	v_cndmask_b32_e64 v13, 0, 1, s0
	v_cmp_eq_f32_e64 s0, s1, v4
	s_delay_alu instid0(VALU_DEP_4) | instskip(NEXT) | instid1(VALU_DEP_4)
	v_lshlrev_b32_e32 v2, 16, v2
	v_lshlrev_b16 v12, 8, v12
	s_delay_alu instid0(VALU_DEP_3) | instskip(SKIP_1) | instid1(VALU_DEP_3)
	v_cndmask_b32_e64 v28, 0, 1, s0
	v_cmp_neq_f32_e64 s0, s1, v4
	v_bitop3_b16 v11, v11, v12, 1 bitop3:0xec
	s_delay_alu instid0(VALU_DEP_2) | instskip(SKIP_2) | instid1(VALU_DEP_4)
	v_cndmask_b32_e64 v4, 0, 1, s0
	v_cmp_eq_f32_e64 s0, s1, v14
	v_cndmask_b32_e32 v13, v13, v27, vcc_lo
	v_and_b32_e32 v7, 0xffff, v11
	s_delay_alu instid0(VALU_DEP_4) | instskip(NEXT) | instid1(VALU_DEP_4)
	v_cndmask_b32_e32 v4, v4, v28, vcc_lo
	v_cndmask_b32_e64 v29, 0, 1, s0
	v_cmp_neq_f32_e64 s0, s1, v14
	s_delay_alu instid0(VALU_DEP_3) | instskip(NEXT) | instid1(VALU_DEP_2)
	v_and_b32_e32 v4, 1, v4
	v_cndmask_b32_e64 v14, 0, 1, s0
	v_cmp_eq_f32_e64 s0, s1, v15
	s_delay_alu instid0(VALU_DEP_3) | instskip(NEXT) | instid1(VALU_DEP_2)
	v_lshlrev_b16 v4, 8, v4
	v_cndmask_b32_e64 v30, 0, 1, s0
	v_cmp_neq_f32_e64 s0, s1, v15
	s_delay_alu instid0(VALU_DEP_3) | instskip(NEXT) | instid1(VALU_DEP_2)
	v_bitop3_b16 v4, v13, v4, 1 bitop3:0xec
	v_cndmask_b32_e64 v15, 0, 1, s0
	v_cmp_eq_f32_e64 s0, s1, v16
	s_delay_alu instid0(VALU_DEP_3) | instskip(NEXT) | instid1(VALU_DEP_3)
	v_dual_cndmask_b32 v14, v14, v29, vcc_lo :: v_dual_lshlrev_b32 v10, 16, v4
	v_cndmask_b32_e32 v15, v15, v30, vcc_lo
	s_delay_alu instid0(VALU_DEP_3) | instskip(SKIP_1) | instid1(VALU_DEP_3)
	v_cndmask_b32_e64 v31, 0, 1, s0
	v_cmp_neq_f32_e64 s0, s1, v16
	v_and_b32_e32 v15, 1, v15
	s_delay_alu instid0(VALU_DEP_2) | instskip(SKIP_1) | instid1(VALU_DEP_3)
	v_cndmask_b32_e64 v16, 0, 1, s0
	v_cmp_eq_f32_e64 s0, s1, v5
	v_lshlrev_b16 v15, 8, v15
	s_delay_alu instid0(VALU_DEP_2) | instskip(SKIP_1) | instid1(VALU_DEP_3)
	v_cndmask_b32_e64 v32, 0, 1, s0
	v_cmp_neq_f32_e64 s0, s1, v5
	v_bitop3_b16 v14, v14, v15, 1 bitop3:0xec
	s_delay_alu instid0(VALU_DEP_2) | instskip(SKIP_2) | instid1(VALU_DEP_2)
	v_cndmask_b32_e64 v5, 0, 1, s0
	v_cndmask_b32_e32 v16, v16, v31, vcc_lo
	s_mov_b32 s0, 0
	v_cndmask_b32_e32 v5, v5, v32, vcc_lo
	s_delay_alu instid0(VALU_DEP_1) | instskip(NEXT) | instid1(VALU_DEP_1)
	v_and_b32_e32 v5, 1, v5
	v_lshlrev_b16 v5, 8, v5
	s_delay_alu instid0(VALU_DEP_1) | instskip(NEXT) | instid1(VALU_DEP_1)
	v_bitop3_b16 v5, v16, v5, 1 bitop3:0xec
	v_dual_lshlrev_b32 v5, 16, v5 :: v_dual_bitop2_b32 v6, 1, v6 bitop3:0x40
	s_delay_alu instid0(VALU_DEP_1) | instskip(NEXT) | instid1(VALU_DEP_1)
	v_lshlrev_b16 v6, 8, v6
	v_bitop3_b16 v1, v1, v6, 1 bitop3:0xec
	v_and_b32_e32 v6, 0xffff, v14
	s_delay_alu instid0(VALU_DEP_2) | instskip(NEXT) | instid1(VALU_DEP_2)
	v_and_b32_e32 v1, 0xffff, v1
	v_or_b32_e32 v3, v6, v5
	v_or_b32_e32 v5, v8, v9
	s_delay_alu instid0(VALU_DEP_3)
	v_or_b32_e32 v4, v1, v2
	v_or_b32_e32 v2, v7, v10
	s_clause 0x1
	global_store_b64 v0, v[4:5], s[12:13] scale_offset
	global_store_b64 v0, v[2:3], s[12:13] offset:2048 scale_offset
.LBB318_2:
	s_and_not1_b32 vcc_lo, exec_lo, s0
	s_cbranch_vccnz .LBB318_83
; %bb.3:
	v_cmp_gt_i32_e32 vcc_lo, s8, v0
	s_wait_xcnt 0x0
	v_dual_mov_b32 v2, 0 :: v_dual_bitop2_b32 v8, s2, v0 bitop3:0x54
	v_or_b32_e32 v9, 0x100, v0
	v_dual_mov_b32 v10, 0 :: v_dual_mov_b32 v11, 0
	v_dual_mov_b32 v12, 0 :: v_dual_mov_b32 v13, 0
	;; [unrolled: 1-line block ×8, first 2 shown]
	s_and_saveexec_b32 s1, vcc_lo
	s_cbranch_execz .LBB318_35
; %bb.4:
	global_load_u8 v23, v8, s[6:7]
	v_or_b32_e32 v1, 0x100, v0
	v_dual_mov_b32 v22, 0 :: v_dual_mov_b32 v5, 0
	v_dual_mov_b32 v6, 0 :: v_dual_mov_b32 v21, 0
	v_dual_mov_b32 v20, 0 :: v_dual_mov_b32 v19, 0
	v_dual_mov_b32 v18, 0 :: v_dual_mov_b32 v17, 0
	v_dual_mov_b32 v16, 0 :: v_dual_mov_b32 v15, 0
	v_dual_mov_b32 v14, 0 :: v_dual_mov_b32 v13, 0
	v_dual_mov_b32 v12, 0 :: v_dual_mov_b32 v11, 0
	v_mov_b32_e32 v10, 0
	s_mov_b32 s3, exec_lo
	s_wait_xcnt 0x0
	v_cmpx_gt_u32_e64 s8, v1
	s_cbranch_execz .LBB318_34
; %bb.5:
	v_dual_mov_b32 v5, 0 :: v_dual_add_nc_u32 v4, s2, v0
	v_or_b32_e32 v1, 0x200, v0
	v_dual_mov_b32 v6, 0 :: v_dual_mov_b32 v21, 0
	global_load_u8 v22, v4, s[6:7] offset:256
	v_dual_mov_b32 v20, 0 :: v_dual_mov_b32 v19, 0
	v_dual_mov_b32 v18, 0 :: v_dual_mov_b32 v17, 0
	;; [unrolled: 1-line block ×5, first 2 shown]
	v_mov_b32_e32 v10, 0
	s_mov_b32 s11, exec_lo
	s_wait_xcnt 0x0
	v_cmpx_gt_u32_e64 s8, v1
	s_cbranch_execz .LBB318_33
; %bb.6:
	v_add_nc_u64_e32 v[6:7], s[6:7], v[4:5]
	v_or_b32_e32 v3, 0x300, v0
	v_dual_mov_b32 v21, 0 :: v_dual_mov_b32 v20, 0
	v_dual_mov_b32 v19, 0 :: v_dual_mov_b32 v18, 0
	;; [unrolled: 1-line block ×3, first 2 shown]
	global_load_u8 v1, v[6:7], off offset:512
	v_dual_mov_b32 v15, 0 :: v_dual_mov_b32 v14, 0
	v_dual_mov_b32 v13, 0 :: v_dual_mov_b32 v12, 0
	;; [unrolled: 1-line block ×3, first 2 shown]
	s_mov_b32 s6, exec_lo
	s_wait_xcnt 0x0
	v_cmpx_gt_u32_e64 s8, v3
	s_cbranch_execz .LBB318_32
; %bb.7:
	global_load_u8 v5, v[6:7], off offset:768
	v_or_b32_e32 v3, 0x400, v0
	v_dual_mov_b32 v21, 0 :: v_dual_mov_b32 v20, 0
	v_dual_mov_b32 v19, 0 :: v_dual_mov_b32 v18, 0
	;; [unrolled: 1-line block ×6, first 2 shown]
	s_mov_b32 s7, exec_lo
	s_wait_xcnt 0x0
	v_cmpx_gt_u32_e64 s8, v3
	s_cbranch_execz .LBB318_31
; %bb.8:
	global_load_u8 v21, v[6:7], off offset:1024
	v_or_b32_e32 v3, 0x500, v0
	v_dual_mov_b32 v20, 0 :: v_dual_mov_b32 v19, 0
	v_dual_mov_b32 v18, 0 :: v_dual_mov_b32 v17, 0
	;; [unrolled: 1-line block ×5, first 2 shown]
	v_mov_b32_e32 v10, 0
	s_mov_b32 s12, exec_lo
	s_wait_xcnt 0x0
	v_cmpx_gt_u32_e64 s8, v3
	s_cbranch_execz .LBB318_30
; %bb.9:
	global_load_u8 v20, v[6:7], off offset:1280
	v_or_b32_e32 v3, 0x600, v0
	v_dual_mov_b32 v19, 0 :: v_dual_mov_b32 v18, 0
	v_dual_mov_b32 v17, 0 :: v_dual_mov_b32 v16, 0
	;; [unrolled: 1-line block ×5, first 2 shown]
	s_mov_b32 s13, exec_lo
	s_wait_xcnt 0x0
	v_cmpx_gt_u32_e64 s8, v3
	s_cbranch_execz .LBB318_29
; %bb.10:
	global_load_u8 v19, v[6:7], off offset:1536
	v_or_b32_e32 v3, 0x700, v0
	v_dual_mov_b32 v18, 0 :: v_dual_mov_b32 v17, 0
	v_dual_mov_b32 v16, 0 :: v_dual_mov_b32 v15, 0
	;; [unrolled: 1-line block ×4, first 2 shown]
	v_mov_b32_e32 v10, 0
	s_mov_b32 s14, exec_lo
	s_wait_xcnt 0x0
	v_cmpx_gt_u32_e64 s8, v3
	s_cbranch_execz .LBB318_28
; %bb.11:
	global_load_u8 v18, v[6:7], off offset:1792
	v_or_b32_e32 v3, 0x800, v0
	v_dual_mov_b32 v17, 0 :: v_dual_mov_b32 v16, 0
	v_dual_mov_b32 v15, 0 :: v_dual_mov_b32 v14, 0
	;; [unrolled: 1-line block ×4, first 2 shown]
	s_mov_b32 s15, exec_lo
	s_wait_xcnt 0x0
	v_cmpx_gt_u32_e64 s8, v3
	s_cbranch_execz .LBB318_27
; %bb.12:
	global_load_u8 v17, v[6:7], off offset:2048
	v_or_b32_e32 v3, 0x900, v0
	v_dual_mov_b32 v16, 0 :: v_dual_mov_b32 v15, 0
	v_dual_mov_b32 v14, 0 :: v_dual_mov_b32 v13, 0
	;; [unrolled: 1-line block ×3, first 2 shown]
	v_mov_b32_e32 v10, 0
	s_mov_b32 s16, exec_lo
	s_wait_xcnt 0x0
	v_cmpx_gt_u32_e64 s8, v3
	s_cbranch_execz .LBB318_26
; %bb.13:
	global_load_u8 v16, v[6:7], off offset:2304
	v_or_b32_e32 v3, 0xa00, v0
	v_dual_mov_b32 v15, 0 :: v_dual_mov_b32 v14, 0
	v_dual_mov_b32 v13, 0 :: v_dual_mov_b32 v12, 0
	;; [unrolled: 1-line block ×3, first 2 shown]
	s_mov_b32 s17, exec_lo
	s_wait_xcnt 0x0
	v_cmpx_gt_u32_e64 s8, v3
	s_cbranch_execz .LBB318_25
; %bb.14:
	global_load_u8 v15, v[6:7], off offset:2560
	v_or_b32_e32 v3, 0xb00, v0
	v_dual_mov_b32 v14, 0 :: v_dual_mov_b32 v13, 0
	v_dual_mov_b32 v12, 0 :: v_dual_mov_b32 v11, 0
	v_mov_b32_e32 v10, 0
	s_mov_b32 s18, exec_lo
	s_wait_xcnt 0x0
	v_cmpx_gt_u32_e64 s8, v3
	s_cbranch_execz .LBB318_24
; %bb.15:
	global_load_u8 v14, v[6:7], off offset:2816
	v_or_b32_e32 v3, 0xc00, v0
	v_dual_mov_b32 v13, 0 :: v_dual_mov_b32 v12, 0
	v_dual_mov_b32 v11, 0 :: v_dual_mov_b32 v10, 0
	s_mov_b32 s19, exec_lo
	s_wait_xcnt 0x0
	v_cmpx_gt_u32_e64 s8, v3
	s_cbranch_execz .LBB318_23
; %bb.16:
	global_load_u8 v13, v[6:7], off offset:3072
	v_or_b32_e32 v3, 0xd00, v0
	v_dual_mov_b32 v12, 0 :: v_dual_mov_b32 v11, 0
	v_mov_b32_e32 v10, 0
	s_mov_b32 s20, exec_lo
	s_wait_xcnt 0x0
	v_cmpx_gt_u32_e64 s8, v3
	s_cbranch_execz .LBB318_22
; %bb.17:
	global_load_u8 v12, v[6:7], off offset:3328
	v_or_b32_e32 v3, 0xe00, v0
	v_dual_mov_b32 v11, 0 :: v_dual_mov_b32 v10, 0
	s_mov_b32 s21, exec_lo
	s_wait_xcnt 0x0
	s_delay_alu instid0(VALU_DEP_2)
	v_cmpx_gt_u32_e64 s8, v3
	s_cbranch_execz .LBB318_21
; %bb.18:
	global_load_u8 v11, v[6:7], off offset:3584
	v_or_b32_e32 v3, 0xf00, v0
	v_mov_b32_e32 v10, 0
	s_mov_b32 s22, exec_lo
	s_wait_xcnt 0x0
	s_delay_alu instid0(VALU_DEP_2)
	v_cmpx_gt_u32_e64 s8, v3
	s_cbranch_execz .LBB318_20
; %bb.19:
	global_load_u8 v10, v[6:7], off offset:3840
.LBB318_20:
	s_wait_xcnt 0x0
	s_or_b32 exec_lo, exec_lo, s22
.LBB318_21:
	s_delay_alu instid0(SALU_CYCLE_1)
	s_or_b32 exec_lo, exec_lo, s21
.LBB318_22:
	s_delay_alu instid0(SALU_CYCLE_1)
	s_or_b32 exec_lo, exec_lo, s20
.LBB318_23:
	s_delay_alu instid0(SALU_CYCLE_1)
	s_or_b32 exec_lo, exec_lo, s19
.LBB318_24:
	s_delay_alu instid0(SALU_CYCLE_1)
	s_or_b32 exec_lo, exec_lo, s18
.LBB318_25:
	s_delay_alu instid0(SALU_CYCLE_1)
	s_or_b32 exec_lo, exec_lo, s17
.LBB318_26:
	s_delay_alu instid0(SALU_CYCLE_1)
	s_or_b32 exec_lo, exec_lo, s16
.LBB318_27:
	s_delay_alu instid0(SALU_CYCLE_1)
	s_or_b32 exec_lo, exec_lo, s15
.LBB318_28:
	s_delay_alu instid0(SALU_CYCLE_1)
	s_or_b32 exec_lo, exec_lo, s14
.LBB318_29:
	s_delay_alu instid0(SALU_CYCLE_1)
	s_or_b32 exec_lo, exec_lo, s13
.LBB318_30:
	s_delay_alu instid0(SALU_CYCLE_1)
	s_or_b32 exec_lo, exec_lo, s12
.LBB318_31:
	s_delay_alu instid0(SALU_CYCLE_1)
	s_or_b32 exec_lo, exec_lo, s7
.LBB318_32:
	s_delay_alu instid0(SALU_CYCLE_1)
	s_or_b32 exec_lo, exec_lo, s6
	s_wait_loadcnt 0x0
	v_dual_mov_b32 v6, v5 :: v_dual_mov_b32 v5, v1
.LBB318_33:
	s_or_b32 exec_lo, exec_lo, s11
.LBB318_34:
	s_delay_alu instid0(SALU_CYCLE_1)
	s_or_b32 exec_lo, exec_lo, s3
.LBB318_35:
	s_delay_alu instid0(SALU_CYCLE_1)
	s_or_b32 exec_lo, exec_lo, s1
	s_cmp_eq_u32 s9, 0
	v_dual_mov_b32 v1, v2 :: v_dual_mov_b32 v4, v2
	s_cselect_b32 s0, -1, 0
	s_lshl_b32 s1, s10, 23
	s_and_b32 s3, s10, 0xff
	s_and_b32 s1, s1, 0x7f800000
	s_cmp_lg_u32 s3, 0xff
	v_mov_b32_e32 v3, v2
	s_cselect_b32 s1, s1, 0x7f800001
	s_cmp_lg_u32 s3, 0
	s_cselect_b32 s3, s1, 0x400000
	s_and_saveexec_b32 s6, vcc_lo
	s_cbranch_execz .LBB318_37
; %bb.36:
	s_wait_loadcnt 0x0
	v_and_b32_e32 v1, 0xff, v23
	s_delay_alu instid0(VALU_DEP_1) | instskip(SKIP_1) | instid1(VALU_DEP_1)
	v_lshlrev_b32_e32 v2, 23, v1
	v_cmp_ne_u16_e64 s1, 0xff, v1
	v_cndmask_b32_e64 v2, 0x7f800001, v2, s1
	v_cmp_ne_u16_e64 s1, 0, v1
	s_delay_alu instid0(VALU_DEP_1) | instskip(NEXT) | instid1(VALU_DEP_1)
	v_cndmask_b32_e64 v1, 0x400000, v2, s1
	v_cmp_eq_f32_e64 s1, s3, v1
	s_delay_alu instid0(VALU_DEP_1) | instskip(SKIP_1) | instid1(VALU_DEP_1)
	v_cndmask_b32_e64 v2, 0, 1, s1
	v_cmp_neq_f32_e64 s1, s3, v1
	v_cndmask_b32_e64 v1, 0, 1, s1
	s_delay_alu instid0(VALU_DEP_1) | instskip(NEXT) | instid1(VALU_DEP_1)
	v_dual_cndmask_b32 v2, v1, v2, s0 :: v_dual_mov_b32 v1, 0
	v_dual_mov_b32 v4, v1 :: v_dual_bitop2_b32 v2, 1, v2 bitop3:0x40
	v_mov_b32_e32 v3, v1
	s_delay_alu instid0(VALU_DEP_2)
	v_and_b32_e32 v2, 0xffff, v2
.LBB318_37:
	s_or_b32 exec_lo, exec_lo, s6
	s_delay_alu instid0(SALU_CYCLE_1)
	s_mov_b32 s6, exec_lo
	v_cmpx_gt_i32_e64 s8, v9
	s_cbranch_execz .LBB318_39
; %bb.38:
	s_wait_loadcnt 0x0
	v_and_b32_e32 v7, 0xff, v22
	s_delay_alu instid0(VALU_DEP_1) | instskip(SKIP_1) | instid1(VALU_DEP_1)
	v_lshlrev_b32_e32 v22, 23, v7
	v_cmp_ne_u16_e64 s1, 0xff, v7
	v_cndmask_b32_e64 v22, 0x7f800001, v22, s1
	v_cmp_ne_u16_e64 s1, 0, v7
	s_delay_alu instid0(VALU_DEP_1) | instskip(NEXT) | instid1(VALU_DEP_1)
	v_cndmask_b32_e64 v7, 0x400000, v22, s1
	v_cmp_eq_f32_e64 s1, s3, v7
	s_delay_alu instid0(VALU_DEP_1) | instskip(SKIP_1) | instid1(VALU_DEP_1)
	v_cndmask_b32_e64 v22, 0, 1, s1
	v_cmp_neq_f32_e64 s1, s3, v7
	v_cndmask_b32_e64 v7, 0, 1, s1
	s_delay_alu instid0(VALU_DEP_1) | instskip(NEXT) | instid1(VALU_DEP_1)
	v_cndmask_b32_e64 v7, v7, v22, s0
	v_and_b32_e32 v7, 1, v7
	s_delay_alu instid0(VALU_DEP_1) | instskip(NEXT) | instid1(VALU_DEP_1)
	v_lshlrev_b16 v7, 8, v7
	v_bitop3_b16 v7, v2, v7, 0xff bitop3:0xec
	s_delay_alu instid0(VALU_DEP_1) | instskip(NEXT) | instid1(VALU_DEP_1)
	v_and_b32_e32 v7, 0xffff, v7
	v_and_or_b32 v2, 0xffff0000, v2, v7
.LBB318_39:
	s_or_b32 exec_lo, exec_lo, s6
	v_or_b32_e32 v7, 0x200, v0
	s_mov_b32 s6, exec_lo
	s_delay_alu instid0(VALU_DEP_1)
	v_cmpx_gt_i32_e64 s8, v7
	s_cbranch_execz .LBB318_41
; %bb.40:
	v_and_b32_e32 v5, 0xff, v5
	s_delay_alu instid0(VALU_DEP_1) | instskip(SKIP_1) | instid1(VALU_DEP_1)
	v_lshlrev_b32_e32 v7, 23, v5
	v_cmp_ne_u16_e64 s1, 0xff, v5
	v_cndmask_b32_e64 v7, 0x7f800001, v7, s1
	v_cmp_ne_u16_e64 s1, 0, v5
	s_delay_alu instid0(VALU_DEP_1) | instskip(SKIP_1) | instid1(VALU_DEP_2)
	v_cndmask_b32_e64 v5, 0x400000, v7, s1
	v_lshrrev_b32_e32 v7, 16, v2
	v_cmp_eq_f32_e64 s1, s3, v5
	s_delay_alu instid0(VALU_DEP_2) | instskip(SKIP_1) | instid1(VALU_DEP_2)
	v_and_b32_e32 v7, 0xffffff00, v7
	s_wait_loadcnt 0x0
	v_cndmask_b32_e64 v22, 0, 1, s1
	v_cmp_neq_f32_e64 s1, s3, v5
	s_delay_alu instid0(VALU_DEP_1) | instskip(NEXT) | instid1(VALU_DEP_1)
	v_cndmask_b32_e64 v5, 0, 1, s1
	v_cndmask_b32_e64 v5, v5, v22, s0
	s_delay_alu instid0(VALU_DEP_1) | instskip(NEXT) | instid1(VALU_DEP_1)
	v_bitop3_b16 v5, v5, v7, 1 bitop3:0xec
	v_lshlrev_b32_e32 v5, 16, v5
	s_delay_alu instid0(VALU_DEP_1)
	v_and_or_b32 v2, 0xffff, v2, v5
.LBB318_41:
	s_or_b32 exec_lo, exec_lo, s6
	v_or_b32_e32 v5, 0x300, v0
	s_mov_b32 s6, exec_lo
	s_delay_alu instid0(VALU_DEP_1)
	v_cmpx_gt_i32_e64 s8, v5
	s_cbranch_execz .LBB318_43
; %bb.42:
	v_and_b32_e32 v5, 0xff, v6
	s_delay_alu instid0(VALU_DEP_1) | instskip(SKIP_1) | instid1(VALU_DEP_1)
	v_lshlrev_b32_e32 v6, 23, v5
	v_cmp_ne_u16_e64 s1, 0xff, v5
	v_cndmask_b32_e64 v6, 0x7f800001, v6, s1
	v_cmp_ne_u16_e64 s1, 0, v5
	s_delay_alu instid0(VALU_DEP_1) | instskip(NEXT) | instid1(VALU_DEP_1)
	v_cndmask_b32_e64 v5, 0x400000, v6, s1
	v_cmp_eq_f32_e64 s1, s3, v5
	s_delay_alu instid0(VALU_DEP_1) | instskip(SKIP_1) | instid1(VALU_DEP_1)
	v_cndmask_b32_e64 v6, 0, 1, s1
	v_cmp_neq_f32_e64 s1, s3, v5
	v_cndmask_b32_e64 v5, 0, 1, s1
	s_delay_alu instid0(VALU_DEP_1) | instskip(NEXT) | instid1(VALU_DEP_1)
	v_cndmask_b32_e64 v5, v5, v6, s0
	v_dual_lshrrev_b32 v6, 16, v2 :: v_dual_bitop2_b32 v5, 1, v5 bitop3:0x40
	s_delay_alu instid0(VALU_DEP_1) | instskip(NEXT) | instid1(VALU_DEP_1)
	v_lshlrev_b16 v5, 8, v5
	v_bitop3_b16 v5, v6, v5, 0xff bitop3:0xec
	s_delay_alu instid0(VALU_DEP_1) | instskip(NEXT) | instid1(VALU_DEP_1)
	v_lshlrev_b32_e32 v5, 16, v5
	v_and_or_b32 v2, 0xffff, v2, v5
.LBB318_43:
	s_or_b32 exec_lo, exec_lo, s6
	v_or_b32_e32 v5, 0x400, v0
	s_mov_b32 s6, exec_lo
	s_delay_alu instid0(VALU_DEP_1)
	v_cmpx_gt_i32_e64 s8, v5
	s_cbranch_execz .LBB318_45
; %bb.44:
	v_and_b32_e32 v5, 0xff, v21
	v_and_b32_e32 v7, 0xffffff00, v1
	s_delay_alu instid0(VALU_DEP_2) | instskip(SKIP_1) | instid1(VALU_DEP_1)
	v_lshlrev_b32_e32 v6, 23, v5
	v_cmp_ne_u16_e64 s1, 0xff, v5
	v_cndmask_b32_e64 v6, 0x7f800001, v6, s1
	v_cmp_ne_u16_e64 s1, 0, v5
	s_delay_alu instid0(VALU_DEP_1) | instskip(NEXT) | instid1(VALU_DEP_1)
	v_cndmask_b32_e64 v5, 0x400000, v6, s1
	v_cmp_eq_f32_e64 s1, s3, v5
	s_delay_alu instid0(VALU_DEP_1) | instskip(SKIP_1) | instid1(VALU_DEP_1)
	v_cndmask_b32_e64 v6, 0, 1, s1
	v_cmp_neq_f32_e64 s1, s3, v5
	v_cndmask_b32_e64 v5, 0, 1, s1
	s_delay_alu instid0(VALU_DEP_1) | instskip(NEXT) | instid1(VALU_DEP_1)
	v_cndmask_b32_e64 v5, v5, v6, s0
	v_bitop3_b16 v5, v5, v7, 1 bitop3:0xec
	s_delay_alu instid0(VALU_DEP_1) | instskip(NEXT) | instid1(VALU_DEP_1)
	v_and_b32_e32 v5, 0xffff, v5
	v_and_or_b32 v1, 0xffff0000, v1, v5
.LBB318_45:
	s_or_b32 exec_lo, exec_lo, s6
	v_or_b32_e32 v5, 0x500, v0
	s_mov_b32 s6, exec_lo
	s_delay_alu instid0(VALU_DEP_1)
	v_cmpx_gt_i32_e64 s8, v5
	s_cbranch_execz .LBB318_47
; %bb.46:
	v_and_b32_e32 v5, 0xff, v20
	s_delay_alu instid0(VALU_DEP_1) | instskip(SKIP_1) | instid1(VALU_DEP_1)
	v_lshlrev_b32_e32 v6, 23, v5
	v_cmp_ne_u16_e64 s1, 0xff, v5
	v_cndmask_b32_e64 v6, 0x7f800001, v6, s1
	v_cmp_ne_u16_e64 s1, 0, v5
	s_delay_alu instid0(VALU_DEP_1) | instskip(NEXT) | instid1(VALU_DEP_1)
	v_cndmask_b32_e64 v5, 0x400000, v6, s1
	v_cmp_eq_f32_e64 s1, s3, v5
	s_delay_alu instid0(VALU_DEP_1) | instskip(SKIP_1) | instid1(VALU_DEP_1)
	v_cndmask_b32_e64 v6, 0, 1, s1
	v_cmp_neq_f32_e64 s1, s3, v5
	v_cndmask_b32_e64 v5, 0, 1, s1
	s_delay_alu instid0(VALU_DEP_1) | instskip(NEXT) | instid1(VALU_DEP_1)
	v_cndmask_b32_e64 v5, v5, v6, s0
	v_and_b32_e32 v5, 1, v5
	s_delay_alu instid0(VALU_DEP_1) | instskip(NEXT) | instid1(VALU_DEP_1)
	v_lshlrev_b16 v5, 8, v5
	v_bitop3_b16 v5, v1, v5, 0xff bitop3:0xec
	s_delay_alu instid0(VALU_DEP_1) | instskip(NEXT) | instid1(VALU_DEP_1)
	v_and_b32_e32 v5, 0xffff, v5
	v_and_or_b32 v1, 0xffff0000, v1, v5
.LBB318_47:
	s_or_b32 exec_lo, exec_lo, s6
	v_or_b32_e32 v5, 0x600, v0
	s_mov_b32 s6, exec_lo
	s_delay_alu instid0(VALU_DEP_1)
	v_cmpx_gt_i32_e64 s8, v5
	s_cbranch_execz .LBB318_49
; %bb.48:
	v_and_b32_e32 v5, 0xff, v19
	s_delay_alu instid0(VALU_DEP_1) | instskip(SKIP_1) | instid1(VALU_DEP_1)
	v_lshlrev_b32_e32 v6, 23, v5
	v_cmp_ne_u16_e64 s1, 0xff, v5
	v_cndmask_b32_e64 v6, 0x7f800001, v6, s1
	v_cmp_ne_u16_e64 s1, 0, v5
	s_delay_alu instid0(VALU_DEP_1) | instskip(SKIP_1) | instid1(VALU_DEP_2)
	v_cndmask_b32_e64 v5, 0x400000, v6, s1
	v_lshrrev_b32_e32 v6, 16, v1
	v_cmp_eq_f32_e64 s1, s3, v5
	s_delay_alu instid0(VALU_DEP_2) | instskip(NEXT) | instid1(VALU_DEP_2)
	v_and_b32_e32 v6, 0xffffff00, v6
	v_cndmask_b32_e64 v7, 0, 1, s1
	v_cmp_neq_f32_e64 s1, s3, v5
	s_delay_alu instid0(VALU_DEP_1) | instskip(NEXT) | instid1(VALU_DEP_1)
	v_cndmask_b32_e64 v5, 0, 1, s1
	v_cndmask_b32_e64 v5, v5, v7, s0
	s_delay_alu instid0(VALU_DEP_1) | instskip(NEXT) | instid1(VALU_DEP_1)
	v_bitop3_b16 v5, v5, v6, 1 bitop3:0xec
	v_lshlrev_b32_e32 v5, 16, v5
	s_delay_alu instid0(VALU_DEP_1)
	v_and_or_b32 v1, 0xffff, v1, v5
.LBB318_49:
	s_or_b32 exec_lo, exec_lo, s6
	v_or_b32_e32 v5, 0x700, v0
	s_mov_b32 s6, exec_lo
	s_delay_alu instid0(VALU_DEP_1)
	v_cmpx_gt_i32_e64 s8, v5
	s_cbranch_execz .LBB318_51
; %bb.50:
	v_and_b32_e32 v5, 0xff, v18
	s_delay_alu instid0(VALU_DEP_1) | instskip(SKIP_1) | instid1(VALU_DEP_1)
	v_lshlrev_b32_e32 v6, 23, v5
	v_cmp_ne_u16_e64 s1, 0xff, v5
	v_cndmask_b32_e64 v6, 0x7f800001, v6, s1
	v_cmp_ne_u16_e64 s1, 0, v5
	s_delay_alu instid0(VALU_DEP_1) | instskip(NEXT) | instid1(VALU_DEP_1)
	v_cndmask_b32_e64 v5, 0x400000, v6, s1
	v_cmp_eq_f32_e64 s1, s3, v5
	s_delay_alu instid0(VALU_DEP_1) | instskip(SKIP_1) | instid1(VALU_DEP_1)
	v_cndmask_b32_e64 v6, 0, 1, s1
	v_cmp_neq_f32_e64 s1, s3, v5
	v_cndmask_b32_e64 v5, 0, 1, s1
	s_delay_alu instid0(VALU_DEP_1) | instskip(NEXT) | instid1(VALU_DEP_1)
	v_dual_cndmask_b32 v5, v5, v6, s0 :: v_dual_lshrrev_b32 v6, 16, v1
	v_and_b32_e32 v5, 1, v5
	s_delay_alu instid0(VALU_DEP_1) | instskip(NEXT) | instid1(VALU_DEP_1)
	v_lshlrev_b16 v5, 8, v5
	v_bitop3_b16 v5, v6, v5, 0xff bitop3:0xec
	s_delay_alu instid0(VALU_DEP_1) | instskip(NEXT) | instid1(VALU_DEP_1)
	v_lshlrev_b32_e32 v5, 16, v5
	v_and_or_b32 v1, 0xffff, v1, v5
.LBB318_51:
	s_or_b32 exec_lo, exec_lo, s6
	v_or_b32_e32 v5, 0x800, v0
	s_mov_b32 s6, exec_lo
	s_delay_alu instid0(VALU_DEP_1)
	v_cmpx_gt_i32_e64 s8, v5
	s_cbranch_execz .LBB318_53
; %bb.52:
	v_and_b32_e32 v5, 0xff, v17
	v_and_b32_e32 v7, 0xffffff00, v4
	s_delay_alu instid0(VALU_DEP_2) | instskip(SKIP_1) | instid1(VALU_DEP_1)
	v_lshlrev_b32_e32 v6, 23, v5
	v_cmp_ne_u16_e64 s1, 0xff, v5
	v_cndmask_b32_e64 v6, 0x7f800001, v6, s1
	v_cmp_ne_u16_e64 s1, 0, v5
	s_delay_alu instid0(VALU_DEP_1) | instskip(NEXT) | instid1(VALU_DEP_1)
	v_cndmask_b32_e64 v5, 0x400000, v6, s1
	v_cmp_eq_f32_e64 s1, s3, v5
	s_delay_alu instid0(VALU_DEP_1) | instskip(SKIP_1) | instid1(VALU_DEP_1)
	v_cndmask_b32_e64 v6, 0, 1, s1
	v_cmp_neq_f32_e64 s1, s3, v5
	v_cndmask_b32_e64 v5, 0, 1, s1
	s_delay_alu instid0(VALU_DEP_1) | instskip(NEXT) | instid1(VALU_DEP_1)
	v_cndmask_b32_e64 v5, v5, v6, s0
	v_bitop3_b16 v5, v5, v7, 1 bitop3:0xec
	s_delay_alu instid0(VALU_DEP_1) | instskip(NEXT) | instid1(VALU_DEP_1)
	v_and_b32_e32 v5, 0xffff, v5
	v_and_or_b32 v4, 0xffff0000, v4, v5
.LBB318_53:
	s_or_b32 exec_lo, exec_lo, s6
	v_or_b32_e32 v5, 0x900, v0
	s_mov_b32 s6, exec_lo
	s_delay_alu instid0(VALU_DEP_1)
	v_cmpx_gt_i32_e64 s8, v5
	s_cbranch_execz .LBB318_55
; %bb.54:
	v_and_b32_e32 v5, 0xff, v16
	s_delay_alu instid0(VALU_DEP_1) | instskip(SKIP_1) | instid1(VALU_DEP_1)
	v_lshlrev_b32_e32 v6, 23, v5
	v_cmp_ne_u16_e64 s1, 0xff, v5
	v_cndmask_b32_e64 v6, 0x7f800001, v6, s1
	v_cmp_ne_u16_e64 s1, 0, v5
	s_delay_alu instid0(VALU_DEP_1) | instskip(NEXT) | instid1(VALU_DEP_1)
	v_cndmask_b32_e64 v5, 0x400000, v6, s1
	v_cmp_eq_f32_e64 s1, s3, v5
	s_delay_alu instid0(VALU_DEP_1) | instskip(SKIP_1) | instid1(VALU_DEP_1)
	v_cndmask_b32_e64 v6, 0, 1, s1
	v_cmp_neq_f32_e64 s1, s3, v5
	v_cndmask_b32_e64 v5, 0, 1, s1
	s_delay_alu instid0(VALU_DEP_1) | instskip(NEXT) | instid1(VALU_DEP_1)
	v_cndmask_b32_e64 v5, v5, v6, s0
	v_and_b32_e32 v5, 1, v5
	s_delay_alu instid0(VALU_DEP_1) | instskip(NEXT) | instid1(VALU_DEP_1)
	v_lshlrev_b16 v5, 8, v5
	v_bitop3_b16 v5, v4, v5, 0xff bitop3:0xec
	s_delay_alu instid0(VALU_DEP_1) | instskip(NEXT) | instid1(VALU_DEP_1)
	v_and_b32_e32 v5, 0xffff, v5
	v_and_or_b32 v4, 0xffff0000, v4, v5
.LBB318_55:
	s_or_b32 exec_lo, exec_lo, s6
	v_or_b32_e32 v5, 0xa00, v0
	s_mov_b32 s6, exec_lo
	s_delay_alu instid0(VALU_DEP_1)
	v_cmpx_gt_i32_e64 s8, v5
	s_cbranch_execz .LBB318_57
; %bb.56:
	v_and_b32_e32 v5, 0xff, v15
	s_delay_alu instid0(VALU_DEP_1) | instskip(SKIP_1) | instid1(VALU_DEP_1)
	v_lshlrev_b32_e32 v6, 23, v5
	v_cmp_ne_u16_e64 s1, 0xff, v5
	v_cndmask_b32_e64 v6, 0x7f800001, v6, s1
	v_cmp_ne_u16_e64 s1, 0, v5
	s_delay_alu instid0(VALU_DEP_1) | instskip(SKIP_1) | instid1(VALU_DEP_2)
	v_cndmask_b32_e64 v5, 0x400000, v6, s1
	v_lshrrev_b32_e32 v6, 16, v4
	v_cmp_eq_f32_e64 s1, s3, v5
	s_delay_alu instid0(VALU_DEP_2) | instskip(NEXT) | instid1(VALU_DEP_2)
	v_and_b32_e32 v6, 0xffffff00, v6
	v_cndmask_b32_e64 v7, 0, 1, s1
	v_cmp_neq_f32_e64 s1, s3, v5
	s_delay_alu instid0(VALU_DEP_1) | instskip(NEXT) | instid1(VALU_DEP_1)
	v_cndmask_b32_e64 v5, 0, 1, s1
	v_cndmask_b32_e64 v5, v5, v7, s0
	s_delay_alu instid0(VALU_DEP_1) | instskip(NEXT) | instid1(VALU_DEP_1)
	v_bitop3_b16 v5, v5, v6, 1 bitop3:0xec
	v_lshlrev_b32_e32 v5, 16, v5
	s_delay_alu instid0(VALU_DEP_1)
	v_and_or_b32 v4, 0xffff, v4, v5
.LBB318_57:
	s_or_b32 exec_lo, exec_lo, s6
	v_or_b32_e32 v5, 0xb00, v0
	s_mov_b32 s6, exec_lo
	s_delay_alu instid0(VALU_DEP_1)
	v_cmpx_gt_i32_e64 s8, v5
	s_cbranch_execz .LBB318_59
; %bb.58:
	v_and_b32_e32 v5, 0xff, v14
	s_delay_alu instid0(VALU_DEP_1) | instskip(SKIP_1) | instid1(VALU_DEP_1)
	v_lshlrev_b32_e32 v6, 23, v5
	v_cmp_ne_u16_e64 s1, 0xff, v5
	v_cndmask_b32_e64 v6, 0x7f800001, v6, s1
	v_cmp_ne_u16_e64 s1, 0, v5
	s_delay_alu instid0(VALU_DEP_1) | instskip(NEXT) | instid1(VALU_DEP_1)
	v_cndmask_b32_e64 v5, 0x400000, v6, s1
	v_cmp_eq_f32_e64 s1, s3, v5
	s_delay_alu instid0(VALU_DEP_1) | instskip(SKIP_1) | instid1(VALU_DEP_1)
	v_cndmask_b32_e64 v6, 0, 1, s1
	v_cmp_neq_f32_e64 s1, s3, v5
	v_cndmask_b32_e64 v5, 0, 1, s1
	s_delay_alu instid0(VALU_DEP_1) | instskip(NEXT) | instid1(VALU_DEP_1)
	v_dual_cndmask_b32 v5, v5, v6, s0 :: v_dual_lshrrev_b32 v6, 16, v4
	v_and_b32_e32 v5, 1, v5
	s_delay_alu instid0(VALU_DEP_1) | instskip(NEXT) | instid1(VALU_DEP_1)
	v_lshlrev_b16 v5, 8, v5
	v_bitop3_b16 v5, v6, v5, 0xff bitop3:0xec
	s_delay_alu instid0(VALU_DEP_1) | instskip(NEXT) | instid1(VALU_DEP_1)
	v_lshlrev_b32_e32 v5, 16, v5
	v_and_or_b32 v4, 0xffff, v4, v5
.LBB318_59:
	s_or_b32 exec_lo, exec_lo, s6
	v_or_b32_e32 v5, 0xc00, v0
	s_mov_b32 s6, exec_lo
	s_delay_alu instid0(VALU_DEP_1)
	v_cmpx_gt_i32_e64 s8, v5
	s_cbranch_execz .LBB318_61
; %bb.60:
	v_and_b32_e32 v5, 0xff, v13
	v_and_b32_e32 v7, 0xffffff00, v3
	s_delay_alu instid0(VALU_DEP_2) | instskip(SKIP_1) | instid1(VALU_DEP_1)
	v_lshlrev_b32_e32 v6, 23, v5
	v_cmp_ne_u16_e64 s1, 0xff, v5
	v_cndmask_b32_e64 v6, 0x7f800001, v6, s1
	v_cmp_ne_u16_e64 s1, 0, v5
	s_delay_alu instid0(VALU_DEP_1) | instskip(NEXT) | instid1(VALU_DEP_1)
	v_cndmask_b32_e64 v5, 0x400000, v6, s1
	v_cmp_eq_f32_e64 s1, s3, v5
	s_delay_alu instid0(VALU_DEP_1) | instskip(SKIP_1) | instid1(VALU_DEP_1)
	v_cndmask_b32_e64 v6, 0, 1, s1
	v_cmp_neq_f32_e64 s1, s3, v5
	v_cndmask_b32_e64 v5, 0, 1, s1
	s_delay_alu instid0(VALU_DEP_1) | instskip(NEXT) | instid1(VALU_DEP_1)
	v_cndmask_b32_e64 v5, v5, v6, s0
	v_bitop3_b16 v5, v5, v7, 1 bitop3:0xec
	s_delay_alu instid0(VALU_DEP_1) | instskip(NEXT) | instid1(VALU_DEP_1)
	v_and_b32_e32 v5, 0xffff, v5
	v_and_or_b32 v3, 0xffff0000, v3, v5
.LBB318_61:
	s_or_b32 exec_lo, exec_lo, s6
	v_or_b32_e32 v5, 0xd00, v0
	s_mov_b32 s6, exec_lo
	s_delay_alu instid0(VALU_DEP_1)
	v_cmpx_gt_i32_e64 s8, v5
	s_cbranch_execz .LBB318_63
; %bb.62:
	v_and_b32_e32 v5, 0xff, v12
	s_delay_alu instid0(VALU_DEP_1) | instskip(SKIP_1) | instid1(VALU_DEP_1)
	v_lshlrev_b32_e32 v6, 23, v5
	v_cmp_ne_u16_e64 s1, 0xff, v5
	v_cndmask_b32_e64 v6, 0x7f800001, v6, s1
	v_cmp_ne_u16_e64 s1, 0, v5
	s_delay_alu instid0(VALU_DEP_1) | instskip(NEXT) | instid1(VALU_DEP_1)
	v_cndmask_b32_e64 v5, 0x400000, v6, s1
	v_cmp_eq_f32_e64 s1, s3, v5
	s_delay_alu instid0(VALU_DEP_1) | instskip(SKIP_1) | instid1(VALU_DEP_1)
	v_cndmask_b32_e64 v6, 0, 1, s1
	v_cmp_neq_f32_e64 s1, s3, v5
	v_cndmask_b32_e64 v5, 0, 1, s1
	s_delay_alu instid0(VALU_DEP_1) | instskip(NEXT) | instid1(VALU_DEP_1)
	v_cndmask_b32_e64 v5, v5, v6, s0
	v_and_b32_e32 v5, 1, v5
	s_delay_alu instid0(VALU_DEP_1) | instskip(NEXT) | instid1(VALU_DEP_1)
	v_lshlrev_b16 v5, 8, v5
	v_bitop3_b16 v5, v3, v5, 0xff bitop3:0xec
	s_delay_alu instid0(VALU_DEP_1) | instskip(NEXT) | instid1(VALU_DEP_1)
	v_and_b32_e32 v5, 0xffff, v5
	v_and_or_b32 v3, 0xffff0000, v3, v5
.LBB318_63:
	s_or_b32 exec_lo, exec_lo, s6
	v_or_b32_e32 v5, 0xe00, v0
	s_mov_b32 s6, exec_lo
	s_delay_alu instid0(VALU_DEP_1)
	v_cmpx_gt_i32_e64 s8, v5
	s_cbranch_execz .LBB318_65
; %bb.64:
	v_and_b32_e32 v5, 0xff, v11
	s_delay_alu instid0(VALU_DEP_1) | instskip(SKIP_1) | instid1(VALU_DEP_1)
	v_lshlrev_b32_e32 v6, 23, v5
	v_cmp_ne_u16_e64 s1, 0xff, v5
	v_cndmask_b32_e64 v6, 0x7f800001, v6, s1
	v_cmp_ne_u16_e64 s1, 0, v5
	s_delay_alu instid0(VALU_DEP_1) | instskip(SKIP_1) | instid1(VALU_DEP_2)
	v_cndmask_b32_e64 v5, 0x400000, v6, s1
	v_lshrrev_b32_e32 v6, 16, v3
	v_cmp_eq_f32_e64 s1, s3, v5
	s_delay_alu instid0(VALU_DEP_2) | instskip(NEXT) | instid1(VALU_DEP_2)
	v_and_b32_e32 v6, 0xffffff00, v6
	v_cndmask_b32_e64 v7, 0, 1, s1
	v_cmp_neq_f32_e64 s1, s3, v5
	s_delay_alu instid0(VALU_DEP_1) | instskip(NEXT) | instid1(VALU_DEP_1)
	v_cndmask_b32_e64 v5, 0, 1, s1
	v_cndmask_b32_e64 v5, v5, v7, s0
	s_delay_alu instid0(VALU_DEP_1) | instskip(NEXT) | instid1(VALU_DEP_1)
	v_bitop3_b16 v5, v5, v6, 1 bitop3:0xec
	v_lshlrev_b32_e32 v5, 16, v5
	s_delay_alu instid0(VALU_DEP_1)
	v_and_or_b32 v3, 0xffff, v3, v5
.LBB318_65:
	s_or_b32 exec_lo, exec_lo, s6
	v_or_b32_e32 v5, 0xf00, v0
	s_mov_b32 s6, exec_lo
	s_delay_alu instid0(VALU_DEP_1)
	v_cmpx_gt_i32_e64 s8, v5
	s_cbranch_execnz .LBB318_84
; %bb.66:
	s_or_b32 exec_lo, exec_lo, s6
	s_and_saveexec_b32 s0, vcc_lo
	s_delay_alu instid0(SALU_CYCLE_1)
	s_xor_b32 s0, exec_lo, s0
	s_cbranch_execnz .LBB318_85
.LBB318_67:
	s_or_b32 exec_lo, exec_lo, s0
	s_delay_alu instid0(SALU_CYCLE_1)
	s_mov_b32 s0, exec_lo
	v_cmpx_gt_i32_e64 s8, v0
	s_cbranch_execnz .LBB318_86
.LBB318_68:
	s_or_b32 exec_lo, exec_lo, s0
	s_delay_alu instid0(SALU_CYCLE_1)
	s_mov_b32 s0, exec_lo
	v_cmpx_gt_i32_e64 s8, v0
	s_cbranch_execnz .LBB318_87
.LBB318_69:
	s_or_b32 exec_lo, exec_lo, s0
	s_delay_alu instid0(SALU_CYCLE_1)
	s_mov_b32 s0, exec_lo
	v_cmpx_gt_i32_e64 s8, v0
	s_cbranch_execnz .LBB318_88
.LBB318_70:
	s_or_b32 exec_lo, exec_lo, s0
	s_delay_alu instid0(SALU_CYCLE_1)
	s_mov_b32 s0, exec_lo
	v_cmpx_gt_i32_e64 s8, v0
	s_cbranch_execnz .LBB318_89
.LBB318_71:
	s_or_b32 exec_lo, exec_lo, s0
	s_delay_alu instid0(SALU_CYCLE_1)
	s_mov_b32 s0, exec_lo
	v_cmpx_gt_i32_e64 s8, v0
	s_cbranch_execnz .LBB318_90
.LBB318_72:
	s_or_b32 exec_lo, exec_lo, s0
	s_delay_alu instid0(SALU_CYCLE_1)
	s_mov_b32 s0, exec_lo
	v_cmpx_gt_i32_e64 s8, v0
	s_cbranch_execnz .LBB318_91
.LBB318_73:
	s_or_b32 exec_lo, exec_lo, s0
	s_delay_alu instid0(SALU_CYCLE_1)
	s_mov_b32 s0, exec_lo
	v_cmpx_gt_i32_e64 s8, v0
	s_cbranch_execnz .LBB318_92
.LBB318_74:
	s_or_b32 exec_lo, exec_lo, s0
	s_delay_alu instid0(SALU_CYCLE_1)
	s_mov_b32 s0, exec_lo
	v_cmpx_gt_i32_e64 s8, v0
	s_cbranch_execnz .LBB318_93
.LBB318_75:
	s_or_b32 exec_lo, exec_lo, s0
	s_delay_alu instid0(SALU_CYCLE_1)
	s_mov_b32 s0, exec_lo
	v_cmpx_gt_i32_e64 s8, v0
	s_cbranch_execnz .LBB318_94
.LBB318_76:
	s_or_b32 exec_lo, exec_lo, s0
	s_delay_alu instid0(SALU_CYCLE_1)
	s_mov_b32 s0, exec_lo
	v_cmpx_gt_i32_e64 s8, v0
	s_cbranch_execnz .LBB318_95
.LBB318_77:
	s_or_b32 exec_lo, exec_lo, s0
	s_delay_alu instid0(SALU_CYCLE_1)
	s_mov_b32 s0, exec_lo
	v_cmpx_gt_i32_e64 s8, v0
	s_cbranch_execnz .LBB318_96
.LBB318_78:
	s_or_b32 exec_lo, exec_lo, s0
	s_delay_alu instid0(SALU_CYCLE_1)
	s_mov_b32 s0, exec_lo
	v_cmpx_gt_i32_e64 s8, v0
	s_cbranch_execnz .LBB318_97
.LBB318_79:
	s_or_b32 exec_lo, exec_lo, s0
	s_delay_alu instid0(SALU_CYCLE_1)
	s_mov_b32 s0, exec_lo
	v_cmpx_gt_i32_e64 s8, v0
	s_cbranch_execnz .LBB318_98
.LBB318_80:
	s_or_b32 exec_lo, exec_lo, s0
	s_delay_alu instid0(SALU_CYCLE_1)
	s_mov_b32 s0, exec_lo
	v_cmpx_gt_i32_e64 s8, v0
	s_cbranch_execnz .LBB318_99
.LBB318_81:
	s_or_b32 exec_lo, exec_lo, s0
	s_delay_alu instid0(SALU_CYCLE_1)
	s_mov_b32 s0, exec_lo
	v_cmpx_gt_i32_e64 s8, v0
	s_cbranch_execz .LBB318_83
.LBB318_82:
	v_dual_lshrrev_b32 v1, 24, v3 :: v_dual_add_nc_u32 v0, s2, v0
	global_store_b8 v0, v1, s[4:5]
.LBB318_83:
	s_endpgm
.LBB318_84:
	v_and_b32_e32 v5, 0xff, v10
	s_delay_alu instid0(VALU_DEP_1) | instskip(SKIP_1) | instid1(VALU_DEP_1)
	v_lshlrev_b32_e32 v6, 23, v5
	v_cmp_ne_u16_e64 s1, 0xff, v5
	v_cndmask_b32_e64 v6, 0x7f800001, v6, s1
	v_cmp_ne_u16_e64 s1, 0, v5
	s_delay_alu instid0(VALU_DEP_1) | instskip(NEXT) | instid1(VALU_DEP_1)
	v_cndmask_b32_e64 v5, 0x400000, v6, s1
	v_cmp_eq_f32_e64 s1, s3, v5
	s_delay_alu instid0(VALU_DEP_1) | instskip(SKIP_1) | instid1(VALU_DEP_1)
	v_cndmask_b32_e64 v6, 0, 1, s1
	v_cmp_neq_f32_e64 s1, s3, v5
	v_cndmask_b32_e64 v5, 0, 1, s1
	s_delay_alu instid0(VALU_DEP_1) | instskip(NEXT) | instid1(VALU_DEP_1)
	v_dual_cndmask_b32 v5, v5, v6, s0 :: v_dual_lshrrev_b32 v6, 16, v3
	v_and_b32_e32 v5, 1, v5
	s_delay_alu instid0(VALU_DEP_1) | instskip(NEXT) | instid1(VALU_DEP_1)
	v_lshlrev_b16 v5, 8, v5
	v_bitop3_b16 v5, v6, v5, 0xff bitop3:0xec
	s_delay_alu instid0(VALU_DEP_1) | instskip(NEXT) | instid1(VALU_DEP_1)
	v_lshlrev_b32_e32 v5, 16, v5
	v_and_or_b32 v3, 0xffff, v3, v5
	s_or_b32 exec_lo, exec_lo, s6
	s_and_saveexec_b32 s0, vcc_lo
	s_delay_alu instid0(SALU_CYCLE_1)
	s_xor_b32 s0, exec_lo, s0
	s_cbranch_execz .LBB318_67
.LBB318_85:
	v_mov_b32_e32 v0, v9
	global_store_b8 v8, v2, s[4:5]
	s_wait_xcnt 0x0
	s_or_b32 exec_lo, exec_lo, s0
	s_delay_alu instid0(SALU_CYCLE_1)
	s_mov_b32 s0, exec_lo
	v_cmpx_gt_i32_e64 s8, v0
	s_cbranch_execz .LBB318_68
.LBB318_86:
	v_dual_lshrrev_b32 v5, 8, v2 :: v_dual_add_nc_u32 v6, s2, v0
	v_add_nc_u32_e32 v0, 0x100, v0
	global_store_b8 v6, v5, s[4:5]
	s_wait_xcnt 0x0
	s_or_b32 exec_lo, exec_lo, s0
	s_delay_alu instid0(SALU_CYCLE_1)
	s_mov_b32 s0, exec_lo
	v_cmpx_gt_i32_e64 s8, v0
	s_cbranch_execz .LBB318_69
.LBB318_87:
	v_add_nc_u32_e32 v5, s2, v0
	v_add_nc_u32_e32 v0, 0x100, v0
	global_store_d16_hi_b8 v5, v2, s[4:5]
	s_wait_xcnt 0x0
	s_or_b32 exec_lo, exec_lo, s0
	s_delay_alu instid0(SALU_CYCLE_1)
	s_mov_b32 s0, exec_lo
	v_cmpx_gt_i32_e64 s8, v0
	s_cbranch_execz .LBB318_70
.LBB318_88:
	v_dual_lshrrev_b32 v2, 24, v2 :: v_dual_add_nc_u32 v5, s2, v0
	v_add_nc_u32_e32 v0, 0x100, v0
	global_store_b8 v5, v2, s[4:5]
	s_wait_xcnt 0x0
	s_or_b32 exec_lo, exec_lo, s0
	s_delay_alu instid0(SALU_CYCLE_1)
	s_mov_b32 s0, exec_lo
	v_cmpx_gt_i32_e64 s8, v0
	s_cbranch_execz .LBB318_71
.LBB318_89:
	v_add_nc_u32_e32 v2, s2, v0
	v_add_nc_u32_e32 v0, 0x100, v0
	global_store_b8 v2, v1, s[4:5]
	s_wait_xcnt 0x0
	s_or_b32 exec_lo, exec_lo, s0
	s_delay_alu instid0(SALU_CYCLE_1)
	s_mov_b32 s0, exec_lo
	v_cmpx_gt_i32_e64 s8, v0
	s_cbranch_execz .LBB318_72
.LBB318_90:
	v_dual_lshrrev_b32 v2, 8, v1 :: v_dual_add_nc_u32 v5, s2, v0
	v_add_nc_u32_e32 v0, 0x100, v0
	global_store_b8 v5, v2, s[4:5]
	s_wait_xcnt 0x0
	s_or_b32 exec_lo, exec_lo, s0
	s_delay_alu instid0(SALU_CYCLE_1)
	s_mov_b32 s0, exec_lo
	v_cmpx_gt_i32_e64 s8, v0
	s_cbranch_execz .LBB318_73
.LBB318_91:
	v_add_nc_u32_e32 v2, s2, v0
	v_add_nc_u32_e32 v0, 0x100, v0
	global_store_d16_hi_b8 v2, v1, s[4:5]
	s_wait_xcnt 0x0
	s_or_b32 exec_lo, exec_lo, s0
	s_delay_alu instid0(SALU_CYCLE_1)
	s_mov_b32 s0, exec_lo
	v_cmpx_gt_i32_e64 s8, v0
	s_cbranch_execz .LBB318_74
.LBB318_92:
	v_dual_lshrrev_b32 v1, 24, v1 :: v_dual_add_nc_u32 v2, s2, v0
	v_add_nc_u32_e32 v0, 0x100, v0
	global_store_b8 v2, v1, s[4:5]
	s_wait_xcnt 0x0
	s_or_b32 exec_lo, exec_lo, s0
	s_delay_alu instid0(SALU_CYCLE_1)
	s_mov_b32 s0, exec_lo
	v_cmpx_gt_i32_e64 s8, v0
	s_cbranch_execz .LBB318_75
.LBB318_93:
	v_add_nc_u32_e32 v1, s2, v0
	v_add_nc_u32_e32 v0, 0x100, v0
	global_store_b8 v1, v4, s[4:5]
	s_wait_xcnt 0x0
	s_or_b32 exec_lo, exec_lo, s0
	s_delay_alu instid0(SALU_CYCLE_1)
	s_mov_b32 s0, exec_lo
	v_cmpx_gt_i32_e64 s8, v0
	s_cbranch_execz .LBB318_76
.LBB318_94:
	v_lshrrev_b32_e32 v1, 8, v4
	v_add_nc_u32_e32 v2, s2, v0
	v_add_nc_u32_e32 v0, 0x100, v0
	global_store_b8 v2, v1, s[4:5]
	s_wait_xcnt 0x0
	s_or_b32 exec_lo, exec_lo, s0
	s_delay_alu instid0(SALU_CYCLE_1)
	s_mov_b32 s0, exec_lo
	v_cmpx_gt_i32_e64 s8, v0
	s_cbranch_execz .LBB318_77
.LBB318_95:
	v_add_nc_u32_e32 v1, s2, v0
	v_add_nc_u32_e32 v0, 0x100, v0
	global_store_d16_hi_b8 v1, v4, s[4:5]
	s_wait_xcnt 0x0
	s_or_b32 exec_lo, exec_lo, s0
	s_delay_alu instid0(SALU_CYCLE_1)
	s_mov_b32 s0, exec_lo
	v_cmpx_gt_i32_e64 s8, v0
	s_cbranch_execz .LBB318_78
.LBB318_96:
	v_lshrrev_b32_e32 v1, 24, v4
	v_add_nc_u32_e32 v2, s2, v0
	v_add_nc_u32_e32 v0, 0x100, v0
	global_store_b8 v2, v1, s[4:5]
	s_wait_xcnt 0x0
	s_or_b32 exec_lo, exec_lo, s0
	s_delay_alu instid0(SALU_CYCLE_1)
	s_mov_b32 s0, exec_lo
	v_cmpx_gt_i32_e64 s8, v0
	s_cbranch_execz .LBB318_79
.LBB318_97:
	v_add_nc_u32_e32 v1, s2, v0
	v_add_nc_u32_e32 v0, 0x100, v0
	global_store_b8 v1, v3, s[4:5]
	s_wait_xcnt 0x0
	s_or_b32 exec_lo, exec_lo, s0
	s_delay_alu instid0(SALU_CYCLE_1)
	s_mov_b32 s0, exec_lo
	v_cmpx_gt_i32_e64 s8, v0
	s_cbranch_execz .LBB318_80
.LBB318_98:
	v_dual_lshrrev_b32 v1, 8, v3 :: v_dual_add_nc_u32 v2, s2, v0
	v_add_nc_u32_e32 v0, 0x100, v0
	global_store_b8 v2, v1, s[4:5]
	s_wait_xcnt 0x0
	s_or_b32 exec_lo, exec_lo, s0
	s_delay_alu instid0(SALU_CYCLE_1)
	s_mov_b32 s0, exec_lo
	v_cmpx_gt_i32_e64 s8, v0
	s_cbranch_execz .LBB318_81
.LBB318_99:
	v_add_nc_u32_e32 v1, s2, v0
	v_add_nc_u32_e32 v0, 0x100, v0
	global_store_d16_hi_b8 v1, v3, s[4:5]
	s_wait_xcnt 0x0
	s_or_b32 exec_lo, exec_lo, s0
	s_delay_alu instid0(SALU_CYCLE_1)
	s_mov_b32 s0, exec_lo
	v_cmpx_gt_i32_e64 s8, v0
	s_cbranch_execnz .LBB318_82
	s_branch .LBB318_83
	.section	.rodata,"a",@progbits
	.p2align	6, 0x0
	.amdhsa_kernel _ZN2at6native29vectorized_elementwise_kernelILi8ENS0_13AUnaryFunctorIN3c1014Float8_e8m0fnuES4_bNS0_12_GLOBAL__N_116CompareEqFunctorIS4_EEEESt5arrayIPcLm2EEEEviT0_T1_
		.amdhsa_group_segment_fixed_size 0
		.amdhsa_private_segment_fixed_size 0
		.amdhsa_kernarg_size 32
		.amdhsa_user_sgpr_count 2
		.amdhsa_user_sgpr_dispatch_ptr 0
		.amdhsa_user_sgpr_queue_ptr 0
		.amdhsa_user_sgpr_kernarg_segment_ptr 1
		.amdhsa_user_sgpr_dispatch_id 0
		.amdhsa_user_sgpr_kernarg_preload_length 0
		.amdhsa_user_sgpr_kernarg_preload_offset 0
		.amdhsa_user_sgpr_private_segment_size 0
		.amdhsa_wavefront_size32 1
		.amdhsa_uses_dynamic_stack 0
		.amdhsa_enable_private_segment 0
		.amdhsa_system_sgpr_workgroup_id_x 1
		.amdhsa_system_sgpr_workgroup_id_y 0
		.amdhsa_system_sgpr_workgroup_id_z 0
		.amdhsa_system_sgpr_workgroup_info 0
		.amdhsa_system_vgpr_workitem_id 0
		.amdhsa_next_free_vgpr 37
		.amdhsa_next_free_sgpr 23
		.amdhsa_named_barrier_count 0
		.amdhsa_reserve_vcc 1
		.amdhsa_float_round_mode_32 0
		.amdhsa_float_round_mode_16_64 0
		.amdhsa_float_denorm_mode_32 3
		.amdhsa_float_denorm_mode_16_64 3
		.amdhsa_fp16_overflow 0
		.amdhsa_memory_ordered 1
		.amdhsa_forward_progress 1
		.amdhsa_inst_pref_size 63
		.amdhsa_round_robin_scheduling 0
		.amdhsa_exception_fp_ieee_invalid_op 0
		.amdhsa_exception_fp_denorm_src 0
		.amdhsa_exception_fp_ieee_div_zero 0
		.amdhsa_exception_fp_ieee_overflow 0
		.amdhsa_exception_fp_ieee_underflow 0
		.amdhsa_exception_fp_ieee_inexact 0
		.amdhsa_exception_int_div_zero 0
	.end_amdhsa_kernel
	.section	.text._ZN2at6native29vectorized_elementwise_kernelILi8ENS0_13AUnaryFunctorIN3c1014Float8_e8m0fnuES4_bNS0_12_GLOBAL__N_116CompareEqFunctorIS4_EEEESt5arrayIPcLm2EEEEviT0_T1_,"axG",@progbits,_ZN2at6native29vectorized_elementwise_kernelILi8ENS0_13AUnaryFunctorIN3c1014Float8_e8m0fnuES4_bNS0_12_GLOBAL__N_116CompareEqFunctorIS4_EEEESt5arrayIPcLm2EEEEviT0_T1_,comdat
.Lfunc_end318:
	.size	_ZN2at6native29vectorized_elementwise_kernelILi8ENS0_13AUnaryFunctorIN3c1014Float8_e8m0fnuES4_bNS0_12_GLOBAL__N_116CompareEqFunctorIS4_EEEESt5arrayIPcLm2EEEEviT0_T1_, .Lfunc_end318-_ZN2at6native29vectorized_elementwise_kernelILi8ENS0_13AUnaryFunctorIN3c1014Float8_e8m0fnuES4_bNS0_12_GLOBAL__N_116CompareEqFunctorIS4_EEEESt5arrayIPcLm2EEEEviT0_T1_
                                        ; -- End function
	.set _ZN2at6native29vectorized_elementwise_kernelILi8ENS0_13AUnaryFunctorIN3c1014Float8_e8m0fnuES4_bNS0_12_GLOBAL__N_116CompareEqFunctorIS4_EEEESt5arrayIPcLm2EEEEviT0_T1_.num_vgpr, 37
	.set _ZN2at6native29vectorized_elementwise_kernelILi8ENS0_13AUnaryFunctorIN3c1014Float8_e8m0fnuES4_bNS0_12_GLOBAL__N_116CompareEqFunctorIS4_EEEESt5arrayIPcLm2EEEEviT0_T1_.num_agpr, 0
	.set _ZN2at6native29vectorized_elementwise_kernelILi8ENS0_13AUnaryFunctorIN3c1014Float8_e8m0fnuES4_bNS0_12_GLOBAL__N_116CompareEqFunctorIS4_EEEESt5arrayIPcLm2EEEEviT0_T1_.numbered_sgpr, 23
	.set _ZN2at6native29vectorized_elementwise_kernelILi8ENS0_13AUnaryFunctorIN3c1014Float8_e8m0fnuES4_bNS0_12_GLOBAL__N_116CompareEqFunctorIS4_EEEESt5arrayIPcLm2EEEEviT0_T1_.num_named_barrier, 0
	.set _ZN2at6native29vectorized_elementwise_kernelILi8ENS0_13AUnaryFunctorIN3c1014Float8_e8m0fnuES4_bNS0_12_GLOBAL__N_116CompareEqFunctorIS4_EEEESt5arrayIPcLm2EEEEviT0_T1_.private_seg_size, 0
	.set _ZN2at6native29vectorized_elementwise_kernelILi8ENS0_13AUnaryFunctorIN3c1014Float8_e8m0fnuES4_bNS0_12_GLOBAL__N_116CompareEqFunctorIS4_EEEESt5arrayIPcLm2EEEEviT0_T1_.uses_vcc, 1
	.set _ZN2at6native29vectorized_elementwise_kernelILi8ENS0_13AUnaryFunctorIN3c1014Float8_e8m0fnuES4_bNS0_12_GLOBAL__N_116CompareEqFunctorIS4_EEEESt5arrayIPcLm2EEEEviT0_T1_.uses_flat_scratch, 0
	.set _ZN2at6native29vectorized_elementwise_kernelILi8ENS0_13AUnaryFunctorIN3c1014Float8_e8m0fnuES4_bNS0_12_GLOBAL__N_116CompareEqFunctorIS4_EEEESt5arrayIPcLm2EEEEviT0_T1_.has_dyn_sized_stack, 0
	.set _ZN2at6native29vectorized_elementwise_kernelILi8ENS0_13AUnaryFunctorIN3c1014Float8_e8m0fnuES4_bNS0_12_GLOBAL__N_116CompareEqFunctorIS4_EEEESt5arrayIPcLm2EEEEviT0_T1_.has_recursion, 0
	.set _ZN2at6native29vectorized_elementwise_kernelILi8ENS0_13AUnaryFunctorIN3c1014Float8_e8m0fnuES4_bNS0_12_GLOBAL__N_116CompareEqFunctorIS4_EEEESt5arrayIPcLm2EEEEviT0_T1_.has_indirect_call, 0
	.section	.AMDGPU.csdata,"",@progbits
; Kernel info:
; codeLenInByte = 8032
; TotalNumSgprs: 25
; NumVgprs: 37
; ScratchSize: 0
; MemoryBound: 0
; FloatMode: 240
; IeeeMode: 1
; LDSByteSize: 0 bytes/workgroup (compile time only)
; SGPRBlocks: 0
; VGPRBlocks: 2
; NumSGPRsForWavesPerEU: 25
; NumVGPRsForWavesPerEU: 37
; NamedBarCnt: 0
; Occupancy: 16
; WaveLimiterHint : 1
; COMPUTE_PGM_RSRC2:SCRATCH_EN: 0
; COMPUTE_PGM_RSRC2:USER_SGPR: 2
; COMPUTE_PGM_RSRC2:TRAP_HANDLER: 0
; COMPUTE_PGM_RSRC2:TGID_X_EN: 1
; COMPUTE_PGM_RSRC2:TGID_Y_EN: 0
; COMPUTE_PGM_RSRC2:TGID_Z_EN: 0
; COMPUTE_PGM_RSRC2:TIDIG_COMP_CNT: 0
	.section	.text._ZN2at6native29vectorized_elementwise_kernelILi4ENS0_13AUnaryFunctorIN3c1014Float8_e8m0fnuES4_bNS0_12_GLOBAL__N_116CompareEqFunctorIS4_EEEESt5arrayIPcLm2EEEEviT0_T1_,"axG",@progbits,_ZN2at6native29vectorized_elementwise_kernelILi4ENS0_13AUnaryFunctorIN3c1014Float8_e8m0fnuES4_bNS0_12_GLOBAL__N_116CompareEqFunctorIS4_EEEESt5arrayIPcLm2EEEEviT0_T1_,comdat
	.globl	_ZN2at6native29vectorized_elementwise_kernelILi4ENS0_13AUnaryFunctorIN3c1014Float8_e8m0fnuES4_bNS0_12_GLOBAL__N_116CompareEqFunctorIS4_EEEESt5arrayIPcLm2EEEEviT0_T1_ ; -- Begin function _ZN2at6native29vectorized_elementwise_kernelILi4ENS0_13AUnaryFunctorIN3c1014Float8_e8m0fnuES4_bNS0_12_GLOBAL__N_116CompareEqFunctorIS4_EEEESt5arrayIPcLm2EEEEviT0_T1_
	.p2align	8
	.type	_ZN2at6native29vectorized_elementwise_kernelILi4ENS0_13AUnaryFunctorIN3c1014Float8_e8m0fnuES4_bNS0_12_GLOBAL__N_116CompareEqFunctorIS4_EEEESt5arrayIPcLm2EEEEviT0_T1_,@function
_ZN2at6native29vectorized_elementwise_kernelILi4ENS0_13AUnaryFunctorIN3c1014Float8_e8m0fnuES4_bNS0_12_GLOBAL__N_116CompareEqFunctorIS4_EEEESt5arrayIPcLm2EEEEviT0_T1_: ; @_ZN2at6native29vectorized_elementwise_kernelILi4ENS0_13AUnaryFunctorIN3c1014Float8_e8m0fnuES4_bNS0_12_GLOBAL__N_116CompareEqFunctorIS4_EEEESt5arrayIPcLm2EEEEviT0_T1_
; %bb.0:
	s_clause 0x1
	s_load_b96 s[8:10], s[0:1], 0x0
	s_load_b128 s[4:7], s[0:1], 0x10
	s_wait_xcnt 0x0
	s_bfe_u32 s0, ttmp6, 0x4000c
	s_and_b32 s1, ttmp6, 15
	s_add_co_i32 s0, s0, 1
	s_getreg_b32 s2, hwreg(HW_REG_IB_STS2, 6, 4)
	s_mul_i32 s0, ttmp9, s0
	s_delay_alu instid0(SALU_CYCLE_1) | instskip(SKIP_2) | instid1(SALU_CYCLE_1)
	s_add_co_i32 s1, s1, s0
	s_cmp_eq_u32 s2, 0
	s_cselect_b32 s0, ttmp9, s1
	s_lshl_b32 s2, s0, 12
	s_mov_b32 s0, -1
	s_wait_kmcnt 0x0
	s_sub_co_i32 s8, s8, s2
	s_delay_alu instid0(SALU_CYCLE_1)
	s_cmp_gt_i32 s8, 0xfff
	s_cbranch_scc0 .LBB319_2
; %bb.1:
	s_ashr_i32 s3, s2, 31
	s_cmp_eq_u32 s9, 0
	s_add_nc_u64 s[0:1], s[6:7], s[2:3]
	s_cselect_b32 vcc_lo, -1, 0
	s_clause 0x3
	global_load_b32 v1, v0, s[0:1] scale_offset
	global_load_b32 v2, v0, s[0:1] offset:1024 scale_offset
	global_load_b32 v3, v0, s[0:1] offset:2048 scale_offset
	;; [unrolled: 1-line block ×3, first 2 shown]
	s_wait_xcnt 0x0
	s_lshl_b32 s0, s10, 23
	s_and_b32 s1, s10, 0xff
	s_and_b32 s0, s0, 0x7f800000
	s_cmp_lg_u32 s1, 0xff
	s_add_nc_u64 s[12:13], s[4:5], s[2:3]
	s_cselect_b32 s0, s0, 0x7f800001
	s_cmp_lg_u32 s1, 0
	s_cselect_b32 s1, s0, 0x400000
	s_wait_loadcnt 0x3
	v_and_b32_e32 v5, 0xff, v1
	v_dual_lshlrev_b32 v6, 23, v1 :: v_dual_lshrrev_b32 v7, 8, v1
	v_dual_lshlrev_b32 v8, 15, v1 :: v_dual_lshrrev_b32 v9, 16, v1
	s_delay_alu instid0(VALU_DEP_3) | instskip(NEXT) | instid1(VALU_DEP_3)
	v_cmp_ne_u16_e64 s0, 0xff, v5
	v_and_b32_e32 v6, 0x7f800000, v6
	s_delay_alu instid0(VALU_DEP_4)
	v_and_b32_e32 v7, 0xff, v7
	v_dual_lshlrev_b32 v10, 7, v1 :: v_dual_lshrrev_b32 v11, 24, v1
	v_and_b32_e32 v8, 0x7f800000, v8
	v_and_b32_e32 v9, 0xff, v9
	v_cndmask_b32_e64 v6, 0x7f800001, v6, s0
	v_cmp_ne_u16_e64 s0, 0xff, v7
	v_and_b32_e32 v10, 0x7f800000, v10
	s_wait_loadcnt 0x2
	v_and_b32_e32 v12, 0xff, v2
	v_dual_lshlrev_b32 v13, 23, v2 :: v_dual_lshrrev_b32 v14, 8, v2
	v_cndmask_b32_e64 v8, 0x7f800001, v8, s0
	v_cmp_ne_u16_e64 s0, 0xff, v9
	v_dual_lshlrev_b32 v17, 7, v2 :: v_dual_lshrrev_b32 v18, 24, v2
	v_dual_lshlrev_b32 v33, 23, v11 :: v_dual_lshlrev_b32 v15, 15, v2
	v_lshrrev_b32_e32 v16, 16, v2
	s_delay_alu instid0(VALU_DEP_4)
	v_cndmask_b32_e64 v10, 0x7f800001, v10, s0
	v_cmp_ne_u32_e64 s0, 0xff, v11
	v_and_b32_e32 v13, 0x7f800000, v13
	v_and_b32_e32 v14, 0xff, v14
	v_lshlrev_b32_e32 v34, 23, v18
	v_and_b32_e32 v15, 0x7f800000, v15
	v_cndmask_b32_e64 v11, 0x7f800001, v33, s0
	v_cmp_ne_u16_e64 s0, 0xff, v12
	v_and_b32_e32 v16, 0xff, v16
	v_and_b32_e32 v17, 0x7f800000, v17
	s_wait_loadcnt 0x1
	v_and_b32_e32 v19, 0xff, v3
	v_dual_lshlrev_b32 v20, 23, v3 :: v_dual_lshrrev_b32 v21, 8, v3
	v_cndmask_b32_e64 v13, 0x7f800001, v13, s0
	v_cmp_ne_u16_e64 s0, 0xff, v14
	v_dual_lshlrev_b32 v22, 15, v3 :: v_dual_lshrrev_b32 v23, 16, v3
	s_delay_alu instid0(VALU_DEP_4) | instskip(SKIP_1) | instid1(VALU_DEP_4)
	v_and_b32_e32 v20, 0x7f800000, v20
	v_and_b32_e32 v21, 0xff, v21
	v_cndmask_b32_e64 v15, 0x7f800001, v15, s0
	v_cmp_ne_u16_e64 s0, 0xff, v16
	v_dual_lshlrev_b32 v24, 7, v3 :: v_dual_lshrrev_b32 v25, 24, v3
	v_and_b32_e32 v22, 0x7f800000, v22
	v_and_b32_e32 v23, 0xff, v23
	s_delay_alu instid0(VALU_DEP_4)
	v_cndmask_b32_e64 v17, 0x7f800001, v17, s0
	v_cmp_ne_u32_e64 s0, 0xff, v18
	v_and_b32_e32 v24, 0x7f800000, v24
	s_wait_loadcnt 0x0
	v_and_b32_e32 v26, 0xff, v4
	v_dual_lshlrev_b32 v27, 23, v4 :: v_dual_lshrrev_b32 v28, 8, v4
	v_cndmask_b32_e64 v18, 0x7f800001, v34, s0
	v_cmp_ne_u16_e64 s0, 0xff, v19
	v_dual_lshlrev_b32 v31, 7, v4 :: v_dual_lshrrev_b32 v32, 24, v4
	v_dual_lshlrev_b32 v35, 23, v25 :: v_dual_lshlrev_b32 v29, 15, v4
	v_lshrrev_b32_e32 v30, 16, v4
	s_delay_alu instid0(VALU_DEP_4)
	v_cndmask_b32_e64 v20, 0x7f800001, v20, s0
	v_cmp_ne_u16_e64 s0, 0xff, v21
	v_and_b32_e32 v27, 0x7f800000, v27
	v_and_b32_e32 v28, 0xff, v28
	v_lshlrev_b32_e32 v36, 23, v32
	v_and_b32_e32 v29, 0x7f800000, v29
	v_cndmask_b32_e64 v22, 0x7f800001, v22, s0
	v_cmp_ne_u16_e64 s0, 0xff, v23
	v_and_b32_e32 v30, 0xff, v30
	v_and_b32_e32 v31, 0x7f800000, v31
	s_delay_alu instid0(VALU_DEP_3) | instskip(SKIP_1) | instid1(VALU_DEP_1)
	v_cndmask_b32_e64 v24, 0x7f800001, v24, s0
	v_cmp_ne_u32_e64 s0, 0xff, v25
	v_cndmask_b32_e64 v25, 0x7f800001, v35, s0
	v_cmp_ne_u16_e64 s0, 0xff, v26
	s_delay_alu instid0(VALU_DEP_1) | instskip(SKIP_1) | instid1(VALU_DEP_1)
	v_cndmask_b32_e64 v27, 0x7f800001, v27, s0
	v_cmp_ne_u16_e64 s0, 0xff, v28
	v_cndmask_b32_e64 v29, 0x7f800001, v29, s0
	v_cmp_ne_u16_e64 s0, 0xff, v30
	s_delay_alu instid0(VALU_DEP_1) | instskip(SKIP_1) | instid1(VALU_DEP_1)
	v_cndmask_b32_e64 v31, 0x7f800001, v31, s0
	v_cmp_ne_u32_e64 s0, 0xff, v32
	v_cndmask_b32_e64 v32, 0x7f800001, v36, s0
	v_cmp_ne_u16_e64 s0, 0, v5
	s_delay_alu instid0(VALU_DEP_1) | instskip(SKIP_1) | instid1(VALU_DEP_1)
	v_cndmask_b32_e64 v5, 0x400000, v6, s0
	v_cmp_ne_u16_e64 s0, 0, v7
	v_cndmask_b32_e64 v6, 0x400000, v8, s0
	v_cmp_ne_u16_e64 s0, 0, v9
	s_delay_alu instid0(VALU_DEP_1) | instskip(SKIP_1) | instid1(VALU_DEP_1)
	v_cndmask_b32_e64 v7, 0x400000, v10, s0
	v_cmp_lt_u32_e64 s0, 0xffffff, v1
	v_cndmask_b32_e64 v1, 0x400000, v11, s0
	v_cmp_ne_u16_e64 s0, 0, v12
	s_delay_alu instid0(VALU_DEP_1) | instskip(SKIP_1) | instid1(VALU_DEP_1)
	v_cndmask_b32_e64 v8, 0x400000, v13, s0
	v_cmp_ne_u16_e64 s0, 0, v14
	v_cndmask_b32_e64 v9, 0x400000, v15, s0
	v_cmp_ne_u16_e64 s0, 0, v16
	s_delay_alu instid0(VALU_DEP_1) | instskip(SKIP_1) | instid1(VALU_DEP_1)
	v_cndmask_b32_e64 v10, 0x400000, v17, s0
	v_cmp_lt_u32_e64 s0, 0xffffff, v2
	;; [unrolled: 10-line block ×4, first 2 shown]
	v_cndmask_b32_e64 v4, 0x400000, v32, s0
	v_cmp_eq_f32_e64 s0, s1, v5
	s_delay_alu instid0(VALU_DEP_1) | instskip(SKIP_1) | instid1(VALU_DEP_1)
	v_cndmask_b32_e64 v17, 0, 1, s0
	v_cmp_neq_f32_e64 s0, s1, v5
	v_cndmask_b32_e64 v5, 0, 1, s0
	v_cmp_eq_f32_e64 s0, s1, v6
	s_delay_alu instid0(VALU_DEP_1) | instskip(SKIP_1) | instid1(VALU_DEP_1)
	v_cndmask_b32_e64 v18, 0, 1, s0
	v_cmp_neq_f32_e64 s0, s1, v6
	v_cndmask_b32_e64 v6, 0, 1, s0
	v_cmp_eq_f32_e64 s0, s1, v7
	s_delay_alu instid0(VALU_DEP_2) | instskip(NEXT) | instid1(VALU_DEP_2)
	v_dual_cndmask_b32 v5, v5, v17 :: v_dual_cndmask_b32 v6, v6, v18
	v_cndmask_b32_e64 v19, 0, 1, s0
	v_cmp_neq_f32_e64 s0, s1, v7
	s_delay_alu instid0(VALU_DEP_3) | instskip(NEXT) | instid1(VALU_DEP_2)
	v_and_b32_e32 v6, 1, v6
	v_cndmask_b32_e64 v7, 0, 1, s0
	v_cmp_eq_f32_e64 s0, s1, v1
	s_delay_alu instid0(VALU_DEP_3) | instskip(NEXT) | instid1(VALU_DEP_2)
	v_lshlrev_b16 v6, 8, v6
	v_cndmask_b32_e64 v20, 0, 1, s0
	v_cmp_neq_f32_e64 s0, s1, v1
	s_delay_alu instid0(VALU_DEP_3) | instskip(NEXT) | instid1(VALU_DEP_2)
	v_bitop3_b16 v5, v5, v6, 1 bitop3:0xec
	v_cndmask_b32_e64 v1, 0, 1, s0
	v_cmp_eq_f32_e64 s0, s1, v8
	v_cndmask_b32_e32 v7, v7, v19, vcc_lo
	s_delay_alu instid0(VALU_DEP_4) | instskip(NEXT) | instid1(VALU_DEP_4)
	v_and_b32_e32 v5, 0xffff, v5
	v_cndmask_b32_e32 v1, v1, v20, vcc_lo
	s_delay_alu instid0(VALU_DEP_4) | instskip(SKIP_1) | instid1(VALU_DEP_3)
	v_cndmask_b32_e64 v21, 0, 1, s0
	v_cmp_neq_f32_e64 s0, s1, v8
	v_and_b32_e32 v1, 1, v1
	s_delay_alu instid0(VALU_DEP_2) | instskip(SKIP_1) | instid1(VALU_DEP_3)
	v_cndmask_b32_e64 v8, 0, 1, s0
	v_cmp_eq_f32_e64 s0, s1, v9
	v_lshlrev_b16 v1, 8, v1
	s_delay_alu instid0(VALU_DEP_2) | instskip(SKIP_1) | instid1(VALU_DEP_3)
	v_cndmask_b32_e64 v22, 0, 1, s0
	v_cmp_neq_f32_e64 s0, s1, v9
	v_bitop3_b16 v1, v7, v1, 1 bitop3:0xec
	s_delay_alu instid0(VALU_DEP_2) | instskip(SKIP_2) | instid1(VALU_DEP_3)
	v_cndmask_b32_e64 v9, 0, 1, s0
	v_cmp_eq_f32_e64 s0, s1, v10
	v_cndmask_b32_e32 v8, v8, v21, vcc_lo
	v_dual_lshlrev_b32 v1, 16, v1 :: v_dual_cndmask_b32 v9, v9, v22, vcc_lo
	s_delay_alu instid0(VALU_DEP_3) | instskip(SKIP_1) | instid1(VALU_DEP_3)
	v_cndmask_b32_e64 v23, 0, 1, s0
	v_cmp_neq_f32_e64 s0, s1, v10
	v_or_b32_e32 v1, v5, v1
	s_delay_alu instid0(VALU_DEP_2) | instskip(SKIP_1) | instid1(VALU_DEP_1)
	v_cndmask_b32_e64 v10, 0, 1, s0
	v_cmp_eq_f32_e64 s0, s1, v2
	v_cndmask_b32_e64 v24, 0, 1, s0
	v_cmp_neq_f32_e64 s0, s1, v2
	s_delay_alu instid0(VALU_DEP_1) | instskip(SKIP_1) | instid1(VALU_DEP_1)
	v_cndmask_b32_e64 v2, 0, 1, s0
	v_cmp_eq_f32_e64 s0, s1, v11
	v_cndmask_b32_e64 v25, 0, 1, s0
	v_cmp_neq_f32_e64 s0, s1, v11
	s_delay_alu instid0(VALU_DEP_1) | instskip(SKIP_1) | instid1(VALU_DEP_2)
	v_cndmask_b32_e64 v11, 0, 1, s0
	v_cmp_eq_f32_e64 s0, s1, v12
	v_dual_cndmask_b32 v10, v10, v23 :: v_dual_cndmask_b32 v11, v11, v25
	s_delay_alu instid0(VALU_DEP_2) | instskip(SKIP_1) | instid1(VALU_DEP_1)
	v_cndmask_b32_e64 v26, 0, 1, s0
	v_cmp_neq_f32_e64 s0, s1, v12
	v_cndmask_b32_e64 v12, 0, 1, s0
	v_cmp_eq_f32_e64 s0, s1, v13
	s_delay_alu instid0(VALU_DEP_2) | instskip(NEXT) | instid1(VALU_DEP_2)
	v_dual_cndmask_b32 v2, v2, v24, vcc_lo :: v_dual_cndmask_b32 v12, v12, v26, vcc_lo
	v_cndmask_b32_e64 v27, 0, 1, s0
	v_cmp_neq_f32_e64 s0, s1, v13
	s_delay_alu instid0(VALU_DEP_3) | instskip(NEXT) | instid1(VALU_DEP_4)
	v_and_b32_e32 v2, 1, v2
	v_and_b32_e32 v12, 1, v12
	s_delay_alu instid0(VALU_DEP_3) | instskip(SKIP_1) | instid1(VALU_DEP_4)
	v_cndmask_b32_e64 v13, 0, 1, s0
	v_cmp_eq_f32_e64 s0, s1, v3
	v_lshlrev_b16 v2, 8, v2
	s_delay_alu instid0(VALU_DEP_4) | instskip(NEXT) | instid1(VALU_DEP_3)
	v_lshlrev_b16 v12, 8, v12
	v_cndmask_b32_e64 v28, 0, 1, s0
	v_cmp_neq_f32_e64 s0, s1, v3
	s_delay_alu instid0(VALU_DEP_4) | instskip(SKIP_2) | instid1(VALU_DEP_4)
	v_bitop3_b16 v2, v10, v2, 1 bitop3:0xec
	v_and_b32_e32 v9, 1, v9
	v_bitop3_b16 v11, v11, v12, 1 bitop3:0xec
	v_cndmask_b32_e64 v3, 0, 1, s0
	v_cmp_eq_f32_e64 s0, s1, v14
	v_dual_cndmask_b32 v13, v13, v27 :: v_dual_lshlrev_b32 v2, 16, v2
	v_lshlrev_b16 v9, 8, v9
	s_delay_alu instid0(VALU_DEP_4) | instskip(NEXT) | instid1(VALU_DEP_4)
	v_cndmask_b32_e32 v3, v3, v28, vcc_lo
	v_cndmask_b32_e64 v29, 0, 1, s0
	v_cmp_neq_f32_e64 s0, s1, v14
	v_and_b32_e32 v7, 0xffff, v11
	v_bitop3_b16 v8, v8, v9, 1 bitop3:0xec
	v_and_b32_e32 v3, 1, v3
	s_delay_alu instid0(VALU_DEP_4) | instskip(SKIP_1) | instid1(VALU_DEP_4)
	v_cndmask_b32_e64 v14, 0, 1, s0
	v_cmp_eq_f32_e64 s0, s1, v15
	v_and_b32_e32 v8, 0xffff, v8
	s_delay_alu instid0(VALU_DEP_4) | instskip(NEXT) | instid1(VALU_DEP_3)
	v_lshlrev_b16 v3, 8, v3
	v_cndmask_b32_e64 v30, 0, 1, s0
	v_cmp_neq_f32_e64 s0, s1, v15
	s_delay_alu instid0(VALU_DEP_3) | instskip(SKIP_1) | instid1(VALU_DEP_3)
	v_bitop3_b16 v3, v13, v3, 1 bitop3:0xec
	v_or_b32_e32 v2, v8, v2
	v_cndmask_b32_e64 v15, 0, 1, s0
	v_cmp_eq_f32_e64 s0, s1, v16
	s_delay_alu instid0(VALU_DEP_4) | instskip(NEXT) | instid1(VALU_DEP_3)
	v_dual_cndmask_b32 v14, v14, v29 :: v_dual_lshlrev_b32 v3, 16, v3
	v_cndmask_b32_e32 v15, v15, v30, vcc_lo
	s_delay_alu instid0(VALU_DEP_3) | instskip(SKIP_1) | instid1(VALU_DEP_4)
	v_cndmask_b32_e64 v31, 0, 1, s0
	v_cmp_neq_f32_e64 s0, s1, v16
	v_or_b32_e32 v3, v7, v3
	s_delay_alu instid0(VALU_DEP_4) | instskip(NEXT) | instid1(VALU_DEP_3)
	v_and_b32_e32 v15, 1, v15
	v_cndmask_b32_e64 v16, 0, 1, s0
	v_cmp_eq_f32_e64 s0, s1, v4
	s_delay_alu instid0(VALU_DEP_3) | instskip(NEXT) | instid1(VALU_DEP_3)
	v_lshlrev_b16 v15, 8, v15
	v_cndmask_b32_e32 v16, v16, v31, vcc_lo
	s_delay_alu instid0(VALU_DEP_3) | instskip(SKIP_1) | instid1(VALU_DEP_4)
	v_cndmask_b32_e64 v32, 0, 1, s0
	v_cmp_neq_f32_e64 s0, s1, v4
	v_bitop3_b16 v14, v14, v15, 1 bitop3:0xec
	s_delay_alu instid0(VALU_DEP_2) | instskip(NEXT) | instid1(VALU_DEP_2)
	v_cndmask_b32_e64 v4, 0, 1, s0
	v_and_b32_e32 v6, 0xffff, v14
	s_mov_b32 s0, 0
	s_delay_alu instid0(VALU_DEP_2) | instskip(NEXT) | instid1(VALU_DEP_1)
	v_cndmask_b32_e32 v4, v4, v32, vcc_lo
	v_and_b32_e32 v4, 1, v4
	s_delay_alu instid0(VALU_DEP_1) | instskip(NEXT) | instid1(VALU_DEP_1)
	v_lshlrev_b16 v4, 8, v4
	v_bitop3_b16 v4, v16, v4, 1 bitop3:0xec
	s_delay_alu instid0(VALU_DEP_1) | instskip(NEXT) | instid1(VALU_DEP_1)
	v_lshlrev_b32_e32 v4, 16, v4
	v_or_b32_e32 v4, v6, v4
	s_clause 0x3
	global_store_b32 v0, v1, s[12:13] scale_offset
	global_store_b32 v0, v2, s[12:13] offset:1024 scale_offset
	global_store_b32 v0, v3, s[12:13] offset:2048 scale_offset
	;; [unrolled: 1-line block ×3, first 2 shown]
.LBB319_2:
	s_and_not1_b32 vcc_lo, exec_lo, s0
	s_cbranch_vccnz .LBB319_83
; %bb.3:
	v_cmp_gt_i32_e32 vcc_lo, s8, v0
	s_wait_xcnt 0x2
	v_dual_mov_b32 v2, 0 :: v_dual_bitop2_b32 v8, s2, v0 bitop3:0x54
	v_or_b32_e32 v9, 0x100, v0
	v_dual_mov_b32 v10, 0 :: v_dual_mov_b32 v11, 0
	v_dual_mov_b32 v12, 0 :: v_dual_mov_b32 v13, 0
	;; [unrolled: 1-line block ×8, first 2 shown]
	s_wait_xcnt 0x0
	s_and_saveexec_b32 s1, vcc_lo
	s_cbranch_execz .LBB319_35
; %bb.4:
	global_load_u8 v23, v8, s[6:7]
	v_or_b32_e32 v1, 0x100, v0
	v_dual_mov_b32 v22, 0 :: v_dual_mov_b32 v5, 0
	v_dual_mov_b32 v6, 0 :: v_dual_mov_b32 v21, 0
	;; [unrolled: 1-line block ×7, first 2 shown]
	v_mov_b32_e32 v10, 0
	s_mov_b32 s3, exec_lo
	s_wait_xcnt 0x0
	v_cmpx_gt_u32_e64 s8, v1
	s_cbranch_execz .LBB319_34
; %bb.5:
	v_dual_mov_b32 v5, 0 :: v_dual_add_nc_u32 v4, s2, v0
	v_or_b32_e32 v1, 0x200, v0
	v_dual_mov_b32 v6, 0 :: v_dual_mov_b32 v21, 0
	global_load_u8 v22, v4, s[6:7] offset:256
	v_dual_mov_b32 v20, 0 :: v_dual_mov_b32 v19, 0
	v_dual_mov_b32 v18, 0 :: v_dual_mov_b32 v17, 0
	;; [unrolled: 1-line block ×5, first 2 shown]
	v_mov_b32_e32 v10, 0
	s_mov_b32 s11, exec_lo
	s_wait_xcnt 0x0
	v_cmpx_gt_u32_e64 s8, v1
	s_cbranch_execz .LBB319_33
; %bb.6:
	v_add_nc_u64_e32 v[6:7], s[6:7], v[4:5]
	v_or_b32_e32 v3, 0x300, v0
	v_dual_mov_b32 v21, 0 :: v_dual_mov_b32 v20, 0
	v_dual_mov_b32 v19, 0 :: v_dual_mov_b32 v18, 0
	;; [unrolled: 1-line block ×3, first 2 shown]
	global_load_u8 v1, v[6:7], off offset:512
	v_dual_mov_b32 v15, 0 :: v_dual_mov_b32 v14, 0
	v_dual_mov_b32 v13, 0 :: v_dual_mov_b32 v12, 0
	;; [unrolled: 1-line block ×3, first 2 shown]
	s_mov_b32 s6, exec_lo
	s_wait_xcnt 0x0
	v_cmpx_gt_u32_e64 s8, v3
	s_cbranch_execz .LBB319_32
; %bb.7:
	global_load_u8 v5, v[6:7], off offset:768
	v_or_b32_e32 v3, 0x400, v0
	v_dual_mov_b32 v21, 0 :: v_dual_mov_b32 v20, 0
	v_dual_mov_b32 v19, 0 :: v_dual_mov_b32 v18, 0
	v_dual_mov_b32 v17, 0 :: v_dual_mov_b32 v16, 0
	v_dual_mov_b32 v15, 0 :: v_dual_mov_b32 v14, 0
	v_dual_mov_b32 v13, 0 :: v_dual_mov_b32 v12, 0
	v_dual_mov_b32 v11, 0 :: v_dual_mov_b32 v10, 0
	s_mov_b32 s7, exec_lo
	s_wait_xcnt 0x0
	v_cmpx_gt_u32_e64 s8, v3
	s_cbranch_execz .LBB319_31
; %bb.8:
	global_load_u8 v21, v[6:7], off offset:1024
	v_or_b32_e32 v3, 0x500, v0
	v_dual_mov_b32 v20, 0 :: v_dual_mov_b32 v19, 0
	v_dual_mov_b32 v18, 0 :: v_dual_mov_b32 v17, 0
	v_dual_mov_b32 v16, 0 :: v_dual_mov_b32 v15, 0
	v_dual_mov_b32 v14, 0 :: v_dual_mov_b32 v13, 0
	v_dual_mov_b32 v12, 0 :: v_dual_mov_b32 v11, 0
	v_mov_b32_e32 v10, 0
	s_mov_b32 s12, exec_lo
	s_wait_xcnt 0x0
	v_cmpx_gt_u32_e64 s8, v3
	s_cbranch_execz .LBB319_30
; %bb.9:
	global_load_u8 v20, v[6:7], off offset:1280
	v_or_b32_e32 v3, 0x600, v0
	v_dual_mov_b32 v19, 0 :: v_dual_mov_b32 v18, 0
	v_dual_mov_b32 v17, 0 :: v_dual_mov_b32 v16, 0
	v_dual_mov_b32 v15, 0 :: v_dual_mov_b32 v14, 0
	v_dual_mov_b32 v13, 0 :: v_dual_mov_b32 v12, 0
	v_dual_mov_b32 v11, 0 :: v_dual_mov_b32 v10, 0
	s_mov_b32 s13, exec_lo
	s_wait_xcnt 0x0
	v_cmpx_gt_u32_e64 s8, v3
	s_cbranch_execz .LBB319_29
; %bb.10:
	global_load_u8 v19, v[6:7], off offset:1536
	v_or_b32_e32 v3, 0x700, v0
	v_dual_mov_b32 v18, 0 :: v_dual_mov_b32 v17, 0
	v_dual_mov_b32 v16, 0 :: v_dual_mov_b32 v15, 0
	;; [unrolled: 1-line block ×4, first 2 shown]
	v_mov_b32_e32 v10, 0
	s_mov_b32 s14, exec_lo
	s_wait_xcnt 0x0
	v_cmpx_gt_u32_e64 s8, v3
	s_cbranch_execz .LBB319_28
; %bb.11:
	global_load_u8 v18, v[6:7], off offset:1792
	v_or_b32_e32 v3, 0x800, v0
	v_dual_mov_b32 v17, 0 :: v_dual_mov_b32 v16, 0
	v_dual_mov_b32 v15, 0 :: v_dual_mov_b32 v14, 0
	v_dual_mov_b32 v13, 0 :: v_dual_mov_b32 v12, 0
	v_dual_mov_b32 v11, 0 :: v_dual_mov_b32 v10, 0
	s_mov_b32 s15, exec_lo
	s_wait_xcnt 0x0
	v_cmpx_gt_u32_e64 s8, v3
	s_cbranch_execz .LBB319_27
; %bb.12:
	global_load_u8 v17, v[6:7], off offset:2048
	v_or_b32_e32 v3, 0x900, v0
	v_dual_mov_b32 v16, 0 :: v_dual_mov_b32 v15, 0
	v_dual_mov_b32 v14, 0 :: v_dual_mov_b32 v13, 0
	;; [unrolled: 1-line block ×3, first 2 shown]
	v_mov_b32_e32 v10, 0
	s_mov_b32 s16, exec_lo
	s_wait_xcnt 0x0
	v_cmpx_gt_u32_e64 s8, v3
	s_cbranch_execz .LBB319_26
; %bb.13:
	global_load_u8 v16, v[6:7], off offset:2304
	v_or_b32_e32 v3, 0xa00, v0
	v_dual_mov_b32 v15, 0 :: v_dual_mov_b32 v14, 0
	v_dual_mov_b32 v13, 0 :: v_dual_mov_b32 v12, 0
	;; [unrolled: 1-line block ×3, first 2 shown]
	s_mov_b32 s17, exec_lo
	s_wait_xcnt 0x0
	v_cmpx_gt_u32_e64 s8, v3
	s_cbranch_execz .LBB319_25
; %bb.14:
	global_load_u8 v15, v[6:7], off offset:2560
	v_or_b32_e32 v3, 0xb00, v0
	v_dual_mov_b32 v14, 0 :: v_dual_mov_b32 v13, 0
	v_dual_mov_b32 v12, 0 :: v_dual_mov_b32 v11, 0
	v_mov_b32_e32 v10, 0
	s_mov_b32 s18, exec_lo
	s_wait_xcnt 0x0
	v_cmpx_gt_u32_e64 s8, v3
	s_cbranch_execz .LBB319_24
; %bb.15:
	global_load_u8 v14, v[6:7], off offset:2816
	v_or_b32_e32 v3, 0xc00, v0
	v_dual_mov_b32 v13, 0 :: v_dual_mov_b32 v12, 0
	v_dual_mov_b32 v11, 0 :: v_dual_mov_b32 v10, 0
	s_mov_b32 s19, exec_lo
	s_wait_xcnt 0x0
	v_cmpx_gt_u32_e64 s8, v3
	s_cbranch_execz .LBB319_23
; %bb.16:
	global_load_u8 v13, v[6:7], off offset:3072
	v_or_b32_e32 v3, 0xd00, v0
	v_dual_mov_b32 v12, 0 :: v_dual_mov_b32 v11, 0
	v_mov_b32_e32 v10, 0
	s_mov_b32 s20, exec_lo
	s_wait_xcnt 0x0
	v_cmpx_gt_u32_e64 s8, v3
	s_cbranch_execz .LBB319_22
; %bb.17:
	global_load_u8 v12, v[6:7], off offset:3328
	v_or_b32_e32 v3, 0xe00, v0
	v_dual_mov_b32 v11, 0 :: v_dual_mov_b32 v10, 0
	s_mov_b32 s21, exec_lo
	s_wait_xcnt 0x0
	s_delay_alu instid0(VALU_DEP_2)
	v_cmpx_gt_u32_e64 s8, v3
	s_cbranch_execz .LBB319_21
; %bb.18:
	global_load_u8 v11, v[6:7], off offset:3584
	v_or_b32_e32 v3, 0xf00, v0
	v_mov_b32_e32 v10, 0
	s_mov_b32 s22, exec_lo
	s_wait_xcnt 0x0
	s_delay_alu instid0(VALU_DEP_2)
	v_cmpx_gt_u32_e64 s8, v3
	s_cbranch_execz .LBB319_20
; %bb.19:
	global_load_u8 v10, v[6:7], off offset:3840
.LBB319_20:
	s_wait_xcnt 0x0
	s_or_b32 exec_lo, exec_lo, s22
.LBB319_21:
	s_delay_alu instid0(SALU_CYCLE_1)
	s_or_b32 exec_lo, exec_lo, s21
.LBB319_22:
	s_delay_alu instid0(SALU_CYCLE_1)
	s_or_b32 exec_lo, exec_lo, s20
.LBB319_23:
	s_delay_alu instid0(SALU_CYCLE_1)
	s_or_b32 exec_lo, exec_lo, s19
.LBB319_24:
	s_delay_alu instid0(SALU_CYCLE_1)
	s_or_b32 exec_lo, exec_lo, s18
.LBB319_25:
	s_delay_alu instid0(SALU_CYCLE_1)
	s_or_b32 exec_lo, exec_lo, s17
.LBB319_26:
	s_delay_alu instid0(SALU_CYCLE_1)
	s_or_b32 exec_lo, exec_lo, s16
.LBB319_27:
	s_delay_alu instid0(SALU_CYCLE_1)
	s_or_b32 exec_lo, exec_lo, s15
.LBB319_28:
	s_delay_alu instid0(SALU_CYCLE_1)
	s_or_b32 exec_lo, exec_lo, s14
.LBB319_29:
	s_delay_alu instid0(SALU_CYCLE_1)
	s_or_b32 exec_lo, exec_lo, s13
.LBB319_30:
	s_delay_alu instid0(SALU_CYCLE_1)
	s_or_b32 exec_lo, exec_lo, s12
.LBB319_31:
	s_delay_alu instid0(SALU_CYCLE_1)
	s_or_b32 exec_lo, exec_lo, s7
.LBB319_32:
	s_delay_alu instid0(SALU_CYCLE_1)
	s_or_b32 exec_lo, exec_lo, s6
	s_wait_loadcnt 0x0
	v_dual_mov_b32 v6, v5 :: v_dual_mov_b32 v5, v1
.LBB319_33:
	s_or_b32 exec_lo, exec_lo, s11
.LBB319_34:
	s_delay_alu instid0(SALU_CYCLE_1)
	s_or_b32 exec_lo, exec_lo, s3
.LBB319_35:
	s_delay_alu instid0(SALU_CYCLE_1)
	s_or_b32 exec_lo, exec_lo, s1
	s_cmp_eq_u32 s9, 0
	v_dual_mov_b32 v1, v2 :: v_dual_mov_b32 v4, v2
	s_cselect_b32 s0, -1, 0
	s_lshl_b32 s1, s10, 23
	s_and_b32 s3, s10, 0xff
	s_and_b32 s1, s1, 0x7f800000
	s_cmp_lg_u32 s3, 0xff
	v_mov_b32_e32 v3, v2
	s_cselect_b32 s1, s1, 0x7f800001
	s_cmp_lg_u32 s3, 0
	s_cselect_b32 s3, s1, 0x400000
	s_and_saveexec_b32 s6, vcc_lo
	s_cbranch_execz .LBB319_37
; %bb.36:
	s_wait_loadcnt 0x0
	v_and_b32_e32 v1, 0xff, v23
	s_delay_alu instid0(VALU_DEP_1) | instskip(SKIP_1) | instid1(VALU_DEP_1)
	v_lshlrev_b32_e32 v2, 23, v1
	v_cmp_ne_u16_e64 s1, 0xff, v1
	v_cndmask_b32_e64 v2, 0x7f800001, v2, s1
	v_cmp_ne_u16_e64 s1, 0, v1
	s_delay_alu instid0(VALU_DEP_1) | instskip(NEXT) | instid1(VALU_DEP_1)
	v_cndmask_b32_e64 v1, 0x400000, v2, s1
	v_cmp_eq_f32_e64 s1, s3, v1
	s_delay_alu instid0(VALU_DEP_1) | instskip(SKIP_1) | instid1(VALU_DEP_1)
	v_cndmask_b32_e64 v2, 0, 1, s1
	v_cmp_neq_f32_e64 s1, s3, v1
	v_cndmask_b32_e64 v1, 0, 1, s1
	s_delay_alu instid0(VALU_DEP_1) | instskip(NEXT) | instid1(VALU_DEP_1)
	v_dual_cndmask_b32 v2, v1, v2, s0 :: v_dual_mov_b32 v1, 0
	v_dual_mov_b32 v4, v1 :: v_dual_bitop2_b32 v2, 1, v2 bitop3:0x40
	v_mov_b32_e32 v3, v1
	s_delay_alu instid0(VALU_DEP_2)
	v_and_b32_e32 v2, 0xffff, v2
.LBB319_37:
	s_or_b32 exec_lo, exec_lo, s6
	s_delay_alu instid0(SALU_CYCLE_1)
	s_mov_b32 s6, exec_lo
	v_cmpx_gt_i32_e64 s8, v9
	s_cbranch_execz .LBB319_39
; %bb.38:
	s_wait_loadcnt 0x0
	v_and_b32_e32 v7, 0xff, v22
	s_delay_alu instid0(VALU_DEP_1) | instskip(SKIP_1) | instid1(VALU_DEP_1)
	v_lshlrev_b32_e32 v22, 23, v7
	v_cmp_ne_u16_e64 s1, 0xff, v7
	v_cndmask_b32_e64 v22, 0x7f800001, v22, s1
	v_cmp_ne_u16_e64 s1, 0, v7
	s_delay_alu instid0(VALU_DEP_1) | instskip(NEXT) | instid1(VALU_DEP_1)
	v_cndmask_b32_e64 v7, 0x400000, v22, s1
	v_cmp_eq_f32_e64 s1, s3, v7
	s_delay_alu instid0(VALU_DEP_1) | instskip(SKIP_1) | instid1(VALU_DEP_1)
	v_cndmask_b32_e64 v22, 0, 1, s1
	v_cmp_neq_f32_e64 s1, s3, v7
	v_cndmask_b32_e64 v7, 0, 1, s1
	s_delay_alu instid0(VALU_DEP_1) | instskip(NEXT) | instid1(VALU_DEP_1)
	v_cndmask_b32_e64 v7, v7, v22, s0
	v_and_b32_e32 v7, 1, v7
	s_delay_alu instid0(VALU_DEP_1) | instskip(NEXT) | instid1(VALU_DEP_1)
	v_lshlrev_b16 v7, 8, v7
	v_bitop3_b16 v7, v2, v7, 0xff bitop3:0xec
	s_delay_alu instid0(VALU_DEP_1) | instskip(NEXT) | instid1(VALU_DEP_1)
	v_and_b32_e32 v7, 0xffff, v7
	v_and_or_b32 v2, 0xffff0000, v2, v7
.LBB319_39:
	s_or_b32 exec_lo, exec_lo, s6
	v_or_b32_e32 v7, 0x200, v0
	s_mov_b32 s6, exec_lo
	s_delay_alu instid0(VALU_DEP_1)
	v_cmpx_gt_i32_e64 s8, v7
	s_cbranch_execz .LBB319_41
; %bb.40:
	v_and_b32_e32 v5, 0xff, v5
	s_delay_alu instid0(VALU_DEP_1) | instskip(SKIP_1) | instid1(VALU_DEP_1)
	v_lshlrev_b32_e32 v7, 23, v5
	v_cmp_ne_u16_e64 s1, 0xff, v5
	v_cndmask_b32_e64 v7, 0x7f800001, v7, s1
	v_cmp_ne_u16_e64 s1, 0, v5
	s_delay_alu instid0(VALU_DEP_1) | instskip(SKIP_1) | instid1(VALU_DEP_2)
	v_cndmask_b32_e64 v5, 0x400000, v7, s1
	v_lshrrev_b32_e32 v7, 16, v2
	v_cmp_eq_f32_e64 s1, s3, v5
	s_delay_alu instid0(VALU_DEP_2) | instskip(SKIP_1) | instid1(VALU_DEP_2)
	v_and_b32_e32 v7, 0xffffff00, v7
	s_wait_loadcnt 0x0
	v_cndmask_b32_e64 v22, 0, 1, s1
	v_cmp_neq_f32_e64 s1, s3, v5
	s_delay_alu instid0(VALU_DEP_1) | instskip(NEXT) | instid1(VALU_DEP_1)
	v_cndmask_b32_e64 v5, 0, 1, s1
	v_cndmask_b32_e64 v5, v5, v22, s0
	s_delay_alu instid0(VALU_DEP_1) | instskip(NEXT) | instid1(VALU_DEP_1)
	v_bitop3_b16 v5, v5, v7, 1 bitop3:0xec
	v_lshlrev_b32_e32 v5, 16, v5
	s_delay_alu instid0(VALU_DEP_1)
	v_and_or_b32 v2, 0xffff, v2, v5
.LBB319_41:
	s_or_b32 exec_lo, exec_lo, s6
	v_or_b32_e32 v5, 0x300, v0
	s_mov_b32 s6, exec_lo
	s_delay_alu instid0(VALU_DEP_1)
	v_cmpx_gt_i32_e64 s8, v5
	s_cbranch_execz .LBB319_43
; %bb.42:
	v_and_b32_e32 v5, 0xff, v6
	s_delay_alu instid0(VALU_DEP_1) | instskip(SKIP_1) | instid1(VALU_DEP_1)
	v_lshlrev_b32_e32 v6, 23, v5
	v_cmp_ne_u16_e64 s1, 0xff, v5
	v_cndmask_b32_e64 v6, 0x7f800001, v6, s1
	v_cmp_ne_u16_e64 s1, 0, v5
	s_delay_alu instid0(VALU_DEP_1) | instskip(NEXT) | instid1(VALU_DEP_1)
	v_cndmask_b32_e64 v5, 0x400000, v6, s1
	v_cmp_eq_f32_e64 s1, s3, v5
	s_delay_alu instid0(VALU_DEP_1) | instskip(SKIP_1) | instid1(VALU_DEP_1)
	v_cndmask_b32_e64 v6, 0, 1, s1
	v_cmp_neq_f32_e64 s1, s3, v5
	v_cndmask_b32_e64 v5, 0, 1, s1
	s_delay_alu instid0(VALU_DEP_1) | instskip(NEXT) | instid1(VALU_DEP_1)
	v_cndmask_b32_e64 v5, v5, v6, s0
	v_dual_lshrrev_b32 v6, 16, v2 :: v_dual_bitop2_b32 v5, 1, v5 bitop3:0x40
	s_delay_alu instid0(VALU_DEP_1) | instskip(NEXT) | instid1(VALU_DEP_1)
	v_lshlrev_b16 v5, 8, v5
	v_bitop3_b16 v5, v6, v5, 0xff bitop3:0xec
	s_delay_alu instid0(VALU_DEP_1) | instskip(NEXT) | instid1(VALU_DEP_1)
	v_lshlrev_b32_e32 v5, 16, v5
	v_and_or_b32 v2, 0xffff, v2, v5
.LBB319_43:
	s_or_b32 exec_lo, exec_lo, s6
	v_or_b32_e32 v5, 0x400, v0
	s_mov_b32 s6, exec_lo
	s_delay_alu instid0(VALU_DEP_1)
	v_cmpx_gt_i32_e64 s8, v5
	s_cbranch_execz .LBB319_45
; %bb.44:
	v_and_b32_e32 v5, 0xff, v21
	v_and_b32_e32 v7, 0xffffff00, v1
	s_delay_alu instid0(VALU_DEP_2) | instskip(SKIP_1) | instid1(VALU_DEP_1)
	v_lshlrev_b32_e32 v6, 23, v5
	v_cmp_ne_u16_e64 s1, 0xff, v5
	v_cndmask_b32_e64 v6, 0x7f800001, v6, s1
	v_cmp_ne_u16_e64 s1, 0, v5
	s_delay_alu instid0(VALU_DEP_1) | instskip(NEXT) | instid1(VALU_DEP_1)
	v_cndmask_b32_e64 v5, 0x400000, v6, s1
	v_cmp_eq_f32_e64 s1, s3, v5
	s_delay_alu instid0(VALU_DEP_1) | instskip(SKIP_1) | instid1(VALU_DEP_1)
	v_cndmask_b32_e64 v6, 0, 1, s1
	v_cmp_neq_f32_e64 s1, s3, v5
	v_cndmask_b32_e64 v5, 0, 1, s1
	s_delay_alu instid0(VALU_DEP_1) | instskip(NEXT) | instid1(VALU_DEP_1)
	v_cndmask_b32_e64 v5, v5, v6, s0
	v_bitop3_b16 v5, v5, v7, 1 bitop3:0xec
	s_delay_alu instid0(VALU_DEP_1) | instskip(NEXT) | instid1(VALU_DEP_1)
	v_and_b32_e32 v5, 0xffff, v5
	v_and_or_b32 v1, 0xffff0000, v1, v5
.LBB319_45:
	s_or_b32 exec_lo, exec_lo, s6
	v_or_b32_e32 v5, 0x500, v0
	s_mov_b32 s6, exec_lo
	s_delay_alu instid0(VALU_DEP_1)
	v_cmpx_gt_i32_e64 s8, v5
	s_cbranch_execz .LBB319_47
; %bb.46:
	v_and_b32_e32 v5, 0xff, v20
	s_delay_alu instid0(VALU_DEP_1) | instskip(SKIP_1) | instid1(VALU_DEP_1)
	v_lshlrev_b32_e32 v6, 23, v5
	v_cmp_ne_u16_e64 s1, 0xff, v5
	v_cndmask_b32_e64 v6, 0x7f800001, v6, s1
	v_cmp_ne_u16_e64 s1, 0, v5
	s_delay_alu instid0(VALU_DEP_1) | instskip(NEXT) | instid1(VALU_DEP_1)
	v_cndmask_b32_e64 v5, 0x400000, v6, s1
	v_cmp_eq_f32_e64 s1, s3, v5
	s_delay_alu instid0(VALU_DEP_1) | instskip(SKIP_1) | instid1(VALU_DEP_1)
	v_cndmask_b32_e64 v6, 0, 1, s1
	v_cmp_neq_f32_e64 s1, s3, v5
	v_cndmask_b32_e64 v5, 0, 1, s1
	s_delay_alu instid0(VALU_DEP_1) | instskip(NEXT) | instid1(VALU_DEP_1)
	v_cndmask_b32_e64 v5, v5, v6, s0
	v_and_b32_e32 v5, 1, v5
	s_delay_alu instid0(VALU_DEP_1) | instskip(NEXT) | instid1(VALU_DEP_1)
	v_lshlrev_b16 v5, 8, v5
	v_bitop3_b16 v5, v1, v5, 0xff bitop3:0xec
	s_delay_alu instid0(VALU_DEP_1) | instskip(NEXT) | instid1(VALU_DEP_1)
	v_and_b32_e32 v5, 0xffff, v5
	v_and_or_b32 v1, 0xffff0000, v1, v5
.LBB319_47:
	s_or_b32 exec_lo, exec_lo, s6
	v_or_b32_e32 v5, 0x600, v0
	s_mov_b32 s6, exec_lo
	s_delay_alu instid0(VALU_DEP_1)
	v_cmpx_gt_i32_e64 s8, v5
	s_cbranch_execz .LBB319_49
; %bb.48:
	v_and_b32_e32 v5, 0xff, v19
	s_delay_alu instid0(VALU_DEP_1) | instskip(SKIP_1) | instid1(VALU_DEP_1)
	v_lshlrev_b32_e32 v6, 23, v5
	v_cmp_ne_u16_e64 s1, 0xff, v5
	v_cndmask_b32_e64 v6, 0x7f800001, v6, s1
	v_cmp_ne_u16_e64 s1, 0, v5
	s_delay_alu instid0(VALU_DEP_1) | instskip(SKIP_1) | instid1(VALU_DEP_2)
	v_cndmask_b32_e64 v5, 0x400000, v6, s1
	v_lshrrev_b32_e32 v6, 16, v1
	v_cmp_eq_f32_e64 s1, s3, v5
	s_delay_alu instid0(VALU_DEP_2) | instskip(NEXT) | instid1(VALU_DEP_2)
	v_and_b32_e32 v6, 0xffffff00, v6
	v_cndmask_b32_e64 v7, 0, 1, s1
	v_cmp_neq_f32_e64 s1, s3, v5
	s_delay_alu instid0(VALU_DEP_1) | instskip(NEXT) | instid1(VALU_DEP_1)
	v_cndmask_b32_e64 v5, 0, 1, s1
	v_cndmask_b32_e64 v5, v5, v7, s0
	s_delay_alu instid0(VALU_DEP_1) | instskip(NEXT) | instid1(VALU_DEP_1)
	v_bitop3_b16 v5, v5, v6, 1 bitop3:0xec
	v_lshlrev_b32_e32 v5, 16, v5
	s_delay_alu instid0(VALU_DEP_1)
	v_and_or_b32 v1, 0xffff, v1, v5
.LBB319_49:
	s_or_b32 exec_lo, exec_lo, s6
	v_or_b32_e32 v5, 0x700, v0
	s_mov_b32 s6, exec_lo
	s_delay_alu instid0(VALU_DEP_1)
	v_cmpx_gt_i32_e64 s8, v5
	s_cbranch_execz .LBB319_51
; %bb.50:
	v_and_b32_e32 v5, 0xff, v18
	s_delay_alu instid0(VALU_DEP_1) | instskip(SKIP_1) | instid1(VALU_DEP_1)
	v_lshlrev_b32_e32 v6, 23, v5
	v_cmp_ne_u16_e64 s1, 0xff, v5
	v_cndmask_b32_e64 v6, 0x7f800001, v6, s1
	v_cmp_ne_u16_e64 s1, 0, v5
	s_delay_alu instid0(VALU_DEP_1) | instskip(NEXT) | instid1(VALU_DEP_1)
	v_cndmask_b32_e64 v5, 0x400000, v6, s1
	v_cmp_eq_f32_e64 s1, s3, v5
	s_delay_alu instid0(VALU_DEP_1) | instskip(SKIP_1) | instid1(VALU_DEP_1)
	v_cndmask_b32_e64 v6, 0, 1, s1
	v_cmp_neq_f32_e64 s1, s3, v5
	v_cndmask_b32_e64 v5, 0, 1, s1
	s_delay_alu instid0(VALU_DEP_1) | instskip(NEXT) | instid1(VALU_DEP_1)
	v_dual_cndmask_b32 v5, v5, v6, s0 :: v_dual_lshrrev_b32 v6, 16, v1
	v_and_b32_e32 v5, 1, v5
	s_delay_alu instid0(VALU_DEP_1) | instskip(NEXT) | instid1(VALU_DEP_1)
	v_lshlrev_b16 v5, 8, v5
	v_bitop3_b16 v5, v6, v5, 0xff bitop3:0xec
	s_delay_alu instid0(VALU_DEP_1) | instskip(NEXT) | instid1(VALU_DEP_1)
	v_lshlrev_b32_e32 v5, 16, v5
	v_and_or_b32 v1, 0xffff, v1, v5
.LBB319_51:
	s_or_b32 exec_lo, exec_lo, s6
	v_or_b32_e32 v5, 0x800, v0
	s_mov_b32 s6, exec_lo
	s_delay_alu instid0(VALU_DEP_1)
	v_cmpx_gt_i32_e64 s8, v5
	s_cbranch_execz .LBB319_53
; %bb.52:
	v_and_b32_e32 v5, 0xff, v17
	v_and_b32_e32 v7, 0xffffff00, v4
	s_delay_alu instid0(VALU_DEP_2) | instskip(SKIP_1) | instid1(VALU_DEP_1)
	v_lshlrev_b32_e32 v6, 23, v5
	v_cmp_ne_u16_e64 s1, 0xff, v5
	v_cndmask_b32_e64 v6, 0x7f800001, v6, s1
	v_cmp_ne_u16_e64 s1, 0, v5
	s_delay_alu instid0(VALU_DEP_1) | instskip(NEXT) | instid1(VALU_DEP_1)
	v_cndmask_b32_e64 v5, 0x400000, v6, s1
	v_cmp_eq_f32_e64 s1, s3, v5
	s_delay_alu instid0(VALU_DEP_1) | instskip(SKIP_1) | instid1(VALU_DEP_1)
	v_cndmask_b32_e64 v6, 0, 1, s1
	v_cmp_neq_f32_e64 s1, s3, v5
	v_cndmask_b32_e64 v5, 0, 1, s1
	s_delay_alu instid0(VALU_DEP_1) | instskip(NEXT) | instid1(VALU_DEP_1)
	v_cndmask_b32_e64 v5, v5, v6, s0
	v_bitop3_b16 v5, v5, v7, 1 bitop3:0xec
	s_delay_alu instid0(VALU_DEP_1) | instskip(NEXT) | instid1(VALU_DEP_1)
	v_and_b32_e32 v5, 0xffff, v5
	v_and_or_b32 v4, 0xffff0000, v4, v5
.LBB319_53:
	s_or_b32 exec_lo, exec_lo, s6
	v_or_b32_e32 v5, 0x900, v0
	s_mov_b32 s6, exec_lo
	s_delay_alu instid0(VALU_DEP_1)
	v_cmpx_gt_i32_e64 s8, v5
	s_cbranch_execz .LBB319_55
; %bb.54:
	v_and_b32_e32 v5, 0xff, v16
	s_delay_alu instid0(VALU_DEP_1) | instskip(SKIP_1) | instid1(VALU_DEP_1)
	v_lshlrev_b32_e32 v6, 23, v5
	v_cmp_ne_u16_e64 s1, 0xff, v5
	v_cndmask_b32_e64 v6, 0x7f800001, v6, s1
	v_cmp_ne_u16_e64 s1, 0, v5
	s_delay_alu instid0(VALU_DEP_1) | instskip(NEXT) | instid1(VALU_DEP_1)
	v_cndmask_b32_e64 v5, 0x400000, v6, s1
	v_cmp_eq_f32_e64 s1, s3, v5
	s_delay_alu instid0(VALU_DEP_1) | instskip(SKIP_1) | instid1(VALU_DEP_1)
	v_cndmask_b32_e64 v6, 0, 1, s1
	v_cmp_neq_f32_e64 s1, s3, v5
	v_cndmask_b32_e64 v5, 0, 1, s1
	s_delay_alu instid0(VALU_DEP_1) | instskip(NEXT) | instid1(VALU_DEP_1)
	v_cndmask_b32_e64 v5, v5, v6, s0
	v_and_b32_e32 v5, 1, v5
	s_delay_alu instid0(VALU_DEP_1) | instskip(NEXT) | instid1(VALU_DEP_1)
	v_lshlrev_b16 v5, 8, v5
	v_bitop3_b16 v5, v4, v5, 0xff bitop3:0xec
	s_delay_alu instid0(VALU_DEP_1) | instskip(NEXT) | instid1(VALU_DEP_1)
	v_and_b32_e32 v5, 0xffff, v5
	v_and_or_b32 v4, 0xffff0000, v4, v5
.LBB319_55:
	s_or_b32 exec_lo, exec_lo, s6
	v_or_b32_e32 v5, 0xa00, v0
	s_mov_b32 s6, exec_lo
	s_delay_alu instid0(VALU_DEP_1)
	v_cmpx_gt_i32_e64 s8, v5
	s_cbranch_execz .LBB319_57
; %bb.56:
	v_and_b32_e32 v5, 0xff, v15
	s_delay_alu instid0(VALU_DEP_1) | instskip(SKIP_1) | instid1(VALU_DEP_1)
	v_lshlrev_b32_e32 v6, 23, v5
	v_cmp_ne_u16_e64 s1, 0xff, v5
	v_cndmask_b32_e64 v6, 0x7f800001, v6, s1
	v_cmp_ne_u16_e64 s1, 0, v5
	s_delay_alu instid0(VALU_DEP_1) | instskip(SKIP_1) | instid1(VALU_DEP_2)
	v_cndmask_b32_e64 v5, 0x400000, v6, s1
	v_lshrrev_b32_e32 v6, 16, v4
	v_cmp_eq_f32_e64 s1, s3, v5
	s_delay_alu instid0(VALU_DEP_2) | instskip(NEXT) | instid1(VALU_DEP_2)
	v_and_b32_e32 v6, 0xffffff00, v6
	v_cndmask_b32_e64 v7, 0, 1, s1
	v_cmp_neq_f32_e64 s1, s3, v5
	s_delay_alu instid0(VALU_DEP_1) | instskip(NEXT) | instid1(VALU_DEP_1)
	v_cndmask_b32_e64 v5, 0, 1, s1
	v_cndmask_b32_e64 v5, v5, v7, s0
	s_delay_alu instid0(VALU_DEP_1) | instskip(NEXT) | instid1(VALU_DEP_1)
	v_bitop3_b16 v5, v5, v6, 1 bitop3:0xec
	v_lshlrev_b32_e32 v5, 16, v5
	s_delay_alu instid0(VALU_DEP_1)
	v_and_or_b32 v4, 0xffff, v4, v5
.LBB319_57:
	s_or_b32 exec_lo, exec_lo, s6
	v_or_b32_e32 v5, 0xb00, v0
	s_mov_b32 s6, exec_lo
	s_delay_alu instid0(VALU_DEP_1)
	v_cmpx_gt_i32_e64 s8, v5
	s_cbranch_execz .LBB319_59
; %bb.58:
	v_and_b32_e32 v5, 0xff, v14
	s_delay_alu instid0(VALU_DEP_1) | instskip(SKIP_1) | instid1(VALU_DEP_1)
	v_lshlrev_b32_e32 v6, 23, v5
	v_cmp_ne_u16_e64 s1, 0xff, v5
	v_cndmask_b32_e64 v6, 0x7f800001, v6, s1
	v_cmp_ne_u16_e64 s1, 0, v5
	s_delay_alu instid0(VALU_DEP_1) | instskip(NEXT) | instid1(VALU_DEP_1)
	v_cndmask_b32_e64 v5, 0x400000, v6, s1
	v_cmp_eq_f32_e64 s1, s3, v5
	s_delay_alu instid0(VALU_DEP_1) | instskip(SKIP_1) | instid1(VALU_DEP_1)
	v_cndmask_b32_e64 v6, 0, 1, s1
	v_cmp_neq_f32_e64 s1, s3, v5
	v_cndmask_b32_e64 v5, 0, 1, s1
	s_delay_alu instid0(VALU_DEP_1) | instskip(NEXT) | instid1(VALU_DEP_1)
	v_dual_cndmask_b32 v5, v5, v6, s0 :: v_dual_lshrrev_b32 v6, 16, v4
	v_and_b32_e32 v5, 1, v5
	s_delay_alu instid0(VALU_DEP_1) | instskip(NEXT) | instid1(VALU_DEP_1)
	v_lshlrev_b16 v5, 8, v5
	v_bitop3_b16 v5, v6, v5, 0xff bitop3:0xec
	s_delay_alu instid0(VALU_DEP_1) | instskip(NEXT) | instid1(VALU_DEP_1)
	v_lshlrev_b32_e32 v5, 16, v5
	v_and_or_b32 v4, 0xffff, v4, v5
.LBB319_59:
	s_or_b32 exec_lo, exec_lo, s6
	v_or_b32_e32 v5, 0xc00, v0
	s_mov_b32 s6, exec_lo
	s_delay_alu instid0(VALU_DEP_1)
	v_cmpx_gt_i32_e64 s8, v5
	s_cbranch_execz .LBB319_61
; %bb.60:
	v_and_b32_e32 v5, 0xff, v13
	v_and_b32_e32 v7, 0xffffff00, v3
	s_delay_alu instid0(VALU_DEP_2) | instskip(SKIP_1) | instid1(VALU_DEP_1)
	v_lshlrev_b32_e32 v6, 23, v5
	v_cmp_ne_u16_e64 s1, 0xff, v5
	v_cndmask_b32_e64 v6, 0x7f800001, v6, s1
	v_cmp_ne_u16_e64 s1, 0, v5
	s_delay_alu instid0(VALU_DEP_1) | instskip(NEXT) | instid1(VALU_DEP_1)
	v_cndmask_b32_e64 v5, 0x400000, v6, s1
	v_cmp_eq_f32_e64 s1, s3, v5
	s_delay_alu instid0(VALU_DEP_1) | instskip(SKIP_1) | instid1(VALU_DEP_1)
	v_cndmask_b32_e64 v6, 0, 1, s1
	v_cmp_neq_f32_e64 s1, s3, v5
	v_cndmask_b32_e64 v5, 0, 1, s1
	s_delay_alu instid0(VALU_DEP_1) | instskip(NEXT) | instid1(VALU_DEP_1)
	v_cndmask_b32_e64 v5, v5, v6, s0
	v_bitop3_b16 v5, v5, v7, 1 bitop3:0xec
	s_delay_alu instid0(VALU_DEP_1) | instskip(NEXT) | instid1(VALU_DEP_1)
	v_and_b32_e32 v5, 0xffff, v5
	v_and_or_b32 v3, 0xffff0000, v3, v5
.LBB319_61:
	s_or_b32 exec_lo, exec_lo, s6
	v_or_b32_e32 v5, 0xd00, v0
	s_mov_b32 s6, exec_lo
	s_delay_alu instid0(VALU_DEP_1)
	v_cmpx_gt_i32_e64 s8, v5
	s_cbranch_execz .LBB319_63
; %bb.62:
	v_and_b32_e32 v5, 0xff, v12
	s_delay_alu instid0(VALU_DEP_1) | instskip(SKIP_1) | instid1(VALU_DEP_1)
	v_lshlrev_b32_e32 v6, 23, v5
	v_cmp_ne_u16_e64 s1, 0xff, v5
	v_cndmask_b32_e64 v6, 0x7f800001, v6, s1
	v_cmp_ne_u16_e64 s1, 0, v5
	s_delay_alu instid0(VALU_DEP_1) | instskip(NEXT) | instid1(VALU_DEP_1)
	v_cndmask_b32_e64 v5, 0x400000, v6, s1
	v_cmp_eq_f32_e64 s1, s3, v5
	s_delay_alu instid0(VALU_DEP_1) | instskip(SKIP_1) | instid1(VALU_DEP_1)
	v_cndmask_b32_e64 v6, 0, 1, s1
	v_cmp_neq_f32_e64 s1, s3, v5
	v_cndmask_b32_e64 v5, 0, 1, s1
	s_delay_alu instid0(VALU_DEP_1) | instskip(NEXT) | instid1(VALU_DEP_1)
	v_cndmask_b32_e64 v5, v5, v6, s0
	v_and_b32_e32 v5, 1, v5
	s_delay_alu instid0(VALU_DEP_1) | instskip(NEXT) | instid1(VALU_DEP_1)
	v_lshlrev_b16 v5, 8, v5
	v_bitop3_b16 v5, v3, v5, 0xff bitop3:0xec
	s_delay_alu instid0(VALU_DEP_1) | instskip(NEXT) | instid1(VALU_DEP_1)
	v_and_b32_e32 v5, 0xffff, v5
	v_and_or_b32 v3, 0xffff0000, v3, v5
.LBB319_63:
	s_or_b32 exec_lo, exec_lo, s6
	v_or_b32_e32 v5, 0xe00, v0
	s_mov_b32 s6, exec_lo
	s_delay_alu instid0(VALU_DEP_1)
	v_cmpx_gt_i32_e64 s8, v5
	s_cbranch_execz .LBB319_65
; %bb.64:
	v_and_b32_e32 v5, 0xff, v11
	s_delay_alu instid0(VALU_DEP_1) | instskip(SKIP_1) | instid1(VALU_DEP_1)
	v_lshlrev_b32_e32 v6, 23, v5
	v_cmp_ne_u16_e64 s1, 0xff, v5
	v_cndmask_b32_e64 v6, 0x7f800001, v6, s1
	v_cmp_ne_u16_e64 s1, 0, v5
	s_delay_alu instid0(VALU_DEP_1) | instskip(SKIP_1) | instid1(VALU_DEP_2)
	v_cndmask_b32_e64 v5, 0x400000, v6, s1
	v_lshrrev_b32_e32 v6, 16, v3
	v_cmp_eq_f32_e64 s1, s3, v5
	s_delay_alu instid0(VALU_DEP_2) | instskip(NEXT) | instid1(VALU_DEP_2)
	v_and_b32_e32 v6, 0xffffff00, v6
	v_cndmask_b32_e64 v7, 0, 1, s1
	v_cmp_neq_f32_e64 s1, s3, v5
	s_delay_alu instid0(VALU_DEP_1) | instskip(NEXT) | instid1(VALU_DEP_1)
	v_cndmask_b32_e64 v5, 0, 1, s1
	v_cndmask_b32_e64 v5, v5, v7, s0
	s_delay_alu instid0(VALU_DEP_1) | instskip(NEXT) | instid1(VALU_DEP_1)
	v_bitop3_b16 v5, v5, v6, 1 bitop3:0xec
	v_lshlrev_b32_e32 v5, 16, v5
	s_delay_alu instid0(VALU_DEP_1)
	v_and_or_b32 v3, 0xffff, v3, v5
.LBB319_65:
	s_or_b32 exec_lo, exec_lo, s6
	v_or_b32_e32 v5, 0xf00, v0
	s_mov_b32 s6, exec_lo
	s_delay_alu instid0(VALU_DEP_1)
	v_cmpx_gt_i32_e64 s8, v5
	s_cbranch_execnz .LBB319_84
; %bb.66:
	s_or_b32 exec_lo, exec_lo, s6
	s_and_saveexec_b32 s0, vcc_lo
	s_delay_alu instid0(SALU_CYCLE_1)
	s_xor_b32 s0, exec_lo, s0
	s_cbranch_execnz .LBB319_85
.LBB319_67:
	s_or_b32 exec_lo, exec_lo, s0
	s_delay_alu instid0(SALU_CYCLE_1)
	s_mov_b32 s0, exec_lo
	v_cmpx_gt_i32_e64 s8, v0
	s_cbranch_execnz .LBB319_86
.LBB319_68:
	s_or_b32 exec_lo, exec_lo, s0
	s_delay_alu instid0(SALU_CYCLE_1)
	s_mov_b32 s0, exec_lo
	v_cmpx_gt_i32_e64 s8, v0
	s_cbranch_execnz .LBB319_87
.LBB319_69:
	s_or_b32 exec_lo, exec_lo, s0
	s_delay_alu instid0(SALU_CYCLE_1)
	s_mov_b32 s0, exec_lo
	v_cmpx_gt_i32_e64 s8, v0
	s_cbranch_execnz .LBB319_88
.LBB319_70:
	s_or_b32 exec_lo, exec_lo, s0
	s_delay_alu instid0(SALU_CYCLE_1)
	s_mov_b32 s0, exec_lo
	v_cmpx_gt_i32_e64 s8, v0
	s_cbranch_execnz .LBB319_89
.LBB319_71:
	s_or_b32 exec_lo, exec_lo, s0
	s_delay_alu instid0(SALU_CYCLE_1)
	s_mov_b32 s0, exec_lo
	v_cmpx_gt_i32_e64 s8, v0
	s_cbranch_execnz .LBB319_90
.LBB319_72:
	s_or_b32 exec_lo, exec_lo, s0
	s_delay_alu instid0(SALU_CYCLE_1)
	s_mov_b32 s0, exec_lo
	v_cmpx_gt_i32_e64 s8, v0
	s_cbranch_execnz .LBB319_91
.LBB319_73:
	s_or_b32 exec_lo, exec_lo, s0
	s_delay_alu instid0(SALU_CYCLE_1)
	s_mov_b32 s0, exec_lo
	v_cmpx_gt_i32_e64 s8, v0
	s_cbranch_execnz .LBB319_92
.LBB319_74:
	s_or_b32 exec_lo, exec_lo, s0
	s_delay_alu instid0(SALU_CYCLE_1)
	s_mov_b32 s0, exec_lo
	v_cmpx_gt_i32_e64 s8, v0
	s_cbranch_execnz .LBB319_93
.LBB319_75:
	s_or_b32 exec_lo, exec_lo, s0
	s_delay_alu instid0(SALU_CYCLE_1)
	s_mov_b32 s0, exec_lo
	v_cmpx_gt_i32_e64 s8, v0
	s_cbranch_execnz .LBB319_94
.LBB319_76:
	s_or_b32 exec_lo, exec_lo, s0
	s_delay_alu instid0(SALU_CYCLE_1)
	s_mov_b32 s0, exec_lo
	v_cmpx_gt_i32_e64 s8, v0
	s_cbranch_execnz .LBB319_95
.LBB319_77:
	s_or_b32 exec_lo, exec_lo, s0
	s_delay_alu instid0(SALU_CYCLE_1)
	s_mov_b32 s0, exec_lo
	v_cmpx_gt_i32_e64 s8, v0
	s_cbranch_execnz .LBB319_96
.LBB319_78:
	s_or_b32 exec_lo, exec_lo, s0
	s_delay_alu instid0(SALU_CYCLE_1)
	s_mov_b32 s0, exec_lo
	v_cmpx_gt_i32_e64 s8, v0
	s_cbranch_execnz .LBB319_97
.LBB319_79:
	s_or_b32 exec_lo, exec_lo, s0
	s_delay_alu instid0(SALU_CYCLE_1)
	s_mov_b32 s0, exec_lo
	v_cmpx_gt_i32_e64 s8, v0
	s_cbranch_execnz .LBB319_98
.LBB319_80:
	s_or_b32 exec_lo, exec_lo, s0
	s_delay_alu instid0(SALU_CYCLE_1)
	s_mov_b32 s0, exec_lo
	v_cmpx_gt_i32_e64 s8, v0
	s_cbranch_execnz .LBB319_99
.LBB319_81:
	s_or_b32 exec_lo, exec_lo, s0
	s_delay_alu instid0(SALU_CYCLE_1)
	s_mov_b32 s0, exec_lo
	v_cmpx_gt_i32_e64 s8, v0
	s_cbranch_execz .LBB319_83
.LBB319_82:
	v_dual_lshrrev_b32 v1, 24, v3 :: v_dual_add_nc_u32 v0, s2, v0
	global_store_b8 v0, v1, s[4:5]
.LBB319_83:
	s_endpgm
.LBB319_84:
	v_and_b32_e32 v5, 0xff, v10
	s_delay_alu instid0(VALU_DEP_1) | instskip(SKIP_1) | instid1(VALU_DEP_1)
	v_lshlrev_b32_e32 v6, 23, v5
	v_cmp_ne_u16_e64 s1, 0xff, v5
	v_cndmask_b32_e64 v6, 0x7f800001, v6, s1
	v_cmp_ne_u16_e64 s1, 0, v5
	s_delay_alu instid0(VALU_DEP_1) | instskip(NEXT) | instid1(VALU_DEP_1)
	v_cndmask_b32_e64 v5, 0x400000, v6, s1
	v_cmp_eq_f32_e64 s1, s3, v5
	s_delay_alu instid0(VALU_DEP_1) | instskip(SKIP_1) | instid1(VALU_DEP_1)
	v_cndmask_b32_e64 v6, 0, 1, s1
	v_cmp_neq_f32_e64 s1, s3, v5
	v_cndmask_b32_e64 v5, 0, 1, s1
	s_delay_alu instid0(VALU_DEP_1) | instskip(NEXT) | instid1(VALU_DEP_1)
	v_dual_cndmask_b32 v5, v5, v6, s0 :: v_dual_lshrrev_b32 v6, 16, v3
	v_and_b32_e32 v5, 1, v5
	s_delay_alu instid0(VALU_DEP_1) | instskip(NEXT) | instid1(VALU_DEP_1)
	v_lshlrev_b16 v5, 8, v5
	v_bitop3_b16 v5, v6, v5, 0xff bitop3:0xec
	s_delay_alu instid0(VALU_DEP_1) | instskip(NEXT) | instid1(VALU_DEP_1)
	v_lshlrev_b32_e32 v5, 16, v5
	v_and_or_b32 v3, 0xffff, v3, v5
	s_or_b32 exec_lo, exec_lo, s6
	s_and_saveexec_b32 s0, vcc_lo
	s_delay_alu instid0(SALU_CYCLE_1)
	s_xor_b32 s0, exec_lo, s0
	s_cbranch_execz .LBB319_67
.LBB319_85:
	v_mov_b32_e32 v0, v9
	global_store_b8 v8, v2, s[4:5]
	s_wait_xcnt 0x0
	s_or_b32 exec_lo, exec_lo, s0
	s_delay_alu instid0(SALU_CYCLE_1)
	s_mov_b32 s0, exec_lo
	v_cmpx_gt_i32_e64 s8, v0
	s_cbranch_execz .LBB319_68
.LBB319_86:
	v_dual_lshrrev_b32 v5, 8, v2 :: v_dual_add_nc_u32 v6, s2, v0
	v_add_nc_u32_e32 v0, 0x100, v0
	global_store_b8 v6, v5, s[4:5]
	s_wait_xcnt 0x0
	s_or_b32 exec_lo, exec_lo, s0
	s_delay_alu instid0(SALU_CYCLE_1)
	s_mov_b32 s0, exec_lo
	v_cmpx_gt_i32_e64 s8, v0
	s_cbranch_execz .LBB319_69
.LBB319_87:
	v_add_nc_u32_e32 v5, s2, v0
	v_add_nc_u32_e32 v0, 0x100, v0
	global_store_d16_hi_b8 v5, v2, s[4:5]
	s_wait_xcnt 0x0
	s_or_b32 exec_lo, exec_lo, s0
	s_delay_alu instid0(SALU_CYCLE_1)
	s_mov_b32 s0, exec_lo
	v_cmpx_gt_i32_e64 s8, v0
	s_cbranch_execz .LBB319_70
.LBB319_88:
	v_dual_lshrrev_b32 v2, 24, v2 :: v_dual_add_nc_u32 v5, s2, v0
	v_add_nc_u32_e32 v0, 0x100, v0
	global_store_b8 v5, v2, s[4:5]
	s_wait_xcnt 0x0
	s_or_b32 exec_lo, exec_lo, s0
	s_delay_alu instid0(SALU_CYCLE_1)
	s_mov_b32 s0, exec_lo
	v_cmpx_gt_i32_e64 s8, v0
	s_cbranch_execz .LBB319_71
.LBB319_89:
	v_add_nc_u32_e32 v2, s2, v0
	v_add_nc_u32_e32 v0, 0x100, v0
	global_store_b8 v2, v1, s[4:5]
	s_wait_xcnt 0x0
	s_or_b32 exec_lo, exec_lo, s0
	s_delay_alu instid0(SALU_CYCLE_1)
	s_mov_b32 s0, exec_lo
	v_cmpx_gt_i32_e64 s8, v0
	s_cbranch_execz .LBB319_72
.LBB319_90:
	v_dual_lshrrev_b32 v2, 8, v1 :: v_dual_add_nc_u32 v5, s2, v0
	v_add_nc_u32_e32 v0, 0x100, v0
	global_store_b8 v5, v2, s[4:5]
	s_wait_xcnt 0x0
	s_or_b32 exec_lo, exec_lo, s0
	s_delay_alu instid0(SALU_CYCLE_1)
	s_mov_b32 s0, exec_lo
	v_cmpx_gt_i32_e64 s8, v0
	s_cbranch_execz .LBB319_73
.LBB319_91:
	v_add_nc_u32_e32 v2, s2, v0
	v_add_nc_u32_e32 v0, 0x100, v0
	global_store_d16_hi_b8 v2, v1, s[4:5]
	s_wait_xcnt 0x0
	s_or_b32 exec_lo, exec_lo, s0
	s_delay_alu instid0(SALU_CYCLE_1)
	s_mov_b32 s0, exec_lo
	v_cmpx_gt_i32_e64 s8, v0
	s_cbranch_execz .LBB319_74
.LBB319_92:
	v_dual_lshrrev_b32 v1, 24, v1 :: v_dual_add_nc_u32 v2, s2, v0
	v_add_nc_u32_e32 v0, 0x100, v0
	global_store_b8 v2, v1, s[4:5]
	s_wait_xcnt 0x0
	s_or_b32 exec_lo, exec_lo, s0
	s_delay_alu instid0(SALU_CYCLE_1)
	s_mov_b32 s0, exec_lo
	v_cmpx_gt_i32_e64 s8, v0
	s_cbranch_execz .LBB319_75
.LBB319_93:
	v_add_nc_u32_e32 v1, s2, v0
	v_add_nc_u32_e32 v0, 0x100, v0
	global_store_b8 v1, v4, s[4:5]
	s_wait_xcnt 0x0
	s_or_b32 exec_lo, exec_lo, s0
	s_delay_alu instid0(SALU_CYCLE_1)
	s_mov_b32 s0, exec_lo
	v_cmpx_gt_i32_e64 s8, v0
	s_cbranch_execz .LBB319_76
.LBB319_94:
	v_lshrrev_b32_e32 v1, 8, v4
	v_add_nc_u32_e32 v2, s2, v0
	v_add_nc_u32_e32 v0, 0x100, v0
	global_store_b8 v2, v1, s[4:5]
	s_wait_xcnt 0x0
	s_or_b32 exec_lo, exec_lo, s0
	s_delay_alu instid0(SALU_CYCLE_1)
	s_mov_b32 s0, exec_lo
	v_cmpx_gt_i32_e64 s8, v0
	s_cbranch_execz .LBB319_77
.LBB319_95:
	v_add_nc_u32_e32 v1, s2, v0
	v_add_nc_u32_e32 v0, 0x100, v0
	global_store_d16_hi_b8 v1, v4, s[4:5]
	s_wait_xcnt 0x0
	s_or_b32 exec_lo, exec_lo, s0
	s_delay_alu instid0(SALU_CYCLE_1)
	s_mov_b32 s0, exec_lo
	v_cmpx_gt_i32_e64 s8, v0
	s_cbranch_execz .LBB319_78
.LBB319_96:
	v_lshrrev_b32_e32 v1, 24, v4
	v_add_nc_u32_e32 v2, s2, v0
	v_add_nc_u32_e32 v0, 0x100, v0
	global_store_b8 v2, v1, s[4:5]
	s_wait_xcnt 0x0
	s_or_b32 exec_lo, exec_lo, s0
	s_delay_alu instid0(SALU_CYCLE_1)
	s_mov_b32 s0, exec_lo
	v_cmpx_gt_i32_e64 s8, v0
	s_cbranch_execz .LBB319_79
.LBB319_97:
	v_add_nc_u32_e32 v1, s2, v0
	v_add_nc_u32_e32 v0, 0x100, v0
	global_store_b8 v1, v3, s[4:5]
	s_wait_xcnt 0x0
	s_or_b32 exec_lo, exec_lo, s0
	s_delay_alu instid0(SALU_CYCLE_1)
	s_mov_b32 s0, exec_lo
	v_cmpx_gt_i32_e64 s8, v0
	s_cbranch_execz .LBB319_80
.LBB319_98:
	v_dual_lshrrev_b32 v1, 8, v3 :: v_dual_add_nc_u32 v2, s2, v0
	v_add_nc_u32_e32 v0, 0x100, v0
	global_store_b8 v2, v1, s[4:5]
	s_wait_xcnt 0x0
	s_or_b32 exec_lo, exec_lo, s0
	s_delay_alu instid0(SALU_CYCLE_1)
	s_mov_b32 s0, exec_lo
	v_cmpx_gt_i32_e64 s8, v0
	s_cbranch_execz .LBB319_81
.LBB319_99:
	v_add_nc_u32_e32 v1, s2, v0
	v_add_nc_u32_e32 v0, 0x100, v0
	global_store_d16_hi_b8 v1, v3, s[4:5]
	s_wait_xcnt 0x0
	s_or_b32 exec_lo, exec_lo, s0
	s_delay_alu instid0(SALU_CYCLE_1)
	s_mov_b32 s0, exec_lo
	v_cmpx_gt_i32_e64 s8, v0
	s_cbranch_execnz .LBB319_82
	s_branch .LBB319_83
	.section	.rodata,"a",@progbits
	.p2align	6, 0x0
	.amdhsa_kernel _ZN2at6native29vectorized_elementwise_kernelILi4ENS0_13AUnaryFunctorIN3c1014Float8_e8m0fnuES4_bNS0_12_GLOBAL__N_116CompareEqFunctorIS4_EEEESt5arrayIPcLm2EEEEviT0_T1_
		.amdhsa_group_segment_fixed_size 0
		.amdhsa_private_segment_fixed_size 0
		.amdhsa_kernarg_size 32
		.amdhsa_user_sgpr_count 2
		.amdhsa_user_sgpr_dispatch_ptr 0
		.amdhsa_user_sgpr_queue_ptr 0
		.amdhsa_user_sgpr_kernarg_segment_ptr 1
		.amdhsa_user_sgpr_dispatch_id 0
		.amdhsa_user_sgpr_kernarg_preload_length 0
		.amdhsa_user_sgpr_kernarg_preload_offset 0
		.amdhsa_user_sgpr_private_segment_size 0
		.amdhsa_wavefront_size32 1
		.amdhsa_uses_dynamic_stack 0
		.amdhsa_enable_private_segment 0
		.amdhsa_system_sgpr_workgroup_id_x 1
		.amdhsa_system_sgpr_workgroup_id_y 0
		.amdhsa_system_sgpr_workgroup_id_z 0
		.amdhsa_system_sgpr_workgroup_info 0
		.amdhsa_system_vgpr_workitem_id 0
		.amdhsa_next_free_vgpr 37
		.amdhsa_next_free_sgpr 23
		.amdhsa_named_barrier_count 0
		.amdhsa_reserve_vcc 1
		.amdhsa_float_round_mode_32 0
		.amdhsa_float_round_mode_16_64 0
		.amdhsa_float_denorm_mode_32 3
		.amdhsa_float_denorm_mode_16_64 3
		.amdhsa_fp16_overflow 0
		.amdhsa_memory_ordered 1
		.amdhsa_forward_progress 1
		.amdhsa_inst_pref_size 64
		.amdhsa_round_robin_scheduling 0
		.amdhsa_exception_fp_ieee_invalid_op 0
		.amdhsa_exception_fp_denorm_src 0
		.amdhsa_exception_fp_ieee_div_zero 0
		.amdhsa_exception_fp_ieee_overflow 0
		.amdhsa_exception_fp_ieee_underflow 0
		.amdhsa_exception_fp_ieee_inexact 0
		.amdhsa_exception_int_div_zero 0
	.end_amdhsa_kernel
	.section	.text._ZN2at6native29vectorized_elementwise_kernelILi4ENS0_13AUnaryFunctorIN3c1014Float8_e8m0fnuES4_bNS0_12_GLOBAL__N_116CompareEqFunctorIS4_EEEESt5arrayIPcLm2EEEEviT0_T1_,"axG",@progbits,_ZN2at6native29vectorized_elementwise_kernelILi4ENS0_13AUnaryFunctorIN3c1014Float8_e8m0fnuES4_bNS0_12_GLOBAL__N_116CompareEqFunctorIS4_EEEESt5arrayIPcLm2EEEEviT0_T1_,comdat
.Lfunc_end319:
	.size	_ZN2at6native29vectorized_elementwise_kernelILi4ENS0_13AUnaryFunctorIN3c1014Float8_e8m0fnuES4_bNS0_12_GLOBAL__N_116CompareEqFunctorIS4_EEEESt5arrayIPcLm2EEEEviT0_T1_, .Lfunc_end319-_ZN2at6native29vectorized_elementwise_kernelILi4ENS0_13AUnaryFunctorIN3c1014Float8_e8m0fnuES4_bNS0_12_GLOBAL__N_116CompareEqFunctorIS4_EEEESt5arrayIPcLm2EEEEviT0_T1_
                                        ; -- End function
	.set _ZN2at6native29vectorized_elementwise_kernelILi4ENS0_13AUnaryFunctorIN3c1014Float8_e8m0fnuES4_bNS0_12_GLOBAL__N_116CompareEqFunctorIS4_EEEESt5arrayIPcLm2EEEEviT0_T1_.num_vgpr, 37
	.set _ZN2at6native29vectorized_elementwise_kernelILi4ENS0_13AUnaryFunctorIN3c1014Float8_e8m0fnuES4_bNS0_12_GLOBAL__N_116CompareEqFunctorIS4_EEEESt5arrayIPcLm2EEEEviT0_T1_.num_agpr, 0
	.set _ZN2at6native29vectorized_elementwise_kernelILi4ENS0_13AUnaryFunctorIN3c1014Float8_e8m0fnuES4_bNS0_12_GLOBAL__N_116CompareEqFunctorIS4_EEEESt5arrayIPcLm2EEEEviT0_T1_.numbered_sgpr, 23
	.set _ZN2at6native29vectorized_elementwise_kernelILi4ENS0_13AUnaryFunctorIN3c1014Float8_e8m0fnuES4_bNS0_12_GLOBAL__N_116CompareEqFunctorIS4_EEEESt5arrayIPcLm2EEEEviT0_T1_.num_named_barrier, 0
	.set _ZN2at6native29vectorized_elementwise_kernelILi4ENS0_13AUnaryFunctorIN3c1014Float8_e8m0fnuES4_bNS0_12_GLOBAL__N_116CompareEqFunctorIS4_EEEESt5arrayIPcLm2EEEEviT0_T1_.private_seg_size, 0
	.set _ZN2at6native29vectorized_elementwise_kernelILi4ENS0_13AUnaryFunctorIN3c1014Float8_e8m0fnuES4_bNS0_12_GLOBAL__N_116CompareEqFunctorIS4_EEEESt5arrayIPcLm2EEEEviT0_T1_.uses_vcc, 1
	.set _ZN2at6native29vectorized_elementwise_kernelILi4ENS0_13AUnaryFunctorIN3c1014Float8_e8m0fnuES4_bNS0_12_GLOBAL__N_116CompareEqFunctorIS4_EEEESt5arrayIPcLm2EEEEviT0_T1_.uses_flat_scratch, 0
	.set _ZN2at6native29vectorized_elementwise_kernelILi4ENS0_13AUnaryFunctorIN3c1014Float8_e8m0fnuES4_bNS0_12_GLOBAL__N_116CompareEqFunctorIS4_EEEESt5arrayIPcLm2EEEEviT0_T1_.has_dyn_sized_stack, 0
	.set _ZN2at6native29vectorized_elementwise_kernelILi4ENS0_13AUnaryFunctorIN3c1014Float8_e8m0fnuES4_bNS0_12_GLOBAL__N_116CompareEqFunctorIS4_EEEESt5arrayIPcLm2EEEEviT0_T1_.has_recursion, 0
	.set _ZN2at6native29vectorized_elementwise_kernelILi4ENS0_13AUnaryFunctorIN3c1014Float8_e8m0fnuES4_bNS0_12_GLOBAL__N_116CompareEqFunctorIS4_EEEESt5arrayIPcLm2EEEEviT0_T1_.has_indirect_call, 0
	.section	.AMDGPU.csdata,"",@progbits
; Kernel info:
; codeLenInByte = 8080
; TotalNumSgprs: 25
; NumVgprs: 37
; ScratchSize: 0
; MemoryBound: 0
; FloatMode: 240
; IeeeMode: 1
; LDSByteSize: 0 bytes/workgroup (compile time only)
; SGPRBlocks: 0
; VGPRBlocks: 2
; NumSGPRsForWavesPerEU: 25
; NumVGPRsForWavesPerEU: 37
; NamedBarCnt: 0
; Occupancy: 16
; WaveLimiterHint : 1
; COMPUTE_PGM_RSRC2:SCRATCH_EN: 0
; COMPUTE_PGM_RSRC2:USER_SGPR: 2
; COMPUTE_PGM_RSRC2:TRAP_HANDLER: 0
; COMPUTE_PGM_RSRC2:TGID_X_EN: 1
; COMPUTE_PGM_RSRC2:TGID_Y_EN: 0
; COMPUTE_PGM_RSRC2:TGID_Z_EN: 0
; COMPUTE_PGM_RSRC2:TIDIG_COMP_CNT: 0
	.section	.text._ZN2at6native29vectorized_elementwise_kernelILi2ENS0_13AUnaryFunctorIN3c1014Float8_e8m0fnuES4_bNS0_12_GLOBAL__N_116CompareEqFunctorIS4_EEEESt5arrayIPcLm2EEEEviT0_T1_,"axG",@progbits,_ZN2at6native29vectorized_elementwise_kernelILi2ENS0_13AUnaryFunctorIN3c1014Float8_e8m0fnuES4_bNS0_12_GLOBAL__N_116CompareEqFunctorIS4_EEEESt5arrayIPcLm2EEEEviT0_T1_,comdat
	.globl	_ZN2at6native29vectorized_elementwise_kernelILi2ENS0_13AUnaryFunctorIN3c1014Float8_e8m0fnuES4_bNS0_12_GLOBAL__N_116CompareEqFunctorIS4_EEEESt5arrayIPcLm2EEEEviT0_T1_ ; -- Begin function _ZN2at6native29vectorized_elementwise_kernelILi2ENS0_13AUnaryFunctorIN3c1014Float8_e8m0fnuES4_bNS0_12_GLOBAL__N_116CompareEqFunctorIS4_EEEESt5arrayIPcLm2EEEEviT0_T1_
	.p2align	8
	.type	_ZN2at6native29vectorized_elementwise_kernelILi2ENS0_13AUnaryFunctorIN3c1014Float8_e8m0fnuES4_bNS0_12_GLOBAL__N_116CompareEqFunctorIS4_EEEESt5arrayIPcLm2EEEEviT0_T1_,@function
_ZN2at6native29vectorized_elementwise_kernelILi2ENS0_13AUnaryFunctorIN3c1014Float8_e8m0fnuES4_bNS0_12_GLOBAL__N_116CompareEqFunctorIS4_EEEESt5arrayIPcLm2EEEEviT0_T1_: ; @_ZN2at6native29vectorized_elementwise_kernelILi2ENS0_13AUnaryFunctorIN3c1014Float8_e8m0fnuES4_bNS0_12_GLOBAL__N_116CompareEqFunctorIS4_EEEESt5arrayIPcLm2EEEEviT0_T1_
; %bb.0:
	s_clause 0x1
	s_load_b96 s[8:10], s[0:1], 0x0
	s_load_b128 s[4:7], s[0:1], 0x10
	s_wait_xcnt 0x0
	s_bfe_u32 s0, ttmp6, 0x4000c
	s_and_b32 s1, ttmp6, 15
	s_add_co_i32 s0, s0, 1
	s_getreg_b32 s2, hwreg(HW_REG_IB_STS2, 6, 4)
	s_mul_i32 s0, ttmp9, s0
	s_delay_alu instid0(SALU_CYCLE_1)
	s_add_co_i32 s1, s1, s0
	s_cmp_eq_u32 s2, 0
	s_cselect_b32 s0, ttmp9, s1
	s_mov_b32 s1, -1
	s_lshl_b32 s2, s0, 12
	s_wait_kmcnt 0x0
	s_sub_co_i32 s8, s8, s2
	s_delay_alu instid0(SALU_CYCLE_1)
	s_cmp_gt_i32 s8, 0xfff
	s_cbranch_scc0 .LBB320_2
; %bb.1:
	s_ashr_i32 s3, s2, 31
	s_cmp_eq_u32 s9, 0
	s_add_nc_u64 s[0:1], s[6:7], s[2:3]
	s_cselect_b32 vcc_lo, -1, 0
	s_clause 0x7
	global_load_u16 v1, v0, s[0:1] scale_offset
	global_load_u16 v2, v0, s[0:1] offset:512 scale_offset
	global_load_u16 v3, v0, s[0:1] offset:1024 scale_offset
	;; [unrolled: 1-line block ×7, first 2 shown]
	s_wait_xcnt 0x0
	s_lshl_b32 s1, s10, 23
	s_and_b32 s0, s10, 0xff
	s_and_b32 s11, s1, 0x7f800000
	s_cmp_lg_u32 s0, 0xff
	s_add_nc_u64 s[12:13], s[4:5], s[2:3]
	s_cselect_b32 s11, s11, 0x7f800001
	s_cmp_lg_u32 s0, 0
	s_mov_b32 s1, 0
	s_cselect_b32 s3, s11, 0x400000
	s_wait_loadcnt 0x7
	v_and_b32_e32 v9, 0xff, v1
	v_lshrrev_b16 v1, 8, v1
	s_wait_loadcnt 0x6
	v_and_b32_e32 v10, 0xff, v2
	v_lshrrev_b16 v2, 8, v2
	s_wait_loadcnt 0x5
	v_and_b32_e32 v11, 0xff, v3
	v_lshlrev_b32_e32 v17, 23, v9
	v_cmp_ne_u16_e64 s0, 0xff, v9
	v_dual_lshlrev_b32 v18, 23, v1 :: v_dual_lshlrev_b32 v20, 23, v2
	v_lshlrev_b32_e32 v19, 23, v10
	v_lshrrev_b16 v3, 8, v3
	s_delay_alu instid0(VALU_DEP_4)
	v_cndmask_b32_e64 v17, 0x7f800001, v17, s0
	v_cmp_ne_u16_e64 s0, 0xff, v1
	s_wait_loadcnt 0x4
	v_and_b32_e32 v12, 0xff, v4
	v_lshlrev_b32_e32 v21, 23, v11
	v_lshrrev_b16 v4, 8, v4
	v_lshlrev_b32_e32 v22, 23, v3
	v_cndmask_b32_e64 v18, 0x7f800001, v18, s0
	v_cmp_ne_u16_e64 s0, 0xff, v10
	v_lshlrev_b32_e32 v23, 23, v12
	v_lshlrev_b32_e32 v24, 23, v4
	s_wait_loadcnt 0x3
	v_and_b32_e32 v13, 0xff, v5
	v_lshrrev_b16 v5, 8, v5
	v_cndmask_b32_e64 v19, 0x7f800001, v19, s0
	v_cmp_ne_u16_e64 s0, 0xff, v2
	s_wait_loadcnt 0x2
	v_and_b32_e32 v14, 0xff, v6
	v_lshlrev_b32_e32 v25, 23, v13
	v_lshrrev_b16 v6, 8, v6
	v_lshlrev_b32_e32 v26, 23, v5
	v_cndmask_b32_e64 v20, 0x7f800001, v20, s0
	v_cmp_ne_u16_e64 s0, 0xff, v11
	v_lshlrev_b32_e32 v27, 23, v14
	v_lshlrev_b32_e32 v28, 23, v6
	s_wait_loadcnt 0x1
	v_and_b32_e32 v15, 0xff, v7
	v_lshrrev_b16 v7, 8, v7
	v_cndmask_b32_e64 v21, 0x7f800001, v21, s0
	v_cmp_ne_u16_e64 s0, 0xff, v3
	s_wait_loadcnt 0x0
	v_and_b32_e32 v16, 0xff, v8
	v_lshlrev_b32_e32 v29, 23, v15
	v_lshrrev_b16 v8, 8, v8
	v_lshlrev_b32_e32 v30, 23, v7
	v_cndmask_b32_e64 v22, 0x7f800001, v22, s0
	v_cmp_ne_u16_e64 s0, 0xff, v12
	v_lshlrev_b32_e32 v31, 23, v16
	v_lshlrev_b32_e32 v32, 23, v8
	s_delay_alu instid0(VALU_DEP_3) | instskip(SKIP_1) | instid1(VALU_DEP_1)
	v_cndmask_b32_e64 v23, 0x7f800001, v23, s0
	v_cmp_ne_u16_e64 s0, 0xff, v4
	v_cndmask_b32_e64 v24, 0x7f800001, v24, s0
	v_cmp_ne_u16_e64 s0, 0xff, v13
	s_delay_alu instid0(VALU_DEP_1) | instskip(SKIP_1) | instid1(VALU_DEP_1)
	v_cndmask_b32_e64 v25, 0x7f800001, v25, s0
	v_cmp_ne_u16_e64 s0, 0xff, v5
	v_cndmask_b32_e64 v26, 0x7f800001, v26, s0
	v_cmp_ne_u16_e64 s0, 0xff, v14
	s_delay_alu instid0(VALU_DEP_1) | instskip(SKIP_1) | instid1(VALU_DEP_1)
	;; [unrolled: 5-line block ×12, first 2 shown]
	v_cndmask_b32_e64 v16, 0x400000, v31, s0
	v_cmp_ne_u16_e64 s0, 0, v8
	v_cndmask_b32_e64 v8, 0x400000, v32, s0
	v_cmp_eq_f32_e64 s0, s3, v9
	s_delay_alu instid0(VALU_DEP_1) | instskip(SKIP_1) | instid1(VALU_DEP_1)
	v_cndmask_b32_e64 v17, 0, 1, s0
	v_cmp_neq_f32_e64 s0, s3, v9
	v_cndmask_b32_e64 v9, 0, 1, s0
	v_cmp_eq_f32_e64 s0, s3, v1
	s_delay_alu instid0(VALU_DEP_1) | instskip(SKIP_1) | instid1(VALU_DEP_1)
	v_cndmask_b32_e64 v18, 0, 1, s0
	v_cmp_neq_f32_e64 s0, s3, v1
	;; [unrolled: 5-line block ×3, first 2 shown]
	v_cndmask_b32_e64 v10, 0, 1, s0
	v_cmp_eq_f32_e64 s0, s3, v2
	s_delay_alu instid0(VALU_DEP_2) | instskip(NEXT) | instid1(VALU_DEP_2)
	v_dual_cndmask_b32 v9, v9, v17 :: v_dual_cndmask_b32 v10, v10, v19
	v_cndmask_b32_e64 v20, 0, 1, s0
	v_cmp_neq_f32_e64 s0, s3, v2
	s_delay_alu instid0(VALU_DEP_1) | instskip(SKIP_1) | instid1(VALU_DEP_2)
	v_cndmask_b32_e64 v2, 0, 1, s0
	v_cmp_eq_f32_e64 s0, s3, v11
	v_dual_cndmask_b32 v1, v1, v18 :: v_dual_cndmask_b32 v2, v2, v20
	s_delay_alu instid0(VALU_DEP_2) | instskip(SKIP_1) | instid1(VALU_DEP_3)
	v_cndmask_b32_e64 v21, 0, 1, s0
	v_cmp_neq_f32_e64 s0, s3, v11
	v_and_b32_e32 v1, 1, v1
	s_delay_alu instid0(VALU_DEP_4) | instskip(NEXT) | instid1(VALU_DEP_3)
	v_and_b32_e32 v2, 1, v2
	v_cndmask_b32_e64 v11, 0, 1, s0
	v_cmp_eq_f32_e64 s0, s3, v3
	s_delay_alu instid0(VALU_DEP_4) | instskip(NEXT) | instid1(VALU_DEP_4)
	v_lshlrev_b16 v1, 8, v1
	v_lshlrev_b16 v2, 8, v2
	s_delay_alu instid0(VALU_DEP_3) | instskip(SKIP_1) | instid1(VALU_DEP_4)
	v_cndmask_b32_e64 v22, 0, 1, s0
	v_cmp_neq_f32_e64 s0, s3, v3
	v_bitop3_b16 v1, v9, v1, 1 bitop3:0xec
	s_delay_alu instid0(VALU_DEP_4) | instskip(NEXT) | instid1(VALU_DEP_3)
	v_bitop3_b16 v2, v10, v2, 1 bitop3:0xec
	v_cndmask_b32_e64 v3, 0, 1, s0
	v_cmp_eq_f32_e64 s0, s3, v12
	s_delay_alu instid0(VALU_DEP_1) | instskip(SKIP_1) | instid1(VALU_DEP_1)
	v_cndmask_b32_e64 v23, 0, 1, s0
	v_cmp_neq_f32_e64 s0, s3, v12
	v_cndmask_b32_e64 v12, 0, 1, s0
	v_cmp_eq_f32_e64 s0, s3, v4
	s_delay_alu instid0(VALU_DEP_2) | instskip(NEXT) | instid1(VALU_DEP_2)
	v_dual_cndmask_b32 v11, v11, v21 :: v_dual_cndmask_b32 v12, v12, v23
	v_cndmask_b32_e64 v24, 0, 1, s0
	v_cmp_neq_f32_e64 s0, s3, v4
	s_delay_alu instid0(VALU_DEP_1) | instskip(SKIP_1) | instid1(VALU_DEP_2)
	v_cndmask_b32_e64 v4, 0, 1, s0
	v_cmp_eq_f32_e64 s0, s3, v13
	v_dual_cndmask_b32 v3, v3, v22 :: v_dual_cndmask_b32 v4, v4, v24
	s_delay_alu instid0(VALU_DEP_2) | instskip(SKIP_1) | instid1(VALU_DEP_3)
	v_cndmask_b32_e64 v25, 0, 1, s0
	v_cmp_neq_f32_e64 s0, s3, v13
	v_and_b32_e32 v3, 1, v3
	s_delay_alu instid0(VALU_DEP_4) | instskip(NEXT) | instid1(VALU_DEP_3)
	v_and_b32_e32 v4, 1, v4
	v_cndmask_b32_e64 v13, 0, 1, s0
	v_cmp_eq_f32_e64 s0, s3, v5
	s_delay_alu instid0(VALU_DEP_4) | instskip(NEXT) | instid1(VALU_DEP_4)
	v_lshlrev_b16 v3, 8, v3
	v_lshlrev_b16 v4, 8, v4
	s_delay_alu instid0(VALU_DEP_3) | instskip(SKIP_1) | instid1(VALU_DEP_4)
	v_cndmask_b32_e64 v26, 0, 1, s0
	v_cmp_neq_f32_e64 s0, s3, v5
	v_bitop3_b16 v3, v11, v3, 1 bitop3:0xec
	s_delay_alu instid0(VALU_DEP_4) | instskip(NEXT) | instid1(VALU_DEP_3)
	v_bitop3_b16 v4, v12, v4, 1 bitop3:0xec
	v_cndmask_b32_e64 v5, 0, 1, s0
	v_cmp_eq_f32_e64 s0, s3, v14
	s_delay_alu instid0(VALU_DEP_1) | instskip(SKIP_1) | instid1(VALU_DEP_1)
	v_cndmask_b32_e64 v27, 0, 1, s0
	v_cmp_neq_f32_e64 s0, s3, v14
	;; [unrolled: 32-line block ×3, first 2 shown]
	v_cndmask_b32_e64 v16, 0, 1, s0
	v_cmp_eq_f32_e64 s0, s3, v8
	s_delay_alu instid0(VALU_DEP_2) | instskip(NEXT) | instid1(VALU_DEP_2)
	v_dual_cndmask_b32 v7, v7, v30 :: v_dual_cndmask_b32 v16, v16, v31
	v_cndmask_b32_e64 v32, 0, 1, s0
	v_cmp_neq_f32_e64 s0, s3, v8
	s_delay_alu instid0(VALU_DEP_3) | instskip(NEXT) | instid1(VALU_DEP_2)
	v_and_b32_e32 v7, 1, v7
	v_cndmask_b32_e64 v8, 0, 1, s0
	v_cndmask_b32_e32 v15, v15, v29, vcc_lo
	s_delay_alu instid0(VALU_DEP_3) | instskip(NEXT) | instid1(VALU_DEP_3)
	v_lshlrev_b16 v7, 8, v7
	v_cndmask_b32_e32 v8, v8, v32, vcc_lo
	s_delay_alu instid0(VALU_DEP_2) | instskip(NEXT) | instid1(VALU_DEP_2)
	v_bitop3_b16 v7, v15, v7, 1 bitop3:0xec
	v_and_b32_e32 v8, 1, v8
	s_delay_alu instid0(VALU_DEP_1) | instskip(NEXT) | instid1(VALU_DEP_1)
	v_lshlrev_b16 v8, 8, v8
	v_bitop3_b16 v8, v16, v8, 1 bitop3:0xec
	s_clause 0x7
	global_store_b16 v0, v1, s[12:13] scale_offset
	global_store_b16 v0, v2, s[12:13] offset:512 scale_offset
	global_store_b16 v0, v3, s[12:13] offset:1024 scale_offset
	;; [unrolled: 1-line block ×7, first 2 shown]
.LBB320_2:
	s_and_not1_b32 vcc_lo, exec_lo, s1
	s_cbranch_vccnz .LBB320_83
; %bb.3:
	v_cmp_gt_i32_e32 vcc_lo, s8, v0
	s_wait_xcnt 0x0
	v_dual_mov_b32 v2, 0 :: v_dual_bitop2_b32 v8, s2, v0 bitop3:0x54
	v_or_b32_e32 v9, 0x100, v0
	v_dual_mov_b32 v10, 0 :: v_dual_mov_b32 v11, 0
	v_dual_mov_b32 v12, 0 :: v_dual_mov_b32 v13, 0
	;; [unrolled: 1-line block ×8, first 2 shown]
	s_and_saveexec_b32 s1, vcc_lo
	s_cbranch_execz .LBB320_35
; %bb.4:
	global_load_u8 v23, v8, s[6:7]
	v_or_b32_e32 v1, 0x100, v0
	v_dual_mov_b32 v22, 0 :: v_dual_mov_b32 v5, 0
	v_dual_mov_b32 v6, 0 :: v_dual_mov_b32 v21, 0
	;; [unrolled: 1-line block ×7, first 2 shown]
	v_mov_b32_e32 v10, 0
	s_mov_b32 s3, exec_lo
	s_wait_xcnt 0x0
	v_cmpx_gt_u32_e64 s8, v1
	s_cbranch_execz .LBB320_34
; %bb.5:
	v_dual_mov_b32 v5, 0 :: v_dual_add_nc_u32 v4, s2, v0
	v_or_b32_e32 v1, 0x200, v0
	v_dual_mov_b32 v6, 0 :: v_dual_mov_b32 v21, 0
	global_load_u8 v22, v4, s[6:7] offset:256
	v_dual_mov_b32 v20, 0 :: v_dual_mov_b32 v19, 0
	v_dual_mov_b32 v18, 0 :: v_dual_mov_b32 v17, 0
	;; [unrolled: 1-line block ×5, first 2 shown]
	v_mov_b32_e32 v10, 0
	s_mov_b32 s11, exec_lo
	s_wait_xcnt 0x0
	v_cmpx_gt_u32_e64 s8, v1
	s_cbranch_execz .LBB320_33
; %bb.6:
	v_add_nc_u64_e32 v[6:7], s[6:7], v[4:5]
	v_or_b32_e32 v3, 0x300, v0
	v_dual_mov_b32 v21, 0 :: v_dual_mov_b32 v20, 0
	v_dual_mov_b32 v19, 0 :: v_dual_mov_b32 v18, 0
	;; [unrolled: 1-line block ×3, first 2 shown]
	global_load_u8 v1, v[6:7], off offset:512
	v_dual_mov_b32 v15, 0 :: v_dual_mov_b32 v14, 0
	v_dual_mov_b32 v13, 0 :: v_dual_mov_b32 v12, 0
	;; [unrolled: 1-line block ×3, first 2 shown]
	s_mov_b32 s6, exec_lo
	s_wait_xcnt 0x0
	v_cmpx_gt_u32_e64 s8, v3
	s_cbranch_execz .LBB320_32
; %bb.7:
	global_load_u8 v5, v[6:7], off offset:768
	v_or_b32_e32 v3, 0x400, v0
	v_dual_mov_b32 v21, 0 :: v_dual_mov_b32 v20, 0
	v_dual_mov_b32 v19, 0 :: v_dual_mov_b32 v18, 0
	;; [unrolled: 1-line block ×6, first 2 shown]
	s_mov_b32 s7, exec_lo
	s_wait_xcnt 0x0
	v_cmpx_gt_u32_e64 s8, v3
	s_cbranch_execz .LBB320_31
; %bb.8:
	global_load_u8 v21, v[6:7], off offset:1024
	v_or_b32_e32 v3, 0x500, v0
	v_dual_mov_b32 v20, 0 :: v_dual_mov_b32 v19, 0
	v_dual_mov_b32 v18, 0 :: v_dual_mov_b32 v17, 0
	;; [unrolled: 1-line block ×5, first 2 shown]
	v_mov_b32_e32 v10, 0
	s_mov_b32 s12, exec_lo
	s_wait_xcnt 0x0
	v_cmpx_gt_u32_e64 s8, v3
	s_cbranch_execz .LBB320_30
; %bb.9:
	global_load_u8 v20, v[6:7], off offset:1280
	v_or_b32_e32 v3, 0x600, v0
	v_dual_mov_b32 v19, 0 :: v_dual_mov_b32 v18, 0
	v_dual_mov_b32 v17, 0 :: v_dual_mov_b32 v16, 0
	;; [unrolled: 1-line block ×5, first 2 shown]
	s_mov_b32 s13, exec_lo
	s_wait_xcnt 0x0
	v_cmpx_gt_u32_e64 s8, v3
	s_cbranch_execz .LBB320_29
; %bb.10:
	global_load_u8 v19, v[6:7], off offset:1536
	v_or_b32_e32 v3, 0x700, v0
	v_dual_mov_b32 v18, 0 :: v_dual_mov_b32 v17, 0
	v_dual_mov_b32 v16, 0 :: v_dual_mov_b32 v15, 0
	;; [unrolled: 1-line block ×4, first 2 shown]
	v_mov_b32_e32 v10, 0
	s_mov_b32 s14, exec_lo
	s_wait_xcnt 0x0
	v_cmpx_gt_u32_e64 s8, v3
	s_cbranch_execz .LBB320_28
; %bb.11:
	global_load_u8 v18, v[6:7], off offset:1792
	v_or_b32_e32 v3, 0x800, v0
	v_dual_mov_b32 v17, 0 :: v_dual_mov_b32 v16, 0
	v_dual_mov_b32 v15, 0 :: v_dual_mov_b32 v14, 0
	v_dual_mov_b32 v13, 0 :: v_dual_mov_b32 v12, 0
	v_dual_mov_b32 v11, 0 :: v_dual_mov_b32 v10, 0
	s_mov_b32 s15, exec_lo
	s_wait_xcnt 0x0
	v_cmpx_gt_u32_e64 s8, v3
	s_cbranch_execz .LBB320_27
; %bb.12:
	global_load_u8 v17, v[6:7], off offset:2048
	v_or_b32_e32 v3, 0x900, v0
	v_dual_mov_b32 v16, 0 :: v_dual_mov_b32 v15, 0
	v_dual_mov_b32 v14, 0 :: v_dual_mov_b32 v13, 0
	;; [unrolled: 1-line block ×3, first 2 shown]
	v_mov_b32_e32 v10, 0
	s_mov_b32 s16, exec_lo
	s_wait_xcnt 0x0
	v_cmpx_gt_u32_e64 s8, v3
	s_cbranch_execz .LBB320_26
; %bb.13:
	global_load_u8 v16, v[6:7], off offset:2304
	v_or_b32_e32 v3, 0xa00, v0
	v_dual_mov_b32 v15, 0 :: v_dual_mov_b32 v14, 0
	v_dual_mov_b32 v13, 0 :: v_dual_mov_b32 v12, 0
	;; [unrolled: 1-line block ×3, first 2 shown]
	s_mov_b32 s17, exec_lo
	s_wait_xcnt 0x0
	v_cmpx_gt_u32_e64 s8, v3
	s_cbranch_execz .LBB320_25
; %bb.14:
	global_load_u8 v15, v[6:7], off offset:2560
	v_or_b32_e32 v3, 0xb00, v0
	v_dual_mov_b32 v14, 0 :: v_dual_mov_b32 v13, 0
	v_dual_mov_b32 v12, 0 :: v_dual_mov_b32 v11, 0
	v_mov_b32_e32 v10, 0
	s_mov_b32 s18, exec_lo
	s_wait_xcnt 0x0
	v_cmpx_gt_u32_e64 s8, v3
	s_cbranch_execz .LBB320_24
; %bb.15:
	global_load_u8 v14, v[6:7], off offset:2816
	v_or_b32_e32 v3, 0xc00, v0
	v_dual_mov_b32 v13, 0 :: v_dual_mov_b32 v12, 0
	v_dual_mov_b32 v11, 0 :: v_dual_mov_b32 v10, 0
	s_mov_b32 s19, exec_lo
	s_wait_xcnt 0x0
	v_cmpx_gt_u32_e64 s8, v3
	s_cbranch_execz .LBB320_23
; %bb.16:
	global_load_u8 v13, v[6:7], off offset:3072
	v_or_b32_e32 v3, 0xd00, v0
	v_dual_mov_b32 v12, 0 :: v_dual_mov_b32 v11, 0
	v_mov_b32_e32 v10, 0
	s_mov_b32 s20, exec_lo
	s_wait_xcnt 0x0
	v_cmpx_gt_u32_e64 s8, v3
	s_cbranch_execz .LBB320_22
; %bb.17:
	global_load_u8 v12, v[6:7], off offset:3328
	v_or_b32_e32 v3, 0xe00, v0
	v_dual_mov_b32 v11, 0 :: v_dual_mov_b32 v10, 0
	s_mov_b32 s21, exec_lo
	s_wait_xcnt 0x0
	s_delay_alu instid0(VALU_DEP_2)
	v_cmpx_gt_u32_e64 s8, v3
	s_cbranch_execz .LBB320_21
; %bb.18:
	global_load_u8 v11, v[6:7], off offset:3584
	v_or_b32_e32 v3, 0xf00, v0
	v_mov_b32_e32 v10, 0
	s_mov_b32 s22, exec_lo
	s_wait_xcnt 0x0
	s_delay_alu instid0(VALU_DEP_2)
	v_cmpx_gt_u32_e64 s8, v3
	s_cbranch_execz .LBB320_20
; %bb.19:
	global_load_u8 v10, v[6:7], off offset:3840
.LBB320_20:
	s_wait_xcnt 0x0
	s_or_b32 exec_lo, exec_lo, s22
.LBB320_21:
	s_delay_alu instid0(SALU_CYCLE_1)
	s_or_b32 exec_lo, exec_lo, s21
.LBB320_22:
	s_delay_alu instid0(SALU_CYCLE_1)
	s_or_b32 exec_lo, exec_lo, s20
.LBB320_23:
	s_delay_alu instid0(SALU_CYCLE_1)
	s_or_b32 exec_lo, exec_lo, s19
.LBB320_24:
	s_delay_alu instid0(SALU_CYCLE_1)
	s_or_b32 exec_lo, exec_lo, s18
.LBB320_25:
	s_delay_alu instid0(SALU_CYCLE_1)
	s_or_b32 exec_lo, exec_lo, s17
.LBB320_26:
	s_delay_alu instid0(SALU_CYCLE_1)
	s_or_b32 exec_lo, exec_lo, s16
.LBB320_27:
	s_delay_alu instid0(SALU_CYCLE_1)
	s_or_b32 exec_lo, exec_lo, s15
.LBB320_28:
	s_delay_alu instid0(SALU_CYCLE_1)
	s_or_b32 exec_lo, exec_lo, s14
.LBB320_29:
	s_delay_alu instid0(SALU_CYCLE_1)
	s_or_b32 exec_lo, exec_lo, s13
.LBB320_30:
	s_delay_alu instid0(SALU_CYCLE_1)
	s_or_b32 exec_lo, exec_lo, s12
.LBB320_31:
	s_delay_alu instid0(SALU_CYCLE_1)
	s_or_b32 exec_lo, exec_lo, s7
.LBB320_32:
	s_delay_alu instid0(SALU_CYCLE_1)
	s_or_b32 exec_lo, exec_lo, s6
	s_wait_loadcnt 0x0
	v_dual_mov_b32 v6, v5 :: v_dual_mov_b32 v5, v1
.LBB320_33:
	s_or_b32 exec_lo, exec_lo, s11
.LBB320_34:
	s_delay_alu instid0(SALU_CYCLE_1)
	s_or_b32 exec_lo, exec_lo, s3
.LBB320_35:
	s_delay_alu instid0(SALU_CYCLE_1)
	s_or_b32 exec_lo, exec_lo, s1
	s_cmp_eq_u32 s9, 0
	v_dual_mov_b32 v1, v2 :: v_dual_mov_b32 v4, v2
	s_cselect_b32 s0, -1, 0
	s_lshl_b32 s1, s10, 23
	s_and_b32 s3, s10, 0xff
	s_and_b32 s1, s1, 0x7f800000
	s_cmp_lg_u32 s3, 0xff
	v_mov_b32_e32 v3, v2
	s_cselect_b32 s1, s1, 0x7f800001
	s_cmp_lg_u32 s3, 0
	s_cselect_b32 s3, s1, 0x400000
	s_and_saveexec_b32 s6, vcc_lo
	s_cbranch_execz .LBB320_37
; %bb.36:
	s_wait_loadcnt 0x0
	v_and_b32_e32 v1, 0xff, v23
	s_delay_alu instid0(VALU_DEP_1) | instskip(SKIP_1) | instid1(VALU_DEP_1)
	v_lshlrev_b32_e32 v2, 23, v1
	v_cmp_ne_u16_e64 s1, 0xff, v1
	v_cndmask_b32_e64 v2, 0x7f800001, v2, s1
	v_cmp_ne_u16_e64 s1, 0, v1
	s_delay_alu instid0(VALU_DEP_1) | instskip(NEXT) | instid1(VALU_DEP_1)
	v_cndmask_b32_e64 v1, 0x400000, v2, s1
	v_cmp_eq_f32_e64 s1, s3, v1
	s_delay_alu instid0(VALU_DEP_1) | instskip(SKIP_1) | instid1(VALU_DEP_1)
	v_cndmask_b32_e64 v2, 0, 1, s1
	v_cmp_neq_f32_e64 s1, s3, v1
	v_cndmask_b32_e64 v1, 0, 1, s1
	s_delay_alu instid0(VALU_DEP_1) | instskip(NEXT) | instid1(VALU_DEP_1)
	v_dual_cndmask_b32 v2, v1, v2, s0 :: v_dual_mov_b32 v1, 0
	v_dual_mov_b32 v4, v1 :: v_dual_bitop2_b32 v2, 1, v2 bitop3:0x40
	v_mov_b32_e32 v3, v1
	s_delay_alu instid0(VALU_DEP_2)
	v_and_b32_e32 v2, 0xffff, v2
.LBB320_37:
	s_or_b32 exec_lo, exec_lo, s6
	s_delay_alu instid0(SALU_CYCLE_1)
	s_mov_b32 s6, exec_lo
	v_cmpx_gt_i32_e64 s8, v9
	s_cbranch_execz .LBB320_39
; %bb.38:
	s_wait_loadcnt 0x0
	v_and_b32_e32 v7, 0xff, v22
	s_delay_alu instid0(VALU_DEP_1) | instskip(SKIP_1) | instid1(VALU_DEP_1)
	v_lshlrev_b32_e32 v22, 23, v7
	v_cmp_ne_u16_e64 s1, 0xff, v7
	v_cndmask_b32_e64 v22, 0x7f800001, v22, s1
	v_cmp_ne_u16_e64 s1, 0, v7
	s_delay_alu instid0(VALU_DEP_1) | instskip(NEXT) | instid1(VALU_DEP_1)
	v_cndmask_b32_e64 v7, 0x400000, v22, s1
	v_cmp_eq_f32_e64 s1, s3, v7
	s_delay_alu instid0(VALU_DEP_1) | instskip(SKIP_1) | instid1(VALU_DEP_1)
	v_cndmask_b32_e64 v22, 0, 1, s1
	v_cmp_neq_f32_e64 s1, s3, v7
	v_cndmask_b32_e64 v7, 0, 1, s1
	s_delay_alu instid0(VALU_DEP_1) | instskip(NEXT) | instid1(VALU_DEP_1)
	v_cndmask_b32_e64 v7, v7, v22, s0
	v_and_b32_e32 v7, 1, v7
	s_delay_alu instid0(VALU_DEP_1) | instskip(NEXT) | instid1(VALU_DEP_1)
	v_lshlrev_b16 v7, 8, v7
	v_bitop3_b16 v7, v2, v7, 0xff bitop3:0xec
	s_delay_alu instid0(VALU_DEP_1) | instskip(NEXT) | instid1(VALU_DEP_1)
	v_and_b32_e32 v7, 0xffff, v7
	v_and_or_b32 v2, 0xffff0000, v2, v7
.LBB320_39:
	s_or_b32 exec_lo, exec_lo, s6
	v_or_b32_e32 v7, 0x200, v0
	s_mov_b32 s6, exec_lo
	s_delay_alu instid0(VALU_DEP_1)
	v_cmpx_gt_i32_e64 s8, v7
	s_cbranch_execz .LBB320_41
; %bb.40:
	v_and_b32_e32 v5, 0xff, v5
	s_delay_alu instid0(VALU_DEP_1) | instskip(SKIP_1) | instid1(VALU_DEP_1)
	v_lshlrev_b32_e32 v7, 23, v5
	v_cmp_ne_u16_e64 s1, 0xff, v5
	v_cndmask_b32_e64 v7, 0x7f800001, v7, s1
	v_cmp_ne_u16_e64 s1, 0, v5
	s_delay_alu instid0(VALU_DEP_1) | instskip(SKIP_1) | instid1(VALU_DEP_2)
	v_cndmask_b32_e64 v5, 0x400000, v7, s1
	v_lshrrev_b32_e32 v7, 16, v2
	v_cmp_eq_f32_e64 s1, s3, v5
	s_delay_alu instid0(VALU_DEP_2) | instskip(SKIP_1) | instid1(VALU_DEP_2)
	v_and_b32_e32 v7, 0xffffff00, v7
	s_wait_loadcnt 0x0
	v_cndmask_b32_e64 v22, 0, 1, s1
	v_cmp_neq_f32_e64 s1, s3, v5
	s_delay_alu instid0(VALU_DEP_1) | instskip(NEXT) | instid1(VALU_DEP_1)
	v_cndmask_b32_e64 v5, 0, 1, s1
	v_cndmask_b32_e64 v5, v5, v22, s0
	s_delay_alu instid0(VALU_DEP_1) | instskip(NEXT) | instid1(VALU_DEP_1)
	v_bitop3_b16 v5, v5, v7, 1 bitop3:0xec
	v_lshlrev_b32_e32 v5, 16, v5
	s_delay_alu instid0(VALU_DEP_1)
	v_and_or_b32 v2, 0xffff, v2, v5
.LBB320_41:
	s_or_b32 exec_lo, exec_lo, s6
	v_or_b32_e32 v5, 0x300, v0
	s_mov_b32 s6, exec_lo
	s_delay_alu instid0(VALU_DEP_1)
	v_cmpx_gt_i32_e64 s8, v5
	s_cbranch_execz .LBB320_43
; %bb.42:
	v_and_b32_e32 v5, 0xff, v6
	s_delay_alu instid0(VALU_DEP_1) | instskip(SKIP_1) | instid1(VALU_DEP_1)
	v_lshlrev_b32_e32 v6, 23, v5
	v_cmp_ne_u16_e64 s1, 0xff, v5
	v_cndmask_b32_e64 v6, 0x7f800001, v6, s1
	v_cmp_ne_u16_e64 s1, 0, v5
	s_delay_alu instid0(VALU_DEP_1) | instskip(NEXT) | instid1(VALU_DEP_1)
	v_cndmask_b32_e64 v5, 0x400000, v6, s1
	v_cmp_eq_f32_e64 s1, s3, v5
	s_delay_alu instid0(VALU_DEP_1) | instskip(SKIP_1) | instid1(VALU_DEP_1)
	v_cndmask_b32_e64 v6, 0, 1, s1
	v_cmp_neq_f32_e64 s1, s3, v5
	v_cndmask_b32_e64 v5, 0, 1, s1
	s_delay_alu instid0(VALU_DEP_1) | instskip(NEXT) | instid1(VALU_DEP_1)
	v_cndmask_b32_e64 v5, v5, v6, s0
	v_dual_lshrrev_b32 v6, 16, v2 :: v_dual_bitop2_b32 v5, 1, v5 bitop3:0x40
	s_delay_alu instid0(VALU_DEP_1) | instskip(NEXT) | instid1(VALU_DEP_1)
	v_lshlrev_b16 v5, 8, v5
	v_bitop3_b16 v5, v6, v5, 0xff bitop3:0xec
	s_delay_alu instid0(VALU_DEP_1) | instskip(NEXT) | instid1(VALU_DEP_1)
	v_lshlrev_b32_e32 v5, 16, v5
	v_and_or_b32 v2, 0xffff, v2, v5
.LBB320_43:
	s_or_b32 exec_lo, exec_lo, s6
	v_or_b32_e32 v5, 0x400, v0
	s_mov_b32 s6, exec_lo
	s_delay_alu instid0(VALU_DEP_1)
	v_cmpx_gt_i32_e64 s8, v5
	s_cbranch_execz .LBB320_45
; %bb.44:
	v_and_b32_e32 v5, 0xff, v21
	v_and_b32_e32 v7, 0xffffff00, v1
	s_delay_alu instid0(VALU_DEP_2) | instskip(SKIP_1) | instid1(VALU_DEP_1)
	v_lshlrev_b32_e32 v6, 23, v5
	v_cmp_ne_u16_e64 s1, 0xff, v5
	v_cndmask_b32_e64 v6, 0x7f800001, v6, s1
	v_cmp_ne_u16_e64 s1, 0, v5
	s_delay_alu instid0(VALU_DEP_1) | instskip(NEXT) | instid1(VALU_DEP_1)
	v_cndmask_b32_e64 v5, 0x400000, v6, s1
	v_cmp_eq_f32_e64 s1, s3, v5
	s_delay_alu instid0(VALU_DEP_1) | instskip(SKIP_1) | instid1(VALU_DEP_1)
	v_cndmask_b32_e64 v6, 0, 1, s1
	v_cmp_neq_f32_e64 s1, s3, v5
	v_cndmask_b32_e64 v5, 0, 1, s1
	s_delay_alu instid0(VALU_DEP_1) | instskip(NEXT) | instid1(VALU_DEP_1)
	v_cndmask_b32_e64 v5, v5, v6, s0
	v_bitop3_b16 v5, v5, v7, 1 bitop3:0xec
	s_delay_alu instid0(VALU_DEP_1) | instskip(NEXT) | instid1(VALU_DEP_1)
	v_and_b32_e32 v5, 0xffff, v5
	v_and_or_b32 v1, 0xffff0000, v1, v5
.LBB320_45:
	s_or_b32 exec_lo, exec_lo, s6
	v_or_b32_e32 v5, 0x500, v0
	s_mov_b32 s6, exec_lo
	s_delay_alu instid0(VALU_DEP_1)
	v_cmpx_gt_i32_e64 s8, v5
	s_cbranch_execz .LBB320_47
; %bb.46:
	v_and_b32_e32 v5, 0xff, v20
	s_delay_alu instid0(VALU_DEP_1) | instskip(SKIP_1) | instid1(VALU_DEP_1)
	v_lshlrev_b32_e32 v6, 23, v5
	v_cmp_ne_u16_e64 s1, 0xff, v5
	v_cndmask_b32_e64 v6, 0x7f800001, v6, s1
	v_cmp_ne_u16_e64 s1, 0, v5
	s_delay_alu instid0(VALU_DEP_1) | instskip(NEXT) | instid1(VALU_DEP_1)
	v_cndmask_b32_e64 v5, 0x400000, v6, s1
	v_cmp_eq_f32_e64 s1, s3, v5
	s_delay_alu instid0(VALU_DEP_1) | instskip(SKIP_1) | instid1(VALU_DEP_1)
	v_cndmask_b32_e64 v6, 0, 1, s1
	v_cmp_neq_f32_e64 s1, s3, v5
	v_cndmask_b32_e64 v5, 0, 1, s1
	s_delay_alu instid0(VALU_DEP_1) | instskip(NEXT) | instid1(VALU_DEP_1)
	v_cndmask_b32_e64 v5, v5, v6, s0
	v_and_b32_e32 v5, 1, v5
	s_delay_alu instid0(VALU_DEP_1) | instskip(NEXT) | instid1(VALU_DEP_1)
	v_lshlrev_b16 v5, 8, v5
	v_bitop3_b16 v5, v1, v5, 0xff bitop3:0xec
	s_delay_alu instid0(VALU_DEP_1) | instskip(NEXT) | instid1(VALU_DEP_1)
	v_and_b32_e32 v5, 0xffff, v5
	v_and_or_b32 v1, 0xffff0000, v1, v5
.LBB320_47:
	s_or_b32 exec_lo, exec_lo, s6
	v_or_b32_e32 v5, 0x600, v0
	s_mov_b32 s6, exec_lo
	s_delay_alu instid0(VALU_DEP_1)
	v_cmpx_gt_i32_e64 s8, v5
	s_cbranch_execz .LBB320_49
; %bb.48:
	v_and_b32_e32 v5, 0xff, v19
	s_delay_alu instid0(VALU_DEP_1) | instskip(SKIP_1) | instid1(VALU_DEP_1)
	v_lshlrev_b32_e32 v6, 23, v5
	v_cmp_ne_u16_e64 s1, 0xff, v5
	v_cndmask_b32_e64 v6, 0x7f800001, v6, s1
	v_cmp_ne_u16_e64 s1, 0, v5
	s_delay_alu instid0(VALU_DEP_1) | instskip(SKIP_1) | instid1(VALU_DEP_2)
	v_cndmask_b32_e64 v5, 0x400000, v6, s1
	v_lshrrev_b32_e32 v6, 16, v1
	v_cmp_eq_f32_e64 s1, s3, v5
	s_delay_alu instid0(VALU_DEP_2) | instskip(NEXT) | instid1(VALU_DEP_2)
	v_and_b32_e32 v6, 0xffffff00, v6
	v_cndmask_b32_e64 v7, 0, 1, s1
	v_cmp_neq_f32_e64 s1, s3, v5
	s_delay_alu instid0(VALU_DEP_1) | instskip(NEXT) | instid1(VALU_DEP_1)
	v_cndmask_b32_e64 v5, 0, 1, s1
	v_cndmask_b32_e64 v5, v5, v7, s0
	s_delay_alu instid0(VALU_DEP_1) | instskip(NEXT) | instid1(VALU_DEP_1)
	v_bitop3_b16 v5, v5, v6, 1 bitop3:0xec
	v_lshlrev_b32_e32 v5, 16, v5
	s_delay_alu instid0(VALU_DEP_1)
	v_and_or_b32 v1, 0xffff, v1, v5
.LBB320_49:
	s_or_b32 exec_lo, exec_lo, s6
	v_or_b32_e32 v5, 0x700, v0
	s_mov_b32 s6, exec_lo
	s_delay_alu instid0(VALU_DEP_1)
	v_cmpx_gt_i32_e64 s8, v5
	s_cbranch_execz .LBB320_51
; %bb.50:
	v_and_b32_e32 v5, 0xff, v18
	s_delay_alu instid0(VALU_DEP_1) | instskip(SKIP_1) | instid1(VALU_DEP_1)
	v_lshlrev_b32_e32 v6, 23, v5
	v_cmp_ne_u16_e64 s1, 0xff, v5
	v_cndmask_b32_e64 v6, 0x7f800001, v6, s1
	v_cmp_ne_u16_e64 s1, 0, v5
	s_delay_alu instid0(VALU_DEP_1) | instskip(NEXT) | instid1(VALU_DEP_1)
	v_cndmask_b32_e64 v5, 0x400000, v6, s1
	v_cmp_eq_f32_e64 s1, s3, v5
	s_delay_alu instid0(VALU_DEP_1) | instskip(SKIP_1) | instid1(VALU_DEP_1)
	v_cndmask_b32_e64 v6, 0, 1, s1
	v_cmp_neq_f32_e64 s1, s3, v5
	v_cndmask_b32_e64 v5, 0, 1, s1
	s_delay_alu instid0(VALU_DEP_1) | instskip(NEXT) | instid1(VALU_DEP_1)
	v_dual_cndmask_b32 v5, v5, v6, s0 :: v_dual_lshrrev_b32 v6, 16, v1
	v_and_b32_e32 v5, 1, v5
	s_delay_alu instid0(VALU_DEP_1) | instskip(NEXT) | instid1(VALU_DEP_1)
	v_lshlrev_b16 v5, 8, v5
	v_bitop3_b16 v5, v6, v5, 0xff bitop3:0xec
	s_delay_alu instid0(VALU_DEP_1) | instskip(NEXT) | instid1(VALU_DEP_1)
	v_lshlrev_b32_e32 v5, 16, v5
	v_and_or_b32 v1, 0xffff, v1, v5
.LBB320_51:
	s_or_b32 exec_lo, exec_lo, s6
	v_or_b32_e32 v5, 0x800, v0
	s_mov_b32 s6, exec_lo
	s_delay_alu instid0(VALU_DEP_1)
	v_cmpx_gt_i32_e64 s8, v5
	s_cbranch_execz .LBB320_53
; %bb.52:
	v_and_b32_e32 v5, 0xff, v17
	v_and_b32_e32 v7, 0xffffff00, v4
	s_delay_alu instid0(VALU_DEP_2) | instskip(SKIP_1) | instid1(VALU_DEP_1)
	v_lshlrev_b32_e32 v6, 23, v5
	v_cmp_ne_u16_e64 s1, 0xff, v5
	v_cndmask_b32_e64 v6, 0x7f800001, v6, s1
	v_cmp_ne_u16_e64 s1, 0, v5
	s_delay_alu instid0(VALU_DEP_1) | instskip(NEXT) | instid1(VALU_DEP_1)
	v_cndmask_b32_e64 v5, 0x400000, v6, s1
	v_cmp_eq_f32_e64 s1, s3, v5
	s_delay_alu instid0(VALU_DEP_1) | instskip(SKIP_1) | instid1(VALU_DEP_1)
	v_cndmask_b32_e64 v6, 0, 1, s1
	v_cmp_neq_f32_e64 s1, s3, v5
	v_cndmask_b32_e64 v5, 0, 1, s1
	s_delay_alu instid0(VALU_DEP_1) | instskip(NEXT) | instid1(VALU_DEP_1)
	v_cndmask_b32_e64 v5, v5, v6, s0
	v_bitop3_b16 v5, v5, v7, 1 bitop3:0xec
	s_delay_alu instid0(VALU_DEP_1) | instskip(NEXT) | instid1(VALU_DEP_1)
	v_and_b32_e32 v5, 0xffff, v5
	v_and_or_b32 v4, 0xffff0000, v4, v5
.LBB320_53:
	s_or_b32 exec_lo, exec_lo, s6
	v_or_b32_e32 v5, 0x900, v0
	s_mov_b32 s6, exec_lo
	s_delay_alu instid0(VALU_DEP_1)
	v_cmpx_gt_i32_e64 s8, v5
	s_cbranch_execz .LBB320_55
; %bb.54:
	v_and_b32_e32 v5, 0xff, v16
	s_delay_alu instid0(VALU_DEP_1) | instskip(SKIP_1) | instid1(VALU_DEP_1)
	v_lshlrev_b32_e32 v6, 23, v5
	v_cmp_ne_u16_e64 s1, 0xff, v5
	v_cndmask_b32_e64 v6, 0x7f800001, v6, s1
	v_cmp_ne_u16_e64 s1, 0, v5
	s_delay_alu instid0(VALU_DEP_1) | instskip(NEXT) | instid1(VALU_DEP_1)
	v_cndmask_b32_e64 v5, 0x400000, v6, s1
	v_cmp_eq_f32_e64 s1, s3, v5
	s_delay_alu instid0(VALU_DEP_1) | instskip(SKIP_1) | instid1(VALU_DEP_1)
	v_cndmask_b32_e64 v6, 0, 1, s1
	v_cmp_neq_f32_e64 s1, s3, v5
	v_cndmask_b32_e64 v5, 0, 1, s1
	s_delay_alu instid0(VALU_DEP_1) | instskip(NEXT) | instid1(VALU_DEP_1)
	v_cndmask_b32_e64 v5, v5, v6, s0
	v_and_b32_e32 v5, 1, v5
	s_delay_alu instid0(VALU_DEP_1) | instskip(NEXT) | instid1(VALU_DEP_1)
	v_lshlrev_b16 v5, 8, v5
	v_bitop3_b16 v5, v4, v5, 0xff bitop3:0xec
	s_delay_alu instid0(VALU_DEP_1) | instskip(NEXT) | instid1(VALU_DEP_1)
	v_and_b32_e32 v5, 0xffff, v5
	v_and_or_b32 v4, 0xffff0000, v4, v5
.LBB320_55:
	s_or_b32 exec_lo, exec_lo, s6
	v_or_b32_e32 v5, 0xa00, v0
	s_mov_b32 s6, exec_lo
	s_delay_alu instid0(VALU_DEP_1)
	v_cmpx_gt_i32_e64 s8, v5
	s_cbranch_execz .LBB320_57
; %bb.56:
	v_and_b32_e32 v5, 0xff, v15
	s_delay_alu instid0(VALU_DEP_1) | instskip(SKIP_1) | instid1(VALU_DEP_1)
	v_lshlrev_b32_e32 v6, 23, v5
	v_cmp_ne_u16_e64 s1, 0xff, v5
	v_cndmask_b32_e64 v6, 0x7f800001, v6, s1
	v_cmp_ne_u16_e64 s1, 0, v5
	s_delay_alu instid0(VALU_DEP_1) | instskip(SKIP_1) | instid1(VALU_DEP_2)
	v_cndmask_b32_e64 v5, 0x400000, v6, s1
	v_lshrrev_b32_e32 v6, 16, v4
	v_cmp_eq_f32_e64 s1, s3, v5
	s_delay_alu instid0(VALU_DEP_2) | instskip(NEXT) | instid1(VALU_DEP_2)
	v_and_b32_e32 v6, 0xffffff00, v6
	v_cndmask_b32_e64 v7, 0, 1, s1
	v_cmp_neq_f32_e64 s1, s3, v5
	s_delay_alu instid0(VALU_DEP_1) | instskip(NEXT) | instid1(VALU_DEP_1)
	v_cndmask_b32_e64 v5, 0, 1, s1
	v_cndmask_b32_e64 v5, v5, v7, s0
	s_delay_alu instid0(VALU_DEP_1) | instskip(NEXT) | instid1(VALU_DEP_1)
	v_bitop3_b16 v5, v5, v6, 1 bitop3:0xec
	v_lshlrev_b32_e32 v5, 16, v5
	s_delay_alu instid0(VALU_DEP_1)
	v_and_or_b32 v4, 0xffff, v4, v5
.LBB320_57:
	s_or_b32 exec_lo, exec_lo, s6
	v_or_b32_e32 v5, 0xb00, v0
	s_mov_b32 s6, exec_lo
	s_delay_alu instid0(VALU_DEP_1)
	v_cmpx_gt_i32_e64 s8, v5
	s_cbranch_execz .LBB320_59
; %bb.58:
	v_and_b32_e32 v5, 0xff, v14
	s_delay_alu instid0(VALU_DEP_1) | instskip(SKIP_1) | instid1(VALU_DEP_1)
	v_lshlrev_b32_e32 v6, 23, v5
	v_cmp_ne_u16_e64 s1, 0xff, v5
	v_cndmask_b32_e64 v6, 0x7f800001, v6, s1
	v_cmp_ne_u16_e64 s1, 0, v5
	s_delay_alu instid0(VALU_DEP_1) | instskip(NEXT) | instid1(VALU_DEP_1)
	v_cndmask_b32_e64 v5, 0x400000, v6, s1
	v_cmp_eq_f32_e64 s1, s3, v5
	s_delay_alu instid0(VALU_DEP_1) | instskip(SKIP_1) | instid1(VALU_DEP_1)
	v_cndmask_b32_e64 v6, 0, 1, s1
	v_cmp_neq_f32_e64 s1, s3, v5
	v_cndmask_b32_e64 v5, 0, 1, s1
	s_delay_alu instid0(VALU_DEP_1) | instskip(NEXT) | instid1(VALU_DEP_1)
	v_dual_cndmask_b32 v5, v5, v6, s0 :: v_dual_lshrrev_b32 v6, 16, v4
	v_and_b32_e32 v5, 1, v5
	s_delay_alu instid0(VALU_DEP_1) | instskip(NEXT) | instid1(VALU_DEP_1)
	v_lshlrev_b16 v5, 8, v5
	v_bitop3_b16 v5, v6, v5, 0xff bitop3:0xec
	s_delay_alu instid0(VALU_DEP_1) | instskip(NEXT) | instid1(VALU_DEP_1)
	v_lshlrev_b32_e32 v5, 16, v5
	v_and_or_b32 v4, 0xffff, v4, v5
.LBB320_59:
	s_or_b32 exec_lo, exec_lo, s6
	v_or_b32_e32 v5, 0xc00, v0
	s_mov_b32 s6, exec_lo
	s_delay_alu instid0(VALU_DEP_1)
	v_cmpx_gt_i32_e64 s8, v5
	s_cbranch_execz .LBB320_61
; %bb.60:
	v_and_b32_e32 v5, 0xff, v13
	v_and_b32_e32 v7, 0xffffff00, v3
	s_delay_alu instid0(VALU_DEP_2) | instskip(SKIP_1) | instid1(VALU_DEP_1)
	v_lshlrev_b32_e32 v6, 23, v5
	v_cmp_ne_u16_e64 s1, 0xff, v5
	v_cndmask_b32_e64 v6, 0x7f800001, v6, s1
	v_cmp_ne_u16_e64 s1, 0, v5
	s_delay_alu instid0(VALU_DEP_1) | instskip(NEXT) | instid1(VALU_DEP_1)
	v_cndmask_b32_e64 v5, 0x400000, v6, s1
	v_cmp_eq_f32_e64 s1, s3, v5
	s_delay_alu instid0(VALU_DEP_1) | instskip(SKIP_1) | instid1(VALU_DEP_1)
	v_cndmask_b32_e64 v6, 0, 1, s1
	v_cmp_neq_f32_e64 s1, s3, v5
	v_cndmask_b32_e64 v5, 0, 1, s1
	s_delay_alu instid0(VALU_DEP_1) | instskip(NEXT) | instid1(VALU_DEP_1)
	v_cndmask_b32_e64 v5, v5, v6, s0
	v_bitop3_b16 v5, v5, v7, 1 bitop3:0xec
	s_delay_alu instid0(VALU_DEP_1) | instskip(NEXT) | instid1(VALU_DEP_1)
	v_and_b32_e32 v5, 0xffff, v5
	v_and_or_b32 v3, 0xffff0000, v3, v5
.LBB320_61:
	s_or_b32 exec_lo, exec_lo, s6
	v_or_b32_e32 v5, 0xd00, v0
	s_mov_b32 s6, exec_lo
	s_delay_alu instid0(VALU_DEP_1)
	v_cmpx_gt_i32_e64 s8, v5
	s_cbranch_execz .LBB320_63
; %bb.62:
	v_and_b32_e32 v5, 0xff, v12
	s_delay_alu instid0(VALU_DEP_1) | instskip(SKIP_1) | instid1(VALU_DEP_1)
	v_lshlrev_b32_e32 v6, 23, v5
	v_cmp_ne_u16_e64 s1, 0xff, v5
	v_cndmask_b32_e64 v6, 0x7f800001, v6, s1
	v_cmp_ne_u16_e64 s1, 0, v5
	s_delay_alu instid0(VALU_DEP_1) | instskip(NEXT) | instid1(VALU_DEP_1)
	v_cndmask_b32_e64 v5, 0x400000, v6, s1
	v_cmp_eq_f32_e64 s1, s3, v5
	s_delay_alu instid0(VALU_DEP_1) | instskip(SKIP_1) | instid1(VALU_DEP_1)
	v_cndmask_b32_e64 v6, 0, 1, s1
	v_cmp_neq_f32_e64 s1, s3, v5
	v_cndmask_b32_e64 v5, 0, 1, s1
	s_delay_alu instid0(VALU_DEP_1) | instskip(NEXT) | instid1(VALU_DEP_1)
	v_cndmask_b32_e64 v5, v5, v6, s0
	v_and_b32_e32 v5, 1, v5
	s_delay_alu instid0(VALU_DEP_1) | instskip(NEXT) | instid1(VALU_DEP_1)
	v_lshlrev_b16 v5, 8, v5
	v_bitop3_b16 v5, v3, v5, 0xff bitop3:0xec
	s_delay_alu instid0(VALU_DEP_1) | instskip(NEXT) | instid1(VALU_DEP_1)
	v_and_b32_e32 v5, 0xffff, v5
	v_and_or_b32 v3, 0xffff0000, v3, v5
.LBB320_63:
	s_or_b32 exec_lo, exec_lo, s6
	v_or_b32_e32 v5, 0xe00, v0
	s_mov_b32 s6, exec_lo
	s_delay_alu instid0(VALU_DEP_1)
	v_cmpx_gt_i32_e64 s8, v5
	s_cbranch_execz .LBB320_65
; %bb.64:
	v_and_b32_e32 v5, 0xff, v11
	s_delay_alu instid0(VALU_DEP_1) | instskip(SKIP_1) | instid1(VALU_DEP_1)
	v_lshlrev_b32_e32 v6, 23, v5
	v_cmp_ne_u16_e64 s1, 0xff, v5
	v_cndmask_b32_e64 v6, 0x7f800001, v6, s1
	v_cmp_ne_u16_e64 s1, 0, v5
	s_delay_alu instid0(VALU_DEP_1) | instskip(SKIP_1) | instid1(VALU_DEP_2)
	v_cndmask_b32_e64 v5, 0x400000, v6, s1
	v_lshrrev_b32_e32 v6, 16, v3
	v_cmp_eq_f32_e64 s1, s3, v5
	s_delay_alu instid0(VALU_DEP_2) | instskip(NEXT) | instid1(VALU_DEP_2)
	v_and_b32_e32 v6, 0xffffff00, v6
	v_cndmask_b32_e64 v7, 0, 1, s1
	v_cmp_neq_f32_e64 s1, s3, v5
	s_delay_alu instid0(VALU_DEP_1) | instskip(NEXT) | instid1(VALU_DEP_1)
	v_cndmask_b32_e64 v5, 0, 1, s1
	v_cndmask_b32_e64 v5, v5, v7, s0
	s_delay_alu instid0(VALU_DEP_1) | instskip(NEXT) | instid1(VALU_DEP_1)
	v_bitop3_b16 v5, v5, v6, 1 bitop3:0xec
	v_lshlrev_b32_e32 v5, 16, v5
	s_delay_alu instid0(VALU_DEP_1)
	v_and_or_b32 v3, 0xffff, v3, v5
.LBB320_65:
	s_or_b32 exec_lo, exec_lo, s6
	v_or_b32_e32 v5, 0xf00, v0
	s_mov_b32 s6, exec_lo
	s_delay_alu instid0(VALU_DEP_1)
	v_cmpx_gt_i32_e64 s8, v5
	s_cbranch_execnz .LBB320_84
; %bb.66:
	s_or_b32 exec_lo, exec_lo, s6
	s_and_saveexec_b32 s0, vcc_lo
	s_delay_alu instid0(SALU_CYCLE_1)
	s_xor_b32 s0, exec_lo, s0
	s_cbranch_execnz .LBB320_85
.LBB320_67:
	s_or_b32 exec_lo, exec_lo, s0
	s_delay_alu instid0(SALU_CYCLE_1)
	s_mov_b32 s0, exec_lo
	v_cmpx_gt_i32_e64 s8, v0
	s_cbranch_execnz .LBB320_86
.LBB320_68:
	s_or_b32 exec_lo, exec_lo, s0
	s_delay_alu instid0(SALU_CYCLE_1)
	s_mov_b32 s0, exec_lo
	v_cmpx_gt_i32_e64 s8, v0
	s_cbranch_execnz .LBB320_87
.LBB320_69:
	s_or_b32 exec_lo, exec_lo, s0
	s_delay_alu instid0(SALU_CYCLE_1)
	s_mov_b32 s0, exec_lo
	v_cmpx_gt_i32_e64 s8, v0
	s_cbranch_execnz .LBB320_88
.LBB320_70:
	s_or_b32 exec_lo, exec_lo, s0
	s_delay_alu instid0(SALU_CYCLE_1)
	s_mov_b32 s0, exec_lo
	v_cmpx_gt_i32_e64 s8, v0
	s_cbranch_execnz .LBB320_89
.LBB320_71:
	s_or_b32 exec_lo, exec_lo, s0
	s_delay_alu instid0(SALU_CYCLE_1)
	s_mov_b32 s0, exec_lo
	v_cmpx_gt_i32_e64 s8, v0
	s_cbranch_execnz .LBB320_90
.LBB320_72:
	s_or_b32 exec_lo, exec_lo, s0
	s_delay_alu instid0(SALU_CYCLE_1)
	s_mov_b32 s0, exec_lo
	v_cmpx_gt_i32_e64 s8, v0
	s_cbranch_execnz .LBB320_91
.LBB320_73:
	s_or_b32 exec_lo, exec_lo, s0
	s_delay_alu instid0(SALU_CYCLE_1)
	s_mov_b32 s0, exec_lo
	v_cmpx_gt_i32_e64 s8, v0
	s_cbranch_execnz .LBB320_92
.LBB320_74:
	s_or_b32 exec_lo, exec_lo, s0
	s_delay_alu instid0(SALU_CYCLE_1)
	s_mov_b32 s0, exec_lo
	v_cmpx_gt_i32_e64 s8, v0
	s_cbranch_execnz .LBB320_93
.LBB320_75:
	s_or_b32 exec_lo, exec_lo, s0
	s_delay_alu instid0(SALU_CYCLE_1)
	s_mov_b32 s0, exec_lo
	v_cmpx_gt_i32_e64 s8, v0
	s_cbranch_execnz .LBB320_94
.LBB320_76:
	s_or_b32 exec_lo, exec_lo, s0
	s_delay_alu instid0(SALU_CYCLE_1)
	s_mov_b32 s0, exec_lo
	v_cmpx_gt_i32_e64 s8, v0
	s_cbranch_execnz .LBB320_95
.LBB320_77:
	s_or_b32 exec_lo, exec_lo, s0
	s_delay_alu instid0(SALU_CYCLE_1)
	s_mov_b32 s0, exec_lo
	v_cmpx_gt_i32_e64 s8, v0
	s_cbranch_execnz .LBB320_96
.LBB320_78:
	s_or_b32 exec_lo, exec_lo, s0
	s_delay_alu instid0(SALU_CYCLE_1)
	s_mov_b32 s0, exec_lo
	v_cmpx_gt_i32_e64 s8, v0
	s_cbranch_execnz .LBB320_97
.LBB320_79:
	s_or_b32 exec_lo, exec_lo, s0
	s_delay_alu instid0(SALU_CYCLE_1)
	s_mov_b32 s0, exec_lo
	v_cmpx_gt_i32_e64 s8, v0
	s_cbranch_execnz .LBB320_98
.LBB320_80:
	s_or_b32 exec_lo, exec_lo, s0
	s_delay_alu instid0(SALU_CYCLE_1)
	s_mov_b32 s0, exec_lo
	v_cmpx_gt_i32_e64 s8, v0
	s_cbranch_execnz .LBB320_99
.LBB320_81:
	s_or_b32 exec_lo, exec_lo, s0
	s_delay_alu instid0(SALU_CYCLE_1)
	s_mov_b32 s0, exec_lo
	v_cmpx_gt_i32_e64 s8, v0
	s_cbranch_execz .LBB320_83
.LBB320_82:
	v_dual_lshrrev_b32 v1, 24, v3 :: v_dual_add_nc_u32 v0, s2, v0
	global_store_b8 v0, v1, s[4:5]
.LBB320_83:
	s_endpgm
.LBB320_84:
	v_and_b32_e32 v5, 0xff, v10
	s_delay_alu instid0(VALU_DEP_1) | instskip(SKIP_1) | instid1(VALU_DEP_1)
	v_lshlrev_b32_e32 v6, 23, v5
	v_cmp_ne_u16_e64 s1, 0xff, v5
	v_cndmask_b32_e64 v6, 0x7f800001, v6, s1
	v_cmp_ne_u16_e64 s1, 0, v5
	s_delay_alu instid0(VALU_DEP_1) | instskip(NEXT) | instid1(VALU_DEP_1)
	v_cndmask_b32_e64 v5, 0x400000, v6, s1
	v_cmp_eq_f32_e64 s1, s3, v5
	s_delay_alu instid0(VALU_DEP_1) | instskip(SKIP_1) | instid1(VALU_DEP_1)
	v_cndmask_b32_e64 v6, 0, 1, s1
	v_cmp_neq_f32_e64 s1, s3, v5
	v_cndmask_b32_e64 v5, 0, 1, s1
	s_delay_alu instid0(VALU_DEP_1) | instskip(NEXT) | instid1(VALU_DEP_1)
	v_dual_cndmask_b32 v5, v5, v6, s0 :: v_dual_lshrrev_b32 v6, 16, v3
	v_and_b32_e32 v5, 1, v5
	s_delay_alu instid0(VALU_DEP_1) | instskip(NEXT) | instid1(VALU_DEP_1)
	v_lshlrev_b16 v5, 8, v5
	v_bitop3_b16 v5, v6, v5, 0xff bitop3:0xec
	s_delay_alu instid0(VALU_DEP_1) | instskip(NEXT) | instid1(VALU_DEP_1)
	v_lshlrev_b32_e32 v5, 16, v5
	v_and_or_b32 v3, 0xffff, v3, v5
	s_or_b32 exec_lo, exec_lo, s6
	s_and_saveexec_b32 s0, vcc_lo
	s_delay_alu instid0(SALU_CYCLE_1)
	s_xor_b32 s0, exec_lo, s0
	s_cbranch_execz .LBB320_67
.LBB320_85:
	v_mov_b32_e32 v0, v9
	global_store_b8 v8, v2, s[4:5]
	s_wait_xcnt 0x0
	s_or_b32 exec_lo, exec_lo, s0
	s_delay_alu instid0(SALU_CYCLE_1)
	s_mov_b32 s0, exec_lo
	v_cmpx_gt_i32_e64 s8, v0
	s_cbranch_execz .LBB320_68
.LBB320_86:
	v_dual_lshrrev_b32 v5, 8, v2 :: v_dual_add_nc_u32 v6, s2, v0
	v_add_nc_u32_e32 v0, 0x100, v0
	global_store_b8 v6, v5, s[4:5]
	s_wait_xcnt 0x0
	s_or_b32 exec_lo, exec_lo, s0
	s_delay_alu instid0(SALU_CYCLE_1)
	s_mov_b32 s0, exec_lo
	v_cmpx_gt_i32_e64 s8, v0
	s_cbranch_execz .LBB320_69
.LBB320_87:
	v_add_nc_u32_e32 v5, s2, v0
	v_add_nc_u32_e32 v0, 0x100, v0
	global_store_d16_hi_b8 v5, v2, s[4:5]
	s_wait_xcnt 0x0
	s_or_b32 exec_lo, exec_lo, s0
	s_delay_alu instid0(SALU_CYCLE_1)
	s_mov_b32 s0, exec_lo
	v_cmpx_gt_i32_e64 s8, v0
	s_cbranch_execz .LBB320_70
.LBB320_88:
	v_dual_lshrrev_b32 v2, 24, v2 :: v_dual_add_nc_u32 v5, s2, v0
	v_add_nc_u32_e32 v0, 0x100, v0
	global_store_b8 v5, v2, s[4:5]
	s_wait_xcnt 0x0
	s_or_b32 exec_lo, exec_lo, s0
	s_delay_alu instid0(SALU_CYCLE_1)
	s_mov_b32 s0, exec_lo
	v_cmpx_gt_i32_e64 s8, v0
	s_cbranch_execz .LBB320_71
.LBB320_89:
	v_add_nc_u32_e32 v2, s2, v0
	v_add_nc_u32_e32 v0, 0x100, v0
	global_store_b8 v2, v1, s[4:5]
	s_wait_xcnt 0x0
	s_or_b32 exec_lo, exec_lo, s0
	s_delay_alu instid0(SALU_CYCLE_1)
	s_mov_b32 s0, exec_lo
	v_cmpx_gt_i32_e64 s8, v0
	s_cbranch_execz .LBB320_72
.LBB320_90:
	v_dual_lshrrev_b32 v2, 8, v1 :: v_dual_add_nc_u32 v5, s2, v0
	v_add_nc_u32_e32 v0, 0x100, v0
	global_store_b8 v5, v2, s[4:5]
	s_wait_xcnt 0x0
	s_or_b32 exec_lo, exec_lo, s0
	s_delay_alu instid0(SALU_CYCLE_1)
	s_mov_b32 s0, exec_lo
	v_cmpx_gt_i32_e64 s8, v0
	s_cbranch_execz .LBB320_73
.LBB320_91:
	v_add_nc_u32_e32 v2, s2, v0
	v_add_nc_u32_e32 v0, 0x100, v0
	global_store_d16_hi_b8 v2, v1, s[4:5]
	s_wait_xcnt 0x0
	s_or_b32 exec_lo, exec_lo, s0
	s_delay_alu instid0(SALU_CYCLE_1)
	s_mov_b32 s0, exec_lo
	v_cmpx_gt_i32_e64 s8, v0
	s_cbranch_execz .LBB320_74
.LBB320_92:
	v_dual_lshrrev_b32 v1, 24, v1 :: v_dual_add_nc_u32 v2, s2, v0
	v_add_nc_u32_e32 v0, 0x100, v0
	global_store_b8 v2, v1, s[4:5]
	s_wait_xcnt 0x0
	s_or_b32 exec_lo, exec_lo, s0
	s_delay_alu instid0(SALU_CYCLE_1)
	s_mov_b32 s0, exec_lo
	v_cmpx_gt_i32_e64 s8, v0
	s_cbranch_execz .LBB320_75
.LBB320_93:
	v_add_nc_u32_e32 v1, s2, v0
	v_add_nc_u32_e32 v0, 0x100, v0
	global_store_b8 v1, v4, s[4:5]
	s_wait_xcnt 0x0
	s_or_b32 exec_lo, exec_lo, s0
	s_delay_alu instid0(SALU_CYCLE_1)
	s_mov_b32 s0, exec_lo
	v_cmpx_gt_i32_e64 s8, v0
	s_cbranch_execz .LBB320_76
.LBB320_94:
	v_lshrrev_b32_e32 v1, 8, v4
	v_add_nc_u32_e32 v2, s2, v0
	v_add_nc_u32_e32 v0, 0x100, v0
	global_store_b8 v2, v1, s[4:5]
	s_wait_xcnt 0x0
	s_or_b32 exec_lo, exec_lo, s0
	s_delay_alu instid0(SALU_CYCLE_1)
	s_mov_b32 s0, exec_lo
	v_cmpx_gt_i32_e64 s8, v0
	s_cbranch_execz .LBB320_77
.LBB320_95:
	v_add_nc_u32_e32 v1, s2, v0
	v_add_nc_u32_e32 v0, 0x100, v0
	global_store_d16_hi_b8 v1, v4, s[4:5]
	s_wait_xcnt 0x0
	s_or_b32 exec_lo, exec_lo, s0
	s_delay_alu instid0(SALU_CYCLE_1)
	s_mov_b32 s0, exec_lo
	v_cmpx_gt_i32_e64 s8, v0
	s_cbranch_execz .LBB320_78
.LBB320_96:
	v_lshrrev_b32_e32 v1, 24, v4
	v_add_nc_u32_e32 v2, s2, v0
	v_add_nc_u32_e32 v0, 0x100, v0
	global_store_b8 v2, v1, s[4:5]
	s_wait_xcnt 0x0
	s_or_b32 exec_lo, exec_lo, s0
	s_delay_alu instid0(SALU_CYCLE_1)
	s_mov_b32 s0, exec_lo
	v_cmpx_gt_i32_e64 s8, v0
	s_cbranch_execz .LBB320_79
.LBB320_97:
	v_add_nc_u32_e32 v1, s2, v0
	v_add_nc_u32_e32 v0, 0x100, v0
	global_store_b8 v1, v3, s[4:5]
	s_wait_xcnt 0x0
	s_or_b32 exec_lo, exec_lo, s0
	s_delay_alu instid0(SALU_CYCLE_1)
	s_mov_b32 s0, exec_lo
	v_cmpx_gt_i32_e64 s8, v0
	s_cbranch_execz .LBB320_80
.LBB320_98:
	v_dual_lshrrev_b32 v1, 8, v3 :: v_dual_add_nc_u32 v2, s2, v0
	v_add_nc_u32_e32 v0, 0x100, v0
	global_store_b8 v2, v1, s[4:5]
	s_wait_xcnt 0x0
	s_or_b32 exec_lo, exec_lo, s0
	s_delay_alu instid0(SALU_CYCLE_1)
	s_mov_b32 s0, exec_lo
	v_cmpx_gt_i32_e64 s8, v0
	s_cbranch_execz .LBB320_81
.LBB320_99:
	v_add_nc_u32_e32 v1, s2, v0
	v_add_nc_u32_e32 v0, 0x100, v0
	global_store_d16_hi_b8 v1, v3, s[4:5]
	s_wait_xcnt 0x0
	s_or_b32 exec_lo, exec_lo, s0
	s_delay_alu instid0(SALU_CYCLE_1)
	s_mov_b32 s0, exec_lo
	v_cmpx_gt_i32_e64 s8, v0
	s_cbranch_execnz .LBB320_82
	s_branch .LBB320_83
	.section	.rodata,"a",@progbits
	.p2align	6, 0x0
	.amdhsa_kernel _ZN2at6native29vectorized_elementwise_kernelILi2ENS0_13AUnaryFunctorIN3c1014Float8_e8m0fnuES4_bNS0_12_GLOBAL__N_116CompareEqFunctorIS4_EEEESt5arrayIPcLm2EEEEviT0_T1_
		.amdhsa_group_segment_fixed_size 0
		.amdhsa_private_segment_fixed_size 0
		.amdhsa_kernarg_size 32
		.amdhsa_user_sgpr_count 2
		.amdhsa_user_sgpr_dispatch_ptr 0
		.amdhsa_user_sgpr_queue_ptr 0
		.amdhsa_user_sgpr_kernarg_segment_ptr 1
		.amdhsa_user_sgpr_dispatch_id 0
		.amdhsa_user_sgpr_kernarg_preload_length 0
		.amdhsa_user_sgpr_kernarg_preload_offset 0
		.amdhsa_user_sgpr_private_segment_size 0
		.amdhsa_wavefront_size32 1
		.amdhsa_uses_dynamic_stack 0
		.amdhsa_enable_private_segment 0
		.amdhsa_system_sgpr_workgroup_id_x 1
		.amdhsa_system_sgpr_workgroup_id_y 0
		.amdhsa_system_sgpr_workgroup_id_z 0
		.amdhsa_system_sgpr_workgroup_info 0
		.amdhsa_system_vgpr_workitem_id 0
		.amdhsa_next_free_vgpr 33
		.amdhsa_next_free_sgpr 23
		.amdhsa_named_barrier_count 0
		.amdhsa_reserve_vcc 1
		.amdhsa_float_round_mode_32 0
		.amdhsa_float_round_mode_16_64 0
		.amdhsa_float_denorm_mode_32 3
		.amdhsa_float_denorm_mode_16_64 3
		.amdhsa_fp16_overflow 0
		.amdhsa_memory_ordered 1
		.amdhsa_forward_progress 1
		.amdhsa_inst_pref_size 62
		.amdhsa_round_robin_scheduling 0
		.amdhsa_exception_fp_ieee_invalid_op 0
		.amdhsa_exception_fp_denorm_src 0
		.amdhsa_exception_fp_ieee_div_zero 0
		.amdhsa_exception_fp_ieee_overflow 0
		.amdhsa_exception_fp_ieee_underflow 0
		.amdhsa_exception_fp_ieee_inexact 0
		.amdhsa_exception_int_div_zero 0
	.end_amdhsa_kernel
	.section	.text._ZN2at6native29vectorized_elementwise_kernelILi2ENS0_13AUnaryFunctorIN3c1014Float8_e8m0fnuES4_bNS0_12_GLOBAL__N_116CompareEqFunctorIS4_EEEESt5arrayIPcLm2EEEEviT0_T1_,"axG",@progbits,_ZN2at6native29vectorized_elementwise_kernelILi2ENS0_13AUnaryFunctorIN3c1014Float8_e8m0fnuES4_bNS0_12_GLOBAL__N_116CompareEqFunctorIS4_EEEESt5arrayIPcLm2EEEEviT0_T1_,comdat
.Lfunc_end320:
	.size	_ZN2at6native29vectorized_elementwise_kernelILi2ENS0_13AUnaryFunctorIN3c1014Float8_e8m0fnuES4_bNS0_12_GLOBAL__N_116CompareEqFunctorIS4_EEEESt5arrayIPcLm2EEEEviT0_T1_, .Lfunc_end320-_ZN2at6native29vectorized_elementwise_kernelILi2ENS0_13AUnaryFunctorIN3c1014Float8_e8m0fnuES4_bNS0_12_GLOBAL__N_116CompareEqFunctorIS4_EEEESt5arrayIPcLm2EEEEviT0_T1_
                                        ; -- End function
	.set _ZN2at6native29vectorized_elementwise_kernelILi2ENS0_13AUnaryFunctorIN3c1014Float8_e8m0fnuES4_bNS0_12_GLOBAL__N_116CompareEqFunctorIS4_EEEESt5arrayIPcLm2EEEEviT0_T1_.num_vgpr, 33
	.set _ZN2at6native29vectorized_elementwise_kernelILi2ENS0_13AUnaryFunctorIN3c1014Float8_e8m0fnuES4_bNS0_12_GLOBAL__N_116CompareEqFunctorIS4_EEEESt5arrayIPcLm2EEEEviT0_T1_.num_agpr, 0
	.set _ZN2at6native29vectorized_elementwise_kernelILi2ENS0_13AUnaryFunctorIN3c1014Float8_e8m0fnuES4_bNS0_12_GLOBAL__N_116CompareEqFunctorIS4_EEEESt5arrayIPcLm2EEEEviT0_T1_.numbered_sgpr, 23
	.set _ZN2at6native29vectorized_elementwise_kernelILi2ENS0_13AUnaryFunctorIN3c1014Float8_e8m0fnuES4_bNS0_12_GLOBAL__N_116CompareEqFunctorIS4_EEEESt5arrayIPcLm2EEEEviT0_T1_.num_named_barrier, 0
	.set _ZN2at6native29vectorized_elementwise_kernelILi2ENS0_13AUnaryFunctorIN3c1014Float8_e8m0fnuES4_bNS0_12_GLOBAL__N_116CompareEqFunctorIS4_EEEESt5arrayIPcLm2EEEEviT0_T1_.private_seg_size, 0
	.set _ZN2at6native29vectorized_elementwise_kernelILi2ENS0_13AUnaryFunctorIN3c1014Float8_e8m0fnuES4_bNS0_12_GLOBAL__N_116CompareEqFunctorIS4_EEEESt5arrayIPcLm2EEEEviT0_T1_.uses_vcc, 1
	.set _ZN2at6native29vectorized_elementwise_kernelILi2ENS0_13AUnaryFunctorIN3c1014Float8_e8m0fnuES4_bNS0_12_GLOBAL__N_116CompareEqFunctorIS4_EEEESt5arrayIPcLm2EEEEviT0_T1_.uses_flat_scratch, 0
	.set _ZN2at6native29vectorized_elementwise_kernelILi2ENS0_13AUnaryFunctorIN3c1014Float8_e8m0fnuES4_bNS0_12_GLOBAL__N_116CompareEqFunctorIS4_EEEESt5arrayIPcLm2EEEEviT0_T1_.has_dyn_sized_stack, 0
	.set _ZN2at6native29vectorized_elementwise_kernelILi2ENS0_13AUnaryFunctorIN3c1014Float8_e8m0fnuES4_bNS0_12_GLOBAL__N_116CompareEqFunctorIS4_EEEESt5arrayIPcLm2EEEEviT0_T1_.has_recursion, 0
	.set _ZN2at6native29vectorized_elementwise_kernelILi2ENS0_13AUnaryFunctorIN3c1014Float8_e8m0fnuES4_bNS0_12_GLOBAL__N_116CompareEqFunctorIS4_EEEESt5arrayIPcLm2EEEEviT0_T1_.has_indirect_call, 0
	.section	.AMDGPU.csdata,"",@progbits
; Kernel info:
; codeLenInByte = 7924
; TotalNumSgprs: 25
; NumVgprs: 33
; ScratchSize: 0
; MemoryBound: 0
; FloatMode: 240
; IeeeMode: 1
; LDSByteSize: 0 bytes/workgroup (compile time only)
; SGPRBlocks: 0
; VGPRBlocks: 2
; NumSGPRsForWavesPerEU: 25
; NumVGPRsForWavesPerEU: 33
; NamedBarCnt: 0
; Occupancy: 16
; WaveLimiterHint : 1
; COMPUTE_PGM_RSRC2:SCRATCH_EN: 0
; COMPUTE_PGM_RSRC2:USER_SGPR: 2
; COMPUTE_PGM_RSRC2:TRAP_HANDLER: 0
; COMPUTE_PGM_RSRC2:TGID_X_EN: 1
; COMPUTE_PGM_RSRC2:TGID_Y_EN: 0
; COMPUTE_PGM_RSRC2:TGID_Z_EN: 0
; COMPUTE_PGM_RSRC2:TIDIG_COMP_CNT: 0
	.section	.text._ZN2at6native27unrolled_elementwise_kernelINS0_13AUnaryFunctorIN3c1014Float8_e8m0fnuES4_bNS0_12_GLOBAL__N_116CompareEqFunctorIS4_EEEESt5arrayIPcLm2EELi4E23TrivialOffsetCalculatorILi1EjESD_NS0_6memory15LoadWithoutCastENSE_16StoreWithoutCastEEEviT_T0_T2_T3_T4_T5_,"axG",@progbits,_ZN2at6native27unrolled_elementwise_kernelINS0_13AUnaryFunctorIN3c1014Float8_e8m0fnuES4_bNS0_12_GLOBAL__N_116CompareEqFunctorIS4_EEEESt5arrayIPcLm2EELi4E23TrivialOffsetCalculatorILi1EjESD_NS0_6memory15LoadWithoutCastENSE_16StoreWithoutCastEEEviT_T0_T2_T3_T4_T5_,comdat
	.globl	_ZN2at6native27unrolled_elementwise_kernelINS0_13AUnaryFunctorIN3c1014Float8_e8m0fnuES4_bNS0_12_GLOBAL__N_116CompareEqFunctorIS4_EEEESt5arrayIPcLm2EELi4E23TrivialOffsetCalculatorILi1EjESD_NS0_6memory15LoadWithoutCastENSE_16StoreWithoutCastEEEviT_T0_T2_T3_T4_T5_ ; -- Begin function _ZN2at6native27unrolled_elementwise_kernelINS0_13AUnaryFunctorIN3c1014Float8_e8m0fnuES4_bNS0_12_GLOBAL__N_116CompareEqFunctorIS4_EEEESt5arrayIPcLm2EELi4E23TrivialOffsetCalculatorILi1EjESD_NS0_6memory15LoadWithoutCastENSE_16StoreWithoutCastEEEviT_T0_T2_T3_T4_T5_
	.p2align	8
	.type	_ZN2at6native27unrolled_elementwise_kernelINS0_13AUnaryFunctorIN3c1014Float8_e8m0fnuES4_bNS0_12_GLOBAL__N_116CompareEqFunctorIS4_EEEESt5arrayIPcLm2EELi4E23TrivialOffsetCalculatorILi1EjESD_NS0_6memory15LoadWithoutCastENSE_16StoreWithoutCastEEEviT_T0_T2_T3_T4_T5_,@function
_ZN2at6native27unrolled_elementwise_kernelINS0_13AUnaryFunctorIN3c1014Float8_e8m0fnuES4_bNS0_12_GLOBAL__N_116CompareEqFunctorIS4_EEEESt5arrayIPcLm2EELi4E23TrivialOffsetCalculatorILi1EjESD_NS0_6memory15LoadWithoutCastENSE_16StoreWithoutCastEEEviT_T0_T2_T3_T4_T5_: ; @_ZN2at6native27unrolled_elementwise_kernelINS0_13AUnaryFunctorIN3c1014Float8_e8m0fnuES4_bNS0_12_GLOBAL__N_116CompareEqFunctorIS4_EEEESt5arrayIPcLm2EELi4E23TrivialOffsetCalculatorILi1EjESD_NS0_6memory15LoadWithoutCastENSE_16StoreWithoutCastEEEviT_T0_T2_T3_T4_T5_
; %bb.0:
	s_clause 0x1
	s_load_b96 s[8:10], s[0:1], 0x0
	s_load_b128 s[4:7], s[0:1], 0x10
	s_bfe_u32 s3, ttmp6, 0x4000c
	s_and_b32 s2, ttmp6, 15
	s_add_co_i32 s3, s3, 1
	s_getreg_b32 s11, hwreg(HW_REG_IB_STS2, 6, 4)
	s_wait_xcnt 0x0
	s_mul_i32 s0, ttmp9, s3
	v_dual_mov_b32 v1, 0 :: v_dual_mov_b32 v4, 0
	s_add_co_i32 s2, s2, s0
	s_cmp_eq_u32 s11, 0
	v_dual_mov_b32 v5, 0 :: v_dual_mov_b32 v6, 0
	s_cselect_b32 s0, ttmp9, s2
	v_or_b32_e32 v2, 0x100, v0
	s_lshl_b32 s2, s0, 10
	s_delay_alu instid0(SALU_CYCLE_1) | instskip(SKIP_2) | instid1(SALU_CYCLE_1)
	v_dual_mov_b32 v7, 0 :: v_dual_bitop2_b32 v3, s2, v0 bitop3:0x54
	s_wait_kmcnt 0x0
	s_sub_co_i32 s3, s8, s2
	v_cmp_gt_i32_e32 vcc_lo, s3, v0
	s_and_saveexec_b32 s1, vcc_lo
	s_cbranch_execz .LBB321_8
; %bb.1:
	global_load_u8 v7, v3, s[6:7]
	v_or_b32_e32 v8, 0x100, v0
	v_dual_mov_b32 v6, 0 :: v_dual_mov_b32 v5, 0
	v_mov_b32_e32 v4, 0
	s_mov_b32 s8, exec_lo
	s_wait_xcnt 0x0
	v_cmpx_gt_u32_e64 s3, v8
	s_cbranch_execz .LBB321_7
; %bb.2:
	v_dual_mov_b32 v5, 0 :: v_dual_add_nc_u32 v4, s2, v8
	v_or_b32_e32 v8, 0x200, v0
	s_mov_b32 s11, exec_lo
	global_load_u8 v6, v4, s[6:7]
	s_wait_xcnt 0x0
	v_mov_b32_e32 v4, 0
	v_cmpx_gt_u32_e64 s3, v8
	s_cbranch_execz .LBB321_6
; %bb.3:
	v_add_nc_u32_e32 v4, s2, v8
	v_or_b32_e32 v8, 0x300, v0
	s_mov_b32 s12, exec_lo
	global_load_u8 v5, v4, s[6:7]
	s_wait_xcnt 0x0
	v_mov_b32_e32 v4, 0
	v_cmpx_gt_u32_e64 s3, v8
	s_cbranch_execz .LBB321_5
; %bb.4:
	v_add_nc_u32_e32 v4, s2, v8
	global_load_u8 v4, v4, s[6:7]
.LBB321_5:
	s_wait_xcnt 0x0
	s_or_b32 exec_lo, exec_lo, s12
.LBB321_6:
	s_delay_alu instid0(SALU_CYCLE_1)
	s_or_b32 exec_lo, exec_lo, s11
.LBB321_7:
	s_delay_alu instid0(SALU_CYCLE_1)
	s_or_b32 exec_lo, exec_lo, s8
.LBB321_8:
	s_delay_alu instid0(SALU_CYCLE_1)
	s_or_b32 exec_lo, exec_lo, s1
	s_cmp_eq_u32 s9, 0
	s_cselect_b32 s0, -1, 0
	s_lshl_b32 s1, s10, 23
	s_and_b32 s6, s10, 0xff
	s_and_b32 s1, s1, 0x7f800000
	s_cmp_lg_u32 s6, 0xff
	s_cselect_b32 s1, s1, 0x7f800001
	s_cmp_lg_u32 s6, 0
	s_cselect_b32 s6, s1, 0x400000
	s_and_saveexec_b32 s7, vcc_lo
	s_cbranch_execz .LBB321_10
; %bb.9:
	s_wait_loadcnt 0x0
	v_and_b32_e32 v1, 0xff, v7
	s_delay_alu instid0(VALU_DEP_1) | instskip(SKIP_1) | instid1(VALU_DEP_1)
	v_lshlrev_b32_e32 v7, 23, v1
	v_cmp_ne_u16_e64 s1, 0xff, v1
	v_cndmask_b32_e64 v7, 0x7f800001, v7, s1
	v_cmp_ne_u16_e64 s1, 0, v1
	s_delay_alu instid0(VALU_DEP_1) | instskip(NEXT) | instid1(VALU_DEP_1)
	v_cndmask_b32_e64 v1, 0x400000, v7, s1
	v_cmp_eq_f32_e64 s1, s6, v1
	s_delay_alu instid0(VALU_DEP_1) | instskip(SKIP_1) | instid1(VALU_DEP_1)
	v_cndmask_b32_e64 v7, 0, 1, s1
	v_cmp_neq_f32_e64 s1, s6, v1
	v_cndmask_b32_e64 v1, 0, 1, s1
	s_delay_alu instid0(VALU_DEP_1) | instskip(NEXT) | instid1(VALU_DEP_1)
	v_cndmask_b32_e64 v1, v1, v7, s0
	v_and_b32_e32 v1, 1, v1
.LBB321_10:
	s_or_b32 exec_lo, exec_lo, s7
	s_delay_alu instid0(SALU_CYCLE_1)
	s_mov_b32 s7, exec_lo
	v_cmpx_gt_i32_e64 s3, v2
	s_cbranch_execz .LBB321_12
; %bb.11:
	s_wait_loadcnt 0x0
	v_and_b32_e32 v6, 0xff, v6
	s_delay_alu instid0(VALU_DEP_1) | instskip(SKIP_1) | instid1(VALU_DEP_1)
	v_lshlrev_b32_e32 v7, 23, v6
	v_cmp_ne_u16_e64 s1, 0xff, v6
	v_cndmask_b32_e64 v7, 0x7f800001, v7, s1
	v_cmp_ne_u16_e64 s1, 0, v6
	s_delay_alu instid0(VALU_DEP_1) | instskip(NEXT) | instid1(VALU_DEP_1)
	v_cndmask_b32_e64 v6, 0x400000, v7, s1
	v_cmp_eq_f32_e64 s1, s6, v6
	s_delay_alu instid0(VALU_DEP_1) | instskip(SKIP_1) | instid1(VALU_DEP_1)
	v_cndmask_b32_e64 v7, 0, 1, s1
	v_cmp_neq_f32_e64 s1, s6, v6
	v_cndmask_b32_e64 v6, 0, 1, s1
	s_delay_alu instid0(VALU_DEP_1) | instskip(NEXT) | instid1(VALU_DEP_1)
	v_cndmask_b32_e64 v6, v6, v7, s0
	v_and_b32_e32 v6, 1, v6
	s_delay_alu instid0(VALU_DEP_1) | instskip(NEXT) | instid1(VALU_DEP_1)
	v_lshlrev_b16 v6, 8, v6
	v_or_b32_e32 v1, v1, v6
	s_delay_alu instid0(VALU_DEP_1)
	v_and_b32_e32 v1, 0xffff, v1
.LBB321_12:
	s_or_b32 exec_lo, exec_lo, s7
	s_wait_loadcnt 0x0
	v_or_b32_e32 v6, 0x200, v0
	s_mov_b32 s7, exec_lo
	s_delay_alu instid0(VALU_DEP_1)
	v_cmpx_gt_i32_e64 s3, v6
	s_cbranch_execz .LBB321_14
; %bb.13:
	v_and_b32_e32 v5, 0xff, v5
	s_delay_alu instid0(VALU_DEP_1) | instskip(SKIP_1) | instid1(VALU_DEP_1)
	v_lshlrev_b32_e32 v6, 23, v5
	v_cmp_ne_u16_e64 s1, 0xff, v5
	v_cndmask_b32_e64 v6, 0x7f800001, v6, s1
	v_cmp_ne_u16_e64 s1, 0, v5
	s_delay_alu instid0(VALU_DEP_1) | instskip(NEXT) | instid1(VALU_DEP_1)
	v_cndmask_b32_e64 v5, 0x400000, v6, s1
	v_cmp_eq_f32_e64 s1, s6, v5
	s_delay_alu instid0(VALU_DEP_1) | instskip(SKIP_1) | instid1(VALU_DEP_1)
	v_cndmask_b32_e64 v6, 0, 1, s1
	v_cmp_neq_f32_e64 s1, s6, v5
	v_cndmask_b32_e64 v5, 0, 1, s1
	s_delay_alu instid0(VALU_DEP_1) | instskip(NEXT) | instid1(VALU_DEP_1)
	v_cndmask_b32_e64 v5, v5, v6, s0
	v_and_b32_e32 v5, 1, v5
	s_delay_alu instid0(VALU_DEP_1)
	v_lshl_or_b32 v1, v5, 16, v1
.LBB321_14:
	s_or_b32 exec_lo, exec_lo, s7
	v_or_b32_e32 v5, 0x300, v0
	s_mov_b32 s7, exec_lo
	s_delay_alu instid0(VALU_DEP_1)
	v_cmpx_gt_i32_e64 s3, v5
	s_cbranch_execnz .LBB321_20
; %bb.15:
	s_or_b32 exec_lo, exec_lo, s7
	s_and_saveexec_b32 s0, vcc_lo
	s_delay_alu instid0(SALU_CYCLE_1)
	s_xor_b32 s0, exec_lo, s0
	s_cbranch_execnz .LBB321_21
.LBB321_16:
	s_or_b32 exec_lo, exec_lo, s0
	s_delay_alu instid0(SALU_CYCLE_1)
	s_mov_b32 s0, exec_lo
	v_cmpx_gt_i32_e64 s3, v0
	s_cbranch_execnz .LBB321_22
.LBB321_17:
	s_or_b32 exec_lo, exec_lo, s0
	s_delay_alu instid0(SALU_CYCLE_1)
	s_mov_b32 s0, exec_lo
	v_cmpx_gt_i32_e64 s3, v0
	s_cbranch_execnz .LBB321_23
.LBB321_18:
	s_or_b32 exec_lo, exec_lo, s0
	s_delay_alu instid0(SALU_CYCLE_1)
	s_mov_b32 s0, exec_lo
	v_cmpx_gt_i32_e64 s3, v0
	s_cbranch_execnz .LBB321_24
.LBB321_19:
	s_endpgm
.LBB321_20:
	v_and_b32_e32 v4, 0xff, v4
	s_delay_alu instid0(VALU_DEP_1) | instskip(SKIP_1) | instid1(VALU_DEP_1)
	v_lshlrev_b32_e32 v5, 23, v4
	v_cmp_ne_u16_e64 s1, 0xff, v4
	v_cndmask_b32_e64 v5, 0x7f800001, v5, s1
	v_cmp_ne_u16_e64 s1, 0, v4
	s_delay_alu instid0(VALU_DEP_1) | instskip(NEXT) | instid1(VALU_DEP_1)
	v_cndmask_b32_e64 v4, 0x400000, v5, s1
	v_cmp_eq_f32_e64 s1, s6, v4
	s_delay_alu instid0(VALU_DEP_1) | instskip(SKIP_1) | instid1(VALU_DEP_1)
	v_cndmask_b32_e64 v5, 0, 1, s1
	v_cmp_neq_f32_e64 s1, s6, v4
	v_cndmask_b32_e64 v4, 0, 1, s1
	s_delay_alu instid0(VALU_DEP_1) | instskip(NEXT) | instid1(VALU_DEP_1)
	v_cndmask_b32_e64 v4, v4, v5, s0
	v_dual_lshrrev_b32 v5, 16, v1 :: v_dual_bitop2_b32 v4, 1, v4 bitop3:0x40
	s_delay_alu instid0(VALU_DEP_1) | instskip(NEXT) | instid1(VALU_DEP_1)
	v_lshlrev_b16 v4, 8, v4
	v_or_b32_e32 v4, v5, v4
	s_delay_alu instid0(VALU_DEP_1) | instskip(NEXT) | instid1(VALU_DEP_1)
	v_lshlrev_b32_e32 v4, 16, v4
	v_and_or_b32 v1, 0xffff, v1, v4
	s_or_b32 exec_lo, exec_lo, s7
	s_and_saveexec_b32 s0, vcc_lo
	s_delay_alu instid0(SALU_CYCLE_1)
	s_xor_b32 s0, exec_lo, s0
	s_cbranch_execz .LBB321_16
.LBB321_21:
	v_mov_b32_e32 v0, v2
	global_store_b8 v3, v1, s[4:5]
	s_wait_xcnt 0x0
	s_or_b32 exec_lo, exec_lo, s0
	s_delay_alu instid0(SALU_CYCLE_1)
	s_mov_b32 s0, exec_lo
	v_cmpx_gt_i32_e64 s3, v0
	s_cbranch_execz .LBB321_17
.LBB321_22:
	v_add_nc_u32_e32 v2, 0x100, v0
	v_dual_add_nc_u32 v3, s2, v0 :: v_dual_lshrrev_b32 v4, 8, v1
	s_delay_alu instid0(VALU_DEP_2) | instskip(SKIP_3) | instid1(SALU_CYCLE_1)
	v_mov_b32_e32 v0, v2
	global_store_b8 v3, v4, s[4:5]
	s_wait_xcnt 0x0
	s_or_b32 exec_lo, exec_lo, s0
	s_mov_b32 s0, exec_lo
	v_cmpx_gt_i32_e64 s3, v0
	s_cbranch_execz .LBB321_18
.LBB321_23:
	v_add_nc_u32_e32 v2, 0x100, v0
	s_delay_alu instid0(VALU_DEP_1) | instskip(SKIP_3) | instid1(SALU_CYCLE_1)
	v_dual_mov_b32 v0, v2 :: v_dual_add_nc_u32 v3, s2, v0
	global_store_d16_hi_b8 v3, v1, s[4:5]
	s_wait_xcnt 0x0
	s_or_b32 exec_lo, exec_lo, s0
	s_mov_b32 s0, exec_lo
	v_cmpx_gt_i32_e64 s3, v0
	s_cbranch_execz .LBB321_19
.LBB321_24:
	v_dual_add_nc_u32 v0, s2, v0 :: v_dual_lshrrev_b32 v1, 24, v1
	global_store_b8 v0, v1, s[4:5]
	s_endpgm
	.section	.rodata,"a",@progbits
	.p2align	6, 0x0
	.amdhsa_kernel _ZN2at6native27unrolled_elementwise_kernelINS0_13AUnaryFunctorIN3c1014Float8_e8m0fnuES4_bNS0_12_GLOBAL__N_116CompareEqFunctorIS4_EEEESt5arrayIPcLm2EELi4E23TrivialOffsetCalculatorILi1EjESD_NS0_6memory15LoadWithoutCastENSE_16StoreWithoutCastEEEviT_T0_T2_T3_T4_T5_
		.amdhsa_group_segment_fixed_size 0
		.amdhsa_private_segment_fixed_size 0
		.amdhsa_kernarg_size 36
		.amdhsa_user_sgpr_count 2
		.amdhsa_user_sgpr_dispatch_ptr 0
		.amdhsa_user_sgpr_queue_ptr 0
		.amdhsa_user_sgpr_kernarg_segment_ptr 1
		.amdhsa_user_sgpr_dispatch_id 0
		.amdhsa_user_sgpr_kernarg_preload_length 0
		.amdhsa_user_sgpr_kernarg_preload_offset 0
		.amdhsa_user_sgpr_private_segment_size 0
		.amdhsa_wavefront_size32 1
		.amdhsa_uses_dynamic_stack 0
		.amdhsa_enable_private_segment 0
		.amdhsa_system_sgpr_workgroup_id_x 1
		.amdhsa_system_sgpr_workgroup_id_y 0
		.amdhsa_system_sgpr_workgroup_id_z 0
		.amdhsa_system_sgpr_workgroup_info 0
		.amdhsa_system_vgpr_workitem_id 0
		.amdhsa_next_free_vgpr 9
		.amdhsa_next_free_sgpr 13
		.amdhsa_named_barrier_count 0
		.amdhsa_reserve_vcc 1
		.amdhsa_float_round_mode_32 0
		.amdhsa_float_round_mode_16_64 0
		.amdhsa_float_denorm_mode_32 3
		.amdhsa_float_denorm_mode_16_64 3
		.amdhsa_fp16_overflow 0
		.amdhsa_memory_ordered 1
		.amdhsa_forward_progress 1
		.amdhsa_inst_pref_size 11
		.amdhsa_round_robin_scheduling 0
		.amdhsa_exception_fp_ieee_invalid_op 0
		.amdhsa_exception_fp_denorm_src 0
		.amdhsa_exception_fp_ieee_div_zero 0
		.amdhsa_exception_fp_ieee_overflow 0
		.amdhsa_exception_fp_ieee_underflow 0
		.amdhsa_exception_fp_ieee_inexact 0
		.amdhsa_exception_int_div_zero 0
	.end_amdhsa_kernel
	.section	.text._ZN2at6native27unrolled_elementwise_kernelINS0_13AUnaryFunctorIN3c1014Float8_e8m0fnuES4_bNS0_12_GLOBAL__N_116CompareEqFunctorIS4_EEEESt5arrayIPcLm2EELi4E23TrivialOffsetCalculatorILi1EjESD_NS0_6memory15LoadWithoutCastENSE_16StoreWithoutCastEEEviT_T0_T2_T3_T4_T5_,"axG",@progbits,_ZN2at6native27unrolled_elementwise_kernelINS0_13AUnaryFunctorIN3c1014Float8_e8m0fnuES4_bNS0_12_GLOBAL__N_116CompareEqFunctorIS4_EEEESt5arrayIPcLm2EELi4E23TrivialOffsetCalculatorILi1EjESD_NS0_6memory15LoadWithoutCastENSE_16StoreWithoutCastEEEviT_T0_T2_T3_T4_T5_,comdat
.Lfunc_end321:
	.size	_ZN2at6native27unrolled_elementwise_kernelINS0_13AUnaryFunctorIN3c1014Float8_e8m0fnuES4_bNS0_12_GLOBAL__N_116CompareEqFunctorIS4_EEEESt5arrayIPcLm2EELi4E23TrivialOffsetCalculatorILi1EjESD_NS0_6memory15LoadWithoutCastENSE_16StoreWithoutCastEEEviT_T0_T2_T3_T4_T5_, .Lfunc_end321-_ZN2at6native27unrolled_elementwise_kernelINS0_13AUnaryFunctorIN3c1014Float8_e8m0fnuES4_bNS0_12_GLOBAL__N_116CompareEqFunctorIS4_EEEESt5arrayIPcLm2EELi4E23TrivialOffsetCalculatorILi1EjESD_NS0_6memory15LoadWithoutCastENSE_16StoreWithoutCastEEEviT_T0_T2_T3_T4_T5_
                                        ; -- End function
	.set _ZN2at6native27unrolled_elementwise_kernelINS0_13AUnaryFunctorIN3c1014Float8_e8m0fnuES4_bNS0_12_GLOBAL__N_116CompareEqFunctorIS4_EEEESt5arrayIPcLm2EELi4E23TrivialOffsetCalculatorILi1EjESD_NS0_6memory15LoadWithoutCastENSE_16StoreWithoutCastEEEviT_T0_T2_T3_T4_T5_.num_vgpr, 9
	.set _ZN2at6native27unrolled_elementwise_kernelINS0_13AUnaryFunctorIN3c1014Float8_e8m0fnuES4_bNS0_12_GLOBAL__N_116CompareEqFunctorIS4_EEEESt5arrayIPcLm2EELi4E23TrivialOffsetCalculatorILi1EjESD_NS0_6memory15LoadWithoutCastENSE_16StoreWithoutCastEEEviT_T0_T2_T3_T4_T5_.num_agpr, 0
	.set _ZN2at6native27unrolled_elementwise_kernelINS0_13AUnaryFunctorIN3c1014Float8_e8m0fnuES4_bNS0_12_GLOBAL__N_116CompareEqFunctorIS4_EEEESt5arrayIPcLm2EELi4E23TrivialOffsetCalculatorILi1EjESD_NS0_6memory15LoadWithoutCastENSE_16StoreWithoutCastEEEviT_T0_T2_T3_T4_T5_.numbered_sgpr, 13
	.set _ZN2at6native27unrolled_elementwise_kernelINS0_13AUnaryFunctorIN3c1014Float8_e8m0fnuES4_bNS0_12_GLOBAL__N_116CompareEqFunctorIS4_EEEESt5arrayIPcLm2EELi4E23TrivialOffsetCalculatorILi1EjESD_NS0_6memory15LoadWithoutCastENSE_16StoreWithoutCastEEEviT_T0_T2_T3_T4_T5_.num_named_barrier, 0
	.set _ZN2at6native27unrolled_elementwise_kernelINS0_13AUnaryFunctorIN3c1014Float8_e8m0fnuES4_bNS0_12_GLOBAL__N_116CompareEqFunctorIS4_EEEESt5arrayIPcLm2EELi4E23TrivialOffsetCalculatorILi1EjESD_NS0_6memory15LoadWithoutCastENSE_16StoreWithoutCastEEEviT_T0_T2_T3_T4_T5_.private_seg_size, 0
	.set _ZN2at6native27unrolled_elementwise_kernelINS0_13AUnaryFunctorIN3c1014Float8_e8m0fnuES4_bNS0_12_GLOBAL__N_116CompareEqFunctorIS4_EEEESt5arrayIPcLm2EELi4E23TrivialOffsetCalculatorILi1EjESD_NS0_6memory15LoadWithoutCastENSE_16StoreWithoutCastEEEviT_T0_T2_T3_T4_T5_.uses_vcc, 1
	.set _ZN2at6native27unrolled_elementwise_kernelINS0_13AUnaryFunctorIN3c1014Float8_e8m0fnuES4_bNS0_12_GLOBAL__N_116CompareEqFunctorIS4_EEEESt5arrayIPcLm2EELi4E23TrivialOffsetCalculatorILi1EjESD_NS0_6memory15LoadWithoutCastENSE_16StoreWithoutCastEEEviT_T0_T2_T3_T4_T5_.uses_flat_scratch, 0
	.set _ZN2at6native27unrolled_elementwise_kernelINS0_13AUnaryFunctorIN3c1014Float8_e8m0fnuES4_bNS0_12_GLOBAL__N_116CompareEqFunctorIS4_EEEESt5arrayIPcLm2EELi4E23TrivialOffsetCalculatorILi1EjESD_NS0_6memory15LoadWithoutCastENSE_16StoreWithoutCastEEEviT_T0_T2_T3_T4_T5_.has_dyn_sized_stack, 0
	.set _ZN2at6native27unrolled_elementwise_kernelINS0_13AUnaryFunctorIN3c1014Float8_e8m0fnuES4_bNS0_12_GLOBAL__N_116CompareEqFunctorIS4_EEEESt5arrayIPcLm2EELi4E23TrivialOffsetCalculatorILi1EjESD_NS0_6memory15LoadWithoutCastENSE_16StoreWithoutCastEEEviT_T0_T2_T3_T4_T5_.has_recursion, 0
	.set _ZN2at6native27unrolled_elementwise_kernelINS0_13AUnaryFunctorIN3c1014Float8_e8m0fnuES4_bNS0_12_GLOBAL__N_116CompareEqFunctorIS4_EEEESt5arrayIPcLm2EELi4E23TrivialOffsetCalculatorILi1EjESD_NS0_6memory15LoadWithoutCastENSE_16StoreWithoutCastEEEviT_T0_T2_T3_T4_T5_.has_indirect_call, 0
	.section	.AMDGPU.csdata,"",@progbits
; Kernel info:
; codeLenInByte = 1344
; TotalNumSgprs: 15
; NumVgprs: 9
; ScratchSize: 0
; MemoryBound: 0
; FloatMode: 240
; IeeeMode: 1
; LDSByteSize: 0 bytes/workgroup (compile time only)
; SGPRBlocks: 0
; VGPRBlocks: 0
; NumSGPRsForWavesPerEU: 15
; NumVGPRsForWavesPerEU: 9
; NamedBarCnt: 0
; Occupancy: 16
; WaveLimiterHint : 0
; COMPUTE_PGM_RSRC2:SCRATCH_EN: 0
; COMPUTE_PGM_RSRC2:USER_SGPR: 2
; COMPUTE_PGM_RSRC2:TRAP_HANDLER: 0
; COMPUTE_PGM_RSRC2:TGID_X_EN: 1
; COMPUTE_PGM_RSRC2:TGID_Y_EN: 0
; COMPUTE_PGM_RSRC2:TGID_Z_EN: 0
; COMPUTE_PGM_RSRC2:TIDIG_COMP_CNT: 0
	.section	.text._ZN2at6native32elementwise_kernel_manual_unrollILi128ELi8EZNS0_22gpu_kernel_impl_nocastINS0_13AUnaryFunctorIN3c1014Float8_e8m0fnuES5_bNS0_12_GLOBAL__N_116CompareEqFunctorIS5_EEEEEEvRNS_18TensorIteratorBaseERKT_EUlibE_EEviT1_,"axG",@progbits,_ZN2at6native32elementwise_kernel_manual_unrollILi128ELi8EZNS0_22gpu_kernel_impl_nocastINS0_13AUnaryFunctorIN3c1014Float8_e8m0fnuES5_bNS0_12_GLOBAL__N_116CompareEqFunctorIS5_EEEEEEvRNS_18TensorIteratorBaseERKT_EUlibE_EEviT1_,comdat
	.globl	_ZN2at6native32elementwise_kernel_manual_unrollILi128ELi8EZNS0_22gpu_kernel_impl_nocastINS0_13AUnaryFunctorIN3c1014Float8_e8m0fnuES5_bNS0_12_GLOBAL__N_116CompareEqFunctorIS5_EEEEEEvRNS_18TensorIteratorBaseERKT_EUlibE_EEviT1_ ; -- Begin function _ZN2at6native32elementwise_kernel_manual_unrollILi128ELi8EZNS0_22gpu_kernel_impl_nocastINS0_13AUnaryFunctorIN3c1014Float8_e8m0fnuES5_bNS0_12_GLOBAL__N_116CompareEqFunctorIS5_EEEEEEvRNS_18TensorIteratorBaseERKT_EUlibE_EEviT1_
	.p2align	8
	.type	_ZN2at6native32elementwise_kernel_manual_unrollILi128ELi8EZNS0_22gpu_kernel_impl_nocastINS0_13AUnaryFunctorIN3c1014Float8_e8m0fnuES5_bNS0_12_GLOBAL__N_116CompareEqFunctorIS5_EEEEEEvRNS_18TensorIteratorBaseERKT_EUlibE_EEviT1_,@function
_ZN2at6native32elementwise_kernel_manual_unrollILi128ELi8EZNS0_22gpu_kernel_impl_nocastINS0_13AUnaryFunctorIN3c1014Float8_e8m0fnuES5_bNS0_12_GLOBAL__N_116CompareEqFunctorIS5_EEEEEEvRNS_18TensorIteratorBaseERKT_EUlibE_EEviT1_: ; @_ZN2at6native32elementwise_kernel_manual_unrollILi128ELi8EZNS0_22gpu_kernel_impl_nocastINS0_13AUnaryFunctorIN3c1014Float8_e8m0fnuES5_bNS0_12_GLOBAL__N_116CompareEqFunctorIS5_EEEEEEvRNS_18TensorIteratorBaseERKT_EUlibE_EEviT1_
; %bb.0:
	s_clause 0x1
	s_load_b32 s30, s[0:1], 0x8
	s_load_b32 s35, s[0:1], 0x0
	s_bfe_u32 s2, ttmp6, 0x4000c
	s_and_b32 s3, ttmp6, 15
	s_add_co_i32 s2, s2, 1
	s_getreg_b32 s4, hwreg(HW_REG_IB_STS2, 6, 4)
	s_mul_i32 s2, ttmp9, s2
	s_mov_b32 s17, 0
	s_add_co_i32 s3, s3, s2
	s_cmp_eq_u32 s4, 0
	s_cselect_b32 s2, ttmp9, s3
	s_delay_alu instid0(SALU_CYCLE_1) | instskip(SKIP_3) | instid1(VALU_DEP_1)
	v_lshl_or_b32 v0, s2, 10, v0
	s_add_nc_u64 s[2:3], s[0:1], 8
	s_wait_xcnt 0x0
	s_mov_b32 s0, exec_lo
	v_or_b32_e32 v16, 0x380, v0
	s_wait_kmcnt 0x0
	s_add_co_i32 s31, s30, -1
	s_delay_alu instid0(SALU_CYCLE_1)
	s_cmp_gt_u32 s31, 1
	s_cselect_b32 s1, -1, 0
	v_cmpx_le_i32_e64 s35, v16
	s_xor_b32 s33, exec_lo, s0
	s_cbranch_execz .LBB322_7
; %bb.1:
	s_clause 0x4
	s_load_b64 s[20:21], s[2:3], 0x158
	s_load_b128 s[12:15], s[2:3], 0x4
	s_load_b64 s[18:19], s[2:3], 0x14
	s_load_b128 s[8:11], s[2:3], 0xc4
	s_load_b128 s[4:7], s[2:3], 0x148
	s_cmp_lg_u32 s30, 0
	s_add_nc_u64 s[22:23], s[2:3], 0xc4
	s_cselect_b32 s37, -1, 0
	s_min_u32 s36, s31, 15
	s_cmp_gt_u32 s30, 1
	s_cselect_b32 s34, -1, 0
	s_wait_kmcnt 0x0
	s_and_b32 s21, s21, 0xff
	s_cmp_eq_u32 s20, 0
	s_mov_b32 s16, s13
	s_cselect_b32 s0, -1, 0
	s_lshl_b32 s13, s21, 23
	s_cmp_lg_u32 s21, 0xff
	s_mov_b32 s20, s18
	s_cselect_b32 s13, s13, 0x7f800001
	s_cmp_lg_u32 s21, 0
	s_mov_b32 s21, s17
	s_cselect_b32 s13, s13, 0x400000
	s_mov_b32 s18, exec_lo
	v_cmpx_gt_i32_e64 s35, v0
	s_cbranch_execz .LBB322_14
; %bb.2:
	s_and_not1_b32 vcc_lo, exec_lo, s1
	s_cbranch_vccnz .LBB322_21
; %bb.3:
	s_and_not1_b32 vcc_lo, exec_lo, s37
	s_cbranch_vccnz .LBB322_129
; %bb.4:
	s_add_co_i32 s25, s36, 1
	s_cmp_eq_u32 s31, 2
	s_cbranch_scc1 .LBB322_131
; %bb.5:
	v_dual_mov_b32 v2, 0 :: v_dual_mov_b32 v3, 0
	v_mov_b32_e32 v1, v0
	s_and_b32 s24, s25, 28
	s_mov_b32 s38, 0
	s_mov_b64 s[26:27], s[2:3]
	s_mov_b64 s[28:29], s[22:23]
.LBB322_6:                              ; =>This Inner Loop Header: Depth=1
	s_clause 0x1
	s_load_b256 s[40:47], s[26:27], 0x4
	s_load_b128 s[56:59], s[26:27], 0x24
	s_load_b256 s[48:55], s[28:29], 0x0
	s_add_co_i32 s38, s38, 4
	s_wait_xcnt 0x0
	s_add_nc_u64 s[26:27], s[26:27], 48
	s_cmp_lg_u32 s24, s38
	s_add_nc_u64 s[28:29], s[28:29], 32
	s_wait_kmcnt 0x0
	v_mul_hi_u32 v4, s41, v1
	s_delay_alu instid0(VALU_DEP_1) | instskip(NEXT) | instid1(VALU_DEP_1)
	v_add_nc_u32_e32 v4, v1, v4
	v_lshrrev_b32_e32 v4, s42, v4
	s_delay_alu instid0(VALU_DEP_1) | instskip(NEXT) | instid1(VALU_DEP_1)
	v_mul_hi_u32 v5, s44, v4
	v_add_nc_u32_e32 v5, v4, v5
	s_delay_alu instid0(VALU_DEP_1) | instskip(NEXT) | instid1(VALU_DEP_1)
	v_lshrrev_b32_e32 v5, s45, v5
	v_mul_hi_u32 v6, s47, v5
	s_delay_alu instid0(VALU_DEP_1) | instskip(SKIP_1) | instid1(VALU_DEP_1)
	v_add_nc_u32_e32 v6, v5, v6
	v_mul_lo_u32 v7, v4, s40
	v_sub_nc_u32_e32 v1, v1, v7
	v_mul_lo_u32 v7, v5, s43
	s_delay_alu instid0(VALU_DEP_4) | instskip(NEXT) | instid1(VALU_DEP_3)
	v_lshrrev_b32_e32 v6, s56, v6
	v_mad_u32 v3, v1, s49, v3
	v_mad_u32 v1, v1, s48, v2
	s_delay_alu instid0(VALU_DEP_4) | instskip(NEXT) | instid1(VALU_DEP_4)
	v_sub_nc_u32_e32 v2, v4, v7
	v_mul_hi_u32 v8, s58, v6
	v_mul_lo_u32 v4, v6, s46
	s_delay_alu instid0(VALU_DEP_3) | instskip(SKIP_1) | instid1(VALU_DEP_4)
	v_mad_u32 v3, v2, s51, v3
	v_mad_u32 v2, v2, s50, v1
	v_add_nc_u32_e32 v7, v6, v8
	s_delay_alu instid0(VALU_DEP_1) | instskip(NEXT) | instid1(VALU_DEP_1)
	v_dual_sub_nc_u32 v4, v5, v4 :: v_dual_lshrrev_b32 v1, s59, v7
	v_mad_u32 v3, v4, s53, v3
	s_delay_alu instid0(VALU_DEP_4) | instskip(NEXT) | instid1(VALU_DEP_3)
	v_mad_u32 v2, v4, s52, v2
	v_mul_lo_u32 v5, v1, s57
	s_delay_alu instid0(VALU_DEP_1) | instskip(NEXT) | instid1(VALU_DEP_1)
	v_sub_nc_u32_e32 v4, v6, v5
	v_mad_u32 v3, v4, s55, v3
	s_delay_alu instid0(VALU_DEP_4)
	v_mad_u32 v2, v4, s54, v2
	s_cbranch_scc1 .LBB322_6
	s_branch .LBB322_132
.LBB322_7:
	s_and_not1_saveexec_b32 s0, s33
	s_cbranch_execz .LBB322_221
.LBB322_8:
	v_cndmask_b32_e64 v14, 0, 1, s1
	s_and_not1_b32 vcc_lo, exec_lo, s1
	s_cbranch_vccnz .LBB322_20
; %bb.9:
	s_cmp_lg_u32 s30, 0
	s_mov_b32 s8, 0
	s_cbranch_scc0 .LBB322_23
; %bb.10:
	s_min_u32 s1, s31, 15
	s_delay_alu instid0(SALU_CYCLE_1)
	s_add_co_i32 s1, s1, 1
	s_cmp_eq_u32 s31, 2
	s_cbranch_scc1 .LBB322_24
; %bb.11:
	v_dual_mov_b32 v2, 0 :: v_dual_mov_b32 v3, 0
	v_mov_b32_e32 v1, v0
	s_and_b32 s0, s1, 28
	s_add_nc_u64 s[4:5], s[2:3], 0xc4
	s_mov_b32 s9, 0
	s_mov_b64 s[6:7], s[2:3]
.LBB322_12:                             ; =>This Inner Loop Header: Depth=1
	s_clause 0x1
	s_load_b256 s[12:19], s[6:7], 0x4
	s_load_b128 s[36:39], s[6:7], 0x24
	s_load_b256 s[20:27], s[4:5], 0x0
	s_add_co_i32 s9, s9, 4
	s_wait_xcnt 0x0
	s_add_nc_u64 s[6:7], s[6:7], 48
	s_cmp_lg_u32 s0, s9
	s_add_nc_u64 s[4:5], s[4:5], 32
	s_wait_kmcnt 0x0
	v_mul_hi_u32 v4, s13, v1
	s_delay_alu instid0(VALU_DEP_1) | instskip(NEXT) | instid1(VALU_DEP_1)
	v_add_nc_u32_e32 v4, v1, v4
	v_lshrrev_b32_e32 v4, s14, v4
	s_delay_alu instid0(VALU_DEP_1) | instskip(NEXT) | instid1(VALU_DEP_1)
	v_mul_hi_u32 v5, s16, v4
	v_add_nc_u32_e32 v5, v4, v5
	s_delay_alu instid0(VALU_DEP_1) | instskip(NEXT) | instid1(VALU_DEP_1)
	v_lshrrev_b32_e32 v5, s17, v5
	v_mul_hi_u32 v6, s19, v5
	s_delay_alu instid0(VALU_DEP_1) | instskip(SKIP_1) | instid1(VALU_DEP_1)
	v_add_nc_u32_e32 v6, v5, v6
	v_mul_lo_u32 v7, v4, s12
	v_sub_nc_u32_e32 v1, v1, v7
	v_mul_lo_u32 v7, v5, s15
	s_delay_alu instid0(VALU_DEP_4) | instskip(NEXT) | instid1(VALU_DEP_3)
	v_lshrrev_b32_e32 v6, s36, v6
	v_mad_u32 v3, v1, s21, v3
	v_mad_u32 v1, v1, s20, v2
	s_delay_alu instid0(VALU_DEP_4) | instskip(NEXT) | instid1(VALU_DEP_4)
	v_sub_nc_u32_e32 v2, v4, v7
	v_mul_hi_u32 v8, s38, v6
	v_mul_lo_u32 v4, v6, s18
	s_delay_alu instid0(VALU_DEP_3) | instskip(SKIP_1) | instid1(VALU_DEP_4)
	v_mad_u32 v3, v2, s23, v3
	v_mad_u32 v2, v2, s22, v1
	v_add_nc_u32_e32 v7, v6, v8
	s_delay_alu instid0(VALU_DEP_1) | instskip(NEXT) | instid1(VALU_DEP_1)
	v_dual_sub_nc_u32 v4, v5, v4 :: v_dual_lshrrev_b32 v1, s39, v7
	v_mad_u32 v3, v4, s25, v3
	s_delay_alu instid0(VALU_DEP_4) | instskip(NEXT) | instid1(VALU_DEP_3)
	v_mad_u32 v2, v4, s24, v2
	v_mul_lo_u32 v5, v1, s37
	s_delay_alu instid0(VALU_DEP_1) | instskip(NEXT) | instid1(VALU_DEP_1)
	v_sub_nc_u32_e32 v4, v6, v5
	v_mad_u32 v3, v4, s27, v3
	s_delay_alu instid0(VALU_DEP_4)
	v_mad_u32 v2, v4, s26, v2
	s_cbranch_scc1 .LBB322_12
; %bb.13:
	s_and_b32 s6, s1, 3
	s_mov_b32 s1, 0
	s_cmp_eq_u32 s6, 0
	s_cbranch_scc0 .LBB322_25
	s_branch .LBB322_27
.LBB322_14:
	s_or_b32 exec_lo, exec_lo, s18
	s_delay_alu instid0(SALU_CYCLE_1)
	s_mov_b32 s18, exec_lo
	v_cmpx_gt_i32_e64 s35, v0
	s_cbranch_execz .LBB322_139
.LBB322_15:
	s_and_not1_b32 vcc_lo, exec_lo, s1
	s_cbranch_vccnz .LBB322_22
; %bb.16:
	s_and_not1_b32 vcc_lo, exec_lo, s37
	s_cbranch_vccnz .LBB322_130
; %bb.17:
	s_add_co_i32 s25, s36, 1
	s_cmp_eq_u32 s31, 2
	s_cbranch_scc1 .LBB322_147
; %bb.18:
	v_dual_mov_b32 v2, 0 :: v_dual_mov_b32 v3, 0
	v_mov_b32_e32 v1, v0
	s_and_b32 s24, s25, 28
	s_mov_b32 s38, 0
	s_mov_b64 s[26:27], s[2:3]
	s_mov_b64 s[28:29], s[22:23]
.LBB322_19:                             ; =>This Inner Loop Header: Depth=1
	s_clause 0x1
	s_load_b256 s[40:47], s[26:27], 0x4
	s_load_b128 s[56:59], s[26:27], 0x24
	s_load_b256 s[48:55], s[28:29], 0x0
	s_add_co_i32 s38, s38, 4
	s_wait_xcnt 0x0
	s_add_nc_u64 s[26:27], s[26:27], 48
	s_cmp_eq_u32 s24, s38
	s_add_nc_u64 s[28:29], s[28:29], 32
	s_wait_kmcnt 0x0
	v_mul_hi_u32 v4, s41, v1
	s_delay_alu instid0(VALU_DEP_1) | instskip(NEXT) | instid1(VALU_DEP_1)
	v_add_nc_u32_e32 v4, v1, v4
	v_lshrrev_b32_e32 v4, s42, v4
	s_delay_alu instid0(VALU_DEP_1) | instskip(NEXT) | instid1(VALU_DEP_1)
	v_mul_hi_u32 v5, s44, v4
	v_add_nc_u32_e32 v5, v4, v5
	s_delay_alu instid0(VALU_DEP_1) | instskip(NEXT) | instid1(VALU_DEP_1)
	v_lshrrev_b32_e32 v5, s45, v5
	v_mul_hi_u32 v6, s47, v5
	s_delay_alu instid0(VALU_DEP_1) | instskip(SKIP_1) | instid1(VALU_DEP_1)
	v_add_nc_u32_e32 v6, v5, v6
	v_mul_lo_u32 v7, v4, s40
	v_sub_nc_u32_e32 v1, v1, v7
	v_mul_lo_u32 v7, v5, s43
	s_delay_alu instid0(VALU_DEP_4) | instskip(NEXT) | instid1(VALU_DEP_3)
	v_lshrrev_b32_e32 v6, s56, v6
	v_mad_u32 v3, v1, s49, v3
	v_mad_u32 v1, v1, s48, v2
	s_delay_alu instid0(VALU_DEP_4) | instskip(NEXT) | instid1(VALU_DEP_4)
	v_sub_nc_u32_e32 v2, v4, v7
	v_mul_hi_u32 v8, s58, v6
	v_mul_lo_u32 v4, v6, s46
	s_delay_alu instid0(VALU_DEP_3) | instskip(SKIP_1) | instid1(VALU_DEP_4)
	v_mad_u32 v3, v2, s51, v3
	v_mad_u32 v2, v2, s50, v1
	v_add_nc_u32_e32 v7, v6, v8
	s_delay_alu instid0(VALU_DEP_1) | instskip(NEXT) | instid1(VALU_DEP_1)
	v_dual_sub_nc_u32 v4, v5, v4 :: v_dual_lshrrev_b32 v1, s59, v7
	v_mad_u32 v3, v4, s53, v3
	s_delay_alu instid0(VALU_DEP_4) | instskip(NEXT) | instid1(VALU_DEP_3)
	v_mad_u32 v2, v4, s52, v2
	v_mul_lo_u32 v5, v1, s57
	s_delay_alu instid0(VALU_DEP_1) | instskip(NEXT) | instid1(VALU_DEP_1)
	v_sub_nc_u32_e32 v4, v6, v5
	v_mad_u32 v3, v4, s55, v3
	s_delay_alu instid0(VALU_DEP_4)
	v_mad_u32 v2, v4, s54, v2
	s_cbranch_scc0 .LBB322_19
	s_branch .LBB322_148
.LBB322_20:
	s_mov_b32 s8, -1
                                        ; implicit-def: $vgpr3
	s_branch .LBB322_27
.LBB322_21:
                                        ; implicit-def: $vgpr3
	s_branch .LBB322_136
.LBB322_22:
                                        ; implicit-def: $vgpr3
	s_branch .LBB322_152
.LBB322_23:
	v_dual_mov_b32 v3, 0 :: v_dual_mov_b32 v2, 0
	s_branch .LBB322_27
.LBB322_24:
	v_mov_b64_e32 v[2:3], 0
	v_mov_b32_e32 v1, v0
	s_mov_b32 s0, 0
	s_and_b32 s6, s1, 3
	s_mov_b32 s1, 0
	s_cmp_eq_u32 s6, 0
	s_cbranch_scc1 .LBB322_27
.LBB322_25:
	s_lshl_b32 s4, s0, 3
	s_mov_b32 s5, s1
	s_mul_u64 s[10:11], s[0:1], 12
	s_add_nc_u64 s[4:5], s[2:3], s[4:5]
	s_delay_alu instid0(SALU_CYCLE_1)
	s_add_nc_u64 s[0:1], s[4:5], 0xc4
	s_add_nc_u64 s[4:5], s[2:3], s[10:11]
.LBB322_26:                             ; =>This Inner Loop Header: Depth=1
	s_load_b96 s[12:14], s[4:5], 0x4
	s_load_b64 s[10:11], s[0:1], 0x0
	s_add_co_i32 s6, s6, -1
	s_wait_xcnt 0x0
	s_add_nc_u64 s[4:5], s[4:5], 12
	s_cmp_lg_u32 s6, 0
	s_add_nc_u64 s[0:1], s[0:1], 8
	s_wait_kmcnt 0x0
	v_mul_hi_u32 v4, s13, v1
	s_delay_alu instid0(VALU_DEP_1) | instskip(NEXT) | instid1(VALU_DEP_1)
	v_add_nc_u32_e32 v4, v1, v4
	v_lshrrev_b32_e32 v4, s14, v4
	s_delay_alu instid0(VALU_DEP_1) | instskip(NEXT) | instid1(VALU_DEP_1)
	v_mul_lo_u32 v5, v4, s12
	v_sub_nc_u32_e32 v1, v1, v5
	s_delay_alu instid0(VALU_DEP_1)
	v_mad_u32 v3, v1, s11, v3
	v_mad_u32 v2, v1, s10, v2
	v_mov_b32_e32 v1, v4
	s_cbranch_scc1 .LBB322_26
.LBB322_27:
	s_and_not1_b32 vcc_lo, exec_lo, s8
	s_cbranch_vccnz .LBB322_30
; %bb.28:
	s_clause 0x1
	s_load_b96 s[4:6], s[2:3], 0x4
	s_load_b64 s[0:1], s[2:3], 0xc4
	s_cmp_lt_u32 s30, 2
	s_wait_kmcnt 0x0
	v_mul_hi_u32 v1, s5, v0
	s_delay_alu instid0(VALU_DEP_1) | instskip(NEXT) | instid1(VALU_DEP_1)
	v_add_nc_u32_e32 v1, v0, v1
	v_lshrrev_b32_e32 v1, s6, v1
	s_delay_alu instid0(VALU_DEP_1) | instskip(NEXT) | instid1(VALU_DEP_1)
	v_mul_lo_u32 v2, v1, s4
	v_sub_nc_u32_e32 v2, v0, v2
	s_delay_alu instid0(VALU_DEP_1)
	v_mul_lo_u32 v3, v2, s1
	v_mul_lo_u32 v2, v2, s0
	s_cbranch_scc1 .LBB322_30
; %bb.29:
	s_clause 0x1
	s_load_b96 s[4:6], s[2:3], 0x10
	s_load_b64 s[0:1], s[2:3], 0xcc
	s_wait_kmcnt 0x0
	v_mul_hi_u32 v4, s5, v1
	s_delay_alu instid0(VALU_DEP_1) | instskip(NEXT) | instid1(VALU_DEP_1)
	v_add_nc_u32_e32 v4, v1, v4
	v_lshrrev_b32_e32 v4, s6, v4
	s_delay_alu instid0(VALU_DEP_1) | instskip(NEXT) | instid1(VALU_DEP_1)
	v_mul_lo_u32 v4, v4, s4
	v_sub_nc_u32_e32 v1, v1, v4
	s_delay_alu instid0(VALU_DEP_1)
	v_mad_u32 v2, v1, s0, v2
	v_mad_u32 v3, v1, s1, v3
.LBB322_30:
	v_cmp_ne_u32_e32 vcc_lo, 1, v14
	v_add_nc_u32_e32 v1, 0x80, v0
	s_cbranch_vccnz .LBB322_36
; %bb.31:
	s_cmp_lg_u32 s30, 0
	s_mov_b32 s8, 0
	s_cbranch_scc0 .LBB322_37
; %bb.32:
	s_min_u32 s1, s31, 15
	s_delay_alu instid0(SALU_CYCLE_1)
	s_add_co_i32 s1, s1, 1
	s_cmp_eq_u32 s31, 2
	s_cbranch_scc1 .LBB322_38
; %bb.33:
	v_dual_mov_b32 v4, 0 :: v_dual_mov_b32 v5, 0
	v_mov_b32_e32 v6, v1
	s_and_b32 s0, s1, 28
	s_add_nc_u64 s[4:5], s[2:3], 0xc4
	s_mov_b32 s9, 0
	s_mov_b64 s[6:7], s[2:3]
.LBB322_34:                             ; =>This Inner Loop Header: Depth=1
	s_clause 0x1
	s_load_b256 s[12:19], s[6:7], 0x4
	s_load_b128 s[36:39], s[6:7], 0x24
	s_load_b256 s[20:27], s[4:5], 0x0
	s_add_co_i32 s9, s9, 4
	s_wait_xcnt 0x0
	s_add_nc_u64 s[6:7], s[6:7], 48
	s_cmp_lg_u32 s0, s9
	s_add_nc_u64 s[4:5], s[4:5], 32
	s_wait_kmcnt 0x0
	v_mul_hi_u32 v7, s13, v6
	s_delay_alu instid0(VALU_DEP_1) | instskip(NEXT) | instid1(VALU_DEP_1)
	v_add_nc_u32_e32 v7, v6, v7
	v_lshrrev_b32_e32 v7, s14, v7
	s_delay_alu instid0(VALU_DEP_1) | instskip(NEXT) | instid1(VALU_DEP_1)
	v_mul_hi_u32 v8, s16, v7
	v_add_nc_u32_e32 v8, v7, v8
	s_delay_alu instid0(VALU_DEP_1) | instskip(NEXT) | instid1(VALU_DEP_1)
	v_lshrrev_b32_e32 v8, s17, v8
	v_mul_hi_u32 v9, s19, v8
	s_delay_alu instid0(VALU_DEP_1) | instskip(SKIP_1) | instid1(VALU_DEP_1)
	v_add_nc_u32_e32 v9, v8, v9
	v_mul_lo_u32 v10, v7, s12
	v_sub_nc_u32_e32 v6, v6, v10
	v_mul_lo_u32 v10, v8, s15
	s_delay_alu instid0(VALU_DEP_4) | instskip(NEXT) | instid1(VALU_DEP_3)
	v_lshrrev_b32_e32 v9, s36, v9
	v_mad_u32 v5, v6, s21, v5
	v_mad_u32 v4, v6, s20, v4
	s_delay_alu instid0(VALU_DEP_4) | instskip(NEXT) | instid1(VALU_DEP_4)
	v_sub_nc_u32_e32 v6, v7, v10
	v_mul_hi_u32 v11, s38, v9
	v_mul_lo_u32 v7, v9, s18
	s_delay_alu instid0(VALU_DEP_3) | instskip(SKIP_1) | instid1(VALU_DEP_4)
	v_mad_u32 v5, v6, s23, v5
	v_mad_u32 v4, v6, s22, v4
	v_add_nc_u32_e32 v10, v9, v11
	s_delay_alu instid0(VALU_DEP_1) | instskip(NEXT) | instid1(VALU_DEP_1)
	v_dual_sub_nc_u32 v7, v8, v7 :: v_dual_lshrrev_b32 v6, s39, v10
	v_mad_u32 v5, v7, s25, v5
	s_delay_alu instid0(VALU_DEP_4) | instskip(NEXT) | instid1(VALU_DEP_3)
	v_mad_u32 v4, v7, s24, v4
	v_mul_lo_u32 v8, v6, s37
	s_delay_alu instid0(VALU_DEP_1) | instskip(NEXT) | instid1(VALU_DEP_1)
	v_sub_nc_u32_e32 v7, v9, v8
	v_mad_u32 v5, v7, s27, v5
	s_delay_alu instid0(VALU_DEP_4)
	v_mad_u32 v4, v7, s26, v4
	s_cbranch_scc1 .LBB322_34
; %bb.35:
	s_and_b32 s6, s1, 3
	s_mov_b32 s1, 0
	s_cmp_eq_u32 s6, 0
	s_cbranch_scc0 .LBB322_39
	s_branch .LBB322_41
.LBB322_36:
	s_mov_b32 s8, -1
                                        ; implicit-def: $vgpr5
	s_branch .LBB322_41
.LBB322_37:
	v_dual_mov_b32 v5, 0 :: v_dual_mov_b32 v4, 0
	s_branch .LBB322_41
.LBB322_38:
	v_mov_b64_e32 v[4:5], 0
	v_mov_b32_e32 v6, v1
	s_mov_b32 s0, 0
	s_and_b32 s6, s1, 3
	s_mov_b32 s1, 0
	s_cmp_eq_u32 s6, 0
	s_cbranch_scc1 .LBB322_41
.LBB322_39:
	s_lshl_b32 s4, s0, 3
	s_mov_b32 s5, s1
	s_mul_u64 s[10:11], s[0:1], 12
	s_add_nc_u64 s[4:5], s[2:3], s[4:5]
	s_delay_alu instid0(SALU_CYCLE_1)
	s_add_nc_u64 s[0:1], s[4:5], 0xc4
	s_add_nc_u64 s[4:5], s[2:3], s[10:11]
.LBB322_40:                             ; =>This Inner Loop Header: Depth=1
	s_load_b96 s[12:14], s[4:5], 0x4
	s_load_b64 s[10:11], s[0:1], 0x0
	s_add_co_i32 s6, s6, -1
	s_wait_xcnt 0x0
	s_add_nc_u64 s[4:5], s[4:5], 12
	s_cmp_lg_u32 s6, 0
	s_add_nc_u64 s[0:1], s[0:1], 8
	s_wait_kmcnt 0x0
	v_mul_hi_u32 v7, s13, v6
	s_delay_alu instid0(VALU_DEP_1) | instskip(NEXT) | instid1(VALU_DEP_1)
	v_add_nc_u32_e32 v7, v6, v7
	v_lshrrev_b32_e32 v7, s14, v7
	s_delay_alu instid0(VALU_DEP_1) | instskip(NEXT) | instid1(VALU_DEP_1)
	v_mul_lo_u32 v8, v7, s12
	v_sub_nc_u32_e32 v6, v6, v8
	s_delay_alu instid0(VALU_DEP_1)
	v_mad_u32 v5, v6, s11, v5
	v_mad_u32 v4, v6, s10, v4
	v_mov_b32_e32 v6, v7
	s_cbranch_scc1 .LBB322_40
.LBB322_41:
	s_and_not1_b32 vcc_lo, exec_lo, s8
	s_cbranch_vccnz .LBB322_44
; %bb.42:
	s_clause 0x1
	s_load_b96 s[4:6], s[2:3], 0x4
	s_load_b64 s[0:1], s[2:3], 0xc4
	s_cmp_lt_u32 s30, 2
	s_wait_kmcnt 0x0
	v_mul_hi_u32 v4, s5, v1
	s_delay_alu instid0(VALU_DEP_1) | instskip(NEXT) | instid1(VALU_DEP_1)
	v_add_nc_u32_e32 v4, v1, v4
	v_lshrrev_b32_e32 v6, s6, v4
	s_delay_alu instid0(VALU_DEP_1) | instskip(NEXT) | instid1(VALU_DEP_1)
	v_mul_lo_u32 v4, v6, s4
	v_sub_nc_u32_e32 v1, v1, v4
	s_delay_alu instid0(VALU_DEP_1)
	v_mul_lo_u32 v5, v1, s1
	v_mul_lo_u32 v4, v1, s0
	s_cbranch_scc1 .LBB322_44
; %bb.43:
	s_clause 0x1
	s_load_b96 s[4:6], s[2:3], 0x10
	s_load_b64 s[0:1], s[2:3], 0xcc
	s_wait_kmcnt 0x0
	v_mul_hi_u32 v1, s5, v6
	s_delay_alu instid0(VALU_DEP_1) | instskip(NEXT) | instid1(VALU_DEP_1)
	v_add_nc_u32_e32 v1, v6, v1
	v_lshrrev_b32_e32 v1, s6, v1
	s_delay_alu instid0(VALU_DEP_1) | instskip(NEXT) | instid1(VALU_DEP_1)
	v_mul_lo_u32 v1, v1, s4
	v_sub_nc_u32_e32 v1, v6, v1
	s_delay_alu instid0(VALU_DEP_1)
	v_mad_u32 v4, v1, s0, v4
	v_mad_u32 v5, v1, s1, v5
.LBB322_44:
	v_cmp_ne_u32_e32 vcc_lo, 1, v14
	v_add_nc_u32_e32 v1, 0x100, v0
	s_cbranch_vccnz .LBB322_50
; %bb.45:
	s_cmp_lg_u32 s30, 0
	s_mov_b32 s8, 0
	s_cbranch_scc0 .LBB322_51
; %bb.46:
	s_min_u32 s1, s31, 15
	s_delay_alu instid0(SALU_CYCLE_1)
	s_add_co_i32 s1, s1, 1
	s_cmp_eq_u32 s31, 2
	s_cbranch_scc1 .LBB322_52
; %bb.47:
	v_dual_mov_b32 v6, 0 :: v_dual_mov_b32 v7, 0
	v_mov_b32_e32 v8, v1
	s_and_b32 s0, s1, 28
	s_add_nc_u64 s[4:5], s[2:3], 0xc4
	s_mov_b32 s9, 0
	s_mov_b64 s[6:7], s[2:3]
.LBB322_48:                             ; =>This Inner Loop Header: Depth=1
	s_clause 0x1
	s_load_b256 s[12:19], s[6:7], 0x4
	s_load_b128 s[36:39], s[6:7], 0x24
	s_load_b256 s[20:27], s[4:5], 0x0
	s_add_co_i32 s9, s9, 4
	s_wait_xcnt 0x0
	s_add_nc_u64 s[6:7], s[6:7], 48
	s_cmp_lg_u32 s0, s9
	s_add_nc_u64 s[4:5], s[4:5], 32
	s_wait_kmcnt 0x0
	v_mul_hi_u32 v9, s13, v8
	s_delay_alu instid0(VALU_DEP_1) | instskip(NEXT) | instid1(VALU_DEP_1)
	v_add_nc_u32_e32 v9, v8, v9
	v_lshrrev_b32_e32 v9, s14, v9
	s_delay_alu instid0(VALU_DEP_1) | instskip(NEXT) | instid1(VALU_DEP_1)
	v_mul_hi_u32 v10, s16, v9
	v_add_nc_u32_e32 v10, v9, v10
	s_delay_alu instid0(VALU_DEP_1) | instskip(NEXT) | instid1(VALU_DEP_1)
	v_lshrrev_b32_e32 v10, s17, v10
	v_mul_hi_u32 v11, s19, v10
	s_delay_alu instid0(VALU_DEP_1) | instskip(SKIP_1) | instid1(VALU_DEP_1)
	v_add_nc_u32_e32 v11, v10, v11
	v_mul_lo_u32 v12, v9, s12
	v_sub_nc_u32_e32 v8, v8, v12
	v_mul_lo_u32 v12, v10, s15
	s_delay_alu instid0(VALU_DEP_4) | instskip(NEXT) | instid1(VALU_DEP_3)
	v_lshrrev_b32_e32 v11, s36, v11
	v_mad_u32 v7, v8, s21, v7
	v_mad_u32 v6, v8, s20, v6
	s_delay_alu instid0(VALU_DEP_4) | instskip(NEXT) | instid1(VALU_DEP_4)
	v_sub_nc_u32_e32 v8, v9, v12
	v_mul_hi_u32 v13, s38, v11
	v_mul_lo_u32 v9, v11, s18
	s_delay_alu instid0(VALU_DEP_3) | instskip(SKIP_1) | instid1(VALU_DEP_4)
	v_mad_u32 v7, v8, s23, v7
	v_mad_u32 v6, v8, s22, v6
	v_add_nc_u32_e32 v12, v11, v13
	s_delay_alu instid0(VALU_DEP_1) | instskip(NEXT) | instid1(VALU_DEP_1)
	v_dual_sub_nc_u32 v9, v10, v9 :: v_dual_lshrrev_b32 v8, s39, v12
	v_mad_u32 v7, v9, s25, v7
	s_delay_alu instid0(VALU_DEP_4) | instskip(NEXT) | instid1(VALU_DEP_3)
	v_mad_u32 v6, v9, s24, v6
	v_mul_lo_u32 v10, v8, s37
	s_delay_alu instid0(VALU_DEP_1) | instskip(NEXT) | instid1(VALU_DEP_1)
	v_sub_nc_u32_e32 v9, v11, v10
	v_mad_u32 v7, v9, s27, v7
	s_delay_alu instid0(VALU_DEP_4)
	v_mad_u32 v6, v9, s26, v6
	s_cbranch_scc1 .LBB322_48
; %bb.49:
	s_and_b32 s6, s1, 3
	s_mov_b32 s1, 0
	s_cmp_eq_u32 s6, 0
	s_cbranch_scc0 .LBB322_53
	s_branch .LBB322_55
.LBB322_50:
	s_mov_b32 s8, -1
                                        ; implicit-def: $vgpr7
	s_branch .LBB322_55
.LBB322_51:
	v_dual_mov_b32 v7, 0 :: v_dual_mov_b32 v6, 0
	s_branch .LBB322_55
.LBB322_52:
	v_mov_b64_e32 v[6:7], 0
	v_mov_b32_e32 v8, v1
	s_mov_b32 s0, 0
	s_and_b32 s6, s1, 3
	s_mov_b32 s1, 0
	s_cmp_eq_u32 s6, 0
	s_cbranch_scc1 .LBB322_55
.LBB322_53:
	s_lshl_b32 s4, s0, 3
	s_mov_b32 s5, s1
	s_mul_u64 s[10:11], s[0:1], 12
	s_add_nc_u64 s[4:5], s[2:3], s[4:5]
	s_delay_alu instid0(SALU_CYCLE_1)
	s_add_nc_u64 s[0:1], s[4:5], 0xc4
	s_add_nc_u64 s[4:5], s[2:3], s[10:11]
.LBB322_54:                             ; =>This Inner Loop Header: Depth=1
	s_load_b96 s[12:14], s[4:5], 0x4
	s_load_b64 s[10:11], s[0:1], 0x0
	s_add_co_i32 s6, s6, -1
	s_wait_xcnt 0x0
	s_add_nc_u64 s[4:5], s[4:5], 12
	s_cmp_lg_u32 s6, 0
	s_add_nc_u64 s[0:1], s[0:1], 8
	s_wait_kmcnt 0x0
	v_mul_hi_u32 v9, s13, v8
	s_delay_alu instid0(VALU_DEP_1) | instskip(NEXT) | instid1(VALU_DEP_1)
	v_add_nc_u32_e32 v9, v8, v9
	v_lshrrev_b32_e32 v9, s14, v9
	s_delay_alu instid0(VALU_DEP_1) | instskip(NEXT) | instid1(VALU_DEP_1)
	v_mul_lo_u32 v10, v9, s12
	v_sub_nc_u32_e32 v8, v8, v10
	s_delay_alu instid0(VALU_DEP_1)
	v_mad_u32 v7, v8, s11, v7
	v_mad_u32 v6, v8, s10, v6
	v_mov_b32_e32 v8, v9
	s_cbranch_scc1 .LBB322_54
.LBB322_55:
	s_and_not1_b32 vcc_lo, exec_lo, s8
	s_cbranch_vccnz .LBB322_58
; %bb.56:
	s_clause 0x1
	s_load_b96 s[4:6], s[2:3], 0x4
	s_load_b64 s[0:1], s[2:3], 0xc4
	s_cmp_lt_u32 s30, 2
	s_wait_kmcnt 0x0
	v_mul_hi_u32 v6, s5, v1
	s_delay_alu instid0(VALU_DEP_1) | instskip(NEXT) | instid1(VALU_DEP_1)
	v_add_nc_u32_e32 v6, v1, v6
	v_lshrrev_b32_e32 v8, s6, v6
	s_delay_alu instid0(VALU_DEP_1) | instskip(NEXT) | instid1(VALU_DEP_1)
	v_mul_lo_u32 v6, v8, s4
	v_sub_nc_u32_e32 v1, v1, v6
	s_delay_alu instid0(VALU_DEP_1)
	v_mul_lo_u32 v7, v1, s1
	v_mul_lo_u32 v6, v1, s0
	s_cbranch_scc1 .LBB322_58
; %bb.57:
	s_clause 0x1
	s_load_b96 s[4:6], s[2:3], 0x10
	s_load_b64 s[0:1], s[2:3], 0xcc
	s_wait_kmcnt 0x0
	v_mul_hi_u32 v1, s5, v8
	s_delay_alu instid0(VALU_DEP_1) | instskip(NEXT) | instid1(VALU_DEP_1)
	v_add_nc_u32_e32 v1, v8, v1
	v_lshrrev_b32_e32 v1, s6, v1
	s_delay_alu instid0(VALU_DEP_1) | instskip(NEXT) | instid1(VALU_DEP_1)
	v_mul_lo_u32 v1, v1, s4
	v_sub_nc_u32_e32 v1, v8, v1
	s_delay_alu instid0(VALU_DEP_1)
	v_mad_u32 v6, v1, s0, v6
	v_mad_u32 v7, v1, s1, v7
.LBB322_58:
	v_cmp_ne_u32_e32 vcc_lo, 1, v14
	v_add_nc_u32_e32 v1, 0x180, v0
	s_cbranch_vccnz .LBB322_64
; %bb.59:
	s_cmp_lg_u32 s30, 0
	s_mov_b32 s8, 0
	s_cbranch_scc0 .LBB322_65
; %bb.60:
	s_min_u32 s1, s31, 15
	s_delay_alu instid0(SALU_CYCLE_1)
	s_add_co_i32 s1, s1, 1
	s_cmp_eq_u32 s31, 2
	s_cbranch_scc1 .LBB322_66
; %bb.61:
	v_dual_mov_b32 v8, 0 :: v_dual_mov_b32 v9, 0
	v_mov_b32_e32 v10, v1
	s_and_b32 s0, s1, 28
	s_add_nc_u64 s[4:5], s[2:3], 0xc4
	s_mov_b32 s9, 0
	s_mov_b64 s[6:7], s[2:3]
.LBB322_62:                             ; =>This Inner Loop Header: Depth=1
	s_clause 0x1
	s_load_b256 s[12:19], s[6:7], 0x4
	s_load_b128 s[36:39], s[6:7], 0x24
	s_load_b256 s[20:27], s[4:5], 0x0
	s_add_co_i32 s9, s9, 4
	s_wait_xcnt 0x0
	s_add_nc_u64 s[6:7], s[6:7], 48
	s_cmp_lg_u32 s0, s9
	s_add_nc_u64 s[4:5], s[4:5], 32
	s_wait_kmcnt 0x0
	v_mul_hi_u32 v11, s13, v10
	s_delay_alu instid0(VALU_DEP_1) | instskip(NEXT) | instid1(VALU_DEP_1)
	v_add_nc_u32_e32 v11, v10, v11
	v_lshrrev_b32_e32 v11, s14, v11
	s_delay_alu instid0(VALU_DEP_1) | instskip(NEXT) | instid1(VALU_DEP_1)
	v_mul_hi_u32 v12, s16, v11
	v_add_nc_u32_e32 v12, v11, v12
	s_delay_alu instid0(VALU_DEP_1) | instskip(NEXT) | instid1(VALU_DEP_1)
	v_lshrrev_b32_e32 v12, s17, v12
	v_mul_hi_u32 v13, s19, v12
	s_delay_alu instid0(VALU_DEP_1) | instskip(SKIP_1) | instid1(VALU_DEP_1)
	v_add_nc_u32_e32 v13, v12, v13
	v_mul_lo_u32 v15, v11, s12
	v_sub_nc_u32_e32 v10, v10, v15
	v_mul_lo_u32 v15, v12, s15
	s_delay_alu instid0(VALU_DEP_4) | instskip(NEXT) | instid1(VALU_DEP_3)
	v_lshrrev_b32_e32 v13, s36, v13
	v_mad_u32 v9, v10, s21, v9
	v_mad_u32 v8, v10, s20, v8
	s_delay_alu instid0(VALU_DEP_4) | instskip(NEXT) | instid1(VALU_DEP_4)
	v_sub_nc_u32_e32 v10, v11, v15
	v_mul_hi_u32 v17, s38, v13
	v_mul_lo_u32 v11, v13, s18
	s_delay_alu instid0(VALU_DEP_3) | instskip(SKIP_1) | instid1(VALU_DEP_3)
	v_mad_u32 v9, v10, s23, v9
	v_mad_u32 v8, v10, s22, v8
	v_dual_add_nc_u32 v15, v13, v17 :: v_dual_sub_nc_u32 v11, v12, v11
	s_delay_alu instid0(VALU_DEP_1) | instskip(NEXT) | instid1(VALU_DEP_2)
	v_lshrrev_b32_e32 v10, s39, v15
	v_mad_u32 v9, v11, s25, v9
	s_delay_alu instid0(VALU_DEP_4) | instskip(NEXT) | instid1(VALU_DEP_3)
	v_mad_u32 v8, v11, s24, v8
	v_mul_lo_u32 v12, v10, s37
	s_delay_alu instid0(VALU_DEP_1) | instskip(NEXT) | instid1(VALU_DEP_1)
	v_sub_nc_u32_e32 v11, v13, v12
	v_mad_u32 v9, v11, s27, v9
	s_delay_alu instid0(VALU_DEP_4)
	v_mad_u32 v8, v11, s26, v8
	s_cbranch_scc1 .LBB322_62
; %bb.63:
	s_and_b32 s6, s1, 3
	s_mov_b32 s1, 0
	s_cmp_eq_u32 s6, 0
	s_cbranch_scc0 .LBB322_67
	s_branch .LBB322_69
.LBB322_64:
	s_mov_b32 s8, -1
                                        ; implicit-def: $vgpr9
	s_branch .LBB322_69
.LBB322_65:
	v_dual_mov_b32 v9, 0 :: v_dual_mov_b32 v8, 0
	s_branch .LBB322_69
.LBB322_66:
	v_mov_b64_e32 v[8:9], 0
	v_mov_b32_e32 v10, v1
	s_mov_b32 s0, 0
	s_and_b32 s6, s1, 3
	s_mov_b32 s1, 0
	s_cmp_eq_u32 s6, 0
	s_cbranch_scc1 .LBB322_69
.LBB322_67:
	s_lshl_b32 s4, s0, 3
	s_mov_b32 s5, s1
	s_mul_u64 s[10:11], s[0:1], 12
	s_add_nc_u64 s[4:5], s[2:3], s[4:5]
	s_delay_alu instid0(SALU_CYCLE_1)
	s_add_nc_u64 s[0:1], s[4:5], 0xc4
	s_add_nc_u64 s[4:5], s[2:3], s[10:11]
.LBB322_68:                             ; =>This Inner Loop Header: Depth=1
	s_load_b96 s[12:14], s[4:5], 0x4
	s_load_b64 s[10:11], s[0:1], 0x0
	s_add_co_i32 s6, s6, -1
	s_wait_xcnt 0x0
	s_add_nc_u64 s[4:5], s[4:5], 12
	s_cmp_lg_u32 s6, 0
	s_add_nc_u64 s[0:1], s[0:1], 8
	s_wait_kmcnt 0x0
	v_mul_hi_u32 v11, s13, v10
	s_delay_alu instid0(VALU_DEP_1) | instskip(NEXT) | instid1(VALU_DEP_1)
	v_add_nc_u32_e32 v11, v10, v11
	v_lshrrev_b32_e32 v11, s14, v11
	s_delay_alu instid0(VALU_DEP_1) | instskip(NEXT) | instid1(VALU_DEP_1)
	v_mul_lo_u32 v12, v11, s12
	v_sub_nc_u32_e32 v10, v10, v12
	s_delay_alu instid0(VALU_DEP_1)
	v_mad_u32 v9, v10, s11, v9
	v_mad_u32 v8, v10, s10, v8
	v_mov_b32_e32 v10, v11
	s_cbranch_scc1 .LBB322_68
.LBB322_69:
	s_and_not1_b32 vcc_lo, exec_lo, s8
	s_cbranch_vccnz .LBB322_72
; %bb.70:
	s_clause 0x1
	s_load_b96 s[4:6], s[2:3], 0x4
	s_load_b64 s[0:1], s[2:3], 0xc4
	s_cmp_lt_u32 s30, 2
	s_wait_kmcnt 0x0
	v_mul_hi_u32 v8, s5, v1
	s_delay_alu instid0(VALU_DEP_1) | instskip(NEXT) | instid1(VALU_DEP_1)
	v_add_nc_u32_e32 v8, v1, v8
	v_lshrrev_b32_e32 v10, s6, v8
	s_delay_alu instid0(VALU_DEP_1) | instskip(NEXT) | instid1(VALU_DEP_1)
	v_mul_lo_u32 v8, v10, s4
	v_sub_nc_u32_e32 v1, v1, v8
	s_delay_alu instid0(VALU_DEP_1)
	v_mul_lo_u32 v9, v1, s1
	v_mul_lo_u32 v8, v1, s0
	s_cbranch_scc1 .LBB322_72
; %bb.71:
	s_clause 0x1
	s_load_b96 s[4:6], s[2:3], 0x10
	s_load_b64 s[0:1], s[2:3], 0xcc
	s_wait_kmcnt 0x0
	v_mul_hi_u32 v1, s5, v10
	s_delay_alu instid0(VALU_DEP_1) | instskip(NEXT) | instid1(VALU_DEP_1)
	v_add_nc_u32_e32 v1, v10, v1
	v_lshrrev_b32_e32 v1, s6, v1
	s_delay_alu instid0(VALU_DEP_1) | instskip(NEXT) | instid1(VALU_DEP_1)
	v_mul_lo_u32 v1, v1, s4
	v_sub_nc_u32_e32 v1, v10, v1
	s_delay_alu instid0(VALU_DEP_1)
	v_mad_u32 v8, v1, s0, v8
	v_mad_u32 v9, v1, s1, v9
.LBB322_72:
	v_cmp_ne_u32_e32 vcc_lo, 1, v14
	v_add_nc_u32_e32 v1, 0x200, v0
	s_cbranch_vccnz .LBB322_78
; %bb.73:
	s_cmp_lg_u32 s30, 0
	s_mov_b32 s8, 0
	s_cbranch_scc0 .LBB322_79
; %bb.74:
	s_min_u32 s1, s31, 15
	s_delay_alu instid0(SALU_CYCLE_1)
	s_add_co_i32 s1, s1, 1
	s_cmp_eq_u32 s31, 2
	s_cbranch_scc1 .LBB322_80
; %bb.75:
	v_dual_mov_b32 v10, 0 :: v_dual_mov_b32 v11, 0
	v_mov_b32_e32 v12, v1
	s_and_b32 s0, s1, 28
	s_add_nc_u64 s[4:5], s[2:3], 0xc4
	s_mov_b32 s9, 0
	s_mov_b64 s[6:7], s[2:3]
.LBB322_76:                             ; =>This Inner Loop Header: Depth=1
	s_clause 0x1
	s_load_b256 s[12:19], s[6:7], 0x4
	s_load_b128 s[36:39], s[6:7], 0x24
	s_load_b256 s[20:27], s[4:5], 0x0
	s_add_co_i32 s9, s9, 4
	s_wait_xcnt 0x0
	s_add_nc_u64 s[6:7], s[6:7], 48
	s_cmp_lg_u32 s0, s9
	s_add_nc_u64 s[4:5], s[4:5], 32
	s_wait_kmcnt 0x0
	v_mul_hi_u32 v13, s13, v12
	s_delay_alu instid0(VALU_DEP_1) | instskip(NEXT) | instid1(VALU_DEP_1)
	v_add_nc_u32_e32 v13, v12, v13
	v_lshrrev_b32_e32 v13, s14, v13
	s_delay_alu instid0(VALU_DEP_1) | instskip(NEXT) | instid1(VALU_DEP_1)
	v_mul_lo_u32 v18, v13, s12
	v_sub_nc_u32_e32 v12, v12, v18
	v_mul_hi_u32 v15, s16, v13
	s_delay_alu instid0(VALU_DEP_2) | instskip(SKIP_1) | instid1(VALU_DEP_3)
	v_mad_u32 v11, v12, s21, v11
	v_mad_u32 v10, v12, s20, v10
	v_add_nc_u32_e32 v15, v13, v15
	s_delay_alu instid0(VALU_DEP_1) | instskip(NEXT) | instid1(VALU_DEP_1)
	v_lshrrev_b32_e32 v15, s17, v15
	v_mul_hi_u32 v17, s19, v15
	v_mul_lo_u32 v18, v15, s15
	s_delay_alu instid0(VALU_DEP_1) | instskip(NEXT) | instid1(VALU_DEP_1)
	v_dual_add_nc_u32 v17, v15, v17 :: v_dual_sub_nc_u32 v12, v13, v18
	v_lshrrev_b32_e32 v17, s36, v17
	s_delay_alu instid0(VALU_DEP_2) | instskip(SKIP_1) | instid1(VALU_DEP_3)
	v_mad_u32 v11, v12, s23, v11
	v_mad_u32 v10, v12, s22, v10
	v_mul_hi_u32 v19, s38, v17
	v_mul_lo_u32 v13, v17, s18
	s_delay_alu instid0(VALU_DEP_1) | instskip(NEXT) | instid1(VALU_DEP_1)
	v_dual_add_nc_u32 v18, v17, v19 :: v_dual_sub_nc_u32 v13, v15, v13
	v_lshrrev_b32_e32 v12, s39, v18
	s_delay_alu instid0(VALU_DEP_2) | instskip(SKIP_1) | instid1(VALU_DEP_3)
	v_mad_u32 v11, v13, s25, v11
	v_mad_u32 v10, v13, s24, v10
	v_mul_lo_u32 v15, v12, s37
	s_delay_alu instid0(VALU_DEP_1) | instskip(NEXT) | instid1(VALU_DEP_1)
	v_sub_nc_u32_e32 v13, v17, v15
	v_mad_u32 v11, v13, s27, v11
	s_delay_alu instid0(VALU_DEP_4)
	v_mad_u32 v10, v13, s26, v10
	s_cbranch_scc1 .LBB322_76
; %bb.77:
	s_and_b32 s6, s1, 3
	s_mov_b32 s1, 0
	s_cmp_eq_u32 s6, 0
	s_cbranch_scc0 .LBB322_81
	s_branch .LBB322_83
.LBB322_78:
	s_mov_b32 s8, -1
                                        ; implicit-def: $vgpr11
	s_branch .LBB322_83
.LBB322_79:
	v_dual_mov_b32 v11, 0 :: v_dual_mov_b32 v10, 0
	s_branch .LBB322_83
.LBB322_80:
	v_mov_b64_e32 v[10:11], 0
	v_mov_b32_e32 v12, v1
	s_mov_b32 s0, 0
	s_and_b32 s6, s1, 3
	s_mov_b32 s1, 0
	s_cmp_eq_u32 s6, 0
	s_cbranch_scc1 .LBB322_83
.LBB322_81:
	s_lshl_b32 s4, s0, 3
	s_mov_b32 s5, s1
	s_mul_u64 s[10:11], s[0:1], 12
	s_add_nc_u64 s[4:5], s[2:3], s[4:5]
	s_delay_alu instid0(SALU_CYCLE_1)
	s_add_nc_u64 s[0:1], s[4:5], 0xc4
	s_add_nc_u64 s[4:5], s[2:3], s[10:11]
.LBB322_82:                             ; =>This Inner Loop Header: Depth=1
	s_load_b96 s[12:14], s[4:5], 0x4
	s_load_b64 s[10:11], s[0:1], 0x0
	s_add_co_i32 s6, s6, -1
	s_wait_xcnt 0x0
	s_add_nc_u64 s[4:5], s[4:5], 12
	s_cmp_lg_u32 s6, 0
	s_add_nc_u64 s[0:1], s[0:1], 8
	s_wait_kmcnt 0x0
	v_mul_hi_u32 v13, s13, v12
	s_delay_alu instid0(VALU_DEP_1) | instskip(NEXT) | instid1(VALU_DEP_1)
	v_add_nc_u32_e32 v13, v12, v13
	v_lshrrev_b32_e32 v13, s14, v13
	s_delay_alu instid0(VALU_DEP_1) | instskip(NEXT) | instid1(VALU_DEP_1)
	v_mul_lo_u32 v15, v13, s12
	v_sub_nc_u32_e32 v12, v12, v15
	s_delay_alu instid0(VALU_DEP_1)
	v_mad_u32 v11, v12, s11, v11
	v_mad_u32 v10, v12, s10, v10
	v_mov_b32_e32 v12, v13
	s_cbranch_scc1 .LBB322_82
.LBB322_83:
	s_and_not1_b32 vcc_lo, exec_lo, s8
	s_cbranch_vccnz .LBB322_86
; %bb.84:
	s_clause 0x1
	s_load_b96 s[4:6], s[2:3], 0x4
	s_load_b64 s[0:1], s[2:3], 0xc4
	s_cmp_lt_u32 s30, 2
	s_wait_kmcnt 0x0
	v_mul_hi_u32 v10, s5, v1
	s_delay_alu instid0(VALU_DEP_1) | instskip(NEXT) | instid1(VALU_DEP_1)
	v_add_nc_u32_e32 v10, v1, v10
	v_lshrrev_b32_e32 v12, s6, v10
	s_delay_alu instid0(VALU_DEP_1) | instskip(NEXT) | instid1(VALU_DEP_1)
	v_mul_lo_u32 v10, v12, s4
	v_sub_nc_u32_e32 v1, v1, v10
	s_delay_alu instid0(VALU_DEP_1)
	v_mul_lo_u32 v11, v1, s1
	v_mul_lo_u32 v10, v1, s0
	s_cbranch_scc1 .LBB322_86
; %bb.85:
	s_clause 0x1
	s_load_b96 s[4:6], s[2:3], 0x10
	s_load_b64 s[0:1], s[2:3], 0xcc
	s_wait_kmcnt 0x0
	v_mul_hi_u32 v1, s5, v12
	s_delay_alu instid0(VALU_DEP_1) | instskip(NEXT) | instid1(VALU_DEP_1)
	v_add_nc_u32_e32 v1, v12, v1
	v_lshrrev_b32_e32 v1, s6, v1
	s_delay_alu instid0(VALU_DEP_1) | instskip(NEXT) | instid1(VALU_DEP_1)
	v_mul_lo_u32 v1, v1, s4
	v_sub_nc_u32_e32 v1, v12, v1
	s_delay_alu instid0(VALU_DEP_1)
	v_mad_u32 v10, v1, s0, v10
	v_mad_u32 v11, v1, s1, v11
.LBB322_86:
	v_cmp_ne_u32_e32 vcc_lo, 1, v14
	v_add_nc_u32_e32 v1, 0x280, v0
	s_cbranch_vccnz .LBB322_92
; %bb.87:
	s_cmp_lg_u32 s30, 0
	s_mov_b32 s8, 0
	s_cbranch_scc0 .LBB322_93
; %bb.88:
	s_min_u32 s1, s31, 15
	s_delay_alu instid0(SALU_CYCLE_1)
	s_add_co_i32 s1, s1, 1
	s_cmp_eq_u32 s31, 2
	s_cbranch_scc1 .LBB322_94
; %bb.89:
	v_dual_mov_b32 v12, 0 :: v_dual_mov_b32 v13, 0
	v_mov_b32_e32 v15, v1
	s_and_b32 s0, s1, 28
	s_add_nc_u64 s[4:5], s[2:3], 0xc4
	s_mov_b32 s9, 0
	s_mov_b64 s[6:7], s[2:3]
.LBB322_90:                             ; =>This Inner Loop Header: Depth=1
	s_clause 0x1
	s_load_b256 s[12:19], s[6:7], 0x4
	s_load_b128 s[36:39], s[6:7], 0x24
	s_load_b256 s[20:27], s[4:5], 0x0
	s_add_co_i32 s9, s9, 4
	s_wait_xcnt 0x0
	s_add_nc_u64 s[6:7], s[6:7], 48
	s_cmp_lg_u32 s0, s9
	s_add_nc_u64 s[4:5], s[4:5], 32
	s_wait_kmcnt 0x0
	v_mul_hi_u32 v17, s13, v15
	s_delay_alu instid0(VALU_DEP_1) | instskip(NEXT) | instid1(VALU_DEP_1)
	v_add_nc_u32_e32 v17, v15, v17
	v_lshrrev_b32_e32 v17, s14, v17
	s_delay_alu instid0(VALU_DEP_1) | instskip(NEXT) | instid1(VALU_DEP_1)
	v_mul_hi_u32 v18, s16, v17
	v_add_nc_u32_e32 v18, v17, v18
	s_delay_alu instid0(VALU_DEP_1) | instskip(NEXT) | instid1(VALU_DEP_1)
	v_lshrrev_b32_e32 v18, s17, v18
	v_mul_hi_u32 v19, s19, v18
	s_delay_alu instid0(VALU_DEP_1) | instskip(SKIP_1) | instid1(VALU_DEP_1)
	v_add_nc_u32_e32 v19, v18, v19
	v_mul_lo_u32 v20, v17, s12
	v_sub_nc_u32_e32 v15, v15, v20
	v_mul_lo_u32 v20, v18, s15
	s_delay_alu instid0(VALU_DEP_4) | instskip(NEXT) | instid1(VALU_DEP_3)
	v_lshrrev_b32_e32 v19, s36, v19
	v_mad_u32 v13, v15, s21, v13
	v_mad_u32 v12, v15, s20, v12
	s_delay_alu instid0(VALU_DEP_4) | instskip(NEXT) | instid1(VALU_DEP_4)
	v_sub_nc_u32_e32 v15, v17, v20
	v_mul_hi_u32 v21, s38, v19
	v_mul_lo_u32 v17, v19, s18
	s_delay_alu instid0(VALU_DEP_3) | instskip(SKIP_1) | instid1(VALU_DEP_4)
	v_mad_u32 v13, v15, s23, v13
	v_mad_u32 v12, v15, s22, v12
	v_add_nc_u32_e32 v20, v19, v21
	s_delay_alu instid0(VALU_DEP_1) | instskip(NEXT) | instid1(VALU_DEP_1)
	v_dual_sub_nc_u32 v17, v18, v17 :: v_dual_lshrrev_b32 v15, s39, v20
	v_mad_u32 v13, v17, s25, v13
	s_delay_alu instid0(VALU_DEP_4) | instskip(NEXT) | instid1(VALU_DEP_3)
	v_mad_u32 v12, v17, s24, v12
	v_mul_lo_u32 v18, v15, s37
	s_delay_alu instid0(VALU_DEP_1) | instskip(NEXT) | instid1(VALU_DEP_1)
	v_sub_nc_u32_e32 v17, v19, v18
	v_mad_u32 v13, v17, s27, v13
	s_delay_alu instid0(VALU_DEP_4)
	v_mad_u32 v12, v17, s26, v12
	s_cbranch_scc1 .LBB322_90
; %bb.91:
	s_and_b32 s6, s1, 3
	s_mov_b32 s1, 0
	s_cmp_eq_u32 s6, 0
	s_cbranch_scc0 .LBB322_95
	s_branch .LBB322_97
.LBB322_92:
	s_mov_b32 s8, -1
                                        ; implicit-def: $vgpr13
	s_branch .LBB322_97
.LBB322_93:
	v_dual_mov_b32 v13, 0 :: v_dual_mov_b32 v12, 0
	s_branch .LBB322_97
.LBB322_94:
	v_mov_b64_e32 v[12:13], 0
	v_mov_b32_e32 v15, v1
	s_mov_b32 s0, 0
	s_and_b32 s6, s1, 3
	s_mov_b32 s1, 0
	s_cmp_eq_u32 s6, 0
	s_cbranch_scc1 .LBB322_97
.LBB322_95:
	s_lshl_b32 s4, s0, 3
	s_mov_b32 s5, s1
	s_mul_u64 s[10:11], s[0:1], 12
	s_add_nc_u64 s[4:5], s[2:3], s[4:5]
	s_delay_alu instid0(SALU_CYCLE_1)
	s_add_nc_u64 s[0:1], s[4:5], 0xc4
	s_add_nc_u64 s[4:5], s[2:3], s[10:11]
.LBB322_96:                             ; =>This Inner Loop Header: Depth=1
	s_load_b96 s[12:14], s[4:5], 0x4
	s_load_b64 s[10:11], s[0:1], 0x0
	s_add_co_i32 s6, s6, -1
	s_wait_xcnt 0x0
	s_add_nc_u64 s[4:5], s[4:5], 12
	s_cmp_lg_u32 s6, 0
	s_add_nc_u64 s[0:1], s[0:1], 8
	s_wait_kmcnt 0x0
	v_mul_hi_u32 v17, s13, v15
	s_delay_alu instid0(VALU_DEP_1) | instskip(NEXT) | instid1(VALU_DEP_1)
	v_add_nc_u32_e32 v17, v15, v17
	v_lshrrev_b32_e32 v17, s14, v17
	s_delay_alu instid0(VALU_DEP_1) | instskip(NEXT) | instid1(VALU_DEP_1)
	v_mul_lo_u32 v18, v17, s12
	v_sub_nc_u32_e32 v15, v15, v18
	s_delay_alu instid0(VALU_DEP_1)
	v_mad_u32 v13, v15, s11, v13
	v_mad_u32 v12, v15, s10, v12
	v_mov_b32_e32 v15, v17
	s_cbranch_scc1 .LBB322_96
.LBB322_97:
	s_and_not1_b32 vcc_lo, exec_lo, s8
	s_cbranch_vccnz .LBB322_100
; %bb.98:
	s_clause 0x1
	s_load_b96 s[4:6], s[2:3], 0x4
	s_load_b64 s[0:1], s[2:3], 0xc4
	s_cmp_lt_u32 s30, 2
	s_wait_kmcnt 0x0
	v_mul_hi_u32 v12, s5, v1
	s_delay_alu instid0(VALU_DEP_1) | instskip(NEXT) | instid1(VALU_DEP_1)
	v_add_nc_u32_e32 v12, v1, v12
	v_lshrrev_b32_e32 v15, s6, v12
	s_delay_alu instid0(VALU_DEP_1) | instskip(NEXT) | instid1(VALU_DEP_1)
	v_mul_lo_u32 v12, v15, s4
	v_sub_nc_u32_e32 v1, v1, v12
	s_delay_alu instid0(VALU_DEP_1)
	v_mul_lo_u32 v13, v1, s1
	v_mul_lo_u32 v12, v1, s0
	s_cbranch_scc1 .LBB322_100
; %bb.99:
	s_clause 0x1
	s_load_b96 s[4:6], s[2:3], 0x10
	s_load_b64 s[0:1], s[2:3], 0xcc
	s_wait_kmcnt 0x0
	v_mul_hi_u32 v1, s5, v15
	s_delay_alu instid0(VALU_DEP_1) | instskip(NEXT) | instid1(VALU_DEP_1)
	v_add_nc_u32_e32 v1, v15, v1
	v_lshrrev_b32_e32 v1, s6, v1
	s_delay_alu instid0(VALU_DEP_1) | instskip(NEXT) | instid1(VALU_DEP_1)
	v_mul_lo_u32 v1, v1, s4
	v_sub_nc_u32_e32 v1, v15, v1
	s_delay_alu instid0(VALU_DEP_1)
	v_mad_u32 v12, v1, s0, v12
	v_mad_u32 v13, v1, s1, v13
.LBB322_100:
	v_cmp_ne_u32_e32 vcc_lo, 1, v14
	v_add_nc_u32_e32 v15, 0x300, v0
	s_cbranch_vccnz .LBB322_106
; %bb.101:
	s_cmp_lg_u32 s30, 0
	s_mov_b32 s8, 0
	s_cbranch_scc0 .LBB322_107
; %bb.102:
	s_min_u32 s1, s31, 15
	s_delay_alu instid0(SALU_CYCLE_1)
	s_add_co_i32 s1, s1, 1
	s_cmp_eq_u32 s31, 2
	s_cbranch_scc1 .LBB322_108
; %bb.103:
	v_dual_mov_b32 v0, 0 :: v_dual_mov_b32 v1, 0
	v_mov_b32_e32 v17, v15
	s_and_b32 s0, s1, 28
	s_add_nc_u64 s[4:5], s[2:3], 0xc4
	s_mov_b32 s9, 0
	s_mov_b64 s[6:7], s[2:3]
.LBB322_104:                            ; =>This Inner Loop Header: Depth=1
	s_clause 0x1
	s_load_b256 s[12:19], s[6:7], 0x4
	s_load_b128 s[36:39], s[6:7], 0x24
	s_load_b256 s[20:27], s[4:5], 0x0
	s_add_co_i32 s9, s9, 4
	s_wait_xcnt 0x0
	s_add_nc_u64 s[6:7], s[6:7], 48
	s_cmp_lg_u32 s0, s9
	s_add_nc_u64 s[4:5], s[4:5], 32
	s_wait_kmcnt 0x0
	v_mul_hi_u32 v18, s13, v17
	s_delay_alu instid0(VALU_DEP_1) | instskip(NEXT) | instid1(VALU_DEP_1)
	v_add_nc_u32_e32 v18, v17, v18
	v_lshrrev_b32_e32 v18, s14, v18
	s_delay_alu instid0(VALU_DEP_1) | instskip(NEXT) | instid1(VALU_DEP_1)
	v_mul_hi_u32 v19, s16, v18
	v_add_nc_u32_e32 v19, v18, v19
	s_delay_alu instid0(VALU_DEP_1) | instskip(NEXT) | instid1(VALU_DEP_1)
	v_lshrrev_b32_e32 v19, s17, v19
	v_mul_hi_u32 v20, s19, v19
	s_delay_alu instid0(VALU_DEP_1) | instskip(SKIP_1) | instid1(VALU_DEP_1)
	v_add_nc_u32_e32 v20, v19, v20
	v_mul_lo_u32 v21, v18, s12
	v_sub_nc_u32_e32 v17, v17, v21
	v_mul_lo_u32 v21, v19, s15
	s_delay_alu instid0(VALU_DEP_4) | instskip(NEXT) | instid1(VALU_DEP_3)
	v_lshrrev_b32_e32 v20, s36, v20
	v_mad_u32 v1, v17, s21, v1
	v_mad_u32 v0, v17, s20, v0
	s_delay_alu instid0(VALU_DEP_4) | instskip(NEXT) | instid1(VALU_DEP_4)
	v_sub_nc_u32_e32 v17, v18, v21
	v_mul_hi_u32 v22, s38, v20
	v_mul_lo_u32 v18, v20, s18
	s_delay_alu instid0(VALU_DEP_3) | instskip(SKIP_1) | instid1(VALU_DEP_4)
	v_mad_u32 v1, v17, s23, v1
	v_mad_u32 v0, v17, s22, v0
	v_add_nc_u32_e32 v21, v20, v22
	s_delay_alu instid0(VALU_DEP_1) | instskip(NEXT) | instid1(VALU_DEP_1)
	v_dual_sub_nc_u32 v18, v19, v18 :: v_dual_lshrrev_b32 v17, s39, v21
	v_mad_u32 v1, v18, s25, v1
	s_delay_alu instid0(VALU_DEP_4) | instskip(NEXT) | instid1(VALU_DEP_3)
	v_mad_u32 v0, v18, s24, v0
	v_mul_lo_u32 v19, v17, s37
	s_delay_alu instid0(VALU_DEP_1) | instskip(NEXT) | instid1(VALU_DEP_1)
	v_sub_nc_u32_e32 v18, v20, v19
	v_mad_u32 v1, v18, s27, v1
	s_delay_alu instid0(VALU_DEP_4)
	v_mad_u32 v0, v18, s26, v0
	s_cbranch_scc1 .LBB322_104
; %bb.105:
	s_and_b32 s6, s1, 3
	s_mov_b32 s1, 0
	s_cmp_eq_u32 s6, 0
	s_cbranch_scc0 .LBB322_109
	s_branch .LBB322_111
.LBB322_106:
	s_mov_b32 s8, -1
                                        ; implicit-def: $vgpr1
	s_branch .LBB322_111
.LBB322_107:
	v_dual_mov_b32 v1, 0 :: v_dual_mov_b32 v0, 0
	s_branch .LBB322_111
.LBB322_108:
	v_mov_b64_e32 v[0:1], 0
	v_mov_b32_e32 v17, v15
	s_mov_b32 s0, 0
	s_and_b32 s6, s1, 3
	s_mov_b32 s1, 0
	s_cmp_eq_u32 s6, 0
	s_cbranch_scc1 .LBB322_111
.LBB322_109:
	s_lshl_b32 s4, s0, 3
	s_mov_b32 s5, s1
	s_mul_u64 s[10:11], s[0:1], 12
	s_add_nc_u64 s[4:5], s[2:3], s[4:5]
	s_delay_alu instid0(SALU_CYCLE_1)
	s_add_nc_u64 s[0:1], s[4:5], 0xc4
	s_add_nc_u64 s[4:5], s[2:3], s[10:11]
.LBB322_110:                            ; =>This Inner Loop Header: Depth=1
	s_load_b96 s[12:14], s[4:5], 0x4
	s_load_b64 s[10:11], s[0:1], 0x0
	s_add_co_i32 s6, s6, -1
	s_wait_xcnt 0x0
	s_add_nc_u64 s[4:5], s[4:5], 12
	s_cmp_lg_u32 s6, 0
	s_add_nc_u64 s[0:1], s[0:1], 8
	s_wait_kmcnt 0x0
	v_mul_hi_u32 v18, s13, v17
	s_delay_alu instid0(VALU_DEP_1) | instskip(NEXT) | instid1(VALU_DEP_1)
	v_add_nc_u32_e32 v18, v17, v18
	v_lshrrev_b32_e32 v18, s14, v18
	s_delay_alu instid0(VALU_DEP_1) | instskip(NEXT) | instid1(VALU_DEP_1)
	v_mul_lo_u32 v19, v18, s12
	v_sub_nc_u32_e32 v17, v17, v19
	s_delay_alu instid0(VALU_DEP_1)
	v_mad_u32 v1, v17, s11, v1
	v_mad_u32 v0, v17, s10, v0
	v_mov_b32_e32 v17, v18
	s_cbranch_scc1 .LBB322_110
.LBB322_111:
	s_and_not1_b32 vcc_lo, exec_lo, s8
	s_cbranch_vccnz .LBB322_114
; %bb.112:
	s_clause 0x1
	s_load_b96 s[4:6], s[2:3], 0x4
	s_load_b64 s[0:1], s[2:3], 0xc4
	s_cmp_lt_u32 s30, 2
	s_wait_kmcnt 0x0
	v_mul_hi_u32 v0, s5, v15
	s_delay_alu instid0(VALU_DEP_1) | instskip(NEXT) | instid1(VALU_DEP_1)
	v_add_nc_u32_e32 v0, v15, v0
	v_lshrrev_b32_e32 v17, s6, v0
	s_delay_alu instid0(VALU_DEP_1) | instskip(NEXT) | instid1(VALU_DEP_1)
	v_mul_lo_u32 v0, v17, s4
	v_sub_nc_u32_e32 v0, v15, v0
	s_delay_alu instid0(VALU_DEP_1)
	v_mul_lo_u32 v1, v0, s1
	v_mul_lo_u32 v0, v0, s0
	s_cbranch_scc1 .LBB322_114
; %bb.113:
	s_clause 0x1
	s_load_b96 s[4:6], s[2:3], 0x10
	s_load_b64 s[0:1], s[2:3], 0xcc
	s_wait_kmcnt 0x0
	v_mul_hi_u32 v15, s5, v17
	s_delay_alu instid0(VALU_DEP_1) | instskip(NEXT) | instid1(VALU_DEP_1)
	v_add_nc_u32_e32 v15, v17, v15
	v_lshrrev_b32_e32 v15, s6, v15
	s_delay_alu instid0(VALU_DEP_1) | instskip(NEXT) | instid1(VALU_DEP_1)
	v_mul_lo_u32 v15, v15, s4
	v_sub_nc_u32_e32 v15, v17, v15
	s_delay_alu instid0(VALU_DEP_1)
	v_mad_u32 v0, v15, s0, v0
	v_mad_u32 v1, v15, s1, v1
.LBB322_114:
	v_cmp_ne_u32_e32 vcc_lo, 1, v14
	s_cbranch_vccnz .LBB322_120
; %bb.115:
	s_cmp_lg_u32 s30, 0
	s_mov_b32 s8, 0
	s_cbranch_scc0 .LBB322_121
; %bb.116:
	s_min_u32 s1, s31, 15
	s_delay_alu instid0(SALU_CYCLE_1)
	s_add_co_i32 s1, s1, 1
	s_cmp_eq_u32 s31, 2
	s_cbranch_scc1 .LBB322_122
; %bb.117:
	v_dual_mov_b32 v14, 0 :: v_dual_mov_b32 v15, 0
	v_mov_b32_e32 v17, v16
	s_and_b32 s0, s1, 28
	s_add_nc_u64 s[4:5], s[2:3], 0xc4
	s_mov_b32 s9, 0
	s_mov_b64 s[6:7], s[2:3]
.LBB322_118:                            ; =>This Inner Loop Header: Depth=1
	s_clause 0x1
	s_load_b256 s[12:19], s[6:7], 0x4
	s_load_b128 s[36:39], s[6:7], 0x24
	s_load_b256 s[20:27], s[4:5], 0x0
	s_add_co_i32 s9, s9, 4
	s_wait_xcnt 0x0
	s_add_nc_u64 s[6:7], s[6:7], 48
	s_cmp_lg_u32 s0, s9
	s_add_nc_u64 s[4:5], s[4:5], 32
	s_wait_kmcnt 0x0
	v_mul_hi_u32 v18, s13, v17
	s_delay_alu instid0(VALU_DEP_1) | instskip(NEXT) | instid1(VALU_DEP_1)
	v_add_nc_u32_e32 v18, v17, v18
	v_lshrrev_b32_e32 v18, s14, v18
	s_delay_alu instid0(VALU_DEP_1) | instskip(NEXT) | instid1(VALU_DEP_1)
	v_mul_hi_u32 v19, s16, v18
	v_add_nc_u32_e32 v19, v18, v19
	s_delay_alu instid0(VALU_DEP_1) | instskip(NEXT) | instid1(VALU_DEP_1)
	v_lshrrev_b32_e32 v19, s17, v19
	v_mul_hi_u32 v20, s19, v19
	s_delay_alu instid0(VALU_DEP_1) | instskip(SKIP_1) | instid1(VALU_DEP_1)
	v_add_nc_u32_e32 v20, v19, v20
	v_mul_lo_u32 v21, v18, s12
	v_sub_nc_u32_e32 v17, v17, v21
	v_mul_lo_u32 v21, v19, s15
	s_delay_alu instid0(VALU_DEP_4) | instskip(NEXT) | instid1(VALU_DEP_3)
	v_lshrrev_b32_e32 v20, s36, v20
	v_mad_u32 v15, v17, s21, v15
	v_mad_u32 v14, v17, s20, v14
	s_delay_alu instid0(VALU_DEP_4) | instskip(NEXT) | instid1(VALU_DEP_4)
	v_sub_nc_u32_e32 v17, v18, v21
	v_mul_hi_u32 v22, s38, v20
	v_mul_lo_u32 v18, v20, s18
	s_delay_alu instid0(VALU_DEP_3) | instskip(SKIP_1) | instid1(VALU_DEP_4)
	v_mad_u32 v15, v17, s23, v15
	v_mad_u32 v14, v17, s22, v14
	v_add_nc_u32_e32 v21, v20, v22
	s_delay_alu instid0(VALU_DEP_1) | instskip(NEXT) | instid1(VALU_DEP_1)
	v_dual_sub_nc_u32 v18, v19, v18 :: v_dual_lshrrev_b32 v17, s39, v21
	v_mad_u32 v15, v18, s25, v15
	s_delay_alu instid0(VALU_DEP_4) | instskip(NEXT) | instid1(VALU_DEP_3)
	v_mad_u32 v14, v18, s24, v14
	v_mul_lo_u32 v19, v17, s37
	s_delay_alu instid0(VALU_DEP_1) | instskip(NEXT) | instid1(VALU_DEP_1)
	v_sub_nc_u32_e32 v18, v20, v19
	v_mad_u32 v15, v18, s27, v15
	s_delay_alu instid0(VALU_DEP_4)
	v_mad_u32 v14, v18, s26, v14
	s_cbranch_scc1 .LBB322_118
; %bb.119:
	s_and_b32 s6, s1, 3
	s_mov_b32 s1, 0
	s_cmp_eq_u32 s6, 0
	s_cbranch_scc0 .LBB322_123
	s_branch .LBB322_125
.LBB322_120:
	s_mov_b32 s8, -1
                                        ; implicit-def: $vgpr15
	s_branch .LBB322_125
.LBB322_121:
	v_dual_mov_b32 v15, 0 :: v_dual_mov_b32 v14, 0
	s_branch .LBB322_125
.LBB322_122:
	v_mov_b64_e32 v[14:15], 0
	v_mov_b32_e32 v17, v16
	s_mov_b32 s0, 0
	s_and_b32 s6, s1, 3
	s_mov_b32 s1, 0
	s_cmp_eq_u32 s6, 0
	s_cbranch_scc1 .LBB322_125
.LBB322_123:
	s_lshl_b32 s4, s0, 3
	s_mov_b32 s5, s1
	s_mul_u64 s[10:11], s[0:1], 12
	s_add_nc_u64 s[4:5], s[2:3], s[4:5]
	s_delay_alu instid0(SALU_CYCLE_1)
	s_add_nc_u64 s[0:1], s[4:5], 0xc4
	s_add_nc_u64 s[4:5], s[2:3], s[10:11]
.LBB322_124:                            ; =>This Inner Loop Header: Depth=1
	s_load_b96 s[12:14], s[4:5], 0x4
	s_load_b64 s[10:11], s[0:1], 0x0
	s_add_co_i32 s6, s6, -1
	s_wait_xcnt 0x0
	s_add_nc_u64 s[4:5], s[4:5], 12
	s_cmp_lg_u32 s6, 0
	s_add_nc_u64 s[0:1], s[0:1], 8
	s_wait_kmcnt 0x0
	v_mul_hi_u32 v18, s13, v17
	s_delay_alu instid0(VALU_DEP_1) | instskip(NEXT) | instid1(VALU_DEP_1)
	v_add_nc_u32_e32 v18, v17, v18
	v_lshrrev_b32_e32 v18, s14, v18
	s_delay_alu instid0(VALU_DEP_1) | instskip(NEXT) | instid1(VALU_DEP_1)
	v_mul_lo_u32 v19, v18, s12
	v_sub_nc_u32_e32 v17, v17, v19
	s_delay_alu instid0(VALU_DEP_1)
	v_mad_u32 v15, v17, s11, v15
	v_mad_u32 v14, v17, s10, v14
	v_mov_b32_e32 v17, v18
	s_cbranch_scc1 .LBB322_124
.LBB322_125:
	s_and_not1_b32 vcc_lo, exec_lo, s8
	s_cbranch_vccnz .LBB322_128
; %bb.126:
	s_clause 0x1
	s_load_b96 s[4:6], s[2:3], 0x4
	s_load_b64 s[0:1], s[2:3], 0xc4
	s_cmp_lt_u32 s30, 2
	s_wait_kmcnt 0x0
	v_mul_hi_u32 v14, s5, v16
	s_delay_alu instid0(VALU_DEP_1) | instskip(NEXT) | instid1(VALU_DEP_1)
	v_add_nc_u32_e32 v14, v16, v14
	v_lshrrev_b32_e32 v17, s6, v14
	s_delay_alu instid0(VALU_DEP_1) | instskip(NEXT) | instid1(VALU_DEP_1)
	v_mul_lo_u32 v14, v17, s4
	v_sub_nc_u32_e32 v14, v16, v14
	s_delay_alu instid0(VALU_DEP_1)
	v_mul_lo_u32 v15, v14, s1
	v_mul_lo_u32 v14, v14, s0
	s_cbranch_scc1 .LBB322_128
; %bb.127:
	s_clause 0x1
	s_load_b96 s[4:6], s[2:3], 0x10
	s_load_b64 s[0:1], s[2:3], 0xcc
	s_wait_kmcnt 0x0
	v_mul_hi_u32 v16, s5, v17
	s_delay_alu instid0(VALU_DEP_1) | instskip(NEXT) | instid1(VALU_DEP_1)
	v_add_nc_u32_e32 v16, v17, v16
	v_lshrrev_b32_e32 v16, s6, v16
	s_delay_alu instid0(VALU_DEP_1) | instskip(NEXT) | instid1(VALU_DEP_1)
	v_mul_lo_u32 v16, v16, s4
	v_sub_nc_u32_e32 v16, v17, v16
	s_delay_alu instid0(VALU_DEP_1)
	v_mad_u32 v14, v16, s0, v14
	v_mad_u32 v15, v16, s1, v15
.LBB322_128:
	s_clause 0x1
	s_load_b128 s[4:7], s[2:3], 0x148
	s_load_b64 s[0:1], s[2:3], 0x158
	s_wait_kmcnt 0x0
	s_clause 0x7
	global_load_u8 v16, v3, s[6:7]
	global_load_u8 v17, v5, s[6:7]
	;; [unrolled: 1-line block ×8, first 2 shown]
	s_and_b32 s1, s1, 0xff
	s_cmp_eq_u32 s0, 0
	s_cselect_b32 vcc_lo, -1, 0
	s_lshl_b32 s0, s1, 23
	s_cmp_lg_u32 s1, 0xff
	s_cselect_b32 s0, s0, 0x7f800001
	s_cmp_lg_u32 s1, 0
	s_cselect_b32 s1, s0, 0x400000
	s_wait_loadcnt 0x6
	s_wait_xcnt 0x1
	v_dual_lshlrev_b32 v1, 23, v16 :: v_dual_lshlrev_b32 v3, 23, v17
	v_cmp_ne_u32_e64 s0, 0xff, v16
	s_wait_loadcnt 0x4
	v_dual_lshlrev_b32 v5, 23, v18 :: v_dual_lshlrev_b32 v7, 23, v19
	s_wait_loadcnt 0x2
	v_dual_lshlrev_b32 v9, 23, v20 :: v_dual_lshlrev_b32 v11, 23, v21
	v_cndmask_b32_e64 v1, 0x7f800001, v1, s0
	v_cmp_ne_u32_e64 s0, 0xff, v17
	s_wait_loadcnt 0x0
	v_dual_lshlrev_b32 v13, 23, v22 :: v_dual_lshlrev_b32 v15, 23, v23
	s_delay_alu instid0(VALU_DEP_2) | instskip(SKIP_1) | instid1(VALU_DEP_1)
	v_cndmask_b32_e64 v3, 0x7f800001, v3, s0
	v_cmp_ne_u32_e64 s0, 0xff, v18
	v_cndmask_b32_e64 v5, 0x7f800001, v5, s0
	v_cmp_ne_u32_e64 s0, 0xff, v19
	s_delay_alu instid0(VALU_DEP_1) | instskip(SKIP_1) | instid1(VALU_DEP_1)
	v_cndmask_b32_e64 v7, 0x7f800001, v7, s0
	v_cmp_ne_u32_e64 s0, 0xff, v20
	v_cndmask_b32_e64 v9, 0x7f800001, v9, s0
	v_cmp_ne_u32_e64 s0, 0xff, v21
	s_delay_alu instid0(VALU_DEP_1) | instskip(SKIP_1) | instid1(VALU_DEP_1)
	;; [unrolled: 5-line block ×7, first 2 shown]
	v_cndmask_b32_e64 v15, 0x400000, v15, s0
	v_cmp_eq_f32_e64 s0, s1, v1
	v_cndmask_b32_e64 v16, 0, 1, s0
	v_cmp_neq_f32_e64 s0, s1, v1
	s_delay_alu instid0(VALU_DEP_1) | instskip(SKIP_1) | instid1(VALU_DEP_1)
	v_cndmask_b32_e64 v1, 0, 1, s0
	v_cmp_eq_f32_e64 s0, s1, v3
	v_cndmask_b32_e64 v17, 0, 1, s0
	v_cmp_neq_f32_e64 s0, s1, v3
	s_delay_alu instid0(VALU_DEP_1) | instskip(SKIP_1) | instid1(VALU_DEP_2)
	v_cndmask_b32_e64 v3, 0, 1, s0
	v_cmp_eq_f32_e64 s0, s1, v5
	v_dual_cndmask_b32 v1, v1, v16, vcc_lo :: v_dual_cndmask_b32 v3, v3, v17, vcc_lo
	s_delay_alu instid0(VALU_DEP_2) | instskip(SKIP_1) | instid1(VALU_DEP_3)
	v_cndmask_b32_e64 v18, 0, 1, s0
	v_cmp_neq_f32_e64 s0, s1, v5
	v_and_b32_e32 v1, 1, v1
	s_delay_alu instid0(VALU_DEP_4) | instskip(NEXT) | instid1(VALU_DEP_3)
	v_and_b32_e32 v3, 1, v3
	v_cndmask_b32_e64 v5, 0, 1, s0
	v_cmp_eq_f32_e64 s0, s1, v7
	s_delay_alu instid0(VALU_DEP_1) | instskip(SKIP_1) | instid1(VALU_DEP_1)
	v_cndmask_b32_e64 v19, 0, 1, s0
	v_cmp_neq_f32_e64 s0, s1, v7
	v_cndmask_b32_e64 v7, 0, 1, s0
	v_cmp_eq_f32_e64 s0, s1, v9
	s_delay_alu instid0(VALU_DEP_2) | instskip(NEXT) | instid1(VALU_DEP_2)
	v_dual_cndmask_b32 v5, v5, v18, vcc_lo :: v_dual_cndmask_b32 v7, v7, v19, vcc_lo
	v_cndmask_b32_e64 v20, 0, 1, s0
	v_cmp_neq_f32_e64 s0, s1, v9
	s_delay_alu instid0(VALU_DEP_3) | instskip(NEXT) | instid1(VALU_DEP_4)
	v_and_b32_e32 v5, 1, v5
	v_and_b32_e32 v7, 1, v7
	s_delay_alu instid0(VALU_DEP_3) | instskip(SKIP_1) | instid1(VALU_DEP_1)
	v_cndmask_b32_e64 v9, 0, 1, s0
	v_cmp_eq_f32_e64 s0, s1, v11
	v_cndmask_b32_e64 v21, 0, 1, s0
	v_cmp_neq_f32_e64 s0, s1, v11
	s_delay_alu instid0(VALU_DEP_1) | instskip(SKIP_1) | instid1(VALU_DEP_2)
	v_cndmask_b32_e64 v11, 0, 1, s0
	v_cmp_eq_f32_e64 s0, s1, v13
	v_dual_cndmask_b32 v9, v9, v20, vcc_lo :: v_dual_cndmask_b32 v11, v11, v21, vcc_lo
	s_delay_alu instid0(VALU_DEP_2) | instskip(SKIP_1) | instid1(VALU_DEP_3)
	v_cndmask_b32_e64 v22, 0, 1, s0
	v_cmp_neq_f32_e64 s0, s1, v13
	v_and_b32_e32 v9, 1, v9
	s_delay_alu instid0(VALU_DEP_4) | instskip(NEXT) | instid1(VALU_DEP_3)
	v_and_b32_e32 v11, 1, v11
	v_cndmask_b32_e64 v13, 0, 1, s0
	v_cmp_eq_f32_e64 s0, s1, v15
	s_delay_alu instid0(VALU_DEP_1) | instskip(SKIP_1) | instid1(VALU_DEP_1)
	v_cndmask_b32_e64 v23, 0, 1, s0
	v_cmp_neq_f32_e64 s0, s1, v15
	v_cndmask_b32_e64 v15, 0, 1, s0
	s_delay_alu instid0(VALU_DEP_1) | instskip(NEXT) | instid1(VALU_DEP_1)
	v_dual_cndmask_b32 v13, v13, v22, vcc_lo :: v_dual_cndmask_b32 v15, v15, v23, vcc_lo
	v_and_b32_e32 v13, 1, v13
	s_delay_alu instid0(VALU_DEP_2)
	v_and_b32_e32 v15, 1, v15
	s_clause 0x7
	global_store_b8 v2, v1, s[4:5]
	global_store_b8 v4, v3, s[4:5]
	;; [unrolled: 1-line block ×8, first 2 shown]
	s_endpgm
.LBB322_129:
	v_dual_mov_b32 v3, 0 :: v_dual_mov_b32 v2, 0
	s_branch .LBB322_135
.LBB322_130:
	v_dual_mov_b32 v3, 0 :: v_dual_mov_b32 v2, 0
	s_branch .LBB322_151
.LBB322_131:
	v_mov_b64_e32 v[2:3], 0
	v_mov_b32_e32 v1, v0
	s_mov_b32 s24, 0
.LBB322_132:
	s_and_b32 s28, s25, 3
	s_mov_b32 s25, 0
	s_cmp_eq_u32 s28, 0
	s_cbranch_scc1 .LBB322_135
; %bb.133:
	s_lshl_b32 s26, s24, 3
	s_mov_b32 s27, s25
	s_mul_u64 s[38:39], s[24:25], 12
	s_add_nc_u64 s[26:27], s[2:3], s[26:27]
	s_delay_alu instid0(SALU_CYCLE_1)
	s_add_nc_u64 s[24:25], s[26:27], 0xc4
	s_add_nc_u64 s[26:27], s[2:3], s[38:39]
.LBB322_134:                            ; =>This Inner Loop Header: Depth=1
	s_load_b96 s[40:42], s[26:27], 0x4
	s_load_b64 s[38:39], s[24:25], 0x0
	s_add_co_i32 s28, s28, -1
	s_wait_xcnt 0x0
	s_add_nc_u64 s[26:27], s[26:27], 12
	s_cmp_lg_u32 s28, 0
	s_add_nc_u64 s[24:25], s[24:25], 8
	s_wait_kmcnt 0x0
	v_mul_hi_u32 v4, s41, v1
	s_delay_alu instid0(VALU_DEP_1) | instskip(NEXT) | instid1(VALU_DEP_1)
	v_add_nc_u32_e32 v4, v1, v4
	v_lshrrev_b32_e32 v4, s42, v4
	s_delay_alu instid0(VALU_DEP_1) | instskip(NEXT) | instid1(VALU_DEP_1)
	v_mul_lo_u32 v5, v4, s40
	v_sub_nc_u32_e32 v1, v1, v5
	s_delay_alu instid0(VALU_DEP_1)
	v_mad_u32 v3, v1, s39, v3
	v_mad_u32 v2, v1, s38, v2
	v_mov_b32_e32 v1, v4
	s_cbranch_scc1 .LBB322_134
.LBB322_135:
	s_cbranch_execnz .LBB322_138
.LBB322_136:
	v_mov_b32_e32 v1, 0
	s_and_not1_b32 vcc_lo, exec_lo, s34
	s_delay_alu instid0(VALU_DEP_1) | instskip(NEXT) | instid1(VALU_DEP_1)
	v_mul_u64_e32 v[2:3], s[16:17], v[0:1]
	v_add_nc_u32_e32 v2, v0, v3
	s_delay_alu instid0(VALU_DEP_1) | instskip(NEXT) | instid1(VALU_DEP_1)
	v_lshrrev_b32_e32 v4, s14, v2
	v_mul_lo_u32 v2, v4, s12
	s_delay_alu instid0(VALU_DEP_1) | instskip(NEXT) | instid1(VALU_DEP_1)
	v_sub_nc_u32_e32 v2, v0, v2
	v_mul_lo_u32 v3, v2, s9
	v_mul_lo_u32 v2, v2, s8
	s_cbranch_vccnz .LBB322_138
; %bb.137:
	v_mov_b32_e32 v5, v1
	s_delay_alu instid0(VALU_DEP_1) | instskip(NEXT) | instid1(VALU_DEP_1)
	v_mul_u64_e32 v[6:7], s[20:21], v[4:5]
	v_add_nc_u32_e32 v1, v4, v7
	s_delay_alu instid0(VALU_DEP_1) | instskip(NEXT) | instid1(VALU_DEP_1)
	v_lshrrev_b32_e32 v1, s19, v1
	v_mul_lo_u32 v1, v1, s15
	s_delay_alu instid0(VALU_DEP_1) | instskip(NEXT) | instid1(VALU_DEP_1)
	v_sub_nc_u32_e32 v1, v4, v1
	v_mad_u32 v2, v1, s10, v2
	v_mad_u32 v3, v1, s11, v3
.LBB322_138:
	global_load_u8 v1, v3, s[6:7]
	v_add_nc_u32_e32 v0, 0x80, v0
	s_wait_loadcnt 0x0
	v_lshlrev_b32_e32 v3, 23, v1
	v_cmp_ne_u32_e32 vcc_lo, 0xff, v1
	s_delay_alu instid0(VALU_DEP_2) | instskip(SKIP_1) | instid1(VALU_DEP_2)
	v_cndmask_b32_e32 v3, 0x7f800001, v3, vcc_lo
	v_cmp_ne_u32_e32 vcc_lo, 0, v1
	v_cndmask_b32_e32 v1, 0x400000, v3, vcc_lo
	s_delay_alu instid0(VALU_DEP_1) | instskip(SKIP_3) | instid1(VALU_DEP_1)
	v_cmp_eq_f32_e32 vcc_lo, s13, v1
	v_cndmask_b32_e64 v3, 0, 1, vcc_lo
	v_cmp_neq_f32_e32 vcc_lo, s13, v1
	v_cndmask_b32_e64 v1, 0, 1, vcc_lo
	v_cndmask_b32_e64 v1, v1, v3, s0
	s_delay_alu instid0(VALU_DEP_1) | instskip(SKIP_3) | instid1(SALU_CYCLE_1)
	v_and_b32_e32 v1, 1, v1
	global_store_b8 v2, v1, s[4:5]
	s_wait_xcnt 0x0
	s_or_b32 exec_lo, exec_lo, s18
	s_mov_b32 s18, exec_lo
	v_cmpx_gt_i32_e64 s35, v0
	s_cbranch_execnz .LBB322_15
.LBB322_139:
	s_or_b32 exec_lo, exec_lo, s18
	s_delay_alu instid0(SALU_CYCLE_1)
	s_mov_b32 s18, exec_lo
	v_cmpx_gt_i32_e64 s35, v0
	s_cbranch_execz .LBB322_155
.LBB322_140:
	s_and_not1_b32 vcc_lo, exec_lo, s1
	s_cbranch_vccnz .LBB322_145
; %bb.141:
	s_and_not1_b32 vcc_lo, exec_lo, s37
	s_cbranch_vccnz .LBB322_146
; %bb.142:
	s_add_co_i32 s25, s36, 1
	s_cmp_eq_u32 s31, 2
	s_cbranch_scc1 .LBB322_163
; %bb.143:
	v_dual_mov_b32 v2, 0 :: v_dual_mov_b32 v3, 0
	v_mov_b32_e32 v1, v0
	s_and_b32 s24, s25, 28
	s_mov_b32 s38, 0
	s_mov_b64 s[26:27], s[2:3]
	s_mov_b64 s[28:29], s[22:23]
.LBB322_144:                            ; =>This Inner Loop Header: Depth=1
	s_clause 0x1
	s_load_b256 s[40:47], s[26:27], 0x4
	s_load_b128 s[56:59], s[26:27], 0x24
	s_load_b256 s[48:55], s[28:29], 0x0
	s_add_co_i32 s38, s38, 4
	s_wait_xcnt 0x0
	s_add_nc_u64 s[26:27], s[26:27], 48
	s_cmp_eq_u32 s24, s38
	s_add_nc_u64 s[28:29], s[28:29], 32
	s_wait_kmcnt 0x0
	v_mul_hi_u32 v4, s41, v1
	s_delay_alu instid0(VALU_DEP_1) | instskip(NEXT) | instid1(VALU_DEP_1)
	v_add_nc_u32_e32 v4, v1, v4
	v_lshrrev_b32_e32 v4, s42, v4
	s_delay_alu instid0(VALU_DEP_1) | instskip(NEXT) | instid1(VALU_DEP_1)
	v_mul_hi_u32 v5, s44, v4
	v_add_nc_u32_e32 v5, v4, v5
	s_delay_alu instid0(VALU_DEP_1) | instskip(NEXT) | instid1(VALU_DEP_1)
	v_lshrrev_b32_e32 v5, s45, v5
	v_mul_hi_u32 v6, s47, v5
	s_delay_alu instid0(VALU_DEP_1) | instskip(SKIP_1) | instid1(VALU_DEP_1)
	v_add_nc_u32_e32 v6, v5, v6
	v_mul_lo_u32 v7, v4, s40
	v_sub_nc_u32_e32 v1, v1, v7
	v_mul_lo_u32 v7, v5, s43
	s_delay_alu instid0(VALU_DEP_4) | instskip(NEXT) | instid1(VALU_DEP_3)
	v_lshrrev_b32_e32 v6, s56, v6
	v_mad_u32 v3, v1, s49, v3
	v_mad_u32 v1, v1, s48, v2
	s_delay_alu instid0(VALU_DEP_4) | instskip(NEXT) | instid1(VALU_DEP_4)
	v_sub_nc_u32_e32 v2, v4, v7
	v_mul_hi_u32 v8, s58, v6
	v_mul_lo_u32 v4, v6, s46
	s_delay_alu instid0(VALU_DEP_3) | instskip(SKIP_1) | instid1(VALU_DEP_4)
	v_mad_u32 v3, v2, s51, v3
	v_mad_u32 v2, v2, s50, v1
	v_add_nc_u32_e32 v7, v6, v8
	s_delay_alu instid0(VALU_DEP_1) | instskip(NEXT) | instid1(VALU_DEP_1)
	v_dual_sub_nc_u32 v4, v5, v4 :: v_dual_lshrrev_b32 v1, s59, v7
	v_mad_u32 v3, v4, s53, v3
	s_delay_alu instid0(VALU_DEP_4) | instskip(NEXT) | instid1(VALU_DEP_3)
	v_mad_u32 v2, v4, s52, v2
	v_mul_lo_u32 v5, v1, s57
	s_delay_alu instid0(VALU_DEP_1) | instskip(NEXT) | instid1(VALU_DEP_1)
	v_sub_nc_u32_e32 v4, v6, v5
	v_mad_u32 v3, v4, s55, v3
	s_delay_alu instid0(VALU_DEP_4)
	v_mad_u32 v2, v4, s54, v2
	s_cbranch_scc0 .LBB322_144
	s_branch .LBB322_164
.LBB322_145:
                                        ; implicit-def: $vgpr3
	s_branch .LBB322_168
.LBB322_146:
	v_dual_mov_b32 v3, 0 :: v_dual_mov_b32 v2, 0
	s_branch .LBB322_167
.LBB322_147:
	v_mov_b64_e32 v[2:3], 0
	v_mov_b32_e32 v1, v0
	s_mov_b32 s24, 0
.LBB322_148:
	s_and_b32 s28, s25, 3
	s_mov_b32 s25, 0
	s_cmp_eq_u32 s28, 0
	s_cbranch_scc1 .LBB322_151
; %bb.149:
	s_lshl_b32 s26, s24, 3
	s_mov_b32 s27, s25
	s_mul_u64 s[38:39], s[24:25], 12
	s_add_nc_u64 s[26:27], s[2:3], s[26:27]
	s_delay_alu instid0(SALU_CYCLE_1)
	s_add_nc_u64 s[24:25], s[26:27], 0xc4
	s_add_nc_u64 s[26:27], s[2:3], s[38:39]
.LBB322_150:                            ; =>This Inner Loop Header: Depth=1
	s_load_b96 s[40:42], s[26:27], 0x4
	s_load_b64 s[38:39], s[24:25], 0x0
	s_add_co_i32 s28, s28, -1
	s_wait_xcnt 0x0
	s_add_nc_u64 s[26:27], s[26:27], 12
	s_cmp_lg_u32 s28, 0
	s_add_nc_u64 s[24:25], s[24:25], 8
	s_wait_kmcnt 0x0
	v_mul_hi_u32 v4, s41, v1
	s_delay_alu instid0(VALU_DEP_1) | instskip(NEXT) | instid1(VALU_DEP_1)
	v_add_nc_u32_e32 v4, v1, v4
	v_lshrrev_b32_e32 v4, s42, v4
	s_delay_alu instid0(VALU_DEP_1) | instskip(NEXT) | instid1(VALU_DEP_1)
	v_mul_lo_u32 v5, v4, s40
	v_sub_nc_u32_e32 v1, v1, v5
	s_delay_alu instid0(VALU_DEP_1)
	v_mad_u32 v3, v1, s39, v3
	v_mad_u32 v2, v1, s38, v2
	v_mov_b32_e32 v1, v4
	s_cbranch_scc1 .LBB322_150
.LBB322_151:
	s_cbranch_execnz .LBB322_154
.LBB322_152:
	v_mov_b32_e32 v1, 0
	s_and_not1_b32 vcc_lo, exec_lo, s34
	s_delay_alu instid0(VALU_DEP_1) | instskip(NEXT) | instid1(VALU_DEP_1)
	v_mul_u64_e32 v[2:3], s[16:17], v[0:1]
	v_add_nc_u32_e32 v2, v0, v3
	s_delay_alu instid0(VALU_DEP_1) | instskip(NEXT) | instid1(VALU_DEP_1)
	v_lshrrev_b32_e32 v4, s14, v2
	v_mul_lo_u32 v2, v4, s12
	s_delay_alu instid0(VALU_DEP_1) | instskip(NEXT) | instid1(VALU_DEP_1)
	v_sub_nc_u32_e32 v2, v0, v2
	v_mul_lo_u32 v3, v2, s9
	v_mul_lo_u32 v2, v2, s8
	s_cbranch_vccnz .LBB322_154
; %bb.153:
	v_mov_b32_e32 v5, v1
	s_delay_alu instid0(VALU_DEP_1) | instskip(NEXT) | instid1(VALU_DEP_1)
	v_mul_u64_e32 v[6:7], s[20:21], v[4:5]
	v_add_nc_u32_e32 v1, v4, v7
	s_delay_alu instid0(VALU_DEP_1) | instskip(NEXT) | instid1(VALU_DEP_1)
	v_lshrrev_b32_e32 v1, s19, v1
	v_mul_lo_u32 v1, v1, s15
	s_delay_alu instid0(VALU_DEP_1) | instskip(NEXT) | instid1(VALU_DEP_1)
	v_sub_nc_u32_e32 v1, v4, v1
	v_mad_u32 v2, v1, s10, v2
	v_mad_u32 v3, v1, s11, v3
.LBB322_154:
	global_load_u8 v1, v3, s[6:7]
	v_add_nc_u32_e32 v0, 0x80, v0
	s_wait_loadcnt 0x0
	v_lshlrev_b32_e32 v3, 23, v1
	v_cmp_ne_u32_e32 vcc_lo, 0xff, v1
	s_delay_alu instid0(VALU_DEP_2) | instskip(SKIP_1) | instid1(VALU_DEP_2)
	v_cndmask_b32_e32 v3, 0x7f800001, v3, vcc_lo
	v_cmp_ne_u32_e32 vcc_lo, 0, v1
	v_cndmask_b32_e32 v1, 0x400000, v3, vcc_lo
	s_delay_alu instid0(VALU_DEP_1) | instskip(SKIP_3) | instid1(VALU_DEP_1)
	v_cmp_eq_f32_e32 vcc_lo, s13, v1
	v_cndmask_b32_e64 v3, 0, 1, vcc_lo
	v_cmp_neq_f32_e32 vcc_lo, s13, v1
	v_cndmask_b32_e64 v1, 0, 1, vcc_lo
	v_cndmask_b32_e64 v1, v1, v3, s0
	s_delay_alu instid0(VALU_DEP_1) | instskip(SKIP_3) | instid1(SALU_CYCLE_1)
	v_and_b32_e32 v1, 1, v1
	global_store_b8 v2, v1, s[4:5]
	s_wait_xcnt 0x0
	s_or_b32 exec_lo, exec_lo, s18
	s_mov_b32 s18, exec_lo
	v_cmpx_gt_i32_e64 s35, v0
	s_cbranch_execnz .LBB322_140
.LBB322_155:
	s_or_b32 exec_lo, exec_lo, s18
	s_delay_alu instid0(SALU_CYCLE_1)
	s_mov_b32 s18, exec_lo
	v_cmpx_gt_i32_e64 s35, v0
	s_cbranch_execz .LBB322_171
.LBB322_156:
	s_and_not1_b32 vcc_lo, exec_lo, s1
	s_cbranch_vccnz .LBB322_161
; %bb.157:
	s_and_not1_b32 vcc_lo, exec_lo, s37
	s_cbranch_vccnz .LBB322_162
; %bb.158:
	s_add_co_i32 s25, s36, 1
	s_cmp_eq_u32 s31, 2
	s_cbranch_scc1 .LBB322_179
; %bb.159:
	v_dual_mov_b32 v2, 0 :: v_dual_mov_b32 v3, 0
	v_mov_b32_e32 v1, v0
	s_and_b32 s24, s25, 28
	s_mov_b32 s38, 0
	s_mov_b64 s[26:27], s[2:3]
	s_mov_b64 s[28:29], s[22:23]
.LBB322_160:                            ; =>This Inner Loop Header: Depth=1
	s_clause 0x1
	s_load_b256 s[40:47], s[26:27], 0x4
	s_load_b128 s[56:59], s[26:27], 0x24
	s_load_b256 s[48:55], s[28:29], 0x0
	s_add_co_i32 s38, s38, 4
	s_wait_xcnt 0x0
	s_add_nc_u64 s[26:27], s[26:27], 48
	s_cmp_eq_u32 s24, s38
	s_add_nc_u64 s[28:29], s[28:29], 32
	s_wait_kmcnt 0x0
	v_mul_hi_u32 v4, s41, v1
	s_delay_alu instid0(VALU_DEP_1) | instskip(NEXT) | instid1(VALU_DEP_1)
	v_add_nc_u32_e32 v4, v1, v4
	v_lshrrev_b32_e32 v4, s42, v4
	s_delay_alu instid0(VALU_DEP_1) | instskip(NEXT) | instid1(VALU_DEP_1)
	v_mul_hi_u32 v5, s44, v4
	v_add_nc_u32_e32 v5, v4, v5
	s_delay_alu instid0(VALU_DEP_1) | instskip(NEXT) | instid1(VALU_DEP_1)
	v_lshrrev_b32_e32 v5, s45, v5
	v_mul_hi_u32 v6, s47, v5
	s_delay_alu instid0(VALU_DEP_1) | instskip(SKIP_1) | instid1(VALU_DEP_1)
	v_add_nc_u32_e32 v6, v5, v6
	v_mul_lo_u32 v7, v4, s40
	v_sub_nc_u32_e32 v1, v1, v7
	v_mul_lo_u32 v7, v5, s43
	s_delay_alu instid0(VALU_DEP_4) | instskip(NEXT) | instid1(VALU_DEP_3)
	v_lshrrev_b32_e32 v6, s56, v6
	v_mad_u32 v3, v1, s49, v3
	v_mad_u32 v1, v1, s48, v2
	s_delay_alu instid0(VALU_DEP_4) | instskip(NEXT) | instid1(VALU_DEP_4)
	v_sub_nc_u32_e32 v2, v4, v7
	v_mul_hi_u32 v8, s58, v6
	v_mul_lo_u32 v4, v6, s46
	s_delay_alu instid0(VALU_DEP_3) | instskip(SKIP_1) | instid1(VALU_DEP_4)
	v_mad_u32 v3, v2, s51, v3
	v_mad_u32 v2, v2, s50, v1
	v_add_nc_u32_e32 v7, v6, v8
	s_delay_alu instid0(VALU_DEP_1) | instskip(NEXT) | instid1(VALU_DEP_1)
	v_dual_sub_nc_u32 v4, v5, v4 :: v_dual_lshrrev_b32 v1, s59, v7
	v_mad_u32 v3, v4, s53, v3
	s_delay_alu instid0(VALU_DEP_4) | instskip(NEXT) | instid1(VALU_DEP_3)
	v_mad_u32 v2, v4, s52, v2
	v_mul_lo_u32 v5, v1, s57
	s_delay_alu instid0(VALU_DEP_1) | instskip(NEXT) | instid1(VALU_DEP_1)
	v_sub_nc_u32_e32 v4, v6, v5
	v_mad_u32 v3, v4, s55, v3
	s_delay_alu instid0(VALU_DEP_4)
	v_mad_u32 v2, v4, s54, v2
	s_cbranch_scc0 .LBB322_160
	s_branch .LBB322_180
.LBB322_161:
                                        ; implicit-def: $vgpr3
	s_branch .LBB322_184
.LBB322_162:
	v_dual_mov_b32 v3, 0 :: v_dual_mov_b32 v2, 0
	s_branch .LBB322_183
.LBB322_163:
	v_mov_b64_e32 v[2:3], 0
	v_mov_b32_e32 v1, v0
	s_mov_b32 s24, 0
.LBB322_164:
	s_and_b32 s28, s25, 3
	s_mov_b32 s25, 0
	s_cmp_eq_u32 s28, 0
	s_cbranch_scc1 .LBB322_167
; %bb.165:
	s_lshl_b32 s26, s24, 3
	s_mov_b32 s27, s25
	s_mul_u64 s[38:39], s[24:25], 12
	s_add_nc_u64 s[26:27], s[2:3], s[26:27]
	s_delay_alu instid0(SALU_CYCLE_1)
	s_add_nc_u64 s[24:25], s[26:27], 0xc4
	s_add_nc_u64 s[26:27], s[2:3], s[38:39]
.LBB322_166:                            ; =>This Inner Loop Header: Depth=1
	s_load_b96 s[40:42], s[26:27], 0x4
	s_load_b64 s[38:39], s[24:25], 0x0
	s_add_co_i32 s28, s28, -1
	s_wait_xcnt 0x0
	s_add_nc_u64 s[26:27], s[26:27], 12
	s_cmp_lg_u32 s28, 0
	s_add_nc_u64 s[24:25], s[24:25], 8
	s_wait_kmcnt 0x0
	v_mul_hi_u32 v4, s41, v1
	s_delay_alu instid0(VALU_DEP_1) | instskip(NEXT) | instid1(VALU_DEP_1)
	v_add_nc_u32_e32 v4, v1, v4
	v_lshrrev_b32_e32 v4, s42, v4
	s_delay_alu instid0(VALU_DEP_1) | instskip(NEXT) | instid1(VALU_DEP_1)
	v_mul_lo_u32 v5, v4, s40
	v_sub_nc_u32_e32 v1, v1, v5
	s_delay_alu instid0(VALU_DEP_1)
	v_mad_u32 v3, v1, s39, v3
	v_mad_u32 v2, v1, s38, v2
	v_mov_b32_e32 v1, v4
	s_cbranch_scc1 .LBB322_166
.LBB322_167:
	s_cbranch_execnz .LBB322_170
.LBB322_168:
	v_mov_b32_e32 v1, 0
	s_and_not1_b32 vcc_lo, exec_lo, s34
	s_delay_alu instid0(VALU_DEP_1) | instskip(NEXT) | instid1(VALU_DEP_1)
	v_mul_u64_e32 v[2:3], s[16:17], v[0:1]
	v_add_nc_u32_e32 v2, v0, v3
	s_delay_alu instid0(VALU_DEP_1) | instskip(NEXT) | instid1(VALU_DEP_1)
	v_lshrrev_b32_e32 v4, s14, v2
	v_mul_lo_u32 v2, v4, s12
	s_delay_alu instid0(VALU_DEP_1) | instskip(NEXT) | instid1(VALU_DEP_1)
	v_sub_nc_u32_e32 v2, v0, v2
	v_mul_lo_u32 v3, v2, s9
	v_mul_lo_u32 v2, v2, s8
	s_cbranch_vccnz .LBB322_170
; %bb.169:
	v_mov_b32_e32 v5, v1
	s_delay_alu instid0(VALU_DEP_1) | instskip(NEXT) | instid1(VALU_DEP_1)
	v_mul_u64_e32 v[6:7], s[20:21], v[4:5]
	v_add_nc_u32_e32 v1, v4, v7
	s_delay_alu instid0(VALU_DEP_1) | instskip(NEXT) | instid1(VALU_DEP_1)
	v_lshrrev_b32_e32 v1, s19, v1
	v_mul_lo_u32 v1, v1, s15
	s_delay_alu instid0(VALU_DEP_1) | instskip(NEXT) | instid1(VALU_DEP_1)
	v_sub_nc_u32_e32 v1, v4, v1
	v_mad_u32 v2, v1, s10, v2
	v_mad_u32 v3, v1, s11, v3
.LBB322_170:
	global_load_u8 v1, v3, s[6:7]
	v_add_nc_u32_e32 v0, 0x80, v0
	s_wait_loadcnt 0x0
	v_lshlrev_b32_e32 v3, 23, v1
	v_cmp_ne_u32_e32 vcc_lo, 0xff, v1
	s_delay_alu instid0(VALU_DEP_2) | instskip(SKIP_1) | instid1(VALU_DEP_2)
	v_cndmask_b32_e32 v3, 0x7f800001, v3, vcc_lo
	v_cmp_ne_u32_e32 vcc_lo, 0, v1
	v_cndmask_b32_e32 v1, 0x400000, v3, vcc_lo
	s_delay_alu instid0(VALU_DEP_1) | instskip(SKIP_3) | instid1(VALU_DEP_1)
	v_cmp_eq_f32_e32 vcc_lo, s13, v1
	v_cndmask_b32_e64 v3, 0, 1, vcc_lo
	v_cmp_neq_f32_e32 vcc_lo, s13, v1
	v_cndmask_b32_e64 v1, 0, 1, vcc_lo
	v_cndmask_b32_e64 v1, v1, v3, s0
	s_delay_alu instid0(VALU_DEP_1) | instskip(SKIP_3) | instid1(SALU_CYCLE_1)
	v_and_b32_e32 v1, 1, v1
	global_store_b8 v2, v1, s[4:5]
	s_wait_xcnt 0x0
	s_or_b32 exec_lo, exec_lo, s18
	s_mov_b32 s18, exec_lo
	v_cmpx_gt_i32_e64 s35, v0
	s_cbranch_execnz .LBB322_156
.LBB322_171:
	s_or_b32 exec_lo, exec_lo, s18
	s_delay_alu instid0(SALU_CYCLE_1)
	s_mov_b32 s18, exec_lo
	v_cmpx_gt_i32_e64 s35, v0
	s_cbranch_execz .LBB322_187
.LBB322_172:
	s_and_not1_b32 vcc_lo, exec_lo, s1
	s_cbranch_vccnz .LBB322_177
; %bb.173:
	s_and_not1_b32 vcc_lo, exec_lo, s37
	s_cbranch_vccnz .LBB322_178
; %bb.174:
	s_add_co_i32 s25, s36, 1
	s_cmp_eq_u32 s31, 2
	s_cbranch_scc1 .LBB322_195
; %bb.175:
	v_dual_mov_b32 v2, 0 :: v_dual_mov_b32 v3, 0
	v_mov_b32_e32 v1, v0
	s_and_b32 s24, s25, 28
	s_mov_b32 s38, 0
	s_mov_b64 s[26:27], s[2:3]
	s_mov_b64 s[28:29], s[22:23]
.LBB322_176:                            ; =>This Inner Loop Header: Depth=1
	s_clause 0x1
	s_load_b256 s[40:47], s[26:27], 0x4
	s_load_b128 s[56:59], s[26:27], 0x24
	s_load_b256 s[48:55], s[28:29], 0x0
	s_add_co_i32 s38, s38, 4
	s_wait_xcnt 0x0
	s_add_nc_u64 s[26:27], s[26:27], 48
	s_cmp_eq_u32 s24, s38
	s_add_nc_u64 s[28:29], s[28:29], 32
	s_wait_kmcnt 0x0
	v_mul_hi_u32 v4, s41, v1
	s_delay_alu instid0(VALU_DEP_1) | instskip(NEXT) | instid1(VALU_DEP_1)
	v_add_nc_u32_e32 v4, v1, v4
	v_lshrrev_b32_e32 v4, s42, v4
	s_delay_alu instid0(VALU_DEP_1) | instskip(NEXT) | instid1(VALU_DEP_1)
	v_mul_hi_u32 v5, s44, v4
	v_add_nc_u32_e32 v5, v4, v5
	s_delay_alu instid0(VALU_DEP_1) | instskip(NEXT) | instid1(VALU_DEP_1)
	v_lshrrev_b32_e32 v5, s45, v5
	v_mul_hi_u32 v6, s47, v5
	s_delay_alu instid0(VALU_DEP_1) | instskip(SKIP_1) | instid1(VALU_DEP_1)
	v_add_nc_u32_e32 v6, v5, v6
	v_mul_lo_u32 v7, v4, s40
	v_sub_nc_u32_e32 v1, v1, v7
	v_mul_lo_u32 v7, v5, s43
	s_delay_alu instid0(VALU_DEP_4) | instskip(NEXT) | instid1(VALU_DEP_3)
	v_lshrrev_b32_e32 v6, s56, v6
	v_mad_u32 v3, v1, s49, v3
	v_mad_u32 v1, v1, s48, v2
	s_delay_alu instid0(VALU_DEP_4) | instskip(NEXT) | instid1(VALU_DEP_4)
	v_sub_nc_u32_e32 v2, v4, v7
	v_mul_hi_u32 v8, s58, v6
	v_mul_lo_u32 v4, v6, s46
	s_delay_alu instid0(VALU_DEP_3) | instskip(SKIP_1) | instid1(VALU_DEP_4)
	v_mad_u32 v3, v2, s51, v3
	v_mad_u32 v2, v2, s50, v1
	v_add_nc_u32_e32 v7, v6, v8
	s_delay_alu instid0(VALU_DEP_1) | instskip(NEXT) | instid1(VALU_DEP_1)
	v_dual_sub_nc_u32 v4, v5, v4 :: v_dual_lshrrev_b32 v1, s59, v7
	v_mad_u32 v3, v4, s53, v3
	s_delay_alu instid0(VALU_DEP_4) | instskip(NEXT) | instid1(VALU_DEP_3)
	v_mad_u32 v2, v4, s52, v2
	v_mul_lo_u32 v5, v1, s57
	s_delay_alu instid0(VALU_DEP_1) | instskip(NEXT) | instid1(VALU_DEP_1)
	v_sub_nc_u32_e32 v4, v6, v5
	v_mad_u32 v3, v4, s55, v3
	s_delay_alu instid0(VALU_DEP_4)
	v_mad_u32 v2, v4, s54, v2
	s_cbranch_scc0 .LBB322_176
	s_branch .LBB322_196
.LBB322_177:
                                        ; implicit-def: $vgpr3
	s_branch .LBB322_200
.LBB322_178:
	v_dual_mov_b32 v3, 0 :: v_dual_mov_b32 v2, 0
	s_branch .LBB322_199
.LBB322_179:
	v_mov_b64_e32 v[2:3], 0
	v_mov_b32_e32 v1, v0
	s_mov_b32 s24, 0
.LBB322_180:
	s_and_b32 s28, s25, 3
	s_mov_b32 s25, 0
	s_cmp_eq_u32 s28, 0
	s_cbranch_scc1 .LBB322_183
; %bb.181:
	s_lshl_b32 s26, s24, 3
	s_mov_b32 s27, s25
	s_mul_u64 s[38:39], s[24:25], 12
	s_add_nc_u64 s[26:27], s[2:3], s[26:27]
	s_delay_alu instid0(SALU_CYCLE_1)
	s_add_nc_u64 s[24:25], s[26:27], 0xc4
	s_add_nc_u64 s[26:27], s[2:3], s[38:39]
.LBB322_182:                            ; =>This Inner Loop Header: Depth=1
	s_load_b96 s[40:42], s[26:27], 0x4
	s_load_b64 s[38:39], s[24:25], 0x0
	s_add_co_i32 s28, s28, -1
	s_wait_xcnt 0x0
	s_add_nc_u64 s[26:27], s[26:27], 12
	s_cmp_lg_u32 s28, 0
	s_add_nc_u64 s[24:25], s[24:25], 8
	s_wait_kmcnt 0x0
	v_mul_hi_u32 v4, s41, v1
	s_delay_alu instid0(VALU_DEP_1) | instskip(NEXT) | instid1(VALU_DEP_1)
	v_add_nc_u32_e32 v4, v1, v4
	v_lshrrev_b32_e32 v4, s42, v4
	s_delay_alu instid0(VALU_DEP_1) | instskip(NEXT) | instid1(VALU_DEP_1)
	v_mul_lo_u32 v5, v4, s40
	v_sub_nc_u32_e32 v1, v1, v5
	s_delay_alu instid0(VALU_DEP_1)
	v_mad_u32 v3, v1, s39, v3
	v_mad_u32 v2, v1, s38, v2
	v_mov_b32_e32 v1, v4
	s_cbranch_scc1 .LBB322_182
.LBB322_183:
	s_cbranch_execnz .LBB322_186
.LBB322_184:
	v_mov_b32_e32 v1, 0
	s_and_not1_b32 vcc_lo, exec_lo, s34
	s_delay_alu instid0(VALU_DEP_1) | instskip(NEXT) | instid1(VALU_DEP_1)
	v_mul_u64_e32 v[2:3], s[16:17], v[0:1]
	v_add_nc_u32_e32 v2, v0, v3
	s_delay_alu instid0(VALU_DEP_1) | instskip(NEXT) | instid1(VALU_DEP_1)
	v_lshrrev_b32_e32 v4, s14, v2
	v_mul_lo_u32 v2, v4, s12
	s_delay_alu instid0(VALU_DEP_1) | instskip(NEXT) | instid1(VALU_DEP_1)
	v_sub_nc_u32_e32 v2, v0, v2
	v_mul_lo_u32 v3, v2, s9
	v_mul_lo_u32 v2, v2, s8
	s_cbranch_vccnz .LBB322_186
; %bb.185:
	v_mov_b32_e32 v5, v1
	s_delay_alu instid0(VALU_DEP_1) | instskip(NEXT) | instid1(VALU_DEP_1)
	v_mul_u64_e32 v[6:7], s[20:21], v[4:5]
	v_add_nc_u32_e32 v1, v4, v7
	s_delay_alu instid0(VALU_DEP_1) | instskip(NEXT) | instid1(VALU_DEP_1)
	v_lshrrev_b32_e32 v1, s19, v1
	v_mul_lo_u32 v1, v1, s15
	s_delay_alu instid0(VALU_DEP_1) | instskip(NEXT) | instid1(VALU_DEP_1)
	v_sub_nc_u32_e32 v1, v4, v1
	v_mad_u32 v2, v1, s10, v2
	v_mad_u32 v3, v1, s11, v3
.LBB322_186:
	global_load_u8 v1, v3, s[6:7]
	v_add_nc_u32_e32 v0, 0x80, v0
	s_wait_loadcnt 0x0
	v_lshlrev_b32_e32 v3, 23, v1
	v_cmp_ne_u32_e32 vcc_lo, 0xff, v1
	s_delay_alu instid0(VALU_DEP_2) | instskip(SKIP_1) | instid1(VALU_DEP_2)
	v_cndmask_b32_e32 v3, 0x7f800001, v3, vcc_lo
	v_cmp_ne_u32_e32 vcc_lo, 0, v1
	v_cndmask_b32_e32 v1, 0x400000, v3, vcc_lo
	s_delay_alu instid0(VALU_DEP_1) | instskip(SKIP_3) | instid1(VALU_DEP_1)
	v_cmp_eq_f32_e32 vcc_lo, s13, v1
	v_cndmask_b32_e64 v3, 0, 1, vcc_lo
	v_cmp_neq_f32_e32 vcc_lo, s13, v1
	v_cndmask_b32_e64 v1, 0, 1, vcc_lo
	v_cndmask_b32_e64 v1, v1, v3, s0
	s_delay_alu instid0(VALU_DEP_1) | instskip(SKIP_3) | instid1(SALU_CYCLE_1)
	v_and_b32_e32 v1, 1, v1
	global_store_b8 v2, v1, s[4:5]
	s_wait_xcnt 0x0
	s_or_b32 exec_lo, exec_lo, s18
	s_mov_b32 s18, exec_lo
	v_cmpx_gt_i32_e64 s35, v0
	s_cbranch_execnz .LBB322_172
.LBB322_187:
	s_or_b32 exec_lo, exec_lo, s18
	s_delay_alu instid0(SALU_CYCLE_1)
	s_mov_b32 s18, exec_lo
	v_cmpx_gt_i32_e64 s35, v0
	s_cbranch_execz .LBB322_203
.LBB322_188:
	s_and_not1_b32 vcc_lo, exec_lo, s1
	s_cbranch_vccnz .LBB322_193
; %bb.189:
	s_and_not1_b32 vcc_lo, exec_lo, s37
	s_cbranch_vccnz .LBB322_194
; %bb.190:
	s_add_co_i32 s25, s36, 1
	s_cmp_eq_u32 s31, 2
	s_cbranch_scc1 .LBB322_211
; %bb.191:
	v_dual_mov_b32 v2, 0 :: v_dual_mov_b32 v3, 0
	v_mov_b32_e32 v1, v0
	s_and_b32 s24, s25, 28
	s_mov_b32 s38, 0
	s_mov_b64 s[26:27], s[2:3]
	s_mov_b64 s[28:29], s[22:23]
.LBB322_192:                            ; =>This Inner Loop Header: Depth=1
	s_clause 0x1
	s_load_b256 s[40:47], s[26:27], 0x4
	s_load_b128 s[56:59], s[26:27], 0x24
	s_load_b256 s[48:55], s[28:29], 0x0
	s_add_co_i32 s38, s38, 4
	s_wait_xcnt 0x0
	s_add_nc_u64 s[26:27], s[26:27], 48
	s_cmp_eq_u32 s24, s38
	s_add_nc_u64 s[28:29], s[28:29], 32
	s_wait_kmcnt 0x0
	v_mul_hi_u32 v4, s41, v1
	s_delay_alu instid0(VALU_DEP_1) | instskip(NEXT) | instid1(VALU_DEP_1)
	v_add_nc_u32_e32 v4, v1, v4
	v_lshrrev_b32_e32 v4, s42, v4
	s_delay_alu instid0(VALU_DEP_1) | instskip(NEXT) | instid1(VALU_DEP_1)
	v_mul_hi_u32 v5, s44, v4
	v_add_nc_u32_e32 v5, v4, v5
	s_delay_alu instid0(VALU_DEP_1) | instskip(NEXT) | instid1(VALU_DEP_1)
	v_lshrrev_b32_e32 v5, s45, v5
	v_mul_hi_u32 v6, s47, v5
	s_delay_alu instid0(VALU_DEP_1) | instskip(SKIP_1) | instid1(VALU_DEP_1)
	v_add_nc_u32_e32 v6, v5, v6
	v_mul_lo_u32 v7, v4, s40
	v_sub_nc_u32_e32 v1, v1, v7
	v_mul_lo_u32 v7, v5, s43
	s_delay_alu instid0(VALU_DEP_4) | instskip(NEXT) | instid1(VALU_DEP_3)
	v_lshrrev_b32_e32 v6, s56, v6
	v_mad_u32 v3, v1, s49, v3
	v_mad_u32 v1, v1, s48, v2
	s_delay_alu instid0(VALU_DEP_4) | instskip(NEXT) | instid1(VALU_DEP_4)
	v_sub_nc_u32_e32 v2, v4, v7
	v_mul_hi_u32 v8, s58, v6
	v_mul_lo_u32 v4, v6, s46
	s_delay_alu instid0(VALU_DEP_3) | instskip(SKIP_1) | instid1(VALU_DEP_4)
	v_mad_u32 v3, v2, s51, v3
	v_mad_u32 v2, v2, s50, v1
	v_add_nc_u32_e32 v7, v6, v8
	s_delay_alu instid0(VALU_DEP_1) | instskip(NEXT) | instid1(VALU_DEP_1)
	v_dual_sub_nc_u32 v4, v5, v4 :: v_dual_lshrrev_b32 v1, s59, v7
	v_mad_u32 v3, v4, s53, v3
	s_delay_alu instid0(VALU_DEP_4) | instskip(NEXT) | instid1(VALU_DEP_3)
	v_mad_u32 v2, v4, s52, v2
	v_mul_lo_u32 v5, v1, s57
	s_delay_alu instid0(VALU_DEP_1) | instskip(NEXT) | instid1(VALU_DEP_1)
	v_sub_nc_u32_e32 v4, v6, v5
	v_mad_u32 v3, v4, s55, v3
	s_delay_alu instid0(VALU_DEP_4)
	v_mad_u32 v2, v4, s54, v2
	s_cbranch_scc0 .LBB322_192
	s_branch .LBB322_212
.LBB322_193:
                                        ; implicit-def: $vgpr3
	s_branch .LBB322_216
.LBB322_194:
	v_dual_mov_b32 v3, 0 :: v_dual_mov_b32 v2, 0
	s_branch .LBB322_215
.LBB322_195:
	v_mov_b64_e32 v[2:3], 0
	v_mov_b32_e32 v1, v0
	s_mov_b32 s24, 0
.LBB322_196:
	s_and_b32 s28, s25, 3
	s_mov_b32 s25, 0
	s_cmp_eq_u32 s28, 0
	s_cbranch_scc1 .LBB322_199
; %bb.197:
	s_lshl_b32 s26, s24, 3
	s_mov_b32 s27, s25
	s_mul_u64 s[38:39], s[24:25], 12
	s_add_nc_u64 s[26:27], s[2:3], s[26:27]
	s_delay_alu instid0(SALU_CYCLE_1)
	s_add_nc_u64 s[24:25], s[26:27], 0xc4
	s_add_nc_u64 s[26:27], s[2:3], s[38:39]
.LBB322_198:                            ; =>This Inner Loop Header: Depth=1
	s_load_b96 s[40:42], s[26:27], 0x4
	s_load_b64 s[38:39], s[24:25], 0x0
	s_add_co_i32 s28, s28, -1
	s_wait_xcnt 0x0
	s_add_nc_u64 s[26:27], s[26:27], 12
	s_cmp_lg_u32 s28, 0
	s_add_nc_u64 s[24:25], s[24:25], 8
	s_wait_kmcnt 0x0
	v_mul_hi_u32 v4, s41, v1
	s_delay_alu instid0(VALU_DEP_1) | instskip(NEXT) | instid1(VALU_DEP_1)
	v_add_nc_u32_e32 v4, v1, v4
	v_lshrrev_b32_e32 v4, s42, v4
	s_delay_alu instid0(VALU_DEP_1) | instskip(NEXT) | instid1(VALU_DEP_1)
	v_mul_lo_u32 v5, v4, s40
	v_sub_nc_u32_e32 v1, v1, v5
	s_delay_alu instid0(VALU_DEP_1)
	v_mad_u32 v3, v1, s39, v3
	v_mad_u32 v2, v1, s38, v2
	v_mov_b32_e32 v1, v4
	s_cbranch_scc1 .LBB322_198
.LBB322_199:
	s_cbranch_execnz .LBB322_202
.LBB322_200:
	v_mov_b32_e32 v1, 0
	s_and_not1_b32 vcc_lo, exec_lo, s34
	s_delay_alu instid0(VALU_DEP_1) | instskip(NEXT) | instid1(VALU_DEP_1)
	v_mul_u64_e32 v[2:3], s[16:17], v[0:1]
	v_add_nc_u32_e32 v2, v0, v3
	s_delay_alu instid0(VALU_DEP_1) | instskip(NEXT) | instid1(VALU_DEP_1)
	v_lshrrev_b32_e32 v4, s14, v2
	v_mul_lo_u32 v2, v4, s12
	s_delay_alu instid0(VALU_DEP_1) | instskip(NEXT) | instid1(VALU_DEP_1)
	v_sub_nc_u32_e32 v2, v0, v2
	v_mul_lo_u32 v3, v2, s9
	v_mul_lo_u32 v2, v2, s8
	s_cbranch_vccnz .LBB322_202
; %bb.201:
	v_mov_b32_e32 v5, v1
	s_delay_alu instid0(VALU_DEP_1) | instskip(NEXT) | instid1(VALU_DEP_1)
	v_mul_u64_e32 v[6:7], s[20:21], v[4:5]
	v_add_nc_u32_e32 v1, v4, v7
	s_delay_alu instid0(VALU_DEP_1) | instskip(NEXT) | instid1(VALU_DEP_1)
	v_lshrrev_b32_e32 v1, s19, v1
	v_mul_lo_u32 v1, v1, s15
	s_delay_alu instid0(VALU_DEP_1) | instskip(NEXT) | instid1(VALU_DEP_1)
	v_sub_nc_u32_e32 v1, v4, v1
	v_mad_u32 v2, v1, s10, v2
	v_mad_u32 v3, v1, s11, v3
.LBB322_202:
	global_load_u8 v1, v3, s[6:7]
	v_add_nc_u32_e32 v0, 0x80, v0
	s_wait_loadcnt 0x0
	v_lshlrev_b32_e32 v3, 23, v1
	v_cmp_ne_u32_e32 vcc_lo, 0xff, v1
	s_delay_alu instid0(VALU_DEP_2) | instskip(SKIP_1) | instid1(VALU_DEP_2)
	v_cndmask_b32_e32 v3, 0x7f800001, v3, vcc_lo
	v_cmp_ne_u32_e32 vcc_lo, 0, v1
	v_cndmask_b32_e32 v1, 0x400000, v3, vcc_lo
	s_delay_alu instid0(VALU_DEP_1) | instskip(SKIP_3) | instid1(VALU_DEP_1)
	v_cmp_eq_f32_e32 vcc_lo, s13, v1
	v_cndmask_b32_e64 v3, 0, 1, vcc_lo
	v_cmp_neq_f32_e32 vcc_lo, s13, v1
	v_cndmask_b32_e64 v1, 0, 1, vcc_lo
	v_cndmask_b32_e64 v1, v1, v3, s0
	s_delay_alu instid0(VALU_DEP_1) | instskip(SKIP_3) | instid1(SALU_CYCLE_1)
	v_and_b32_e32 v1, 1, v1
	global_store_b8 v2, v1, s[4:5]
	s_wait_xcnt 0x0
	s_or_b32 exec_lo, exec_lo, s18
	s_mov_b32 s18, exec_lo
	v_cmpx_gt_i32_e64 s35, v0
	s_cbranch_execnz .LBB322_188
.LBB322_203:
	s_or_b32 exec_lo, exec_lo, s18
	s_delay_alu instid0(SALU_CYCLE_1)
	s_mov_b32 s18, exec_lo
	v_cmpx_gt_i32_e64 s35, v0
	s_cbranch_execz .LBB322_219
.LBB322_204:
	s_and_not1_b32 vcc_lo, exec_lo, s1
	s_cbranch_vccnz .LBB322_209
; %bb.205:
	s_and_not1_b32 vcc_lo, exec_lo, s37
	s_cbranch_vccnz .LBB322_210
; %bb.206:
	s_add_co_i32 s25, s36, 1
	s_cmp_eq_u32 s31, 2
	s_cbranch_scc1 .LBB322_222
; %bb.207:
	v_dual_mov_b32 v2, 0 :: v_dual_mov_b32 v3, 0
	v_mov_b32_e32 v1, v0
	s_and_b32 s24, s25, 28
	s_mov_b32 s38, 0
	s_mov_b64 s[26:27], s[2:3]
	s_mov_b64 s[28:29], s[22:23]
.LBB322_208:                            ; =>This Inner Loop Header: Depth=1
	s_clause 0x1
	s_load_b256 s[40:47], s[26:27], 0x4
	s_load_b128 s[56:59], s[26:27], 0x24
	s_load_b256 s[48:55], s[28:29], 0x0
	s_add_co_i32 s38, s38, 4
	s_wait_xcnt 0x0
	s_add_nc_u64 s[26:27], s[26:27], 48
	s_cmp_eq_u32 s24, s38
	s_add_nc_u64 s[28:29], s[28:29], 32
	s_wait_kmcnt 0x0
	v_mul_hi_u32 v4, s41, v1
	s_delay_alu instid0(VALU_DEP_1) | instskip(NEXT) | instid1(VALU_DEP_1)
	v_add_nc_u32_e32 v4, v1, v4
	v_lshrrev_b32_e32 v4, s42, v4
	s_delay_alu instid0(VALU_DEP_1) | instskip(NEXT) | instid1(VALU_DEP_1)
	v_mul_hi_u32 v5, s44, v4
	v_add_nc_u32_e32 v5, v4, v5
	s_delay_alu instid0(VALU_DEP_1) | instskip(NEXT) | instid1(VALU_DEP_1)
	v_lshrrev_b32_e32 v5, s45, v5
	v_mul_hi_u32 v6, s47, v5
	s_delay_alu instid0(VALU_DEP_1) | instskip(SKIP_1) | instid1(VALU_DEP_1)
	v_add_nc_u32_e32 v6, v5, v6
	v_mul_lo_u32 v7, v4, s40
	v_sub_nc_u32_e32 v1, v1, v7
	v_mul_lo_u32 v7, v5, s43
	s_delay_alu instid0(VALU_DEP_4) | instskip(NEXT) | instid1(VALU_DEP_3)
	v_lshrrev_b32_e32 v6, s56, v6
	v_mad_u32 v3, v1, s49, v3
	v_mad_u32 v1, v1, s48, v2
	s_delay_alu instid0(VALU_DEP_4) | instskip(NEXT) | instid1(VALU_DEP_4)
	v_sub_nc_u32_e32 v2, v4, v7
	v_mul_hi_u32 v8, s58, v6
	v_mul_lo_u32 v4, v6, s46
	s_delay_alu instid0(VALU_DEP_3) | instskip(SKIP_1) | instid1(VALU_DEP_4)
	v_mad_u32 v3, v2, s51, v3
	v_mad_u32 v2, v2, s50, v1
	v_add_nc_u32_e32 v7, v6, v8
	s_delay_alu instid0(VALU_DEP_1) | instskip(NEXT) | instid1(VALU_DEP_1)
	v_dual_sub_nc_u32 v4, v5, v4 :: v_dual_lshrrev_b32 v1, s59, v7
	v_mad_u32 v3, v4, s53, v3
	s_delay_alu instid0(VALU_DEP_4) | instskip(NEXT) | instid1(VALU_DEP_3)
	v_mad_u32 v2, v4, s52, v2
	v_mul_lo_u32 v5, v1, s57
	s_delay_alu instid0(VALU_DEP_1) | instskip(NEXT) | instid1(VALU_DEP_1)
	v_sub_nc_u32_e32 v4, v6, v5
	v_mad_u32 v3, v4, s55, v3
	s_delay_alu instid0(VALU_DEP_4)
	v_mad_u32 v2, v4, s54, v2
	s_cbranch_scc0 .LBB322_208
	s_branch .LBB322_223
.LBB322_209:
                                        ; implicit-def: $vgpr3
	s_branch .LBB322_227
.LBB322_210:
	v_dual_mov_b32 v3, 0 :: v_dual_mov_b32 v2, 0
	s_branch .LBB322_226
.LBB322_211:
	v_mov_b64_e32 v[2:3], 0
	v_mov_b32_e32 v1, v0
	s_mov_b32 s24, 0
.LBB322_212:
	s_and_b32 s28, s25, 3
	s_mov_b32 s25, 0
	s_cmp_eq_u32 s28, 0
	s_cbranch_scc1 .LBB322_215
; %bb.213:
	s_lshl_b32 s26, s24, 3
	s_mov_b32 s27, s25
	s_mul_u64 s[38:39], s[24:25], 12
	s_add_nc_u64 s[26:27], s[2:3], s[26:27]
	s_delay_alu instid0(SALU_CYCLE_1)
	s_add_nc_u64 s[24:25], s[26:27], 0xc4
	s_add_nc_u64 s[26:27], s[2:3], s[38:39]
.LBB322_214:                            ; =>This Inner Loop Header: Depth=1
	s_load_b96 s[40:42], s[26:27], 0x4
	s_load_b64 s[38:39], s[24:25], 0x0
	s_add_co_i32 s28, s28, -1
	s_wait_xcnt 0x0
	s_add_nc_u64 s[26:27], s[26:27], 12
	s_cmp_lg_u32 s28, 0
	s_add_nc_u64 s[24:25], s[24:25], 8
	s_wait_kmcnt 0x0
	v_mul_hi_u32 v4, s41, v1
	s_delay_alu instid0(VALU_DEP_1) | instskip(NEXT) | instid1(VALU_DEP_1)
	v_add_nc_u32_e32 v4, v1, v4
	v_lshrrev_b32_e32 v4, s42, v4
	s_delay_alu instid0(VALU_DEP_1) | instskip(NEXT) | instid1(VALU_DEP_1)
	v_mul_lo_u32 v5, v4, s40
	v_sub_nc_u32_e32 v1, v1, v5
	s_delay_alu instid0(VALU_DEP_1)
	v_mad_u32 v3, v1, s39, v3
	v_mad_u32 v2, v1, s38, v2
	v_mov_b32_e32 v1, v4
	s_cbranch_scc1 .LBB322_214
.LBB322_215:
	s_cbranch_execnz .LBB322_218
.LBB322_216:
	v_mov_b32_e32 v1, 0
	s_and_not1_b32 vcc_lo, exec_lo, s34
	s_delay_alu instid0(VALU_DEP_1) | instskip(NEXT) | instid1(VALU_DEP_1)
	v_mul_u64_e32 v[2:3], s[16:17], v[0:1]
	v_add_nc_u32_e32 v2, v0, v3
	s_delay_alu instid0(VALU_DEP_1) | instskip(NEXT) | instid1(VALU_DEP_1)
	v_lshrrev_b32_e32 v4, s14, v2
	v_mul_lo_u32 v2, v4, s12
	s_delay_alu instid0(VALU_DEP_1) | instskip(NEXT) | instid1(VALU_DEP_1)
	v_sub_nc_u32_e32 v2, v0, v2
	v_mul_lo_u32 v3, v2, s9
	v_mul_lo_u32 v2, v2, s8
	s_cbranch_vccnz .LBB322_218
; %bb.217:
	v_mov_b32_e32 v5, v1
	s_delay_alu instid0(VALU_DEP_1) | instskip(NEXT) | instid1(VALU_DEP_1)
	v_mul_u64_e32 v[6:7], s[20:21], v[4:5]
	v_add_nc_u32_e32 v1, v4, v7
	s_delay_alu instid0(VALU_DEP_1) | instskip(NEXT) | instid1(VALU_DEP_1)
	v_lshrrev_b32_e32 v1, s19, v1
	v_mul_lo_u32 v1, v1, s15
	s_delay_alu instid0(VALU_DEP_1) | instskip(NEXT) | instid1(VALU_DEP_1)
	v_sub_nc_u32_e32 v1, v4, v1
	v_mad_u32 v2, v1, s10, v2
	v_mad_u32 v3, v1, s11, v3
.LBB322_218:
	global_load_u8 v1, v3, s[6:7]
	v_add_nc_u32_e32 v0, 0x80, v0
	s_wait_loadcnt 0x0
	v_lshlrev_b32_e32 v3, 23, v1
	v_cmp_ne_u32_e32 vcc_lo, 0xff, v1
	s_delay_alu instid0(VALU_DEP_2) | instskip(SKIP_1) | instid1(VALU_DEP_2)
	v_cndmask_b32_e32 v3, 0x7f800001, v3, vcc_lo
	v_cmp_ne_u32_e32 vcc_lo, 0, v1
	v_cndmask_b32_e32 v1, 0x400000, v3, vcc_lo
	s_delay_alu instid0(VALU_DEP_1) | instskip(SKIP_3) | instid1(VALU_DEP_1)
	v_cmp_eq_f32_e32 vcc_lo, s13, v1
	v_cndmask_b32_e64 v3, 0, 1, vcc_lo
	v_cmp_neq_f32_e32 vcc_lo, s13, v1
	v_cndmask_b32_e64 v1, 0, 1, vcc_lo
	v_cndmask_b32_e64 v1, v1, v3, s0
	s_delay_alu instid0(VALU_DEP_1) | instskip(SKIP_3) | instid1(SALU_CYCLE_1)
	v_and_b32_e32 v1, 1, v1
	global_store_b8 v2, v1, s[4:5]
	s_wait_xcnt 0x0
	s_or_b32 exec_lo, exec_lo, s18
	s_mov_b32 s18, exec_lo
	v_cmpx_gt_i32_e64 s35, v0
	s_cbranch_execnz .LBB322_204
.LBB322_219:
	s_or_b32 exec_lo, exec_lo, s18
	s_delay_alu instid0(SALU_CYCLE_1)
	s_mov_b32 s18, exec_lo
	v_cmpx_gt_i32_e64 s35, v0
	s_cbranch_execnz .LBB322_230
.LBB322_220:
	s_or_b32 exec_lo, exec_lo, s18
                                        ; implicit-def: $vgpr16
                                        ; implicit-def: $vgpr0
	s_and_not1_saveexec_b32 s0, s33
	s_cbranch_execnz .LBB322_8
.LBB322_221:
	s_endpgm
.LBB322_222:
	v_mov_b64_e32 v[2:3], 0
	v_mov_b32_e32 v1, v0
	s_mov_b32 s24, 0
.LBB322_223:
	s_and_b32 s28, s25, 3
	s_mov_b32 s25, 0
	s_cmp_eq_u32 s28, 0
	s_cbranch_scc1 .LBB322_226
; %bb.224:
	s_lshl_b32 s26, s24, 3
	s_mov_b32 s27, s25
	s_mul_u64 s[38:39], s[24:25], 12
	s_add_nc_u64 s[26:27], s[2:3], s[26:27]
	s_delay_alu instid0(SALU_CYCLE_1)
	s_add_nc_u64 s[24:25], s[26:27], 0xc4
	s_add_nc_u64 s[26:27], s[2:3], s[38:39]
.LBB322_225:                            ; =>This Inner Loop Header: Depth=1
	s_load_b96 s[40:42], s[26:27], 0x4
	s_load_b64 s[38:39], s[24:25], 0x0
	s_add_co_i32 s28, s28, -1
	s_wait_xcnt 0x0
	s_add_nc_u64 s[26:27], s[26:27], 12
	s_cmp_lg_u32 s28, 0
	s_add_nc_u64 s[24:25], s[24:25], 8
	s_wait_kmcnt 0x0
	v_mul_hi_u32 v4, s41, v1
	s_delay_alu instid0(VALU_DEP_1) | instskip(NEXT) | instid1(VALU_DEP_1)
	v_add_nc_u32_e32 v4, v1, v4
	v_lshrrev_b32_e32 v4, s42, v4
	s_delay_alu instid0(VALU_DEP_1) | instskip(NEXT) | instid1(VALU_DEP_1)
	v_mul_lo_u32 v5, v4, s40
	v_sub_nc_u32_e32 v1, v1, v5
	s_delay_alu instid0(VALU_DEP_1)
	v_mad_u32 v3, v1, s39, v3
	v_mad_u32 v2, v1, s38, v2
	v_mov_b32_e32 v1, v4
	s_cbranch_scc1 .LBB322_225
.LBB322_226:
	s_cbranch_execnz .LBB322_229
.LBB322_227:
	v_mov_b32_e32 v1, 0
	s_and_not1_b32 vcc_lo, exec_lo, s34
	s_delay_alu instid0(VALU_DEP_1) | instskip(NEXT) | instid1(VALU_DEP_1)
	v_mul_u64_e32 v[2:3], s[16:17], v[0:1]
	v_add_nc_u32_e32 v2, v0, v3
	s_delay_alu instid0(VALU_DEP_1) | instskip(NEXT) | instid1(VALU_DEP_1)
	v_lshrrev_b32_e32 v4, s14, v2
	v_mul_lo_u32 v2, v4, s12
	s_delay_alu instid0(VALU_DEP_1) | instskip(NEXT) | instid1(VALU_DEP_1)
	v_sub_nc_u32_e32 v2, v0, v2
	v_mul_lo_u32 v3, v2, s9
	v_mul_lo_u32 v2, v2, s8
	s_cbranch_vccnz .LBB322_229
; %bb.228:
	v_mov_b32_e32 v5, v1
	s_delay_alu instid0(VALU_DEP_1) | instskip(NEXT) | instid1(VALU_DEP_1)
	v_mul_u64_e32 v[6:7], s[20:21], v[4:5]
	v_add_nc_u32_e32 v1, v4, v7
	s_delay_alu instid0(VALU_DEP_1) | instskip(NEXT) | instid1(VALU_DEP_1)
	v_lshrrev_b32_e32 v1, s19, v1
	v_mul_lo_u32 v1, v1, s15
	s_delay_alu instid0(VALU_DEP_1) | instskip(NEXT) | instid1(VALU_DEP_1)
	v_sub_nc_u32_e32 v1, v4, v1
	v_mad_u32 v2, v1, s10, v2
	v_mad_u32 v3, v1, s11, v3
.LBB322_229:
	global_load_u8 v1, v3, s[6:7]
	v_add_nc_u32_e32 v0, 0x80, v0
	s_wait_loadcnt 0x0
	v_lshlrev_b32_e32 v3, 23, v1
	v_cmp_ne_u32_e32 vcc_lo, 0xff, v1
	s_delay_alu instid0(VALU_DEP_2) | instskip(SKIP_1) | instid1(VALU_DEP_2)
	v_cndmask_b32_e32 v3, 0x7f800001, v3, vcc_lo
	v_cmp_ne_u32_e32 vcc_lo, 0, v1
	v_cndmask_b32_e32 v1, 0x400000, v3, vcc_lo
	s_delay_alu instid0(VALU_DEP_1) | instskip(SKIP_3) | instid1(VALU_DEP_1)
	v_cmp_eq_f32_e32 vcc_lo, s13, v1
	v_cndmask_b32_e64 v3, 0, 1, vcc_lo
	v_cmp_neq_f32_e32 vcc_lo, s13, v1
	v_cndmask_b32_e64 v1, 0, 1, vcc_lo
	v_cndmask_b32_e64 v1, v1, v3, s0
	s_delay_alu instid0(VALU_DEP_1) | instskip(SKIP_3) | instid1(SALU_CYCLE_1)
	v_and_b32_e32 v1, 1, v1
	global_store_b8 v2, v1, s[4:5]
	s_wait_xcnt 0x0
	s_or_b32 exec_lo, exec_lo, s18
	s_mov_b32 s18, exec_lo
	v_cmpx_gt_i32_e64 s35, v0
	s_cbranch_execz .LBB322_220
.LBB322_230:
	s_and_not1_b32 vcc_lo, exec_lo, s1
	s_cbranch_vccnz .LBB322_235
; %bb.231:
	s_and_not1_b32 vcc_lo, exec_lo, s37
	s_cbranch_vccnz .LBB322_236
; %bb.232:
	s_add_co_i32 s36, s36, 1
	s_cmp_eq_u32 s31, 2
	s_cbranch_scc1 .LBB322_237
; %bb.233:
	v_dual_mov_b32 v2, 0 :: v_dual_mov_b32 v3, 0
	v_mov_b32_e32 v1, v0
	s_and_b32 s24, s36, 28
	s_mov_b32 s25, 0
	s_mov_b64 s[26:27], s[2:3]
.LBB322_234:                            ; =>This Inner Loop Header: Depth=1
	s_clause 0x1
	s_load_b256 s[40:47], s[26:27], 0x4
	s_load_b128 s[56:59], s[26:27], 0x24
	s_load_b256 s[48:55], s[22:23], 0x0
	s_add_co_i32 s25, s25, 4
	s_wait_xcnt 0x0
	s_add_nc_u64 s[26:27], s[26:27], 48
	s_cmp_eq_u32 s24, s25
	s_add_nc_u64 s[22:23], s[22:23], 32
	s_wait_kmcnt 0x0
	v_mul_hi_u32 v4, s41, v1
	s_delay_alu instid0(VALU_DEP_1) | instskip(NEXT) | instid1(VALU_DEP_1)
	v_add_nc_u32_e32 v4, v1, v4
	v_lshrrev_b32_e32 v4, s42, v4
	s_delay_alu instid0(VALU_DEP_1) | instskip(NEXT) | instid1(VALU_DEP_1)
	v_mul_hi_u32 v5, s44, v4
	v_add_nc_u32_e32 v5, v4, v5
	s_delay_alu instid0(VALU_DEP_1) | instskip(NEXT) | instid1(VALU_DEP_1)
	v_lshrrev_b32_e32 v5, s45, v5
	v_mul_hi_u32 v6, s47, v5
	s_delay_alu instid0(VALU_DEP_1) | instskip(SKIP_1) | instid1(VALU_DEP_1)
	v_add_nc_u32_e32 v6, v5, v6
	v_mul_lo_u32 v7, v4, s40
	v_sub_nc_u32_e32 v1, v1, v7
	v_mul_lo_u32 v7, v5, s43
	s_delay_alu instid0(VALU_DEP_4) | instskip(NEXT) | instid1(VALU_DEP_3)
	v_lshrrev_b32_e32 v6, s56, v6
	v_mad_u32 v3, v1, s49, v3
	v_mad_u32 v1, v1, s48, v2
	s_delay_alu instid0(VALU_DEP_4) | instskip(NEXT) | instid1(VALU_DEP_4)
	v_sub_nc_u32_e32 v2, v4, v7
	v_mul_hi_u32 v8, s58, v6
	v_mul_lo_u32 v4, v6, s46
	s_delay_alu instid0(VALU_DEP_3) | instskip(SKIP_1) | instid1(VALU_DEP_4)
	v_mad_u32 v3, v2, s51, v3
	v_mad_u32 v2, v2, s50, v1
	v_add_nc_u32_e32 v7, v6, v8
	s_delay_alu instid0(VALU_DEP_1) | instskip(NEXT) | instid1(VALU_DEP_1)
	v_dual_sub_nc_u32 v4, v5, v4 :: v_dual_lshrrev_b32 v1, s59, v7
	v_mad_u32 v3, v4, s53, v3
	s_delay_alu instid0(VALU_DEP_4) | instskip(NEXT) | instid1(VALU_DEP_3)
	v_mad_u32 v2, v4, s52, v2
	v_mul_lo_u32 v5, v1, s57
	s_delay_alu instid0(VALU_DEP_1) | instskip(NEXT) | instid1(VALU_DEP_1)
	v_sub_nc_u32_e32 v4, v6, v5
	v_mad_u32 v3, v4, s55, v3
	s_delay_alu instid0(VALU_DEP_4)
	v_mad_u32 v2, v4, s54, v2
	s_cbranch_scc0 .LBB322_234
	s_branch .LBB322_238
.LBB322_235:
                                        ; implicit-def: $vgpr3
	s_branch .LBB322_242
.LBB322_236:
	v_dual_mov_b32 v3, 0 :: v_dual_mov_b32 v2, 0
	s_branch .LBB322_241
.LBB322_237:
	v_mov_b64_e32 v[2:3], 0
	v_mov_b32_e32 v1, v0
	s_mov_b32 s24, 0
.LBB322_238:
	s_and_b32 s26, s36, 3
	s_mov_b32 s25, 0
	s_cmp_eq_u32 s26, 0
	s_cbranch_scc1 .LBB322_241
; %bb.239:
	s_lshl_b32 s22, s24, 3
	s_mov_b32 s23, s25
	s_mul_u64 s[24:25], s[24:25], 12
	s_add_nc_u64 s[22:23], s[2:3], s[22:23]
	s_add_nc_u64 s[24:25], s[2:3], s[24:25]
	;; [unrolled: 1-line block ×3, first 2 shown]
.LBB322_240:                            ; =>This Inner Loop Header: Depth=1
	s_load_b96 s[36:38], s[24:25], 0x4
	s_load_b64 s[28:29], s[22:23], 0x0
	s_add_co_i32 s26, s26, -1
	s_wait_xcnt 0x0
	s_add_nc_u64 s[24:25], s[24:25], 12
	s_cmp_lg_u32 s26, 0
	s_add_nc_u64 s[22:23], s[22:23], 8
	s_wait_kmcnt 0x0
	v_mul_hi_u32 v4, s37, v1
	s_delay_alu instid0(VALU_DEP_1) | instskip(NEXT) | instid1(VALU_DEP_1)
	v_add_nc_u32_e32 v4, v1, v4
	v_lshrrev_b32_e32 v4, s38, v4
	s_delay_alu instid0(VALU_DEP_1) | instskip(NEXT) | instid1(VALU_DEP_1)
	v_mul_lo_u32 v5, v4, s36
	v_sub_nc_u32_e32 v1, v1, v5
	s_delay_alu instid0(VALU_DEP_1)
	v_mad_u32 v3, v1, s29, v3
	v_mad_u32 v2, v1, s28, v2
	v_mov_b32_e32 v1, v4
	s_cbranch_scc1 .LBB322_240
.LBB322_241:
	s_cbranch_execnz .LBB322_244
.LBB322_242:
	v_mov_b32_e32 v1, 0
	s_and_not1_b32 vcc_lo, exec_lo, s34
	s_delay_alu instid0(VALU_DEP_1) | instskip(NEXT) | instid1(VALU_DEP_1)
	v_mul_u64_e32 v[2:3], s[16:17], v[0:1]
	v_add_nc_u32_e32 v2, v0, v3
	s_delay_alu instid0(VALU_DEP_1) | instskip(NEXT) | instid1(VALU_DEP_1)
	v_lshrrev_b32_e32 v4, s14, v2
	v_mul_lo_u32 v2, v4, s12
	s_delay_alu instid0(VALU_DEP_1) | instskip(NEXT) | instid1(VALU_DEP_1)
	v_sub_nc_u32_e32 v0, v0, v2
	v_mul_lo_u32 v3, v0, s9
	v_mul_lo_u32 v2, v0, s8
	s_cbranch_vccnz .LBB322_244
; %bb.243:
	v_mov_b32_e32 v5, v1
	s_delay_alu instid0(VALU_DEP_1) | instskip(NEXT) | instid1(VALU_DEP_1)
	v_mul_u64_e32 v[0:1], s[20:21], v[4:5]
	v_add_nc_u32_e32 v0, v4, v1
	s_delay_alu instid0(VALU_DEP_1) | instskip(NEXT) | instid1(VALU_DEP_1)
	v_lshrrev_b32_e32 v0, s19, v0
	v_mul_lo_u32 v0, v0, s15
	s_delay_alu instid0(VALU_DEP_1) | instskip(NEXT) | instid1(VALU_DEP_1)
	v_sub_nc_u32_e32 v0, v4, v0
	v_mad_u32 v2, v0, s10, v2
	v_mad_u32 v3, v0, s11, v3
.LBB322_244:
	global_load_u8 v0, v3, s[6:7]
	s_wait_loadcnt 0x0
	v_lshlrev_b32_e32 v1, 23, v0
	v_cmp_ne_u32_e32 vcc_lo, 0xff, v0
	s_delay_alu instid0(VALU_DEP_2) | instskip(SKIP_1) | instid1(VALU_DEP_2)
	v_cndmask_b32_e32 v1, 0x7f800001, v1, vcc_lo
	v_cmp_ne_u32_e32 vcc_lo, 0, v0
	v_cndmask_b32_e32 v0, 0x400000, v1, vcc_lo
	s_delay_alu instid0(VALU_DEP_1) | instskip(SKIP_3) | instid1(VALU_DEP_1)
	v_cmp_eq_f32_e32 vcc_lo, s13, v0
	v_cndmask_b32_e64 v1, 0, 1, vcc_lo
	v_cmp_neq_f32_e32 vcc_lo, s13, v0
	v_cndmask_b32_e64 v0, 0, 1, vcc_lo
	v_cndmask_b32_e64 v0, v0, v1, s0
	s_delay_alu instid0(VALU_DEP_1)
	v_and_b32_e32 v0, 1, v0
	global_store_b8 v2, v0, s[4:5]
	s_wait_xcnt 0x0
	s_or_b32 exec_lo, exec_lo, s18
                                        ; implicit-def: $vgpr16
                                        ; implicit-def: $vgpr0
	s_and_not1_saveexec_b32 s0, s33
	s_cbranch_execz .LBB322_221
	s_branch .LBB322_8
	.section	.rodata,"a",@progbits
	.p2align	6, 0x0
	.amdhsa_kernel _ZN2at6native32elementwise_kernel_manual_unrollILi128ELi8EZNS0_22gpu_kernel_impl_nocastINS0_13AUnaryFunctorIN3c1014Float8_e8m0fnuES5_bNS0_12_GLOBAL__N_116CompareEqFunctorIS5_EEEEEEvRNS_18TensorIteratorBaseERKT_EUlibE_EEviT1_
		.amdhsa_group_segment_fixed_size 0
		.amdhsa_private_segment_fixed_size 0
		.amdhsa_kernarg_size 360
		.amdhsa_user_sgpr_count 2
		.amdhsa_user_sgpr_dispatch_ptr 0
		.amdhsa_user_sgpr_queue_ptr 0
		.amdhsa_user_sgpr_kernarg_segment_ptr 1
		.amdhsa_user_sgpr_dispatch_id 0
		.amdhsa_user_sgpr_kernarg_preload_length 0
		.amdhsa_user_sgpr_kernarg_preload_offset 0
		.amdhsa_user_sgpr_private_segment_size 0
		.amdhsa_wavefront_size32 1
		.amdhsa_uses_dynamic_stack 0
		.amdhsa_enable_private_segment 0
		.amdhsa_system_sgpr_workgroup_id_x 1
		.amdhsa_system_sgpr_workgroup_id_y 0
		.amdhsa_system_sgpr_workgroup_id_z 0
		.amdhsa_system_sgpr_workgroup_info 0
		.amdhsa_system_vgpr_workitem_id 0
		.amdhsa_next_free_vgpr 24
		.amdhsa_next_free_sgpr 60
		.amdhsa_named_barrier_count 0
		.amdhsa_reserve_vcc 1
		.amdhsa_float_round_mode_32 0
		.amdhsa_float_round_mode_16_64 0
		.amdhsa_float_denorm_mode_32 3
		.amdhsa_float_denorm_mode_16_64 3
		.amdhsa_fp16_overflow 0
		.amdhsa_memory_ordered 1
		.amdhsa_forward_progress 1
		.amdhsa_inst_pref_size 108
		.amdhsa_round_robin_scheduling 0
		.amdhsa_exception_fp_ieee_invalid_op 0
		.amdhsa_exception_fp_denorm_src 0
		.amdhsa_exception_fp_ieee_div_zero 0
		.amdhsa_exception_fp_ieee_overflow 0
		.amdhsa_exception_fp_ieee_underflow 0
		.amdhsa_exception_fp_ieee_inexact 0
		.amdhsa_exception_int_div_zero 0
	.end_amdhsa_kernel
	.section	.text._ZN2at6native32elementwise_kernel_manual_unrollILi128ELi8EZNS0_22gpu_kernel_impl_nocastINS0_13AUnaryFunctorIN3c1014Float8_e8m0fnuES5_bNS0_12_GLOBAL__N_116CompareEqFunctorIS5_EEEEEEvRNS_18TensorIteratorBaseERKT_EUlibE_EEviT1_,"axG",@progbits,_ZN2at6native32elementwise_kernel_manual_unrollILi128ELi8EZNS0_22gpu_kernel_impl_nocastINS0_13AUnaryFunctorIN3c1014Float8_e8m0fnuES5_bNS0_12_GLOBAL__N_116CompareEqFunctorIS5_EEEEEEvRNS_18TensorIteratorBaseERKT_EUlibE_EEviT1_,comdat
.Lfunc_end322:
	.size	_ZN2at6native32elementwise_kernel_manual_unrollILi128ELi8EZNS0_22gpu_kernel_impl_nocastINS0_13AUnaryFunctorIN3c1014Float8_e8m0fnuES5_bNS0_12_GLOBAL__N_116CompareEqFunctorIS5_EEEEEEvRNS_18TensorIteratorBaseERKT_EUlibE_EEviT1_, .Lfunc_end322-_ZN2at6native32elementwise_kernel_manual_unrollILi128ELi8EZNS0_22gpu_kernel_impl_nocastINS0_13AUnaryFunctorIN3c1014Float8_e8m0fnuES5_bNS0_12_GLOBAL__N_116CompareEqFunctorIS5_EEEEEEvRNS_18TensorIteratorBaseERKT_EUlibE_EEviT1_
                                        ; -- End function
	.set _ZN2at6native32elementwise_kernel_manual_unrollILi128ELi8EZNS0_22gpu_kernel_impl_nocastINS0_13AUnaryFunctorIN3c1014Float8_e8m0fnuES5_bNS0_12_GLOBAL__N_116CompareEqFunctorIS5_EEEEEEvRNS_18TensorIteratorBaseERKT_EUlibE_EEviT1_.num_vgpr, 24
	.set _ZN2at6native32elementwise_kernel_manual_unrollILi128ELi8EZNS0_22gpu_kernel_impl_nocastINS0_13AUnaryFunctorIN3c1014Float8_e8m0fnuES5_bNS0_12_GLOBAL__N_116CompareEqFunctorIS5_EEEEEEvRNS_18TensorIteratorBaseERKT_EUlibE_EEviT1_.num_agpr, 0
	.set _ZN2at6native32elementwise_kernel_manual_unrollILi128ELi8EZNS0_22gpu_kernel_impl_nocastINS0_13AUnaryFunctorIN3c1014Float8_e8m0fnuES5_bNS0_12_GLOBAL__N_116CompareEqFunctorIS5_EEEEEEvRNS_18TensorIteratorBaseERKT_EUlibE_EEviT1_.numbered_sgpr, 60
	.set _ZN2at6native32elementwise_kernel_manual_unrollILi128ELi8EZNS0_22gpu_kernel_impl_nocastINS0_13AUnaryFunctorIN3c1014Float8_e8m0fnuES5_bNS0_12_GLOBAL__N_116CompareEqFunctorIS5_EEEEEEvRNS_18TensorIteratorBaseERKT_EUlibE_EEviT1_.num_named_barrier, 0
	.set _ZN2at6native32elementwise_kernel_manual_unrollILi128ELi8EZNS0_22gpu_kernel_impl_nocastINS0_13AUnaryFunctorIN3c1014Float8_e8m0fnuES5_bNS0_12_GLOBAL__N_116CompareEqFunctorIS5_EEEEEEvRNS_18TensorIteratorBaseERKT_EUlibE_EEviT1_.private_seg_size, 0
	.set _ZN2at6native32elementwise_kernel_manual_unrollILi128ELi8EZNS0_22gpu_kernel_impl_nocastINS0_13AUnaryFunctorIN3c1014Float8_e8m0fnuES5_bNS0_12_GLOBAL__N_116CompareEqFunctorIS5_EEEEEEvRNS_18TensorIteratorBaseERKT_EUlibE_EEviT1_.uses_vcc, 1
	.set _ZN2at6native32elementwise_kernel_manual_unrollILi128ELi8EZNS0_22gpu_kernel_impl_nocastINS0_13AUnaryFunctorIN3c1014Float8_e8m0fnuES5_bNS0_12_GLOBAL__N_116CompareEqFunctorIS5_EEEEEEvRNS_18TensorIteratorBaseERKT_EUlibE_EEviT1_.uses_flat_scratch, 0
	.set _ZN2at6native32elementwise_kernel_manual_unrollILi128ELi8EZNS0_22gpu_kernel_impl_nocastINS0_13AUnaryFunctorIN3c1014Float8_e8m0fnuES5_bNS0_12_GLOBAL__N_116CompareEqFunctorIS5_EEEEEEvRNS_18TensorIteratorBaseERKT_EUlibE_EEviT1_.has_dyn_sized_stack, 0
	.set _ZN2at6native32elementwise_kernel_manual_unrollILi128ELi8EZNS0_22gpu_kernel_impl_nocastINS0_13AUnaryFunctorIN3c1014Float8_e8m0fnuES5_bNS0_12_GLOBAL__N_116CompareEqFunctorIS5_EEEEEEvRNS_18TensorIteratorBaseERKT_EUlibE_EEviT1_.has_recursion, 0
	.set _ZN2at6native32elementwise_kernel_manual_unrollILi128ELi8EZNS0_22gpu_kernel_impl_nocastINS0_13AUnaryFunctorIN3c1014Float8_e8m0fnuES5_bNS0_12_GLOBAL__N_116CompareEqFunctorIS5_EEEEEEvRNS_18TensorIteratorBaseERKT_EUlibE_EEviT1_.has_indirect_call, 0
	.section	.AMDGPU.csdata,"",@progbits
; Kernel info:
; codeLenInByte = 13756
; TotalNumSgprs: 62
; NumVgprs: 24
; ScratchSize: 0
; MemoryBound: 0
; FloatMode: 240
; IeeeMode: 1
; LDSByteSize: 0 bytes/workgroup (compile time only)
; SGPRBlocks: 0
; VGPRBlocks: 1
; NumSGPRsForWavesPerEU: 62
; NumVGPRsForWavesPerEU: 24
; NamedBarCnt: 0
; Occupancy: 16
; WaveLimiterHint : 1
; COMPUTE_PGM_RSRC2:SCRATCH_EN: 0
; COMPUTE_PGM_RSRC2:USER_SGPR: 2
; COMPUTE_PGM_RSRC2:TRAP_HANDLER: 0
; COMPUTE_PGM_RSRC2:TGID_X_EN: 1
; COMPUTE_PGM_RSRC2:TGID_Y_EN: 0
; COMPUTE_PGM_RSRC2:TGID_Z_EN: 0
; COMPUTE_PGM_RSRC2:TIDIG_COMP_CNT: 0
	.section	.text._ZN2at6native32elementwise_kernel_manual_unrollILi128ELi4EZNS0_15gpu_kernel_implINS0_13AUnaryFunctorIN3c1014Float8_e8m0fnuES5_bNS0_12_GLOBAL__N_116CompareEqFunctorIS5_EEEEEEvRNS_18TensorIteratorBaseERKT_EUlibE_EEviT1_,"axG",@progbits,_ZN2at6native32elementwise_kernel_manual_unrollILi128ELi4EZNS0_15gpu_kernel_implINS0_13AUnaryFunctorIN3c1014Float8_e8m0fnuES5_bNS0_12_GLOBAL__N_116CompareEqFunctorIS5_EEEEEEvRNS_18TensorIteratorBaseERKT_EUlibE_EEviT1_,comdat
	.globl	_ZN2at6native32elementwise_kernel_manual_unrollILi128ELi4EZNS0_15gpu_kernel_implINS0_13AUnaryFunctorIN3c1014Float8_e8m0fnuES5_bNS0_12_GLOBAL__N_116CompareEqFunctorIS5_EEEEEEvRNS_18TensorIteratorBaseERKT_EUlibE_EEviT1_ ; -- Begin function _ZN2at6native32elementwise_kernel_manual_unrollILi128ELi4EZNS0_15gpu_kernel_implINS0_13AUnaryFunctorIN3c1014Float8_e8m0fnuES5_bNS0_12_GLOBAL__N_116CompareEqFunctorIS5_EEEEEEvRNS_18TensorIteratorBaseERKT_EUlibE_EEviT1_
	.p2align	8
	.type	_ZN2at6native32elementwise_kernel_manual_unrollILi128ELi4EZNS0_15gpu_kernel_implINS0_13AUnaryFunctorIN3c1014Float8_e8m0fnuES5_bNS0_12_GLOBAL__N_116CompareEqFunctorIS5_EEEEEEvRNS_18TensorIteratorBaseERKT_EUlibE_EEviT1_,@function
_ZN2at6native32elementwise_kernel_manual_unrollILi128ELi4EZNS0_15gpu_kernel_implINS0_13AUnaryFunctorIN3c1014Float8_e8m0fnuES5_bNS0_12_GLOBAL__N_116CompareEqFunctorIS5_EEEEEEvRNS_18TensorIteratorBaseERKT_EUlibE_EEviT1_: ; @_ZN2at6native32elementwise_kernel_manual_unrollILi128ELi4EZNS0_15gpu_kernel_implINS0_13AUnaryFunctorIN3c1014Float8_e8m0fnuES5_bNS0_12_GLOBAL__N_116CompareEqFunctorIS5_EEEEEEvRNS_18TensorIteratorBaseERKT_EUlibE_EEviT1_
; %bb.0:
	s_load_b32 s3, s[0:1], 0x28
	s_bfe_u32 s4, ttmp6, 0x4000c
	s_load_b32 s16, s[0:1], 0x0
	s_add_co_i32 s13, s4, 1
	s_load_b256 s[4:11], s[0:1], 0x8
	s_and_b32 s2, ttmp6, 15
	s_wait_xcnt 0x0
	s_mul_i32 s0, ttmp9, s13
	s_getreg_b32 s12, hwreg(HW_REG_IB_STS2, 6, 4)
	s_add_co_i32 s2, s2, s0
	s_mov_b32 s15, 0
	s_wait_kmcnt 0x0
	s_bfe_u32 s13, s3, 0x80008
	s_cmp_eq_u32 s12, 0
	s_mov_b32 s12, 0
	s_cselect_b32 s0, ttmp9, s2
	s_delay_alu instid0(SALU_CYCLE_1) | instskip(SKIP_1) | instid1(VALU_DEP_1)
	v_lshl_or_b32 v4, s0, 9, v0
	s_mov_b32 s0, exec_lo
	v_or_b32_e32 v0, 0x180, v4
	s_delay_alu instid0(VALU_DEP_1)
	v_cmpx_le_i32_e64 s16, v0
	s_xor_b32 s14, exec_lo, s0
	s_cbranch_execz .LBB323_1196
; %bb.1:
	s_and_b32 s1, s11, 0xff
	s_cmp_eq_u32 s10, 0
	s_mov_b32 s20, 0
	s_cselect_b32 s0, -1, 0
	s_lshl_b32 s2, s1, 23
	s_cmp_lg_u32 s1, 0xff
	s_mov_b32 s18, 0
	s_cselect_b32 s2, s2, 0x7f800001
	s_cmp_lg_u32 s1, 0
	s_mov_b32 s1, -1
	s_cselect_b32 s15, s2, 0x400000
	s_mov_b32 s17, 0
	s_mov_b32 s19, exec_lo
	v_cmpx_gt_i32_e64 s16, v4
	s_cbranch_execz .LBB323_294
; %bb.2:
	v_mul_lo_u32 v0, v4, s9
	s_and_b32 s2, 0xffff, s13
	s_delay_alu instid0(SALU_CYCLE_1) | instskip(NEXT) | instid1(VALU_DEP_1)
	s_cmp_lt_i32 s2, 11
	v_ashrrev_i32_e32 v1, 31, v0
	s_delay_alu instid0(VALU_DEP_1)
	v_add_nc_u64_e32 v[0:1], s[6:7], v[0:1]
	s_cbranch_scc1 .LBB323_11
; %bb.3:
	s_cmp_gt_i32 s2, 25
	s_cbranch_scc0 .LBB323_59
; %bb.4:
	s_cmp_gt_i32 s2, 28
	s_cbranch_scc0 .LBB323_60
	;; [unrolled: 3-line block ×4, first 2 shown]
; %bb.7:
	s_cmp_eq_u32 s2, 46
	s_cbranch_scc0 .LBB323_66
; %bb.8:
	global_load_b32 v3, v[0:1], off
	s_mov_b32 s18, exec_lo
	s_wait_loadcnt 0x0
	v_dual_mov_b32 v2, 0xff :: v_dual_lshlrev_b32 v5, 16, v3
	s_delay_alu instid0(VALU_DEP_1) | instskip(NEXT) | instid1(VALU_DEP_1)
	v_bfe_u32 v6, v5, 23, 8
	v_cmpx_ne_u32_e32 0xff, v6
	s_cbranch_execz .LBB323_10
; %bb.9:
	v_and_b32_e32 v2, 64, v3
	v_and_or_b32 v5, 0x3f0000, v5, v6
	s_delay_alu instid0(VALU_DEP_2) | instskip(NEXT) | instid1(VALU_DEP_2)
	v_cmp_ne_u32_e32 vcc_lo, 0, v2
	v_cmp_ne_u32_e64 s1, 0, v5
	v_bfe_u32 v2, v3, 7, 9
	s_and_b32 s1, vcc_lo, s1
	s_delay_alu instid0(SALU_CYCLE_1) | instskip(NEXT) | instid1(VALU_DEP_1)
	v_cndmask_b32_e64 v3, 0, 1, s1
	v_add_nc_u32_e32 v2, v2, v3
.LBB323_10:
	s_or_b32 exec_lo, exec_lo, s18
	s_mov_b32 s1, -1
	s_mov_b32 s18, 0
	s_branch .LBB323_68
.LBB323_11:
	s_mov_b32 s1, 0
                                        ; implicit-def: $vgpr2
	s_cbranch_execnz .LBB323_222
.LBB323_12:
	s_and_not1_b32 vcc_lo, exec_lo, s1
	s_cbranch_vccnz .LBB323_291
.LBB323_13:
	s_wait_loadcnt 0x0
	s_delay_alu instid0(VALU_DEP_1)
	v_and_b32_e32 v0, 0xff, v2
	s_and_b32 s17, s3, 0xff
	s_mov_b32 s2, 0
	s_mov_b32 s21, -1
	s_cmp_lt_i32 s17, 11
	v_lshlrev_b32_e32 v1, 23, v0
	v_cmp_ne_u16_e32 vcc_lo, 0xff, v0
	s_mov_b32 s22, 0
	s_delay_alu instid0(VALU_DEP_2) | instskip(SKIP_2) | instid1(VALU_DEP_3)
	v_cndmask_b32_e32 v1, 0x7f800001, v1, vcc_lo
	v_cmp_ne_u16_e32 vcc_lo, 0, v0
	v_mul_lo_u32 v0, v4, s8
	v_cndmask_b32_e32 v1, 0x400000, v1, vcc_lo
	s_delay_alu instid0(VALU_DEP_1) | instskip(SKIP_3) | instid1(VALU_DEP_1)
	v_cmp_eq_f32_e32 vcc_lo, s15, v1
	v_cndmask_b32_e64 v2, 0, 1, vcc_lo
	v_cmp_neq_f32_e32 vcc_lo, s15, v1
	v_cndmask_b32_e64 v1, 0, 1, vcc_lo
	v_dual_cndmask_b32 v2, v1, v2, s0 :: v_dual_ashrrev_i32 v1, 31, v0
	s_delay_alu instid0(VALU_DEP_1) | instskip(NEXT) | instid1(VALU_DEP_2)
	v_and_b32_e32 v2, 1, v2
	v_add_nc_u64_e32 v[0:1], s[4:5], v[0:1]
	s_delay_alu instid0(VALU_DEP_2)
	v_cmp_eq_u32_e64 s1, 1, v2
	s_cbranch_scc1 .LBB323_20
; %bb.14:
	s_and_b32 s21, 0xffff, s17
	s_delay_alu instid0(SALU_CYCLE_1)
	s_cmp_gt_i32 s21, 25
	s_cbranch_scc0 .LBB323_61
; %bb.15:
	s_cmp_gt_i32 s21, 28
	s_cbranch_scc0 .LBB323_63
; %bb.16:
	;; [unrolled: 3-line block ×4, first 2 shown]
	s_mov_b32 s23, 0
	s_mov_b32 s2, -1
	s_cmp_eq_u32 s21, 46
	s_cbranch_scc0 .LBB323_72
; %bb.19:
	v_cndmask_b32_e64 v2, 0, 1.0, s1
	s_mov_b32 s22, -1
	s_mov_b32 s2, 0
	s_delay_alu instid0(VALU_DEP_1) | instskip(NEXT) | instid1(VALU_DEP_1)
	v_bfe_u32 v3, v2, 16, 1
	v_add3_u32 v2, v2, v3, 0x7fff
	s_delay_alu instid0(VALU_DEP_1)
	v_lshrrev_b32_e32 v2, 16, v2
	global_store_b32 v[0:1], v2, off
	s_branch .LBB323_72
.LBB323_20:
	s_and_b32 vcc_lo, exec_lo, s21
	s_cbranch_vccz .LBB323_141
; %bb.21:
	s_and_b32 s17, 0xffff, s17
	s_mov_b32 s21, -1
	s_cmp_lt_i32 s17, 5
	s_cbranch_scc1 .LBB323_42
; %bb.22:
	s_cmp_lt_i32 s17, 8
	s_cbranch_scc1 .LBB323_32
; %bb.23:
	;; [unrolled: 3-line block ×3, first 2 shown]
	s_cmp_gt_i32 s17, 9
	s_cbranch_scc0 .LBB323_26
; %bb.25:
	s_wait_xcnt 0x0
	v_cndmask_b32_e64 v2, 0, 1, s1
	v_mov_b32_e32 v8, 0
	s_mov_b32 s21, 0
	s_delay_alu instid0(VALU_DEP_2) | instskip(NEXT) | instid1(VALU_DEP_2)
	v_cvt_f64_u32_e32 v[6:7], v2
	v_mov_b32_e32 v9, v8
	global_store_b128 v[0:1], v[6:9], off
.LBB323_26:
	s_and_not1_b32 vcc_lo, exec_lo, s21
	s_cbranch_vccnz .LBB323_28
; %bb.27:
	s_wait_xcnt 0x0
	v_cndmask_b32_e64 v2, 0, 1.0, s1
	v_mov_b32_e32 v3, 0
	global_store_b64 v[0:1], v[2:3], off
.LBB323_28:
	s_mov_b32 s21, 0
.LBB323_29:
	s_delay_alu instid0(SALU_CYCLE_1)
	s_and_not1_b32 vcc_lo, exec_lo, s21
	s_cbranch_vccnz .LBB323_31
; %bb.30:
	s_wait_xcnt 0x0
	v_cndmask_b32_e64 v2, 0, 1.0, s1
	s_delay_alu instid0(VALU_DEP_1) | instskip(NEXT) | instid1(VALU_DEP_1)
	v_cvt_f16_f32_e32 v2, v2
	v_and_b32_e32 v2, 0xffff, v2
	global_store_b32 v[0:1], v2, off
.LBB323_31:
	s_mov_b32 s21, 0
.LBB323_32:
	s_delay_alu instid0(SALU_CYCLE_1)
	s_and_not1_b32 vcc_lo, exec_lo, s21
	s_cbranch_vccnz .LBB323_41
; %bb.33:
	s_cmp_lt_i32 s17, 6
	s_mov_b32 s21, -1
	s_cbranch_scc1 .LBB323_39
; %bb.34:
	s_cmp_gt_i32 s17, 6
	s_cbranch_scc0 .LBB323_36
; %bb.35:
	s_wait_xcnt 0x0
	v_cndmask_b32_e64 v2, 0, 1, s1
	s_mov_b32 s21, 0
	s_delay_alu instid0(VALU_DEP_1)
	v_cvt_f64_u32_e32 v[2:3], v2
	global_store_b64 v[0:1], v[2:3], off
.LBB323_36:
	s_and_not1_b32 vcc_lo, exec_lo, s21
	s_cbranch_vccnz .LBB323_38
; %bb.37:
	s_wait_xcnt 0x0
	v_cndmask_b32_e64 v2, 0, 1.0, s1
	global_store_b32 v[0:1], v2, off
.LBB323_38:
	s_mov_b32 s21, 0
.LBB323_39:
	s_delay_alu instid0(SALU_CYCLE_1)
	s_and_not1_b32 vcc_lo, exec_lo, s21
	s_cbranch_vccnz .LBB323_41
; %bb.40:
	s_wait_xcnt 0x0
	v_cndmask_b32_e64 v2, 0, 1.0, s1
	s_delay_alu instid0(VALU_DEP_1)
	v_cvt_f16_f32_e32 v2, v2
	global_store_b16 v[0:1], v2, off
.LBB323_41:
	s_mov_b32 s21, 0
.LBB323_42:
	s_delay_alu instid0(SALU_CYCLE_1)
	s_and_not1_b32 vcc_lo, exec_lo, s21
	s_cbranch_vccnz .LBB323_58
; %bb.43:
	s_cmp_lt_i32 s17, 2
	s_mov_b32 s21, -1
	s_cbranch_scc1 .LBB323_53
; %bb.44:
	s_cmp_lt_i32 s17, 3
	s_cbranch_scc1 .LBB323_50
; %bb.45:
	s_cmp_gt_i32 s17, 3
	s_cbranch_scc0 .LBB323_47
; %bb.46:
	s_mov_b32 s21, 0
	s_wait_xcnt 0x0
	v_cndmask_b32_e64 v2, 0, 1, s1
	v_mov_b32_e32 v3, s21
	global_store_b64 v[0:1], v[2:3], off
.LBB323_47:
	s_and_not1_b32 vcc_lo, exec_lo, s21
	s_cbranch_vccnz .LBB323_49
; %bb.48:
	s_wait_xcnt 0x0
	v_cndmask_b32_e64 v2, 0, 1, s1
	global_store_b32 v[0:1], v2, off
.LBB323_49:
	s_mov_b32 s21, 0
.LBB323_50:
	s_delay_alu instid0(SALU_CYCLE_1)
	s_and_not1_b32 vcc_lo, exec_lo, s21
	s_cbranch_vccnz .LBB323_52
; %bb.51:
	s_wait_xcnt 0x0
	v_cndmask_b32_e64 v2, 0, 1, s1
	global_store_b16 v[0:1], v2, off
.LBB323_52:
	s_mov_b32 s21, 0
.LBB323_53:
	s_delay_alu instid0(SALU_CYCLE_1)
	s_and_not1_b32 vcc_lo, exec_lo, s21
	s_cbranch_vccnz .LBB323_58
; %bb.54:
	s_wait_xcnt 0x0
	v_cndmask_b32_e64 v2, 0, 1, s1
	s_cmp_gt_i32 s17, 0
	s_mov_b32 s1, -1
	s_cbranch_scc0 .LBB323_56
; %bb.55:
	s_mov_b32 s1, 0
	global_store_b8 v[0:1], v2, off
.LBB323_56:
	s_and_not1_b32 vcc_lo, exec_lo, s1
	s_cbranch_vccnz .LBB323_58
; %bb.57:
	global_store_b8 v[0:1], v2, off
.LBB323_58:
	s_branch .LBB323_142
.LBB323_59:
	s_mov_b32 s1, 0
                                        ; implicit-def: $vgpr2
	s_cbranch_execnz .LBB323_179
	s_branch .LBB323_221
.LBB323_60:
	s_mov_b32 s17, -1
	s_mov_b32 s1, 0
                                        ; implicit-def: $vgpr2
	s_branch .LBB323_152
.LBB323_61:
	s_mov_b32 s23, -1
	s_branch .LBB323_99
.LBB323_62:
	s_mov_b32 s17, -1
	s_mov_b32 s1, 0
                                        ; implicit-def: $vgpr2
	s_branch .LBB323_145
.LBB323_63:
	s_mov_b32 s23, -1
	s_branch .LBB323_82
.LBB323_64:
	s_mov_b32 s17, -1
	s_branch .LBB323_67
.LBB323_65:
	s_mov_b32 s23, -1
	s_branch .LBB323_78
.LBB323_66:
	s_mov_b32 s18, -1
.LBB323_67:
	s_mov_b32 s1, 0
                                        ; implicit-def: $vgpr2
.LBB323_68:
	s_and_b32 vcc_lo, exec_lo, s17
	s_cbranch_vccz .LBB323_144
; %bb.69:
	s_cmp_eq_u32 s2, 44
	s_cbranch_scc0 .LBB323_143
; %bb.70:
	global_load_u8 v2, v[0:1], off
	s_mov_b32 s1, -1
	s_mov_b32 s18, 0
	s_branch .LBB323_144
.LBB323_71:
	s_mov_b32 s23, -1
.LBB323_72:
	s_delay_alu instid0(SALU_CYCLE_1)
	s_and_b32 vcc_lo, exec_lo, s23
	s_cbranch_vccz .LBB323_77
; %bb.73:
	s_cmp_eq_u32 s21, 44
	s_mov_b32 s2, -1
	s_cbranch_scc0 .LBB323_77
; %bb.74:
	v_cndmask_b32_e64 v5, 0, 1.0, s1
	s_mov_b32 s22, exec_lo
	s_wait_xcnt 0x0
	s_delay_alu instid0(VALU_DEP_1) | instskip(NEXT) | instid1(VALU_DEP_1)
	v_dual_mov_b32 v3, 0xff :: v_dual_lshrrev_b32 v2, 23, v5
	v_cmpx_ne_u32_e32 0xff, v2
; %bb.75:
	v_and_b32_e32 v3, 0x400000, v5
	v_and_or_b32 v5, 0x3fffff, v5, v2
	s_delay_alu instid0(VALU_DEP_2) | instskip(NEXT) | instid1(VALU_DEP_2)
	v_cmp_ne_u32_e32 vcc_lo, 0, v3
	v_cmp_ne_u32_e64 s2, 0, v5
	s_and_b32 s2, vcc_lo, s2
	s_delay_alu instid0(SALU_CYCLE_1) | instskip(NEXT) | instid1(VALU_DEP_1)
	v_cndmask_b32_e64 v3, 0, 1, s2
	v_add_nc_u32_e32 v3, v2, v3
; %bb.76:
	s_or_b32 exec_lo, exec_lo, s22
	s_mov_b32 s22, -1
	s_mov_b32 s2, 0
	global_store_b8 v[0:1], v3, off
.LBB323_77:
	s_mov_b32 s23, 0
.LBB323_78:
	s_delay_alu instid0(SALU_CYCLE_1)
	s_and_b32 vcc_lo, exec_lo, s23
	s_cbranch_vccz .LBB323_81
; %bb.79:
	s_cmp_eq_u32 s21, 29
	s_mov_b32 s2, -1
	s_cbranch_scc0 .LBB323_81
; %bb.80:
	s_mov_b32 s2, 0
	s_wait_xcnt 0x0
	v_cndmask_b32_e64 v2, 0, 1, s1
	v_mov_b32_e32 v3, s2
	s_mov_b32 s22, -1
	s_mov_b32 s23, 0
	global_store_b64 v[0:1], v[2:3], off
	s_branch .LBB323_82
.LBB323_81:
	s_mov_b32 s23, 0
.LBB323_82:
	s_delay_alu instid0(SALU_CYCLE_1)
	s_and_b32 vcc_lo, exec_lo, s23
	s_cbranch_vccz .LBB323_98
; %bb.83:
	s_cmp_lt_i32 s21, 27
	s_mov_b32 s22, -1
	s_cbranch_scc1 .LBB323_89
; %bb.84:
	s_cmp_gt_i32 s21, 27
	s_cbranch_scc0 .LBB323_86
; %bb.85:
	s_wait_xcnt 0x0
	v_cndmask_b32_e64 v2, 0, 1, s1
	s_mov_b32 s22, 0
	global_store_b32 v[0:1], v2, off
.LBB323_86:
	s_and_not1_b32 vcc_lo, exec_lo, s22
	s_cbranch_vccnz .LBB323_88
; %bb.87:
	s_wait_xcnt 0x0
	v_cndmask_b32_e64 v2, 0, 1, s1
	global_store_b16 v[0:1], v2, off
.LBB323_88:
	s_mov_b32 s22, 0
.LBB323_89:
	s_delay_alu instid0(SALU_CYCLE_1)
	s_and_not1_b32 vcc_lo, exec_lo, s22
	s_cbranch_vccnz .LBB323_97
; %bb.90:
	s_wait_xcnt 0x0
	v_cndmask_b32_e64 v3, 0, 1.0, s1
	v_mov_b32_e32 v5, 0x80
	s_mov_b32 s22, exec_lo
	s_delay_alu instid0(VALU_DEP_2)
	v_cmpx_gt_u32_e32 0x43800000, v3
	s_cbranch_execz .LBB323_96
; %bb.91:
	s_mov_b32 s23, 0
	s_mov_b32 s24, exec_lo
                                        ; implicit-def: $vgpr2
	v_cmpx_lt_u32_e32 0x3bffffff, v3
	s_xor_b32 s24, exec_lo, s24
	s_cbranch_execz .LBB323_364
; %bb.92:
	v_bfe_u32 v2, v3, 20, 1
	s_mov_b32 s23, exec_lo
	s_delay_alu instid0(VALU_DEP_1) | instskip(NEXT) | instid1(VALU_DEP_1)
	v_add3_u32 v2, v3, v2, 0x487ffff
                                        ; implicit-def: $vgpr3
	v_lshrrev_b32_e32 v2, 20, v2
	s_and_not1_saveexec_b32 s24, s24
	s_cbranch_execnz .LBB323_365
.LBB323_93:
	s_or_b32 exec_lo, exec_lo, s24
	v_mov_b32_e32 v5, 0
	s_and_saveexec_b32 s24, s23
.LBB323_94:
	v_mov_b32_e32 v5, v2
.LBB323_95:
	s_or_b32 exec_lo, exec_lo, s24
.LBB323_96:
	s_delay_alu instid0(SALU_CYCLE_1)
	s_or_b32 exec_lo, exec_lo, s22
	global_store_b8 v[0:1], v5, off
.LBB323_97:
	s_mov_b32 s22, -1
.LBB323_98:
	s_mov_b32 s23, 0
.LBB323_99:
	s_delay_alu instid0(SALU_CYCLE_1)
	s_and_b32 vcc_lo, exec_lo, s23
	s_cbranch_vccz .LBB323_140
; %bb.100:
	s_cmp_gt_i32 s21, 22
	s_mov_b32 s23, -1
	s_cbranch_scc0 .LBB323_132
; %bb.101:
	s_cmp_lt_i32 s21, 24
	s_mov_b32 s22, -1
	s_cbranch_scc1 .LBB323_121
; %bb.102:
	s_cmp_gt_i32 s21, 24
	s_cbranch_scc0 .LBB323_110
; %bb.103:
	s_wait_xcnt 0x0
	v_cndmask_b32_e64 v3, 0, 1.0, s1
	v_mov_b32_e32 v5, 0x80
	s_mov_b32 s22, exec_lo
	s_delay_alu instid0(VALU_DEP_2)
	v_cmpx_gt_u32_e32 0x47800000, v3
	s_cbranch_execz .LBB323_109
; %bb.104:
	s_mov_b32 s23, 0
	s_mov_b32 s24, exec_lo
                                        ; implicit-def: $vgpr2
	v_cmpx_lt_u32_e32 0x37ffffff, v3
	s_xor_b32 s24, exec_lo, s24
	s_cbranch_execz .LBB323_368
; %bb.105:
	v_bfe_u32 v2, v3, 21, 1
	s_mov_b32 s23, exec_lo
	s_delay_alu instid0(VALU_DEP_1) | instskip(NEXT) | instid1(VALU_DEP_1)
	v_add3_u32 v2, v3, v2, 0x88fffff
                                        ; implicit-def: $vgpr3
	v_lshrrev_b32_e32 v2, 21, v2
	s_and_not1_saveexec_b32 s24, s24
	s_cbranch_execnz .LBB323_369
.LBB323_106:
	s_or_b32 exec_lo, exec_lo, s24
	v_mov_b32_e32 v5, 0
	s_and_saveexec_b32 s24, s23
.LBB323_107:
	v_mov_b32_e32 v5, v2
.LBB323_108:
	s_or_b32 exec_lo, exec_lo, s24
.LBB323_109:
	s_delay_alu instid0(SALU_CYCLE_1)
	s_or_b32 exec_lo, exec_lo, s22
	s_mov_b32 s22, 0
	global_store_b8 v[0:1], v5, off
.LBB323_110:
	s_and_b32 vcc_lo, exec_lo, s22
	s_cbranch_vccz .LBB323_120
; %bb.111:
	s_wait_xcnt 0x0
	v_cndmask_b32_e64 v3, 0, 1.0, s1
	s_mov_b32 s22, exec_lo
                                        ; implicit-def: $vgpr2
	s_delay_alu instid0(VALU_DEP_1)
	v_cmpx_gt_u32_e32 0x43f00000, v3
	s_xor_b32 s22, exec_lo, s22
	s_cbranch_execz .LBB323_117
; %bb.112:
	s_mov_b32 s23, exec_lo
                                        ; implicit-def: $vgpr2
	v_cmpx_lt_u32_e32 0x3c7fffff, v3
	s_xor_b32 s23, exec_lo, s23
; %bb.113:
	v_bfe_u32 v2, v3, 20, 1
	s_delay_alu instid0(VALU_DEP_1) | instskip(NEXT) | instid1(VALU_DEP_1)
	v_add3_u32 v2, v3, v2, 0x407ffff
	v_and_b32_e32 v3, 0xff00000, v2
	v_lshrrev_b32_e32 v2, 20, v2
	s_delay_alu instid0(VALU_DEP_2) | instskip(NEXT) | instid1(VALU_DEP_2)
	v_cmp_ne_u32_e32 vcc_lo, 0x7f00000, v3
                                        ; implicit-def: $vgpr3
	v_cndmask_b32_e32 v2, 0x7e, v2, vcc_lo
; %bb.114:
	s_and_not1_saveexec_b32 s23, s23
; %bb.115:
	v_add_f32_e32 v2, 0x46800000, v3
; %bb.116:
	s_or_b32 exec_lo, exec_lo, s23
                                        ; implicit-def: $vgpr3
.LBB323_117:
	s_and_not1_saveexec_b32 s22, s22
; %bb.118:
	v_mov_b32_e32 v2, 0x7f
	v_cmp_lt_u32_e32 vcc_lo, 0x7f800000, v3
	s_delay_alu instid0(VALU_DEP_2)
	v_cndmask_b32_e32 v2, 0x7e, v2, vcc_lo
; %bb.119:
	s_or_b32 exec_lo, exec_lo, s22
	global_store_b8 v[0:1], v2, off
.LBB323_120:
	s_mov_b32 s22, 0
.LBB323_121:
	s_delay_alu instid0(SALU_CYCLE_1)
	s_and_not1_b32 vcc_lo, exec_lo, s22
	s_cbranch_vccnz .LBB323_131
; %bb.122:
	s_wait_xcnt 0x0
	v_cndmask_b32_e64 v3, 0, 1.0, s1
	s_mov_b32 s22, exec_lo
                                        ; implicit-def: $vgpr2
	s_delay_alu instid0(VALU_DEP_1)
	v_cmpx_gt_u32_e32 0x47800000, v3
	s_xor_b32 s22, exec_lo, s22
	s_cbranch_execz .LBB323_128
; %bb.123:
	s_mov_b32 s23, exec_lo
                                        ; implicit-def: $vgpr2
	v_cmpx_lt_u32_e32 0x387fffff, v3
	s_xor_b32 s23, exec_lo, s23
; %bb.124:
	v_bfe_u32 v2, v3, 21, 1
	s_delay_alu instid0(VALU_DEP_1) | instskip(NEXT) | instid1(VALU_DEP_1)
	v_add3_u32 v2, v3, v2, 0x80fffff
                                        ; implicit-def: $vgpr3
	v_lshrrev_b32_e32 v2, 21, v2
; %bb.125:
	s_and_not1_saveexec_b32 s23, s23
; %bb.126:
	v_add_f32_e32 v2, 0x43000000, v3
; %bb.127:
	s_or_b32 exec_lo, exec_lo, s23
                                        ; implicit-def: $vgpr3
.LBB323_128:
	s_and_not1_saveexec_b32 s22, s22
; %bb.129:
	v_mov_b32_e32 v2, 0x7f
	v_cmp_lt_u32_e32 vcc_lo, 0x7f800000, v3
	s_delay_alu instid0(VALU_DEP_2)
	v_cndmask_b32_e32 v2, 0x7c, v2, vcc_lo
; %bb.130:
	s_or_b32 exec_lo, exec_lo, s22
	global_store_b8 v[0:1], v2, off
.LBB323_131:
	s_mov_b32 s23, 0
	s_mov_b32 s22, -1
.LBB323_132:
	s_and_not1_b32 vcc_lo, exec_lo, s23
	s_cbranch_vccnz .LBB323_140
; %bb.133:
	s_cmp_gt_i32 s21, 14
	s_mov_b32 s23, -1
	s_cbranch_scc0 .LBB323_137
; %bb.134:
	s_cmp_eq_u32 s21, 15
	s_mov_b32 s2, -1
	s_cbranch_scc0 .LBB323_136
; %bb.135:
	s_wait_xcnt 0x0
	v_cndmask_b32_e64 v2, 0, 1.0, s1
	s_mov_b32 s22, -1
	s_mov_b32 s2, 0
	s_delay_alu instid0(VALU_DEP_1) | instskip(NEXT) | instid1(VALU_DEP_1)
	v_bfe_u32 v3, v2, 16, 1
	v_add3_u32 v2, v2, v3, 0x7fff
	global_store_d16_hi_b16 v[0:1], v2, off
.LBB323_136:
	s_mov_b32 s23, 0
.LBB323_137:
	s_delay_alu instid0(SALU_CYCLE_1)
	s_and_b32 vcc_lo, exec_lo, s23
	s_cbranch_vccz .LBB323_140
; %bb.138:
	s_cmp_eq_u32 s21, 11
	s_mov_b32 s2, -1
	s_cbranch_scc0 .LBB323_140
; %bb.139:
	s_wait_xcnt 0x0
	v_cndmask_b32_e64 v2, 0, 1, s1
	s_mov_b32 s22, -1
	s_mov_b32 s2, 0
	global_store_b8 v[0:1], v2, off
.LBB323_140:
.LBB323_141:
	s_and_not1_b32 vcc_lo, exec_lo, s22
	s_cbranch_vccnz .LBB323_292
.LBB323_142:
	v_add_nc_u32_e32 v4, 0x80, v4
	s_mov_b32 s1, -1
	s_branch .LBB323_293
.LBB323_143:
	s_mov_b32 s18, -1
                                        ; implicit-def: $vgpr2
.LBB323_144:
	s_mov_b32 s17, 0
.LBB323_145:
	s_delay_alu instid0(SALU_CYCLE_1)
	s_and_b32 vcc_lo, exec_lo, s17
	s_cbranch_vccz .LBB323_151
; %bb.146:
	s_cmp_eq_u32 s2, 29
	s_cbranch_scc0 .LBB323_150
; %bb.147:
	s_wait_loadcnt 0x0
	global_load_b64 v[2:3], v[0:1], off
	s_mov_b32 s17, exec_lo
	s_wait_loadcnt 0x0
	v_clz_i32_u32_e32 v5, v3
	s_delay_alu instid0(VALU_DEP_1) | instskip(NEXT) | instid1(VALU_DEP_1)
	v_min_u32_e32 v5, 32, v5
	v_lshlrev_b64_e32 v[2:3], v5, v[2:3]
	s_delay_alu instid0(VALU_DEP_1) | instskip(NEXT) | instid1(VALU_DEP_1)
	v_min_u32_e32 v2, 1, v2
	v_dual_sub_nc_u32 v3, 32, v5 :: v_dual_bitop2_b32 v2, v3, v2 bitop3:0x54
	s_delay_alu instid0(VALU_DEP_1) | instskip(NEXT) | instid1(VALU_DEP_1)
	v_cvt_f32_u32_e32 v2, v2
	v_ldexp_f32 v5, v2, v3
	s_delay_alu instid0(VALU_DEP_1) | instskip(NEXT) | instid1(VALU_DEP_1)
	v_dual_mov_b32 v2, 0xff :: v_dual_lshrrev_b32 v3, 23, v5
	v_cmpx_ne_u32_e32 0xff, v3
; %bb.148:
	v_and_b32_e32 v2, 0x400000, v5
	v_and_or_b32 v5, 0x3fffff, v5, v3
	s_delay_alu instid0(VALU_DEP_2) | instskip(NEXT) | instid1(VALU_DEP_2)
	v_cmp_ne_u32_e32 vcc_lo, 0, v2
	v_cmp_ne_u32_e64 s1, 0, v5
	s_and_b32 s1, vcc_lo, s1
	s_delay_alu instid0(SALU_CYCLE_1) | instskip(NEXT) | instid1(VALU_DEP_1)
	v_cndmask_b32_e64 v2, 0, 1, s1
	v_add_nc_u32_e32 v2, v3, v2
; %bb.149:
	s_or_b32 exec_lo, exec_lo, s17
	s_mov_b32 s1, -1
	s_mov_b32 s18, 0
	s_branch .LBB323_151
.LBB323_150:
	s_mov_b32 s18, -1
                                        ; implicit-def: $vgpr2
.LBB323_151:
	s_mov_b32 s17, 0
.LBB323_152:
	s_delay_alu instid0(SALU_CYCLE_1)
	s_and_b32 vcc_lo, exec_lo, s17
	s_cbranch_vccz .LBB323_178
; %bb.153:
	s_cmp_lt_i32 s2, 27
	s_cbranch_scc1 .LBB323_158
; %bb.154:
	s_cmp_gt_i32 s2, 27
	s_cbranch_scc0 .LBB323_159
; %bb.155:
	s_wait_loadcnt 0x0
	global_load_b32 v2, v[0:1], off
	s_mov_b32 s17, exec_lo
	s_wait_loadcnt 0x0
	v_cvt_f32_u32_e32 v5, v2
	s_delay_alu instid0(VALU_DEP_1) | instskip(NEXT) | instid1(VALU_DEP_1)
	v_dual_mov_b32 v2, 0xff :: v_dual_lshrrev_b32 v3, 23, v5
	v_cmpx_ne_u32_e32 0xff, v3
; %bb.156:
	v_and_b32_e32 v2, 0x400000, v5
	v_and_or_b32 v5, 0x3fffff, v5, v3
	s_delay_alu instid0(VALU_DEP_2) | instskip(NEXT) | instid1(VALU_DEP_2)
	v_cmp_ne_u32_e32 vcc_lo, 0, v2
	v_cmp_ne_u32_e64 s1, 0, v5
	s_and_b32 s1, vcc_lo, s1
	s_delay_alu instid0(SALU_CYCLE_1) | instskip(NEXT) | instid1(VALU_DEP_1)
	v_cndmask_b32_e64 v2, 0, 1, s1
	v_add_nc_u32_e32 v2, v3, v2
; %bb.157:
	s_or_b32 exec_lo, exec_lo, s17
	s_mov_b32 s1, 0
	s_branch .LBB323_160
.LBB323_158:
	s_mov_b32 s1, -1
                                        ; implicit-def: $vgpr2
	s_branch .LBB323_165
.LBB323_159:
	s_mov_b32 s1, -1
                                        ; implicit-def: $vgpr2
.LBB323_160:
	s_delay_alu instid0(SALU_CYCLE_1)
	s_and_not1_b32 vcc_lo, exec_lo, s1
	s_cbranch_vccnz .LBB323_164
; %bb.161:
	s_wait_loadcnt 0x0
	global_load_u16 v2, v[0:1], off
	s_mov_b32 s17, exec_lo
	s_wait_loadcnt 0x0
	v_cvt_f32_u32_e32 v5, v2
	s_delay_alu instid0(VALU_DEP_1) | instskip(NEXT) | instid1(VALU_DEP_1)
	v_dual_mov_b32 v2, 0xff :: v_dual_lshrrev_b32 v3, 23, v5
	v_cmpx_ne_u32_e32 0xff, v3
; %bb.162:
	v_and_b32_e32 v2, 0x400000, v5
	v_and_or_b32 v5, 0x3fffff, v5, v3
	s_delay_alu instid0(VALU_DEP_2) | instskip(NEXT) | instid1(VALU_DEP_2)
	v_cmp_ne_u32_e32 vcc_lo, 0, v2
	v_cmp_ne_u32_e64 s1, 0, v5
	s_and_b32 s1, vcc_lo, s1
	s_delay_alu instid0(SALU_CYCLE_1) | instskip(NEXT) | instid1(VALU_DEP_1)
	v_cndmask_b32_e64 v2, 0, 1, s1
	v_add_nc_u32_e32 v2, v3, v2
; %bb.163:
	s_or_b32 exec_lo, exec_lo, s17
.LBB323_164:
	s_mov_b32 s1, 0
.LBB323_165:
	s_delay_alu instid0(SALU_CYCLE_1)
	s_and_not1_b32 vcc_lo, exec_lo, s1
	s_cbranch_vccnz .LBB323_177
; %bb.166:
	s_wait_loadcnt 0x0
	global_load_u8 v2, v[0:1], off
	s_mov_b32 s1, 0
	s_mov_b32 s17, exec_lo
	s_wait_loadcnt 0x0
	v_cmpx_lt_i16_e32 0x7f, v2
	s_xor_b32 s17, exec_lo, s17
	s_cbranch_execz .LBB323_170
; %bb.167:
	s_mov_b32 s1, -1
	s_mov_b32 s21, exec_lo
	v_cmpx_eq_u16_e32 0x80, v2
; %bb.168:
	s_xor_b32 s1, exec_lo, -1
; %bb.169:
	s_or_b32 exec_lo, exec_lo, s21
	s_delay_alu instid0(SALU_CYCLE_1)
	s_and_b32 s1, s1, exec_lo
.LBB323_170:
	s_or_saveexec_b32 s17, s17
	v_mov_b32_e32 v3, 0x7f800001
	v_and_b32_e32 v5, 0xffff, v2
	s_xor_b32 exec_lo, exec_lo, s17
; %bb.171:
	v_cmp_ne_u16_e32 vcc_lo, 0, v2
	s_delay_alu instid0(VALU_DEP_2) | instskip(SKIP_2) | instid1(SALU_CYCLE_1)
	v_mov_b32_e32 v3, v5
	s_and_not1_b32 s1, s1, exec_lo
	s_and_b32 s21, vcc_lo, exec_lo
	s_or_b32 s1, s1, s21
; %bb.172:
	s_or_b32 exec_lo, exec_lo, s17
	s_and_saveexec_b32 s17, s1
	s_cbranch_execz .LBB323_174
; %bb.173:
	v_and_b32_e32 v2, 7, v5
	s_delay_alu instid0(VALU_DEP_1) | instskip(NEXT) | instid1(VALU_DEP_1)
	v_clz_i32_u32_e32 v3, v2
	v_min_u32_e32 v3, 32, v3
	s_delay_alu instid0(VALU_DEP_1) | instskip(NEXT) | instid1(VALU_DEP_1)
	v_subrev_nc_u32_e32 v6, 28, v3
	v_lshlrev_b32_e32 v6, v6, v5
	v_bfe_u32 v5, v5, 3, 4
	s_delay_alu instid0(VALU_DEP_2) | instskip(NEXT) | instid1(VALU_DEP_2)
	v_dual_sub_nc_u32 v3, 29, v3 :: v_dual_bitop2_b32 v6, 7, v6 bitop3:0x40
	v_cmp_eq_u32_e32 vcc_lo, 0, v5
	s_delay_alu instid0(VALU_DEP_2) | instskip(NEXT) | instid1(VALU_DEP_1)
	v_dual_cndmask_b32 v3, v5, v3 :: v_dual_cndmask_b32 v2, v2, v6
	v_lshlrev_b32_e32 v2, 20, v2
	s_delay_alu instid0(VALU_DEP_1) | instskip(NEXT) | instid1(VALU_DEP_1)
	v_lshl_or_b32 v2, v3, 23, v2
	v_add_nc_u32_e32 v3, 0x3b800000, v2
.LBB323_174:
	s_or_b32 exec_lo, exec_lo, s17
	s_delay_alu instid0(VALU_DEP_1) | instskip(SKIP_1) | instid1(VALU_DEP_1)
	v_dual_mov_b32 v2, 0xff :: v_dual_lshrrev_b32 v5, 23, v3
	s_mov_b32 s17, exec_lo
	v_cmpx_ne_u32_e32 0xff, v5
; %bb.175:
	v_and_b32_e32 v2, 0x400000, v3
	v_and_or_b32 v3, 0x3fffff, v3, v5
	s_delay_alu instid0(VALU_DEP_2) | instskip(NEXT) | instid1(VALU_DEP_2)
	v_cmp_ne_u32_e32 vcc_lo, 0, v2
	v_cmp_ne_u32_e64 s1, 0, v3
	s_and_b32 s1, vcc_lo, s1
	s_delay_alu instid0(SALU_CYCLE_1) | instskip(NEXT) | instid1(VALU_DEP_1)
	v_cndmask_b32_e64 v2, 0, 1, s1
	v_add_nc_u32_e32 v2, v5, v2
; %bb.176:
	s_or_b32 exec_lo, exec_lo, s17
.LBB323_177:
	s_mov_b32 s1, -1
.LBB323_178:
	s_branch .LBB323_221
.LBB323_179:
	s_cmp_gt_i32 s2, 22
	s_cbranch_scc0 .LBB323_193
; %bb.180:
	s_cmp_lt_i32 s2, 24
	s_cbranch_scc1 .LBB323_194
; %bb.181:
	s_cmp_gt_i32 s2, 24
	s_cbranch_scc0 .LBB323_195
; %bb.182:
	s_wait_loadcnt 0x0
	global_load_u8 v2, v[0:1], off
	s_mov_b32 s1, 0
	s_mov_b32 s17, exec_lo
	s_wait_loadcnt 0x0
	v_cmpx_lt_i16_e32 0x7f, v2
	s_xor_b32 s17, exec_lo, s17
	s_cbranch_execz .LBB323_186
; %bb.183:
	s_mov_b32 s1, -1
	s_mov_b32 s21, exec_lo
	v_cmpx_eq_u16_e32 0x80, v2
; %bb.184:
	s_xor_b32 s1, exec_lo, -1
; %bb.185:
	s_or_b32 exec_lo, exec_lo, s21
	s_delay_alu instid0(SALU_CYCLE_1)
	s_and_b32 s1, s1, exec_lo
.LBB323_186:
	s_or_saveexec_b32 s17, s17
	v_mov_b32_e32 v3, 0x7f800001
	v_and_b32_e32 v5, 0xffff, v2
	s_xor_b32 exec_lo, exec_lo, s17
; %bb.187:
	v_cmp_ne_u16_e32 vcc_lo, 0, v2
	s_delay_alu instid0(VALU_DEP_2) | instskip(SKIP_2) | instid1(SALU_CYCLE_1)
	v_mov_b32_e32 v3, v5
	s_and_not1_b32 s1, s1, exec_lo
	s_and_b32 s21, vcc_lo, exec_lo
	s_or_b32 s1, s1, s21
; %bb.188:
	s_or_b32 exec_lo, exec_lo, s17
	s_and_saveexec_b32 s17, s1
	s_cbranch_execz .LBB323_190
; %bb.189:
	v_and_b32_e32 v2, 3, v5
	s_delay_alu instid0(VALU_DEP_1) | instskip(NEXT) | instid1(VALU_DEP_1)
	v_clz_i32_u32_e32 v3, v2
	v_min_u32_e32 v3, 32, v3
	s_delay_alu instid0(VALU_DEP_1) | instskip(NEXT) | instid1(VALU_DEP_1)
	v_subrev_nc_u32_e32 v6, 29, v3
	v_lshlrev_b32_e32 v6, v6, v5
	v_bfe_u32 v5, v5, 2, 5
	s_delay_alu instid0(VALU_DEP_2) | instskip(NEXT) | instid1(VALU_DEP_2)
	v_dual_sub_nc_u32 v3, 30, v3 :: v_dual_bitop2_b32 v6, 3, v6 bitop3:0x40
	v_cmp_eq_u32_e32 vcc_lo, 0, v5
	s_delay_alu instid0(VALU_DEP_2) | instskip(NEXT) | instid1(VALU_DEP_1)
	v_dual_cndmask_b32 v3, v5, v3 :: v_dual_cndmask_b32 v2, v2, v6
	v_lshlrev_b32_e32 v2, 21, v2
	s_delay_alu instid0(VALU_DEP_1) | instskip(NEXT) | instid1(VALU_DEP_1)
	v_lshl_or_b32 v2, v3, 23, v2
	v_add_nc_u32_e32 v3, 0x37800000, v2
.LBB323_190:
	s_or_b32 exec_lo, exec_lo, s17
	s_delay_alu instid0(VALU_DEP_1) | instskip(SKIP_1) | instid1(VALU_DEP_1)
	v_dual_mov_b32 v2, 0xff :: v_dual_lshrrev_b32 v5, 23, v3
	s_mov_b32 s17, exec_lo
	v_cmpx_ne_u32_e32 0xff, v5
; %bb.191:
	v_and_b32_e32 v2, 0x400000, v3
	v_and_or_b32 v3, 0x3fffff, v3, v5
	s_delay_alu instid0(VALU_DEP_2) | instskip(NEXT) | instid1(VALU_DEP_2)
	v_cmp_ne_u32_e32 vcc_lo, 0, v2
	v_cmp_ne_u32_e64 s1, 0, v3
	s_and_b32 s1, vcc_lo, s1
	s_delay_alu instid0(SALU_CYCLE_1) | instskip(NEXT) | instid1(VALU_DEP_1)
	v_cndmask_b32_e64 v2, 0, 1, s1
	v_add_nc_u32_e32 v2, v5, v2
; %bb.192:
	s_or_b32 exec_lo, exec_lo, s17
	s_mov_b32 s1, 0
	s_branch .LBB323_196
.LBB323_193:
	s_mov_b32 s17, -1
                                        ; implicit-def: $vgpr2
	s_branch .LBB323_206
.LBB323_194:
	s_mov_b32 s1, -1
                                        ; implicit-def: $vgpr2
	s_branch .LBB323_201
.LBB323_195:
	s_mov_b32 s1, -1
                                        ; implicit-def: $vgpr2
.LBB323_196:
	s_delay_alu instid0(SALU_CYCLE_1)
	s_and_b32 vcc_lo, exec_lo, s1
	s_cbranch_vccz .LBB323_200
; %bb.197:
	s_wait_loadcnt 0x0
	global_load_u8 v2, v[0:1], off
	s_mov_b32 s17, exec_lo
	s_wait_loadcnt 0x0
	v_lshlrev_b32_e32 v2, 24, v2
	s_delay_alu instid0(VALU_DEP_1) | instskip(NEXT) | instid1(VALU_DEP_1)
	v_and_b32_e32 v2, 0x7f000000, v2
	v_clz_i32_u32_e32 v3, v2
	v_cmp_ne_u32_e32 vcc_lo, 0, v2
	v_add_nc_u32_e32 v6, 0x1000000, v2
	s_delay_alu instid0(VALU_DEP_3) | instskip(NEXT) | instid1(VALU_DEP_1)
	v_min_u32_e32 v3, 32, v3
	v_sub_nc_u32_e64 v3, v3, 4 clamp
	s_delay_alu instid0(VALU_DEP_1) | instskip(NEXT) | instid1(VALU_DEP_1)
	v_dual_mov_b32 v2, 0xff :: v_dual_lshlrev_b32 v5, v3, v2
	v_dual_lshlrev_b32 v3, 23, v3 :: v_dual_lshrrev_b32 v5, 4, v5
	s_delay_alu instid0(VALU_DEP_1) | instskip(NEXT) | instid1(VALU_DEP_1)
	v_dual_sub_nc_u32 v3, v5, v3 :: v_dual_ashrrev_i32 v5, 8, v6
	v_add_nc_u32_e32 v3, 0x3c000000, v3
	s_delay_alu instid0(VALU_DEP_1) | instskip(NEXT) | instid1(VALU_DEP_1)
	v_and_or_b32 v3, 0x7f800000, v5, v3
	v_cndmask_b32_e32 v5, 0, v3, vcc_lo
	s_delay_alu instid0(VALU_DEP_1) | instskip(NEXT) | instid1(VALU_DEP_1)
	v_lshrrev_b32_e32 v3, 23, v5
	v_cmpx_ne_u32_e32 0xff, v3
; %bb.198:
	v_and_b32_e32 v2, 0x400000, v5
	v_and_or_b32 v5, 0x3fffff, v5, v3
	s_delay_alu instid0(VALU_DEP_2) | instskip(NEXT) | instid1(VALU_DEP_2)
	v_cmp_ne_u32_e32 vcc_lo, 0, v2
	v_cmp_ne_u32_e64 s1, 0, v5
	s_and_b32 s1, vcc_lo, s1
	s_delay_alu instid0(SALU_CYCLE_1) | instskip(NEXT) | instid1(VALU_DEP_1)
	v_cndmask_b32_e64 v2, 0, 1, s1
	v_add_nc_u32_e32 v2, v3, v2
; %bb.199:
	s_or_b32 exec_lo, exec_lo, s17
.LBB323_200:
	s_mov_b32 s1, 0
.LBB323_201:
	s_delay_alu instid0(SALU_CYCLE_1)
	s_and_not1_b32 vcc_lo, exec_lo, s1
	s_cbranch_vccnz .LBB323_205
; %bb.202:
	s_wait_loadcnt 0x0
	global_load_u8 v2, v[0:1], off
	s_mov_b32 s17, exec_lo
	s_wait_loadcnt 0x0
	v_dual_lshlrev_b32 v3, 25, v2 :: v_dual_lshlrev_b32 v2, 8, v2
	s_delay_alu instid0(VALU_DEP_1) | instskip(NEXT) | instid1(VALU_DEP_2)
	v_cmp_gt_u32_e32 vcc_lo, 0x8000000, v3
	v_and_or_b32 v2, 0x7f00, v2, 0.5
	s_delay_alu instid0(VALU_DEP_1) | instskip(NEXT) | instid1(VALU_DEP_1)
	v_dual_add_f32 v2, -0.5, v2 :: v_dual_lshrrev_b32 v5, 4, v3
	v_or_b32_e32 v5, 0x70000000, v5
	s_delay_alu instid0(VALU_DEP_1) | instskip(NEXT) | instid1(VALU_DEP_1)
	v_mul_f32_e32 v5, 0x7800000, v5
	v_dual_cndmask_b32 v3, v5, v2 :: v_dual_mov_b32 v2, 0xff
	s_delay_alu instid0(VALU_DEP_1) | instskip(NEXT) | instid1(VALU_DEP_1)
	v_bfe_u32 v5, v3, 23, 8
	v_cmpx_ne_u32_e32 0xff, v5
	s_cbranch_execz .LBB323_204
; %bb.203:
	v_and_b32_e32 v2, 0x400000, v3
	v_and_or_b32 v5, 0x3fffff, v3, v5
	s_delay_alu instid0(VALU_DEP_2) | instskip(NEXT) | instid1(VALU_DEP_2)
	v_cmp_ne_u32_e32 vcc_lo, 0, v2
	v_cmp_ne_u32_e64 s1, 0, v5
	v_lshrrev_b32_e32 v2, 23, v3
	s_and_b32 s1, vcc_lo, s1
	s_delay_alu instid0(SALU_CYCLE_1) | instskip(NEXT) | instid1(VALU_DEP_1)
	v_cndmask_b32_e64 v3, 0, 1, s1
	v_add_nc_u32_e32 v2, v2, v3
.LBB323_204:
	s_or_b32 exec_lo, exec_lo, s17
.LBB323_205:
	s_mov_b32 s17, 0
	s_mov_b32 s1, -1
.LBB323_206:
	s_and_not1_b32 vcc_lo, exec_lo, s17
	s_cbranch_vccnz .LBB323_221
; %bb.207:
	s_cmp_gt_i32 s2, 14
	s_cbranch_scc0 .LBB323_212
; %bb.208:
	s_cmp_eq_u32 s2, 15
	s_cbranch_scc0 .LBB323_213
; %bb.209:
	global_load_u16 v3, v[0:1], off
	s_wait_loadcnt 0x1
	v_mov_b32_e32 v2, 0xff
	s_mov_b32 s17, exec_lo
	s_wait_loadcnt 0x0
	v_bfe_u32 v5, v3, 7, 8
	s_delay_alu instid0(VALU_DEP_1)
	v_cmpx_ne_u32_e32 0xff, v5
	s_cbranch_execz .LBB323_211
; %bb.210:
	v_dual_lshlrev_b32 v2, 16, v3 :: v_dual_bitop2_b32 v6, 64, v3 bitop3:0x40
	s_delay_alu instid0(VALU_DEP_1) | instskip(NEXT) | instid1(VALU_DEP_2)
	v_and_or_b32 v2, 0x3f0000, v2, v5
	v_cmp_ne_u32_e32 vcc_lo, 0, v6
	s_delay_alu instid0(VALU_DEP_2) | instskip(SKIP_2) | instid1(SALU_CYCLE_1)
	v_cmp_ne_u32_e64 s1, 0, v2
	v_lshrrev_b32_e32 v2, 7, v3
	s_and_b32 s1, vcc_lo, s1
	v_cndmask_b32_e64 v3, 0, 1, s1
	s_delay_alu instid0(VALU_DEP_1)
	v_add_nc_u32_e32 v2, v2, v3
.LBB323_211:
	s_or_b32 exec_lo, exec_lo, s17
	s_mov_b32 s1, -1
	s_mov_b32 s18, 0
	s_branch .LBB323_214
.LBB323_212:
	s_mov_b32 s17, -1
                                        ; implicit-def: $vgpr2
	s_branch .LBB323_215
.LBB323_213:
	s_mov_b32 s18, -1
                                        ; implicit-def: $vgpr2
.LBB323_214:
	s_mov_b32 s17, 0
.LBB323_215:
	s_delay_alu instid0(SALU_CYCLE_1)
	s_and_b32 vcc_lo, exec_lo, s17
	s_cbranch_vccz .LBB323_221
; %bb.216:
	s_cmp_eq_u32 s2, 11
	s_cbranch_scc0 .LBB323_220
; %bb.217:
	s_wait_loadcnt 0x0
	global_load_u8 v2, v[0:1], off
	s_mov_b32 s18, 0
	s_mov_b32 s17, exec_lo
	s_wait_loadcnt 0x0
	v_cmp_ne_u16_e32 vcc_lo, 0, v2
	v_mov_b32_e32 v2, 0xff
	v_cndmask_b32_e64 v5, 0, 1.0, vcc_lo
	s_delay_alu instid0(VALU_DEP_1) | instskip(NEXT) | instid1(VALU_DEP_1)
	v_lshrrev_b32_e32 v3, 23, v5
	v_cmpx_ne_u32_e32 0xff, v3
; %bb.218:
	v_and_b32_e32 v2, 0x400000, v5
	v_and_or_b32 v5, 0x3fffff, v5, v3
	s_delay_alu instid0(VALU_DEP_2) | instskip(NEXT) | instid1(VALU_DEP_2)
	v_cmp_ne_u32_e32 vcc_lo, 0, v2
	v_cmp_ne_u32_e64 s1, 0, v5
	s_and_b32 s1, vcc_lo, s1
	s_delay_alu instid0(SALU_CYCLE_1) | instskip(NEXT) | instid1(VALU_DEP_1)
	v_cndmask_b32_e64 v2, 0, 1, s1
	v_add_nc_u32_e32 v2, v3, v2
; %bb.219:
	s_or_b32 exec_lo, exec_lo, s17
	s_mov_b32 s1, -1
	s_branch .LBB323_221
.LBB323_220:
	s_mov_b32 s18, -1
                                        ; implicit-def: $vgpr2
.LBB323_221:
	s_branch .LBB323_12
.LBB323_222:
	s_cmp_lt_i32 s2, 5
	s_cbranch_scc1 .LBB323_229
; %bb.223:
	s_cmp_lt_i32 s2, 8
	s_cbranch_scc1 .LBB323_230
; %bb.224:
	;; [unrolled: 3-line block ×3, first 2 shown]
	s_cmp_gt_i32 s2, 9
	s_cbranch_scc0 .LBB323_232
; %bb.226:
	s_wait_loadcnt 0x0
	global_load_b64 v[2:3], v[0:1], off
	s_mov_b32 s17, exec_lo
	s_wait_loadcnt 0x0
	v_cvt_f32_f64_e32 v3, v[2:3]
	v_mov_b32_e32 v2, 0xff
	s_delay_alu instid0(VALU_DEP_2) | instskip(NEXT) | instid1(VALU_DEP_1)
	v_bfe_u32 v5, v3, 23, 8
	v_cmpx_ne_u32_e32 0xff, v5
	s_cbranch_execz .LBB323_228
; %bb.227:
	v_and_b32_e32 v2, 0x400000, v3
	v_and_or_b32 v5, 0x3fffff, v3, v5
	s_delay_alu instid0(VALU_DEP_2) | instskip(NEXT) | instid1(VALU_DEP_2)
	v_cmp_ne_u32_e32 vcc_lo, 0, v2
	v_cmp_ne_u32_e64 s1, 0, v5
	v_lshrrev_b32_e32 v2, 23, v3
	s_and_b32 s1, vcc_lo, s1
	s_delay_alu instid0(SALU_CYCLE_1) | instskip(NEXT) | instid1(VALU_DEP_1)
	v_cndmask_b32_e64 v3, 0, 1, s1
	v_add_nc_u32_e32 v2, v2, v3
.LBB323_228:
	s_or_b32 exec_lo, exec_lo, s17
	s_mov_b32 s1, 0
	s_branch .LBB323_233
.LBB323_229:
                                        ; implicit-def: $vgpr2
	s_branch .LBB323_261
.LBB323_230:
	s_mov_b32 s1, -1
                                        ; implicit-def: $vgpr2
	s_branch .LBB323_243
.LBB323_231:
	s_mov_b32 s1, -1
                                        ; implicit-def: $vgpr2
	s_branch .LBB323_238
.LBB323_232:
	s_mov_b32 s1, -1
                                        ; implicit-def: $vgpr2
.LBB323_233:
	s_delay_alu instid0(SALU_CYCLE_1)
	s_and_not1_b32 vcc_lo, exec_lo, s1
	s_cbranch_vccnz .LBB323_237
; %bb.234:
	global_load_b32 v3, v[0:1], off
	s_wait_loadcnt 0x1
	v_mov_b32_e32 v2, 0xff
	s_mov_b32 s17, exec_lo
	s_wait_loadcnt 0x0
	v_bfe_u32 v5, v3, 23, 8
	s_delay_alu instid0(VALU_DEP_1)
	v_cmpx_ne_u32_e32 0xff, v5
	s_cbranch_execz .LBB323_236
; %bb.235:
	v_and_b32_e32 v2, 0x400000, v3
	v_and_or_b32 v5, 0x3fffff, v3, v5
	s_delay_alu instid0(VALU_DEP_2) | instskip(NEXT) | instid1(VALU_DEP_2)
	v_cmp_ne_u32_e32 vcc_lo, 0, v2
	v_cmp_ne_u32_e64 s1, 0, v5
	v_lshrrev_b32_e32 v2, 23, v3
	s_and_b32 s1, vcc_lo, s1
	s_delay_alu instid0(SALU_CYCLE_1) | instskip(NEXT) | instid1(VALU_DEP_1)
	v_cndmask_b32_e64 v3, 0, 1, s1
	v_add_nc_u32_e32 v2, v2, v3
.LBB323_236:
	s_or_b32 exec_lo, exec_lo, s17
.LBB323_237:
	s_mov_b32 s1, 0
.LBB323_238:
	s_delay_alu instid0(SALU_CYCLE_1)
	s_and_not1_b32 vcc_lo, exec_lo, s1
	s_cbranch_vccnz .LBB323_242
; %bb.239:
	s_wait_loadcnt 0x0
	global_load_b32 v2, v[0:1], off
	s_mov_b32 s17, exec_lo
	s_wait_loadcnt 0x0
	v_cvt_f32_f16_e32 v3, v2
	v_mov_b32_e32 v2, 0xff
	s_delay_alu instid0(VALU_DEP_2) | instskip(NEXT) | instid1(VALU_DEP_1)
	v_bfe_u32 v5, v3, 23, 8
	v_cmpx_ne_u32_e32 0xff, v5
	s_cbranch_execz .LBB323_241
; %bb.240:
	v_and_b32_e32 v2, 0x400000, v3
	v_and_or_b32 v5, 0x3fffff, v3, v5
	s_delay_alu instid0(VALU_DEP_2) | instskip(NEXT) | instid1(VALU_DEP_2)
	v_cmp_ne_u32_e32 vcc_lo, 0, v2
	v_cmp_ne_u32_e64 s1, 0, v5
	v_lshrrev_b32_e32 v2, 23, v3
	s_and_b32 s1, vcc_lo, s1
	s_delay_alu instid0(SALU_CYCLE_1) | instskip(NEXT) | instid1(VALU_DEP_1)
	v_cndmask_b32_e64 v3, 0, 1, s1
	v_add_nc_u32_e32 v2, v2, v3
.LBB323_241:
	s_or_b32 exec_lo, exec_lo, s17
.LBB323_242:
	s_mov_b32 s1, 0
.LBB323_243:
	s_delay_alu instid0(SALU_CYCLE_1)
	s_and_not1_b32 vcc_lo, exec_lo, s1
	s_cbranch_vccnz .LBB323_260
; %bb.244:
	s_cmp_lt_i32 s2, 6
	s_cbranch_scc1 .LBB323_249
; %bb.245:
	s_cmp_gt_i32 s2, 6
	s_cbranch_scc0 .LBB323_250
; %bb.246:
	s_wait_loadcnt 0x0
	global_load_b64 v[2:3], v[0:1], off
	s_mov_b32 s17, exec_lo
	s_wait_loadcnt 0x0
	v_cvt_f32_f64_e32 v3, v[2:3]
	v_mov_b32_e32 v2, 0xff
	s_delay_alu instid0(VALU_DEP_2) | instskip(NEXT) | instid1(VALU_DEP_1)
	v_bfe_u32 v5, v3, 23, 8
	v_cmpx_ne_u32_e32 0xff, v5
	s_cbranch_execz .LBB323_248
; %bb.247:
	v_and_b32_e32 v2, 0x400000, v3
	v_and_or_b32 v5, 0x3fffff, v3, v5
	s_delay_alu instid0(VALU_DEP_2) | instskip(NEXT) | instid1(VALU_DEP_2)
	v_cmp_ne_u32_e32 vcc_lo, 0, v2
	v_cmp_ne_u32_e64 s1, 0, v5
	v_lshrrev_b32_e32 v2, 23, v3
	s_and_b32 s1, vcc_lo, s1
	s_delay_alu instid0(SALU_CYCLE_1) | instskip(NEXT) | instid1(VALU_DEP_1)
	v_cndmask_b32_e64 v3, 0, 1, s1
	v_add_nc_u32_e32 v2, v2, v3
.LBB323_248:
	s_or_b32 exec_lo, exec_lo, s17
	s_mov_b32 s1, 0
	s_branch .LBB323_251
.LBB323_249:
	s_mov_b32 s1, -1
                                        ; implicit-def: $vgpr2
	s_branch .LBB323_256
.LBB323_250:
	s_mov_b32 s1, -1
                                        ; implicit-def: $vgpr2
.LBB323_251:
	s_delay_alu instid0(SALU_CYCLE_1)
	s_and_not1_b32 vcc_lo, exec_lo, s1
	s_cbranch_vccnz .LBB323_255
; %bb.252:
	global_load_b32 v3, v[0:1], off
	s_wait_loadcnt 0x1
	v_mov_b32_e32 v2, 0xff
	s_mov_b32 s17, exec_lo
	s_wait_loadcnt 0x0
	v_bfe_u32 v5, v3, 23, 8
	s_delay_alu instid0(VALU_DEP_1)
	v_cmpx_ne_u32_e32 0xff, v5
	s_cbranch_execz .LBB323_254
; %bb.253:
	v_and_b32_e32 v2, 0x400000, v3
	v_and_or_b32 v5, 0x3fffff, v3, v5
	s_delay_alu instid0(VALU_DEP_2) | instskip(NEXT) | instid1(VALU_DEP_2)
	v_cmp_ne_u32_e32 vcc_lo, 0, v2
	v_cmp_ne_u32_e64 s1, 0, v5
	v_lshrrev_b32_e32 v2, 23, v3
	s_and_b32 s1, vcc_lo, s1
	s_delay_alu instid0(SALU_CYCLE_1) | instskip(NEXT) | instid1(VALU_DEP_1)
	v_cndmask_b32_e64 v3, 0, 1, s1
	v_add_nc_u32_e32 v2, v2, v3
.LBB323_254:
	s_or_b32 exec_lo, exec_lo, s17
.LBB323_255:
	s_mov_b32 s1, 0
.LBB323_256:
	s_delay_alu instid0(SALU_CYCLE_1)
	s_and_not1_b32 vcc_lo, exec_lo, s1
	s_cbranch_vccnz .LBB323_260
; %bb.257:
	s_wait_loadcnt 0x0
	global_load_u16 v2, v[0:1], off
	s_mov_b32 s17, exec_lo
	s_wait_loadcnt 0x0
	v_cvt_f32_f16_e32 v3, v2
	v_mov_b32_e32 v2, 0xff
	s_delay_alu instid0(VALU_DEP_2) | instskip(NEXT) | instid1(VALU_DEP_1)
	v_bfe_u32 v5, v3, 23, 8
	v_cmpx_ne_u32_e32 0xff, v5
	s_cbranch_execz .LBB323_259
; %bb.258:
	v_and_b32_e32 v2, 0x400000, v3
	v_and_or_b32 v5, 0x3fffff, v3, v5
	s_delay_alu instid0(VALU_DEP_2) | instskip(NEXT) | instid1(VALU_DEP_2)
	v_cmp_ne_u32_e32 vcc_lo, 0, v2
	v_cmp_ne_u32_e64 s1, 0, v5
	v_lshrrev_b32_e32 v2, 23, v3
	s_and_b32 s1, vcc_lo, s1
	s_delay_alu instid0(SALU_CYCLE_1) | instskip(NEXT) | instid1(VALU_DEP_1)
	v_cndmask_b32_e64 v3, 0, 1, s1
	v_add_nc_u32_e32 v2, v2, v3
.LBB323_259:
	s_or_b32 exec_lo, exec_lo, s17
.LBB323_260:
	s_cbranch_execnz .LBB323_290
.LBB323_261:
	s_cmp_lt_i32 s2, 2
	s_cbranch_scc1 .LBB323_267
; %bb.262:
	s_cmp_lt_i32 s2, 3
	s_cbranch_scc1 .LBB323_268
; %bb.263:
	s_cmp_gt_i32 s2, 3
	s_cbranch_scc0 .LBB323_269
; %bb.264:
	s_wait_loadcnt 0x0
	global_load_b64 v[2:3], v[0:1], off
	s_mov_b32 s17, exec_lo
	s_wait_loadcnt 0x0
	v_xor_b32_e32 v5, v2, v3
	v_cls_i32_e32 v6, v3
	s_delay_alu instid0(VALU_DEP_2) | instskip(NEXT) | instid1(VALU_DEP_1)
	v_ashrrev_i32_e32 v5, 31, v5
	v_add_nc_u32_e32 v5, 32, v5
	s_delay_alu instid0(VALU_DEP_1) | instskip(NEXT) | instid1(VALU_DEP_1)
	v_add_min_u32_e64 v5, v6, -1, v5
	v_lshlrev_b64_e32 v[2:3], v5, v[2:3]
	s_delay_alu instid0(VALU_DEP_1) | instskip(NEXT) | instid1(VALU_DEP_1)
	v_min_u32_e32 v2, 1, v2
	v_dual_sub_nc_u32 v3, 32, v5 :: v_dual_bitop2_b32 v2, v3, v2 bitop3:0x54
	s_delay_alu instid0(VALU_DEP_1) | instskip(NEXT) | instid1(VALU_DEP_1)
	v_cvt_f32_i32_e32 v2, v2
	v_ldexp_f32 v3, v2, v3
	v_mov_b32_e32 v2, 0xff
	s_delay_alu instid0(VALU_DEP_2) | instskip(NEXT) | instid1(VALU_DEP_1)
	v_bfe_u32 v5, v3, 23, 8
	v_cmpx_ne_u32_e32 0xff, v5
	s_cbranch_execz .LBB323_266
; %bb.265:
	v_and_b32_e32 v2, 0x400000, v3
	v_and_or_b32 v5, 0x3fffff, v3, v5
	s_delay_alu instid0(VALU_DEP_2) | instskip(NEXT) | instid1(VALU_DEP_2)
	v_cmp_ne_u32_e32 vcc_lo, 0, v2
	v_cmp_ne_u32_e64 s1, 0, v5
	v_lshrrev_b32_e32 v2, 23, v3
	s_and_b32 s1, vcc_lo, s1
	s_delay_alu instid0(SALU_CYCLE_1) | instskip(NEXT) | instid1(VALU_DEP_1)
	v_cndmask_b32_e64 v3, 0, 1, s1
	v_add_nc_u32_e32 v2, v2, v3
.LBB323_266:
	s_or_b32 exec_lo, exec_lo, s17
	s_mov_b32 s1, 0
	s_branch .LBB323_270
.LBB323_267:
	s_mov_b32 s1, -1
                                        ; implicit-def: $vgpr2
	s_branch .LBB323_280
.LBB323_268:
	s_mov_b32 s1, -1
                                        ; implicit-def: $vgpr2
	s_branch .LBB323_275
.LBB323_269:
	s_mov_b32 s1, -1
                                        ; implicit-def: $vgpr2
.LBB323_270:
	s_delay_alu instid0(SALU_CYCLE_1)
	s_and_not1_b32 vcc_lo, exec_lo, s1
	s_cbranch_vccnz .LBB323_274
; %bb.271:
	s_wait_loadcnt 0x0
	global_load_b32 v2, v[0:1], off
	s_mov_b32 s17, exec_lo
	s_wait_loadcnt 0x0
	v_cvt_f32_i32_e32 v3, v2
	v_mov_b32_e32 v2, 0xff
	s_delay_alu instid0(VALU_DEP_2) | instskip(NEXT) | instid1(VALU_DEP_1)
	v_bfe_u32 v5, v3, 23, 8
	v_cmpx_ne_u32_e32 0xff, v5
	s_cbranch_execz .LBB323_273
; %bb.272:
	v_and_b32_e32 v2, 0x400000, v3
	v_and_or_b32 v5, 0x3fffff, v3, v5
	s_delay_alu instid0(VALU_DEP_2) | instskip(NEXT) | instid1(VALU_DEP_2)
	v_cmp_ne_u32_e32 vcc_lo, 0, v2
	v_cmp_ne_u32_e64 s1, 0, v5
	v_lshrrev_b32_e32 v2, 23, v3
	s_and_b32 s1, vcc_lo, s1
	s_delay_alu instid0(SALU_CYCLE_1) | instskip(NEXT) | instid1(VALU_DEP_1)
	v_cndmask_b32_e64 v3, 0, 1, s1
	v_add_nc_u32_e32 v2, v2, v3
.LBB323_273:
	s_or_b32 exec_lo, exec_lo, s17
.LBB323_274:
	s_mov_b32 s1, 0
.LBB323_275:
	s_delay_alu instid0(SALU_CYCLE_1)
	s_and_not1_b32 vcc_lo, exec_lo, s1
	s_cbranch_vccnz .LBB323_279
; %bb.276:
	s_wait_loadcnt 0x0
	global_load_i16 v2, v[0:1], off
	s_mov_b32 s17, exec_lo
	s_wait_loadcnt 0x0
	v_cvt_f32_i32_e32 v3, v2
	v_mov_b32_e32 v2, 0xff
	s_delay_alu instid0(VALU_DEP_2) | instskip(NEXT) | instid1(VALU_DEP_1)
	v_bfe_u32 v5, v3, 23, 8
	v_cmpx_ne_u32_e32 0xff, v5
	s_cbranch_execz .LBB323_278
; %bb.277:
	v_and_b32_e32 v2, 0x400000, v3
	v_and_or_b32 v5, 0x3fffff, v3, v5
	s_delay_alu instid0(VALU_DEP_2) | instskip(NEXT) | instid1(VALU_DEP_2)
	v_cmp_ne_u32_e32 vcc_lo, 0, v2
	v_cmp_ne_u32_e64 s1, 0, v5
	v_lshrrev_b32_e32 v2, 23, v3
	s_and_b32 s1, vcc_lo, s1
	s_delay_alu instid0(SALU_CYCLE_1) | instskip(NEXT) | instid1(VALU_DEP_1)
	v_cndmask_b32_e64 v3, 0, 1, s1
	v_add_nc_u32_e32 v2, v2, v3
.LBB323_278:
	s_or_b32 exec_lo, exec_lo, s17
.LBB323_279:
	s_mov_b32 s1, 0
.LBB323_280:
	s_delay_alu instid0(SALU_CYCLE_1)
	s_and_not1_b32 vcc_lo, exec_lo, s1
	s_cbranch_vccnz .LBB323_290
; %bb.281:
	s_cmp_gt_i32 s2, 0
	s_cbranch_scc0 .LBB323_285
; %bb.282:
	s_wait_loadcnt 0x0
	global_load_i8 v2, v[0:1], off
	s_mov_b32 s2, exec_lo
	s_wait_loadcnt 0x0
	v_cvt_f32_i32_e32 v3, v2
	v_mov_b32_e32 v2, 0xff
	s_delay_alu instid0(VALU_DEP_2) | instskip(NEXT) | instid1(VALU_DEP_1)
	v_bfe_u32 v5, v3, 23, 8
	v_cmpx_ne_u32_e32 0xff, v5
	s_cbranch_execz .LBB323_284
; %bb.283:
	v_and_b32_e32 v2, 0x400000, v3
	v_and_or_b32 v5, 0x3fffff, v3, v5
	s_delay_alu instid0(VALU_DEP_2) | instskip(NEXT) | instid1(VALU_DEP_2)
	v_cmp_ne_u32_e32 vcc_lo, 0, v2
	v_cmp_ne_u32_e64 s1, 0, v5
	v_lshrrev_b32_e32 v2, 23, v3
	s_and_b32 s1, vcc_lo, s1
	s_delay_alu instid0(SALU_CYCLE_1) | instskip(NEXT) | instid1(VALU_DEP_1)
	v_cndmask_b32_e64 v3, 0, 1, s1
	v_add_nc_u32_e32 v2, v2, v3
.LBB323_284:
	s_or_b32 exec_lo, exec_lo, s2
	s_mov_b32 s1, 0
	s_branch .LBB323_286
.LBB323_285:
	s_mov_b32 s1, -1
                                        ; implicit-def: $vgpr2
.LBB323_286:
	s_delay_alu instid0(SALU_CYCLE_1)
	s_and_not1_b32 vcc_lo, exec_lo, s1
	s_cbranch_vccnz .LBB323_290
; %bb.287:
	global_load_u8 v0, v[0:1], off
	s_wait_loadcnt 0x1
	v_mov_b32_e32 v2, 0xff
	s_mov_b32 s2, exec_lo
	s_wait_loadcnt 0x0
	v_cvt_f32_ubyte0_e32 v1, v0
	s_delay_alu instid0(VALU_DEP_1) | instskip(NEXT) | instid1(VALU_DEP_1)
	v_lshrrev_b32_e32 v0, 23, v1
	v_cmpx_ne_u32_e32 0xff, v0
; %bb.288:
	v_and_b32_e32 v2, 0x400000, v1
	v_and_or_b32 v1, 0x3fffff, v1, v0
	s_delay_alu instid0(VALU_DEP_2) | instskip(NEXT) | instid1(VALU_DEP_2)
	v_cmp_ne_u32_e32 vcc_lo, 0, v2
	v_cmp_ne_u32_e64 s1, 0, v1
	s_and_b32 s1, vcc_lo, s1
	s_delay_alu instid0(SALU_CYCLE_1) | instskip(NEXT) | instid1(VALU_DEP_1)
	v_cndmask_b32_e64 v1, 0, 1, s1
	v_add_nc_u32_e32 v2, v0, v1
; %bb.289:
	s_or_b32 exec_lo, exec_lo, s2
.LBB323_290:
	s_branch .LBB323_13
.LBB323_291:
	s_mov_b32 s2, 0
.LBB323_292:
	s_mov_b32 s1, 0
                                        ; implicit-def: $vgpr4
.LBB323_293:
	s_and_b32 s17, s2, exec_lo
	s_and_b32 s18, s18, exec_lo
	s_or_not1_b32 s1, s1, exec_lo
.LBB323_294:
	s_wait_xcnt 0x0
	s_or_b32 exec_lo, exec_lo, s19
	s_mov_b32 s22, 0
	s_mov_b32 s21, 0
                                        ; implicit-def: $vgpr0_vgpr1
                                        ; implicit-def: $vgpr2
	s_and_saveexec_b32 s19, s1
	s_cbranch_execz .LBB323_305
; %bb.295:
	s_mov_b32 s2, -1
	s_mov_b32 s20, s18
	s_mov_b32 s21, s17
	s_mov_b32 s22, exec_lo
	v_cmpx_gt_i32_e64 s16, v4
	s_cbranch_execz .LBB323_600
; %bb.296:
	v_mul_lo_u32 v0, v4, s9
	s_and_b32 s2, 0xffff, s13
	s_delay_alu instid0(SALU_CYCLE_1) | instskip(NEXT) | instid1(VALU_DEP_1)
	s_cmp_lt_i32 s2, 11
	v_ashrrev_i32_e32 v1, 31, v0
	s_delay_alu instid0(VALU_DEP_1)
	v_add_nc_u64_e32 v[0:1], s[6:7], v[0:1]
	s_cbranch_scc1 .LBB323_310
; %bb.297:
	s_cmp_gt_i32 s2, 25
	s_cbranch_scc0 .LBB323_359
; %bb.298:
	s_cmp_gt_i32 s2, 28
	s_cbranch_scc0 .LBB323_360
; %bb.299:
	s_cmp_gt_i32 s2, 43
	s_cbranch_scc0 .LBB323_362
; %bb.300:
	s_cmp_gt_i32 s2, 45
	s_cbranch_scc0 .LBB323_366
; %bb.301:
	s_cmp_eq_u32 s2, 46
	s_mov_b32 s21, 0
	s_cbranch_scc0 .LBB323_370
; %bb.302:
	global_load_b32 v3, v[0:1], off
	s_mov_b32 s20, exec_lo
	s_wait_loadcnt 0x0
	v_dual_mov_b32 v2, 0xff :: v_dual_lshlrev_b32 v5, 16, v3
	s_delay_alu instid0(VALU_DEP_1) | instskip(SKIP_1) | instid1(VALU_DEP_1)
	v_bfe_u32 v6, v5, 23, 8
	s_wait_xcnt 0x0
	v_cmpx_ne_u32_e32 0xff, v6
	s_cbranch_execz .LBB323_304
; %bb.303:
	v_and_b32_e32 v2, 64, v3
	v_and_or_b32 v5, 0x3f0000, v5, v6
	s_delay_alu instid0(VALU_DEP_2) | instskip(NEXT) | instid1(VALU_DEP_2)
	v_cmp_ne_u32_e32 vcc_lo, 0, v2
	v_cmp_ne_u32_e64 s1, 0, v5
	v_bfe_u32 v2, v3, 7, 9
	s_and_b32 s1, vcc_lo, s1
	s_delay_alu instid0(SALU_CYCLE_1) | instskip(NEXT) | instid1(VALU_DEP_1)
	v_cndmask_b32_e64 v3, 0, 1, s1
	v_add_nc_u32_e32 v2, v2, v3
.LBB323_304:
	s_or_b32 exec_lo, exec_lo, s20
	s_mov_b32 s1, -1
	s_mov_b32 s20, 0
	s_branch .LBB323_372
.LBB323_305:
	s_or_b32 exec_lo, exec_lo, s19
	s_mov_b32 s2, 0
	s_and_saveexec_b32 s1, s18
	s_cbranch_execnz .LBB323_1007
.LBB323_306:
	s_or_b32 exec_lo, exec_lo, s1
	s_and_saveexec_b32 s1, s20
	s_delay_alu instid0(SALU_CYCLE_1)
	s_xor_b32 s16, exec_lo, s1
	s_cbranch_execz .LBB323_1008
.LBB323_307:
	s_wait_loadcnt 0x0
	global_load_u8 v2, v[0:1], off
	s_mov_b32 s18, exec_lo
	s_wait_loadcnt 0x0
	v_cmp_ne_u16_e32 vcc_lo, 0, v2
	v_mov_b32_e32 v2, 0xff
	v_cndmask_b32_e64 v5, 0, 1.0, vcc_lo
	s_delay_alu instid0(VALU_DEP_1) | instskip(SKIP_1) | instid1(VALU_DEP_1)
	v_lshrrev_b32_e32 v3, 23, v5
	s_wait_xcnt 0x0
	v_cmpx_ne_u32_e32 0xff, v3
; %bb.308:
	v_and_b32_e32 v2, 0x400000, v5
	v_and_or_b32 v5, 0x3fffff, v5, v3
	s_delay_alu instid0(VALU_DEP_2) | instskip(NEXT) | instid1(VALU_DEP_2)
	v_cmp_ne_u32_e32 vcc_lo, 0, v2
	v_cmp_ne_u32_e64 s1, 0, v5
	s_and_b32 s1, vcc_lo, s1
	s_delay_alu instid0(SALU_CYCLE_1) | instskip(NEXT) | instid1(VALU_DEP_1)
	v_cndmask_b32_e64 v2, 0, 1, s1
	v_add_nc_u32_e32 v2, v3, v2
; %bb.309:
	s_or_b32 exec_lo, exec_lo, s18
	s_delay_alu instid0(SALU_CYCLE_1)
	s_or_b32 s21, s21, exec_lo
	s_or_b32 exec_lo, exec_lo, s16
	s_and_saveexec_b32 s16, s22
	s_cbranch_execz .LBB323_1076
	s_branch .LBB323_1009
.LBB323_310:
	s_mov_b32 s1, 0
	s_mov_b32 s20, s18
                                        ; implicit-def: $vgpr2
	s_cbranch_execnz .LBB323_527
.LBB323_311:
	s_and_not1_b32 vcc_lo, exec_lo, s1
	s_cbranch_vccnz .LBB323_597
.LBB323_312:
	s_wait_loadcnt 0x0
	s_delay_alu instid0(VALU_DEP_1)
	v_and_b32_e32 v0, 0xff, v2
	s_and_b32 s21, s3, 0xff
	s_mov_b32 s24, 0
	s_mov_b32 s23, -1
	s_cmp_lt_i32 s21, 11
	v_lshlrev_b32_e32 v1, 23, v0
	v_cmp_ne_u16_e32 vcc_lo, 0xff, v0
	s_mov_b32 s2, s17
	s_delay_alu instid0(VALU_DEP_2) | instskip(SKIP_2) | instid1(VALU_DEP_3)
	v_cndmask_b32_e32 v1, 0x7f800001, v1, vcc_lo
	v_cmp_ne_u16_e32 vcc_lo, 0, v0
	v_mul_lo_u32 v0, v4, s8
	v_cndmask_b32_e32 v1, 0x400000, v1, vcc_lo
	s_delay_alu instid0(VALU_DEP_1) | instskip(SKIP_3) | instid1(VALU_DEP_1)
	v_cmp_eq_f32_e32 vcc_lo, s15, v1
	v_cndmask_b32_e64 v2, 0, 1, vcc_lo
	v_cmp_neq_f32_e32 vcc_lo, s15, v1
	v_cndmask_b32_e64 v1, 0, 1, vcc_lo
	v_dual_cndmask_b32 v2, v1, v2, s0 :: v_dual_ashrrev_i32 v1, 31, v0
	s_delay_alu instid0(VALU_DEP_1) | instskip(NEXT) | instid1(VALU_DEP_2)
	v_and_b32_e32 v2, 1, v2
	v_add_nc_u64_e32 v[0:1], s[4:5], v[0:1]
	s_delay_alu instid0(VALU_DEP_2)
	v_cmp_eq_u32_e64 s1, 1, v2
	s_cbranch_scc1 .LBB323_319
; %bb.313:
	s_and_b32 s23, 0xffff, s21
	s_delay_alu instid0(SALU_CYCLE_1)
	s_cmp_gt_i32 s23, 25
	s_cbranch_scc0 .LBB323_361
; %bb.314:
	s_cmp_gt_i32 s23, 28
	s_cbranch_scc0 .LBB323_363
; %bb.315:
	;; [unrolled: 3-line block ×4, first 2 shown]
	s_mov_b32 s25, 0
	s_mov_b32 s2, -1
	s_cmp_eq_u32 s23, 46
	s_cbranch_scc0 .LBB323_376
; %bb.318:
	v_cndmask_b32_e64 v2, 0, 1.0, s1
	s_mov_b32 s24, -1
	s_mov_b32 s2, 0
	s_delay_alu instid0(VALU_DEP_1) | instskip(NEXT) | instid1(VALU_DEP_1)
	v_bfe_u32 v3, v2, 16, 1
	v_add3_u32 v2, v2, v3, 0x7fff
	s_delay_alu instid0(VALU_DEP_1)
	v_lshrrev_b32_e32 v2, 16, v2
	global_store_b32 v[0:1], v2, off
	s_branch .LBB323_376
.LBB323_319:
	s_and_b32 vcc_lo, exec_lo, s23
	s_cbranch_vccz .LBB323_445
; %bb.320:
	s_and_b32 s21, 0xffff, s21
	s_mov_b32 s23, -1
	s_cmp_lt_i32 s21, 5
	s_cbranch_scc1 .LBB323_341
; %bb.321:
	s_cmp_lt_i32 s21, 8
	s_cbranch_scc1 .LBB323_331
; %bb.322:
	;; [unrolled: 3-line block ×3, first 2 shown]
	s_cmp_gt_i32 s21, 9
	s_cbranch_scc0 .LBB323_325
; %bb.324:
	s_wait_xcnt 0x0
	v_cndmask_b32_e64 v2, 0, 1, s1
	v_mov_b32_e32 v8, 0
	s_mov_b32 s23, 0
	s_delay_alu instid0(VALU_DEP_2) | instskip(NEXT) | instid1(VALU_DEP_2)
	v_cvt_f64_u32_e32 v[6:7], v2
	v_mov_b32_e32 v9, v8
	global_store_b128 v[0:1], v[6:9], off
.LBB323_325:
	s_and_not1_b32 vcc_lo, exec_lo, s23
	s_cbranch_vccnz .LBB323_327
; %bb.326:
	s_wait_xcnt 0x0
	v_cndmask_b32_e64 v2, 0, 1.0, s1
	v_mov_b32_e32 v3, 0
	global_store_b64 v[0:1], v[2:3], off
.LBB323_327:
	s_mov_b32 s23, 0
.LBB323_328:
	s_delay_alu instid0(SALU_CYCLE_1)
	s_and_not1_b32 vcc_lo, exec_lo, s23
	s_cbranch_vccnz .LBB323_330
; %bb.329:
	s_wait_xcnt 0x0
	v_cndmask_b32_e64 v2, 0, 1.0, s1
	s_delay_alu instid0(VALU_DEP_1) | instskip(NEXT) | instid1(VALU_DEP_1)
	v_cvt_f16_f32_e32 v2, v2
	v_and_b32_e32 v2, 0xffff, v2
	global_store_b32 v[0:1], v2, off
.LBB323_330:
	s_mov_b32 s23, 0
.LBB323_331:
	s_delay_alu instid0(SALU_CYCLE_1)
	s_and_not1_b32 vcc_lo, exec_lo, s23
	s_cbranch_vccnz .LBB323_340
; %bb.332:
	s_cmp_lt_i32 s21, 6
	s_mov_b32 s23, -1
	s_cbranch_scc1 .LBB323_338
; %bb.333:
	s_cmp_gt_i32 s21, 6
	s_cbranch_scc0 .LBB323_335
; %bb.334:
	s_wait_xcnt 0x0
	v_cndmask_b32_e64 v2, 0, 1, s1
	s_mov_b32 s23, 0
	s_delay_alu instid0(VALU_DEP_1)
	v_cvt_f64_u32_e32 v[2:3], v2
	global_store_b64 v[0:1], v[2:3], off
.LBB323_335:
	s_and_not1_b32 vcc_lo, exec_lo, s23
	s_cbranch_vccnz .LBB323_337
; %bb.336:
	s_wait_xcnt 0x0
	v_cndmask_b32_e64 v2, 0, 1.0, s1
	global_store_b32 v[0:1], v2, off
.LBB323_337:
	s_mov_b32 s23, 0
.LBB323_338:
	s_delay_alu instid0(SALU_CYCLE_1)
	s_and_not1_b32 vcc_lo, exec_lo, s23
	s_cbranch_vccnz .LBB323_340
; %bb.339:
	s_wait_xcnt 0x0
	v_cndmask_b32_e64 v2, 0, 1.0, s1
	s_delay_alu instid0(VALU_DEP_1)
	v_cvt_f16_f32_e32 v2, v2
	global_store_b16 v[0:1], v2, off
.LBB323_340:
	s_mov_b32 s23, 0
.LBB323_341:
	s_delay_alu instid0(SALU_CYCLE_1)
	s_and_not1_b32 vcc_lo, exec_lo, s23
	s_cbranch_vccnz .LBB323_357
; %bb.342:
	s_cmp_lt_i32 s21, 2
	s_mov_b32 s23, -1
	s_cbranch_scc1 .LBB323_352
; %bb.343:
	s_cmp_lt_i32 s21, 3
	s_cbranch_scc1 .LBB323_349
; %bb.344:
	s_cmp_gt_i32 s21, 3
	s_cbranch_scc0 .LBB323_346
; %bb.345:
	s_mov_b32 s23, 0
	s_wait_xcnt 0x0
	v_cndmask_b32_e64 v2, 0, 1, s1
	v_mov_b32_e32 v3, s23
	global_store_b64 v[0:1], v[2:3], off
.LBB323_346:
	s_and_not1_b32 vcc_lo, exec_lo, s23
	s_cbranch_vccnz .LBB323_348
; %bb.347:
	s_wait_xcnt 0x0
	v_cndmask_b32_e64 v2, 0, 1, s1
	global_store_b32 v[0:1], v2, off
.LBB323_348:
	s_mov_b32 s23, 0
.LBB323_349:
	s_delay_alu instid0(SALU_CYCLE_1)
	s_and_not1_b32 vcc_lo, exec_lo, s23
	s_cbranch_vccnz .LBB323_351
; %bb.350:
	s_wait_xcnt 0x0
	v_cndmask_b32_e64 v2, 0, 1, s1
	global_store_b16 v[0:1], v2, off
.LBB323_351:
	s_mov_b32 s23, 0
.LBB323_352:
	s_delay_alu instid0(SALU_CYCLE_1)
	s_and_not1_b32 vcc_lo, exec_lo, s23
	s_cbranch_vccnz .LBB323_357
; %bb.353:
	s_wait_xcnt 0x0
	v_cndmask_b32_e64 v2, 0, 1, s1
	s_cmp_gt_i32 s21, 0
	s_mov_b32 s1, -1
	s_cbranch_scc0 .LBB323_355
; %bb.354:
	s_mov_b32 s1, 0
	global_store_b8 v[0:1], v2, off
.LBB323_355:
	s_and_not1_b32 vcc_lo, exec_lo, s1
	s_cbranch_vccnz .LBB323_357
; %bb.356:
	global_store_b8 v[0:1], v2, off
.LBB323_357:
	s_branch .LBB323_446
.LBB323_358:
	s_mov_b32 s1, 0
	s_branch .LBB323_598
.LBB323_359:
	s_mov_b32 s21, -1
	s_mov_b32 s1, 0
	s_mov_b32 s20, s18
                                        ; implicit-def: $vgpr2
	s_branch .LBB323_483
.LBB323_360:
	s_mov_b32 s21, -1
	s_mov_b32 s1, 0
	s_mov_b32 s20, s18
                                        ; implicit-def: $vgpr2
	s_branch .LBB323_456
.LBB323_361:
	s_mov_b32 s25, -1
	s_mov_b32 s2, s17
	s_branch .LBB323_403
.LBB323_362:
	s_mov_b32 s21, -1
	s_mov_b32 s1, 0
	s_mov_b32 s20, s18
                                        ; implicit-def: $vgpr2
	s_branch .LBB323_449
.LBB323_363:
	s_mov_b32 s25, -1
	s_mov_b32 s2, s17
	s_branch .LBB323_386
.LBB323_364:
	s_and_not1_saveexec_b32 s24, s24
	s_cbranch_execz .LBB323_93
.LBB323_365:
	v_add_f32_e32 v2, 0x46000000, v3
	s_and_not1_b32 s23, s23, exec_lo
	s_delay_alu instid0(VALU_DEP_1) | instskip(NEXT) | instid1(VALU_DEP_1)
	v_and_b32_e32 v2, 0xff, v2
	v_cmp_ne_u32_e32 vcc_lo, 0, v2
	s_and_b32 s25, vcc_lo, exec_lo
	s_delay_alu instid0(SALU_CYCLE_1)
	s_or_b32 s23, s23, s25
	s_or_b32 exec_lo, exec_lo, s24
	v_mov_b32_e32 v5, 0
	s_and_saveexec_b32 s24, s23
	s_cbranch_execnz .LBB323_94
	s_branch .LBB323_95
.LBB323_366:
	s_mov_b32 s21, -1
	s_mov_b32 s1, 0
	s_mov_b32 s20, s18
	s_branch .LBB323_371
.LBB323_367:
	s_mov_b32 s25, -1
	s_mov_b32 s2, s17
	s_branch .LBB323_382
.LBB323_368:
	s_and_not1_saveexec_b32 s24, s24
	s_cbranch_execz .LBB323_106
.LBB323_369:
	v_add_f32_e32 v2, 0x42800000, v3
	s_and_not1_b32 s23, s23, exec_lo
	s_delay_alu instid0(VALU_DEP_1) | instskip(NEXT) | instid1(VALU_DEP_1)
	v_and_b32_e32 v2, 0xff, v2
	v_cmp_ne_u32_e32 vcc_lo, 0, v2
	s_and_b32 s25, vcc_lo, exec_lo
	s_delay_alu instid0(SALU_CYCLE_1)
	s_or_b32 s23, s23, s25
	s_or_b32 exec_lo, exec_lo, s24
	v_mov_b32_e32 v5, 0
	s_and_saveexec_b32 s24, s23
	s_cbranch_execnz .LBB323_107
	s_branch .LBB323_108
.LBB323_370:
	s_mov_b32 s20, -1
	s_mov_b32 s1, 0
.LBB323_371:
                                        ; implicit-def: $vgpr2
.LBB323_372:
	s_and_b32 vcc_lo, exec_lo, s21
	s_cbranch_vccz .LBB323_448
; %bb.373:
	s_cmp_eq_u32 s2, 44
	s_cbranch_scc0 .LBB323_447
; %bb.374:
	s_wait_loadcnt 0x0
	global_load_u8 v2, v[0:1], off
	s_mov_b32 s1, -1
	s_mov_b32 s20, 0
	s_branch .LBB323_448
.LBB323_375:
	s_mov_b32 s25, -1
	s_mov_b32 s2, s17
.LBB323_376:
	s_and_b32 vcc_lo, exec_lo, s25
	s_cbranch_vccz .LBB323_381
; %bb.377:
	s_cmp_eq_u32 s23, 44
	s_mov_b32 s2, -1
	s_cbranch_scc0 .LBB323_381
; %bb.378:
	v_cndmask_b32_e64 v5, 0, 1.0, s1
	s_mov_b32 s24, exec_lo
	s_wait_xcnt 0x0
	s_delay_alu instid0(VALU_DEP_1) | instskip(NEXT) | instid1(VALU_DEP_1)
	v_dual_mov_b32 v3, 0xff :: v_dual_lshrrev_b32 v2, 23, v5
	v_cmpx_ne_u32_e32 0xff, v2
; %bb.379:
	v_and_b32_e32 v3, 0x400000, v5
	v_and_or_b32 v5, 0x3fffff, v5, v2
	s_delay_alu instid0(VALU_DEP_2) | instskip(NEXT) | instid1(VALU_DEP_2)
	v_cmp_ne_u32_e32 vcc_lo, 0, v3
	v_cmp_ne_u32_e64 s2, 0, v5
	s_and_b32 s2, vcc_lo, s2
	s_delay_alu instid0(SALU_CYCLE_1) | instskip(NEXT) | instid1(VALU_DEP_1)
	v_cndmask_b32_e64 v3, 0, 1, s2
	v_add_nc_u32_e32 v3, v2, v3
; %bb.380:
	s_or_b32 exec_lo, exec_lo, s24
	s_mov_b32 s24, -1
	s_mov_b32 s2, 0
	global_store_b8 v[0:1], v3, off
.LBB323_381:
	s_mov_b32 s25, 0
.LBB323_382:
	s_delay_alu instid0(SALU_CYCLE_1)
	s_and_b32 vcc_lo, exec_lo, s25
	s_cbranch_vccz .LBB323_385
; %bb.383:
	s_cmp_eq_u32 s23, 29
	s_mov_b32 s2, -1
	s_cbranch_scc0 .LBB323_385
; %bb.384:
	s_mov_b32 s2, 0
	s_wait_xcnt 0x0
	v_cndmask_b32_e64 v2, 0, 1, s1
	v_mov_b32_e32 v3, s2
	s_mov_b32 s24, -1
	s_mov_b32 s25, 0
	global_store_b64 v[0:1], v[2:3], off
	s_branch .LBB323_386
.LBB323_385:
	s_mov_b32 s25, 0
.LBB323_386:
	s_delay_alu instid0(SALU_CYCLE_1)
	s_and_b32 vcc_lo, exec_lo, s25
	s_cbranch_vccz .LBB323_402
; %bb.387:
	s_cmp_lt_i32 s23, 27
	s_mov_b32 s24, -1
	s_cbranch_scc1 .LBB323_393
; %bb.388:
	s_cmp_gt_i32 s23, 27
	s_cbranch_scc0 .LBB323_390
; %bb.389:
	s_wait_xcnt 0x0
	v_cndmask_b32_e64 v2, 0, 1, s1
	s_mov_b32 s24, 0
	global_store_b32 v[0:1], v2, off
.LBB323_390:
	s_and_not1_b32 vcc_lo, exec_lo, s24
	s_cbranch_vccnz .LBB323_392
; %bb.391:
	s_wait_xcnt 0x0
	v_cndmask_b32_e64 v2, 0, 1, s1
	global_store_b16 v[0:1], v2, off
.LBB323_392:
	s_mov_b32 s24, 0
.LBB323_393:
	s_delay_alu instid0(SALU_CYCLE_1)
	s_and_not1_b32 vcc_lo, exec_lo, s24
	s_cbranch_vccnz .LBB323_401
; %bb.394:
	s_wait_xcnt 0x0
	v_cndmask_b32_e64 v3, 0, 1.0, s1
	v_mov_b32_e32 v5, 0x80
	s_mov_b32 s24, exec_lo
	s_delay_alu instid0(VALU_DEP_2)
	v_cmpx_gt_u32_e32 0x43800000, v3
	s_cbranch_execz .LBB323_400
; %bb.395:
	s_mov_b32 s25, 0
	s_mov_b32 s26, exec_lo
                                        ; implicit-def: $vgpr2
	v_cmpx_lt_u32_e32 0x3bffffff, v3
	s_xor_b32 s26, exec_lo, s26
	s_cbranch_execz .LBB323_615
; %bb.396:
	v_bfe_u32 v2, v3, 20, 1
	s_mov_b32 s25, exec_lo
	s_delay_alu instid0(VALU_DEP_1) | instskip(NEXT) | instid1(VALU_DEP_1)
	v_add3_u32 v2, v3, v2, 0x487ffff
                                        ; implicit-def: $vgpr3
	v_lshrrev_b32_e32 v2, 20, v2
	s_and_not1_saveexec_b32 s26, s26
	s_cbranch_execnz .LBB323_616
.LBB323_397:
	s_or_b32 exec_lo, exec_lo, s26
	v_mov_b32_e32 v5, 0
	s_and_saveexec_b32 s26, s25
.LBB323_398:
	v_mov_b32_e32 v5, v2
.LBB323_399:
	s_or_b32 exec_lo, exec_lo, s26
.LBB323_400:
	s_delay_alu instid0(SALU_CYCLE_1)
	s_or_b32 exec_lo, exec_lo, s24
	global_store_b8 v[0:1], v5, off
.LBB323_401:
	s_mov_b32 s24, -1
.LBB323_402:
	s_mov_b32 s25, 0
.LBB323_403:
	s_delay_alu instid0(SALU_CYCLE_1)
	s_and_b32 vcc_lo, exec_lo, s25
	s_cbranch_vccz .LBB323_444
; %bb.404:
	s_cmp_gt_i32 s23, 22
	s_mov_b32 s25, -1
	s_cbranch_scc0 .LBB323_436
; %bb.405:
	s_cmp_lt_i32 s23, 24
	s_mov_b32 s24, -1
	s_cbranch_scc1 .LBB323_425
; %bb.406:
	s_cmp_gt_i32 s23, 24
	s_cbranch_scc0 .LBB323_414
; %bb.407:
	s_wait_xcnt 0x0
	v_cndmask_b32_e64 v3, 0, 1.0, s1
	v_mov_b32_e32 v5, 0x80
	s_mov_b32 s24, exec_lo
	s_delay_alu instid0(VALU_DEP_2)
	v_cmpx_gt_u32_e32 0x47800000, v3
	s_cbranch_execz .LBB323_413
; %bb.408:
	s_mov_b32 s25, 0
	s_mov_b32 s26, exec_lo
                                        ; implicit-def: $vgpr2
	v_cmpx_lt_u32_e32 0x37ffffff, v3
	s_xor_b32 s26, exec_lo, s26
	s_cbranch_execz .LBB323_618
; %bb.409:
	v_bfe_u32 v2, v3, 21, 1
	s_mov_b32 s25, exec_lo
	s_delay_alu instid0(VALU_DEP_1) | instskip(NEXT) | instid1(VALU_DEP_1)
	v_add3_u32 v2, v3, v2, 0x88fffff
                                        ; implicit-def: $vgpr3
	v_lshrrev_b32_e32 v2, 21, v2
	s_and_not1_saveexec_b32 s26, s26
	s_cbranch_execnz .LBB323_619
.LBB323_410:
	s_or_b32 exec_lo, exec_lo, s26
	v_mov_b32_e32 v5, 0
	s_and_saveexec_b32 s26, s25
.LBB323_411:
	v_mov_b32_e32 v5, v2
.LBB323_412:
	s_or_b32 exec_lo, exec_lo, s26
.LBB323_413:
	s_delay_alu instid0(SALU_CYCLE_1)
	s_or_b32 exec_lo, exec_lo, s24
	s_mov_b32 s24, 0
	global_store_b8 v[0:1], v5, off
.LBB323_414:
	s_and_b32 vcc_lo, exec_lo, s24
	s_cbranch_vccz .LBB323_424
; %bb.415:
	s_wait_xcnt 0x0
	v_cndmask_b32_e64 v3, 0, 1.0, s1
	s_mov_b32 s24, exec_lo
                                        ; implicit-def: $vgpr2
	s_delay_alu instid0(VALU_DEP_1)
	v_cmpx_gt_u32_e32 0x43f00000, v3
	s_xor_b32 s24, exec_lo, s24
	s_cbranch_execz .LBB323_421
; %bb.416:
	s_mov_b32 s25, exec_lo
                                        ; implicit-def: $vgpr2
	v_cmpx_lt_u32_e32 0x3c7fffff, v3
	s_xor_b32 s25, exec_lo, s25
; %bb.417:
	v_bfe_u32 v2, v3, 20, 1
	s_delay_alu instid0(VALU_DEP_1) | instskip(NEXT) | instid1(VALU_DEP_1)
	v_add3_u32 v2, v3, v2, 0x407ffff
	v_and_b32_e32 v3, 0xff00000, v2
	v_lshrrev_b32_e32 v2, 20, v2
	s_delay_alu instid0(VALU_DEP_2) | instskip(NEXT) | instid1(VALU_DEP_2)
	v_cmp_ne_u32_e32 vcc_lo, 0x7f00000, v3
                                        ; implicit-def: $vgpr3
	v_cndmask_b32_e32 v2, 0x7e, v2, vcc_lo
; %bb.418:
	s_and_not1_saveexec_b32 s25, s25
; %bb.419:
	v_add_f32_e32 v2, 0x46800000, v3
; %bb.420:
	s_or_b32 exec_lo, exec_lo, s25
                                        ; implicit-def: $vgpr3
.LBB323_421:
	s_and_not1_saveexec_b32 s24, s24
; %bb.422:
	v_mov_b32_e32 v2, 0x7f
	v_cmp_lt_u32_e32 vcc_lo, 0x7f800000, v3
	s_delay_alu instid0(VALU_DEP_2)
	v_cndmask_b32_e32 v2, 0x7e, v2, vcc_lo
; %bb.423:
	s_or_b32 exec_lo, exec_lo, s24
	global_store_b8 v[0:1], v2, off
.LBB323_424:
	s_mov_b32 s24, 0
.LBB323_425:
	s_delay_alu instid0(SALU_CYCLE_1)
	s_and_not1_b32 vcc_lo, exec_lo, s24
	s_cbranch_vccnz .LBB323_435
; %bb.426:
	s_wait_xcnt 0x0
	v_cndmask_b32_e64 v3, 0, 1.0, s1
	s_mov_b32 s24, exec_lo
                                        ; implicit-def: $vgpr2
	s_delay_alu instid0(VALU_DEP_1)
	v_cmpx_gt_u32_e32 0x47800000, v3
	s_xor_b32 s24, exec_lo, s24
	s_cbranch_execz .LBB323_432
; %bb.427:
	s_mov_b32 s25, exec_lo
                                        ; implicit-def: $vgpr2
	v_cmpx_lt_u32_e32 0x387fffff, v3
	s_xor_b32 s25, exec_lo, s25
; %bb.428:
	v_bfe_u32 v2, v3, 21, 1
	s_delay_alu instid0(VALU_DEP_1) | instskip(NEXT) | instid1(VALU_DEP_1)
	v_add3_u32 v2, v3, v2, 0x80fffff
                                        ; implicit-def: $vgpr3
	v_lshrrev_b32_e32 v2, 21, v2
; %bb.429:
	s_and_not1_saveexec_b32 s25, s25
; %bb.430:
	v_add_f32_e32 v2, 0x43000000, v3
; %bb.431:
	s_or_b32 exec_lo, exec_lo, s25
                                        ; implicit-def: $vgpr3
.LBB323_432:
	s_and_not1_saveexec_b32 s24, s24
; %bb.433:
	v_mov_b32_e32 v2, 0x7f
	v_cmp_lt_u32_e32 vcc_lo, 0x7f800000, v3
	s_delay_alu instid0(VALU_DEP_2)
	v_cndmask_b32_e32 v2, 0x7c, v2, vcc_lo
; %bb.434:
	s_or_b32 exec_lo, exec_lo, s24
	global_store_b8 v[0:1], v2, off
.LBB323_435:
	s_mov_b32 s25, 0
	s_mov_b32 s24, -1
.LBB323_436:
	s_and_not1_b32 vcc_lo, exec_lo, s25
	s_cbranch_vccnz .LBB323_444
; %bb.437:
	s_cmp_gt_i32 s23, 14
	s_mov_b32 s25, -1
	s_cbranch_scc0 .LBB323_441
; %bb.438:
	s_cmp_eq_u32 s23, 15
	s_mov_b32 s2, -1
	s_cbranch_scc0 .LBB323_440
; %bb.439:
	s_wait_xcnt 0x0
	v_cndmask_b32_e64 v2, 0, 1.0, s1
	s_mov_b32 s24, -1
	s_mov_b32 s2, 0
	s_delay_alu instid0(VALU_DEP_1) | instskip(NEXT) | instid1(VALU_DEP_1)
	v_bfe_u32 v3, v2, 16, 1
	v_add3_u32 v2, v2, v3, 0x7fff
	global_store_d16_hi_b16 v[0:1], v2, off
.LBB323_440:
	s_mov_b32 s25, 0
.LBB323_441:
	s_delay_alu instid0(SALU_CYCLE_1)
	s_and_b32 vcc_lo, exec_lo, s25
	s_cbranch_vccz .LBB323_444
; %bb.442:
	s_cmp_eq_u32 s23, 11
	s_mov_b32 s2, -1
	s_cbranch_scc0 .LBB323_444
; %bb.443:
	s_wait_xcnt 0x0
	v_cndmask_b32_e64 v2, 0, 1, s1
	s_mov_b32 s24, -1
	s_mov_b32 s2, 0
	global_store_b8 v[0:1], v2, off
.LBB323_444:
.LBB323_445:
	s_and_not1_b32 vcc_lo, exec_lo, s24
	s_cbranch_vccnz .LBB323_358
.LBB323_446:
	v_add_nc_u32_e32 v4, 0x80, v4
	s_mov_b32 s1, -1
	s_branch .LBB323_599
.LBB323_447:
	s_mov_b32 s20, -1
                                        ; implicit-def: $vgpr2
.LBB323_448:
	s_mov_b32 s21, 0
.LBB323_449:
	s_delay_alu instid0(SALU_CYCLE_1)
	s_and_b32 vcc_lo, exec_lo, s21
	s_cbranch_vccz .LBB323_455
; %bb.450:
	s_cmp_eq_u32 s2, 29
	s_cbranch_scc0 .LBB323_454
; %bb.451:
	s_wait_loadcnt 0x0
	global_load_b64 v[2:3], v[0:1], off
	s_mov_b32 s20, exec_lo
	s_wait_loadcnt 0x0
	v_clz_i32_u32_e32 v5, v3
	s_delay_alu instid0(VALU_DEP_1) | instskip(NEXT) | instid1(VALU_DEP_1)
	v_min_u32_e32 v5, 32, v5
	v_lshlrev_b64_e32 v[2:3], v5, v[2:3]
	s_delay_alu instid0(VALU_DEP_1) | instskip(NEXT) | instid1(VALU_DEP_1)
	v_min_u32_e32 v2, 1, v2
	v_dual_sub_nc_u32 v3, 32, v5 :: v_dual_bitop2_b32 v2, v3, v2 bitop3:0x54
	s_delay_alu instid0(VALU_DEP_1) | instskip(NEXT) | instid1(VALU_DEP_1)
	v_cvt_f32_u32_e32 v2, v2
	v_ldexp_f32 v5, v2, v3
	s_delay_alu instid0(VALU_DEP_1) | instskip(SKIP_1) | instid1(VALU_DEP_1)
	v_dual_mov_b32 v2, 0xff :: v_dual_lshrrev_b32 v3, 23, v5
	s_wait_xcnt 0x0
	v_cmpx_ne_u32_e32 0xff, v3
; %bb.452:
	v_and_b32_e32 v2, 0x400000, v5
	v_and_or_b32 v5, 0x3fffff, v5, v3
	s_delay_alu instid0(VALU_DEP_2) | instskip(NEXT) | instid1(VALU_DEP_2)
	v_cmp_ne_u32_e32 vcc_lo, 0, v2
	v_cmp_ne_u32_e64 s1, 0, v5
	s_and_b32 s1, vcc_lo, s1
	s_delay_alu instid0(SALU_CYCLE_1) | instskip(NEXT) | instid1(VALU_DEP_1)
	v_cndmask_b32_e64 v2, 0, 1, s1
	v_add_nc_u32_e32 v2, v3, v2
; %bb.453:
	s_or_b32 exec_lo, exec_lo, s20
	s_mov_b32 s1, -1
	s_mov_b32 s20, 0
	s_branch .LBB323_455
.LBB323_454:
	s_mov_b32 s20, -1
                                        ; implicit-def: $vgpr2
.LBB323_455:
	s_mov_b32 s21, 0
.LBB323_456:
	s_delay_alu instid0(SALU_CYCLE_1)
	s_and_b32 vcc_lo, exec_lo, s21
	s_cbranch_vccz .LBB323_482
; %bb.457:
	s_cmp_lt_i32 s2, 27
	s_cbranch_scc1 .LBB323_462
; %bb.458:
	s_cmp_gt_i32 s2, 27
	s_cbranch_scc0 .LBB323_463
; %bb.459:
	s_wait_loadcnt 0x0
	global_load_b32 v2, v[0:1], off
	s_mov_b32 s21, exec_lo
	s_wait_loadcnt 0x0
	v_cvt_f32_u32_e32 v5, v2
	s_delay_alu instid0(VALU_DEP_1) | instskip(SKIP_1) | instid1(VALU_DEP_1)
	v_dual_mov_b32 v2, 0xff :: v_dual_lshrrev_b32 v3, 23, v5
	s_wait_xcnt 0x0
	v_cmpx_ne_u32_e32 0xff, v3
; %bb.460:
	v_and_b32_e32 v2, 0x400000, v5
	v_and_or_b32 v5, 0x3fffff, v5, v3
	s_delay_alu instid0(VALU_DEP_2) | instskip(NEXT) | instid1(VALU_DEP_2)
	v_cmp_ne_u32_e32 vcc_lo, 0, v2
	v_cmp_ne_u32_e64 s1, 0, v5
	s_and_b32 s1, vcc_lo, s1
	s_delay_alu instid0(SALU_CYCLE_1) | instskip(NEXT) | instid1(VALU_DEP_1)
	v_cndmask_b32_e64 v2, 0, 1, s1
	v_add_nc_u32_e32 v2, v3, v2
; %bb.461:
	s_or_b32 exec_lo, exec_lo, s21
	s_mov_b32 s1, 0
	s_branch .LBB323_464
.LBB323_462:
	s_mov_b32 s1, -1
                                        ; implicit-def: $vgpr2
	s_branch .LBB323_469
.LBB323_463:
	s_mov_b32 s1, -1
                                        ; implicit-def: $vgpr2
.LBB323_464:
	s_delay_alu instid0(SALU_CYCLE_1)
	s_and_not1_b32 vcc_lo, exec_lo, s1
	s_cbranch_vccnz .LBB323_468
; %bb.465:
	s_wait_loadcnt 0x0
	global_load_u16 v2, v[0:1], off
	s_mov_b32 s21, exec_lo
	s_wait_loadcnt 0x0
	v_cvt_f32_u32_e32 v5, v2
	s_delay_alu instid0(VALU_DEP_1) | instskip(SKIP_1) | instid1(VALU_DEP_1)
	v_dual_mov_b32 v2, 0xff :: v_dual_lshrrev_b32 v3, 23, v5
	s_wait_xcnt 0x0
	v_cmpx_ne_u32_e32 0xff, v3
; %bb.466:
	v_and_b32_e32 v2, 0x400000, v5
	v_and_or_b32 v5, 0x3fffff, v5, v3
	s_delay_alu instid0(VALU_DEP_2) | instskip(NEXT) | instid1(VALU_DEP_2)
	v_cmp_ne_u32_e32 vcc_lo, 0, v2
	v_cmp_ne_u32_e64 s1, 0, v5
	s_and_b32 s1, vcc_lo, s1
	s_delay_alu instid0(SALU_CYCLE_1) | instskip(NEXT) | instid1(VALU_DEP_1)
	v_cndmask_b32_e64 v2, 0, 1, s1
	v_add_nc_u32_e32 v2, v3, v2
; %bb.467:
	s_or_b32 exec_lo, exec_lo, s21
.LBB323_468:
	s_mov_b32 s1, 0
.LBB323_469:
	s_delay_alu instid0(SALU_CYCLE_1)
	s_and_not1_b32 vcc_lo, exec_lo, s1
	s_cbranch_vccnz .LBB323_481
; %bb.470:
	s_wait_loadcnt 0x0
	global_load_u8 v2, v[0:1], off
	s_mov_b32 s1, 0
	s_mov_b32 s21, exec_lo
	s_wait_loadcnt 0x0
	v_cmpx_lt_i16_e32 0x7f, v2
	s_xor_b32 s21, exec_lo, s21
	s_cbranch_execz .LBB323_474
; %bb.471:
	s_mov_b32 s1, -1
	s_mov_b32 s23, exec_lo
	v_cmpx_eq_u16_e32 0x80, v2
; %bb.472:
	s_xor_b32 s1, exec_lo, -1
; %bb.473:
	s_or_b32 exec_lo, exec_lo, s23
	s_delay_alu instid0(SALU_CYCLE_1)
	s_and_b32 s1, s1, exec_lo
.LBB323_474:
	s_or_saveexec_b32 s21, s21
	v_mov_b32_e32 v3, 0x7f800001
	v_and_b32_e32 v5, 0xffff, v2
	s_xor_b32 exec_lo, exec_lo, s21
; %bb.475:
	v_cmp_ne_u16_e32 vcc_lo, 0, v2
	s_delay_alu instid0(VALU_DEP_2) | instskip(SKIP_2) | instid1(SALU_CYCLE_1)
	v_mov_b32_e32 v3, v5
	s_and_not1_b32 s1, s1, exec_lo
	s_and_b32 s23, vcc_lo, exec_lo
	s_or_b32 s1, s1, s23
; %bb.476:
	s_or_b32 exec_lo, exec_lo, s21
	s_and_saveexec_b32 s21, s1
	s_cbranch_execz .LBB323_478
; %bb.477:
	v_and_b32_e32 v2, 7, v5
	s_delay_alu instid0(VALU_DEP_1) | instskip(NEXT) | instid1(VALU_DEP_1)
	v_clz_i32_u32_e32 v3, v2
	v_min_u32_e32 v3, 32, v3
	s_delay_alu instid0(VALU_DEP_1) | instskip(NEXT) | instid1(VALU_DEP_1)
	v_subrev_nc_u32_e32 v6, 28, v3
	v_lshlrev_b32_e32 v6, v6, v5
	v_bfe_u32 v5, v5, 3, 4
	s_delay_alu instid0(VALU_DEP_2) | instskip(NEXT) | instid1(VALU_DEP_2)
	v_dual_sub_nc_u32 v3, 29, v3 :: v_dual_bitop2_b32 v6, 7, v6 bitop3:0x40
	v_cmp_eq_u32_e32 vcc_lo, 0, v5
	s_delay_alu instid0(VALU_DEP_2) | instskip(NEXT) | instid1(VALU_DEP_1)
	v_dual_cndmask_b32 v3, v5, v3 :: v_dual_cndmask_b32 v2, v2, v6
	v_lshlrev_b32_e32 v2, 20, v2
	s_delay_alu instid0(VALU_DEP_1) | instskip(NEXT) | instid1(VALU_DEP_1)
	v_lshl_or_b32 v2, v3, 23, v2
	v_add_nc_u32_e32 v3, 0x3b800000, v2
.LBB323_478:
	s_or_b32 exec_lo, exec_lo, s21
	s_delay_alu instid0(VALU_DEP_1) | instskip(SKIP_1) | instid1(VALU_DEP_1)
	v_dual_mov_b32 v2, 0xff :: v_dual_lshrrev_b32 v5, 23, v3
	s_mov_b32 s21, exec_lo
	v_cmpx_ne_u32_e32 0xff, v5
; %bb.479:
	v_and_b32_e32 v2, 0x400000, v3
	v_and_or_b32 v3, 0x3fffff, v3, v5
	s_delay_alu instid0(VALU_DEP_2) | instskip(NEXT) | instid1(VALU_DEP_2)
	v_cmp_ne_u32_e32 vcc_lo, 0, v2
	v_cmp_ne_u32_e64 s1, 0, v3
	s_and_b32 s1, vcc_lo, s1
	s_delay_alu instid0(SALU_CYCLE_1) | instskip(NEXT) | instid1(VALU_DEP_1)
	v_cndmask_b32_e64 v2, 0, 1, s1
	v_add_nc_u32_e32 v2, v5, v2
; %bb.480:
	s_or_b32 exec_lo, exec_lo, s21
.LBB323_481:
	s_mov_b32 s1, -1
.LBB323_482:
	s_mov_b32 s21, 0
.LBB323_483:
	s_delay_alu instid0(SALU_CYCLE_1)
	s_and_b32 vcc_lo, exec_lo, s21
	s_cbranch_vccz .LBB323_526
; %bb.484:
	s_cmp_gt_i32 s2, 22
	s_cbranch_scc0 .LBB323_498
; %bb.485:
	s_cmp_lt_i32 s2, 24
	s_cbranch_scc1 .LBB323_499
; %bb.486:
	s_cmp_gt_i32 s2, 24
	s_cbranch_scc0 .LBB323_500
; %bb.487:
	s_wait_loadcnt 0x0
	global_load_u8 v2, v[0:1], off
	s_mov_b32 s1, 0
	s_mov_b32 s21, exec_lo
	s_wait_loadcnt 0x0
	v_cmpx_lt_i16_e32 0x7f, v2
	s_xor_b32 s21, exec_lo, s21
	s_cbranch_execz .LBB323_491
; %bb.488:
	s_mov_b32 s1, -1
	s_mov_b32 s23, exec_lo
	v_cmpx_eq_u16_e32 0x80, v2
; %bb.489:
	s_xor_b32 s1, exec_lo, -1
; %bb.490:
	s_or_b32 exec_lo, exec_lo, s23
	s_delay_alu instid0(SALU_CYCLE_1)
	s_and_b32 s1, s1, exec_lo
.LBB323_491:
	s_or_saveexec_b32 s21, s21
	v_mov_b32_e32 v3, 0x7f800001
	v_and_b32_e32 v5, 0xffff, v2
	s_xor_b32 exec_lo, exec_lo, s21
; %bb.492:
	v_cmp_ne_u16_e32 vcc_lo, 0, v2
	s_delay_alu instid0(VALU_DEP_2) | instskip(SKIP_2) | instid1(SALU_CYCLE_1)
	v_mov_b32_e32 v3, v5
	s_and_not1_b32 s1, s1, exec_lo
	s_and_b32 s23, vcc_lo, exec_lo
	s_or_b32 s1, s1, s23
; %bb.493:
	s_or_b32 exec_lo, exec_lo, s21
	s_and_saveexec_b32 s21, s1
	s_cbranch_execz .LBB323_495
; %bb.494:
	v_and_b32_e32 v2, 3, v5
	s_delay_alu instid0(VALU_DEP_1) | instskip(NEXT) | instid1(VALU_DEP_1)
	v_clz_i32_u32_e32 v3, v2
	v_min_u32_e32 v3, 32, v3
	s_delay_alu instid0(VALU_DEP_1) | instskip(NEXT) | instid1(VALU_DEP_1)
	v_subrev_nc_u32_e32 v6, 29, v3
	v_lshlrev_b32_e32 v6, v6, v5
	v_bfe_u32 v5, v5, 2, 5
	s_delay_alu instid0(VALU_DEP_2) | instskip(NEXT) | instid1(VALU_DEP_2)
	v_dual_sub_nc_u32 v3, 30, v3 :: v_dual_bitop2_b32 v6, 3, v6 bitop3:0x40
	v_cmp_eq_u32_e32 vcc_lo, 0, v5
	s_delay_alu instid0(VALU_DEP_2) | instskip(NEXT) | instid1(VALU_DEP_1)
	v_dual_cndmask_b32 v3, v5, v3 :: v_dual_cndmask_b32 v2, v2, v6
	v_lshlrev_b32_e32 v2, 21, v2
	s_delay_alu instid0(VALU_DEP_1) | instskip(NEXT) | instid1(VALU_DEP_1)
	v_lshl_or_b32 v2, v3, 23, v2
	v_add_nc_u32_e32 v3, 0x37800000, v2
.LBB323_495:
	s_or_b32 exec_lo, exec_lo, s21
	s_delay_alu instid0(VALU_DEP_1) | instskip(SKIP_1) | instid1(VALU_DEP_1)
	v_dual_mov_b32 v2, 0xff :: v_dual_lshrrev_b32 v5, 23, v3
	s_mov_b32 s21, exec_lo
	v_cmpx_ne_u32_e32 0xff, v5
; %bb.496:
	v_and_b32_e32 v2, 0x400000, v3
	v_and_or_b32 v3, 0x3fffff, v3, v5
	s_delay_alu instid0(VALU_DEP_2) | instskip(NEXT) | instid1(VALU_DEP_2)
	v_cmp_ne_u32_e32 vcc_lo, 0, v2
	v_cmp_ne_u32_e64 s1, 0, v3
	s_and_b32 s1, vcc_lo, s1
	s_delay_alu instid0(SALU_CYCLE_1) | instskip(NEXT) | instid1(VALU_DEP_1)
	v_cndmask_b32_e64 v2, 0, 1, s1
	v_add_nc_u32_e32 v2, v5, v2
; %bb.497:
	s_or_b32 exec_lo, exec_lo, s21
	s_mov_b32 s1, 0
	s_branch .LBB323_501
.LBB323_498:
	s_mov_b32 s21, -1
                                        ; implicit-def: $vgpr2
	s_branch .LBB323_511
.LBB323_499:
	s_mov_b32 s1, -1
                                        ; implicit-def: $vgpr2
	s_branch .LBB323_506
.LBB323_500:
	s_mov_b32 s1, -1
                                        ; implicit-def: $vgpr2
.LBB323_501:
	s_delay_alu instid0(SALU_CYCLE_1)
	s_and_b32 vcc_lo, exec_lo, s1
	s_cbranch_vccz .LBB323_505
; %bb.502:
	s_wait_loadcnt 0x0
	global_load_u8 v2, v[0:1], off
	s_mov_b32 s21, exec_lo
	s_wait_loadcnt 0x0
	v_lshlrev_b32_e32 v2, 24, v2
	s_delay_alu instid0(VALU_DEP_1) | instskip(NEXT) | instid1(VALU_DEP_1)
	v_and_b32_e32 v2, 0x7f000000, v2
	v_clz_i32_u32_e32 v3, v2
	v_cmp_ne_u32_e32 vcc_lo, 0, v2
	v_add_nc_u32_e32 v6, 0x1000000, v2
	s_delay_alu instid0(VALU_DEP_3) | instskip(NEXT) | instid1(VALU_DEP_1)
	v_min_u32_e32 v3, 32, v3
	v_sub_nc_u32_e64 v3, v3, 4 clamp
	s_delay_alu instid0(VALU_DEP_1) | instskip(NEXT) | instid1(VALU_DEP_1)
	v_dual_mov_b32 v2, 0xff :: v_dual_lshlrev_b32 v5, v3, v2
	v_dual_lshlrev_b32 v3, 23, v3 :: v_dual_lshrrev_b32 v5, 4, v5
	s_delay_alu instid0(VALU_DEP_1) | instskip(NEXT) | instid1(VALU_DEP_1)
	v_dual_sub_nc_u32 v3, v5, v3 :: v_dual_ashrrev_i32 v5, 8, v6
	v_add_nc_u32_e32 v3, 0x3c000000, v3
	s_delay_alu instid0(VALU_DEP_1) | instskip(NEXT) | instid1(VALU_DEP_1)
	v_and_or_b32 v3, 0x7f800000, v5, v3
	v_cndmask_b32_e32 v5, 0, v3, vcc_lo
	s_delay_alu instid0(VALU_DEP_1) | instskip(SKIP_1) | instid1(VALU_DEP_1)
	v_lshrrev_b32_e32 v3, 23, v5
	s_wait_xcnt 0x0
	v_cmpx_ne_u32_e32 0xff, v3
; %bb.503:
	v_and_b32_e32 v2, 0x400000, v5
	v_and_or_b32 v5, 0x3fffff, v5, v3
	s_delay_alu instid0(VALU_DEP_2) | instskip(NEXT) | instid1(VALU_DEP_2)
	v_cmp_ne_u32_e32 vcc_lo, 0, v2
	v_cmp_ne_u32_e64 s1, 0, v5
	s_and_b32 s1, vcc_lo, s1
	s_delay_alu instid0(SALU_CYCLE_1) | instskip(NEXT) | instid1(VALU_DEP_1)
	v_cndmask_b32_e64 v2, 0, 1, s1
	v_add_nc_u32_e32 v2, v3, v2
; %bb.504:
	s_or_b32 exec_lo, exec_lo, s21
.LBB323_505:
	s_mov_b32 s1, 0
.LBB323_506:
	s_delay_alu instid0(SALU_CYCLE_1)
	s_and_not1_b32 vcc_lo, exec_lo, s1
	s_cbranch_vccnz .LBB323_510
; %bb.507:
	s_wait_loadcnt 0x0
	global_load_u8 v2, v[0:1], off
	s_mov_b32 s21, exec_lo
	s_wait_loadcnt 0x0
	v_dual_lshlrev_b32 v3, 25, v2 :: v_dual_lshlrev_b32 v2, 8, v2
	s_delay_alu instid0(VALU_DEP_1) | instskip(NEXT) | instid1(VALU_DEP_2)
	v_cmp_gt_u32_e32 vcc_lo, 0x8000000, v3
	v_and_or_b32 v2, 0x7f00, v2, 0.5
	s_delay_alu instid0(VALU_DEP_1) | instskip(NEXT) | instid1(VALU_DEP_1)
	v_dual_add_f32 v2, -0.5, v2 :: v_dual_lshrrev_b32 v5, 4, v3
	v_or_b32_e32 v5, 0x70000000, v5
	s_delay_alu instid0(VALU_DEP_1) | instskip(NEXT) | instid1(VALU_DEP_1)
	v_mul_f32_e32 v5, 0x7800000, v5
	v_dual_cndmask_b32 v3, v5, v2 :: v_dual_mov_b32 v2, 0xff
	s_delay_alu instid0(VALU_DEP_1) | instskip(SKIP_1) | instid1(VALU_DEP_1)
	v_bfe_u32 v5, v3, 23, 8
	s_wait_xcnt 0x0
	v_cmpx_ne_u32_e32 0xff, v5
	s_cbranch_execz .LBB323_509
; %bb.508:
	v_and_b32_e32 v2, 0x400000, v3
	v_and_or_b32 v5, 0x3fffff, v3, v5
	s_delay_alu instid0(VALU_DEP_2) | instskip(NEXT) | instid1(VALU_DEP_2)
	v_cmp_ne_u32_e32 vcc_lo, 0, v2
	v_cmp_ne_u32_e64 s1, 0, v5
	v_lshrrev_b32_e32 v2, 23, v3
	s_and_b32 s1, vcc_lo, s1
	s_delay_alu instid0(SALU_CYCLE_1) | instskip(NEXT) | instid1(VALU_DEP_1)
	v_cndmask_b32_e64 v3, 0, 1, s1
	v_add_nc_u32_e32 v2, v2, v3
.LBB323_509:
	s_or_b32 exec_lo, exec_lo, s21
.LBB323_510:
	s_mov_b32 s21, 0
	s_mov_b32 s1, -1
.LBB323_511:
	s_and_not1_b32 vcc_lo, exec_lo, s21
	s_cbranch_vccnz .LBB323_526
; %bb.512:
	s_cmp_gt_i32 s2, 14
	s_cbranch_scc0 .LBB323_517
; %bb.513:
	s_cmp_eq_u32 s2, 15
	s_cbranch_scc0 .LBB323_518
; %bb.514:
	global_load_u16 v3, v[0:1], off
	s_wait_loadcnt 0x1
	v_mov_b32_e32 v2, 0xff
	s_mov_b32 s20, exec_lo
	s_wait_loadcnt 0x0
	v_bfe_u32 v5, v3, 7, 8
	s_wait_xcnt 0x0
	s_delay_alu instid0(VALU_DEP_1)
	v_cmpx_ne_u32_e32 0xff, v5
	s_cbranch_execz .LBB323_516
; %bb.515:
	v_dual_lshlrev_b32 v2, 16, v3 :: v_dual_bitop2_b32 v6, 64, v3 bitop3:0x40
	s_delay_alu instid0(VALU_DEP_1) | instskip(NEXT) | instid1(VALU_DEP_2)
	v_and_or_b32 v2, 0x3f0000, v2, v5
	v_cmp_ne_u32_e32 vcc_lo, 0, v6
	s_delay_alu instid0(VALU_DEP_2) | instskip(SKIP_2) | instid1(SALU_CYCLE_1)
	v_cmp_ne_u32_e64 s1, 0, v2
	v_lshrrev_b32_e32 v2, 7, v3
	s_and_b32 s1, vcc_lo, s1
	v_cndmask_b32_e64 v3, 0, 1, s1
	s_delay_alu instid0(VALU_DEP_1)
	v_add_nc_u32_e32 v2, v2, v3
.LBB323_516:
	s_or_b32 exec_lo, exec_lo, s20
	s_mov_b32 s1, -1
	s_mov_b32 s20, 0
	s_branch .LBB323_519
.LBB323_517:
	s_mov_b32 s21, -1
                                        ; implicit-def: $vgpr2
	s_branch .LBB323_520
.LBB323_518:
	s_mov_b32 s20, -1
                                        ; implicit-def: $vgpr2
.LBB323_519:
	s_mov_b32 s21, 0
.LBB323_520:
	s_delay_alu instid0(SALU_CYCLE_1)
	s_and_b32 vcc_lo, exec_lo, s21
	s_cbranch_vccz .LBB323_526
; %bb.521:
	s_cmp_eq_u32 s2, 11
	s_cbranch_scc0 .LBB323_525
; %bb.522:
	s_wait_loadcnt 0x0
	global_load_u8 v2, v[0:1], off
	s_mov_b32 s20, 0
	s_mov_b32 s21, exec_lo
	s_wait_loadcnt 0x0
	v_cmp_ne_u16_e32 vcc_lo, 0, v2
	v_mov_b32_e32 v2, 0xff
	v_cndmask_b32_e64 v5, 0, 1.0, vcc_lo
	s_delay_alu instid0(VALU_DEP_1) | instskip(SKIP_1) | instid1(VALU_DEP_1)
	v_lshrrev_b32_e32 v3, 23, v5
	s_wait_xcnt 0x0
	v_cmpx_ne_u32_e32 0xff, v3
; %bb.523:
	v_and_b32_e32 v2, 0x400000, v5
	v_and_or_b32 v5, 0x3fffff, v5, v3
	s_delay_alu instid0(VALU_DEP_2) | instskip(NEXT) | instid1(VALU_DEP_2)
	v_cmp_ne_u32_e32 vcc_lo, 0, v2
	v_cmp_ne_u32_e64 s1, 0, v5
	s_and_b32 s1, vcc_lo, s1
	s_delay_alu instid0(SALU_CYCLE_1) | instskip(NEXT) | instid1(VALU_DEP_1)
	v_cndmask_b32_e64 v2, 0, 1, s1
	v_add_nc_u32_e32 v2, v3, v2
; %bb.524:
	s_or_b32 exec_lo, exec_lo, s21
	s_mov_b32 s1, -1
	s_branch .LBB323_526
.LBB323_525:
	s_mov_b32 s20, -1
                                        ; implicit-def: $vgpr2
.LBB323_526:
	s_branch .LBB323_311
.LBB323_527:
	s_cmp_lt_i32 s2, 5
	s_cbranch_scc1 .LBB323_534
; %bb.528:
	s_cmp_lt_i32 s2, 8
	s_cbranch_scc1 .LBB323_535
; %bb.529:
	;; [unrolled: 3-line block ×3, first 2 shown]
	s_cmp_gt_i32 s2, 9
	s_cbranch_scc0 .LBB323_537
; %bb.531:
	s_wait_loadcnt 0x0
	global_load_b64 v[2:3], v[0:1], off
	s_mov_b32 s21, exec_lo
	s_wait_loadcnt 0x0
	v_cvt_f32_f64_e32 v3, v[2:3]
	v_mov_b32_e32 v2, 0xff
	s_delay_alu instid0(VALU_DEP_2) | instskip(SKIP_1) | instid1(VALU_DEP_1)
	v_bfe_u32 v5, v3, 23, 8
	s_wait_xcnt 0x0
	v_cmpx_ne_u32_e32 0xff, v5
	s_cbranch_execz .LBB323_533
; %bb.532:
	v_and_b32_e32 v2, 0x400000, v3
	v_and_or_b32 v5, 0x3fffff, v3, v5
	s_delay_alu instid0(VALU_DEP_2) | instskip(NEXT) | instid1(VALU_DEP_2)
	v_cmp_ne_u32_e32 vcc_lo, 0, v2
	v_cmp_ne_u32_e64 s1, 0, v5
	v_lshrrev_b32_e32 v2, 23, v3
	s_and_b32 s1, vcc_lo, s1
	s_delay_alu instid0(SALU_CYCLE_1) | instskip(NEXT) | instid1(VALU_DEP_1)
	v_cndmask_b32_e64 v3, 0, 1, s1
	v_add_nc_u32_e32 v2, v2, v3
.LBB323_533:
	s_or_b32 exec_lo, exec_lo, s21
	s_mov_b32 s1, 0
	s_branch .LBB323_538
.LBB323_534:
	s_mov_b32 s1, -1
                                        ; implicit-def: $vgpr2
	s_branch .LBB323_566
.LBB323_535:
	s_mov_b32 s1, -1
                                        ; implicit-def: $vgpr2
	s_branch .LBB323_548
.LBB323_536:
	s_mov_b32 s1, -1
                                        ; implicit-def: $vgpr2
	s_branch .LBB323_543
.LBB323_537:
	s_mov_b32 s1, -1
                                        ; implicit-def: $vgpr2
.LBB323_538:
	s_delay_alu instid0(SALU_CYCLE_1)
	s_and_not1_b32 vcc_lo, exec_lo, s1
	s_cbranch_vccnz .LBB323_542
; %bb.539:
	global_load_b32 v3, v[0:1], off
	s_wait_loadcnt 0x1
	v_mov_b32_e32 v2, 0xff
	s_mov_b32 s21, exec_lo
	s_wait_loadcnt 0x0
	v_bfe_u32 v5, v3, 23, 8
	s_wait_xcnt 0x0
	s_delay_alu instid0(VALU_DEP_1)
	v_cmpx_ne_u32_e32 0xff, v5
	s_cbranch_execz .LBB323_541
; %bb.540:
	v_and_b32_e32 v2, 0x400000, v3
	v_and_or_b32 v5, 0x3fffff, v3, v5
	s_delay_alu instid0(VALU_DEP_2) | instskip(NEXT) | instid1(VALU_DEP_2)
	v_cmp_ne_u32_e32 vcc_lo, 0, v2
	v_cmp_ne_u32_e64 s1, 0, v5
	v_lshrrev_b32_e32 v2, 23, v3
	s_and_b32 s1, vcc_lo, s1
	s_delay_alu instid0(SALU_CYCLE_1) | instskip(NEXT) | instid1(VALU_DEP_1)
	v_cndmask_b32_e64 v3, 0, 1, s1
	v_add_nc_u32_e32 v2, v2, v3
.LBB323_541:
	s_or_b32 exec_lo, exec_lo, s21
.LBB323_542:
	s_mov_b32 s1, 0
.LBB323_543:
	s_delay_alu instid0(SALU_CYCLE_1)
	s_and_not1_b32 vcc_lo, exec_lo, s1
	s_cbranch_vccnz .LBB323_547
; %bb.544:
	s_wait_loadcnt 0x0
	global_load_b32 v2, v[0:1], off
	s_mov_b32 s21, exec_lo
	s_wait_loadcnt 0x0
	v_cvt_f32_f16_e32 v3, v2
	v_mov_b32_e32 v2, 0xff
	s_delay_alu instid0(VALU_DEP_2) | instskip(SKIP_1) | instid1(VALU_DEP_1)
	v_bfe_u32 v5, v3, 23, 8
	s_wait_xcnt 0x0
	v_cmpx_ne_u32_e32 0xff, v5
	s_cbranch_execz .LBB323_546
; %bb.545:
	v_and_b32_e32 v2, 0x400000, v3
	v_and_or_b32 v5, 0x3fffff, v3, v5
	s_delay_alu instid0(VALU_DEP_2) | instskip(NEXT) | instid1(VALU_DEP_2)
	v_cmp_ne_u32_e32 vcc_lo, 0, v2
	v_cmp_ne_u32_e64 s1, 0, v5
	v_lshrrev_b32_e32 v2, 23, v3
	s_and_b32 s1, vcc_lo, s1
	s_delay_alu instid0(SALU_CYCLE_1) | instskip(NEXT) | instid1(VALU_DEP_1)
	v_cndmask_b32_e64 v3, 0, 1, s1
	v_add_nc_u32_e32 v2, v2, v3
.LBB323_546:
	s_or_b32 exec_lo, exec_lo, s21
.LBB323_547:
	s_mov_b32 s1, 0
.LBB323_548:
	s_delay_alu instid0(SALU_CYCLE_1)
	s_and_not1_b32 vcc_lo, exec_lo, s1
	s_cbranch_vccnz .LBB323_565
; %bb.549:
	s_cmp_lt_i32 s2, 6
	s_cbranch_scc1 .LBB323_554
; %bb.550:
	s_cmp_gt_i32 s2, 6
	s_cbranch_scc0 .LBB323_555
; %bb.551:
	s_wait_loadcnt 0x0
	global_load_b64 v[2:3], v[0:1], off
	s_mov_b32 s21, exec_lo
	s_wait_loadcnt 0x0
	v_cvt_f32_f64_e32 v3, v[2:3]
	v_mov_b32_e32 v2, 0xff
	s_delay_alu instid0(VALU_DEP_2) | instskip(SKIP_1) | instid1(VALU_DEP_1)
	v_bfe_u32 v5, v3, 23, 8
	s_wait_xcnt 0x0
	v_cmpx_ne_u32_e32 0xff, v5
	s_cbranch_execz .LBB323_553
; %bb.552:
	v_and_b32_e32 v2, 0x400000, v3
	v_and_or_b32 v5, 0x3fffff, v3, v5
	s_delay_alu instid0(VALU_DEP_2) | instskip(NEXT) | instid1(VALU_DEP_2)
	v_cmp_ne_u32_e32 vcc_lo, 0, v2
	v_cmp_ne_u32_e64 s1, 0, v5
	v_lshrrev_b32_e32 v2, 23, v3
	s_and_b32 s1, vcc_lo, s1
	s_delay_alu instid0(SALU_CYCLE_1) | instskip(NEXT) | instid1(VALU_DEP_1)
	v_cndmask_b32_e64 v3, 0, 1, s1
	v_add_nc_u32_e32 v2, v2, v3
.LBB323_553:
	s_or_b32 exec_lo, exec_lo, s21
	s_mov_b32 s1, 0
	s_branch .LBB323_556
.LBB323_554:
	s_mov_b32 s1, -1
                                        ; implicit-def: $vgpr2
	s_branch .LBB323_561
.LBB323_555:
	s_mov_b32 s1, -1
                                        ; implicit-def: $vgpr2
.LBB323_556:
	s_delay_alu instid0(SALU_CYCLE_1)
	s_and_not1_b32 vcc_lo, exec_lo, s1
	s_cbranch_vccnz .LBB323_560
; %bb.557:
	global_load_b32 v3, v[0:1], off
	s_wait_loadcnt 0x1
	v_mov_b32_e32 v2, 0xff
	s_mov_b32 s21, exec_lo
	s_wait_loadcnt 0x0
	v_bfe_u32 v5, v3, 23, 8
	s_wait_xcnt 0x0
	s_delay_alu instid0(VALU_DEP_1)
	v_cmpx_ne_u32_e32 0xff, v5
	s_cbranch_execz .LBB323_559
; %bb.558:
	v_and_b32_e32 v2, 0x400000, v3
	v_and_or_b32 v5, 0x3fffff, v3, v5
	s_delay_alu instid0(VALU_DEP_2) | instskip(NEXT) | instid1(VALU_DEP_2)
	v_cmp_ne_u32_e32 vcc_lo, 0, v2
	v_cmp_ne_u32_e64 s1, 0, v5
	v_lshrrev_b32_e32 v2, 23, v3
	s_and_b32 s1, vcc_lo, s1
	s_delay_alu instid0(SALU_CYCLE_1) | instskip(NEXT) | instid1(VALU_DEP_1)
	v_cndmask_b32_e64 v3, 0, 1, s1
	v_add_nc_u32_e32 v2, v2, v3
.LBB323_559:
	s_or_b32 exec_lo, exec_lo, s21
.LBB323_560:
	s_mov_b32 s1, 0
.LBB323_561:
	s_delay_alu instid0(SALU_CYCLE_1)
	s_and_not1_b32 vcc_lo, exec_lo, s1
	s_cbranch_vccnz .LBB323_565
; %bb.562:
	s_wait_loadcnt 0x0
	global_load_u16 v2, v[0:1], off
	s_mov_b32 s21, exec_lo
	s_wait_loadcnt 0x0
	v_cvt_f32_f16_e32 v3, v2
	v_mov_b32_e32 v2, 0xff
	s_delay_alu instid0(VALU_DEP_2) | instskip(SKIP_1) | instid1(VALU_DEP_1)
	v_bfe_u32 v5, v3, 23, 8
	s_wait_xcnt 0x0
	v_cmpx_ne_u32_e32 0xff, v5
	s_cbranch_execz .LBB323_564
; %bb.563:
	v_and_b32_e32 v2, 0x400000, v3
	v_and_or_b32 v5, 0x3fffff, v3, v5
	s_delay_alu instid0(VALU_DEP_2) | instskip(NEXT) | instid1(VALU_DEP_2)
	v_cmp_ne_u32_e32 vcc_lo, 0, v2
	v_cmp_ne_u32_e64 s1, 0, v5
	v_lshrrev_b32_e32 v2, 23, v3
	s_and_b32 s1, vcc_lo, s1
	s_delay_alu instid0(SALU_CYCLE_1) | instskip(NEXT) | instid1(VALU_DEP_1)
	v_cndmask_b32_e64 v3, 0, 1, s1
	v_add_nc_u32_e32 v2, v2, v3
.LBB323_564:
	s_or_b32 exec_lo, exec_lo, s21
.LBB323_565:
	s_mov_b32 s1, 0
.LBB323_566:
	s_delay_alu instid0(SALU_CYCLE_1)
	s_and_not1_b32 vcc_lo, exec_lo, s1
	s_cbranch_vccnz .LBB323_596
; %bb.567:
	s_cmp_lt_i32 s2, 2
	s_cbranch_scc1 .LBB323_573
; %bb.568:
	s_cmp_lt_i32 s2, 3
	s_cbranch_scc1 .LBB323_574
; %bb.569:
	s_cmp_gt_i32 s2, 3
	s_cbranch_scc0 .LBB323_575
; %bb.570:
	s_wait_loadcnt 0x0
	global_load_b64 v[2:3], v[0:1], off
	s_mov_b32 s21, exec_lo
	s_wait_loadcnt 0x0
	v_xor_b32_e32 v5, v2, v3
	v_cls_i32_e32 v6, v3
	s_delay_alu instid0(VALU_DEP_2) | instskip(NEXT) | instid1(VALU_DEP_1)
	v_ashrrev_i32_e32 v5, 31, v5
	v_add_nc_u32_e32 v5, 32, v5
	s_delay_alu instid0(VALU_DEP_1) | instskip(NEXT) | instid1(VALU_DEP_1)
	v_add_min_u32_e64 v5, v6, -1, v5
	v_lshlrev_b64_e32 v[2:3], v5, v[2:3]
	s_delay_alu instid0(VALU_DEP_1) | instskip(NEXT) | instid1(VALU_DEP_1)
	v_min_u32_e32 v2, 1, v2
	v_dual_sub_nc_u32 v3, 32, v5 :: v_dual_bitop2_b32 v2, v3, v2 bitop3:0x54
	s_delay_alu instid0(VALU_DEP_1) | instskip(NEXT) | instid1(VALU_DEP_1)
	v_cvt_f32_i32_e32 v2, v2
	v_ldexp_f32 v3, v2, v3
	v_mov_b32_e32 v2, 0xff
	s_delay_alu instid0(VALU_DEP_2) | instskip(SKIP_1) | instid1(VALU_DEP_1)
	v_bfe_u32 v5, v3, 23, 8
	s_wait_xcnt 0x0
	v_cmpx_ne_u32_e32 0xff, v5
	s_cbranch_execz .LBB323_572
; %bb.571:
	v_and_b32_e32 v2, 0x400000, v3
	v_and_or_b32 v5, 0x3fffff, v3, v5
	s_delay_alu instid0(VALU_DEP_2) | instskip(NEXT) | instid1(VALU_DEP_2)
	v_cmp_ne_u32_e32 vcc_lo, 0, v2
	v_cmp_ne_u32_e64 s1, 0, v5
	v_lshrrev_b32_e32 v2, 23, v3
	s_and_b32 s1, vcc_lo, s1
	s_delay_alu instid0(SALU_CYCLE_1) | instskip(NEXT) | instid1(VALU_DEP_1)
	v_cndmask_b32_e64 v3, 0, 1, s1
	v_add_nc_u32_e32 v2, v2, v3
.LBB323_572:
	s_or_b32 exec_lo, exec_lo, s21
	s_mov_b32 s1, 0
	s_branch .LBB323_576
.LBB323_573:
	s_mov_b32 s1, -1
                                        ; implicit-def: $vgpr2
	s_branch .LBB323_586
.LBB323_574:
	s_mov_b32 s1, -1
                                        ; implicit-def: $vgpr2
	s_branch .LBB323_581
.LBB323_575:
	s_mov_b32 s1, -1
                                        ; implicit-def: $vgpr2
.LBB323_576:
	s_delay_alu instid0(SALU_CYCLE_1)
	s_and_not1_b32 vcc_lo, exec_lo, s1
	s_cbranch_vccnz .LBB323_580
; %bb.577:
	s_wait_loadcnt 0x0
	global_load_b32 v2, v[0:1], off
	s_mov_b32 s21, exec_lo
	s_wait_loadcnt 0x0
	v_cvt_f32_i32_e32 v3, v2
	v_mov_b32_e32 v2, 0xff
	s_delay_alu instid0(VALU_DEP_2) | instskip(SKIP_1) | instid1(VALU_DEP_1)
	v_bfe_u32 v5, v3, 23, 8
	s_wait_xcnt 0x0
	v_cmpx_ne_u32_e32 0xff, v5
	s_cbranch_execz .LBB323_579
; %bb.578:
	v_and_b32_e32 v2, 0x400000, v3
	v_and_or_b32 v5, 0x3fffff, v3, v5
	s_delay_alu instid0(VALU_DEP_2) | instskip(NEXT) | instid1(VALU_DEP_2)
	v_cmp_ne_u32_e32 vcc_lo, 0, v2
	v_cmp_ne_u32_e64 s1, 0, v5
	v_lshrrev_b32_e32 v2, 23, v3
	s_and_b32 s1, vcc_lo, s1
	s_delay_alu instid0(SALU_CYCLE_1) | instskip(NEXT) | instid1(VALU_DEP_1)
	v_cndmask_b32_e64 v3, 0, 1, s1
	v_add_nc_u32_e32 v2, v2, v3
.LBB323_579:
	s_or_b32 exec_lo, exec_lo, s21
.LBB323_580:
	s_mov_b32 s1, 0
.LBB323_581:
	s_delay_alu instid0(SALU_CYCLE_1)
	s_and_not1_b32 vcc_lo, exec_lo, s1
	s_cbranch_vccnz .LBB323_585
; %bb.582:
	s_wait_loadcnt 0x0
	global_load_i16 v2, v[0:1], off
	s_mov_b32 s21, exec_lo
	s_wait_loadcnt 0x0
	v_cvt_f32_i32_e32 v3, v2
	v_mov_b32_e32 v2, 0xff
	s_delay_alu instid0(VALU_DEP_2) | instskip(SKIP_1) | instid1(VALU_DEP_1)
	v_bfe_u32 v5, v3, 23, 8
	s_wait_xcnt 0x0
	v_cmpx_ne_u32_e32 0xff, v5
	s_cbranch_execz .LBB323_584
; %bb.583:
	v_and_b32_e32 v2, 0x400000, v3
	v_and_or_b32 v5, 0x3fffff, v3, v5
	s_delay_alu instid0(VALU_DEP_2) | instskip(NEXT) | instid1(VALU_DEP_2)
	v_cmp_ne_u32_e32 vcc_lo, 0, v2
	v_cmp_ne_u32_e64 s1, 0, v5
	v_lshrrev_b32_e32 v2, 23, v3
	s_and_b32 s1, vcc_lo, s1
	s_delay_alu instid0(SALU_CYCLE_1) | instskip(NEXT) | instid1(VALU_DEP_1)
	v_cndmask_b32_e64 v3, 0, 1, s1
	v_add_nc_u32_e32 v2, v2, v3
.LBB323_584:
	s_or_b32 exec_lo, exec_lo, s21
.LBB323_585:
	s_mov_b32 s1, 0
.LBB323_586:
	s_delay_alu instid0(SALU_CYCLE_1)
	s_and_not1_b32 vcc_lo, exec_lo, s1
	s_cbranch_vccnz .LBB323_596
; %bb.587:
	s_cmp_gt_i32 s2, 0
	s_cbranch_scc0 .LBB323_591
; %bb.588:
	s_wait_loadcnt 0x0
	global_load_i8 v2, v[0:1], off
	s_mov_b32 s2, exec_lo
	s_wait_loadcnt 0x0
	v_cvt_f32_i32_e32 v3, v2
	v_mov_b32_e32 v2, 0xff
	s_delay_alu instid0(VALU_DEP_2) | instskip(SKIP_1) | instid1(VALU_DEP_1)
	v_bfe_u32 v5, v3, 23, 8
	s_wait_xcnt 0x0
	v_cmpx_ne_u32_e32 0xff, v5
	s_cbranch_execz .LBB323_590
; %bb.589:
	v_and_b32_e32 v2, 0x400000, v3
	v_and_or_b32 v5, 0x3fffff, v3, v5
	s_delay_alu instid0(VALU_DEP_2) | instskip(NEXT) | instid1(VALU_DEP_2)
	v_cmp_ne_u32_e32 vcc_lo, 0, v2
	v_cmp_ne_u32_e64 s1, 0, v5
	v_lshrrev_b32_e32 v2, 23, v3
	s_and_b32 s1, vcc_lo, s1
	s_delay_alu instid0(SALU_CYCLE_1) | instskip(NEXT) | instid1(VALU_DEP_1)
	v_cndmask_b32_e64 v3, 0, 1, s1
	v_add_nc_u32_e32 v2, v2, v3
.LBB323_590:
	s_or_b32 exec_lo, exec_lo, s2
	s_mov_b32 s1, 0
	s_branch .LBB323_592
.LBB323_591:
	s_mov_b32 s1, -1
                                        ; implicit-def: $vgpr2
.LBB323_592:
	s_delay_alu instid0(SALU_CYCLE_1)
	s_and_not1_b32 vcc_lo, exec_lo, s1
	s_cbranch_vccnz .LBB323_596
; %bb.593:
	global_load_u8 v0, v[0:1], off
	s_wait_loadcnt 0x1
	v_mov_b32_e32 v2, 0xff
	s_mov_b32 s2, exec_lo
	s_wait_loadcnt 0x0
	v_cvt_f32_ubyte0_e32 v1, v0
	s_delay_alu instid0(VALU_DEP_1) | instskip(NEXT) | instid1(VALU_DEP_1)
	v_lshrrev_b32_e32 v0, 23, v1
	v_cmpx_ne_u32_e32 0xff, v0
; %bb.594:
	v_and_b32_e32 v2, 0x400000, v1
	v_and_or_b32 v1, 0x3fffff, v1, v0
	s_delay_alu instid0(VALU_DEP_2) | instskip(NEXT) | instid1(VALU_DEP_2)
	v_cmp_ne_u32_e32 vcc_lo, 0, v2
	v_cmp_ne_u32_e64 s1, 0, v1
	s_and_b32 s1, vcc_lo, s1
	s_delay_alu instid0(SALU_CYCLE_1) | instskip(NEXT) | instid1(VALU_DEP_1)
	v_cndmask_b32_e64 v1, 0, 1, s1
	v_add_nc_u32_e32 v2, v0, v1
; %bb.595:
	s_or_b32 exec_lo, exec_lo, s2
.LBB323_596:
	s_branch .LBB323_312
.LBB323_597:
	s_mov_b32 s1, 0
	s_mov_b32 s2, s17
.LBB323_598:
                                        ; implicit-def: $vgpr4
.LBB323_599:
	s_and_not1_b32 s21, s17, exec_lo
	s_and_b32 s2, s2, exec_lo
	s_and_not1_b32 s23, s18, exec_lo
	s_and_b32 s20, s20, exec_lo
	s_or_b32 s21, s21, s2
	s_or_b32 s20, s23, s20
	s_or_not1_b32 s2, s1, exec_lo
.LBB323_600:
	s_wait_xcnt 0x0
	s_or_b32 exec_lo, exec_lo, s22
	s_mov_b32 s1, 0
	s_mov_b32 s23, 0
	;; [unrolled: 1-line block ×3, first 2 shown]
                                        ; implicit-def: $vgpr0_vgpr1
                                        ; implicit-def: $vgpr2
	s_and_saveexec_b32 s22, s2
	s_cbranch_execz .LBB323_1006
; %bb.601:
	s_mov_b32 s27, -1
	s_mov_b32 s2, s20
	s_mov_b32 s24, s21
	s_mov_b32 s23, exec_lo
	v_cmpx_gt_i32_e64 s16, v4
	s_cbranch_execz .LBB323_902
; %bb.602:
	v_mul_lo_u32 v0, v4, s9
	s_and_b32 s2, 0xffff, s13
	s_delay_alu instid0(SALU_CYCLE_1) | instskip(NEXT) | instid1(VALU_DEP_1)
	s_cmp_lt_i32 s2, 11
	v_ashrrev_i32_e32 v1, 31, v0
	s_delay_alu instid0(VALU_DEP_1)
	v_add_nc_u64_e32 v[0:1], s[6:7], v[0:1]
	s_cbranch_scc1 .LBB323_611
; %bb.603:
	s_cmp_gt_i32 s2, 25
	s_cbranch_scc0 .LBB323_612
; %bb.604:
	s_cmp_gt_i32 s2, 28
	s_cbranch_scc0 .LBB323_613
	;; [unrolled: 3-line block ×4, first 2 shown]
; %bb.607:
	s_cmp_eq_u32 s2, 46
	s_mov_b32 s25, 0
	s_cbranch_scc0 .LBB323_620
; %bb.608:
	global_load_b32 v3, v[0:1], off
	s_mov_b32 s24, exec_lo
	s_wait_loadcnt 0x0
	v_dual_mov_b32 v2, 0xff :: v_dual_lshlrev_b32 v5, 16, v3
	s_delay_alu instid0(VALU_DEP_1) | instskip(SKIP_1) | instid1(VALU_DEP_1)
	v_bfe_u32 v6, v5, 23, 8
	s_wait_xcnt 0x0
	v_cmpx_ne_u32_e32 0xff, v6
	s_cbranch_execz .LBB323_610
; %bb.609:
	v_and_b32_e32 v2, 64, v3
	v_and_or_b32 v5, 0x3f0000, v5, v6
	s_delay_alu instid0(VALU_DEP_2) | instskip(NEXT) | instid1(VALU_DEP_2)
	v_cmp_ne_u32_e32 vcc_lo, 0, v2
	v_cmp_ne_u32_e64 s1, 0, v5
	v_bfe_u32 v2, v3, 7, 9
	s_and_b32 s1, vcc_lo, s1
	s_delay_alu instid0(SALU_CYCLE_1) | instskip(NEXT) | instid1(VALU_DEP_1)
	v_cndmask_b32_e64 v3, 0, 1, s1
	v_add_nc_u32_e32 v2, v2, v3
.LBB323_610:
	s_or_b32 exec_lo, exec_lo, s24
	s_mov_b32 s1, -1
	s_mov_b32 s24, 0
	s_branch .LBB323_622
.LBB323_611:
	s_mov_b32 s25, -1
	s_mov_b32 s24, s20
                                        ; implicit-def: $vgpr2
	s_branch .LBB323_705
.LBB323_612:
	s_mov_b32 s25, -1
	s_mov_b32 s24, s20
                                        ; implicit-def: $vgpr2
	s_branch .LBB323_661
.LBB323_613:
	s_mov_b32 s25, -1
	s_mov_b32 s24, s20
                                        ; implicit-def: $vgpr2
	s_branch .LBB323_634
.LBB323_614:
	s_mov_b32 s25, -1
	s_mov_b32 s24, s20
                                        ; implicit-def: $vgpr2
	s_branch .LBB323_627
.LBB323_615:
	s_and_not1_saveexec_b32 s26, s26
	s_cbranch_execz .LBB323_397
.LBB323_616:
	v_add_f32_e32 v2, 0x46000000, v3
	s_and_not1_b32 s25, s25, exec_lo
	s_delay_alu instid0(VALU_DEP_1) | instskip(NEXT) | instid1(VALU_DEP_1)
	v_and_b32_e32 v2, 0xff, v2
	v_cmp_ne_u32_e32 vcc_lo, 0, v2
	s_and_b32 s27, vcc_lo, exec_lo
	s_delay_alu instid0(SALU_CYCLE_1)
	s_or_b32 s25, s25, s27
	s_or_b32 exec_lo, exec_lo, s26
	v_mov_b32_e32 v5, 0
	s_and_saveexec_b32 s26, s25
	s_cbranch_execnz .LBB323_398
	s_branch .LBB323_399
.LBB323_617:
	s_mov_b32 s25, -1
	s_mov_b32 s24, s20
	s_branch .LBB323_621
.LBB323_618:
	s_and_not1_saveexec_b32 s26, s26
	s_cbranch_execz .LBB323_410
.LBB323_619:
	v_add_f32_e32 v2, 0x42800000, v3
	s_and_not1_b32 s25, s25, exec_lo
	s_delay_alu instid0(VALU_DEP_1) | instskip(NEXT) | instid1(VALU_DEP_1)
	v_and_b32_e32 v2, 0xff, v2
	v_cmp_ne_u32_e32 vcc_lo, 0, v2
	s_and_b32 s27, vcc_lo, exec_lo
	s_delay_alu instid0(SALU_CYCLE_1)
	s_or_b32 s25, s25, s27
	s_or_b32 exec_lo, exec_lo, s26
	v_mov_b32_e32 v5, 0
	s_and_saveexec_b32 s26, s25
	s_cbranch_execnz .LBB323_411
	s_branch .LBB323_412
.LBB323_620:
	s_mov_b32 s24, -1
.LBB323_621:
                                        ; implicit-def: $vgpr2
.LBB323_622:
	s_and_b32 vcc_lo, exec_lo, s25
	s_cbranch_vccz .LBB323_626
; %bb.623:
	s_cmp_eq_u32 s2, 44
	s_cbranch_scc0 .LBB323_625
; %bb.624:
	s_wait_loadcnt 0x0
	global_load_u8 v2, v[0:1], off
	s_mov_b32 s1, -1
	s_mov_b32 s24, 0
	s_branch .LBB323_626
.LBB323_625:
	s_mov_b32 s24, -1
                                        ; implicit-def: $vgpr2
.LBB323_626:
	s_mov_b32 s25, 0
.LBB323_627:
	s_delay_alu instid0(SALU_CYCLE_1)
	s_and_b32 vcc_lo, exec_lo, s25
	s_cbranch_vccz .LBB323_633
; %bb.628:
	s_cmp_eq_u32 s2, 29
	s_cbranch_scc0 .LBB323_632
; %bb.629:
	s_wait_loadcnt 0x0
	global_load_b64 v[2:3], v[0:1], off
	s_mov_b32 s24, exec_lo
	s_wait_loadcnt 0x0
	v_clz_i32_u32_e32 v5, v3
	s_delay_alu instid0(VALU_DEP_1) | instskip(NEXT) | instid1(VALU_DEP_1)
	v_min_u32_e32 v5, 32, v5
	v_lshlrev_b64_e32 v[2:3], v5, v[2:3]
	s_delay_alu instid0(VALU_DEP_1) | instskip(NEXT) | instid1(VALU_DEP_1)
	v_min_u32_e32 v2, 1, v2
	v_dual_sub_nc_u32 v3, 32, v5 :: v_dual_bitop2_b32 v2, v3, v2 bitop3:0x54
	s_delay_alu instid0(VALU_DEP_1) | instskip(NEXT) | instid1(VALU_DEP_1)
	v_cvt_f32_u32_e32 v2, v2
	v_ldexp_f32 v5, v2, v3
	s_delay_alu instid0(VALU_DEP_1) | instskip(SKIP_1) | instid1(VALU_DEP_1)
	v_dual_mov_b32 v2, 0xff :: v_dual_lshrrev_b32 v3, 23, v5
	s_wait_xcnt 0x0
	v_cmpx_ne_u32_e32 0xff, v3
; %bb.630:
	v_and_b32_e32 v2, 0x400000, v5
	v_and_or_b32 v5, 0x3fffff, v5, v3
	s_delay_alu instid0(VALU_DEP_2) | instskip(NEXT) | instid1(VALU_DEP_2)
	v_cmp_ne_u32_e32 vcc_lo, 0, v2
	v_cmp_ne_u32_e64 s1, 0, v5
	s_and_b32 s1, vcc_lo, s1
	s_delay_alu instid0(SALU_CYCLE_1) | instskip(NEXT) | instid1(VALU_DEP_1)
	v_cndmask_b32_e64 v2, 0, 1, s1
	v_add_nc_u32_e32 v2, v3, v2
; %bb.631:
	s_or_b32 exec_lo, exec_lo, s24
	s_mov_b32 s1, -1
	s_mov_b32 s24, 0
	s_branch .LBB323_633
.LBB323_632:
	s_mov_b32 s24, -1
                                        ; implicit-def: $vgpr2
.LBB323_633:
	s_mov_b32 s25, 0
.LBB323_634:
	s_delay_alu instid0(SALU_CYCLE_1)
	s_and_b32 vcc_lo, exec_lo, s25
	s_cbranch_vccz .LBB323_660
; %bb.635:
	s_cmp_lt_i32 s2, 27
	s_cbranch_scc1 .LBB323_640
; %bb.636:
	s_cmp_gt_i32 s2, 27
	s_cbranch_scc0 .LBB323_641
; %bb.637:
	s_wait_loadcnt 0x0
	global_load_b32 v2, v[0:1], off
	s_mov_b32 s25, exec_lo
	s_wait_loadcnt 0x0
	v_cvt_f32_u32_e32 v5, v2
	s_delay_alu instid0(VALU_DEP_1) | instskip(SKIP_1) | instid1(VALU_DEP_1)
	v_dual_mov_b32 v2, 0xff :: v_dual_lshrrev_b32 v3, 23, v5
	s_wait_xcnt 0x0
	v_cmpx_ne_u32_e32 0xff, v3
; %bb.638:
	v_and_b32_e32 v2, 0x400000, v5
	v_and_or_b32 v5, 0x3fffff, v5, v3
	s_delay_alu instid0(VALU_DEP_2) | instskip(NEXT) | instid1(VALU_DEP_2)
	v_cmp_ne_u32_e32 vcc_lo, 0, v2
	v_cmp_ne_u32_e64 s1, 0, v5
	s_and_b32 s1, vcc_lo, s1
	s_delay_alu instid0(SALU_CYCLE_1) | instskip(NEXT) | instid1(VALU_DEP_1)
	v_cndmask_b32_e64 v2, 0, 1, s1
	v_add_nc_u32_e32 v2, v3, v2
; %bb.639:
	s_or_b32 exec_lo, exec_lo, s25
	s_mov_b32 s1, 0
	s_branch .LBB323_642
.LBB323_640:
	s_mov_b32 s1, -1
                                        ; implicit-def: $vgpr2
	s_branch .LBB323_647
.LBB323_641:
	s_mov_b32 s1, -1
                                        ; implicit-def: $vgpr2
.LBB323_642:
	s_delay_alu instid0(SALU_CYCLE_1)
	s_and_not1_b32 vcc_lo, exec_lo, s1
	s_cbranch_vccnz .LBB323_646
; %bb.643:
	s_wait_loadcnt 0x0
	global_load_u16 v2, v[0:1], off
	s_mov_b32 s25, exec_lo
	s_wait_loadcnt 0x0
	v_cvt_f32_u32_e32 v5, v2
	s_delay_alu instid0(VALU_DEP_1) | instskip(SKIP_1) | instid1(VALU_DEP_1)
	v_dual_mov_b32 v2, 0xff :: v_dual_lshrrev_b32 v3, 23, v5
	s_wait_xcnt 0x0
	v_cmpx_ne_u32_e32 0xff, v3
; %bb.644:
	v_and_b32_e32 v2, 0x400000, v5
	v_and_or_b32 v5, 0x3fffff, v5, v3
	s_delay_alu instid0(VALU_DEP_2) | instskip(NEXT) | instid1(VALU_DEP_2)
	v_cmp_ne_u32_e32 vcc_lo, 0, v2
	v_cmp_ne_u32_e64 s1, 0, v5
	s_and_b32 s1, vcc_lo, s1
	s_delay_alu instid0(SALU_CYCLE_1) | instskip(NEXT) | instid1(VALU_DEP_1)
	v_cndmask_b32_e64 v2, 0, 1, s1
	v_add_nc_u32_e32 v2, v3, v2
; %bb.645:
	s_or_b32 exec_lo, exec_lo, s25
.LBB323_646:
	s_mov_b32 s1, 0
.LBB323_647:
	s_delay_alu instid0(SALU_CYCLE_1)
	s_and_not1_b32 vcc_lo, exec_lo, s1
	s_cbranch_vccnz .LBB323_659
; %bb.648:
	s_wait_loadcnt 0x0
	global_load_u8 v2, v[0:1], off
	s_mov_b32 s1, 0
	s_mov_b32 s25, exec_lo
	s_wait_loadcnt 0x0
	v_cmpx_lt_i16_e32 0x7f, v2
	s_xor_b32 s25, exec_lo, s25
	s_cbranch_execz .LBB323_652
; %bb.649:
	s_mov_b32 s1, -1
	s_mov_b32 s26, exec_lo
	v_cmpx_eq_u16_e32 0x80, v2
; %bb.650:
	s_xor_b32 s1, exec_lo, -1
; %bb.651:
	s_or_b32 exec_lo, exec_lo, s26
	s_delay_alu instid0(SALU_CYCLE_1)
	s_and_b32 s1, s1, exec_lo
.LBB323_652:
	s_or_saveexec_b32 s25, s25
	v_mov_b32_e32 v3, 0x7f800001
	v_and_b32_e32 v5, 0xffff, v2
	s_xor_b32 exec_lo, exec_lo, s25
; %bb.653:
	v_cmp_ne_u16_e32 vcc_lo, 0, v2
	s_delay_alu instid0(VALU_DEP_2) | instskip(SKIP_2) | instid1(SALU_CYCLE_1)
	v_mov_b32_e32 v3, v5
	s_and_not1_b32 s1, s1, exec_lo
	s_and_b32 s26, vcc_lo, exec_lo
	s_or_b32 s1, s1, s26
; %bb.654:
	s_or_b32 exec_lo, exec_lo, s25
	s_and_saveexec_b32 s25, s1
	s_cbranch_execz .LBB323_656
; %bb.655:
	v_and_b32_e32 v2, 7, v5
	s_delay_alu instid0(VALU_DEP_1) | instskip(NEXT) | instid1(VALU_DEP_1)
	v_clz_i32_u32_e32 v3, v2
	v_min_u32_e32 v3, 32, v3
	s_delay_alu instid0(VALU_DEP_1) | instskip(NEXT) | instid1(VALU_DEP_1)
	v_subrev_nc_u32_e32 v6, 28, v3
	v_lshlrev_b32_e32 v6, v6, v5
	v_bfe_u32 v5, v5, 3, 4
	s_delay_alu instid0(VALU_DEP_2) | instskip(NEXT) | instid1(VALU_DEP_2)
	v_dual_sub_nc_u32 v3, 29, v3 :: v_dual_bitop2_b32 v6, 7, v6 bitop3:0x40
	v_cmp_eq_u32_e32 vcc_lo, 0, v5
	s_delay_alu instid0(VALU_DEP_2) | instskip(NEXT) | instid1(VALU_DEP_1)
	v_dual_cndmask_b32 v3, v5, v3 :: v_dual_cndmask_b32 v2, v2, v6
	v_lshlrev_b32_e32 v2, 20, v2
	s_delay_alu instid0(VALU_DEP_1) | instskip(NEXT) | instid1(VALU_DEP_1)
	v_lshl_or_b32 v2, v3, 23, v2
	v_add_nc_u32_e32 v3, 0x3b800000, v2
.LBB323_656:
	s_or_b32 exec_lo, exec_lo, s25
	s_delay_alu instid0(VALU_DEP_1) | instskip(SKIP_1) | instid1(VALU_DEP_1)
	v_dual_mov_b32 v2, 0xff :: v_dual_lshrrev_b32 v5, 23, v3
	s_mov_b32 s25, exec_lo
	v_cmpx_ne_u32_e32 0xff, v5
; %bb.657:
	v_and_b32_e32 v2, 0x400000, v3
	v_and_or_b32 v3, 0x3fffff, v3, v5
	s_delay_alu instid0(VALU_DEP_2) | instskip(NEXT) | instid1(VALU_DEP_2)
	v_cmp_ne_u32_e32 vcc_lo, 0, v2
	v_cmp_ne_u32_e64 s1, 0, v3
	s_and_b32 s1, vcc_lo, s1
	s_delay_alu instid0(SALU_CYCLE_1) | instskip(NEXT) | instid1(VALU_DEP_1)
	v_cndmask_b32_e64 v2, 0, 1, s1
	v_add_nc_u32_e32 v2, v5, v2
; %bb.658:
	s_or_b32 exec_lo, exec_lo, s25
.LBB323_659:
	s_mov_b32 s1, -1
.LBB323_660:
	s_mov_b32 s25, 0
.LBB323_661:
	s_delay_alu instid0(SALU_CYCLE_1)
	s_and_b32 vcc_lo, exec_lo, s25
	s_cbranch_vccz .LBB323_704
; %bb.662:
	s_cmp_gt_i32 s2, 22
	s_cbranch_scc0 .LBB323_676
; %bb.663:
	s_cmp_lt_i32 s2, 24
	s_cbranch_scc1 .LBB323_677
; %bb.664:
	s_cmp_gt_i32 s2, 24
	s_cbranch_scc0 .LBB323_678
; %bb.665:
	s_wait_loadcnt 0x0
	global_load_u8 v2, v[0:1], off
	s_mov_b32 s1, 0
	s_mov_b32 s25, exec_lo
	s_wait_loadcnt 0x0
	v_cmpx_lt_i16_e32 0x7f, v2
	s_xor_b32 s25, exec_lo, s25
	s_cbranch_execz .LBB323_669
; %bb.666:
	s_mov_b32 s1, -1
	s_mov_b32 s26, exec_lo
	v_cmpx_eq_u16_e32 0x80, v2
; %bb.667:
	s_xor_b32 s1, exec_lo, -1
; %bb.668:
	s_or_b32 exec_lo, exec_lo, s26
	s_delay_alu instid0(SALU_CYCLE_1)
	s_and_b32 s1, s1, exec_lo
.LBB323_669:
	s_or_saveexec_b32 s25, s25
	v_mov_b32_e32 v3, 0x7f800001
	v_and_b32_e32 v5, 0xffff, v2
	s_xor_b32 exec_lo, exec_lo, s25
; %bb.670:
	v_cmp_ne_u16_e32 vcc_lo, 0, v2
	s_delay_alu instid0(VALU_DEP_2) | instskip(SKIP_2) | instid1(SALU_CYCLE_1)
	v_mov_b32_e32 v3, v5
	s_and_not1_b32 s1, s1, exec_lo
	s_and_b32 s26, vcc_lo, exec_lo
	s_or_b32 s1, s1, s26
; %bb.671:
	s_or_b32 exec_lo, exec_lo, s25
	s_and_saveexec_b32 s25, s1
	s_cbranch_execz .LBB323_673
; %bb.672:
	v_and_b32_e32 v2, 3, v5
	s_delay_alu instid0(VALU_DEP_1) | instskip(NEXT) | instid1(VALU_DEP_1)
	v_clz_i32_u32_e32 v3, v2
	v_min_u32_e32 v3, 32, v3
	s_delay_alu instid0(VALU_DEP_1) | instskip(NEXT) | instid1(VALU_DEP_1)
	v_subrev_nc_u32_e32 v6, 29, v3
	v_lshlrev_b32_e32 v6, v6, v5
	v_bfe_u32 v5, v5, 2, 5
	s_delay_alu instid0(VALU_DEP_2) | instskip(NEXT) | instid1(VALU_DEP_2)
	v_dual_sub_nc_u32 v3, 30, v3 :: v_dual_bitop2_b32 v6, 3, v6 bitop3:0x40
	v_cmp_eq_u32_e32 vcc_lo, 0, v5
	s_delay_alu instid0(VALU_DEP_2) | instskip(NEXT) | instid1(VALU_DEP_1)
	v_dual_cndmask_b32 v3, v5, v3 :: v_dual_cndmask_b32 v2, v2, v6
	v_lshlrev_b32_e32 v2, 21, v2
	s_delay_alu instid0(VALU_DEP_1) | instskip(NEXT) | instid1(VALU_DEP_1)
	v_lshl_or_b32 v2, v3, 23, v2
	v_add_nc_u32_e32 v3, 0x37800000, v2
.LBB323_673:
	s_or_b32 exec_lo, exec_lo, s25
	s_delay_alu instid0(VALU_DEP_1) | instskip(SKIP_1) | instid1(VALU_DEP_1)
	v_dual_mov_b32 v2, 0xff :: v_dual_lshrrev_b32 v5, 23, v3
	s_mov_b32 s25, exec_lo
	v_cmpx_ne_u32_e32 0xff, v5
; %bb.674:
	v_and_b32_e32 v2, 0x400000, v3
	v_and_or_b32 v3, 0x3fffff, v3, v5
	s_delay_alu instid0(VALU_DEP_2) | instskip(NEXT) | instid1(VALU_DEP_2)
	v_cmp_ne_u32_e32 vcc_lo, 0, v2
	v_cmp_ne_u32_e64 s1, 0, v3
	s_and_b32 s1, vcc_lo, s1
	s_delay_alu instid0(SALU_CYCLE_1) | instskip(NEXT) | instid1(VALU_DEP_1)
	v_cndmask_b32_e64 v2, 0, 1, s1
	v_add_nc_u32_e32 v2, v5, v2
; %bb.675:
	s_or_b32 exec_lo, exec_lo, s25
	s_mov_b32 s1, 0
	s_branch .LBB323_679
.LBB323_676:
	s_mov_b32 s25, -1
                                        ; implicit-def: $vgpr2
	s_branch .LBB323_689
.LBB323_677:
	s_mov_b32 s1, -1
                                        ; implicit-def: $vgpr2
	s_branch .LBB323_684
.LBB323_678:
	s_mov_b32 s1, -1
                                        ; implicit-def: $vgpr2
.LBB323_679:
	s_delay_alu instid0(SALU_CYCLE_1)
	s_and_b32 vcc_lo, exec_lo, s1
	s_cbranch_vccz .LBB323_683
; %bb.680:
	s_wait_loadcnt 0x0
	global_load_u8 v2, v[0:1], off
	s_mov_b32 s25, exec_lo
	s_wait_loadcnt 0x0
	v_lshlrev_b32_e32 v2, 24, v2
	s_delay_alu instid0(VALU_DEP_1) | instskip(NEXT) | instid1(VALU_DEP_1)
	v_and_b32_e32 v2, 0x7f000000, v2
	v_clz_i32_u32_e32 v3, v2
	v_cmp_ne_u32_e32 vcc_lo, 0, v2
	v_add_nc_u32_e32 v6, 0x1000000, v2
	s_delay_alu instid0(VALU_DEP_3) | instskip(NEXT) | instid1(VALU_DEP_1)
	v_min_u32_e32 v3, 32, v3
	v_sub_nc_u32_e64 v3, v3, 4 clamp
	s_delay_alu instid0(VALU_DEP_1) | instskip(NEXT) | instid1(VALU_DEP_1)
	v_dual_mov_b32 v2, 0xff :: v_dual_lshlrev_b32 v5, v3, v2
	v_dual_lshlrev_b32 v3, 23, v3 :: v_dual_lshrrev_b32 v5, 4, v5
	s_delay_alu instid0(VALU_DEP_1) | instskip(NEXT) | instid1(VALU_DEP_1)
	v_dual_sub_nc_u32 v3, v5, v3 :: v_dual_ashrrev_i32 v5, 8, v6
	v_add_nc_u32_e32 v3, 0x3c000000, v3
	s_delay_alu instid0(VALU_DEP_1) | instskip(NEXT) | instid1(VALU_DEP_1)
	v_and_or_b32 v3, 0x7f800000, v5, v3
	v_cndmask_b32_e32 v5, 0, v3, vcc_lo
	s_delay_alu instid0(VALU_DEP_1) | instskip(SKIP_1) | instid1(VALU_DEP_1)
	v_lshrrev_b32_e32 v3, 23, v5
	s_wait_xcnt 0x0
	v_cmpx_ne_u32_e32 0xff, v3
; %bb.681:
	v_and_b32_e32 v2, 0x400000, v5
	v_and_or_b32 v5, 0x3fffff, v5, v3
	s_delay_alu instid0(VALU_DEP_2) | instskip(NEXT) | instid1(VALU_DEP_2)
	v_cmp_ne_u32_e32 vcc_lo, 0, v2
	v_cmp_ne_u32_e64 s1, 0, v5
	s_and_b32 s1, vcc_lo, s1
	s_delay_alu instid0(SALU_CYCLE_1) | instskip(NEXT) | instid1(VALU_DEP_1)
	v_cndmask_b32_e64 v2, 0, 1, s1
	v_add_nc_u32_e32 v2, v3, v2
; %bb.682:
	s_or_b32 exec_lo, exec_lo, s25
.LBB323_683:
	s_mov_b32 s1, 0
.LBB323_684:
	s_delay_alu instid0(SALU_CYCLE_1)
	s_and_not1_b32 vcc_lo, exec_lo, s1
	s_cbranch_vccnz .LBB323_688
; %bb.685:
	s_wait_loadcnt 0x0
	global_load_u8 v2, v[0:1], off
	s_mov_b32 s25, exec_lo
	s_wait_loadcnt 0x0
	v_dual_lshlrev_b32 v3, 25, v2 :: v_dual_lshlrev_b32 v2, 8, v2
	s_delay_alu instid0(VALU_DEP_1) | instskip(NEXT) | instid1(VALU_DEP_2)
	v_cmp_gt_u32_e32 vcc_lo, 0x8000000, v3
	v_and_or_b32 v2, 0x7f00, v2, 0.5
	s_delay_alu instid0(VALU_DEP_1) | instskip(NEXT) | instid1(VALU_DEP_1)
	v_dual_add_f32 v2, -0.5, v2 :: v_dual_lshrrev_b32 v5, 4, v3
	v_or_b32_e32 v5, 0x70000000, v5
	s_delay_alu instid0(VALU_DEP_1) | instskip(NEXT) | instid1(VALU_DEP_1)
	v_mul_f32_e32 v5, 0x7800000, v5
	v_dual_cndmask_b32 v3, v5, v2 :: v_dual_mov_b32 v2, 0xff
	s_delay_alu instid0(VALU_DEP_1) | instskip(SKIP_1) | instid1(VALU_DEP_1)
	v_bfe_u32 v5, v3, 23, 8
	s_wait_xcnt 0x0
	v_cmpx_ne_u32_e32 0xff, v5
	s_cbranch_execz .LBB323_687
; %bb.686:
	v_and_b32_e32 v2, 0x400000, v3
	v_and_or_b32 v5, 0x3fffff, v3, v5
	s_delay_alu instid0(VALU_DEP_2) | instskip(NEXT) | instid1(VALU_DEP_2)
	v_cmp_ne_u32_e32 vcc_lo, 0, v2
	v_cmp_ne_u32_e64 s1, 0, v5
	v_lshrrev_b32_e32 v2, 23, v3
	s_and_b32 s1, vcc_lo, s1
	s_delay_alu instid0(SALU_CYCLE_1) | instskip(NEXT) | instid1(VALU_DEP_1)
	v_cndmask_b32_e64 v3, 0, 1, s1
	v_add_nc_u32_e32 v2, v2, v3
.LBB323_687:
	s_or_b32 exec_lo, exec_lo, s25
.LBB323_688:
	s_mov_b32 s25, 0
	s_mov_b32 s1, -1
.LBB323_689:
	s_and_not1_b32 vcc_lo, exec_lo, s25
	s_cbranch_vccnz .LBB323_704
; %bb.690:
	s_cmp_gt_i32 s2, 14
	s_cbranch_scc0 .LBB323_695
; %bb.691:
	s_cmp_eq_u32 s2, 15
	s_cbranch_scc0 .LBB323_696
; %bb.692:
	global_load_u16 v3, v[0:1], off
	s_wait_loadcnt 0x1
	v_mov_b32_e32 v2, 0xff
	s_mov_b32 s24, exec_lo
	s_wait_loadcnt 0x0
	v_bfe_u32 v5, v3, 7, 8
	s_wait_xcnt 0x0
	s_delay_alu instid0(VALU_DEP_1)
	v_cmpx_ne_u32_e32 0xff, v5
	s_cbranch_execz .LBB323_694
; %bb.693:
	v_dual_lshlrev_b32 v2, 16, v3 :: v_dual_bitop2_b32 v6, 64, v3 bitop3:0x40
	s_delay_alu instid0(VALU_DEP_1) | instskip(NEXT) | instid1(VALU_DEP_2)
	v_and_or_b32 v2, 0x3f0000, v2, v5
	v_cmp_ne_u32_e32 vcc_lo, 0, v6
	s_delay_alu instid0(VALU_DEP_2) | instskip(SKIP_2) | instid1(SALU_CYCLE_1)
	v_cmp_ne_u32_e64 s1, 0, v2
	v_lshrrev_b32_e32 v2, 7, v3
	s_and_b32 s1, vcc_lo, s1
	v_cndmask_b32_e64 v3, 0, 1, s1
	s_delay_alu instid0(VALU_DEP_1)
	v_add_nc_u32_e32 v2, v2, v3
.LBB323_694:
	s_or_b32 exec_lo, exec_lo, s24
	s_mov_b32 s1, -1
	s_mov_b32 s24, 0
	s_branch .LBB323_697
.LBB323_695:
	s_mov_b32 s25, -1
                                        ; implicit-def: $vgpr2
	s_branch .LBB323_698
.LBB323_696:
	s_mov_b32 s24, -1
                                        ; implicit-def: $vgpr2
.LBB323_697:
	s_mov_b32 s25, 0
.LBB323_698:
	s_delay_alu instid0(SALU_CYCLE_1)
	s_and_b32 vcc_lo, exec_lo, s25
	s_cbranch_vccz .LBB323_704
; %bb.699:
	s_cmp_eq_u32 s2, 11
	s_cbranch_scc0 .LBB323_703
; %bb.700:
	s_wait_loadcnt 0x0
	global_load_u8 v2, v[0:1], off
	s_mov_b32 s24, 0
	s_mov_b32 s25, exec_lo
	s_wait_loadcnt 0x0
	v_cmp_ne_u16_e32 vcc_lo, 0, v2
	v_mov_b32_e32 v2, 0xff
	v_cndmask_b32_e64 v5, 0, 1.0, vcc_lo
	s_delay_alu instid0(VALU_DEP_1) | instskip(SKIP_1) | instid1(VALU_DEP_1)
	v_lshrrev_b32_e32 v3, 23, v5
	s_wait_xcnt 0x0
	v_cmpx_ne_u32_e32 0xff, v3
; %bb.701:
	v_and_b32_e32 v2, 0x400000, v5
	v_and_or_b32 v5, 0x3fffff, v5, v3
	s_delay_alu instid0(VALU_DEP_2) | instskip(NEXT) | instid1(VALU_DEP_2)
	v_cmp_ne_u32_e32 vcc_lo, 0, v2
	v_cmp_ne_u32_e64 s1, 0, v5
	s_and_b32 s1, vcc_lo, s1
	s_delay_alu instid0(SALU_CYCLE_1) | instskip(NEXT) | instid1(VALU_DEP_1)
	v_cndmask_b32_e64 v2, 0, 1, s1
	v_add_nc_u32_e32 v2, v3, v2
; %bb.702:
	s_or_b32 exec_lo, exec_lo, s25
	s_mov_b32 s1, -1
	s_branch .LBB323_704
.LBB323_703:
	s_mov_b32 s24, -1
                                        ; implicit-def: $vgpr2
.LBB323_704:
	s_mov_b32 s25, 0
.LBB323_705:
	s_delay_alu instid0(SALU_CYCLE_1)
	s_and_b32 vcc_lo, exec_lo, s25
	s_cbranch_vccz .LBB323_776
; %bb.706:
	s_cmp_lt_i32 s2, 5
	s_cbranch_scc1 .LBB323_713
; %bb.707:
	s_cmp_lt_i32 s2, 8
	s_cbranch_scc1 .LBB323_714
	;; [unrolled: 3-line block ×3, first 2 shown]
; %bb.709:
	s_cmp_gt_i32 s2, 9
	s_cbranch_scc0 .LBB323_716
; %bb.710:
	s_wait_loadcnt 0x0
	global_load_b64 v[2:3], v[0:1], off
	s_mov_b32 s25, exec_lo
	s_wait_loadcnt 0x0
	v_cvt_f32_f64_e32 v3, v[2:3]
	v_mov_b32_e32 v2, 0xff
	s_delay_alu instid0(VALU_DEP_2) | instskip(SKIP_1) | instid1(VALU_DEP_1)
	v_bfe_u32 v5, v3, 23, 8
	s_wait_xcnt 0x0
	v_cmpx_ne_u32_e32 0xff, v5
	s_cbranch_execz .LBB323_712
; %bb.711:
	v_and_b32_e32 v2, 0x400000, v3
	v_and_or_b32 v5, 0x3fffff, v3, v5
	s_delay_alu instid0(VALU_DEP_2) | instskip(NEXT) | instid1(VALU_DEP_2)
	v_cmp_ne_u32_e32 vcc_lo, 0, v2
	v_cmp_ne_u32_e64 s1, 0, v5
	v_lshrrev_b32_e32 v2, 23, v3
	s_and_b32 s1, vcc_lo, s1
	s_delay_alu instid0(SALU_CYCLE_1) | instskip(NEXT) | instid1(VALU_DEP_1)
	v_cndmask_b32_e64 v3, 0, 1, s1
	v_add_nc_u32_e32 v2, v2, v3
.LBB323_712:
	s_or_b32 exec_lo, exec_lo, s25
	s_mov_b32 s1, 0
	s_branch .LBB323_717
.LBB323_713:
	s_mov_b32 s1, -1
                                        ; implicit-def: $vgpr2
	s_branch .LBB323_745
.LBB323_714:
	s_mov_b32 s1, -1
                                        ; implicit-def: $vgpr2
	s_branch .LBB323_727
.LBB323_715:
	s_mov_b32 s1, -1
                                        ; implicit-def: $vgpr2
	s_branch .LBB323_722
.LBB323_716:
	s_mov_b32 s1, -1
                                        ; implicit-def: $vgpr2
.LBB323_717:
	s_delay_alu instid0(SALU_CYCLE_1)
	s_and_not1_b32 vcc_lo, exec_lo, s1
	s_cbranch_vccnz .LBB323_721
; %bb.718:
	global_load_b32 v3, v[0:1], off
	s_wait_loadcnt 0x1
	v_mov_b32_e32 v2, 0xff
	s_mov_b32 s25, exec_lo
	s_wait_loadcnt 0x0
	v_bfe_u32 v5, v3, 23, 8
	s_wait_xcnt 0x0
	s_delay_alu instid0(VALU_DEP_1)
	v_cmpx_ne_u32_e32 0xff, v5
	s_cbranch_execz .LBB323_720
; %bb.719:
	v_and_b32_e32 v2, 0x400000, v3
	v_and_or_b32 v5, 0x3fffff, v3, v5
	s_delay_alu instid0(VALU_DEP_2) | instskip(NEXT) | instid1(VALU_DEP_2)
	v_cmp_ne_u32_e32 vcc_lo, 0, v2
	v_cmp_ne_u32_e64 s1, 0, v5
	v_lshrrev_b32_e32 v2, 23, v3
	s_and_b32 s1, vcc_lo, s1
	s_delay_alu instid0(SALU_CYCLE_1) | instskip(NEXT) | instid1(VALU_DEP_1)
	v_cndmask_b32_e64 v3, 0, 1, s1
	v_add_nc_u32_e32 v2, v2, v3
.LBB323_720:
	s_or_b32 exec_lo, exec_lo, s25
.LBB323_721:
	s_mov_b32 s1, 0
.LBB323_722:
	s_delay_alu instid0(SALU_CYCLE_1)
	s_and_not1_b32 vcc_lo, exec_lo, s1
	s_cbranch_vccnz .LBB323_726
; %bb.723:
	s_wait_loadcnt 0x0
	global_load_b32 v2, v[0:1], off
	s_mov_b32 s25, exec_lo
	s_wait_loadcnt 0x0
	v_cvt_f32_f16_e32 v3, v2
	v_mov_b32_e32 v2, 0xff
	s_delay_alu instid0(VALU_DEP_2) | instskip(SKIP_1) | instid1(VALU_DEP_1)
	v_bfe_u32 v5, v3, 23, 8
	s_wait_xcnt 0x0
	v_cmpx_ne_u32_e32 0xff, v5
	s_cbranch_execz .LBB323_725
; %bb.724:
	v_and_b32_e32 v2, 0x400000, v3
	v_and_or_b32 v5, 0x3fffff, v3, v5
	s_delay_alu instid0(VALU_DEP_2) | instskip(NEXT) | instid1(VALU_DEP_2)
	v_cmp_ne_u32_e32 vcc_lo, 0, v2
	v_cmp_ne_u32_e64 s1, 0, v5
	v_lshrrev_b32_e32 v2, 23, v3
	s_and_b32 s1, vcc_lo, s1
	s_delay_alu instid0(SALU_CYCLE_1) | instskip(NEXT) | instid1(VALU_DEP_1)
	v_cndmask_b32_e64 v3, 0, 1, s1
	v_add_nc_u32_e32 v2, v2, v3
.LBB323_725:
	s_or_b32 exec_lo, exec_lo, s25
.LBB323_726:
	s_mov_b32 s1, 0
.LBB323_727:
	s_delay_alu instid0(SALU_CYCLE_1)
	s_and_not1_b32 vcc_lo, exec_lo, s1
	s_cbranch_vccnz .LBB323_744
; %bb.728:
	s_cmp_lt_i32 s2, 6
	s_cbranch_scc1 .LBB323_733
; %bb.729:
	s_cmp_gt_i32 s2, 6
	s_cbranch_scc0 .LBB323_734
; %bb.730:
	s_wait_loadcnt 0x0
	global_load_b64 v[2:3], v[0:1], off
	s_mov_b32 s25, exec_lo
	s_wait_loadcnt 0x0
	v_cvt_f32_f64_e32 v3, v[2:3]
	v_mov_b32_e32 v2, 0xff
	s_delay_alu instid0(VALU_DEP_2) | instskip(SKIP_1) | instid1(VALU_DEP_1)
	v_bfe_u32 v5, v3, 23, 8
	s_wait_xcnt 0x0
	v_cmpx_ne_u32_e32 0xff, v5
	s_cbranch_execz .LBB323_732
; %bb.731:
	v_and_b32_e32 v2, 0x400000, v3
	v_and_or_b32 v5, 0x3fffff, v3, v5
	s_delay_alu instid0(VALU_DEP_2) | instskip(NEXT) | instid1(VALU_DEP_2)
	v_cmp_ne_u32_e32 vcc_lo, 0, v2
	v_cmp_ne_u32_e64 s1, 0, v5
	v_lshrrev_b32_e32 v2, 23, v3
	s_and_b32 s1, vcc_lo, s1
	s_delay_alu instid0(SALU_CYCLE_1) | instskip(NEXT) | instid1(VALU_DEP_1)
	v_cndmask_b32_e64 v3, 0, 1, s1
	v_add_nc_u32_e32 v2, v2, v3
.LBB323_732:
	s_or_b32 exec_lo, exec_lo, s25
	s_mov_b32 s1, 0
	s_branch .LBB323_735
.LBB323_733:
	s_mov_b32 s1, -1
                                        ; implicit-def: $vgpr2
	s_branch .LBB323_740
.LBB323_734:
	s_mov_b32 s1, -1
                                        ; implicit-def: $vgpr2
.LBB323_735:
	s_delay_alu instid0(SALU_CYCLE_1)
	s_and_not1_b32 vcc_lo, exec_lo, s1
	s_cbranch_vccnz .LBB323_739
; %bb.736:
	global_load_b32 v3, v[0:1], off
	s_wait_loadcnt 0x1
	v_mov_b32_e32 v2, 0xff
	s_mov_b32 s25, exec_lo
	s_wait_loadcnt 0x0
	v_bfe_u32 v5, v3, 23, 8
	s_wait_xcnt 0x0
	s_delay_alu instid0(VALU_DEP_1)
	v_cmpx_ne_u32_e32 0xff, v5
	s_cbranch_execz .LBB323_738
; %bb.737:
	v_and_b32_e32 v2, 0x400000, v3
	v_and_or_b32 v5, 0x3fffff, v3, v5
	s_delay_alu instid0(VALU_DEP_2) | instskip(NEXT) | instid1(VALU_DEP_2)
	v_cmp_ne_u32_e32 vcc_lo, 0, v2
	v_cmp_ne_u32_e64 s1, 0, v5
	v_lshrrev_b32_e32 v2, 23, v3
	s_and_b32 s1, vcc_lo, s1
	s_delay_alu instid0(SALU_CYCLE_1) | instskip(NEXT) | instid1(VALU_DEP_1)
	v_cndmask_b32_e64 v3, 0, 1, s1
	v_add_nc_u32_e32 v2, v2, v3
.LBB323_738:
	s_or_b32 exec_lo, exec_lo, s25
.LBB323_739:
	s_mov_b32 s1, 0
.LBB323_740:
	s_delay_alu instid0(SALU_CYCLE_1)
	s_and_not1_b32 vcc_lo, exec_lo, s1
	s_cbranch_vccnz .LBB323_744
; %bb.741:
	s_wait_loadcnt 0x0
	global_load_u16 v2, v[0:1], off
	s_mov_b32 s25, exec_lo
	s_wait_loadcnt 0x0
	v_cvt_f32_f16_e32 v3, v2
	v_mov_b32_e32 v2, 0xff
	s_delay_alu instid0(VALU_DEP_2) | instskip(SKIP_1) | instid1(VALU_DEP_1)
	v_bfe_u32 v5, v3, 23, 8
	s_wait_xcnt 0x0
	v_cmpx_ne_u32_e32 0xff, v5
	s_cbranch_execz .LBB323_743
; %bb.742:
	v_and_b32_e32 v2, 0x400000, v3
	v_and_or_b32 v5, 0x3fffff, v3, v5
	s_delay_alu instid0(VALU_DEP_2) | instskip(NEXT) | instid1(VALU_DEP_2)
	v_cmp_ne_u32_e32 vcc_lo, 0, v2
	v_cmp_ne_u32_e64 s1, 0, v5
	v_lshrrev_b32_e32 v2, 23, v3
	s_and_b32 s1, vcc_lo, s1
	s_delay_alu instid0(SALU_CYCLE_1) | instskip(NEXT) | instid1(VALU_DEP_1)
	v_cndmask_b32_e64 v3, 0, 1, s1
	v_add_nc_u32_e32 v2, v2, v3
.LBB323_743:
	s_or_b32 exec_lo, exec_lo, s25
.LBB323_744:
	s_mov_b32 s1, 0
.LBB323_745:
	s_delay_alu instid0(SALU_CYCLE_1)
	s_and_not1_b32 vcc_lo, exec_lo, s1
	s_cbranch_vccnz .LBB323_775
; %bb.746:
	s_cmp_lt_i32 s2, 2
	s_cbranch_scc1 .LBB323_752
; %bb.747:
	s_cmp_lt_i32 s2, 3
	s_cbranch_scc1 .LBB323_753
; %bb.748:
	s_cmp_gt_i32 s2, 3
	s_cbranch_scc0 .LBB323_754
; %bb.749:
	s_wait_loadcnt 0x0
	global_load_b64 v[2:3], v[0:1], off
	s_mov_b32 s25, exec_lo
	s_wait_loadcnt 0x0
	v_xor_b32_e32 v5, v2, v3
	v_cls_i32_e32 v6, v3
	s_delay_alu instid0(VALU_DEP_2) | instskip(NEXT) | instid1(VALU_DEP_1)
	v_ashrrev_i32_e32 v5, 31, v5
	v_add_nc_u32_e32 v5, 32, v5
	s_delay_alu instid0(VALU_DEP_1) | instskip(NEXT) | instid1(VALU_DEP_1)
	v_add_min_u32_e64 v5, v6, -1, v5
	v_lshlrev_b64_e32 v[2:3], v5, v[2:3]
	s_delay_alu instid0(VALU_DEP_1) | instskip(NEXT) | instid1(VALU_DEP_1)
	v_min_u32_e32 v2, 1, v2
	v_dual_sub_nc_u32 v3, 32, v5 :: v_dual_bitop2_b32 v2, v3, v2 bitop3:0x54
	s_delay_alu instid0(VALU_DEP_1) | instskip(NEXT) | instid1(VALU_DEP_1)
	v_cvt_f32_i32_e32 v2, v2
	v_ldexp_f32 v3, v2, v3
	v_mov_b32_e32 v2, 0xff
	s_delay_alu instid0(VALU_DEP_2) | instskip(SKIP_1) | instid1(VALU_DEP_1)
	v_bfe_u32 v5, v3, 23, 8
	s_wait_xcnt 0x0
	v_cmpx_ne_u32_e32 0xff, v5
	s_cbranch_execz .LBB323_751
; %bb.750:
	v_and_b32_e32 v2, 0x400000, v3
	v_and_or_b32 v5, 0x3fffff, v3, v5
	s_delay_alu instid0(VALU_DEP_2) | instskip(NEXT) | instid1(VALU_DEP_2)
	v_cmp_ne_u32_e32 vcc_lo, 0, v2
	v_cmp_ne_u32_e64 s1, 0, v5
	v_lshrrev_b32_e32 v2, 23, v3
	s_and_b32 s1, vcc_lo, s1
	s_delay_alu instid0(SALU_CYCLE_1) | instskip(NEXT) | instid1(VALU_DEP_1)
	v_cndmask_b32_e64 v3, 0, 1, s1
	v_add_nc_u32_e32 v2, v2, v3
.LBB323_751:
	s_or_b32 exec_lo, exec_lo, s25
	s_mov_b32 s1, 0
	s_branch .LBB323_755
.LBB323_752:
	s_mov_b32 s1, -1
                                        ; implicit-def: $vgpr2
	s_branch .LBB323_765
.LBB323_753:
	s_mov_b32 s1, -1
                                        ; implicit-def: $vgpr2
	s_branch .LBB323_760
.LBB323_754:
	s_mov_b32 s1, -1
                                        ; implicit-def: $vgpr2
.LBB323_755:
	s_delay_alu instid0(SALU_CYCLE_1)
	s_and_not1_b32 vcc_lo, exec_lo, s1
	s_cbranch_vccnz .LBB323_759
; %bb.756:
	s_wait_loadcnt 0x0
	global_load_b32 v2, v[0:1], off
	s_mov_b32 s25, exec_lo
	s_wait_loadcnt 0x0
	v_cvt_f32_i32_e32 v3, v2
	v_mov_b32_e32 v2, 0xff
	s_delay_alu instid0(VALU_DEP_2) | instskip(SKIP_1) | instid1(VALU_DEP_1)
	v_bfe_u32 v5, v3, 23, 8
	s_wait_xcnt 0x0
	v_cmpx_ne_u32_e32 0xff, v5
	s_cbranch_execz .LBB323_758
; %bb.757:
	v_and_b32_e32 v2, 0x400000, v3
	v_and_or_b32 v5, 0x3fffff, v3, v5
	s_delay_alu instid0(VALU_DEP_2) | instskip(NEXT) | instid1(VALU_DEP_2)
	v_cmp_ne_u32_e32 vcc_lo, 0, v2
	v_cmp_ne_u32_e64 s1, 0, v5
	v_lshrrev_b32_e32 v2, 23, v3
	s_and_b32 s1, vcc_lo, s1
	s_delay_alu instid0(SALU_CYCLE_1) | instskip(NEXT) | instid1(VALU_DEP_1)
	v_cndmask_b32_e64 v3, 0, 1, s1
	v_add_nc_u32_e32 v2, v2, v3
.LBB323_758:
	s_or_b32 exec_lo, exec_lo, s25
.LBB323_759:
	s_mov_b32 s1, 0
.LBB323_760:
	s_delay_alu instid0(SALU_CYCLE_1)
	s_and_not1_b32 vcc_lo, exec_lo, s1
	s_cbranch_vccnz .LBB323_764
; %bb.761:
	s_wait_loadcnt 0x0
	global_load_i16 v2, v[0:1], off
	s_mov_b32 s25, exec_lo
	s_wait_loadcnt 0x0
	v_cvt_f32_i32_e32 v3, v2
	v_mov_b32_e32 v2, 0xff
	s_delay_alu instid0(VALU_DEP_2) | instskip(SKIP_1) | instid1(VALU_DEP_1)
	v_bfe_u32 v5, v3, 23, 8
	s_wait_xcnt 0x0
	v_cmpx_ne_u32_e32 0xff, v5
	s_cbranch_execz .LBB323_763
; %bb.762:
	v_and_b32_e32 v2, 0x400000, v3
	v_and_or_b32 v5, 0x3fffff, v3, v5
	s_delay_alu instid0(VALU_DEP_2) | instskip(NEXT) | instid1(VALU_DEP_2)
	v_cmp_ne_u32_e32 vcc_lo, 0, v2
	v_cmp_ne_u32_e64 s1, 0, v5
	v_lshrrev_b32_e32 v2, 23, v3
	s_and_b32 s1, vcc_lo, s1
	s_delay_alu instid0(SALU_CYCLE_1) | instskip(NEXT) | instid1(VALU_DEP_1)
	v_cndmask_b32_e64 v3, 0, 1, s1
	v_add_nc_u32_e32 v2, v2, v3
.LBB323_763:
	s_or_b32 exec_lo, exec_lo, s25
.LBB323_764:
	s_mov_b32 s1, 0
.LBB323_765:
	s_delay_alu instid0(SALU_CYCLE_1)
	s_and_not1_b32 vcc_lo, exec_lo, s1
	s_cbranch_vccnz .LBB323_775
; %bb.766:
	s_cmp_gt_i32 s2, 0
	s_cbranch_scc0 .LBB323_770
; %bb.767:
	s_wait_loadcnt 0x0
	global_load_i8 v2, v[0:1], off
	s_mov_b32 s2, exec_lo
	s_wait_loadcnt 0x0
	v_cvt_f32_i32_e32 v3, v2
	v_mov_b32_e32 v2, 0xff
	s_delay_alu instid0(VALU_DEP_2) | instskip(SKIP_1) | instid1(VALU_DEP_1)
	v_bfe_u32 v5, v3, 23, 8
	s_wait_xcnt 0x0
	v_cmpx_ne_u32_e32 0xff, v5
	s_cbranch_execz .LBB323_769
; %bb.768:
	v_and_b32_e32 v2, 0x400000, v3
	v_and_or_b32 v5, 0x3fffff, v3, v5
	s_delay_alu instid0(VALU_DEP_2) | instskip(NEXT) | instid1(VALU_DEP_2)
	v_cmp_ne_u32_e32 vcc_lo, 0, v2
	v_cmp_ne_u32_e64 s1, 0, v5
	v_lshrrev_b32_e32 v2, 23, v3
	s_and_b32 s1, vcc_lo, s1
	s_delay_alu instid0(SALU_CYCLE_1) | instskip(NEXT) | instid1(VALU_DEP_1)
	v_cndmask_b32_e64 v3, 0, 1, s1
	v_add_nc_u32_e32 v2, v2, v3
.LBB323_769:
	s_or_b32 exec_lo, exec_lo, s2
	s_mov_b32 s1, 0
	s_branch .LBB323_771
.LBB323_770:
	s_mov_b32 s1, -1
                                        ; implicit-def: $vgpr2
.LBB323_771:
	s_delay_alu instid0(SALU_CYCLE_1)
	s_and_not1_b32 vcc_lo, exec_lo, s1
	s_cbranch_vccnz .LBB323_775
; %bb.772:
	global_load_u8 v0, v[0:1], off
	s_wait_loadcnt 0x1
	v_mov_b32_e32 v2, 0xff
	s_mov_b32 s2, exec_lo
	s_wait_loadcnt 0x0
	v_cvt_f32_ubyte0_e32 v1, v0
	s_delay_alu instid0(VALU_DEP_1) | instskip(NEXT) | instid1(VALU_DEP_1)
	v_lshrrev_b32_e32 v0, 23, v1
	v_cmpx_ne_u32_e32 0xff, v0
; %bb.773:
	v_and_b32_e32 v2, 0x400000, v1
	v_and_or_b32 v1, 0x3fffff, v1, v0
	s_delay_alu instid0(VALU_DEP_2) | instskip(NEXT) | instid1(VALU_DEP_2)
	v_cmp_ne_u32_e32 vcc_lo, 0, v2
	v_cmp_ne_u32_e64 s1, 0, v1
	s_and_b32 s1, vcc_lo, s1
	s_delay_alu instid0(SALU_CYCLE_1) | instskip(NEXT) | instid1(VALU_DEP_1)
	v_cndmask_b32_e64 v1, 0, 1, s1
	v_add_nc_u32_e32 v2, v0, v1
; %bb.774:
	s_or_b32 exec_lo, exec_lo, s2
.LBB323_775:
	s_mov_b32 s1, -1
.LBB323_776:
	s_delay_alu instid0(SALU_CYCLE_1)
	s_and_not1_b32 vcc_lo, exec_lo, s1
	s_cbranch_vccnz .LBB323_784
; %bb.777:
	s_wait_loadcnt 0x0
	v_and_b32_e32 v0, 0xff, v2
	s_and_b32 s25, s3, 0xff
	s_mov_b32 s27, 0
	s_mov_b32 s26, -1
	s_cmp_lt_i32 s25, 11
	v_lshlrev_b32_e32 v1, 23, v0
	v_cmp_ne_u16_e32 vcc_lo, 0xff, v0
	s_mov_b32 s2, s21
	s_delay_alu instid0(VALU_DEP_2) | instskip(SKIP_2) | instid1(VALU_DEP_3)
	v_cndmask_b32_e32 v1, 0x7f800001, v1, vcc_lo
	v_cmp_ne_u16_e32 vcc_lo, 0, v0
	v_mul_lo_u32 v0, v4, s8
	v_cndmask_b32_e32 v1, 0x400000, v1, vcc_lo
	s_delay_alu instid0(VALU_DEP_1) | instskip(SKIP_3) | instid1(VALU_DEP_1)
	v_cmp_eq_f32_e32 vcc_lo, s15, v1
	v_cndmask_b32_e64 v2, 0, 1, vcc_lo
	v_cmp_neq_f32_e32 vcc_lo, s15, v1
	v_cndmask_b32_e64 v1, 0, 1, vcc_lo
	v_dual_cndmask_b32 v2, v1, v2, s0 :: v_dual_ashrrev_i32 v1, 31, v0
	s_delay_alu instid0(VALU_DEP_1) | instskip(NEXT) | instid1(VALU_DEP_2)
	v_and_b32_e32 v2, 1, v2
	v_add_nc_u64_e32 v[0:1], s[4:5], v[0:1]
	s_delay_alu instid0(VALU_DEP_2)
	v_cmp_eq_u32_e64 s1, 1, v2
	s_cbranch_scc1 .LBB323_785
; %bb.778:
	s_and_b32 s26, 0xffff, s25
	s_delay_alu instid0(SALU_CYCLE_1)
	s_cmp_gt_i32 s26, 25
	s_cbranch_scc0 .LBB323_826
; %bb.779:
	s_cmp_gt_i32 s26, 28
	s_cbranch_scc0 .LBB323_827
; %bb.780:
	s_cmp_gt_i32 s26, 43
	s_cbranch_scc0 .LBB323_828
; %bb.781:
	s_cmp_gt_i32 s26, 45
	s_cbranch_scc0 .LBB323_829
; %bb.782:
	s_mov_b32 s28, 0
	s_mov_b32 s2, -1
	s_cmp_eq_u32 s26, 46
	s_cbranch_scc0 .LBB323_830
; %bb.783:
	v_cndmask_b32_e64 v2, 0, 1.0, s1
	s_mov_b32 s27, -1
	s_mov_b32 s2, 0
	s_delay_alu instid0(VALU_DEP_1) | instskip(NEXT) | instid1(VALU_DEP_1)
	v_bfe_u32 v3, v2, 16, 1
	v_add3_u32 v2, v2, v3, 0x7fff
	s_delay_alu instid0(VALU_DEP_1)
	v_lshrrev_b32_e32 v2, 16, v2
	global_store_b32 v[0:1], v2, off
	s_branch .LBB323_830
.LBB323_784:
	s_mov_b32 s1, 0
	s_mov_b32 s2, s21
	s_branch .LBB323_825
.LBB323_785:
	s_and_b32 vcc_lo, exec_lo, s26
	s_cbranch_vccz .LBB323_899
; %bb.786:
	s_and_b32 s25, 0xffff, s25
	s_mov_b32 s26, -1
	s_cmp_lt_i32 s25, 5
	s_cbranch_scc1 .LBB323_807
; %bb.787:
	s_cmp_lt_i32 s25, 8
	s_cbranch_scc1 .LBB323_797
; %bb.788:
	;; [unrolled: 3-line block ×3, first 2 shown]
	s_cmp_gt_i32 s25, 9
	s_cbranch_scc0 .LBB323_791
; %bb.790:
	s_wait_xcnt 0x0
	v_cndmask_b32_e64 v2, 0, 1, s1
	v_mov_b32_e32 v8, 0
	s_mov_b32 s26, 0
	s_delay_alu instid0(VALU_DEP_2) | instskip(NEXT) | instid1(VALU_DEP_2)
	v_cvt_f64_u32_e32 v[6:7], v2
	v_mov_b32_e32 v9, v8
	global_store_b128 v[0:1], v[6:9], off
.LBB323_791:
	s_and_not1_b32 vcc_lo, exec_lo, s26
	s_cbranch_vccnz .LBB323_793
; %bb.792:
	s_wait_xcnt 0x0
	v_cndmask_b32_e64 v2, 0, 1.0, s1
	v_mov_b32_e32 v3, 0
	global_store_b64 v[0:1], v[2:3], off
.LBB323_793:
	s_mov_b32 s26, 0
.LBB323_794:
	s_delay_alu instid0(SALU_CYCLE_1)
	s_and_not1_b32 vcc_lo, exec_lo, s26
	s_cbranch_vccnz .LBB323_796
; %bb.795:
	s_wait_xcnt 0x0
	v_cndmask_b32_e64 v2, 0, 1.0, s1
	s_delay_alu instid0(VALU_DEP_1) | instskip(NEXT) | instid1(VALU_DEP_1)
	v_cvt_f16_f32_e32 v2, v2
	v_and_b32_e32 v2, 0xffff, v2
	global_store_b32 v[0:1], v2, off
.LBB323_796:
	s_mov_b32 s26, 0
.LBB323_797:
	s_delay_alu instid0(SALU_CYCLE_1)
	s_and_not1_b32 vcc_lo, exec_lo, s26
	s_cbranch_vccnz .LBB323_806
; %bb.798:
	s_cmp_lt_i32 s25, 6
	s_mov_b32 s26, -1
	s_cbranch_scc1 .LBB323_804
; %bb.799:
	s_cmp_gt_i32 s25, 6
	s_cbranch_scc0 .LBB323_801
; %bb.800:
	s_wait_xcnt 0x0
	v_cndmask_b32_e64 v2, 0, 1, s1
	s_mov_b32 s26, 0
	s_delay_alu instid0(VALU_DEP_1)
	v_cvt_f64_u32_e32 v[2:3], v2
	global_store_b64 v[0:1], v[2:3], off
.LBB323_801:
	s_and_not1_b32 vcc_lo, exec_lo, s26
	s_cbranch_vccnz .LBB323_803
; %bb.802:
	s_wait_xcnt 0x0
	v_cndmask_b32_e64 v2, 0, 1.0, s1
	global_store_b32 v[0:1], v2, off
.LBB323_803:
	s_mov_b32 s26, 0
.LBB323_804:
	s_delay_alu instid0(SALU_CYCLE_1)
	s_and_not1_b32 vcc_lo, exec_lo, s26
	s_cbranch_vccnz .LBB323_806
; %bb.805:
	s_wait_xcnt 0x0
	v_cndmask_b32_e64 v2, 0, 1.0, s1
	s_delay_alu instid0(VALU_DEP_1)
	v_cvt_f16_f32_e32 v2, v2
	global_store_b16 v[0:1], v2, off
.LBB323_806:
	s_mov_b32 s26, 0
.LBB323_807:
	s_delay_alu instid0(SALU_CYCLE_1)
	s_and_not1_b32 vcc_lo, exec_lo, s26
	s_cbranch_vccnz .LBB323_823
; %bb.808:
	s_cmp_lt_i32 s25, 2
	s_mov_b32 s26, -1
	s_cbranch_scc1 .LBB323_818
; %bb.809:
	s_cmp_lt_i32 s25, 3
	s_cbranch_scc1 .LBB323_815
; %bb.810:
	s_cmp_gt_i32 s25, 3
	s_cbranch_scc0 .LBB323_812
; %bb.811:
	s_mov_b32 s26, 0
	s_wait_xcnt 0x0
	v_cndmask_b32_e64 v2, 0, 1, s1
	v_mov_b32_e32 v3, s26
	global_store_b64 v[0:1], v[2:3], off
.LBB323_812:
	s_and_not1_b32 vcc_lo, exec_lo, s26
	s_cbranch_vccnz .LBB323_814
; %bb.813:
	s_wait_xcnt 0x0
	v_cndmask_b32_e64 v2, 0, 1, s1
	global_store_b32 v[0:1], v2, off
.LBB323_814:
	s_mov_b32 s26, 0
.LBB323_815:
	s_delay_alu instid0(SALU_CYCLE_1)
	s_and_not1_b32 vcc_lo, exec_lo, s26
	s_cbranch_vccnz .LBB323_817
; %bb.816:
	s_wait_xcnt 0x0
	v_cndmask_b32_e64 v2, 0, 1, s1
	global_store_b16 v[0:1], v2, off
.LBB323_817:
	s_mov_b32 s26, 0
.LBB323_818:
	s_delay_alu instid0(SALU_CYCLE_1)
	s_and_not1_b32 vcc_lo, exec_lo, s26
	s_cbranch_vccnz .LBB323_823
; %bb.819:
	s_wait_xcnt 0x0
	v_cndmask_b32_e64 v2, 0, 1, s1
	s_cmp_gt_i32 s25, 0
	s_mov_b32 s1, -1
	s_cbranch_scc0 .LBB323_821
; %bb.820:
	s_mov_b32 s1, 0
	global_store_b8 v[0:1], v2, off
.LBB323_821:
	s_and_not1_b32 vcc_lo, exec_lo, s1
	s_cbranch_vccnz .LBB323_823
; %bb.822:
	global_store_b8 v[0:1], v2, off
.LBB323_823:
	s_branch .LBB323_900
.LBB323_824:
	s_mov_b32 s1, 0
.LBB323_825:
                                        ; implicit-def: $vgpr4
	s_branch .LBB323_901
.LBB323_826:
	s_mov_b32 s28, -1
	s_mov_b32 s2, s21
	s_branch .LBB323_857
.LBB323_827:
	s_mov_b32 s28, -1
	s_mov_b32 s2, s21
	s_branch .LBB323_840
.LBB323_828:
	s_mov_b32 s28, -1
	s_mov_b32 s2, s21
	s_branch .LBB323_836
.LBB323_829:
	s_mov_b32 s28, -1
	s_mov_b32 s2, s21
.LBB323_830:
	s_and_b32 vcc_lo, exec_lo, s28
	s_cbranch_vccz .LBB323_835
; %bb.831:
	s_cmp_eq_u32 s26, 44
	s_mov_b32 s2, -1
	s_cbranch_scc0 .LBB323_835
; %bb.832:
	v_cndmask_b32_e64 v5, 0, 1.0, s1
	s_mov_b32 s27, exec_lo
	s_wait_xcnt 0x0
	s_delay_alu instid0(VALU_DEP_1) | instskip(NEXT) | instid1(VALU_DEP_1)
	v_dual_mov_b32 v3, 0xff :: v_dual_lshrrev_b32 v2, 23, v5
	v_cmpx_ne_u32_e32 0xff, v2
; %bb.833:
	v_and_b32_e32 v3, 0x400000, v5
	v_and_or_b32 v5, 0x3fffff, v5, v2
	s_delay_alu instid0(VALU_DEP_2) | instskip(NEXT) | instid1(VALU_DEP_2)
	v_cmp_ne_u32_e32 vcc_lo, 0, v3
	v_cmp_ne_u32_e64 s2, 0, v5
	s_and_b32 s2, vcc_lo, s2
	s_delay_alu instid0(SALU_CYCLE_1) | instskip(NEXT) | instid1(VALU_DEP_1)
	v_cndmask_b32_e64 v3, 0, 1, s2
	v_add_nc_u32_e32 v3, v2, v3
; %bb.834:
	s_or_b32 exec_lo, exec_lo, s27
	s_mov_b32 s27, -1
	s_mov_b32 s2, 0
	global_store_b8 v[0:1], v3, off
.LBB323_835:
	s_mov_b32 s28, 0
.LBB323_836:
	s_delay_alu instid0(SALU_CYCLE_1)
	s_and_b32 vcc_lo, exec_lo, s28
	s_cbranch_vccz .LBB323_839
; %bb.837:
	s_cmp_eq_u32 s26, 29
	s_mov_b32 s2, -1
	s_cbranch_scc0 .LBB323_839
; %bb.838:
	s_mov_b32 s2, 0
	s_wait_xcnt 0x0
	v_cndmask_b32_e64 v2, 0, 1, s1
	v_mov_b32_e32 v3, s2
	s_mov_b32 s27, -1
	s_mov_b32 s28, 0
	global_store_b64 v[0:1], v[2:3], off
	s_branch .LBB323_840
.LBB323_839:
	s_mov_b32 s28, 0
.LBB323_840:
	s_delay_alu instid0(SALU_CYCLE_1)
	s_and_b32 vcc_lo, exec_lo, s28
	s_cbranch_vccz .LBB323_856
; %bb.841:
	s_cmp_lt_i32 s26, 27
	s_mov_b32 s27, -1
	s_cbranch_scc1 .LBB323_847
; %bb.842:
	s_cmp_gt_i32 s26, 27
	s_cbranch_scc0 .LBB323_844
; %bb.843:
	s_wait_xcnt 0x0
	v_cndmask_b32_e64 v2, 0, 1, s1
	s_mov_b32 s27, 0
	global_store_b32 v[0:1], v2, off
.LBB323_844:
	s_and_not1_b32 vcc_lo, exec_lo, s27
	s_cbranch_vccnz .LBB323_846
; %bb.845:
	s_wait_xcnt 0x0
	v_cndmask_b32_e64 v2, 0, 1, s1
	global_store_b16 v[0:1], v2, off
.LBB323_846:
	s_mov_b32 s27, 0
.LBB323_847:
	s_delay_alu instid0(SALU_CYCLE_1)
	s_and_not1_b32 vcc_lo, exec_lo, s27
	s_cbranch_vccnz .LBB323_855
; %bb.848:
	s_wait_xcnt 0x0
	v_cndmask_b32_e64 v3, 0, 1.0, s1
	v_mov_b32_e32 v5, 0x80
	s_mov_b32 s27, exec_lo
	s_delay_alu instid0(VALU_DEP_2)
	v_cmpx_gt_u32_e32 0x43800000, v3
	s_cbranch_execz .LBB323_854
; %bb.849:
	s_mov_b32 s28, 0
	s_mov_b32 s29, exec_lo
                                        ; implicit-def: $vgpr2
	v_cmpx_lt_u32_e32 0x3bffffff, v3
	s_xor_b32 s29, exec_lo, s29
	s_cbranch_execz .LBB323_917
; %bb.850:
	v_bfe_u32 v2, v3, 20, 1
	s_mov_b32 s28, exec_lo
	s_delay_alu instid0(VALU_DEP_1) | instskip(NEXT) | instid1(VALU_DEP_1)
	v_add3_u32 v2, v3, v2, 0x487ffff
                                        ; implicit-def: $vgpr3
	v_lshrrev_b32_e32 v2, 20, v2
	s_and_not1_saveexec_b32 s29, s29
	s_cbranch_execnz .LBB323_918
.LBB323_851:
	s_or_b32 exec_lo, exec_lo, s29
	v_mov_b32_e32 v5, 0
	s_and_saveexec_b32 s29, s28
.LBB323_852:
	v_mov_b32_e32 v5, v2
.LBB323_853:
	s_or_b32 exec_lo, exec_lo, s29
.LBB323_854:
	s_delay_alu instid0(SALU_CYCLE_1)
	s_or_b32 exec_lo, exec_lo, s27
	global_store_b8 v[0:1], v5, off
.LBB323_855:
	s_mov_b32 s27, -1
.LBB323_856:
	s_mov_b32 s28, 0
.LBB323_857:
	s_delay_alu instid0(SALU_CYCLE_1)
	s_and_b32 vcc_lo, exec_lo, s28
	s_cbranch_vccz .LBB323_898
; %bb.858:
	s_cmp_gt_i32 s26, 22
	s_mov_b32 s28, -1
	s_cbranch_scc0 .LBB323_890
; %bb.859:
	s_cmp_lt_i32 s26, 24
	s_mov_b32 s27, -1
	s_cbranch_scc1 .LBB323_879
; %bb.860:
	s_cmp_gt_i32 s26, 24
	s_cbranch_scc0 .LBB323_868
; %bb.861:
	s_wait_xcnt 0x0
	v_cndmask_b32_e64 v3, 0, 1.0, s1
	v_mov_b32_e32 v5, 0x80
	s_mov_b32 s27, exec_lo
	s_delay_alu instid0(VALU_DEP_2)
	v_cmpx_gt_u32_e32 0x47800000, v3
	s_cbranch_execz .LBB323_867
; %bb.862:
	s_mov_b32 s28, 0
	s_mov_b32 s29, exec_lo
                                        ; implicit-def: $vgpr2
	v_cmpx_lt_u32_e32 0x37ffffff, v3
	s_xor_b32 s29, exec_lo, s29
	s_cbranch_execz .LBB323_920
; %bb.863:
	v_bfe_u32 v2, v3, 21, 1
	s_mov_b32 s28, exec_lo
	s_delay_alu instid0(VALU_DEP_1) | instskip(NEXT) | instid1(VALU_DEP_1)
	v_add3_u32 v2, v3, v2, 0x88fffff
                                        ; implicit-def: $vgpr3
	v_lshrrev_b32_e32 v2, 21, v2
	s_and_not1_saveexec_b32 s29, s29
	s_cbranch_execnz .LBB323_921
.LBB323_864:
	s_or_b32 exec_lo, exec_lo, s29
	v_mov_b32_e32 v5, 0
	s_and_saveexec_b32 s29, s28
.LBB323_865:
	v_mov_b32_e32 v5, v2
.LBB323_866:
	s_or_b32 exec_lo, exec_lo, s29
.LBB323_867:
	s_delay_alu instid0(SALU_CYCLE_1)
	s_or_b32 exec_lo, exec_lo, s27
	s_mov_b32 s27, 0
	global_store_b8 v[0:1], v5, off
.LBB323_868:
	s_and_b32 vcc_lo, exec_lo, s27
	s_cbranch_vccz .LBB323_878
; %bb.869:
	s_wait_xcnt 0x0
	v_cndmask_b32_e64 v3, 0, 1.0, s1
	s_mov_b32 s27, exec_lo
                                        ; implicit-def: $vgpr2
	s_delay_alu instid0(VALU_DEP_1)
	v_cmpx_gt_u32_e32 0x43f00000, v3
	s_xor_b32 s27, exec_lo, s27
	s_cbranch_execz .LBB323_875
; %bb.870:
	s_mov_b32 s28, exec_lo
                                        ; implicit-def: $vgpr2
	v_cmpx_lt_u32_e32 0x3c7fffff, v3
	s_xor_b32 s28, exec_lo, s28
; %bb.871:
	v_bfe_u32 v2, v3, 20, 1
	s_delay_alu instid0(VALU_DEP_1) | instskip(NEXT) | instid1(VALU_DEP_1)
	v_add3_u32 v2, v3, v2, 0x407ffff
	v_and_b32_e32 v3, 0xff00000, v2
	v_lshrrev_b32_e32 v2, 20, v2
	s_delay_alu instid0(VALU_DEP_2) | instskip(NEXT) | instid1(VALU_DEP_2)
	v_cmp_ne_u32_e32 vcc_lo, 0x7f00000, v3
                                        ; implicit-def: $vgpr3
	v_cndmask_b32_e32 v2, 0x7e, v2, vcc_lo
; %bb.872:
	s_and_not1_saveexec_b32 s28, s28
; %bb.873:
	v_add_f32_e32 v2, 0x46800000, v3
; %bb.874:
	s_or_b32 exec_lo, exec_lo, s28
                                        ; implicit-def: $vgpr3
.LBB323_875:
	s_and_not1_saveexec_b32 s27, s27
; %bb.876:
	v_mov_b32_e32 v2, 0x7f
	v_cmp_lt_u32_e32 vcc_lo, 0x7f800000, v3
	s_delay_alu instid0(VALU_DEP_2)
	v_cndmask_b32_e32 v2, 0x7e, v2, vcc_lo
; %bb.877:
	s_or_b32 exec_lo, exec_lo, s27
	global_store_b8 v[0:1], v2, off
.LBB323_878:
	s_mov_b32 s27, 0
.LBB323_879:
	s_delay_alu instid0(SALU_CYCLE_1)
	s_and_not1_b32 vcc_lo, exec_lo, s27
	s_cbranch_vccnz .LBB323_889
; %bb.880:
	s_wait_xcnt 0x0
	v_cndmask_b32_e64 v3, 0, 1.0, s1
	s_mov_b32 s27, exec_lo
                                        ; implicit-def: $vgpr2
	s_delay_alu instid0(VALU_DEP_1)
	v_cmpx_gt_u32_e32 0x47800000, v3
	s_xor_b32 s27, exec_lo, s27
	s_cbranch_execz .LBB323_886
; %bb.881:
	s_mov_b32 s28, exec_lo
                                        ; implicit-def: $vgpr2
	v_cmpx_lt_u32_e32 0x387fffff, v3
	s_xor_b32 s28, exec_lo, s28
; %bb.882:
	v_bfe_u32 v2, v3, 21, 1
	s_delay_alu instid0(VALU_DEP_1) | instskip(NEXT) | instid1(VALU_DEP_1)
	v_add3_u32 v2, v3, v2, 0x80fffff
                                        ; implicit-def: $vgpr3
	v_lshrrev_b32_e32 v2, 21, v2
; %bb.883:
	s_and_not1_saveexec_b32 s28, s28
; %bb.884:
	v_add_f32_e32 v2, 0x43000000, v3
; %bb.885:
	s_or_b32 exec_lo, exec_lo, s28
                                        ; implicit-def: $vgpr3
.LBB323_886:
	s_and_not1_saveexec_b32 s27, s27
; %bb.887:
	v_mov_b32_e32 v2, 0x7f
	v_cmp_lt_u32_e32 vcc_lo, 0x7f800000, v3
	s_delay_alu instid0(VALU_DEP_2)
	v_cndmask_b32_e32 v2, 0x7c, v2, vcc_lo
; %bb.888:
	s_or_b32 exec_lo, exec_lo, s27
	global_store_b8 v[0:1], v2, off
.LBB323_889:
	s_mov_b32 s28, 0
	s_mov_b32 s27, -1
.LBB323_890:
	s_and_not1_b32 vcc_lo, exec_lo, s28
	s_cbranch_vccnz .LBB323_898
; %bb.891:
	s_cmp_gt_i32 s26, 14
	s_mov_b32 s28, -1
	s_cbranch_scc0 .LBB323_895
; %bb.892:
	s_cmp_eq_u32 s26, 15
	s_mov_b32 s2, -1
	s_cbranch_scc0 .LBB323_894
; %bb.893:
	s_wait_xcnt 0x0
	v_cndmask_b32_e64 v2, 0, 1.0, s1
	s_mov_b32 s27, -1
	s_mov_b32 s2, 0
	s_delay_alu instid0(VALU_DEP_1) | instskip(NEXT) | instid1(VALU_DEP_1)
	v_bfe_u32 v3, v2, 16, 1
	v_add3_u32 v2, v2, v3, 0x7fff
	global_store_d16_hi_b16 v[0:1], v2, off
.LBB323_894:
	s_mov_b32 s28, 0
.LBB323_895:
	s_delay_alu instid0(SALU_CYCLE_1)
	s_and_b32 vcc_lo, exec_lo, s28
	s_cbranch_vccz .LBB323_898
; %bb.896:
	s_cmp_eq_u32 s26, 11
	s_mov_b32 s2, -1
	s_cbranch_scc0 .LBB323_898
; %bb.897:
	s_wait_xcnt 0x0
	v_cndmask_b32_e64 v2, 0, 1, s1
	s_mov_b32 s27, -1
	s_mov_b32 s2, 0
	global_store_b8 v[0:1], v2, off
.LBB323_898:
.LBB323_899:
	s_and_not1_b32 vcc_lo, exec_lo, s27
	s_cbranch_vccnz .LBB323_824
.LBB323_900:
	v_add_nc_u32_e32 v4, 0x80, v4
	s_mov_b32 s1, -1
.LBB323_901:
	s_and_not1_b32 s25, s21, exec_lo
	s_and_b32 s2, s2, exec_lo
	s_and_not1_b32 s26, s20, exec_lo
	s_and_b32 s27, s24, exec_lo
	s_or_b32 s24, s25, s2
	s_or_b32 s2, s26, s27
	s_or_not1_b32 s27, s1, exec_lo
.LBB323_902:
	s_wait_xcnt 0x0
	s_or_b32 exec_lo, exec_lo, s23
	s_mov_b32 s1, 0
	s_mov_b32 s25, 0
	;; [unrolled: 1-line block ×3, first 2 shown]
                                        ; implicit-def: $vgpr0_vgpr1
                                        ; implicit-def: $vgpr2
	s_and_saveexec_b32 s23, s27
	s_cbranch_execz .LBB323_1005
; %bb.903:
	v_cmp_gt_i32_e32 vcc_lo, s16, v4
	s_mov_b32 s27, s2
	s_mov_b32 s28, 0
                                        ; implicit-def: $vgpr0_vgpr1
                                        ; implicit-def: $vgpr2
	s_and_saveexec_b32 s16, vcc_lo
	s_cbranch_execz .LBB323_1004
; %bb.904:
	v_mul_lo_u32 v0, v4, s9
	s_and_b32 s25, 0xffff, s13
	s_delay_alu instid0(SALU_CYCLE_1) | instskip(NEXT) | instid1(VALU_DEP_1)
	s_cmp_lt_i32 s25, 11
	v_ashrrev_i32_e32 v1, 31, v0
	s_delay_alu instid0(VALU_DEP_1)
	v_add_nc_u64_e32 v[0:1], s[6:7], v[0:1]
	s_cbranch_scc1 .LBB323_913
; %bb.905:
	s_cmp_gt_i32 s25, 25
	s_mov_b32 s27, 0
	s_cbranch_scc0 .LBB323_914
; %bb.906:
	s_cmp_gt_i32 s25, 28
	s_cbranch_scc0 .LBB323_915
; %bb.907:
	s_cmp_gt_i32 s25, 43
	;; [unrolled: 3-line block ×3, first 2 shown]
	s_cbranch_scc0 .LBB323_919
; %bb.909:
	s_cmp_eq_u32 s25, 46
	s_cbranch_scc0 .LBB323_922
; %bb.910:
	global_load_b32 v3, v[0:1], off
	s_mov_b32 s26, exec_lo
	s_wait_loadcnt 0x0
	v_dual_mov_b32 v2, 0xff :: v_dual_lshlrev_b32 v5, 16, v3
	s_delay_alu instid0(VALU_DEP_1) | instskip(SKIP_1) | instid1(VALU_DEP_1)
	v_bfe_u32 v6, v5, 23, 8
	s_wait_xcnt 0x0
	v_cmpx_ne_u32_e32 0xff, v6
	s_cbranch_execz .LBB323_912
; %bb.911:
	v_and_b32_e32 v2, 64, v3
	v_and_or_b32 v5, 0x3f0000, v5, v6
	s_delay_alu instid0(VALU_DEP_2) | instskip(NEXT) | instid1(VALU_DEP_2)
	v_cmp_ne_u32_e32 vcc_lo, 0, v2
	v_cmp_ne_u32_e64 s1, 0, v5
	v_bfe_u32 v2, v3, 7, 9
	s_and_b32 s1, vcc_lo, s1
	s_delay_alu instid0(SALU_CYCLE_1) | instskip(NEXT) | instid1(VALU_DEP_1)
	v_cndmask_b32_e64 v3, 0, 1, s1
	v_add_nc_u32_e32 v2, v2, v3
.LBB323_912:
	s_or_b32 exec_lo, exec_lo, s26
	s_mov_b32 s26, 0
	s_mov_b32 s1, -1
	s_branch .LBB323_924
.LBB323_913:
	s_mov_b32 s25, -1
	s_mov_b32 s27, 0
	s_mov_b32 s26, s2
                                        ; implicit-def: $vgpr2
	s_branch .LBB323_1003
.LBB323_914:
	s_mov_b32 s28, -1
	s_mov_b32 s26, s2
                                        ; implicit-def: $vgpr2
	s_branch .LBB323_963
.LBB323_915:
	s_mov_b32 s28, -1
	s_mov_b32 s26, s2
                                        ; implicit-def: $vgpr2
	s_branch .LBB323_936
.LBB323_916:
	s_mov_b32 s28, -1
	s_mov_b32 s26, s2
                                        ; implicit-def: $vgpr2
	s_branch .LBB323_929
.LBB323_917:
	s_and_not1_saveexec_b32 s29, s29
	s_cbranch_execz .LBB323_851
.LBB323_918:
	v_add_f32_e32 v2, 0x46000000, v3
	s_and_not1_b32 s28, s28, exec_lo
	s_delay_alu instid0(VALU_DEP_1) | instskip(NEXT) | instid1(VALU_DEP_1)
	v_and_b32_e32 v2, 0xff, v2
	v_cmp_ne_u32_e32 vcc_lo, 0, v2
	s_and_b32 s30, vcc_lo, exec_lo
	s_delay_alu instid0(SALU_CYCLE_1)
	s_or_b32 s28, s28, s30
	s_or_b32 exec_lo, exec_lo, s29
	v_mov_b32_e32 v5, 0
	s_and_saveexec_b32 s29, s28
	s_cbranch_execnz .LBB323_852
	s_branch .LBB323_853
.LBB323_919:
	s_mov_b32 s28, -1
	s_mov_b32 s26, s2
	s_branch .LBB323_923
.LBB323_920:
	s_and_not1_saveexec_b32 s29, s29
	s_cbranch_execz .LBB323_864
.LBB323_921:
	v_add_f32_e32 v2, 0x42800000, v3
	s_and_not1_b32 s28, s28, exec_lo
	s_delay_alu instid0(VALU_DEP_1) | instskip(NEXT) | instid1(VALU_DEP_1)
	v_and_b32_e32 v2, 0xff, v2
	v_cmp_ne_u32_e32 vcc_lo, 0, v2
	s_and_b32 s30, vcc_lo, exec_lo
	s_delay_alu instid0(SALU_CYCLE_1)
	s_or_b32 s28, s28, s30
	s_or_b32 exec_lo, exec_lo, s29
	v_mov_b32_e32 v5, 0
	s_and_saveexec_b32 s29, s28
	s_cbranch_execnz .LBB323_865
	s_branch .LBB323_866
.LBB323_922:
	s_mov_b32 s26, -1
.LBB323_923:
                                        ; implicit-def: $vgpr2
.LBB323_924:
	s_and_b32 vcc_lo, exec_lo, s28
	s_cbranch_vccz .LBB323_928
; %bb.925:
	s_cmp_eq_u32 s25, 44
	s_cbranch_scc0 .LBB323_927
; %bb.926:
	s_wait_loadcnt 0x0
	global_load_u8 v2, v[0:1], off
	s_mov_b32 s26, 0
	s_mov_b32 s1, -1
	s_branch .LBB323_928
.LBB323_927:
	s_mov_b32 s26, -1
                                        ; implicit-def: $vgpr2
.LBB323_928:
	s_mov_b32 s28, 0
.LBB323_929:
	s_delay_alu instid0(SALU_CYCLE_1)
	s_and_b32 vcc_lo, exec_lo, s28
	s_cbranch_vccz .LBB323_935
; %bb.930:
	s_cmp_eq_u32 s25, 29
	s_cbranch_scc0 .LBB323_934
; %bb.931:
	s_wait_loadcnt 0x0
	global_load_b64 v[2:3], v[0:1], off
	s_mov_b32 s26, exec_lo
	s_wait_loadcnt 0x0
	v_clz_i32_u32_e32 v5, v3
	s_delay_alu instid0(VALU_DEP_1) | instskip(NEXT) | instid1(VALU_DEP_1)
	v_min_u32_e32 v5, 32, v5
	v_lshlrev_b64_e32 v[2:3], v5, v[2:3]
	s_delay_alu instid0(VALU_DEP_1) | instskip(NEXT) | instid1(VALU_DEP_1)
	v_min_u32_e32 v2, 1, v2
	v_dual_sub_nc_u32 v3, 32, v5 :: v_dual_bitop2_b32 v2, v3, v2 bitop3:0x54
	s_delay_alu instid0(VALU_DEP_1) | instskip(NEXT) | instid1(VALU_DEP_1)
	v_cvt_f32_u32_e32 v2, v2
	v_ldexp_f32 v5, v2, v3
	s_delay_alu instid0(VALU_DEP_1) | instskip(SKIP_1) | instid1(VALU_DEP_1)
	v_dual_mov_b32 v2, 0xff :: v_dual_lshrrev_b32 v3, 23, v5
	s_wait_xcnt 0x0
	v_cmpx_ne_u32_e32 0xff, v3
; %bb.932:
	v_and_b32_e32 v2, 0x400000, v5
	v_and_or_b32 v5, 0x3fffff, v5, v3
	s_delay_alu instid0(VALU_DEP_2) | instskip(NEXT) | instid1(VALU_DEP_2)
	v_cmp_ne_u32_e32 vcc_lo, 0, v2
	v_cmp_ne_u32_e64 s1, 0, v5
	s_and_b32 s1, vcc_lo, s1
	s_delay_alu instid0(SALU_CYCLE_1) | instskip(NEXT) | instid1(VALU_DEP_1)
	v_cndmask_b32_e64 v2, 0, 1, s1
	v_add_nc_u32_e32 v2, v3, v2
; %bb.933:
	s_or_b32 exec_lo, exec_lo, s26
	s_mov_b32 s26, 0
	s_mov_b32 s1, -1
	s_branch .LBB323_935
.LBB323_934:
	s_mov_b32 s26, -1
                                        ; implicit-def: $vgpr2
.LBB323_935:
	s_mov_b32 s28, 0
.LBB323_936:
	s_delay_alu instid0(SALU_CYCLE_1)
	s_and_b32 vcc_lo, exec_lo, s28
	s_cbranch_vccz .LBB323_962
; %bb.937:
	s_cmp_lt_i32 s25, 27
	s_cbranch_scc1 .LBB323_942
; %bb.938:
	s_cmp_gt_i32 s25, 27
	s_cbranch_scc0 .LBB323_943
; %bb.939:
	s_wait_loadcnt 0x0
	global_load_b32 v2, v[0:1], off
	s_mov_b32 s28, exec_lo
	s_wait_loadcnt 0x0
	v_cvt_f32_u32_e32 v5, v2
	s_delay_alu instid0(VALU_DEP_1) | instskip(SKIP_1) | instid1(VALU_DEP_1)
	v_dual_mov_b32 v2, 0xff :: v_dual_lshrrev_b32 v3, 23, v5
	s_wait_xcnt 0x0
	v_cmpx_ne_u32_e32 0xff, v3
; %bb.940:
	v_and_b32_e32 v2, 0x400000, v5
	v_and_or_b32 v5, 0x3fffff, v5, v3
	s_delay_alu instid0(VALU_DEP_2) | instskip(NEXT) | instid1(VALU_DEP_2)
	v_cmp_ne_u32_e32 vcc_lo, 0, v2
	v_cmp_ne_u32_e64 s1, 0, v5
	s_and_b32 s1, vcc_lo, s1
	s_delay_alu instid0(SALU_CYCLE_1) | instskip(NEXT) | instid1(VALU_DEP_1)
	v_cndmask_b32_e64 v2, 0, 1, s1
	v_add_nc_u32_e32 v2, v3, v2
; %bb.941:
	s_or_b32 exec_lo, exec_lo, s28
	s_mov_b32 s1, 0
	s_branch .LBB323_944
.LBB323_942:
	s_mov_b32 s1, -1
                                        ; implicit-def: $vgpr2
	s_branch .LBB323_949
.LBB323_943:
	s_mov_b32 s1, -1
                                        ; implicit-def: $vgpr2
.LBB323_944:
	s_delay_alu instid0(SALU_CYCLE_1)
	s_and_not1_b32 vcc_lo, exec_lo, s1
	s_cbranch_vccnz .LBB323_948
; %bb.945:
	s_wait_loadcnt 0x0
	global_load_u16 v2, v[0:1], off
	s_mov_b32 s28, exec_lo
	s_wait_loadcnt 0x0
	v_cvt_f32_u32_e32 v5, v2
	s_delay_alu instid0(VALU_DEP_1) | instskip(SKIP_1) | instid1(VALU_DEP_1)
	v_dual_mov_b32 v2, 0xff :: v_dual_lshrrev_b32 v3, 23, v5
	s_wait_xcnt 0x0
	v_cmpx_ne_u32_e32 0xff, v3
; %bb.946:
	v_and_b32_e32 v2, 0x400000, v5
	v_and_or_b32 v5, 0x3fffff, v5, v3
	s_delay_alu instid0(VALU_DEP_2) | instskip(NEXT) | instid1(VALU_DEP_2)
	v_cmp_ne_u32_e32 vcc_lo, 0, v2
	v_cmp_ne_u32_e64 s1, 0, v5
	s_and_b32 s1, vcc_lo, s1
	s_delay_alu instid0(SALU_CYCLE_1) | instskip(NEXT) | instid1(VALU_DEP_1)
	v_cndmask_b32_e64 v2, 0, 1, s1
	v_add_nc_u32_e32 v2, v3, v2
; %bb.947:
	s_or_b32 exec_lo, exec_lo, s28
.LBB323_948:
	s_mov_b32 s1, 0
.LBB323_949:
	s_delay_alu instid0(SALU_CYCLE_1)
	s_and_not1_b32 vcc_lo, exec_lo, s1
	s_cbranch_vccnz .LBB323_961
; %bb.950:
	s_wait_loadcnt 0x0
	global_load_u8 v2, v[0:1], off
	s_mov_b32 s1, 0
	s_mov_b32 s28, exec_lo
	s_wait_loadcnt 0x0
	v_cmpx_lt_i16_e32 0x7f, v2
	s_xor_b32 s28, exec_lo, s28
	s_cbranch_execz .LBB323_954
; %bb.951:
	s_mov_b32 s1, -1
	s_mov_b32 s29, exec_lo
	v_cmpx_eq_u16_e32 0x80, v2
; %bb.952:
	s_xor_b32 s1, exec_lo, -1
; %bb.953:
	s_or_b32 exec_lo, exec_lo, s29
	s_delay_alu instid0(SALU_CYCLE_1)
	s_and_b32 s1, s1, exec_lo
.LBB323_954:
	s_or_saveexec_b32 s28, s28
	v_mov_b32_e32 v3, 0x7f800001
	v_and_b32_e32 v5, 0xffff, v2
	s_xor_b32 exec_lo, exec_lo, s28
; %bb.955:
	v_cmp_ne_u16_e32 vcc_lo, 0, v2
	s_delay_alu instid0(VALU_DEP_2) | instskip(SKIP_2) | instid1(SALU_CYCLE_1)
	v_mov_b32_e32 v3, v5
	s_and_not1_b32 s1, s1, exec_lo
	s_and_b32 s29, vcc_lo, exec_lo
	s_or_b32 s1, s1, s29
; %bb.956:
	s_or_b32 exec_lo, exec_lo, s28
	s_and_saveexec_b32 s28, s1
	s_cbranch_execz .LBB323_958
; %bb.957:
	v_and_b32_e32 v2, 7, v5
	s_delay_alu instid0(VALU_DEP_1) | instskip(NEXT) | instid1(VALU_DEP_1)
	v_clz_i32_u32_e32 v3, v2
	v_min_u32_e32 v3, 32, v3
	s_delay_alu instid0(VALU_DEP_1) | instskip(NEXT) | instid1(VALU_DEP_1)
	v_subrev_nc_u32_e32 v6, 28, v3
	v_lshlrev_b32_e32 v6, v6, v5
	v_bfe_u32 v5, v5, 3, 4
	s_delay_alu instid0(VALU_DEP_2) | instskip(NEXT) | instid1(VALU_DEP_2)
	v_dual_sub_nc_u32 v3, 29, v3 :: v_dual_bitop2_b32 v6, 7, v6 bitop3:0x40
	v_cmp_eq_u32_e32 vcc_lo, 0, v5
	s_delay_alu instid0(VALU_DEP_2) | instskip(NEXT) | instid1(VALU_DEP_1)
	v_dual_cndmask_b32 v3, v5, v3 :: v_dual_cndmask_b32 v2, v2, v6
	v_lshlrev_b32_e32 v2, 20, v2
	s_delay_alu instid0(VALU_DEP_1) | instskip(NEXT) | instid1(VALU_DEP_1)
	v_lshl_or_b32 v2, v3, 23, v2
	v_add_nc_u32_e32 v3, 0x3b800000, v2
.LBB323_958:
	s_or_b32 exec_lo, exec_lo, s28
	s_delay_alu instid0(VALU_DEP_1) | instskip(SKIP_1) | instid1(VALU_DEP_1)
	v_dual_mov_b32 v2, 0xff :: v_dual_lshrrev_b32 v5, 23, v3
	s_mov_b32 s28, exec_lo
	v_cmpx_ne_u32_e32 0xff, v5
; %bb.959:
	v_and_b32_e32 v2, 0x400000, v3
	v_and_or_b32 v3, 0x3fffff, v3, v5
	s_delay_alu instid0(VALU_DEP_2) | instskip(NEXT) | instid1(VALU_DEP_2)
	v_cmp_ne_u32_e32 vcc_lo, 0, v2
	v_cmp_ne_u32_e64 s1, 0, v3
	s_and_b32 s1, vcc_lo, s1
	s_delay_alu instid0(SALU_CYCLE_1) | instskip(NEXT) | instid1(VALU_DEP_1)
	v_cndmask_b32_e64 v2, 0, 1, s1
	v_add_nc_u32_e32 v2, v5, v2
; %bb.960:
	s_or_b32 exec_lo, exec_lo, s28
.LBB323_961:
	s_mov_b32 s1, -1
.LBB323_962:
	s_mov_b32 s28, 0
.LBB323_963:
	s_delay_alu instid0(SALU_CYCLE_1)
	s_and_b32 vcc_lo, exec_lo, s28
	s_cbranch_vccz .LBB323_1002
; %bb.964:
	s_cmp_gt_i32 s25, 22
	s_cbranch_scc0 .LBB323_978
; %bb.965:
	s_cmp_lt_i32 s25, 24
	s_cbranch_scc1 .LBB323_979
; %bb.966:
	s_cmp_gt_i32 s25, 24
	s_cbranch_scc0 .LBB323_980
; %bb.967:
	s_wait_loadcnt 0x0
	global_load_u8 v2, v[0:1], off
	s_mov_b32 s1, 0
	s_mov_b32 s27, exec_lo
	s_wait_loadcnt 0x0
	v_cmpx_lt_i16_e32 0x7f, v2
	s_xor_b32 s27, exec_lo, s27
	s_cbranch_execz .LBB323_971
; %bb.968:
	s_mov_b32 s1, -1
	s_mov_b32 s28, exec_lo
	v_cmpx_eq_u16_e32 0x80, v2
; %bb.969:
	s_xor_b32 s1, exec_lo, -1
; %bb.970:
	s_or_b32 exec_lo, exec_lo, s28
	s_delay_alu instid0(SALU_CYCLE_1)
	s_and_b32 s1, s1, exec_lo
.LBB323_971:
	s_or_saveexec_b32 s27, s27
	v_mov_b32_e32 v3, 0x7f800001
	v_and_b32_e32 v5, 0xffff, v2
	s_xor_b32 exec_lo, exec_lo, s27
; %bb.972:
	v_cmp_ne_u16_e32 vcc_lo, 0, v2
	s_delay_alu instid0(VALU_DEP_2) | instskip(SKIP_2) | instid1(SALU_CYCLE_1)
	v_mov_b32_e32 v3, v5
	s_and_not1_b32 s1, s1, exec_lo
	s_and_b32 s28, vcc_lo, exec_lo
	s_or_b32 s1, s1, s28
; %bb.973:
	s_or_b32 exec_lo, exec_lo, s27
	s_and_saveexec_b32 s27, s1
	s_cbranch_execz .LBB323_975
; %bb.974:
	v_and_b32_e32 v2, 3, v5
	s_delay_alu instid0(VALU_DEP_1) | instskip(NEXT) | instid1(VALU_DEP_1)
	v_clz_i32_u32_e32 v3, v2
	v_min_u32_e32 v3, 32, v3
	s_delay_alu instid0(VALU_DEP_1) | instskip(NEXT) | instid1(VALU_DEP_1)
	v_subrev_nc_u32_e32 v6, 29, v3
	v_lshlrev_b32_e32 v6, v6, v5
	v_bfe_u32 v5, v5, 2, 5
	s_delay_alu instid0(VALU_DEP_2) | instskip(NEXT) | instid1(VALU_DEP_2)
	v_dual_sub_nc_u32 v3, 30, v3 :: v_dual_bitop2_b32 v6, 3, v6 bitop3:0x40
	v_cmp_eq_u32_e32 vcc_lo, 0, v5
	s_delay_alu instid0(VALU_DEP_2) | instskip(NEXT) | instid1(VALU_DEP_1)
	v_dual_cndmask_b32 v3, v5, v3 :: v_dual_cndmask_b32 v2, v2, v6
	v_lshlrev_b32_e32 v2, 21, v2
	s_delay_alu instid0(VALU_DEP_1) | instskip(NEXT) | instid1(VALU_DEP_1)
	v_lshl_or_b32 v2, v3, 23, v2
	v_add_nc_u32_e32 v3, 0x37800000, v2
.LBB323_975:
	s_or_b32 exec_lo, exec_lo, s27
	s_delay_alu instid0(VALU_DEP_1) | instskip(SKIP_1) | instid1(VALU_DEP_1)
	v_dual_mov_b32 v2, 0xff :: v_dual_lshrrev_b32 v5, 23, v3
	s_mov_b32 s27, exec_lo
	v_cmpx_ne_u32_e32 0xff, v5
; %bb.976:
	v_and_b32_e32 v2, 0x400000, v3
	v_and_or_b32 v3, 0x3fffff, v3, v5
	s_delay_alu instid0(VALU_DEP_2) | instskip(NEXT) | instid1(VALU_DEP_2)
	v_cmp_ne_u32_e32 vcc_lo, 0, v2
	v_cmp_ne_u32_e64 s1, 0, v3
	s_and_b32 s1, vcc_lo, s1
	s_delay_alu instid0(SALU_CYCLE_1) | instskip(NEXT) | instid1(VALU_DEP_1)
	v_cndmask_b32_e64 v2, 0, 1, s1
	v_add_nc_u32_e32 v2, v5, v2
; %bb.977:
	s_or_b32 exec_lo, exec_lo, s27
	s_mov_b32 s1, 0
	s_branch .LBB323_981
.LBB323_978:
	s_mov_b32 s27, -1
                                        ; implicit-def: $vgpr2
	s_branch .LBB323_991
.LBB323_979:
	s_mov_b32 s1, -1
                                        ; implicit-def: $vgpr2
	s_branch .LBB323_986
.LBB323_980:
	s_mov_b32 s1, -1
                                        ; implicit-def: $vgpr2
.LBB323_981:
	s_delay_alu instid0(SALU_CYCLE_1)
	s_and_b32 vcc_lo, exec_lo, s1
	s_cbranch_vccz .LBB323_985
; %bb.982:
	s_wait_loadcnt 0x0
	global_load_u8 v2, v[0:1], off
	s_mov_b32 s27, exec_lo
	s_wait_loadcnt 0x0
	v_lshlrev_b32_e32 v2, 24, v2
	s_delay_alu instid0(VALU_DEP_1) | instskip(NEXT) | instid1(VALU_DEP_1)
	v_and_b32_e32 v2, 0x7f000000, v2
	v_clz_i32_u32_e32 v3, v2
	v_cmp_ne_u32_e32 vcc_lo, 0, v2
	v_add_nc_u32_e32 v6, 0x1000000, v2
	s_delay_alu instid0(VALU_DEP_3) | instskip(NEXT) | instid1(VALU_DEP_1)
	v_min_u32_e32 v3, 32, v3
	v_sub_nc_u32_e64 v3, v3, 4 clamp
	s_delay_alu instid0(VALU_DEP_1) | instskip(NEXT) | instid1(VALU_DEP_1)
	v_dual_mov_b32 v2, 0xff :: v_dual_lshlrev_b32 v5, v3, v2
	v_dual_lshlrev_b32 v3, 23, v3 :: v_dual_lshrrev_b32 v5, 4, v5
	s_delay_alu instid0(VALU_DEP_1) | instskip(NEXT) | instid1(VALU_DEP_1)
	v_dual_sub_nc_u32 v3, v5, v3 :: v_dual_ashrrev_i32 v5, 8, v6
	v_add_nc_u32_e32 v3, 0x3c000000, v3
	s_delay_alu instid0(VALU_DEP_1) | instskip(NEXT) | instid1(VALU_DEP_1)
	v_and_or_b32 v3, 0x7f800000, v5, v3
	v_cndmask_b32_e32 v5, 0, v3, vcc_lo
	s_delay_alu instid0(VALU_DEP_1) | instskip(SKIP_1) | instid1(VALU_DEP_1)
	v_lshrrev_b32_e32 v3, 23, v5
	s_wait_xcnt 0x0
	v_cmpx_ne_u32_e32 0xff, v3
; %bb.983:
	v_and_b32_e32 v2, 0x400000, v5
	v_and_or_b32 v5, 0x3fffff, v5, v3
	s_delay_alu instid0(VALU_DEP_2) | instskip(NEXT) | instid1(VALU_DEP_2)
	v_cmp_ne_u32_e32 vcc_lo, 0, v2
	v_cmp_ne_u32_e64 s1, 0, v5
	s_and_b32 s1, vcc_lo, s1
	s_delay_alu instid0(SALU_CYCLE_1) | instskip(NEXT) | instid1(VALU_DEP_1)
	v_cndmask_b32_e64 v2, 0, 1, s1
	v_add_nc_u32_e32 v2, v3, v2
; %bb.984:
	s_or_b32 exec_lo, exec_lo, s27
.LBB323_985:
	s_mov_b32 s1, 0
.LBB323_986:
	s_delay_alu instid0(SALU_CYCLE_1)
	s_and_not1_b32 vcc_lo, exec_lo, s1
	s_cbranch_vccnz .LBB323_990
; %bb.987:
	s_wait_loadcnt 0x0
	global_load_u8 v2, v[0:1], off
	s_mov_b32 s27, exec_lo
	s_wait_loadcnt 0x0
	v_dual_lshlrev_b32 v3, 25, v2 :: v_dual_lshlrev_b32 v2, 8, v2
	s_delay_alu instid0(VALU_DEP_1) | instskip(NEXT) | instid1(VALU_DEP_2)
	v_cmp_gt_u32_e32 vcc_lo, 0x8000000, v3
	v_and_or_b32 v2, 0x7f00, v2, 0.5
	s_delay_alu instid0(VALU_DEP_1) | instskip(NEXT) | instid1(VALU_DEP_1)
	v_dual_add_f32 v2, -0.5, v2 :: v_dual_lshrrev_b32 v5, 4, v3
	v_or_b32_e32 v5, 0x70000000, v5
	s_delay_alu instid0(VALU_DEP_1) | instskip(NEXT) | instid1(VALU_DEP_1)
	v_mul_f32_e32 v5, 0x7800000, v5
	v_dual_cndmask_b32 v3, v5, v2 :: v_dual_mov_b32 v2, 0xff
	s_delay_alu instid0(VALU_DEP_1) | instskip(SKIP_1) | instid1(VALU_DEP_1)
	v_bfe_u32 v5, v3, 23, 8
	s_wait_xcnt 0x0
	v_cmpx_ne_u32_e32 0xff, v5
	s_cbranch_execz .LBB323_989
; %bb.988:
	v_and_b32_e32 v2, 0x400000, v3
	v_and_or_b32 v5, 0x3fffff, v3, v5
	s_delay_alu instid0(VALU_DEP_2) | instskip(NEXT) | instid1(VALU_DEP_2)
	v_cmp_ne_u32_e32 vcc_lo, 0, v2
	v_cmp_ne_u32_e64 s1, 0, v5
	v_lshrrev_b32_e32 v2, 23, v3
	s_and_b32 s1, vcc_lo, s1
	s_delay_alu instid0(SALU_CYCLE_1) | instskip(NEXT) | instid1(VALU_DEP_1)
	v_cndmask_b32_e64 v3, 0, 1, s1
	v_add_nc_u32_e32 v2, v2, v3
.LBB323_989:
	s_or_b32 exec_lo, exec_lo, s27
.LBB323_990:
	s_mov_b32 s27, 0
	s_mov_b32 s1, -1
.LBB323_991:
	s_and_not1_b32 vcc_lo, exec_lo, s27
	s_mov_b32 s27, 0
	s_cbranch_vccnz .LBB323_1002
; %bb.992:
	s_cmp_gt_i32 s25, 14
	s_cbranch_scc0 .LBB323_997
; %bb.993:
	s_cmp_eq_u32 s25, 15
	s_cbranch_scc0 .LBB323_998
; %bb.994:
	global_load_u16 v3, v[0:1], off
	s_wait_loadcnt 0x1
	v_mov_b32_e32 v2, 0xff
	s_mov_b32 s26, exec_lo
	s_wait_loadcnt 0x0
	v_bfe_u32 v5, v3, 7, 8
	s_wait_xcnt 0x0
	s_delay_alu instid0(VALU_DEP_1)
	v_cmpx_ne_u32_e32 0xff, v5
	s_cbranch_execz .LBB323_996
; %bb.995:
	v_dual_lshlrev_b32 v2, 16, v3 :: v_dual_bitop2_b32 v6, 64, v3 bitop3:0x40
	s_delay_alu instid0(VALU_DEP_1) | instskip(NEXT) | instid1(VALU_DEP_2)
	v_and_or_b32 v2, 0x3f0000, v2, v5
	v_cmp_ne_u32_e32 vcc_lo, 0, v6
	s_delay_alu instid0(VALU_DEP_2) | instskip(SKIP_2) | instid1(SALU_CYCLE_1)
	v_cmp_ne_u32_e64 s1, 0, v2
	v_lshrrev_b32_e32 v2, 7, v3
	s_and_b32 s1, vcc_lo, s1
	v_cndmask_b32_e64 v3, 0, 1, s1
	s_delay_alu instid0(VALU_DEP_1)
	v_add_nc_u32_e32 v2, v2, v3
.LBB323_996:
	s_or_b32 exec_lo, exec_lo, s26
	s_mov_b32 s26, 0
	s_mov_b32 s1, -1
	s_branch .LBB323_1000
.LBB323_997:
	s_mov_b32 s27, -1
	s_branch .LBB323_999
.LBB323_998:
	s_mov_b32 s26, -1
.LBB323_999:
                                        ; implicit-def: $vgpr2
.LBB323_1000:
	s_and_b32 vcc_lo, exec_lo, s27
	s_mov_b32 s27, 0
	s_cbranch_vccz .LBB323_1002
; %bb.1001:
	s_cmp_lg_u32 s25, 11
	s_mov_b32 s27, -1
	s_cselect_b32 s25, -1, 0
	s_and_not1_b32 s26, s26, exec_lo
	s_and_b32 s25, s25, exec_lo
	s_delay_alu instid0(SALU_CYCLE_1)
	s_or_b32 s26, s26, s25
.LBB323_1002:
	s_mov_b32 s25, 0
.LBB323_1003:
	s_and_not1_b32 s29, s2, exec_lo
	s_and_b32 s26, s26, exec_lo
	s_and_b32 s28, s1, exec_lo
	s_and_b32 s25, s25, exec_lo
	s_and_b32 s1, s27, exec_lo
	s_or_b32 s27, s29, s26
.LBB323_1004:
	s_wait_xcnt 0x0
	s_or_b32 exec_lo, exec_lo, s16
	s_delay_alu instid0(SALU_CYCLE_1)
	s_and_not1_b32 s2, s2, exec_lo
	s_and_b32 s16, s27, exec_lo
	s_and_b32 s26, s28, exec_lo
	;; [unrolled: 1-line block ×4, first 2 shown]
	s_or_b32 s2, s2, s16
.LBB323_1005:
	s_or_b32 exec_lo, exec_lo, s23
	s_delay_alu instid0(SALU_CYCLE_1)
	s_and_not1_b32 s16, s21, exec_lo
	s_and_b32 s21, s24, exec_lo
	s_and_b32 s2, s2, exec_lo
	s_or_b32 s21, s16, s21
	s_and_not1_b32 s16, s20, exec_lo
	s_and_b32 s24, s26, exec_lo
	s_and_b32 s23, s25, exec_lo
	;; [unrolled: 1-line block ×3, first 2 shown]
	s_or_b32 s20, s16, s2
.LBB323_1006:
	s_or_b32 exec_lo, exec_lo, s22
	s_delay_alu instid0(SALU_CYCLE_1)
	s_and_not1_b32 s2, s17, exec_lo
	s_and_b32 s16, s21, exec_lo
	s_and_b32 s21, s24, exec_lo
	s_or_b32 s17, s2, s16
	s_and_not1_b32 s2, s18, exec_lo
	s_and_b32 s16, s20, exec_lo
	s_and_b32 s22, s23, exec_lo
	;; [unrolled: 1-line block ×3, first 2 shown]
	s_or_b32 s18, s2, s16
	s_or_b32 exec_lo, exec_lo, s19
	s_mov_b32 s2, 0
	s_and_saveexec_b32 s1, s18
	s_cbranch_execz .LBB323_306
.LBB323_1007:
	s_mov_b32 s2, exec_lo
	s_and_not1_b32 s20, s20, exec_lo
	s_trap 2
	s_or_b32 exec_lo, exec_lo, s1
	s_and_saveexec_b32 s1, s20
	s_delay_alu instid0(SALU_CYCLE_1)
	s_xor_b32 s16, exec_lo, s1
	s_cbranch_execnz .LBB323_307
.LBB323_1008:
	s_or_b32 exec_lo, exec_lo, s16
	s_and_saveexec_b32 s16, s22
	s_cbranch_execz .LBB323_1076
.LBB323_1009:
	s_sext_i32_i16 s1, s13
	s_delay_alu instid0(SALU_CYCLE_1)
	s_cmp_lt_i32 s1, 5
	s_cbranch_scc1 .LBB323_1016
; %bb.1010:
	s_cmp_lt_i32 s1, 8
	s_cbranch_scc1 .LBB323_1017
; %bb.1011:
	;; [unrolled: 3-line block ×3, first 2 shown]
	s_cmp_gt_i32 s1, 9
	s_cbranch_scc0 .LBB323_1019
; %bb.1013:
	s_wait_loadcnt 0x0
	global_load_b64 v[2:3], v[0:1], off
	s_mov_b32 s18, exec_lo
	s_wait_loadcnt 0x0
	v_cvt_f32_f64_e32 v3, v[2:3]
	v_mov_b32_e32 v2, 0xff
	s_delay_alu instid0(VALU_DEP_2) | instskip(SKIP_1) | instid1(VALU_DEP_1)
	v_bfe_u32 v5, v3, 23, 8
	s_wait_xcnt 0x0
	v_cmpx_ne_u32_e32 0xff, v5
	s_cbranch_execz .LBB323_1015
; %bb.1014:
	v_and_b32_e32 v2, 0x400000, v3
	v_and_or_b32 v5, 0x3fffff, v3, v5
	s_delay_alu instid0(VALU_DEP_2) | instskip(NEXT) | instid1(VALU_DEP_2)
	v_cmp_ne_u32_e32 vcc_lo, 0, v2
	v_cmp_ne_u32_e64 s1, 0, v5
	v_lshrrev_b32_e32 v2, 23, v3
	s_and_b32 s1, vcc_lo, s1
	s_delay_alu instid0(SALU_CYCLE_1) | instskip(NEXT) | instid1(VALU_DEP_1)
	v_cndmask_b32_e64 v3, 0, 1, s1
	v_add_nc_u32_e32 v2, v2, v3
.LBB323_1015:
	s_or_b32 exec_lo, exec_lo, s18
	s_mov_b32 s1, 0
	s_branch .LBB323_1020
.LBB323_1016:
                                        ; implicit-def: $vgpr2
	s_branch .LBB323_1047
.LBB323_1017:
                                        ; implicit-def: $vgpr2
	s_branch .LBB323_1030
.LBB323_1018:
	s_mov_b32 s1, -1
                                        ; implicit-def: $vgpr2
	s_branch .LBB323_1025
.LBB323_1019:
	s_mov_b32 s1, -1
                                        ; implicit-def: $vgpr2
.LBB323_1020:
	s_delay_alu instid0(SALU_CYCLE_1)
	s_and_not1_b32 vcc_lo, exec_lo, s1
	s_cbranch_vccnz .LBB323_1024
; %bb.1021:
	global_load_b32 v3, v[0:1], off
	s_wait_loadcnt 0x1
	v_mov_b32_e32 v2, 0xff
	s_mov_b32 s18, exec_lo
	s_wait_loadcnt 0x0
	v_bfe_u32 v5, v3, 23, 8
	s_wait_xcnt 0x0
	s_delay_alu instid0(VALU_DEP_1)
	v_cmpx_ne_u32_e32 0xff, v5
	s_cbranch_execz .LBB323_1023
; %bb.1022:
	v_and_b32_e32 v2, 0x400000, v3
	v_and_or_b32 v5, 0x3fffff, v3, v5
	s_delay_alu instid0(VALU_DEP_2) | instskip(NEXT) | instid1(VALU_DEP_2)
	v_cmp_ne_u32_e32 vcc_lo, 0, v2
	v_cmp_ne_u32_e64 s1, 0, v5
	v_lshrrev_b32_e32 v2, 23, v3
	s_and_b32 s1, vcc_lo, s1
	s_delay_alu instid0(SALU_CYCLE_1) | instskip(NEXT) | instid1(VALU_DEP_1)
	v_cndmask_b32_e64 v3, 0, 1, s1
	v_add_nc_u32_e32 v2, v2, v3
.LBB323_1023:
	s_or_b32 exec_lo, exec_lo, s18
.LBB323_1024:
	s_mov_b32 s1, 0
.LBB323_1025:
	s_delay_alu instid0(SALU_CYCLE_1)
	s_and_not1_b32 vcc_lo, exec_lo, s1
	s_cbranch_vccnz .LBB323_1029
; %bb.1026:
	s_wait_loadcnt 0x0
	global_load_b32 v2, v[0:1], off
	s_mov_b32 s18, exec_lo
	s_wait_loadcnt 0x0
	v_cvt_f32_f16_e32 v3, v2
	v_mov_b32_e32 v2, 0xff
	s_delay_alu instid0(VALU_DEP_2) | instskip(SKIP_1) | instid1(VALU_DEP_1)
	v_bfe_u32 v5, v3, 23, 8
	s_wait_xcnt 0x0
	v_cmpx_ne_u32_e32 0xff, v5
	s_cbranch_execz .LBB323_1028
; %bb.1027:
	v_and_b32_e32 v2, 0x400000, v3
	v_and_or_b32 v5, 0x3fffff, v3, v5
	s_delay_alu instid0(VALU_DEP_2) | instskip(NEXT) | instid1(VALU_DEP_2)
	v_cmp_ne_u32_e32 vcc_lo, 0, v2
	v_cmp_ne_u32_e64 s1, 0, v5
	v_lshrrev_b32_e32 v2, 23, v3
	s_and_b32 s1, vcc_lo, s1
	s_delay_alu instid0(SALU_CYCLE_1) | instskip(NEXT) | instid1(VALU_DEP_1)
	v_cndmask_b32_e64 v3, 0, 1, s1
	v_add_nc_u32_e32 v2, v2, v3
.LBB323_1028:
	s_or_b32 exec_lo, exec_lo, s18
.LBB323_1029:
	s_cbranch_execnz .LBB323_1046
.LBB323_1030:
	s_sext_i32_i16 s1, s13
	s_delay_alu instid0(SALU_CYCLE_1)
	s_cmp_lt_i32 s1, 6
	s_cbranch_scc1 .LBB323_1035
; %bb.1031:
	s_cmp_gt_i32 s1, 6
	s_cbranch_scc0 .LBB323_1036
; %bb.1032:
	s_wait_loadcnt 0x0
	global_load_b64 v[2:3], v[0:1], off
	s_mov_b32 s18, exec_lo
	s_wait_loadcnt 0x0
	v_cvt_f32_f64_e32 v3, v[2:3]
	v_mov_b32_e32 v2, 0xff
	s_delay_alu instid0(VALU_DEP_2) | instskip(SKIP_1) | instid1(VALU_DEP_1)
	v_bfe_u32 v5, v3, 23, 8
	s_wait_xcnt 0x0
	v_cmpx_ne_u32_e32 0xff, v5
	s_cbranch_execz .LBB323_1034
; %bb.1033:
	v_and_b32_e32 v2, 0x400000, v3
	v_and_or_b32 v5, 0x3fffff, v3, v5
	s_delay_alu instid0(VALU_DEP_2) | instskip(NEXT) | instid1(VALU_DEP_2)
	v_cmp_ne_u32_e32 vcc_lo, 0, v2
	v_cmp_ne_u32_e64 s1, 0, v5
	v_lshrrev_b32_e32 v2, 23, v3
	s_and_b32 s1, vcc_lo, s1
	s_delay_alu instid0(SALU_CYCLE_1) | instskip(NEXT) | instid1(VALU_DEP_1)
	v_cndmask_b32_e64 v3, 0, 1, s1
	v_add_nc_u32_e32 v2, v2, v3
.LBB323_1034:
	s_or_b32 exec_lo, exec_lo, s18
	s_mov_b32 s1, 0
	s_branch .LBB323_1037
.LBB323_1035:
	s_mov_b32 s1, -1
                                        ; implicit-def: $vgpr2
	s_branch .LBB323_1042
.LBB323_1036:
	s_mov_b32 s1, -1
                                        ; implicit-def: $vgpr2
.LBB323_1037:
	s_delay_alu instid0(SALU_CYCLE_1)
	s_and_not1_b32 vcc_lo, exec_lo, s1
	s_cbranch_vccnz .LBB323_1041
; %bb.1038:
	global_load_b32 v3, v[0:1], off
	s_wait_loadcnt 0x1
	v_mov_b32_e32 v2, 0xff
	s_mov_b32 s18, exec_lo
	s_wait_loadcnt 0x0
	v_bfe_u32 v5, v3, 23, 8
	s_wait_xcnt 0x0
	s_delay_alu instid0(VALU_DEP_1)
	v_cmpx_ne_u32_e32 0xff, v5
	s_cbranch_execz .LBB323_1040
; %bb.1039:
	v_and_b32_e32 v2, 0x400000, v3
	v_and_or_b32 v5, 0x3fffff, v3, v5
	s_delay_alu instid0(VALU_DEP_2) | instskip(NEXT) | instid1(VALU_DEP_2)
	v_cmp_ne_u32_e32 vcc_lo, 0, v2
	v_cmp_ne_u32_e64 s1, 0, v5
	v_lshrrev_b32_e32 v2, 23, v3
	s_and_b32 s1, vcc_lo, s1
	s_delay_alu instid0(SALU_CYCLE_1) | instskip(NEXT) | instid1(VALU_DEP_1)
	v_cndmask_b32_e64 v3, 0, 1, s1
	v_add_nc_u32_e32 v2, v2, v3
.LBB323_1040:
	s_or_b32 exec_lo, exec_lo, s18
.LBB323_1041:
	s_mov_b32 s1, 0
.LBB323_1042:
	s_delay_alu instid0(SALU_CYCLE_1)
	s_and_not1_b32 vcc_lo, exec_lo, s1
	s_cbranch_vccnz .LBB323_1046
; %bb.1043:
	s_wait_loadcnt 0x0
	global_load_u16 v2, v[0:1], off
	s_mov_b32 s18, exec_lo
	s_wait_loadcnt 0x0
	v_cvt_f32_f16_e32 v3, v2
	v_mov_b32_e32 v2, 0xff
	s_delay_alu instid0(VALU_DEP_2) | instskip(SKIP_1) | instid1(VALU_DEP_1)
	v_bfe_u32 v5, v3, 23, 8
	s_wait_xcnt 0x0
	v_cmpx_ne_u32_e32 0xff, v5
	s_cbranch_execz .LBB323_1045
; %bb.1044:
	v_and_b32_e32 v2, 0x400000, v3
	v_and_or_b32 v5, 0x3fffff, v3, v5
	s_delay_alu instid0(VALU_DEP_2) | instskip(NEXT) | instid1(VALU_DEP_2)
	v_cmp_ne_u32_e32 vcc_lo, 0, v2
	v_cmp_ne_u32_e64 s1, 0, v5
	v_lshrrev_b32_e32 v2, 23, v3
	s_and_b32 s1, vcc_lo, s1
	s_delay_alu instid0(SALU_CYCLE_1) | instskip(NEXT) | instid1(VALU_DEP_1)
	v_cndmask_b32_e64 v3, 0, 1, s1
	v_add_nc_u32_e32 v2, v2, v3
.LBB323_1045:
	s_or_b32 exec_lo, exec_lo, s18
.LBB323_1046:
	s_cbranch_execnz .LBB323_1075
.LBB323_1047:
	s_sext_i32_i16 s1, s13
	s_delay_alu instid0(SALU_CYCLE_1)
	s_cmp_lt_i32 s1, 2
	s_cbranch_scc1 .LBB323_1053
; %bb.1048:
	s_cmp_lt_i32 s1, 3
	s_cbranch_scc1 .LBB323_1054
; %bb.1049:
	s_cmp_gt_i32 s1, 3
	s_cbranch_scc0 .LBB323_1055
; %bb.1050:
	s_wait_loadcnt 0x0
	global_load_b64 v[2:3], v[0:1], off
	s_mov_b32 s18, exec_lo
	s_wait_loadcnt 0x0
	v_xor_b32_e32 v5, v2, v3
	v_cls_i32_e32 v6, v3
	s_delay_alu instid0(VALU_DEP_2) | instskip(NEXT) | instid1(VALU_DEP_1)
	v_ashrrev_i32_e32 v5, 31, v5
	v_add_nc_u32_e32 v5, 32, v5
	s_delay_alu instid0(VALU_DEP_1) | instskip(NEXT) | instid1(VALU_DEP_1)
	v_add_min_u32_e64 v5, v6, -1, v5
	v_lshlrev_b64_e32 v[2:3], v5, v[2:3]
	s_delay_alu instid0(VALU_DEP_1) | instskip(NEXT) | instid1(VALU_DEP_1)
	v_min_u32_e32 v2, 1, v2
	v_dual_sub_nc_u32 v3, 32, v5 :: v_dual_bitop2_b32 v2, v3, v2 bitop3:0x54
	s_delay_alu instid0(VALU_DEP_1) | instskip(NEXT) | instid1(VALU_DEP_1)
	v_cvt_f32_i32_e32 v2, v2
	v_ldexp_f32 v3, v2, v3
	v_mov_b32_e32 v2, 0xff
	s_delay_alu instid0(VALU_DEP_2) | instskip(SKIP_1) | instid1(VALU_DEP_1)
	v_bfe_u32 v5, v3, 23, 8
	s_wait_xcnt 0x0
	v_cmpx_ne_u32_e32 0xff, v5
	s_cbranch_execz .LBB323_1052
; %bb.1051:
	v_and_b32_e32 v2, 0x400000, v3
	v_and_or_b32 v5, 0x3fffff, v3, v5
	s_delay_alu instid0(VALU_DEP_2) | instskip(NEXT) | instid1(VALU_DEP_2)
	v_cmp_ne_u32_e32 vcc_lo, 0, v2
	v_cmp_ne_u32_e64 s1, 0, v5
	v_lshrrev_b32_e32 v2, 23, v3
	s_and_b32 s1, vcc_lo, s1
	s_delay_alu instid0(SALU_CYCLE_1) | instskip(NEXT) | instid1(VALU_DEP_1)
	v_cndmask_b32_e64 v3, 0, 1, s1
	v_add_nc_u32_e32 v2, v2, v3
.LBB323_1052:
	s_or_b32 exec_lo, exec_lo, s18
	s_mov_b32 s1, 0
	s_branch .LBB323_1056
.LBB323_1053:
                                        ; implicit-def: $vgpr2
	s_branch .LBB323_1066
.LBB323_1054:
	s_mov_b32 s1, -1
                                        ; implicit-def: $vgpr2
	s_branch .LBB323_1061
.LBB323_1055:
	s_mov_b32 s1, -1
                                        ; implicit-def: $vgpr2
.LBB323_1056:
	s_delay_alu instid0(SALU_CYCLE_1)
	s_and_not1_b32 vcc_lo, exec_lo, s1
	s_cbranch_vccnz .LBB323_1060
; %bb.1057:
	s_wait_loadcnt 0x0
	global_load_b32 v2, v[0:1], off
	s_mov_b32 s18, exec_lo
	s_wait_loadcnt 0x0
	v_cvt_f32_i32_e32 v3, v2
	v_mov_b32_e32 v2, 0xff
	s_delay_alu instid0(VALU_DEP_2) | instskip(SKIP_1) | instid1(VALU_DEP_1)
	v_bfe_u32 v5, v3, 23, 8
	s_wait_xcnt 0x0
	v_cmpx_ne_u32_e32 0xff, v5
	s_cbranch_execz .LBB323_1059
; %bb.1058:
	v_and_b32_e32 v2, 0x400000, v3
	v_and_or_b32 v5, 0x3fffff, v3, v5
	s_delay_alu instid0(VALU_DEP_2) | instskip(NEXT) | instid1(VALU_DEP_2)
	v_cmp_ne_u32_e32 vcc_lo, 0, v2
	v_cmp_ne_u32_e64 s1, 0, v5
	v_lshrrev_b32_e32 v2, 23, v3
	s_and_b32 s1, vcc_lo, s1
	s_delay_alu instid0(SALU_CYCLE_1) | instskip(NEXT) | instid1(VALU_DEP_1)
	v_cndmask_b32_e64 v3, 0, 1, s1
	v_add_nc_u32_e32 v2, v2, v3
.LBB323_1059:
	s_or_b32 exec_lo, exec_lo, s18
.LBB323_1060:
	s_mov_b32 s1, 0
.LBB323_1061:
	s_delay_alu instid0(SALU_CYCLE_1)
	s_and_not1_b32 vcc_lo, exec_lo, s1
	s_cbranch_vccnz .LBB323_1065
; %bb.1062:
	s_wait_loadcnt 0x0
	global_load_i16 v2, v[0:1], off
	s_mov_b32 s18, exec_lo
	s_wait_loadcnt 0x0
	v_cvt_f32_i32_e32 v3, v2
	v_mov_b32_e32 v2, 0xff
	s_delay_alu instid0(VALU_DEP_2) | instskip(SKIP_1) | instid1(VALU_DEP_1)
	v_bfe_u32 v5, v3, 23, 8
	s_wait_xcnt 0x0
	v_cmpx_ne_u32_e32 0xff, v5
	s_cbranch_execz .LBB323_1064
; %bb.1063:
	v_and_b32_e32 v2, 0x400000, v3
	v_and_or_b32 v5, 0x3fffff, v3, v5
	s_delay_alu instid0(VALU_DEP_2) | instskip(NEXT) | instid1(VALU_DEP_2)
	v_cmp_ne_u32_e32 vcc_lo, 0, v2
	v_cmp_ne_u32_e64 s1, 0, v5
	v_lshrrev_b32_e32 v2, 23, v3
	s_and_b32 s1, vcc_lo, s1
	s_delay_alu instid0(SALU_CYCLE_1) | instskip(NEXT) | instid1(VALU_DEP_1)
	v_cndmask_b32_e64 v3, 0, 1, s1
	v_add_nc_u32_e32 v2, v2, v3
.LBB323_1064:
	s_or_b32 exec_lo, exec_lo, s18
.LBB323_1065:
	s_cbranch_execnz .LBB323_1075
.LBB323_1066:
	s_sext_i32_i16 s1, s13
	s_delay_alu instid0(SALU_CYCLE_1)
	s_cmp_gt_i32 s1, 0
	s_cbranch_scc0 .LBB323_1070
; %bb.1067:
	s_wait_loadcnt 0x0
	global_load_i8 v2, v[0:1], off
	s_mov_b32 s18, exec_lo
	s_wait_loadcnt 0x0
	v_cvt_f32_i32_e32 v3, v2
	v_mov_b32_e32 v2, 0xff
	s_delay_alu instid0(VALU_DEP_2) | instskip(SKIP_1) | instid1(VALU_DEP_1)
	v_bfe_u32 v5, v3, 23, 8
	s_wait_xcnt 0x0
	v_cmpx_ne_u32_e32 0xff, v5
	s_cbranch_execz .LBB323_1069
; %bb.1068:
	v_and_b32_e32 v2, 0x400000, v3
	v_and_or_b32 v5, 0x3fffff, v3, v5
	s_delay_alu instid0(VALU_DEP_2) | instskip(NEXT) | instid1(VALU_DEP_2)
	v_cmp_ne_u32_e32 vcc_lo, 0, v2
	v_cmp_ne_u32_e64 s1, 0, v5
	v_lshrrev_b32_e32 v2, 23, v3
	s_and_b32 s1, vcc_lo, s1
	s_delay_alu instid0(SALU_CYCLE_1) | instskip(NEXT) | instid1(VALU_DEP_1)
	v_cndmask_b32_e64 v3, 0, 1, s1
	v_add_nc_u32_e32 v2, v2, v3
.LBB323_1069:
	s_or_b32 exec_lo, exec_lo, s18
	s_mov_b32 s1, 0
	s_branch .LBB323_1071
.LBB323_1070:
	s_mov_b32 s1, -1
                                        ; implicit-def: $vgpr2
.LBB323_1071:
	s_delay_alu instid0(SALU_CYCLE_1)
	s_and_not1_b32 vcc_lo, exec_lo, s1
	s_cbranch_vccnz .LBB323_1075
; %bb.1072:
	global_load_u8 v0, v[0:1], off
	s_wait_loadcnt 0x1
	v_mov_b32_e32 v2, 0xff
	s_mov_b32 s18, exec_lo
	s_wait_loadcnt 0x0
	v_cvt_f32_ubyte0_e32 v1, v0
	s_delay_alu instid0(VALU_DEP_1) | instskip(NEXT) | instid1(VALU_DEP_1)
	v_lshrrev_b32_e32 v0, 23, v1
	v_cmpx_ne_u32_e32 0xff, v0
; %bb.1073:
	v_and_b32_e32 v2, 0x400000, v1
	v_and_or_b32 v1, 0x3fffff, v1, v0
	s_delay_alu instid0(VALU_DEP_2) | instskip(NEXT) | instid1(VALU_DEP_2)
	v_cmp_ne_u32_e32 vcc_lo, 0, v2
	v_cmp_ne_u32_e64 s1, 0, v1
	s_and_b32 s1, vcc_lo, s1
	s_delay_alu instid0(SALU_CYCLE_1) | instskip(NEXT) | instid1(VALU_DEP_1)
	v_cndmask_b32_e64 v1, 0, 1, s1
	v_add_nc_u32_e32 v2, v0, v1
; %bb.1074:
	s_or_b32 exec_lo, exec_lo, s18
.LBB323_1075:
	s_delay_alu instid0(SALU_CYCLE_1)
	s_or_b32 s21, s21, exec_lo
.LBB323_1076:
	s_or_b32 exec_lo, exec_lo, s16
	s_mov_b32 s20, 0
	s_mov_b32 s19, 0
                                        ; implicit-def: $sgpr1
                                        ; implicit-def: $sgpr16
                                        ; implicit-def: $vgpr0_vgpr1
	s_and_saveexec_b32 s18, s21
	s_cbranch_execz .LBB323_1151
; %bb.1077:
	s_wait_loadcnt 0x0
	v_and_b32_e32 v0, 0xff, v2
	s_and_b32 s16, s3, 0xff
	s_mov_b32 s19, -1
	s_cmp_lt_i32 s16, 11
	s_delay_alu instid0(VALU_DEP_1) | instskip(SKIP_1) | instid1(VALU_DEP_2)
	v_lshlrev_b32_e32 v1, 23, v0
	v_cmp_ne_u16_e32 vcc_lo, 0xff, v0
	v_cndmask_b32_e32 v1, 0x7f800001, v1, vcc_lo
	v_cmp_ne_u16_e32 vcc_lo, 0, v0
	v_mul_lo_u32 v0, v4, s8
	s_delay_alu instid0(VALU_DEP_3) | instskip(NEXT) | instid1(VALU_DEP_1)
	v_cndmask_b32_e32 v1, 0x400000, v1, vcc_lo
	v_cmp_eq_f32_e32 vcc_lo, s15, v1
	v_cndmask_b32_e64 v2, 0, 1, vcc_lo
	v_cmp_neq_f32_e32 vcc_lo, s15, v1
	v_cndmask_b32_e64 v1, 0, 1, vcc_lo
	s_delay_alu instid0(VALU_DEP_1) | instskip(SKIP_1) | instid1(VALU_DEP_1)
	v_dual_cndmask_b32 v2, v1, v2, s0 :: v_dual_ashrrev_i32 v1, 31, v0
	s_mov_b32 s0, s17
	v_and_b32_e32 v2, 1, v2
	s_delay_alu instid0(VALU_DEP_2) | instskip(NEXT) | instid1(VALU_DEP_2)
	v_add_nc_u64_e32 v[0:1], s[4:5], v[0:1]
	v_cmp_eq_u32_e64 s1, 1, v2
	s_cbranch_scc1 .LBB323_1155
; %bb.1078:
	s_and_b32 s15, 0xffff, s16
	s_mov_b32 s0, s17
	s_cmp_gt_i32 s15, 25
	s_cbranch_scc0 .LBB323_1111
; %bb.1079:
	s_cmp_gt_i32 s15, 28
	s_mov_b32 s0, s17
	s_cbranch_scc0 .LBB323_1095
; %bb.1080:
	s_cmp_gt_i32 s15, 43
	s_mov_b32 s0, s17
	;; [unrolled: 4-line block ×3, first 2 shown]
	s_cbranch_scc0 .LBB323_1085
; %bb.1082:
	s_cmp_eq_u32 s15, 46
	s_mov_b32 s0, -1
	s_cbranch_scc0 .LBB323_1084
; %bb.1083:
	v_cndmask_b32_e64 v2, 0, 1.0, s1
	s_mov_b32 s0, 0
	s_delay_alu instid0(VALU_DEP_1) | instskip(NEXT) | instid1(VALU_DEP_1)
	v_bfe_u32 v3, v2, 16, 1
	v_add3_u32 v2, v2, v3, 0x7fff
	s_delay_alu instid0(VALU_DEP_1)
	v_lshrrev_b32_e32 v2, 16, v2
	global_store_b32 v[0:1], v2, off
.LBB323_1084:
	s_mov_b32 s19, 0
.LBB323_1085:
	s_delay_alu instid0(SALU_CYCLE_1)
	s_and_b32 vcc_lo, exec_lo, s19
	s_cbranch_vccz .LBB323_1090
; %bb.1086:
	s_cmp_eq_u32 s15, 44
	s_mov_b32 s0, -1
	s_cbranch_scc0 .LBB323_1090
; %bb.1087:
	v_cndmask_b32_e64 v4, 0, 1.0, s1
	s_mov_b32 s19, exec_lo
	s_wait_xcnt 0x0
	s_delay_alu instid0(VALU_DEP_1) | instskip(NEXT) | instid1(VALU_DEP_1)
	v_dual_mov_b32 v3, 0xff :: v_dual_lshrrev_b32 v2, 23, v4
	v_cmpx_ne_u32_e32 0xff, v2
; %bb.1088:
	v_and_b32_e32 v3, 0x400000, v4
	v_and_or_b32 v4, 0x3fffff, v4, v2
	s_delay_alu instid0(VALU_DEP_2) | instskip(NEXT) | instid1(VALU_DEP_2)
	v_cmp_ne_u32_e32 vcc_lo, 0, v3
	v_cmp_ne_u32_e64 s0, 0, v4
	s_and_b32 s0, vcc_lo, s0
	s_delay_alu instid0(SALU_CYCLE_1) | instskip(NEXT) | instid1(VALU_DEP_1)
	v_cndmask_b32_e64 v3, 0, 1, s0
	v_add_nc_u32_e32 v3, v2, v3
; %bb.1089:
	s_or_b32 exec_lo, exec_lo, s19
	s_mov_b32 s0, 0
	global_store_b8 v[0:1], v3, off
.LBB323_1090:
	s_mov_b32 s19, 0
.LBB323_1091:
	s_delay_alu instid0(SALU_CYCLE_1)
	s_and_b32 vcc_lo, exec_lo, s19
	s_cbranch_vccz .LBB323_1094
; %bb.1092:
	s_cmp_eq_u32 s15, 29
	s_mov_b32 s0, -1
	s_cbranch_scc0 .LBB323_1094
; %bb.1093:
	s_mov_b32 s0, 0
	s_wait_xcnt 0x0
	v_cndmask_b32_e64 v2, 0, 1, s1
	v_mov_b32_e32 v3, s0
	global_store_b64 v[0:1], v[2:3], off
.LBB323_1094:
	s_mov_b32 s19, 0
.LBB323_1095:
	s_delay_alu instid0(SALU_CYCLE_1)
	s_and_b32 vcc_lo, exec_lo, s19
	s_cbranch_vccz .LBB323_1110
; %bb.1096:
	s_cmp_lt_i32 s15, 27
	s_mov_b32 s19, -1
	s_cbranch_scc1 .LBB323_1102
; %bb.1097:
	s_wait_xcnt 0x0
	v_cndmask_b32_e64 v2, 0, 1, s1
	s_cmp_gt_i32 s15, 27
	s_cbranch_scc0 .LBB323_1099
; %bb.1098:
	s_mov_b32 s19, 0
	global_store_b32 v[0:1], v2, off
.LBB323_1099:
	s_and_not1_b32 vcc_lo, exec_lo, s19
	s_cbranch_vccnz .LBB323_1101
; %bb.1100:
	global_store_b16 v[0:1], v2, off
.LBB323_1101:
	s_mov_b32 s19, 0
.LBB323_1102:
	s_delay_alu instid0(SALU_CYCLE_1)
	s_and_not1_b32 vcc_lo, exec_lo, s19
	s_cbranch_vccnz .LBB323_1110
; %bb.1103:
	s_wait_xcnt 0x0
	v_cndmask_b32_e64 v3, 0, 1.0, s1
	v_mov_b32_e32 v4, 0x80
	s_mov_b32 s19, exec_lo
	s_delay_alu instid0(VALU_DEP_2)
	v_cmpx_gt_u32_e32 0x43800000, v3
	s_cbranch_execz .LBB323_1109
; %bb.1104:
	s_mov_b32 s21, exec_lo
                                        ; implicit-def: $vgpr2
	v_cmpx_lt_u32_e32 0x3bffffff, v3
	s_xor_b32 s21, exec_lo, s21
	s_cbranch_execz .LBB323_1215
; %bb.1105:
	v_bfe_u32 v2, v3, 20, 1
	s_mov_b32 s20, exec_lo
	s_delay_alu instid0(VALU_DEP_1) | instskip(NEXT) | instid1(VALU_DEP_1)
	v_add3_u32 v2, v3, v2, 0x487ffff
                                        ; implicit-def: $vgpr3
	v_lshrrev_b32_e32 v2, 20, v2
	s_and_not1_saveexec_b32 s21, s21
	s_cbranch_execnz .LBB323_1216
.LBB323_1106:
	s_or_b32 exec_lo, exec_lo, s21
	v_mov_b32_e32 v4, 0
	s_and_saveexec_b32 s21, s20
.LBB323_1107:
	v_mov_b32_e32 v4, v2
.LBB323_1108:
	s_or_b32 exec_lo, exec_lo, s21
.LBB323_1109:
	s_delay_alu instid0(SALU_CYCLE_1)
	s_or_b32 exec_lo, exec_lo, s19
	global_store_b8 v[0:1], v4, off
.LBB323_1110:
	s_mov_b32 s19, 0
.LBB323_1111:
	s_delay_alu instid0(SALU_CYCLE_1)
	s_and_b32 vcc_lo, exec_lo, s19
	s_mov_b32 s19, 0
	s_cbranch_vccz .LBB323_1154
; %bb.1112:
	s_cmp_gt_i32 s15, 22
	s_mov_b32 s20, -1
	s_cbranch_scc0 .LBB323_1144
; %bb.1113:
	s_cmp_lt_i32 s15, 24
	s_cbranch_scc1 .LBB323_1133
; %bb.1114:
	s_cmp_gt_i32 s15, 24
	s_cbranch_scc0 .LBB323_1122
; %bb.1115:
	s_wait_xcnt 0x0
	v_cndmask_b32_e64 v3, 0, 1.0, s1
	v_mov_b32_e32 v4, 0x80
	s_mov_b32 s20, exec_lo
	s_delay_alu instid0(VALU_DEP_2)
	v_cmpx_gt_u32_e32 0x47800000, v3
	s_cbranch_execz .LBB323_1121
; %bb.1116:
	s_mov_b32 s21, 0
	s_mov_b32 s22, exec_lo
                                        ; implicit-def: $vgpr2
	v_cmpx_lt_u32_e32 0x37ffffff, v3
	s_xor_b32 s22, exec_lo, s22
	s_cbranch_execz .LBB323_1382
; %bb.1117:
	v_bfe_u32 v2, v3, 21, 1
	s_mov_b32 s21, exec_lo
	s_delay_alu instid0(VALU_DEP_1) | instskip(NEXT) | instid1(VALU_DEP_1)
	v_add3_u32 v2, v3, v2, 0x88fffff
                                        ; implicit-def: $vgpr3
	v_lshrrev_b32_e32 v2, 21, v2
	s_and_not1_saveexec_b32 s22, s22
	s_cbranch_execnz .LBB323_1383
.LBB323_1118:
	s_or_b32 exec_lo, exec_lo, s22
	v_mov_b32_e32 v4, 0
	s_and_saveexec_b32 s22, s21
.LBB323_1119:
	v_mov_b32_e32 v4, v2
.LBB323_1120:
	s_or_b32 exec_lo, exec_lo, s22
.LBB323_1121:
	s_delay_alu instid0(SALU_CYCLE_1)
	s_or_b32 exec_lo, exec_lo, s20
	s_mov_b32 s20, 0
	global_store_b8 v[0:1], v4, off
.LBB323_1122:
	s_and_b32 vcc_lo, exec_lo, s20
	s_cbranch_vccz .LBB323_1132
; %bb.1123:
	s_wait_xcnt 0x0
	v_cndmask_b32_e64 v3, 0, 1.0, s1
	s_mov_b32 s20, exec_lo
                                        ; implicit-def: $vgpr2
	s_delay_alu instid0(VALU_DEP_1)
	v_cmpx_gt_u32_e32 0x43f00000, v3
	s_xor_b32 s20, exec_lo, s20
	s_cbranch_execz .LBB323_1129
; %bb.1124:
	s_mov_b32 s21, exec_lo
                                        ; implicit-def: $vgpr2
	v_cmpx_lt_u32_e32 0x3c7fffff, v3
	s_xor_b32 s21, exec_lo, s21
; %bb.1125:
	v_bfe_u32 v2, v3, 20, 1
	s_delay_alu instid0(VALU_DEP_1) | instskip(NEXT) | instid1(VALU_DEP_1)
	v_add3_u32 v2, v3, v2, 0x407ffff
	v_and_b32_e32 v3, 0xff00000, v2
	v_lshrrev_b32_e32 v2, 20, v2
	s_delay_alu instid0(VALU_DEP_2) | instskip(NEXT) | instid1(VALU_DEP_2)
	v_cmp_ne_u32_e32 vcc_lo, 0x7f00000, v3
                                        ; implicit-def: $vgpr3
	v_cndmask_b32_e32 v2, 0x7e, v2, vcc_lo
; %bb.1126:
	s_and_not1_saveexec_b32 s21, s21
; %bb.1127:
	v_add_f32_e32 v2, 0x46800000, v3
; %bb.1128:
	s_or_b32 exec_lo, exec_lo, s21
                                        ; implicit-def: $vgpr3
.LBB323_1129:
	s_and_not1_saveexec_b32 s20, s20
; %bb.1130:
	v_mov_b32_e32 v2, 0x7f
	v_cmp_lt_u32_e32 vcc_lo, 0x7f800000, v3
	s_delay_alu instid0(VALU_DEP_2)
	v_cndmask_b32_e32 v2, 0x7e, v2, vcc_lo
; %bb.1131:
	s_or_b32 exec_lo, exec_lo, s20
	global_store_b8 v[0:1], v2, off
.LBB323_1132:
	s_mov_b32 s20, 0
.LBB323_1133:
	s_delay_alu instid0(SALU_CYCLE_1)
	s_and_not1_b32 vcc_lo, exec_lo, s20
	s_cbranch_vccnz .LBB323_1143
; %bb.1134:
	s_wait_xcnt 0x0
	v_cndmask_b32_e64 v3, 0, 1.0, s1
	s_mov_b32 s20, exec_lo
                                        ; implicit-def: $vgpr2
	s_delay_alu instid0(VALU_DEP_1)
	v_cmpx_gt_u32_e32 0x47800000, v3
	s_xor_b32 s20, exec_lo, s20
	s_cbranch_execz .LBB323_1140
; %bb.1135:
	s_mov_b32 s21, exec_lo
                                        ; implicit-def: $vgpr2
	v_cmpx_lt_u32_e32 0x387fffff, v3
	s_xor_b32 s21, exec_lo, s21
; %bb.1136:
	v_bfe_u32 v2, v3, 21, 1
	s_delay_alu instid0(VALU_DEP_1) | instskip(NEXT) | instid1(VALU_DEP_1)
	v_add3_u32 v2, v3, v2, 0x80fffff
                                        ; implicit-def: $vgpr3
	v_lshrrev_b32_e32 v2, 21, v2
; %bb.1137:
	s_and_not1_saveexec_b32 s21, s21
; %bb.1138:
	v_add_f32_e32 v2, 0x43000000, v3
; %bb.1139:
	s_or_b32 exec_lo, exec_lo, s21
                                        ; implicit-def: $vgpr3
.LBB323_1140:
	s_and_not1_saveexec_b32 s20, s20
; %bb.1141:
	v_mov_b32_e32 v2, 0x7f
	v_cmp_lt_u32_e32 vcc_lo, 0x7f800000, v3
	s_delay_alu instid0(VALU_DEP_2)
	v_cndmask_b32_e32 v2, 0x7c, v2, vcc_lo
; %bb.1142:
	s_or_b32 exec_lo, exec_lo, s20
	global_store_b8 v[0:1], v2, off
.LBB323_1143:
	s_mov_b32 s20, 0
.LBB323_1144:
	s_delay_alu instid0(SALU_CYCLE_1)
	s_and_not1_b32 vcc_lo, exec_lo, s20
	s_mov_b32 s20, 0
	s_cbranch_vccnz .LBB323_1155
; %bb.1145:
	s_cmp_gt_i32 s15, 14
	s_mov_b32 s20, -1
	s_cbranch_scc0 .LBB323_1149
; %bb.1146:
	s_cmp_eq_u32 s15, 15
	s_mov_b32 s0, -1
	s_cbranch_scc0 .LBB323_1148
; %bb.1147:
	s_wait_xcnt 0x0
	v_cndmask_b32_e64 v2, 0, 1.0, s1
	s_mov_b32 s0, 0
	s_delay_alu instid0(VALU_DEP_1) | instskip(NEXT) | instid1(VALU_DEP_1)
	v_bfe_u32 v3, v2, 16, 1
	v_add3_u32 v2, v2, v3, 0x7fff
	global_store_d16_hi_b16 v[0:1], v2, off
.LBB323_1148:
	s_mov_b32 s20, 0
.LBB323_1149:
	s_delay_alu instid0(SALU_CYCLE_1)
	s_and_b32 vcc_lo, exec_lo, s20
	s_mov_b32 s20, 0
	s_cbranch_vccz .LBB323_1155
; %bb.1150:
	s_cmp_lg_u32 s15, 11
	s_mov_b32 s20, -1
	s_cselect_b32 s15, -1, 0
	s_and_not1_b32 s0, s0, exec_lo
	s_and_b32 s15, s15, exec_lo
	s_delay_alu instid0(SALU_CYCLE_1)
	s_or_b32 s0, s0, s15
	s_branch .LBB323_1155
.LBB323_1151:
	s_or_b32 exec_lo, exec_lo, s18
	s_and_saveexec_b32 s0, s17
	s_cbranch_execnz .LBB323_1156
.LBB323_1152:
	s_or_b32 exec_lo, exec_lo, s0
	s_and_saveexec_b32 s0, s20
	s_delay_alu instid0(SALU_CYCLE_1)
	s_xor_b32 s0, exec_lo, s0
	s_cbranch_execz .LBB323_1157
.LBB323_1153:
	s_wait_loadcnt 0x0
	v_cndmask_b32_e64 v2, 0, 1, s1
	global_store_b8 v[0:1], v2, off
	s_wait_xcnt 0x0
	s_or_b32 exec_lo, exec_lo, s0
	s_and_saveexec_b32 s0, s19
	s_delay_alu instid0(SALU_CYCLE_1)
	s_xor_b32 s0, exec_lo, s0
	s_cbranch_execz .LBB323_1195
	s_branch .LBB323_1158
.LBB323_1154:
	s_mov_b32 s20, 0
.LBB323_1155:
	s_and_not1_b32 s15, s17, exec_lo
	s_and_b32 s0, s0, exec_lo
	s_and_b32 s19, s19, exec_lo
	;; [unrolled: 1-line block ×3, first 2 shown]
	s_or_b32 s17, s15, s0
	s_wait_xcnt 0x0
	s_or_b32 exec_lo, exec_lo, s18
	s_and_saveexec_b32 s0, s17
	s_cbranch_execz .LBB323_1152
.LBB323_1156:
	s_or_b32 s2, s2, exec_lo
	s_and_not1_b32 s20, s20, exec_lo
	s_trap 2
	s_or_b32 exec_lo, exec_lo, s0
	s_and_saveexec_b32 s0, s20
	s_delay_alu instid0(SALU_CYCLE_1)
	s_xor_b32 s0, exec_lo, s0
	s_cbranch_execnz .LBB323_1153
.LBB323_1157:
	s_or_b32 exec_lo, exec_lo, s0
	s_and_saveexec_b32 s0, s19
	s_delay_alu instid0(SALU_CYCLE_1)
	s_xor_b32 s0, exec_lo, s0
	s_cbranch_execz .LBB323_1195
.LBB323_1158:
	s_sext_i32_i16 s17, s16
	s_mov_b32 s15, -1
	s_cmp_lt_i32 s17, 5
	s_cbranch_scc1 .LBB323_1179
; %bb.1159:
	s_cmp_lt_i32 s17, 8
	s_cbranch_scc1 .LBB323_1169
; %bb.1160:
	;; [unrolled: 3-line block ×3, first 2 shown]
	s_cmp_gt_i32 s17, 9
	s_cbranch_scc0 .LBB323_1163
; %bb.1162:
	s_wait_loadcnt 0x0
	v_cndmask_b32_e64 v2, 0, 1, s1
	v_mov_b32_e32 v4, 0
	s_mov_b32 s15, 0
	s_delay_alu instid0(VALU_DEP_2) | instskip(NEXT) | instid1(VALU_DEP_2)
	v_cvt_f64_u32_e32 v[2:3], v2
	v_mov_b32_e32 v5, v4
	global_store_b128 v[0:1], v[2:5], off
.LBB323_1163:
	s_and_not1_b32 vcc_lo, exec_lo, s15
	s_cbranch_vccnz .LBB323_1165
; %bb.1164:
	s_wait_loadcnt 0x0
	v_cndmask_b32_e64 v2, 0, 1.0, s1
	v_mov_b32_e32 v3, 0
	global_store_b64 v[0:1], v[2:3], off
.LBB323_1165:
	s_mov_b32 s15, 0
.LBB323_1166:
	s_delay_alu instid0(SALU_CYCLE_1)
	s_and_not1_b32 vcc_lo, exec_lo, s15
	s_cbranch_vccnz .LBB323_1168
; %bb.1167:
	s_wait_loadcnt 0x0
	v_cndmask_b32_e64 v2, 0, 1.0, s1
	s_delay_alu instid0(VALU_DEP_1) | instskip(NEXT) | instid1(VALU_DEP_1)
	v_cvt_f16_f32_e32 v2, v2
	v_and_b32_e32 v2, 0xffff, v2
	global_store_b32 v[0:1], v2, off
.LBB323_1168:
	s_mov_b32 s15, 0
.LBB323_1169:
	s_delay_alu instid0(SALU_CYCLE_1)
	s_and_not1_b32 vcc_lo, exec_lo, s15
	s_cbranch_vccnz .LBB323_1178
; %bb.1170:
	s_sext_i32_i16 s17, s16
	s_mov_b32 s15, -1
	s_cmp_lt_i32 s17, 6
	s_cbranch_scc1 .LBB323_1176
; %bb.1171:
	s_cmp_gt_i32 s17, 6
	s_cbranch_scc0 .LBB323_1173
; %bb.1172:
	s_wait_loadcnt 0x0
	v_cndmask_b32_e64 v2, 0, 1, s1
	s_mov_b32 s15, 0
	s_delay_alu instid0(VALU_DEP_1)
	v_cvt_f64_u32_e32 v[2:3], v2
	global_store_b64 v[0:1], v[2:3], off
.LBB323_1173:
	s_and_not1_b32 vcc_lo, exec_lo, s15
	s_cbranch_vccnz .LBB323_1175
; %bb.1174:
	s_wait_loadcnt 0x0
	v_cndmask_b32_e64 v2, 0, 1.0, s1
	global_store_b32 v[0:1], v2, off
.LBB323_1175:
	s_mov_b32 s15, 0
.LBB323_1176:
	s_delay_alu instid0(SALU_CYCLE_1)
	s_and_not1_b32 vcc_lo, exec_lo, s15
	s_cbranch_vccnz .LBB323_1178
; %bb.1177:
	s_wait_loadcnt 0x0
	v_cndmask_b32_e64 v2, 0, 1.0, s1
	s_delay_alu instid0(VALU_DEP_1)
	v_cvt_f16_f32_e32 v2, v2
	global_store_b16 v[0:1], v2, off
.LBB323_1178:
	s_mov_b32 s15, 0
.LBB323_1179:
	s_delay_alu instid0(SALU_CYCLE_1)
	s_and_not1_b32 vcc_lo, exec_lo, s15
	s_cbranch_vccnz .LBB323_1195
; %bb.1180:
	s_sext_i32_i16 s17, s16
	s_mov_b32 s15, -1
	s_cmp_lt_i32 s17, 2
	s_cbranch_scc1 .LBB323_1190
; %bb.1181:
	s_cmp_lt_i32 s17, 3
	s_cbranch_scc1 .LBB323_1187
; %bb.1182:
	s_cmp_gt_i32 s17, 3
	s_cbranch_scc0 .LBB323_1184
; %bb.1183:
	s_mov_b32 s15, 0
	s_wait_loadcnt 0x0
	v_cndmask_b32_e64 v2, 0, 1, s1
	v_mov_b32_e32 v3, s15
	global_store_b64 v[0:1], v[2:3], off
.LBB323_1184:
	s_and_not1_b32 vcc_lo, exec_lo, s15
	s_cbranch_vccnz .LBB323_1186
; %bb.1185:
	s_wait_loadcnt 0x0
	v_cndmask_b32_e64 v2, 0, 1, s1
	global_store_b32 v[0:1], v2, off
.LBB323_1186:
	s_mov_b32 s15, 0
.LBB323_1187:
	s_delay_alu instid0(SALU_CYCLE_1)
	s_and_not1_b32 vcc_lo, exec_lo, s15
	s_cbranch_vccnz .LBB323_1189
; %bb.1188:
	s_wait_loadcnt 0x0
	v_cndmask_b32_e64 v2, 0, 1, s1
	global_store_b16 v[0:1], v2, off
.LBB323_1189:
	s_mov_b32 s15, 0
.LBB323_1190:
	s_delay_alu instid0(SALU_CYCLE_1)
	s_and_not1_b32 vcc_lo, exec_lo, s15
	s_cbranch_vccnz .LBB323_1195
; %bb.1191:
	s_wait_loadcnt 0x0
	v_cndmask_b32_e64 v2, 0, 1, s1
	s_sext_i32_i16 s15, s16
	s_mov_b32 s1, -1
	s_cmp_gt_i32 s15, 0
	s_cbranch_scc0 .LBB323_1193
; %bb.1192:
	s_mov_b32 s1, 0
	global_store_b8 v[0:1], v2, off
.LBB323_1193:
	s_and_not1_b32 vcc_lo, exec_lo, s1
	s_cbranch_vccnz .LBB323_1195
; %bb.1194:
	global_store_b8 v[0:1], v2, off
.LBB323_1195:
	s_wait_xcnt 0x0
	s_or_b32 exec_lo, exec_lo, s0
	s_delay_alu instid0(SALU_CYCLE_1)
	s_and_b32 s15, s2, exec_lo
                                        ; implicit-def: $vgpr4
.LBB323_1196:
	s_or_saveexec_b32 s14, s14
	s_mov_b32 s0, 0
                                        ; implicit-def: $sgpr1
                                        ; implicit-def: $sgpr16
                                        ; implicit-def: $vgpr0_vgpr1
	s_xor_b32 exec_lo, exec_lo, s14
	s_cbranch_execz .LBB323_1206
; %bb.1197:
	v_mul_lo_u32 v0, s9, v4
	s_and_b32 s1, 0xffff, s13
	s_delay_alu instid0(SALU_CYCLE_1) | instskip(NEXT) | instid1(VALU_DEP_1)
	s_cmp_lt_i32 s1, 11
	v_ashrrev_i32_e32 v1, 31, v0
	s_wait_loadcnt 0x0
	s_delay_alu instid0(VALU_DEP_1)
	v_add_nc_u64_e32 v[2:3], s[6:7], v[0:1]
	s_cbranch_scc1 .LBB323_1209
; %bb.1198:
	s_cmp_gt_i32 s1, 25
	s_mov_b32 s13, 0
	s_cbranch_scc0 .LBB323_1211
; %bb.1199:
	s_cmp_gt_i32 s1, 28
	s_cbranch_scc0 .LBB323_1212
; %bb.1200:
	s_cmp_gt_i32 s1, 43
	;; [unrolled: 3-line block ×3, first 2 shown]
	s_cbranch_scc0 .LBB323_1214
; %bb.1202:
	s_cmp_eq_u32 s1, 46
	s_cbranch_scc0 .LBB323_1217
; %bb.1203:
	global_load_b32 v1, v[2:3], off
	s_mov_b32 s2, exec_lo
	s_wait_loadcnt 0x0
	v_dual_mov_b32 v5, 0xff :: v_dual_lshlrev_b32 v6, 16, v1
	s_delay_alu instid0(VALU_DEP_1) | instskip(SKIP_1) | instid1(VALU_DEP_1)
	v_bfe_u32 v7, v6, 23, 8
	s_wait_xcnt 0x0
	v_cmpx_ne_u32_e32 0xff, v7
	s_cbranch_execz .LBB323_1205
; %bb.1204:
	v_and_b32_e32 v5, 64, v1
	v_and_or_b32 v6, 0x3f0000, v6, v7
	v_bfe_u32 v1, v1, 7, 9
	s_delay_alu instid0(VALU_DEP_3) | instskip(NEXT) | instid1(VALU_DEP_3)
	v_cmp_ne_u32_e32 vcc_lo, 0, v5
	v_cmp_ne_u32_e64 s0, 0, v6
	s_and_b32 s0, vcc_lo, s0
	s_delay_alu instid0(SALU_CYCLE_1) | instskip(NEXT) | instid1(VALU_DEP_1)
	v_cndmask_b32_e64 v5, 0, 1, s0
	v_add_nc_u32_e32 v5, v1, v5
.LBB323_1205:
	s_or_b32 exec_lo, exec_lo, s2
	s_mov_b32 s2, 0
	s_mov_b32 s0, -1
	s_branch .LBB323_1219
.LBB323_1206:
	s_or_b32 exec_lo, exec_lo, s14
	s_and_saveexec_b32 s2, s15
	s_cbranch_execz .LBB323_2315
.LBB323_1207:
	; divergent unreachable
	s_or_b32 exec_lo, exec_lo, s2
	s_and_saveexec_b32 s2, s12
	s_delay_alu instid0(SALU_CYCLE_1)
	s_xor_b32 s2, exec_lo, s2
	s_cbranch_execnz .LBB323_2316
.LBB323_1208:
	s_or_b32 exec_lo, exec_lo, s2
	s_and_saveexec_b32 s2, s0
	s_cbranch_execnz .LBB323_2317
	s_branch .LBB323_2354
.LBB323_1209:
	s_mov_b32 s12, s15
                                        ; implicit-def: $vgpr5
	s_cbranch_execnz .LBB323_1299
.LBB323_1210:
	s_and_not1_b32 vcc_lo, exec_lo, s0
	s_cbranch_vccz .LBB323_1366
	s_branch .LBB323_2313
.LBB323_1211:
	s_mov_b32 s2, 0
                                        ; implicit-def: $vgpr5
	s_cbranch_execnz .LBB323_1256
	s_branch .LBB323_1293
.LBB323_1212:
	s_mov_b32 s2, 0
                                        ; implicit-def: $vgpr5
	s_cbranch_execz .LBB323_1255
	s_branch .LBB323_1230
.LBB323_1213:
	s_mov_b32 s2, 0
                                        ; implicit-def: $vgpr5
	s_cbranch_execnz .LBB323_1224
	s_branch .LBB323_1229
.LBB323_1214:
	s_mov_b32 s12, -1
	s_mov_b32 s2, 0
	s_branch .LBB323_1218
.LBB323_1215:
	s_and_not1_saveexec_b32 s21, s21
	s_cbranch_execz .LBB323_1106
.LBB323_1216:
	v_add_f32_e32 v2, 0x46000000, v3
	s_and_not1_b32 s20, s20, exec_lo
	s_delay_alu instid0(VALU_DEP_1) | instskip(NEXT) | instid1(VALU_DEP_1)
	v_and_b32_e32 v2, 0xff, v2
	v_cmp_ne_u32_e32 vcc_lo, 0, v2
	s_and_b32 s22, vcc_lo, exec_lo
	s_delay_alu instid0(SALU_CYCLE_1)
	s_or_b32 s20, s20, s22
	s_or_b32 exec_lo, exec_lo, s21
	v_mov_b32_e32 v4, 0
	s_and_saveexec_b32 s21, s20
	s_cbranch_execnz .LBB323_1107
	s_branch .LBB323_1108
.LBB323_1217:
	s_mov_b32 s2, -1
.LBB323_1218:
                                        ; implicit-def: $vgpr5
.LBB323_1219:
	s_and_b32 vcc_lo, exec_lo, s12
	s_cbranch_vccz .LBB323_1222
; %bb.1220:
	s_cmp_eq_u32 s1, 44
	s_cbranch_scc0 .LBB323_1223
; %bb.1221:
	global_load_u8 v5, v[2:3], off
	s_mov_b32 s2, 0
	s_mov_b32 s0, -1
.LBB323_1222:
	s_branch .LBB323_1229
.LBB323_1223:
	s_mov_b32 s2, -1
                                        ; implicit-def: $vgpr5
	s_branch .LBB323_1229
.LBB323_1224:
	s_cmp_eq_u32 s1, 29
	s_cbranch_scc0 .LBB323_1228
; %bb.1225:
	global_load_b64 v[6:7], v[2:3], off
	s_mov_b32 s2, exec_lo
	s_wait_loadcnt 0x0
	v_clz_i32_u32_e32 v1, v7
	s_delay_alu instid0(VALU_DEP_1) | instskip(NEXT) | instid1(VALU_DEP_1)
	v_min_u32_e32 v1, 32, v1
	v_lshlrev_b64_e32 v[6:7], v1, v[6:7]
	v_sub_nc_u32_e32 v1, 32, v1
	s_delay_alu instid0(VALU_DEP_2) | instskip(NEXT) | instid1(VALU_DEP_1)
	v_min_u32_e32 v5, 1, v6
	v_or_b32_e32 v5, v7, v5
	s_delay_alu instid0(VALU_DEP_1) | instskip(NEXT) | instid1(VALU_DEP_1)
	v_cvt_f32_u32_e32 v5, v5
	v_ldexp_f32 v6, v5, v1
	v_mov_b32_e32 v5, 0xff
	s_delay_alu instid0(VALU_DEP_2) | instskip(SKIP_1) | instid1(VALU_DEP_1)
	v_lshrrev_b32_e32 v1, 23, v6
	s_wait_xcnt 0x0
	v_cmpx_ne_u32_e32 0xff, v1
; %bb.1226:
	v_and_b32_e32 v5, 0x400000, v6
	v_and_or_b32 v6, 0x3fffff, v6, v1
	s_delay_alu instid0(VALU_DEP_2) | instskip(NEXT) | instid1(VALU_DEP_2)
	v_cmp_ne_u32_e32 vcc_lo, 0, v5
	v_cmp_ne_u32_e64 s0, 0, v6
	s_and_b32 s0, vcc_lo, s0
	s_delay_alu instid0(SALU_CYCLE_1) | instskip(NEXT) | instid1(VALU_DEP_1)
	v_cndmask_b32_e64 v5, 0, 1, s0
	v_add_nc_u32_e32 v5, v1, v5
; %bb.1227:
	s_or_b32 exec_lo, exec_lo, s2
	s_mov_b32 s2, 0
	s_mov_b32 s0, -1
	s_branch .LBB323_1229
.LBB323_1228:
	s_mov_b32 s2, -1
                                        ; implicit-def: $vgpr5
.LBB323_1229:
	s_branch .LBB323_1255
.LBB323_1230:
	s_cmp_lt_i32 s1, 27
	s_cbranch_scc1 .LBB323_1235
; %bb.1231:
	s_cmp_gt_i32 s1, 27
	s_cbranch_scc0 .LBB323_1236
; %bb.1232:
	global_load_b32 v1, v[2:3], off
	s_wait_loadcnt 0x1
	v_mov_b32_e32 v5, 0xff
	s_mov_b32 s12, exec_lo
	s_wait_loadcnt 0x0
	v_cvt_f32_u32_e32 v6, v1
	s_delay_alu instid0(VALU_DEP_1) | instskip(SKIP_1) | instid1(VALU_DEP_1)
	v_lshrrev_b32_e32 v1, 23, v6
	s_wait_xcnt 0x0
	v_cmpx_ne_u32_e32 0xff, v1
; %bb.1233:
	v_and_b32_e32 v5, 0x400000, v6
	v_and_or_b32 v6, 0x3fffff, v6, v1
	s_delay_alu instid0(VALU_DEP_2) | instskip(NEXT) | instid1(VALU_DEP_2)
	v_cmp_ne_u32_e32 vcc_lo, 0, v5
	v_cmp_ne_u32_e64 s0, 0, v6
	s_and_b32 s0, vcc_lo, s0
	s_delay_alu instid0(SALU_CYCLE_1) | instskip(NEXT) | instid1(VALU_DEP_1)
	v_cndmask_b32_e64 v5, 0, 1, s0
	v_add_nc_u32_e32 v5, v1, v5
; %bb.1234:
	s_or_b32 exec_lo, exec_lo, s12
	s_mov_b32 s0, 0
	s_branch .LBB323_1237
.LBB323_1235:
	s_mov_b32 s0, -1
                                        ; implicit-def: $vgpr5
	s_branch .LBB323_1242
.LBB323_1236:
	s_mov_b32 s0, -1
                                        ; implicit-def: $vgpr5
.LBB323_1237:
	s_delay_alu instid0(SALU_CYCLE_1)
	s_and_not1_b32 vcc_lo, exec_lo, s0
	s_cbranch_vccnz .LBB323_1241
; %bb.1238:
	global_load_u16 v1, v[2:3], off
	s_wait_loadcnt 0x1
	v_mov_b32_e32 v5, 0xff
	s_mov_b32 s12, exec_lo
	s_wait_loadcnt 0x0
	v_cvt_f32_u32_e32 v6, v1
	s_delay_alu instid0(VALU_DEP_1) | instskip(SKIP_1) | instid1(VALU_DEP_1)
	v_lshrrev_b32_e32 v1, 23, v6
	s_wait_xcnt 0x0
	v_cmpx_ne_u32_e32 0xff, v1
; %bb.1239:
	v_and_b32_e32 v5, 0x400000, v6
	v_and_or_b32 v6, 0x3fffff, v6, v1
	s_delay_alu instid0(VALU_DEP_2) | instskip(NEXT) | instid1(VALU_DEP_2)
	v_cmp_ne_u32_e32 vcc_lo, 0, v5
	v_cmp_ne_u32_e64 s0, 0, v6
	s_and_b32 s0, vcc_lo, s0
	s_delay_alu instid0(SALU_CYCLE_1) | instskip(NEXT) | instid1(VALU_DEP_1)
	v_cndmask_b32_e64 v5, 0, 1, s0
	v_add_nc_u32_e32 v5, v1, v5
; %bb.1240:
	s_or_b32 exec_lo, exec_lo, s12
.LBB323_1241:
	s_mov_b32 s0, 0
.LBB323_1242:
	s_delay_alu instid0(SALU_CYCLE_1)
	s_and_not1_b32 vcc_lo, exec_lo, s0
	s_cbranch_vccnz .LBB323_1254
; %bb.1243:
	global_load_u8 v1, v[2:3], off
	s_mov_b32 s0, 0
	s_mov_b32 s12, exec_lo
	s_wait_loadcnt 0x0
	v_cmpx_lt_i16_e32 0x7f, v1
	s_xor_b32 s12, exec_lo, s12
	s_cbranch_execz .LBB323_1247
; %bb.1244:
	s_mov_b32 s0, -1
	s_mov_b32 s16, exec_lo
	v_cmpx_eq_u16_e32 0x80, v1
; %bb.1245:
	s_xor_b32 s0, exec_lo, -1
; %bb.1246:
	s_or_b32 exec_lo, exec_lo, s16
	s_delay_alu instid0(SALU_CYCLE_1)
	s_and_b32 s0, s0, exec_lo
.LBB323_1247:
	s_or_saveexec_b32 s12, s12
	v_mov_b32_e32 v6, 0x7f800001
	v_and_b32_e32 v5, 0xffff, v1
	s_xor_b32 exec_lo, exec_lo, s12
; %bb.1248:
	v_cmp_ne_u16_e32 vcc_lo, 0, v1
	s_delay_alu instid0(VALU_DEP_2) | instskip(SKIP_2) | instid1(SALU_CYCLE_1)
	v_mov_b32_e32 v6, v5
	s_and_not1_b32 s0, s0, exec_lo
	s_and_b32 s16, vcc_lo, exec_lo
	s_or_b32 s0, s0, s16
; %bb.1249:
	s_or_b32 exec_lo, exec_lo, s12
	s_and_saveexec_b32 s12, s0
	s_cbranch_execz .LBB323_1251
; %bb.1250:
	v_and_b32_e32 v1, 7, v5
	s_delay_alu instid0(VALU_DEP_1) | instskip(NEXT) | instid1(VALU_DEP_1)
	v_clz_i32_u32_e32 v6, v1
	v_min_u32_e32 v6, 32, v6
	s_delay_alu instid0(VALU_DEP_1) | instskip(NEXT) | instid1(VALU_DEP_1)
	v_subrev_nc_u32_e32 v7, 28, v6
	v_lshlrev_b32_e32 v7, v7, v5
	v_bfe_u32 v5, v5, 3, 4
	s_delay_alu instid0(VALU_DEP_2) | instskip(NEXT) | instid1(VALU_DEP_2)
	v_dual_sub_nc_u32 v6, 29, v6 :: v_dual_bitop2_b32 v7, 7, v7 bitop3:0x40
	v_cmp_eq_u32_e32 vcc_lo, 0, v5
	s_delay_alu instid0(VALU_DEP_2) | instskip(NEXT) | instid1(VALU_DEP_1)
	v_cndmask_b32_e32 v1, v1, v7, vcc_lo
	v_dual_cndmask_b32 v5, v5, v6, vcc_lo :: v_dual_lshlrev_b32 v1, 20, v1
	s_delay_alu instid0(VALU_DEP_1) | instskip(NEXT) | instid1(VALU_DEP_1)
	v_lshl_or_b32 v1, v5, 23, v1
	v_add_nc_u32_e32 v6, 0x3b800000, v1
.LBB323_1251:
	s_or_b32 exec_lo, exec_lo, s12
	s_delay_alu instid0(VALU_DEP_1) | instskip(SKIP_2) | instid1(VALU_DEP_2)
	v_lshrrev_b32_e32 v1, 23, v6
	v_mov_b32_e32 v5, 0xff
	s_mov_b32 s12, exec_lo
	v_cmpx_ne_u32_e32 0xff, v1
; %bb.1252:
	v_and_b32_e32 v5, 0x400000, v6
	v_and_or_b32 v6, 0x3fffff, v6, v1
	s_delay_alu instid0(VALU_DEP_2) | instskip(NEXT) | instid1(VALU_DEP_2)
	v_cmp_ne_u32_e32 vcc_lo, 0, v5
	v_cmp_ne_u32_e64 s0, 0, v6
	s_and_b32 s0, vcc_lo, s0
	s_delay_alu instid0(SALU_CYCLE_1) | instskip(NEXT) | instid1(VALU_DEP_1)
	v_cndmask_b32_e64 v5, 0, 1, s0
	v_add_nc_u32_e32 v5, v1, v5
; %bb.1253:
	s_or_b32 exec_lo, exec_lo, s12
.LBB323_1254:
	s_mov_b32 s0, -1
.LBB323_1255:
	s_branch .LBB323_1293
.LBB323_1256:
	s_cmp_gt_i32 s1, 22
	s_cbranch_scc0 .LBB323_1270
; %bb.1257:
	s_cmp_lt_i32 s1, 24
	s_cbranch_scc1 .LBB323_1271
; %bb.1258:
	s_cmp_gt_i32 s1, 24
	s_cbranch_scc0 .LBB323_1272
; %bb.1259:
	global_load_u8 v1, v[2:3], off
	s_mov_b32 s0, 0
	s_mov_b32 s12, exec_lo
	s_wait_loadcnt 0x0
	v_cmpx_lt_i16_e32 0x7f, v1
	s_xor_b32 s12, exec_lo, s12
	s_cbranch_execz .LBB323_1263
; %bb.1260:
	s_mov_b32 s0, -1
	s_mov_b32 s13, exec_lo
	v_cmpx_eq_u16_e32 0x80, v1
; %bb.1261:
	s_xor_b32 s0, exec_lo, -1
; %bb.1262:
	s_or_b32 exec_lo, exec_lo, s13
	s_delay_alu instid0(SALU_CYCLE_1)
	s_and_b32 s0, s0, exec_lo
.LBB323_1263:
	s_or_saveexec_b32 s12, s12
	v_mov_b32_e32 v6, 0x7f800001
	v_and_b32_e32 v5, 0xffff, v1
	s_xor_b32 exec_lo, exec_lo, s12
; %bb.1264:
	v_cmp_ne_u16_e32 vcc_lo, 0, v1
	s_delay_alu instid0(VALU_DEP_2) | instskip(SKIP_2) | instid1(SALU_CYCLE_1)
	v_mov_b32_e32 v6, v5
	s_and_not1_b32 s0, s0, exec_lo
	s_and_b32 s13, vcc_lo, exec_lo
	s_or_b32 s0, s0, s13
; %bb.1265:
	s_or_b32 exec_lo, exec_lo, s12
	s_and_saveexec_b32 s12, s0
	s_cbranch_execz .LBB323_1267
; %bb.1266:
	v_and_b32_e32 v1, 3, v5
	s_delay_alu instid0(VALU_DEP_1) | instskip(NEXT) | instid1(VALU_DEP_1)
	v_clz_i32_u32_e32 v6, v1
	v_min_u32_e32 v6, 32, v6
	s_delay_alu instid0(VALU_DEP_1) | instskip(NEXT) | instid1(VALU_DEP_1)
	v_subrev_nc_u32_e32 v7, 29, v6
	v_lshlrev_b32_e32 v7, v7, v5
	v_bfe_u32 v5, v5, 2, 5
	s_delay_alu instid0(VALU_DEP_2) | instskip(NEXT) | instid1(VALU_DEP_2)
	v_dual_sub_nc_u32 v6, 30, v6 :: v_dual_bitop2_b32 v7, 3, v7 bitop3:0x40
	v_cmp_eq_u32_e32 vcc_lo, 0, v5
	s_delay_alu instid0(VALU_DEP_2) | instskip(NEXT) | instid1(VALU_DEP_1)
	v_cndmask_b32_e32 v1, v1, v7, vcc_lo
	v_dual_cndmask_b32 v5, v5, v6, vcc_lo :: v_dual_lshlrev_b32 v1, 21, v1
	s_delay_alu instid0(VALU_DEP_1) | instskip(NEXT) | instid1(VALU_DEP_1)
	v_lshl_or_b32 v1, v5, 23, v1
	v_add_nc_u32_e32 v6, 0x37800000, v1
.LBB323_1267:
	s_or_b32 exec_lo, exec_lo, s12
	s_delay_alu instid0(VALU_DEP_1) | instskip(SKIP_2) | instid1(VALU_DEP_2)
	v_lshrrev_b32_e32 v1, 23, v6
	v_mov_b32_e32 v5, 0xff
	s_mov_b32 s12, exec_lo
	v_cmpx_ne_u32_e32 0xff, v1
; %bb.1268:
	v_and_b32_e32 v5, 0x400000, v6
	v_and_or_b32 v6, 0x3fffff, v6, v1
	s_delay_alu instid0(VALU_DEP_2) | instskip(NEXT) | instid1(VALU_DEP_2)
	v_cmp_ne_u32_e32 vcc_lo, 0, v5
	v_cmp_ne_u32_e64 s0, 0, v6
	s_and_b32 s0, vcc_lo, s0
	s_delay_alu instid0(SALU_CYCLE_1) | instskip(NEXT) | instid1(VALU_DEP_1)
	v_cndmask_b32_e64 v5, 0, 1, s0
	v_add_nc_u32_e32 v5, v1, v5
; %bb.1269:
	s_or_b32 exec_lo, exec_lo, s12
	s_mov_b32 s0, 0
	s_branch .LBB323_1273
.LBB323_1270:
                                        ; implicit-def: $vgpr5
	s_mov_b32 s13, 0
	s_branch .LBB323_1283
.LBB323_1271:
	s_mov_b32 s0, -1
                                        ; implicit-def: $vgpr5
	s_branch .LBB323_1278
.LBB323_1272:
	s_mov_b32 s0, -1
                                        ; implicit-def: $vgpr5
.LBB323_1273:
	s_delay_alu instid0(SALU_CYCLE_1)
	s_and_b32 vcc_lo, exec_lo, s0
	s_cbranch_vccz .LBB323_1277
; %bb.1274:
	global_load_u8 v1, v[2:3], off
	s_mov_b32 s12, exec_lo
	s_wait_loadcnt 0x0
	v_lshlrev_b32_e32 v1, 24, v1
	s_delay_alu instid0(VALU_DEP_1) | instskip(NEXT) | instid1(VALU_DEP_1)
	v_and_b32_e32 v1, 0x7f000000, v1
	v_clz_i32_u32_e32 v5, v1
	v_add_nc_u32_e32 v7, 0x1000000, v1
	v_cmp_ne_u32_e32 vcc_lo, 0, v1
	s_delay_alu instid0(VALU_DEP_3) | instskip(NEXT) | instid1(VALU_DEP_1)
	v_min_u32_e32 v5, 32, v5
	v_sub_nc_u32_e64 v5, v5, 4 clamp
	s_delay_alu instid0(VALU_DEP_1) | instskip(NEXT) | instid1(VALU_DEP_1)
	v_lshlrev_b32_e32 v6, v5, v1
	v_dual_lshlrev_b32 v5, 23, v5 :: v_dual_lshrrev_b32 v6, 4, v6
	s_delay_alu instid0(VALU_DEP_1) | instskip(NEXT) | instid1(VALU_DEP_1)
	v_dual_sub_nc_u32 v5, v6, v5 :: v_dual_ashrrev_i32 v6, 8, v7
	v_add_nc_u32_e32 v5, 0x3c000000, v5
	s_delay_alu instid0(VALU_DEP_1) | instskip(NEXT) | instid1(VALU_DEP_1)
	v_and_or_b32 v5, 0x7f800000, v6, v5
	v_dual_cndmask_b32 v6, 0, v5 :: v_dual_mov_b32 v5, 0xff
	s_delay_alu instid0(VALU_DEP_1) | instskip(SKIP_1) | instid1(VALU_DEP_1)
	v_lshrrev_b32_e32 v1, 23, v6
	s_wait_xcnt 0x0
	v_cmpx_ne_u32_e32 0xff, v1
; %bb.1275:
	v_and_b32_e32 v5, 0x400000, v6
	v_and_or_b32 v6, 0x3fffff, v6, v1
	s_delay_alu instid0(VALU_DEP_2) | instskip(NEXT) | instid1(VALU_DEP_2)
	v_cmp_ne_u32_e32 vcc_lo, 0, v5
	v_cmp_ne_u32_e64 s0, 0, v6
	s_and_b32 s0, vcc_lo, s0
	s_delay_alu instid0(SALU_CYCLE_1) | instskip(NEXT) | instid1(VALU_DEP_1)
	v_cndmask_b32_e64 v5, 0, 1, s0
	v_add_nc_u32_e32 v5, v1, v5
; %bb.1276:
	s_or_b32 exec_lo, exec_lo, s12
.LBB323_1277:
	s_mov_b32 s0, 0
.LBB323_1278:
	s_delay_alu instid0(SALU_CYCLE_1)
	s_and_not1_b32 vcc_lo, exec_lo, s0
	s_cbranch_vccnz .LBB323_1282
; %bb.1279:
	global_load_u8 v1, v[2:3], off
	s_mov_b32 s12, exec_lo
	s_wait_loadcnt 0x0
	v_dual_lshlrev_b32 v5, 25, v1 :: v_dual_lshlrev_b32 v1, 8, v1
	s_delay_alu instid0(VALU_DEP_1) | instskip(NEXT) | instid1(VALU_DEP_2)
	v_lshrrev_b32_e32 v6, 4, v5
	v_and_or_b32 v1, 0x7f00, v1, 0.5
	v_cmp_gt_u32_e32 vcc_lo, 0x8000000, v5
	v_mov_b32_e32 v5, 0xff
	s_delay_alu instid0(VALU_DEP_4) | instskip(NEXT) | instid1(VALU_DEP_1)
	v_or_b32_e32 v6, 0x70000000, v6
	v_dual_add_f32 v1, -0.5, v1 :: v_dual_mul_f32 v6, 0x7800000, v6
	s_delay_alu instid0(VALU_DEP_1) | instskip(NEXT) | instid1(VALU_DEP_1)
	v_cndmask_b32_e32 v1, v6, v1, vcc_lo
	v_bfe_u32 v6, v1, 23, 8
	s_wait_xcnt 0x0
	s_delay_alu instid0(VALU_DEP_1)
	v_cmpx_ne_u32_e32 0xff, v6
	s_cbranch_execz .LBB323_1281
; %bb.1280:
	v_and_b32_e32 v5, 0x400000, v1
	v_and_or_b32 v6, 0x3fffff, v1, v6
	v_lshrrev_b32_e32 v1, 23, v1
	s_delay_alu instid0(VALU_DEP_3) | instskip(NEXT) | instid1(VALU_DEP_3)
	v_cmp_ne_u32_e32 vcc_lo, 0, v5
	v_cmp_ne_u32_e64 s0, 0, v6
	s_and_b32 s0, vcc_lo, s0
	s_delay_alu instid0(SALU_CYCLE_1) | instskip(NEXT) | instid1(VALU_DEP_1)
	v_cndmask_b32_e64 v5, 0, 1, s0
	v_add_nc_u32_e32 v5, v1, v5
.LBB323_1281:
	s_or_b32 exec_lo, exec_lo, s12
.LBB323_1282:
	s_mov_b32 s0, -1
	s_mov_b32 s13, 0
	s_cbranch_execnz .LBB323_1293
.LBB323_1283:
	s_cmp_gt_i32 s1, 14
	s_cbranch_scc0 .LBB323_1288
; %bb.1284:
	s_cmp_eq_u32 s1, 15
	s_cbranch_scc0 .LBB323_1289
; %bb.1285:
	global_load_u16 v1, v[2:3], off
	s_wait_loadcnt 0x1
	v_mov_b32_e32 v5, 0xff
	s_mov_b32 s2, exec_lo
	s_wait_loadcnt 0x0
	v_bfe_u32 v6, v1, 7, 8
	s_wait_xcnt 0x0
	s_delay_alu instid0(VALU_DEP_1)
	v_cmpx_ne_u32_e32 0xff, v6
	s_cbranch_execz .LBB323_1287
; %bb.1286:
	v_dual_lshlrev_b32 v5, 16, v1 :: v_dual_bitop2_b32 v7, 64, v1 bitop3:0x40
	v_lshrrev_b32_e32 v1, 7, v1
	s_delay_alu instid0(VALU_DEP_2) | instskip(NEXT) | instid1(VALU_DEP_3)
	v_and_or_b32 v5, 0x3f0000, v5, v6
	v_cmp_ne_u32_e32 vcc_lo, 0, v7
	s_delay_alu instid0(VALU_DEP_2) | instskip(SKIP_1) | instid1(SALU_CYCLE_1)
	v_cmp_ne_u32_e64 s0, 0, v5
	s_and_b32 s0, vcc_lo, s0
	v_cndmask_b32_e64 v5, 0, 1, s0
	s_delay_alu instid0(VALU_DEP_1)
	v_add_nc_u32_e32 v5, v1, v5
.LBB323_1287:
	s_or_b32 exec_lo, exec_lo, s2
	s_mov_b32 s2, 0
	s_mov_b32 s0, -1
	s_branch .LBB323_1290
.LBB323_1288:
	s_mov_b32 s12, -1
                                        ; implicit-def: $vgpr5
	s_branch .LBB323_1291
.LBB323_1289:
	s_mov_b32 s2, -1
                                        ; implicit-def: $vgpr5
.LBB323_1290:
	s_mov_b32 s12, 0
.LBB323_1291:
	s_delay_alu instid0(SALU_CYCLE_1)
	s_and_b32 vcc_lo, exec_lo, s12
	s_cbranch_vccz .LBB323_1293
; %bb.1292:
	s_cmp_lg_u32 s1, 11
	s_mov_b32 s13, -1
	s_cselect_b32 s2, -1, 0
.LBB323_1293:
	s_delay_alu instid0(SALU_CYCLE_1)
	s_and_b32 vcc_lo, exec_lo, s2
	s_mov_b32 s12, s15
	s_cbranch_vccnz .LBB323_1380
; %bb.1294:
	s_and_not1_b32 vcc_lo, exec_lo, s13
	s_cbranch_vccnz .LBB323_1298
.LBB323_1295:
	global_load_u8 v1, v[2:3], off
	s_wait_loadcnt 0x1
	v_mov_b32_e32 v5, 0xff
	s_mov_b32 s2, exec_lo
	s_wait_loadcnt 0x0
	v_cmp_ne_u16_e32 vcc_lo, 0, v1
	v_cndmask_b32_e64 v6, 0, 1.0, vcc_lo
	s_delay_alu instid0(VALU_DEP_1) | instskip(SKIP_1) | instid1(VALU_DEP_1)
	v_lshrrev_b32_e32 v1, 23, v6
	s_wait_xcnt 0x0
	v_cmpx_ne_u32_e32 0xff, v1
; %bb.1296:
	v_and_b32_e32 v5, 0x400000, v6
	v_and_or_b32 v6, 0x3fffff, v6, v1
	s_delay_alu instid0(VALU_DEP_2) | instskip(NEXT) | instid1(VALU_DEP_2)
	v_cmp_ne_u32_e32 vcc_lo, 0, v5
	v_cmp_ne_u32_e64 s0, 0, v6
	s_and_b32 s0, vcc_lo, s0
	s_delay_alu instid0(SALU_CYCLE_1) | instskip(NEXT) | instid1(VALU_DEP_1)
	v_cndmask_b32_e64 v5, 0, 1, s0
	v_add_nc_u32_e32 v5, v1, v5
; %bb.1297:
	s_or_b32 exec_lo, exec_lo, s2
	s_mov_b32 s0, -1
.LBB323_1298:
	s_branch .LBB323_1210
.LBB323_1299:
	s_cmp_lt_i32 s1, 5
	s_cbranch_scc1 .LBB323_1306
; %bb.1300:
	s_cmp_lt_i32 s1, 8
	s_cbranch_scc1 .LBB323_1307
; %bb.1301:
	;; [unrolled: 3-line block ×3, first 2 shown]
	s_cmp_gt_i32 s1, 9
	s_cbranch_scc0 .LBB323_1309
; %bb.1303:
	global_load_b64 v[6:7], v[2:3], off
	s_wait_loadcnt 0x1
	v_mov_b32_e32 v5, 0xff
	s_mov_b32 s2, exec_lo
	s_wait_loadcnt 0x0
	v_cvt_f32_f64_e32 v1, v[6:7]
	s_delay_alu instid0(VALU_DEP_1) | instskip(SKIP_1) | instid1(VALU_DEP_1)
	v_bfe_u32 v6, v1, 23, 8
	s_wait_xcnt 0x0
	v_cmpx_ne_u32_e32 0xff, v6
	s_cbranch_execz .LBB323_1305
; %bb.1304:
	v_and_b32_e32 v5, 0x400000, v1
	v_and_or_b32 v6, 0x3fffff, v1, v6
	v_lshrrev_b32_e32 v1, 23, v1
	s_delay_alu instid0(VALU_DEP_3) | instskip(NEXT) | instid1(VALU_DEP_3)
	v_cmp_ne_u32_e32 vcc_lo, 0, v5
	v_cmp_ne_u32_e64 s0, 0, v6
	s_and_b32 s0, vcc_lo, s0
	s_delay_alu instid0(SALU_CYCLE_1) | instskip(NEXT) | instid1(VALU_DEP_1)
	v_cndmask_b32_e64 v5, 0, 1, s0
	v_add_nc_u32_e32 v5, v1, v5
.LBB323_1305:
	s_or_b32 exec_lo, exec_lo, s2
	s_mov_b32 s0, 0
	s_branch .LBB323_1310
.LBB323_1306:
                                        ; implicit-def: $vgpr5
	s_branch .LBB323_1337
.LBB323_1307:
                                        ; implicit-def: $vgpr5
	s_branch .LBB323_1320
.LBB323_1308:
	s_mov_b32 s0, -1
                                        ; implicit-def: $vgpr5
	s_branch .LBB323_1315
.LBB323_1309:
	s_mov_b32 s0, -1
                                        ; implicit-def: $vgpr5
.LBB323_1310:
	s_delay_alu instid0(SALU_CYCLE_1)
	s_and_not1_b32 vcc_lo, exec_lo, s0
	s_cbranch_vccnz .LBB323_1314
; %bb.1311:
	global_load_b32 v1, v[2:3], off
	s_wait_loadcnt 0x1
	v_mov_b32_e32 v5, 0xff
	s_mov_b32 s2, exec_lo
	s_wait_loadcnt 0x0
	v_bfe_u32 v6, v1, 23, 8
	s_wait_xcnt 0x0
	s_delay_alu instid0(VALU_DEP_1)
	v_cmpx_ne_u32_e32 0xff, v6
	s_cbranch_execz .LBB323_1313
; %bb.1312:
	v_and_b32_e32 v5, 0x400000, v1
	v_and_or_b32 v6, 0x3fffff, v1, v6
	v_lshrrev_b32_e32 v1, 23, v1
	s_delay_alu instid0(VALU_DEP_3) | instskip(NEXT) | instid1(VALU_DEP_3)
	v_cmp_ne_u32_e32 vcc_lo, 0, v5
	v_cmp_ne_u32_e64 s0, 0, v6
	s_and_b32 s0, vcc_lo, s0
	s_delay_alu instid0(SALU_CYCLE_1) | instskip(NEXT) | instid1(VALU_DEP_1)
	v_cndmask_b32_e64 v5, 0, 1, s0
	v_add_nc_u32_e32 v5, v1, v5
.LBB323_1313:
	s_or_b32 exec_lo, exec_lo, s2
.LBB323_1314:
	s_mov_b32 s0, 0
.LBB323_1315:
	s_delay_alu instid0(SALU_CYCLE_1)
	s_and_not1_b32 vcc_lo, exec_lo, s0
	s_cbranch_vccnz .LBB323_1319
; %bb.1316:
	global_load_b32 v1, v[2:3], off
	s_wait_loadcnt 0x1
	v_mov_b32_e32 v5, 0xff
	s_mov_b32 s2, exec_lo
	s_wait_loadcnt 0x0
	v_cvt_f32_f16_e32 v1, v1
	s_delay_alu instid0(VALU_DEP_1) | instskip(SKIP_1) | instid1(VALU_DEP_1)
	v_bfe_u32 v6, v1, 23, 8
	s_wait_xcnt 0x0
	v_cmpx_ne_u32_e32 0xff, v6
	s_cbranch_execz .LBB323_1318
; %bb.1317:
	v_and_b32_e32 v5, 0x400000, v1
	v_and_or_b32 v6, 0x3fffff, v1, v6
	v_lshrrev_b32_e32 v1, 23, v1
	s_delay_alu instid0(VALU_DEP_3) | instskip(NEXT) | instid1(VALU_DEP_3)
	v_cmp_ne_u32_e32 vcc_lo, 0, v5
	v_cmp_ne_u32_e64 s0, 0, v6
	s_and_b32 s0, vcc_lo, s0
	s_delay_alu instid0(SALU_CYCLE_1) | instskip(NEXT) | instid1(VALU_DEP_1)
	v_cndmask_b32_e64 v5, 0, 1, s0
	v_add_nc_u32_e32 v5, v1, v5
.LBB323_1318:
	s_or_b32 exec_lo, exec_lo, s2
.LBB323_1319:
	s_cbranch_execnz .LBB323_1336
.LBB323_1320:
	s_cmp_lt_i32 s1, 6
	s_cbranch_scc1 .LBB323_1325
; %bb.1321:
	s_cmp_gt_i32 s1, 6
	s_cbranch_scc0 .LBB323_1326
; %bb.1322:
	global_load_b64 v[6:7], v[2:3], off
	s_wait_loadcnt 0x1
	v_mov_b32_e32 v5, 0xff
	s_mov_b32 s2, exec_lo
	s_wait_loadcnt 0x0
	v_cvt_f32_f64_e32 v1, v[6:7]
	s_delay_alu instid0(VALU_DEP_1) | instskip(SKIP_1) | instid1(VALU_DEP_1)
	v_bfe_u32 v6, v1, 23, 8
	s_wait_xcnt 0x0
	v_cmpx_ne_u32_e32 0xff, v6
	s_cbranch_execz .LBB323_1324
; %bb.1323:
	v_and_b32_e32 v5, 0x400000, v1
	v_and_or_b32 v6, 0x3fffff, v1, v6
	v_lshrrev_b32_e32 v1, 23, v1
	s_delay_alu instid0(VALU_DEP_3) | instskip(NEXT) | instid1(VALU_DEP_3)
	v_cmp_ne_u32_e32 vcc_lo, 0, v5
	v_cmp_ne_u32_e64 s0, 0, v6
	s_and_b32 s0, vcc_lo, s0
	s_delay_alu instid0(SALU_CYCLE_1) | instskip(NEXT) | instid1(VALU_DEP_1)
	v_cndmask_b32_e64 v5, 0, 1, s0
	v_add_nc_u32_e32 v5, v1, v5
.LBB323_1324:
	s_or_b32 exec_lo, exec_lo, s2
	s_mov_b32 s0, 0
	s_branch .LBB323_1327
.LBB323_1325:
	s_mov_b32 s0, -1
                                        ; implicit-def: $vgpr5
	s_branch .LBB323_1332
.LBB323_1326:
	s_mov_b32 s0, -1
                                        ; implicit-def: $vgpr5
.LBB323_1327:
	s_delay_alu instid0(SALU_CYCLE_1)
	s_and_not1_b32 vcc_lo, exec_lo, s0
	s_cbranch_vccnz .LBB323_1331
; %bb.1328:
	global_load_b32 v1, v[2:3], off
	s_wait_loadcnt 0x1
	v_mov_b32_e32 v5, 0xff
	s_mov_b32 s2, exec_lo
	s_wait_loadcnt 0x0
	v_bfe_u32 v6, v1, 23, 8
	s_wait_xcnt 0x0
	s_delay_alu instid0(VALU_DEP_1)
	v_cmpx_ne_u32_e32 0xff, v6
	s_cbranch_execz .LBB323_1330
; %bb.1329:
	v_and_b32_e32 v5, 0x400000, v1
	v_and_or_b32 v6, 0x3fffff, v1, v6
	v_lshrrev_b32_e32 v1, 23, v1
	s_delay_alu instid0(VALU_DEP_3) | instskip(NEXT) | instid1(VALU_DEP_3)
	v_cmp_ne_u32_e32 vcc_lo, 0, v5
	v_cmp_ne_u32_e64 s0, 0, v6
	s_and_b32 s0, vcc_lo, s0
	s_delay_alu instid0(SALU_CYCLE_1) | instskip(NEXT) | instid1(VALU_DEP_1)
	v_cndmask_b32_e64 v5, 0, 1, s0
	v_add_nc_u32_e32 v5, v1, v5
.LBB323_1330:
	s_or_b32 exec_lo, exec_lo, s2
.LBB323_1331:
	s_mov_b32 s0, 0
.LBB323_1332:
	s_delay_alu instid0(SALU_CYCLE_1)
	s_and_not1_b32 vcc_lo, exec_lo, s0
	s_cbranch_vccnz .LBB323_1336
; %bb.1333:
	global_load_u16 v1, v[2:3], off
	s_wait_loadcnt 0x1
	v_mov_b32_e32 v5, 0xff
	s_mov_b32 s2, exec_lo
	s_wait_loadcnt 0x0
	v_cvt_f32_f16_e32 v1, v1
	s_delay_alu instid0(VALU_DEP_1) | instskip(SKIP_1) | instid1(VALU_DEP_1)
	v_bfe_u32 v6, v1, 23, 8
	s_wait_xcnt 0x0
	v_cmpx_ne_u32_e32 0xff, v6
	s_cbranch_execz .LBB323_1335
; %bb.1334:
	v_and_b32_e32 v5, 0x400000, v1
	v_and_or_b32 v6, 0x3fffff, v1, v6
	v_lshrrev_b32_e32 v1, 23, v1
	s_delay_alu instid0(VALU_DEP_3) | instskip(NEXT) | instid1(VALU_DEP_3)
	v_cmp_ne_u32_e32 vcc_lo, 0, v5
	v_cmp_ne_u32_e64 s0, 0, v6
	s_and_b32 s0, vcc_lo, s0
	s_delay_alu instid0(SALU_CYCLE_1) | instskip(NEXT) | instid1(VALU_DEP_1)
	v_cndmask_b32_e64 v5, 0, 1, s0
	v_add_nc_u32_e32 v5, v1, v5
.LBB323_1335:
	s_or_b32 exec_lo, exec_lo, s2
.LBB323_1336:
	s_cbranch_execnz .LBB323_1365
.LBB323_1337:
	s_cmp_lt_i32 s1, 2
	s_cbranch_scc1 .LBB323_1343
; %bb.1338:
	s_cmp_lt_i32 s1, 3
	s_cbranch_scc1 .LBB323_1344
; %bb.1339:
	s_cmp_gt_i32 s1, 3
	s_cbranch_scc0 .LBB323_1345
; %bb.1340:
	global_load_b64 v[6:7], v[2:3], off
	s_mov_b32 s2, exec_lo
	s_wait_loadcnt 0x0
	v_xor_b32_e32 v1, v6, v7
	v_cls_i32_e32 v5, v7
	s_delay_alu instid0(VALU_DEP_2) | instskip(NEXT) | instid1(VALU_DEP_1)
	v_ashrrev_i32_e32 v1, 31, v1
	v_add_nc_u32_e32 v1, 32, v1
	s_delay_alu instid0(VALU_DEP_1) | instskip(NEXT) | instid1(VALU_DEP_1)
	v_add_min_u32_e64 v1, v5, -1, v1
	v_lshlrev_b64_e32 v[6:7], v1, v[6:7]
	v_sub_nc_u32_e32 v1, 32, v1
	s_delay_alu instid0(VALU_DEP_2) | instskip(NEXT) | instid1(VALU_DEP_1)
	v_min_u32_e32 v5, 1, v6
	v_or_b32_e32 v5, v7, v5
	s_delay_alu instid0(VALU_DEP_1) | instskip(NEXT) | instid1(VALU_DEP_1)
	v_cvt_f32_i32_e32 v5, v5
	v_ldexp_f32 v1, v5, v1
	v_mov_b32_e32 v5, 0xff
	s_delay_alu instid0(VALU_DEP_2) | instskip(SKIP_1) | instid1(VALU_DEP_1)
	v_bfe_u32 v6, v1, 23, 8
	s_wait_xcnt 0x0
	v_cmpx_ne_u32_e32 0xff, v6
	s_cbranch_execz .LBB323_1342
; %bb.1341:
	v_and_b32_e32 v5, 0x400000, v1
	v_and_or_b32 v6, 0x3fffff, v1, v6
	v_lshrrev_b32_e32 v1, 23, v1
	s_delay_alu instid0(VALU_DEP_3) | instskip(NEXT) | instid1(VALU_DEP_3)
	v_cmp_ne_u32_e32 vcc_lo, 0, v5
	v_cmp_ne_u32_e64 s0, 0, v6
	s_and_b32 s0, vcc_lo, s0
	s_delay_alu instid0(SALU_CYCLE_1) | instskip(NEXT) | instid1(VALU_DEP_1)
	v_cndmask_b32_e64 v5, 0, 1, s0
	v_add_nc_u32_e32 v5, v1, v5
.LBB323_1342:
	s_or_b32 exec_lo, exec_lo, s2
	s_mov_b32 s0, 0
	s_branch .LBB323_1346
.LBB323_1343:
                                        ; implicit-def: $vgpr5
	s_branch .LBB323_1356
.LBB323_1344:
	s_mov_b32 s0, -1
                                        ; implicit-def: $vgpr5
	s_branch .LBB323_1351
.LBB323_1345:
	s_mov_b32 s0, -1
                                        ; implicit-def: $vgpr5
.LBB323_1346:
	s_delay_alu instid0(SALU_CYCLE_1)
	s_and_not1_b32 vcc_lo, exec_lo, s0
	s_cbranch_vccnz .LBB323_1350
; %bb.1347:
	global_load_b32 v1, v[2:3], off
	s_wait_loadcnt 0x1
	v_mov_b32_e32 v5, 0xff
	s_mov_b32 s2, exec_lo
	s_wait_loadcnt 0x0
	v_cvt_f32_i32_e32 v1, v1
	s_delay_alu instid0(VALU_DEP_1) | instskip(SKIP_1) | instid1(VALU_DEP_1)
	v_bfe_u32 v6, v1, 23, 8
	s_wait_xcnt 0x0
	v_cmpx_ne_u32_e32 0xff, v6
	s_cbranch_execz .LBB323_1349
; %bb.1348:
	v_and_b32_e32 v5, 0x400000, v1
	v_and_or_b32 v6, 0x3fffff, v1, v6
	v_lshrrev_b32_e32 v1, 23, v1
	s_delay_alu instid0(VALU_DEP_3) | instskip(NEXT) | instid1(VALU_DEP_3)
	v_cmp_ne_u32_e32 vcc_lo, 0, v5
	v_cmp_ne_u32_e64 s0, 0, v6
	s_and_b32 s0, vcc_lo, s0
	s_delay_alu instid0(SALU_CYCLE_1) | instskip(NEXT) | instid1(VALU_DEP_1)
	v_cndmask_b32_e64 v5, 0, 1, s0
	v_add_nc_u32_e32 v5, v1, v5
.LBB323_1349:
	s_or_b32 exec_lo, exec_lo, s2
.LBB323_1350:
	s_mov_b32 s0, 0
.LBB323_1351:
	s_delay_alu instid0(SALU_CYCLE_1)
	s_and_not1_b32 vcc_lo, exec_lo, s0
	s_cbranch_vccnz .LBB323_1355
; %bb.1352:
	global_load_i16 v1, v[2:3], off
	s_wait_loadcnt 0x1
	v_mov_b32_e32 v5, 0xff
	s_mov_b32 s2, exec_lo
	s_wait_loadcnt 0x0
	v_cvt_f32_i32_e32 v1, v1
	s_delay_alu instid0(VALU_DEP_1) | instskip(SKIP_1) | instid1(VALU_DEP_1)
	v_bfe_u32 v6, v1, 23, 8
	s_wait_xcnt 0x0
	v_cmpx_ne_u32_e32 0xff, v6
	s_cbranch_execz .LBB323_1354
; %bb.1353:
	v_and_b32_e32 v5, 0x400000, v1
	v_and_or_b32 v6, 0x3fffff, v1, v6
	v_lshrrev_b32_e32 v1, 23, v1
	s_delay_alu instid0(VALU_DEP_3) | instskip(NEXT) | instid1(VALU_DEP_3)
	v_cmp_ne_u32_e32 vcc_lo, 0, v5
	v_cmp_ne_u32_e64 s0, 0, v6
	s_and_b32 s0, vcc_lo, s0
	s_delay_alu instid0(SALU_CYCLE_1) | instskip(NEXT) | instid1(VALU_DEP_1)
	v_cndmask_b32_e64 v5, 0, 1, s0
	v_add_nc_u32_e32 v5, v1, v5
.LBB323_1354:
	s_or_b32 exec_lo, exec_lo, s2
.LBB323_1355:
	s_cbranch_execnz .LBB323_1365
.LBB323_1356:
	s_cmp_gt_i32 s1, 0
	s_cbranch_scc0 .LBB323_1360
; %bb.1357:
	global_load_i8 v1, v[2:3], off
	s_wait_loadcnt 0x1
	v_mov_b32_e32 v5, 0xff
	s_mov_b32 s2, exec_lo
	s_wait_loadcnt 0x0
	v_cvt_f32_i32_e32 v1, v1
	s_delay_alu instid0(VALU_DEP_1) | instskip(SKIP_1) | instid1(VALU_DEP_1)
	v_bfe_u32 v6, v1, 23, 8
	s_wait_xcnt 0x0
	v_cmpx_ne_u32_e32 0xff, v6
	s_cbranch_execz .LBB323_1359
; %bb.1358:
	v_and_b32_e32 v5, 0x400000, v1
	v_and_or_b32 v6, 0x3fffff, v1, v6
	v_lshrrev_b32_e32 v1, 23, v1
	s_delay_alu instid0(VALU_DEP_3) | instskip(NEXT) | instid1(VALU_DEP_3)
	v_cmp_ne_u32_e32 vcc_lo, 0, v5
	v_cmp_ne_u32_e64 s0, 0, v6
	s_and_b32 s0, vcc_lo, s0
	s_delay_alu instid0(SALU_CYCLE_1) | instskip(NEXT) | instid1(VALU_DEP_1)
	v_cndmask_b32_e64 v5, 0, 1, s0
	v_add_nc_u32_e32 v5, v1, v5
.LBB323_1359:
	s_or_b32 exec_lo, exec_lo, s2
	s_mov_b32 s0, 0
	s_branch .LBB323_1361
.LBB323_1360:
	s_mov_b32 s0, -1
                                        ; implicit-def: $vgpr5
.LBB323_1361:
	s_delay_alu instid0(SALU_CYCLE_1)
	s_and_not1_b32 vcc_lo, exec_lo, s0
	s_cbranch_vccnz .LBB323_1365
; %bb.1362:
	global_load_u8 v1, v[2:3], off
	s_wait_loadcnt 0x1
	v_mov_b32_e32 v5, 0xff
	s_mov_b32 s2, exec_lo
	s_wait_loadcnt 0x0
	v_cvt_f32_ubyte0_e32 v2, v1
	s_delay_alu instid0(VALU_DEP_1) | instskip(NEXT) | instid1(VALU_DEP_1)
	v_lshrrev_b32_e32 v1, 23, v2
	v_cmpx_ne_u32_e32 0xff, v1
; %bb.1363:
	v_and_b32_e32 v3, 0x400000, v2
	v_and_or_b32 v2, 0x3fffff, v2, v1
	s_delay_alu instid0(VALU_DEP_2) | instskip(NEXT) | instid1(VALU_DEP_2)
	v_cmp_ne_u32_e32 vcc_lo, 0, v3
	v_cmp_ne_u32_e64 s0, 0, v2
	s_and_b32 s0, vcc_lo, s0
	s_delay_alu instid0(SALU_CYCLE_1) | instskip(NEXT) | instid1(VALU_DEP_1)
	v_cndmask_b32_e64 v2, 0, 1, s0
	v_add_nc_u32_e32 v5, v1, v2
; %bb.1364:
	s_or_b32 exec_lo, exec_lo, s2
.LBB323_1365:
.LBB323_1366:
	s_lshl_b32 s2, s9, 7
	s_cmp_lt_i32 s1, 11
	v_add_nc_u32_e32 v0, s2, v0
	s_delay_alu instid0(VALU_DEP_1) | instskip(SKIP_1) | instid1(VALU_DEP_1)
	v_ashrrev_i32_e32 v1, 31, v0
	s_wait_xcnt 0x0
	v_add_nc_u64_e32 v[2:3], s[6:7], v[0:1]
	s_cbranch_scc1 .LBB323_1375
; %bb.1367:
	s_cmp_gt_i32 s1, 25
	s_mov_b32 s13, 0
	s_cbranch_scc0 .LBB323_1377
; %bb.1368:
	s_cmp_gt_i32 s1, 28
	s_cbranch_scc0 .LBB323_1378
; %bb.1369:
	s_cmp_gt_i32 s1, 43
	;; [unrolled: 3-line block ×3, first 2 shown]
	s_cbranch_scc0 .LBB323_1381
; %bb.1371:
	s_cmp_eq_u32 s1, 46
	s_mov_b32 s16, 0
	s_cbranch_scc0 .LBB323_1384
; %bb.1372:
	global_load_b32 v1, v[2:3], off
	s_mov_b32 s9, exec_lo
	s_wait_loadcnt 0x0
	v_dual_mov_b32 v6, 0xff :: v_dual_lshlrev_b32 v7, 16, v1
	s_delay_alu instid0(VALU_DEP_1) | instskip(SKIP_1) | instid1(VALU_DEP_1)
	v_bfe_u32 v8, v7, 23, 8
	s_wait_xcnt 0x0
	v_cmpx_ne_u32_e32 0xff, v8
	s_cbranch_execz .LBB323_1374
; %bb.1373:
	v_and_b32_e32 v6, 64, v1
	v_and_or_b32 v7, 0x3f0000, v7, v8
	v_bfe_u32 v1, v1, 7, 9
	s_delay_alu instid0(VALU_DEP_3) | instskip(NEXT) | instid1(VALU_DEP_3)
	v_cmp_ne_u32_e32 vcc_lo, 0, v6
	v_cmp_ne_u32_e64 s0, 0, v7
	s_and_b32 s0, vcc_lo, s0
	s_delay_alu instid0(SALU_CYCLE_1) | instskip(NEXT) | instid1(VALU_DEP_1)
	v_cndmask_b32_e64 v6, 0, 1, s0
	v_add_nc_u32_e32 v6, v1, v6
.LBB323_1374:
	s_or_b32 exec_lo, exec_lo, s9
	s_mov_b32 s9, 0
	s_mov_b32 s0, -1
	s_branch .LBB323_1386
.LBB323_1375:
	s_mov_b32 s0, 0
                                        ; implicit-def: $vgpr6
	s_cbranch_execnz .LBB323_1469
.LBB323_1376:
	s_and_not1_b32 vcc_lo, exec_lo, s0
	s_cbranch_vccz .LBB323_1538
	s_branch .LBB323_2313
.LBB323_1377:
	s_mov_b32 s0, 0
	s_mov_b32 s9, 0
                                        ; implicit-def: $vgpr6
	s_cbranch_execnz .LBB323_1425
	s_branch .LBB323_1463
.LBB323_1378:
	s_mov_b32 s16, -1
	s_mov_b32 s0, 0
	s_mov_b32 s9, 0
                                        ; implicit-def: $vgpr6
	s_branch .LBB323_1398
.LBB323_1379:
	s_mov_b32 s16, -1
	s_mov_b32 s0, 0
	s_mov_b32 s9, 0
                                        ; implicit-def: $vgpr6
	s_branch .LBB323_1391
.LBB323_1380:
	s_or_b32 s12, s15, exec_lo
	s_trap 2
	s_cbranch_execz .LBB323_1295
	s_branch .LBB323_1298
.LBB323_1381:
	s_mov_b32 s16, -1
	s_mov_b32 s0, 0
	s_mov_b32 s9, 0
	s_branch .LBB323_1385
.LBB323_1382:
	s_and_not1_saveexec_b32 s22, s22
	s_cbranch_execz .LBB323_1118
.LBB323_1383:
	v_add_f32_e32 v2, 0x42800000, v3
	s_and_not1_b32 s21, s21, exec_lo
	s_delay_alu instid0(VALU_DEP_1) | instskip(NEXT) | instid1(VALU_DEP_1)
	v_and_b32_e32 v2, 0xff, v2
	v_cmp_ne_u32_e32 vcc_lo, 0, v2
	s_and_b32 s23, vcc_lo, exec_lo
	s_delay_alu instid0(SALU_CYCLE_1)
	s_or_b32 s21, s21, s23
	s_or_b32 exec_lo, exec_lo, s22
	v_mov_b32_e32 v4, 0
	s_and_saveexec_b32 s22, s21
	s_cbranch_execnz .LBB323_1119
	s_branch .LBB323_1120
.LBB323_1384:
	s_mov_b32 s9, -1
	s_mov_b32 s0, 0
.LBB323_1385:
                                        ; implicit-def: $vgpr6
.LBB323_1386:
	s_and_b32 vcc_lo, exec_lo, s16
	s_cbranch_vccz .LBB323_1390
; %bb.1387:
	s_cmp_eq_u32 s1, 44
	s_cbranch_scc0 .LBB323_1389
; %bb.1388:
	global_load_u8 v6, v[2:3], off
	s_mov_b32 s9, 0
	s_mov_b32 s0, -1
	s_branch .LBB323_1390
.LBB323_1389:
	s_mov_b32 s9, -1
                                        ; implicit-def: $vgpr6
.LBB323_1390:
	s_mov_b32 s16, 0
.LBB323_1391:
	s_delay_alu instid0(SALU_CYCLE_1)
	s_and_b32 vcc_lo, exec_lo, s16
	s_cbranch_vccz .LBB323_1397
; %bb.1392:
	s_cmp_eq_u32 s1, 29
	s_cbranch_scc0 .LBB323_1396
; %bb.1393:
	s_wait_loadcnt 0x0
	global_load_b64 v[6:7], v[2:3], off
	s_mov_b32 s9, exec_lo
	s_wait_loadcnt 0x0
	v_clz_i32_u32_e32 v1, v7
	s_delay_alu instid0(VALU_DEP_1) | instskip(NEXT) | instid1(VALU_DEP_1)
	v_min_u32_e32 v1, 32, v1
	v_lshlrev_b64_e32 v[6:7], v1, v[6:7]
	v_sub_nc_u32_e32 v1, 32, v1
	s_delay_alu instid0(VALU_DEP_2) | instskip(NEXT) | instid1(VALU_DEP_1)
	v_min_u32_e32 v6, 1, v6
	v_or_b32_e32 v6, v7, v6
	s_delay_alu instid0(VALU_DEP_1) | instskip(NEXT) | instid1(VALU_DEP_1)
	v_cvt_f32_u32_e32 v6, v6
	v_ldexp_f32 v7, v6, v1
	s_delay_alu instid0(VALU_DEP_1) | instskip(SKIP_1) | instid1(VALU_DEP_1)
	v_dual_mov_b32 v6, 0xff :: v_dual_lshrrev_b32 v1, 23, v7
	s_wait_xcnt 0x0
	v_cmpx_ne_u32_e32 0xff, v1
; %bb.1394:
	v_and_b32_e32 v6, 0x400000, v7
	v_and_or_b32 v7, 0x3fffff, v7, v1
	s_delay_alu instid0(VALU_DEP_2) | instskip(NEXT) | instid1(VALU_DEP_2)
	v_cmp_ne_u32_e32 vcc_lo, 0, v6
	v_cmp_ne_u32_e64 s0, 0, v7
	s_and_b32 s0, vcc_lo, s0
	s_delay_alu instid0(SALU_CYCLE_1) | instskip(NEXT) | instid1(VALU_DEP_1)
	v_cndmask_b32_e64 v6, 0, 1, s0
	v_add_nc_u32_e32 v6, v1, v6
; %bb.1395:
	s_or_b32 exec_lo, exec_lo, s9
	s_mov_b32 s9, 0
	s_mov_b32 s0, -1
	s_branch .LBB323_1397
.LBB323_1396:
	s_mov_b32 s9, -1
                                        ; implicit-def: $vgpr6
.LBB323_1397:
	s_mov_b32 s16, 0
.LBB323_1398:
	s_delay_alu instid0(SALU_CYCLE_1)
	s_and_b32 vcc_lo, exec_lo, s16
	s_cbranch_vccz .LBB323_1424
; %bb.1399:
	s_cmp_lt_i32 s1, 27
	s_cbranch_scc1 .LBB323_1404
; %bb.1400:
	s_cmp_gt_i32 s1, 27
	s_cbranch_scc0 .LBB323_1405
; %bb.1401:
	global_load_b32 v1, v[2:3], off
	s_mov_b32 s16, exec_lo
	s_wait_loadcnt 0x1
	v_mov_b32_e32 v6, 0xff
	s_wait_loadcnt 0x0
	v_cvt_f32_u32_e32 v7, v1
	s_delay_alu instid0(VALU_DEP_1) | instskip(SKIP_1) | instid1(VALU_DEP_1)
	v_lshrrev_b32_e32 v1, 23, v7
	s_wait_xcnt 0x0
	v_cmpx_ne_u32_e32 0xff, v1
; %bb.1402:
	v_and_b32_e32 v6, 0x400000, v7
	v_and_or_b32 v7, 0x3fffff, v7, v1
	s_delay_alu instid0(VALU_DEP_2) | instskip(NEXT) | instid1(VALU_DEP_2)
	v_cmp_ne_u32_e32 vcc_lo, 0, v6
	v_cmp_ne_u32_e64 s0, 0, v7
	s_and_b32 s0, vcc_lo, s0
	s_delay_alu instid0(SALU_CYCLE_1) | instskip(NEXT) | instid1(VALU_DEP_1)
	v_cndmask_b32_e64 v6, 0, 1, s0
	v_add_nc_u32_e32 v6, v1, v6
; %bb.1403:
	s_or_b32 exec_lo, exec_lo, s16
	s_mov_b32 s0, 0
	s_branch .LBB323_1406
.LBB323_1404:
	s_mov_b32 s0, -1
                                        ; implicit-def: $vgpr6
	s_branch .LBB323_1411
.LBB323_1405:
	s_mov_b32 s0, -1
                                        ; implicit-def: $vgpr6
.LBB323_1406:
	s_delay_alu instid0(SALU_CYCLE_1)
	s_and_not1_b32 vcc_lo, exec_lo, s0
	s_cbranch_vccnz .LBB323_1410
; %bb.1407:
	global_load_u16 v1, v[2:3], off
	s_mov_b32 s16, exec_lo
	s_wait_loadcnt 0x1
	v_mov_b32_e32 v6, 0xff
	s_wait_loadcnt 0x0
	v_cvt_f32_u32_e32 v7, v1
	s_delay_alu instid0(VALU_DEP_1) | instskip(SKIP_1) | instid1(VALU_DEP_1)
	v_lshrrev_b32_e32 v1, 23, v7
	s_wait_xcnt 0x0
	v_cmpx_ne_u32_e32 0xff, v1
; %bb.1408:
	v_and_b32_e32 v6, 0x400000, v7
	v_and_or_b32 v7, 0x3fffff, v7, v1
	s_delay_alu instid0(VALU_DEP_2) | instskip(NEXT) | instid1(VALU_DEP_2)
	v_cmp_ne_u32_e32 vcc_lo, 0, v6
	v_cmp_ne_u32_e64 s0, 0, v7
	s_and_b32 s0, vcc_lo, s0
	s_delay_alu instid0(SALU_CYCLE_1) | instskip(NEXT) | instid1(VALU_DEP_1)
	v_cndmask_b32_e64 v6, 0, 1, s0
	v_add_nc_u32_e32 v6, v1, v6
; %bb.1409:
	s_or_b32 exec_lo, exec_lo, s16
.LBB323_1410:
	s_mov_b32 s0, 0
.LBB323_1411:
	s_delay_alu instid0(SALU_CYCLE_1)
	s_and_not1_b32 vcc_lo, exec_lo, s0
	s_cbranch_vccnz .LBB323_1423
; %bb.1412:
	global_load_u8 v1, v[2:3], off
	s_mov_b32 s0, 0
	s_mov_b32 s16, exec_lo
	s_wait_loadcnt 0x0
	v_cmpx_lt_i16_e32 0x7f, v1
	s_xor_b32 s16, exec_lo, s16
	s_cbranch_execz .LBB323_1416
; %bb.1413:
	s_mov_b32 s0, -1
	s_mov_b32 s17, exec_lo
	v_cmpx_eq_u16_e32 0x80, v1
; %bb.1414:
	s_xor_b32 s0, exec_lo, -1
; %bb.1415:
	s_or_b32 exec_lo, exec_lo, s17
	s_delay_alu instid0(SALU_CYCLE_1)
	s_and_b32 s0, s0, exec_lo
.LBB323_1416:
	s_or_saveexec_b32 s16, s16
	v_mov_b32_e32 v7, 0x7f800001
	v_and_b32_e32 v6, 0xffff, v1
	s_xor_b32 exec_lo, exec_lo, s16
; %bb.1417:
	v_cmp_ne_u16_e32 vcc_lo, 0, v1
	s_delay_alu instid0(VALU_DEP_2) | instskip(SKIP_2) | instid1(SALU_CYCLE_1)
	v_mov_b32_e32 v7, v6
	s_and_not1_b32 s0, s0, exec_lo
	s_and_b32 s17, vcc_lo, exec_lo
	s_or_b32 s0, s0, s17
; %bb.1418:
	s_or_b32 exec_lo, exec_lo, s16
	s_and_saveexec_b32 s16, s0
	s_cbranch_execz .LBB323_1420
; %bb.1419:
	v_and_b32_e32 v1, 7, v6
	s_delay_alu instid0(VALU_DEP_1) | instskip(NEXT) | instid1(VALU_DEP_1)
	v_clz_i32_u32_e32 v7, v1
	v_min_u32_e32 v7, 32, v7
	s_delay_alu instid0(VALU_DEP_1) | instskip(NEXT) | instid1(VALU_DEP_1)
	v_subrev_nc_u32_e32 v8, 28, v7
	v_lshlrev_b32_e32 v8, v8, v6
	v_bfe_u32 v6, v6, 3, 4
	s_delay_alu instid0(VALU_DEP_2) | instskip(NEXT) | instid1(VALU_DEP_2)
	v_dual_sub_nc_u32 v7, 29, v7 :: v_dual_bitop2_b32 v8, 7, v8 bitop3:0x40
	v_cmp_eq_u32_e32 vcc_lo, 0, v6
	s_delay_alu instid0(VALU_DEP_2) | instskip(NEXT) | instid1(VALU_DEP_1)
	v_dual_cndmask_b32 v6, v6, v7 :: v_dual_cndmask_b32 v1, v1, v8
	v_lshlrev_b32_e32 v1, 20, v1
	s_delay_alu instid0(VALU_DEP_1) | instskip(NEXT) | instid1(VALU_DEP_1)
	v_lshl_or_b32 v1, v6, 23, v1
	v_add_nc_u32_e32 v7, 0x3b800000, v1
.LBB323_1420:
	s_or_b32 exec_lo, exec_lo, s16
	s_delay_alu instid0(VALU_DEP_1) | instskip(SKIP_1) | instid1(VALU_DEP_1)
	v_dual_mov_b32 v6, 0xff :: v_dual_lshrrev_b32 v1, 23, v7
	s_mov_b32 s16, exec_lo
	v_cmpx_ne_u32_e32 0xff, v1
; %bb.1421:
	v_and_b32_e32 v6, 0x400000, v7
	v_and_or_b32 v7, 0x3fffff, v7, v1
	s_delay_alu instid0(VALU_DEP_2) | instskip(NEXT) | instid1(VALU_DEP_2)
	v_cmp_ne_u32_e32 vcc_lo, 0, v6
	v_cmp_ne_u32_e64 s0, 0, v7
	s_and_b32 s0, vcc_lo, s0
	s_delay_alu instid0(SALU_CYCLE_1) | instskip(NEXT) | instid1(VALU_DEP_1)
	v_cndmask_b32_e64 v6, 0, 1, s0
	v_add_nc_u32_e32 v6, v1, v6
; %bb.1422:
	s_or_b32 exec_lo, exec_lo, s16
.LBB323_1423:
	s_mov_b32 s0, -1
.LBB323_1424:
	s_branch .LBB323_1463
.LBB323_1425:
	s_cmp_gt_i32 s1, 22
	s_cbranch_scc0 .LBB323_1439
; %bb.1426:
	s_cmp_lt_i32 s1, 24
	s_cbranch_scc1 .LBB323_1440
; %bb.1427:
	s_cmp_gt_i32 s1, 24
	s_cbranch_scc0 .LBB323_1441
; %bb.1428:
	global_load_u8 v1, v[2:3], off
	s_mov_b32 s0, 0
	s_mov_b32 s13, exec_lo
	s_wait_loadcnt 0x0
	v_cmpx_lt_i16_e32 0x7f, v1
	s_xor_b32 s13, exec_lo, s13
	s_cbranch_execz .LBB323_1432
; %bb.1429:
	s_mov_b32 s0, -1
	s_mov_b32 s16, exec_lo
	v_cmpx_eq_u16_e32 0x80, v1
; %bb.1430:
	s_xor_b32 s0, exec_lo, -1
; %bb.1431:
	s_or_b32 exec_lo, exec_lo, s16
	s_delay_alu instid0(SALU_CYCLE_1)
	s_and_b32 s0, s0, exec_lo
.LBB323_1432:
	s_or_saveexec_b32 s13, s13
	v_mov_b32_e32 v7, 0x7f800001
	v_and_b32_e32 v6, 0xffff, v1
	s_xor_b32 exec_lo, exec_lo, s13
; %bb.1433:
	v_cmp_ne_u16_e32 vcc_lo, 0, v1
	s_delay_alu instid0(VALU_DEP_2) | instskip(SKIP_2) | instid1(SALU_CYCLE_1)
	v_mov_b32_e32 v7, v6
	s_and_not1_b32 s0, s0, exec_lo
	s_and_b32 s16, vcc_lo, exec_lo
	s_or_b32 s0, s0, s16
; %bb.1434:
	s_or_b32 exec_lo, exec_lo, s13
	s_and_saveexec_b32 s13, s0
	s_cbranch_execz .LBB323_1436
; %bb.1435:
	v_and_b32_e32 v1, 3, v6
	s_delay_alu instid0(VALU_DEP_1) | instskip(NEXT) | instid1(VALU_DEP_1)
	v_clz_i32_u32_e32 v7, v1
	v_min_u32_e32 v7, 32, v7
	s_delay_alu instid0(VALU_DEP_1) | instskip(NEXT) | instid1(VALU_DEP_1)
	v_subrev_nc_u32_e32 v8, 29, v7
	v_lshlrev_b32_e32 v8, v8, v6
	v_bfe_u32 v6, v6, 2, 5
	s_delay_alu instid0(VALU_DEP_2) | instskip(NEXT) | instid1(VALU_DEP_2)
	v_dual_sub_nc_u32 v7, 30, v7 :: v_dual_bitop2_b32 v8, 3, v8 bitop3:0x40
	v_cmp_eq_u32_e32 vcc_lo, 0, v6
	s_delay_alu instid0(VALU_DEP_2) | instskip(NEXT) | instid1(VALU_DEP_1)
	v_dual_cndmask_b32 v6, v6, v7 :: v_dual_cndmask_b32 v1, v1, v8
	v_lshlrev_b32_e32 v1, 21, v1
	s_delay_alu instid0(VALU_DEP_1) | instskip(NEXT) | instid1(VALU_DEP_1)
	v_lshl_or_b32 v1, v6, 23, v1
	v_add_nc_u32_e32 v7, 0x37800000, v1
.LBB323_1436:
	s_or_b32 exec_lo, exec_lo, s13
	s_delay_alu instid0(VALU_DEP_1) | instskip(SKIP_1) | instid1(VALU_DEP_1)
	v_dual_mov_b32 v6, 0xff :: v_dual_lshrrev_b32 v1, 23, v7
	s_mov_b32 s13, exec_lo
	v_cmpx_ne_u32_e32 0xff, v1
; %bb.1437:
	v_and_b32_e32 v6, 0x400000, v7
	v_and_or_b32 v7, 0x3fffff, v7, v1
	s_delay_alu instid0(VALU_DEP_2) | instskip(NEXT) | instid1(VALU_DEP_2)
	v_cmp_ne_u32_e32 vcc_lo, 0, v6
	v_cmp_ne_u32_e64 s0, 0, v7
	s_and_b32 s0, vcc_lo, s0
	s_delay_alu instid0(SALU_CYCLE_1) | instskip(NEXT) | instid1(VALU_DEP_1)
	v_cndmask_b32_e64 v6, 0, 1, s0
	v_add_nc_u32_e32 v6, v1, v6
; %bb.1438:
	s_or_b32 exec_lo, exec_lo, s13
	s_mov_b32 s0, 0
	s_branch .LBB323_1442
.LBB323_1439:
	s_mov_b32 s13, -1
                                        ; implicit-def: $vgpr6
	s_branch .LBB323_1452
.LBB323_1440:
	s_mov_b32 s0, -1
                                        ; implicit-def: $vgpr6
	s_branch .LBB323_1447
.LBB323_1441:
	s_mov_b32 s0, -1
                                        ; implicit-def: $vgpr6
.LBB323_1442:
	s_delay_alu instid0(SALU_CYCLE_1)
	s_and_b32 vcc_lo, exec_lo, s0
	s_cbranch_vccz .LBB323_1446
; %bb.1443:
	global_load_u8 v1, v[2:3], off
	s_mov_b32 s13, exec_lo
	s_wait_loadcnt 0x0
	v_lshlrev_b32_e32 v1, 24, v1
	s_delay_alu instid0(VALU_DEP_1) | instskip(NEXT) | instid1(VALU_DEP_1)
	v_and_b32_e32 v1, 0x7f000000, v1
	v_clz_i32_u32_e32 v6, v1
	v_cmp_ne_u32_e32 vcc_lo, 0, v1
	v_add_nc_u32_e32 v8, 0x1000000, v1
	s_delay_alu instid0(VALU_DEP_3) | instskip(NEXT) | instid1(VALU_DEP_1)
	v_min_u32_e32 v6, 32, v6
	v_sub_nc_u32_e64 v6, v6, 4 clamp
	s_delay_alu instid0(VALU_DEP_1) | instskip(NEXT) | instid1(VALU_DEP_1)
	v_dual_lshlrev_b32 v7, v6, v1 :: v_dual_lshlrev_b32 v6, 23, v6
	v_lshrrev_b32_e32 v7, 4, v7
	s_delay_alu instid0(VALU_DEP_1) | instskip(NEXT) | instid1(VALU_DEP_1)
	v_dual_sub_nc_u32 v6, v7, v6 :: v_dual_ashrrev_i32 v7, 8, v8
	v_add_nc_u32_e32 v6, 0x3c000000, v6
	s_delay_alu instid0(VALU_DEP_1) | instskip(NEXT) | instid1(VALU_DEP_1)
	v_and_or_b32 v6, 0x7f800000, v7, v6
	v_dual_cndmask_b32 v7, 0, v6 :: v_dual_mov_b32 v6, 0xff
	s_delay_alu instid0(VALU_DEP_1) | instskip(SKIP_1) | instid1(VALU_DEP_1)
	v_lshrrev_b32_e32 v1, 23, v7
	s_wait_xcnt 0x0
	v_cmpx_ne_u32_e32 0xff, v1
; %bb.1444:
	v_and_b32_e32 v6, 0x400000, v7
	v_and_or_b32 v7, 0x3fffff, v7, v1
	s_delay_alu instid0(VALU_DEP_2) | instskip(NEXT) | instid1(VALU_DEP_2)
	v_cmp_ne_u32_e32 vcc_lo, 0, v6
	v_cmp_ne_u32_e64 s0, 0, v7
	s_and_b32 s0, vcc_lo, s0
	s_delay_alu instid0(SALU_CYCLE_1) | instskip(NEXT) | instid1(VALU_DEP_1)
	v_cndmask_b32_e64 v6, 0, 1, s0
	v_add_nc_u32_e32 v6, v1, v6
; %bb.1445:
	s_or_b32 exec_lo, exec_lo, s13
.LBB323_1446:
	s_mov_b32 s0, 0
.LBB323_1447:
	s_delay_alu instid0(SALU_CYCLE_1)
	s_and_not1_b32 vcc_lo, exec_lo, s0
	s_cbranch_vccnz .LBB323_1451
; %bb.1448:
	global_load_u8 v1, v[2:3], off
	s_mov_b32 s13, exec_lo
	s_wait_loadcnt 0x0
	v_dual_lshlrev_b32 v6, 25, v1 :: v_dual_lshlrev_b32 v1, 8, v1
	s_delay_alu instid0(VALU_DEP_1) | instskip(NEXT) | instid1(VALU_DEP_2)
	v_cmp_gt_u32_e32 vcc_lo, 0x8000000, v6
	v_and_or_b32 v1, 0x7f00, v1, 0.5
	v_dual_mov_b32 v6, 0xff :: v_dual_lshrrev_b32 v7, 4, v6
	s_delay_alu instid0(VALU_DEP_2) | instskip(NEXT) | instid1(VALU_DEP_2)
	v_add_f32_e32 v1, -0.5, v1
	v_or_b32_e32 v7, 0x70000000, v7
	s_delay_alu instid0(VALU_DEP_1) | instskip(NEXT) | instid1(VALU_DEP_1)
	v_mul_f32_e32 v7, 0x7800000, v7
	v_cndmask_b32_e32 v1, v7, v1, vcc_lo
	s_delay_alu instid0(VALU_DEP_1) | instskip(SKIP_1) | instid1(VALU_DEP_1)
	v_bfe_u32 v7, v1, 23, 8
	s_wait_xcnt 0x0
	v_cmpx_ne_u32_e32 0xff, v7
	s_cbranch_execz .LBB323_1450
; %bb.1449:
	v_and_b32_e32 v6, 0x400000, v1
	v_and_or_b32 v7, 0x3fffff, v1, v7
	v_lshrrev_b32_e32 v1, 23, v1
	s_delay_alu instid0(VALU_DEP_3) | instskip(NEXT) | instid1(VALU_DEP_3)
	v_cmp_ne_u32_e32 vcc_lo, 0, v6
	v_cmp_ne_u32_e64 s0, 0, v7
	s_and_b32 s0, vcc_lo, s0
	s_delay_alu instid0(SALU_CYCLE_1) | instskip(NEXT) | instid1(VALU_DEP_1)
	v_cndmask_b32_e64 v6, 0, 1, s0
	v_add_nc_u32_e32 v6, v1, v6
.LBB323_1450:
	s_or_b32 exec_lo, exec_lo, s13
.LBB323_1451:
	s_mov_b32 s13, 0
	s_mov_b32 s0, -1
.LBB323_1452:
	s_and_not1_b32 vcc_lo, exec_lo, s13
	s_mov_b32 s13, 0
	s_cbranch_vccnz .LBB323_1463
; %bb.1453:
	s_cmp_gt_i32 s1, 14
	s_cbranch_scc0 .LBB323_1458
; %bb.1454:
	s_cmp_eq_u32 s1, 15
	s_cbranch_scc0 .LBB323_1459
; %bb.1455:
	global_load_u16 v1, v[2:3], off
	s_wait_loadcnt 0x1
	v_mov_b32_e32 v6, 0xff
	s_mov_b32 s9, exec_lo
	s_wait_loadcnt 0x0
	v_bfe_u32 v7, v1, 7, 8
	s_wait_xcnt 0x0
	s_delay_alu instid0(VALU_DEP_1)
	v_cmpx_ne_u32_e32 0xff, v7
	s_cbranch_execz .LBB323_1457
; %bb.1456:
	v_dual_lshlrev_b32 v6, 16, v1 :: v_dual_bitop2_b32 v8, 64, v1 bitop3:0x40
	v_lshrrev_b32_e32 v1, 7, v1
	s_delay_alu instid0(VALU_DEP_2) | instskip(NEXT) | instid1(VALU_DEP_3)
	v_and_or_b32 v6, 0x3f0000, v6, v7
	v_cmp_ne_u32_e32 vcc_lo, 0, v8
	s_delay_alu instid0(VALU_DEP_2) | instskip(SKIP_1) | instid1(SALU_CYCLE_1)
	v_cmp_ne_u32_e64 s0, 0, v6
	s_and_b32 s0, vcc_lo, s0
	v_cndmask_b32_e64 v6, 0, 1, s0
	s_delay_alu instid0(VALU_DEP_1)
	v_add_nc_u32_e32 v6, v1, v6
.LBB323_1457:
	s_or_b32 exec_lo, exec_lo, s9
	s_mov_b32 s9, 0
	s_mov_b32 s0, -1
	s_branch .LBB323_1461
.LBB323_1458:
	s_mov_b32 s13, -1
	s_branch .LBB323_1460
.LBB323_1459:
	s_mov_b32 s9, -1
.LBB323_1460:
                                        ; implicit-def: $vgpr6
.LBB323_1461:
	s_and_b32 vcc_lo, exec_lo, s13
	s_mov_b32 s13, 0
	s_cbranch_vccz .LBB323_1463
; %bb.1462:
	s_cmp_lg_u32 s1, 11
	s_mov_b32 s13, -1
	s_cselect_b32 s9, -1, 0
.LBB323_1463:
	s_delay_alu instid0(SALU_CYCLE_1)
	s_and_b32 vcc_lo, exec_lo, s9
	s_cbranch_vccnz .LBB323_1552
; %bb.1464:
	s_and_not1_b32 vcc_lo, exec_lo, s13
	s_cbranch_vccnz .LBB323_1468
.LBB323_1465:
	global_load_u8 v1, v[2:3], off
	s_mov_b32 s9, exec_lo
	s_wait_loadcnt 0x1
	v_mov_b32_e32 v6, 0xff
	s_wait_loadcnt 0x0
	v_cmp_ne_u16_e32 vcc_lo, 0, v1
	v_cndmask_b32_e64 v7, 0, 1.0, vcc_lo
	s_delay_alu instid0(VALU_DEP_1) | instskip(SKIP_1) | instid1(VALU_DEP_1)
	v_lshrrev_b32_e32 v1, 23, v7
	s_wait_xcnt 0x0
	v_cmpx_ne_u32_e32 0xff, v1
; %bb.1466:
	v_and_b32_e32 v6, 0x400000, v7
	v_and_or_b32 v7, 0x3fffff, v7, v1
	s_delay_alu instid0(VALU_DEP_2) | instskip(NEXT) | instid1(VALU_DEP_2)
	v_cmp_ne_u32_e32 vcc_lo, 0, v6
	v_cmp_ne_u32_e64 s0, 0, v7
	s_and_b32 s0, vcc_lo, s0
	s_delay_alu instid0(SALU_CYCLE_1) | instskip(NEXT) | instid1(VALU_DEP_1)
	v_cndmask_b32_e64 v6, 0, 1, s0
	v_add_nc_u32_e32 v6, v1, v6
; %bb.1467:
	s_or_b32 exec_lo, exec_lo, s9
	s_mov_b32 s0, -1
.LBB323_1468:
	s_branch .LBB323_1376
.LBB323_1469:
	s_cmp_lt_i32 s1, 5
	s_cbranch_scc1 .LBB323_1476
; %bb.1470:
	s_cmp_lt_i32 s1, 8
	s_cbranch_scc1 .LBB323_1477
; %bb.1471:
	;; [unrolled: 3-line block ×3, first 2 shown]
	s_cmp_gt_i32 s1, 9
	s_cbranch_scc0 .LBB323_1479
; %bb.1473:
	s_wait_loadcnt 0x0
	global_load_b64 v[6:7], v[2:3], off
	s_mov_b32 s9, exec_lo
	s_wait_loadcnt 0x0
	v_cvt_f32_f64_e32 v1, v[6:7]
	v_mov_b32_e32 v6, 0xff
	s_delay_alu instid0(VALU_DEP_2) | instskip(SKIP_1) | instid1(VALU_DEP_1)
	v_bfe_u32 v7, v1, 23, 8
	s_wait_xcnt 0x0
	v_cmpx_ne_u32_e32 0xff, v7
	s_cbranch_execz .LBB323_1475
; %bb.1474:
	v_and_b32_e32 v6, 0x400000, v1
	v_and_or_b32 v7, 0x3fffff, v1, v7
	v_lshrrev_b32_e32 v1, 23, v1
	s_delay_alu instid0(VALU_DEP_3) | instskip(NEXT) | instid1(VALU_DEP_3)
	v_cmp_ne_u32_e32 vcc_lo, 0, v6
	v_cmp_ne_u32_e64 s0, 0, v7
	s_and_b32 s0, vcc_lo, s0
	s_delay_alu instid0(SALU_CYCLE_1) | instskip(NEXT) | instid1(VALU_DEP_1)
	v_cndmask_b32_e64 v6, 0, 1, s0
	v_add_nc_u32_e32 v6, v1, v6
.LBB323_1475:
	s_or_b32 exec_lo, exec_lo, s9
	s_mov_b32 s0, 0
	s_branch .LBB323_1480
.LBB323_1476:
                                        ; implicit-def: $vgpr6
	s_branch .LBB323_1508
.LBB323_1477:
	s_mov_b32 s0, -1
                                        ; implicit-def: $vgpr6
	s_branch .LBB323_1490
.LBB323_1478:
	s_mov_b32 s0, -1
                                        ; implicit-def: $vgpr6
	s_branch .LBB323_1485
.LBB323_1479:
	s_mov_b32 s0, -1
                                        ; implicit-def: $vgpr6
.LBB323_1480:
	s_delay_alu instid0(SALU_CYCLE_1)
	s_and_not1_b32 vcc_lo, exec_lo, s0
	s_cbranch_vccnz .LBB323_1484
; %bb.1481:
	global_load_b32 v1, v[2:3], off
	s_wait_loadcnt 0x1
	v_mov_b32_e32 v6, 0xff
	s_mov_b32 s9, exec_lo
	s_wait_loadcnt 0x0
	v_bfe_u32 v7, v1, 23, 8
	s_wait_xcnt 0x0
	s_delay_alu instid0(VALU_DEP_1)
	v_cmpx_ne_u32_e32 0xff, v7
	s_cbranch_execz .LBB323_1483
; %bb.1482:
	v_and_b32_e32 v6, 0x400000, v1
	v_and_or_b32 v7, 0x3fffff, v1, v7
	v_lshrrev_b32_e32 v1, 23, v1
	s_delay_alu instid0(VALU_DEP_3) | instskip(NEXT) | instid1(VALU_DEP_3)
	v_cmp_ne_u32_e32 vcc_lo, 0, v6
	v_cmp_ne_u32_e64 s0, 0, v7
	s_and_b32 s0, vcc_lo, s0
	s_delay_alu instid0(SALU_CYCLE_1) | instskip(NEXT) | instid1(VALU_DEP_1)
	v_cndmask_b32_e64 v6, 0, 1, s0
	v_add_nc_u32_e32 v6, v1, v6
.LBB323_1483:
	s_or_b32 exec_lo, exec_lo, s9
.LBB323_1484:
	s_mov_b32 s0, 0
.LBB323_1485:
	s_delay_alu instid0(SALU_CYCLE_1)
	s_and_not1_b32 vcc_lo, exec_lo, s0
	s_cbranch_vccnz .LBB323_1489
; %bb.1486:
	global_load_b32 v1, v[2:3], off
	s_wait_loadcnt 0x1
	v_mov_b32_e32 v6, 0xff
	s_mov_b32 s9, exec_lo
	s_wait_loadcnt 0x0
	v_cvt_f32_f16_e32 v1, v1
	s_delay_alu instid0(VALU_DEP_1) | instskip(SKIP_1) | instid1(VALU_DEP_1)
	v_bfe_u32 v7, v1, 23, 8
	s_wait_xcnt 0x0
	v_cmpx_ne_u32_e32 0xff, v7
	s_cbranch_execz .LBB323_1488
; %bb.1487:
	v_and_b32_e32 v6, 0x400000, v1
	v_and_or_b32 v7, 0x3fffff, v1, v7
	v_lshrrev_b32_e32 v1, 23, v1
	s_delay_alu instid0(VALU_DEP_3) | instskip(NEXT) | instid1(VALU_DEP_3)
	v_cmp_ne_u32_e32 vcc_lo, 0, v6
	v_cmp_ne_u32_e64 s0, 0, v7
	s_and_b32 s0, vcc_lo, s0
	s_delay_alu instid0(SALU_CYCLE_1) | instskip(NEXT) | instid1(VALU_DEP_1)
	v_cndmask_b32_e64 v6, 0, 1, s0
	v_add_nc_u32_e32 v6, v1, v6
.LBB323_1488:
	s_or_b32 exec_lo, exec_lo, s9
.LBB323_1489:
	s_mov_b32 s0, 0
.LBB323_1490:
	s_delay_alu instid0(SALU_CYCLE_1)
	s_and_not1_b32 vcc_lo, exec_lo, s0
	s_cbranch_vccnz .LBB323_1507
; %bb.1491:
	s_cmp_lt_i32 s1, 6
	s_cbranch_scc1 .LBB323_1496
; %bb.1492:
	s_cmp_gt_i32 s1, 6
	s_cbranch_scc0 .LBB323_1497
; %bb.1493:
	s_wait_loadcnt 0x0
	global_load_b64 v[6:7], v[2:3], off
	s_mov_b32 s9, exec_lo
	s_wait_loadcnt 0x0
	v_cvt_f32_f64_e32 v1, v[6:7]
	v_mov_b32_e32 v6, 0xff
	s_delay_alu instid0(VALU_DEP_2) | instskip(SKIP_1) | instid1(VALU_DEP_1)
	v_bfe_u32 v7, v1, 23, 8
	s_wait_xcnt 0x0
	v_cmpx_ne_u32_e32 0xff, v7
	s_cbranch_execz .LBB323_1495
; %bb.1494:
	v_and_b32_e32 v6, 0x400000, v1
	v_and_or_b32 v7, 0x3fffff, v1, v7
	v_lshrrev_b32_e32 v1, 23, v1
	s_delay_alu instid0(VALU_DEP_3) | instskip(NEXT) | instid1(VALU_DEP_3)
	v_cmp_ne_u32_e32 vcc_lo, 0, v6
	v_cmp_ne_u32_e64 s0, 0, v7
	s_and_b32 s0, vcc_lo, s0
	s_delay_alu instid0(SALU_CYCLE_1) | instskip(NEXT) | instid1(VALU_DEP_1)
	v_cndmask_b32_e64 v6, 0, 1, s0
	v_add_nc_u32_e32 v6, v1, v6
.LBB323_1495:
	s_or_b32 exec_lo, exec_lo, s9
	s_mov_b32 s0, 0
	s_branch .LBB323_1498
.LBB323_1496:
	s_mov_b32 s0, -1
                                        ; implicit-def: $vgpr6
	s_branch .LBB323_1503
.LBB323_1497:
	s_mov_b32 s0, -1
                                        ; implicit-def: $vgpr6
.LBB323_1498:
	s_delay_alu instid0(SALU_CYCLE_1)
	s_and_not1_b32 vcc_lo, exec_lo, s0
	s_cbranch_vccnz .LBB323_1502
; %bb.1499:
	global_load_b32 v1, v[2:3], off
	s_wait_loadcnt 0x1
	v_mov_b32_e32 v6, 0xff
	s_mov_b32 s9, exec_lo
	s_wait_loadcnt 0x0
	v_bfe_u32 v7, v1, 23, 8
	s_wait_xcnt 0x0
	s_delay_alu instid0(VALU_DEP_1)
	v_cmpx_ne_u32_e32 0xff, v7
	s_cbranch_execz .LBB323_1501
; %bb.1500:
	v_and_b32_e32 v6, 0x400000, v1
	v_and_or_b32 v7, 0x3fffff, v1, v7
	v_lshrrev_b32_e32 v1, 23, v1
	s_delay_alu instid0(VALU_DEP_3) | instskip(NEXT) | instid1(VALU_DEP_3)
	v_cmp_ne_u32_e32 vcc_lo, 0, v6
	v_cmp_ne_u32_e64 s0, 0, v7
	s_and_b32 s0, vcc_lo, s0
	s_delay_alu instid0(SALU_CYCLE_1) | instskip(NEXT) | instid1(VALU_DEP_1)
	v_cndmask_b32_e64 v6, 0, 1, s0
	v_add_nc_u32_e32 v6, v1, v6
.LBB323_1501:
	s_or_b32 exec_lo, exec_lo, s9
.LBB323_1502:
	s_mov_b32 s0, 0
.LBB323_1503:
	s_delay_alu instid0(SALU_CYCLE_1)
	s_and_not1_b32 vcc_lo, exec_lo, s0
	s_cbranch_vccnz .LBB323_1507
; %bb.1504:
	global_load_u16 v1, v[2:3], off
	s_wait_loadcnt 0x1
	v_mov_b32_e32 v6, 0xff
	s_mov_b32 s9, exec_lo
	s_wait_loadcnt 0x0
	v_cvt_f32_f16_e32 v1, v1
	s_delay_alu instid0(VALU_DEP_1) | instskip(SKIP_1) | instid1(VALU_DEP_1)
	v_bfe_u32 v7, v1, 23, 8
	s_wait_xcnt 0x0
	v_cmpx_ne_u32_e32 0xff, v7
	s_cbranch_execz .LBB323_1506
; %bb.1505:
	v_and_b32_e32 v6, 0x400000, v1
	v_and_or_b32 v7, 0x3fffff, v1, v7
	v_lshrrev_b32_e32 v1, 23, v1
	s_delay_alu instid0(VALU_DEP_3) | instskip(NEXT) | instid1(VALU_DEP_3)
	v_cmp_ne_u32_e32 vcc_lo, 0, v6
	v_cmp_ne_u32_e64 s0, 0, v7
	s_and_b32 s0, vcc_lo, s0
	s_delay_alu instid0(SALU_CYCLE_1) | instskip(NEXT) | instid1(VALU_DEP_1)
	v_cndmask_b32_e64 v6, 0, 1, s0
	v_add_nc_u32_e32 v6, v1, v6
.LBB323_1506:
	s_or_b32 exec_lo, exec_lo, s9
.LBB323_1507:
	s_cbranch_execnz .LBB323_1537
.LBB323_1508:
	s_cmp_lt_i32 s1, 2
	s_cbranch_scc1 .LBB323_1514
; %bb.1509:
	s_cmp_lt_i32 s1, 3
	s_cbranch_scc1 .LBB323_1515
; %bb.1510:
	s_cmp_gt_i32 s1, 3
	s_cbranch_scc0 .LBB323_1516
; %bb.1511:
	s_wait_loadcnt 0x0
	global_load_b64 v[6:7], v[2:3], off
	s_mov_b32 s9, exec_lo
	s_wait_loadcnt 0x0
	v_xor_b32_e32 v1, v6, v7
	v_cls_i32_e32 v8, v7
	s_delay_alu instid0(VALU_DEP_2) | instskip(NEXT) | instid1(VALU_DEP_1)
	v_ashrrev_i32_e32 v1, 31, v1
	v_add_nc_u32_e32 v1, 32, v1
	s_delay_alu instid0(VALU_DEP_1) | instskip(NEXT) | instid1(VALU_DEP_1)
	v_add_min_u32_e64 v1, v8, -1, v1
	v_lshlrev_b64_e32 v[6:7], v1, v[6:7]
	v_sub_nc_u32_e32 v1, 32, v1
	s_delay_alu instid0(VALU_DEP_2) | instskip(NEXT) | instid1(VALU_DEP_1)
	v_min_u32_e32 v6, 1, v6
	v_or_b32_e32 v6, v7, v6
	s_delay_alu instid0(VALU_DEP_1) | instskip(NEXT) | instid1(VALU_DEP_1)
	v_cvt_f32_i32_e32 v6, v6
	v_ldexp_f32 v1, v6, v1
	v_mov_b32_e32 v6, 0xff
	s_delay_alu instid0(VALU_DEP_2) | instskip(SKIP_1) | instid1(VALU_DEP_1)
	v_bfe_u32 v7, v1, 23, 8
	s_wait_xcnt 0x0
	v_cmpx_ne_u32_e32 0xff, v7
	s_cbranch_execz .LBB323_1513
; %bb.1512:
	v_and_b32_e32 v6, 0x400000, v1
	v_and_or_b32 v7, 0x3fffff, v1, v7
	v_lshrrev_b32_e32 v1, 23, v1
	s_delay_alu instid0(VALU_DEP_3) | instskip(NEXT) | instid1(VALU_DEP_3)
	v_cmp_ne_u32_e32 vcc_lo, 0, v6
	v_cmp_ne_u32_e64 s0, 0, v7
	s_and_b32 s0, vcc_lo, s0
	s_delay_alu instid0(SALU_CYCLE_1) | instskip(NEXT) | instid1(VALU_DEP_1)
	v_cndmask_b32_e64 v6, 0, 1, s0
	v_add_nc_u32_e32 v6, v1, v6
.LBB323_1513:
	s_or_b32 exec_lo, exec_lo, s9
	s_mov_b32 s0, 0
	s_branch .LBB323_1517
.LBB323_1514:
	s_mov_b32 s0, -1
                                        ; implicit-def: $vgpr6
	s_branch .LBB323_1527
.LBB323_1515:
	s_mov_b32 s0, -1
                                        ; implicit-def: $vgpr6
	s_branch .LBB323_1522
.LBB323_1516:
	s_mov_b32 s0, -1
                                        ; implicit-def: $vgpr6
.LBB323_1517:
	s_delay_alu instid0(SALU_CYCLE_1)
	s_and_not1_b32 vcc_lo, exec_lo, s0
	s_cbranch_vccnz .LBB323_1521
; %bb.1518:
	global_load_b32 v1, v[2:3], off
	s_wait_loadcnt 0x1
	v_mov_b32_e32 v6, 0xff
	s_mov_b32 s9, exec_lo
	s_wait_loadcnt 0x0
	v_cvt_f32_i32_e32 v1, v1
	s_delay_alu instid0(VALU_DEP_1) | instskip(SKIP_1) | instid1(VALU_DEP_1)
	v_bfe_u32 v7, v1, 23, 8
	s_wait_xcnt 0x0
	v_cmpx_ne_u32_e32 0xff, v7
	s_cbranch_execz .LBB323_1520
; %bb.1519:
	v_and_b32_e32 v6, 0x400000, v1
	v_and_or_b32 v7, 0x3fffff, v1, v7
	v_lshrrev_b32_e32 v1, 23, v1
	s_delay_alu instid0(VALU_DEP_3) | instskip(NEXT) | instid1(VALU_DEP_3)
	v_cmp_ne_u32_e32 vcc_lo, 0, v6
	v_cmp_ne_u32_e64 s0, 0, v7
	s_and_b32 s0, vcc_lo, s0
	s_delay_alu instid0(SALU_CYCLE_1) | instskip(NEXT) | instid1(VALU_DEP_1)
	v_cndmask_b32_e64 v6, 0, 1, s0
	v_add_nc_u32_e32 v6, v1, v6
.LBB323_1520:
	s_or_b32 exec_lo, exec_lo, s9
.LBB323_1521:
	s_mov_b32 s0, 0
.LBB323_1522:
	s_delay_alu instid0(SALU_CYCLE_1)
	s_and_not1_b32 vcc_lo, exec_lo, s0
	s_cbranch_vccnz .LBB323_1526
; %bb.1523:
	global_load_i16 v1, v[2:3], off
	s_wait_loadcnt 0x1
	v_mov_b32_e32 v6, 0xff
	s_mov_b32 s9, exec_lo
	s_wait_loadcnt 0x0
	v_cvt_f32_i32_e32 v1, v1
	s_delay_alu instid0(VALU_DEP_1) | instskip(SKIP_1) | instid1(VALU_DEP_1)
	v_bfe_u32 v7, v1, 23, 8
	s_wait_xcnt 0x0
	v_cmpx_ne_u32_e32 0xff, v7
	s_cbranch_execz .LBB323_1525
; %bb.1524:
	v_and_b32_e32 v6, 0x400000, v1
	v_and_or_b32 v7, 0x3fffff, v1, v7
	v_lshrrev_b32_e32 v1, 23, v1
	s_delay_alu instid0(VALU_DEP_3) | instskip(NEXT) | instid1(VALU_DEP_3)
	v_cmp_ne_u32_e32 vcc_lo, 0, v6
	v_cmp_ne_u32_e64 s0, 0, v7
	s_and_b32 s0, vcc_lo, s0
	s_delay_alu instid0(SALU_CYCLE_1) | instskip(NEXT) | instid1(VALU_DEP_1)
	v_cndmask_b32_e64 v6, 0, 1, s0
	v_add_nc_u32_e32 v6, v1, v6
.LBB323_1525:
	s_or_b32 exec_lo, exec_lo, s9
.LBB323_1526:
	s_mov_b32 s0, 0
.LBB323_1527:
	s_delay_alu instid0(SALU_CYCLE_1)
	s_and_not1_b32 vcc_lo, exec_lo, s0
	s_cbranch_vccnz .LBB323_1537
; %bb.1528:
	s_cmp_gt_i32 s1, 0
	s_cbranch_scc0 .LBB323_1532
; %bb.1529:
	global_load_i8 v1, v[2:3], off
	s_wait_loadcnt 0x1
	v_mov_b32_e32 v6, 0xff
	s_mov_b32 s9, exec_lo
	s_wait_loadcnt 0x0
	v_cvt_f32_i32_e32 v1, v1
	s_delay_alu instid0(VALU_DEP_1) | instskip(SKIP_1) | instid1(VALU_DEP_1)
	v_bfe_u32 v7, v1, 23, 8
	s_wait_xcnt 0x0
	v_cmpx_ne_u32_e32 0xff, v7
	s_cbranch_execz .LBB323_1531
; %bb.1530:
	v_and_b32_e32 v6, 0x400000, v1
	v_and_or_b32 v7, 0x3fffff, v1, v7
	v_lshrrev_b32_e32 v1, 23, v1
	s_delay_alu instid0(VALU_DEP_3) | instskip(NEXT) | instid1(VALU_DEP_3)
	v_cmp_ne_u32_e32 vcc_lo, 0, v6
	v_cmp_ne_u32_e64 s0, 0, v7
	s_and_b32 s0, vcc_lo, s0
	s_delay_alu instid0(SALU_CYCLE_1) | instskip(NEXT) | instid1(VALU_DEP_1)
	v_cndmask_b32_e64 v6, 0, 1, s0
	v_add_nc_u32_e32 v6, v1, v6
.LBB323_1531:
	s_or_b32 exec_lo, exec_lo, s9
	s_mov_b32 s0, 0
	s_branch .LBB323_1533
.LBB323_1532:
	s_mov_b32 s0, -1
                                        ; implicit-def: $vgpr6
.LBB323_1533:
	s_delay_alu instid0(SALU_CYCLE_1)
	s_and_not1_b32 vcc_lo, exec_lo, s0
	s_cbranch_vccnz .LBB323_1537
; %bb.1534:
	global_load_u8 v1, v[2:3], off
	s_mov_b32 s9, exec_lo
	s_wait_loadcnt 0x1
	v_mov_b32_e32 v6, 0xff
	s_wait_loadcnt 0x0
	v_cvt_f32_ubyte0_e32 v2, v1
	s_delay_alu instid0(VALU_DEP_1) | instskip(NEXT) | instid1(VALU_DEP_1)
	v_lshrrev_b32_e32 v1, 23, v2
	v_cmpx_ne_u32_e32 0xff, v1
; %bb.1535:
	v_and_b32_e32 v3, 0x400000, v2
	v_and_or_b32 v2, 0x3fffff, v2, v1
	s_delay_alu instid0(VALU_DEP_2) | instskip(NEXT) | instid1(VALU_DEP_2)
	v_cmp_ne_u32_e32 vcc_lo, 0, v3
	v_cmp_ne_u32_e64 s0, 0, v2
	s_and_b32 s0, vcc_lo, s0
	s_delay_alu instid0(SALU_CYCLE_1) | instskip(NEXT) | instid1(VALU_DEP_1)
	v_cndmask_b32_e64 v2, 0, 1, s0
	v_add_nc_u32_e32 v6, v1, v2
; %bb.1536:
	s_or_b32 exec_lo, exec_lo, s9
.LBB323_1537:
.LBB323_1538:
	v_add_nc_u32_e32 v0, s2, v0
	s_cmp_lt_i32 s1, 11
	s_delay_alu instid0(VALU_DEP_1) | instskip(SKIP_1) | instid1(VALU_DEP_1)
	v_ashrrev_i32_e32 v1, 31, v0
	s_wait_xcnt 0x0
	v_add_nc_u64_e32 v[2:3], s[6:7], v[0:1]
	s_cbranch_scc1 .LBB323_1547
; %bb.1539:
	s_cmp_gt_i32 s1, 25
	s_mov_b32 s13, 0
	s_cbranch_scc0 .LBB323_1549
; %bb.1540:
	s_cmp_gt_i32 s1, 28
	s_cbranch_scc0 .LBB323_1550
; %bb.1541:
	s_cmp_gt_i32 s1, 43
	;; [unrolled: 3-line block ×3, first 2 shown]
	s_cbranch_scc0 .LBB323_1553
; %bb.1543:
	s_cmp_eq_u32 s1, 46
	s_mov_b32 s16, 0
	s_cbranch_scc0 .LBB323_1554
; %bb.1544:
	global_load_b32 v1, v[2:3], off
	s_mov_b32 s9, exec_lo
	s_wait_loadcnt 0x0
	v_dual_mov_b32 v7, 0xff :: v_dual_lshlrev_b32 v8, 16, v1
	s_delay_alu instid0(VALU_DEP_1) | instskip(SKIP_1) | instid1(VALU_DEP_1)
	v_bfe_u32 v9, v8, 23, 8
	s_wait_xcnt 0x0
	v_cmpx_ne_u32_e32 0xff, v9
	s_cbranch_execz .LBB323_1546
; %bb.1545:
	v_and_b32_e32 v7, 64, v1
	v_and_or_b32 v8, 0x3f0000, v8, v9
	v_bfe_u32 v1, v1, 7, 9
	s_delay_alu instid0(VALU_DEP_3) | instskip(NEXT) | instid1(VALU_DEP_3)
	v_cmp_ne_u32_e32 vcc_lo, 0, v7
	v_cmp_ne_u32_e64 s0, 0, v8
	s_and_b32 s0, vcc_lo, s0
	s_delay_alu instid0(SALU_CYCLE_1) | instskip(NEXT) | instid1(VALU_DEP_1)
	v_cndmask_b32_e64 v7, 0, 1, s0
	v_add_nc_u32_e32 v7, v1, v7
.LBB323_1546:
	s_or_b32 exec_lo, exec_lo, s9
	s_mov_b32 s9, 0
	s_mov_b32 s0, -1
	s_branch .LBB323_1556
.LBB323_1547:
	s_mov_b32 s0, 0
                                        ; implicit-def: $vgpr7
	s_cbranch_execnz .LBB323_1640
.LBB323_1548:
	s_and_not1_b32 vcc_lo, exec_lo, s0
	s_cbranch_vccz .LBB323_1710
	s_branch .LBB323_2313
.LBB323_1549:
	s_mov_b32 s16, -1
	s_mov_b32 s0, 0
	s_mov_b32 s9, 0
                                        ; implicit-def: $vgpr7
	s_branch .LBB323_1595
.LBB323_1550:
	s_mov_b32 s16, -1
	s_mov_b32 s0, 0
	s_mov_b32 s9, 0
                                        ; implicit-def: $vgpr7
	s_branch .LBB323_1568
.LBB323_1551:
	s_mov_b32 s16, -1
	s_mov_b32 s0, 0
	s_mov_b32 s9, 0
                                        ; implicit-def: $vgpr7
	s_branch .LBB323_1561
.LBB323_1552:
	s_or_b32 s12, s12, exec_lo
	s_trap 2
	s_cbranch_execz .LBB323_1465
	s_branch .LBB323_1468
.LBB323_1553:
	s_mov_b32 s16, -1
	s_mov_b32 s0, 0
	s_mov_b32 s9, 0
	s_branch .LBB323_1555
.LBB323_1554:
	s_mov_b32 s9, -1
	s_mov_b32 s0, 0
.LBB323_1555:
                                        ; implicit-def: $vgpr7
.LBB323_1556:
	s_and_b32 vcc_lo, exec_lo, s16
	s_cbranch_vccz .LBB323_1560
; %bb.1557:
	s_cmp_eq_u32 s1, 44
	s_cbranch_scc0 .LBB323_1559
; %bb.1558:
	global_load_u8 v7, v[2:3], off
	s_mov_b32 s9, 0
	s_mov_b32 s0, -1
	s_branch .LBB323_1560
.LBB323_1559:
	s_mov_b32 s9, -1
                                        ; implicit-def: $vgpr7
.LBB323_1560:
	s_mov_b32 s16, 0
.LBB323_1561:
	s_delay_alu instid0(SALU_CYCLE_1)
	s_and_b32 vcc_lo, exec_lo, s16
	s_cbranch_vccz .LBB323_1567
; %bb.1562:
	s_cmp_eq_u32 s1, 29
	s_cbranch_scc0 .LBB323_1566
; %bb.1563:
	global_load_b64 v[8:9], v[2:3], off
	s_mov_b32 s9, exec_lo
	s_wait_loadcnt 0x0
	v_clz_i32_u32_e32 v1, v9
	s_delay_alu instid0(VALU_DEP_1) | instskip(NEXT) | instid1(VALU_DEP_1)
	v_min_u32_e32 v1, 32, v1
	v_lshlrev_b64_e32 v[8:9], v1, v[8:9]
	v_sub_nc_u32_e32 v1, 32, v1
	s_delay_alu instid0(VALU_DEP_2) | instskip(NEXT) | instid1(VALU_DEP_1)
	v_min_u32_e32 v7, 1, v8
	v_or_b32_e32 v7, v9, v7
	s_delay_alu instid0(VALU_DEP_1) | instskip(NEXT) | instid1(VALU_DEP_1)
	v_cvt_f32_u32_e32 v7, v7
	v_ldexp_f32 v8, v7, v1
	v_mov_b32_e32 v7, 0xff
	s_delay_alu instid0(VALU_DEP_2) | instskip(SKIP_1) | instid1(VALU_DEP_1)
	v_lshrrev_b32_e32 v1, 23, v8
	s_wait_xcnt 0x0
	v_cmpx_ne_u32_e32 0xff, v1
; %bb.1564:
	v_and_b32_e32 v7, 0x400000, v8
	v_and_or_b32 v8, 0x3fffff, v8, v1
	s_delay_alu instid0(VALU_DEP_2) | instskip(NEXT) | instid1(VALU_DEP_2)
	v_cmp_ne_u32_e32 vcc_lo, 0, v7
	v_cmp_ne_u32_e64 s0, 0, v8
	s_and_b32 s0, vcc_lo, s0
	s_delay_alu instid0(SALU_CYCLE_1) | instskip(NEXT) | instid1(VALU_DEP_1)
	v_cndmask_b32_e64 v7, 0, 1, s0
	v_add_nc_u32_e32 v7, v1, v7
; %bb.1565:
	s_or_b32 exec_lo, exec_lo, s9
	s_mov_b32 s9, 0
	s_mov_b32 s0, -1
	s_branch .LBB323_1567
.LBB323_1566:
	s_mov_b32 s9, -1
                                        ; implicit-def: $vgpr7
.LBB323_1567:
	s_mov_b32 s16, 0
.LBB323_1568:
	s_delay_alu instid0(SALU_CYCLE_1)
	s_and_b32 vcc_lo, exec_lo, s16
	s_cbranch_vccz .LBB323_1594
; %bb.1569:
	s_cmp_lt_i32 s1, 27
	s_cbranch_scc1 .LBB323_1574
; %bb.1570:
	s_cmp_gt_i32 s1, 27
	s_cbranch_scc0 .LBB323_1575
; %bb.1571:
	global_load_b32 v1, v[2:3], off
	s_wait_loadcnt 0x1
	v_mov_b32_e32 v7, 0xff
	s_mov_b32 s16, exec_lo
	s_wait_loadcnt 0x0
	v_cvt_f32_u32_e32 v8, v1
	s_delay_alu instid0(VALU_DEP_1) | instskip(SKIP_1) | instid1(VALU_DEP_1)
	v_lshrrev_b32_e32 v1, 23, v8
	s_wait_xcnt 0x0
	v_cmpx_ne_u32_e32 0xff, v1
; %bb.1572:
	v_and_b32_e32 v7, 0x400000, v8
	v_and_or_b32 v8, 0x3fffff, v8, v1
	s_delay_alu instid0(VALU_DEP_2) | instskip(NEXT) | instid1(VALU_DEP_2)
	v_cmp_ne_u32_e32 vcc_lo, 0, v7
	v_cmp_ne_u32_e64 s0, 0, v8
	s_and_b32 s0, vcc_lo, s0
	s_delay_alu instid0(SALU_CYCLE_1) | instskip(NEXT) | instid1(VALU_DEP_1)
	v_cndmask_b32_e64 v7, 0, 1, s0
	v_add_nc_u32_e32 v7, v1, v7
; %bb.1573:
	s_or_b32 exec_lo, exec_lo, s16
	s_mov_b32 s0, 0
	s_branch .LBB323_1576
.LBB323_1574:
	s_mov_b32 s0, -1
                                        ; implicit-def: $vgpr7
	s_branch .LBB323_1581
.LBB323_1575:
	s_mov_b32 s0, -1
                                        ; implicit-def: $vgpr7
.LBB323_1576:
	s_delay_alu instid0(SALU_CYCLE_1)
	s_and_not1_b32 vcc_lo, exec_lo, s0
	s_cbranch_vccnz .LBB323_1580
; %bb.1577:
	global_load_u16 v1, v[2:3], off
	s_wait_loadcnt 0x1
	v_mov_b32_e32 v7, 0xff
	s_mov_b32 s16, exec_lo
	s_wait_loadcnt 0x0
	v_cvt_f32_u32_e32 v8, v1
	s_delay_alu instid0(VALU_DEP_1) | instskip(SKIP_1) | instid1(VALU_DEP_1)
	v_lshrrev_b32_e32 v1, 23, v8
	s_wait_xcnt 0x0
	v_cmpx_ne_u32_e32 0xff, v1
; %bb.1578:
	v_and_b32_e32 v7, 0x400000, v8
	v_and_or_b32 v8, 0x3fffff, v8, v1
	s_delay_alu instid0(VALU_DEP_2) | instskip(NEXT) | instid1(VALU_DEP_2)
	v_cmp_ne_u32_e32 vcc_lo, 0, v7
	v_cmp_ne_u32_e64 s0, 0, v8
	s_and_b32 s0, vcc_lo, s0
	s_delay_alu instid0(SALU_CYCLE_1) | instskip(NEXT) | instid1(VALU_DEP_1)
	v_cndmask_b32_e64 v7, 0, 1, s0
	v_add_nc_u32_e32 v7, v1, v7
; %bb.1579:
	s_or_b32 exec_lo, exec_lo, s16
.LBB323_1580:
	s_mov_b32 s0, 0
.LBB323_1581:
	s_delay_alu instid0(SALU_CYCLE_1)
	s_and_not1_b32 vcc_lo, exec_lo, s0
	s_cbranch_vccnz .LBB323_1593
; %bb.1582:
	global_load_u8 v1, v[2:3], off
	s_mov_b32 s0, 0
	s_mov_b32 s16, exec_lo
	s_wait_loadcnt 0x0
	v_cmpx_lt_i16_e32 0x7f, v1
	s_xor_b32 s16, exec_lo, s16
	s_cbranch_execz .LBB323_1586
; %bb.1583:
	s_mov_b32 s0, -1
	s_mov_b32 s17, exec_lo
	v_cmpx_eq_u16_e32 0x80, v1
; %bb.1584:
	s_xor_b32 s0, exec_lo, -1
; %bb.1585:
	s_or_b32 exec_lo, exec_lo, s17
	s_delay_alu instid0(SALU_CYCLE_1)
	s_and_b32 s0, s0, exec_lo
.LBB323_1586:
	s_or_saveexec_b32 s16, s16
	v_mov_b32_e32 v8, 0x7f800001
	v_and_b32_e32 v7, 0xffff, v1
	s_xor_b32 exec_lo, exec_lo, s16
; %bb.1587:
	v_cmp_ne_u16_e32 vcc_lo, 0, v1
	s_delay_alu instid0(VALU_DEP_2) | instskip(SKIP_2) | instid1(SALU_CYCLE_1)
	v_mov_b32_e32 v8, v7
	s_and_not1_b32 s0, s0, exec_lo
	s_and_b32 s17, vcc_lo, exec_lo
	s_or_b32 s0, s0, s17
; %bb.1588:
	s_or_b32 exec_lo, exec_lo, s16
	s_and_saveexec_b32 s16, s0
	s_cbranch_execz .LBB323_1590
; %bb.1589:
	v_and_b32_e32 v1, 7, v7
	s_delay_alu instid0(VALU_DEP_1) | instskip(NEXT) | instid1(VALU_DEP_1)
	v_clz_i32_u32_e32 v8, v1
	v_min_u32_e32 v8, 32, v8
	s_delay_alu instid0(VALU_DEP_1) | instskip(NEXT) | instid1(VALU_DEP_1)
	v_subrev_nc_u32_e32 v9, 28, v8
	v_lshlrev_b32_e32 v9, v9, v7
	v_bfe_u32 v7, v7, 3, 4
	s_delay_alu instid0(VALU_DEP_2) | instskip(NEXT) | instid1(VALU_DEP_2)
	v_dual_sub_nc_u32 v8, 29, v8 :: v_dual_bitop2_b32 v9, 7, v9 bitop3:0x40
	v_cmp_eq_u32_e32 vcc_lo, 0, v7
	s_delay_alu instid0(VALU_DEP_2) | instskip(NEXT) | instid1(VALU_DEP_1)
	v_dual_cndmask_b32 v7, v7, v8, vcc_lo :: v_dual_cndmask_b32 v1, v1, v9, vcc_lo
	v_lshlrev_b32_e32 v1, 20, v1
	s_delay_alu instid0(VALU_DEP_1) | instskip(NEXT) | instid1(VALU_DEP_1)
	v_lshl_or_b32 v1, v7, 23, v1
	v_add_nc_u32_e32 v8, 0x3b800000, v1
.LBB323_1590:
	s_or_b32 exec_lo, exec_lo, s16
	s_delay_alu instid0(VALU_DEP_1) | instskip(SKIP_2) | instid1(VALU_DEP_2)
	v_lshrrev_b32_e32 v1, 23, v8
	v_mov_b32_e32 v7, 0xff
	s_mov_b32 s16, exec_lo
	v_cmpx_ne_u32_e32 0xff, v1
; %bb.1591:
	v_and_b32_e32 v7, 0x400000, v8
	v_and_or_b32 v8, 0x3fffff, v8, v1
	s_delay_alu instid0(VALU_DEP_2) | instskip(NEXT) | instid1(VALU_DEP_2)
	v_cmp_ne_u32_e32 vcc_lo, 0, v7
	v_cmp_ne_u32_e64 s0, 0, v8
	s_and_b32 s0, vcc_lo, s0
	s_delay_alu instid0(SALU_CYCLE_1) | instskip(NEXT) | instid1(VALU_DEP_1)
	v_cndmask_b32_e64 v7, 0, 1, s0
	v_add_nc_u32_e32 v7, v1, v7
; %bb.1592:
	s_or_b32 exec_lo, exec_lo, s16
.LBB323_1593:
	s_mov_b32 s0, -1
.LBB323_1594:
	s_mov_b32 s16, 0
.LBB323_1595:
	s_delay_alu instid0(SALU_CYCLE_1)
	s_and_b32 vcc_lo, exec_lo, s16
	s_cbranch_vccz .LBB323_1634
; %bb.1596:
	s_cmp_gt_i32 s1, 22
	s_cbranch_scc0 .LBB323_1610
; %bb.1597:
	s_cmp_lt_i32 s1, 24
	s_cbranch_scc1 .LBB323_1611
; %bb.1598:
	s_cmp_gt_i32 s1, 24
	s_cbranch_scc0 .LBB323_1612
; %bb.1599:
	global_load_u8 v1, v[2:3], off
	s_mov_b32 s0, 0
	s_mov_b32 s13, exec_lo
	s_wait_loadcnt 0x0
	v_cmpx_lt_i16_e32 0x7f, v1
	s_xor_b32 s13, exec_lo, s13
	s_cbranch_execz .LBB323_1603
; %bb.1600:
	s_mov_b32 s0, -1
	s_mov_b32 s16, exec_lo
	v_cmpx_eq_u16_e32 0x80, v1
; %bb.1601:
	s_xor_b32 s0, exec_lo, -1
; %bb.1602:
	s_or_b32 exec_lo, exec_lo, s16
	s_delay_alu instid0(SALU_CYCLE_1)
	s_and_b32 s0, s0, exec_lo
.LBB323_1603:
	s_or_saveexec_b32 s13, s13
	v_mov_b32_e32 v8, 0x7f800001
	v_and_b32_e32 v7, 0xffff, v1
	s_xor_b32 exec_lo, exec_lo, s13
; %bb.1604:
	v_cmp_ne_u16_e32 vcc_lo, 0, v1
	s_delay_alu instid0(VALU_DEP_2) | instskip(SKIP_2) | instid1(SALU_CYCLE_1)
	v_mov_b32_e32 v8, v7
	s_and_not1_b32 s0, s0, exec_lo
	s_and_b32 s16, vcc_lo, exec_lo
	s_or_b32 s0, s0, s16
; %bb.1605:
	s_or_b32 exec_lo, exec_lo, s13
	s_and_saveexec_b32 s13, s0
	s_cbranch_execz .LBB323_1607
; %bb.1606:
	v_and_b32_e32 v1, 3, v7
	s_delay_alu instid0(VALU_DEP_1) | instskip(NEXT) | instid1(VALU_DEP_1)
	v_clz_i32_u32_e32 v8, v1
	v_min_u32_e32 v8, 32, v8
	s_delay_alu instid0(VALU_DEP_1) | instskip(NEXT) | instid1(VALU_DEP_1)
	v_subrev_nc_u32_e32 v9, 29, v8
	v_lshlrev_b32_e32 v9, v9, v7
	v_bfe_u32 v7, v7, 2, 5
	s_delay_alu instid0(VALU_DEP_2) | instskip(NEXT) | instid1(VALU_DEP_2)
	v_dual_sub_nc_u32 v8, 30, v8 :: v_dual_bitop2_b32 v9, 3, v9 bitop3:0x40
	v_cmp_eq_u32_e32 vcc_lo, 0, v7
	s_delay_alu instid0(VALU_DEP_2) | instskip(NEXT) | instid1(VALU_DEP_1)
	v_dual_cndmask_b32 v7, v7, v8, vcc_lo :: v_dual_cndmask_b32 v1, v1, v9, vcc_lo
	v_lshlrev_b32_e32 v1, 21, v1
	s_delay_alu instid0(VALU_DEP_1) | instskip(NEXT) | instid1(VALU_DEP_1)
	v_lshl_or_b32 v1, v7, 23, v1
	v_add_nc_u32_e32 v8, 0x37800000, v1
.LBB323_1607:
	s_or_b32 exec_lo, exec_lo, s13
	s_delay_alu instid0(VALU_DEP_1) | instskip(SKIP_2) | instid1(VALU_DEP_2)
	v_lshrrev_b32_e32 v1, 23, v8
	v_mov_b32_e32 v7, 0xff
	s_mov_b32 s13, exec_lo
	v_cmpx_ne_u32_e32 0xff, v1
; %bb.1608:
	v_and_b32_e32 v7, 0x400000, v8
	v_and_or_b32 v8, 0x3fffff, v8, v1
	s_delay_alu instid0(VALU_DEP_2) | instskip(NEXT) | instid1(VALU_DEP_2)
	v_cmp_ne_u32_e32 vcc_lo, 0, v7
	v_cmp_ne_u32_e64 s0, 0, v8
	s_and_b32 s0, vcc_lo, s0
	s_delay_alu instid0(SALU_CYCLE_1) | instskip(NEXT) | instid1(VALU_DEP_1)
	v_cndmask_b32_e64 v7, 0, 1, s0
	v_add_nc_u32_e32 v7, v1, v7
; %bb.1609:
	s_or_b32 exec_lo, exec_lo, s13
	s_mov_b32 s0, 0
	s_branch .LBB323_1613
.LBB323_1610:
	s_mov_b32 s13, -1
                                        ; implicit-def: $vgpr7
	s_branch .LBB323_1623
.LBB323_1611:
	s_mov_b32 s0, -1
                                        ; implicit-def: $vgpr7
	s_branch .LBB323_1618
.LBB323_1612:
	s_mov_b32 s0, -1
                                        ; implicit-def: $vgpr7
.LBB323_1613:
	s_delay_alu instid0(SALU_CYCLE_1)
	s_and_b32 vcc_lo, exec_lo, s0
	s_cbranch_vccz .LBB323_1617
; %bb.1614:
	global_load_u8 v1, v[2:3], off
	s_mov_b32 s13, exec_lo
	s_wait_loadcnt 0x0
	v_lshlrev_b32_e32 v1, 24, v1
	s_delay_alu instid0(VALU_DEP_1) | instskip(NEXT) | instid1(VALU_DEP_1)
	v_and_b32_e32 v1, 0x7f000000, v1
	v_clz_i32_u32_e32 v7, v1
	v_cmp_ne_u32_e32 vcc_lo, 0, v1
	v_add_nc_u32_e32 v9, 0x1000000, v1
	s_delay_alu instid0(VALU_DEP_3) | instskip(NEXT) | instid1(VALU_DEP_1)
	v_min_u32_e32 v7, 32, v7
	v_sub_nc_u32_e64 v7, v7, 4 clamp
	s_delay_alu instid0(VALU_DEP_1) | instskip(NEXT) | instid1(VALU_DEP_1)
	v_dual_lshlrev_b32 v8, v7, v1 :: v_dual_lshlrev_b32 v7, 23, v7
	v_lshrrev_b32_e32 v8, 4, v8
	s_delay_alu instid0(VALU_DEP_1) | instskip(NEXT) | instid1(VALU_DEP_1)
	v_dual_sub_nc_u32 v7, v8, v7 :: v_dual_ashrrev_i32 v8, 8, v9
	v_add_nc_u32_e32 v7, 0x3c000000, v7
	s_delay_alu instid0(VALU_DEP_1) | instskip(NEXT) | instid1(VALU_DEP_1)
	v_and_or_b32 v7, 0x7f800000, v8, v7
	v_dual_cndmask_b32 v8, 0, v7 :: v_dual_mov_b32 v7, 0xff
	s_delay_alu instid0(VALU_DEP_1) | instskip(SKIP_1) | instid1(VALU_DEP_1)
	v_lshrrev_b32_e32 v1, 23, v8
	s_wait_xcnt 0x0
	v_cmpx_ne_u32_e32 0xff, v1
; %bb.1615:
	v_and_b32_e32 v7, 0x400000, v8
	v_and_or_b32 v8, 0x3fffff, v8, v1
	s_delay_alu instid0(VALU_DEP_2) | instskip(NEXT) | instid1(VALU_DEP_2)
	v_cmp_ne_u32_e32 vcc_lo, 0, v7
	v_cmp_ne_u32_e64 s0, 0, v8
	s_and_b32 s0, vcc_lo, s0
	s_delay_alu instid0(SALU_CYCLE_1) | instskip(NEXT) | instid1(VALU_DEP_1)
	v_cndmask_b32_e64 v7, 0, 1, s0
	v_add_nc_u32_e32 v7, v1, v7
; %bb.1616:
	s_or_b32 exec_lo, exec_lo, s13
.LBB323_1617:
	s_mov_b32 s0, 0
.LBB323_1618:
	s_delay_alu instid0(SALU_CYCLE_1)
	s_and_not1_b32 vcc_lo, exec_lo, s0
	s_cbranch_vccnz .LBB323_1622
; %bb.1619:
	global_load_u8 v1, v[2:3], off
	s_mov_b32 s13, exec_lo
	s_wait_loadcnt 0x0
	v_dual_lshlrev_b32 v7, 25, v1 :: v_dual_lshlrev_b32 v1, 8, v1
	s_delay_alu instid0(VALU_DEP_1) | instskip(NEXT) | instid1(VALU_DEP_2)
	v_cmp_gt_u32_e32 vcc_lo, 0x8000000, v7
	v_and_or_b32 v1, 0x7f00, v1, 0.5
	v_dual_mov_b32 v7, 0xff :: v_dual_lshrrev_b32 v8, 4, v7
	s_delay_alu instid0(VALU_DEP_2) | instskip(NEXT) | instid1(VALU_DEP_2)
	v_add_f32_e32 v1, -0.5, v1
	v_or_b32_e32 v8, 0x70000000, v8
	s_delay_alu instid0(VALU_DEP_1) | instskip(NEXT) | instid1(VALU_DEP_1)
	v_mul_f32_e32 v8, 0x7800000, v8
	v_cndmask_b32_e32 v1, v8, v1, vcc_lo
	s_delay_alu instid0(VALU_DEP_1) | instskip(SKIP_1) | instid1(VALU_DEP_1)
	v_bfe_u32 v8, v1, 23, 8
	s_wait_xcnt 0x0
	v_cmpx_ne_u32_e32 0xff, v8
	s_cbranch_execz .LBB323_1621
; %bb.1620:
	v_and_b32_e32 v7, 0x400000, v1
	v_and_or_b32 v8, 0x3fffff, v1, v8
	v_lshrrev_b32_e32 v1, 23, v1
	s_delay_alu instid0(VALU_DEP_3) | instskip(NEXT) | instid1(VALU_DEP_3)
	v_cmp_ne_u32_e32 vcc_lo, 0, v7
	v_cmp_ne_u32_e64 s0, 0, v8
	s_and_b32 s0, vcc_lo, s0
	s_delay_alu instid0(SALU_CYCLE_1) | instskip(NEXT) | instid1(VALU_DEP_1)
	v_cndmask_b32_e64 v7, 0, 1, s0
	v_add_nc_u32_e32 v7, v1, v7
.LBB323_1621:
	s_or_b32 exec_lo, exec_lo, s13
.LBB323_1622:
	s_mov_b32 s13, 0
	s_mov_b32 s0, -1
.LBB323_1623:
	s_and_not1_b32 vcc_lo, exec_lo, s13
	s_mov_b32 s13, 0
	s_cbranch_vccnz .LBB323_1634
; %bb.1624:
	s_cmp_gt_i32 s1, 14
	s_cbranch_scc0 .LBB323_1629
; %bb.1625:
	s_cmp_eq_u32 s1, 15
	s_cbranch_scc0 .LBB323_1630
; %bb.1626:
	global_load_u16 v1, v[2:3], off
	s_wait_loadcnt 0x1
	v_mov_b32_e32 v7, 0xff
	s_mov_b32 s9, exec_lo
	s_wait_loadcnt 0x0
	v_bfe_u32 v8, v1, 7, 8
	s_wait_xcnt 0x0
	s_delay_alu instid0(VALU_DEP_1)
	v_cmpx_ne_u32_e32 0xff, v8
	s_cbranch_execz .LBB323_1628
; %bb.1627:
	v_dual_lshlrev_b32 v7, 16, v1 :: v_dual_bitop2_b32 v9, 64, v1 bitop3:0x40
	v_lshrrev_b32_e32 v1, 7, v1
	s_delay_alu instid0(VALU_DEP_2) | instskip(NEXT) | instid1(VALU_DEP_3)
	v_and_or_b32 v7, 0x3f0000, v7, v8
	v_cmp_ne_u32_e32 vcc_lo, 0, v9
	s_delay_alu instid0(VALU_DEP_2) | instskip(SKIP_1) | instid1(SALU_CYCLE_1)
	v_cmp_ne_u32_e64 s0, 0, v7
	s_and_b32 s0, vcc_lo, s0
	v_cndmask_b32_e64 v7, 0, 1, s0
	s_delay_alu instid0(VALU_DEP_1)
	v_add_nc_u32_e32 v7, v1, v7
.LBB323_1628:
	s_or_b32 exec_lo, exec_lo, s9
	s_mov_b32 s9, 0
	s_mov_b32 s0, -1
	s_branch .LBB323_1632
.LBB323_1629:
	s_mov_b32 s13, -1
	s_branch .LBB323_1631
.LBB323_1630:
	s_mov_b32 s9, -1
.LBB323_1631:
                                        ; implicit-def: $vgpr7
.LBB323_1632:
	s_and_b32 vcc_lo, exec_lo, s13
	s_mov_b32 s13, 0
	s_cbranch_vccz .LBB323_1634
; %bb.1633:
	s_cmp_lg_u32 s1, 11
	s_mov_b32 s13, -1
	s_cselect_b32 s9, -1, 0
.LBB323_1634:
	s_delay_alu instid0(SALU_CYCLE_1)
	s_and_b32 vcc_lo, exec_lo, s9
	s_cbranch_vccnz .LBB323_1723
; %bb.1635:
	s_and_not1_b32 vcc_lo, exec_lo, s13
	s_cbranch_vccnz .LBB323_1639
.LBB323_1636:
	global_load_u8 v1, v[2:3], off
	s_wait_loadcnt 0x1
	v_mov_b32_e32 v7, 0xff
	s_mov_b32 s9, exec_lo
	s_wait_loadcnt 0x0
	v_cmp_ne_u16_e32 vcc_lo, 0, v1
	v_cndmask_b32_e64 v8, 0, 1.0, vcc_lo
	s_delay_alu instid0(VALU_DEP_1) | instskip(SKIP_1) | instid1(VALU_DEP_1)
	v_lshrrev_b32_e32 v1, 23, v8
	s_wait_xcnt 0x0
	v_cmpx_ne_u32_e32 0xff, v1
; %bb.1637:
	v_and_b32_e32 v7, 0x400000, v8
	v_and_or_b32 v8, 0x3fffff, v8, v1
	s_delay_alu instid0(VALU_DEP_2) | instskip(NEXT) | instid1(VALU_DEP_2)
	v_cmp_ne_u32_e32 vcc_lo, 0, v7
	v_cmp_ne_u32_e64 s0, 0, v8
	s_and_b32 s0, vcc_lo, s0
	s_delay_alu instid0(SALU_CYCLE_1) | instskip(NEXT) | instid1(VALU_DEP_1)
	v_cndmask_b32_e64 v7, 0, 1, s0
	v_add_nc_u32_e32 v7, v1, v7
; %bb.1638:
	s_or_b32 exec_lo, exec_lo, s9
	s_mov_b32 s0, -1
.LBB323_1639:
	s_branch .LBB323_1548
.LBB323_1640:
	s_cmp_lt_i32 s1, 5
	s_cbranch_scc1 .LBB323_1647
; %bb.1641:
	s_cmp_lt_i32 s1, 8
	s_cbranch_scc1 .LBB323_1648
; %bb.1642:
	;; [unrolled: 3-line block ×3, first 2 shown]
	s_cmp_gt_i32 s1, 9
	s_cbranch_scc0 .LBB323_1650
; %bb.1644:
	global_load_b64 v[8:9], v[2:3], off
	s_wait_loadcnt 0x1
	v_mov_b32_e32 v7, 0xff
	s_mov_b32 s9, exec_lo
	s_wait_loadcnt 0x0
	v_cvt_f32_f64_e32 v1, v[8:9]
	s_delay_alu instid0(VALU_DEP_1) | instskip(SKIP_1) | instid1(VALU_DEP_1)
	v_bfe_u32 v8, v1, 23, 8
	s_wait_xcnt 0x0
	v_cmpx_ne_u32_e32 0xff, v8
	s_cbranch_execz .LBB323_1646
; %bb.1645:
	v_and_b32_e32 v7, 0x400000, v1
	v_and_or_b32 v8, 0x3fffff, v1, v8
	v_lshrrev_b32_e32 v1, 23, v1
	s_delay_alu instid0(VALU_DEP_3) | instskip(NEXT) | instid1(VALU_DEP_3)
	v_cmp_ne_u32_e32 vcc_lo, 0, v7
	v_cmp_ne_u32_e64 s0, 0, v8
	s_and_b32 s0, vcc_lo, s0
	s_delay_alu instid0(SALU_CYCLE_1) | instskip(NEXT) | instid1(VALU_DEP_1)
	v_cndmask_b32_e64 v7, 0, 1, s0
	v_add_nc_u32_e32 v7, v1, v7
.LBB323_1646:
	s_or_b32 exec_lo, exec_lo, s9
	s_mov_b32 s0, 0
	s_branch .LBB323_1651
.LBB323_1647:
	s_mov_b32 s0, -1
                                        ; implicit-def: $vgpr7
	s_branch .LBB323_1679
.LBB323_1648:
	s_mov_b32 s0, -1
                                        ; implicit-def: $vgpr7
	s_branch .LBB323_1661
.LBB323_1649:
	s_mov_b32 s0, -1
                                        ; implicit-def: $vgpr7
	s_branch .LBB323_1656
.LBB323_1650:
	s_mov_b32 s0, -1
                                        ; implicit-def: $vgpr7
.LBB323_1651:
	s_delay_alu instid0(SALU_CYCLE_1)
	s_and_not1_b32 vcc_lo, exec_lo, s0
	s_cbranch_vccnz .LBB323_1655
; %bb.1652:
	global_load_b32 v1, v[2:3], off
	s_wait_loadcnt 0x1
	v_mov_b32_e32 v7, 0xff
	s_mov_b32 s9, exec_lo
	s_wait_loadcnt 0x0
	v_bfe_u32 v8, v1, 23, 8
	s_wait_xcnt 0x0
	s_delay_alu instid0(VALU_DEP_1)
	v_cmpx_ne_u32_e32 0xff, v8
	s_cbranch_execz .LBB323_1654
; %bb.1653:
	v_and_b32_e32 v7, 0x400000, v1
	v_and_or_b32 v8, 0x3fffff, v1, v8
	v_lshrrev_b32_e32 v1, 23, v1
	s_delay_alu instid0(VALU_DEP_3) | instskip(NEXT) | instid1(VALU_DEP_3)
	v_cmp_ne_u32_e32 vcc_lo, 0, v7
	v_cmp_ne_u32_e64 s0, 0, v8
	s_and_b32 s0, vcc_lo, s0
	s_delay_alu instid0(SALU_CYCLE_1) | instskip(NEXT) | instid1(VALU_DEP_1)
	v_cndmask_b32_e64 v7, 0, 1, s0
	v_add_nc_u32_e32 v7, v1, v7
.LBB323_1654:
	s_or_b32 exec_lo, exec_lo, s9
.LBB323_1655:
	s_mov_b32 s0, 0
.LBB323_1656:
	s_delay_alu instid0(SALU_CYCLE_1)
	s_and_not1_b32 vcc_lo, exec_lo, s0
	s_cbranch_vccnz .LBB323_1660
; %bb.1657:
	global_load_b32 v1, v[2:3], off
	s_wait_loadcnt 0x1
	v_mov_b32_e32 v7, 0xff
	s_mov_b32 s9, exec_lo
	s_wait_loadcnt 0x0
	v_cvt_f32_f16_e32 v1, v1
	s_delay_alu instid0(VALU_DEP_1) | instskip(SKIP_1) | instid1(VALU_DEP_1)
	v_bfe_u32 v8, v1, 23, 8
	s_wait_xcnt 0x0
	v_cmpx_ne_u32_e32 0xff, v8
	s_cbranch_execz .LBB323_1659
; %bb.1658:
	v_and_b32_e32 v7, 0x400000, v1
	v_and_or_b32 v8, 0x3fffff, v1, v8
	v_lshrrev_b32_e32 v1, 23, v1
	s_delay_alu instid0(VALU_DEP_3) | instskip(NEXT) | instid1(VALU_DEP_3)
	v_cmp_ne_u32_e32 vcc_lo, 0, v7
	v_cmp_ne_u32_e64 s0, 0, v8
	s_and_b32 s0, vcc_lo, s0
	s_delay_alu instid0(SALU_CYCLE_1) | instskip(NEXT) | instid1(VALU_DEP_1)
	v_cndmask_b32_e64 v7, 0, 1, s0
	v_add_nc_u32_e32 v7, v1, v7
.LBB323_1659:
	s_or_b32 exec_lo, exec_lo, s9
.LBB323_1660:
	s_mov_b32 s0, 0
.LBB323_1661:
	s_delay_alu instid0(SALU_CYCLE_1)
	s_and_not1_b32 vcc_lo, exec_lo, s0
	s_cbranch_vccnz .LBB323_1678
; %bb.1662:
	s_cmp_lt_i32 s1, 6
	s_cbranch_scc1 .LBB323_1667
; %bb.1663:
	s_cmp_gt_i32 s1, 6
	s_cbranch_scc0 .LBB323_1668
; %bb.1664:
	global_load_b64 v[8:9], v[2:3], off
	s_wait_loadcnt 0x1
	v_mov_b32_e32 v7, 0xff
	s_mov_b32 s9, exec_lo
	s_wait_loadcnt 0x0
	v_cvt_f32_f64_e32 v1, v[8:9]
	s_delay_alu instid0(VALU_DEP_1) | instskip(SKIP_1) | instid1(VALU_DEP_1)
	v_bfe_u32 v8, v1, 23, 8
	s_wait_xcnt 0x0
	v_cmpx_ne_u32_e32 0xff, v8
	s_cbranch_execz .LBB323_1666
; %bb.1665:
	v_and_b32_e32 v7, 0x400000, v1
	v_and_or_b32 v8, 0x3fffff, v1, v8
	v_lshrrev_b32_e32 v1, 23, v1
	s_delay_alu instid0(VALU_DEP_3) | instskip(NEXT) | instid1(VALU_DEP_3)
	v_cmp_ne_u32_e32 vcc_lo, 0, v7
	v_cmp_ne_u32_e64 s0, 0, v8
	s_and_b32 s0, vcc_lo, s0
	s_delay_alu instid0(SALU_CYCLE_1) | instskip(NEXT) | instid1(VALU_DEP_1)
	v_cndmask_b32_e64 v7, 0, 1, s0
	v_add_nc_u32_e32 v7, v1, v7
.LBB323_1666:
	s_or_b32 exec_lo, exec_lo, s9
	s_mov_b32 s0, 0
	s_branch .LBB323_1669
.LBB323_1667:
	s_mov_b32 s0, -1
                                        ; implicit-def: $vgpr7
	s_branch .LBB323_1674
.LBB323_1668:
	s_mov_b32 s0, -1
                                        ; implicit-def: $vgpr7
.LBB323_1669:
	s_delay_alu instid0(SALU_CYCLE_1)
	s_and_not1_b32 vcc_lo, exec_lo, s0
	s_cbranch_vccnz .LBB323_1673
; %bb.1670:
	global_load_b32 v1, v[2:3], off
	s_wait_loadcnt 0x1
	v_mov_b32_e32 v7, 0xff
	s_mov_b32 s9, exec_lo
	s_wait_loadcnt 0x0
	v_bfe_u32 v8, v1, 23, 8
	s_wait_xcnt 0x0
	s_delay_alu instid0(VALU_DEP_1)
	v_cmpx_ne_u32_e32 0xff, v8
	s_cbranch_execz .LBB323_1672
; %bb.1671:
	v_and_b32_e32 v7, 0x400000, v1
	v_and_or_b32 v8, 0x3fffff, v1, v8
	v_lshrrev_b32_e32 v1, 23, v1
	s_delay_alu instid0(VALU_DEP_3) | instskip(NEXT) | instid1(VALU_DEP_3)
	v_cmp_ne_u32_e32 vcc_lo, 0, v7
	v_cmp_ne_u32_e64 s0, 0, v8
	s_and_b32 s0, vcc_lo, s0
	s_delay_alu instid0(SALU_CYCLE_1) | instskip(NEXT) | instid1(VALU_DEP_1)
	v_cndmask_b32_e64 v7, 0, 1, s0
	v_add_nc_u32_e32 v7, v1, v7
.LBB323_1672:
	s_or_b32 exec_lo, exec_lo, s9
.LBB323_1673:
	s_mov_b32 s0, 0
.LBB323_1674:
	s_delay_alu instid0(SALU_CYCLE_1)
	s_and_not1_b32 vcc_lo, exec_lo, s0
	s_cbranch_vccnz .LBB323_1678
; %bb.1675:
	global_load_u16 v1, v[2:3], off
	s_wait_loadcnt 0x1
	v_mov_b32_e32 v7, 0xff
	s_mov_b32 s9, exec_lo
	s_wait_loadcnt 0x0
	v_cvt_f32_f16_e32 v1, v1
	s_delay_alu instid0(VALU_DEP_1) | instskip(SKIP_1) | instid1(VALU_DEP_1)
	v_bfe_u32 v8, v1, 23, 8
	s_wait_xcnt 0x0
	v_cmpx_ne_u32_e32 0xff, v8
	s_cbranch_execz .LBB323_1677
; %bb.1676:
	v_and_b32_e32 v7, 0x400000, v1
	v_and_or_b32 v8, 0x3fffff, v1, v8
	v_lshrrev_b32_e32 v1, 23, v1
	s_delay_alu instid0(VALU_DEP_3) | instskip(NEXT) | instid1(VALU_DEP_3)
	v_cmp_ne_u32_e32 vcc_lo, 0, v7
	v_cmp_ne_u32_e64 s0, 0, v8
	s_and_b32 s0, vcc_lo, s0
	s_delay_alu instid0(SALU_CYCLE_1) | instskip(NEXT) | instid1(VALU_DEP_1)
	v_cndmask_b32_e64 v7, 0, 1, s0
	v_add_nc_u32_e32 v7, v1, v7
.LBB323_1677:
	s_or_b32 exec_lo, exec_lo, s9
.LBB323_1678:
	s_mov_b32 s0, 0
.LBB323_1679:
	s_delay_alu instid0(SALU_CYCLE_1)
	s_and_not1_b32 vcc_lo, exec_lo, s0
	s_cbranch_vccnz .LBB323_1709
; %bb.1680:
	s_cmp_lt_i32 s1, 2
	s_cbranch_scc1 .LBB323_1686
; %bb.1681:
	s_cmp_lt_i32 s1, 3
	s_cbranch_scc1 .LBB323_1687
; %bb.1682:
	s_cmp_gt_i32 s1, 3
	s_cbranch_scc0 .LBB323_1688
; %bb.1683:
	global_load_b64 v[8:9], v[2:3], off
	s_mov_b32 s9, exec_lo
	s_wait_loadcnt 0x0
	v_xor_b32_e32 v1, v8, v9
	v_cls_i32_e32 v7, v9
	s_delay_alu instid0(VALU_DEP_2) | instskip(NEXT) | instid1(VALU_DEP_1)
	v_ashrrev_i32_e32 v1, 31, v1
	v_add_nc_u32_e32 v1, 32, v1
	s_delay_alu instid0(VALU_DEP_1) | instskip(NEXT) | instid1(VALU_DEP_1)
	v_add_min_u32_e64 v1, v7, -1, v1
	v_lshlrev_b64_e32 v[8:9], v1, v[8:9]
	v_sub_nc_u32_e32 v1, 32, v1
	s_delay_alu instid0(VALU_DEP_2) | instskip(NEXT) | instid1(VALU_DEP_1)
	v_min_u32_e32 v7, 1, v8
	v_or_b32_e32 v7, v9, v7
	s_delay_alu instid0(VALU_DEP_1) | instskip(NEXT) | instid1(VALU_DEP_1)
	v_cvt_f32_i32_e32 v7, v7
	v_ldexp_f32 v1, v7, v1
	v_mov_b32_e32 v7, 0xff
	s_delay_alu instid0(VALU_DEP_2) | instskip(SKIP_1) | instid1(VALU_DEP_1)
	v_bfe_u32 v8, v1, 23, 8
	s_wait_xcnt 0x0
	v_cmpx_ne_u32_e32 0xff, v8
	s_cbranch_execz .LBB323_1685
; %bb.1684:
	v_and_b32_e32 v7, 0x400000, v1
	v_and_or_b32 v8, 0x3fffff, v1, v8
	v_lshrrev_b32_e32 v1, 23, v1
	s_delay_alu instid0(VALU_DEP_3) | instskip(NEXT) | instid1(VALU_DEP_3)
	v_cmp_ne_u32_e32 vcc_lo, 0, v7
	v_cmp_ne_u32_e64 s0, 0, v8
	s_and_b32 s0, vcc_lo, s0
	s_delay_alu instid0(SALU_CYCLE_1) | instskip(NEXT) | instid1(VALU_DEP_1)
	v_cndmask_b32_e64 v7, 0, 1, s0
	v_add_nc_u32_e32 v7, v1, v7
.LBB323_1685:
	s_or_b32 exec_lo, exec_lo, s9
	s_mov_b32 s0, 0
	s_branch .LBB323_1689
.LBB323_1686:
	s_mov_b32 s0, -1
                                        ; implicit-def: $vgpr7
	s_branch .LBB323_1699
.LBB323_1687:
	s_mov_b32 s0, -1
                                        ; implicit-def: $vgpr7
	s_branch .LBB323_1694
.LBB323_1688:
	s_mov_b32 s0, -1
                                        ; implicit-def: $vgpr7
.LBB323_1689:
	s_delay_alu instid0(SALU_CYCLE_1)
	s_and_not1_b32 vcc_lo, exec_lo, s0
	s_cbranch_vccnz .LBB323_1693
; %bb.1690:
	global_load_b32 v1, v[2:3], off
	s_wait_loadcnt 0x1
	v_mov_b32_e32 v7, 0xff
	s_mov_b32 s9, exec_lo
	s_wait_loadcnt 0x0
	v_cvt_f32_i32_e32 v1, v1
	s_delay_alu instid0(VALU_DEP_1) | instskip(SKIP_1) | instid1(VALU_DEP_1)
	v_bfe_u32 v8, v1, 23, 8
	s_wait_xcnt 0x0
	v_cmpx_ne_u32_e32 0xff, v8
	s_cbranch_execz .LBB323_1692
; %bb.1691:
	v_and_b32_e32 v7, 0x400000, v1
	v_and_or_b32 v8, 0x3fffff, v1, v8
	v_lshrrev_b32_e32 v1, 23, v1
	s_delay_alu instid0(VALU_DEP_3) | instskip(NEXT) | instid1(VALU_DEP_3)
	v_cmp_ne_u32_e32 vcc_lo, 0, v7
	v_cmp_ne_u32_e64 s0, 0, v8
	s_and_b32 s0, vcc_lo, s0
	s_delay_alu instid0(SALU_CYCLE_1) | instskip(NEXT) | instid1(VALU_DEP_1)
	v_cndmask_b32_e64 v7, 0, 1, s0
	v_add_nc_u32_e32 v7, v1, v7
.LBB323_1692:
	s_or_b32 exec_lo, exec_lo, s9
.LBB323_1693:
	s_mov_b32 s0, 0
.LBB323_1694:
	s_delay_alu instid0(SALU_CYCLE_1)
	s_and_not1_b32 vcc_lo, exec_lo, s0
	s_cbranch_vccnz .LBB323_1698
; %bb.1695:
	global_load_i16 v1, v[2:3], off
	s_wait_loadcnt 0x1
	v_mov_b32_e32 v7, 0xff
	s_mov_b32 s9, exec_lo
	s_wait_loadcnt 0x0
	v_cvt_f32_i32_e32 v1, v1
	s_delay_alu instid0(VALU_DEP_1) | instskip(SKIP_1) | instid1(VALU_DEP_1)
	v_bfe_u32 v8, v1, 23, 8
	s_wait_xcnt 0x0
	v_cmpx_ne_u32_e32 0xff, v8
	s_cbranch_execz .LBB323_1697
; %bb.1696:
	v_and_b32_e32 v7, 0x400000, v1
	v_and_or_b32 v8, 0x3fffff, v1, v8
	v_lshrrev_b32_e32 v1, 23, v1
	s_delay_alu instid0(VALU_DEP_3) | instskip(NEXT) | instid1(VALU_DEP_3)
	v_cmp_ne_u32_e32 vcc_lo, 0, v7
	v_cmp_ne_u32_e64 s0, 0, v8
	s_and_b32 s0, vcc_lo, s0
	s_delay_alu instid0(SALU_CYCLE_1) | instskip(NEXT) | instid1(VALU_DEP_1)
	v_cndmask_b32_e64 v7, 0, 1, s0
	v_add_nc_u32_e32 v7, v1, v7
.LBB323_1697:
	s_or_b32 exec_lo, exec_lo, s9
.LBB323_1698:
	s_mov_b32 s0, 0
.LBB323_1699:
	s_delay_alu instid0(SALU_CYCLE_1)
	s_and_not1_b32 vcc_lo, exec_lo, s0
	s_cbranch_vccnz .LBB323_1709
; %bb.1700:
	s_cmp_gt_i32 s1, 0
	s_cbranch_scc0 .LBB323_1704
; %bb.1701:
	global_load_i8 v1, v[2:3], off
	s_wait_loadcnt 0x1
	v_mov_b32_e32 v7, 0xff
	s_mov_b32 s9, exec_lo
	s_wait_loadcnt 0x0
	v_cvt_f32_i32_e32 v1, v1
	s_delay_alu instid0(VALU_DEP_1) | instskip(SKIP_1) | instid1(VALU_DEP_1)
	v_bfe_u32 v8, v1, 23, 8
	s_wait_xcnt 0x0
	v_cmpx_ne_u32_e32 0xff, v8
	s_cbranch_execz .LBB323_1703
; %bb.1702:
	v_and_b32_e32 v7, 0x400000, v1
	v_and_or_b32 v8, 0x3fffff, v1, v8
	v_lshrrev_b32_e32 v1, 23, v1
	s_delay_alu instid0(VALU_DEP_3) | instskip(NEXT) | instid1(VALU_DEP_3)
	v_cmp_ne_u32_e32 vcc_lo, 0, v7
	v_cmp_ne_u32_e64 s0, 0, v8
	s_and_b32 s0, vcc_lo, s0
	s_delay_alu instid0(SALU_CYCLE_1) | instskip(NEXT) | instid1(VALU_DEP_1)
	v_cndmask_b32_e64 v7, 0, 1, s0
	v_add_nc_u32_e32 v7, v1, v7
.LBB323_1703:
	s_or_b32 exec_lo, exec_lo, s9
	s_mov_b32 s0, 0
	s_branch .LBB323_1705
.LBB323_1704:
	s_mov_b32 s0, -1
                                        ; implicit-def: $vgpr7
.LBB323_1705:
	s_delay_alu instid0(SALU_CYCLE_1)
	s_and_not1_b32 vcc_lo, exec_lo, s0
	s_cbranch_vccnz .LBB323_1709
; %bb.1706:
	global_load_u8 v1, v[2:3], off
	s_wait_loadcnt 0x1
	v_mov_b32_e32 v7, 0xff
	s_mov_b32 s9, exec_lo
	s_wait_loadcnt 0x0
	v_cvt_f32_ubyte0_e32 v2, v1
	s_delay_alu instid0(VALU_DEP_1) | instskip(NEXT) | instid1(VALU_DEP_1)
	v_lshrrev_b32_e32 v1, 23, v2
	v_cmpx_ne_u32_e32 0xff, v1
; %bb.1707:
	v_and_b32_e32 v3, 0x400000, v2
	v_and_or_b32 v2, 0x3fffff, v2, v1
	s_delay_alu instid0(VALU_DEP_2) | instskip(NEXT) | instid1(VALU_DEP_2)
	v_cmp_ne_u32_e32 vcc_lo, 0, v3
	v_cmp_ne_u32_e64 s0, 0, v2
	s_and_b32 s0, vcc_lo, s0
	s_delay_alu instid0(SALU_CYCLE_1) | instskip(NEXT) | instid1(VALU_DEP_1)
	v_cndmask_b32_e64 v2, 0, 1, s0
	v_add_nc_u32_e32 v7, v1, v2
; %bb.1708:
	s_or_b32 exec_lo, exec_lo, s9
.LBB323_1709:
.LBB323_1710:
	v_add_nc_u32_e32 v0, s2, v0
	s_cmp_lt_i32 s1, 11
	s_delay_alu instid0(VALU_DEP_1) | instskip(NEXT) | instid1(VALU_DEP_1)
	v_ashrrev_i32_e32 v1, 31, v0
	v_add_nc_u64_e32 v[0:1], s[6:7], v[0:1]
	s_cbranch_scc1 .LBB323_1719
; %bb.1711:
	s_cmp_gt_i32 s1, 25
	s_mov_b32 s6, 0
	s_cbranch_scc0 .LBB323_1720
; %bb.1712:
	s_cmp_gt_i32 s1, 28
	s_cbranch_scc0 .LBB323_1721
; %bb.1713:
	s_cmp_gt_i32 s1, 43
	;; [unrolled: 3-line block ×3, first 2 shown]
	s_cbranch_scc0 .LBB323_1724
; %bb.1715:
	s_cmp_eq_u32 s1, 46
	s_mov_b32 s7, 0
	s_cbranch_scc0 .LBB323_1725
; %bb.1716:
	global_load_b32 v2, v[0:1], off
	s_mov_b32 s2, exec_lo
	s_wait_loadcnt 0x0
	v_dual_mov_b32 v8, 0xff :: v_dual_lshlrev_b32 v3, 16, v2
	s_delay_alu instid0(VALU_DEP_1) | instskip(SKIP_1) | instid1(VALU_DEP_1)
	v_bfe_u32 v9, v3, 23, 8
	s_wait_xcnt 0x0
	v_cmpx_ne_u32_e32 0xff, v9
	s_cbranch_execz .LBB323_1718
; %bb.1717:
	v_and_b32_e32 v8, 64, v2
	v_and_or_b32 v3, 0x3f0000, v3, v9
	v_bfe_u32 v2, v2, 7, 9
	s_delay_alu instid0(VALU_DEP_3) | instskip(NEXT) | instid1(VALU_DEP_3)
	v_cmp_ne_u32_e32 vcc_lo, 0, v8
	v_cmp_ne_u32_e64 s0, 0, v3
	s_and_b32 s0, vcc_lo, s0
	s_delay_alu instid0(SALU_CYCLE_1) | instskip(NEXT) | instid1(VALU_DEP_1)
	v_cndmask_b32_e64 v3, 0, 1, s0
	v_add_nc_u32_e32 v8, v2, v3
.LBB323_1718:
	s_or_b32 exec_lo, exec_lo, s2
	s_mov_b32 s2, 0
	s_mov_b32 s0, -1
	s_branch .LBB323_1727
.LBB323_1719:
	s_mov_b32 s2, -1
	s_mov_b32 s0, 0
                                        ; implicit-def: $vgpr8
	s_branch .LBB323_1811
.LBB323_1720:
	s_mov_b32 s7, -1
	s_mov_b32 s0, 0
	s_mov_b32 s2, 0
                                        ; implicit-def: $vgpr8
	s_branch .LBB323_1766
.LBB323_1721:
	s_mov_b32 s7, -1
	s_mov_b32 s0, 0
	s_mov_b32 s2, 0
                                        ; implicit-def: $vgpr8
	s_branch .LBB323_1739
.LBB323_1722:
	s_mov_b32 s7, -1
	s_mov_b32 s0, 0
	s_mov_b32 s2, 0
                                        ; implicit-def: $vgpr8
	s_branch .LBB323_1732
.LBB323_1723:
	s_or_b32 s12, s12, exec_lo
	s_trap 2
	s_cbranch_execz .LBB323_1636
	s_branch .LBB323_1639
.LBB323_1724:
	s_mov_b32 s7, -1
	s_mov_b32 s0, 0
	s_mov_b32 s2, 0
	s_branch .LBB323_1726
.LBB323_1725:
	s_mov_b32 s2, -1
	s_mov_b32 s0, 0
.LBB323_1726:
                                        ; implicit-def: $vgpr8
.LBB323_1727:
	s_and_b32 vcc_lo, exec_lo, s7
	s_cbranch_vccz .LBB323_1731
; %bb.1728:
	s_cmp_eq_u32 s1, 44
	s_cbranch_scc0 .LBB323_1730
; %bb.1729:
	global_load_u8 v8, v[0:1], off
	s_mov_b32 s2, 0
	s_mov_b32 s0, -1
	s_branch .LBB323_1731
.LBB323_1730:
	s_mov_b32 s2, -1
                                        ; implicit-def: $vgpr8
.LBB323_1731:
	s_mov_b32 s7, 0
.LBB323_1732:
	s_delay_alu instid0(SALU_CYCLE_1)
	s_and_b32 vcc_lo, exec_lo, s7
	s_cbranch_vccz .LBB323_1738
; %bb.1733:
	s_cmp_eq_u32 s1, 29
	s_cbranch_scc0 .LBB323_1737
; %bb.1734:
	global_load_b64 v[2:3], v[0:1], off
	s_mov_b32 s2, exec_lo
	s_wait_loadcnt 0x0
	v_clz_i32_u32_e32 v8, v3
	s_delay_alu instid0(VALU_DEP_1) | instskip(NEXT) | instid1(VALU_DEP_1)
	v_min_u32_e32 v8, 32, v8
	v_lshlrev_b64_e32 v[2:3], v8, v[2:3]
	s_delay_alu instid0(VALU_DEP_1) | instskip(NEXT) | instid1(VALU_DEP_1)
	v_min_u32_e32 v2, 1, v2
	v_dual_sub_nc_u32 v3, 32, v8 :: v_dual_bitop2_b32 v2, v3, v2 bitop3:0x54
	v_mov_b32_e32 v8, 0xff
	s_delay_alu instid0(VALU_DEP_2) | instskip(NEXT) | instid1(VALU_DEP_1)
	v_cvt_f32_u32_e32 v2, v2
	v_ldexp_f32 v3, v2, v3
	s_delay_alu instid0(VALU_DEP_1) | instskip(SKIP_1) | instid1(VALU_DEP_1)
	v_lshrrev_b32_e32 v2, 23, v3
	s_wait_xcnt 0x0
	v_cmpx_ne_u32_e32 0xff, v2
; %bb.1735:
	v_and_b32_e32 v8, 0x400000, v3
	v_and_or_b32 v3, 0x3fffff, v3, v2
	s_delay_alu instid0(VALU_DEP_2) | instskip(NEXT) | instid1(VALU_DEP_2)
	v_cmp_ne_u32_e32 vcc_lo, 0, v8
	v_cmp_ne_u32_e64 s0, 0, v3
	s_and_b32 s0, vcc_lo, s0
	s_delay_alu instid0(SALU_CYCLE_1) | instskip(NEXT) | instid1(VALU_DEP_1)
	v_cndmask_b32_e64 v3, 0, 1, s0
	v_add_nc_u32_e32 v8, v2, v3
; %bb.1736:
	s_or_b32 exec_lo, exec_lo, s2
	s_mov_b32 s2, 0
	s_mov_b32 s0, -1
	s_branch .LBB323_1738
.LBB323_1737:
	s_mov_b32 s2, -1
                                        ; implicit-def: $vgpr8
.LBB323_1738:
	s_mov_b32 s7, 0
.LBB323_1739:
	s_delay_alu instid0(SALU_CYCLE_1)
	s_and_b32 vcc_lo, exec_lo, s7
	s_cbranch_vccz .LBB323_1765
; %bb.1740:
	s_cmp_lt_i32 s1, 27
	s_cbranch_scc1 .LBB323_1745
; %bb.1741:
	s_cmp_gt_i32 s1, 27
	s_cbranch_scc0 .LBB323_1746
; %bb.1742:
	global_load_b32 v2, v[0:1], off
	s_wait_loadcnt 0x1
	v_mov_b32_e32 v8, 0xff
	s_mov_b32 s7, exec_lo
	s_wait_loadcnt 0x0
	v_cvt_f32_u32_e32 v3, v2
	s_delay_alu instid0(VALU_DEP_1) | instskip(SKIP_1) | instid1(VALU_DEP_1)
	v_lshrrev_b32_e32 v2, 23, v3
	s_wait_xcnt 0x0
	v_cmpx_ne_u32_e32 0xff, v2
; %bb.1743:
	v_and_b32_e32 v8, 0x400000, v3
	v_and_or_b32 v3, 0x3fffff, v3, v2
	s_delay_alu instid0(VALU_DEP_2) | instskip(NEXT) | instid1(VALU_DEP_2)
	v_cmp_ne_u32_e32 vcc_lo, 0, v8
	v_cmp_ne_u32_e64 s0, 0, v3
	s_and_b32 s0, vcc_lo, s0
	s_delay_alu instid0(SALU_CYCLE_1) | instskip(NEXT) | instid1(VALU_DEP_1)
	v_cndmask_b32_e64 v3, 0, 1, s0
	v_add_nc_u32_e32 v8, v2, v3
; %bb.1744:
	s_or_b32 exec_lo, exec_lo, s7
	s_mov_b32 s0, 0
	s_branch .LBB323_1747
.LBB323_1745:
	s_mov_b32 s0, -1
                                        ; implicit-def: $vgpr8
	s_branch .LBB323_1752
.LBB323_1746:
	s_mov_b32 s0, -1
                                        ; implicit-def: $vgpr8
.LBB323_1747:
	s_delay_alu instid0(SALU_CYCLE_1)
	s_and_not1_b32 vcc_lo, exec_lo, s0
	s_cbranch_vccnz .LBB323_1751
; %bb.1748:
	global_load_u16 v2, v[0:1], off
	s_wait_loadcnt 0x1
	v_mov_b32_e32 v8, 0xff
	s_mov_b32 s7, exec_lo
	s_wait_loadcnt 0x0
	v_cvt_f32_u32_e32 v3, v2
	s_delay_alu instid0(VALU_DEP_1) | instskip(SKIP_1) | instid1(VALU_DEP_1)
	v_lshrrev_b32_e32 v2, 23, v3
	s_wait_xcnt 0x0
	v_cmpx_ne_u32_e32 0xff, v2
; %bb.1749:
	v_and_b32_e32 v8, 0x400000, v3
	v_and_or_b32 v3, 0x3fffff, v3, v2
	s_delay_alu instid0(VALU_DEP_2) | instskip(NEXT) | instid1(VALU_DEP_2)
	v_cmp_ne_u32_e32 vcc_lo, 0, v8
	v_cmp_ne_u32_e64 s0, 0, v3
	s_and_b32 s0, vcc_lo, s0
	s_delay_alu instid0(SALU_CYCLE_1) | instskip(NEXT) | instid1(VALU_DEP_1)
	v_cndmask_b32_e64 v3, 0, 1, s0
	v_add_nc_u32_e32 v8, v2, v3
; %bb.1750:
	s_or_b32 exec_lo, exec_lo, s7
.LBB323_1751:
	s_mov_b32 s0, 0
.LBB323_1752:
	s_delay_alu instid0(SALU_CYCLE_1)
	s_and_not1_b32 vcc_lo, exec_lo, s0
	s_cbranch_vccnz .LBB323_1764
; %bb.1753:
	global_load_u8 v2, v[0:1], off
	s_mov_b32 s0, 0
	s_mov_b32 s7, exec_lo
	s_wait_loadcnt 0x0
	v_cmpx_lt_i16_e32 0x7f, v2
	s_xor_b32 s7, exec_lo, s7
	s_cbranch_execz .LBB323_1757
; %bb.1754:
	s_mov_b32 s0, -1
	s_mov_b32 s9, exec_lo
	v_cmpx_eq_u16_e32 0x80, v2
; %bb.1755:
	s_xor_b32 s0, exec_lo, -1
; %bb.1756:
	s_or_b32 exec_lo, exec_lo, s9
	s_delay_alu instid0(SALU_CYCLE_1)
	s_and_b32 s0, s0, exec_lo
.LBB323_1757:
	s_or_saveexec_b32 s7, s7
	v_mov_b32_e32 v3, 0x7f800001
	v_and_b32_e32 v8, 0xffff, v2
	s_xor_b32 exec_lo, exec_lo, s7
; %bb.1758:
	v_cmp_ne_u16_e32 vcc_lo, 0, v2
	s_delay_alu instid0(VALU_DEP_2) | instskip(SKIP_2) | instid1(SALU_CYCLE_1)
	v_mov_b32_e32 v3, v8
	s_and_not1_b32 s0, s0, exec_lo
	s_and_b32 s9, vcc_lo, exec_lo
	s_or_b32 s0, s0, s9
; %bb.1759:
	s_or_b32 exec_lo, exec_lo, s7
	s_and_saveexec_b32 s7, s0
	s_cbranch_execz .LBB323_1761
; %bb.1760:
	v_and_b32_e32 v2, 7, v8
	s_delay_alu instid0(VALU_DEP_1) | instskip(NEXT) | instid1(VALU_DEP_1)
	v_clz_i32_u32_e32 v3, v2
	v_min_u32_e32 v3, 32, v3
	s_delay_alu instid0(VALU_DEP_1) | instskip(NEXT) | instid1(VALU_DEP_1)
	v_subrev_nc_u32_e32 v9, 28, v3
	v_lshlrev_b32_e32 v9, v9, v8
	v_bfe_u32 v8, v8, 3, 4
	s_delay_alu instid0(VALU_DEP_2) | instskip(NEXT) | instid1(VALU_DEP_2)
	v_dual_sub_nc_u32 v3, 29, v3 :: v_dual_bitop2_b32 v9, 7, v9 bitop3:0x40
	v_cmp_eq_u32_e32 vcc_lo, 0, v8
	s_delay_alu instid0(VALU_DEP_2) | instskip(NEXT) | instid1(VALU_DEP_1)
	v_dual_cndmask_b32 v3, v8, v3 :: v_dual_cndmask_b32 v2, v2, v9
	v_lshlrev_b32_e32 v2, 20, v2
	s_delay_alu instid0(VALU_DEP_1) | instskip(NEXT) | instid1(VALU_DEP_1)
	v_lshl_or_b32 v2, v3, 23, v2
	v_add_nc_u32_e32 v3, 0x3b800000, v2
.LBB323_1761:
	s_or_b32 exec_lo, exec_lo, s7
	s_delay_alu instid0(VALU_DEP_1) | instskip(SKIP_2) | instid1(VALU_DEP_2)
	v_lshrrev_b32_e32 v2, 23, v3
	v_mov_b32_e32 v8, 0xff
	s_mov_b32 s7, exec_lo
	v_cmpx_ne_u32_e32 0xff, v2
; %bb.1762:
	v_and_b32_e32 v8, 0x400000, v3
	v_and_or_b32 v3, 0x3fffff, v3, v2
	s_delay_alu instid0(VALU_DEP_2) | instskip(NEXT) | instid1(VALU_DEP_2)
	v_cmp_ne_u32_e32 vcc_lo, 0, v8
	v_cmp_ne_u32_e64 s0, 0, v3
	s_and_b32 s0, vcc_lo, s0
	s_delay_alu instid0(SALU_CYCLE_1) | instskip(NEXT) | instid1(VALU_DEP_1)
	v_cndmask_b32_e64 v3, 0, 1, s0
	v_add_nc_u32_e32 v8, v2, v3
; %bb.1763:
	s_or_b32 exec_lo, exec_lo, s7
.LBB323_1764:
	s_mov_b32 s0, -1
.LBB323_1765:
	s_mov_b32 s7, 0
.LBB323_1766:
	s_delay_alu instid0(SALU_CYCLE_1)
	s_and_b32 vcc_lo, exec_lo, s7
	s_cbranch_vccz .LBB323_1805
; %bb.1767:
	s_cmp_gt_i32 s1, 22
	s_cbranch_scc0 .LBB323_1781
; %bb.1768:
	s_cmp_lt_i32 s1, 24
	s_cbranch_scc1 .LBB323_1782
; %bb.1769:
	s_cmp_gt_i32 s1, 24
	s_cbranch_scc0 .LBB323_1783
; %bb.1770:
	global_load_u8 v2, v[0:1], off
	s_mov_b32 s0, 0
	s_mov_b32 s6, exec_lo
	s_wait_loadcnt 0x0
	v_cmpx_lt_i16_e32 0x7f, v2
	s_xor_b32 s6, exec_lo, s6
	s_cbranch_execz .LBB323_1774
; %bb.1771:
	s_mov_b32 s0, -1
	s_mov_b32 s7, exec_lo
	v_cmpx_eq_u16_e32 0x80, v2
; %bb.1772:
	s_xor_b32 s0, exec_lo, -1
; %bb.1773:
	s_or_b32 exec_lo, exec_lo, s7
	s_delay_alu instid0(SALU_CYCLE_1)
	s_and_b32 s0, s0, exec_lo
.LBB323_1774:
	s_or_saveexec_b32 s6, s6
	v_mov_b32_e32 v3, 0x7f800001
	v_and_b32_e32 v8, 0xffff, v2
	s_xor_b32 exec_lo, exec_lo, s6
; %bb.1775:
	v_cmp_ne_u16_e32 vcc_lo, 0, v2
	s_delay_alu instid0(VALU_DEP_2) | instskip(SKIP_2) | instid1(SALU_CYCLE_1)
	v_mov_b32_e32 v3, v8
	s_and_not1_b32 s0, s0, exec_lo
	s_and_b32 s7, vcc_lo, exec_lo
	s_or_b32 s0, s0, s7
; %bb.1776:
	s_or_b32 exec_lo, exec_lo, s6
	s_and_saveexec_b32 s6, s0
	s_cbranch_execz .LBB323_1778
; %bb.1777:
	v_and_b32_e32 v2, 3, v8
	s_delay_alu instid0(VALU_DEP_1) | instskip(NEXT) | instid1(VALU_DEP_1)
	v_clz_i32_u32_e32 v3, v2
	v_min_u32_e32 v3, 32, v3
	s_delay_alu instid0(VALU_DEP_1) | instskip(NEXT) | instid1(VALU_DEP_1)
	v_subrev_nc_u32_e32 v9, 29, v3
	v_lshlrev_b32_e32 v9, v9, v8
	v_bfe_u32 v8, v8, 2, 5
	s_delay_alu instid0(VALU_DEP_2) | instskip(NEXT) | instid1(VALU_DEP_2)
	v_dual_sub_nc_u32 v3, 30, v3 :: v_dual_bitop2_b32 v9, 3, v9 bitop3:0x40
	v_cmp_eq_u32_e32 vcc_lo, 0, v8
	s_delay_alu instid0(VALU_DEP_2) | instskip(NEXT) | instid1(VALU_DEP_1)
	v_dual_cndmask_b32 v3, v8, v3 :: v_dual_cndmask_b32 v2, v2, v9
	v_lshlrev_b32_e32 v2, 21, v2
	s_delay_alu instid0(VALU_DEP_1) | instskip(NEXT) | instid1(VALU_DEP_1)
	v_lshl_or_b32 v2, v3, 23, v2
	v_add_nc_u32_e32 v3, 0x37800000, v2
.LBB323_1778:
	s_or_b32 exec_lo, exec_lo, s6
	s_delay_alu instid0(VALU_DEP_1) | instskip(SKIP_2) | instid1(VALU_DEP_2)
	v_lshrrev_b32_e32 v2, 23, v3
	v_mov_b32_e32 v8, 0xff
	s_mov_b32 s6, exec_lo
	v_cmpx_ne_u32_e32 0xff, v2
; %bb.1779:
	v_and_b32_e32 v8, 0x400000, v3
	v_and_or_b32 v3, 0x3fffff, v3, v2
	s_delay_alu instid0(VALU_DEP_2) | instskip(NEXT) | instid1(VALU_DEP_2)
	v_cmp_ne_u32_e32 vcc_lo, 0, v8
	v_cmp_ne_u32_e64 s0, 0, v3
	s_and_b32 s0, vcc_lo, s0
	s_delay_alu instid0(SALU_CYCLE_1) | instskip(NEXT) | instid1(VALU_DEP_1)
	v_cndmask_b32_e64 v3, 0, 1, s0
	v_add_nc_u32_e32 v8, v2, v3
; %bb.1780:
	s_or_b32 exec_lo, exec_lo, s6
	s_mov_b32 s0, 0
	s_branch .LBB323_1784
.LBB323_1781:
	s_mov_b32 s6, -1
                                        ; implicit-def: $vgpr8
	s_branch .LBB323_1794
.LBB323_1782:
	s_mov_b32 s0, -1
                                        ; implicit-def: $vgpr8
	s_branch .LBB323_1789
.LBB323_1783:
	s_mov_b32 s0, -1
                                        ; implicit-def: $vgpr8
.LBB323_1784:
	s_delay_alu instid0(SALU_CYCLE_1)
	s_and_b32 vcc_lo, exec_lo, s0
	s_cbranch_vccz .LBB323_1788
; %bb.1785:
	global_load_u8 v2, v[0:1], off
	s_mov_b32 s6, exec_lo
	s_wait_loadcnt 0x0
	v_lshlrev_b32_e32 v2, 24, v2
	s_delay_alu instid0(VALU_DEP_1) | instskip(NEXT) | instid1(VALU_DEP_1)
	v_and_b32_e32 v2, 0x7f000000, v2
	v_clz_i32_u32_e32 v3, v2
	v_cmp_ne_u32_e32 vcc_lo, 0, v2
	v_add_nc_u32_e32 v9, 0x1000000, v2
	s_delay_alu instid0(VALU_DEP_3) | instskip(NEXT) | instid1(VALU_DEP_1)
	v_min_u32_e32 v3, 32, v3
	v_sub_nc_u32_e64 v3, v3, 4 clamp
	s_delay_alu instid0(VALU_DEP_1) | instskip(NEXT) | instid1(VALU_DEP_1)
	v_dual_lshlrev_b32 v8, v3, v2 :: v_dual_lshlrev_b32 v3, 23, v3
	v_lshrrev_b32_e32 v8, 4, v8
	s_delay_alu instid0(VALU_DEP_1) | instskip(NEXT) | instid1(VALU_DEP_1)
	v_dual_sub_nc_u32 v3, v8, v3 :: v_dual_ashrrev_i32 v8, 8, v9
	v_add_nc_u32_e32 v3, 0x3c000000, v3
	s_delay_alu instid0(VALU_DEP_1) | instskip(NEXT) | instid1(VALU_DEP_1)
	v_and_or_b32 v3, 0x7f800000, v8, v3
	v_dual_mov_b32 v8, 0xff :: v_dual_cndmask_b32 v3, 0, v3
	s_delay_alu instid0(VALU_DEP_1) | instskip(SKIP_1) | instid1(VALU_DEP_1)
	v_lshrrev_b32_e32 v2, 23, v3
	s_wait_xcnt 0x0
	v_cmpx_ne_u32_e32 0xff, v2
; %bb.1786:
	v_and_b32_e32 v8, 0x400000, v3
	v_and_or_b32 v3, 0x3fffff, v3, v2
	s_delay_alu instid0(VALU_DEP_2) | instskip(NEXT) | instid1(VALU_DEP_2)
	v_cmp_ne_u32_e32 vcc_lo, 0, v8
	v_cmp_ne_u32_e64 s0, 0, v3
	s_and_b32 s0, vcc_lo, s0
	s_delay_alu instid0(SALU_CYCLE_1) | instskip(NEXT) | instid1(VALU_DEP_1)
	v_cndmask_b32_e64 v3, 0, 1, s0
	v_add_nc_u32_e32 v8, v2, v3
; %bb.1787:
	s_or_b32 exec_lo, exec_lo, s6
.LBB323_1788:
	s_mov_b32 s0, 0
.LBB323_1789:
	s_delay_alu instid0(SALU_CYCLE_1)
	s_and_not1_b32 vcc_lo, exec_lo, s0
	s_cbranch_vccnz .LBB323_1793
; %bb.1790:
	global_load_u8 v2, v[0:1], off
	s_mov_b32 s6, exec_lo
	s_wait_loadcnt 0x0
	v_dual_lshlrev_b32 v3, 25, v2 :: v_dual_lshlrev_b32 v2, 8, v2
	s_delay_alu instid0(VALU_DEP_1) | instskip(NEXT) | instid1(VALU_DEP_2)
	v_cmp_gt_u32_e32 vcc_lo, 0x8000000, v3
	v_and_or_b32 v2, 0x7f00, v2, 0.5
	s_delay_alu instid0(VALU_DEP_1) | instskip(NEXT) | instid1(VALU_DEP_1)
	v_dual_lshrrev_b32 v8, 4, v3 :: v_dual_add_f32 v2, -0.5, v2
	v_or_b32_e32 v8, 0x70000000, v8
	s_delay_alu instid0(VALU_DEP_1) | instskip(NEXT) | instid1(VALU_DEP_1)
	v_mul_f32_e32 v8, 0x7800000, v8
	v_cndmask_b32_e32 v2, v8, v2, vcc_lo
	v_mov_b32_e32 v8, 0xff
	s_delay_alu instid0(VALU_DEP_2) | instskip(SKIP_1) | instid1(VALU_DEP_1)
	v_bfe_u32 v3, v2, 23, 8
	s_wait_xcnt 0x0
	v_cmpx_ne_u32_e32 0xff, v3
	s_cbranch_execz .LBB323_1792
; %bb.1791:
	v_and_b32_e32 v8, 0x400000, v2
	v_and_or_b32 v3, 0x3fffff, v2, v3
	v_lshrrev_b32_e32 v2, 23, v2
	s_delay_alu instid0(VALU_DEP_3) | instskip(NEXT) | instid1(VALU_DEP_3)
	v_cmp_ne_u32_e32 vcc_lo, 0, v8
	v_cmp_ne_u32_e64 s0, 0, v3
	s_and_b32 s0, vcc_lo, s0
	s_delay_alu instid0(SALU_CYCLE_1) | instskip(NEXT) | instid1(VALU_DEP_1)
	v_cndmask_b32_e64 v3, 0, 1, s0
	v_add_nc_u32_e32 v8, v2, v3
.LBB323_1792:
	s_or_b32 exec_lo, exec_lo, s6
.LBB323_1793:
	s_mov_b32 s6, 0
	s_mov_b32 s0, -1
.LBB323_1794:
	s_and_not1_b32 vcc_lo, exec_lo, s6
	s_mov_b32 s6, 0
	s_cbranch_vccnz .LBB323_1805
; %bb.1795:
	s_cmp_gt_i32 s1, 14
	s_cbranch_scc0 .LBB323_1800
; %bb.1796:
	s_cmp_eq_u32 s1, 15
	s_cbranch_scc0 .LBB323_1801
; %bb.1797:
	global_load_u16 v2, v[0:1], off
	s_wait_loadcnt 0x1
	v_mov_b32_e32 v8, 0xff
	s_mov_b32 s2, exec_lo
	s_wait_loadcnt 0x0
	v_bfe_u32 v3, v2, 7, 8
	s_wait_xcnt 0x0
	s_delay_alu instid0(VALU_DEP_1)
	v_cmpx_ne_u32_e32 0xff, v3
	s_cbranch_execz .LBB323_1799
; %bb.1798:
	v_dual_lshlrev_b32 v8, 16, v2 :: v_dual_bitop2_b32 v9, 64, v2 bitop3:0x40
	v_lshrrev_b32_e32 v2, 7, v2
	s_delay_alu instid0(VALU_DEP_2) | instskip(NEXT) | instid1(VALU_DEP_3)
	v_and_or_b32 v3, 0x3f0000, v8, v3
	v_cmp_ne_u32_e32 vcc_lo, 0, v9
	s_delay_alu instid0(VALU_DEP_2) | instskip(SKIP_1) | instid1(SALU_CYCLE_1)
	v_cmp_ne_u32_e64 s0, 0, v3
	s_and_b32 s0, vcc_lo, s0
	v_cndmask_b32_e64 v3, 0, 1, s0
	s_delay_alu instid0(VALU_DEP_1)
	v_add_nc_u32_e32 v8, v2, v3
.LBB323_1799:
	s_or_b32 exec_lo, exec_lo, s2
	s_mov_b32 s2, 0
	s_mov_b32 s0, -1
	s_branch .LBB323_1803
.LBB323_1800:
	s_mov_b32 s6, -1
	s_branch .LBB323_1802
.LBB323_1801:
	s_mov_b32 s2, -1
.LBB323_1802:
                                        ; implicit-def: $vgpr8
.LBB323_1803:
	s_and_b32 vcc_lo, exec_lo, s6
	s_mov_b32 s6, 0
	s_cbranch_vccz .LBB323_1805
; %bb.1804:
	s_cmp_lg_u32 s1, 11
	s_mov_b32 s6, -1
	s_cselect_b32 s2, -1, 0
.LBB323_1805:
	s_delay_alu instid0(SALU_CYCLE_1)
	s_and_b32 vcc_lo, exec_lo, s2
	s_cbranch_vccnz .LBB323_2355
; %bb.1806:
	s_and_not1_b32 vcc_lo, exec_lo, s6
	s_cbranch_vccnz .LBB323_1810
.LBB323_1807:
	global_load_u8 v2, v[0:1], off
	s_wait_loadcnt 0x1
	v_mov_b32_e32 v8, 0xff
	s_mov_b32 s2, exec_lo
	s_wait_loadcnt 0x0
	v_cmp_ne_u16_e32 vcc_lo, 0, v2
	v_cndmask_b32_e64 v3, 0, 1.0, vcc_lo
	s_delay_alu instid0(VALU_DEP_1) | instskip(SKIP_1) | instid1(VALU_DEP_1)
	v_lshrrev_b32_e32 v2, 23, v3
	s_wait_xcnt 0x0
	v_cmpx_ne_u32_e32 0xff, v2
; %bb.1808:
	v_and_b32_e32 v8, 0x400000, v3
	v_and_or_b32 v3, 0x3fffff, v3, v2
	s_delay_alu instid0(VALU_DEP_2) | instskip(NEXT) | instid1(VALU_DEP_2)
	v_cmp_ne_u32_e32 vcc_lo, 0, v8
	v_cmp_ne_u32_e64 s0, 0, v3
	s_and_b32 s0, vcc_lo, s0
	s_delay_alu instid0(SALU_CYCLE_1) | instskip(NEXT) | instid1(VALU_DEP_1)
	v_cndmask_b32_e64 v3, 0, 1, s0
	v_add_nc_u32_e32 v8, v2, v3
; %bb.1809:
	s_or_b32 exec_lo, exec_lo, s2
	s_mov_b32 s0, -1
.LBB323_1810:
	s_mov_b32 s2, 0
.LBB323_1811:
	s_delay_alu instid0(SALU_CYCLE_1)
	s_and_b32 vcc_lo, exec_lo, s2
	s_cbranch_vccz .LBB323_1882
; %bb.1812:
	s_cmp_lt_i32 s1, 5
	s_cbranch_scc1 .LBB323_1819
; %bb.1813:
	s_cmp_lt_i32 s1, 8
	s_cbranch_scc1 .LBB323_1820
	;; [unrolled: 3-line block ×3, first 2 shown]
; %bb.1815:
	s_cmp_gt_i32 s1, 9
	s_cbranch_scc0 .LBB323_1822
; %bb.1816:
	global_load_b64 v[2:3], v[0:1], off
	s_wait_loadcnt 0x1
	v_mov_b32_e32 v8, 0xff
	s_mov_b32 s2, exec_lo
	s_wait_loadcnt 0x0
	v_cvt_f32_f64_e32 v2, v[2:3]
	s_delay_alu instid0(VALU_DEP_1) | instskip(SKIP_1) | instid1(VALU_DEP_1)
	v_bfe_u32 v3, v2, 23, 8
	s_wait_xcnt 0x0
	v_cmpx_ne_u32_e32 0xff, v3
	s_cbranch_execz .LBB323_1818
; %bb.1817:
	v_and_b32_e32 v8, 0x400000, v2
	v_and_or_b32 v3, 0x3fffff, v2, v3
	v_lshrrev_b32_e32 v2, 23, v2
	s_delay_alu instid0(VALU_DEP_3) | instskip(NEXT) | instid1(VALU_DEP_3)
	v_cmp_ne_u32_e32 vcc_lo, 0, v8
	v_cmp_ne_u32_e64 s0, 0, v3
	s_and_b32 s0, vcc_lo, s0
	s_delay_alu instid0(SALU_CYCLE_1) | instskip(NEXT) | instid1(VALU_DEP_1)
	v_cndmask_b32_e64 v3, 0, 1, s0
	v_add_nc_u32_e32 v8, v2, v3
.LBB323_1818:
	s_or_b32 exec_lo, exec_lo, s2
	s_mov_b32 s0, 0
	s_branch .LBB323_1823
.LBB323_1819:
	s_mov_b32 s0, -1
                                        ; implicit-def: $vgpr8
	s_branch .LBB323_1851
.LBB323_1820:
	s_mov_b32 s0, -1
                                        ; implicit-def: $vgpr8
	s_branch .LBB323_1833
.LBB323_1821:
	s_mov_b32 s0, -1
                                        ; implicit-def: $vgpr8
	s_branch .LBB323_1828
.LBB323_1822:
	s_mov_b32 s0, -1
                                        ; implicit-def: $vgpr8
.LBB323_1823:
	s_delay_alu instid0(SALU_CYCLE_1)
	s_and_not1_b32 vcc_lo, exec_lo, s0
	s_cbranch_vccnz .LBB323_1827
; %bb.1824:
	global_load_b32 v2, v[0:1], off
	s_wait_loadcnt 0x1
	v_mov_b32_e32 v8, 0xff
	s_mov_b32 s2, exec_lo
	s_wait_loadcnt 0x0
	v_bfe_u32 v3, v2, 23, 8
	s_wait_xcnt 0x0
	s_delay_alu instid0(VALU_DEP_1)
	v_cmpx_ne_u32_e32 0xff, v3
	s_cbranch_execz .LBB323_1826
; %bb.1825:
	v_and_b32_e32 v8, 0x400000, v2
	v_and_or_b32 v3, 0x3fffff, v2, v3
	v_lshrrev_b32_e32 v2, 23, v2
	s_delay_alu instid0(VALU_DEP_3) | instskip(NEXT) | instid1(VALU_DEP_3)
	v_cmp_ne_u32_e32 vcc_lo, 0, v8
	v_cmp_ne_u32_e64 s0, 0, v3
	s_and_b32 s0, vcc_lo, s0
	s_delay_alu instid0(SALU_CYCLE_1) | instskip(NEXT) | instid1(VALU_DEP_1)
	v_cndmask_b32_e64 v3, 0, 1, s0
	v_add_nc_u32_e32 v8, v2, v3
.LBB323_1826:
	s_or_b32 exec_lo, exec_lo, s2
.LBB323_1827:
	s_mov_b32 s0, 0
.LBB323_1828:
	s_delay_alu instid0(SALU_CYCLE_1)
	s_and_not1_b32 vcc_lo, exec_lo, s0
	s_cbranch_vccnz .LBB323_1832
; %bb.1829:
	global_load_b32 v2, v[0:1], off
	s_wait_loadcnt 0x1
	v_mov_b32_e32 v8, 0xff
	s_mov_b32 s2, exec_lo
	s_wait_loadcnt 0x0
	v_cvt_f32_f16_e32 v2, v2
	s_delay_alu instid0(VALU_DEP_1) | instskip(SKIP_1) | instid1(VALU_DEP_1)
	v_bfe_u32 v3, v2, 23, 8
	s_wait_xcnt 0x0
	v_cmpx_ne_u32_e32 0xff, v3
	s_cbranch_execz .LBB323_1831
; %bb.1830:
	v_and_b32_e32 v8, 0x400000, v2
	v_and_or_b32 v3, 0x3fffff, v2, v3
	v_lshrrev_b32_e32 v2, 23, v2
	s_delay_alu instid0(VALU_DEP_3) | instskip(NEXT) | instid1(VALU_DEP_3)
	v_cmp_ne_u32_e32 vcc_lo, 0, v8
	v_cmp_ne_u32_e64 s0, 0, v3
	s_and_b32 s0, vcc_lo, s0
	s_delay_alu instid0(SALU_CYCLE_1) | instskip(NEXT) | instid1(VALU_DEP_1)
	v_cndmask_b32_e64 v3, 0, 1, s0
	v_add_nc_u32_e32 v8, v2, v3
.LBB323_1831:
	s_or_b32 exec_lo, exec_lo, s2
.LBB323_1832:
	s_mov_b32 s0, 0
.LBB323_1833:
	s_delay_alu instid0(SALU_CYCLE_1)
	s_and_not1_b32 vcc_lo, exec_lo, s0
	s_cbranch_vccnz .LBB323_1850
; %bb.1834:
	s_cmp_lt_i32 s1, 6
	s_cbranch_scc1 .LBB323_1839
; %bb.1835:
	s_cmp_gt_i32 s1, 6
	s_cbranch_scc0 .LBB323_1840
; %bb.1836:
	global_load_b64 v[2:3], v[0:1], off
	s_wait_loadcnt 0x1
	v_mov_b32_e32 v8, 0xff
	s_mov_b32 s2, exec_lo
	s_wait_loadcnt 0x0
	v_cvt_f32_f64_e32 v2, v[2:3]
	s_delay_alu instid0(VALU_DEP_1) | instskip(SKIP_1) | instid1(VALU_DEP_1)
	v_bfe_u32 v3, v2, 23, 8
	s_wait_xcnt 0x0
	v_cmpx_ne_u32_e32 0xff, v3
	s_cbranch_execz .LBB323_1838
; %bb.1837:
	v_and_b32_e32 v8, 0x400000, v2
	v_and_or_b32 v3, 0x3fffff, v2, v3
	v_lshrrev_b32_e32 v2, 23, v2
	s_delay_alu instid0(VALU_DEP_3) | instskip(NEXT) | instid1(VALU_DEP_3)
	v_cmp_ne_u32_e32 vcc_lo, 0, v8
	v_cmp_ne_u32_e64 s0, 0, v3
	s_and_b32 s0, vcc_lo, s0
	s_delay_alu instid0(SALU_CYCLE_1) | instskip(NEXT) | instid1(VALU_DEP_1)
	v_cndmask_b32_e64 v3, 0, 1, s0
	v_add_nc_u32_e32 v8, v2, v3
.LBB323_1838:
	s_or_b32 exec_lo, exec_lo, s2
	s_mov_b32 s0, 0
	s_branch .LBB323_1841
.LBB323_1839:
	s_mov_b32 s0, -1
                                        ; implicit-def: $vgpr8
	s_branch .LBB323_1846
.LBB323_1840:
	s_mov_b32 s0, -1
                                        ; implicit-def: $vgpr8
.LBB323_1841:
	s_delay_alu instid0(SALU_CYCLE_1)
	s_and_not1_b32 vcc_lo, exec_lo, s0
	s_cbranch_vccnz .LBB323_1845
; %bb.1842:
	global_load_b32 v2, v[0:1], off
	s_wait_loadcnt 0x1
	v_mov_b32_e32 v8, 0xff
	s_mov_b32 s2, exec_lo
	s_wait_loadcnt 0x0
	v_bfe_u32 v3, v2, 23, 8
	s_wait_xcnt 0x0
	s_delay_alu instid0(VALU_DEP_1)
	v_cmpx_ne_u32_e32 0xff, v3
	s_cbranch_execz .LBB323_1844
; %bb.1843:
	v_and_b32_e32 v8, 0x400000, v2
	v_and_or_b32 v3, 0x3fffff, v2, v3
	v_lshrrev_b32_e32 v2, 23, v2
	s_delay_alu instid0(VALU_DEP_3) | instskip(NEXT) | instid1(VALU_DEP_3)
	v_cmp_ne_u32_e32 vcc_lo, 0, v8
	v_cmp_ne_u32_e64 s0, 0, v3
	s_and_b32 s0, vcc_lo, s0
	s_delay_alu instid0(SALU_CYCLE_1) | instskip(NEXT) | instid1(VALU_DEP_1)
	v_cndmask_b32_e64 v3, 0, 1, s0
	v_add_nc_u32_e32 v8, v2, v3
.LBB323_1844:
	s_or_b32 exec_lo, exec_lo, s2
.LBB323_1845:
	s_mov_b32 s0, 0
.LBB323_1846:
	s_delay_alu instid0(SALU_CYCLE_1)
	s_and_not1_b32 vcc_lo, exec_lo, s0
	s_cbranch_vccnz .LBB323_1850
; %bb.1847:
	global_load_u16 v2, v[0:1], off
	s_wait_loadcnt 0x1
	v_mov_b32_e32 v8, 0xff
	s_mov_b32 s2, exec_lo
	s_wait_loadcnt 0x0
	v_cvt_f32_f16_e32 v2, v2
	s_delay_alu instid0(VALU_DEP_1) | instskip(SKIP_1) | instid1(VALU_DEP_1)
	v_bfe_u32 v3, v2, 23, 8
	s_wait_xcnt 0x0
	v_cmpx_ne_u32_e32 0xff, v3
	s_cbranch_execz .LBB323_1849
; %bb.1848:
	v_and_b32_e32 v8, 0x400000, v2
	v_and_or_b32 v3, 0x3fffff, v2, v3
	v_lshrrev_b32_e32 v2, 23, v2
	s_delay_alu instid0(VALU_DEP_3) | instskip(NEXT) | instid1(VALU_DEP_3)
	v_cmp_ne_u32_e32 vcc_lo, 0, v8
	v_cmp_ne_u32_e64 s0, 0, v3
	s_and_b32 s0, vcc_lo, s0
	s_delay_alu instid0(SALU_CYCLE_1) | instskip(NEXT) | instid1(VALU_DEP_1)
	v_cndmask_b32_e64 v3, 0, 1, s0
	v_add_nc_u32_e32 v8, v2, v3
.LBB323_1849:
	s_or_b32 exec_lo, exec_lo, s2
.LBB323_1850:
	s_mov_b32 s0, 0
.LBB323_1851:
	s_delay_alu instid0(SALU_CYCLE_1)
	s_and_not1_b32 vcc_lo, exec_lo, s0
	s_cbranch_vccnz .LBB323_1881
; %bb.1852:
	s_cmp_lt_i32 s1, 2
	s_cbranch_scc1 .LBB323_1858
; %bb.1853:
	s_cmp_lt_i32 s1, 3
	s_cbranch_scc1 .LBB323_1859
; %bb.1854:
	s_cmp_gt_i32 s1, 3
	s_cbranch_scc0 .LBB323_1860
; %bb.1855:
	global_load_b64 v[2:3], v[0:1], off
	s_mov_b32 s2, exec_lo
	s_wait_loadcnt 0x0
	v_xor_b32_e32 v8, v2, v3
	v_cls_i32_e32 v9, v3
	s_delay_alu instid0(VALU_DEP_2) | instskip(NEXT) | instid1(VALU_DEP_1)
	v_ashrrev_i32_e32 v8, 31, v8
	v_add_nc_u32_e32 v8, 32, v8
	s_delay_alu instid0(VALU_DEP_1) | instskip(NEXT) | instid1(VALU_DEP_1)
	v_add_min_u32_e64 v8, v9, -1, v8
	v_lshlrev_b64_e32 v[2:3], v8, v[2:3]
	s_delay_alu instid0(VALU_DEP_1) | instskip(NEXT) | instid1(VALU_DEP_1)
	v_min_u32_e32 v2, 1, v2
	v_dual_sub_nc_u32 v3, 32, v8 :: v_dual_bitop2_b32 v2, v3, v2 bitop3:0x54
	v_mov_b32_e32 v8, 0xff
	s_delay_alu instid0(VALU_DEP_2) | instskip(NEXT) | instid1(VALU_DEP_1)
	v_cvt_f32_i32_e32 v2, v2
	v_ldexp_f32 v2, v2, v3
	s_delay_alu instid0(VALU_DEP_1) | instskip(SKIP_1) | instid1(VALU_DEP_1)
	v_bfe_u32 v3, v2, 23, 8
	s_wait_xcnt 0x0
	v_cmpx_ne_u32_e32 0xff, v3
	s_cbranch_execz .LBB323_1857
; %bb.1856:
	v_and_b32_e32 v8, 0x400000, v2
	v_and_or_b32 v3, 0x3fffff, v2, v3
	v_lshrrev_b32_e32 v2, 23, v2
	s_delay_alu instid0(VALU_DEP_3) | instskip(NEXT) | instid1(VALU_DEP_3)
	v_cmp_ne_u32_e32 vcc_lo, 0, v8
	v_cmp_ne_u32_e64 s0, 0, v3
	s_and_b32 s0, vcc_lo, s0
	s_delay_alu instid0(SALU_CYCLE_1) | instskip(NEXT) | instid1(VALU_DEP_1)
	v_cndmask_b32_e64 v3, 0, 1, s0
	v_add_nc_u32_e32 v8, v2, v3
.LBB323_1857:
	s_or_b32 exec_lo, exec_lo, s2
	s_mov_b32 s0, 0
	s_branch .LBB323_1861
.LBB323_1858:
	s_mov_b32 s0, -1
                                        ; implicit-def: $vgpr8
	s_branch .LBB323_1871
.LBB323_1859:
	s_mov_b32 s0, -1
                                        ; implicit-def: $vgpr8
	s_branch .LBB323_1866
.LBB323_1860:
	s_mov_b32 s0, -1
                                        ; implicit-def: $vgpr8
.LBB323_1861:
	s_delay_alu instid0(SALU_CYCLE_1)
	s_and_not1_b32 vcc_lo, exec_lo, s0
	s_cbranch_vccnz .LBB323_1865
; %bb.1862:
	global_load_b32 v2, v[0:1], off
	s_wait_loadcnt 0x1
	v_mov_b32_e32 v8, 0xff
	s_mov_b32 s2, exec_lo
	s_wait_loadcnt 0x0
	v_cvt_f32_i32_e32 v2, v2
	s_delay_alu instid0(VALU_DEP_1) | instskip(SKIP_1) | instid1(VALU_DEP_1)
	v_bfe_u32 v3, v2, 23, 8
	s_wait_xcnt 0x0
	v_cmpx_ne_u32_e32 0xff, v3
	s_cbranch_execz .LBB323_1864
; %bb.1863:
	v_and_b32_e32 v8, 0x400000, v2
	v_and_or_b32 v3, 0x3fffff, v2, v3
	v_lshrrev_b32_e32 v2, 23, v2
	s_delay_alu instid0(VALU_DEP_3) | instskip(NEXT) | instid1(VALU_DEP_3)
	v_cmp_ne_u32_e32 vcc_lo, 0, v8
	v_cmp_ne_u32_e64 s0, 0, v3
	s_and_b32 s0, vcc_lo, s0
	s_delay_alu instid0(SALU_CYCLE_1) | instskip(NEXT) | instid1(VALU_DEP_1)
	v_cndmask_b32_e64 v3, 0, 1, s0
	v_add_nc_u32_e32 v8, v2, v3
.LBB323_1864:
	s_or_b32 exec_lo, exec_lo, s2
.LBB323_1865:
	s_mov_b32 s0, 0
.LBB323_1866:
	s_delay_alu instid0(SALU_CYCLE_1)
	s_and_not1_b32 vcc_lo, exec_lo, s0
	s_cbranch_vccnz .LBB323_1870
; %bb.1867:
	global_load_i16 v2, v[0:1], off
	s_wait_loadcnt 0x1
	v_mov_b32_e32 v8, 0xff
	s_mov_b32 s2, exec_lo
	s_wait_loadcnt 0x0
	v_cvt_f32_i32_e32 v2, v2
	s_delay_alu instid0(VALU_DEP_1) | instskip(SKIP_1) | instid1(VALU_DEP_1)
	v_bfe_u32 v3, v2, 23, 8
	s_wait_xcnt 0x0
	v_cmpx_ne_u32_e32 0xff, v3
	s_cbranch_execz .LBB323_1869
; %bb.1868:
	v_and_b32_e32 v8, 0x400000, v2
	v_and_or_b32 v3, 0x3fffff, v2, v3
	v_lshrrev_b32_e32 v2, 23, v2
	s_delay_alu instid0(VALU_DEP_3) | instskip(NEXT) | instid1(VALU_DEP_3)
	v_cmp_ne_u32_e32 vcc_lo, 0, v8
	v_cmp_ne_u32_e64 s0, 0, v3
	s_and_b32 s0, vcc_lo, s0
	s_delay_alu instid0(SALU_CYCLE_1) | instskip(NEXT) | instid1(VALU_DEP_1)
	v_cndmask_b32_e64 v3, 0, 1, s0
	v_add_nc_u32_e32 v8, v2, v3
.LBB323_1869:
	s_or_b32 exec_lo, exec_lo, s2
.LBB323_1870:
	s_mov_b32 s0, 0
.LBB323_1871:
	s_delay_alu instid0(SALU_CYCLE_1)
	s_and_not1_b32 vcc_lo, exec_lo, s0
	s_cbranch_vccnz .LBB323_1881
; %bb.1872:
	s_cmp_gt_i32 s1, 0
	s_cbranch_scc0 .LBB323_1876
; %bb.1873:
	global_load_i8 v2, v[0:1], off
	s_wait_loadcnt 0x1
	v_mov_b32_e32 v8, 0xff
	s_mov_b32 s1, exec_lo
	s_wait_loadcnt 0x0
	v_cvt_f32_i32_e32 v2, v2
	s_delay_alu instid0(VALU_DEP_1) | instskip(SKIP_1) | instid1(VALU_DEP_1)
	v_bfe_u32 v3, v2, 23, 8
	s_wait_xcnt 0x0
	v_cmpx_ne_u32_e32 0xff, v3
	s_cbranch_execz .LBB323_1875
; %bb.1874:
	v_and_b32_e32 v8, 0x400000, v2
	v_and_or_b32 v3, 0x3fffff, v2, v3
	v_lshrrev_b32_e32 v2, 23, v2
	s_delay_alu instid0(VALU_DEP_3) | instskip(NEXT) | instid1(VALU_DEP_3)
	v_cmp_ne_u32_e32 vcc_lo, 0, v8
	v_cmp_ne_u32_e64 s0, 0, v3
	s_and_b32 s0, vcc_lo, s0
	s_delay_alu instid0(SALU_CYCLE_1) | instskip(NEXT) | instid1(VALU_DEP_1)
	v_cndmask_b32_e64 v3, 0, 1, s0
	v_add_nc_u32_e32 v8, v2, v3
.LBB323_1875:
	s_or_b32 exec_lo, exec_lo, s1
	s_mov_b32 s0, 0
	s_branch .LBB323_1877
.LBB323_1876:
	s_mov_b32 s0, -1
                                        ; implicit-def: $vgpr8
.LBB323_1877:
	s_delay_alu instid0(SALU_CYCLE_1)
	s_and_not1_b32 vcc_lo, exec_lo, s0
	s_cbranch_vccnz .LBB323_1881
; %bb.1878:
	global_load_u8 v0, v[0:1], off
	s_wait_loadcnt 0x1
	v_mov_b32_e32 v8, 0xff
	s_mov_b32 s1, exec_lo
	s_wait_loadcnt 0x0
	v_cvt_f32_ubyte0_e32 v1, v0
	s_delay_alu instid0(VALU_DEP_1) | instskip(NEXT) | instid1(VALU_DEP_1)
	v_lshrrev_b32_e32 v0, 23, v1
	v_cmpx_ne_u32_e32 0xff, v0
; %bb.1879:
	v_and_b32_e32 v2, 0x400000, v1
	v_and_or_b32 v1, 0x3fffff, v1, v0
	s_delay_alu instid0(VALU_DEP_2) | instskip(NEXT) | instid1(VALU_DEP_2)
	v_cmp_ne_u32_e32 vcc_lo, 0, v2
	v_cmp_ne_u32_e64 s0, 0, v1
	s_and_b32 s0, vcc_lo, s0
	s_delay_alu instid0(SALU_CYCLE_1) | instskip(NEXT) | instid1(VALU_DEP_1)
	v_cndmask_b32_e64 v1, 0, 1, s0
	v_add_nc_u32_e32 v8, v0, v1
; %bb.1880:
	s_or_b32 exec_lo, exec_lo, s1
.LBB323_1881:
	s_mov_b32 s0, -1
.LBB323_1882:
	s_delay_alu instid0(SALU_CYCLE_1)
	s_and_not1_b32 vcc_lo, exec_lo, s0
	s_cbranch_vccnz .LBB323_2313
; %bb.1883:
	s_wait_loadcnt 0x0
	v_and_b32_e32 v0, 0xff, v5
	s_and_b32 s1, s11, 0xff
	s_cmp_eq_u32 s10, 0
	s_mov_b32 s9, 0
	s_cselect_b32 s0, -1, 0
	v_lshlrev_b32_e32 v1, 23, v0
	v_cmp_ne_u16_e32 vcc_lo, 0xff, v0
	s_lshl_b32 s2, s1, 23
	s_cmp_lg_u32 s1, 0xff
	s_cselect_b32 s2, s2, 0x7f800001
	v_cndmask_b32_e32 v1, 0x7f800001, v1, vcc_lo
	v_cmp_ne_u16_e32 vcc_lo, 0, v0
	s_cmp_lg_u32 s1, 0
	v_mul_lo_u32 v0, s8, v4
	s_cselect_b32 s6, s2, 0x400000
	s_and_b32 s16, s3, 0xff
	v_cndmask_b32_e32 v1, 0x400000, v1, vcc_lo
	s_cmp_lt_i32 s16, 11
	s_mov_b32 s2, -1
	s_delay_alu instid0(VALU_DEP_1) | instskip(SKIP_3) | instid1(VALU_DEP_1)
	v_cmp_eq_f32_e32 vcc_lo, s6, v1
	v_cndmask_b32_e64 v2, 0, 1, vcc_lo
	v_cmp_neq_f32_e32 vcc_lo, s6, v1
	v_cndmask_b32_e64 v1, 0, 1, vcc_lo
	v_dual_cndmask_b32 v2, v1, v2, s0 :: v_dual_ashrrev_i32 v1, 31, v0
	s_delay_alu instid0(VALU_DEP_1) | instskip(NEXT) | instid1(VALU_DEP_2)
	v_and_b32_e32 v4, 1, v2
	v_add_nc_u64_e32 v[2:3], s[4:5], v[0:1]
	s_delay_alu instid0(VALU_DEP_2)
	v_cmp_eq_u32_e64 s1, 1, v4
	s_cbranch_scc1 .LBB323_1962
; %bb.1884:
	s_and_b32 s3, 0xffff, s16
	s_mov_b32 s10, -1
	s_mov_b32 s7, 0
	s_cmp_gt_i32 s3, 25
	s_mov_b32 s2, 0
	s_cbranch_scc0 .LBB323_1917
; %bb.1885:
	s_cmp_gt_i32 s3, 28
	s_cbranch_scc0 .LBB323_1900
; %bb.1886:
	s_cmp_gt_i32 s3, 43
	s_cbranch_scc0 .LBB323_1896
; %bb.1887:
	s_cmp_gt_i32 s3, 45
	s_cbranch_scc0 .LBB323_1890
; %bb.1888:
	s_mov_b32 s2, -1
	s_mov_b32 s10, 0
	s_cmp_eq_u32 s3, 46
	s_cbranch_scc0 .LBB323_1890
; %bb.1889:
	v_cndmask_b32_e64 v1, 0, 1.0, s1
	s_mov_b32 s2, 0
	s_mov_b32 s9, -1
	s_delay_alu instid0(VALU_DEP_1) | instskip(NEXT) | instid1(VALU_DEP_1)
	v_bfe_u32 v4, v1, 16, 1
	v_add3_u32 v1, v1, v4, 0x7fff
	s_delay_alu instid0(VALU_DEP_1)
	v_lshrrev_b32_e32 v1, 16, v1
	global_store_b32 v[2:3], v1, off
.LBB323_1890:
	s_and_b32 vcc_lo, exec_lo, s10
	s_cbranch_vccz .LBB323_1895
; %bb.1891:
	s_cmp_eq_u32 s3, 44
	s_mov_b32 s2, -1
	s_cbranch_scc0 .LBB323_1895
; %bb.1892:
	v_cndmask_b32_e64 v5, 0, 1.0, s1
	s_mov_b32 s9, exec_lo
	s_wait_xcnt 0x0
	s_delay_alu instid0(VALU_DEP_1) | instskip(NEXT) | instid1(VALU_DEP_1)
	v_dual_mov_b32 v4, 0xff :: v_dual_lshrrev_b32 v1, 23, v5
	v_cmpx_ne_u32_e32 0xff, v1
; %bb.1893:
	v_and_b32_e32 v4, 0x400000, v5
	v_and_or_b32 v5, 0x3fffff, v5, v1
	s_delay_alu instid0(VALU_DEP_2) | instskip(NEXT) | instid1(VALU_DEP_2)
	v_cmp_ne_u32_e32 vcc_lo, 0, v4
	v_cmp_ne_u32_e64 s2, 0, v5
	s_and_b32 s2, vcc_lo, s2
	s_delay_alu instid0(SALU_CYCLE_1) | instskip(NEXT) | instid1(VALU_DEP_1)
	v_cndmask_b32_e64 v4, 0, 1, s2
	v_add_nc_u32_e32 v4, v1, v4
; %bb.1894:
	s_or_b32 exec_lo, exec_lo, s9
	s_mov_b32 s2, 0
	s_mov_b32 s9, -1
	global_store_b8 v[2:3], v4, off
.LBB323_1895:
	s_mov_b32 s10, 0
.LBB323_1896:
	s_delay_alu instid0(SALU_CYCLE_1)
	s_and_b32 vcc_lo, exec_lo, s10
	s_cbranch_vccz .LBB323_1899
; %bb.1897:
	s_cmp_eq_u32 s3, 29
	s_mov_b32 s2, -1
	s_cbranch_scc0 .LBB323_1899
; %bb.1898:
	s_mov_b32 s2, 0
	s_wait_xcnt 0x0
	v_cndmask_b32_e64 v4, 0, 1, s1
	v_mov_b32_e32 v5, s2
	s_mov_b32 s9, -1
	global_store_b64 v[2:3], v[4:5], off
.LBB323_1899:
	s_mov_b32 s10, 0
.LBB323_1900:
	s_delay_alu instid0(SALU_CYCLE_1)
	s_and_b32 vcc_lo, exec_lo, s10
	s_cbranch_vccz .LBB323_1916
; %bb.1901:
	s_cmp_lt_i32 s3, 27
	s_mov_b32 s9, -1
	s_cbranch_scc1 .LBB323_1907
; %bb.1902:
	s_cmp_gt_i32 s3, 27
	s_cbranch_scc0 .LBB323_1904
; %bb.1903:
	s_wait_xcnt 0x0
	v_cndmask_b32_e64 v1, 0, 1, s1
	s_mov_b32 s9, 0
	global_store_b32 v[2:3], v1, off
.LBB323_1904:
	s_and_not1_b32 vcc_lo, exec_lo, s9
	s_cbranch_vccnz .LBB323_1906
; %bb.1905:
	s_wait_xcnt 0x0
	v_cndmask_b32_e64 v1, 0, 1, s1
	global_store_b16 v[2:3], v1, off
.LBB323_1906:
	s_mov_b32 s9, 0
.LBB323_1907:
	s_delay_alu instid0(SALU_CYCLE_1)
	s_and_not1_b32 vcc_lo, exec_lo, s9
	s_cbranch_vccnz .LBB323_1915
; %bb.1908:
	s_wait_xcnt 0x0
	v_cndmask_b32_e64 v4, 0, 1.0, s1
	v_mov_b32_e32 v5, 0x80
	s_mov_b32 s9, exec_lo
	s_delay_alu instid0(VALU_DEP_2)
	v_cmpx_gt_u32_e32 0x43800000, v4
	s_cbranch_execz .LBB323_1914
; %bb.1909:
	s_mov_b32 s10, 0
	s_mov_b32 s11, exec_lo
                                        ; implicit-def: $vgpr1
	v_cmpx_lt_u32_e32 0x3bffffff, v4
	s_xor_b32 s11, exec_lo, s11
	s_cbranch_execz .LBB323_2356
; %bb.1910:
	v_bfe_u32 v1, v4, 20, 1
	s_mov_b32 s10, exec_lo
	s_delay_alu instid0(VALU_DEP_1) | instskip(NEXT) | instid1(VALU_DEP_1)
	v_add3_u32 v1, v4, v1, 0x487ffff
                                        ; implicit-def: $vgpr4
	v_lshrrev_b32_e32 v1, 20, v1
	s_and_not1_saveexec_b32 s11, s11
	s_cbranch_execnz .LBB323_2357
.LBB323_1911:
	s_or_b32 exec_lo, exec_lo, s11
	v_mov_b32_e32 v5, 0
	s_and_saveexec_b32 s11, s10
.LBB323_1912:
	v_mov_b32_e32 v5, v1
.LBB323_1913:
	s_or_b32 exec_lo, exec_lo, s11
.LBB323_1914:
	s_delay_alu instid0(SALU_CYCLE_1)
	s_or_b32 exec_lo, exec_lo, s9
	global_store_b8 v[2:3], v5, off
.LBB323_1915:
	s_mov_b32 s9, -1
.LBB323_1916:
	s_mov_b32 s10, 0
.LBB323_1917:
	s_delay_alu instid0(SALU_CYCLE_1)
	s_and_b32 vcc_lo, exec_lo, s10
	s_cbranch_vccz .LBB323_1957
; %bb.1918:
	s_cmp_gt_i32 s3, 22
	s_mov_b32 s7, -1
	s_cbranch_scc0 .LBB323_1950
; %bb.1919:
	s_cmp_lt_i32 s3, 24
	s_cbranch_scc1 .LBB323_1939
; %bb.1920:
	s_cmp_gt_i32 s3, 24
	s_cbranch_scc0 .LBB323_1928
; %bb.1921:
	s_wait_xcnt 0x0
	v_cndmask_b32_e64 v4, 0, 1.0, s1
	v_mov_b32_e32 v5, 0x80
	s_mov_b32 s7, exec_lo
	s_delay_alu instid0(VALU_DEP_2)
	v_cmpx_gt_u32_e32 0x47800000, v4
	s_cbranch_execz .LBB323_1927
; %bb.1922:
	s_mov_b32 s9, 0
	s_mov_b32 s10, exec_lo
                                        ; implicit-def: $vgpr1
	v_cmpx_lt_u32_e32 0x37ffffff, v4
	s_xor_b32 s10, exec_lo, s10
	s_cbranch_execz .LBB323_2359
; %bb.1923:
	v_bfe_u32 v1, v4, 21, 1
	s_mov_b32 s9, exec_lo
	s_delay_alu instid0(VALU_DEP_1) | instskip(NEXT) | instid1(VALU_DEP_1)
	v_add3_u32 v1, v4, v1, 0x88fffff
                                        ; implicit-def: $vgpr4
	v_lshrrev_b32_e32 v1, 21, v1
	s_and_not1_saveexec_b32 s10, s10
	s_cbranch_execnz .LBB323_2360
.LBB323_1924:
	s_or_b32 exec_lo, exec_lo, s10
	v_mov_b32_e32 v5, 0
	s_and_saveexec_b32 s10, s9
.LBB323_1925:
	v_mov_b32_e32 v5, v1
.LBB323_1926:
	s_or_b32 exec_lo, exec_lo, s10
.LBB323_1927:
	s_delay_alu instid0(SALU_CYCLE_1)
	s_or_b32 exec_lo, exec_lo, s7
	s_mov_b32 s7, 0
	global_store_b8 v[2:3], v5, off
.LBB323_1928:
	s_and_b32 vcc_lo, exec_lo, s7
	s_cbranch_vccz .LBB323_1938
; %bb.1929:
	s_wait_xcnt 0x0
	v_cndmask_b32_e64 v4, 0, 1.0, s1
	s_mov_b32 s7, exec_lo
                                        ; implicit-def: $vgpr1
	s_delay_alu instid0(VALU_DEP_1)
	v_cmpx_gt_u32_e32 0x43f00000, v4
	s_xor_b32 s7, exec_lo, s7
	s_cbranch_execz .LBB323_1935
; %bb.1930:
	s_mov_b32 s9, exec_lo
                                        ; implicit-def: $vgpr1
	v_cmpx_lt_u32_e32 0x3c7fffff, v4
	s_xor_b32 s9, exec_lo, s9
; %bb.1931:
	v_bfe_u32 v1, v4, 20, 1
	s_delay_alu instid0(VALU_DEP_1) | instskip(NEXT) | instid1(VALU_DEP_1)
	v_add3_u32 v1, v4, v1, 0x407ffff
	v_and_b32_e32 v4, 0xff00000, v1
	v_lshrrev_b32_e32 v1, 20, v1
	s_delay_alu instid0(VALU_DEP_2) | instskip(NEXT) | instid1(VALU_DEP_2)
	v_cmp_ne_u32_e32 vcc_lo, 0x7f00000, v4
                                        ; implicit-def: $vgpr4
	v_cndmask_b32_e32 v1, 0x7e, v1, vcc_lo
; %bb.1932:
	s_and_not1_saveexec_b32 s9, s9
; %bb.1933:
	v_add_f32_e32 v1, 0x46800000, v4
; %bb.1934:
	s_or_b32 exec_lo, exec_lo, s9
                                        ; implicit-def: $vgpr4
.LBB323_1935:
	s_and_not1_saveexec_b32 s7, s7
; %bb.1936:
	v_mov_b32_e32 v1, 0x7f
	v_cmp_lt_u32_e32 vcc_lo, 0x7f800000, v4
	s_delay_alu instid0(VALU_DEP_2)
	v_cndmask_b32_e32 v1, 0x7e, v1, vcc_lo
; %bb.1937:
	s_or_b32 exec_lo, exec_lo, s7
	global_store_b8 v[2:3], v1, off
.LBB323_1938:
	s_mov_b32 s7, 0
.LBB323_1939:
	s_delay_alu instid0(SALU_CYCLE_1)
	s_and_not1_b32 vcc_lo, exec_lo, s7
	s_cbranch_vccnz .LBB323_1949
; %bb.1940:
	s_wait_xcnt 0x0
	v_cndmask_b32_e64 v4, 0, 1.0, s1
	s_mov_b32 s7, exec_lo
                                        ; implicit-def: $vgpr1
	s_delay_alu instid0(VALU_DEP_1)
	v_cmpx_gt_u32_e32 0x47800000, v4
	s_xor_b32 s7, exec_lo, s7
	s_cbranch_execz .LBB323_1946
; %bb.1941:
	s_mov_b32 s9, exec_lo
                                        ; implicit-def: $vgpr1
	v_cmpx_lt_u32_e32 0x387fffff, v4
	s_xor_b32 s9, exec_lo, s9
; %bb.1942:
	v_bfe_u32 v1, v4, 21, 1
	s_delay_alu instid0(VALU_DEP_1) | instskip(NEXT) | instid1(VALU_DEP_1)
	v_add3_u32 v1, v4, v1, 0x80fffff
                                        ; implicit-def: $vgpr4
	v_lshrrev_b32_e32 v1, 21, v1
; %bb.1943:
	s_and_not1_saveexec_b32 s9, s9
; %bb.1944:
	v_add_f32_e32 v1, 0x43000000, v4
; %bb.1945:
	s_or_b32 exec_lo, exec_lo, s9
                                        ; implicit-def: $vgpr4
.LBB323_1946:
	s_and_not1_saveexec_b32 s7, s7
; %bb.1947:
	v_mov_b32_e32 v1, 0x7f
	v_cmp_lt_u32_e32 vcc_lo, 0x7f800000, v4
	s_delay_alu instid0(VALU_DEP_2)
	v_cndmask_b32_e32 v1, 0x7c, v1, vcc_lo
; %bb.1948:
	s_or_b32 exec_lo, exec_lo, s7
	global_store_b8 v[2:3], v1, off
.LBB323_1949:
	s_mov_b32 s7, 0
	s_mov_b32 s9, -1
.LBB323_1950:
	s_and_not1_b32 vcc_lo, exec_lo, s7
	s_mov_b32 s7, 0
	s_cbranch_vccnz .LBB323_1957
; %bb.1951:
	s_cmp_gt_i32 s3, 14
	s_mov_b32 s7, -1
	s_cbranch_scc0 .LBB323_1955
; %bb.1952:
	s_cmp_eq_u32 s3, 15
	s_mov_b32 s2, -1
	s_cbranch_scc0 .LBB323_1954
; %bb.1953:
	s_wait_xcnt 0x0
	v_cndmask_b32_e64 v1, 0, 1.0, s1
	s_mov_b32 s2, 0
	s_mov_b32 s9, -1
	s_delay_alu instid0(VALU_DEP_1) | instskip(NEXT) | instid1(VALU_DEP_1)
	v_bfe_u32 v4, v1, 16, 1
	v_add3_u32 v1, v1, v4, 0x7fff
	global_store_d16_hi_b16 v[2:3], v1, off
.LBB323_1954:
	s_mov_b32 s7, 0
.LBB323_1955:
	s_delay_alu instid0(SALU_CYCLE_1)
	s_and_b32 vcc_lo, exec_lo, s7
	s_mov_b32 s7, 0
	s_cbranch_vccz .LBB323_1957
; %bb.1956:
	s_cmp_lg_u32 s3, 11
	s_mov_b32 s7, -1
	s_cselect_b32 s2, -1, 0
.LBB323_1957:
	s_delay_alu instid0(SALU_CYCLE_1)
	s_and_b32 vcc_lo, exec_lo, s2
	s_cbranch_vccnz .LBB323_2358
; %bb.1958:
	s_and_not1_b32 vcc_lo, exec_lo, s7
	s_cbranch_vccnz .LBB323_1960
.LBB323_1959:
	s_wait_xcnt 0x0
	v_cndmask_b32_e64 v1, 0, 1, s1
	s_mov_b32 s9, -1
	global_store_b8 v[2:3], v1, off
.LBB323_1960:
.LBB323_1961:
	s_and_not1_b32 vcc_lo, exec_lo, s9
	s_cbranch_vccz .LBB323_2001
	s_branch .LBB323_2313
.LBB323_1962:
	s_and_b32 vcc_lo, exec_lo, s2
	s_cbranch_vccz .LBB323_1961
; %bb.1963:
	s_and_b32 s2, 0xffff, s16
	s_mov_b32 s3, -1
	s_cmp_lt_i32 s2, 5
	s_cbranch_scc1 .LBB323_1984
; %bb.1964:
	s_cmp_lt_i32 s2, 8
	s_cbranch_scc1 .LBB323_1974
; %bb.1965:
	;; [unrolled: 3-line block ×3, first 2 shown]
	s_cmp_gt_i32 s2, 9
	s_cbranch_scc0 .LBB323_1968
; %bb.1967:
	s_wait_xcnt 0x0
	v_cndmask_b32_e64 v1, 0, 1, s1
	v_mov_b32_e32 v12, 0
	s_mov_b32 s3, 0
	s_delay_alu instid0(VALU_DEP_2) | instskip(NEXT) | instid1(VALU_DEP_2)
	v_cvt_f64_u32_e32 v[10:11], v1
	v_mov_b32_e32 v13, v12
	global_store_b128 v[2:3], v[10:13], off
.LBB323_1968:
	s_and_not1_b32 vcc_lo, exec_lo, s3
	s_cbranch_vccnz .LBB323_1970
; %bb.1969:
	s_wait_xcnt 0x0
	v_cndmask_b32_e64 v4, 0, 1.0, s1
	v_mov_b32_e32 v5, 0
	global_store_b64 v[2:3], v[4:5], off
.LBB323_1970:
	s_mov_b32 s3, 0
.LBB323_1971:
	s_delay_alu instid0(SALU_CYCLE_1)
	s_and_not1_b32 vcc_lo, exec_lo, s3
	s_cbranch_vccnz .LBB323_1973
; %bb.1972:
	s_wait_xcnt 0x0
	v_cndmask_b32_e64 v1, 0, 1.0, s1
	s_delay_alu instid0(VALU_DEP_1) | instskip(NEXT) | instid1(VALU_DEP_1)
	v_cvt_f16_f32_e32 v1, v1
	v_and_b32_e32 v1, 0xffff, v1
	global_store_b32 v[2:3], v1, off
.LBB323_1973:
	s_mov_b32 s3, 0
.LBB323_1974:
	s_delay_alu instid0(SALU_CYCLE_1)
	s_and_not1_b32 vcc_lo, exec_lo, s3
	s_cbranch_vccnz .LBB323_1983
; %bb.1975:
	s_cmp_lt_i32 s2, 6
	s_mov_b32 s3, -1
	s_cbranch_scc1 .LBB323_1981
; %bb.1976:
	s_cmp_gt_i32 s2, 6
	s_cbranch_scc0 .LBB323_1978
; %bb.1977:
	s_wait_xcnt 0x0
	v_cndmask_b32_e64 v1, 0, 1, s1
	s_mov_b32 s3, 0
	s_delay_alu instid0(VALU_DEP_1)
	v_cvt_f64_u32_e32 v[4:5], v1
	global_store_b64 v[2:3], v[4:5], off
.LBB323_1978:
	s_and_not1_b32 vcc_lo, exec_lo, s3
	s_cbranch_vccnz .LBB323_1980
; %bb.1979:
	s_wait_xcnt 0x0
	v_cndmask_b32_e64 v1, 0, 1.0, s1
	global_store_b32 v[2:3], v1, off
.LBB323_1980:
	s_mov_b32 s3, 0
.LBB323_1981:
	s_delay_alu instid0(SALU_CYCLE_1)
	s_and_not1_b32 vcc_lo, exec_lo, s3
	s_cbranch_vccnz .LBB323_1983
; %bb.1982:
	s_wait_xcnt 0x0
	v_cndmask_b32_e64 v1, 0, 1.0, s1
	s_delay_alu instid0(VALU_DEP_1)
	v_cvt_f16_f32_e32 v1, v1
	global_store_b16 v[2:3], v1, off
.LBB323_1983:
	s_mov_b32 s3, 0
.LBB323_1984:
	s_delay_alu instid0(SALU_CYCLE_1)
	s_and_not1_b32 vcc_lo, exec_lo, s3
	s_cbranch_vccnz .LBB323_2000
; %bb.1985:
	s_cmp_lt_i32 s2, 2
	s_mov_b32 s3, -1
	s_cbranch_scc1 .LBB323_1995
; %bb.1986:
	s_cmp_lt_i32 s2, 3
	s_cbranch_scc1 .LBB323_1992
; %bb.1987:
	s_cmp_gt_i32 s2, 3
	s_cbranch_scc0 .LBB323_1989
; %bb.1988:
	s_mov_b32 s3, 0
	s_wait_xcnt 0x0
	v_cndmask_b32_e64 v4, 0, 1, s1
	v_mov_b32_e32 v5, s3
	global_store_b64 v[2:3], v[4:5], off
.LBB323_1989:
	s_and_not1_b32 vcc_lo, exec_lo, s3
	s_cbranch_vccnz .LBB323_1991
; %bb.1990:
	s_wait_xcnt 0x0
	v_cndmask_b32_e64 v1, 0, 1, s1
	global_store_b32 v[2:3], v1, off
.LBB323_1991:
	s_mov_b32 s3, 0
.LBB323_1992:
	s_delay_alu instid0(SALU_CYCLE_1)
	s_and_not1_b32 vcc_lo, exec_lo, s3
	s_cbranch_vccnz .LBB323_1994
; %bb.1993:
	s_wait_xcnt 0x0
	v_cndmask_b32_e64 v1, 0, 1, s1
	global_store_b16 v[2:3], v1, off
.LBB323_1994:
	s_mov_b32 s3, 0
.LBB323_1995:
	s_delay_alu instid0(SALU_CYCLE_1)
	s_and_not1_b32 vcc_lo, exec_lo, s3
	s_cbranch_vccnz .LBB323_2000
; %bb.1996:
	s_wait_xcnt 0x0
	v_cndmask_b32_e64 v1, 0, 1, s1
	s_cmp_gt_i32 s2, 0
	s_mov_b32 s1, -1
	s_cbranch_scc0 .LBB323_1998
; %bb.1997:
	s_mov_b32 s1, 0
	global_store_b8 v[2:3], v1, off
.LBB323_1998:
	s_and_not1_b32 vcc_lo, exec_lo, s1
	s_cbranch_vccnz .LBB323_2000
; %bb.1999:
	global_store_b8 v[2:3], v1, off
.LBB323_2000:
.LBB323_2001:
	s_wait_xcnt 0x0
	v_and_b32_e32 v1, 0xff, v6
	s_lshl_b32 s3, s8, 7
	s_mov_b32 s9, 0
	s_cmp_lt_i32 s16, 11
	s_mov_b32 s2, -1
	v_dual_lshlrev_b32 v2, 23, v1 :: v_dual_add_nc_u32 v0, s3, v0
	v_cmp_ne_u16_e32 vcc_lo, 0xff, v1
	s_delay_alu instid0(VALU_DEP_2) | instskip(SKIP_1) | instid1(VALU_DEP_2)
	v_cndmask_b32_e32 v2, 0x7f800001, v2, vcc_lo
	v_cmp_ne_u16_e32 vcc_lo, 0, v1
	v_cndmask_b32_e32 v1, 0x400000, v2, vcc_lo
	s_delay_alu instid0(VALU_DEP_1) | instskip(SKIP_3) | instid1(VALU_DEP_1)
	v_cmp_eq_f32_e32 vcc_lo, s6, v1
	v_cndmask_b32_e64 v2, 0, 1, vcc_lo
	v_cmp_neq_f32_e32 vcc_lo, s6, v1
	v_cndmask_b32_e64 v1, 0, 1, vcc_lo
	v_dual_cndmask_b32 v2, v1, v2, s0 :: v_dual_ashrrev_i32 v1, 31, v0
	s_delay_alu instid0(VALU_DEP_1) | instskip(NEXT) | instid1(VALU_DEP_2)
	v_and_b32_e32 v4, 1, v2
	v_add_nc_u64_e32 v[2:3], s[4:5], v[0:1]
	s_delay_alu instid0(VALU_DEP_2)
	v_cmp_eq_u32_e64 s1, 1, v4
	s_cbranch_scc1 .LBB323_2080
; %bb.2002:
	s_and_b32 s7, 0xffff, s16
	s_mov_b32 s10, -1
	s_mov_b32 s8, 0
	s_cmp_gt_i32 s7, 25
	s_mov_b32 s2, 0
	s_cbranch_scc0 .LBB323_2035
; %bb.2003:
	s_cmp_gt_i32 s7, 28
	s_cbranch_scc0 .LBB323_2018
; %bb.2004:
	s_cmp_gt_i32 s7, 43
	;; [unrolled: 3-line block ×3, first 2 shown]
	s_cbranch_scc0 .LBB323_2008
; %bb.2006:
	s_mov_b32 s2, -1
	s_mov_b32 s10, 0
	s_cmp_eq_u32 s7, 46
	s_cbranch_scc0 .LBB323_2008
; %bb.2007:
	v_cndmask_b32_e64 v1, 0, 1.0, s1
	s_mov_b32 s2, 0
	s_mov_b32 s9, -1
	s_delay_alu instid0(VALU_DEP_1) | instskip(NEXT) | instid1(VALU_DEP_1)
	v_bfe_u32 v4, v1, 16, 1
	v_add3_u32 v1, v1, v4, 0x7fff
	s_delay_alu instid0(VALU_DEP_1)
	v_lshrrev_b32_e32 v1, 16, v1
	global_store_b32 v[2:3], v1, off
.LBB323_2008:
	s_and_b32 vcc_lo, exec_lo, s10
	s_cbranch_vccz .LBB323_2013
; %bb.2009:
	s_cmp_eq_u32 s7, 44
	s_mov_b32 s2, -1
	s_cbranch_scc0 .LBB323_2013
; %bb.2010:
	v_cndmask_b32_e64 v5, 0, 1.0, s1
	s_mov_b32 s9, exec_lo
	s_wait_xcnt 0x0
	s_delay_alu instid0(VALU_DEP_1) | instskip(NEXT) | instid1(VALU_DEP_1)
	v_dual_mov_b32 v4, 0xff :: v_dual_lshrrev_b32 v1, 23, v5
	v_cmpx_ne_u32_e32 0xff, v1
; %bb.2011:
	v_and_b32_e32 v4, 0x400000, v5
	v_and_or_b32 v5, 0x3fffff, v5, v1
	s_delay_alu instid0(VALU_DEP_2) | instskip(NEXT) | instid1(VALU_DEP_2)
	v_cmp_ne_u32_e32 vcc_lo, 0, v4
	v_cmp_ne_u32_e64 s2, 0, v5
	s_and_b32 s2, vcc_lo, s2
	s_delay_alu instid0(SALU_CYCLE_1) | instskip(NEXT) | instid1(VALU_DEP_1)
	v_cndmask_b32_e64 v4, 0, 1, s2
	v_add_nc_u32_e32 v4, v1, v4
; %bb.2012:
	s_or_b32 exec_lo, exec_lo, s9
	s_mov_b32 s2, 0
	s_mov_b32 s9, -1
	global_store_b8 v[2:3], v4, off
.LBB323_2013:
	s_mov_b32 s10, 0
.LBB323_2014:
	s_delay_alu instid0(SALU_CYCLE_1)
	s_and_b32 vcc_lo, exec_lo, s10
	s_cbranch_vccz .LBB323_2017
; %bb.2015:
	s_cmp_eq_u32 s7, 29
	s_mov_b32 s2, -1
	s_cbranch_scc0 .LBB323_2017
; %bb.2016:
	s_mov_b32 s2, 0
	s_wait_xcnt 0x0
	v_cndmask_b32_e64 v4, 0, 1, s1
	v_mov_b32_e32 v5, s2
	s_mov_b32 s9, -1
	global_store_b64 v[2:3], v[4:5], off
.LBB323_2017:
	s_mov_b32 s10, 0
.LBB323_2018:
	s_delay_alu instid0(SALU_CYCLE_1)
	s_and_b32 vcc_lo, exec_lo, s10
	s_cbranch_vccz .LBB323_2034
; %bb.2019:
	s_cmp_lt_i32 s7, 27
	s_mov_b32 s9, -1
	s_cbranch_scc1 .LBB323_2025
; %bb.2020:
	s_cmp_gt_i32 s7, 27
	s_cbranch_scc0 .LBB323_2022
; %bb.2021:
	s_wait_xcnt 0x0
	v_cndmask_b32_e64 v1, 0, 1, s1
	s_mov_b32 s9, 0
	global_store_b32 v[2:3], v1, off
.LBB323_2022:
	s_and_not1_b32 vcc_lo, exec_lo, s9
	s_cbranch_vccnz .LBB323_2024
; %bb.2023:
	s_wait_xcnt 0x0
	v_cndmask_b32_e64 v1, 0, 1, s1
	global_store_b16 v[2:3], v1, off
.LBB323_2024:
	s_mov_b32 s9, 0
.LBB323_2025:
	s_delay_alu instid0(SALU_CYCLE_1)
	s_and_not1_b32 vcc_lo, exec_lo, s9
	s_cbranch_vccnz .LBB323_2033
; %bb.2026:
	s_wait_xcnt 0x0
	v_cndmask_b32_e64 v4, 0, 1.0, s1
	v_mov_b32_e32 v5, 0x80
	s_mov_b32 s9, exec_lo
	s_delay_alu instid0(VALU_DEP_2)
	v_cmpx_gt_u32_e32 0x43800000, v4
	s_cbranch_execz .LBB323_2032
; %bb.2027:
	s_mov_b32 s10, 0
	s_mov_b32 s11, exec_lo
                                        ; implicit-def: $vgpr1
	v_cmpx_lt_u32_e32 0x3bffffff, v4
	s_xor_b32 s11, exec_lo, s11
	s_cbranch_execz .LBB323_2361
; %bb.2028:
	v_bfe_u32 v1, v4, 20, 1
	s_mov_b32 s10, exec_lo
	s_delay_alu instid0(VALU_DEP_1) | instskip(NEXT) | instid1(VALU_DEP_1)
	v_add3_u32 v1, v4, v1, 0x487ffff
                                        ; implicit-def: $vgpr4
	v_lshrrev_b32_e32 v1, 20, v1
	s_and_not1_saveexec_b32 s11, s11
	s_cbranch_execnz .LBB323_2362
.LBB323_2029:
	s_or_b32 exec_lo, exec_lo, s11
	v_mov_b32_e32 v5, 0
	s_and_saveexec_b32 s11, s10
.LBB323_2030:
	v_mov_b32_e32 v5, v1
.LBB323_2031:
	s_or_b32 exec_lo, exec_lo, s11
.LBB323_2032:
	s_delay_alu instid0(SALU_CYCLE_1)
	s_or_b32 exec_lo, exec_lo, s9
	global_store_b8 v[2:3], v5, off
.LBB323_2033:
	s_mov_b32 s9, -1
.LBB323_2034:
	s_mov_b32 s10, 0
.LBB323_2035:
	s_delay_alu instid0(SALU_CYCLE_1)
	s_and_b32 vcc_lo, exec_lo, s10
	s_cbranch_vccz .LBB323_2075
; %bb.2036:
	s_cmp_gt_i32 s7, 22
	s_mov_b32 s8, -1
	s_cbranch_scc0 .LBB323_2068
; %bb.2037:
	s_cmp_lt_i32 s7, 24
	s_cbranch_scc1 .LBB323_2057
; %bb.2038:
	s_cmp_gt_i32 s7, 24
	s_cbranch_scc0 .LBB323_2046
; %bb.2039:
	s_wait_xcnt 0x0
	v_cndmask_b32_e64 v4, 0, 1.0, s1
	v_mov_b32_e32 v5, 0x80
	s_mov_b32 s8, exec_lo
	s_delay_alu instid0(VALU_DEP_2)
	v_cmpx_gt_u32_e32 0x47800000, v4
	s_cbranch_execz .LBB323_2045
; %bb.2040:
	s_mov_b32 s9, 0
	s_mov_b32 s10, exec_lo
                                        ; implicit-def: $vgpr1
	v_cmpx_lt_u32_e32 0x37ffffff, v4
	s_xor_b32 s10, exec_lo, s10
	s_cbranch_execz .LBB323_2364
; %bb.2041:
	v_bfe_u32 v1, v4, 21, 1
	s_mov_b32 s9, exec_lo
	s_delay_alu instid0(VALU_DEP_1) | instskip(NEXT) | instid1(VALU_DEP_1)
	v_add3_u32 v1, v4, v1, 0x88fffff
                                        ; implicit-def: $vgpr4
	v_lshrrev_b32_e32 v1, 21, v1
	s_and_not1_saveexec_b32 s10, s10
	s_cbranch_execnz .LBB323_2365
.LBB323_2042:
	s_or_b32 exec_lo, exec_lo, s10
	v_mov_b32_e32 v5, 0
	s_and_saveexec_b32 s10, s9
.LBB323_2043:
	v_mov_b32_e32 v5, v1
.LBB323_2044:
	s_or_b32 exec_lo, exec_lo, s10
.LBB323_2045:
	s_delay_alu instid0(SALU_CYCLE_1)
	s_or_b32 exec_lo, exec_lo, s8
	s_mov_b32 s8, 0
	global_store_b8 v[2:3], v5, off
.LBB323_2046:
	s_and_b32 vcc_lo, exec_lo, s8
	s_cbranch_vccz .LBB323_2056
; %bb.2047:
	s_wait_xcnt 0x0
	v_cndmask_b32_e64 v4, 0, 1.0, s1
	s_mov_b32 s8, exec_lo
                                        ; implicit-def: $vgpr1
	s_delay_alu instid0(VALU_DEP_1)
	v_cmpx_gt_u32_e32 0x43f00000, v4
	s_xor_b32 s8, exec_lo, s8
	s_cbranch_execz .LBB323_2053
; %bb.2048:
	s_mov_b32 s9, exec_lo
                                        ; implicit-def: $vgpr1
	v_cmpx_lt_u32_e32 0x3c7fffff, v4
	s_xor_b32 s9, exec_lo, s9
; %bb.2049:
	v_bfe_u32 v1, v4, 20, 1
	s_delay_alu instid0(VALU_DEP_1) | instskip(NEXT) | instid1(VALU_DEP_1)
	v_add3_u32 v1, v4, v1, 0x407ffff
	v_and_b32_e32 v4, 0xff00000, v1
	v_lshrrev_b32_e32 v1, 20, v1
	s_delay_alu instid0(VALU_DEP_2) | instskip(NEXT) | instid1(VALU_DEP_2)
	v_cmp_ne_u32_e32 vcc_lo, 0x7f00000, v4
                                        ; implicit-def: $vgpr4
	v_cndmask_b32_e32 v1, 0x7e, v1, vcc_lo
; %bb.2050:
	s_and_not1_saveexec_b32 s9, s9
; %bb.2051:
	v_add_f32_e32 v1, 0x46800000, v4
; %bb.2052:
	s_or_b32 exec_lo, exec_lo, s9
                                        ; implicit-def: $vgpr4
.LBB323_2053:
	s_and_not1_saveexec_b32 s8, s8
; %bb.2054:
	v_mov_b32_e32 v1, 0x7f
	v_cmp_lt_u32_e32 vcc_lo, 0x7f800000, v4
	s_delay_alu instid0(VALU_DEP_2)
	v_cndmask_b32_e32 v1, 0x7e, v1, vcc_lo
; %bb.2055:
	s_or_b32 exec_lo, exec_lo, s8
	global_store_b8 v[2:3], v1, off
.LBB323_2056:
	s_mov_b32 s8, 0
.LBB323_2057:
	s_delay_alu instid0(SALU_CYCLE_1)
	s_and_not1_b32 vcc_lo, exec_lo, s8
	s_cbranch_vccnz .LBB323_2067
; %bb.2058:
	s_wait_xcnt 0x0
	v_cndmask_b32_e64 v4, 0, 1.0, s1
	s_mov_b32 s8, exec_lo
                                        ; implicit-def: $vgpr1
	s_delay_alu instid0(VALU_DEP_1)
	v_cmpx_gt_u32_e32 0x47800000, v4
	s_xor_b32 s8, exec_lo, s8
	s_cbranch_execz .LBB323_2064
; %bb.2059:
	s_mov_b32 s9, exec_lo
                                        ; implicit-def: $vgpr1
	v_cmpx_lt_u32_e32 0x387fffff, v4
	s_xor_b32 s9, exec_lo, s9
; %bb.2060:
	v_bfe_u32 v1, v4, 21, 1
	s_delay_alu instid0(VALU_DEP_1) | instskip(NEXT) | instid1(VALU_DEP_1)
	v_add3_u32 v1, v4, v1, 0x80fffff
                                        ; implicit-def: $vgpr4
	v_lshrrev_b32_e32 v1, 21, v1
; %bb.2061:
	s_and_not1_saveexec_b32 s9, s9
; %bb.2062:
	v_add_f32_e32 v1, 0x43000000, v4
; %bb.2063:
	s_or_b32 exec_lo, exec_lo, s9
                                        ; implicit-def: $vgpr4
.LBB323_2064:
	s_and_not1_saveexec_b32 s8, s8
; %bb.2065:
	v_mov_b32_e32 v1, 0x7f
	v_cmp_lt_u32_e32 vcc_lo, 0x7f800000, v4
	s_delay_alu instid0(VALU_DEP_2)
	v_cndmask_b32_e32 v1, 0x7c, v1, vcc_lo
; %bb.2066:
	s_or_b32 exec_lo, exec_lo, s8
	global_store_b8 v[2:3], v1, off
.LBB323_2067:
	s_mov_b32 s8, 0
	s_mov_b32 s9, -1
.LBB323_2068:
	s_and_not1_b32 vcc_lo, exec_lo, s8
	s_mov_b32 s8, 0
	s_cbranch_vccnz .LBB323_2075
; %bb.2069:
	s_cmp_gt_i32 s7, 14
	s_mov_b32 s8, -1
	s_cbranch_scc0 .LBB323_2073
; %bb.2070:
	s_cmp_eq_u32 s7, 15
	s_mov_b32 s2, -1
	s_cbranch_scc0 .LBB323_2072
; %bb.2071:
	s_wait_xcnt 0x0
	v_cndmask_b32_e64 v1, 0, 1.0, s1
	s_mov_b32 s2, 0
	s_mov_b32 s9, -1
	s_delay_alu instid0(VALU_DEP_1) | instskip(NEXT) | instid1(VALU_DEP_1)
	v_bfe_u32 v4, v1, 16, 1
	v_add3_u32 v1, v1, v4, 0x7fff
	global_store_d16_hi_b16 v[2:3], v1, off
.LBB323_2072:
	s_mov_b32 s8, 0
.LBB323_2073:
	s_delay_alu instid0(SALU_CYCLE_1)
	s_and_b32 vcc_lo, exec_lo, s8
	s_mov_b32 s8, 0
	s_cbranch_vccz .LBB323_2075
; %bb.2074:
	s_cmp_lg_u32 s7, 11
	s_mov_b32 s8, -1
	s_cselect_b32 s2, -1, 0
.LBB323_2075:
	s_delay_alu instid0(SALU_CYCLE_1)
	s_and_b32 vcc_lo, exec_lo, s2
	s_cbranch_vccnz .LBB323_2363
; %bb.2076:
	s_and_not1_b32 vcc_lo, exec_lo, s8
	s_cbranch_vccnz .LBB323_2078
.LBB323_2077:
	s_wait_xcnt 0x0
	v_cndmask_b32_e64 v1, 0, 1, s1
	s_mov_b32 s9, -1
	global_store_b8 v[2:3], v1, off
.LBB323_2078:
.LBB323_2079:
	s_and_not1_b32 vcc_lo, exec_lo, s9
	s_cbranch_vccz .LBB323_2119
	s_branch .LBB323_2313
.LBB323_2080:
	s_and_b32 vcc_lo, exec_lo, s2
	s_cbranch_vccz .LBB323_2079
; %bb.2081:
	s_and_b32 s2, 0xffff, s16
	s_mov_b32 s7, -1
	s_cmp_lt_i32 s2, 5
	s_cbranch_scc1 .LBB323_2102
; %bb.2082:
	s_cmp_lt_i32 s2, 8
	s_cbranch_scc1 .LBB323_2092
; %bb.2083:
	;; [unrolled: 3-line block ×3, first 2 shown]
	s_cmp_gt_i32 s2, 9
	s_cbranch_scc0 .LBB323_2086
; %bb.2085:
	s_wait_xcnt 0x0
	v_cndmask_b32_e64 v1, 0, 1, s1
	v_mov_b32_e32 v12, 0
	s_mov_b32 s7, 0
	s_delay_alu instid0(VALU_DEP_2) | instskip(NEXT) | instid1(VALU_DEP_2)
	v_cvt_f64_u32_e32 v[10:11], v1
	v_mov_b32_e32 v13, v12
	global_store_b128 v[2:3], v[10:13], off
.LBB323_2086:
	s_and_not1_b32 vcc_lo, exec_lo, s7
	s_cbranch_vccnz .LBB323_2088
; %bb.2087:
	s_wait_xcnt 0x0
	v_cndmask_b32_e64 v4, 0, 1.0, s1
	v_mov_b32_e32 v5, 0
	global_store_b64 v[2:3], v[4:5], off
.LBB323_2088:
	s_mov_b32 s7, 0
.LBB323_2089:
	s_delay_alu instid0(SALU_CYCLE_1)
	s_and_not1_b32 vcc_lo, exec_lo, s7
	s_cbranch_vccnz .LBB323_2091
; %bb.2090:
	s_wait_xcnt 0x0
	v_cndmask_b32_e64 v1, 0, 1.0, s1
	s_delay_alu instid0(VALU_DEP_1) | instskip(NEXT) | instid1(VALU_DEP_1)
	v_cvt_f16_f32_e32 v1, v1
	v_and_b32_e32 v1, 0xffff, v1
	global_store_b32 v[2:3], v1, off
.LBB323_2091:
	s_mov_b32 s7, 0
.LBB323_2092:
	s_delay_alu instid0(SALU_CYCLE_1)
	s_and_not1_b32 vcc_lo, exec_lo, s7
	s_cbranch_vccnz .LBB323_2101
; %bb.2093:
	s_cmp_lt_i32 s2, 6
	s_mov_b32 s7, -1
	s_cbranch_scc1 .LBB323_2099
; %bb.2094:
	s_cmp_gt_i32 s2, 6
	s_cbranch_scc0 .LBB323_2096
; %bb.2095:
	s_wait_xcnt 0x0
	v_cndmask_b32_e64 v1, 0, 1, s1
	s_mov_b32 s7, 0
	s_delay_alu instid0(VALU_DEP_1)
	v_cvt_f64_u32_e32 v[4:5], v1
	global_store_b64 v[2:3], v[4:5], off
.LBB323_2096:
	s_and_not1_b32 vcc_lo, exec_lo, s7
	s_cbranch_vccnz .LBB323_2098
; %bb.2097:
	s_wait_xcnt 0x0
	v_cndmask_b32_e64 v1, 0, 1.0, s1
	global_store_b32 v[2:3], v1, off
.LBB323_2098:
	s_mov_b32 s7, 0
.LBB323_2099:
	s_delay_alu instid0(SALU_CYCLE_1)
	s_and_not1_b32 vcc_lo, exec_lo, s7
	s_cbranch_vccnz .LBB323_2101
; %bb.2100:
	s_wait_xcnt 0x0
	v_cndmask_b32_e64 v1, 0, 1.0, s1
	s_delay_alu instid0(VALU_DEP_1)
	v_cvt_f16_f32_e32 v1, v1
	global_store_b16 v[2:3], v1, off
.LBB323_2101:
	s_mov_b32 s7, 0
.LBB323_2102:
	s_delay_alu instid0(SALU_CYCLE_1)
	s_and_not1_b32 vcc_lo, exec_lo, s7
	s_cbranch_vccnz .LBB323_2118
; %bb.2103:
	s_cmp_lt_i32 s2, 2
	s_mov_b32 s7, -1
	s_cbranch_scc1 .LBB323_2113
; %bb.2104:
	s_cmp_lt_i32 s2, 3
	s_cbranch_scc1 .LBB323_2110
; %bb.2105:
	s_cmp_gt_i32 s2, 3
	s_cbranch_scc0 .LBB323_2107
; %bb.2106:
	s_mov_b32 s7, 0
	s_wait_xcnt 0x0
	v_cndmask_b32_e64 v4, 0, 1, s1
	v_mov_b32_e32 v5, s7
	global_store_b64 v[2:3], v[4:5], off
.LBB323_2107:
	s_and_not1_b32 vcc_lo, exec_lo, s7
	s_cbranch_vccnz .LBB323_2109
; %bb.2108:
	s_wait_xcnt 0x0
	v_cndmask_b32_e64 v1, 0, 1, s1
	global_store_b32 v[2:3], v1, off
.LBB323_2109:
	s_mov_b32 s7, 0
.LBB323_2110:
	s_delay_alu instid0(SALU_CYCLE_1)
	s_and_not1_b32 vcc_lo, exec_lo, s7
	s_cbranch_vccnz .LBB323_2112
; %bb.2111:
	s_wait_xcnt 0x0
	v_cndmask_b32_e64 v1, 0, 1, s1
	global_store_b16 v[2:3], v1, off
.LBB323_2112:
	s_mov_b32 s7, 0
.LBB323_2113:
	s_delay_alu instid0(SALU_CYCLE_1)
	s_and_not1_b32 vcc_lo, exec_lo, s7
	s_cbranch_vccnz .LBB323_2118
; %bb.2114:
	s_wait_xcnt 0x0
	v_cndmask_b32_e64 v1, 0, 1, s1
	s_cmp_gt_i32 s2, 0
	s_mov_b32 s1, -1
	s_cbranch_scc0 .LBB323_2116
; %bb.2115:
	s_mov_b32 s1, 0
	global_store_b8 v[2:3], v1, off
.LBB323_2116:
	s_and_not1_b32 vcc_lo, exec_lo, s1
	s_cbranch_vccnz .LBB323_2118
; %bb.2117:
	global_store_b8 v[2:3], v1, off
.LBB323_2118:
.LBB323_2119:
	s_wait_xcnt 0x0
	v_and_b32_e32 v1, 0xff, v7
	s_mov_b32 s9, 0
	s_cmp_lt_i32 s16, 11
	s_mov_b32 s2, -1
	s_delay_alu instid0(VALU_DEP_1) | instskip(SKIP_1) | instid1(VALU_DEP_2)
	v_dual_add_nc_u32 v0, s3, v0 :: v_dual_lshlrev_b32 v2, 23, v1
	v_cmp_ne_u16_e32 vcc_lo, 0xff, v1
	v_cndmask_b32_e32 v2, 0x7f800001, v2, vcc_lo
	v_cmp_ne_u16_e32 vcc_lo, 0, v1
	s_delay_alu instid0(VALU_DEP_2) | instskip(NEXT) | instid1(VALU_DEP_1)
	v_cndmask_b32_e32 v1, 0x400000, v2, vcc_lo
	v_cmp_eq_f32_e32 vcc_lo, s6, v1
	v_cndmask_b32_e64 v2, 0, 1, vcc_lo
	v_cmp_neq_f32_e32 vcc_lo, s6, v1
	v_cndmask_b32_e64 v1, 0, 1, vcc_lo
	s_delay_alu instid0(VALU_DEP_1) | instskip(NEXT) | instid1(VALU_DEP_1)
	v_dual_cndmask_b32 v2, v1, v2, s0 :: v_dual_ashrrev_i32 v1, 31, v0
	v_and_b32_e32 v4, 1, v2
	s_delay_alu instid0(VALU_DEP_2) | instskip(NEXT) | instid1(VALU_DEP_2)
	v_add_nc_u64_e32 v[2:3], s[4:5], v[0:1]
	v_cmp_eq_u32_e64 s1, 1, v4
	s_cbranch_scc1 .LBB323_2274
; %bb.2120:
	s_and_b32 s7, 0xffff, s16
	s_mov_b32 s10, -1
	s_mov_b32 s8, 0
	s_cmp_gt_i32 s7, 25
	s_mov_b32 s2, 0
	s_cbranch_scc0 .LBB323_2153
; %bb.2121:
	s_cmp_gt_i32 s7, 28
	s_cbranch_scc0 .LBB323_2136
; %bb.2122:
	s_cmp_gt_i32 s7, 43
	;; [unrolled: 3-line block ×3, first 2 shown]
	s_cbranch_scc0 .LBB323_2126
; %bb.2124:
	s_mov_b32 s2, -1
	s_mov_b32 s10, 0
	s_cmp_eq_u32 s7, 46
	s_cbranch_scc0 .LBB323_2126
; %bb.2125:
	v_cndmask_b32_e64 v1, 0, 1.0, s1
	s_mov_b32 s2, 0
	s_mov_b32 s9, -1
	s_delay_alu instid0(VALU_DEP_1) | instskip(NEXT) | instid1(VALU_DEP_1)
	v_bfe_u32 v4, v1, 16, 1
	v_add3_u32 v1, v1, v4, 0x7fff
	s_delay_alu instid0(VALU_DEP_1)
	v_lshrrev_b32_e32 v1, 16, v1
	global_store_b32 v[2:3], v1, off
.LBB323_2126:
	s_and_b32 vcc_lo, exec_lo, s10
	s_cbranch_vccz .LBB323_2131
; %bb.2127:
	s_cmp_eq_u32 s7, 44
	s_mov_b32 s2, -1
	s_cbranch_scc0 .LBB323_2131
; %bb.2128:
	v_cndmask_b32_e64 v5, 0, 1.0, s1
	s_mov_b32 s9, exec_lo
	s_wait_xcnt 0x0
	s_delay_alu instid0(VALU_DEP_1) | instskip(NEXT) | instid1(VALU_DEP_1)
	v_dual_mov_b32 v4, 0xff :: v_dual_lshrrev_b32 v1, 23, v5
	v_cmpx_ne_u32_e32 0xff, v1
; %bb.2129:
	v_and_b32_e32 v4, 0x400000, v5
	v_and_or_b32 v5, 0x3fffff, v5, v1
	s_delay_alu instid0(VALU_DEP_2) | instskip(NEXT) | instid1(VALU_DEP_2)
	v_cmp_ne_u32_e32 vcc_lo, 0, v4
	v_cmp_ne_u32_e64 s2, 0, v5
	s_and_b32 s2, vcc_lo, s2
	s_delay_alu instid0(SALU_CYCLE_1) | instskip(NEXT) | instid1(VALU_DEP_1)
	v_cndmask_b32_e64 v4, 0, 1, s2
	v_add_nc_u32_e32 v4, v1, v4
; %bb.2130:
	s_or_b32 exec_lo, exec_lo, s9
	s_mov_b32 s2, 0
	s_mov_b32 s9, -1
	global_store_b8 v[2:3], v4, off
.LBB323_2131:
	s_mov_b32 s10, 0
.LBB323_2132:
	s_delay_alu instid0(SALU_CYCLE_1)
	s_and_b32 vcc_lo, exec_lo, s10
	s_cbranch_vccz .LBB323_2135
; %bb.2133:
	s_cmp_eq_u32 s7, 29
	s_mov_b32 s2, -1
	s_cbranch_scc0 .LBB323_2135
; %bb.2134:
	s_mov_b32 s2, 0
	s_wait_xcnt 0x0
	v_cndmask_b32_e64 v4, 0, 1, s1
	v_mov_b32_e32 v5, s2
	s_mov_b32 s9, -1
	global_store_b64 v[2:3], v[4:5], off
.LBB323_2135:
	s_mov_b32 s10, 0
.LBB323_2136:
	s_delay_alu instid0(SALU_CYCLE_1)
	s_and_b32 vcc_lo, exec_lo, s10
	s_cbranch_vccz .LBB323_2152
; %bb.2137:
	s_cmp_lt_i32 s7, 27
	s_mov_b32 s9, -1
	s_cbranch_scc1 .LBB323_2143
; %bb.2138:
	s_cmp_gt_i32 s7, 27
	s_cbranch_scc0 .LBB323_2140
; %bb.2139:
	s_wait_xcnt 0x0
	v_cndmask_b32_e64 v1, 0, 1, s1
	s_mov_b32 s9, 0
	global_store_b32 v[2:3], v1, off
.LBB323_2140:
	s_and_not1_b32 vcc_lo, exec_lo, s9
	s_cbranch_vccnz .LBB323_2142
; %bb.2141:
	s_wait_xcnt 0x0
	v_cndmask_b32_e64 v1, 0, 1, s1
	global_store_b16 v[2:3], v1, off
.LBB323_2142:
	s_mov_b32 s9, 0
.LBB323_2143:
	s_delay_alu instid0(SALU_CYCLE_1)
	s_and_not1_b32 vcc_lo, exec_lo, s9
	s_cbranch_vccnz .LBB323_2151
; %bb.2144:
	s_wait_xcnt 0x0
	v_cndmask_b32_e64 v4, 0, 1.0, s1
	v_mov_b32_e32 v5, 0x80
	s_mov_b32 s9, exec_lo
	s_delay_alu instid0(VALU_DEP_2)
	v_cmpx_gt_u32_e32 0x43800000, v4
	s_cbranch_execz .LBB323_2150
; %bb.2145:
	s_mov_b32 s10, 0
	s_mov_b32 s11, exec_lo
                                        ; implicit-def: $vgpr1
	v_cmpx_lt_u32_e32 0x3bffffff, v4
	s_xor_b32 s11, exec_lo, s11
	s_cbranch_execz .LBB323_2366
; %bb.2146:
	v_bfe_u32 v1, v4, 20, 1
	s_mov_b32 s10, exec_lo
	s_delay_alu instid0(VALU_DEP_1) | instskip(NEXT) | instid1(VALU_DEP_1)
	v_add3_u32 v1, v4, v1, 0x487ffff
                                        ; implicit-def: $vgpr4
	v_lshrrev_b32_e32 v1, 20, v1
	s_and_not1_saveexec_b32 s11, s11
	s_cbranch_execnz .LBB323_2367
.LBB323_2147:
	s_or_b32 exec_lo, exec_lo, s11
	v_mov_b32_e32 v5, 0
	s_and_saveexec_b32 s11, s10
.LBB323_2148:
	v_mov_b32_e32 v5, v1
.LBB323_2149:
	s_or_b32 exec_lo, exec_lo, s11
.LBB323_2150:
	s_delay_alu instid0(SALU_CYCLE_1)
	s_or_b32 exec_lo, exec_lo, s9
	global_store_b8 v[2:3], v5, off
.LBB323_2151:
	s_mov_b32 s9, -1
.LBB323_2152:
	s_mov_b32 s10, 0
.LBB323_2153:
	s_delay_alu instid0(SALU_CYCLE_1)
	s_and_b32 vcc_lo, exec_lo, s10
	s_cbranch_vccz .LBB323_2193
; %bb.2154:
	s_cmp_gt_i32 s7, 22
	s_mov_b32 s8, -1
	s_cbranch_scc0 .LBB323_2186
; %bb.2155:
	s_cmp_lt_i32 s7, 24
	s_cbranch_scc1 .LBB323_2175
; %bb.2156:
	s_cmp_gt_i32 s7, 24
	s_cbranch_scc0 .LBB323_2164
; %bb.2157:
	s_wait_xcnt 0x0
	v_cndmask_b32_e64 v4, 0, 1.0, s1
	v_mov_b32_e32 v5, 0x80
	s_mov_b32 s8, exec_lo
	s_delay_alu instid0(VALU_DEP_2)
	v_cmpx_gt_u32_e32 0x47800000, v4
	s_cbranch_execz .LBB323_2163
; %bb.2158:
	s_mov_b32 s9, 0
	s_mov_b32 s10, exec_lo
                                        ; implicit-def: $vgpr1
	v_cmpx_lt_u32_e32 0x37ffffff, v4
	s_xor_b32 s10, exec_lo, s10
	s_cbranch_execz .LBB323_2369
; %bb.2159:
	v_bfe_u32 v1, v4, 21, 1
	s_mov_b32 s9, exec_lo
	s_delay_alu instid0(VALU_DEP_1) | instskip(NEXT) | instid1(VALU_DEP_1)
	v_add3_u32 v1, v4, v1, 0x88fffff
                                        ; implicit-def: $vgpr4
	v_lshrrev_b32_e32 v1, 21, v1
	s_and_not1_saveexec_b32 s10, s10
	s_cbranch_execnz .LBB323_2370
.LBB323_2160:
	s_or_b32 exec_lo, exec_lo, s10
	v_mov_b32_e32 v5, 0
	s_and_saveexec_b32 s10, s9
.LBB323_2161:
	v_mov_b32_e32 v5, v1
.LBB323_2162:
	s_or_b32 exec_lo, exec_lo, s10
.LBB323_2163:
	s_delay_alu instid0(SALU_CYCLE_1)
	s_or_b32 exec_lo, exec_lo, s8
	s_mov_b32 s8, 0
	global_store_b8 v[2:3], v5, off
.LBB323_2164:
	s_and_b32 vcc_lo, exec_lo, s8
	s_cbranch_vccz .LBB323_2174
; %bb.2165:
	s_wait_xcnt 0x0
	v_cndmask_b32_e64 v4, 0, 1.0, s1
	s_mov_b32 s8, exec_lo
                                        ; implicit-def: $vgpr1
	s_delay_alu instid0(VALU_DEP_1)
	v_cmpx_gt_u32_e32 0x43f00000, v4
	s_xor_b32 s8, exec_lo, s8
	s_cbranch_execz .LBB323_2171
; %bb.2166:
	s_mov_b32 s9, exec_lo
                                        ; implicit-def: $vgpr1
	v_cmpx_lt_u32_e32 0x3c7fffff, v4
	s_xor_b32 s9, exec_lo, s9
; %bb.2167:
	v_bfe_u32 v1, v4, 20, 1
	s_delay_alu instid0(VALU_DEP_1) | instskip(NEXT) | instid1(VALU_DEP_1)
	v_add3_u32 v1, v4, v1, 0x407ffff
	v_and_b32_e32 v4, 0xff00000, v1
	v_lshrrev_b32_e32 v1, 20, v1
	s_delay_alu instid0(VALU_DEP_2) | instskip(NEXT) | instid1(VALU_DEP_2)
	v_cmp_ne_u32_e32 vcc_lo, 0x7f00000, v4
                                        ; implicit-def: $vgpr4
	v_cndmask_b32_e32 v1, 0x7e, v1, vcc_lo
; %bb.2168:
	s_and_not1_saveexec_b32 s9, s9
; %bb.2169:
	v_add_f32_e32 v1, 0x46800000, v4
; %bb.2170:
	s_or_b32 exec_lo, exec_lo, s9
                                        ; implicit-def: $vgpr4
.LBB323_2171:
	s_and_not1_saveexec_b32 s8, s8
; %bb.2172:
	v_mov_b32_e32 v1, 0x7f
	v_cmp_lt_u32_e32 vcc_lo, 0x7f800000, v4
	s_delay_alu instid0(VALU_DEP_2)
	v_cndmask_b32_e32 v1, 0x7e, v1, vcc_lo
; %bb.2173:
	s_or_b32 exec_lo, exec_lo, s8
	global_store_b8 v[2:3], v1, off
.LBB323_2174:
	s_mov_b32 s8, 0
.LBB323_2175:
	s_delay_alu instid0(SALU_CYCLE_1)
	s_and_not1_b32 vcc_lo, exec_lo, s8
	s_cbranch_vccnz .LBB323_2185
; %bb.2176:
	s_wait_xcnt 0x0
	v_cndmask_b32_e64 v4, 0, 1.0, s1
	s_mov_b32 s8, exec_lo
                                        ; implicit-def: $vgpr1
	s_delay_alu instid0(VALU_DEP_1)
	v_cmpx_gt_u32_e32 0x47800000, v4
	s_xor_b32 s8, exec_lo, s8
	s_cbranch_execz .LBB323_2182
; %bb.2177:
	s_mov_b32 s9, exec_lo
                                        ; implicit-def: $vgpr1
	v_cmpx_lt_u32_e32 0x387fffff, v4
	s_xor_b32 s9, exec_lo, s9
; %bb.2178:
	v_bfe_u32 v1, v4, 21, 1
	s_delay_alu instid0(VALU_DEP_1) | instskip(NEXT) | instid1(VALU_DEP_1)
	v_add3_u32 v1, v4, v1, 0x80fffff
                                        ; implicit-def: $vgpr4
	v_lshrrev_b32_e32 v1, 21, v1
; %bb.2179:
	s_and_not1_saveexec_b32 s9, s9
; %bb.2180:
	v_add_f32_e32 v1, 0x43000000, v4
; %bb.2181:
	s_or_b32 exec_lo, exec_lo, s9
                                        ; implicit-def: $vgpr4
.LBB323_2182:
	s_and_not1_saveexec_b32 s8, s8
; %bb.2183:
	v_mov_b32_e32 v1, 0x7f
	v_cmp_lt_u32_e32 vcc_lo, 0x7f800000, v4
	s_delay_alu instid0(VALU_DEP_2)
	v_cndmask_b32_e32 v1, 0x7c, v1, vcc_lo
; %bb.2184:
	s_or_b32 exec_lo, exec_lo, s8
	global_store_b8 v[2:3], v1, off
.LBB323_2185:
	s_mov_b32 s8, 0
	s_mov_b32 s9, -1
.LBB323_2186:
	s_and_not1_b32 vcc_lo, exec_lo, s8
	s_mov_b32 s8, 0
	s_cbranch_vccnz .LBB323_2193
; %bb.2187:
	s_cmp_gt_i32 s7, 14
	s_mov_b32 s8, -1
	s_cbranch_scc0 .LBB323_2191
; %bb.2188:
	s_cmp_eq_u32 s7, 15
	s_mov_b32 s2, -1
	s_cbranch_scc0 .LBB323_2190
; %bb.2189:
	s_wait_xcnt 0x0
	v_cndmask_b32_e64 v1, 0, 1.0, s1
	s_mov_b32 s2, 0
	s_mov_b32 s9, -1
	s_delay_alu instid0(VALU_DEP_1) | instskip(NEXT) | instid1(VALU_DEP_1)
	v_bfe_u32 v4, v1, 16, 1
	v_add3_u32 v1, v1, v4, 0x7fff
	global_store_d16_hi_b16 v[2:3], v1, off
.LBB323_2190:
	s_mov_b32 s8, 0
.LBB323_2191:
	s_delay_alu instid0(SALU_CYCLE_1)
	s_and_b32 vcc_lo, exec_lo, s8
	s_mov_b32 s8, 0
	s_cbranch_vccz .LBB323_2193
; %bb.2192:
	s_cmp_lg_u32 s7, 11
	s_mov_b32 s8, -1
	s_cselect_b32 s2, -1, 0
.LBB323_2193:
	s_delay_alu instid0(SALU_CYCLE_1)
	s_and_b32 vcc_lo, exec_lo, s2
	s_cbranch_vccnz .LBB323_2368
; %bb.2194:
	s_and_not1_b32 vcc_lo, exec_lo, s8
	s_cbranch_vccnz .LBB323_2196
.LBB323_2195:
	s_wait_xcnt 0x0
	v_cndmask_b32_e64 v1, 0, 1, s1
	s_mov_b32 s9, -1
	global_store_b8 v[2:3], v1, off
.LBB323_2196:
.LBB323_2197:
	s_and_not1_b32 vcc_lo, exec_lo, s9
	s_cbranch_vccnz .LBB323_2313
.LBB323_2198:
	s_wait_xcnt 0x0
	v_and_b32_e32 v1, 0xff, v8
	s_cmp_lt_i32 s16, 11
	v_add_nc_u32_e32 v0, s3, v0
	s_mov_b32 s3, 0
	s_delay_alu instid0(VALU_DEP_2) | instskip(SKIP_1) | instid1(VALU_DEP_2)
	v_lshlrev_b32_e32 v2, 23, v1
	v_cmp_ne_u16_e32 vcc_lo, 0xff, v1
	v_cndmask_b32_e32 v2, 0x7f800001, v2, vcc_lo
	v_cmp_ne_u16_e32 vcc_lo, 0, v1
	s_delay_alu instid0(VALU_DEP_2) | instskip(NEXT) | instid1(VALU_DEP_1)
	v_cndmask_b32_e32 v1, 0x400000, v2, vcc_lo
	v_cmp_eq_f32_e32 vcc_lo, s6, v1
	v_cndmask_b32_e64 v2, 0, 1, vcc_lo
	v_cmp_neq_f32_e32 vcc_lo, s6, v1
	v_cndmask_b32_e64 v1, 0, 1, vcc_lo
	s_delay_alu instid0(VALU_DEP_1) | instskip(SKIP_1) | instid1(VALU_DEP_1)
	v_dual_cndmask_b32 v2, v1, v2, s0 :: v_dual_ashrrev_i32 v1, 31, v0
	s_mov_b32 s0, -1
	v_and_b32_e32 v2, 1, v2
	s_delay_alu instid0(VALU_DEP_2) | instskip(NEXT) | instid1(VALU_DEP_2)
	v_add_nc_u64_e32 v[0:1], s[4:5], v[0:1]
	v_cmp_eq_u32_e64 s1, 1, v2
	s_cbranch_scc1 .LBB323_2314
; %bb.2199:
	s_and_b32 s2, 0xffff, s16
	s_mov_b32 s4, -1
	s_cmp_gt_i32 s2, 25
	s_mov_b32 s0, 0
	s_cbranch_scc0 .LBB323_2232
; %bb.2200:
	s_cmp_gt_i32 s2, 28
	s_cbranch_scc0 .LBB323_2216
; %bb.2201:
	s_cmp_gt_i32 s2, 43
	;; [unrolled: 3-line block ×3, first 2 shown]
	s_cbranch_scc0 .LBB323_2206
; %bb.2203:
	s_cmp_eq_u32 s2, 46
	s_mov_b32 s0, -1
	s_cbranch_scc0 .LBB323_2205
; %bb.2204:
	v_cndmask_b32_e64 v2, 0, 1.0, s1
	s_mov_b32 s0, 0
	s_delay_alu instid0(VALU_DEP_1) | instskip(NEXT) | instid1(VALU_DEP_1)
	v_bfe_u32 v3, v2, 16, 1
	v_add3_u32 v2, v2, v3, 0x7fff
	s_delay_alu instid0(VALU_DEP_1)
	v_lshrrev_b32_e32 v2, 16, v2
	global_store_b32 v[0:1], v2, off
.LBB323_2205:
	s_mov_b32 s4, 0
.LBB323_2206:
	s_delay_alu instid0(SALU_CYCLE_1)
	s_and_b32 vcc_lo, exec_lo, s4
	s_cbranch_vccz .LBB323_2211
; %bb.2207:
	s_cmp_eq_u32 s2, 44
	s_mov_b32 s0, -1
	s_cbranch_scc0 .LBB323_2211
; %bb.2208:
	v_cndmask_b32_e64 v4, 0, 1.0, s1
	s_mov_b32 s4, exec_lo
	s_wait_xcnt 0x0
	s_delay_alu instid0(VALU_DEP_1) | instskip(NEXT) | instid1(VALU_DEP_1)
	v_dual_mov_b32 v3, 0xff :: v_dual_lshrrev_b32 v2, 23, v4
	v_cmpx_ne_u32_e32 0xff, v2
; %bb.2209:
	v_and_b32_e32 v3, 0x400000, v4
	v_and_or_b32 v4, 0x3fffff, v4, v2
	s_delay_alu instid0(VALU_DEP_2) | instskip(NEXT) | instid1(VALU_DEP_2)
	v_cmp_ne_u32_e32 vcc_lo, 0, v3
	v_cmp_ne_u32_e64 s0, 0, v4
	s_and_b32 s0, vcc_lo, s0
	s_delay_alu instid0(SALU_CYCLE_1) | instskip(NEXT) | instid1(VALU_DEP_1)
	v_cndmask_b32_e64 v3, 0, 1, s0
	v_add_nc_u32_e32 v3, v2, v3
; %bb.2210:
	s_or_b32 exec_lo, exec_lo, s4
	s_mov_b32 s0, 0
	global_store_b8 v[0:1], v3, off
.LBB323_2211:
	s_mov_b32 s4, 0
.LBB323_2212:
	s_delay_alu instid0(SALU_CYCLE_1)
	s_and_b32 vcc_lo, exec_lo, s4
	s_cbranch_vccz .LBB323_2215
; %bb.2213:
	s_cmp_eq_u32 s2, 29
	s_mov_b32 s0, -1
	s_cbranch_scc0 .LBB323_2215
; %bb.2214:
	s_mov_b32 s0, 0
	s_wait_xcnt 0x0
	v_cndmask_b32_e64 v2, 0, 1, s1
	v_mov_b32_e32 v3, s0
	global_store_b64 v[0:1], v[2:3], off
.LBB323_2215:
	s_mov_b32 s4, 0
.LBB323_2216:
	s_delay_alu instid0(SALU_CYCLE_1)
	s_and_b32 vcc_lo, exec_lo, s4
	s_cbranch_vccz .LBB323_2231
; %bb.2217:
	s_cmp_lt_i32 s2, 27
	s_mov_b32 s4, -1
	s_cbranch_scc1 .LBB323_2223
; %bb.2218:
	s_wait_xcnt 0x0
	v_cndmask_b32_e64 v2, 0, 1, s1
	s_cmp_gt_i32 s2, 27
	s_cbranch_scc0 .LBB323_2220
; %bb.2219:
	s_mov_b32 s4, 0
	global_store_b32 v[0:1], v2, off
.LBB323_2220:
	s_and_not1_b32 vcc_lo, exec_lo, s4
	s_cbranch_vccnz .LBB323_2222
; %bb.2221:
	global_store_b16 v[0:1], v2, off
.LBB323_2222:
	s_mov_b32 s4, 0
.LBB323_2223:
	s_delay_alu instid0(SALU_CYCLE_1)
	s_and_not1_b32 vcc_lo, exec_lo, s4
	s_cbranch_vccnz .LBB323_2231
; %bb.2224:
	s_wait_xcnt 0x0
	v_cndmask_b32_e64 v3, 0, 1.0, s1
	v_mov_b32_e32 v4, 0x80
	s_mov_b32 s4, exec_lo
	s_delay_alu instid0(VALU_DEP_2)
	v_cmpx_gt_u32_e32 0x43800000, v3
	s_cbranch_execz .LBB323_2230
; %bb.2225:
	s_mov_b32 s5, 0
	s_mov_b32 s6, exec_lo
                                        ; implicit-def: $vgpr2
	v_cmpx_lt_u32_e32 0x3bffffff, v3
	s_xor_b32 s6, exec_lo, s6
	s_cbranch_execz .LBB323_2371
; %bb.2226:
	v_bfe_u32 v2, v3, 20, 1
	s_mov_b32 s5, exec_lo
	s_delay_alu instid0(VALU_DEP_1) | instskip(NEXT) | instid1(VALU_DEP_1)
	v_add3_u32 v2, v3, v2, 0x487ffff
                                        ; implicit-def: $vgpr3
	v_lshrrev_b32_e32 v2, 20, v2
	s_and_not1_saveexec_b32 s6, s6
	s_cbranch_execnz .LBB323_2372
.LBB323_2227:
	s_or_b32 exec_lo, exec_lo, s6
	v_mov_b32_e32 v4, 0
	s_and_saveexec_b32 s6, s5
.LBB323_2228:
	v_mov_b32_e32 v4, v2
.LBB323_2229:
	s_or_b32 exec_lo, exec_lo, s6
.LBB323_2230:
	s_delay_alu instid0(SALU_CYCLE_1)
	s_or_b32 exec_lo, exec_lo, s4
	global_store_b8 v[0:1], v4, off
.LBB323_2231:
	s_mov_b32 s4, 0
.LBB323_2232:
	s_delay_alu instid0(SALU_CYCLE_1)
	s_and_b32 vcc_lo, exec_lo, s4
	s_cbranch_vccz .LBB323_2272
; %bb.2233:
	s_cmp_gt_i32 s2, 22
	s_mov_b32 s3, -1
	s_cbranch_scc0 .LBB323_2265
; %bb.2234:
	s_cmp_lt_i32 s2, 24
	s_cbranch_scc1 .LBB323_2254
; %bb.2235:
	s_cmp_gt_i32 s2, 24
	s_cbranch_scc0 .LBB323_2243
; %bb.2236:
	s_wait_xcnt 0x0
	v_cndmask_b32_e64 v3, 0, 1.0, s1
	v_mov_b32_e32 v4, 0x80
	s_mov_b32 s3, exec_lo
	s_delay_alu instid0(VALU_DEP_2)
	v_cmpx_gt_u32_e32 0x47800000, v3
	s_cbranch_execz .LBB323_2242
; %bb.2237:
	s_mov_b32 s4, 0
	s_mov_b32 s5, exec_lo
                                        ; implicit-def: $vgpr2
	v_cmpx_lt_u32_e32 0x37ffffff, v3
	s_xor_b32 s5, exec_lo, s5
	s_cbranch_execz .LBB323_2374
; %bb.2238:
	v_bfe_u32 v2, v3, 21, 1
	s_mov_b32 s4, exec_lo
	s_delay_alu instid0(VALU_DEP_1) | instskip(NEXT) | instid1(VALU_DEP_1)
	v_add3_u32 v2, v3, v2, 0x88fffff
                                        ; implicit-def: $vgpr3
	v_lshrrev_b32_e32 v2, 21, v2
	s_and_not1_saveexec_b32 s5, s5
	s_cbranch_execnz .LBB323_2375
.LBB323_2239:
	s_or_b32 exec_lo, exec_lo, s5
	v_mov_b32_e32 v4, 0
	s_and_saveexec_b32 s5, s4
.LBB323_2240:
	v_mov_b32_e32 v4, v2
.LBB323_2241:
	s_or_b32 exec_lo, exec_lo, s5
.LBB323_2242:
	s_delay_alu instid0(SALU_CYCLE_1)
	s_or_b32 exec_lo, exec_lo, s3
	s_mov_b32 s3, 0
	global_store_b8 v[0:1], v4, off
.LBB323_2243:
	s_and_b32 vcc_lo, exec_lo, s3
	s_cbranch_vccz .LBB323_2253
; %bb.2244:
	s_wait_xcnt 0x0
	v_cndmask_b32_e64 v3, 0, 1.0, s1
	s_mov_b32 s3, exec_lo
                                        ; implicit-def: $vgpr2
	s_delay_alu instid0(VALU_DEP_1)
	v_cmpx_gt_u32_e32 0x43f00000, v3
	s_xor_b32 s3, exec_lo, s3
	s_cbranch_execz .LBB323_2250
; %bb.2245:
	s_mov_b32 s4, exec_lo
                                        ; implicit-def: $vgpr2
	v_cmpx_lt_u32_e32 0x3c7fffff, v3
	s_xor_b32 s4, exec_lo, s4
; %bb.2246:
	v_bfe_u32 v2, v3, 20, 1
	s_delay_alu instid0(VALU_DEP_1) | instskip(NEXT) | instid1(VALU_DEP_1)
	v_add3_u32 v2, v3, v2, 0x407ffff
	v_and_b32_e32 v3, 0xff00000, v2
	v_lshrrev_b32_e32 v2, 20, v2
	s_delay_alu instid0(VALU_DEP_2) | instskip(NEXT) | instid1(VALU_DEP_2)
	v_cmp_ne_u32_e32 vcc_lo, 0x7f00000, v3
                                        ; implicit-def: $vgpr3
	v_cndmask_b32_e32 v2, 0x7e, v2, vcc_lo
; %bb.2247:
	s_and_not1_saveexec_b32 s4, s4
; %bb.2248:
	v_add_f32_e32 v2, 0x46800000, v3
; %bb.2249:
	s_or_b32 exec_lo, exec_lo, s4
                                        ; implicit-def: $vgpr3
.LBB323_2250:
	s_and_not1_saveexec_b32 s3, s3
; %bb.2251:
	v_mov_b32_e32 v2, 0x7f
	v_cmp_lt_u32_e32 vcc_lo, 0x7f800000, v3
	s_delay_alu instid0(VALU_DEP_2)
	v_cndmask_b32_e32 v2, 0x7e, v2, vcc_lo
; %bb.2252:
	s_or_b32 exec_lo, exec_lo, s3
	global_store_b8 v[0:1], v2, off
.LBB323_2253:
	s_mov_b32 s3, 0
.LBB323_2254:
	s_delay_alu instid0(SALU_CYCLE_1)
	s_and_not1_b32 vcc_lo, exec_lo, s3
	s_cbranch_vccnz .LBB323_2264
; %bb.2255:
	s_wait_xcnt 0x0
	v_cndmask_b32_e64 v3, 0, 1.0, s1
	s_mov_b32 s3, exec_lo
                                        ; implicit-def: $vgpr2
	s_delay_alu instid0(VALU_DEP_1)
	v_cmpx_gt_u32_e32 0x47800000, v3
	s_xor_b32 s3, exec_lo, s3
	s_cbranch_execz .LBB323_2261
; %bb.2256:
	s_mov_b32 s4, exec_lo
                                        ; implicit-def: $vgpr2
	v_cmpx_lt_u32_e32 0x387fffff, v3
	s_xor_b32 s4, exec_lo, s4
; %bb.2257:
	v_bfe_u32 v2, v3, 21, 1
	s_delay_alu instid0(VALU_DEP_1) | instskip(NEXT) | instid1(VALU_DEP_1)
	v_add3_u32 v2, v3, v2, 0x80fffff
                                        ; implicit-def: $vgpr3
	v_lshrrev_b32_e32 v2, 21, v2
; %bb.2258:
	s_and_not1_saveexec_b32 s4, s4
; %bb.2259:
	v_add_f32_e32 v2, 0x43000000, v3
; %bb.2260:
	s_or_b32 exec_lo, exec_lo, s4
                                        ; implicit-def: $vgpr3
.LBB323_2261:
	s_and_not1_saveexec_b32 s3, s3
; %bb.2262:
	v_mov_b32_e32 v2, 0x7f
	v_cmp_lt_u32_e32 vcc_lo, 0x7f800000, v3
	s_delay_alu instid0(VALU_DEP_2)
	v_cndmask_b32_e32 v2, 0x7c, v2, vcc_lo
; %bb.2263:
	s_or_b32 exec_lo, exec_lo, s3
	global_store_b8 v[0:1], v2, off
.LBB323_2264:
	s_mov_b32 s3, 0
.LBB323_2265:
	s_delay_alu instid0(SALU_CYCLE_1)
	s_and_not1_b32 vcc_lo, exec_lo, s3
	s_mov_b32 s3, 0
	s_cbranch_vccnz .LBB323_2272
; %bb.2266:
	s_cmp_gt_i32 s2, 14
	s_mov_b32 s3, -1
	s_cbranch_scc0 .LBB323_2270
; %bb.2267:
	s_cmp_eq_u32 s2, 15
	s_mov_b32 s0, -1
	s_cbranch_scc0 .LBB323_2269
; %bb.2268:
	s_wait_xcnt 0x0
	v_cndmask_b32_e64 v2, 0, 1.0, s1
	s_mov_b32 s0, 0
	s_delay_alu instid0(VALU_DEP_1) | instskip(NEXT) | instid1(VALU_DEP_1)
	v_bfe_u32 v3, v2, 16, 1
	v_add3_u32 v2, v2, v3, 0x7fff
	global_store_d16_hi_b16 v[0:1], v2, off
.LBB323_2269:
	s_mov_b32 s3, 0
.LBB323_2270:
	s_delay_alu instid0(SALU_CYCLE_1)
	s_and_b32 vcc_lo, exec_lo, s3
	s_mov_b32 s3, 0
	s_cbranch_vccz .LBB323_2272
; %bb.2271:
	s_cmp_lg_u32 s2, 11
	s_mov_b32 s3, -1
	s_cselect_b32 s0, -1, 0
.LBB323_2272:
	s_delay_alu instid0(SALU_CYCLE_1)
	s_and_b32 vcc_lo, exec_lo, s0
	s_cbranch_vccnz .LBB323_2373
.LBB323_2273:
	s_mov_b32 s0, 0
	s_branch .LBB323_2314
.LBB323_2274:
	s_and_b32 vcc_lo, exec_lo, s2
	s_cbranch_vccz .LBB323_2197
; %bb.2275:
	s_and_b32 s2, 0xffff, s16
	s_mov_b32 s7, -1
	s_cmp_lt_i32 s2, 5
	s_cbranch_scc1 .LBB323_2296
; %bb.2276:
	s_cmp_lt_i32 s2, 8
	s_cbranch_scc1 .LBB323_2286
; %bb.2277:
	;; [unrolled: 3-line block ×3, first 2 shown]
	s_cmp_gt_i32 s2, 9
	s_cbranch_scc0 .LBB323_2280
; %bb.2279:
	s_wait_xcnt 0x0
	v_cndmask_b32_e64 v1, 0, 1, s1
	v_mov_b32_e32 v6, 0
	s_mov_b32 s7, 0
	s_delay_alu instid0(VALU_DEP_2) | instskip(NEXT) | instid1(VALU_DEP_2)
	v_cvt_f64_u32_e32 v[4:5], v1
	v_mov_b32_e32 v7, v6
	global_store_b128 v[2:3], v[4:7], off
.LBB323_2280:
	s_and_not1_b32 vcc_lo, exec_lo, s7
	s_cbranch_vccnz .LBB323_2282
; %bb.2281:
	s_wait_xcnt 0x0
	v_cndmask_b32_e64 v4, 0, 1.0, s1
	v_mov_b32_e32 v5, 0
	global_store_b64 v[2:3], v[4:5], off
.LBB323_2282:
	s_mov_b32 s7, 0
.LBB323_2283:
	s_delay_alu instid0(SALU_CYCLE_1)
	s_and_not1_b32 vcc_lo, exec_lo, s7
	s_cbranch_vccnz .LBB323_2285
; %bb.2284:
	s_wait_xcnt 0x0
	v_cndmask_b32_e64 v1, 0, 1.0, s1
	s_delay_alu instid0(VALU_DEP_1) | instskip(NEXT) | instid1(VALU_DEP_1)
	v_cvt_f16_f32_e32 v1, v1
	v_and_b32_e32 v1, 0xffff, v1
	global_store_b32 v[2:3], v1, off
.LBB323_2285:
	s_mov_b32 s7, 0
.LBB323_2286:
	s_delay_alu instid0(SALU_CYCLE_1)
	s_and_not1_b32 vcc_lo, exec_lo, s7
	s_cbranch_vccnz .LBB323_2295
; %bb.2287:
	s_cmp_lt_i32 s2, 6
	s_mov_b32 s7, -1
	s_cbranch_scc1 .LBB323_2293
; %bb.2288:
	s_cmp_gt_i32 s2, 6
	s_cbranch_scc0 .LBB323_2290
; %bb.2289:
	s_wait_xcnt 0x0
	v_cndmask_b32_e64 v1, 0, 1, s1
	s_mov_b32 s7, 0
	s_delay_alu instid0(VALU_DEP_1)
	v_cvt_f64_u32_e32 v[4:5], v1
	global_store_b64 v[2:3], v[4:5], off
.LBB323_2290:
	s_and_not1_b32 vcc_lo, exec_lo, s7
	s_cbranch_vccnz .LBB323_2292
; %bb.2291:
	s_wait_xcnt 0x0
	v_cndmask_b32_e64 v1, 0, 1.0, s1
	global_store_b32 v[2:3], v1, off
.LBB323_2292:
	s_mov_b32 s7, 0
.LBB323_2293:
	s_delay_alu instid0(SALU_CYCLE_1)
	s_and_not1_b32 vcc_lo, exec_lo, s7
	s_cbranch_vccnz .LBB323_2295
; %bb.2294:
	s_wait_xcnt 0x0
	v_cndmask_b32_e64 v1, 0, 1.0, s1
	s_delay_alu instid0(VALU_DEP_1)
	v_cvt_f16_f32_e32 v1, v1
	global_store_b16 v[2:3], v1, off
.LBB323_2295:
	s_mov_b32 s7, 0
.LBB323_2296:
	s_delay_alu instid0(SALU_CYCLE_1)
	s_and_not1_b32 vcc_lo, exec_lo, s7
	s_cbranch_vccnz .LBB323_2312
; %bb.2297:
	s_cmp_lt_i32 s2, 2
	s_mov_b32 s7, -1
	s_cbranch_scc1 .LBB323_2307
; %bb.2298:
	s_cmp_lt_i32 s2, 3
	s_cbranch_scc1 .LBB323_2304
; %bb.2299:
	s_cmp_gt_i32 s2, 3
	s_cbranch_scc0 .LBB323_2301
; %bb.2300:
	s_mov_b32 s7, 0
	s_wait_xcnt 0x0
	v_cndmask_b32_e64 v4, 0, 1, s1
	v_mov_b32_e32 v5, s7
	global_store_b64 v[2:3], v[4:5], off
.LBB323_2301:
	s_and_not1_b32 vcc_lo, exec_lo, s7
	s_cbranch_vccnz .LBB323_2303
; %bb.2302:
	s_wait_xcnt 0x0
	v_cndmask_b32_e64 v1, 0, 1, s1
	global_store_b32 v[2:3], v1, off
.LBB323_2303:
	s_mov_b32 s7, 0
.LBB323_2304:
	s_delay_alu instid0(SALU_CYCLE_1)
	s_and_not1_b32 vcc_lo, exec_lo, s7
	s_cbranch_vccnz .LBB323_2306
; %bb.2305:
	s_wait_xcnt 0x0
	v_cndmask_b32_e64 v1, 0, 1, s1
	global_store_b16 v[2:3], v1, off
.LBB323_2306:
	s_mov_b32 s7, 0
.LBB323_2307:
	s_delay_alu instid0(SALU_CYCLE_1)
	s_and_not1_b32 vcc_lo, exec_lo, s7
	s_cbranch_vccnz .LBB323_2312
; %bb.2308:
	s_wait_xcnt 0x0
	v_cndmask_b32_e64 v1, 0, 1, s1
	s_cmp_gt_i32 s2, 0
	s_mov_b32 s1, -1
	s_cbranch_scc0 .LBB323_2310
; %bb.2309:
	s_mov_b32 s1, 0
	global_store_b8 v[2:3], v1, off
.LBB323_2310:
	s_and_not1_b32 vcc_lo, exec_lo, s1
	s_cbranch_vccnz .LBB323_2312
; %bb.2311:
	global_store_b8 v[2:3], v1, off
.LBB323_2312:
	s_branch .LBB323_2198
.LBB323_2313:
	s_mov_b32 s0, 0
	s_mov_b32 s3, 0
                                        ; implicit-def: $sgpr1
                                        ; implicit-def: $sgpr16
                                        ; implicit-def: $vgpr0_vgpr1
.LBB323_2314:
	s_and_not1_b32 s2, s15, exec_lo
	s_and_b32 s4, s12, exec_lo
	s_and_b32 s0, s0, exec_lo
	;; [unrolled: 1-line block ×3, first 2 shown]
	s_or_b32 s15, s2, s4
	s_wait_xcnt 0x0
	s_or_b32 exec_lo, exec_lo, s14
	s_and_saveexec_b32 s2, s15
	s_cbranch_execnz .LBB323_1207
.LBB323_2315:
	s_or_b32 exec_lo, exec_lo, s2
	s_and_saveexec_b32 s2, s12
	s_delay_alu instid0(SALU_CYCLE_1)
	s_xor_b32 s2, exec_lo, s2
	s_cbranch_execz .LBB323_1208
.LBB323_2316:
	s_wait_loadcnt 0x0
	v_cndmask_b32_e64 v2, 0, 1, s1
	global_store_b8 v[0:1], v2, off
	s_wait_xcnt 0x0
	s_or_b32 exec_lo, exec_lo, s2
	s_and_saveexec_b32 s2, s0
	s_cbranch_execz .LBB323_2354
.LBB323_2317:
	s_sext_i32_i16 s2, s16
	s_mov_b32 s0, -1
	s_cmp_lt_i32 s2, 5
	s_cbranch_scc1 .LBB323_2338
; %bb.2318:
	s_cmp_lt_i32 s2, 8
	s_cbranch_scc1 .LBB323_2328
; %bb.2319:
	;; [unrolled: 3-line block ×3, first 2 shown]
	s_cmp_gt_i32 s2, 9
	s_cbranch_scc0 .LBB323_2322
; %bb.2321:
	s_wait_loadcnt 0x0
	v_cndmask_b32_e64 v2, 0, 1, s1
	v_mov_b32_e32 v4, 0
	s_mov_b32 s0, 0
	s_delay_alu instid0(VALU_DEP_2) | instskip(NEXT) | instid1(VALU_DEP_2)
	v_cvt_f64_u32_e32 v[2:3], v2
	v_mov_b32_e32 v5, v4
	global_store_b128 v[0:1], v[2:5], off
.LBB323_2322:
	s_and_not1_b32 vcc_lo, exec_lo, s0
	s_cbranch_vccnz .LBB323_2324
; %bb.2323:
	s_wait_loadcnt 0x0
	v_cndmask_b32_e64 v2, 0, 1.0, s1
	v_mov_b32_e32 v3, 0
	global_store_b64 v[0:1], v[2:3], off
.LBB323_2324:
	s_mov_b32 s0, 0
.LBB323_2325:
	s_delay_alu instid0(SALU_CYCLE_1)
	s_and_not1_b32 vcc_lo, exec_lo, s0
	s_cbranch_vccnz .LBB323_2327
; %bb.2326:
	s_wait_loadcnt 0x0
	v_cndmask_b32_e64 v2, 0, 1.0, s1
	s_delay_alu instid0(VALU_DEP_1) | instskip(NEXT) | instid1(VALU_DEP_1)
	v_cvt_f16_f32_e32 v2, v2
	v_and_b32_e32 v2, 0xffff, v2
	global_store_b32 v[0:1], v2, off
.LBB323_2327:
	s_mov_b32 s0, 0
.LBB323_2328:
	s_delay_alu instid0(SALU_CYCLE_1)
	s_and_not1_b32 vcc_lo, exec_lo, s0
	s_cbranch_vccnz .LBB323_2337
; %bb.2329:
	s_sext_i32_i16 s2, s16
	s_mov_b32 s0, -1
	s_cmp_lt_i32 s2, 6
	s_cbranch_scc1 .LBB323_2335
; %bb.2330:
	s_cmp_gt_i32 s2, 6
	s_cbranch_scc0 .LBB323_2332
; %bb.2331:
	s_wait_loadcnt 0x0
	v_cndmask_b32_e64 v2, 0, 1, s1
	s_mov_b32 s0, 0
	s_delay_alu instid0(VALU_DEP_1)
	v_cvt_f64_u32_e32 v[2:3], v2
	global_store_b64 v[0:1], v[2:3], off
.LBB323_2332:
	s_and_not1_b32 vcc_lo, exec_lo, s0
	s_cbranch_vccnz .LBB323_2334
; %bb.2333:
	s_wait_loadcnt 0x0
	v_cndmask_b32_e64 v2, 0, 1.0, s1
	global_store_b32 v[0:1], v2, off
.LBB323_2334:
	s_mov_b32 s0, 0
.LBB323_2335:
	s_delay_alu instid0(SALU_CYCLE_1)
	s_and_not1_b32 vcc_lo, exec_lo, s0
	s_cbranch_vccnz .LBB323_2337
; %bb.2336:
	s_wait_loadcnt 0x0
	v_cndmask_b32_e64 v2, 0, 1.0, s1
	s_delay_alu instid0(VALU_DEP_1)
	v_cvt_f16_f32_e32 v2, v2
	global_store_b16 v[0:1], v2, off
.LBB323_2337:
	s_mov_b32 s0, 0
.LBB323_2338:
	s_delay_alu instid0(SALU_CYCLE_1)
	s_and_not1_b32 vcc_lo, exec_lo, s0
	s_cbranch_vccnz .LBB323_2354
; %bb.2339:
	s_sext_i32_i16 s2, s16
	s_mov_b32 s0, -1
	s_cmp_lt_i32 s2, 2
	s_cbranch_scc1 .LBB323_2349
; %bb.2340:
	s_cmp_lt_i32 s2, 3
	s_cbranch_scc1 .LBB323_2346
; %bb.2341:
	s_cmp_gt_i32 s2, 3
	s_cbranch_scc0 .LBB323_2343
; %bb.2342:
	s_mov_b32 s0, 0
	s_wait_loadcnt 0x0
	v_cndmask_b32_e64 v2, 0, 1, s1
	v_mov_b32_e32 v3, s0
	global_store_b64 v[0:1], v[2:3], off
.LBB323_2343:
	s_and_not1_b32 vcc_lo, exec_lo, s0
	s_cbranch_vccnz .LBB323_2345
; %bb.2344:
	s_wait_loadcnt 0x0
	v_cndmask_b32_e64 v2, 0, 1, s1
	global_store_b32 v[0:1], v2, off
.LBB323_2345:
	s_mov_b32 s0, 0
.LBB323_2346:
	s_delay_alu instid0(SALU_CYCLE_1)
	s_and_not1_b32 vcc_lo, exec_lo, s0
	s_cbranch_vccnz .LBB323_2348
; %bb.2347:
	s_wait_loadcnt 0x0
	v_cndmask_b32_e64 v2, 0, 1, s1
	global_store_b16 v[0:1], v2, off
.LBB323_2348:
	s_mov_b32 s0, 0
.LBB323_2349:
	s_delay_alu instid0(SALU_CYCLE_1)
	s_and_not1_b32 vcc_lo, exec_lo, s0
	s_cbranch_vccnz .LBB323_2354
; %bb.2350:
	s_wait_loadcnt 0x0
	v_cndmask_b32_e64 v2, 0, 1, s1
	s_sext_i32_i16 s0, s16
	s_delay_alu instid0(SALU_CYCLE_1)
	s_cmp_gt_i32 s0, 0
	s_mov_b32 s0, -1
	s_cbranch_scc0 .LBB323_2352
; %bb.2351:
	s_mov_b32 s0, 0
	global_store_b8 v[0:1], v2, off
.LBB323_2352:
	s_and_not1_b32 vcc_lo, exec_lo, s0
	s_cbranch_vccnz .LBB323_2354
; %bb.2353:
	global_store_b8 v[0:1], v2, off
	s_endpgm
.LBB323_2354:
	s_endpgm
.LBB323_2355:
	s_or_b32 s12, s12, exec_lo
	s_trap 2
	s_cbranch_execz .LBB323_1807
	s_branch .LBB323_1810
.LBB323_2356:
	s_and_not1_saveexec_b32 s11, s11
	s_cbranch_execz .LBB323_1911
.LBB323_2357:
	v_add_f32_e32 v1, 0x46000000, v4
	s_and_not1_b32 s10, s10, exec_lo
	s_delay_alu instid0(VALU_DEP_1) | instskip(NEXT) | instid1(VALU_DEP_1)
	v_and_b32_e32 v1, 0xff, v1
	v_cmp_ne_u32_e32 vcc_lo, 0, v1
	s_and_b32 s13, vcc_lo, exec_lo
	s_delay_alu instid0(SALU_CYCLE_1)
	s_or_b32 s10, s10, s13
	s_or_b32 exec_lo, exec_lo, s11
	v_mov_b32_e32 v5, 0
	s_and_saveexec_b32 s11, s10
	s_cbranch_execnz .LBB323_1912
	s_branch .LBB323_1913
.LBB323_2358:
	s_or_b32 s12, s12, exec_lo
	s_trap 2
	s_cbranch_execz .LBB323_1959
	s_branch .LBB323_1960
.LBB323_2359:
	s_and_not1_saveexec_b32 s10, s10
	s_cbranch_execz .LBB323_1924
.LBB323_2360:
	v_add_f32_e32 v1, 0x42800000, v4
	s_and_not1_b32 s9, s9, exec_lo
	s_delay_alu instid0(VALU_DEP_1) | instskip(NEXT) | instid1(VALU_DEP_1)
	v_and_b32_e32 v1, 0xff, v1
	v_cmp_ne_u32_e32 vcc_lo, 0, v1
	s_and_b32 s11, vcc_lo, exec_lo
	s_delay_alu instid0(SALU_CYCLE_1)
	s_or_b32 s9, s9, s11
	s_or_b32 exec_lo, exec_lo, s10
	v_mov_b32_e32 v5, 0
	s_and_saveexec_b32 s10, s9
	s_cbranch_execnz .LBB323_1925
	s_branch .LBB323_1926
.LBB323_2361:
	s_and_not1_saveexec_b32 s11, s11
	s_cbranch_execz .LBB323_2029
.LBB323_2362:
	v_add_f32_e32 v1, 0x46000000, v4
	s_and_not1_b32 s10, s10, exec_lo
	s_delay_alu instid0(VALU_DEP_1) | instskip(NEXT) | instid1(VALU_DEP_1)
	v_and_b32_e32 v1, 0xff, v1
	v_cmp_ne_u32_e32 vcc_lo, 0, v1
	s_and_b32 s13, vcc_lo, exec_lo
	s_delay_alu instid0(SALU_CYCLE_1)
	s_or_b32 s10, s10, s13
	s_or_b32 exec_lo, exec_lo, s11
	v_mov_b32_e32 v5, 0
	s_and_saveexec_b32 s11, s10
	s_cbranch_execnz .LBB323_2030
	s_branch .LBB323_2031
.LBB323_2363:
	s_or_b32 s12, s12, exec_lo
	s_trap 2
	s_cbranch_execz .LBB323_2077
	s_branch .LBB323_2078
.LBB323_2364:
	s_and_not1_saveexec_b32 s10, s10
	s_cbranch_execz .LBB323_2042
.LBB323_2365:
	v_add_f32_e32 v1, 0x42800000, v4
	s_and_not1_b32 s9, s9, exec_lo
	s_delay_alu instid0(VALU_DEP_1) | instskip(NEXT) | instid1(VALU_DEP_1)
	v_and_b32_e32 v1, 0xff, v1
	v_cmp_ne_u32_e32 vcc_lo, 0, v1
	s_and_b32 s11, vcc_lo, exec_lo
	s_delay_alu instid0(SALU_CYCLE_1)
	s_or_b32 s9, s9, s11
	s_or_b32 exec_lo, exec_lo, s10
	v_mov_b32_e32 v5, 0
	s_and_saveexec_b32 s10, s9
	s_cbranch_execnz .LBB323_2043
	s_branch .LBB323_2044
.LBB323_2366:
	s_and_not1_saveexec_b32 s11, s11
	s_cbranch_execz .LBB323_2147
.LBB323_2367:
	v_add_f32_e32 v1, 0x46000000, v4
	s_and_not1_b32 s10, s10, exec_lo
	s_delay_alu instid0(VALU_DEP_1) | instskip(NEXT) | instid1(VALU_DEP_1)
	v_and_b32_e32 v1, 0xff, v1
	v_cmp_ne_u32_e32 vcc_lo, 0, v1
	s_and_b32 s13, vcc_lo, exec_lo
	s_delay_alu instid0(SALU_CYCLE_1)
	s_or_b32 s10, s10, s13
	s_or_b32 exec_lo, exec_lo, s11
	v_mov_b32_e32 v5, 0
	s_and_saveexec_b32 s11, s10
	s_cbranch_execnz .LBB323_2148
	s_branch .LBB323_2149
.LBB323_2368:
	s_or_b32 s12, s12, exec_lo
	s_trap 2
	s_cbranch_execz .LBB323_2195
	s_branch .LBB323_2196
.LBB323_2369:
	s_and_not1_saveexec_b32 s10, s10
	s_cbranch_execz .LBB323_2160
.LBB323_2370:
	v_add_f32_e32 v1, 0x42800000, v4
	s_and_not1_b32 s9, s9, exec_lo
	s_delay_alu instid0(VALU_DEP_1) | instskip(NEXT) | instid1(VALU_DEP_1)
	v_and_b32_e32 v1, 0xff, v1
	v_cmp_ne_u32_e32 vcc_lo, 0, v1
	s_and_b32 s11, vcc_lo, exec_lo
	s_delay_alu instid0(SALU_CYCLE_1)
	s_or_b32 s9, s9, s11
	s_or_b32 exec_lo, exec_lo, s10
	v_mov_b32_e32 v5, 0
	s_and_saveexec_b32 s10, s9
	s_cbranch_execnz .LBB323_2161
	s_branch .LBB323_2162
.LBB323_2371:
	s_and_not1_saveexec_b32 s6, s6
	s_cbranch_execz .LBB323_2227
.LBB323_2372:
	v_add_f32_e32 v2, 0x46000000, v3
	s_and_not1_b32 s5, s5, exec_lo
	s_delay_alu instid0(VALU_DEP_1) | instskip(NEXT) | instid1(VALU_DEP_1)
	v_and_b32_e32 v2, 0xff, v2
	v_cmp_ne_u32_e32 vcc_lo, 0, v2
	s_and_b32 s7, vcc_lo, exec_lo
	s_delay_alu instid0(SALU_CYCLE_1)
	s_or_b32 s5, s5, s7
	s_or_b32 exec_lo, exec_lo, s6
	v_mov_b32_e32 v4, 0
	s_and_saveexec_b32 s6, s5
	s_cbranch_execnz .LBB323_2228
	s_branch .LBB323_2229
.LBB323_2373:
	s_mov_b32 s3, 0
	s_or_b32 s12, s12, exec_lo
	s_trap 2
	s_branch .LBB323_2273
.LBB323_2374:
	s_and_not1_saveexec_b32 s5, s5
	s_cbranch_execz .LBB323_2239
.LBB323_2375:
	v_add_f32_e32 v2, 0x42800000, v3
	s_and_not1_b32 s4, s4, exec_lo
	s_delay_alu instid0(VALU_DEP_1) | instskip(NEXT) | instid1(VALU_DEP_1)
	v_and_b32_e32 v2, 0xff, v2
	v_cmp_ne_u32_e32 vcc_lo, 0, v2
	s_and_b32 s6, vcc_lo, exec_lo
	s_delay_alu instid0(SALU_CYCLE_1)
	s_or_b32 s4, s4, s6
	s_or_b32 exec_lo, exec_lo, s5
	v_mov_b32_e32 v4, 0
	s_and_saveexec_b32 s5, s4
	s_cbranch_execnz .LBB323_2240
	s_branch .LBB323_2241
	.section	.rodata,"a",@progbits
	.p2align	6, 0x0
	.amdhsa_kernel _ZN2at6native32elementwise_kernel_manual_unrollILi128ELi4EZNS0_15gpu_kernel_implINS0_13AUnaryFunctorIN3c1014Float8_e8m0fnuES5_bNS0_12_GLOBAL__N_116CompareEqFunctorIS5_EEEEEEvRNS_18TensorIteratorBaseERKT_EUlibE_EEviT1_
		.amdhsa_group_segment_fixed_size 0
		.amdhsa_private_segment_fixed_size 0
		.amdhsa_kernarg_size 48
		.amdhsa_user_sgpr_count 2
		.amdhsa_user_sgpr_dispatch_ptr 0
		.amdhsa_user_sgpr_queue_ptr 0
		.amdhsa_user_sgpr_kernarg_segment_ptr 1
		.amdhsa_user_sgpr_dispatch_id 0
		.amdhsa_user_sgpr_kernarg_preload_length 0
		.amdhsa_user_sgpr_kernarg_preload_offset 0
		.amdhsa_user_sgpr_private_segment_size 0
		.amdhsa_wavefront_size32 1
		.amdhsa_uses_dynamic_stack 0
		.amdhsa_enable_private_segment 0
		.amdhsa_system_sgpr_workgroup_id_x 1
		.amdhsa_system_sgpr_workgroup_id_y 0
		.amdhsa_system_sgpr_workgroup_id_z 0
		.amdhsa_system_sgpr_workgroup_info 0
		.amdhsa_system_vgpr_workitem_id 0
		.amdhsa_next_free_vgpr 14
		.amdhsa_next_free_sgpr 31
		.amdhsa_named_barrier_count 0
		.amdhsa_reserve_vcc 1
		.amdhsa_float_round_mode_32 0
		.amdhsa_float_round_mode_16_64 0
		.amdhsa_float_denorm_mode_32 3
		.amdhsa_float_denorm_mode_16_64 3
		.amdhsa_fp16_overflow 0
		.amdhsa_memory_ordered 1
		.amdhsa_forward_progress 1
		.amdhsa_inst_pref_size 255
		.amdhsa_round_robin_scheduling 0
		.amdhsa_exception_fp_ieee_invalid_op 0
		.amdhsa_exception_fp_denorm_src 0
		.amdhsa_exception_fp_ieee_div_zero 0
		.amdhsa_exception_fp_ieee_overflow 0
		.amdhsa_exception_fp_ieee_underflow 0
		.amdhsa_exception_fp_ieee_inexact 0
		.amdhsa_exception_int_div_zero 0
	.end_amdhsa_kernel
	.section	.text._ZN2at6native32elementwise_kernel_manual_unrollILi128ELi4EZNS0_15gpu_kernel_implINS0_13AUnaryFunctorIN3c1014Float8_e8m0fnuES5_bNS0_12_GLOBAL__N_116CompareEqFunctorIS5_EEEEEEvRNS_18TensorIteratorBaseERKT_EUlibE_EEviT1_,"axG",@progbits,_ZN2at6native32elementwise_kernel_manual_unrollILi128ELi4EZNS0_15gpu_kernel_implINS0_13AUnaryFunctorIN3c1014Float8_e8m0fnuES5_bNS0_12_GLOBAL__N_116CompareEqFunctorIS5_EEEEEEvRNS_18TensorIteratorBaseERKT_EUlibE_EEviT1_,comdat
.Lfunc_end323:
	.size	_ZN2at6native32elementwise_kernel_manual_unrollILi128ELi4EZNS0_15gpu_kernel_implINS0_13AUnaryFunctorIN3c1014Float8_e8m0fnuES5_bNS0_12_GLOBAL__N_116CompareEqFunctorIS5_EEEEEEvRNS_18TensorIteratorBaseERKT_EUlibE_EEviT1_, .Lfunc_end323-_ZN2at6native32elementwise_kernel_manual_unrollILi128ELi4EZNS0_15gpu_kernel_implINS0_13AUnaryFunctorIN3c1014Float8_e8m0fnuES5_bNS0_12_GLOBAL__N_116CompareEqFunctorIS5_EEEEEEvRNS_18TensorIteratorBaseERKT_EUlibE_EEviT1_
                                        ; -- End function
	.set _ZN2at6native32elementwise_kernel_manual_unrollILi128ELi4EZNS0_15gpu_kernel_implINS0_13AUnaryFunctorIN3c1014Float8_e8m0fnuES5_bNS0_12_GLOBAL__N_116CompareEqFunctorIS5_EEEEEEvRNS_18TensorIteratorBaseERKT_EUlibE_EEviT1_.num_vgpr, 14
	.set _ZN2at6native32elementwise_kernel_manual_unrollILi128ELi4EZNS0_15gpu_kernel_implINS0_13AUnaryFunctorIN3c1014Float8_e8m0fnuES5_bNS0_12_GLOBAL__N_116CompareEqFunctorIS5_EEEEEEvRNS_18TensorIteratorBaseERKT_EUlibE_EEviT1_.num_agpr, 0
	.set _ZN2at6native32elementwise_kernel_manual_unrollILi128ELi4EZNS0_15gpu_kernel_implINS0_13AUnaryFunctorIN3c1014Float8_e8m0fnuES5_bNS0_12_GLOBAL__N_116CompareEqFunctorIS5_EEEEEEvRNS_18TensorIteratorBaseERKT_EUlibE_EEviT1_.numbered_sgpr, 31
	.set _ZN2at6native32elementwise_kernel_manual_unrollILi128ELi4EZNS0_15gpu_kernel_implINS0_13AUnaryFunctorIN3c1014Float8_e8m0fnuES5_bNS0_12_GLOBAL__N_116CompareEqFunctorIS5_EEEEEEvRNS_18TensorIteratorBaseERKT_EUlibE_EEviT1_.num_named_barrier, 0
	.set _ZN2at6native32elementwise_kernel_manual_unrollILi128ELi4EZNS0_15gpu_kernel_implINS0_13AUnaryFunctorIN3c1014Float8_e8m0fnuES5_bNS0_12_GLOBAL__N_116CompareEqFunctorIS5_EEEEEEvRNS_18TensorIteratorBaseERKT_EUlibE_EEviT1_.private_seg_size, 0
	.set _ZN2at6native32elementwise_kernel_manual_unrollILi128ELi4EZNS0_15gpu_kernel_implINS0_13AUnaryFunctorIN3c1014Float8_e8m0fnuES5_bNS0_12_GLOBAL__N_116CompareEqFunctorIS5_EEEEEEvRNS_18TensorIteratorBaseERKT_EUlibE_EEviT1_.uses_vcc, 1
	.set _ZN2at6native32elementwise_kernel_manual_unrollILi128ELi4EZNS0_15gpu_kernel_implINS0_13AUnaryFunctorIN3c1014Float8_e8m0fnuES5_bNS0_12_GLOBAL__N_116CompareEqFunctorIS5_EEEEEEvRNS_18TensorIteratorBaseERKT_EUlibE_EEviT1_.uses_flat_scratch, 0
	.set _ZN2at6native32elementwise_kernel_manual_unrollILi128ELi4EZNS0_15gpu_kernel_implINS0_13AUnaryFunctorIN3c1014Float8_e8m0fnuES5_bNS0_12_GLOBAL__N_116CompareEqFunctorIS5_EEEEEEvRNS_18TensorIteratorBaseERKT_EUlibE_EEviT1_.has_dyn_sized_stack, 0
	.set _ZN2at6native32elementwise_kernel_manual_unrollILi128ELi4EZNS0_15gpu_kernel_implINS0_13AUnaryFunctorIN3c1014Float8_e8m0fnuES5_bNS0_12_GLOBAL__N_116CompareEqFunctorIS5_EEEEEEvRNS_18TensorIteratorBaseERKT_EUlibE_EEviT1_.has_recursion, 0
	.set _ZN2at6native32elementwise_kernel_manual_unrollILi128ELi4EZNS0_15gpu_kernel_implINS0_13AUnaryFunctorIN3c1014Float8_e8m0fnuES5_bNS0_12_GLOBAL__N_116CompareEqFunctorIS5_EEEEEEvRNS_18TensorIteratorBaseERKT_EUlibE_EEviT1_.has_indirect_call, 0
	.section	.AMDGPU.csdata,"",@progbits
; Kernel info:
; codeLenInByte = 51532
; TotalNumSgprs: 33
; NumVgprs: 14
; ScratchSize: 0
; MemoryBound: 0
; FloatMode: 240
; IeeeMode: 1
; LDSByteSize: 0 bytes/workgroup (compile time only)
; SGPRBlocks: 0
; VGPRBlocks: 0
; NumSGPRsForWavesPerEU: 33
; NumVGPRsForWavesPerEU: 14
; NamedBarCnt: 0
; Occupancy: 16
; WaveLimiterHint : 0
; COMPUTE_PGM_RSRC2:SCRATCH_EN: 0
; COMPUTE_PGM_RSRC2:USER_SGPR: 2
; COMPUTE_PGM_RSRC2:TRAP_HANDLER: 0
; COMPUTE_PGM_RSRC2:TGID_X_EN: 1
; COMPUTE_PGM_RSRC2:TGID_Y_EN: 0
; COMPUTE_PGM_RSRC2:TGID_Z_EN: 0
; COMPUTE_PGM_RSRC2:TIDIG_COMP_CNT: 0
	.section	.text._ZN2at6native32elementwise_kernel_manual_unrollILi128ELi4EZNS0_15gpu_kernel_implINS0_13AUnaryFunctorIN3c1014Float8_e8m0fnuES5_bNS0_12_GLOBAL__N_116CompareEqFunctorIS5_EEEEEEvRNS_18TensorIteratorBaseERKT_EUlibE0_EEviT1_,"axG",@progbits,_ZN2at6native32elementwise_kernel_manual_unrollILi128ELi4EZNS0_15gpu_kernel_implINS0_13AUnaryFunctorIN3c1014Float8_e8m0fnuES5_bNS0_12_GLOBAL__N_116CompareEqFunctorIS5_EEEEEEvRNS_18TensorIteratorBaseERKT_EUlibE0_EEviT1_,comdat
	.globl	_ZN2at6native32elementwise_kernel_manual_unrollILi128ELi4EZNS0_15gpu_kernel_implINS0_13AUnaryFunctorIN3c1014Float8_e8m0fnuES5_bNS0_12_GLOBAL__N_116CompareEqFunctorIS5_EEEEEEvRNS_18TensorIteratorBaseERKT_EUlibE0_EEviT1_ ; -- Begin function _ZN2at6native32elementwise_kernel_manual_unrollILi128ELi4EZNS0_15gpu_kernel_implINS0_13AUnaryFunctorIN3c1014Float8_e8m0fnuES5_bNS0_12_GLOBAL__N_116CompareEqFunctorIS5_EEEEEEvRNS_18TensorIteratorBaseERKT_EUlibE0_EEviT1_
	.p2align	8
	.type	_ZN2at6native32elementwise_kernel_manual_unrollILi128ELi4EZNS0_15gpu_kernel_implINS0_13AUnaryFunctorIN3c1014Float8_e8m0fnuES5_bNS0_12_GLOBAL__N_116CompareEqFunctorIS5_EEEEEEvRNS_18TensorIteratorBaseERKT_EUlibE0_EEviT1_,@function
_ZN2at6native32elementwise_kernel_manual_unrollILi128ELi4EZNS0_15gpu_kernel_implINS0_13AUnaryFunctorIN3c1014Float8_e8m0fnuES5_bNS0_12_GLOBAL__N_116CompareEqFunctorIS5_EEEEEEvRNS_18TensorIteratorBaseERKT_EUlibE0_EEviT1_: ; @_ZN2at6native32elementwise_kernel_manual_unrollILi128ELi4EZNS0_15gpu_kernel_implINS0_13AUnaryFunctorIN3c1014Float8_e8m0fnuES5_bNS0_12_GLOBAL__N_116CompareEqFunctorIS5_EEEEEEvRNS_18TensorIteratorBaseERKT_EUlibE0_EEviT1_
; %bb.0:
	s_clause 0x1
	s_load_b32 s19, s[0:1], 0x8
	s_load_b32 s39, s[0:1], 0x0
	s_bfe_u32 s2, ttmp6, 0x4000c
	s_and_b32 s3, ttmp6, 15
	s_add_co_i32 s2, s2, 1
	s_getreg_b32 s4, hwreg(HW_REG_IB_STS2, 6, 4)
	s_mul_i32 s2, ttmp9, s2
	s_mov_b32 s34, 0
	s_add_co_i32 s3, s3, s2
	s_cmp_eq_u32 s4, 0
	s_mov_b32 s28, -1
	s_cselect_b32 s2, ttmp9, s3
	s_add_nc_u64 s[20:21], s[0:1], 8
	v_lshl_or_b32 v0, s2, 9, v0
	s_mov_b32 s8, 0
	s_wait_xcnt 0x0
	s_mov_b32 s0, exec_lo
	s_delay_alu instid0(VALU_DEP_1) | instskip(SKIP_2) | instid1(SALU_CYCLE_1)
	v_or_b32_e32 v9, 0x180, v0
	s_wait_kmcnt 0x0
	s_add_co_i32 s33, s19, -1
	s_cmp_gt_u32 s33, 1
	s_cselect_b32 s35, -1, 0
	v_cmpx_le_i32_e64 s39, v9
	s_xor_b32 s36, exec_lo, s0
	s_cbranch_execz .LBB324_1261
; %bb.1:
	s_clause 0x4
	s_load_b96 s[16:18], s[20:21], 0x158
	s_load_b128 s[8:11], s[20:21], 0x4
	s_load_b64 s[2:3], s[20:21], 0x14
	s_load_b128 s[12:15], s[20:21], 0xc4
	s_load_b128 s[4:7], s[20:21], 0x148
	s_cmp_lg_u32 s19, 0
	s_mov_b32 s23, 0
	s_cselect_b32 s41, -1, 0
	s_min_u32 s40, s33, 15
	s_cmp_gt_u32 s19, 1
	s_add_nc_u64 s[26:27], s[20:21], 0xc4
	s_cselect_b32 s38, -1, 0
	s_mov_b32 s25, s23
	s_mov_b32 s43, s23
	;; [unrolled: 1-line block ×3, first 2 shown]
	s_mov_b32 s44, exec_lo
	s_wait_kmcnt 0x0
	s_and_b32 s1, s17, 0xff
	s_bfe_u32 s37, s18, 0x80008
	s_cmp_eq_u32 s16, 0
	s_mov_b32 s22, s9
	s_cselect_b32 s0, -1, 0
	s_lshl_b32 s16, s1, 23
	s_cmp_lg_u32 s1, 0xff
	s_mov_b32 s24, s2
	s_cselect_b32 s9, s16, 0x7f800001
	s_cmp_lg_u32 s1, 0
	s_cselect_b32 s9, s9, 0x400000
	v_cmpx_gt_i32_e64 s39, v0
	s_cbranch_execz .LBB324_309
; %bb.2:
	s_and_not1_b32 vcc_lo, exec_lo, s35
	s_cbranch_vccnz .LBB324_8
; %bb.3:
	s_and_not1_b32 vcc_lo, exec_lo, s41
	s_cbranch_vccnz .LBB324_9
; %bb.4:
	s_add_co_i32 s1, s40, 1
	s_cmp_eq_u32 s33, 2
	s_cbranch_scc1 .LBB324_10
; %bb.5:
	v_dual_mov_b32 v2, 0 :: v_dual_mov_b32 v4, 0
	v_mov_b32_e32 v1, v0
	s_and_b32 s16, s1, 28
	s_mov_b32 s2, 0
	s_mov_b64 s[28:29], s[20:21]
	s_mov_b64 s[30:31], s[26:27]
.LBB324_6:                              ; =>This Inner Loop Header: Depth=1
	s_clause 0x1
	s_load_b256 s[48:55], s[28:29], 0x4
	s_load_b128 s[64:67], s[28:29], 0x24
	s_load_b256 s[56:63], s[30:31], 0x0
	s_add_co_i32 s2, s2, 4
	s_wait_xcnt 0x0
	s_add_nc_u64 s[28:29], s[28:29], 48
	s_cmp_lg_u32 s16, s2
	s_add_nc_u64 s[30:31], s[30:31], 32
	s_wait_kmcnt 0x0
	v_mul_hi_u32 v3, s49, v1
	s_delay_alu instid0(VALU_DEP_1) | instskip(NEXT) | instid1(VALU_DEP_1)
	v_add_nc_u32_e32 v3, v1, v3
	v_lshrrev_b32_e32 v3, s50, v3
	s_delay_alu instid0(VALU_DEP_1) | instskip(NEXT) | instid1(VALU_DEP_1)
	v_mul_hi_u32 v5, s52, v3
	v_add_nc_u32_e32 v5, v3, v5
	s_delay_alu instid0(VALU_DEP_1) | instskip(NEXT) | instid1(VALU_DEP_1)
	v_lshrrev_b32_e32 v5, s53, v5
	v_mul_hi_u32 v6, s55, v5
	s_delay_alu instid0(VALU_DEP_1) | instskip(SKIP_1) | instid1(VALU_DEP_1)
	v_add_nc_u32_e32 v6, v5, v6
	v_mul_lo_u32 v7, v3, s48
	v_sub_nc_u32_e32 v1, v1, v7
	v_mul_lo_u32 v7, v5, s51
	s_delay_alu instid0(VALU_DEP_4) | instskip(NEXT) | instid1(VALU_DEP_3)
	v_lshrrev_b32_e32 v6, s64, v6
	v_mad_u32 v4, v1, s57, v4
	v_mad_u32 v1, v1, s56, v2
	s_delay_alu instid0(VALU_DEP_4) | instskip(NEXT) | instid1(VALU_DEP_4)
	v_sub_nc_u32_e32 v2, v3, v7
	v_mul_hi_u32 v8, s66, v6
	v_mul_lo_u32 v3, v6, s54
	s_delay_alu instid0(VALU_DEP_3) | instskip(SKIP_1) | instid1(VALU_DEP_3)
	v_mad_u32 v4, v2, s59, v4
	v_mad_u32 v2, v2, s58, v1
	v_dual_add_nc_u32 v7, v6, v8 :: v_dual_sub_nc_u32 v3, v5, v3
	s_delay_alu instid0(VALU_DEP_1) | instskip(NEXT) | instid1(VALU_DEP_2)
	v_lshrrev_b32_e32 v1, s67, v7
	v_mad_u32 v4, v3, s61, v4
	s_delay_alu instid0(VALU_DEP_4) | instskip(NEXT) | instid1(VALU_DEP_3)
	v_mad_u32 v2, v3, s60, v2
	v_mul_lo_u32 v5, v1, s65
	s_delay_alu instid0(VALU_DEP_1) | instskip(NEXT) | instid1(VALU_DEP_1)
	v_sub_nc_u32_e32 v3, v6, v5
	v_mad_u32 v4, v3, s63, v4
	s_delay_alu instid0(VALU_DEP_4)
	v_mad_u32 v2, v3, s62, v2
	s_cbranch_scc1 .LBB324_6
; %bb.7:
	s_delay_alu instid0(VALU_DEP_2)
	v_mov_b32_e32 v3, v4
	s_and_b32 s1, s1, 3
	s_mov_b32 s17, 0
	s_cmp_eq_u32 s1, 0
	s_cbranch_scc0 .LBB324_11
	s_branch .LBB324_14
.LBB324_8:
                                        ; implicit-def: $vgpr4
                                        ; implicit-def: $vgpr2
	s_branch .LBB324_15
.LBB324_9:
	v_dual_mov_b32 v4, 0 :: v_dual_mov_b32 v2, 0
	s_branch .LBB324_14
.LBB324_10:
	v_mov_b64_e32 v[2:3], 0
	v_mov_b32_e32 v1, v0
	s_mov_b32 s16, 0
                                        ; implicit-def: $vgpr4
	s_and_b32 s1, s1, 3
	s_mov_b32 s17, 0
	s_cmp_eq_u32 s1, 0
	s_cbranch_scc1 .LBB324_14
.LBB324_11:
	s_lshl_b32 s28, s16, 3
	s_mov_b32 s29, s17
	s_mul_u64 s[30:31], s[16:17], 12
	s_add_nc_u64 s[28:29], s[20:21], s[28:29]
	s_delay_alu instid0(SALU_CYCLE_1)
	s_add_nc_u64 s[16:17], s[28:29], 0xc4
	s_add_nc_u64 s[28:29], s[20:21], s[30:31]
.LBB324_12:                             ; =>This Inner Loop Header: Depth=1
	s_load_b96 s[48:50], s[28:29], 0x4
	s_load_b64 s[30:31], s[16:17], 0x0
	s_add_co_i32 s1, s1, -1
	s_wait_xcnt 0x0
	s_add_nc_u64 s[28:29], s[28:29], 12
	s_cmp_lg_u32 s1, 0
	s_add_nc_u64 s[16:17], s[16:17], 8
	s_wait_kmcnt 0x0
	v_mul_hi_u32 v4, s49, v1
	s_delay_alu instid0(VALU_DEP_1) | instskip(NEXT) | instid1(VALU_DEP_1)
	v_add_nc_u32_e32 v4, v1, v4
	v_lshrrev_b32_e32 v4, s50, v4
	s_delay_alu instid0(VALU_DEP_1) | instskip(NEXT) | instid1(VALU_DEP_1)
	v_mul_lo_u32 v5, v4, s48
	v_sub_nc_u32_e32 v1, v1, v5
	s_delay_alu instid0(VALU_DEP_1)
	v_mad_u32 v3, v1, s31, v3
	v_mad_u32 v2, v1, s30, v2
	v_mov_b32_e32 v1, v4
	s_cbranch_scc1 .LBB324_12
; %bb.13:
	s_delay_alu instid0(VALU_DEP_3)
	v_mov_b32_e32 v4, v3
.LBB324_14:
	s_cbranch_execnz .LBB324_17
.LBB324_15:
	v_mov_b32_e32 v1, 0
	s_and_not1_b32 vcc_lo, exec_lo, s38
	s_delay_alu instid0(VALU_DEP_1) | instskip(NEXT) | instid1(VALU_DEP_1)
	v_mul_u64_e32 v[2:3], s[22:23], v[0:1]
	v_add_nc_u32_e32 v2, v0, v3
	s_delay_alu instid0(VALU_DEP_1) | instskip(NEXT) | instid1(VALU_DEP_1)
	v_lshrrev_b32_e32 v6, s10, v2
	v_mul_lo_u32 v2, v6, s8
	s_delay_alu instid0(VALU_DEP_1) | instskip(NEXT) | instid1(VALU_DEP_1)
	v_sub_nc_u32_e32 v2, v0, v2
	v_mul_lo_u32 v4, v2, s13
	v_mul_lo_u32 v2, v2, s12
	s_cbranch_vccnz .LBB324_17
; %bb.16:
	v_mov_b32_e32 v7, v1
	s_delay_alu instid0(VALU_DEP_1) | instskip(NEXT) | instid1(VALU_DEP_1)
	v_mul_u64_e32 v[8:9], s[24:25], v[6:7]
	v_add_nc_u32_e32 v1, v6, v9
	s_delay_alu instid0(VALU_DEP_1) | instskip(NEXT) | instid1(VALU_DEP_1)
	v_lshrrev_b32_e32 v1, s3, v1
	v_mul_lo_u32 v1, v1, s11
	s_delay_alu instid0(VALU_DEP_1) | instskip(NEXT) | instid1(VALU_DEP_1)
	v_sub_nc_u32_e32 v1, v6, v1
	v_mad_u32 v2, v1, s14, v2
	v_mad_u32 v4, v1, s15, v4
.LBB324_17:
	v_mov_b32_e32 v5, 0
	s_and_b32 s2, 0xffff, s37
	s_delay_alu instid0(SALU_CYCLE_1) | instskip(NEXT) | instid1(VALU_DEP_1)
	s_cmp_lt_i32 s2, 11
	v_add_nc_u64_e32 v[4:5], s[6:7], v[4:5]
	s_cbranch_scc1 .LBB324_26
; %bb.18:
	s_cmp_gt_i32 s2, 25
	s_cbranch_scc0 .LBB324_74
; %bb.19:
	s_cmp_gt_i32 s2, 28
	s_cbranch_scc0 .LBB324_75
	;; [unrolled: 3-line block ×4, first 2 shown]
; %bb.22:
	s_cmp_eq_u32 s2, 46
	s_mov_b32 s17, 0
	s_cbranch_scc0 .LBB324_81
; %bb.23:
	global_load_b32 v3, v[4:5], off
	s_mov_b32 s16, exec_lo
	s_wait_loadcnt 0x0
	v_dual_mov_b32 v1, 0xff :: v_dual_lshlrev_b32 v6, 16, v3
	s_delay_alu instid0(VALU_DEP_1) | instskip(NEXT) | instid1(VALU_DEP_1)
	v_bfe_u32 v7, v6, 23, 8
	v_cmpx_ne_u32_e32 0xff, v7
	s_cbranch_execz .LBB324_25
; %bb.24:
	v_and_b32_e32 v1, 64, v3
	v_and_or_b32 v6, 0x3f0000, v6, v7
	s_delay_alu instid0(VALU_DEP_2) | instskip(NEXT) | instid1(VALU_DEP_2)
	v_cmp_ne_u32_e32 vcc_lo, 0, v1
	v_cmp_ne_u32_e64 s1, 0, v6
	v_bfe_u32 v1, v3, 7, 9
	s_and_b32 s1, vcc_lo, s1
	s_delay_alu instid0(SALU_CYCLE_1) | instskip(NEXT) | instid1(VALU_DEP_1)
	v_cndmask_b32_e64 v3, 0, 1, s1
	v_add_nc_u32_e32 v1, v1, v3
.LBB324_25:
	s_or_b32 exec_lo, exec_lo, s16
	s_mov_b32 s1, -1
	s_mov_b32 s16, 0
	s_branch .LBB324_83
.LBB324_26:
	s_mov_b32 s16, 0
	s_mov_b32 s1, 0
                                        ; implicit-def: $vgpr1
	s_cbranch_execnz .LBB324_237
.LBB324_27:
	s_and_not1_b32 vcc_lo, exec_lo, s1
	s_cbranch_vccnz .LBB324_306
.LBB324_28:
	s_wait_loadcnt 0x0
	s_delay_alu instid0(VALU_DEP_1)
	v_and_b32_e32 v1, 0xff, v1
	s_and_b32 s17, s18, 0xff
	s_mov_b32 s2, 0
	s_mov_b32 s28, -1
	s_cmp_lt_i32 s17, 11
	v_lshlrev_b32_e32 v3, 23, v1
	v_cmp_ne_u16_e32 vcc_lo, 0xff, v1
	s_mov_b32 s29, 0
	s_delay_alu instid0(VALU_DEP_2) | instskip(SKIP_1) | instid1(VALU_DEP_2)
	v_cndmask_b32_e32 v3, 0x7f800001, v3, vcc_lo
	v_cmp_ne_u16_e32 vcc_lo, 0, v1
	v_cndmask_b32_e32 v1, 0x400000, v3, vcc_lo
	s_delay_alu instid0(VALU_DEP_1) | instskip(SKIP_3) | instid1(VALU_DEP_1)
	v_cmp_eq_f32_e32 vcc_lo, s9, v1
	v_cndmask_b32_e64 v3, 0, 1, vcc_lo
	v_cmp_neq_f32_e32 vcc_lo, s9, v1
	v_cndmask_b32_e64 v1, 0, 1, vcc_lo
	v_dual_cndmask_b32 v1, v1, v3, s0 :: v_dual_mov_b32 v3, 0
	s_delay_alu instid0(VALU_DEP_1) | instskip(NEXT) | instid1(VALU_DEP_2)
	v_and_b32_e32 v1, 1, v1
	v_add_nc_u64_e32 v[2:3], s[4:5], v[2:3]
	s_delay_alu instid0(VALU_DEP_2)
	v_cmp_eq_u32_e64 s1, 1, v1
	s_cbranch_scc1 .LBB324_35
; %bb.29:
	s_and_b32 s28, 0xffff, s17
	s_delay_alu instid0(SALU_CYCLE_1)
	s_cmp_gt_i32 s28, 25
	s_cbranch_scc0 .LBB324_76
; %bb.30:
	s_cmp_gt_i32 s28, 28
	s_cbranch_scc0 .LBB324_78
; %bb.31:
	;; [unrolled: 3-line block ×4, first 2 shown]
	s_mov_b32 s30, 0
	s_mov_b32 s2, -1
	s_cmp_eq_u32 s28, 46
	s_cbranch_scc0 .LBB324_87
; %bb.34:
	v_cndmask_b32_e64 v1, 0, 1.0, s1
	s_mov_b32 s29, -1
	s_mov_b32 s2, 0
	s_delay_alu instid0(VALU_DEP_1) | instskip(NEXT) | instid1(VALU_DEP_1)
	v_bfe_u32 v4, v1, 16, 1
	v_add3_u32 v1, v1, v4, 0x7fff
	s_delay_alu instid0(VALU_DEP_1)
	v_lshrrev_b32_e32 v1, 16, v1
	global_store_b32 v[2:3], v1, off
	s_branch .LBB324_87
.LBB324_35:
	s_and_b32 vcc_lo, exec_lo, s28
	s_cbranch_vccz .LBB324_156
; %bb.36:
	s_and_b32 s17, 0xffff, s17
	s_mov_b32 s28, -1
	s_cmp_lt_i32 s17, 5
	s_cbranch_scc1 .LBB324_57
; %bb.37:
	s_cmp_lt_i32 s17, 8
	s_cbranch_scc1 .LBB324_47
; %bb.38:
	;; [unrolled: 3-line block ×3, first 2 shown]
	s_cmp_gt_i32 s17, 9
	s_cbranch_scc0 .LBB324_41
; %bb.40:
	s_wait_xcnt 0x0
	v_cndmask_b32_e64 v1, 0, 1, s1
	v_mov_b32_e32 v6, 0
	s_mov_b32 s28, 0
	s_delay_alu instid0(VALU_DEP_2) | instskip(NEXT) | instid1(VALU_DEP_2)
	v_cvt_f64_u32_e32 v[4:5], v1
	v_mov_b32_e32 v7, v6
	global_store_b128 v[2:3], v[4:7], off
.LBB324_41:
	s_and_not1_b32 vcc_lo, exec_lo, s28
	s_cbranch_vccnz .LBB324_43
; %bb.42:
	s_wait_xcnt 0x0
	v_cndmask_b32_e64 v4, 0, 1.0, s1
	v_mov_b32_e32 v5, 0
	global_store_b64 v[2:3], v[4:5], off
.LBB324_43:
	s_mov_b32 s28, 0
.LBB324_44:
	s_delay_alu instid0(SALU_CYCLE_1)
	s_and_not1_b32 vcc_lo, exec_lo, s28
	s_cbranch_vccnz .LBB324_46
; %bb.45:
	s_wait_xcnt 0x0
	v_cndmask_b32_e64 v1, 0, 1.0, s1
	s_delay_alu instid0(VALU_DEP_1) | instskip(NEXT) | instid1(VALU_DEP_1)
	v_cvt_f16_f32_e32 v1, v1
	v_and_b32_e32 v1, 0xffff, v1
	global_store_b32 v[2:3], v1, off
.LBB324_46:
	s_mov_b32 s28, 0
.LBB324_47:
	s_delay_alu instid0(SALU_CYCLE_1)
	s_and_not1_b32 vcc_lo, exec_lo, s28
	s_cbranch_vccnz .LBB324_56
; %bb.48:
	s_cmp_lt_i32 s17, 6
	s_mov_b32 s28, -1
	s_cbranch_scc1 .LBB324_54
; %bb.49:
	s_cmp_gt_i32 s17, 6
	s_cbranch_scc0 .LBB324_51
; %bb.50:
	s_wait_xcnt 0x0
	v_cndmask_b32_e64 v1, 0, 1, s1
	s_mov_b32 s28, 0
	s_delay_alu instid0(VALU_DEP_1)
	v_cvt_f64_u32_e32 v[4:5], v1
	global_store_b64 v[2:3], v[4:5], off
.LBB324_51:
	s_and_not1_b32 vcc_lo, exec_lo, s28
	s_cbranch_vccnz .LBB324_53
; %bb.52:
	s_wait_xcnt 0x0
	v_cndmask_b32_e64 v1, 0, 1.0, s1
	global_store_b32 v[2:3], v1, off
.LBB324_53:
	s_mov_b32 s28, 0
.LBB324_54:
	s_delay_alu instid0(SALU_CYCLE_1)
	s_and_not1_b32 vcc_lo, exec_lo, s28
	s_cbranch_vccnz .LBB324_56
; %bb.55:
	s_wait_xcnt 0x0
	v_cndmask_b32_e64 v1, 0, 1.0, s1
	s_delay_alu instid0(VALU_DEP_1)
	v_cvt_f16_f32_e32 v1, v1
	global_store_b16 v[2:3], v1, off
.LBB324_56:
	s_mov_b32 s28, 0
.LBB324_57:
	s_delay_alu instid0(SALU_CYCLE_1)
	s_and_not1_b32 vcc_lo, exec_lo, s28
	s_cbranch_vccnz .LBB324_73
; %bb.58:
	s_cmp_lt_i32 s17, 2
	s_mov_b32 s28, -1
	s_cbranch_scc1 .LBB324_68
; %bb.59:
	s_cmp_lt_i32 s17, 3
	s_cbranch_scc1 .LBB324_65
; %bb.60:
	s_cmp_gt_i32 s17, 3
	s_cbranch_scc0 .LBB324_62
; %bb.61:
	s_mov_b32 s28, 0
	s_wait_xcnt 0x0
	v_cndmask_b32_e64 v4, 0, 1, s1
	v_mov_b32_e32 v5, s28
	global_store_b64 v[2:3], v[4:5], off
.LBB324_62:
	s_and_not1_b32 vcc_lo, exec_lo, s28
	s_cbranch_vccnz .LBB324_64
; %bb.63:
	s_wait_xcnt 0x0
	v_cndmask_b32_e64 v1, 0, 1, s1
	global_store_b32 v[2:3], v1, off
.LBB324_64:
	s_mov_b32 s28, 0
.LBB324_65:
	s_delay_alu instid0(SALU_CYCLE_1)
	s_and_not1_b32 vcc_lo, exec_lo, s28
	s_cbranch_vccnz .LBB324_67
; %bb.66:
	s_wait_xcnt 0x0
	v_cndmask_b32_e64 v1, 0, 1, s1
	global_store_b16 v[2:3], v1, off
.LBB324_67:
	s_mov_b32 s28, 0
.LBB324_68:
	s_delay_alu instid0(SALU_CYCLE_1)
	s_and_not1_b32 vcc_lo, exec_lo, s28
	s_cbranch_vccnz .LBB324_73
; %bb.69:
	s_cmp_gt_i32 s17, 0
	s_mov_b32 s17, -1
	s_cbranch_scc0 .LBB324_71
; %bb.70:
	s_wait_xcnt 0x0
	v_cndmask_b32_e64 v1, 0, 1, s1
	s_mov_b32 s17, 0
	global_store_b8 v[2:3], v1, off
.LBB324_71:
	s_and_not1_b32 vcc_lo, exec_lo, s17
	s_cbranch_vccnz .LBB324_73
; %bb.72:
	s_wait_xcnt 0x0
	v_cndmask_b32_e64 v1, 0, 1, s1
	global_store_b8 v[2:3], v1, off
.LBB324_73:
	s_branch .LBB324_157
.LBB324_74:
	s_mov_b32 s16, 0
	s_mov_b32 s1, 0
                                        ; implicit-def: $vgpr1
	s_cbranch_execnz .LBB324_192
	s_branch .LBB324_236
.LBB324_75:
	s_mov_b32 s17, -1
	s_mov_b32 s16, 0
	s_mov_b32 s1, 0
                                        ; implicit-def: $vgpr1
	s_branch .LBB324_167
.LBB324_76:
	s_mov_b32 s30, -1
	s_branch .LBB324_114
.LBB324_77:
	s_mov_b32 s17, -1
	s_mov_b32 s16, 0
	s_mov_b32 s1, 0
                                        ; implicit-def: $vgpr1
	s_branch .LBB324_160
.LBB324_78:
	s_mov_b32 s30, -1
	s_branch .LBB324_97
.LBB324_79:
	s_mov_b32 s17, -1
	s_mov_b32 s16, 0
	s_branch .LBB324_82
.LBB324_80:
	s_mov_b32 s30, -1
	s_branch .LBB324_93
.LBB324_81:
	s_mov_b32 s16, -1
.LBB324_82:
	s_mov_b32 s1, 0
                                        ; implicit-def: $vgpr1
.LBB324_83:
	s_and_b32 vcc_lo, exec_lo, s17
	s_cbranch_vccz .LBB324_159
; %bb.84:
	s_cmp_eq_u32 s2, 44
	s_cbranch_scc0 .LBB324_158
; %bb.85:
	global_load_u8 v1, v[4:5], off
	s_mov_b32 s1, -1
	s_mov_b32 s16, 0
	s_branch .LBB324_159
.LBB324_86:
	s_mov_b32 s30, -1
.LBB324_87:
	s_delay_alu instid0(SALU_CYCLE_1)
	s_and_b32 vcc_lo, exec_lo, s30
	s_cbranch_vccz .LBB324_92
; %bb.88:
	s_cmp_eq_u32 s28, 44
	s_mov_b32 s2, -1
	s_cbranch_scc0 .LBB324_92
; %bb.89:
	v_cndmask_b32_e64 v5, 0, 1.0, s1
	s_mov_b32 s29, exec_lo
	s_wait_xcnt 0x0
	s_delay_alu instid0(VALU_DEP_1) | instskip(NEXT) | instid1(VALU_DEP_1)
	v_dual_mov_b32 v4, 0xff :: v_dual_lshrrev_b32 v1, 23, v5
	v_cmpx_ne_u32_e32 0xff, v1
; %bb.90:
	v_and_b32_e32 v4, 0x400000, v5
	v_and_or_b32 v5, 0x3fffff, v5, v1
	s_delay_alu instid0(VALU_DEP_2) | instskip(NEXT) | instid1(VALU_DEP_2)
	v_cmp_ne_u32_e32 vcc_lo, 0, v4
	v_cmp_ne_u32_e64 s2, 0, v5
	s_and_b32 s2, vcc_lo, s2
	s_delay_alu instid0(SALU_CYCLE_1) | instskip(NEXT) | instid1(VALU_DEP_1)
	v_cndmask_b32_e64 v4, 0, 1, s2
	v_add_nc_u32_e32 v4, v1, v4
; %bb.91:
	s_or_b32 exec_lo, exec_lo, s29
	s_mov_b32 s29, -1
	s_mov_b32 s2, 0
	global_store_b8 v[2:3], v4, off
.LBB324_92:
	s_mov_b32 s30, 0
.LBB324_93:
	s_delay_alu instid0(SALU_CYCLE_1)
	s_and_b32 vcc_lo, exec_lo, s30
	s_cbranch_vccz .LBB324_96
; %bb.94:
	s_cmp_eq_u32 s28, 29
	s_mov_b32 s2, -1
	s_cbranch_scc0 .LBB324_96
; %bb.95:
	s_mov_b32 s2, 0
	s_wait_xcnt 0x0
	v_cndmask_b32_e64 v4, 0, 1, s1
	v_mov_b32_e32 v5, s2
	s_mov_b32 s29, -1
	s_mov_b32 s30, 0
	global_store_b64 v[2:3], v[4:5], off
	s_branch .LBB324_97
.LBB324_96:
	s_mov_b32 s30, 0
.LBB324_97:
	s_delay_alu instid0(SALU_CYCLE_1)
	s_and_b32 vcc_lo, exec_lo, s30
	s_cbranch_vccz .LBB324_113
; %bb.98:
	s_cmp_lt_i32 s28, 27
	s_mov_b32 s29, -1
	s_cbranch_scc1 .LBB324_104
; %bb.99:
	s_cmp_gt_i32 s28, 27
	s_cbranch_scc0 .LBB324_101
; %bb.100:
	s_wait_xcnt 0x0
	v_cndmask_b32_e64 v1, 0, 1, s1
	s_mov_b32 s29, 0
	global_store_b32 v[2:3], v1, off
.LBB324_101:
	s_and_not1_b32 vcc_lo, exec_lo, s29
	s_cbranch_vccnz .LBB324_103
; %bb.102:
	s_wait_xcnt 0x0
	v_cndmask_b32_e64 v1, 0, 1, s1
	global_store_b16 v[2:3], v1, off
.LBB324_103:
	s_mov_b32 s29, 0
.LBB324_104:
	s_delay_alu instid0(SALU_CYCLE_1)
	s_and_not1_b32 vcc_lo, exec_lo, s29
	s_cbranch_vccnz .LBB324_112
; %bb.105:
	s_wait_xcnt 0x0
	v_cndmask_b32_e64 v4, 0, 1.0, s1
	v_mov_b32_e32 v5, 0x80
	s_mov_b32 s29, exec_lo
	s_delay_alu instid0(VALU_DEP_2)
	v_cmpx_gt_u32_e32 0x43800000, v4
	s_cbranch_execz .LBB324_111
; %bb.106:
	s_mov_b32 s30, 0
	s_mov_b32 s31, exec_lo
                                        ; implicit-def: $vgpr1
	v_cmpx_lt_u32_e32 0x3bffffff, v4
	s_xor_b32 s31, exec_lo, s31
	s_cbranch_execz .LBB324_395
; %bb.107:
	v_bfe_u32 v1, v4, 20, 1
	s_mov_b32 s30, exec_lo
	s_delay_alu instid0(VALU_DEP_1) | instskip(NEXT) | instid1(VALU_DEP_1)
	v_add3_u32 v1, v4, v1, 0x487ffff
                                        ; implicit-def: $vgpr4
	v_lshrrev_b32_e32 v1, 20, v1
	s_and_not1_saveexec_b32 s31, s31
	s_cbranch_execnz .LBB324_396
.LBB324_108:
	s_or_b32 exec_lo, exec_lo, s31
	v_mov_b32_e32 v5, 0
	s_and_saveexec_b32 s31, s30
.LBB324_109:
	v_mov_b32_e32 v5, v1
.LBB324_110:
	s_or_b32 exec_lo, exec_lo, s31
.LBB324_111:
	s_delay_alu instid0(SALU_CYCLE_1)
	s_or_b32 exec_lo, exec_lo, s29
	global_store_b8 v[2:3], v5, off
.LBB324_112:
	s_mov_b32 s29, -1
.LBB324_113:
	s_mov_b32 s30, 0
.LBB324_114:
	s_delay_alu instid0(SALU_CYCLE_1)
	s_and_b32 vcc_lo, exec_lo, s30
	s_cbranch_vccz .LBB324_155
; %bb.115:
	s_cmp_gt_i32 s28, 22
	s_mov_b32 s30, -1
	s_cbranch_scc0 .LBB324_147
; %bb.116:
	s_cmp_lt_i32 s28, 24
	s_mov_b32 s29, -1
	s_cbranch_scc1 .LBB324_136
; %bb.117:
	s_cmp_gt_i32 s28, 24
	s_cbranch_scc0 .LBB324_125
; %bb.118:
	s_wait_xcnt 0x0
	v_cndmask_b32_e64 v4, 0, 1.0, s1
	v_mov_b32_e32 v5, 0x80
	s_mov_b32 s29, exec_lo
	s_delay_alu instid0(VALU_DEP_2)
	v_cmpx_gt_u32_e32 0x47800000, v4
	s_cbranch_execz .LBB324_124
; %bb.119:
	s_mov_b32 s30, 0
	s_mov_b32 s31, exec_lo
                                        ; implicit-def: $vgpr1
	v_cmpx_lt_u32_e32 0x37ffffff, v4
	s_xor_b32 s31, exec_lo, s31
	s_cbranch_execz .LBB324_399
; %bb.120:
	v_bfe_u32 v1, v4, 21, 1
	s_mov_b32 s30, exec_lo
	s_delay_alu instid0(VALU_DEP_1) | instskip(NEXT) | instid1(VALU_DEP_1)
	v_add3_u32 v1, v4, v1, 0x88fffff
                                        ; implicit-def: $vgpr4
	v_lshrrev_b32_e32 v1, 21, v1
	s_and_not1_saveexec_b32 s31, s31
	s_cbranch_execnz .LBB324_400
.LBB324_121:
	s_or_b32 exec_lo, exec_lo, s31
	v_mov_b32_e32 v5, 0
	s_and_saveexec_b32 s31, s30
.LBB324_122:
	v_mov_b32_e32 v5, v1
.LBB324_123:
	s_or_b32 exec_lo, exec_lo, s31
.LBB324_124:
	s_delay_alu instid0(SALU_CYCLE_1)
	s_or_b32 exec_lo, exec_lo, s29
	s_mov_b32 s29, 0
	global_store_b8 v[2:3], v5, off
.LBB324_125:
	s_and_b32 vcc_lo, exec_lo, s29
	s_cbranch_vccz .LBB324_135
; %bb.126:
	s_wait_xcnt 0x0
	v_cndmask_b32_e64 v4, 0, 1.0, s1
	s_mov_b32 s29, exec_lo
                                        ; implicit-def: $vgpr1
	s_delay_alu instid0(VALU_DEP_1)
	v_cmpx_gt_u32_e32 0x43f00000, v4
	s_xor_b32 s29, exec_lo, s29
	s_cbranch_execz .LBB324_132
; %bb.127:
	s_mov_b32 s30, exec_lo
                                        ; implicit-def: $vgpr1
	v_cmpx_lt_u32_e32 0x3c7fffff, v4
	s_xor_b32 s30, exec_lo, s30
; %bb.128:
	v_bfe_u32 v1, v4, 20, 1
	s_delay_alu instid0(VALU_DEP_1) | instskip(NEXT) | instid1(VALU_DEP_1)
	v_add3_u32 v1, v4, v1, 0x407ffff
	v_and_b32_e32 v4, 0xff00000, v1
	v_lshrrev_b32_e32 v1, 20, v1
	s_delay_alu instid0(VALU_DEP_2) | instskip(NEXT) | instid1(VALU_DEP_2)
	v_cmp_ne_u32_e32 vcc_lo, 0x7f00000, v4
                                        ; implicit-def: $vgpr4
	v_cndmask_b32_e32 v1, 0x7e, v1, vcc_lo
; %bb.129:
	s_and_not1_saveexec_b32 s30, s30
; %bb.130:
	v_add_f32_e32 v1, 0x46800000, v4
; %bb.131:
	s_or_b32 exec_lo, exec_lo, s30
                                        ; implicit-def: $vgpr4
.LBB324_132:
	s_and_not1_saveexec_b32 s29, s29
; %bb.133:
	v_mov_b32_e32 v1, 0x7f
	v_cmp_lt_u32_e32 vcc_lo, 0x7f800000, v4
	s_delay_alu instid0(VALU_DEP_2)
	v_cndmask_b32_e32 v1, 0x7e, v1, vcc_lo
; %bb.134:
	s_or_b32 exec_lo, exec_lo, s29
	global_store_b8 v[2:3], v1, off
.LBB324_135:
	s_mov_b32 s29, 0
.LBB324_136:
	s_delay_alu instid0(SALU_CYCLE_1)
	s_and_not1_b32 vcc_lo, exec_lo, s29
	s_cbranch_vccnz .LBB324_146
; %bb.137:
	s_wait_xcnt 0x0
	v_cndmask_b32_e64 v4, 0, 1.0, s1
	s_mov_b32 s29, exec_lo
                                        ; implicit-def: $vgpr1
	s_delay_alu instid0(VALU_DEP_1)
	v_cmpx_gt_u32_e32 0x47800000, v4
	s_xor_b32 s29, exec_lo, s29
	s_cbranch_execz .LBB324_143
; %bb.138:
	s_mov_b32 s30, exec_lo
                                        ; implicit-def: $vgpr1
	v_cmpx_lt_u32_e32 0x387fffff, v4
	s_xor_b32 s30, exec_lo, s30
; %bb.139:
	v_bfe_u32 v1, v4, 21, 1
	s_delay_alu instid0(VALU_DEP_1) | instskip(NEXT) | instid1(VALU_DEP_1)
	v_add3_u32 v1, v4, v1, 0x80fffff
                                        ; implicit-def: $vgpr4
	v_lshrrev_b32_e32 v1, 21, v1
; %bb.140:
	s_and_not1_saveexec_b32 s30, s30
; %bb.141:
	v_add_f32_e32 v1, 0x43000000, v4
; %bb.142:
	s_or_b32 exec_lo, exec_lo, s30
                                        ; implicit-def: $vgpr4
.LBB324_143:
	s_and_not1_saveexec_b32 s29, s29
; %bb.144:
	v_mov_b32_e32 v1, 0x7f
	v_cmp_lt_u32_e32 vcc_lo, 0x7f800000, v4
	s_delay_alu instid0(VALU_DEP_2)
	v_cndmask_b32_e32 v1, 0x7c, v1, vcc_lo
; %bb.145:
	s_or_b32 exec_lo, exec_lo, s29
	global_store_b8 v[2:3], v1, off
.LBB324_146:
	s_mov_b32 s30, 0
	s_mov_b32 s29, -1
.LBB324_147:
	s_and_not1_b32 vcc_lo, exec_lo, s30
	s_cbranch_vccnz .LBB324_155
; %bb.148:
	s_cmp_gt_i32 s28, 14
	s_mov_b32 s30, -1
	s_cbranch_scc0 .LBB324_152
; %bb.149:
	s_cmp_eq_u32 s28, 15
	s_mov_b32 s2, -1
	s_cbranch_scc0 .LBB324_151
; %bb.150:
	s_wait_xcnt 0x0
	v_cndmask_b32_e64 v1, 0, 1.0, s1
	s_mov_b32 s29, -1
	s_mov_b32 s2, 0
	s_delay_alu instid0(VALU_DEP_1) | instskip(NEXT) | instid1(VALU_DEP_1)
	v_bfe_u32 v4, v1, 16, 1
	v_add3_u32 v1, v1, v4, 0x7fff
	global_store_d16_hi_b16 v[2:3], v1, off
.LBB324_151:
	s_mov_b32 s30, 0
.LBB324_152:
	s_delay_alu instid0(SALU_CYCLE_1)
	s_and_b32 vcc_lo, exec_lo, s30
	s_cbranch_vccz .LBB324_155
; %bb.153:
	s_cmp_eq_u32 s28, 11
	s_mov_b32 s2, -1
	s_cbranch_scc0 .LBB324_155
; %bb.154:
	s_wait_xcnt 0x0
	v_cndmask_b32_e64 v1, 0, 1, s1
	s_mov_b32 s29, -1
	s_mov_b32 s2, 0
	global_store_b8 v[2:3], v1, off
.LBB324_155:
.LBB324_156:
	s_and_not1_b32 vcc_lo, exec_lo, s29
	s_cbranch_vccnz .LBB324_307
.LBB324_157:
	v_add_nc_u32_e32 v0, 0x80, v0
	s_mov_b32 s1, -1
	s_branch .LBB324_308
.LBB324_158:
	s_mov_b32 s16, -1
                                        ; implicit-def: $vgpr1
.LBB324_159:
	s_mov_b32 s17, 0
.LBB324_160:
	s_delay_alu instid0(SALU_CYCLE_1)
	s_and_b32 vcc_lo, exec_lo, s17
	s_cbranch_vccz .LBB324_166
; %bb.161:
	s_cmp_eq_u32 s2, 29
	s_cbranch_scc0 .LBB324_165
; %bb.162:
	global_load_b64 v[6:7], v[4:5], off
	s_mov_b32 s16, exec_lo
	s_wait_loadcnt 0x0
	v_clz_i32_u32_e32 v1, v7
	s_delay_alu instid0(VALU_DEP_1) | instskip(NEXT) | instid1(VALU_DEP_1)
	v_min_u32_e32 v1, 32, v1
	v_lshlrev_b64_e32 v[6:7], v1, v[6:7]
	v_sub_nc_u32_e32 v1, 32, v1
	s_delay_alu instid0(VALU_DEP_2) | instskip(NEXT) | instid1(VALU_DEP_1)
	v_min_u32_e32 v3, 1, v6
	v_or_b32_e32 v3, v7, v3
	s_delay_alu instid0(VALU_DEP_1) | instskip(NEXT) | instid1(VALU_DEP_1)
	v_cvt_f32_u32_e32 v3, v3
	v_ldexp_f32 v6, v3, v1
	v_mov_b32_e32 v1, 0xff
	s_delay_alu instid0(VALU_DEP_2) | instskip(NEXT) | instid1(VALU_DEP_1)
	v_lshrrev_b32_e32 v3, 23, v6
	v_cmpx_ne_u32_e32 0xff, v3
; %bb.163:
	v_and_b32_e32 v1, 0x400000, v6
	v_and_or_b32 v6, 0x3fffff, v6, v3
	s_delay_alu instid0(VALU_DEP_2) | instskip(NEXT) | instid1(VALU_DEP_2)
	v_cmp_ne_u32_e32 vcc_lo, 0, v1
	v_cmp_ne_u32_e64 s1, 0, v6
	s_and_b32 s1, vcc_lo, s1
	s_delay_alu instid0(SALU_CYCLE_1) | instskip(NEXT) | instid1(VALU_DEP_1)
	v_cndmask_b32_e64 v1, 0, 1, s1
	v_add_nc_u32_e32 v1, v3, v1
; %bb.164:
	s_or_b32 exec_lo, exec_lo, s16
	s_mov_b32 s1, -1
	s_mov_b32 s16, 0
	s_branch .LBB324_166
.LBB324_165:
	s_mov_b32 s16, -1
                                        ; implicit-def: $vgpr1
.LBB324_166:
	s_mov_b32 s17, 0
.LBB324_167:
	s_delay_alu instid0(SALU_CYCLE_1)
	s_and_b32 vcc_lo, exec_lo, s17
	s_cbranch_vccz .LBB324_191
; %bb.168:
	s_cmp_lt_i32 s2, 27
	s_cbranch_scc1 .LBB324_173
; %bb.169:
	s_cmp_gt_i32 s2, 27
	s_cbranch_scc0 .LBB324_174
; %bb.170:
	s_wait_loadcnt 0x0
	global_load_b32 v1, v[4:5], off
	s_mov_b32 s17, exec_lo
	s_wait_loadcnt 0x0
	v_cvt_f32_u32_e32 v6, v1
	v_mov_b32_e32 v1, 0xff
	s_delay_alu instid0(VALU_DEP_2) | instskip(NEXT) | instid1(VALU_DEP_1)
	v_lshrrev_b32_e32 v3, 23, v6
	v_cmpx_ne_u32_e32 0xff, v3
; %bb.171:
	v_and_b32_e32 v1, 0x400000, v6
	v_and_or_b32 v6, 0x3fffff, v6, v3
	s_delay_alu instid0(VALU_DEP_2) | instskip(NEXT) | instid1(VALU_DEP_2)
	v_cmp_ne_u32_e32 vcc_lo, 0, v1
	v_cmp_ne_u32_e64 s1, 0, v6
	s_and_b32 s1, vcc_lo, s1
	s_delay_alu instid0(SALU_CYCLE_1) | instskip(NEXT) | instid1(VALU_DEP_1)
	v_cndmask_b32_e64 v1, 0, 1, s1
	v_add_nc_u32_e32 v1, v3, v1
; %bb.172:
	s_or_b32 exec_lo, exec_lo, s17
	s_mov_b32 s1, 0
	s_branch .LBB324_175
.LBB324_173:
	s_mov_b32 s1, -1
                                        ; implicit-def: $vgpr1
	s_branch .LBB324_180
.LBB324_174:
	s_mov_b32 s1, -1
                                        ; implicit-def: $vgpr1
.LBB324_175:
	s_delay_alu instid0(SALU_CYCLE_1)
	s_and_not1_b32 vcc_lo, exec_lo, s1
	s_cbranch_vccnz .LBB324_179
; %bb.176:
	s_wait_loadcnt 0x0
	global_load_u16 v1, v[4:5], off
	s_mov_b32 s17, exec_lo
	s_wait_loadcnt 0x0
	v_cvt_f32_u32_e32 v6, v1
	v_mov_b32_e32 v1, 0xff
	s_delay_alu instid0(VALU_DEP_2) | instskip(NEXT) | instid1(VALU_DEP_1)
	v_lshrrev_b32_e32 v3, 23, v6
	v_cmpx_ne_u32_e32 0xff, v3
; %bb.177:
	v_and_b32_e32 v1, 0x400000, v6
	v_and_or_b32 v6, 0x3fffff, v6, v3
	s_delay_alu instid0(VALU_DEP_2) | instskip(NEXT) | instid1(VALU_DEP_2)
	v_cmp_ne_u32_e32 vcc_lo, 0, v1
	v_cmp_ne_u32_e64 s1, 0, v6
	s_and_b32 s1, vcc_lo, s1
	s_delay_alu instid0(SALU_CYCLE_1) | instskip(NEXT) | instid1(VALU_DEP_1)
	v_cndmask_b32_e64 v1, 0, 1, s1
	v_add_nc_u32_e32 v1, v3, v1
; %bb.178:
	s_or_b32 exec_lo, exec_lo, s17
.LBB324_179:
	s_mov_b32 s1, 0
.LBB324_180:
	s_delay_alu instid0(SALU_CYCLE_1)
	s_and_not1_b32 vcc_lo, exec_lo, s1
	s_cbranch_vccnz .LBB324_190
; %bb.181:
	s_wait_loadcnt 0x0
	global_load_u8 v1, v[4:5], off
	s_mov_b32 s1, 0
	s_mov_b32 s17, exec_lo
	s_wait_loadcnt 0x0
	v_cmpx_lt_i16_e32 0x7f, v1
	s_xor_b32 s17, exec_lo, s17
	s_cbranch_execz .LBB324_207
; %bb.182:
	s_mov_b32 s1, -1
	s_mov_b32 s28, exec_lo
	v_cmpx_eq_u16_e32 0x80, v1
; %bb.183:
	s_xor_b32 s1, exec_lo, -1
; %bb.184:
	s_or_b32 exec_lo, exec_lo, s28
	s_delay_alu instid0(SALU_CYCLE_1)
	s_and_b32 s1, s1, exec_lo
	s_or_saveexec_b32 s17, s17
	v_mov_b32_e32 v3, 0x7f800001
	s_xor_b32 exec_lo, exec_lo, s17
	s_cbranch_execnz .LBB324_208
.LBB324_185:
	s_or_b32 exec_lo, exec_lo, s17
	s_and_saveexec_b32 s17, s1
	s_cbranch_execz .LBB324_187
.LBB324_186:
	v_and_b32_e32 v1, 0xffff, v1
	s_delay_alu instid0(VALU_DEP_1) | instskip(NEXT) | instid1(VALU_DEP_1)
	v_and_b32_e32 v3, 7, v1
	v_clz_i32_u32_e32 v6, v3
	s_delay_alu instid0(VALU_DEP_1) | instskip(NEXT) | instid1(VALU_DEP_1)
	v_min_u32_e32 v6, 32, v6
	v_subrev_nc_u32_e32 v7, 28, v6
	s_delay_alu instid0(VALU_DEP_1) | instskip(SKIP_1) | instid1(VALU_DEP_2)
	v_lshlrev_b32_e32 v7, v7, v1
	v_bfe_u32 v1, v1, 3, 4
	v_dual_sub_nc_u32 v6, 29, v6 :: v_dual_bitop2_b32 v7, 7, v7 bitop3:0x40
	s_delay_alu instid0(VALU_DEP_2) | instskip(NEXT) | instid1(VALU_DEP_2)
	v_cmp_eq_u32_e32 vcc_lo, 0, v1
	v_dual_cndmask_b32 v1, v1, v6, vcc_lo :: v_dual_cndmask_b32 v3, v3, v7, vcc_lo
	s_delay_alu instid0(VALU_DEP_1) | instskip(NEXT) | instid1(VALU_DEP_1)
	v_lshlrev_b32_e32 v3, 20, v3
	v_lshl_or_b32 v1, v1, 23, v3
	s_delay_alu instid0(VALU_DEP_1)
	v_add_nc_u32_e32 v3, 0x3b800000, v1
.LBB324_187:
	s_or_b32 exec_lo, exec_lo, s17
	s_delay_alu instid0(VALU_DEP_1) | instskip(SKIP_1) | instid1(VALU_DEP_1)
	v_dual_mov_b32 v1, 0xff :: v_dual_lshrrev_b32 v6, 23, v3
	s_mov_b32 s17, exec_lo
	v_cmpx_ne_u32_e32 0xff, v6
; %bb.188:
	v_and_b32_e32 v1, 0x400000, v3
	v_and_or_b32 v3, 0x3fffff, v3, v6
	s_delay_alu instid0(VALU_DEP_2) | instskip(NEXT) | instid1(VALU_DEP_2)
	v_cmp_ne_u32_e32 vcc_lo, 0, v1
	v_cmp_ne_u32_e64 s1, 0, v3
	s_and_b32 s1, vcc_lo, s1
	s_delay_alu instid0(SALU_CYCLE_1) | instskip(NEXT) | instid1(VALU_DEP_1)
	v_cndmask_b32_e64 v1, 0, 1, s1
	v_add_nc_u32_e32 v1, v6, v1
; %bb.189:
	s_or_b32 exec_lo, exec_lo, s17
.LBB324_190:
	s_mov_b32 s1, -1
.LBB324_191:
	s_branch .LBB324_236
.LBB324_192:
	s_cmp_gt_i32 s2, 22
	s_cbranch_scc0 .LBB324_206
; %bb.193:
	s_cmp_lt_i32 s2, 24
	s_cbranch_scc1 .LBB324_209
; %bb.194:
	s_cmp_gt_i32 s2, 24
	s_cbranch_scc0 .LBB324_210
; %bb.195:
	s_wait_loadcnt 0x0
	global_load_u8 v1, v[4:5], off
	s_mov_b32 s1, 0
	s_mov_b32 s17, exec_lo
	s_wait_loadcnt 0x0
	v_cmpx_lt_i16_e32 0x7f, v1
	s_xor_b32 s17, exec_lo, s17
	s_cbranch_execz .LBB324_199
; %bb.196:
	s_mov_b32 s1, -1
	s_mov_b32 s28, exec_lo
	v_cmpx_eq_u16_e32 0x80, v1
; %bb.197:
	s_xor_b32 s1, exec_lo, -1
; %bb.198:
	s_or_b32 exec_lo, exec_lo, s28
	s_delay_alu instid0(SALU_CYCLE_1)
	s_and_b32 s1, s1, exec_lo
.LBB324_199:
	s_or_saveexec_b32 s17, s17
	v_mov_b32_e32 v3, 0x7f800001
	v_and_b32_e32 v6, 0xffff, v1
	s_xor_b32 exec_lo, exec_lo, s17
; %bb.200:
	v_cmp_ne_u16_e32 vcc_lo, 0, v1
	s_delay_alu instid0(VALU_DEP_2) | instskip(SKIP_2) | instid1(SALU_CYCLE_1)
	v_mov_b32_e32 v3, v6
	s_and_not1_b32 s1, s1, exec_lo
	s_and_b32 s28, vcc_lo, exec_lo
	s_or_b32 s1, s1, s28
; %bb.201:
	s_or_b32 exec_lo, exec_lo, s17
	s_and_saveexec_b32 s17, s1
	s_cbranch_execz .LBB324_203
; %bb.202:
	v_and_b32_e32 v1, 3, v6
	s_delay_alu instid0(VALU_DEP_1) | instskip(NEXT) | instid1(VALU_DEP_1)
	v_clz_i32_u32_e32 v3, v1
	v_min_u32_e32 v3, 32, v3
	s_delay_alu instid0(VALU_DEP_1) | instskip(NEXT) | instid1(VALU_DEP_1)
	v_subrev_nc_u32_e32 v7, 29, v3
	v_lshlrev_b32_e32 v7, v7, v6
	v_bfe_u32 v6, v6, 2, 5
	s_delay_alu instid0(VALU_DEP_2) | instskip(NEXT) | instid1(VALU_DEP_2)
	v_and_b32_e32 v7, 3, v7
	v_cmp_eq_u32_e32 vcc_lo, 0, v6
	s_delay_alu instid0(VALU_DEP_2) | instskip(NEXT) | instid1(VALU_DEP_1)
	v_cndmask_b32_e32 v1, v1, v7, vcc_lo
	v_dual_sub_nc_u32 v3, 30, v3 :: v_dual_lshlrev_b32 v1, 21, v1
	s_delay_alu instid0(VALU_DEP_1) | instskip(NEXT) | instid1(VALU_DEP_1)
	v_cndmask_b32_e32 v3, v6, v3, vcc_lo
	v_lshl_or_b32 v1, v3, 23, v1
	s_delay_alu instid0(VALU_DEP_1)
	v_add_nc_u32_e32 v3, 0x37800000, v1
.LBB324_203:
	s_or_b32 exec_lo, exec_lo, s17
	s_delay_alu instid0(VALU_DEP_1) | instskip(SKIP_1) | instid1(VALU_DEP_1)
	v_dual_mov_b32 v1, 0xff :: v_dual_lshrrev_b32 v6, 23, v3
	s_mov_b32 s17, exec_lo
	v_cmpx_ne_u32_e32 0xff, v6
; %bb.204:
	v_and_b32_e32 v1, 0x400000, v3
	v_and_or_b32 v3, 0x3fffff, v3, v6
	s_delay_alu instid0(VALU_DEP_2) | instskip(NEXT) | instid1(VALU_DEP_2)
	v_cmp_ne_u32_e32 vcc_lo, 0, v1
	v_cmp_ne_u32_e64 s1, 0, v3
	s_and_b32 s1, vcc_lo, s1
	s_delay_alu instid0(SALU_CYCLE_1) | instskip(NEXT) | instid1(VALU_DEP_1)
	v_cndmask_b32_e64 v1, 0, 1, s1
	v_add_nc_u32_e32 v1, v6, v1
; %bb.205:
	s_or_b32 exec_lo, exec_lo, s17
	s_mov_b32 s1, 0
	s_branch .LBB324_211
.LBB324_206:
	s_mov_b32 s17, -1
                                        ; implicit-def: $vgpr1
	s_branch .LBB324_221
.LBB324_207:
	s_or_saveexec_b32 s17, s17
	v_mov_b32_e32 v3, 0x7f800001
	s_xor_b32 exec_lo, exec_lo, s17
	s_cbranch_execz .LBB324_185
.LBB324_208:
	v_cmp_ne_u16_e32 vcc_lo, 0, v1
	v_and_b32_e32 v3, 0xffff, v1
	s_and_not1_b32 s1, s1, exec_lo
	s_and_b32 s28, vcc_lo, exec_lo
	s_delay_alu instid0(SALU_CYCLE_1)
	s_or_b32 s1, s1, s28
	s_or_b32 exec_lo, exec_lo, s17
	s_and_saveexec_b32 s17, s1
	s_cbranch_execnz .LBB324_186
	s_branch .LBB324_187
.LBB324_209:
	s_mov_b32 s1, -1
                                        ; implicit-def: $vgpr1
	s_branch .LBB324_216
.LBB324_210:
	s_mov_b32 s1, -1
                                        ; implicit-def: $vgpr1
.LBB324_211:
	s_delay_alu instid0(SALU_CYCLE_1)
	s_and_b32 vcc_lo, exec_lo, s1
	s_cbranch_vccz .LBB324_215
; %bb.212:
	s_wait_loadcnt 0x0
	global_load_u8 v1, v[4:5], off
	s_mov_b32 s17, exec_lo
	s_wait_loadcnt 0x0
	v_lshlrev_b32_e32 v1, 24, v1
	s_delay_alu instid0(VALU_DEP_1) | instskip(NEXT) | instid1(VALU_DEP_1)
	v_and_b32_e32 v1, 0x7f000000, v1
	v_clz_i32_u32_e32 v3, v1
	v_cmp_ne_u32_e32 vcc_lo, 0, v1
	v_add_nc_u32_e32 v7, 0x1000000, v1
	s_delay_alu instid0(VALU_DEP_3) | instskip(NEXT) | instid1(VALU_DEP_1)
	v_min_u32_e32 v3, 32, v3
	v_sub_nc_u32_e64 v3, v3, 4 clamp
	s_delay_alu instid0(VALU_DEP_1) | instskip(NEXT) | instid1(VALU_DEP_1)
	v_dual_mov_b32 v1, 0xff :: v_dual_lshlrev_b32 v6, v3, v1
	v_dual_lshlrev_b32 v3, 23, v3 :: v_dual_lshrrev_b32 v6, 4, v6
	s_delay_alu instid0(VALU_DEP_1) | instskip(SKIP_1) | instid1(VALU_DEP_2)
	v_sub_nc_u32_e32 v3, v6, v3
	v_ashrrev_i32_e32 v6, 8, v7
	v_add_nc_u32_e32 v3, 0x3c000000, v3
	s_delay_alu instid0(VALU_DEP_1) | instskip(NEXT) | instid1(VALU_DEP_1)
	v_and_or_b32 v3, 0x7f800000, v6, v3
	v_cndmask_b32_e32 v6, 0, v3, vcc_lo
	s_delay_alu instid0(VALU_DEP_1) | instskip(NEXT) | instid1(VALU_DEP_1)
	v_lshrrev_b32_e32 v3, 23, v6
	v_cmpx_ne_u32_e32 0xff, v3
; %bb.213:
	v_and_b32_e32 v1, 0x400000, v6
	v_and_or_b32 v6, 0x3fffff, v6, v3
	s_delay_alu instid0(VALU_DEP_2) | instskip(NEXT) | instid1(VALU_DEP_2)
	v_cmp_ne_u32_e32 vcc_lo, 0, v1
	v_cmp_ne_u32_e64 s1, 0, v6
	s_and_b32 s1, vcc_lo, s1
	s_delay_alu instid0(SALU_CYCLE_1) | instskip(NEXT) | instid1(VALU_DEP_1)
	v_cndmask_b32_e64 v1, 0, 1, s1
	v_add_nc_u32_e32 v1, v3, v1
; %bb.214:
	s_or_b32 exec_lo, exec_lo, s17
.LBB324_215:
	s_mov_b32 s1, 0
.LBB324_216:
	s_delay_alu instid0(SALU_CYCLE_1)
	s_and_not1_b32 vcc_lo, exec_lo, s1
	s_cbranch_vccnz .LBB324_220
; %bb.217:
	s_wait_loadcnt 0x0
	global_load_u8 v1, v[4:5], off
	s_mov_b32 s17, exec_lo
	s_wait_loadcnt 0x0
	v_dual_lshlrev_b32 v3, 25, v1 :: v_dual_lshlrev_b32 v1, 8, v1
	s_delay_alu instid0(VALU_DEP_1) | instskip(NEXT) | instid1(VALU_DEP_2)
	v_cmp_gt_u32_e32 vcc_lo, 0x8000000, v3
	v_and_or_b32 v1, 0x7f00, v1, 0.5
	s_delay_alu instid0(VALU_DEP_1) | instskip(NEXT) | instid1(VALU_DEP_1)
	v_dual_add_f32 v1, -0.5, v1 :: v_dual_lshrrev_b32 v6, 4, v3
	v_or_b32_e32 v6, 0x70000000, v6
	s_delay_alu instid0(VALU_DEP_1) | instskip(NEXT) | instid1(VALU_DEP_1)
	v_mul_f32_e32 v6, 0x7800000, v6
	v_cndmask_b32_e32 v3, v6, v1, vcc_lo
	v_mov_b32_e32 v1, 0xff
	s_delay_alu instid0(VALU_DEP_2) | instskip(NEXT) | instid1(VALU_DEP_1)
	v_bfe_u32 v6, v3, 23, 8
	v_cmpx_ne_u32_e32 0xff, v6
	s_cbranch_execz .LBB324_219
; %bb.218:
	v_and_b32_e32 v1, 0x400000, v3
	v_and_or_b32 v6, 0x3fffff, v3, v6
	s_delay_alu instid0(VALU_DEP_2) | instskip(NEXT) | instid1(VALU_DEP_2)
	v_cmp_ne_u32_e32 vcc_lo, 0, v1
	v_cmp_ne_u32_e64 s1, 0, v6
	v_lshrrev_b32_e32 v1, 23, v3
	s_and_b32 s1, vcc_lo, s1
	s_delay_alu instid0(SALU_CYCLE_1) | instskip(NEXT) | instid1(VALU_DEP_1)
	v_cndmask_b32_e64 v3, 0, 1, s1
	v_add_nc_u32_e32 v1, v1, v3
.LBB324_219:
	s_or_b32 exec_lo, exec_lo, s17
.LBB324_220:
	s_mov_b32 s17, 0
	s_mov_b32 s1, -1
.LBB324_221:
	s_and_not1_b32 vcc_lo, exec_lo, s17
	s_cbranch_vccnz .LBB324_236
; %bb.222:
	s_cmp_gt_i32 s2, 14
	s_cbranch_scc0 .LBB324_227
; %bb.223:
	s_cmp_eq_u32 s2, 15
	s_cbranch_scc0 .LBB324_228
; %bb.224:
	global_load_u16 v3, v[4:5], off
	s_wait_loadcnt 0x1
	v_mov_b32_e32 v1, 0xff
	s_mov_b32 s16, exec_lo
	s_wait_loadcnt 0x0
	v_bfe_u32 v6, v3, 7, 8
	s_delay_alu instid0(VALU_DEP_1)
	v_cmpx_ne_u32_e32 0xff, v6
	s_cbranch_execz .LBB324_226
; %bb.225:
	v_dual_lshlrev_b32 v1, 16, v3 :: v_dual_bitop2_b32 v7, 64, v3 bitop3:0x40
	s_delay_alu instid0(VALU_DEP_1) | instskip(NEXT) | instid1(VALU_DEP_2)
	v_and_or_b32 v1, 0x3f0000, v1, v6
	v_cmp_ne_u32_e32 vcc_lo, 0, v7
	s_delay_alu instid0(VALU_DEP_2) | instskip(SKIP_2) | instid1(SALU_CYCLE_1)
	v_cmp_ne_u32_e64 s1, 0, v1
	v_lshrrev_b32_e32 v1, 7, v3
	s_and_b32 s1, vcc_lo, s1
	v_cndmask_b32_e64 v3, 0, 1, s1
	s_delay_alu instid0(VALU_DEP_1)
	v_add_nc_u32_e32 v1, v1, v3
.LBB324_226:
	s_or_b32 exec_lo, exec_lo, s16
	s_mov_b32 s1, -1
	s_mov_b32 s16, 0
	s_branch .LBB324_229
.LBB324_227:
	s_mov_b32 s17, -1
                                        ; implicit-def: $vgpr1
	s_branch .LBB324_230
.LBB324_228:
	s_mov_b32 s16, -1
                                        ; implicit-def: $vgpr1
.LBB324_229:
	s_mov_b32 s17, 0
.LBB324_230:
	s_delay_alu instid0(SALU_CYCLE_1)
	s_and_b32 vcc_lo, exec_lo, s17
	s_cbranch_vccz .LBB324_236
; %bb.231:
	s_cmp_eq_u32 s2, 11
	s_cbranch_scc0 .LBB324_235
; %bb.232:
	s_wait_loadcnt 0x0
	global_load_u8 v1, v[4:5], off
	s_mov_b32 s16, 0
	s_mov_b32 s17, exec_lo
	s_wait_loadcnt 0x0
	v_cmp_ne_u16_e32 vcc_lo, 0, v1
	v_mov_b32_e32 v1, 0xff
	v_cndmask_b32_e64 v6, 0, 1.0, vcc_lo
	s_delay_alu instid0(VALU_DEP_1) | instskip(NEXT) | instid1(VALU_DEP_1)
	v_lshrrev_b32_e32 v3, 23, v6
	v_cmpx_ne_u32_e32 0xff, v3
; %bb.233:
	v_and_b32_e32 v1, 0x400000, v6
	v_and_or_b32 v6, 0x3fffff, v6, v3
	s_delay_alu instid0(VALU_DEP_2) | instskip(NEXT) | instid1(VALU_DEP_2)
	v_cmp_ne_u32_e32 vcc_lo, 0, v1
	v_cmp_ne_u32_e64 s1, 0, v6
	s_and_b32 s1, vcc_lo, s1
	s_delay_alu instid0(SALU_CYCLE_1) | instskip(NEXT) | instid1(VALU_DEP_1)
	v_cndmask_b32_e64 v1, 0, 1, s1
	v_add_nc_u32_e32 v1, v3, v1
; %bb.234:
	s_or_b32 exec_lo, exec_lo, s17
	s_mov_b32 s1, -1
	s_branch .LBB324_236
.LBB324_235:
	s_mov_b32 s16, -1
                                        ; implicit-def: $vgpr1
.LBB324_236:
	s_branch .LBB324_27
.LBB324_237:
	s_cmp_lt_i32 s2, 5
	s_cbranch_scc1 .LBB324_244
; %bb.238:
	s_cmp_lt_i32 s2, 8
	s_cbranch_scc1 .LBB324_245
; %bb.239:
	;; [unrolled: 3-line block ×3, first 2 shown]
	s_cmp_gt_i32 s2, 9
	s_cbranch_scc0 .LBB324_247
; %bb.241:
	global_load_b64 v[6:7], v[4:5], off
	s_wait_loadcnt 0x1
	v_mov_b32_e32 v1, 0xff
	s_mov_b32 s17, exec_lo
	s_wait_loadcnt 0x0
	v_cvt_f32_f64_e32 v3, v[6:7]
	s_delay_alu instid0(VALU_DEP_1) | instskip(NEXT) | instid1(VALU_DEP_1)
	v_bfe_u32 v6, v3, 23, 8
	v_cmpx_ne_u32_e32 0xff, v6
	s_cbranch_execz .LBB324_243
; %bb.242:
	v_and_b32_e32 v1, 0x400000, v3
	v_and_or_b32 v6, 0x3fffff, v3, v6
	s_delay_alu instid0(VALU_DEP_2) | instskip(NEXT) | instid1(VALU_DEP_2)
	v_cmp_ne_u32_e32 vcc_lo, 0, v1
	v_cmp_ne_u32_e64 s1, 0, v6
	v_lshrrev_b32_e32 v1, 23, v3
	s_and_b32 s1, vcc_lo, s1
	s_delay_alu instid0(SALU_CYCLE_1) | instskip(NEXT) | instid1(VALU_DEP_1)
	v_cndmask_b32_e64 v3, 0, 1, s1
	v_add_nc_u32_e32 v1, v1, v3
.LBB324_243:
	s_or_b32 exec_lo, exec_lo, s17
	s_mov_b32 s1, 0
	s_branch .LBB324_248
.LBB324_244:
                                        ; implicit-def: $vgpr1
	s_branch .LBB324_276
.LBB324_245:
	s_mov_b32 s1, -1
                                        ; implicit-def: $vgpr1
	s_branch .LBB324_258
.LBB324_246:
	s_mov_b32 s1, -1
                                        ; implicit-def: $vgpr1
	s_branch .LBB324_253
.LBB324_247:
	s_mov_b32 s1, -1
                                        ; implicit-def: $vgpr1
.LBB324_248:
	s_delay_alu instid0(SALU_CYCLE_1)
	s_and_not1_b32 vcc_lo, exec_lo, s1
	s_cbranch_vccnz .LBB324_252
; %bb.249:
	global_load_b32 v3, v[4:5], off
	s_wait_loadcnt 0x1
	v_mov_b32_e32 v1, 0xff
	s_mov_b32 s17, exec_lo
	s_wait_loadcnt 0x0
	v_bfe_u32 v6, v3, 23, 8
	s_delay_alu instid0(VALU_DEP_1)
	v_cmpx_ne_u32_e32 0xff, v6
	s_cbranch_execz .LBB324_251
; %bb.250:
	v_and_b32_e32 v1, 0x400000, v3
	v_and_or_b32 v6, 0x3fffff, v3, v6
	s_delay_alu instid0(VALU_DEP_2) | instskip(NEXT) | instid1(VALU_DEP_2)
	v_cmp_ne_u32_e32 vcc_lo, 0, v1
	v_cmp_ne_u32_e64 s1, 0, v6
	v_lshrrev_b32_e32 v1, 23, v3
	s_and_b32 s1, vcc_lo, s1
	s_delay_alu instid0(SALU_CYCLE_1) | instskip(NEXT) | instid1(VALU_DEP_1)
	v_cndmask_b32_e64 v3, 0, 1, s1
	v_add_nc_u32_e32 v1, v1, v3
.LBB324_251:
	s_or_b32 exec_lo, exec_lo, s17
.LBB324_252:
	s_mov_b32 s1, 0
.LBB324_253:
	s_delay_alu instid0(SALU_CYCLE_1)
	s_and_not1_b32 vcc_lo, exec_lo, s1
	s_cbranch_vccnz .LBB324_257
; %bb.254:
	s_wait_loadcnt 0x0
	global_load_b32 v1, v[4:5], off
	s_mov_b32 s17, exec_lo
	s_wait_loadcnt 0x0
	v_cvt_f32_f16_e32 v3, v1
	v_mov_b32_e32 v1, 0xff
	s_delay_alu instid0(VALU_DEP_2) | instskip(NEXT) | instid1(VALU_DEP_1)
	v_bfe_u32 v6, v3, 23, 8
	v_cmpx_ne_u32_e32 0xff, v6
	s_cbranch_execz .LBB324_256
; %bb.255:
	v_and_b32_e32 v1, 0x400000, v3
	v_and_or_b32 v6, 0x3fffff, v3, v6
	s_delay_alu instid0(VALU_DEP_2) | instskip(NEXT) | instid1(VALU_DEP_2)
	v_cmp_ne_u32_e32 vcc_lo, 0, v1
	v_cmp_ne_u32_e64 s1, 0, v6
	v_lshrrev_b32_e32 v1, 23, v3
	s_and_b32 s1, vcc_lo, s1
	s_delay_alu instid0(SALU_CYCLE_1) | instskip(NEXT) | instid1(VALU_DEP_1)
	v_cndmask_b32_e64 v3, 0, 1, s1
	v_add_nc_u32_e32 v1, v1, v3
.LBB324_256:
	s_or_b32 exec_lo, exec_lo, s17
.LBB324_257:
	s_mov_b32 s1, 0
.LBB324_258:
	s_delay_alu instid0(SALU_CYCLE_1)
	s_and_not1_b32 vcc_lo, exec_lo, s1
	s_cbranch_vccnz .LBB324_275
; %bb.259:
	s_cmp_lt_i32 s2, 6
	s_cbranch_scc1 .LBB324_264
; %bb.260:
	s_cmp_gt_i32 s2, 6
	s_cbranch_scc0 .LBB324_265
; %bb.261:
	global_load_b64 v[6:7], v[4:5], off
	s_wait_loadcnt 0x1
	v_mov_b32_e32 v1, 0xff
	s_mov_b32 s17, exec_lo
	s_wait_loadcnt 0x0
	v_cvt_f32_f64_e32 v3, v[6:7]
	s_delay_alu instid0(VALU_DEP_1) | instskip(NEXT) | instid1(VALU_DEP_1)
	v_bfe_u32 v6, v3, 23, 8
	v_cmpx_ne_u32_e32 0xff, v6
	s_cbranch_execz .LBB324_263
; %bb.262:
	v_and_b32_e32 v1, 0x400000, v3
	v_and_or_b32 v6, 0x3fffff, v3, v6
	s_delay_alu instid0(VALU_DEP_2) | instskip(NEXT) | instid1(VALU_DEP_2)
	v_cmp_ne_u32_e32 vcc_lo, 0, v1
	v_cmp_ne_u32_e64 s1, 0, v6
	v_lshrrev_b32_e32 v1, 23, v3
	s_and_b32 s1, vcc_lo, s1
	s_delay_alu instid0(SALU_CYCLE_1) | instskip(NEXT) | instid1(VALU_DEP_1)
	v_cndmask_b32_e64 v3, 0, 1, s1
	v_add_nc_u32_e32 v1, v1, v3
.LBB324_263:
	s_or_b32 exec_lo, exec_lo, s17
	s_mov_b32 s1, 0
	s_branch .LBB324_266
.LBB324_264:
	s_mov_b32 s1, -1
                                        ; implicit-def: $vgpr1
	s_branch .LBB324_271
.LBB324_265:
	s_mov_b32 s1, -1
                                        ; implicit-def: $vgpr1
.LBB324_266:
	s_delay_alu instid0(SALU_CYCLE_1)
	s_and_not1_b32 vcc_lo, exec_lo, s1
	s_cbranch_vccnz .LBB324_270
; %bb.267:
	global_load_b32 v3, v[4:5], off
	s_wait_loadcnt 0x1
	v_mov_b32_e32 v1, 0xff
	s_mov_b32 s17, exec_lo
	s_wait_loadcnt 0x0
	v_bfe_u32 v6, v3, 23, 8
	s_delay_alu instid0(VALU_DEP_1)
	v_cmpx_ne_u32_e32 0xff, v6
	s_cbranch_execz .LBB324_269
; %bb.268:
	v_and_b32_e32 v1, 0x400000, v3
	v_and_or_b32 v6, 0x3fffff, v3, v6
	s_delay_alu instid0(VALU_DEP_2) | instskip(NEXT) | instid1(VALU_DEP_2)
	v_cmp_ne_u32_e32 vcc_lo, 0, v1
	v_cmp_ne_u32_e64 s1, 0, v6
	v_lshrrev_b32_e32 v1, 23, v3
	s_and_b32 s1, vcc_lo, s1
	s_delay_alu instid0(SALU_CYCLE_1) | instskip(NEXT) | instid1(VALU_DEP_1)
	v_cndmask_b32_e64 v3, 0, 1, s1
	v_add_nc_u32_e32 v1, v1, v3
.LBB324_269:
	s_or_b32 exec_lo, exec_lo, s17
.LBB324_270:
	s_mov_b32 s1, 0
.LBB324_271:
	s_delay_alu instid0(SALU_CYCLE_1)
	s_and_not1_b32 vcc_lo, exec_lo, s1
	s_cbranch_vccnz .LBB324_275
; %bb.272:
	s_wait_loadcnt 0x0
	global_load_u16 v1, v[4:5], off
	s_mov_b32 s17, exec_lo
	s_wait_loadcnt 0x0
	v_cvt_f32_f16_e32 v3, v1
	v_mov_b32_e32 v1, 0xff
	s_delay_alu instid0(VALU_DEP_2) | instskip(NEXT) | instid1(VALU_DEP_1)
	v_bfe_u32 v6, v3, 23, 8
	v_cmpx_ne_u32_e32 0xff, v6
	s_cbranch_execz .LBB324_274
; %bb.273:
	v_and_b32_e32 v1, 0x400000, v3
	v_and_or_b32 v6, 0x3fffff, v3, v6
	s_delay_alu instid0(VALU_DEP_2) | instskip(NEXT) | instid1(VALU_DEP_2)
	v_cmp_ne_u32_e32 vcc_lo, 0, v1
	v_cmp_ne_u32_e64 s1, 0, v6
	v_lshrrev_b32_e32 v1, 23, v3
	s_and_b32 s1, vcc_lo, s1
	s_delay_alu instid0(SALU_CYCLE_1) | instskip(NEXT) | instid1(VALU_DEP_1)
	v_cndmask_b32_e64 v3, 0, 1, s1
	v_add_nc_u32_e32 v1, v1, v3
.LBB324_274:
	s_or_b32 exec_lo, exec_lo, s17
.LBB324_275:
	s_cbranch_execnz .LBB324_305
.LBB324_276:
	s_cmp_lt_i32 s2, 2
	s_cbranch_scc1 .LBB324_282
; %bb.277:
	s_cmp_lt_i32 s2, 3
	s_cbranch_scc1 .LBB324_283
; %bb.278:
	s_cmp_gt_i32 s2, 3
	s_cbranch_scc0 .LBB324_284
; %bb.279:
	global_load_b64 v[6:7], v[4:5], off
	s_mov_b32 s17, exec_lo
	s_wait_loadcnt 0x0
	v_xor_b32_e32 v1, v6, v7
	v_cls_i32_e32 v3, v7
	s_delay_alu instid0(VALU_DEP_2) | instskip(NEXT) | instid1(VALU_DEP_1)
	v_ashrrev_i32_e32 v1, 31, v1
	v_add_nc_u32_e32 v1, 32, v1
	s_delay_alu instid0(VALU_DEP_1) | instskip(NEXT) | instid1(VALU_DEP_1)
	v_add_min_u32_e64 v1, v3, -1, v1
	v_lshlrev_b64_e32 v[6:7], v1, v[6:7]
	v_sub_nc_u32_e32 v1, 32, v1
	s_delay_alu instid0(VALU_DEP_2) | instskip(NEXT) | instid1(VALU_DEP_1)
	v_min_u32_e32 v3, 1, v6
	v_or_b32_e32 v3, v7, v3
	s_delay_alu instid0(VALU_DEP_1) | instskip(NEXT) | instid1(VALU_DEP_1)
	v_cvt_f32_i32_e32 v3, v3
	v_ldexp_f32 v3, v3, v1
	v_mov_b32_e32 v1, 0xff
	s_delay_alu instid0(VALU_DEP_2) | instskip(NEXT) | instid1(VALU_DEP_1)
	v_bfe_u32 v6, v3, 23, 8
	v_cmpx_ne_u32_e32 0xff, v6
	s_cbranch_execz .LBB324_281
; %bb.280:
	v_and_b32_e32 v1, 0x400000, v3
	v_and_or_b32 v6, 0x3fffff, v3, v6
	s_delay_alu instid0(VALU_DEP_2) | instskip(NEXT) | instid1(VALU_DEP_2)
	v_cmp_ne_u32_e32 vcc_lo, 0, v1
	v_cmp_ne_u32_e64 s1, 0, v6
	v_lshrrev_b32_e32 v1, 23, v3
	s_and_b32 s1, vcc_lo, s1
	s_delay_alu instid0(SALU_CYCLE_1) | instskip(NEXT) | instid1(VALU_DEP_1)
	v_cndmask_b32_e64 v3, 0, 1, s1
	v_add_nc_u32_e32 v1, v1, v3
.LBB324_281:
	s_or_b32 exec_lo, exec_lo, s17
	s_mov_b32 s1, 0
	s_branch .LBB324_285
.LBB324_282:
	s_mov_b32 s1, -1
                                        ; implicit-def: $vgpr1
	s_branch .LBB324_295
.LBB324_283:
	s_mov_b32 s1, -1
                                        ; implicit-def: $vgpr1
	s_branch .LBB324_290
.LBB324_284:
	s_mov_b32 s1, -1
                                        ; implicit-def: $vgpr1
.LBB324_285:
	s_delay_alu instid0(SALU_CYCLE_1)
	s_and_not1_b32 vcc_lo, exec_lo, s1
	s_cbranch_vccnz .LBB324_289
; %bb.286:
	s_wait_loadcnt 0x0
	global_load_b32 v1, v[4:5], off
	s_mov_b32 s17, exec_lo
	s_wait_loadcnt 0x0
	v_cvt_f32_i32_e32 v3, v1
	v_mov_b32_e32 v1, 0xff
	s_delay_alu instid0(VALU_DEP_2) | instskip(NEXT) | instid1(VALU_DEP_1)
	v_bfe_u32 v6, v3, 23, 8
	v_cmpx_ne_u32_e32 0xff, v6
	s_cbranch_execz .LBB324_288
; %bb.287:
	v_and_b32_e32 v1, 0x400000, v3
	v_and_or_b32 v6, 0x3fffff, v3, v6
	s_delay_alu instid0(VALU_DEP_2) | instskip(NEXT) | instid1(VALU_DEP_2)
	v_cmp_ne_u32_e32 vcc_lo, 0, v1
	v_cmp_ne_u32_e64 s1, 0, v6
	v_lshrrev_b32_e32 v1, 23, v3
	s_and_b32 s1, vcc_lo, s1
	s_delay_alu instid0(SALU_CYCLE_1) | instskip(NEXT) | instid1(VALU_DEP_1)
	v_cndmask_b32_e64 v3, 0, 1, s1
	v_add_nc_u32_e32 v1, v1, v3
.LBB324_288:
	s_or_b32 exec_lo, exec_lo, s17
.LBB324_289:
	s_mov_b32 s1, 0
.LBB324_290:
	s_delay_alu instid0(SALU_CYCLE_1)
	s_and_not1_b32 vcc_lo, exec_lo, s1
	s_cbranch_vccnz .LBB324_294
; %bb.291:
	s_wait_loadcnt 0x0
	global_load_i16 v1, v[4:5], off
	s_mov_b32 s17, exec_lo
	s_wait_loadcnt 0x0
	v_cvt_f32_i32_e32 v3, v1
	v_mov_b32_e32 v1, 0xff
	s_delay_alu instid0(VALU_DEP_2) | instskip(NEXT) | instid1(VALU_DEP_1)
	v_bfe_u32 v6, v3, 23, 8
	v_cmpx_ne_u32_e32 0xff, v6
	s_cbranch_execz .LBB324_293
; %bb.292:
	v_and_b32_e32 v1, 0x400000, v3
	v_and_or_b32 v6, 0x3fffff, v3, v6
	s_delay_alu instid0(VALU_DEP_2) | instskip(NEXT) | instid1(VALU_DEP_2)
	v_cmp_ne_u32_e32 vcc_lo, 0, v1
	v_cmp_ne_u32_e64 s1, 0, v6
	v_lshrrev_b32_e32 v1, 23, v3
	s_and_b32 s1, vcc_lo, s1
	s_delay_alu instid0(SALU_CYCLE_1) | instskip(NEXT) | instid1(VALU_DEP_1)
	v_cndmask_b32_e64 v3, 0, 1, s1
	v_add_nc_u32_e32 v1, v1, v3
.LBB324_293:
	s_or_b32 exec_lo, exec_lo, s17
.LBB324_294:
	s_mov_b32 s1, 0
.LBB324_295:
	s_delay_alu instid0(SALU_CYCLE_1)
	s_and_not1_b32 vcc_lo, exec_lo, s1
	s_cbranch_vccnz .LBB324_305
; %bb.296:
	s_cmp_gt_i32 s2, 0
	s_cbranch_scc0 .LBB324_300
; %bb.297:
	s_wait_loadcnt 0x0
	global_load_i8 v1, v[4:5], off
	s_mov_b32 s2, exec_lo
	s_wait_loadcnt 0x0
	v_cvt_f32_i32_e32 v3, v1
	v_mov_b32_e32 v1, 0xff
	s_delay_alu instid0(VALU_DEP_2) | instskip(NEXT) | instid1(VALU_DEP_1)
	v_bfe_u32 v6, v3, 23, 8
	v_cmpx_ne_u32_e32 0xff, v6
	s_cbranch_execz .LBB324_299
; %bb.298:
	v_and_b32_e32 v1, 0x400000, v3
	v_and_or_b32 v6, 0x3fffff, v3, v6
	s_delay_alu instid0(VALU_DEP_2) | instskip(NEXT) | instid1(VALU_DEP_2)
	v_cmp_ne_u32_e32 vcc_lo, 0, v1
	v_cmp_ne_u32_e64 s1, 0, v6
	v_lshrrev_b32_e32 v1, 23, v3
	s_and_b32 s1, vcc_lo, s1
	s_delay_alu instid0(SALU_CYCLE_1) | instskip(NEXT) | instid1(VALU_DEP_1)
	v_cndmask_b32_e64 v3, 0, 1, s1
	v_add_nc_u32_e32 v1, v1, v3
.LBB324_299:
	s_or_b32 exec_lo, exec_lo, s2
	s_mov_b32 s1, 0
	s_branch .LBB324_301
.LBB324_300:
	s_mov_b32 s1, -1
                                        ; implicit-def: $vgpr1
.LBB324_301:
	s_delay_alu instid0(SALU_CYCLE_1)
	s_and_not1_b32 vcc_lo, exec_lo, s1
	s_cbranch_vccnz .LBB324_305
; %bb.302:
	s_wait_loadcnt 0x0
	global_load_u8 v1, v[4:5], off
	s_mov_b32 s2, exec_lo
	s_wait_loadcnt 0x0
	v_cvt_f32_ubyte0_e32 v4, v1
	v_mov_b32_e32 v1, 0xff
	s_delay_alu instid0(VALU_DEP_2) | instskip(NEXT) | instid1(VALU_DEP_1)
	v_lshrrev_b32_e32 v3, 23, v4
	v_cmpx_ne_u32_e32 0xff, v3
; %bb.303:
	v_and_b32_e32 v1, 0x400000, v4
	v_and_or_b32 v4, 0x3fffff, v4, v3
	s_delay_alu instid0(VALU_DEP_2) | instskip(NEXT) | instid1(VALU_DEP_2)
	v_cmp_ne_u32_e32 vcc_lo, 0, v1
	v_cmp_ne_u32_e64 s1, 0, v4
	s_and_b32 s1, vcc_lo, s1
	s_delay_alu instid0(SALU_CYCLE_1) | instskip(NEXT) | instid1(VALU_DEP_1)
	v_cndmask_b32_e64 v1, 0, 1, s1
	v_add_nc_u32_e32 v1, v3, v1
; %bb.304:
	s_or_b32 exec_lo, exec_lo, s2
.LBB324_305:
	s_branch .LBB324_28
.LBB324_306:
	s_mov_b32 s2, 0
.LBB324_307:
	s_mov_b32 s1, 0
                                        ; implicit-def: $vgpr0
.LBB324_308:
	s_and_b32 s42, s2, exec_lo
	s_and_b32 s43, s16, exec_lo
	s_or_not1_b32 s28, s1, exec_lo
.LBB324_309:
	s_wait_xcnt 0x0
	s_or_b32 exec_lo, exec_lo, s44
	s_mov_b32 s17, 0
	s_mov_b32 s16, 0
                                        ; implicit-def: $vgpr4_vgpr5
                                        ; implicit-def: $vgpr2
                                        ; implicit-def: $vgpr3
	s_and_saveexec_b32 s44, s28
	s_cbranch_execz .LBB324_317
; %bb.310:
	s_mov_b32 s2, -1
	s_mov_b32 s45, s43
	s_mov_b32 s46, s42
	s_mov_b32 s47, exec_lo
	v_cmpx_gt_i32_e64 s39, v0
	s_cbranch_execz .LBB324_631
; %bb.311:
	s_and_not1_b32 vcc_lo, exec_lo, s35
	s_cbranch_vccnz .LBB324_322
; %bb.312:
	s_and_not1_b32 vcc_lo, exec_lo, s41
	s_cbranch_vccnz .LBB324_323
; %bb.313:
	s_add_co_i32 s1, s40, 1
	s_cmp_eq_u32 s33, 2
	s_cbranch_scc1 .LBB324_324
; %bb.314:
	v_dual_mov_b32 v2, 0 :: v_dual_mov_b32 v4, 0
	s_wait_loadcnt 0x0
	v_mov_b32_e32 v1, v0
	s_and_b32 s16, s1, 28
	s_mov_b32 s2, 0
	s_mov_b64 s[28:29], s[20:21]
	s_mov_b64 s[30:31], s[26:27]
.LBB324_315:                            ; =>This Inner Loop Header: Depth=1
	s_clause 0x1
	s_load_b256 s[48:55], s[28:29], 0x4
	s_load_b128 s[64:67], s[28:29], 0x24
	s_load_b256 s[56:63], s[30:31], 0x0
	s_add_co_i32 s2, s2, 4
	s_wait_xcnt 0x0
	s_add_nc_u64 s[28:29], s[28:29], 48
	s_cmp_eq_u32 s16, s2
	s_add_nc_u64 s[30:31], s[30:31], 32
	s_wait_kmcnt 0x0
	v_mul_hi_u32 v3, s49, v1
	s_delay_alu instid0(VALU_DEP_1) | instskip(NEXT) | instid1(VALU_DEP_1)
	v_add_nc_u32_e32 v3, v1, v3
	v_lshrrev_b32_e32 v3, s50, v3
	s_delay_alu instid0(VALU_DEP_1) | instskip(NEXT) | instid1(VALU_DEP_1)
	v_mul_hi_u32 v5, s52, v3
	v_add_nc_u32_e32 v5, v3, v5
	s_delay_alu instid0(VALU_DEP_1) | instskip(NEXT) | instid1(VALU_DEP_1)
	v_lshrrev_b32_e32 v5, s53, v5
	v_mul_hi_u32 v6, s55, v5
	s_delay_alu instid0(VALU_DEP_1) | instskip(SKIP_1) | instid1(VALU_DEP_1)
	v_add_nc_u32_e32 v6, v5, v6
	v_mul_lo_u32 v7, v3, s48
	v_sub_nc_u32_e32 v1, v1, v7
	v_mul_lo_u32 v7, v5, s51
	s_delay_alu instid0(VALU_DEP_4) | instskip(NEXT) | instid1(VALU_DEP_3)
	v_lshrrev_b32_e32 v6, s64, v6
	v_mad_u32 v4, v1, s57, v4
	v_mad_u32 v1, v1, s56, v2
	s_delay_alu instid0(VALU_DEP_4) | instskip(NEXT) | instid1(VALU_DEP_4)
	v_sub_nc_u32_e32 v2, v3, v7
	v_mul_hi_u32 v8, s66, v6
	v_mul_lo_u32 v3, v6, s54
	s_delay_alu instid0(VALU_DEP_3) | instskip(SKIP_1) | instid1(VALU_DEP_3)
	v_mad_u32 v4, v2, s59, v4
	v_mad_u32 v2, v2, s58, v1
	v_dual_add_nc_u32 v7, v6, v8 :: v_dual_sub_nc_u32 v3, v5, v3
	s_delay_alu instid0(VALU_DEP_1) | instskip(NEXT) | instid1(VALU_DEP_2)
	v_lshrrev_b32_e32 v1, s67, v7
	v_mad_u32 v4, v3, s61, v4
	s_delay_alu instid0(VALU_DEP_4) | instskip(NEXT) | instid1(VALU_DEP_3)
	v_mad_u32 v2, v3, s60, v2
	v_mul_lo_u32 v5, v1, s65
	s_delay_alu instid0(VALU_DEP_1) | instskip(NEXT) | instid1(VALU_DEP_1)
	v_sub_nc_u32_e32 v3, v6, v5
	v_mad_u32 v4, v3, s63, v4
	s_delay_alu instid0(VALU_DEP_4)
	v_mad_u32 v2, v3, s62, v2
	s_cbranch_scc0 .LBB324_315
; %bb.316:
	s_delay_alu instid0(VALU_DEP_2)
	v_mov_b32_e32 v3, v4
	s_branch .LBB324_325
.LBB324_317:
	s_or_b32 exec_lo, exec_lo, s44
	s_mov_b32 s2, 0
	s_and_saveexec_b32 s1, s43
	s_cbranch_execnz .LBB324_1072
.LBB324_318:
	s_or_b32 exec_lo, exec_lo, s1
	s_and_saveexec_b32 s1, s23
	s_delay_alu instid0(SALU_CYCLE_1)
	s_xor_b32 s3, exec_lo, s1
	s_cbranch_execz .LBB324_1073
.LBB324_319:
	global_load_u8 v0, v[4:5], off
	s_mov_b32 s6, exec_lo
	s_wait_loadcnt 0x1
	v_mov_b32_e32 v3, 0xff
	s_wait_loadcnt 0x0
	v_cmp_ne_u16_e32 vcc_lo, 0, v0
	v_cndmask_b32_e64 v1, 0, 1.0, vcc_lo
	s_delay_alu instid0(VALU_DEP_1) | instskip(SKIP_1) | instid1(VALU_DEP_1)
	v_lshrrev_b32_e32 v0, 23, v1
	s_wait_xcnt 0x0
	v_cmpx_ne_u32_e32 0xff, v0
; %bb.320:
	v_and_b32_e32 v3, 0x400000, v1
	v_and_or_b32 v1, 0x3fffff, v1, v0
	s_delay_alu instid0(VALU_DEP_2) | instskip(NEXT) | instid1(VALU_DEP_2)
	v_cmp_ne_u32_e32 vcc_lo, 0, v3
	v_cmp_ne_u32_e64 s1, 0, v1
	s_and_b32 s1, vcc_lo, s1
	s_delay_alu instid0(SALU_CYCLE_1) | instskip(NEXT) | instid1(VALU_DEP_1)
	v_cndmask_b32_e64 v1, 0, 1, s1
	v_add_nc_u32_e32 v3, v0, v1
; %bb.321:
	s_or_b32 exec_lo, exec_lo, s6
	s_delay_alu instid0(SALU_CYCLE_1)
	s_or_b32 s16, s16, exec_lo
	s_or_b32 exec_lo, exec_lo, s3
	s_and_saveexec_b32 s3, s17
	s_cbranch_execz .LBB324_1141
	s_branch .LBB324_1074
.LBB324_322:
                                        ; implicit-def: $vgpr4
                                        ; implicit-def: $vgpr2
	s_branch .LBB324_330
.LBB324_323:
	v_dual_mov_b32 v4, 0 :: v_dual_mov_b32 v2, 0
	s_branch .LBB324_329
.LBB324_324:
	v_mov_b64_e32 v[2:3], 0
	s_wait_loadcnt 0x0
	v_mov_b32_e32 v1, v0
                                        ; implicit-def: $vgpr4
.LBB324_325:
	s_and_b32 s1, s1, 3
	s_mov_b32 s17, 0
	s_cmp_eq_u32 s1, 0
	s_cbranch_scc1 .LBB324_329
; %bb.326:
	s_lshl_b32 s28, s16, 3
	s_mov_b32 s29, s17
	s_mul_u64 s[30:31], s[16:17], 12
	s_add_nc_u64 s[28:29], s[20:21], s[28:29]
	s_delay_alu instid0(SALU_CYCLE_1)
	s_add_nc_u64 s[16:17], s[28:29], 0xc4
	s_add_nc_u64 s[28:29], s[20:21], s[30:31]
.LBB324_327:                            ; =>This Inner Loop Header: Depth=1
	s_load_b96 s[48:50], s[28:29], 0x4
	s_load_b64 s[30:31], s[16:17], 0x0
	s_add_co_i32 s1, s1, -1
	s_wait_xcnt 0x0
	s_add_nc_u64 s[28:29], s[28:29], 12
	s_cmp_lg_u32 s1, 0
	s_add_nc_u64 s[16:17], s[16:17], 8
	s_wait_kmcnt 0x0
	v_mul_hi_u32 v4, s49, v1
	s_delay_alu instid0(VALU_DEP_1) | instskip(NEXT) | instid1(VALU_DEP_1)
	v_add_nc_u32_e32 v4, v1, v4
	v_lshrrev_b32_e32 v4, s50, v4
	s_delay_alu instid0(VALU_DEP_1) | instskip(NEXT) | instid1(VALU_DEP_1)
	v_mul_lo_u32 v5, v4, s48
	v_sub_nc_u32_e32 v1, v1, v5
	s_delay_alu instid0(VALU_DEP_1)
	v_mad_u32 v3, v1, s31, v3
	v_mad_u32 v2, v1, s30, v2
	v_mov_b32_e32 v1, v4
	s_cbranch_scc1 .LBB324_327
; %bb.328:
	s_delay_alu instid0(VALU_DEP_3)
	v_mov_b32_e32 v4, v3
.LBB324_329:
	s_cbranch_execnz .LBB324_332
.LBB324_330:
	s_wait_loadcnt 0x0
	v_mov_b32_e32 v1, 0
	s_and_not1_b32 vcc_lo, exec_lo, s38
	s_delay_alu instid0(VALU_DEP_1) | instskip(NEXT) | instid1(VALU_DEP_1)
	v_mul_u64_e32 v[2:3], s[22:23], v[0:1]
	v_add_nc_u32_e32 v2, v0, v3
	s_delay_alu instid0(VALU_DEP_1) | instskip(NEXT) | instid1(VALU_DEP_1)
	v_lshrrev_b32_e32 v6, s10, v2
	v_mul_lo_u32 v2, v6, s8
	s_delay_alu instid0(VALU_DEP_1) | instskip(NEXT) | instid1(VALU_DEP_1)
	v_sub_nc_u32_e32 v2, v0, v2
	v_mul_lo_u32 v4, v2, s13
	v_mul_lo_u32 v2, v2, s12
	s_cbranch_vccnz .LBB324_332
; %bb.331:
	v_mov_b32_e32 v7, v1
	s_delay_alu instid0(VALU_DEP_1) | instskip(NEXT) | instid1(VALU_DEP_1)
	v_mul_u64_e32 v[8:9], s[24:25], v[6:7]
	v_add_nc_u32_e32 v1, v6, v9
	s_delay_alu instid0(VALU_DEP_1) | instskip(NEXT) | instid1(VALU_DEP_1)
	v_lshrrev_b32_e32 v1, s3, v1
	v_mul_lo_u32 v1, v1, s11
	s_delay_alu instid0(VALU_DEP_1) | instskip(NEXT) | instid1(VALU_DEP_1)
	v_sub_nc_u32_e32 v1, v6, v1
	v_mad_u32 v2, v1, s14, v2
	v_mad_u32 v4, v1, s15, v4
.LBB324_332:
	v_mov_b32_e32 v5, 0
	s_and_b32 s2, 0xffff, s37
	s_delay_alu instid0(SALU_CYCLE_1) | instskip(NEXT) | instid1(VALU_DEP_1)
	s_cmp_lt_i32 s2, 11
	v_add_nc_u64_e32 v[4:5], s[6:7], v[4:5]
	s_cbranch_scc1 .LBB324_341
; %bb.333:
	s_cmp_gt_i32 s2, 25
	s_cbranch_scc0 .LBB324_390
; %bb.334:
	s_cmp_gt_i32 s2, 28
	s_cbranch_scc0 .LBB324_391
; %bb.335:
	s_cmp_gt_i32 s2, 43
	s_cbranch_scc0 .LBB324_393
; %bb.336:
	s_cmp_gt_i32 s2, 45
	s_cbranch_scc0 .LBB324_397
; %bb.337:
	s_cmp_eq_u32 s2, 46
	s_mov_b32 s17, 0
	s_cbranch_scc0 .LBB324_401
; %bb.338:
	global_load_b32 v3, v[4:5], off
	s_mov_b32 s16, exec_lo
	s_wait_loadcnt 0x0
	v_dual_mov_b32 v1, 0xff :: v_dual_lshlrev_b32 v6, 16, v3
	s_delay_alu instid0(VALU_DEP_1) | instskip(SKIP_1) | instid1(VALU_DEP_1)
	v_bfe_u32 v7, v6, 23, 8
	s_wait_xcnt 0x0
	v_cmpx_ne_u32_e32 0xff, v7
	s_cbranch_execz .LBB324_340
; %bb.339:
	v_and_b32_e32 v1, 64, v3
	v_and_or_b32 v6, 0x3f0000, v6, v7
	s_delay_alu instid0(VALU_DEP_2) | instskip(NEXT) | instid1(VALU_DEP_2)
	v_cmp_ne_u32_e32 vcc_lo, 0, v1
	v_cmp_ne_u32_e64 s1, 0, v6
	v_bfe_u32 v1, v3, 7, 9
	s_and_b32 s1, vcc_lo, s1
	s_delay_alu instid0(SALU_CYCLE_1) | instskip(NEXT) | instid1(VALU_DEP_1)
	v_cndmask_b32_e64 v3, 0, 1, s1
	v_add_nc_u32_e32 v1, v1, v3
.LBB324_340:
	s_or_b32 exec_lo, exec_lo, s16
	s_mov_b32 s1, -1
	s_mov_b32 s16, 0
	s_branch .LBB324_403
.LBB324_341:
	s_mov_b32 s1, 0
	s_mov_b32 s16, s43
                                        ; implicit-def: $vgpr1
	s_cbranch_execnz .LBB324_558
.LBB324_342:
	s_and_not1_b32 vcc_lo, exec_lo, s1
	s_cbranch_vccnz .LBB324_628
.LBB324_343:
	s_wait_loadcnt 0x0
	s_delay_alu instid0(VALU_DEP_1)
	v_and_b32_e32 v1, 0xff, v1
	s_and_b32 s17, s18, 0xff
	s_mov_b32 s29, 0
	s_mov_b32 s28, -1
	s_cmp_lt_i32 s17, 11
	v_lshlrev_b32_e32 v3, 23, v1
	v_cmp_ne_u16_e32 vcc_lo, 0xff, v1
	s_mov_b32 s2, s42
	s_delay_alu instid0(VALU_DEP_2) | instskip(SKIP_1) | instid1(VALU_DEP_2)
	v_cndmask_b32_e32 v3, 0x7f800001, v3, vcc_lo
	v_cmp_ne_u16_e32 vcc_lo, 0, v1
	v_cndmask_b32_e32 v1, 0x400000, v3, vcc_lo
	s_delay_alu instid0(VALU_DEP_1) | instskip(SKIP_3) | instid1(VALU_DEP_1)
	v_cmp_eq_f32_e32 vcc_lo, s9, v1
	v_cndmask_b32_e64 v3, 0, 1, vcc_lo
	v_cmp_neq_f32_e32 vcc_lo, s9, v1
	v_cndmask_b32_e64 v1, 0, 1, vcc_lo
	v_dual_cndmask_b32 v1, v1, v3, s0 :: v_dual_mov_b32 v3, 0
	s_delay_alu instid0(VALU_DEP_1) | instskip(NEXT) | instid1(VALU_DEP_2)
	v_and_b32_e32 v1, 1, v1
	v_add_nc_u64_e32 v[2:3], s[4:5], v[2:3]
	s_delay_alu instid0(VALU_DEP_2)
	v_cmp_eq_u32_e64 s1, 1, v1
	s_cbranch_scc1 .LBB324_350
; %bb.344:
	s_and_b32 s28, 0xffff, s17
	s_delay_alu instid0(SALU_CYCLE_1)
	s_cmp_gt_i32 s28, 25
	s_cbranch_scc0 .LBB324_392
; %bb.345:
	s_cmp_gt_i32 s28, 28
	s_cbranch_scc0 .LBB324_394
; %bb.346:
	;; [unrolled: 3-line block ×4, first 2 shown]
	s_mov_b32 s30, 0
	s_mov_b32 s2, -1
	s_cmp_eq_u32 s28, 46
	s_cbranch_scc0 .LBB324_407
; %bb.349:
	v_cndmask_b32_e64 v1, 0, 1.0, s1
	s_mov_b32 s29, -1
	s_mov_b32 s2, 0
	s_wait_xcnt 0x0
	s_delay_alu instid0(VALU_DEP_1) | instskip(NEXT) | instid1(VALU_DEP_1)
	v_bfe_u32 v4, v1, 16, 1
	v_add3_u32 v1, v1, v4, 0x7fff
	s_delay_alu instid0(VALU_DEP_1)
	v_lshrrev_b32_e32 v1, 16, v1
	global_store_b32 v[2:3], v1, off
	s_branch .LBB324_407
.LBB324_350:
	s_and_b32 vcc_lo, exec_lo, s28
	s_cbranch_vccz .LBB324_476
; %bb.351:
	s_and_b32 s17, 0xffff, s17
	s_mov_b32 s28, -1
	s_cmp_lt_i32 s17, 5
	s_cbranch_scc1 .LBB324_372
; %bb.352:
	s_cmp_lt_i32 s17, 8
	s_cbranch_scc1 .LBB324_362
; %bb.353:
	;; [unrolled: 3-line block ×3, first 2 shown]
	s_cmp_gt_i32 s17, 9
	s_cbranch_scc0 .LBB324_356
; %bb.355:
	s_wait_xcnt 0x0
	v_cndmask_b32_e64 v1, 0, 1, s1
	v_mov_b32_e32 v6, 0
	s_mov_b32 s28, 0
	s_delay_alu instid0(VALU_DEP_2) | instskip(NEXT) | instid1(VALU_DEP_2)
	v_cvt_f64_u32_e32 v[4:5], v1
	v_mov_b32_e32 v7, v6
	global_store_b128 v[2:3], v[4:7], off
.LBB324_356:
	s_and_not1_b32 vcc_lo, exec_lo, s28
	s_cbranch_vccnz .LBB324_358
; %bb.357:
	s_wait_xcnt 0x0
	v_cndmask_b32_e64 v4, 0, 1.0, s1
	v_mov_b32_e32 v5, 0
	global_store_b64 v[2:3], v[4:5], off
.LBB324_358:
	s_mov_b32 s28, 0
.LBB324_359:
	s_delay_alu instid0(SALU_CYCLE_1)
	s_and_not1_b32 vcc_lo, exec_lo, s28
	s_cbranch_vccnz .LBB324_361
; %bb.360:
	s_wait_xcnt 0x0
	v_cndmask_b32_e64 v1, 0, 1.0, s1
	s_delay_alu instid0(VALU_DEP_1) | instskip(NEXT) | instid1(VALU_DEP_1)
	v_cvt_f16_f32_e32 v1, v1
	v_and_b32_e32 v1, 0xffff, v1
	global_store_b32 v[2:3], v1, off
.LBB324_361:
	s_mov_b32 s28, 0
.LBB324_362:
	s_delay_alu instid0(SALU_CYCLE_1)
	s_and_not1_b32 vcc_lo, exec_lo, s28
	s_cbranch_vccnz .LBB324_371
; %bb.363:
	s_cmp_lt_i32 s17, 6
	s_mov_b32 s28, -1
	s_cbranch_scc1 .LBB324_369
; %bb.364:
	s_cmp_gt_i32 s17, 6
	s_cbranch_scc0 .LBB324_366
; %bb.365:
	s_wait_xcnt 0x0
	v_cndmask_b32_e64 v1, 0, 1, s1
	s_mov_b32 s28, 0
	s_delay_alu instid0(VALU_DEP_1)
	v_cvt_f64_u32_e32 v[4:5], v1
	global_store_b64 v[2:3], v[4:5], off
.LBB324_366:
	s_and_not1_b32 vcc_lo, exec_lo, s28
	s_cbranch_vccnz .LBB324_368
; %bb.367:
	s_wait_xcnt 0x0
	v_cndmask_b32_e64 v1, 0, 1.0, s1
	global_store_b32 v[2:3], v1, off
.LBB324_368:
	s_mov_b32 s28, 0
.LBB324_369:
	s_delay_alu instid0(SALU_CYCLE_1)
	s_and_not1_b32 vcc_lo, exec_lo, s28
	s_cbranch_vccnz .LBB324_371
; %bb.370:
	s_wait_xcnt 0x0
	v_cndmask_b32_e64 v1, 0, 1.0, s1
	s_delay_alu instid0(VALU_DEP_1)
	v_cvt_f16_f32_e32 v1, v1
	global_store_b16 v[2:3], v1, off
.LBB324_371:
	s_mov_b32 s28, 0
.LBB324_372:
	s_delay_alu instid0(SALU_CYCLE_1)
	s_and_not1_b32 vcc_lo, exec_lo, s28
	s_cbranch_vccnz .LBB324_388
; %bb.373:
	s_cmp_lt_i32 s17, 2
	s_mov_b32 s28, -1
	s_cbranch_scc1 .LBB324_383
; %bb.374:
	s_cmp_lt_i32 s17, 3
	s_cbranch_scc1 .LBB324_380
; %bb.375:
	s_cmp_gt_i32 s17, 3
	s_cbranch_scc0 .LBB324_377
; %bb.376:
	s_mov_b32 s28, 0
	s_wait_xcnt 0x0
	v_cndmask_b32_e64 v4, 0, 1, s1
	v_mov_b32_e32 v5, s28
	global_store_b64 v[2:3], v[4:5], off
.LBB324_377:
	s_and_not1_b32 vcc_lo, exec_lo, s28
	s_cbranch_vccnz .LBB324_379
; %bb.378:
	s_wait_xcnt 0x0
	v_cndmask_b32_e64 v1, 0, 1, s1
	global_store_b32 v[2:3], v1, off
.LBB324_379:
	s_mov_b32 s28, 0
.LBB324_380:
	s_delay_alu instid0(SALU_CYCLE_1)
	s_and_not1_b32 vcc_lo, exec_lo, s28
	s_cbranch_vccnz .LBB324_382
; %bb.381:
	s_wait_xcnt 0x0
	v_cndmask_b32_e64 v1, 0, 1, s1
	global_store_b16 v[2:3], v1, off
.LBB324_382:
	s_mov_b32 s28, 0
.LBB324_383:
	s_delay_alu instid0(SALU_CYCLE_1)
	s_and_not1_b32 vcc_lo, exec_lo, s28
	s_cbranch_vccnz .LBB324_388
; %bb.384:
	s_wait_xcnt 0x0
	v_cndmask_b32_e64 v1, 0, 1, s1
	s_cmp_gt_i32 s17, 0
	s_mov_b32 s1, -1
	s_cbranch_scc0 .LBB324_386
; %bb.385:
	s_mov_b32 s1, 0
	global_store_b8 v[2:3], v1, off
.LBB324_386:
	s_and_not1_b32 vcc_lo, exec_lo, s1
	s_cbranch_vccnz .LBB324_388
; %bb.387:
	global_store_b8 v[2:3], v1, off
.LBB324_388:
	s_branch .LBB324_477
.LBB324_389:
	s_mov_b32 s1, 0
	s_branch .LBB324_629
.LBB324_390:
	s_mov_b32 s17, -1
	s_mov_b32 s1, 0
	s_mov_b32 s16, s43
                                        ; implicit-def: $vgpr1
	s_branch .LBB324_514
.LBB324_391:
	s_mov_b32 s17, -1
	s_mov_b32 s1, 0
	s_mov_b32 s16, s43
                                        ; implicit-def: $vgpr1
	s_branch .LBB324_487
.LBB324_392:
	s_mov_b32 s30, -1
	s_mov_b32 s2, s42
	s_branch .LBB324_434
.LBB324_393:
	s_mov_b32 s17, -1
	s_mov_b32 s1, 0
	s_mov_b32 s16, s43
                                        ; implicit-def: $vgpr1
	s_branch .LBB324_480
.LBB324_394:
	s_mov_b32 s30, -1
	s_mov_b32 s2, s42
	s_branch .LBB324_417
.LBB324_395:
	s_and_not1_saveexec_b32 s31, s31
	s_cbranch_execz .LBB324_108
.LBB324_396:
	v_add_f32_e32 v1, 0x46000000, v4
	s_and_not1_b32 s30, s30, exec_lo
	s_delay_alu instid0(VALU_DEP_1) | instskip(NEXT) | instid1(VALU_DEP_1)
	v_and_b32_e32 v1, 0xff, v1
	v_cmp_ne_u32_e32 vcc_lo, 0, v1
	s_and_b32 s42, vcc_lo, exec_lo
	s_delay_alu instid0(SALU_CYCLE_1)
	s_or_b32 s30, s30, s42
	s_or_b32 exec_lo, exec_lo, s31
	v_mov_b32_e32 v5, 0
	s_and_saveexec_b32 s31, s30
	s_cbranch_execnz .LBB324_109
	s_branch .LBB324_110
.LBB324_397:
	s_mov_b32 s17, -1
	s_mov_b32 s1, 0
	s_mov_b32 s16, s43
	s_branch .LBB324_402
.LBB324_398:
	s_mov_b32 s30, -1
	s_mov_b32 s2, s42
	s_branch .LBB324_413
.LBB324_399:
	s_and_not1_saveexec_b32 s31, s31
	s_cbranch_execz .LBB324_121
.LBB324_400:
	v_add_f32_e32 v1, 0x42800000, v4
	s_and_not1_b32 s30, s30, exec_lo
	s_delay_alu instid0(VALU_DEP_1) | instskip(NEXT) | instid1(VALU_DEP_1)
	v_and_b32_e32 v1, 0xff, v1
	v_cmp_ne_u32_e32 vcc_lo, 0, v1
	s_and_b32 s42, vcc_lo, exec_lo
	s_delay_alu instid0(SALU_CYCLE_1)
	s_or_b32 s30, s30, s42
	s_or_b32 exec_lo, exec_lo, s31
	v_mov_b32_e32 v5, 0
	s_and_saveexec_b32 s31, s30
	s_cbranch_execnz .LBB324_122
	s_branch .LBB324_123
.LBB324_401:
	s_mov_b32 s16, -1
	s_mov_b32 s1, 0
.LBB324_402:
                                        ; implicit-def: $vgpr1
.LBB324_403:
	s_and_b32 vcc_lo, exec_lo, s17
	s_cbranch_vccz .LBB324_479
; %bb.404:
	s_cmp_eq_u32 s2, 44
	s_cbranch_scc0 .LBB324_478
; %bb.405:
	s_wait_loadcnt 0x0
	global_load_u8 v1, v[4:5], off
	s_mov_b32 s1, -1
	s_mov_b32 s16, 0
	s_branch .LBB324_479
.LBB324_406:
	s_mov_b32 s30, -1
	s_mov_b32 s2, s42
.LBB324_407:
	s_and_b32 vcc_lo, exec_lo, s30
	s_cbranch_vccz .LBB324_412
; %bb.408:
	s_cmp_eq_u32 s28, 44
	s_mov_b32 s2, -1
	s_cbranch_scc0 .LBB324_412
; %bb.409:
	s_wait_xcnt 0x0
	v_cndmask_b32_e64 v5, 0, 1.0, s1
	s_mov_b32 s29, exec_lo
	s_delay_alu instid0(VALU_DEP_1) | instskip(NEXT) | instid1(VALU_DEP_1)
	v_dual_mov_b32 v4, 0xff :: v_dual_lshrrev_b32 v1, 23, v5
	v_cmpx_ne_u32_e32 0xff, v1
; %bb.410:
	v_and_b32_e32 v4, 0x400000, v5
	v_and_or_b32 v5, 0x3fffff, v5, v1
	s_delay_alu instid0(VALU_DEP_2) | instskip(NEXT) | instid1(VALU_DEP_2)
	v_cmp_ne_u32_e32 vcc_lo, 0, v4
	v_cmp_ne_u32_e64 s2, 0, v5
	s_and_b32 s2, vcc_lo, s2
	s_delay_alu instid0(SALU_CYCLE_1) | instskip(NEXT) | instid1(VALU_DEP_1)
	v_cndmask_b32_e64 v4, 0, 1, s2
	v_add_nc_u32_e32 v4, v1, v4
; %bb.411:
	s_or_b32 exec_lo, exec_lo, s29
	s_mov_b32 s29, -1
	s_mov_b32 s2, 0
	global_store_b8 v[2:3], v4, off
.LBB324_412:
	s_mov_b32 s30, 0
.LBB324_413:
	s_delay_alu instid0(SALU_CYCLE_1)
	s_and_b32 vcc_lo, exec_lo, s30
	s_cbranch_vccz .LBB324_416
; %bb.414:
	s_cmp_eq_u32 s28, 29
	s_mov_b32 s2, -1
	s_cbranch_scc0 .LBB324_416
; %bb.415:
	s_mov_b32 s2, 0
	s_wait_xcnt 0x0
	v_cndmask_b32_e64 v4, 0, 1, s1
	v_mov_b32_e32 v5, s2
	s_mov_b32 s29, -1
	s_mov_b32 s30, 0
	global_store_b64 v[2:3], v[4:5], off
	s_branch .LBB324_417
.LBB324_416:
	s_mov_b32 s30, 0
.LBB324_417:
	s_delay_alu instid0(SALU_CYCLE_1)
	s_and_b32 vcc_lo, exec_lo, s30
	s_cbranch_vccz .LBB324_433
; %bb.418:
	s_cmp_lt_i32 s28, 27
	s_mov_b32 s29, -1
	s_cbranch_scc1 .LBB324_424
; %bb.419:
	s_cmp_gt_i32 s28, 27
	s_cbranch_scc0 .LBB324_421
; %bb.420:
	s_wait_xcnt 0x0
	v_cndmask_b32_e64 v1, 0, 1, s1
	s_mov_b32 s29, 0
	global_store_b32 v[2:3], v1, off
.LBB324_421:
	s_and_not1_b32 vcc_lo, exec_lo, s29
	s_cbranch_vccnz .LBB324_423
; %bb.422:
	s_wait_xcnt 0x0
	v_cndmask_b32_e64 v1, 0, 1, s1
	global_store_b16 v[2:3], v1, off
.LBB324_423:
	s_mov_b32 s29, 0
.LBB324_424:
	s_delay_alu instid0(SALU_CYCLE_1)
	s_and_not1_b32 vcc_lo, exec_lo, s29
	s_cbranch_vccnz .LBB324_432
; %bb.425:
	s_wait_xcnt 0x0
	v_cndmask_b32_e64 v4, 0, 1.0, s1
	v_mov_b32_e32 v5, 0x80
	s_mov_b32 s29, exec_lo
	s_delay_alu instid0(VALU_DEP_2)
	v_cmpx_gt_u32_e32 0x43800000, v4
	s_cbranch_execz .LBB324_431
; %bb.426:
	s_mov_b32 s30, 0
	s_mov_b32 s31, exec_lo
                                        ; implicit-def: $vgpr1
	v_cmpx_lt_u32_e32 0x3bffffff, v4
	s_xor_b32 s31, exec_lo, s31
	s_cbranch_execz .LBB324_663
; %bb.427:
	v_bfe_u32 v1, v4, 20, 1
	s_mov_b32 s30, exec_lo
	s_delay_alu instid0(VALU_DEP_1) | instskip(NEXT) | instid1(VALU_DEP_1)
	v_add3_u32 v1, v4, v1, 0x487ffff
                                        ; implicit-def: $vgpr4
	v_lshrrev_b32_e32 v1, 20, v1
	s_and_not1_saveexec_b32 s31, s31
	s_cbranch_execnz .LBB324_664
.LBB324_428:
	s_or_b32 exec_lo, exec_lo, s31
	v_mov_b32_e32 v5, 0
	s_and_saveexec_b32 s31, s30
.LBB324_429:
	v_mov_b32_e32 v5, v1
.LBB324_430:
	s_or_b32 exec_lo, exec_lo, s31
.LBB324_431:
	s_delay_alu instid0(SALU_CYCLE_1)
	s_or_b32 exec_lo, exec_lo, s29
	global_store_b8 v[2:3], v5, off
.LBB324_432:
	s_mov_b32 s29, -1
.LBB324_433:
	s_mov_b32 s30, 0
.LBB324_434:
	s_delay_alu instid0(SALU_CYCLE_1)
	s_and_b32 vcc_lo, exec_lo, s30
	s_cbranch_vccz .LBB324_475
; %bb.435:
	s_cmp_gt_i32 s28, 22
	s_mov_b32 s30, -1
	s_cbranch_scc0 .LBB324_467
; %bb.436:
	s_cmp_lt_i32 s28, 24
	s_mov_b32 s29, -1
	s_cbranch_scc1 .LBB324_456
; %bb.437:
	s_cmp_gt_i32 s28, 24
	s_cbranch_scc0 .LBB324_445
; %bb.438:
	s_wait_xcnt 0x0
	v_cndmask_b32_e64 v4, 0, 1.0, s1
	v_mov_b32_e32 v5, 0x80
	s_mov_b32 s29, exec_lo
	s_delay_alu instid0(VALU_DEP_2)
	v_cmpx_gt_u32_e32 0x47800000, v4
	s_cbranch_execz .LBB324_444
; %bb.439:
	s_mov_b32 s30, 0
	s_mov_b32 s31, exec_lo
                                        ; implicit-def: $vgpr1
	v_cmpx_lt_u32_e32 0x37ffffff, v4
	s_xor_b32 s31, exec_lo, s31
	s_cbranch_execz .LBB324_666
; %bb.440:
	v_bfe_u32 v1, v4, 21, 1
	s_mov_b32 s30, exec_lo
	s_delay_alu instid0(VALU_DEP_1) | instskip(NEXT) | instid1(VALU_DEP_1)
	v_add3_u32 v1, v4, v1, 0x88fffff
                                        ; implicit-def: $vgpr4
	v_lshrrev_b32_e32 v1, 21, v1
	s_and_not1_saveexec_b32 s31, s31
	s_cbranch_execnz .LBB324_667
.LBB324_441:
	s_or_b32 exec_lo, exec_lo, s31
	v_mov_b32_e32 v5, 0
	s_and_saveexec_b32 s31, s30
.LBB324_442:
	v_mov_b32_e32 v5, v1
.LBB324_443:
	s_or_b32 exec_lo, exec_lo, s31
.LBB324_444:
	s_delay_alu instid0(SALU_CYCLE_1)
	s_or_b32 exec_lo, exec_lo, s29
	s_mov_b32 s29, 0
	global_store_b8 v[2:3], v5, off
.LBB324_445:
	s_and_b32 vcc_lo, exec_lo, s29
	s_cbranch_vccz .LBB324_455
; %bb.446:
	s_wait_xcnt 0x0
	v_cndmask_b32_e64 v4, 0, 1.0, s1
	s_mov_b32 s29, exec_lo
                                        ; implicit-def: $vgpr1
	s_delay_alu instid0(VALU_DEP_1)
	v_cmpx_gt_u32_e32 0x43f00000, v4
	s_xor_b32 s29, exec_lo, s29
	s_cbranch_execz .LBB324_452
; %bb.447:
	s_mov_b32 s30, exec_lo
                                        ; implicit-def: $vgpr1
	v_cmpx_lt_u32_e32 0x3c7fffff, v4
	s_xor_b32 s30, exec_lo, s30
; %bb.448:
	v_bfe_u32 v1, v4, 20, 1
	s_delay_alu instid0(VALU_DEP_1) | instskip(NEXT) | instid1(VALU_DEP_1)
	v_add3_u32 v1, v4, v1, 0x407ffff
	v_and_b32_e32 v4, 0xff00000, v1
	v_lshrrev_b32_e32 v1, 20, v1
	s_delay_alu instid0(VALU_DEP_2) | instskip(NEXT) | instid1(VALU_DEP_2)
	v_cmp_ne_u32_e32 vcc_lo, 0x7f00000, v4
                                        ; implicit-def: $vgpr4
	v_cndmask_b32_e32 v1, 0x7e, v1, vcc_lo
; %bb.449:
	s_and_not1_saveexec_b32 s30, s30
; %bb.450:
	v_add_f32_e32 v1, 0x46800000, v4
; %bb.451:
	s_or_b32 exec_lo, exec_lo, s30
                                        ; implicit-def: $vgpr4
.LBB324_452:
	s_and_not1_saveexec_b32 s29, s29
; %bb.453:
	v_mov_b32_e32 v1, 0x7f
	v_cmp_lt_u32_e32 vcc_lo, 0x7f800000, v4
	s_delay_alu instid0(VALU_DEP_2)
	v_cndmask_b32_e32 v1, 0x7e, v1, vcc_lo
; %bb.454:
	s_or_b32 exec_lo, exec_lo, s29
	global_store_b8 v[2:3], v1, off
.LBB324_455:
	s_mov_b32 s29, 0
.LBB324_456:
	s_delay_alu instid0(SALU_CYCLE_1)
	s_and_not1_b32 vcc_lo, exec_lo, s29
	s_cbranch_vccnz .LBB324_466
; %bb.457:
	s_wait_xcnt 0x0
	v_cndmask_b32_e64 v4, 0, 1.0, s1
	s_mov_b32 s29, exec_lo
                                        ; implicit-def: $vgpr1
	s_delay_alu instid0(VALU_DEP_1)
	v_cmpx_gt_u32_e32 0x47800000, v4
	s_xor_b32 s29, exec_lo, s29
	s_cbranch_execz .LBB324_463
; %bb.458:
	s_mov_b32 s30, exec_lo
                                        ; implicit-def: $vgpr1
	v_cmpx_lt_u32_e32 0x387fffff, v4
	s_xor_b32 s30, exec_lo, s30
; %bb.459:
	v_bfe_u32 v1, v4, 21, 1
	s_delay_alu instid0(VALU_DEP_1) | instskip(NEXT) | instid1(VALU_DEP_1)
	v_add3_u32 v1, v4, v1, 0x80fffff
                                        ; implicit-def: $vgpr4
	v_lshrrev_b32_e32 v1, 21, v1
; %bb.460:
	s_and_not1_saveexec_b32 s30, s30
; %bb.461:
	v_add_f32_e32 v1, 0x43000000, v4
; %bb.462:
	s_or_b32 exec_lo, exec_lo, s30
                                        ; implicit-def: $vgpr4
.LBB324_463:
	s_and_not1_saveexec_b32 s29, s29
; %bb.464:
	v_mov_b32_e32 v1, 0x7f
	v_cmp_lt_u32_e32 vcc_lo, 0x7f800000, v4
	s_delay_alu instid0(VALU_DEP_2)
	v_cndmask_b32_e32 v1, 0x7c, v1, vcc_lo
; %bb.465:
	s_or_b32 exec_lo, exec_lo, s29
	global_store_b8 v[2:3], v1, off
.LBB324_466:
	s_mov_b32 s30, 0
	s_mov_b32 s29, -1
.LBB324_467:
	s_and_not1_b32 vcc_lo, exec_lo, s30
	s_cbranch_vccnz .LBB324_475
; %bb.468:
	s_cmp_gt_i32 s28, 14
	s_mov_b32 s30, -1
	s_cbranch_scc0 .LBB324_472
; %bb.469:
	s_cmp_eq_u32 s28, 15
	s_mov_b32 s2, -1
	s_cbranch_scc0 .LBB324_471
; %bb.470:
	s_wait_xcnt 0x0
	v_cndmask_b32_e64 v1, 0, 1.0, s1
	s_mov_b32 s29, -1
	s_mov_b32 s2, 0
	s_delay_alu instid0(VALU_DEP_1) | instskip(NEXT) | instid1(VALU_DEP_1)
	v_bfe_u32 v4, v1, 16, 1
	v_add3_u32 v1, v1, v4, 0x7fff
	global_store_d16_hi_b16 v[2:3], v1, off
.LBB324_471:
	s_mov_b32 s30, 0
.LBB324_472:
	s_delay_alu instid0(SALU_CYCLE_1)
	s_and_b32 vcc_lo, exec_lo, s30
	s_cbranch_vccz .LBB324_475
; %bb.473:
	s_cmp_eq_u32 s28, 11
	s_mov_b32 s2, -1
	s_cbranch_scc0 .LBB324_475
; %bb.474:
	s_wait_xcnt 0x0
	v_cndmask_b32_e64 v1, 0, 1, s1
	s_mov_b32 s29, -1
	s_mov_b32 s2, 0
	global_store_b8 v[2:3], v1, off
.LBB324_475:
.LBB324_476:
	s_and_not1_b32 vcc_lo, exec_lo, s29
	s_cbranch_vccnz .LBB324_389
.LBB324_477:
	v_add_nc_u32_e32 v0, 0x80, v0
	s_mov_b32 s1, -1
	s_branch .LBB324_630
.LBB324_478:
	s_mov_b32 s16, -1
                                        ; implicit-def: $vgpr1
.LBB324_479:
	s_mov_b32 s17, 0
.LBB324_480:
	s_delay_alu instid0(SALU_CYCLE_1)
	s_and_b32 vcc_lo, exec_lo, s17
	s_cbranch_vccz .LBB324_486
; %bb.481:
	s_cmp_eq_u32 s2, 29
	s_cbranch_scc0 .LBB324_485
; %bb.482:
	global_load_b64 v[6:7], v[4:5], off
	s_mov_b32 s16, exec_lo
	s_wait_loadcnt 0x0
	v_clz_i32_u32_e32 v1, v7
	s_delay_alu instid0(VALU_DEP_1) | instskip(NEXT) | instid1(VALU_DEP_1)
	v_min_u32_e32 v1, 32, v1
	v_lshlrev_b64_e32 v[6:7], v1, v[6:7]
	v_sub_nc_u32_e32 v1, 32, v1
	s_delay_alu instid0(VALU_DEP_2) | instskip(NEXT) | instid1(VALU_DEP_1)
	v_min_u32_e32 v3, 1, v6
	v_or_b32_e32 v3, v7, v3
	s_delay_alu instid0(VALU_DEP_1) | instskip(NEXT) | instid1(VALU_DEP_1)
	v_cvt_f32_u32_e32 v3, v3
	v_ldexp_f32 v6, v3, v1
	v_mov_b32_e32 v1, 0xff
	s_delay_alu instid0(VALU_DEP_2) | instskip(SKIP_1) | instid1(VALU_DEP_1)
	v_lshrrev_b32_e32 v3, 23, v6
	s_wait_xcnt 0x0
	v_cmpx_ne_u32_e32 0xff, v3
; %bb.483:
	v_and_b32_e32 v1, 0x400000, v6
	v_and_or_b32 v6, 0x3fffff, v6, v3
	s_delay_alu instid0(VALU_DEP_2) | instskip(NEXT) | instid1(VALU_DEP_2)
	v_cmp_ne_u32_e32 vcc_lo, 0, v1
	v_cmp_ne_u32_e64 s1, 0, v6
	s_and_b32 s1, vcc_lo, s1
	s_delay_alu instid0(SALU_CYCLE_1) | instskip(NEXT) | instid1(VALU_DEP_1)
	v_cndmask_b32_e64 v1, 0, 1, s1
	v_add_nc_u32_e32 v1, v3, v1
; %bb.484:
	s_or_b32 exec_lo, exec_lo, s16
	s_mov_b32 s1, -1
	s_mov_b32 s16, 0
	s_branch .LBB324_486
.LBB324_485:
	s_mov_b32 s16, -1
                                        ; implicit-def: $vgpr1
.LBB324_486:
	s_mov_b32 s17, 0
.LBB324_487:
	s_delay_alu instid0(SALU_CYCLE_1)
	s_and_b32 vcc_lo, exec_lo, s17
	s_cbranch_vccz .LBB324_513
; %bb.488:
	s_cmp_lt_i32 s2, 27
	s_cbranch_scc1 .LBB324_493
; %bb.489:
	s_cmp_gt_i32 s2, 27
	s_cbranch_scc0 .LBB324_494
; %bb.490:
	s_wait_loadcnt 0x0
	global_load_b32 v1, v[4:5], off
	s_mov_b32 s17, exec_lo
	s_wait_loadcnt 0x0
	v_cvt_f32_u32_e32 v6, v1
	v_mov_b32_e32 v1, 0xff
	s_delay_alu instid0(VALU_DEP_2) | instskip(SKIP_1) | instid1(VALU_DEP_1)
	v_lshrrev_b32_e32 v3, 23, v6
	s_wait_xcnt 0x0
	v_cmpx_ne_u32_e32 0xff, v3
; %bb.491:
	v_and_b32_e32 v1, 0x400000, v6
	v_and_or_b32 v6, 0x3fffff, v6, v3
	s_delay_alu instid0(VALU_DEP_2) | instskip(NEXT) | instid1(VALU_DEP_2)
	v_cmp_ne_u32_e32 vcc_lo, 0, v1
	v_cmp_ne_u32_e64 s1, 0, v6
	s_and_b32 s1, vcc_lo, s1
	s_delay_alu instid0(SALU_CYCLE_1) | instskip(NEXT) | instid1(VALU_DEP_1)
	v_cndmask_b32_e64 v1, 0, 1, s1
	v_add_nc_u32_e32 v1, v3, v1
; %bb.492:
	s_or_b32 exec_lo, exec_lo, s17
	s_mov_b32 s1, 0
	s_branch .LBB324_495
.LBB324_493:
	s_mov_b32 s1, -1
                                        ; implicit-def: $vgpr1
	s_branch .LBB324_500
.LBB324_494:
	s_mov_b32 s1, -1
                                        ; implicit-def: $vgpr1
.LBB324_495:
	s_delay_alu instid0(SALU_CYCLE_1)
	s_and_not1_b32 vcc_lo, exec_lo, s1
	s_cbranch_vccnz .LBB324_499
; %bb.496:
	s_wait_loadcnt 0x0
	global_load_u16 v1, v[4:5], off
	s_mov_b32 s17, exec_lo
	s_wait_loadcnt 0x0
	v_cvt_f32_u32_e32 v6, v1
	v_mov_b32_e32 v1, 0xff
	s_delay_alu instid0(VALU_DEP_2) | instskip(SKIP_1) | instid1(VALU_DEP_1)
	v_lshrrev_b32_e32 v3, 23, v6
	s_wait_xcnt 0x0
	v_cmpx_ne_u32_e32 0xff, v3
; %bb.497:
	v_and_b32_e32 v1, 0x400000, v6
	v_and_or_b32 v6, 0x3fffff, v6, v3
	s_delay_alu instid0(VALU_DEP_2) | instskip(NEXT) | instid1(VALU_DEP_2)
	v_cmp_ne_u32_e32 vcc_lo, 0, v1
	v_cmp_ne_u32_e64 s1, 0, v6
	s_and_b32 s1, vcc_lo, s1
	s_delay_alu instid0(SALU_CYCLE_1) | instskip(NEXT) | instid1(VALU_DEP_1)
	v_cndmask_b32_e64 v1, 0, 1, s1
	v_add_nc_u32_e32 v1, v3, v1
; %bb.498:
	s_or_b32 exec_lo, exec_lo, s17
.LBB324_499:
	s_mov_b32 s1, 0
.LBB324_500:
	s_delay_alu instid0(SALU_CYCLE_1)
	s_and_not1_b32 vcc_lo, exec_lo, s1
	s_cbranch_vccnz .LBB324_512
; %bb.501:
	s_wait_loadcnt 0x0
	global_load_u8 v1, v[4:5], off
	s_mov_b32 s1, 0
	s_mov_b32 s17, exec_lo
	s_wait_loadcnt 0x0
	v_cmpx_lt_i16_e32 0x7f, v1
	s_xor_b32 s17, exec_lo, s17
	s_cbranch_execz .LBB324_505
; %bb.502:
	s_mov_b32 s1, -1
	s_mov_b32 s28, exec_lo
	v_cmpx_eq_u16_e32 0x80, v1
; %bb.503:
	s_xor_b32 s1, exec_lo, -1
; %bb.504:
	s_or_b32 exec_lo, exec_lo, s28
	s_delay_alu instid0(SALU_CYCLE_1)
	s_and_b32 s1, s1, exec_lo
.LBB324_505:
	s_or_saveexec_b32 s17, s17
	v_mov_b32_e32 v3, 0x7f800001
	v_and_b32_e32 v6, 0xffff, v1
	s_xor_b32 exec_lo, exec_lo, s17
; %bb.506:
	v_cmp_ne_u16_e32 vcc_lo, 0, v1
	s_delay_alu instid0(VALU_DEP_2) | instskip(SKIP_2) | instid1(SALU_CYCLE_1)
	v_mov_b32_e32 v3, v6
	s_and_not1_b32 s1, s1, exec_lo
	s_and_b32 s28, vcc_lo, exec_lo
	s_or_b32 s1, s1, s28
; %bb.507:
	s_or_b32 exec_lo, exec_lo, s17
	s_and_saveexec_b32 s17, s1
	s_cbranch_execz .LBB324_509
; %bb.508:
	v_and_b32_e32 v1, 7, v6
	s_delay_alu instid0(VALU_DEP_1) | instskip(NEXT) | instid1(VALU_DEP_1)
	v_clz_i32_u32_e32 v3, v1
	v_min_u32_e32 v3, 32, v3
	s_delay_alu instid0(VALU_DEP_1) | instskip(NEXT) | instid1(VALU_DEP_1)
	v_subrev_nc_u32_e32 v7, 28, v3
	v_lshlrev_b32_e32 v7, v7, v6
	v_bfe_u32 v6, v6, 3, 4
	s_delay_alu instid0(VALU_DEP_2) | instskip(NEXT) | instid1(VALU_DEP_2)
	v_and_b32_e32 v7, 7, v7
	v_cmp_eq_u32_e32 vcc_lo, 0, v6
	s_delay_alu instid0(VALU_DEP_2) | instskip(NEXT) | instid1(VALU_DEP_1)
	v_cndmask_b32_e32 v1, v1, v7, vcc_lo
	v_dual_sub_nc_u32 v3, 29, v3 :: v_dual_lshlrev_b32 v1, 20, v1
	s_delay_alu instid0(VALU_DEP_1) | instskip(NEXT) | instid1(VALU_DEP_1)
	v_cndmask_b32_e32 v3, v6, v3, vcc_lo
	v_lshl_or_b32 v1, v3, 23, v1
	s_delay_alu instid0(VALU_DEP_1)
	v_add_nc_u32_e32 v3, 0x3b800000, v1
.LBB324_509:
	s_or_b32 exec_lo, exec_lo, s17
	s_delay_alu instid0(VALU_DEP_1) | instskip(SKIP_1) | instid1(VALU_DEP_1)
	v_dual_mov_b32 v1, 0xff :: v_dual_lshrrev_b32 v6, 23, v3
	s_mov_b32 s17, exec_lo
	v_cmpx_ne_u32_e32 0xff, v6
; %bb.510:
	v_and_b32_e32 v1, 0x400000, v3
	v_and_or_b32 v3, 0x3fffff, v3, v6
	s_delay_alu instid0(VALU_DEP_2) | instskip(NEXT) | instid1(VALU_DEP_2)
	v_cmp_ne_u32_e32 vcc_lo, 0, v1
	v_cmp_ne_u32_e64 s1, 0, v3
	s_and_b32 s1, vcc_lo, s1
	s_delay_alu instid0(SALU_CYCLE_1) | instskip(NEXT) | instid1(VALU_DEP_1)
	v_cndmask_b32_e64 v1, 0, 1, s1
	v_add_nc_u32_e32 v1, v6, v1
; %bb.511:
	s_or_b32 exec_lo, exec_lo, s17
.LBB324_512:
	s_mov_b32 s1, -1
.LBB324_513:
	s_mov_b32 s17, 0
.LBB324_514:
	s_delay_alu instid0(SALU_CYCLE_1)
	s_and_b32 vcc_lo, exec_lo, s17
	s_cbranch_vccz .LBB324_557
; %bb.515:
	s_cmp_gt_i32 s2, 22
	s_cbranch_scc0 .LBB324_529
; %bb.516:
	s_cmp_lt_i32 s2, 24
	s_cbranch_scc1 .LBB324_530
; %bb.517:
	s_cmp_gt_i32 s2, 24
	s_cbranch_scc0 .LBB324_531
; %bb.518:
	s_wait_loadcnt 0x0
	global_load_u8 v1, v[4:5], off
	s_mov_b32 s1, 0
	s_mov_b32 s17, exec_lo
	s_wait_loadcnt 0x0
	v_cmpx_lt_i16_e32 0x7f, v1
	s_xor_b32 s17, exec_lo, s17
	s_cbranch_execz .LBB324_522
; %bb.519:
	s_mov_b32 s1, -1
	s_mov_b32 s28, exec_lo
	v_cmpx_eq_u16_e32 0x80, v1
; %bb.520:
	s_xor_b32 s1, exec_lo, -1
; %bb.521:
	s_or_b32 exec_lo, exec_lo, s28
	s_delay_alu instid0(SALU_CYCLE_1)
	s_and_b32 s1, s1, exec_lo
.LBB324_522:
	s_or_saveexec_b32 s17, s17
	v_mov_b32_e32 v3, 0x7f800001
	v_and_b32_e32 v6, 0xffff, v1
	s_xor_b32 exec_lo, exec_lo, s17
; %bb.523:
	v_cmp_ne_u16_e32 vcc_lo, 0, v1
	s_delay_alu instid0(VALU_DEP_2) | instskip(SKIP_2) | instid1(SALU_CYCLE_1)
	v_mov_b32_e32 v3, v6
	s_and_not1_b32 s1, s1, exec_lo
	s_and_b32 s28, vcc_lo, exec_lo
	s_or_b32 s1, s1, s28
; %bb.524:
	s_or_b32 exec_lo, exec_lo, s17
	s_and_saveexec_b32 s17, s1
	s_cbranch_execz .LBB324_526
; %bb.525:
	v_and_b32_e32 v1, 3, v6
	s_delay_alu instid0(VALU_DEP_1) | instskip(NEXT) | instid1(VALU_DEP_1)
	v_clz_i32_u32_e32 v3, v1
	v_min_u32_e32 v3, 32, v3
	s_delay_alu instid0(VALU_DEP_1) | instskip(NEXT) | instid1(VALU_DEP_1)
	v_subrev_nc_u32_e32 v7, 29, v3
	v_lshlrev_b32_e32 v7, v7, v6
	v_bfe_u32 v6, v6, 2, 5
	s_delay_alu instid0(VALU_DEP_2) | instskip(NEXT) | instid1(VALU_DEP_2)
	v_and_b32_e32 v7, 3, v7
	v_cmp_eq_u32_e32 vcc_lo, 0, v6
	s_delay_alu instid0(VALU_DEP_2) | instskip(NEXT) | instid1(VALU_DEP_1)
	v_cndmask_b32_e32 v1, v1, v7, vcc_lo
	v_dual_sub_nc_u32 v3, 30, v3 :: v_dual_lshlrev_b32 v1, 21, v1
	s_delay_alu instid0(VALU_DEP_1) | instskip(NEXT) | instid1(VALU_DEP_1)
	v_cndmask_b32_e32 v3, v6, v3, vcc_lo
	v_lshl_or_b32 v1, v3, 23, v1
	s_delay_alu instid0(VALU_DEP_1)
	v_add_nc_u32_e32 v3, 0x37800000, v1
.LBB324_526:
	s_or_b32 exec_lo, exec_lo, s17
	s_delay_alu instid0(VALU_DEP_1) | instskip(SKIP_1) | instid1(VALU_DEP_1)
	v_dual_mov_b32 v1, 0xff :: v_dual_lshrrev_b32 v6, 23, v3
	s_mov_b32 s17, exec_lo
	v_cmpx_ne_u32_e32 0xff, v6
; %bb.527:
	v_and_b32_e32 v1, 0x400000, v3
	v_and_or_b32 v3, 0x3fffff, v3, v6
	s_delay_alu instid0(VALU_DEP_2) | instskip(NEXT) | instid1(VALU_DEP_2)
	v_cmp_ne_u32_e32 vcc_lo, 0, v1
	v_cmp_ne_u32_e64 s1, 0, v3
	s_and_b32 s1, vcc_lo, s1
	s_delay_alu instid0(SALU_CYCLE_1) | instskip(NEXT) | instid1(VALU_DEP_1)
	v_cndmask_b32_e64 v1, 0, 1, s1
	v_add_nc_u32_e32 v1, v6, v1
; %bb.528:
	s_or_b32 exec_lo, exec_lo, s17
	s_mov_b32 s1, 0
	s_branch .LBB324_532
.LBB324_529:
	s_mov_b32 s17, -1
                                        ; implicit-def: $vgpr1
	s_branch .LBB324_542
.LBB324_530:
	s_mov_b32 s1, -1
                                        ; implicit-def: $vgpr1
	s_branch .LBB324_537
.LBB324_531:
	s_mov_b32 s1, -1
                                        ; implicit-def: $vgpr1
.LBB324_532:
	s_delay_alu instid0(SALU_CYCLE_1)
	s_and_b32 vcc_lo, exec_lo, s1
	s_cbranch_vccz .LBB324_536
; %bb.533:
	s_wait_loadcnt 0x0
	global_load_u8 v1, v[4:5], off
	s_mov_b32 s17, exec_lo
	s_wait_loadcnt 0x0
	v_lshlrev_b32_e32 v1, 24, v1
	s_delay_alu instid0(VALU_DEP_1) | instskip(NEXT) | instid1(VALU_DEP_1)
	v_and_b32_e32 v1, 0x7f000000, v1
	v_clz_i32_u32_e32 v3, v1
	v_cmp_ne_u32_e32 vcc_lo, 0, v1
	v_add_nc_u32_e32 v7, 0x1000000, v1
	s_delay_alu instid0(VALU_DEP_3) | instskip(NEXT) | instid1(VALU_DEP_1)
	v_min_u32_e32 v3, 32, v3
	v_sub_nc_u32_e64 v3, v3, 4 clamp
	s_delay_alu instid0(VALU_DEP_1) | instskip(NEXT) | instid1(VALU_DEP_1)
	v_dual_mov_b32 v1, 0xff :: v_dual_lshlrev_b32 v6, v3, v1
	v_dual_lshlrev_b32 v3, 23, v3 :: v_dual_lshrrev_b32 v6, 4, v6
	s_delay_alu instid0(VALU_DEP_1) | instskip(SKIP_1) | instid1(VALU_DEP_2)
	v_sub_nc_u32_e32 v3, v6, v3
	v_ashrrev_i32_e32 v6, 8, v7
	v_add_nc_u32_e32 v3, 0x3c000000, v3
	s_delay_alu instid0(VALU_DEP_1) | instskip(NEXT) | instid1(VALU_DEP_1)
	v_and_or_b32 v3, 0x7f800000, v6, v3
	v_cndmask_b32_e32 v6, 0, v3, vcc_lo
	s_delay_alu instid0(VALU_DEP_1) | instskip(SKIP_1) | instid1(VALU_DEP_1)
	v_lshrrev_b32_e32 v3, 23, v6
	s_wait_xcnt 0x0
	v_cmpx_ne_u32_e32 0xff, v3
; %bb.534:
	v_and_b32_e32 v1, 0x400000, v6
	v_and_or_b32 v6, 0x3fffff, v6, v3
	s_delay_alu instid0(VALU_DEP_2) | instskip(NEXT) | instid1(VALU_DEP_2)
	v_cmp_ne_u32_e32 vcc_lo, 0, v1
	v_cmp_ne_u32_e64 s1, 0, v6
	s_and_b32 s1, vcc_lo, s1
	s_delay_alu instid0(SALU_CYCLE_1) | instskip(NEXT) | instid1(VALU_DEP_1)
	v_cndmask_b32_e64 v1, 0, 1, s1
	v_add_nc_u32_e32 v1, v3, v1
; %bb.535:
	s_or_b32 exec_lo, exec_lo, s17
.LBB324_536:
	s_mov_b32 s1, 0
.LBB324_537:
	s_delay_alu instid0(SALU_CYCLE_1)
	s_and_not1_b32 vcc_lo, exec_lo, s1
	s_cbranch_vccnz .LBB324_541
; %bb.538:
	s_wait_loadcnt 0x0
	global_load_u8 v1, v[4:5], off
	s_mov_b32 s17, exec_lo
	s_wait_loadcnt 0x0
	v_dual_lshlrev_b32 v3, 25, v1 :: v_dual_lshlrev_b32 v1, 8, v1
	s_delay_alu instid0(VALU_DEP_1) | instskip(NEXT) | instid1(VALU_DEP_2)
	v_cmp_gt_u32_e32 vcc_lo, 0x8000000, v3
	v_and_or_b32 v1, 0x7f00, v1, 0.5
	s_delay_alu instid0(VALU_DEP_1) | instskip(NEXT) | instid1(VALU_DEP_1)
	v_dual_add_f32 v1, -0.5, v1 :: v_dual_lshrrev_b32 v6, 4, v3
	v_or_b32_e32 v6, 0x70000000, v6
	s_delay_alu instid0(VALU_DEP_1) | instskip(NEXT) | instid1(VALU_DEP_1)
	v_mul_f32_e32 v6, 0x7800000, v6
	v_cndmask_b32_e32 v3, v6, v1, vcc_lo
	v_mov_b32_e32 v1, 0xff
	s_delay_alu instid0(VALU_DEP_2) | instskip(SKIP_1) | instid1(VALU_DEP_1)
	v_bfe_u32 v6, v3, 23, 8
	s_wait_xcnt 0x0
	v_cmpx_ne_u32_e32 0xff, v6
	s_cbranch_execz .LBB324_540
; %bb.539:
	v_and_b32_e32 v1, 0x400000, v3
	v_and_or_b32 v6, 0x3fffff, v3, v6
	s_delay_alu instid0(VALU_DEP_2) | instskip(NEXT) | instid1(VALU_DEP_2)
	v_cmp_ne_u32_e32 vcc_lo, 0, v1
	v_cmp_ne_u32_e64 s1, 0, v6
	v_lshrrev_b32_e32 v1, 23, v3
	s_and_b32 s1, vcc_lo, s1
	s_delay_alu instid0(SALU_CYCLE_1) | instskip(NEXT) | instid1(VALU_DEP_1)
	v_cndmask_b32_e64 v3, 0, 1, s1
	v_add_nc_u32_e32 v1, v1, v3
.LBB324_540:
	s_or_b32 exec_lo, exec_lo, s17
.LBB324_541:
	s_mov_b32 s17, 0
	s_mov_b32 s1, -1
.LBB324_542:
	s_and_not1_b32 vcc_lo, exec_lo, s17
	s_cbranch_vccnz .LBB324_557
; %bb.543:
	s_cmp_gt_i32 s2, 14
	s_cbranch_scc0 .LBB324_548
; %bb.544:
	s_cmp_eq_u32 s2, 15
	s_cbranch_scc0 .LBB324_549
; %bb.545:
	global_load_u16 v3, v[4:5], off
	s_wait_loadcnt 0x1
	v_mov_b32_e32 v1, 0xff
	s_mov_b32 s16, exec_lo
	s_wait_loadcnt 0x0
	v_bfe_u32 v6, v3, 7, 8
	s_wait_xcnt 0x0
	s_delay_alu instid0(VALU_DEP_1)
	v_cmpx_ne_u32_e32 0xff, v6
	s_cbranch_execz .LBB324_547
; %bb.546:
	v_dual_lshlrev_b32 v1, 16, v3 :: v_dual_bitop2_b32 v7, 64, v3 bitop3:0x40
	s_delay_alu instid0(VALU_DEP_1) | instskip(NEXT) | instid1(VALU_DEP_2)
	v_and_or_b32 v1, 0x3f0000, v1, v6
	v_cmp_ne_u32_e32 vcc_lo, 0, v7
	s_delay_alu instid0(VALU_DEP_2) | instskip(SKIP_2) | instid1(SALU_CYCLE_1)
	v_cmp_ne_u32_e64 s1, 0, v1
	v_lshrrev_b32_e32 v1, 7, v3
	s_and_b32 s1, vcc_lo, s1
	v_cndmask_b32_e64 v3, 0, 1, s1
	s_delay_alu instid0(VALU_DEP_1)
	v_add_nc_u32_e32 v1, v1, v3
.LBB324_547:
	s_or_b32 exec_lo, exec_lo, s16
	s_mov_b32 s1, -1
	s_mov_b32 s16, 0
	s_branch .LBB324_550
.LBB324_548:
	s_mov_b32 s17, -1
                                        ; implicit-def: $vgpr1
	s_branch .LBB324_551
.LBB324_549:
	s_mov_b32 s16, -1
                                        ; implicit-def: $vgpr1
.LBB324_550:
	s_mov_b32 s17, 0
.LBB324_551:
	s_delay_alu instid0(SALU_CYCLE_1)
	s_and_b32 vcc_lo, exec_lo, s17
	s_cbranch_vccz .LBB324_557
; %bb.552:
	s_cmp_eq_u32 s2, 11
	s_cbranch_scc0 .LBB324_556
; %bb.553:
	s_wait_loadcnt 0x0
	global_load_u8 v1, v[4:5], off
	s_mov_b32 s16, 0
	s_mov_b32 s17, exec_lo
	s_wait_loadcnt 0x0
	v_cmp_ne_u16_e32 vcc_lo, 0, v1
	v_mov_b32_e32 v1, 0xff
	v_cndmask_b32_e64 v6, 0, 1.0, vcc_lo
	s_delay_alu instid0(VALU_DEP_1) | instskip(SKIP_1) | instid1(VALU_DEP_1)
	v_lshrrev_b32_e32 v3, 23, v6
	s_wait_xcnt 0x0
	v_cmpx_ne_u32_e32 0xff, v3
; %bb.554:
	v_and_b32_e32 v1, 0x400000, v6
	v_and_or_b32 v6, 0x3fffff, v6, v3
	s_delay_alu instid0(VALU_DEP_2) | instskip(NEXT) | instid1(VALU_DEP_2)
	v_cmp_ne_u32_e32 vcc_lo, 0, v1
	v_cmp_ne_u32_e64 s1, 0, v6
	s_and_b32 s1, vcc_lo, s1
	s_delay_alu instid0(SALU_CYCLE_1) | instskip(NEXT) | instid1(VALU_DEP_1)
	v_cndmask_b32_e64 v1, 0, 1, s1
	v_add_nc_u32_e32 v1, v3, v1
; %bb.555:
	s_or_b32 exec_lo, exec_lo, s17
	s_mov_b32 s1, -1
	s_branch .LBB324_557
.LBB324_556:
	s_mov_b32 s16, -1
                                        ; implicit-def: $vgpr1
.LBB324_557:
	s_branch .LBB324_342
.LBB324_558:
	s_cmp_lt_i32 s2, 5
	s_cbranch_scc1 .LBB324_565
; %bb.559:
	s_cmp_lt_i32 s2, 8
	s_cbranch_scc1 .LBB324_566
; %bb.560:
	;; [unrolled: 3-line block ×3, first 2 shown]
	s_cmp_gt_i32 s2, 9
	s_cbranch_scc0 .LBB324_568
; %bb.562:
	global_load_b64 v[6:7], v[4:5], off
	s_wait_loadcnt 0x1
	v_mov_b32_e32 v1, 0xff
	s_mov_b32 s17, exec_lo
	s_wait_loadcnt 0x0
	v_cvt_f32_f64_e32 v3, v[6:7]
	s_delay_alu instid0(VALU_DEP_1) | instskip(SKIP_1) | instid1(VALU_DEP_1)
	v_bfe_u32 v6, v3, 23, 8
	s_wait_xcnt 0x0
	v_cmpx_ne_u32_e32 0xff, v6
	s_cbranch_execz .LBB324_564
; %bb.563:
	v_and_b32_e32 v1, 0x400000, v3
	v_and_or_b32 v6, 0x3fffff, v3, v6
	s_delay_alu instid0(VALU_DEP_2) | instskip(NEXT) | instid1(VALU_DEP_2)
	v_cmp_ne_u32_e32 vcc_lo, 0, v1
	v_cmp_ne_u32_e64 s1, 0, v6
	v_lshrrev_b32_e32 v1, 23, v3
	s_and_b32 s1, vcc_lo, s1
	s_delay_alu instid0(SALU_CYCLE_1) | instskip(NEXT) | instid1(VALU_DEP_1)
	v_cndmask_b32_e64 v3, 0, 1, s1
	v_add_nc_u32_e32 v1, v1, v3
.LBB324_564:
	s_or_b32 exec_lo, exec_lo, s17
	s_mov_b32 s1, 0
	s_branch .LBB324_569
.LBB324_565:
	s_mov_b32 s1, -1
                                        ; implicit-def: $vgpr1
	s_branch .LBB324_597
.LBB324_566:
	s_mov_b32 s1, -1
                                        ; implicit-def: $vgpr1
	s_branch .LBB324_579
.LBB324_567:
	s_mov_b32 s1, -1
                                        ; implicit-def: $vgpr1
	s_branch .LBB324_574
.LBB324_568:
	s_mov_b32 s1, -1
                                        ; implicit-def: $vgpr1
.LBB324_569:
	s_delay_alu instid0(SALU_CYCLE_1)
	s_and_not1_b32 vcc_lo, exec_lo, s1
	s_cbranch_vccnz .LBB324_573
; %bb.570:
	global_load_b32 v3, v[4:5], off
	s_wait_loadcnt 0x1
	v_mov_b32_e32 v1, 0xff
	s_mov_b32 s17, exec_lo
	s_wait_loadcnt 0x0
	v_bfe_u32 v6, v3, 23, 8
	s_wait_xcnt 0x0
	s_delay_alu instid0(VALU_DEP_1)
	v_cmpx_ne_u32_e32 0xff, v6
	s_cbranch_execz .LBB324_572
; %bb.571:
	v_and_b32_e32 v1, 0x400000, v3
	v_and_or_b32 v6, 0x3fffff, v3, v6
	s_delay_alu instid0(VALU_DEP_2) | instskip(NEXT) | instid1(VALU_DEP_2)
	v_cmp_ne_u32_e32 vcc_lo, 0, v1
	v_cmp_ne_u32_e64 s1, 0, v6
	v_lshrrev_b32_e32 v1, 23, v3
	s_and_b32 s1, vcc_lo, s1
	s_delay_alu instid0(SALU_CYCLE_1) | instskip(NEXT) | instid1(VALU_DEP_1)
	v_cndmask_b32_e64 v3, 0, 1, s1
	v_add_nc_u32_e32 v1, v1, v3
.LBB324_572:
	s_or_b32 exec_lo, exec_lo, s17
.LBB324_573:
	s_mov_b32 s1, 0
.LBB324_574:
	s_delay_alu instid0(SALU_CYCLE_1)
	s_and_not1_b32 vcc_lo, exec_lo, s1
	s_cbranch_vccnz .LBB324_578
; %bb.575:
	s_wait_loadcnt 0x0
	global_load_b32 v1, v[4:5], off
	s_mov_b32 s17, exec_lo
	s_wait_loadcnt 0x0
	v_cvt_f32_f16_e32 v3, v1
	v_mov_b32_e32 v1, 0xff
	s_delay_alu instid0(VALU_DEP_2) | instskip(SKIP_1) | instid1(VALU_DEP_1)
	v_bfe_u32 v6, v3, 23, 8
	s_wait_xcnt 0x0
	v_cmpx_ne_u32_e32 0xff, v6
	s_cbranch_execz .LBB324_577
; %bb.576:
	v_and_b32_e32 v1, 0x400000, v3
	v_and_or_b32 v6, 0x3fffff, v3, v6
	s_delay_alu instid0(VALU_DEP_2) | instskip(NEXT) | instid1(VALU_DEP_2)
	v_cmp_ne_u32_e32 vcc_lo, 0, v1
	v_cmp_ne_u32_e64 s1, 0, v6
	v_lshrrev_b32_e32 v1, 23, v3
	s_and_b32 s1, vcc_lo, s1
	s_delay_alu instid0(SALU_CYCLE_1) | instskip(NEXT) | instid1(VALU_DEP_1)
	v_cndmask_b32_e64 v3, 0, 1, s1
	v_add_nc_u32_e32 v1, v1, v3
.LBB324_577:
	s_or_b32 exec_lo, exec_lo, s17
.LBB324_578:
	s_mov_b32 s1, 0
.LBB324_579:
	s_delay_alu instid0(SALU_CYCLE_1)
	s_and_not1_b32 vcc_lo, exec_lo, s1
	s_cbranch_vccnz .LBB324_596
; %bb.580:
	s_cmp_lt_i32 s2, 6
	s_cbranch_scc1 .LBB324_585
; %bb.581:
	s_cmp_gt_i32 s2, 6
	s_cbranch_scc0 .LBB324_586
; %bb.582:
	global_load_b64 v[6:7], v[4:5], off
	s_wait_loadcnt 0x1
	v_mov_b32_e32 v1, 0xff
	s_mov_b32 s17, exec_lo
	s_wait_loadcnt 0x0
	v_cvt_f32_f64_e32 v3, v[6:7]
	s_delay_alu instid0(VALU_DEP_1) | instskip(SKIP_1) | instid1(VALU_DEP_1)
	v_bfe_u32 v6, v3, 23, 8
	s_wait_xcnt 0x0
	v_cmpx_ne_u32_e32 0xff, v6
	s_cbranch_execz .LBB324_584
; %bb.583:
	v_and_b32_e32 v1, 0x400000, v3
	v_and_or_b32 v6, 0x3fffff, v3, v6
	s_delay_alu instid0(VALU_DEP_2) | instskip(NEXT) | instid1(VALU_DEP_2)
	v_cmp_ne_u32_e32 vcc_lo, 0, v1
	v_cmp_ne_u32_e64 s1, 0, v6
	v_lshrrev_b32_e32 v1, 23, v3
	s_and_b32 s1, vcc_lo, s1
	s_delay_alu instid0(SALU_CYCLE_1) | instskip(NEXT) | instid1(VALU_DEP_1)
	v_cndmask_b32_e64 v3, 0, 1, s1
	v_add_nc_u32_e32 v1, v1, v3
.LBB324_584:
	s_or_b32 exec_lo, exec_lo, s17
	s_mov_b32 s1, 0
	s_branch .LBB324_587
.LBB324_585:
	s_mov_b32 s1, -1
                                        ; implicit-def: $vgpr1
	s_branch .LBB324_592
.LBB324_586:
	s_mov_b32 s1, -1
                                        ; implicit-def: $vgpr1
.LBB324_587:
	s_delay_alu instid0(SALU_CYCLE_1)
	s_and_not1_b32 vcc_lo, exec_lo, s1
	s_cbranch_vccnz .LBB324_591
; %bb.588:
	global_load_b32 v3, v[4:5], off
	s_wait_loadcnt 0x1
	v_mov_b32_e32 v1, 0xff
	s_mov_b32 s17, exec_lo
	s_wait_loadcnt 0x0
	v_bfe_u32 v6, v3, 23, 8
	s_wait_xcnt 0x0
	s_delay_alu instid0(VALU_DEP_1)
	v_cmpx_ne_u32_e32 0xff, v6
	s_cbranch_execz .LBB324_590
; %bb.589:
	v_and_b32_e32 v1, 0x400000, v3
	v_and_or_b32 v6, 0x3fffff, v3, v6
	s_delay_alu instid0(VALU_DEP_2) | instskip(NEXT) | instid1(VALU_DEP_2)
	v_cmp_ne_u32_e32 vcc_lo, 0, v1
	v_cmp_ne_u32_e64 s1, 0, v6
	v_lshrrev_b32_e32 v1, 23, v3
	s_and_b32 s1, vcc_lo, s1
	s_delay_alu instid0(SALU_CYCLE_1) | instskip(NEXT) | instid1(VALU_DEP_1)
	v_cndmask_b32_e64 v3, 0, 1, s1
	v_add_nc_u32_e32 v1, v1, v3
.LBB324_590:
	s_or_b32 exec_lo, exec_lo, s17
.LBB324_591:
	s_mov_b32 s1, 0
.LBB324_592:
	s_delay_alu instid0(SALU_CYCLE_1)
	s_and_not1_b32 vcc_lo, exec_lo, s1
	s_cbranch_vccnz .LBB324_596
; %bb.593:
	s_wait_loadcnt 0x0
	global_load_u16 v1, v[4:5], off
	s_mov_b32 s17, exec_lo
	s_wait_loadcnt 0x0
	v_cvt_f32_f16_e32 v3, v1
	v_mov_b32_e32 v1, 0xff
	s_delay_alu instid0(VALU_DEP_2) | instskip(SKIP_1) | instid1(VALU_DEP_1)
	v_bfe_u32 v6, v3, 23, 8
	s_wait_xcnt 0x0
	v_cmpx_ne_u32_e32 0xff, v6
	s_cbranch_execz .LBB324_595
; %bb.594:
	v_and_b32_e32 v1, 0x400000, v3
	v_and_or_b32 v6, 0x3fffff, v3, v6
	s_delay_alu instid0(VALU_DEP_2) | instskip(NEXT) | instid1(VALU_DEP_2)
	v_cmp_ne_u32_e32 vcc_lo, 0, v1
	v_cmp_ne_u32_e64 s1, 0, v6
	v_lshrrev_b32_e32 v1, 23, v3
	s_and_b32 s1, vcc_lo, s1
	s_delay_alu instid0(SALU_CYCLE_1) | instskip(NEXT) | instid1(VALU_DEP_1)
	v_cndmask_b32_e64 v3, 0, 1, s1
	v_add_nc_u32_e32 v1, v1, v3
.LBB324_595:
	s_or_b32 exec_lo, exec_lo, s17
.LBB324_596:
	s_mov_b32 s1, 0
.LBB324_597:
	s_delay_alu instid0(SALU_CYCLE_1)
	s_and_not1_b32 vcc_lo, exec_lo, s1
	s_cbranch_vccnz .LBB324_627
; %bb.598:
	s_cmp_lt_i32 s2, 2
	s_cbranch_scc1 .LBB324_604
; %bb.599:
	s_cmp_lt_i32 s2, 3
	s_cbranch_scc1 .LBB324_605
; %bb.600:
	s_cmp_gt_i32 s2, 3
	s_cbranch_scc0 .LBB324_606
; %bb.601:
	global_load_b64 v[6:7], v[4:5], off
	s_mov_b32 s17, exec_lo
	s_wait_loadcnt 0x0
	v_xor_b32_e32 v1, v6, v7
	v_cls_i32_e32 v3, v7
	s_delay_alu instid0(VALU_DEP_2) | instskip(NEXT) | instid1(VALU_DEP_1)
	v_ashrrev_i32_e32 v1, 31, v1
	v_add_nc_u32_e32 v1, 32, v1
	s_delay_alu instid0(VALU_DEP_1) | instskip(NEXT) | instid1(VALU_DEP_1)
	v_add_min_u32_e64 v1, v3, -1, v1
	v_lshlrev_b64_e32 v[6:7], v1, v[6:7]
	v_sub_nc_u32_e32 v1, 32, v1
	s_delay_alu instid0(VALU_DEP_2) | instskip(NEXT) | instid1(VALU_DEP_1)
	v_min_u32_e32 v3, 1, v6
	v_or_b32_e32 v3, v7, v3
	s_delay_alu instid0(VALU_DEP_1) | instskip(NEXT) | instid1(VALU_DEP_1)
	v_cvt_f32_i32_e32 v3, v3
	v_ldexp_f32 v3, v3, v1
	v_mov_b32_e32 v1, 0xff
	s_delay_alu instid0(VALU_DEP_2) | instskip(SKIP_1) | instid1(VALU_DEP_1)
	v_bfe_u32 v6, v3, 23, 8
	s_wait_xcnt 0x0
	v_cmpx_ne_u32_e32 0xff, v6
	s_cbranch_execz .LBB324_603
; %bb.602:
	v_and_b32_e32 v1, 0x400000, v3
	v_and_or_b32 v6, 0x3fffff, v3, v6
	s_delay_alu instid0(VALU_DEP_2) | instskip(NEXT) | instid1(VALU_DEP_2)
	v_cmp_ne_u32_e32 vcc_lo, 0, v1
	v_cmp_ne_u32_e64 s1, 0, v6
	v_lshrrev_b32_e32 v1, 23, v3
	s_and_b32 s1, vcc_lo, s1
	s_delay_alu instid0(SALU_CYCLE_1) | instskip(NEXT) | instid1(VALU_DEP_1)
	v_cndmask_b32_e64 v3, 0, 1, s1
	v_add_nc_u32_e32 v1, v1, v3
.LBB324_603:
	s_or_b32 exec_lo, exec_lo, s17
	s_mov_b32 s1, 0
	s_branch .LBB324_607
.LBB324_604:
	s_mov_b32 s1, -1
                                        ; implicit-def: $vgpr1
	s_branch .LBB324_617
.LBB324_605:
	s_mov_b32 s1, -1
                                        ; implicit-def: $vgpr1
	s_branch .LBB324_612
.LBB324_606:
	s_mov_b32 s1, -1
                                        ; implicit-def: $vgpr1
.LBB324_607:
	s_delay_alu instid0(SALU_CYCLE_1)
	s_and_not1_b32 vcc_lo, exec_lo, s1
	s_cbranch_vccnz .LBB324_611
; %bb.608:
	s_wait_loadcnt 0x0
	global_load_b32 v1, v[4:5], off
	s_mov_b32 s17, exec_lo
	s_wait_loadcnt 0x0
	v_cvt_f32_i32_e32 v3, v1
	v_mov_b32_e32 v1, 0xff
	s_delay_alu instid0(VALU_DEP_2) | instskip(SKIP_1) | instid1(VALU_DEP_1)
	v_bfe_u32 v6, v3, 23, 8
	s_wait_xcnt 0x0
	v_cmpx_ne_u32_e32 0xff, v6
	s_cbranch_execz .LBB324_610
; %bb.609:
	v_and_b32_e32 v1, 0x400000, v3
	v_and_or_b32 v6, 0x3fffff, v3, v6
	s_delay_alu instid0(VALU_DEP_2) | instskip(NEXT) | instid1(VALU_DEP_2)
	v_cmp_ne_u32_e32 vcc_lo, 0, v1
	v_cmp_ne_u32_e64 s1, 0, v6
	v_lshrrev_b32_e32 v1, 23, v3
	s_and_b32 s1, vcc_lo, s1
	s_delay_alu instid0(SALU_CYCLE_1) | instskip(NEXT) | instid1(VALU_DEP_1)
	v_cndmask_b32_e64 v3, 0, 1, s1
	v_add_nc_u32_e32 v1, v1, v3
.LBB324_610:
	s_or_b32 exec_lo, exec_lo, s17
.LBB324_611:
	s_mov_b32 s1, 0
.LBB324_612:
	s_delay_alu instid0(SALU_CYCLE_1)
	s_and_not1_b32 vcc_lo, exec_lo, s1
	s_cbranch_vccnz .LBB324_616
; %bb.613:
	s_wait_loadcnt 0x0
	global_load_i16 v1, v[4:5], off
	s_mov_b32 s17, exec_lo
	s_wait_loadcnt 0x0
	v_cvt_f32_i32_e32 v3, v1
	v_mov_b32_e32 v1, 0xff
	s_delay_alu instid0(VALU_DEP_2) | instskip(SKIP_1) | instid1(VALU_DEP_1)
	v_bfe_u32 v6, v3, 23, 8
	s_wait_xcnt 0x0
	v_cmpx_ne_u32_e32 0xff, v6
	s_cbranch_execz .LBB324_615
; %bb.614:
	v_and_b32_e32 v1, 0x400000, v3
	v_and_or_b32 v6, 0x3fffff, v3, v6
	s_delay_alu instid0(VALU_DEP_2) | instskip(NEXT) | instid1(VALU_DEP_2)
	v_cmp_ne_u32_e32 vcc_lo, 0, v1
	v_cmp_ne_u32_e64 s1, 0, v6
	v_lshrrev_b32_e32 v1, 23, v3
	s_and_b32 s1, vcc_lo, s1
	s_delay_alu instid0(SALU_CYCLE_1) | instskip(NEXT) | instid1(VALU_DEP_1)
	v_cndmask_b32_e64 v3, 0, 1, s1
	v_add_nc_u32_e32 v1, v1, v3
.LBB324_615:
	s_or_b32 exec_lo, exec_lo, s17
.LBB324_616:
	s_mov_b32 s1, 0
.LBB324_617:
	s_delay_alu instid0(SALU_CYCLE_1)
	s_and_not1_b32 vcc_lo, exec_lo, s1
	s_cbranch_vccnz .LBB324_627
; %bb.618:
	s_cmp_gt_i32 s2, 0
	s_cbranch_scc0 .LBB324_622
; %bb.619:
	s_wait_loadcnt 0x0
	global_load_i8 v1, v[4:5], off
	s_mov_b32 s2, exec_lo
	s_wait_loadcnt 0x0
	v_cvt_f32_i32_e32 v3, v1
	v_mov_b32_e32 v1, 0xff
	s_delay_alu instid0(VALU_DEP_2) | instskip(SKIP_1) | instid1(VALU_DEP_1)
	v_bfe_u32 v6, v3, 23, 8
	s_wait_xcnt 0x0
	v_cmpx_ne_u32_e32 0xff, v6
	s_cbranch_execz .LBB324_621
; %bb.620:
	v_and_b32_e32 v1, 0x400000, v3
	v_and_or_b32 v6, 0x3fffff, v3, v6
	s_delay_alu instid0(VALU_DEP_2) | instskip(NEXT) | instid1(VALU_DEP_2)
	v_cmp_ne_u32_e32 vcc_lo, 0, v1
	v_cmp_ne_u32_e64 s1, 0, v6
	v_lshrrev_b32_e32 v1, 23, v3
	s_and_b32 s1, vcc_lo, s1
	s_delay_alu instid0(SALU_CYCLE_1) | instskip(NEXT) | instid1(VALU_DEP_1)
	v_cndmask_b32_e64 v3, 0, 1, s1
	v_add_nc_u32_e32 v1, v1, v3
.LBB324_621:
	s_or_b32 exec_lo, exec_lo, s2
	s_mov_b32 s1, 0
	s_branch .LBB324_623
.LBB324_622:
	s_mov_b32 s1, -1
                                        ; implicit-def: $vgpr1
.LBB324_623:
	s_delay_alu instid0(SALU_CYCLE_1)
	s_and_not1_b32 vcc_lo, exec_lo, s1
	s_cbranch_vccnz .LBB324_627
; %bb.624:
	s_wait_loadcnt 0x0
	global_load_u8 v1, v[4:5], off
	s_mov_b32 s2, exec_lo
	s_wait_loadcnt 0x0
	v_cvt_f32_ubyte0_e32 v4, v1
	v_mov_b32_e32 v1, 0xff
	s_delay_alu instid0(VALU_DEP_2) | instskip(NEXT) | instid1(VALU_DEP_1)
	v_lshrrev_b32_e32 v3, 23, v4
	v_cmpx_ne_u32_e32 0xff, v3
; %bb.625:
	v_and_b32_e32 v1, 0x400000, v4
	v_and_or_b32 v4, 0x3fffff, v4, v3
	s_delay_alu instid0(VALU_DEP_2) | instskip(NEXT) | instid1(VALU_DEP_2)
	v_cmp_ne_u32_e32 vcc_lo, 0, v1
	v_cmp_ne_u32_e64 s1, 0, v4
	s_and_b32 s1, vcc_lo, s1
	s_delay_alu instid0(SALU_CYCLE_1) | instskip(NEXT) | instid1(VALU_DEP_1)
	v_cndmask_b32_e64 v1, 0, 1, s1
	v_add_nc_u32_e32 v1, v3, v1
; %bb.626:
	s_or_b32 exec_lo, exec_lo, s2
.LBB324_627:
	s_branch .LBB324_343
.LBB324_628:
	s_mov_b32 s1, 0
	s_mov_b32 s2, s42
.LBB324_629:
                                        ; implicit-def: $vgpr0
.LBB324_630:
	s_and_not1_b32 s17, s42, exec_lo
	s_and_b32 s2, s2, exec_lo
	s_and_not1_b32 s28, s43, exec_lo
	s_and_b32 s16, s16, exec_lo
	s_or_b32 s46, s17, s2
	s_or_b32 s45, s28, s16
	s_or_not1_b32 s2, s1, exec_lo
.LBB324_631:
	s_wait_xcnt 0x0
	s_or_b32 exec_lo, exec_lo, s47
	s_mov_b32 s1, 0
	s_mov_b32 s17, 0
	;; [unrolled: 1-line block ×3, first 2 shown]
                                        ; implicit-def: $vgpr4_vgpr5
                                        ; implicit-def: $vgpr2
                                        ; implicit-def: $vgpr3
	s_and_saveexec_b32 s47, s2
	s_cbranch_execz .LBB324_1071
; %bb.632:
	s_mov_b32 s28, -1
	s_mov_b32 s2, s45
	s_mov_b32 s30, s46
	s_mov_b32 s48, exec_lo
	v_cmpx_gt_i32_e64 s39, v0
	s_cbranch_execz .LBB324_950
; %bb.633:
	s_and_not1_b32 vcc_lo, exec_lo, s35
	s_cbranch_vccnz .LBB324_639
; %bb.634:
	s_and_not1_b32 vcc_lo, exec_lo, s41
	s_cbranch_vccnz .LBB324_640
; %bb.635:
	s_add_co_i32 s1, s40, 1
	s_cmp_eq_u32 s33, 2
	s_cbranch_scc1 .LBB324_641
; %bb.636:
	v_dual_mov_b32 v2, 0 :: v_dual_mov_b32 v4, 0
	s_wait_loadcnt 0x0
	v_mov_b32_e32 v1, v0
	s_and_b32 s16, s1, 28
	s_mov_b32 s2, 0
	s_mov_b64 s[28:29], s[20:21]
	s_mov_b64 s[30:31], s[26:27]
.LBB324_637:                            ; =>This Inner Loop Header: Depth=1
	s_clause 0x1
	s_load_b256 s[52:59], s[28:29], 0x4
	s_load_b128 s[68:71], s[28:29], 0x24
	s_load_b256 s[60:67], s[30:31], 0x0
	s_add_co_i32 s2, s2, 4
	s_wait_xcnt 0x0
	s_add_nc_u64 s[28:29], s[28:29], 48
	s_cmp_eq_u32 s16, s2
	s_add_nc_u64 s[30:31], s[30:31], 32
	s_wait_kmcnt 0x0
	v_mul_hi_u32 v3, s53, v1
	s_delay_alu instid0(VALU_DEP_1) | instskip(NEXT) | instid1(VALU_DEP_1)
	v_add_nc_u32_e32 v3, v1, v3
	v_lshrrev_b32_e32 v3, s54, v3
	s_delay_alu instid0(VALU_DEP_1) | instskip(NEXT) | instid1(VALU_DEP_1)
	v_mul_hi_u32 v5, s56, v3
	v_add_nc_u32_e32 v5, v3, v5
	s_delay_alu instid0(VALU_DEP_1) | instskip(NEXT) | instid1(VALU_DEP_1)
	v_lshrrev_b32_e32 v5, s57, v5
	v_mul_hi_u32 v6, s59, v5
	s_delay_alu instid0(VALU_DEP_1) | instskip(SKIP_1) | instid1(VALU_DEP_1)
	v_add_nc_u32_e32 v6, v5, v6
	v_mul_lo_u32 v7, v3, s52
	v_sub_nc_u32_e32 v1, v1, v7
	v_mul_lo_u32 v7, v5, s55
	s_delay_alu instid0(VALU_DEP_4) | instskip(NEXT) | instid1(VALU_DEP_3)
	v_lshrrev_b32_e32 v6, s68, v6
	v_mad_u32 v4, v1, s61, v4
	v_mad_u32 v1, v1, s60, v2
	s_delay_alu instid0(VALU_DEP_4) | instskip(NEXT) | instid1(VALU_DEP_4)
	v_sub_nc_u32_e32 v2, v3, v7
	v_mul_hi_u32 v8, s70, v6
	v_mul_lo_u32 v3, v6, s58
	s_delay_alu instid0(VALU_DEP_3) | instskip(SKIP_1) | instid1(VALU_DEP_3)
	v_mad_u32 v4, v2, s63, v4
	v_mad_u32 v2, v2, s62, v1
	v_dual_add_nc_u32 v7, v6, v8 :: v_dual_sub_nc_u32 v3, v5, v3
	s_delay_alu instid0(VALU_DEP_1) | instskip(NEXT) | instid1(VALU_DEP_2)
	v_lshrrev_b32_e32 v1, s71, v7
	v_mad_u32 v4, v3, s65, v4
	s_delay_alu instid0(VALU_DEP_4) | instskip(NEXT) | instid1(VALU_DEP_3)
	v_mad_u32 v2, v3, s64, v2
	v_mul_lo_u32 v5, v1, s69
	s_delay_alu instid0(VALU_DEP_1) | instskip(NEXT) | instid1(VALU_DEP_1)
	v_sub_nc_u32_e32 v3, v6, v5
	v_mad_u32 v4, v3, s67, v4
	s_delay_alu instid0(VALU_DEP_4)
	v_mad_u32 v2, v3, s66, v2
	s_cbranch_scc0 .LBB324_637
; %bb.638:
	s_delay_alu instid0(VALU_DEP_2)
	v_mov_b32_e32 v3, v4
	s_branch .LBB324_642
.LBB324_639:
	s_mov_b32 s1, -1
                                        ; implicit-def: $vgpr4
                                        ; implicit-def: $vgpr2
	s_branch .LBB324_647
.LBB324_640:
	v_dual_mov_b32 v4, 0 :: v_dual_mov_b32 v2, 0
	s_branch .LBB324_646
.LBB324_641:
	v_mov_b64_e32 v[2:3], 0
	s_wait_loadcnt 0x0
	v_mov_b32_e32 v1, v0
                                        ; implicit-def: $vgpr4
.LBB324_642:
	s_and_b32 s1, s1, 3
	s_mov_b32 s17, 0
	s_cmp_eq_u32 s1, 0
	s_cbranch_scc1 .LBB324_646
; %bb.643:
	s_lshl_b32 s28, s16, 3
	s_mov_b32 s29, s17
	s_mul_u64 s[30:31], s[16:17], 12
	s_add_nc_u64 s[28:29], s[20:21], s[28:29]
	s_delay_alu instid0(SALU_CYCLE_1)
	s_add_nc_u64 s[16:17], s[28:29], 0xc4
	s_add_nc_u64 s[28:29], s[20:21], s[30:31]
.LBB324_644:                            ; =>This Inner Loop Header: Depth=1
	s_load_b96 s[52:54], s[28:29], 0x4
	s_load_b64 s[30:31], s[16:17], 0x0
	s_add_co_i32 s1, s1, -1
	s_wait_xcnt 0x0
	s_add_nc_u64 s[28:29], s[28:29], 12
	s_cmp_lg_u32 s1, 0
	s_add_nc_u64 s[16:17], s[16:17], 8
	s_wait_kmcnt 0x0
	v_mul_hi_u32 v4, s53, v1
	s_delay_alu instid0(VALU_DEP_1) | instskip(NEXT) | instid1(VALU_DEP_1)
	v_add_nc_u32_e32 v4, v1, v4
	v_lshrrev_b32_e32 v4, s54, v4
	s_delay_alu instid0(VALU_DEP_1) | instskip(NEXT) | instid1(VALU_DEP_1)
	v_mul_lo_u32 v5, v4, s52
	v_sub_nc_u32_e32 v1, v1, v5
	s_delay_alu instid0(VALU_DEP_1)
	v_mad_u32 v3, v1, s31, v3
	v_mad_u32 v2, v1, s30, v2
	v_mov_b32_e32 v1, v4
	s_cbranch_scc1 .LBB324_644
; %bb.645:
	s_delay_alu instid0(VALU_DEP_3)
	v_mov_b32_e32 v4, v3
.LBB324_646:
	s_mov_b32 s1, 0
.LBB324_647:
	s_delay_alu instid0(SALU_CYCLE_1)
	s_and_not1_b32 vcc_lo, exec_lo, s1
	s_cbranch_vccnz .LBB324_650
; %bb.648:
	s_wait_loadcnt 0x0
	v_mov_b32_e32 v1, 0
	s_and_not1_b32 vcc_lo, exec_lo, s38
	s_delay_alu instid0(VALU_DEP_1) | instskip(NEXT) | instid1(VALU_DEP_1)
	v_mul_u64_e32 v[2:3], s[22:23], v[0:1]
	v_add_nc_u32_e32 v2, v0, v3
	s_delay_alu instid0(VALU_DEP_1) | instskip(NEXT) | instid1(VALU_DEP_1)
	v_lshrrev_b32_e32 v6, s10, v2
	v_mul_lo_u32 v2, v6, s8
	s_delay_alu instid0(VALU_DEP_1) | instskip(NEXT) | instid1(VALU_DEP_1)
	v_sub_nc_u32_e32 v2, v0, v2
	v_mul_lo_u32 v4, v2, s13
	v_mul_lo_u32 v2, v2, s12
	s_cbranch_vccnz .LBB324_650
; %bb.649:
	v_mov_b32_e32 v7, v1
	s_delay_alu instid0(VALU_DEP_1) | instskip(NEXT) | instid1(VALU_DEP_1)
	v_mul_u64_e32 v[8:9], s[24:25], v[6:7]
	v_add_nc_u32_e32 v1, v6, v9
	s_delay_alu instid0(VALU_DEP_1) | instskip(NEXT) | instid1(VALU_DEP_1)
	v_lshrrev_b32_e32 v1, s3, v1
	v_mul_lo_u32 v1, v1, s11
	s_delay_alu instid0(VALU_DEP_1) | instskip(NEXT) | instid1(VALU_DEP_1)
	v_sub_nc_u32_e32 v1, v6, v1
	v_mad_u32 v2, v1, s14, v2
	v_mad_u32 v4, v1, s15, v4
.LBB324_650:
	v_mov_b32_e32 v5, 0
	s_and_b32 s2, 0xffff, s37
	s_delay_alu instid0(SALU_CYCLE_1) | instskip(NEXT) | instid1(VALU_DEP_1)
	s_cmp_lt_i32 s2, 11
	v_add_nc_u64_e32 v[4:5], s[6:7], v[4:5]
	s_cbranch_scc1 .LBB324_659
; %bb.651:
	s_cmp_gt_i32 s2, 25
	s_cbranch_scc0 .LBB324_660
; %bb.652:
	s_cmp_gt_i32 s2, 28
	s_cbranch_scc0 .LBB324_661
	;; [unrolled: 3-line block ×4, first 2 shown]
; %bb.655:
	s_cmp_eq_u32 s2, 46
	s_mov_b32 s17, 0
	s_cbranch_scc0 .LBB324_668
; %bb.656:
	global_load_b32 v3, v[4:5], off
	s_mov_b32 s16, exec_lo
	s_wait_loadcnt 0x0
	v_dual_mov_b32 v1, 0xff :: v_dual_lshlrev_b32 v6, 16, v3
	s_delay_alu instid0(VALU_DEP_1) | instskip(SKIP_1) | instid1(VALU_DEP_1)
	v_bfe_u32 v7, v6, 23, 8
	s_wait_xcnt 0x0
	v_cmpx_ne_u32_e32 0xff, v7
	s_cbranch_execz .LBB324_658
; %bb.657:
	v_and_b32_e32 v1, 64, v3
	v_and_or_b32 v6, 0x3f0000, v6, v7
	s_delay_alu instid0(VALU_DEP_2) | instskip(NEXT) | instid1(VALU_DEP_2)
	v_cmp_ne_u32_e32 vcc_lo, 0, v1
	v_cmp_ne_u32_e64 s1, 0, v6
	v_bfe_u32 v1, v3, 7, 9
	s_and_b32 s1, vcc_lo, s1
	s_delay_alu instid0(SALU_CYCLE_1) | instskip(NEXT) | instid1(VALU_DEP_1)
	v_cndmask_b32_e64 v3, 0, 1, s1
	v_add_nc_u32_e32 v1, v1, v3
.LBB324_658:
	s_or_b32 exec_lo, exec_lo, s16
	s_mov_b32 s1, -1
	s_mov_b32 s16, 0
	s_branch .LBB324_670
.LBB324_659:
	s_mov_b32 s17, -1
	s_mov_b32 s1, 0
	s_mov_b32 s16, s45
                                        ; implicit-def: $vgpr1
	s_branch .LBB324_753
.LBB324_660:
	s_mov_b32 s17, -1
	s_mov_b32 s1, 0
	s_mov_b32 s16, s45
                                        ; implicit-def: $vgpr1
	s_branch .LBB324_709
.LBB324_661:
	s_mov_b32 s17, -1
	s_mov_b32 s1, 0
	s_mov_b32 s16, s45
                                        ; implicit-def: $vgpr1
	s_branch .LBB324_682
.LBB324_662:
	s_mov_b32 s17, -1
	s_mov_b32 s1, 0
	s_mov_b32 s16, s45
                                        ; implicit-def: $vgpr1
	s_branch .LBB324_675
.LBB324_663:
	s_and_not1_saveexec_b32 s31, s31
	s_cbranch_execz .LBB324_428
.LBB324_664:
	v_add_f32_e32 v1, 0x46000000, v4
	s_and_not1_b32 s30, s30, exec_lo
	s_delay_alu instid0(VALU_DEP_1) | instskip(NEXT) | instid1(VALU_DEP_1)
	v_and_b32_e32 v1, 0xff, v1
	v_cmp_ne_u32_e32 vcc_lo, 0, v1
	s_and_b32 s45, vcc_lo, exec_lo
	s_delay_alu instid0(SALU_CYCLE_1)
	s_or_b32 s30, s30, s45
	s_or_b32 exec_lo, exec_lo, s31
	v_mov_b32_e32 v5, 0
	s_and_saveexec_b32 s31, s30
	s_cbranch_execnz .LBB324_429
	s_branch .LBB324_430
.LBB324_665:
	s_mov_b32 s17, -1
	s_mov_b32 s1, 0
	s_mov_b32 s16, s45
	s_branch .LBB324_669
.LBB324_666:
	s_and_not1_saveexec_b32 s31, s31
	s_cbranch_execz .LBB324_441
.LBB324_667:
	v_add_f32_e32 v1, 0x42800000, v4
	s_and_not1_b32 s30, s30, exec_lo
	s_delay_alu instid0(VALU_DEP_1) | instskip(NEXT) | instid1(VALU_DEP_1)
	v_and_b32_e32 v1, 0xff, v1
	v_cmp_ne_u32_e32 vcc_lo, 0, v1
	s_and_b32 s45, vcc_lo, exec_lo
	s_delay_alu instid0(SALU_CYCLE_1)
	s_or_b32 s30, s30, s45
	s_or_b32 exec_lo, exec_lo, s31
	v_mov_b32_e32 v5, 0
	s_and_saveexec_b32 s31, s30
	s_cbranch_execnz .LBB324_442
	s_branch .LBB324_443
.LBB324_668:
	s_mov_b32 s16, -1
	s_mov_b32 s1, 0
.LBB324_669:
                                        ; implicit-def: $vgpr1
.LBB324_670:
	s_and_b32 vcc_lo, exec_lo, s17
	s_cbranch_vccz .LBB324_674
; %bb.671:
	s_cmp_eq_u32 s2, 44
	s_cbranch_scc0 .LBB324_673
; %bb.672:
	s_wait_loadcnt 0x0
	global_load_u8 v1, v[4:5], off
	s_mov_b32 s1, -1
	s_mov_b32 s16, 0
	s_branch .LBB324_674
.LBB324_673:
	s_mov_b32 s16, -1
                                        ; implicit-def: $vgpr1
.LBB324_674:
	s_mov_b32 s17, 0
.LBB324_675:
	s_delay_alu instid0(SALU_CYCLE_1)
	s_and_b32 vcc_lo, exec_lo, s17
	s_cbranch_vccz .LBB324_681
; %bb.676:
	s_cmp_eq_u32 s2, 29
	s_cbranch_scc0 .LBB324_680
; %bb.677:
	global_load_b64 v[6:7], v[4:5], off
	s_mov_b32 s16, exec_lo
	s_wait_loadcnt 0x0
	v_clz_i32_u32_e32 v1, v7
	s_delay_alu instid0(VALU_DEP_1) | instskip(NEXT) | instid1(VALU_DEP_1)
	v_min_u32_e32 v1, 32, v1
	v_lshlrev_b64_e32 v[6:7], v1, v[6:7]
	v_sub_nc_u32_e32 v1, 32, v1
	s_delay_alu instid0(VALU_DEP_2) | instskip(NEXT) | instid1(VALU_DEP_1)
	v_min_u32_e32 v3, 1, v6
	v_or_b32_e32 v3, v7, v3
	s_delay_alu instid0(VALU_DEP_1) | instskip(NEXT) | instid1(VALU_DEP_1)
	v_cvt_f32_u32_e32 v3, v3
	v_ldexp_f32 v6, v3, v1
	v_mov_b32_e32 v1, 0xff
	s_delay_alu instid0(VALU_DEP_2) | instskip(SKIP_1) | instid1(VALU_DEP_1)
	v_lshrrev_b32_e32 v3, 23, v6
	s_wait_xcnt 0x0
	v_cmpx_ne_u32_e32 0xff, v3
; %bb.678:
	v_and_b32_e32 v1, 0x400000, v6
	v_and_or_b32 v6, 0x3fffff, v6, v3
	s_delay_alu instid0(VALU_DEP_2) | instskip(NEXT) | instid1(VALU_DEP_2)
	v_cmp_ne_u32_e32 vcc_lo, 0, v1
	v_cmp_ne_u32_e64 s1, 0, v6
	s_and_b32 s1, vcc_lo, s1
	s_delay_alu instid0(SALU_CYCLE_1) | instskip(NEXT) | instid1(VALU_DEP_1)
	v_cndmask_b32_e64 v1, 0, 1, s1
	v_add_nc_u32_e32 v1, v3, v1
; %bb.679:
	s_or_b32 exec_lo, exec_lo, s16
	s_mov_b32 s1, -1
	s_mov_b32 s16, 0
	s_branch .LBB324_681
.LBB324_680:
	s_mov_b32 s16, -1
                                        ; implicit-def: $vgpr1
.LBB324_681:
	s_mov_b32 s17, 0
.LBB324_682:
	s_delay_alu instid0(SALU_CYCLE_1)
	s_and_b32 vcc_lo, exec_lo, s17
	s_cbranch_vccz .LBB324_708
; %bb.683:
	s_cmp_lt_i32 s2, 27
	s_cbranch_scc1 .LBB324_688
; %bb.684:
	s_cmp_gt_i32 s2, 27
	s_cbranch_scc0 .LBB324_689
; %bb.685:
	s_wait_loadcnt 0x0
	global_load_b32 v1, v[4:5], off
	s_mov_b32 s17, exec_lo
	s_wait_loadcnt 0x0
	v_cvt_f32_u32_e32 v6, v1
	v_mov_b32_e32 v1, 0xff
	s_delay_alu instid0(VALU_DEP_2) | instskip(SKIP_1) | instid1(VALU_DEP_1)
	v_lshrrev_b32_e32 v3, 23, v6
	s_wait_xcnt 0x0
	v_cmpx_ne_u32_e32 0xff, v3
; %bb.686:
	v_and_b32_e32 v1, 0x400000, v6
	v_and_or_b32 v6, 0x3fffff, v6, v3
	s_delay_alu instid0(VALU_DEP_2) | instskip(NEXT) | instid1(VALU_DEP_2)
	v_cmp_ne_u32_e32 vcc_lo, 0, v1
	v_cmp_ne_u32_e64 s1, 0, v6
	s_and_b32 s1, vcc_lo, s1
	s_delay_alu instid0(SALU_CYCLE_1) | instskip(NEXT) | instid1(VALU_DEP_1)
	v_cndmask_b32_e64 v1, 0, 1, s1
	v_add_nc_u32_e32 v1, v3, v1
; %bb.687:
	s_or_b32 exec_lo, exec_lo, s17
	s_mov_b32 s1, 0
	s_branch .LBB324_690
.LBB324_688:
	s_mov_b32 s1, -1
                                        ; implicit-def: $vgpr1
	s_branch .LBB324_695
.LBB324_689:
	s_mov_b32 s1, -1
                                        ; implicit-def: $vgpr1
.LBB324_690:
	s_delay_alu instid0(SALU_CYCLE_1)
	s_and_not1_b32 vcc_lo, exec_lo, s1
	s_cbranch_vccnz .LBB324_694
; %bb.691:
	s_wait_loadcnt 0x0
	global_load_u16 v1, v[4:5], off
	s_mov_b32 s17, exec_lo
	s_wait_loadcnt 0x0
	v_cvt_f32_u32_e32 v6, v1
	v_mov_b32_e32 v1, 0xff
	s_delay_alu instid0(VALU_DEP_2) | instskip(SKIP_1) | instid1(VALU_DEP_1)
	v_lshrrev_b32_e32 v3, 23, v6
	s_wait_xcnt 0x0
	v_cmpx_ne_u32_e32 0xff, v3
; %bb.692:
	v_and_b32_e32 v1, 0x400000, v6
	v_and_or_b32 v6, 0x3fffff, v6, v3
	s_delay_alu instid0(VALU_DEP_2) | instskip(NEXT) | instid1(VALU_DEP_2)
	v_cmp_ne_u32_e32 vcc_lo, 0, v1
	v_cmp_ne_u32_e64 s1, 0, v6
	s_and_b32 s1, vcc_lo, s1
	s_delay_alu instid0(SALU_CYCLE_1) | instskip(NEXT) | instid1(VALU_DEP_1)
	v_cndmask_b32_e64 v1, 0, 1, s1
	v_add_nc_u32_e32 v1, v3, v1
; %bb.693:
	s_or_b32 exec_lo, exec_lo, s17
.LBB324_694:
	s_mov_b32 s1, 0
.LBB324_695:
	s_delay_alu instid0(SALU_CYCLE_1)
	s_and_not1_b32 vcc_lo, exec_lo, s1
	s_cbranch_vccnz .LBB324_707
; %bb.696:
	s_wait_loadcnt 0x0
	global_load_u8 v1, v[4:5], off
	s_mov_b32 s1, 0
	s_mov_b32 s17, exec_lo
	s_wait_loadcnt 0x0
	v_cmpx_lt_i16_e32 0x7f, v1
	s_xor_b32 s17, exec_lo, s17
	s_cbranch_execz .LBB324_700
; %bb.697:
	s_mov_b32 s1, -1
	s_mov_b32 s28, exec_lo
	v_cmpx_eq_u16_e32 0x80, v1
; %bb.698:
	s_xor_b32 s1, exec_lo, -1
; %bb.699:
	s_or_b32 exec_lo, exec_lo, s28
	s_delay_alu instid0(SALU_CYCLE_1)
	s_and_b32 s1, s1, exec_lo
.LBB324_700:
	s_or_saveexec_b32 s17, s17
	v_mov_b32_e32 v3, 0x7f800001
	v_and_b32_e32 v6, 0xffff, v1
	s_xor_b32 exec_lo, exec_lo, s17
; %bb.701:
	v_cmp_ne_u16_e32 vcc_lo, 0, v1
	s_delay_alu instid0(VALU_DEP_2) | instskip(SKIP_2) | instid1(SALU_CYCLE_1)
	v_mov_b32_e32 v3, v6
	s_and_not1_b32 s1, s1, exec_lo
	s_and_b32 s28, vcc_lo, exec_lo
	s_or_b32 s1, s1, s28
; %bb.702:
	s_or_b32 exec_lo, exec_lo, s17
	s_and_saveexec_b32 s17, s1
	s_cbranch_execz .LBB324_704
; %bb.703:
	v_and_b32_e32 v1, 7, v6
	s_delay_alu instid0(VALU_DEP_1) | instskip(NEXT) | instid1(VALU_DEP_1)
	v_clz_i32_u32_e32 v3, v1
	v_min_u32_e32 v3, 32, v3
	s_delay_alu instid0(VALU_DEP_1) | instskip(NEXT) | instid1(VALU_DEP_1)
	v_subrev_nc_u32_e32 v7, 28, v3
	v_lshlrev_b32_e32 v7, v7, v6
	v_bfe_u32 v6, v6, 3, 4
	s_delay_alu instid0(VALU_DEP_2) | instskip(NEXT) | instid1(VALU_DEP_2)
	v_and_b32_e32 v7, 7, v7
	v_cmp_eq_u32_e32 vcc_lo, 0, v6
	s_delay_alu instid0(VALU_DEP_2) | instskip(NEXT) | instid1(VALU_DEP_1)
	v_cndmask_b32_e32 v1, v1, v7, vcc_lo
	v_dual_sub_nc_u32 v3, 29, v3 :: v_dual_lshlrev_b32 v1, 20, v1
	s_delay_alu instid0(VALU_DEP_1) | instskip(NEXT) | instid1(VALU_DEP_1)
	v_cndmask_b32_e32 v3, v6, v3, vcc_lo
	v_lshl_or_b32 v1, v3, 23, v1
	s_delay_alu instid0(VALU_DEP_1)
	v_add_nc_u32_e32 v3, 0x3b800000, v1
.LBB324_704:
	s_or_b32 exec_lo, exec_lo, s17
	s_delay_alu instid0(VALU_DEP_1) | instskip(SKIP_1) | instid1(VALU_DEP_1)
	v_dual_mov_b32 v1, 0xff :: v_dual_lshrrev_b32 v6, 23, v3
	s_mov_b32 s17, exec_lo
	v_cmpx_ne_u32_e32 0xff, v6
; %bb.705:
	v_and_b32_e32 v1, 0x400000, v3
	v_and_or_b32 v3, 0x3fffff, v3, v6
	s_delay_alu instid0(VALU_DEP_2) | instskip(NEXT) | instid1(VALU_DEP_2)
	v_cmp_ne_u32_e32 vcc_lo, 0, v1
	v_cmp_ne_u32_e64 s1, 0, v3
	s_and_b32 s1, vcc_lo, s1
	s_delay_alu instid0(SALU_CYCLE_1) | instskip(NEXT) | instid1(VALU_DEP_1)
	v_cndmask_b32_e64 v1, 0, 1, s1
	v_add_nc_u32_e32 v1, v6, v1
; %bb.706:
	s_or_b32 exec_lo, exec_lo, s17
.LBB324_707:
	s_mov_b32 s1, -1
.LBB324_708:
	s_mov_b32 s17, 0
.LBB324_709:
	s_delay_alu instid0(SALU_CYCLE_1)
	s_and_b32 vcc_lo, exec_lo, s17
	s_cbranch_vccz .LBB324_752
; %bb.710:
	s_cmp_gt_i32 s2, 22
	s_cbranch_scc0 .LBB324_724
; %bb.711:
	s_cmp_lt_i32 s2, 24
	s_cbranch_scc1 .LBB324_725
; %bb.712:
	s_cmp_gt_i32 s2, 24
	s_cbranch_scc0 .LBB324_726
; %bb.713:
	s_wait_loadcnt 0x0
	global_load_u8 v1, v[4:5], off
	s_mov_b32 s1, 0
	s_mov_b32 s17, exec_lo
	s_wait_loadcnt 0x0
	v_cmpx_lt_i16_e32 0x7f, v1
	s_xor_b32 s17, exec_lo, s17
	s_cbranch_execz .LBB324_717
; %bb.714:
	s_mov_b32 s1, -1
	s_mov_b32 s28, exec_lo
	v_cmpx_eq_u16_e32 0x80, v1
; %bb.715:
	s_xor_b32 s1, exec_lo, -1
; %bb.716:
	s_or_b32 exec_lo, exec_lo, s28
	s_delay_alu instid0(SALU_CYCLE_1)
	s_and_b32 s1, s1, exec_lo
.LBB324_717:
	s_or_saveexec_b32 s17, s17
	v_mov_b32_e32 v3, 0x7f800001
	v_and_b32_e32 v6, 0xffff, v1
	s_xor_b32 exec_lo, exec_lo, s17
; %bb.718:
	v_cmp_ne_u16_e32 vcc_lo, 0, v1
	s_delay_alu instid0(VALU_DEP_2) | instskip(SKIP_2) | instid1(SALU_CYCLE_1)
	v_mov_b32_e32 v3, v6
	s_and_not1_b32 s1, s1, exec_lo
	s_and_b32 s28, vcc_lo, exec_lo
	s_or_b32 s1, s1, s28
; %bb.719:
	s_or_b32 exec_lo, exec_lo, s17
	s_and_saveexec_b32 s17, s1
	s_cbranch_execz .LBB324_721
; %bb.720:
	v_and_b32_e32 v1, 3, v6
	s_delay_alu instid0(VALU_DEP_1) | instskip(NEXT) | instid1(VALU_DEP_1)
	v_clz_i32_u32_e32 v3, v1
	v_min_u32_e32 v3, 32, v3
	s_delay_alu instid0(VALU_DEP_1) | instskip(NEXT) | instid1(VALU_DEP_1)
	v_subrev_nc_u32_e32 v7, 29, v3
	v_lshlrev_b32_e32 v7, v7, v6
	v_bfe_u32 v6, v6, 2, 5
	s_delay_alu instid0(VALU_DEP_2) | instskip(NEXT) | instid1(VALU_DEP_2)
	v_and_b32_e32 v7, 3, v7
	v_cmp_eq_u32_e32 vcc_lo, 0, v6
	s_delay_alu instid0(VALU_DEP_2) | instskip(NEXT) | instid1(VALU_DEP_1)
	v_cndmask_b32_e32 v1, v1, v7, vcc_lo
	v_dual_sub_nc_u32 v3, 30, v3 :: v_dual_lshlrev_b32 v1, 21, v1
	s_delay_alu instid0(VALU_DEP_1) | instskip(NEXT) | instid1(VALU_DEP_1)
	v_cndmask_b32_e32 v3, v6, v3, vcc_lo
	v_lshl_or_b32 v1, v3, 23, v1
	s_delay_alu instid0(VALU_DEP_1)
	v_add_nc_u32_e32 v3, 0x37800000, v1
.LBB324_721:
	s_or_b32 exec_lo, exec_lo, s17
	s_delay_alu instid0(VALU_DEP_1) | instskip(SKIP_1) | instid1(VALU_DEP_1)
	v_dual_mov_b32 v1, 0xff :: v_dual_lshrrev_b32 v6, 23, v3
	s_mov_b32 s17, exec_lo
	v_cmpx_ne_u32_e32 0xff, v6
; %bb.722:
	v_and_b32_e32 v1, 0x400000, v3
	v_and_or_b32 v3, 0x3fffff, v3, v6
	s_delay_alu instid0(VALU_DEP_2) | instskip(NEXT) | instid1(VALU_DEP_2)
	v_cmp_ne_u32_e32 vcc_lo, 0, v1
	v_cmp_ne_u32_e64 s1, 0, v3
	s_and_b32 s1, vcc_lo, s1
	s_delay_alu instid0(SALU_CYCLE_1) | instskip(NEXT) | instid1(VALU_DEP_1)
	v_cndmask_b32_e64 v1, 0, 1, s1
	v_add_nc_u32_e32 v1, v6, v1
; %bb.723:
	s_or_b32 exec_lo, exec_lo, s17
	s_mov_b32 s1, 0
	s_branch .LBB324_727
.LBB324_724:
	s_mov_b32 s17, -1
                                        ; implicit-def: $vgpr1
	s_branch .LBB324_737
.LBB324_725:
	s_mov_b32 s1, -1
                                        ; implicit-def: $vgpr1
	s_branch .LBB324_732
.LBB324_726:
	s_mov_b32 s1, -1
                                        ; implicit-def: $vgpr1
.LBB324_727:
	s_delay_alu instid0(SALU_CYCLE_1)
	s_and_b32 vcc_lo, exec_lo, s1
	s_cbranch_vccz .LBB324_731
; %bb.728:
	s_wait_loadcnt 0x0
	global_load_u8 v1, v[4:5], off
	s_mov_b32 s17, exec_lo
	s_wait_loadcnt 0x0
	v_lshlrev_b32_e32 v1, 24, v1
	s_delay_alu instid0(VALU_DEP_1) | instskip(NEXT) | instid1(VALU_DEP_1)
	v_and_b32_e32 v1, 0x7f000000, v1
	v_clz_i32_u32_e32 v3, v1
	v_cmp_ne_u32_e32 vcc_lo, 0, v1
	v_add_nc_u32_e32 v7, 0x1000000, v1
	s_delay_alu instid0(VALU_DEP_3) | instskip(NEXT) | instid1(VALU_DEP_1)
	v_min_u32_e32 v3, 32, v3
	v_sub_nc_u32_e64 v3, v3, 4 clamp
	s_delay_alu instid0(VALU_DEP_1) | instskip(NEXT) | instid1(VALU_DEP_1)
	v_dual_mov_b32 v1, 0xff :: v_dual_lshlrev_b32 v6, v3, v1
	v_dual_lshlrev_b32 v3, 23, v3 :: v_dual_lshrrev_b32 v6, 4, v6
	s_delay_alu instid0(VALU_DEP_1) | instskip(SKIP_1) | instid1(VALU_DEP_2)
	v_sub_nc_u32_e32 v3, v6, v3
	v_ashrrev_i32_e32 v6, 8, v7
	v_add_nc_u32_e32 v3, 0x3c000000, v3
	s_delay_alu instid0(VALU_DEP_1) | instskip(NEXT) | instid1(VALU_DEP_1)
	v_and_or_b32 v3, 0x7f800000, v6, v3
	v_cndmask_b32_e32 v6, 0, v3, vcc_lo
	s_delay_alu instid0(VALU_DEP_1) | instskip(SKIP_1) | instid1(VALU_DEP_1)
	v_lshrrev_b32_e32 v3, 23, v6
	s_wait_xcnt 0x0
	v_cmpx_ne_u32_e32 0xff, v3
; %bb.729:
	v_and_b32_e32 v1, 0x400000, v6
	v_and_or_b32 v6, 0x3fffff, v6, v3
	s_delay_alu instid0(VALU_DEP_2) | instskip(NEXT) | instid1(VALU_DEP_2)
	v_cmp_ne_u32_e32 vcc_lo, 0, v1
	v_cmp_ne_u32_e64 s1, 0, v6
	s_and_b32 s1, vcc_lo, s1
	s_delay_alu instid0(SALU_CYCLE_1) | instskip(NEXT) | instid1(VALU_DEP_1)
	v_cndmask_b32_e64 v1, 0, 1, s1
	v_add_nc_u32_e32 v1, v3, v1
; %bb.730:
	s_or_b32 exec_lo, exec_lo, s17
.LBB324_731:
	s_mov_b32 s1, 0
.LBB324_732:
	s_delay_alu instid0(SALU_CYCLE_1)
	s_and_not1_b32 vcc_lo, exec_lo, s1
	s_cbranch_vccnz .LBB324_736
; %bb.733:
	s_wait_loadcnt 0x0
	global_load_u8 v1, v[4:5], off
	s_mov_b32 s17, exec_lo
	s_wait_loadcnt 0x0
	v_dual_lshlrev_b32 v3, 25, v1 :: v_dual_lshlrev_b32 v1, 8, v1
	s_delay_alu instid0(VALU_DEP_1) | instskip(NEXT) | instid1(VALU_DEP_2)
	v_cmp_gt_u32_e32 vcc_lo, 0x8000000, v3
	v_and_or_b32 v1, 0x7f00, v1, 0.5
	s_delay_alu instid0(VALU_DEP_1) | instskip(NEXT) | instid1(VALU_DEP_1)
	v_dual_add_f32 v1, -0.5, v1 :: v_dual_lshrrev_b32 v6, 4, v3
	v_or_b32_e32 v6, 0x70000000, v6
	s_delay_alu instid0(VALU_DEP_1) | instskip(NEXT) | instid1(VALU_DEP_1)
	v_mul_f32_e32 v6, 0x7800000, v6
	v_cndmask_b32_e32 v3, v6, v1, vcc_lo
	v_mov_b32_e32 v1, 0xff
	s_delay_alu instid0(VALU_DEP_2) | instskip(SKIP_1) | instid1(VALU_DEP_1)
	v_bfe_u32 v6, v3, 23, 8
	s_wait_xcnt 0x0
	v_cmpx_ne_u32_e32 0xff, v6
	s_cbranch_execz .LBB324_735
; %bb.734:
	v_and_b32_e32 v1, 0x400000, v3
	v_and_or_b32 v6, 0x3fffff, v3, v6
	s_delay_alu instid0(VALU_DEP_2) | instskip(NEXT) | instid1(VALU_DEP_2)
	v_cmp_ne_u32_e32 vcc_lo, 0, v1
	v_cmp_ne_u32_e64 s1, 0, v6
	v_lshrrev_b32_e32 v1, 23, v3
	s_and_b32 s1, vcc_lo, s1
	s_delay_alu instid0(SALU_CYCLE_1) | instskip(NEXT) | instid1(VALU_DEP_1)
	v_cndmask_b32_e64 v3, 0, 1, s1
	v_add_nc_u32_e32 v1, v1, v3
.LBB324_735:
	s_or_b32 exec_lo, exec_lo, s17
.LBB324_736:
	s_mov_b32 s17, 0
	s_mov_b32 s1, -1
.LBB324_737:
	s_and_not1_b32 vcc_lo, exec_lo, s17
	s_cbranch_vccnz .LBB324_752
; %bb.738:
	s_cmp_gt_i32 s2, 14
	s_cbranch_scc0 .LBB324_743
; %bb.739:
	s_cmp_eq_u32 s2, 15
	s_cbranch_scc0 .LBB324_744
; %bb.740:
	global_load_u16 v3, v[4:5], off
	s_wait_loadcnt 0x1
	v_mov_b32_e32 v1, 0xff
	s_mov_b32 s16, exec_lo
	s_wait_loadcnt 0x0
	v_bfe_u32 v6, v3, 7, 8
	s_wait_xcnt 0x0
	s_delay_alu instid0(VALU_DEP_1)
	v_cmpx_ne_u32_e32 0xff, v6
	s_cbranch_execz .LBB324_742
; %bb.741:
	v_dual_lshlrev_b32 v1, 16, v3 :: v_dual_bitop2_b32 v7, 64, v3 bitop3:0x40
	s_delay_alu instid0(VALU_DEP_1) | instskip(NEXT) | instid1(VALU_DEP_2)
	v_and_or_b32 v1, 0x3f0000, v1, v6
	v_cmp_ne_u32_e32 vcc_lo, 0, v7
	s_delay_alu instid0(VALU_DEP_2) | instskip(SKIP_2) | instid1(SALU_CYCLE_1)
	v_cmp_ne_u32_e64 s1, 0, v1
	v_lshrrev_b32_e32 v1, 7, v3
	s_and_b32 s1, vcc_lo, s1
	v_cndmask_b32_e64 v3, 0, 1, s1
	s_delay_alu instid0(VALU_DEP_1)
	v_add_nc_u32_e32 v1, v1, v3
.LBB324_742:
	s_or_b32 exec_lo, exec_lo, s16
	s_mov_b32 s1, -1
	s_mov_b32 s16, 0
	s_branch .LBB324_745
.LBB324_743:
	s_mov_b32 s17, -1
                                        ; implicit-def: $vgpr1
	s_branch .LBB324_746
.LBB324_744:
	s_mov_b32 s16, -1
                                        ; implicit-def: $vgpr1
.LBB324_745:
	s_mov_b32 s17, 0
.LBB324_746:
	s_delay_alu instid0(SALU_CYCLE_1)
	s_and_b32 vcc_lo, exec_lo, s17
	s_cbranch_vccz .LBB324_752
; %bb.747:
	s_cmp_eq_u32 s2, 11
	s_cbranch_scc0 .LBB324_751
; %bb.748:
	s_wait_loadcnt 0x0
	global_load_u8 v1, v[4:5], off
	s_mov_b32 s16, 0
	s_mov_b32 s17, exec_lo
	s_wait_loadcnt 0x0
	v_cmp_ne_u16_e32 vcc_lo, 0, v1
	v_mov_b32_e32 v1, 0xff
	v_cndmask_b32_e64 v6, 0, 1.0, vcc_lo
	s_delay_alu instid0(VALU_DEP_1) | instskip(SKIP_1) | instid1(VALU_DEP_1)
	v_lshrrev_b32_e32 v3, 23, v6
	s_wait_xcnt 0x0
	v_cmpx_ne_u32_e32 0xff, v3
; %bb.749:
	v_and_b32_e32 v1, 0x400000, v6
	v_and_or_b32 v6, 0x3fffff, v6, v3
	s_delay_alu instid0(VALU_DEP_2) | instskip(NEXT) | instid1(VALU_DEP_2)
	v_cmp_ne_u32_e32 vcc_lo, 0, v1
	v_cmp_ne_u32_e64 s1, 0, v6
	s_and_b32 s1, vcc_lo, s1
	s_delay_alu instid0(SALU_CYCLE_1) | instskip(NEXT) | instid1(VALU_DEP_1)
	v_cndmask_b32_e64 v1, 0, 1, s1
	v_add_nc_u32_e32 v1, v3, v1
; %bb.750:
	s_or_b32 exec_lo, exec_lo, s17
	s_mov_b32 s1, -1
	s_branch .LBB324_752
.LBB324_751:
	s_mov_b32 s16, -1
                                        ; implicit-def: $vgpr1
.LBB324_752:
	s_mov_b32 s17, 0
.LBB324_753:
	s_delay_alu instid0(SALU_CYCLE_1)
	s_and_b32 vcc_lo, exec_lo, s17
	s_cbranch_vccz .LBB324_824
; %bb.754:
	s_cmp_lt_i32 s2, 5
	s_cbranch_scc1 .LBB324_761
; %bb.755:
	s_cmp_lt_i32 s2, 8
	s_cbranch_scc1 .LBB324_762
	;; [unrolled: 3-line block ×3, first 2 shown]
; %bb.757:
	s_cmp_gt_i32 s2, 9
	s_cbranch_scc0 .LBB324_764
; %bb.758:
	global_load_b64 v[6:7], v[4:5], off
	s_wait_loadcnt 0x1
	v_mov_b32_e32 v1, 0xff
	s_mov_b32 s17, exec_lo
	s_wait_loadcnt 0x0
	v_cvt_f32_f64_e32 v3, v[6:7]
	s_delay_alu instid0(VALU_DEP_1) | instskip(SKIP_1) | instid1(VALU_DEP_1)
	v_bfe_u32 v6, v3, 23, 8
	s_wait_xcnt 0x0
	v_cmpx_ne_u32_e32 0xff, v6
	s_cbranch_execz .LBB324_760
; %bb.759:
	v_and_b32_e32 v1, 0x400000, v3
	v_and_or_b32 v6, 0x3fffff, v3, v6
	s_delay_alu instid0(VALU_DEP_2) | instskip(NEXT) | instid1(VALU_DEP_2)
	v_cmp_ne_u32_e32 vcc_lo, 0, v1
	v_cmp_ne_u32_e64 s1, 0, v6
	v_lshrrev_b32_e32 v1, 23, v3
	s_and_b32 s1, vcc_lo, s1
	s_delay_alu instid0(SALU_CYCLE_1) | instskip(NEXT) | instid1(VALU_DEP_1)
	v_cndmask_b32_e64 v3, 0, 1, s1
	v_add_nc_u32_e32 v1, v1, v3
.LBB324_760:
	s_or_b32 exec_lo, exec_lo, s17
	s_mov_b32 s1, 0
	s_branch .LBB324_765
.LBB324_761:
	s_mov_b32 s1, -1
                                        ; implicit-def: $vgpr1
	s_branch .LBB324_793
.LBB324_762:
	s_mov_b32 s1, -1
                                        ; implicit-def: $vgpr1
	s_branch .LBB324_775
.LBB324_763:
	s_mov_b32 s1, -1
                                        ; implicit-def: $vgpr1
	s_branch .LBB324_770
.LBB324_764:
	s_mov_b32 s1, -1
                                        ; implicit-def: $vgpr1
.LBB324_765:
	s_delay_alu instid0(SALU_CYCLE_1)
	s_and_not1_b32 vcc_lo, exec_lo, s1
	s_cbranch_vccnz .LBB324_769
; %bb.766:
	global_load_b32 v3, v[4:5], off
	s_wait_loadcnt 0x1
	v_mov_b32_e32 v1, 0xff
	s_mov_b32 s17, exec_lo
	s_wait_loadcnt 0x0
	v_bfe_u32 v6, v3, 23, 8
	s_wait_xcnt 0x0
	s_delay_alu instid0(VALU_DEP_1)
	v_cmpx_ne_u32_e32 0xff, v6
	s_cbranch_execz .LBB324_768
; %bb.767:
	v_and_b32_e32 v1, 0x400000, v3
	v_and_or_b32 v6, 0x3fffff, v3, v6
	s_delay_alu instid0(VALU_DEP_2) | instskip(NEXT) | instid1(VALU_DEP_2)
	v_cmp_ne_u32_e32 vcc_lo, 0, v1
	v_cmp_ne_u32_e64 s1, 0, v6
	v_lshrrev_b32_e32 v1, 23, v3
	s_and_b32 s1, vcc_lo, s1
	s_delay_alu instid0(SALU_CYCLE_1) | instskip(NEXT) | instid1(VALU_DEP_1)
	v_cndmask_b32_e64 v3, 0, 1, s1
	v_add_nc_u32_e32 v1, v1, v3
.LBB324_768:
	s_or_b32 exec_lo, exec_lo, s17
.LBB324_769:
	s_mov_b32 s1, 0
.LBB324_770:
	s_delay_alu instid0(SALU_CYCLE_1)
	s_and_not1_b32 vcc_lo, exec_lo, s1
	s_cbranch_vccnz .LBB324_774
; %bb.771:
	s_wait_loadcnt 0x0
	global_load_b32 v1, v[4:5], off
	s_mov_b32 s17, exec_lo
	s_wait_loadcnt 0x0
	v_cvt_f32_f16_e32 v3, v1
	v_mov_b32_e32 v1, 0xff
	s_delay_alu instid0(VALU_DEP_2) | instskip(SKIP_1) | instid1(VALU_DEP_1)
	v_bfe_u32 v6, v3, 23, 8
	s_wait_xcnt 0x0
	v_cmpx_ne_u32_e32 0xff, v6
	s_cbranch_execz .LBB324_773
; %bb.772:
	v_and_b32_e32 v1, 0x400000, v3
	v_and_or_b32 v6, 0x3fffff, v3, v6
	s_delay_alu instid0(VALU_DEP_2) | instskip(NEXT) | instid1(VALU_DEP_2)
	v_cmp_ne_u32_e32 vcc_lo, 0, v1
	v_cmp_ne_u32_e64 s1, 0, v6
	v_lshrrev_b32_e32 v1, 23, v3
	s_and_b32 s1, vcc_lo, s1
	s_delay_alu instid0(SALU_CYCLE_1) | instskip(NEXT) | instid1(VALU_DEP_1)
	v_cndmask_b32_e64 v3, 0, 1, s1
	v_add_nc_u32_e32 v1, v1, v3
.LBB324_773:
	s_or_b32 exec_lo, exec_lo, s17
.LBB324_774:
	s_mov_b32 s1, 0
.LBB324_775:
	s_delay_alu instid0(SALU_CYCLE_1)
	s_and_not1_b32 vcc_lo, exec_lo, s1
	s_cbranch_vccnz .LBB324_792
; %bb.776:
	s_cmp_lt_i32 s2, 6
	s_cbranch_scc1 .LBB324_781
; %bb.777:
	s_cmp_gt_i32 s2, 6
	s_cbranch_scc0 .LBB324_782
; %bb.778:
	global_load_b64 v[6:7], v[4:5], off
	s_wait_loadcnt 0x1
	v_mov_b32_e32 v1, 0xff
	s_mov_b32 s17, exec_lo
	s_wait_loadcnt 0x0
	v_cvt_f32_f64_e32 v3, v[6:7]
	s_delay_alu instid0(VALU_DEP_1) | instskip(SKIP_1) | instid1(VALU_DEP_1)
	v_bfe_u32 v6, v3, 23, 8
	s_wait_xcnt 0x0
	v_cmpx_ne_u32_e32 0xff, v6
	s_cbranch_execz .LBB324_780
; %bb.779:
	v_and_b32_e32 v1, 0x400000, v3
	v_and_or_b32 v6, 0x3fffff, v3, v6
	s_delay_alu instid0(VALU_DEP_2) | instskip(NEXT) | instid1(VALU_DEP_2)
	v_cmp_ne_u32_e32 vcc_lo, 0, v1
	v_cmp_ne_u32_e64 s1, 0, v6
	v_lshrrev_b32_e32 v1, 23, v3
	s_and_b32 s1, vcc_lo, s1
	s_delay_alu instid0(SALU_CYCLE_1) | instskip(NEXT) | instid1(VALU_DEP_1)
	v_cndmask_b32_e64 v3, 0, 1, s1
	v_add_nc_u32_e32 v1, v1, v3
.LBB324_780:
	s_or_b32 exec_lo, exec_lo, s17
	s_mov_b32 s1, 0
	s_branch .LBB324_783
.LBB324_781:
	s_mov_b32 s1, -1
                                        ; implicit-def: $vgpr1
	s_branch .LBB324_788
.LBB324_782:
	s_mov_b32 s1, -1
                                        ; implicit-def: $vgpr1
.LBB324_783:
	s_delay_alu instid0(SALU_CYCLE_1)
	s_and_not1_b32 vcc_lo, exec_lo, s1
	s_cbranch_vccnz .LBB324_787
; %bb.784:
	global_load_b32 v3, v[4:5], off
	s_wait_loadcnt 0x1
	v_mov_b32_e32 v1, 0xff
	s_mov_b32 s17, exec_lo
	s_wait_loadcnt 0x0
	v_bfe_u32 v6, v3, 23, 8
	s_wait_xcnt 0x0
	s_delay_alu instid0(VALU_DEP_1)
	v_cmpx_ne_u32_e32 0xff, v6
	s_cbranch_execz .LBB324_786
; %bb.785:
	v_and_b32_e32 v1, 0x400000, v3
	v_and_or_b32 v6, 0x3fffff, v3, v6
	s_delay_alu instid0(VALU_DEP_2) | instskip(NEXT) | instid1(VALU_DEP_2)
	v_cmp_ne_u32_e32 vcc_lo, 0, v1
	v_cmp_ne_u32_e64 s1, 0, v6
	v_lshrrev_b32_e32 v1, 23, v3
	s_and_b32 s1, vcc_lo, s1
	s_delay_alu instid0(SALU_CYCLE_1) | instskip(NEXT) | instid1(VALU_DEP_1)
	v_cndmask_b32_e64 v3, 0, 1, s1
	v_add_nc_u32_e32 v1, v1, v3
.LBB324_786:
	s_or_b32 exec_lo, exec_lo, s17
.LBB324_787:
	s_mov_b32 s1, 0
.LBB324_788:
	s_delay_alu instid0(SALU_CYCLE_1)
	s_and_not1_b32 vcc_lo, exec_lo, s1
	s_cbranch_vccnz .LBB324_792
; %bb.789:
	s_wait_loadcnt 0x0
	global_load_u16 v1, v[4:5], off
	s_mov_b32 s17, exec_lo
	s_wait_loadcnt 0x0
	v_cvt_f32_f16_e32 v3, v1
	v_mov_b32_e32 v1, 0xff
	s_delay_alu instid0(VALU_DEP_2) | instskip(SKIP_1) | instid1(VALU_DEP_1)
	v_bfe_u32 v6, v3, 23, 8
	s_wait_xcnt 0x0
	v_cmpx_ne_u32_e32 0xff, v6
	s_cbranch_execz .LBB324_791
; %bb.790:
	v_and_b32_e32 v1, 0x400000, v3
	v_and_or_b32 v6, 0x3fffff, v3, v6
	s_delay_alu instid0(VALU_DEP_2) | instskip(NEXT) | instid1(VALU_DEP_2)
	v_cmp_ne_u32_e32 vcc_lo, 0, v1
	v_cmp_ne_u32_e64 s1, 0, v6
	v_lshrrev_b32_e32 v1, 23, v3
	s_and_b32 s1, vcc_lo, s1
	s_delay_alu instid0(SALU_CYCLE_1) | instskip(NEXT) | instid1(VALU_DEP_1)
	v_cndmask_b32_e64 v3, 0, 1, s1
	v_add_nc_u32_e32 v1, v1, v3
.LBB324_791:
	s_or_b32 exec_lo, exec_lo, s17
.LBB324_792:
	s_mov_b32 s1, 0
.LBB324_793:
	s_delay_alu instid0(SALU_CYCLE_1)
	s_and_not1_b32 vcc_lo, exec_lo, s1
	s_cbranch_vccnz .LBB324_823
; %bb.794:
	s_cmp_lt_i32 s2, 2
	s_cbranch_scc1 .LBB324_800
; %bb.795:
	s_cmp_lt_i32 s2, 3
	s_cbranch_scc1 .LBB324_801
; %bb.796:
	s_cmp_gt_i32 s2, 3
	s_cbranch_scc0 .LBB324_802
; %bb.797:
	global_load_b64 v[6:7], v[4:5], off
	s_mov_b32 s17, exec_lo
	s_wait_loadcnt 0x0
	v_xor_b32_e32 v1, v6, v7
	v_cls_i32_e32 v3, v7
	s_delay_alu instid0(VALU_DEP_2) | instskip(NEXT) | instid1(VALU_DEP_1)
	v_ashrrev_i32_e32 v1, 31, v1
	v_add_nc_u32_e32 v1, 32, v1
	s_delay_alu instid0(VALU_DEP_1) | instskip(NEXT) | instid1(VALU_DEP_1)
	v_add_min_u32_e64 v1, v3, -1, v1
	v_lshlrev_b64_e32 v[6:7], v1, v[6:7]
	v_sub_nc_u32_e32 v1, 32, v1
	s_delay_alu instid0(VALU_DEP_2) | instskip(NEXT) | instid1(VALU_DEP_1)
	v_min_u32_e32 v3, 1, v6
	v_or_b32_e32 v3, v7, v3
	s_delay_alu instid0(VALU_DEP_1) | instskip(NEXT) | instid1(VALU_DEP_1)
	v_cvt_f32_i32_e32 v3, v3
	v_ldexp_f32 v3, v3, v1
	v_mov_b32_e32 v1, 0xff
	s_delay_alu instid0(VALU_DEP_2) | instskip(SKIP_1) | instid1(VALU_DEP_1)
	v_bfe_u32 v6, v3, 23, 8
	s_wait_xcnt 0x0
	v_cmpx_ne_u32_e32 0xff, v6
	s_cbranch_execz .LBB324_799
; %bb.798:
	v_and_b32_e32 v1, 0x400000, v3
	v_and_or_b32 v6, 0x3fffff, v3, v6
	s_delay_alu instid0(VALU_DEP_2) | instskip(NEXT) | instid1(VALU_DEP_2)
	v_cmp_ne_u32_e32 vcc_lo, 0, v1
	v_cmp_ne_u32_e64 s1, 0, v6
	v_lshrrev_b32_e32 v1, 23, v3
	s_and_b32 s1, vcc_lo, s1
	s_delay_alu instid0(SALU_CYCLE_1) | instskip(NEXT) | instid1(VALU_DEP_1)
	v_cndmask_b32_e64 v3, 0, 1, s1
	v_add_nc_u32_e32 v1, v1, v3
.LBB324_799:
	s_or_b32 exec_lo, exec_lo, s17
	s_mov_b32 s1, 0
	s_branch .LBB324_803
.LBB324_800:
	s_mov_b32 s1, -1
                                        ; implicit-def: $vgpr1
	s_branch .LBB324_813
.LBB324_801:
	s_mov_b32 s1, -1
                                        ; implicit-def: $vgpr1
	s_branch .LBB324_808
.LBB324_802:
	s_mov_b32 s1, -1
                                        ; implicit-def: $vgpr1
.LBB324_803:
	s_delay_alu instid0(SALU_CYCLE_1)
	s_and_not1_b32 vcc_lo, exec_lo, s1
	s_cbranch_vccnz .LBB324_807
; %bb.804:
	s_wait_loadcnt 0x0
	global_load_b32 v1, v[4:5], off
	s_mov_b32 s17, exec_lo
	s_wait_loadcnt 0x0
	v_cvt_f32_i32_e32 v3, v1
	v_mov_b32_e32 v1, 0xff
	s_delay_alu instid0(VALU_DEP_2) | instskip(SKIP_1) | instid1(VALU_DEP_1)
	v_bfe_u32 v6, v3, 23, 8
	s_wait_xcnt 0x0
	v_cmpx_ne_u32_e32 0xff, v6
	s_cbranch_execz .LBB324_806
; %bb.805:
	v_and_b32_e32 v1, 0x400000, v3
	v_and_or_b32 v6, 0x3fffff, v3, v6
	s_delay_alu instid0(VALU_DEP_2) | instskip(NEXT) | instid1(VALU_DEP_2)
	v_cmp_ne_u32_e32 vcc_lo, 0, v1
	v_cmp_ne_u32_e64 s1, 0, v6
	v_lshrrev_b32_e32 v1, 23, v3
	s_and_b32 s1, vcc_lo, s1
	s_delay_alu instid0(SALU_CYCLE_1) | instskip(NEXT) | instid1(VALU_DEP_1)
	v_cndmask_b32_e64 v3, 0, 1, s1
	v_add_nc_u32_e32 v1, v1, v3
.LBB324_806:
	s_or_b32 exec_lo, exec_lo, s17
.LBB324_807:
	s_mov_b32 s1, 0
.LBB324_808:
	s_delay_alu instid0(SALU_CYCLE_1)
	s_and_not1_b32 vcc_lo, exec_lo, s1
	s_cbranch_vccnz .LBB324_812
; %bb.809:
	s_wait_loadcnt 0x0
	global_load_i16 v1, v[4:5], off
	s_mov_b32 s17, exec_lo
	s_wait_loadcnt 0x0
	v_cvt_f32_i32_e32 v3, v1
	v_mov_b32_e32 v1, 0xff
	s_delay_alu instid0(VALU_DEP_2) | instskip(SKIP_1) | instid1(VALU_DEP_1)
	v_bfe_u32 v6, v3, 23, 8
	s_wait_xcnt 0x0
	v_cmpx_ne_u32_e32 0xff, v6
	s_cbranch_execz .LBB324_811
; %bb.810:
	v_and_b32_e32 v1, 0x400000, v3
	v_and_or_b32 v6, 0x3fffff, v3, v6
	s_delay_alu instid0(VALU_DEP_2) | instskip(NEXT) | instid1(VALU_DEP_2)
	v_cmp_ne_u32_e32 vcc_lo, 0, v1
	v_cmp_ne_u32_e64 s1, 0, v6
	v_lshrrev_b32_e32 v1, 23, v3
	s_and_b32 s1, vcc_lo, s1
	s_delay_alu instid0(SALU_CYCLE_1) | instskip(NEXT) | instid1(VALU_DEP_1)
	v_cndmask_b32_e64 v3, 0, 1, s1
	v_add_nc_u32_e32 v1, v1, v3
.LBB324_811:
	s_or_b32 exec_lo, exec_lo, s17
.LBB324_812:
	s_mov_b32 s1, 0
.LBB324_813:
	s_delay_alu instid0(SALU_CYCLE_1)
	s_and_not1_b32 vcc_lo, exec_lo, s1
	s_cbranch_vccnz .LBB324_823
; %bb.814:
	s_cmp_gt_i32 s2, 0
	s_cbranch_scc0 .LBB324_818
; %bb.815:
	s_wait_loadcnt 0x0
	global_load_i8 v1, v[4:5], off
	s_mov_b32 s2, exec_lo
	s_wait_loadcnt 0x0
	v_cvt_f32_i32_e32 v3, v1
	v_mov_b32_e32 v1, 0xff
	s_delay_alu instid0(VALU_DEP_2) | instskip(SKIP_1) | instid1(VALU_DEP_1)
	v_bfe_u32 v6, v3, 23, 8
	s_wait_xcnt 0x0
	v_cmpx_ne_u32_e32 0xff, v6
	s_cbranch_execz .LBB324_817
; %bb.816:
	v_and_b32_e32 v1, 0x400000, v3
	v_and_or_b32 v6, 0x3fffff, v3, v6
	s_delay_alu instid0(VALU_DEP_2) | instskip(NEXT) | instid1(VALU_DEP_2)
	v_cmp_ne_u32_e32 vcc_lo, 0, v1
	v_cmp_ne_u32_e64 s1, 0, v6
	v_lshrrev_b32_e32 v1, 23, v3
	s_and_b32 s1, vcc_lo, s1
	s_delay_alu instid0(SALU_CYCLE_1) | instskip(NEXT) | instid1(VALU_DEP_1)
	v_cndmask_b32_e64 v3, 0, 1, s1
	v_add_nc_u32_e32 v1, v1, v3
.LBB324_817:
	s_or_b32 exec_lo, exec_lo, s2
	s_mov_b32 s1, 0
	s_branch .LBB324_819
.LBB324_818:
	s_mov_b32 s1, -1
                                        ; implicit-def: $vgpr1
.LBB324_819:
	s_delay_alu instid0(SALU_CYCLE_1)
	s_and_not1_b32 vcc_lo, exec_lo, s1
	s_cbranch_vccnz .LBB324_823
; %bb.820:
	s_wait_loadcnt 0x0
	global_load_u8 v1, v[4:5], off
	s_mov_b32 s2, exec_lo
	s_wait_loadcnt 0x0
	v_cvt_f32_ubyte0_e32 v4, v1
	v_mov_b32_e32 v1, 0xff
	s_delay_alu instid0(VALU_DEP_2) | instskip(NEXT) | instid1(VALU_DEP_1)
	v_lshrrev_b32_e32 v3, 23, v4
	v_cmpx_ne_u32_e32 0xff, v3
; %bb.821:
	v_and_b32_e32 v1, 0x400000, v4
	v_and_or_b32 v4, 0x3fffff, v4, v3
	s_delay_alu instid0(VALU_DEP_2) | instskip(NEXT) | instid1(VALU_DEP_2)
	v_cmp_ne_u32_e32 vcc_lo, 0, v1
	v_cmp_ne_u32_e64 s1, 0, v4
	s_and_b32 s1, vcc_lo, s1
	s_delay_alu instid0(SALU_CYCLE_1) | instskip(NEXT) | instid1(VALU_DEP_1)
	v_cndmask_b32_e64 v1, 0, 1, s1
	v_add_nc_u32_e32 v1, v3, v1
; %bb.822:
	s_or_b32 exec_lo, exec_lo, s2
.LBB324_823:
	s_mov_b32 s1, -1
.LBB324_824:
	s_delay_alu instid0(SALU_CYCLE_1)
	s_and_not1_b32 vcc_lo, exec_lo, s1
	s_cbranch_vccnz .LBB324_832
; %bb.825:
	s_wait_loadcnt 0x0
	v_and_b32_e32 v1, 0xff, v1
	s_and_b32 s17, s18, 0xff
	s_mov_b32 s29, 0
	s_mov_b32 s28, -1
	s_cmp_lt_i32 s17, 11
	v_lshlrev_b32_e32 v3, 23, v1
	v_cmp_ne_u16_e32 vcc_lo, 0xff, v1
	s_mov_b32 s2, s46
	s_delay_alu instid0(VALU_DEP_2) | instskip(SKIP_1) | instid1(VALU_DEP_2)
	v_cndmask_b32_e32 v3, 0x7f800001, v3, vcc_lo
	v_cmp_ne_u16_e32 vcc_lo, 0, v1
	v_cndmask_b32_e32 v1, 0x400000, v3, vcc_lo
	s_delay_alu instid0(VALU_DEP_1) | instskip(SKIP_3) | instid1(VALU_DEP_1)
	v_cmp_eq_f32_e32 vcc_lo, s9, v1
	v_cndmask_b32_e64 v3, 0, 1, vcc_lo
	v_cmp_neq_f32_e32 vcc_lo, s9, v1
	v_cndmask_b32_e64 v1, 0, 1, vcc_lo
	v_dual_cndmask_b32 v1, v1, v3, s0 :: v_dual_mov_b32 v3, 0
	s_delay_alu instid0(VALU_DEP_1) | instskip(NEXT) | instid1(VALU_DEP_2)
	v_and_b32_e32 v1, 1, v1
	v_add_nc_u64_e32 v[2:3], s[4:5], v[2:3]
	s_delay_alu instid0(VALU_DEP_2)
	v_cmp_eq_u32_e64 s1, 1, v1
	s_cbranch_scc1 .LBB324_833
; %bb.826:
	s_and_b32 s28, 0xffff, s17
	s_delay_alu instid0(SALU_CYCLE_1)
	s_cmp_gt_i32 s28, 25
	s_cbranch_scc0 .LBB324_874
; %bb.827:
	s_cmp_gt_i32 s28, 28
	s_cbranch_scc0 .LBB324_875
; %bb.828:
	;; [unrolled: 3-line block ×4, first 2 shown]
	s_mov_b32 s30, 0
	s_mov_b32 s2, -1
	s_cmp_eq_u32 s28, 46
	s_cbranch_scc0 .LBB324_878
; %bb.831:
	v_cndmask_b32_e64 v1, 0, 1.0, s1
	s_mov_b32 s29, -1
	s_mov_b32 s2, 0
	s_wait_xcnt 0x0
	s_delay_alu instid0(VALU_DEP_1) | instskip(NEXT) | instid1(VALU_DEP_1)
	v_bfe_u32 v4, v1, 16, 1
	v_add3_u32 v1, v1, v4, 0x7fff
	s_delay_alu instid0(VALU_DEP_1)
	v_lshrrev_b32_e32 v1, 16, v1
	global_store_b32 v[2:3], v1, off
	s_branch .LBB324_878
.LBB324_832:
	s_mov_b32 s1, 0
	s_mov_b32 s2, s46
	s_branch .LBB324_873
.LBB324_833:
	s_and_b32 vcc_lo, exec_lo, s28
	s_cbranch_vccz .LBB324_947
; %bb.834:
	s_and_b32 s17, 0xffff, s17
	s_mov_b32 s28, -1
	s_cmp_lt_i32 s17, 5
	s_cbranch_scc1 .LBB324_855
; %bb.835:
	s_cmp_lt_i32 s17, 8
	s_cbranch_scc1 .LBB324_845
; %bb.836:
	;; [unrolled: 3-line block ×3, first 2 shown]
	s_cmp_gt_i32 s17, 9
	s_cbranch_scc0 .LBB324_839
; %bb.838:
	s_wait_xcnt 0x0
	v_cndmask_b32_e64 v1, 0, 1, s1
	v_mov_b32_e32 v6, 0
	s_mov_b32 s28, 0
	s_delay_alu instid0(VALU_DEP_2) | instskip(NEXT) | instid1(VALU_DEP_2)
	v_cvt_f64_u32_e32 v[4:5], v1
	v_mov_b32_e32 v7, v6
	global_store_b128 v[2:3], v[4:7], off
.LBB324_839:
	s_and_not1_b32 vcc_lo, exec_lo, s28
	s_cbranch_vccnz .LBB324_841
; %bb.840:
	s_wait_xcnt 0x0
	v_cndmask_b32_e64 v4, 0, 1.0, s1
	v_mov_b32_e32 v5, 0
	global_store_b64 v[2:3], v[4:5], off
.LBB324_841:
	s_mov_b32 s28, 0
.LBB324_842:
	s_delay_alu instid0(SALU_CYCLE_1)
	s_and_not1_b32 vcc_lo, exec_lo, s28
	s_cbranch_vccnz .LBB324_844
; %bb.843:
	s_wait_xcnt 0x0
	v_cndmask_b32_e64 v1, 0, 1.0, s1
	s_delay_alu instid0(VALU_DEP_1) | instskip(NEXT) | instid1(VALU_DEP_1)
	v_cvt_f16_f32_e32 v1, v1
	v_and_b32_e32 v1, 0xffff, v1
	global_store_b32 v[2:3], v1, off
.LBB324_844:
	s_mov_b32 s28, 0
.LBB324_845:
	s_delay_alu instid0(SALU_CYCLE_1)
	s_and_not1_b32 vcc_lo, exec_lo, s28
	s_cbranch_vccnz .LBB324_854
; %bb.846:
	s_cmp_lt_i32 s17, 6
	s_mov_b32 s28, -1
	s_cbranch_scc1 .LBB324_852
; %bb.847:
	s_cmp_gt_i32 s17, 6
	s_cbranch_scc0 .LBB324_849
; %bb.848:
	s_wait_xcnt 0x0
	v_cndmask_b32_e64 v1, 0, 1, s1
	s_mov_b32 s28, 0
	s_delay_alu instid0(VALU_DEP_1)
	v_cvt_f64_u32_e32 v[4:5], v1
	global_store_b64 v[2:3], v[4:5], off
.LBB324_849:
	s_and_not1_b32 vcc_lo, exec_lo, s28
	s_cbranch_vccnz .LBB324_851
; %bb.850:
	s_wait_xcnt 0x0
	v_cndmask_b32_e64 v1, 0, 1.0, s1
	global_store_b32 v[2:3], v1, off
.LBB324_851:
	s_mov_b32 s28, 0
.LBB324_852:
	s_delay_alu instid0(SALU_CYCLE_1)
	s_and_not1_b32 vcc_lo, exec_lo, s28
	s_cbranch_vccnz .LBB324_854
; %bb.853:
	s_wait_xcnt 0x0
	v_cndmask_b32_e64 v1, 0, 1.0, s1
	s_delay_alu instid0(VALU_DEP_1)
	v_cvt_f16_f32_e32 v1, v1
	global_store_b16 v[2:3], v1, off
.LBB324_854:
	s_mov_b32 s28, 0
.LBB324_855:
	s_delay_alu instid0(SALU_CYCLE_1)
	s_and_not1_b32 vcc_lo, exec_lo, s28
	s_cbranch_vccnz .LBB324_871
; %bb.856:
	s_cmp_lt_i32 s17, 2
	s_mov_b32 s28, -1
	s_cbranch_scc1 .LBB324_866
; %bb.857:
	s_cmp_lt_i32 s17, 3
	s_cbranch_scc1 .LBB324_863
; %bb.858:
	s_cmp_gt_i32 s17, 3
	s_cbranch_scc0 .LBB324_860
; %bb.859:
	s_mov_b32 s28, 0
	s_wait_xcnt 0x0
	v_cndmask_b32_e64 v4, 0, 1, s1
	v_mov_b32_e32 v5, s28
	global_store_b64 v[2:3], v[4:5], off
.LBB324_860:
	s_and_not1_b32 vcc_lo, exec_lo, s28
	s_cbranch_vccnz .LBB324_862
; %bb.861:
	s_wait_xcnt 0x0
	v_cndmask_b32_e64 v1, 0, 1, s1
	global_store_b32 v[2:3], v1, off
.LBB324_862:
	s_mov_b32 s28, 0
.LBB324_863:
	s_delay_alu instid0(SALU_CYCLE_1)
	s_and_not1_b32 vcc_lo, exec_lo, s28
	s_cbranch_vccnz .LBB324_865
; %bb.864:
	s_wait_xcnt 0x0
	v_cndmask_b32_e64 v1, 0, 1, s1
	global_store_b16 v[2:3], v1, off
.LBB324_865:
	s_mov_b32 s28, 0
.LBB324_866:
	s_delay_alu instid0(SALU_CYCLE_1)
	s_and_not1_b32 vcc_lo, exec_lo, s28
	s_cbranch_vccnz .LBB324_871
; %bb.867:
	s_wait_xcnt 0x0
	v_cndmask_b32_e64 v1, 0, 1, s1
	s_cmp_gt_i32 s17, 0
	s_mov_b32 s1, -1
	s_cbranch_scc0 .LBB324_869
; %bb.868:
	s_mov_b32 s1, 0
	global_store_b8 v[2:3], v1, off
.LBB324_869:
	s_and_not1_b32 vcc_lo, exec_lo, s1
	s_cbranch_vccnz .LBB324_871
; %bb.870:
	global_store_b8 v[2:3], v1, off
.LBB324_871:
	s_branch .LBB324_948
.LBB324_872:
	s_mov_b32 s1, 0
.LBB324_873:
                                        ; implicit-def: $vgpr0
	s_branch .LBB324_949
.LBB324_874:
	s_mov_b32 s30, -1
	s_mov_b32 s2, s46
	s_branch .LBB324_905
.LBB324_875:
	s_mov_b32 s30, -1
	s_mov_b32 s2, s46
	s_branch .LBB324_888
.LBB324_876:
	s_mov_b32 s30, -1
	s_mov_b32 s2, s46
	s_branch .LBB324_884
.LBB324_877:
	s_mov_b32 s30, -1
	s_mov_b32 s2, s46
.LBB324_878:
	s_and_b32 vcc_lo, exec_lo, s30
	s_cbranch_vccz .LBB324_883
; %bb.879:
	s_cmp_eq_u32 s28, 44
	s_mov_b32 s2, -1
	s_cbranch_scc0 .LBB324_883
; %bb.880:
	s_wait_xcnt 0x0
	v_cndmask_b32_e64 v5, 0, 1.0, s1
	s_mov_b32 s29, exec_lo
	s_delay_alu instid0(VALU_DEP_1) | instskip(NEXT) | instid1(VALU_DEP_1)
	v_dual_mov_b32 v4, 0xff :: v_dual_lshrrev_b32 v1, 23, v5
	v_cmpx_ne_u32_e32 0xff, v1
; %bb.881:
	v_and_b32_e32 v4, 0x400000, v5
	v_and_or_b32 v5, 0x3fffff, v5, v1
	s_delay_alu instid0(VALU_DEP_2) | instskip(NEXT) | instid1(VALU_DEP_2)
	v_cmp_ne_u32_e32 vcc_lo, 0, v4
	v_cmp_ne_u32_e64 s2, 0, v5
	s_and_b32 s2, vcc_lo, s2
	s_delay_alu instid0(SALU_CYCLE_1) | instskip(NEXT) | instid1(VALU_DEP_1)
	v_cndmask_b32_e64 v4, 0, 1, s2
	v_add_nc_u32_e32 v4, v1, v4
; %bb.882:
	s_or_b32 exec_lo, exec_lo, s29
	s_mov_b32 s29, -1
	s_mov_b32 s2, 0
	global_store_b8 v[2:3], v4, off
.LBB324_883:
	s_mov_b32 s30, 0
.LBB324_884:
	s_delay_alu instid0(SALU_CYCLE_1)
	s_and_b32 vcc_lo, exec_lo, s30
	s_cbranch_vccz .LBB324_887
; %bb.885:
	s_cmp_eq_u32 s28, 29
	s_mov_b32 s2, -1
	s_cbranch_scc0 .LBB324_887
; %bb.886:
	s_mov_b32 s2, 0
	s_wait_xcnt 0x0
	v_cndmask_b32_e64 v4, 0, 1, s1
	v_mov_b32_e32 v5, s2
	s_mov_b32 s29, -1
	s_mov_b32 s30, 0
	global_store_b64 v[2:3], v[4:5], off
	s_branch .LBB324_888
.LBB324_887:
	s_mov_b32 s30, 0
.LBB324_888:
	s_delay_alu instid0(SALU_CYCLE_1)
	s_and_b32 vcc_lo, exec_lo, s30
	s_cbranch_vccz .LBB324_904
; %bb.889:
	s_cmp_lt_i32 s28, 27
	s_mov_b32 s29, -1
	s_cbranch_scc1 .LBB324_895
; %bb.890:
	s_cmp_gt_i32 s28, 27
	s_cbranch_scc0 .LBB324_892
; %bb.891:
	s_wait_xcnt 0x0
	v_cndmask_b32_e64 v1, 0, 1, s1
	s_mov_b32 s29, 0
	global_store_b32 v[2:3], v1, off
.LBB324_892:
	s_and_not1_b32 vcc_lo, exec_lo, s29
	s_cbranch_vccnz .LBB324_894
; %bb.893:
	s_wait_xcnt 0x0
	v_cndmask_b32_e64 v1, 0, 1, s1
	global_store_b16 v[2:3], v1, off
.LBB324_894:
	s_mov_b32 s29, 0
.LBB324_895:
	s_delay_alu instid0(SALU_CYCLE_1)
	s_and_not1_b32 vcc_lo, exec_lo, s29
	s_cbranch_vccnz .LBB324_903
; %bb.896:
	s_wait_xcnt 0x0
	v_cndmask_b32_e64 v4, 0, 1.0, s1
	v_mov_b32_e32 v5, 0x80
	s_mov_b32 s29, exec_lo
	s_delay_alu instid0(VALU_DEP_2)
	v_cmpx_gt_u32_e32 0x43800000, v4
	s_cbranch_execz .LBB324_902
; %bb.897:
	s_mov_b32 s30, 0
	s_mov_b32 s31, exec_lo
                                        ; implicit-def: $vgpr1
	v_cmpx_lt_u32_e32 0x3bffffff, v4
	s_xor_b32 s31, exec_lo, s31
	s_cbranch_execz .LBB324_982
; %bb.898:
	v_bfe_u32 v1, v4, 20, 1
	s_mov_b32 s30, exec_lo
	s_delay_alu instid0(VALU_DEP_1) | instskip(NEXT) | instid1(VALU_DEP_1)
	v_add3_u32 v1, v4, v1, 0x487ffff
                                        ; implicit-def: $vgpr4
	v_lshrrev_b32_e32 v1, 20, v1
	s_and_not1_saveexec_b32 s31, s31
	s_cbranch_execnz .LBB324_983
.LBB324_899:
	s_or_b32 exec_lo, exec_lo, s31
	v_mov_b32_e32 v5, 0
	s_and_saveexec_b32 s31, s30
.LBB324_900:
	v_mov_b32_e32 v5, v1
.LBB324_901:
	s_or_b32 exec_lo, exec_lo, s31
.LBB324_902:
	s_delay_alu instid0(SALU_CYCLE_1)
	s_or_b32 exec_lo, exec_lo, s29
	global_store_b8 v[2:3], v5, off
.LBB324_903:
	s_mov_b32 s29, -1
.LBB324_904:
	s_mov_b32 s30, 0
.LBB324_905:
	s_delay_alu instid0(SALU_CYCLE_1)
	s_and_b32 vcc_lo, exec_lo, s30
	s_cbranch_vccz .LBB324_946
; %bb.906:
	s_cmp_gt_i32 s28, 22
	s_mov_b32 s30, -1
	s_cbranch_scc0 .LBB324_938
; %bb.907:
	s_cmp_lt_i32 s28, 24
	s_mov_b32 s29, -1
	s_cbranch_scc1 .LBB324_927
; %bb.908:
	s_cmp_gt_i32 s28, 24
	s_cbranch_scc0 .LBB324_916
; %bb.909:
	s_wait_xcnt 0x0
	v_cndmask_b32_e64 v4, 0, 1.0, s1
	v_mov_b32_e32 v5, 0x80
	s_mov_b32 s29, exec_lo
	s_delay_alu instid0(VALU_DEP_2)
	v_cmpx_gt_u32_e32 0x47800000, v4
	s_cbranch_execz .LBB324_915
; %bb.910:
	s_mov_b32 s30, 0
	s_mov_b32 s31, exec_lo
                                        ; implicit-def: $vgpr1
	v_cmpx_lt_u32_e32 0x37ffffff, v4
	s_xor_b32 s31, exec_lo, s31
	s_cbranch_execz .LBB324_985
; %bb.911:
	v_bfe_u32 v1, v4, 21, 1
	s_mov_b32 s30, exec_lo
	s_delay_alu instid0(VALU_DEP_1) | instskip(NEXT) | instid1(VALU_DEP_1)
	v_add3_u32 v1, v4, v1, 0x88fffff
                                        ; implicit-def: $vgpr4
	v_lshrrev_b32_e32 v1, 21, v1
	s_and_not1_saveexec_b32 s31, s31
	s_cbranch_execnz .LBB324_986
.LBB324_912:
	s_or_b32 exec_lo, exec_lo, s31
	v_mov_b32_e32 v5, 0
	s_and_saveexec_b32 s31, s30
.LBB324_913:
	v_mov_b32_e32 v5, v1
.LBB324_914:
	s_or_b32 exec_lo, exec_lo, s31
.LBB324_915:
	s_delay_alu instid0(SALU_CYCLE_1)
	s_or_b32 exec_lo, exec_lo, s29
	s_mov_b32 s29, 0
	global_store_b8 v[2:3], v5, off
.LBB324_916:
	s_and_b32 vcc_lo, exec_lo, s29
	s_cbranch_vccz .LBB324_926
; %bb.917:
	s_wait_xcnt 0x0
	v_cndmask_b32_e64 v4, 0, 1.0, s1
	s_mov_b32 s29, exec_lo
                                        ; implicit-def: $vgpr1
	s_delay_alu instid0(VALU_DEP_1)
	v_cmpx_gt_u32_e32 0x43f00000, v4
	s_xor_b32 s29, exec_lo, s29
	s_cbranch_execz .LBB324_923
; %bb.918:
	s_mov_b32 s30, exec_lo
                                        ; implicit-def: $vgpr1
	v_cmpx_lt_u32_e32 0x3c7fffff, v4
	s_xor_b32 s30, exec_lo, s30
; %bb.919:
	v_bfe_u32 v1, v4, 20, 1
	s_delay_alu instid0(VALU_DEP_1) | instskip(NEXT) | instid1(VALU_DEP_1)
	v_add3_u32 v1, v4, v1, 0x407ffff
	v_and_b32_e32 v4, 0xff00000, v1
	v_lshrrev_b32_e32 v1, 20, v1
	s_delay_alu instid0(VALU_DEP_2) | instskip(NEXT) | instid1(VALU_DEP_2)
	v_cmp_ne_u32_e32 vcc_lo, 0x7f00000, v4
                                        ; implicit-def: $vgpr4
	v_cndmask_b32_e32 v1, 0x7e, v1, vcc_lo
; %bb.920:
	s_and_not1_saveexec_b32 s30, s30
; %bb.921:
	v_add_f32_e32 v1, 0x46800000, v4
; %bb.922:
	s_or_b32 exec_lo, exec_lo, s30
                                        ; implicit-def: $vgpr4
.LBB324_923:
	s_and_not1_saveexec_b32 s29, s29
; %bb.924:
	v_mov_b32_e32 v1, 0x7f
	v_cmp_lt_u32_e32 vcc_lo, 0x7f800000, v4
	s_delay_alu instid0(VALU_DEP_2)
	v_cndmask_b32_e32 v1, 0x7e, v1, vcc_lo
; %bb.925:
	s_or_b32 exec_lo, exec_lo, s29
	global_store_b8 v[2:3], v1, off
.LBB324_926:
	s_mov_b32 s29, 0
.LBB324_927:
	s_delay_alu instid0(SALU_CYCLE_1)
	s_and_not1_b32 vcc_lo, exec_lo, s29
	s_cbranch_vccnz .LBB324_937
; %bb.928:
	s_wait_xcnt 0x0
	v_cndmask_b32_e64 v4, 0, 1.0, s1
	s_mov_b32 s29, exec_lo
                                        ; implicit-def: $vgpr1
	s_delay_alu instid0(VALU_DEP_1)
	v_cmpx_gt_u32_e32 0x47800000, v4
	s_xor_b32 s29, exec_lo, s29
	s_cbranch_execz .LBB324_934
; %bb.929:
	s_mov_b32 s30, exec_lo
                                        ; implicit-def: $vgpr1
	v_cmpx_lt_u32_e32 0x387fffff, v4
	s_xor_b32 s30, exec_lo, s30
; %bb.930:
	v_bfe_u32 v1, v4, 21, 1
	s_delay_alu instid0(VALU_DEP_1) | instskip(NEXT) | instid1(VALU_DEP_1)
	v_add3_u32 v1, v4, v1, 0x80fffff
                                        ; implicit-def: $vgpr4
	v_lshrrev_b32_e32 v1, 21, v1
; %bb.931:
	s_and_not1_saveexec_b32 s30, s30
; %bb.932:
	v_add_f32_e32 v1, 0x43000000, v4
; %bb.933:
	s_or_b32 exec_lo, exec_lo, s30
                                        ; implicit-def: $vgpr4
.LBB324_934:
	s_and_not1_saveexec_b32 s29, s29
; %bb.935:
	v_mov_b32_e32 v1, 0x7f
	v_cmp_lt_u32_e32 vcc_lo, 0x7f800000, v4
	s_delay_alu instid0(VALU_DEP_2)
	v_cndmask_b32_e32 v1, 0x7c, v1, vcc_lo
; %bb.936:
	s_or_b32 exec_lo, exec_lo, s29
	global_store_b8 v[2:3], v1, off
.LBB324_937:
	s_mov_b32 s30, 0
	s_mov_b32 s29, -1
.LBB324_938:
	s_and_not1_b32 vcc_lo, exec_lo, s30
	s_cbranch_vccnz .LBB324_946
; %bb.939:
	s_cmp_gt_i32 s28, 14
	s_mov_b32 s30, -1
	s_cbranch_scc0 .LBB324_943
; %bb.940:
	s_cmp_eq_u32 s28, 15
	s_mov_b32 s2, -1
	s_cbranch_scc0 .LBB324_942
; %bb.941:
	s_wait_xcnt 0x0
	v_cndmask_b32_e64 v1, 0, 1.0, s1
	s_mov_b32 s29, -1
	s_mov_b32 s2, 0
	s_delay_alu instid0(VALU_DEP_1) | instskip(NEXT) | instid1(VALU_DEP_1)
	v_bfe_u32 v4, v1, 16, 1
	v_add3_u32 v1, v1, v4, 0x7fff
	global_store_d16_hi_b16 v[2:3], v1, off
.LBB324_942:
	s_mov_b32 s30, 0
.LBB324_943:
	s_delay_alu instid0(SALU_CYCLE_1)
	s_and_b32 vcc_lo, exec_lo, s30
	s_cbranch_vccz .LBB324_946
; %bb.944:
	s_cmp_eq_u32 s28, 11
	s_mov_b32 s2, -1
	s_cbranch_scc0 .LBB324_946
; %bb.945:
	s_wait_xcnt 0x0
	v_cndmask_b32_e64 v1, 0, 1, s1
	s_mov_b32 s29, -1
	s_mov_b32 s2, 0
	global_store_b8 v[2:3], v1, off
.LBB324_946:
.LBB324_947:
	s_and_not1_b32 vcc_lo, exec_lo, s29
	s_cbranch_vccnz .LBB324_872
.LBB324_948:
	v_add_nc_u32_e32 v0, 0x80, v0
	s_mov_b32 s1, -1
.LBB324_949:
	s_and_not1_b32 s17, s46, exec_lo
	s_and_b32 s2, s2, exec_lo
	s_and_not1_b32 s28, s45, exec_lo
	s_and_b32 s16, s16, exec_lo
	s_or_b32 s30, s17, s2
	s_or_b32 s2, s28, s16
	s_or_not1_b32 s28, s1, exec_lo
.LBB324_950:
	s_wait_xcnt 0x0
	s_or_b32 exec_lo, exec_lo, s48
	s_mov_b32 s1, 0
	s_mov_b32 s17, 0
	;; [unrolled: 1-line block ×3, first 2 shown]
                                        ; implicit-def: $vgpr4_vgpr5
                                        ; implicit-def: $vgpr2
                                        ; implicit-def: $vgpr3
	s_and_saveexec_b32 s31, s28
	s_cbranch_execz .LBB324_1070
; %bb.951:
	v_cmp_gt_i32_e32 vcc_lo, s39, v0
	s_mov_b32 s28, s2
                                        ; implicit-def: $vgpr4_vgpr5
                                        ; implicit-def: $vgpr2
                                        ; implicit-def: $vgpr3
	s_and_saveexec_b32 s39, vcc_lo
	s_cbranch_execz .LBB324_1069
; %bb.952:
	s_and_not1_b32 vcc_lo, exec_lo, s35
	s_cbranch_vccnz .LBB324_958
; %bb.953:
	s_and_not1_b32 vcc_lo, exec_lo, s41
	s_cbranch_vccnz .LBB324_959
; %bb.954:
	s_add_co_i32 s40, s40, 1
	s_cmp_eq_u32 s33, 2
	s_cbranch_scc1 .LBB324_960
; %bb.955:
	v_dual_mov_b32 v2, 0 :: v_dual_mov_b32 v4, 0
	s_wait_loadcnt 0x0
	v_mov_b32_e32 v1, v0
	s_and_b32 s16, s40, 28
	s_mov_b64 s[28:29], s[20:21]
.LBB324_956:                            ; =>This Inner Loop Header: Depth=1
	s_clause 0x1
	s_load_b256 s[48:55], s[28:29], 0x4
	s_load_b128 s[64:67], s[28:29], 0x24
	s_load_b256 s[56:63], s[26:27], 0x0
	s_add_co_i32 s1, s1, 4
	s_wait_xcnt 0x0
	s_add_nc_u64 s[28:29], s[28:29], 48
	s_cmp_eq_u32 s16, s1
	s_add_nc_u64 s[26:27], s[26:27], 32
	s_wait_kmcnt 0x0
	v_mul_hi_u32 v3, s49, v1
	s_delay_alu instid0(VALU_DEP_1) | instskip(NEXT) | instid1(VALU_DEP_1)
	v_add_nc_u32_e32 v3, v1, v3
	v_lshrrev_b32_e32 v3, s50, v3
	s_delay_alu instid0(VALU_DEP_1) | instskip(NEXT) | instid1(VALU_DEP_1)
	v_mul_hi_u32 v5, s52, v3
	v_add_nc_u32_e32 v5, v3, v5
	s_delay_alu instid0(VALU_DEP_1) | instskip(NEXT) | instid1(VALU_DEP_1)
	v_lshrrev_b32_e32 v5, s53, v5
	v_mul_hi_u32 v6, s55, v5
	s_delay_alu instid0(VALU_DEP_1) | instskip(SKIP_1) | instid1(VALU_DEP_1)
	v_add_nc_u32_e32 v6, v5, v6
	v_mul_lo_u32 v7, v3, s48
	v_sub_nc_u32_e32 v1, v1, v7
	v_mul_lo_u32 v7, v5, s51
	s_delay_alu instid0(VALU_DEP_4) | instskip(NEXT) | instid1(VALU_DEP_3)
	v_lshrrev_b32_e32 v6, s64, v6
	v_mad_u32 v4, v1, s57, v4
	v_mad_u32 v1, v1, s56, v2
	s_delay_alu instid0(VALU_DEP_4) | instskip(NEXT) | instid1(VALU_DEP_4)
	v_sub_nc_u32_e32 v2, v3, v7
	v_mul_hi_u32 v8, s66, v6
	v_mul_lo_u32 v3, v6, s54
	s_delay_alu instid0(VALU_DEP_3) | instskip(SKIP_1) | instid1(VALU_DEP_3)
	v_mad_u32 v4, v2, s59, v4
	v_mad_u32 v2, v2, s58, v1
	v_dual_add_nc_u32 v7, v6, v8 :: v_dual_sub_nc_u32 v3, v5, v3
	s_delay_alu instid0(VALU_DEP_1) | instskip(NEXT) | instid1(VALU_DEP_2)
	v_lshrrev_b32_e32 v1, s67, v7
	v_mad_u32 v4, v3, s61, v4
	s_delay_alu instid0(VALU_DEP_4) | instskip(NEXT) | instid1(VALU_DEP_3)
	v_mad_u32 v2, v3, s60, v2
	v_mul_lo_u32 v5, v1, s65
	s_delay_alu instid0(VALU_DEP_1) | instskip(NEXT) | instid1(VALU_DEP_1)
	v_sub_nc_u32_e32 v3, v6, v5
	v_mad_u32 v4, v3, s63, v4
	s_delay_alu instid0(VALU_DEP_4)
	v_mad_u32 v2, v3, s62, v2
	s_cbranch_scc0 .LBB324_956
; %bb.957:
	s_delay_alu instid0(VALU_DEP_2)
	v_mov_b32_e32 v3, v4
	s_branch .LBB324_961
.LBB324_958:
	s_mov_b32 s1, -1
                                        ; implicit-def: $vgpr4
                                        ; implicit-def: $vgpr2
	s_branch .LBB324_966
.LBB324_959:
	v_dual_mov_b32 v4, 0 :: v_dual_mov_b32 v2, 0
	s_branch .LBB324_965
.LBB324_960:
	v_mov_b64_e32 v[2:3], 0
	s_wait_loadcnt 0x0
	v_mov_b32_e32 v1, v0
                                        ; implicit-def: $vgpr4
.LBB324_961:
	s_and_b32 s1, s40, 3
	s_mov_b32 s17, 0
	s_cmp_eq_u32 s1, 0
	s_cbranch_scc1 .LBB324_965
; %bb.962:
	s_lshl_b32 s26, s16, 3
	s_mov_b32 s27, s17
	s_mul_u64 s[28:29], s[16:17], 12
	s_add_nc_u64 s[26:27], s[20:21], s[26:27]
	s_delay_alu instid0(SALU_CYCLE_1)
	s_add_nc_u64 s[16:17], s[26:27], 0xc4
	s_add_nc_u64 s[26:27], s[20:21], s[28:29]
.LBB324_963:                            ; =>This Inner Loop Header: Depth=1
	s_load_b96 s[48:50], s[26:27], 0x4
	s_load_b64 s[28:29], s[16:17], 0x0
	s_add_co_i32 s1, s1, -1
	s_wait_xcnt 0x0
	s_add_nc_u64 s[26:27], s[26:27], 12
	s_cmp_lg_u32 s1, 0
	s_add_nc_u64 s[16:17], s[16:17], 8
	s_wait_kmcnt 0x0
	v_mul_hi_u32 v4, s49, v1
	s_delay_alu instid0(VALU_DEP_1) | instskip(NEXT) | instid1(VALU_DEP_1)
	v_add_nc_u32_e32 v4, v1, v4
	v_lshrrev_b32_e32 v4, s50, v4
	s_delay_alu instid0(VALU_DEP_1) | instskip(NEXT) | instid1(VALU_DEP_1)
	v_mul_lo_u32 v5, v4, s48
	v_sub_nc_u32_e32 v1, v1, v5
	s_delay_alu instid0(VALU_DEP_1)
	v_mad_u32 v3, v1, s29, v3
	v_mad_u32 v2, v1, s28, v2
	v_mov_b32_e32 v1, v4
	s_cbranch_scc1 .LBB324_963
; %bb.964:
	s_delay_alu instid0(VALU_DEP_3)
	v_mov_b32_e32 v4, v3
.LBB324_965:
	s_mov_b32 s1, 0
.LBB324_966:
	s_delay_alu instid0(SALU_CYCLE_1)
	s_and_not1_b32 vcc_lo, exec_lo, s1
	s_cbranch_vccnz .LBB324_969
; %bb.967:
	s_wait_loadcnt 0x0
	v_mov_b32_e32 v1, 0
	s_and_not1_b32 vcc_lo, exec_lo, s38
	s_delay_alu instid0(VALU_DEP_1) | instskip(NEXT) | instid1(VALU_DEP_1)
	v_mul_u64_e32 v[2:3], s[22:23], v[0:1]
	v_add_nc_u32_e32 v2, v0, v3
	s_delay_alu instid0(VALU_DEP_1) | instskip(NEXT) | instid1(VALU_DEP_1)
	v_lshrrev_b32_e32 v6, s10, v2
	v_mul_lo_u32 v2, v6, s8
	s_delay_alu instid0(VALU_DEP_1) | instskip(NEXT) | instid1(VALU_DEP_1)
	v_sub_nc_u32_e32 v0, v0, v2
	v_mul_lo_u32 v4, v0, s13
	v_mul_lo_u32 v2, v0, s12
	s_cbranch_vccnz .LBB324_969
; %bb.968:
	v_mov_b32_e32 v7, v1
	s_delay_alu instid0(VALU_DEP_1) | instskip(NEXT) | instid1(VALU_DEP_1)
	v_mul_u64_e32 v[0:1], s[24:25], v[6:7]
	v_add_nc_u32_e32 v0, v6, v1
	s_delay_alu instid0(VALU_DEP_1) | instskip(NEXT) | instid1(VALU_DEP_1)
	v_lshrrev_b32_e32 v0, s3, v0
	v_mul_lo_u32 v0, v0, s11
	s_delay_alu instid0(VALU_DEP_1) | instskip(NEXT) | instid1(VALU_DEP_1)
	v_sub_nc_u32_e32 v0, v6, v0
	v_mad_u32 v2, v0, s14, v2
	v_mad_u32 v4, v0, s15, v4
.LBB324_969:
	v_mov_b32_e32 v5, 0
	s_and_b32 s3, 0xffff, s37
	s_delay_alu instid0(SALU_CYCLE_1) | instskip(NEXT) | instid1(VALU_DEP_1)
	s_cmp_lt_i32 s3, 11
	v_add_nc_u64_e32 v[4:5], s[6:7], v[4:5]
	s_cbranch_scc1 .LBB324_978
; %bb.970:
	s_cmp_gt_i32 s3, 25
	s_mov_b32 s7, 0
	s_cbranch_scc0 .LBB324_979
; %bb.971:
	s_cmp_gt_i32 s3, 28
	s_cbranch_scc0 .LBB324_980
; %bb.972:
	s_cmp_gt_i32 s3, 43
	;; [unrolled: 3-line block ×3, first 2 shown]
	s_cbranch_scc0 .LBB324_984
; %bb.974:
	s_cmp_eq_u32 s3, 46
	s_mov_b32 s8, 0
	s_cbranch_scc0 .LBB324_987
; %bb.975:
	global_load_b32 v0, v[4:5], off
	v_mov_b32_e32 v3, 0xff
	s_mov_b32 s6, exec_lo
	s_wait_loadcnt 0x0
	v_lshlrev_b32_e32 v1, 16, v0
	s_delay_alu instid0(VALU_DEP_1) | instskip(SKIP_1) | instid1(VALU_DEP_1)
	v_bfe_u32 v6, v1, 23, 8
	s_wait_xcnt 0x0
	v_cmpx_ne_u32_e32 0xff, v6
	s_cbranch_execz .LBB324_977
; %bb.976:
	v_and_b32_e32 v3, 64, v0
	v_and_or_b32 v1, 0x3f0000, v1, v6
	v_bfe_u32 v0, v0, 7, 9
	s_delay_alu instid0(VALU_DEP_3) | instskip(NEXT) | instid1(VALU_DEP_3)
	v_cmp_ne_u32_e32 vcc_lo, 0, v3
	v_cmp_ne_u32_e64 s1, 0, v1
	s_and_b32 s1, vcc_lo, s1
	s_delay_alu instid0(SALU_CYCLE_1) | instskip(NEXT) | instid1(VALU_DEP_1)
	v_cndmask_b32_e64 v1, 0, 1, s1
	v_add_nc_u32_e32 v3, v0, v1
.LBB324_977:
	s_or_b32 exec_lo, exec_lo, s6
	s_mov_b32 s6, 0
	s_mov_b32 s1, -1
	s_branch .LBB324_989
.LBB324_978:
	s_mov_b32 s3, -1
	s_mov_b32 s1, 0
	s_mov_b32 s7, 0
	;; [unrolled: 1-line block ×3, first 2 shown]
                                        ; implicit-def: $vgpr3
	s_branch .LBB324_1068
.LBB324_979:
	s_mov_b32 s8, -1
	s_mov_b32 s1, 0
	s_mov_b32 s6, s2
                                        ; implicit-def: $vgpr3
	s_branch .LBB324_1028
.LBB324_980:
	s_mov_b32 s8, -1
	s_mov_b32 s1, 0
	s_mov_b32 s6, s2
                                        ; implicit-def: $vgpr3
	s_branch .LBB324_1001
.LBB324_981:
	s_mov_b32 s8, -1
	s_mov_b32 s1, 0
	s_mov_b32 s6, s2
                                        ; implicit-def: $vgpr3
	s_branch .LBB324_994
.LBB324_982:
	s_and_not1_saveexec_b32 s31, s31
	s_cbranch_execz .LBB324_899
.LBB324_983:
	v_add_f32_e32 v1, 0x46000000, v4
	s_and_not1_b32 s30, s30, exec_lo
	s_delay_alu instid0(VALU_DEP_1) | instskip(NEXT) | instid1(VALU_DEP_1)
	v_and_b32_e32 v1, 0xff, v1
	v_cmp_ne_u32_e32 vcc_lo, 0, v1
	s_and_b32 s49, vcc_lo, exec_lo
	s_delay_alu instid0(SALU_CYCLE_1)
	s_or_b32 s30, s30, s49
	s_or_b32 exec_lo, exec_lo, s31
	v_mov_b32_e32 v5, 0
	s_and_saveexec_b32 s31, s30
	s_cbranch_execnz .LBB324_900
	s_branch .LBB324_901
.LBB324_984:
	s_mov_b32 s8, -1
	s_mov_b32 s1, 0
	s_mov_b32 s6, s2
	s_branch .LBB324_988
.LBB324_985:
	s_and_not1_saveexec_b32 s31, s31
	s_cbranch_execz .LBB324_912
.LBB324_986:
	v_add_f32_e32 v1, 0x42800000, v4
	s_and_not1_b32 s30, s30, exec_lo
	s_delay_alu instid0(VALU_DEP_1) | instskip(NEXT) | instid1(VALU_DEP_1)
	v_and_b32_e32 v1, 0xff, v1
	v_cmp_ne_u32_e32 vcc_lo, 0, v1
	s_and_b32 s49, vcc_lo, exec_lo
	s_delay_alu instid0(SALU_CYCLE_1)
	s_or_b32 s30, s30, s49
	s_or_b32 exec_lo, exec_lo, s31
	v_mov_b32_e32 v5, 0
	s_and_saveexec_b32 s31, s30
	s_cbranch_execnz .LBB324_913
	s_branch .LBB324_914
.LBB324_987:
	s_mov_b32 s6, -1
	s_mov_b32 s1, 0
.LBB324_988:
                                        ; implicit-def: $vgpr3
.LBB324_989:
	s_and_b32 vcc_lo, exec_lo, s8
	s_cbranch_vccz .LBB324_993
; %bb.990:
	s_cmp_eq_u32 s3, 44
	s_cbranch_scc0 .LBB324_992
; %bb.991:
	global_load_u8 v3, v[4:5], off
	s_mov_b32 s6, 0
	s_mov_b32 s1, -1
	s_branch .LBB324_993
.LBB324_992:
	s_mov_b32 s6, -1
                                        ; implicit-def: $vgpr3
.LBB324_993:
	s_mov_b32 s8, 0
.LBB324_994:
	s_delay_alu instid0(SALU_CYCLE_1)
	s_and_b32 vcc_lo, exec_lo, s8
	s_cbranch_vccz .LBB324_1000
; %bb.995:
	s_cmp_eq_u32 s3, 29
	s_cbranch_scc0 .LBB324_999
; %bb.996:
	s_wait_loadcnt 0x0
	global_load_b64 v[0:1], v[4:5], off
	s_mov_b32 s6, exec_lo
	s_wait_loadcnt 0x0
	v_clz_i32_u32_e32 v3, v1
	s_delay_alu instid0(VALU_DEP_1) | instskip(NEXT) | instid1(VALU_DEP_1)
	v_min_u32_e32 v3, 32, v3
	v_lshlrev_b64_e32 v[0:1], v3, v[0:1]
	s_delay_alu instid0(VALU_DEP_1) | instskip(NEXT) | instid1(VALU_DEP_1)
	v_min_u32_e32 v0, 1, v0
	v_dual_sub_nc_u32 v1, 32, v3 :: v_dual_bitop2_b32 v0, v1, v0 bitop3:0x54
	v_mov_b32_e32 v3, 0xff
	s_delay_alu instid0(VALU_DEP_2) | instskip(NEXT) | instid1(VALU_DEP_1)
	v_cvt_f32_u32_e32 v0, v0
	v_ldexp_f32 v1, v0, v1
	s_delay_alu instid0(VALU_DEP_1) | instskip(SKIP_1) | instid1(VALU_DEP_1)
	v_lshrrev_b32_e32 v0, 23, v1
	s_wait_xcnt 0x0
	v_cmpx_ne_u32_e32 0xff, v0
; %bb.997:
	v_and_b32_e32 v3, 0x400000, v1
	v_and_or_b32 v1, 0x3fffff, v1, v0
	s_delay_alu instid0(VALU_DEP_2) | instskip(NEXT) | instid1(VALU_DEP_2)
	v_cmp_ne_u32_e32 vcc_lo, 0, v3
	v_cmp_ne_u32_e64 s1, 0, v1
	s_and_b32 s1, vcc_lo, s1
	s_delay_alu instid0(SALU_CYCLE_1) | instskip(NEXT) | instid1(VALU_DEP_1)
	v_cndmask_b32_e64 v1, 0, 1, s1
	v_add_nc_u32_e32 v3, v0, v1
; %bb.998:
	s_or_b32 exec_lo, exec_lo, s6
	s_mov_b32 s6, 0
	s_mov_b32 s1, -1
	s_branch .LBB324_1000
.LBB324_999:
	s_mov_b32 s6, -1
                                        ; implicit-def: $vgpr3
.LBB324_1000:
	s_mov_b32 s8, 0
.LBB324_1001:
	s_delay_alu instid0(SALU_CYCLE_1)
	s_and_b32 vcc_lo, exec_lo, s8
	s_cbranch_vccz .LBB324_1027
; %bb.1002:
	s_cmp_lt_i32 s3, 27
	s_cbranch_scc1 .LBB324_1007
; %bb.1003:
	s_cmp_gt_i32 s3, 27
	s_cbranch_scc0 .LBB324_1008
; %bb.1004:
	global_load_b32 v0, v[4:5], off
	s_mov_b32 s8, exec_lo
	s_wait_loadcnt 0x1
	v_mov_b32_e32 v3, 0xff
	s_wait_loadcnt 0x0
	v_cvt_f32_u32_e32 v1, v0
	s_delay_alu instid0(VALU_DEP_1) | instskip(SKIP_1) | instid1(VALU_DEP_1)
	v_lshrrev_b32_e32 v0, 23, v1
	s_wait_xcnt 0x0
	v_cmpx_ne_u32_e32 0xff, v0
; %bb.1005:
	v_and_b32_e32 v3, 0x400000, v1
	v_and_or_b32 v1, 0x3fffff, v1, v0
	s_delay_alu instid0(VALU_DEP_2) | instskip(NEXT) | instid1(VALU_DEP_2)
	v_cmp_ne_u32_e32 vcc_lo, 0, v3
	v_cmp_ne_u32_e64 s1, 0, v1
	s_and_b32 s1, vcc_lo, s1
	s_delay_alu instid0(SALU_CYCLE_1) | instskip(NEXT) | instid1(VALU_DEP_1)
	v_cndmask_b32_e64 v1, 0, 1, s1
	v_add_nc_u32_e32 v3, v0, v1
; %bb.1006:
	s_or_b32 exec_lo, exec_lo, s8
	s_mov_b32 s1, 0
	s_branch .LBB324_1009
.LBB324_1007:
	s_mov_b32 s1, -1
                                        ; implicit-def: $vgpr3
	s_branch .LBB324_1014
.LBB324_1008:
	s_mov_b32 s1, -1
                                        ; implicit-def: $vgpr3
.LBB324_1009:
	s_delay_alu instid0(SALU_CYCLE_1)
	s_and_not1_b32 vcc_lo, exec_lo, s1
	s_cbranch_vccnz .LBB324_1013
; %bb.1010:
	global_load_u16 v0, v[4:5], off
	s_mov_b32 s8, exec_lo
	s_wait_loadcnt 0x1
	v_mov_b32_e32 v3, 0xff
	s_wait_loadcnt 0x0
	v_cvt_f32_u32_e32 v1, v0
	s_delay_alu instid0(VALU_DEP_1) | instskip(SKIP_1) | instid1(VALU_DEP_1)
	v_lshrrev_b32_e32 v0, 23, v1
	s_wait_xcnt 0x0
	v_cmpx_ne_u32_e32 0xff, v0
; %bb.1011:
	v_and_b32_e32 v3, 0x400000, v1
	v_and_or_b32 v1, 0x3fffff, v1, v0
	s_delay_alu instid0(VALU_DEP_2) | instskip(NEXT) | instid1(VALU_DEP_2)
	v_cmp_ne_u32_e32 vcc_lo, 0, v3
	v_cmp_ne_u32_e64 s1, 0, v1
	s_and_b32 s1, vcc_lo, s1
	s_delay_alu instid0(SALU_CYCLE_1) | instskip(NEXT) | instid1(VALU_DEP_1)
	v_cndmask_b32_e64 v1, 0, 1, s1
	v_add_nc_u32_e32 v3, v0, v1
; %bb.1012:
	s_or_b32 exec_lo, exec_lo, s8
.LBB324_1013:
	s_mov_b32 s1, 0
.LBB324_1014:
	s_delay_alu instid0(SALU_CYCLE_1)
	s_and_not1_b32 vcc_lo, exec_lo, s1
	s_cbranch_vccnz .LBB324_1026
; %bb.1015:
	global_load_u8 v0, v[4:5], off
	s_mov_b32 s1, 0
	s_mov_b32 s8, exec_lo
	s_wait_loadcnt 0x0
	v_cmpx_lt_i16_e32 0x7f, v0
	s_xor_b32 s8, exec_lo, s8
	s_cbranch_execz .LBB324_1019
; %bb.1016:
	s_mov_b32 s1, -1
	s_mov_b32 s10, exec_lo
	v_cmpx_eq_u16_e32 0x80, v0
; %bb.1017:
	s_xor_b32 s1, exec_lo, -1
; %bb.1018:
	s_or_b32 exec_lo, exec_lo, s10
	s_delay_alu instid0(SALU_CYCLE_1)
	s_and_b32 s1, s1, exec_lo
.LBB324_1019:
	s_or_saveexec_b32 s8, s8
	v_mov_b32_e32 v1, 0x7f800001
	v_and_b32_e32 v3, 0xffff, v0
	s_xor_b32 exec_lo, exec_lo, s8
; %bb.1020:
	v_cmp_ne_u16_e32 vcc_lo, 0, v0
	s_delay_alu instid0(VALU_DEP_2) | instskip(SKIP_2) | instid1(SALU_CYCLE_1)
	v_mov_b32_e32 v1, v3
	s_and_not1_b32 s1, s1, exec_lo
	s_and_b32 s10, vcc_lo, exec_lo
	s_or_b32 s1, s1, s10
; %bb.1021:
	s_or_b32 exec_lo, exec_lo, s8
	s_and_saveexec_b32 s8, s1
	s_cbranch_execz .LBB324_1023
; %bb.1022:
	v_and_b32_e32 v0, 7, v3
	s_delay_alu instid0(VALU_DEP_1) | instskip(NEXT) | instid1(VALU_DEP_1)
	v_clz_i32_u32_e32 v1, v0
	v_min_u32_e32 v1, 32, v1
	s_delay_alu instid0(VALU_DEP_1) | instskip(NEXT) | instid1(VALU_DEP_1)
	v_subrev_nc_u32_e32 v6, 28, v1
	v_lshlrev_b32_e32 v6, v6, v3
	v_bfe_u32 v3, v3, 3, 4
	s_delay_alu instid0(VALU_DEP_2) | instskip(NEXT) | instid1(VALU_DEP_2)
	v_dual_sub_nc_u32 v1, 29, v1 :: v_dual_bitop2_b32 v6, 7, v6 bitop3:0x40
	v_cmp_eq_u32_e32 vcc_lo, 0, v3
	s_delay_alu instid0(VALU_DEP_2) | instskip(NEXT) | instid1(VALU_DEP_1)
	v_dual_cndmask_b32 v1, v3, v1 :: v_dual_cndmask_b32 v0, v0, v6
	v_lshlrev_b32_e32 v0, 20, v0
	s_delay_alu instid0(VALU_DEP_1) | instskip(NEXT) | instid1(VALU_DEP_1)
	v_lshl_or_b32 v0, v1, 23, v0
	v_add_nc_u32_e32 v1, 0x3b800000, v0
.LBB324_1023:
	s_or_b32 exec_lo, exec_lo, s8
	s_delay_alu instid0(VALU_DEP_1) | instskip(SKIP_1) | instid1(VALU_DEP_1)
	v_dual_mov_b32 v3, 0xff :: v_dual_lshrrev_b32 v0, 23, v1
	s_mov_b32 s8, exec_lo
	v_cmpx_ne_u32_e32 0xff, v0
; %bb.1024:
	v_and_b32_e32 v3, 0x400000, v1
	v_and_or_b32 v1, 0x3fffff, v1, v0
	s_delay_alu instid0(VALU_DEP_2) | instskip(NEXT) | instid1(VALU_DEP_2)
	v_cmp_ne_u32_e32 vcc_lo, 0, v3
	v_cmp_ne_u32_e64 s1, 0, v1
	s_and_b32 s1, vcc_lo, s1
	s_delay_alu instid0(SALU_CYCLE_1) | instskip(NEXT) | instid1(VALU_DEP_1)
	v_cndmask_b32_e64 v1, 0, 1, s1
	v_add_nc_u32_e32 v3, v0, v1
; %bb.1025:
	s_or_b32 exec_lo, exec_lo, s8
.LBB324_1026:
	s_mov_b32 s1, -1
.LBB324_1027:
	s_mov_b32 s8, 0
.LBB324_1028:
	s_delay_alu instid0(SALU_CYCLE_1)
	s_and_b32 vcc_lo, exec_lo, s8
	s_cbranch_vccz .LBB324_1067
; %bb.1029:
	s_cmp_gt_i32 s3, 22
	s_cbranch_scc0 .LBB324_1041
; %bb.1030:
	s_cmp_lt_i32 s3, 24
	s_cbranch_scc1 .LBB324_1042
; %bb.1031:
	s_cmp_gt_i32 s3, 24
	s_cbranch_scc0 .LBB324_1043
; %bb.1032:
	global_load_u8 v0, v[4:5], off
	s_mov_b32 s1, 0
	s_mov_b32 s7, exec_lo
	s_wait_loadcnt 0x0
	v_cmpx_lt_i16_e32 0x7f, v0
	s_xor_b32 s7, exec_lo, s7
	s_cbranch_execz .LBB324_1061
; %bb.1033:
	s_mov_b32 s1, -1
	s_mov_b32 s8, exec_lo
	v_cmpx_eq_u16_e32 0x80, v0
; %bb.1034:
	s_xor_b32 s1, exec_lo, -1
; %bb.1035:
	s_or_b32 exec_lo, exec_lo, s8
	s_delay_alu instid0(SALU_CYCLE_1)
	s_and_b32 s1, s1, exec_lo
	s_or_saveexec_b32 s7, s7
	v_mov_b32_e32 v1, 0x7f800001
	s_xor_b32 exec_lo, exec_lo, s7
	s_cbranch_execnz .LBB324_1062
.LBB324_1036:
	s_or_b32 exec_lo, exec_lo, s7
	s_and_saveexec_b32 s7, s1
	s_cbranch_execz .LBB324_1038
.LBB324_1037:
	v_and_b32_e32 v0, 0xffff, v0
	s_delay_alu instid0(VALU_DEP_1) | instskip(NEXT) | instid1(VALU_DEP_1)
	v_and_b32_e32 v1, 3, v0
	v_clz_i32_u32_e32 v3, v1
	s_delay_alu instid0(VALU_DEP_1) | instskip(NEXT) | instid1(VALU_DEP_1)
	v_min_u32_e32 v3, 32, v3
	v_subrev_nc_u32_e32 v6, 29, v3
	s_delay_alu instid0(VALU_DEP_1) | instskip(SKIP_1) | instid1(VALU_DEP_2)
	v_lshlrev_b32_e32 v6, v6, v0
	v_bfe_u32 v0, v0, 2, 5
	v_dual_sub_nc_u32 v3, 30, v3 :: v_dual_bitop2_b32 v6, 3, v6 bitop3:0x40
	s_delay_alu instid0(VALU_DEP_2) | instskip(NEXT) | instid1(VALU_DEP_2)
	v_cmp_eq_u32_e32 vcc_lo, 0, v0
	v_dual_cndmask_b32 v0, v0, v3 :: v_dual_cndmask_b32 v1, v1, v6
	s_delay_alu instid0(VALU_DEP_1) | instskip(NEXT) | instid1(VALU_DEP_1)
	v_lshlrev_b32_e32 v1, 21, v1
	v_lshl_or_b32 v0, v0, 23, v1
	s_delay_alu instid0(VALU_DEP_1)
	v_add_nc_u32_e32 v1, 0x37800000, v0
.LBB324_1038:
	s_or_b32 exec_lo, exec_lo, s7
	s_delay_alu instid0(VALU_DEP_1) | instskip(SKIP_1) | instid1(VALU_DEP_1)
	v_dual_mov_b32 v3, 0xff :: v_dual_lshrrev_b32 v0, 23, v1
	s_mov_b32 s7, exec_lo
	v_cmpx_ne_u32_e32 0xff, v0
; %bb.1039:
	v_and_b32_e32 v3, 0x400000, v1
	v_and_or_b32 v1, 0x3fffff, v1, v0
	s_delay_alu instid0(VALU_DEP_2) | instskip(NEXT) | instid1(VALU_DEP_2)
	v_cmp_ne_u32_e32 vcc_lo, 0, v3
	v_cmp_ne_u32_e64 s1, 0, v1
	s_and_b32 s1, vcc_lo, s1
	s_delay_alu instid0(SALU_CYCLE_1) | instskip(NEXT) | instid1(VALU_DEP_1)
	v_cndmask_b32_e64 v1, 0, 1, s1
	v_add_nc_u32_e32 v3, v0, v1
; %bb.1040:
	s_or_b32 exec_lo, exec_lo, s7
	s_mov_b32 s1, 0
	s_branch .LBB324_1044
.LBB324_1041:
	s_mov_b32 s7, -1
                                        ; implicit-def: $vgpr3
	s_branch .LBB324_1054
.LBB324_1042:
	s_mov_b32 s1, -1
                                        ; implicit-def: $vgpr3
	s_branch .LBB324_1049
.LBB324_1043:
	s_mov_b32 s1, -1
                                        ; implicit-def: $vgpr3
.LBB324_1044:
	s_delay_alu instid0(SALU_CYCLE_1)
	s_and_b32 vcc_lo, exec_lo, s1
	s_cbranch_vccz .LBB324_1048
; %bb.1045:
	global_load_u8 v0, v[4:5], off
	s_mov_b32 s7, exec_lo
	s_wait_loadcnt 0x0
	v_lshlrev_b32_e32 v0, 24, v0
	s_delay_alu instid0(VALU_DEP_1) | instskip(NEXT) | instid1(VALU_DEP_1)
	v_and_b32_e32 v0, 0x7f000000, v0
	v_clz_i32_u32_e32 v1, v0
	v_cmp_ne_u32_e32 vcc_lo, 0, v0
	v_add_nc_u32_e32 v6, 0x1000000, v0
	s_delay_alu instid0(VALU_DEP_3) | instskip(NEXT) | instid1(VALU_DEP_1)
	v_min_u32_e32 v1, 32, v1
	v_sub_nc_u32_e64 v1, v1, 4 clamp
	s_delay_alu instid0(VALU_DEP_1) | instskip(NEXT) | instid1(VALU_DEP_1)
	v_dual_lshlrev_b32 v3, v1, v0 :: v_dual_lshlrev_b32 v1, 23, v1
	v_lshrrev_b32_e32 v3, 4, v3
	s_delay_alu instid0(VALU_DEP_1) | instskip(NEXT) | instid1(VALU_DEP_1)
	v_dual_sub_nc_u32 v1, v3, v1 :: v_dual_ashrrev_i32 v3, 8, v6
	v_add_nc_u32_e32 v1, 0x3c000000, v1
	s_delay_alu instid0(VALU_DEP_1) | instskip(SKIP_1) | instid1(VALU_DEP_2)
	v_and_or_b32 v1, 0x7f800000, v3, v1
	v_mov_b32_e32 v3, 0xff
	v_cndmask_b32_e32 v1, 0, v1, vcc_lo
	s_delay_alu instid0(VALU_DEP_1) | instskip(SKIP_1) | instid1(VALU_DEP_1)
	v_lshrrev_b32_e32 v0, 23, v1
	s_wait_xcnt 0x0
	v_cmpx_ne_u32_e32 0xff, v0
; %bb.1046:
	v_and_b32_e32 v3, 0x400000, v1
	v_and_or_b32 v1, 0x3fffff, v1, v0
	s_delay_alu instid0(VALU_DEP_2) | instskip(NEXT) | instid1(VALU_DEP_2)
	v_cmp_ne_u32_e32 vcc_lo, 0, v3
	v_cmp_ne_u32_e64 s1, 0, v1
	s_and_b32 s1, vcc_lo, s1
	s_delay_alu instid0(SALU_CYCLE_1) | instskip(NEXT) | instid1(VALU_DEP_1)
	v_cndmask_b32_e64 v1, 0, 1, s1
	v_add_nc_u32_e32 v3, v0, v1
; %bb.1047:
	s_or_b32 exec_lo, exec_lo, s7
.LBB324_1048:
	s_mov_b32 s1, 0
.LBB324_1049:
	s_delay_alu instid0(SALU_CYCLE_1)
	s_and_not1_b32 vcc_lo, exec_lo, s1
	s_cbranch_vccnz .LBB324_1053
; %bb.1050:
	global_load_u8 v0, v[4:5], off
	s_mov_b32 s7, exec_lo
	s_wait_loadcnt 0x0
	v_dual_lshlrev_b32 v1, 25, v0 :: v_dual_lshlrev_b32 v0, 8, v0
	s_delay_alu instid0(VALU_DEP_1) | instskip(NEXT) | instid1(VALU_DEP_2)
	v_cmp_gt_u32_e32 vcc_lo, 0x8000000, v1
	v_and_or_b32 v0, 0x7f00, v0, 0.5
	s_delay_alu instid0(VALU_DEP_1) | instskip(NEXT) | instid1(VALU_DEP_1)
	v_dual_add_f32 v0, -0.5, v0 :: v_dual_lshrrev_b32 v3, 4, v1
	v_or_b32_e32 v3, 0x70000000, v3
	s_delay_alu instid0(VALU_DEP_1) | instskip(NEXT) | instid1(VALU_DEP_1)
	v_mul_f32_e32 v3, 0x7800000, v3
	v_dual_cndmask_b32 v0, v3, v0 :: v_dual_mov_b32 v3, 0xff
	s_delay_alu instid0(VALU_DEP_1) | instskip(SKIP_1) | instid1(VALU_DEP_1)
	v_bfe_u32 v1, v0, 23, 8
	s_wait_xcnt 0x0
	v_cmpx_ne_u32_e32 0xff, v1
	s_cbranch_execz .LBB324_1052
; %bb.1051:
	v_and_b32_e32 v3, 0x400000, v0
	v_and_or_b32 v1, 0x3fffff, v0, v1
	v_lshrrev_b32_e32 v0, 23, v0
	s_delay_alu instid0(VALU_DEP_3) | instskip(NEXT) | instid1(VALU_DEP_3)
	v_cmp_ne_u32_e32 vcc_lo, 0, v3
	v_cmp_ne_u32_e64 s1, 0, v1
	s_and_b32 s1, vcc_lo, s1
	s_delay_alu instid0(SALU_CYCLE_1) | instskip(NEXT) | instid1(VALU_DEP_1)
	v_cndmask_b32_e64 v1, 0, 1, s1
	v_add_nc_u32_e32 v3, v0, v1
.LBB324_1052:
	s_or_b32 exec_lo, exec_lo, s7
.LBB324_1053:
	s_mov_b32 s7, 0
	s_mov_b32 s1, -1
.LBB324_1054:
	s_and_not1_b32 vcc_lo, exec_lo, s7
	s_mov_b32 s7, 0
	s_cbranch_vccnz .LBB324_1067
; %bb.1055:
	s_cmp_gt_i32 s3, 14
	s_cbranch_scc0 .LBB324_1060
; %bb.1056:
	s_cmp_eq_u32 s3, 15
	s_cbranch_scc0 .LBB324_1063
; %bb.1057:
	global_load_u16 v0, v[4:5], off
	s_wait_loadcnt 0x1
	v_mov_b32_e32 v3, 0xff
	s_mov_b32 s6, exec_lo
	s_wait_loadcnt 0x0
	v_bfe_u32 v1, v0, 7, 8
	s_wait_xcnt 0x0
	s_delay_alu instid0(VALU_DEP_1)
	v_cmpx_ne_u32_e32 0xff, v1
	s_cbranch_execz .LBB324_1059
; %bb.1058:
	v_dual_lshlrev_b32 v3, 16, v0 :: v_dual_bitop2_b32 v6, 64, v0 bitop3:0x40
	v_lshrrev_b32_e32 v0, 7, v0
	s_delay_alu instid0(VALU_DEP_2) | instskip(NEXT) | instid1(VALU_DEP_3)
	v_and_or_b32 v1, 0x3f0000, v3, v1
	v_cmp_ne_u32_e32 vcc_lo, 0, v6
	s_delay_alu instid0(VALU_DEP_2) | instskip(SKIP_1) | instid1(SALU_CYCLE_1)
	v_cmp_ne_u32_e64 s1, 0, v1
	s_and_b32 s1, vcc_lo, s1
	v_cndmask_b32_e64 v1, 0, 1, s1
	s_delay_alu instid0(VALU_DEP_1)
	v_add_nc_u32_e32 v3, v0, v1
.LBB324_1059:
	s_or_b32 exec_lo, exec_lo, s6
	s_mov_b32 s6, 0
	s_mov_b32 s1, -1
	s_branch .LBB324_1065
.LBB324_1060:
	s_mov_b32 s7, -1
	s_branch .LBB324_1064
.LBB324_1061:
	s_or_saveexec_b32 s7, s7
	v_mov_b32_e32 v1, 0x7f800001
	s_xor_b32 exec_lo, exec_lo, s7
	s_cbranch_execz .LBB324_1036
.LBB324_1062:
	v_cmp_ne_u16_e32 vcc_lo, 0, v0
	v_and_b32_e32 v1, 0xffff, v0
	s_and_not1_b32 s1, s1, exec_lo
	s_and_b32 s8, vcc_lo, exec_lo
	s_delay_alu instid0(SALU_CYCLE_1)
	s_or_b32 s1, s1, s8
	s_or_b32 exec_lo, exec_lo, s7
	s_and_saveexec_b32 s7, s1
	s_cbranch_execnz .LBB324_1037
	s_branch .LBB324_1038
.LBB324_1063:
	s_mov_b32 s6, -1
.LBB324_1064:
                                        ; implicit-def: $vgpr3
.LBB324_1065:
	s_and_b32 vcc_lo, exec_lo, s7
	s_mov_b32 s7, 0
	s_cbranch_vccz .LBB324_1067
; %bb.1066:
	s_cmp_lg_u32 s3, 11
	s_mov_b32 s7, -1
	s_cselect_b32 s3, -1, 0
	s_and_not1_b32 s6, s6, exec_lo
	s_and_b32 s3, s3, exec_lo
	s_delay_alu instid0(SALU_CYCLE_1)
	s_or_b32 s6, s6, s3
.LBB324_1067:
	s_mov_b32 s3, 0
.LBB324_1068:
	s_delay_alu instid0(SALU_CYCLE_1)
	s_and_b32 s17, s3, exec_lo
	s_and_not1_b32 s3, s2, exec_lo
	s_and_b32 s6, s6, exec_lo
	s_and_b32 s16, s1, exec_lo
	;; [unrolled: 1-line block ×3, first 2 shown]
	s_or_b32 s28, s3, s6
.LBB324_1069:
	s_wait_xcnt 0x0
	s_or_b32 exec_lo, exec_lo, s39
	s_delay_alu instid0(SALU_CYCLE_1)
	s_and_not1_b32 s2, s2, exec_lo
	s_and_b32 s3, s28, exec_lo
	s_and_b32 s16, s16, exec_lo
	;; [unrolled: 1-line block ×4, first 2 shown]
	s_or_b32 s2, s2, s3
.LBB324_1070:
	s_or_b32 exec_lo, exec_lo, s31
	s_delay_alu instid0(SALU_CYCLE_1)
	s_and_not1_b32 s3, s46, exec_lo
	s_and_b32 s6, s30, exec_lo
	s_and_b32 s2, s2, exec_lo
	s_or_b32 s46, s3, s6
	s_and_not1_b32 s3, s45, exec_lo
	s_and_b32 s16, s16, exec_lo
	s_and_b32 s17, s17, exec_lo
	s_and_b32 s1, s1, exec_lo
	s_or_b32 s45, s3, s2
.LBB324_1071:
	s_or_b32 exec_lo, exec_lo, s47
	s_delay_alu instid0(SALU_CYCLE_1)
	s_and_not1_b32 s2, s42, exec_lo
	s_and_b32 s3, s46, exec_lo
	s_and_b32 s16, s16, exec_lo
	s_or_b32 s42, s2, s3
	s_and_not1_b32 s2, s43, exec_lo
	s_and_b32 s3, s45, exec_lo
	s_and_b32 s17, s17, exec_lo
	;; [unrolled: 1-line block ×3, first 2 shown]
	s_or_b32 s43, s2, s3
	s_or_b32 exec_lo, exec_lo, s44
	s_mov_b32 s2, 0
	s_and_saveexec_b32 s1, s43
	s_cbranch_execz .LBB324_318
.LBB324_1072:
	s_mov_b32 s2, exec_lo
	s_and_not1_b32 s23, s23, exec_lo
	s_trap 2
	s_or_b32 exec_lo, exec_lo, s1
	s_and_saveexec_b32 s1, s23
	s_delay_alu instid0(SALU_CYCLE_1)
	s_xor_b32 s3, exec_lo, s1
	s_cbranch_execnz .LBB324_319
.LBB324_1073:
	s_or_b32 exec_lo, exec_lo, s3
	s_and_saveexec_b32 s3, s17
	s_cbranch_execz .LBB324_1141
.LBB324_1074:
	s_sext_i32_i16 s1, s37
	s_delay_alu instid0(SALU_CYCLE_1)
	s_cmp_lt_i32 s1, 5
	s_cbranch_scc1 .LBB324_1081
; %bb.1075:
	s_cmp_lt_i32 s1, 8
	s_cbranch_scc1 .LBB324_1082
; %bb.1076:
	;; [unrolled: 3-line block ×3, first 2 shown]
	s_cmp_gt_i32 s1, 9
	s_cbranch_scc0 .LBB324_1084
; %bb.1078:
	s_wait_loadcnt 0x0
	global_load_b64 v[0:1], v[4:5], off
	v_mov_b32_e32 v3, 0xff
	s_mov_b32 s6, exec_lo
	s_wait_loadcnt 0x0
	v_cvt_f32_f64_e32 v0, v[0:1]
	s_delay_alu instid0(VALU_DEP_1) | instskip(SKIP_1) | instid1(VALU_DEP_1)
	v_bfe_u32 v1, v0, 23, 8
	s_wait_xcnt 0x0
	v_cmpx_ne_u32_e32 0xff, v1
	s_cbranch_execz .LBB324_1080
; %bb.1079:
	v_and_b32_e32 v3, 0x400000, v0
	v_and_or_b32 v1, 0x3fffff, v0, v1
	v_lshrrev_b32_e32 v0, 23, v0
	s_delay_alu instid0(VALU_DEP_3) | instskip(NEXT) | instid1(VALU_DEP_3)
	v_cmp_ne_u32_e32 vcc_lo, 0, v3
	v_cmp_ne_u32_e64 s1, 0, v1
	s_and_b32 s1, vcc_lo, s1
	s_delay_alu instid0(SALU_CYCLE_1) | instskip(NEXT) | instid1(VALU_DEP_1)
	v_cndmask_b32_e64 v1, 0, 1, s1
	v_add_nc_u32_e32 v3, v0, v1
.LBB324_1080:
	s_or_b32 exec_lo, exec_lo, s6
	s_mov_b32 s1, 0
	s_branch .LBB324_1085
.LBB324_1081:
                                        ; implicit-def: $vgpr3
	s_branch .LBB324_1112
.LBB324_1082:
                                        ; implicit-def: $vgpr3
	s_branch .LBB324_1095
.LBB324_1083:
	s_mov_b32 s1, -1
                                        ; implicit-def: $vgpr3
	s_branch .LBB324_1090
.LBB324_1084:
	s_mov_b32 s1, -1
                                        ; implicit-def: $vgpr3
.LBB324_1085:
	s_delay_alu instid0(SALU_CYCLE_1)
	s_and_not1_b32 vcc_lo, exec_lo, s1
	s_cbranch_vccnz .LBB324_1089
; %bb.1086:
	global_load_b32 v0, v[4:5], off
	s_wait_loadcnt 0x1
	v_mov_b32_e32 v3, 0xff
	s_mov_b32 s6, exec_lo
	s_wait_loadcnt 0x0
	v_bfe_u32 v1, v0, 23, 8
	s_wait_xcnt 0x0
	s_delay_alu instid0(VALU_DEP_1)
	v_cmpx_ne_u32_e32 0xff, v1
	s_cbranch_execz .LBB324_1088
; %bb.1087:
	v_and_b32_e32 v3, 0x400000, v0
	v_and_or_b32 v1, 0x3fffff, v0, v1
	v_lshrrev_b32_e32 v0, 23, v0
	s_delay_alu instid0(VALU_DEP_3) | instskip(NEXT) | instid1(VALU_DEP_3)
	v_cmp_ne_u32_e32 vcc_lo, 0, v3
	v_cmp_ne_u32_e64 s1, 0, v1
	s_and_b32 s1, vcc_lo, s1
	s_delay_alu instid0(SALU_CYCLE_1) | instskip(NEXT) | instid1(VALU_DEP_1)
	v_cndmask_b32_e64 v1, 0, 1, s1
	v_add_nc_u32_e32 v3, v0, v1
.LBB324_1088:
	s_or_b32 exec_lo, exec_lo, s6
.LBB324_1089:
	s_mov_b32 s1, 0
.LBB324_1090:
	s_delay_alu instid0(SALU_CYCLE_1)
	s_and_not1_b32 vcc_lo, exec_lo, s1
	s_cbranch_vccnz .LBB324_1094
; %bb.1091:
	global_load_b32 v0, v[4:5], off
	s_wait_loadcnt 0x1
	v_mov_b32_e32 v3, 0xff
	s_mov_b32 s6, exec_lo
	s_wait_loadcnt 0x0
	v_cvt_f32_f16_e32 v0, v0
	s_delay_alu instid0(VALU_DEP_1) | instskip(SKIP_1) | instid1(VALU_DEP_1)
	v_bfe_u32 v1, v0, 23, 8
	s_wait_xcnt 0x0
	v_cmpx_ne_u32_e32 0xff, v1
	s_cbranch_execz .LBB324_1093
; %bb.1092:
	v_and_b32_e32 v3, 0x400000, v0
	v_and_or_b32 v1, 0x3fffff, v0, v1
	v_lshrrev_b32_e32 v0, 23, v0
	s_delay_alu instid0(VALU_DEP_3) | instskip(NEXT) | instid1(VALU_DEP_3)
	v_cmp_ne_u32_e32 vcc_lo, 0, v3
	v_cmp_ne_u32_e64 s1, 0, v1
	s_and_b32 s1, vcc_lo, s1
	s_delay_alu instid0(SALU_CYCLE_1) | instskip(NEXT) | instid1(VALU_DEP_1)
	v_cndmask_b32_e64 v1, 0, 1, s1
	v_add_nc_u32_e32 v3, v0, v1
.LBB324_1093:
	s_or_b32 exec_lo, exec_lo, s6
.LBB324_1094:
	s_cbranch_execnz .LBB324_1111
.LBB324_1095:
	s_sext_i32_i16 s1, s37
	s_delay_alu instid0(SALU_CYCLE_1)
	s_cmp_lt_i32 s1, 6
	s_cbranch_scc1 .LBB324_1100
; %bb.1096:
	s_cmp_gt_i32 s1, 6
	s_cbranch_scc0 .LBB324_1101
; %bb.1097:
	s_wait_loadcnt 0x0
	global_load_b64 v[0:1], v[4:5], off
	v_mov_b32_e32 v3, 0xff
	s_mov_b32 s6, exec_lo
	s_wait_loadcnt 0x0
	v_cvt_f32_f64_e32 v0, v[0:1]
	s_delay_alu instid0(VALU_DEP_1) | instskip(SKIP_1) | instid1(VALU_DEP_1)
	v_bfe_u32 v1, v0, 23, 8
	s_wait_xcnt 0x0
	v_cmpx_ne_u32_e32 0xff, v1
	s_cbranch_execz .LBB324_1099
; %bb.1098:
	v_and_b32_e32 v3, 0x400000, v0
	v_and_or_b32 v1, 0x3fffff, v0, v1
	v_lshrrev_b32_e32 v0, 23, v0
	s_delay_alu instid0(VALU_DEP_3) | instskip(NEXT) | instid1(VALU_DEP_3)
	v_cmp_ne_u32_e32 vcc_lo, 0, v3
	v_cmp_ne_u32_e64 s1, 0, v1
	s_and_b32 s1, vcc_lo, s1
	s_delay_alu instid0(SALU_CYCLE_1) | instskip(NEXT) | instid1(VALU_DEP_1)
	v_cndmask_b32_e64 v1, 0, 1, s1
	v_add_nc_u32_e32 v3, v0, v1
.LBB324_1099:
	s_or_b32 exec_lo, exec_lo, s6
	s_mov_b32 s1, 0
	s_branch .LBB324_1102
.LBB324_1100:
	s_mov_b32 s1, -1
                                        ; implicit-def: $vgpr3
	s_branch .LBB324_1107
.LBB324_1101:
	s_mov_b32 s1, -1
                                        ; implicit-def: $vgpr3
.LBB324_1102:
	s_delay_alu instid0(SALU_CYCLE_1)
	s_and_not1_b32 vcc_lo, exec_lo, s1
	s_cbranch_vccnz .LBB324_1106
; %bb.1103:
	global_load_b32 v0, v[4:5], off
	s_wait_loadcnt 0x1
	v_mov_b32_e32 v3, 0xff
	s_mov_b32 s6, exec_lo
	s_wait_loadcnt 0x0
	v_bfe_u32 v1, v0, 23, 8
	s_wait_xcnt 0x0
	s_delay_alu instid0(VALU_DEP_1)
	v_cmpx_ne_u32_e32 0xff, v1
	s_cbranch_execz .LBB324_1105
; %bb.1104:
	v_and_b32_e32 v3, 0x400000, v0
	v_and_or_b32 v1, 0x3fffff, v0, v1
	v_lshrrev_b32_e32 v0, 23, v0
	s_delay_alu instid0(VALU_DEP_3) | instskip(NEXT) | instid1(VALU_DEP_3)
	v_cmp_ne_u32_e32 vcc_lo, 0, v3
	v_cmp_ne_u32_e64 s1, 0, v1
	s_and_b32 s1, vcc_lo, s1
	s_delay_alu instid0(SALU_CYCLE_1) | instskip(NEXT) | instid1(VALU_DEP_1)
	v_cndmask_b32_e64 v1, 0, 1, s1
	v_add_nc_u32_e32 v3, v0, v1
.LBB324_1105:
	s_or_b32 exec_lo, exec_lo, s6
.LBB324_1106:
	s_mov_b32 s1, 0
.LBB324_1107:
	s_delay_alu instid0(SALU_CYCLE_1)
	s_and_not1_b32 vcc_lo, exec_lo, s1
	s_cbranch_vccnz .LBB324_1111
; %bb.1108:
	global_load_u16 v0, v[4:5], off
	s_wait_loadcnt 0x1
	v_mov_b32_e32 v3, 0xff
	s_mov_b32 s6, exec_lo
	s_wait_loadcnt 0x0
	v_cvt_f32_f16_e32 v0, v0
	s_delay_alu instid0(VALU_DEP_1) | instskip(SKIP_1) | instid1(VALU_DEP_1)
	v_bfe_u32 v1, v0, 23, 8
	s_wait_xcnt 0x0
	v_cmpx_ne_u32_e32 0xff, v1
	s_cbranch_execz .LBB324_1110
; %bb.1109:
	v_and_b32_e32 v3, 0x400000, v0
	v_and_or_b32 v1, 0x3fffff, v0, v1
	v_lshrrev_b32_e32 v0, 23, v0
	s_delay_alu instid0(VALU_DEP_3) | instskip(NEXT) | instid1(VALU_DEP_3)
	v_cmp_ne_u32_e32 vcc_lo, 0, v3
	v_cmp_ne_u32_e64 s1, 0, v1
	s_and_b32 s1, vcc_lo, s1
	s_delay_alu instid0(SALU_CYCLE_1) | instskip(NEXT) | instid1(VALU_DEP_1)
	v_cndmask_b32_e64 v1, 0, 1, s1
	v_add_nc_u32_e32 v3, v0, v1
.LBB324_1110:
	s_or_b32 exec_lo, exec_lo, s6
.LBB324_1111:
	s_cbranch_execnz .LBB324_1140
.LBB324_1112:
	s_sext_i32_i16 s1, s37
	s_delay_alu instid0(SALU_CYCLE_1)
	s_cmp_lt_i32 s1, 2
	s_cbranch_scc1 .LBB324_1118
; %bb.1113:
	s_cmp_lt_i32 s1, 3
	s_cbranch_scc1 .LBB324_1119
; %bb.1114:
	s_cmp_gt_i32 s1, 3
	s_cbranch_scc0 .LBB324_1120
; %bb.1115:
	s_wait_loadcnt 0x0
	global_load_b64 v[0:1], v[4:5], off
	s_mov_b32 s6, exec_lo
	s_wait_loadcnt 0x0
	v_xor_b32_e32 v3, v0, v1
	v_cls_i32_e32 v6, v1
	s_delay_alu instid0(VALU_DEP_2) | instskip(NEXT) | instid1(VALU_DEP_1)
	v_ashrrev_i32_e32 v3, 31, v3
	v_add_nc_u32_e32 v3, 32, v3
	s_delay_alu instid0(VALU_DEP_1) | instskip(NEXT) | instid1(VALU_DEP_1)
	v_add_min_u32_e64 v3, v6, -1, v3
	v_lshlrev_b64_e32 v[0:1], v3, v[0:1]
	s_delay_alu instid0(VALU_DEP_1) | instskip(NEXT) | instid1(VALU_DEP_1)
	v_min_u32_e32 v0, 1, v0
	v_dual_sub_nc_u32 v1, 32, v3 :: v_dual_bitop2_b32 v0, v1, v0 bitop3:0x54
	v_mov_b32_e32 v3, 0xff
	s_delay_alu instid0(VALU_DEP_2) | instskip(NEXT) | instid1(VALU_DEP_1)
	v_cvt_f32_i32_e32 v0, v0
	v_ldexp_f32 v0, v0, v1
	s_delay_alu instid0(VALU_DEP_1) | instskip(SKIP_1) | instid1(VALU_DEP_1)
	v_bfe_u32 v1, v0, 23, 8
	s_wait_xcnt 0x0
	v_cmpx_ne_u32_e32 0xff, v1
	s_cbranch_execz .LBB324_1117
; %bb.1116:
	v_and_b32_e32 v3, 0x400000, v0
	v_and_or_b32 v1, 0x3fffff, v0, v1
	v_lshrrev_b32_e32 v0, 23, v0
	s_delay_alu instid0(VALU_DEP_3) | instskip(NEXT) | instid1(VALU_DEP_3)
	v_cmp_ne_u32_e32 vcc_lo, 0, v3
	v_cmp_ne_u32_e64 s1, 0, v1
	s_and_b32 s1, vcc_lo, s1
	s_delay_alu instid0(SALU_CYCLE_1) | instskip(NEXT) | instid1(VALU_DEP_1)
	v_cndmask_b32_e64 v1, 0, 1, s1
	v_add_nc_u32_e32 v3, v0, v1
.LBB324_1117:
	s_or_b32 exec_lo, exec_lo, s6
	s_mov_b32 s1, 0
	s_branch .LBB324_1121
.LBB324_1118:
                                        ; implicit-def: $vgpr3
	s_branch .LBB324_1131
.LBB324_1119:
	s_mov_b32 s1, -1
                                        ; implicit-def: $vgpr3
	s_branch .LBB324_1126
.LBB324_1120:
	s_mov_b32 s1, -1
                                        ; implicit-def: $vgpr3
.LBB324_1121:
	s_delay_alu instid0(SALU_CYCLE_1)
	s_and_not1_b32 vcc_lo, exec_lo, s1
	s_cbranch_vccnz .LBB324_1125
; %bb.1122:
	global_load_b32 v0, v[4:5], off
	s_wait_loadcnt 0x1
	v_mov_b32_e32 v3, 0xff
	s_mov_b32 s6, exec_lo
	s_wait_loadcnt 0x0
	v_cvt_f32_i32_e32 v0, v0
	s_delay_alu instid0(VALU_DEP_1) | instskip(SKIP_1) | instid1(VALU_DEP_1)
	v_bfe_u32 v1, v0, 23, 8
	s_wait_xcnt 0x0
	v_cmpx_ne_u32_e32 0xff, v1
	s_cbranch_execz .LBB324_1124
; %bb.1123:
	v_and_b32_e32 v3, 0x400000, v0
	v_and_or_b32 v1, 0x3fffff, v0, v1
	v_lshrrev_b32_e32 v0, 23, v0
	s_delay_alu instid0(VALU_DEP_3) | instskip(NEXT) | instid1(VALU_DEP_3)
	v_cmp_ne_u32_e32 vcc_lo, 0, v3
	v_cmp_ne_u32_e64 s1, 0, v1
	s_and_b32 s1, vcc_lo, s1
	s_delay_alu instid0(SALU_CYCLE_1) | instskip(NEXT) | instid1(VALU_DEP_1)
	v_cndmask_b32_e64 v1, 0, 1, s1
	v_add_nc_u32_e32 v3, v0, v1
.LBB324_1124:
	s_or_b32 exec_lo, exec_lo, s6
.LBB324_1125:
	s_mov_b32 s1, 0
.LBB324_1126:
	s_delay_alu instid0(SALU_CYCLE_1)
	s_and_not1_b32 vcc_lo, exec_lo, s1
	s_cbranch_vccnz .LBB324_1130
; %bb.1127:
	global_load_i16 v0, v[4:5], off
	s_wait_loadcnt 0x1
	v_mov_b32_e32 v3, 0xff
	s_mov_b32 s6, exec_lo
	s_wait_loadcnt 0x0
	v_cvt_f32_i32_e32 v0, v0
	s_delay_alu instid0(VALU_DEP_1) | instskip(SKIP_1) | instid1(VALU_DEP_1)
	v_bfe_u32 v1, v0, 23, 8
	s_wait_xcnt 0x0
	v_cmpx_ne_u32_e32 0xff, v1
	s_cbranch_execz .LBB324_1129
; %bb.1128:
	v_and_b32_e32 v3, 0x400000, v0
	v_and_or_b32 v1, 0x3fffff, v0, v1
	v_lshrrev_b32_e32 v0, 23, v0
	s_delay_alu instid0(VALU_DEP_3) | instskip(NEXT) | instid1(VALU_DEP_3)
	v_cmp_ne_u32_e32 vcc_lo, 0, v3
	v_cmp_ne_u32_e64 s1, 0, v1
	s_and_b32 s1, vcc_lo, s1
	s_delay_alu instid0(SALU_CYCLE_1) | instskip(NEXT) | instid1(VALU_DEP_1)
	v_cndmask_b32_e64 v1, 0, 1, s1
	v_add_nc_u32_e32 v3, v0, v1
.LBB324_1129:
	s_or_b32 exec_lo, exec_lo, s6
.LBB324_1130:
	s_cbranch_execnz .LBB324_1140
.LBB324_1131:
	s_sext_i32_i16 s1, s37
	s_delay_alu instid0(SALU_CYCLE_1)
	s_cmp_gt_i32 s1, 0
	s_cbranch_scc0 .LBB324_1135
; %bb.1132:
	global_load_i8 v0, v[4:5], off
	s_wait_loadcnt 0x1
	v_mov_b32_e32 v3, 0xff
	s_mov_b32 s6, exec_lo
	s_wait_loadcnt 0x0
	v_cvt_f32_i32_e32 v0, v0
	s_delay_alu instid0(VALU_DEP_1) | instskip(SKIP_1) | instid1(VALU_DEP_1)
	v_bfe_u32 v1, v0, 23, 8
	s_wait_xcnt 0x0
	v_cmpx_ne_u32_e32 0xff, v1
	s_cbranch_execz .LBB324_1134
; %bb.1133:
	v_and_b32_e32 v3, 0x400000, v0
	v_and_or_b32 v1, 0x3fffff, v0, v1
	v_lshrrev_b32_e32 v0, 23, v0
	s_delay_alu instid0(VALU_DEP_3) | instskip(NEXT) | instid1(VALU_DEP_3)
	v_cmp_ne_u32_e32 vcc_lo, 0, v3
	v_cmp_ne_u32_e64 s1, 0, v1
	s_and_b32 s1, vcc_lo, s1
	s_delay_alu instid0(SALU_CYCLE_1) | instskip(NEXT) | instid1(VALU_DEP_1)
	v_cndmask_b32_e64 v1, 0, 1, s1
	v_add_nc_u32_e32 v3, v0, v1
.LBB324_1134:
	s_or_b32 exec_lo, exec_lo, s6
	s_mov_b32 s1, 0
	s_branch .LBB324_1136
.LBB324_1135:
	s_mov_b32 s1, -1
                                        ; implicit-def: $vgpr3
.LBB324_1136:
	s_delay_alu instid0(SALU_CYCLE_1)
	s_and_not1_b32 vcc_lo, exec_lo, s1
	s_cbranch_vccnz .LBB324_1140
; %bb.1137:
	global_load_u8 v0, v[4:5], off
	s_mov_b32 s6, exec_lo
	s_wait_loadcnt 0x1
	v_mov_b32_e32 v3, 0xff
	s_wait_loadcnt 0x0
	v_cvt_f32_ubyte0_e32 v1, v0
	s_delay_alu instid0(VALU_DEP_1) | instskip(SKIP_1) | instid1(VALU_DEP_1)
	v_lshrrev_b32_e32 v0, 23, v1
	s_wait_xcnt 0x0
	v_cmpx_ne_u32_e32 0xff, v0
; %bb.1138:
	v_and_b32_e32 v3, 0x400000, v1
	v_and_or_b32 v1, 0x3fffff, v1, v0
	s_delay_alu instid0(VALU_DEP_2) | instskip(NEXT) | instid1(VALU_DEP_2)
	v_cmp_ne_u32_e32 vcc_lo, 0, v3
	v_cmp_ne_u32_e64 s1, 0, v1
	s_and_b32 s1, vcc_lo, s1
	s_delay_alu instid0(SALU_CYCLE_1) | instskip(NEXT) | instid1(VALU_DEP_1)
	v_cndmask_b32_e64 v1, 0, 1, s1
	v_add_nc_u32_e32 v3, v0, v1
; %bb.1139:
	s_or_b32 exec_lo, exec_lo, s6
.LBB324_1140:
	s_delay_alu instid0(SALU_CYCLE_1)
	s_or_b32 s16, s16, exec_lo
.LBB324_1141:
	s_or_b32 exec_lo, exec_lo, s3
	s_mov_b32 s8, 0
	s_mov_b32 s7, 0
                                        ; implicit-def: $sgpr1
                                        ; implicit-def: $sgpr3
                                        ; implicit-def: $vgpr0_vgpr1
	s_and_saveexec_b32 s6, s16
	s_cbranch_execz .LBB324_1216
; %bb.1142:
	s_wait_loadcnt 0x0
	v_and_b32_e32 v0, 0xff, v3
	s_and_b32 s3, s18, 0xff
	v_mov_b32_e32 v3, 0
	s_cmp_lt_i32 s3, 11
	s_delay_alu instid0(VALU_DEP_2) | instskip(SKIP_1) | instid1(VALU_DEP_2)
	v_lshlrev_b32_e32 v1, 23, v0
	v_cmp_ne_u16_e32 vcc_lo, 0xff, v0
	v_cndmask_b32_e32 v1, 0x7f800001, v1, vcc_lo
	v_cmp_ne_u16_e32 vcc_lo, 0, v0
	s_delay_alu instid0(VALU_DEP_2) | instskip(NEXT) | instid1(VALU_DEP_1)
	v_cndmask_b32_e32 v0, 0x400000, v1, vcc_lo
	v_cmp_eq_f32_e32 vcc_lo, s9, v0
	v_cndmask_b32_e64 v1, 0, 1, vcc_lo
	v_cmp_neq_f32_e32 vcc_lo, s9, v0
	v_cndmask_b32_e64 v0, 0, 1, vcc_lo
	s_delay_alu instid0(VALU_DEP_1) | instskip(SKIP_1) | instid1(VALU_DEP_1)
	v_cndmask_b32_e64 v0, v0, v1, s0
	s_mov_b32 s0, s42
	v_and_b32_e32 v4, 1, v0
	v_add_nc_u64_e32 v[0:1], s[4:5], v[2:3]
	s_mov_b32 s5, -1
	s_delay_alu instid0(VALU_DEP_2)
	v_cmp_eq_u32_e64 s1, 1, v4
	s_cbranch_scc1 .LBB324_1220
; %bb.1143:
	s_and_b32 s4, 0xffff, s3
	s_mov_b32 s0, s42
	s_cmp_gt_i32 s4, 25
	s_cbranch_scc0 .LBB324_1176
; %bb.1144:
	s_cmp_gt_i32 s4, 28
	s_mov_b32 s0, s42
	s_cbranch_scc0 .LBB324_1160
; %bb.1145:
	s_cmp_gt_i32 s4, 43
	s_mov_b32 s0, s42
	;; [unrolled: 4-line block ×3, first 2 shown]
	s_cbranch_scc0 .LBB324_1150
; %bb.1147:
	s_cmp_eq_u32 s4, 46
	s_mov_b32 s0, -1
	s_cbranch_scc0 .LBB324_1149
; %bb.1148:
	v_cndmask_b32_e64 v2, 0, 1.0, s1
	s_mov_b32 s0, 0
	s_delay_alu instid0(VALU_DEP_1) | instskip(NEXT) | instid1(VALU_DEP_1)
	v_bfe_u32 v3, v2, 16, 1
	v_add3_u32 v2, v2, v3, 0x7fff
	s_delay_alu instid0(VALU_DEP_1)
	v_lshrrev_b32_e32 v2, 16, v2
	global_store_b32 v[0:1], v2, off
.LBB324_1149:
	s_mov_b32 s5, 0
.LBB324_1150:
	s_delay_alu instid0(SALU_CYCLE_1)
	s_and_b32 vcc_lo, exec_lo, s5
	s_cbranch_vccz .LBB324_1155
; %bb.1151:
	s_cmp_eq_u32 s4, 44
	s_mov_b32 s0, -1
	s_cbranch_scc0 .LBB324_1155
; %bb.1152:
	v_cndmask_b32_e64 v4, 0, 1.0, s1
	s_mov_b32 s5, exec_lo
	s_wait_xcnt 0x0
	s_delay_alu instid0(VALU_DEP_1) | instskip(NEXT) | instid1(VALU_DEP_1)
	v_dual_mov_b32 v3, 0xff :: v_dual_lshrrev_b32 v2, 23, v4
	v_cmpx_ne_u32_e32 0xff, v2
; %bb.1153:
	v_and_b32_e32 v3, 0x400000, v4
	v_and_or_b32 v4, 0x3fffff, v4, v2
	s_delay_alu instid0(VALU_DEP_2) | instskip(NEXT) | instid1(VALU_DEP_2)
	v_cmp_ne_u32_e32 vcc_lo, 0, v3
	v_cmp_ne_u32_e64 s0, 0, v4
	s_and_b32 s0, vcc_lo, s0
	s_delay_alu instid0(SALU_CYCLE_1) | instskip(NEXT) | instid1(VALU_DEP_1)
	v_cndmask_b32_e64 v3, 0, 1, s0
	v_add_nc_u32_e32 v3, v2, v3
; %bb.1154:
	s_or_b32 exec_lo, exec_lo, s5
	s_mov_b32 s0, 0
	global_store_b8 v[0:1], v3, off
.LBB324_1155:
	s_mov_b32 s5, 0
.LBB324_1156:
	s_delay_alu instid0(SALU_CYCLE_1)
	s_and_b32 vcc_lo, exec_lo, s5
	s_cbranch_vccz .LBB324_1159
; %bb.1157:
	s_cmp_eq_u32 s4, 29
	s_mov_b32 s0, -1
	s_cbranch_scc0 .LBB324_1159
; %bb.1158:
	s_mov_b32 s0, 0
	s_wait_xcnt 0x0
	v_cndmask_b32_e64 v2, 0, 1, s1
	v_mov_b32_e32 v3, s0
	global_store_b64 v[0:1], v[2:3], off
.LBB324_1159:
	s_mov_b32 s5, 0
.LBB324_1160:
	s_delay_alu instid0(SALU_CYCLE_1)
	s_and_b32 vcc_lo, exec_lo, s5
	s_cbranch_vccz .LBB324_1175
; %bb.1161:
	s_cmp_lt_i32 s4, 27
	s_mov_b32 s5, -1
	s_cbranch_scc1 .LBB324_1167
; %bb.1162:
	s_cmp_gt_i32 s4, 27
	s_cbranch_scc0 .LBB324_1164
; %bb.1163:
	s_wait_xcnt 0x0
	v_cndmask_b32_e64 v2, 0, 1, s1
	s_mov_b32 s5, 0
	global_store_b32 v[0:1], v2, off
.LBB324_1164:
	s_and_not1_b32 vcc_lo, exec_lo, s5
	s_cbranch_vccnz .LBB324_1166
; %bb.1165:
	s_wait_xcnt 0x0
	v_cndmask_b32_e64 v2, 0, 1, s1
	global_store_b16 v[0:1], v2, off
.LBB324_1166:
	s_mov_b32 s5, 0
.LBB324_1167:
	s_delay_alu instid0(SALU_CYCLE_1)
	s_and_not1_b32 vcc_lo, exec_lo, s5
	s_cbranch_vccnz .LBB324_1175
; %bb.1168:
	s_wait_xcnt 0x0
	v_cndmask_b32_e64 v3, 0, 1.0, s1
	v_mov_b32_e32 v4, 0x80
	s_mov_b32 s5, exec_lo
	s_delay_alu instid0(VALU_DEP_2)
	v_cmpx_gt_u32_e32 0x43800000, v3
	s_cbranch_execz .LBB324_1174
; %bb.1169:
	s_mov_b32 s8, exec_lo
                                        ; implicit-def: $vgpr2
	v_cmpx_lt_u32_e32 0x3bffffff, v3
	s_xor_b32 s8, exec_lo, s8
	s_cbranch_execz .LBB324_1337
; %bb.1170:
	v_bfe_u32 v2, v3, 20, 1
	s_mov_b32 s7, exec_lo
	s_delay_alu instid0(VALU_DEP_1) | instskip(NEXT) | instid1(VALU_DEP_1)
	v_add3_u32 v2, v3, v2, 0x487ffff
                                        ; implicit-def: $vgpr3
	v_lshrrev_b32_e32 v2, 20, v2
	s_and_not1_saveexec_b32 s8, s8
	s_cbranch_execnz .LBB324_1338
.LBB324_1171:
	s_or_b32 exec_lo, exec_lo, s8
	v_mov_b32_e32 v4, 0
	s_and_saveexec_b32 s8, s7
.LBB324_1172:
	v_mov_b32_e32 v4, v2
.LBB324_1173:
	s_or_b32 exec_lo, exec_lo, s8
.LBB324_1174:
	s_delay_alu instid0(SALU_CYCLE_1)
	s_or_b32 exec_lo, exec_lo, s5
	global_store_b8 v[0:1], v4, off
.LBB324_1175:
	s_mov_b32 s5, 0
.LBB324_1176:
	s_delay_alu instid0(SALU_CYCLE_1)
	s_and_b32 vcc_lo, exec_lo, s5
	s_mov_b32 s5, 0
	s_cbranch_vccz .LBB324_1219
; %bb.1177:
	s_cmp_gt_i32 s4, 22
	s_mov_b32 s7, -1
	s_cbranch_scc0 .LBB324_1209
; %bb.1178:
	s_cmp_lt_i32 s4, 24
	s_cbranch_scc1 .LBB324_1198
; %bb.1179:
	s_cmp_gt_i32 s4, 24
	s_cbranch_scc0 .LBB324_1187
; %bb.1180:
	s_wait_xcnt 0x0
	v_cndmask_b32_e64 v3, 0, 1.0, s1
	v_mov_b32_e32 v4, 0x80
	s_mov_b32 s7, exec_lo
	s_delay_alu instid0(VALU_DEP_2)
	v_cmpx_gt_u32_e32 0x47800000, v3
	s_cbranch_execz .LBB324_1186
; %bb.1181:
	s_mov_b32 s8, 0
	s_mov_b32 s9, exec_lo
                                        ; implicit-def: $vgpr2
	v_cmpx_lt_u32_e32 0x37ffffff, v3
	s_xor_b32 s9, exec_lo, s9
	s_cbranch_execz .LBB324_1504
; %bb.1182:
	v_bfe_u32 v2, v3, 21, 1
	s_mov_b32 s8, exec_lo
	s_delay_alu instid0(VALU_DEP_1) | instskip(NEXT) | instid1(VALU_DEP_1)
	v_add3_u32 v2, v3, v2, 0x88fffff
                                        ; implicit-def: $vgpr3
	v_lshrrev_b32_e32 v2, 21, v2
	s_and_not1_saveexec_b32 s9, s9
	s_cbranch_execnz .LBB324_1505
.LBB324_1183:
	s_or_b32 exec_lo, exec_lo, s9
	v_mov_b32_e32 v4, 0
	s_and_saveexec_b32 s9, s8
.LBB324_1184:
	v_mov_b32_e32 v4, v2
.LBB324_1185:
	s_or_b32 exec_lo, exec_lo, s9
.LBB324_1186:
	s_delay_alu instid0(SALU_CYCLE_1)
	s_or_b32 exec_lo, exec_lo, s7
	s_mov_b32 s7, 0
	global_store_b8 v[0:1], v4, off
.LBB324_1187:
	s_and_b32 vcc_lo, exec_lo, s7
	s_cbranch_vccz .LBB324_1197
; %bb.1188:
	s_wait_xcnt 0x0
	v_cndmask_b32_e64 v3, 0, 1.0, s1
	s_mov_b32 s7, exec_lo
                                        ; implicit-def: $vgpr2
	s_delay_alu instid0(VALU_DEP_1)
	v_cmpx_gt_u32_e32 0x43f00000, v3
	s_xor_b32 s7, exec_lo, s7
	s_cbranch_execz .LBB324_1194
; %bb.1189:
	s_mov_b32 s8, exec_lo
                                        ; implicit-def: $vgpr2
	v_cmpx_lt_u32_e32 0x3c7fffff, v3
	s_xor_b32 s8, exec_lo, s8
; %bb.1190:
	v_bfe_u32 v2, v3, 20, 1
	s_delay_alu instid0(VALU_DEP_1) | instskip(NEXT) | instid1(VALU_DEP_1)
	v_add3_u32 v2, v3, v2, 0x407ffff
	v_and_b32_e32 v3, 0xff00000, v2
	v_lshrrev_b32_e32 v2, 20, v2
	s_delay_alu instid0(VALU_DEP_2) | instskip(NEXT) | instid1(VALU_DEP_2)
	v_cmp_ne_u32_e32 vcc_lo, 0x7f00000, v3
                                        ; implicit-def: $vgpr3
	v_cndmask_b32_e32 v2, 0x7e, v2, vcc_lo
; %bb.1191:
	s_and_not1_saveexec_b32 s8, s8
; %bb.1192:
	v_add_f32_e32 v2, 0x46800000, v3
; %bb.1193:
	s_or_b32 exec_lo, exec_lo, s8
                                        ; implicit-def: $vgpr3
.LBB324_1194:
	s_and_not1_saveexec_b32 s7, s7
; %bb.1195:
	v_mov_b32_e32 v2, 0x7f
	v_cmp_lt_u32_e32 vcc_lo, 0x7f800000, v3
	s_delay_alu instid0(VALU_DEP_2)
	v_cndmask_b32_e32 v2, 0x7e, v2, vcc_lo
; %bb.1196:
	s_or_b32 exec_lo, exec_lo, s7
	global_store_b8 v[0:1], v2, off
.LBB324_1197:
	s_mov_b32 s7, 0
.LBB324_1198:
	s_delay_alu instid0(SALU_CYCLE_1)
	s_and_not1_b32 vcc_lo, exec_lo, s7
	s_cbranch_vccnz .LBB324_1208
; %bb.1199:
	s_wait_xcnt 0x0
	v_cndmask_b32_e64 v3, 0, 1.0, s1
	s_mov_b32 s7, exec_lo
                                        ; implicit-def: $vgpr2
	s_delay_alu instid0(VALU_DEP_1)
	v_cmpx_gt_u32_e32 0x47800000, v3
	s_xor_b32 s7, exec_lo, s7
	s_cbranch_execz .LBB324_1205
; %bb.1200:
	s_mov_b32 s8, exec_lo
                                        ; implicit-def: $vgpr2
	v_cmpx_lt_u32_e32 0x387fffff, v3
	s_xor_b32 s8, exec_lo, s8
; %bb.1201:
	v_bfe_u32 v2, v3, 21, 1
	s_delay_alu instid0(VALU_DEP_1) | instskip(NEXT) | instid1(VALU_DEP_1)
	v_add3_u32 v2, v3, v2, 0x80fffff
                                        ; implicit-def: $vgpr3
	v_lshrrev_b32_e32 v2, 21, v2
; %bb.1202:
	s_and_not1_saveexec_b32 s8, s8
; %bb.1203:
	v_add_f32_e32 v2, 0x43000000, v3
; %bb.1204:
	s_or_b32 exec_lo, exec_lo, s8
                                        ; implicit-def: $vgpr3
.LBB324_1205:
	s_and_not1_saveexec_b32 s7, s7
; %bb.1206:
	v_mov_b32_e32 v2, 0x7f
	v_cmp_lt_u32_e32 vcc_lo, 0x7f800000, v3
	s_delay_alu instid0(VALU_DEP_2)
	v_cndmask_b32_e32 v2, 0x7c, v2, vcc_lo
; %bb.1207:
	s_or_b32 exec_lo, exec_lo, s7
	global_store_b8 v[0:1], v2, off
.LBB324_1208:
	s_mov_b32 s7, 0
.LBB324_1209:
	s_delay_alu instid0(SALU_CYCLE_1)
	s_and_not1_b32 vcc_lo, exec_lo, s7
	s_mov_b32 s8, 0
	s_cbranch_vccnz .LBB324_1220
; %bb.1210:
	s_cmp_gt_i32 s4, 14
	s_mov_b32 s7, -1
	s_cbranch_scc0 .LBB324_1214
; %bb.1211:
	s_cmp_eq_u32 s4, 15
	s_mov_b32 s0, -1
	s_cbranch_scc0 .LBB324_1213
; %bb.1212:
	s_wait_xcnt 0x0
	v_cndmask_b32_e64 v2, 0, 1.0, s1
	s_mov_b32 s0, 0
	s_delay_alu instid0(VALU_DEP_1) | instskip(NEXT) | instid1(VALU_DEP_1)
	v_bfe_u32 v3, v2, 16, 1
	v_add3_u32 v2, v2, v3, 0x7fff
	global_store_d16_hi_b16 v[0:1], v2, off
.LBB324_1213:
	s_mov_b32 s7, 0
.LBB324_1214:
	s_delay_alu instid0(SALU_CYCLE_1)
	s_and_b32 vcc_lo, exec_lo, s7
	s_cbranch_vccz .LBB324_1220
; %bb.1215:
	s_cmp_lg_u32 s4, 11
	s_mov_b32 s8, -1
	s_cselect_b32 s4, -1, 0
	s_and_not1_b32 s0, s0, exec_lo
	s_and_b32 s4, s4, exec_lo
	s_delay_alu instid0(SALU_CYCLE_1)
	s_or_b32 s0, s0, s4
	s_branch .LBB324_1220
.LBB324_1216:
	s_or_b32 exec_lo, exec_lo, s6
	s_and_saveexec_b32 s0, s42
	s_cbranch_execnz .LBB324_1221
.LBB324_1217:
	s_or_b32 exec_lo, exec_lo, s0
	s_and_saveexec_b32 s0, s8
	s_delay_alu instid0(SALU_CYCLE_1)
	s_xor_b32 s0, exec_lo, s0
	s_cbranch_execz .LBB324_1222
.LBB324_1218:
	v_cndmask_b32_e64 v2, 0, 1, s1
	s_wait_loadcnt 0x0
	global_store_b8 v[0:1], v2, off
	s_wait_xcnt 0x0
	s_or_b32 exec_lo, exec_lo, s0
	s_and_saveexec_b32 s0, s7
	s_delay_alu instid0(SALU_CYCLE_1)
	s_xor_b32 s0, exec_lo, s0
	s_cbranch_execz .LBB324_1260
	s_branch .LBB324_1223
.LBB324_1219:
	s_mov_b32 s8, 0
.LBB324_1220:
	s_and_not1_b32 s4, s42, exec_lo
	s_and_b32 s0, s0, exec_lo
	s_and_b32 s7, s5, exec_lo
	;; [unrolled: 1-line block ×3, first 2 shown]
	s_or_b32 s42, s4, s0
	s_wait_xcnt 0x0
	s_or_b32 exec_lo, exec_lo, s6
	s_and_saveexec_b32 s0, s42
	s_cbranch_execz .LBB324_1217
.LBB324_1221:
	s_or_b32 s2, s2, exec_lo
	s_and_not1_b32 s8, s8, exec_lo
	s_trap 2
	s_or_b32 exec_lo, exec_lo, s0
	s_and_saveexec_b32 s0, s8
	s_delay_alu instid0(SALU_CYCLE_1)
	s_xor_b32 s0, exec_lo, s0
	s_cbranch_execnz .LBB324_1218
.LBB324_1222:
	s_or_b32 exec_lo, exec_lo, s0
	s_and_saveexec_b32 s0, s7
	s_delay_alu instid0(SALU_CYCLE_1)
	s_xor_b32 s0, exec_lo, s0
	s_cbranch_execz .LBB324_1260
.LBB324_1223:
	s_sext_i32_i16 s5, s3
	s_mov_b32 s4, -1
	s_cmp_lt_i32 s5, 5
	s_cbranch_scc1 .LBB324_1244
; %bb.1224:
	s_cmp_lt_i32 s5, 8
	s_cbranch_scc1 .LBB324_1234
; %bb.1225:
	;; [unrolled: 3-line block ×3, first 2 shown]
	s_cmp_gt_i32 s5, 9
	s_cbranch_scc0 .LBB324_1228
; %bb.1227:
	v_cndmask_b32_e64 v2, 0, 1, s1
	v_mov_b32_e32 v4, 0
	s_mov_b32 s4, 0
	s_wait_loadcnt 0x0
	s_delay_alu instid0(VALU_DEP_2) | instskip(NEXT) | instid1(VALU_DEP_2)
	v_cvt_f64_u32_e32 v[2:3], v2
	v_mov_b32_e32 v5, v4
	global_store_b128 v[0:1], v[2:5], off
.LBB324_1228:
	s_and_not1_b32 vcc_lo, exec_lo, s4
	s_cbranch_vccnz .LBB324_1230
; %bb.1229:
	s_wait_xcnt 0x0
	v_cndmask_b32_e64 v2, 0, 1.0, s1
	s_wait_loadcnt 0x0
	v_mov_b32_e32 v3, 0
	global_store_b64 v[0:1], v[2:3], off
.LBB324_1230:
	s_mov_b32 s4, 0
.LBB324_1231:
	s_delay_alu instid0(SALU_CYCLE_1)
	s_and_not1_b32 vcc_lo, exec_lo, s4
	s_cbranch_vccnz .LBB324_1233
; %bb.1232:
	s_wait_xcnt 0x0
	v_cndmask_b32_e64 v2, 0, 1.0, s1
	s_delay_alu instid0(VALU_DEP_1) | instskip(NEXT) | instid1(VALU_DEP_1)
	v_cvt_f16_f32_e32 v2, v2
	v_and_b32_e32 v2, 0xffff, v2
	s_wait_loadcnt 0x0
	global_store_b32 v[0:1], v2, off
.LBB324_1233:
	s_mov_b32 s4, 0
.LBB324_1234:
	s_delay_alu instid0(SALU_CYCLE_1)
	s_and_not1_b32 vcc_lo, exec_lo, s4
	s_cbranch_vccnz .LBB324_1243
; %bb.1235:
	s_sext_i32_i16 s5, s3
	s_mov_b32 s4, -1
	s_cmp_lt_i32 s5, 6
	s_cbranch_scc1 .LBB324_1241
; %bb.1236:
	s_cmp_gt_i32 s5, 6
	s_cbranch_scc0 .LBB324_1238
; %bb.1237:
	s_wait_xcnt 0x0
	v_cndmask_b32_e64 v2, 0, 1, s1
	s_mov_b32 s4, 0
	s_wait_loadcnt 0x0
	s_delay_alu instid0(VALU_DEP_1)
	v_cvt_f64_u32_e32 v[2:3], v2
	global_store_b64 v[0:1], v[2:3], off
.LBB324_1238:
	s_and_not1_b32 vcc_lo, exec_lo, s4
	s_cbranch_vccnz .LBB324_1240
; %bb.1239:
	s_wait_xcnt 0x0
	v_cndmask_b32_e64 v2, 0, 1.0, s1
	s_wait_loadcnt 0x0
	global_store_b32 v[0:1], v2, off
.LBB324_1240:
	s_mov_b32 s4, 0
.LBB324_1241:
	s_delay_alu instid0(SALU_CYCLE_1)
	s_and_not1_b32 vcc_lo, exec_lo, s4
	s_cbranch_vccnz .LBB324_1243
; %bb.1242:
	s_wait_xcnt 0x0
	v_cndmask_b32_e64 v2, 0, 1.0, s1
	s_delay_alu instid0(VALU_DEP_1)
	v_cvt_f16_f32_e32 v2, v2
	s_wait_loadcnt 0x0
	global_store_b16 v[0:1], v2, off
.LBB324_1243:
	s_mov_b32 s4, 0
.LBB324_1244:
	s_delay_alu instid0(SALU_CYCLE_1)
	s_and_not1_b32 vcc_lo, exec_lo, s4
	s_cbranch_vccnz .LBB324_1260
; %bb.1245:
	s_sext_i32_i16 s5, s3
	s_mov_b32 s4, -1
	s_cmp_lt_i32 s5, 2
	s_cbranch_scc1 .LBB324_1255
; %bb.1246:
	s_cmp_lt_i32 s5, 3
	s_cbranch_scc1 .LBB324_1252
; %bb.1247:
	s_cmp_gt_i32 s5, 3
	s_cbranch_scc0 .LBB324_1249
; %bb.1248:
	s_mov_b32 s4, 0
	s_wait_xcnt 0x0
	v_cndmask_b32_e64 v2, 0, 1, s1
	s_wait_loadcnt 0x0
	v_mov_b32_e32 v3, s4
	global_store_b64 v[0:1], v[2:3], off
.LBB324_1249:
	s_and_not1_b32 vcc_lo, exec_lo, s4
	s_cbranch_vccnz .LBB324_1251
; %bb.1250:
	s_wait_xcnt 0x0
	v_cndmask_b32_e64 v2, 0, 1, s1
	s_wait_loadcnt 0x0
	global_store_b32 v[0:1], v2, off
.LBB324_1251:
	s_mov_b32 s4, 0
.LBB324_1252:
	s_delay_alu instid0(SALU_CYCLE_1)
	s_and_not1_b32 vcc_lo, exec_lo, s4
	s_cbranch_vccnz .LBB324_1254
; %bb.1253:
	s_wait_xcnt 0x0
	v_cndmask_b32_e64 v2, 0, 1, s1
	s_wait_loadcnt 0x0
	global_store_b16 v[0:1], v2, off
.LBB324_1254:
	s_mov_b32 s4, 0
.LBB324_1255:
	s_delay_alu instid0(SALU_CYCLE_1)
	s_and_not1_b32 vcc_lo, exec_lo, s4
	s_cbranch_vccnz .LBB324_1260
; %bb.1256:
	s_sext_i32_i16 s3, s3
	s_delay_alu instid0(SALU_CYCLE_1)
	s_cmp_gt_i32 s3, 0
	s_mov_b32 s3, -1
	s_cbranch_scc0 .LBB324_1258
; %bb.1257:
	s_wait_xcnt 0x0
	v_cndmask_b32_e64 v2, 0, 1, s1
	s_mov_b32 s3, 0
	s_wait_loadcnt 0x0
	global_store_b8 v[0:1], v2, off
.LBB324_1258:
	s_and_not1_b32 vcc_lo, exec_lo, s3
	s_cbranch_vccnz .LBB324_1260
; %bb.1259:
	s_wait_xcnt 0x0
	v_cndmask_b32_e64 v2, 0, 1, s1
	s_wait_loadcnt 0x0
	global_store_b8 v[0:1], v2, off
.LBB324_1260:
	s_wait_xcnt 0x0
	s_or_b32 exec_lo, exec_lo, s0
	s_delay_alu instid0(SALU_CYCLE_1)
	s_and_b32 s8, s2, exec_lo
                                        ; implicit-def: $vgpr9
                                        ; implicit-def: $vgpr0
.LBB324_1261:
	s_or_saveexec_b32 s9, s36
	s_mov_b32 s0, 0
                                        ; implicit-def: $sgpr1
                                        ; implicit-def: $vgpr2_vgpr3
                                        ; implicit-def: $sgpr6
	s_xor_b32 exec_lo, exec_lo, s9
	s_cbranch_execz .LBB324_2437
; %bb.1262:
	s_wait_loadcnt 0x0
	v_cndmask_b32_e64 v1, 0, 1, s35
	s_and_not1_b32 vcc_lo, exec_lo, s35
	s_cbranch_vccnz .LBB324_1268
; %bb.1263:
	s_cmp_lg_u32 s19, 0
	s_mov_b32 s6, 0
	s_cbranch_scc0 .LBB324_1269
; %bb.1264:
	s_min_u32 s1, s33, 15
	s_delay_alu instid0(SALU_CYCLE_1)
	s_add_co_i32 s1, s1, 1
	s_cmp_eq_u32 s33, 2
	s_cbranch_scc1 .LBB324_1270
; %bb.1265:
	v_dual_mov_b32 v6, 0 :: v_dual_mov_b32 v14, 0
	v_mov_b32_e32 v2, v0
	s_and_b32 s0, s1, 28
	s_add_nc_u64 s[2:3], s[20:21], 0xc4
	s_mov_b32 s7, 0
	s_mov_b64 s[4:5], s[20:21]
.LBB324_1266:                           ; =>This Inner Loop Header: Depth=1
	s_clause 0x1
	s_load_b256 s[24:31], s[4:5], 0x4
	s_load_b128 s[12:15], s[4:5], 0x24
	s_load_b256 s[36:43], s[2:3], 0x0
	s_add_co_i32 s7, s7, 4
	s_wait_xcnt 0x0
	s_add_nc_u64 s[4:5], s[4:5], 48
	s_cmp_lg_u32 s0, s7
	s_add_nc_u64 s[2:3], s[2:3], 32
	s_wait_kmcnt 0x0
	v_mul_hi_u32 v3, s25, v2
	s_delay_alu instid0(VALU_DEP_1) | instskip(NEXT) | instid1(VALU_DEP_1)
	v_add_nc_u32_e32 v3, v2, v3
	v_lshrrev_b32_e32 v3, s26, v3
	s_delay_alu instid0(VALU_DEP_1) | instskip(NEXT) | instid1(VALU_DEP_1)
	v_mul_hi_u32 v4, s28, v3
	v_add_nc_u32_e32 v4, v3, v4
	s_delay_alu instid0(VALU_DEP_1) | instskip(NEXT) | instid1(VALU_DEP_1)
	v_lshrrev_b32_e32 v4, s29, v4
	v_mul_hi_u32 v5, s31, v4
	s_delay_alu instid0(VALU_DEP_1) | instskip(SKIP_1) | instid1(VALU_DEP_1)
	v_add_nc_u32_e32 v5, v4, v5
	v_mul_lo_u32 v7, v3, s24
	v_sub_nc_u32_e32 v2, v2, v7
	v_mul_lo_u32 v7, v4, s27
	s_delay_alu instid0(VALU_DEP_4) | instskip(NEXT) | instid1(VALU_DEP_3)
	v_lshrrev_b32_e32 v5, s12, v5
	v_mad_u32 v10, v2, s37, v14
	v_mad_u32 v2, v2, s36, v6
	s_delay_alu instid0(VALU_DEP_4) | instskip(NEXT) | instid1(VALU_DEP_4)
	v_sub_nc_u32_e32 v3, v3, v7
	v_mul_hi_u32 v8, s14, v5
	v_mul_lo_u32 v6, v5, s30
	s_delay_alu instid0(VALU_DEP_1) | instskip(NEXT) | instid1(VALU_DEP_4)
	v_dual_add_nc_u32 v7, v5, v8 :: v_dual_sub_nc_u32 v4, v4, v6
	v_mad_u32 v8, v3, s39, v10
	v_mad_u32 v3, v3, s38, v2
	s_delay_alu instid0(VALU_DEP_3) | instskip(NEXT) | instid1(VALU_DEP_1)
	v_lshrrev_b32_e32 v2, s15, v7
	v_mul_lo_u32 v6, v2, s13
	s_delay_alu instid0(VALU_DEP_4) | instskip(NEXT) | instid1(VALU_DEP_4)
	v_mad_u32 v7, v4, s41, v8
	v_mad_u32 v3, v4, s40, v3
	s_delay_alu instid0(VALU_DEP_3) | instskip(NEXT) | instid1(VALU_DEP_1)
	v_sub_nc_u32_e32 v4, v5, v6
	v_mad_u32 v14, v4, s43, v7
	s_delay_alu instid0(VALU_DEP_3)
	v_mad_u32 v6, v4, s42, v3
	s_cbranch_scc1 .LBB324_1266
; %bb.1267:
	s_delay_alu instid0(VALU_DEP_2)
	v_mov_b32_e32 v7, v14
	s_and_b32 s4, s1, 3
	s_mov_b32 s1, 0
	s_cmp_eq_u32 s4, 0
	s_cbranch_scc0 .LBB324_1271
	s_branch .LBB324_1274
.LBB324_1268:
	s_mov_b32 s6, -1
                                        ; implicit-def: $vgpr14
                                        ; implicit-def: $vgpr6
	s_branch .LBB324_1274
.LBB324_1269:
	v_dual_mov_b32 v14, 0 :: v_dual_mov_b32 v6, 0
	s_branch .LBB324_1274
.LBB324_1270:
	v_mov_b64_e32 v[6:7], 0
	v_mov_b32_e32 v2, v0
                                        ; implicit-def: $vgpr14
	s_and_b32 s4, s1, 3
	s_mov_b32 s1, 0
	s_cmp_eq_u32 s4, 0
	s_cbranch_scc1 .LBB324_1274
.LBB324_1271:
	s_lshl_b32 s2, s0, 3
	s_mov_b32 s3, s1
	s_mul_u64 s[10:11], s[0:1], 12
	s_add_nc_u64 s[2:3], s[20:21], s[2:3]
	s_delay_alu instid0(SALU_CYCLE_1)
	s_add_nc_u64 s[0:1], s[2:3], 0xc4
	s_add_nc_u64 s[2:3], s[20:21], s[10:11]
.LBB324_1272:                           ; =>This Inner Loop Header: Depth=1
	s_load_b96 s[12:14], s[2:3], 0x4
	s_load_b64 s[10:11], s[0:1], 0x0
	s_add_co_i32 s4, s4, -1
	s_wait_xcnt 0x0
	s_add_nc_u64 s[2:3], s[2:3], 12
	s_cmp_lg_u32 s4, 0
	s_add_nc_u64 s[0:1], s[0:1], 8
	s_wait_kmcnt 0x0
	v_mul_hi_u32 v3, s13, v2
	s_delay_alu instid0(VALU_DEP_1) | instskip(NEXT) | instid1(VALU_DEP_1)
	v_add_nc_u32_e32 v3, v2, v3
	v_lshrrev_b32_e32 v3, s14, v3
	s_delay_alu instid0(VALU_DEP_1) | instskip(NEXT) | instid1(VALU_DEP_1)
	v_mul_lo_u32 v4, v3, s12
	v_sub_nc_u32_e32 v2, v2, v4
	s_delay_alu instid0(VALU_DEP_1)
	v_mad_u32 v7, v2, s11, v7
	v_mad_u32 v6, v2, s10, v6
	v_mov_b32_e32 v2, v3
	s_cbranch_scc1 .LBB324_1272
; %bb.1273:
	s_delay_alu instid0(VALU_DEP_3)
	v_mov_b32_e32 v14, v7
.LBB324_1274:
	s_and_not1_b32 vcc_lo, exec_lo, s6
	s_cbranch_vccnz .LBB324_1277
; %bb.1275:
	s_clause 0x1
	s_load_b96 s[0:2], s[20:21], 0x4
	s_load_b64 s[4:5], s[20:21], 0xc4
	s_cmp_lt_u32 s19, 2
	s_wait_kmcnt 0x0
	v_mul_hi_u32 v2, s1, v0
	s_delay_alu instid0(VALU_DEP_1) | instskip(NEXT) | instid1(VALU_DEP_1)
	v_add_nc_u32_e32 v2, v0, v2
	v_lshrrev_b32_e32 v2, s2, v2
	s_delay_alu instid0(VALU_DEP_1) | instskip(NEXT) | instid1(VALU_DEP_1)
	v_mul_lo_u32 v3, v2, s0
	v_sub_nc_u32_e32 v3, v0, v3
	s_delay_alu instid0(VALU_DEP_1)
	v_mul_lo_u32 v14, v3, s5
	v_mul_lo_u32 v6, v3, s4
	s_cbranch_scc1 .LBB324_1277
; %bb.1276:
	s_clause 0x1
	s_load_b96 s[0:2], s[20:21], 0x10
	s_load_b64 s[4:5], s[20:21], 0xcc
	s_wait_kmcnt 0x0
	v_mul_hi_u32 v3, s1, v2
	s_delay_alu instid0(VALU_DEP_1) | instskip(NEXT) | instid1(VALU_DEP_1)
	v_add_nc_u32_e32 v3, v2, v3
	v_lshrrev_b32_e32 v3, s2, v3
	s_delay_alu instid0(VALU_DEP_1) | instskip(NEXT) | instid1(VALU_DEP_1)
	v_mul_lo_u32 v3, v3, s0
	v_sub_nc_u32_e32 v2, v2, v3
	s_delay_alu instid0(VALU_DEP_1)
	v_mad_u32 v6, v2, s4, v6
	v_mad_u32 v14, v2, s5, v14
.LBB324_1277:
	v_cmp_ne_u32_e32 vcc_lo, 1, v1
	v_add_nc_u32_e32 v2, 0x80, v0
	s_cbranch_vccnz .LBB324_1283
; %bb.1278:
	s_cmp_lg_u32 s19, 0
	s_mov_b32 s6, 0
	s_cbranch_scc0 .LBB324_1284
; %bb.1279:
	s_min_u32 s1, s33, 15
	s_delay_alu instid0(SALU_CYCLE_1)
	s_add_co_i32 s1, s1, 1
	s_cmp_eq_u32 s33, 2
	s_cbranch_scc1 .LBB324_1285
; %bb.1280:
	v_dual_mov_b32 v4, 0 :: v_dual_mov_b32 v12, 0
	v_mov_b32_e32 v3, v2
	s_and_b32 s0, s1, 28
	s_add_nc_u64 s[2:3], s[20:21], 0xc4
	s_mov_b32 s7, 0
	s_mov_b64 s[4:5], s[20:21]
.LBB324_1281:                           ; =>This Inner Loop Header: Depth=1
	s_clause 0x1
	s_load_b256 s[24:31], s[4:5], 0x4
	s_load_b128 s[12:15], s[4:5], 0x24
	s_load_b256 s[36:43], s[2:3], 0x0
	s_add_co_i32 s7, s7, 4
	s_wait_xcnt 0x0
	s_add_nc_u64 s[4:5], s[4:5], 48
	s_cmp_lg_u32 s0, s7
	s_add_nc_u64 s[2:3], s[2:3], 32
	s_wait_kmcnt 0x0
	v_mul_hi_u32 v5, s25, v3
	s_delay_alu instid0(VALU_DEP_1) | instskip(NEXT) | instid1(VALU_DEP_1)
	v_add_nc_u32_e32 v5, v3, v5
	v_lshrrev_b32_e32 v5, s26, v5
	s_delay_alu instid0(VALU_DEP_1) | instskip(NEXT) | instid1(VALU_DEP_1)
	v_mul_hi_u32 v7, s28, v5
	v_add_nc_u32_e32 v7, v5, v7
	s_delay_alu instid0(VALU_DEP_1) | instskip(NEXT) | instid1(VALU_DEP_1)
	v_lshrrev_b32_e32 v7, s29, v7
	v_mul_hi_u32 v8, s31, v7
	s_delay_alu instid0(VALU_DEP_1) | instskip(SKIP_1) | instid1(VALU_DEP_1)
	v_add_nc_u32_e32 v8, v7, v8
	v_mul_lo_u32 v10, v5, s24
	v_sub_nc_u32_e32 v3, v3, v10
	v_mul_lo_u32 v10, v7, s27
	s_delay_alu instid0(VALU_DEP_4) | instskip(NEXT) | instid1(VALU_DEP_3)
	v_lshrrev_b32_e32 v8, s12, v8
	v_mad_u32 v12, v3, s37, v12
	v_mad_u32 v3, v3, s36, v4
	s_delay_alu instid0(VALU_DEP_4) | instskip(NEXT) | instid1(VALU_DEP_4)
	v_sub_nc_u32_e32 v4, v5, v10
	v_mul_hi_u32 v11, s14, v8
	v_mul_lo_u32 v5, v8, s30
	s_delay_alu instid0(VALU_DEP_1) | instskip(NEXT) | instid1(VALU_DEP_4)
	v_dual_add_nc_u32 v10, v8, v11 :: v_dual_sub_nc_u32 v5, v7, v5
	v_mad_u32 v11, v4, s39, v12
	v_mad_u32 v4, v4, s38, v3
	s_delay_alu instid0(VALU_DEP_3) | instskip(NEXT) | instid1(VALU_DEP_1)
	v_lshrrev_b32_e32 v3, s15, v10
	v_mul_lo_u32 v7, v3, s13
	s_delay_alu instid0(VALU_DEP_4) | instskip(NEXT) | instid1(VALU_DEP_4)
	v_mad_u32 v10, v5, s41, v11
	v_mad_u32 v4, v5, s40, v4
	s_delay_alu instid0(VALU_DEP_3) | instskip(NEXT) | instid1(VALU_DEP_1)
	v_sub_nc_u32_e32 v5, v8, v7
	v_mad_u32 v12, v5, s43, v10
	s_delay_alu instid0(VALU_DEP_3)
	v_mad_u32 v4, v5, s42, v4
	s_cbranch_scc1 .LBB324_1281
; %bb.1282:
	s_delay_alu instid0(VALU_DEP_2)
	v_mov_b32_e32 v5, v12
	s_and_b32 s4, s1, 3
	s_mov_b32 s1, 0
	s_cmp_eq_u32 s4, 0
	s_cbranch_scc0 .LBB324_1286
	s_branch .LBB324_1289
.LBB324_1283:
	s_mov_b32 s6, -1
                                        ; implicit-def: $vgpr12
                                        ; implicit-def: $vgpr4
	s_branch .LBB324_1289
.LBB324_1284:
	v_dual_mov_b32 v12, 0 :: v_dual_mov_b32 v4, 0
	s_branch .LBB324_1289
.LBB324_1285:
	v_mov_b64_e32 v[4:5], 0
	v_mov_b32_e32 v3, v2
	s_mov_b32 s0, 0
                                        ; implicit-def: $vgpr12
	s_and_b32 s4, s1, 3
	s_mov_b32 s1, 0
	s_cmp_eq_u32 s4, 0
	s_cbranch_scc1 .LBB324_1289
.LBB324_1286:
	s_lshl_b32 s2, s0, 3
	s_mov_b32 s3, s1
	s_mul_u64 s[10:11], s[0:1], 12
	s_add_nc_u64 s[2:3], s[20:21], s[2:3]
	s_delay_alu instid0(SALU_CYCLE_1)
	s_add_nc_u64 s[0:1], s[2:3], 0xc4
	s_add_nc_u64 s[2:3], s[20:21], s[10:11]
.LBB324_1287:                           ; =>This Inner Loop Header: Depth=1
	s_load_b96 s[12:14], s[2:3], 0x4
	s_load_b64 s[10:11], s[0:1], 0x0
	s_add_co_i32 s4, s4, -1
	s_wait_xcnt 0x0
	s_add_nc_u64 s[2:3], s[2:3], 12
	s_cmp_lg_u32 s4, 0
	s_add_nc_u64 s[0:1], s[0:1], 8
	s_wait_kmcnt 0x0
	v_mul_hi_u32 v7, s13, v3
	s_delay_alu instid0(VALU_DEP_1) | instskip(NEXT) | instid1(VALU_DEP_1)
	v_add_nc_u32_e32 v7, v3, v7
	v_lshrrev_b32_e32 v7, s14, v7
	s_delay_alu instid0(VALU_DEP_1) | instskip(NEXT) | instid1(VALU_DEP_1)
	v_mul_lo_u32 v8, v7, s12
	v_sub_nc_u32_e32 v3, v3, v8
	s_delay_alu instid0(VALU_DEP_1)
	v_mad_u32 v5, v3, s11, v5
	v_mad_u32 v4, v3, s10, v4
	v_mov_b32_e32 v3, v7
	s_cbranch_scc1 .LBB324_1287
; %bb.1288:
	s_delay_alu instid0(VALU_DEP_3)
	v_mov_b32_e32 v12, v5
.LBB324_1289:
	s_and_not1_b32 vcc_lo, exec_lo, s6
	s_cbranch_vccnz .LBB324_1292
; %bb.1290:
	s_clause 0x1
	s_load_b96 s[0:2], s[20:21], 0x4
	s_load_b64 s[4:5], s[20:21], 0xc4
	s_cmp_lt_u32 s19, 2
	s_wait_kmcnt 0x0
	v_mul_hi_u32 v3, s1, v2
	s_delay_alu instid0(VALU_DEP_1) | instskip(NEXT) | instid1(VALU_DEP_1)
	v_add_nc_u32_e32 v3, v2, v3
	v_lshrrev_b32_e32 v3, s2, v3
	s_delay_alu instid0(VALU_DEP_1) | instskip(NEXT) | instid1(VALU_DEP_1)
	v_mul_lo_u32 v4, v3, s0
	v_sub_nc_u32_e32 v2, v2, v4
	s_delay_alu instid0(VALU_DEP_1)
	v_mul_lo_u32 v12, v2, s5
	v_mul_lo_u32 v4, v2, s4
	s_cbranch_scc1 .LBB324_1292
; %bb.1291:
	s_clause 0x1
	s_load_b96 s[0:2], s[20:21], 0x10
	s_load_b64 s[4:5], s[20:21], 0xcc
	s_wait_kmcnt 0x0
	v_mul_hi_u32 v2, s1, v3
	s_delay_alu instid0(VALU_DEP_1) | instskip(NEXT) | instid1(VALU_DEP_1)
	v_add_nc_u32_e32 v2, v3, v2
	v_lshrrev_b32_e32 v2, s2, v2
	s_delay_alu instid0(VALU_DEP_1) | instskip(NEXT) | instid1(VALU_DEP_1)
	v_mul_lo_u32 v2, v2, s0
	v_sub_nc_u32_e32 v2, v3, v2
	s_delay_alu instid0(VALU_DEP_1)
	v_mad_u32 v4, v2, s4, v4
	v_mad_u32 v12, v2, s5, v12
.LBB324_1292:
	v_cmp_ne_u32_e32 vcc_lo, 1, v1
	v_add_nc_u32_e32 v0, 0x100, v0
	s_cbranch_vccnz .LBB324_1298
; %bb.1293:
	s_cmp_lg_u32 s19, 0
	s_mov_b32 s6, 0
	s_cbranch_scc0 .LBB324_1299
; %bb.1294:
	s_min_u32 s1, s33, 15
	s_delay_alu instid0(SALU_CYCLE_1)
	s_add_co_i32 s1, s1, 1
	s_cmp_eq_u32 s33, 2
	s_cbranch_scc1 .LBB324_1300
; %bb.1295:
	v_dual_mov_b32 v2, 0 :: v_dual_mov_b32 v10, 0
	v_mov_b32_e32 v5, v0
	s_and_b32 s0, s1, 28
	s_add_nc_u64 s[2:3], s[20:21], 0xc4
	s_mov_b32 s7, 0
	s_mov_b64 s[4:5], s[20:21]
.LBB324_1296:                           ; =>This Inner Loop Header: Depth=1
	s_clause 0x1
	s_load_b256 s[24:31], s[4:5], 0x4
	s_load_b128 s[12:15], s[4:5], 0x24
	s_load_b256 s[36:43], s[2:3], 0x0
	s_add_co_i32 s7, s7, 4
	s_wait_xcnt 0x0
	s_add_nc_u64 s[4:5], s[4:5], 48
	s_cmp_lg_u32 s0, s7
	s_add_nc_u64 s[2:3], s[2:3], 32
	s_wait_kmcnt 0x0
	v_mul_hi_u32 v3, s25, v5
	s_delay_alu instid0(VALU_DEP_1) | instskip(NEXT) | instid1(VALU_DEP_1)
	v_add_nc_u32_e32 v3, v5, v3
	v_lshrrev_b32_e32 v3, s26, v3
	s_delay_alu instid0(VALU_DEP_1) | instskip(NEXT) | instid1(VALU_DEP_1)
	v_mul_hi_u32 v7, s28, v3
	v_add_nc_u32_e32 v7, v3, v7
	s_delay_alu instid0(VALU_DEP_1) | instskip(NEXT) | instid1(VALU_DEP_1)
	v_lshrrev_b32_e32 v7, s29, v7
	v_mul_hi_u32 v8, s31, v7
	s_delay_alu instid0(VALU_DEP_1) | instskip(NEXT) | instid1(VALU_DEP_1)
	v_add_nc_u32_e32 v8, v7, v8
	v_lshrrev_b32_e32 v8, s12, v8
	v_mul_lo_u32 v11, v3, s24
	s_delay_alu instid0(VALU_DEP_2) | instskip(NEXT) | instid1(VALU_DEP_2)
	v_mul_hi_u32 v13, s14, v8
	v_sub_nc_u32_e32 v5, v5, v11
	s_delay_alu instid0(VALU_DEP_1) | instskip(SKIP_1) | instid1(VALU_DEP_4)
	v_mad_u32 v10, v5, s37, v10
	v_mad_u32 v2, v5, s36, v2
	v_add_nc_u32_e32 v5, v8, v13
	s_delay_alu instid0(VALU_DEP_1) | instskip(SKIP_1) | instid1(VALU_DEP_1)
	v_lshrrev_b32_e32 v5, s15, v5
	v_mul_lo_u32 v11, v7, s27
	v_sub_nc_u32_e32 v3, v3, v11
	v_mul_lo_u32 v11, v8, s30
	s_delay_alu instid0(VALU_DEP_2) | instskip(SKIP_1) | instid1(VALU_DEP_3)
	v_mad_u32 v10, v3, s39, v10
	v_mad_u32 v2, v3, s38, v2
	v_sub_nc_u32_e32 v3, v7, v11
	v_mul_lo_u32 v7, v5, s13
	s_delay_alu instid0(VALU_DEP_2) | instskip(NEXT) | instid1(VALU_DEP_4)
	v_mad_u32 v10, v3, s41, v10
	v_mad_u32 v2, v3, s40, v2
	s_delay_alu instid0(VALU_DEP_3) | instskip(NEXT) | instid1(VALU_DEP_1)
	v_sub_nc_u32_e32 v3, v8, v7
	v_mad_u32 v10, v3, s43, v10
	s_delay_alu instid0(VALU_DEP_3)
	v_mad_u32 v2, v3, s42, v2
	s_cbranch_scc1 .LBB324_1296
; %bb.1297:
	s_delay_alu instid0(VALU_DEP_2)
	v_mov_b32_e32 v3, v10
	s_and_b32 s4, s1, 3
	s_mov_b32 s1, 0
	s_cmp_eq_u32 s4, 0
	s_cbranch_scc0 .LBB324_1301
	s_branch .LBB324_1304
.LBB324_1298:
	s_mov_b32 s6, -1
                                        ; implicit-def: $vgpr10
                                        ; implicit-def: $vgpr2
	s_branch .LBB324_1304
.LBB324_1299:
	v_dual_mov_b32 v10, 0 :: v_dual_mov_b32 v2, 0
	s_branch .LBB324_1304
.LBB324_1300:
	v_mov_b64_e32 v[2:3], 0
	v_mov_b32_e32 v5, v0
	s_mov_b32 s0, 0
                                        ; implicit-def: $vgpr10
	s_and_b32 s4, s1, 3
	s_mov_b32 s1, 0
	s_cmp_eq_u32 s4, 0
	s_cbranch_scc1 .LBB324_1304
.LBB324_1301:
	s_lshl_b32 s2, s0, 3
	s_mov_b32 s3, s1
	s_mul_u64 s[10:11], s[0:1], 12
	s_add_nc_u64 s[2:3], s[20:21], s[2:3]
	s_delay_alu instid0(SALU_CYCLE_1)
	s_add_nc_u64 s[0:1], s[2:3], 0xc4
	s_add_nc_u64 s[2:3], s[20:21], s[10:11]
.LBB324_1302:                           ; =>This Inner Loop Header: Depth=1
	s_load_b96 s[12:14], s[2:3], 0x4
	s_load_b64 s[10:11], s[0:1], 0x0
	s_add_co_i32 s4, s4, -1
	s_wait_xcnt 0x0
	s_add_nc_u64 s[2:3], s[2:3], 12
	s_cmp_lg_u32 s4, 0
	s_add_nc_u64 s[0:1], s[0:1], 8
	s_wait_kmcnt 0x0
	v_mul_hi_u32 v7, s13, v5
	s_delay_alu instid0(VALU_DEP_1) | instskip(NEXT) | instid1(VALU_DEP_1)
	v_add_nc_u32_e32 v7, v5, v7
	v_lshrrev_b32_e32 v7, s14, v7
	s_delay_alu instid0(VALU_DEP_1) | instskip(NEXT) | instid1(VALU_DEP_1)
	v_mul_lo_u32 v8, v7, s12
	v_sub_nc_u32_e32 v5, v5, v8
	s_delay_alu instid0(VALU_DEP_1)
	v_mad_u32 v3, v5, s11, v3
	v_mad_u32 v2, v5, s10, v2
	v_mov_b32_e32 v5, v7
	s_cbranch_scc1 .LBB324_1302
; %bb.1303:
	s_delay_alu instid0(VALU_DEP_3)
	v_mov_b32_e32 v10, v3
.LBB324_1304:
	s_and_not1_b32 vcc_lo, exec_lo, s6
	s_cbranch_vccnz .LBB324_1307
; %bb.1305:
	s_clause 0x1
	s_load_b96 s[0:2], s[20:21], 0x4
	s_load_b64 s[4:5], s[20:21], 0xc4
	s_cmp_lt_u32 s19, 2
	s_wait_kmcnt 0x0
	v_mul_hi_u32 v2, s1, v0
	s_delay_alu instid0(VALU_DEP_1) | instskip(NEXT) | instid1(VALU_DEP_1)
	v_add_nc_u32_e32 v2, v0, v2
	v_lshrrev_b32_e32 v3, s2, v2
	s_delay_alu instid0(VALU_DEP_1) | instskip(NEXT) | instid1(VALU_DEP_1)
	v_mul_lo_u32 v2, v3, s0
	v_sub_nc_u32_e32 v0, v0, v2
	s_delay_alu instid0(VALU_DEP_1)
	v_mul_lo_u32 v10, v0, s5
	v_mul_lo_u32 v2, v0, s4
	s_cbranch_scc1 .LBB324_1307
; %bb.1306:
	s_clause 0x1
	s_load_b96 s[0:2], s[20:21], 0x10
	s_load_b64 s[4:5], s[20:21], 0xcc
	s_wait_kmcnt 0x0
	v_mul_hi_u32 v0, s1, v3
	s_delay_alu instid0(VALU_DEP_1) | instskip(NEXT) | instid1(VALU_DEP_1)
	v_add_nc_u32_e32 v0, v3, v0
	v_lshrrev_b32_e32 v0, s2, v0
	s_delay_alu instid0(VALU_DEP_1) | instskip(NEXT) | instid1(VALU_DEP_1)
	v_mul_lo_u32 v0, v0, s0
	v_sub_nc_u32_e32 v0, v3, v0
	s_delay_alu instid0(VALU_DEP_1)
	v_mad_u32 v2, v0, s4, v2
	v_mad_u32 v10, v0, s5, v10
.LBB324_1307:
	v_cmp_ne_u32_e32 vcc_lo, 1, v1
	s_cbranch_vccnz .LBB324_1313
; %bb.1308:
	s_cmp_lg_u32 s19, 0
	s_mov_b32 s6, 0
	s_cbranch_scc0 .LBB324_1314
; %bb.1309:
	s_min_u32 s1, s33, 15
	s_delay_alu instid0(SALU_CYCLE_1)
	s_add_co_i32 s1, s1, 1
	s_cmp_eq_u32 s33, 2
	s_cbranch_scc1 .LBB324_1315
; %bb.1310:
	v_dual_mov_b32 v0, 0 :: v_dual_mov_b32 v8, 0
	v_mov_b32_e32 v3, v9
	s_and_b32 s0, s1, 28
	s_add_nc_u64 s[2:3], s[20:21], 0xc4
	s_mov_b32 s7, 0
	s_mov_b64 s[4:5], s[20:21]
.LBB324_1311:                           ; =>This Inner Loop Header: Depth=1
	s_clause 0x1
	s_load_b256 s[24:31], s[4:5], 0x4
	s_load_b128 s[12:15], s[4:5], 0x24
	s_load_b256 s[36:43], s[2:3], 0x0
	s_add_co_i32 s7, s7, 4
	s_wait_xcnt 0x0
	s_add_nc_u64 s[4:5], s[4:5], 48
	s_cmp_lg_u32 s0, s7
	s_add_nc_u64 s[2:3], s[2:3], 32
	s_wait_kmcnt 0x0
	v_mul_hi_u32 v1, s25, v3
	s_delay_alu instid0(VALU_DEP_1) | instskip(NEXT) | instid1(VALU_DEP_1)
	v_add_nc_u32_e32 v1, v3, v1
	v_lshrrev_b32_e32 v1, s26, v1
	s_delay_alu instid0(VALU_DEP_1) | instskip(NEXT) | instid1(VALU_DEP_1)
	v_mul_lo_u32 v11, v1, s24
	v_sub_nc_u32_e32 v3, v3, v11
	v_mul_hi_u32 v5, s28, v1
	s_delay_alu instid0(VALU_DEP_2) | instskip(SKIP_1) | instid1(VALU_DEP_3)
	v_mad_u32 v8, v3, s37, v8
	v_mad_u32 v0, v3, s36, v0
	v_add_nc_u32_e32 v5, v1, v5
	s_delay_alu instid0(VALU_DEP_1) | instskip(NEXT) | instid1(VALU_DEP_1)
	v_lshrrev_b32_e32 v5, s29, v5
	v_mul_lo_u32 v11, v5, s27
	s_delay_alu instid0(VALU_DEP_1) | instskip(SKIP_1) | instid1(VALU_DEP_2)
	v_sub_nc_u32_e32 v1, v1, v11
	v_mul_hi_u32 v7, s31, v5
	v_mad_u32 v8, v1, s39, v8
	v_mad_u32 v0, v1, s38, v0
	s_delay_alu instid0(VALU_DEP_3) | instskip(NEXT) | instid1(VALU_DEP_1)
	v_add_nc_u32_e32 v7, v5, v7
	v_lshrrev_b32_e32 v7, s12, v7
	s_delay_alu instid0(VALU_DEP_1) | instskip(SKIP_1) | instid1(VALU_DEP_1)
	v_mul_hi_u32 v13, s14, v7
	v_mul_lo_u32 v11, v7, s30
	v_dual_add_nc_u32 v3, v7, v13 :: v_dual_sub_nc_u32 v1, v5, v11
	s_delay_alu instid0(VALU_DEP_1) | instskip(NEXT) | instid1(VALU_DEP_2)
	v_lshrrev_b32_e32 v3, s15, v3
	v_mad_u32 v8, v1, s41, v8
	v_mad_u32 v0, v1, s40, v0
	s_delay_alu instid0(VALU_DEP_3) | instskip(NEXT) | instid1(VALU_DEP_1)
	v_mul_lo_u32 v5, v3, s13
	v_sub_nc_u32_e32 v1, v7, v5
	s_delay_alu instid0(VALU_DEP_1) | instskip(NEXT) | instid1(VALU_DEP_4)
	v_mad_u32 v8, v1, s43, v8
	v_mad_u32 v0, v1, s42, v0
	s_cbranch_scc1 .LBB324_1311
; %bb.1312:
	s_delay_alu instid0(VALU_DEP_2)
	v_mov_b32_e32 v1, v8
	s_and_b32 s4, s1, 3
	s_mov_b32 s1, 0
	s_cmp_eq_u32 s4, 0
	s_cbranch_scc0 .LBB324_1316
	s_branch .LBB324_1319
.LBB324_1313:
	s_mov_b32 s6, -1
                                        ; implicit-def: $vgpr8
                                        ; implicit-def: $vgpr0
	s_branch .LBB324_1319
.LBB324_1314:
	v_dual_mov_b32 v8, 0 :: v_dual_mov_b32 v0, 0
	s_branch .LBB324_1319
.LBB324_1315:
	v_mov_b64_e32 v[0:1], 0
	v_mov_b32_e32 v3, v9
	s_mov_b32 s0, 0
                                        ; implicit-def: $vgpr8
	s_and_b32 s4, s1, 3
	s_mov_b32 s1, 0
	s_cmp_eq_u32 s4, 0
	s_cbranch_scc1 .LBB324_1319
.LBB324_1316:
	s_lshl_b32 s2, s0, 3
	s_mov_b32 s3, s1
	s_mul_u64 s[10:11], s[0:1], 12
	s_add_nc_u64 s[2:3], s[20:21], s[2:3]
	s_delay_alu instid0(SALU_CYCLE_1)
	s_add_nc_u64 s[0:1], s[2:3], 0xc4
	s_add_nc_u64 s[2:3], s[20:21], s[10:11]
.LBB324_1317:                           ; =>This Inner Loop Header: Depth=1
	s_load_b96 s[12:14], s[2:3], 0x4
	s_load_b64 s[10:11], s[0:1], 0x0
	s_add_co_i32 s4, s4, -1
	s_wait_xcnt 0x0
	s_add_nc_u64 s[2:3], s[2:3], 12
	s_cmp_lg_u32 s4, 0
	s_add_nc_u64 s[0:1], s[0:1], 8
	s_wait_kmcnt 0x0
	v_mul_hi_u32 v5, s13, v3
	s_delay_alu instid0(VALU_DEP_1) | instskip(NEXT) | instid1(VALU_DEP_1)
	v_add_nc_u32_e32 v5, v3, v5
	v_lshrrev_b32_e32 v5, s14, v5
	s_delay_alu instid0(VALU_DEP_1) | instskip(NEXT) | instid1(VALU_DEP_1)
	v_mul_lo_u32 v7, v5, s12
	v_sub_nc_u32_e32 v3, v3, v7
	s_delay_alu instid0(VALU_DEP_1)
	v_mad_u32 v1, v3, s11, v1
	v_mad_u32 v0, v3, s10, v0
	v_mov_b32_e32 v3, v5
	s_cbranch_scc1 .LBB324_1317
; %bb.1318:
	s_delay_alu instid0(VALU_DEP_3)
	v_mov_b32_e32 v8, v1
.LBB324_1319:
	s_and_not1_b32 vcc_lo, exec_lo, s6
	s_cbranch_vccnz .LBB324_1322
; %bb.1320:
	s_clause 0x1
	s_load_b96 s[0:2], s[20:21], 0x4
	s_load_b64 s[4:5], s[20:21], 0xc4
	s_cmp_lt_u32 s19, 2
	s_wait_kmcnt 0x0
	v_mul_hi_u32 v0, s1, v9
	s_delay_alu instid0(VALU_DEP_1) | instskip(NEXT) | instid1(VALU_DEP_1)
	v_add_nc_u32_e32 v0, v9, v0
	v_lshrrev_b32_e32 v1, s2, v0
	s_delay_alu instid0(VALU_DEP_1) | instskip(NEXT) | instid1(VALU_DEP_1)
	v_mul_lo_u32 v0, v1, s0
	v_sub_nc_u32_e32 v0, v9, v0
	s_delay_alu instid0(VALU_DEP_1)
	v_mul_lo_u32 v8, v0, s5
	v_mul_lo_u32 v0, v0, s4
	s_cbranch_scc1 .LBB324_1322
; %bb.1321:
	s_clause 0x1
	s_load_b96 s[0:2], s[20:21], 0x10
	s_load_b64 s[4:5], s[20:21], 0xcc
	s_wait_kmcnt 0x0
	v_mul_hi_u32 v3, s1, v1
	s_delay_alu instid0(VALU_DEP_1) | instskip(NEXT) | instid1(VALU_DEP_1)
	v_add_nc_u32_e32 v3, v1, v3
	v_lshrrev_b32_e32 v3, s2, v3
	s_delay_alu instid0(VALU_DEP_1) | instskip(NEXT) | instid1(VALU_DEP_1)
	v_mul_lo_u32 v3, v3, s0
	v_sub_nc_u32_e32 v1, v1, v3
	s_delay_alu instid0(VALU_DEP_1)
	v_mad_u32 v0, v1, s4, v0
	v_mad_u32 v8, v1, s5, v8
.LBB324_1322:
	v_mov_b32_e32 v15, 0
	s_load_b128 s[4:7], s[20:21], 0x148
	global_load_u8 v1, v15, s[20:21] offset:353
	s_wait_kmcnt 0x0
	v_add_nc_u64_e32 v[14:15], s[6:7], v[14:15]
	s_wait_loadcnt 0x0
	v_and_b32_e32 v3, 0xffff, v1
	v_readfirstlane_b32 s1, v1
	s_delay_alu instid0(VALU_DEP_2)
	v_cmp_gt_i32_e32 vcc_lo, 11, v3
	s_cbranch_vccnz .LBB324_1331
; %bb.1323:
	s_and_b32 s2, 0xffff, s1
	s_mov_b32 s10, 0
	s_cmp_gt_i32 s2, 25
	s_cbranch_scc0 .LBB324_1333
; %bb.1324:
	s_cmp_gt_i32 s2, 28
	s_cbranch_scc0 .LBB324_1334
; %bb.1325:
	;; [unrolled: 3-line block ×4, first 2 shown]
	s_cmp_eq_u32 s2, 46
	s_mov_b32 s11, 0
	s_cbranch_scc0 .LBB324_1339
; %bb.1328:
	global_load_b32 v3, v[14:15], off
	v_mov_b32_e32 v1, 0xff
	s_mov_b32 s3, exec_lo
	s_wait_loadcnt 0x0
	v_lshlrev_b32_e32 v5, 16, v3
	s_delay_alu instid0(VALU_DEP_1) | instskip(SKIP_1) | instid1(VALU_DEP_1)
	v_bfe_u32 v7, v5, 23, 8
	s_wait_xcnt 0x0
	v_cmpx_ne_u32_e32 0xff, v7
	s_cbranch_execz .LBB324_1330
; %bb.1329:
	v_and_b32_e32 v1, 64, v3
	v_and_or_b32 v5, 0x3f0000, v5, v7
	s_delay_alu instid0(VALU_DEP_2) | instskip(NEXT) | instid1(VALU_DEP_2)
	v_cmp_ne_u32_e32 vcc_lo, 0, v1
	v_cmp_ne_u32_e64 s0, 0, v5
	v_bfe_u32 v1, v3, 7, 9
	s_and_b32 s0, vcc_lo, s0
	s_delay_alu instid0(SALU_CYCLE_1) | instskip(NEXT) | instid1(VALU_DEP_1)
	v_cndmask_b32_e64 v3, 0, 1, s0
	v_add_nc_u32_e32 v1, v1, v3
.LBB324_1330:
	s_or_b32 exec_lo, exec_lo, s3
	s_mov_b32 s3, 0
	s_mov_b32 s0, -1
	s_branch .LBB324_1341
.LBB324_1331:
	s_mov_b32 s0, 0
	s_mov_b32 s3, s8
                                        ; implicit-def: $vgpr1
	s_cbranch_execnz .LBB324_1421
.LBB324_1332:
	s_and_not1_b32 vcc_lo, exec_lo, s0
	s_cbranch_vccz .LBB324_1488
	s_branch .LBB324_2435
.LBB324_1333:
	s_mov_b32 s0, 0
	s_mov_b32 s3, 0
                                        ; implicit-def: $vgpr1
	s_cbranch_execnz .LBB324_1376
	s_branch .LBB324_1415
.LBB324_1334:
	s_mov_b32 s0, 0
	s_mov_b32 s3, 0
                                        ; implicit-def: $vgpr1
	s_cbranch_execz .LBB324_1375
	s_branch .LBB324_1352
.LBB324_1335:
	s_mov_b32 s0, 0
	s_mov_b32 s3, 0
                                        ; implicit-def: $vgpr1
	s_cbranch_execnz .LBB324_1346
	s_branch .LBB324_1351
.LBB324_1336:
	s_mov_b32 s11, -1
	s_mov_b32 s0, 0
	s_mov_b32 s3, 0
	s_branch .LBB324_1340
.LBB324_1337:
	s_and_not1_saveexec_b32 s8, s8
	s_cbranch_execz .LBB324_1171
.LBB324_1338:
	v_add_f32_e32 v2, 0x46000000, v3
	s_and_not1_b32 s7, s7, exec_lo
	s_delay_alu instid0(VALU_DEP_1) | instskip(NEXT) | instid1(VALU_DEP_1)
	v_and_b32_e32 v2, 0xff, v2
	v_cmp_ne_u32_e32 vcc_lo, 0, v2
	s_and_b32 s9, vcc_lo, exec_lo
	s_delay_alu instid0(SALU_CYCLE_1)
	s_or_b32 s7, s7, s9
	s_or_b32 exec_lo, exec_lo, s8
	v_mov_b32_e32 v4, 0
	s_and_saveexec_b32 s8, s7
	s_cbranch_execnz .LBB324_1172
	s_branch .LBB324_1173
.LBB324_1339:
	s_mov_b32 s3, -1
	s_mov_b32 s0, 0
.LBB324_1340:
                                        ; implicit-def: $vgpr1
.LBB324_1341:
	s_and_b32 vcc_lo, exec_lo, s11
	s_cbranch_vccz .LBB324_1344
; %bb.1342:
	s_cmp_eq_u32 s2, 44
	s_cbranch_scc0 .LBB324_1345
; %bb.1343:
	global_load_u8 v1, v[14:15], off
	s_mov_b32 s3, 0
	s_mov_b32 s0, -1
.LBB324_1344:
	s_branch .LBB324_1351
.LBB324_1345:
	s_mov_b32 s3, -1
                                        ; implicit-def: $vgpr1
	s_branch .LBB324_1351
.LBB324_1346:
	s_cmp_eq_u32 s2, 29
	s_cbranch_scc0 .LBB324_1350
; %bb.1347:
	global_load_b64 v[16:17], v[14:15], off
	s_mov_b32 s3, exec_lo
	s_wait_loadcnt 0x0
	v_clz_i32_u32_e32 v1, v17
	s_delay_alu instid0(VALU_DEP_1) | instskip(NEXT) | instid1(VALU_DEP_1)
	v_min_u32_e32 v1, 32, v1
	v_lshlrev_b64_e32 v[16:17], v1, v[16:17]
	v_sub_nc_u32_e32 v1, 32, v1
	s_delay_alu instid0(VALU_DEP_2) | instskip(NEXT) | instid1(VALU_DEP_1)
	v_min_u32_e32 v3, 1, v16
	v_or_b32_e32 v3, v17, v3
	s_delay_alu instid0(VALU_DEP_1) | instskip(NEXT) | instid1(VALU_DEP_1)
	v_cvt_f32_u32_e32 v3, v3
	v_ldexp_f32 v5, v3, v1
	v_mov_b32_e32 v1, 0xff
	s_delay_alu instid0(VALU_DEP_2) | instskip(SKIP_1) | instid1(VALU_DEP_1)
	v_lshrrev_b32_e32 v3, 23, v5
	s_wait_xcnt 0x0
	v_cmpx_ne_u32_e32 0xff, v3
; %bb.1348:
	v_and_b32_e32 v1, 0x400000, v5
	v_and_or_b32 v5, 0x3fffff, v5, v3
	s_delay_alu instid0(VALU_DEP_2) | instskip(NEXT) | instid1(VALU_DEP_2)
	v_cmp_ne_u32_e32 vcc_lo, 0, v1
	v_cmp_ne_u32_e64 s0, 0, v5
	s_and_b32 s0, vcc_lo, s0
	s_delay_alu instid0(SALU_CYCLE_1) | instskip(NEXT) | instid1(VALU_DEP_1)
	v_cndmask_b32_e64 v1, 0, 1, s0
	v_add_nc_u32_e32 v1, v3, v1
; %bb.1349:
	s_or_b32 exec_lo, exec_lo, s3
	s_mov_b32 s3, 0
	s_mov_b32 s0, -1
	s_branch .LBB324_1351
.LBB324_1350:
	s_mov_b32 s3, -1
                                        ; implicit-def: $vgpr1
.LBB324_1351:
	s_branch .LBB324_1375
.LBB324_1352:
	s_cmp_lt_i32 s2, 27
	s_cbranch_scc1 .LBB324_1357
; %bb.1353:
	s_cmp_gt_i32 s2, 27
	s_cbranch_scc0 .LBB324_1358
; %bb.1354:
	s_wait_loadcnt 0x0
	global_load_b32 v1, v[14:15], off
	s_mov_b32 s11, exec_lo
	s_wait_loadcnt 0x0
	v_cvt_f32_u32_e32 v5, v1
	v_mov_b32_e32 v1, 0xff
	s_delay_alu instid0(VALU_DEP_2) | instskip(SKIP_1) | instid1(VALU_DEP_1)
	v_lshrrev_b32_e32 v3, 23, v5
	s_wait_xcnt 0x0
	v_cmpx_ne_u32_e32 0xff, v3
; %bb.1355:
	v_and_b32_e32 v1, 0x400000, v5
	v_and_or_b32 v5, 0x3fffff, v5, v3
	s_delay_alu instid0(VALU_DEP_2) | instskip(NEXT) | instid1(VALU_DEP_2)
	v_cmp_ne_u32_e32 vcc_lo, 0, v1
	v_cmp_ne_u32_e64 s0, 0, v5
	s_and_b32 s0, vcc_lo, s0
	s_delay_alu instid0(SALU_CYCLE_1) | instskip(NEXT) | instid1(VALU_DEP_1)
	v_cndmask_b32_e64 v1, 0, 1, s0
	v_add_nc_u32_e32 v1, v3, v1
; %bb.1356:
	s_or_b32 exec_lo, exec_lo, s11
	s_mov_b32 s0, 0
	s_branch .LBB324_1359
.LBB324_1357:
	s_mov_b32 s0, -1
                                        ; implicit-def: $vgpr1
	s_branch .LBB324_1364
.LBB324_1358:
	s_mov_b32 s0, -1
                                        ; implicit-def: $vgpr1
.LBB324_1359:
	s_delay_alu instid0(SALU_CYCLE_1)
	s_and_not1_b32 vcc_lo, exec_lo, s0
	s_cbranch_vccnz .LBB324_1363
; %bb.1360:
	s_wait_loadcnt 0x0
	global_load_u16 v1, v[14:15], off
	s_mov_b32 s11, exec_lo
	s_wait_loadcnt 0x0
	v_cvt_f32_u32_e32 v5, v1
	v_mov_b32_e32 v1, 0xff
	s_delay_alu instid0(VALU_DEP_2) | instskip(SKIP_1) | instid1(VALU_DEP_1)
	v_lshrrev_b32_e32 v3, 23, v5
	s_wait_xcnt 0x0
	v_cmpx_ne_u32_e32 0xff, v3
; %bb.1361:
	v_and_b32_e32 v1, 0x400000, v5
	v_and_or_b32 v5, 0x3fffff, v5, v3
	s_delay_alu instid0(VALU_DEP_2) | instskip(NEXT) | instid1(VALU_DEP_2)
	v_cmp_ne_u32_e32 vcc_lo, 0, v1
	v_cmp_ne_u32_e64 s0, 0, v5
	s_and_b32 s0, vcc_lo, s0
	s_delay_alu instid0(SALU_CYCLE_1) | instskip(NEXT) | instid1(VALU_DEP_1)
	v_cndmask_b32_e64 v1, 0, 1, s0
	v_add_nc_u32_e32 v1, v3, v1
; %bb.1362:
	s_or_b32 exec_lo, exec_lo, s11
.LBB324_1363:
	s_mov_b32 s0, 0
.LBB324_1364:
	s_delay_alu instid0(SALU_CYCLE_1)
	s_and_not1_b32 vcc_lo, exec_lo, s0
	s_cbranch_vccnz .LBB324_1374
; %bb.1365:
	s_wait_loadcnt 0x0
	global_load_u8 v1, v[14:15], off
	s_mov_b32 s0, 0
	s_mov_b32 s11, exec_lo
	s_wait_loadcnt 0x0
	v_cmpx_lt_i16_e32 0x7f, v1
	s_xor_b32 s11, exec_lo, s11
	s_cbranch_execz .LBB324_1389
; %bb.1366:
	s_mov_b32 s0, -1
	s_mov_b32 s12, exec_lo
	v_cmpx_eq_u16_e32 0x80, v1
; %bb.1367:
	s_xor_b32 s0, exec_lo, -1
; %bb.1368:
	s_or_b32 exec_lo, exec_lo, s12
	s_delay_alu instid0(SALU_CYCLE_1)
	s_and_b32 s0, s0, exec_lo
	s_or_saveexec_b32 s11, s11
	v_mov_b32_e32 v3, 0x7f800001
	s_xor_b32 exec_lo, exec_lo, s11
	s_cbranch_execnz .LBB324_1390
.LBB324_1369:
	s_or_b32 exec_lo, exec_lo, s11
	s_and_saveexec_b32 s11, s0
	s_cbranch_execz .LBB324_1371
.LBB324_1370:
	v_and_b32_e32 v1, 0xffff, v1
	s_delay_alu instid0(VALU_DEP_1) | instskip(NEXT) | instid1(VALU_DEP_1)
	v_and_b32_e32 v3, 7, v1
	v_clz_i32_u32_e32 v5, v3
	s_delay_alu instid0(VALU_DEP_1) | instskip(NEXT) | instid1(VALU_DEP_1)
	v_min_u32_e32 v5, 32, v5
	v_subrev_nc_u32_e32 v7, 28, v5
	s_delay_alu instid0(VALU_DEP_1) | instskip(SKIP_1) | instid1(VALU_DEP_2)
	v_lshlrev_b32_e32 v7, v7, v1
	v_bfe_u32 v1, v1, 3, 4
	v_dual_sub_nc_u32 v5, 29, v5 :: v_dual_bitop2_b32 v7, 7, v7 bitop3:0x40
	s_delay_alu instid0(VALU_DEP_2) | instskip(NEXT) | instid1(VALU_DEP_2)
	v_cmp_eq_u32_e32 vcc_lo, 0, v1
	v_dual_cndmask_b32 v1, v1, v5, vcc_lo :: v_dual_cndmask_b32 v3, v3, v7, vcc_lo
	s_delay_alu instid0(VALU_DEP_1) | instskip(NEXT) | instid1(VALU_DEP_1)
	v_lshlrev_b32_e32 v3, 20, v3
	v_lshl_or_b32 v1, v1, 23, v3
	s_delay_alu instid0(VALU_DEP_1)
	v_add_nc_u32_e32 v3, 0x3b800000, v1
.LBB324_1371:
	s_or_b32 exec_lo, exec_lo, s11
	s_delay_alu instid0(VALU_DEP_1) | instskip(SKIP_2) | instid1(VALU_DEP_2)
	v_lshrrev_b32_e32 v5, 23, v3
	v_mov_b32_e32 v1, 0xff
	s_mov_b32 s11, exec_lo
	v_cmpx_ne_u32_e32 0xff, v5
; %bb.1372:
	v_and_b32_e32 v1, 0x400000, v3
	v_and_or_b32 v3, 0x3fffff, v3, v5
	s_delay_alu instid0(VALU_DEP_2) | instskip(NEXT) | instid1(VALU_DEP_2)
	v_cmp_ne_u32_e32 vcc_lo, 0, v1
	v_cmp_ne_u32_e64 s0, 0, v3
	s_and_b32 s0, vcc_lo, s0
	s_delay_alu instid0(SALU_CYCLE_1) | instskip(NEXT) | instid1(VALU_DEP_1)
	v_cndmask_b32_e64 v1, 0, 1, s0
	v_add_nc_u32_e32 v1, v5, v1
; %bb.1373:
	s_or_b32 exec_lo, exec_lo, s11
.LBB324_1374:
	s_mov_b32 s0, -1
.LBB324_1375:
	s_branch .LBB324_1415
.LBB324_1376:
	s_cmp_gt_i32 s2, 22
	s_cbranch_scc0 .LBB324_1388
; %bb.1377:
	s_cmp_lt_i32 s2, 24
	s_cbranch_scc1 .LBB324_1391
; %bb.1378:
	s_cmp_gt_i32 s2, 24
	s_cbranch_scc0 .LBB324_1392
; %bb.1379:
	s_wait_loadcnt 0x0
	global_load_u8 v1, v[14:15], off
	s_mov_b32 s0, 0
	s_mov_b32 s10, exec_lo
	s_wait_loadcnt 0x0
	v_cmpx_lt_i16_e32 0x7f, v1
	s_xor_b32 s10, exec_lo, s10
	s_cbranch_execz .LBB324_1409
; %bb.1380:
	s_mov_b32 s0, -1
	s_mov_b32 s11, exec_lo
	v_cmpx_eq_u16_e32 0x80, v1
; %bb.1381:
	s_xor_b32 s0, exec_lo, -1
; %bb.1382:
	s_or_b32 exec_lo, exec_lo, s11
	s_delay_alu instid0(SALU_CYCLE_1)
	s_and_b32 s0, s0, exec_lo
	s_or_saveexec_b32 s10, s10
	v_mov_b32_e32 v3, 0x7f800001
	s_xor_b32 exec_lo, exec_lo, s10
	s_cbranch_execnz .LBB324_1410
.LBB324_1383:
	s_or_b32 exec_lo, exec_lo, s10
	s_and_saveexec_b32 s10, s0
	s_cbranch_execz .LBB324_1385
.LBB324_1384:
	v_and_b32_e32 v1, 0xffff, v1
	s_delay_alu instid0(VALU_DEP_1) | instskip(NEXT) | instid1(VALU_DEP_1)
	v_and_b32_e32 v3, 3, v1
	v_clz_i32_u32_e32 v5, v3
	s_delay_alu instid0(VALU_DEP_1) | instskip(NEXT) | instid1(VALU_DEP_1)
	v_min_u32_e32 v5, 32, v5
	v_subrev_nc_u32_e32 v7, 29, v5
	s_delay_alu instid0(VALU_DEP_1) | instskip(SKIP_1) | instid1(VALU_DEP_2)
	v_lshlrev_b32_e32 v7, v7, v1
	v_bfe_u32 v1, v1, 2, 5
	v_dual_sub_nc_u32 v5, 30, v5 :: v_dual_bitop2_b32 v7, 3, v7 bitop3:0x40
	s_delay_alu instid0(VALU_DEP_2) | instskip(NEXT) | instid1(VALU_DEP_2)
	v_cmp_eq_u32_e32 vcc_lo, 0, v1
	v_dual_cndmask_b32 v1, v1, v5, vcc_lo :: v_dual_cndmask_b32 v3, v3, v7, vcc_lo
	s_delay_alu instid0(VALU_DEP_1) | instskip(NEXT) | instid1(VALU_DEP_1)
	v_lshlrev_b32_e32 v3, 21, v3
	v_lshl_or_b32 v1, v1, 23, v3
	s_delay_alu instid0(VALU_DEP_1)
	v_add_nc_u32_e32 v3, 0x37800000, v1
.LBB324_1385:
	s_or_b32 exec_lo, exec_lo, s10
	s_delay_alu instid0(VALU_DEP_1) | instskip(SKIP_2) | instid1(VALU_DEP_2)
	v_lshrrev_b32_e32 v5, 23, v3
	v_mov_b32_e32 v1, 0xff
	s_mov_b32 s10, exec_lo
	v_cmpx_ne_u32_e32 0xff, v5
; %bb.1386:
	v_and_b32_e32 v1, 0x400000, v3
	v_and_or_b32 v3, 0x3fffff, v3, v5
	s_delay_alu instid0(VALU_DEP_2) | instskip(NEXT) | instid1(VALU_DEP_2)
	v_cmp_ne_u32_e32 vcc_lo, 0, v1
	v_cmp_ne_u32_e64 s0, 0, v3
	s_and_b32 s0, vcc_lo, s0
	s_delay_alu instid0(SALU_CYCLE_1) | instskip(NEXT) | instid1(VALU_DEP_1)
	v_cndmask_b32_e64 v1, 0, 1, s0
	v_add_nc_u32_e32 v1, v5, v1
; %bb.1387:
	s_or_b32 exec_lo, exec_lo, s10
	s_mov_b32 s0, 0
	s_branch .LBB324_1393
.LBB324_1388:
                                        ; implicit-def: $vgpr1
	s_mov_b32 s10, 0
	s_branch .LBB324_1403
.LBB324_1389:
	s_or_saveexec_b32 s11, s11
	v_mov_b32_e32 v3, 0x7f800001
	s_xor_b32 exec_lo, exec_lo, s11
	s_cbranch_execz .LBB324_1369
.LBB324_1390:
	v_cmp_ne_u16_e32 vcc_lo, 0, v1
	v_and_b32_e32 v3, 0xffff, v1
	s_and_not1_b32 s0, s0, exec_lo
	s_and_b32 s12, vcc_lo, exec_lo
	s_delay_alu instid0(SALU_CYCLE_1)
	s_or_b32 s0, s0, s12
	s_or_b32 exec_lo, exec_lo, s11
	s_and_saveexec_b32 s11, s0
	s_cbranch_execnz .LBB324_1370
	s_branch .LBB324_1371
.LBB324_1391:
	s_mov_b32 s0, -1
                                        ; implicit-def: $vgpr1
	s_branch .LBB324_1398
.LBB324_1392:
	s_mov_b32 s0, -1
                                        ; implicit-def: $vgpr1
.LBB324_1393:
	s_delay_alu instid0(SALU_CYCLE_1)
	s_and_b32 vcc_lo, exec_lo, s0
	s_cbranch_vccz .LBB324_1397
; %bb.1394:
	s_wait_loadcnt 0x0
	global_load_u8 v1, v[14:15], off
	s_mov_b32 s10, exec_lo
	s_wait_loadcnt 0x0
	v_lshlrev_b32_e32 v1, 24, v1
	s_delay_alu instid0(VALU_DEP_1) | instskip(NEXT) | instid1(VALU_DEP_1)
	v_and_b32_e32 v1, 0x7f000000, v1
	v_clz_i32_u32_e32 v3, v1
	v_add_nc_u32_e32 v7, 0x1000000, v1
	v_cmp_ne_u32_e32 vcc_lo, 0, v1
	s_delay_alu instid0(VALU_DEP_3) | instskip(NEXT) | instid1(VALU_DEP_1)
	v_min_u32_e32 v3, 32, v3
	v_sub_nc_u32_e64 v3, v3, 4 clamp
	s_delay_alu instid0(VALU_DEP_1) | instskip(SKIP_1) | instid1(VALU_DEP_2)
	v_dual_lshlrev_b32 v5, v3, v1 :: v_dual_lshlrev_b32 v3, 23, v3
	v_mov_b32_e32 v1, 0xff
	v_lshrrev_b32_e32 v5, 4, v5
	s_delay_alu instid0(VALU_DEP_1) | instskip(SKIP_1) | instid1(VALU_DEP_2)
	v_sub_nc_u32_e32 v3, v5, v3
	v_ashrrev_i32_e32 v5, 8, v7
	v_add_nc_u32_e32 v3, 0x3c000000, v3
	s_delay_alu instid0(VALU_DEP_1) | instskip(NEXT) | instid1(VALU_DEP_1)
	v_and_or_b32 v3, 0x7f800000, v5, v3
	v_cndmask_b32_e32 v5, 0, v3, vcc_lo
	s_delay_alu instid0(VALU_DEP_1) | instskip(SKIP_1) | instid1(VALU_DEP_1)
	v_lshrrev_b32_e32 v3, 23, v5
	s_wait_xcnt 0x0
	v_cmpx_ne_u32_e32 0xff, v3
; %bb.1395:
	v_and_b32_e32 v1, 0x400000, v5
	v_and_or_b32 v5, 0x3fffff, v5, v3
	s_delay_alu instid0(VALU_DEP_2) | instskip(NEXT) | instid1(VALU_DEP_2)
	v_cmp_ne_u32_e32 vcc_lo, 0, v1
	v_cmp_ne_u32_e64 s0, 0, v5
	s_and_b32 s0, vcc_lo, s0
	s_delay_alu instid0(SALU_CYCLE_1) | instskip(NEXT) | instid1(VALU_DEP_1)
	v_cndmask_b32_e64 v1, 0, 1, s0
	v_add_nc_u32_e32 v1, v3, v1
; %bb.1396:
	s_or_b32 exec_lo, exec_lo, s10
.LBB324_1397:
	s_mov_b32 s0, 0
.LBB324_1398:
	s_delay_alu instid0(SALU_CYCLE_1)
	s_and_not1_b32 vcc_lo, exec_lo, s0
	s_cbranch_vccnz .LBB324_1402
; %bb.1399:
	s_wait_loadcnt 0x0
	global_load_u8 v1, v[14:15], off
	s_mov_b32 s10, exec_lo
	s_wait_loadcnt 0x0
	v_dual_lshlrev_b32 v3, 25, v1 :: v_dual_lshlrev_b32 v1, 8, v1
	s_delay_alu instid0(VALU_DEP_1) | instskip(NEXT) | instid1(VALU_DEP_2)
	v_cmp_gt_u32_e32 vcc_lo, 0x8000000, v3
	v_and_or_b32 v1, 0x7f00, v1, 0.5
	s_delay_alu instid0(VALU_DEP_1) | instskip(NEXT) | instid1(VALU_DEP_1)
	v_dual_lshrrev_b32 v5, 4, v3 :: v_dual_add_f32 v1, -0.5, v1
	v_or_b32_e32 v5, 0x70000000, v5
	s_delay_alu instid0(VALU_DEP_1) | instskip(NEXT) | instid1(VALU_DEP_1)
	v_mul_f32_e32 v5, 0x7800000, v5
	v_cndmask_b32_e32 v3, v5, v1, vcc_lo
	v_mov_b32_e32 v1, 0xff
	s_delay_alu instid0(VALU_DEP_2) | instskip(SKIP_1) | instid1(VALU_DEP_1)
	v_bfe_u32 v5, v3, 23, 8
	s_wait_xcnt 0x0
	v_cmpx_ne_u32_e32 0xff, v5
	s_cbranch_execz .LBB324_1401
; %bb.1400:
	v_and_b32_e32 v1, 0x400000, v3
	v_and_or_b32 v5, 0x3fffff, v3, v5
	s_delay_alu instid0(VALU_DEP_2) | instskip(NEXT) | instid1(VALU_DEP_2)
	v_cmp_ne_u32_e32 vcc_lo, 0, v1
	v_cmp_ne_u32_e64 s0, 0, v5
	v_lshrrev_b32_e32 v1, 23, v3
	s_and_b32 s0, vcc_lo, s0
	s_delay_alu instid0(SALU_CYCLE_1) | instskip(NEXT) | instid1(VALU_DEP_1)
	v_cndmask_b32_e64 v3, 0, 1, s0
	v_add_nc_u32_e32 v1, v1, v3
.LBB324_1401:
	s_or_b32 exec_lo, exec_lo, s10
.LBB324_1402:
	s_mov_b32 s0, -1
	s_mov_b32 s10, 0
	s_cbranch_execnz .LBB324_1415
.LBB324_1403:
	s_cmp_gt_i32 s2, 14
	s_cbranch_scc0 .LBB324_1408
; %bb.1404:
	s_cmp_eq_u32 s2, 15
	s_cbranch_scc0 .LBB324_1411
; %bb.1405:
	global_load_u16 v3, v[14:15], off
	s_wait_loadcnt 0x1
	v_mov_b32_e32 v1, 0xff
	s_mov_b32 s3, exec_lo
	s_wait_loadcnt 0x0
	v_bfe_u32 v5, v3, 7, 8
	s_wait_xcnt 0x0
	s_delay_alu instid0(VALU_DEP_1)
	v_cmpx_ne_u32_e32 0xff, v5
	s_cbranch_execz .LBB324_1407
; %bb.1406:
	v_dual_lshlrev_b32 v1, 16, v3 :: v_dual_bitop2_b32 v7, 64, v3 bitop3:0x40
	s_delay_alu instid0(VALU_DEP_1) | instskip(NEXT) | instid1(VALU_DEP_2)
	v_and_or_b32 v1, 0x3f0000, v1, v5
	v_cmp_ne_u32_e32 vcc_lo, 0, v7
	s_delay_alu instid0(VALU_DEP_2) | instskip(SKIP_2) | instid1(SALU_CYCLE_1)
	v_cmp_ne_u32_e64 s0, 0, v1
	v_lshrrev_b32_e32 v1, 7, v3
	s_and_b32 s0, vcc_lo, s0
	v_cndmask_b32_e64 v3, 0, 1, s0
	s_delay_alu instid0(VALU_DEP_1)
	v_add_nc_u32_e32 v1, v1, v3
.LBB324_1407:
	s_or_b32 exec_lo, exec_lo, s3
	s_mov_b32 s3, 0
	s_mov_b32 s0, -1
	s_branch .LBB324_1413
.LBB324_1408:
	s_mov_b32 s10, -1
	s_branch .LBB324_1412
.LBB324_1409:
	s_or_saveexec_b32 s10, s10
	v_mov_b32_e32 v3, 0x7f800001
	s_xor_b32 exec_lo, exec_lo, s10
	s_cbranch_execz .LBB324_1383
.LBB324_1410:
	v_cmp_ne_u16_e32 vcc_lo, 0, v1
	v_and_b32_e32 v3, 0xffff, v1
	s_and_not1_b32 s0, s0, exec_lo
	s_and_b32 s11, vcc_lo, exec_lo
	s_delay_alu instid0(SALU_CYCLE_1)
	s_or_b32 s0, s0, s11
	s_or_b32 exec_lo, exec_lo, s10
	s_and_saveexec_b32 s10, s0
	s_cbranch_execnz .LBB324_1384
	s_branch .LBB324_1385
.LBB324_1411:
	s_mov_b32 s3, -1
.LBB324_1412:
                                        ; implicit-def: $vgpr1
.LBB324_1413:
	s_and_b32 vcc_lo, exec_lo, s10
	s_mov_b32 s10, 0
	s_cbranch_vccz .LBB324_1415
; %bb.1414:
	s_cmp_lg_u32 s2, 11
	s_mov_b32 s10, -1
	s_cselect_b32 s3, -1, 0
.LBB324_1415:
	s_delay_alu instid0(SALU_CYCLE_1)
	s_and_b32 vcc_lo, exec_lo, s3
	s_mov_b32 s3, s8
	s_cbranch_vccnz .LBB324_1502
; %bb.1416:
	s_and_not1_b32 vcc_lo, exec_lo, s10
	s_cbranch_vccnz .LBB324_1420
.LBB324_1417:
	s_wait_loadcnt 0x0
	global_load_u8 v1, v[14:15], off
	s_mov_b32 s2, exec_lo
	s_wait_loadcnt 0x0
	v_cmp_ne_u16_e32 vcc_lo, 0, v1
	v_mov_b32_e32 v1, 0xff
	v_cndmask_b32_e64 v5, 0, 1.0, vcc_lo
	s_delay_alu instid0(VALU_DEP_1) | instskip(SKIP_1) | instid1(VALU_DEP_1)
	v_lshrrev_b32_e32 v3, 23, v5
	s_wait_xcnt 0x0
	v_cmpx_ne_u32_e32 0xff, v3
; %bb.1418:
	v_and_b32_e32 v1, 0x400000, v5
	v_and_or_b32 v5, 0x3fffff, v5, v3
	s_delay_alu instid0(VALU_DEP_2) | instskip(NEXT) | instid1(VALU_DEP_2)
	v_cmp_ne_u32_e32 vcc_lo, 0, v1
	v_cmp_ne_u32_e64 s0, 0, v5
	s_and_b32 s0, vcc_lo, s0
	s_delay_alu instid0(SALU_CYCLE_1) | instskip(NEXT) | instid1(VALU_DEP_1)
	v_cndmask_b32_e64 v1, 0, 1, s0
	v_add_nc_u32_e32 v1, v3, v1
; %bb.1419:
	s_or_b32 exec_lo, exec_lo, s2
	s_mov_b32 s0, -1
.LBB324_1420:
	s_branch .LBB324_1332
.LBB324_1421:
	s_and_b32 s2, 0xffff, s1
	s_delay_alu instid0(SALU_CYCLE_1)
	s_cmp_lt_i32 s2, 5
	s_cbranch_scc1 .LBB324_1428
; %bb.1422:
	s_cmp_lt_i32 s2, 8
	s_cbranch_scc1 .LBB324_1429
; %bb.1423:
	;; [unrolled: 3-line block ×3, first 2 shown]
	s_cmp_gt_i32 s2, 9
	s_cbranch_scc0 .LBB324_1431
; %bb.1425:
	global_load_b64 v[16:17], v[14:15], off
	s_wait_loadcnt 0x1
	v_mov_b32_e32 v1, 0xff
	s_mov_b32 s10, exec_lo
	s_wait_loadcnt 0x0
	v_cvt_f32_f64_e32 v3, v[16:17]
	s_delay_alu instid0(VALU_DEP_1) | instskip(SKIP_1) | instid1(VALU_DEP_1)
	v_bfe_u32 v5, v3, 23, 8
	s_wait_xcnt 0x0
	v_cmpx_ne_u32_e32 0xff, v5
	s_cbranch_execz .LBB324_1427
; %bb.1426:
	v_and_b32_e32 v1, 0x400000, v3
	v_and_or_b32 v5, 0x3fffff, v3, v5
	s_delay_alu instid0(VALU_DEP_2) | instskip(NEXT) | instid1(VALU_DEP_2)
	v_cmp_ne_u32_e32 vcc_lo, 0, v1
	v_cmp_ne_u32_e64 s0, 0, v5
	v_lshrrev_b32_e32 v1, 23, v3
	s_and_b32 s0, vcc_lo, s0
	s_delay_alu instid0(SALU_CYCLE_1) | instskip(NEXT) | instid1(VALU_DEP_1)
	v_cndmask_b32_e64 v3, 0, 1, s0
	v_add_nc_u32_e32 v1, v1, v3
.LBB324_1427:
	s_or_b32 exec_lo, exec_lo, s10
	s_mov_b32 s0, 0
	s_branch .LBB324_1432
.LBB324_1428:
                                        ; implicit-def: $vgpr1
	s_branch .LBB324_1459
.LBB324_1429:
                                        ; implicit-def: $vgpr1
	s_branch .LBB324_1442
.LBB324_1430:
	s_mov_b32 s0, -1
                                        ; implicit-def: $vgpr1
	s_branch .LBB324_1437
.LBB324_1431:
	s_mov_b32 s0, -1
                                        ; implicit-def: $vgpr1
.LBB324_1432:
	s_delay_alu instid0(SALU_CYCLE_1)
	s_and_not1_b32 vcc_lo, exec_lo, s0
	s_cbranch_vccnz .LBB324_1436
; %bb.1433:
	global_load_b32 v3, v[14:15], off
	s_wait_loadcnt 0x1
	v_mov_b32_e32 v1, 0xff
	s_mov_b32 s10, exec_lo
	s_wait_loadcnt 0x0
	v_bfe_u32 v5, v3, 23, 8
	s_wait_xcnt 0x0
	s_delay_alu instid0(VALU_DEP_1)
	v_cmpx_ne_u32_e32 0xff, v5
	s_cbranch_execz .LBB324_1435
; %bb.1434:
	v_and_b32_e32 v1, 0x400000, v3
	v_and_or_b32 v5, 0x3fffff, v3, v5
	s_delay_alu instid0(VALU_DEP_2) | instskip(NEXT) | instid1(VALU_DEP_2)
	v_cmp_ne_u32_e32 vcc_lo, 0, v1
	v_cmp_ne_u32_e64 s0, 0, v5
	v_lshrrev_b32_e32 v1, 23, v3
	s_and_b32 s0, vcc_lo, s0
	s_delay_alu instid0(SALU_CYCLE_1) | instskip(NEXT) | instid1(VALU_DEP_1)
	v_cndmask_b32_e64 v3, 0, 1, s0
	v_add_nc_u32_e32 v1, v1, v3
.LBB324_1435:
	s_or_b32 exec_lo, exec_lo, s10
.LBB324_1436:
	s_mov_b32 s0, 0
.LBB324_1437:
	s_delay_alu instid0(SALU_CYCLE_1)
	s_and_not1_b32 vcc_lo, exec_lo, s0
	s_cbranch_vccnz .LBB324_1441
; %bb.1438:
	s_wait_loadcnt 0x0
	global_load_b32 v1, v[14:15], off
	s_mov_b32 s10, exec_lo
	s_wait_loadcnt 0x0
	v_cvt_f32_f16_e32 v3, v1
	v_mov_b32_e32 v1, 0xff
	s_delay_alu instid0(VALU_DEP_2) | instskip(SKIP_1) | instid1(VALU_DEP_1)
	v_bfe_u32 v5, v3, 23, 8
	s_wait_xcnt 0x0
	v_cmpx_ne_u32_e32 0xff, v5
	s_cbranch_execz .LBB324_1440
; %bb.1439:
	v_and_b32_e32 v1, 0x400000, v3
	v_and_or_b32 v5, 0x3fffff, v3, v5
	s_delay_alu instid0(VALU_DEP_2) | instskip(NEXT) | instid1(VALU_DEP_2)
	v_cmp_ne_u32_e32 vcc_lo, 0, v1
	v_cmp_ne_u32_e64 s0, 0, v5
	v_lshrrev_b32_e32 v1, 23, v3
	s_and_b32 s0, vcc_lo, s0
	s_delay_alu instid0(SALU_CYCLE_1) | instskip(NEXT) | instid1(VALU_DEP_1)
	v_cndmask_b32_e64 v3, 0, 1, s0
	v_add_nc_u32_e32 v1, v1, v3
.LBB324_1440:
	s_or_b32 exec_lo, exec_lo, s10
.LBB324_1441:
	s_cbranch_execnz .LBB324_1458
.LBB324_1442:
	s_cmp_lt_i32 s2, 6
	s_cbranch_scc1 .LBB324_1447
; %bb.1443:
	s_cmp_gt_i32 s2, 6
	s_cbranch_scc0 .LBB324_1448
; %bb.1444:
	global_load_b64 v[16:17], v[14:15], off
	s_wait_loadcnt 0x1
	v_mov_b32_e32 v1, 0xff
	s_mov_b32 s10, exec_lo
	s_wait_loadcnt 0x0
	v_cvt_f32_f64_e32 v3, v[16:17]
	s_delay_alu instid0(VALU_DEP_1) | instskip(SKIP_1) | instid1(VALU_DEP_1)
	v_bfe_u32 v5, v3, 23, 8
	s_wait_xcnt 0x0
	v_cmpx_ne_u32_e32 0xff, v5
	s_cbranch_execz .LBB324_1446
; %bb.1445:
	v_and_b32_e32 v1, 0x400000, v3
	v_and_or_b32 v5, 0x3fffff, v3, v5
	s_delay_alu instid0(VALU_DEP_2) | instskip(NEXT) | instid1(VALU_DEP_2)
	v_cmp_ne_u32_e32 vcc_lo, 0, v1
	v_cmp_ne_u32_e64 s0, 0, v5
	v_lshrrev_b32_e32 v1, 23, v3
	s_and_b32 s0, vcc_lo, s0
	s_delay_alu instid0(SALU_CYCLE_1) | instskip(NEXT) | instid1(VALU_DEP_1)
	v_cndmask_b32_e64 v3, 0, 1, s0
	v_add_nc_u32_e32 v1, v1, v3
.LBB324_1446:
	s_or_b32 exec_lo, exec_lo, s10
	s_mov_b32 s0, 0
	s_branch .LBB324_1449
.LBB324_1447:
	s_mov_b32 s0, -1
                                        ; implicit-def: $vgpr1
	s_branch .LBB324_1454
.LBB324_1448:
	s_mov_b32 s0, -1
                                        ; implicit-def: $vgpr1
.LBB324_1449:
	s_delay_alu instid0(SALU_CYCLE_1)
	s_and_not1_b32 vcc_lo, exec_lo, s0
	s_cbranch_vccnz .LBB324_1453
; %bb.1450:
	global_load_b32 v3, v[14:15], off
	s_wait_loadcnt 0x1
	v_mov_b32_e32 v1, 0xff
	s_mov_b32 s10, exec_lo
	s_wait_loadcnt 0x0
	v_bfe_u32 v5, v3, 23, 8
	s_wait_xcnt 0x0
	s_delay_alu instid0(VALU_DEP_1)
	v_cmpx_ne_u32_e32 0xff, v5
	s_cbranch_execz .LBB324_1452
; %bb.1451:
	v_and_b32_e32 v1, 0x400000, v3
	v_and_or_b32 v5, 0x3fffff, v3, v5
	s_delay_alu instid0(VALU_DEP_2) | instskip(NEXT) | instid1(VALU_DEP_2)
	v_cmp_ne_u32_e32 vcc_lo, 0, v1
	v_cmp_ne_u32_e64 s0, 0, v5
	v_lshrrev_b32_e32 v1, 23, v3
	s_and_b32 s0, vcc_lo, s0
	s_delay_alu instid0(SALU_CYCLE_1) | instskip(NEXT) | instid1(VALU_DEP_1)
	v_cndmask_b32_e64 v3, 0, 1, s0
	v_add_nc_u32_e32 v1, v1, v3
.LBB324_1452:
	s_or_b32 exec_lo, exec_lo, s10
.LBB324_1453:
	s_mov_b32 s0, 0
.LBB324_1454:
	s_delay_alu instid0(SALU_CYCLE_1)
	s_and_not1_b32 vcc_lo, exec_lo, s0
	s_cbranch_vccnz .LBB324_1458
; %bb.1455:
	s_wait_loadcnt 0x0
	global_load_u16 v1, v[14:15], off
	s_mov_b32 s10, exec_lo
	s_wait_loadcnt 0x0
	v_cvt_f32_f16_e32 v3, v1
	v_mov_b32_e32 v1, 0xff
	s_delay_alu instid0(VALU_DEP_2) | instskip(SKIP_1) | instid1(VALU_DEP_1)
	v_bfe_u32 v5, v3, 23, 8
	s_wait_xcnt 0x0
	v_cmpx_ne_u32_e32 0xff, v5
	s_cbranch_execz .LBB324_1457
; %bb.1456:
	v_and_b32_e32 v1, 0x400000, v3
	v_and_or_b32 v5, 0x3fffff, v3, v5
	s_delay_alu instid0(VALU_DEP_2) | instskip(NEXT) | instid1(VALU_DEP_2)
	v_cmp_ne_u32_e32 vcc_lo, 0, v1
	v_cmp_ne_u32_e64 s0, 0, v5
	v_lshrrev_b32_e32 v1, 23, v3
	s_and_b32 s0, vcc_lo, s0
	s_delay_alu instid0(SALU_CYCLE_1) | instskip(NEXT) | instid1(VALU_DEP_1)
	v_cndmask_b32_e64 v3, 0, 1, s0
	v_add_nc_u32_e32 v1, v1, v3
.LBB324_1457:
	s_or_b32 exec_lo, exec_lo, s10
.LBB324_1458:
	s_cbranch_execnz .LBB324_1487
.LBB324_1459:
	s_cmp_lt_i32 s2, 2
	s_cbranch_scc1 .LBB324_1465
; %bb.1460:
	s_cmp_lt_i32 s2, 3
	s_cbranch_scc1 .LBB324_1466
; %bb.1461:
	s_cmp_gt_i32 s2, 3
	s_cbranch_scc0 .LBB324_1467
; %bb.1462:
	global_load_b64 v[16:17], v[14:15], off
	s_mov_b32 s10, exec_lo
	s_wait_loadcnt 0x0
	v_xor_b32_e32 v1, v16, v17
	v_cls_i32_e32 v3, v17
	s_delay_alu instid0(VALU_DEP_2) | instskip(NEXT) | instid1(VALU_DEP_1)
	v_ashrrev_i32_e32 v1, 31, v1
	v_add_nc_u32_e32 v1, 32, v1
	s_delay_alu instid0(VALU_DEP_1) | instskip(NEXT) | instid1(VALU_DEP_1)
	v_add_min_u32_e64 v1, v3, -1, v1
	v_lshlrev_b64_e32 v[16:17], v1, v[16:17]
	v_sub_nc_u32_e32 v1, 32, v1
	s_delay_alu instid0(VALU_DEP_2) | instskip(NEXT) | instid1(VALU_DEP_1)
	v_min_u32_e32 v3, 1, v16
	v_or_b32_e32 v3, v17, v3
	s_delay_alu instid0(VALU_DEP_1) | instskip(NEXT) | instid1(VALU_DEP_1)
	v_cvt_f32_i32_e32 v3, v3
	v_ldexp_f32 v3, v3, v1
	v_mov_b32_e32 v1, 0xff
	s_delay_alu instid0(VALU_DEP_2) | instskip(SKIP_1) | instid1(VALU_DEP_1)
	v_bfe_u32 v5, v3, 23, 8
	s_wait_xcnt 0x0
	v_cmpx_ne_u32_e32 0xff, v5
	s_cbranch_execz .LBB324_1464
; %bb.1463:
	v_and_b32_e32 v1, 0x400000, v3
	v_and_or_b32 v5, 0x3fffff, v3, v5
	s_delay_alu instid0(VALU_DEP_2) | instskip(NEXT) | instid1(VALU_DEP_2)
	v_cmp_ne_u32_e32 vcc_lo, 0, v1
	v_cmp_ne_u32_e64 s0, 0, v5
	v_lshrrev_b32_e32 v1, 23, v3
	s_and_b32 s0, vcc_lo, s0
	s_delay_alu instid0(SALU_CYCLE_1) | instskip(NEXT) | instid1(VALU_DEP_1)
	v_cndmask_b32_e64 v3, 0, 1, s0
	v_add_nc_u32_e32 v1, v1, v3
.LBB324_1464:
	s_or_b32 exec_lo, exec_lo, s10
	s_mov_b32 s0, 0
	s_branch .LBB324_1468
.LBB324_1465:
                                        ; implicit-def: $vgpr1
	s_branch .LBB324_1478
.LBB324_1466:
	s_mov_b32 s0, -1
                                        ; implicit-def: $vgpr1
	s_branch .LBB324_1473
.LBB324_1467:
	s_mov_b32 s0, -1
                                        ; implicit-def: $vgpr1
.LBB324_1468:
	s_delay_alu instid0(SALU_CYCLE_1)
	s_and_not1_b32 vcc_lo, exec_lo, s0
	s_cbranch_vccnz .LBB324_1472
; %bb.1469:
	s_wait_loadcnt 0x0
	global_load_b32 v1, v[14:15], off
	s_mov_b32 s10, exec_lo
	s_wait_loadcnt 0x0
	v_cvt_f32_i32_e32 v3, v1
	v_mov_b32_e32 v1, 0xff
	s_delay_alu instid0(VALU_DEP_2) | instskip(SKIP_1) | instid1(VALU_DEP_1)
	v_bfe_u32 v5, v3, 23, 8
	s_wait_xcnt 0x0
	v_cmpx_ne_u32_e32 0xff, v5
	s_cbranch_execz .LBB324_1471
; %bb.1470:
	v_and_b32_e32 v1, 0x400000, v3
	v_and_or_b32 v5, 0x3fffff, v3, v5
	s_delay_alu instid0(VALU_DEP_2) | instskip(NEXT) | instid1(VALU_DEP_2)
	v_cmp_ne_u32_e32 vcc_lo, 0, v1
	v_cmp_ne_u32_e64 s0, 0, v5
	v_lshrrev_b32_e32 v1, 23, v3
	s_and_b32 s0, vcc_lo, s0
	s_delay_alu instid0(SALU_CYCLE_1) | instskip(NEXT) | instid1(VALU_DEP_1)
	v_cndmask_b32_e64 v3, 0, 1, s0
	v_add_nc_u32_e32 v1, v1, v3
.LBB324_1471:
	s_or_b32 exec_lo, exec_lo, s10
.LBB324_1472:
	s_mov_b32 s0, 0
.LBB324_1473:
	s_delay_alu instid0(SALU_CYCLE_1)
	s_and_not1_b32 vcc_lo, exec_lo, s0
	s_cbranch_vccnz .LBB324_1477
; %bb.1474:
	s_wait_loadcnt 0x0
	global_load_i16 v1, v[14:15], off
	s_mov_b32 s10, exec_lo
	s_wait_loadcnt 0x0
	v_cvt_f32_i32_e32 v3, v1
	v_mov_b32_e32 v1, 0xff
	s_delay_alu instid0(VALU_DEP_2) | instskip(SKIP_1) | instid1(VALU_DEP_1)
	v_bfe_u32 v5, v3, 23, 8
	s_wait_xcnt 0x0
	v_cmpx_ne_u32_e32 0xff, v5
	s_cbranch_execz .LBB324_1476
; %bb.1475:
	v_and_b32_e32 v1, 0x400000, v3
	v_and_or_b32 v5, 0x3fffff, v3, v5
	s_delay_alu instid0(VALU_DEP_2) | instskip(NEXT) | instid1(VALU_DEP_2)
	v_cmp_ne_u32_e32 vcc_lo, 0, v1
	v_cmp_ne_u32_e64 s0, 0, v5
	v_lshrrev_b32_e32 v1, 23, v3
	s_and_b32 s0, vcc_lo, s0
	s_delay_alu instid0(SALU_CYCLE_1) | instskip(NEXT) | instid1(VALU_DEP_1)
	v_cndmask_b32_e64 v3, 0, 1, s0
	v_add_nc_u32_e32 v1, v1, v3
.LBB324_1476:
	s_or_b32 exec_lo, exec_lo, s10
.LBB324_1477:
	s_cbranch_execnz .LBB324_1487
.LBB324_1478:
	s_cmp_gt_i32 s2, 0
	s_cbranch_scc0 .LBB324_1482
; %bb.1479:
	s_wait_loadcnt 0x0
	global_load_i8 v1, v[14:15], off
	s_mov_b32 s2, exec_lo
	s_wait_loadcnt 0x0
	v_cvt_f32_i32_e32 v3, v1
	v_mov_b32_e32 v1, 0xff
	s_delay_alu instid0(VALU_DEP_2) | instskip(SKIP_1) | instid1(VALU_DEP_1)
	v_bfe_u32 v5, v3, 23, 8
	s_wait_xcnt 0x0
	v_cmpx_ne_u32_e32 0xff, v5
	s_cbranch_execz .LBB324_1481
; %bb.1480:
	v_and_b32_e32 v1, 0x400000, v3
	v_and_or_b32 v5, 0x3fffff, v3, v5
	s_delay_alu instid0(VALU_DEP_2) | instskip(NEXT) | instid1(VALU_DEP_2)
	v_cmp_ne_u32_e32 vcc_lo, 0, v1
	v_cmp_ne_u32_e64 s0, 0, v5
	v_lshrrev_b32_e32 v1, 23, v3
	s_and_b32 s0, vcc_lo, s0
	s_delay_alu instid0(SALU_CYCLE_1) | instskip(NEXT) | instid1(VALU_DEP_1)
	v_cndmask_b32_e64 v3, 0, 1, s0
	v_add_nc_u32_e32 v1, v1, v3
.LBB324_1481:
	s_or_b32 exec_lo, exec_lo, s2
	s_mov_b32 s0, 0
	s_branch .LBB324_1483
.LBB324_1482:
	s_mov_b32 s0, -1
                                        ; implicit-def: $vgpr1
.LBB324_1483:
	s_delay_alu instid0(SALU_CYCLE_1)
	s_and_not1_b32 vcc_lo, exec_lo, s0
	s_cbranch_vccnz .LBB324_1487
; %bb.1484:
	s_wait_loadcnt 0x0
	global_load_u8 v1, v[14:15], off
	s_mov_b32 s2, exec_lo
	s_wait_loadcnt 0x0
	v_cvt_f32_ubyte0_e32 v5, v1
	v_mov_b32_e32 v1, 0xff
	s_delay_alu instid0(VALU_DEP_2) | instskip(SKIP_1) | instid1(VALU_DEP_1)
	v_lshrrev_b32_e32 v3, 23, v5
	s_wait_xcnt 0x0
	v_cmpx_ne_u32_e32 0xff, v3
; %bb.1485:
	v_and_b32_e32 v1, 0x400000, v5
	v_and_or_b32 v5, 0x3fffff, v5, v3
	s_delay_alu instid0(VALU_DEP_2) | instskip(NEXT) | instid1(VALU_DEP_2)
	v_cmp_ne_u32_e32 vcc_lo, 0, v1
	v_cmp_ne_u32_e64 s0, 0, v5
	s_and_b32 s0, vcc_lo, s0
	s_delay_alu instid0(SALU_CYCLE_1) | instskip(NEXT) | instid1(VALU_DEP_1)
	v_cndmask_b32_e64 v1, 0, 1, s0
	v_add_nc_u32_e32 v1, v3, v1
; %bb.1486:
	s_or_b32 exec_lo, exec_lo, s2
.LBB324_1487:
.LBB324_1488:
	v_mov_b32_e32 v13, 0
	s_and_b32 s1, 0xffff, s1
	s_delay_alu instid0(SALU_CYCLE_1) | instskip(NEXT) | instid1(VALU_DEP_1)
	s_cmp_lt_i32 s1, 11
	v_add_nc_u64_e32 v[12:13], s[6:7], v[12:13]
	s_cbranch_scc1 .LBB324_1497
; %bb.1489:
	s_cmp_gt_i32 s1, 25
	s_mov_b32 s10, 0
	s_cbranch_scc0 .LBB324_1499
; %bb.1490:
	s_cmp_gt_i32 s1, 28
	s_cbranch_scc0 .LBB324_1500
; %bb.1491:
	s_cmp_gt_i32 s1, 43
	;; [unrolled: 3-line block ×3, first 2 shown]
	s_cbranch_scc0 .LBB324_1503
; %bb.1493:
	s_cmp_eq_u32 s1, 46
	s_mov_b32 s11, 0
	s_cbranch_scc0 .LBB324_1506
; %bb.1494:
	global_load_b32 v5, v[12:13], off
	v_mov_b32_e32 v3, 0xff
	s_mov_b32 s2, exec_lo
	s_wait_loadcnt 0x0
	v_lshlrev_b32_e32 v7, 16, v5
	s_delay_alu instid0(VALU_DEP_1) | instskip(SKIP_1) | instid1(VALU_DEP_1)
	v_bfe_u32 v9, v7, 23, 8
	s_wait_xcnt 0x0
	v_cmpx_ne_u32_e32 0xff, v9
	s_cbranch_execz .LBB324_1496
; %bb.1495:
	v_and_b32_e32 v3, 64, v5
	v_and_or_b32 v7, 0x3f0000, v7, v9
	s_delay_alu instid0(VALU_DEP_2) | instskip(NEXT) | instid1(VALU_DEP_2)
	v_cmp_ne_u32_e32 vcc_lo, 0, v3
	v_cmp_ne_u32_e64 s0, 0, v7
	v_bfe_u32 v3, v5, 7, 9
	s_and_b32 s0, vcc_lo, s0
	s_delay_alu instid0(SALU_CYCLE_1) | instskip(NEXT) | instid1(VALU_DEP_1)
	v_cndmask_b32_e64 v5, 0, 1, s0
	v_add_nc_u32_e32 v3, v3, v5
.LBB324_1496:
	s_or_b32 exec_lo, exec_lo, s2
	s_mov_b32 s2, 0
	s_mov_b32 s0, -1
	s_branch .LBB324_1508
.LBB324_1497:
	s_mov_b32 s0, 0
                                        ; implicit-def: $vgpr3
	s_cbranch_execnz .LBB324_1591
.LBB324_1498:
	s_and_not1_b32 vcc_lo, exec_lo, s0
	s_cbranch_vccz .LBB324_1660
	s_branch .LBB324_2435
.LBB324_1499:
	s_mov_b32 s0, 0
	s_mov_b32 s2, 0
                                        ; implicit-def: $vgpr3
	s_cbranch_execnz .LBB324_1545
	s_branch .LBB324_1585
.LBB324_1500:
	s_mov_b32 s11, -1
	s_mov_b32 s0, 0
	s_mov_b32 s2, 0
                                        ; implicit-def: $vgpr3
	s_branch .LBB324_1520
.LBB324_1501:
	s_mov_b32 s11, -1
	s_mov_b32 s0, 0
	s_mov_b32 s2, 0
                                        ; implicit-def: $vgpr3
	s_branch .LBB324_1513
.LBB324_1502:
	s_or_b32 s3, s8, exec_lo
	s_trap 2
	s_cbranch_execz .LBB324_1417
	s_branch .LBB324_1420
.LBB324_1503:
	s_mov_b32 s11, -1
	s_mov_b32 s0, 0
	s_mov_b32 s2, 0
	s_branch .LBB324_1507
.LBB324_1504:
	s_and_not1_saveexec_b32 s9, s9
	s_cbranch_execz .LBB324_1183
.LBB324_1505:
	v_add_f32_e32 v2, 0x42800000, v3
	s_and_not1_b32 s8, s8, exec_lo
	s_delay_alu instid0(VALU_DEP_1) | instskip(NEXT) | instid1(VALU_DEP_1)
	v_and_b32_e32 v2, 0xff, v2
	v_cmp_ne_u32_e32 vcc_lo, 0, v2
	s_and_b32 s10, vcc_lo, exec_lo
	s_delay_alu instid0(SALU_CYCLE_1)
	s_or_b32 s8, s8, s10
	s_or_b32 exec_lo, exec_lo, s9
	v_mov_b32_e32 v4, 0
	s_and_saveexec_b32 s9, s8
	s_cbranch_execnz .LBB324_1184
	s_branch .LBB324_1185
.LBB324_1506:
	s_mov_b32 s2, -1
	s_mov_b32 s0, 0
.LBB324_1507:
                                        ; implicit-def: $vgpr3
.LBB324_1508:
	s_and_b32 vcc_lo, exec_lo, s11
	s_cbranch_vccz .LBB324_1512
; %bb.1509:
	s_cmp_eq_u32 s1, 44
	s_cbranch_scc0 .LBB324_1511
; %bb.1510:
	global_load_u8 v3, v[12:13], off
	s_mov_b32 s2, 0
	s_mov_b32 s0, -1
	s_branch .LBB324_1512
.LBB324_1511:
	s_mov_b32 s2, -1
                                        ; implicit-def: $vgpr3
.LBB324_1512:
	s_mov_b32 s11, 0
.LBB324_1513:
	s_delay_alu instid0(SALU_CYCLE_1)
	s_and_b32 vcc_lo, exec_lo, s11
	s_cbranch_vccz .LBB324_1519
; %bb.1514:
	s_cmp_eq_u32 s1, 29
	s_cbranch_scc0 .LBB324_1518
; %bb.1515:
	global_load_b64 v[14:15], v[12:13], off
	s_mov_b32 s2, exec_lo
	s_wait_loadcnt 0x0
	v_clz_i32_u32_e32 v3, v15
	s_delay_alu instid0(VALU_DEP_1) | instskip(NEXT) | instid1(VALU_DEP_1)
	v_min_u32_e32 v3, 32, v3
	v_lshlrev_b64_e32 v[14:15], v3, v[14:15]
	v_sub_nc_u32_e32 v3, 32, v3
	s_delay_alu instid0(VALU_DEP_2) | instskip(NEXT) | instid1(VALU_DEP_1)
	v_min_u32_e32 v5, 1, v14
	v_or_b32_e32 v5, v15, v5
	s_delay_alu instid0(VALU_DEP_1) | instskip(NEXT) | instid1(VALU_DEP_1)
	v_cvt_f32_u32_e32 v5, v5
	v_ldexp_f32 v7, v5, v3
	v_mov_b32_e32 v3, 0xff
	s_delay_alu instid0(VALU_DEP_2) | instskip(SKIP_1) | instid1(VALU_DEP_1)
	v_lshrrev_b32_e32 v5, 23, v7
	s_wait_xcnt 0x0
	v_cmpx_ne_u32_e32 0xff, v5
; %bb.1516:
	v_and_b32_e32 v3, 0x400000, v7
	v_and_or_b32 v7, 0x3fffff, v7, v5
	s_delay_alu instid0(VALU_DEP_2) | instskip(NEXT) | instid1(VALU_DEP_2)
	v_cmp_ne_u32_e32 vcc_lo, 0, v3
	v_cmp_ne_u32_e64 s0, 0, v7
	s_and_b32 s0, vcc_lo, s0
	s_delay_alu instid0(SALU_CYCLE_1) | instskip(NEXT) | instid1(VALU_DEP_1)
	v_cndmask_b32_e64 v3, 0, 1, s0
	v_add_nc_u32_e32 v3, v5, v3
; %bb.1517:
	s_or_b32 exec_lo, exec_lo, s2
	s_mov_b32 s2, 0
	s_mov_b32 s0, -1
	s_branch .LBB324_1519
.LBB324_1518:
	s_mov_b32 s2, -1
                                        ; implicit-def: $vgpr3
.LBB324_1519:
	s_mov_b32 s11, 0
.LBB324_1520:
	s_delay_alu instid0(SALU_CYCLE_1)
	s_and_b32 vcc_lo, exec_lo, s11
	s_cbranch_vccz .LBB324_1544
; %bb.1521:
	s_cmp_lt_i32 s1, 27
	s_cbranch_scc1 .LBB324_1526
; %bb.1522:
	s_cmp_gt_i32 s1, 27
	s_cbranch_scc0 .LBB324_1527
; %bb.1523:
	s_wait_loadcnt 0x0
	global_load_b32 v3, v[12:13], off
	s_mov_b32 s11, exec_lo
	s_wait_loadcnt 0x0
	v_cvt_f32_u32_e32 v7, v3
	v_mov_b32_e32 v3, 0xff
	s_delay_alu instid0(VALU_DEP_2) | instskip(SKIP_1) | instid1(VALU_DEP_1)
	v_lshrrev_b32_e32 v5, 23, v7
	s_wait_xcnt 0x0
	v_cmpx_ne_u32_e32 0xff, v5
; %bb.1524:
	v_and_b32_e32 v3, 0x400000, v7
	v_and_or_b32 v7, 0x3fffff, v7, v5
	s_delay_alu instid0(VALU_DEP_2) | instskip(NEXT) | instid1(VALU_DEP_2)
	v_cmp_ne_u32_e32 vcc_lo, 0, v3
	v_cmp_ne_u32_e64 s0, 0, v7
	s_and_b32 s0, vcc_lo, s0
	s_delay_alu instid0(SALU_CYCLE_1) | instskip(NEXT) | instid1(VALU_DEP_1)
	v_cndmask_b32_e64 v3, 0, 1, s0
	v_add_nc_u32_e32 v3, v5, v3
; %bb.1525:
	s_or_b32 exec_lo, exec_lo, s11
	s_mov_b32 s0, 0
	s_branch .LBB324_1528
.LBB324_1526:
	s_mov_b32 s0, -1
                                        ; implicit-def: $vgpr3
	s_branch .LBB324_1533
.LBB324_1527:
	s_mov_b32 s0, -1
                                        ; implicit-def: $vgpr3
.LBB324_1528:
	s_delay_alu instid0(SALU_CYCLE_1)
	s_and_not1_b32 vcc_lo, exec_lo, s0
	s_cbranch_vccnz .LBB324_1532
; %bb.1529:
	s_wait_loadcnt 0x0
	global_load_u16 v3, v[12:13], off
	s_mov_b32 s11, exec_lo
	s_wait_loadcnt 0x0
	v_cvt_f32_u32_e32 v7, v3
	v_mov_b32_e32 v3, 0xff
	s_delay_alu instid0(VALU_DEP_2) | instskip(SKIP_1) | instid1(VALU_DEP_1)
	v_lshrrev_b32_e32 v5, 23, v7
	s_wait_xcnt 0x0
	v_cmpx_ne_u32_e32 0xff, v5
; %bb.1530:
	v_and_b32_e32 v3, 0x400000, v7
	v_and_or_b32 v7, 0x3fffff, v7, v5
	s_delay_alu instid0(VALU_DEP_2) | instskip(NEXT) | instid1(VALU_DEP_2)
	v_cmp_ne_u32_e32 vcc_lo, 0, v3
	v_cmp_ne_u32_e64 s0, 0, v7
	s_and_b32 s0, vcc_lo, s0
	s_delay_alu instid0(SALU_CYCLE_1) | instskip(NEXT) | instid1(VALU_DEP_1)
	v_cndmask_b32_e64 v3, 0, 1, s0
	v_add_nc_u32_e32 v3, v5, v3
; %bb.1531:
	s_or_b32 exec_lo, exec_lo, s11
.LBB324_1532:
	s_mov_b32 s0, 0
.LBB324_1533:
	s_delay_alu instid0(SALU_CYCLE_1)
	s_and_not1_b32 vcc_lo, exec_lo, s0
	s_cbranch_vccnz .LBB324_1543
; %bb.1534:
	s_wait_loadcnt 0x0
	global_load_u8 v3, v[12:13], off
	s_mov_b32 s0, 0
	s_mov_b32 s11, exec_lo
	s_wait_loadcnt 0x0
	v_cmpx_lt_i16_e32 0x7f, v3
	s_xor_b32 s11, exec_lo, s11
	s_cbranch_execz .LBB324_1560
; %bb.1535:
	s_mov_b32 s0, -1
	s_mov_b32 s12, exec_lo
	v_cmpx_eq_u16_e32 0x80, v3
; %bb.1536:
	s_xor_b32 s0, exec_lo, -1
; %bb.1537:
	s_or_b32 exec_lo, exec_lo, s12
	s_delay_alu instid0(SALU_CYCLE_1)
	s_and_b32 s0, s0, exec_lo
	s_or_saveexec_b32 s11, s11
	v_mov_b32_e32 v5, 0x7f800001
	s_xor_b32 exec_lo, exec_lo, s11
	s_cbranch_execnz .LBB324_1561
.LBB324_1538:
	s_or_b32 exec_lo, exec_lo, s11
	s_and_saveexec_b32 s11, s0
	s_cbranch_execz .LBB324_1540
.LBB324_1539:
	v_and_b32_e32 v3, 0xffff, v3
	s_delay_alu instid0(VALU_DEP_1) | instskip(NEXT) | instid1(VALU_DEP_1)
	v_and_b32_e32 v5, 7, v3
	v_clz_i32_u32_e32 v7, v5
	s_delay_alu instid0(VALU_DEP_1) | instskip(NEXT) | instid1(VALU_DEP_1)
	v_min_u32_e32 v7, 32, v7
	v_subrev_nc_u32_e32 v9, 28, v7
	s_delay_alu instid0(VALU_DEP_1) | instskip(SKIP_1) | instid1(VALU_DEP_2)
	v_lshlrev_b32_e32 v9, v9, v3
	v_bfe_u32 v3, v3, 3, 4
	v_dual_sub_nc_u32 v7, 29, v7 :: v_dual_bitop2_b32 v9, 7, v9 bitop3:0x40
	s_delay_alu instid0(VALU_DEP_2) | instskip(NEXT) | instid1(VALU_DEP_2)
	v_cmp_eq_u32_e32 vcc_lo, 0, v3
	v_dual_cndmask_b32 v3, v3, v7, vcc_lo :: v_dual_cndmask_b32 v5, v5, v9, vcc_lo
	s_delay_alu instid0(VALU_DEP_1) | instskip(NEXT) | instid1(VALU_DEP_1)
	v_lshlrev_b32_e32 v5, 20, v5
	v_lshl_or_b32 v3, v3, 23, v5
	s_delay_alu instid0(VALU_DEP_1)
	v_add_nc_u32_e32 v5, 0x3b800000, v3
.LBB324_1540:
	s_or_b32 exec_lo, exec_lo, s11
	s_delay_alu instid0(VALU_DEP_1) | instskip(SKIP_2) | instid1(VALU_DEP_2)
	v_lshrrev_b32_e32 v7, 23, v5
	v_mov_b32_e32 v3, 0xff
	s_mov_b32 s11, exec_lo
	v_cmpx_ne_u32_e32 0xff, v7
; %bb.1541:
	v_and_b32_e32 v3, 0x400000, v5
	v_and_or_b32 v5, 0x3fffff, v5, v7
	s_delay_alu instid0(VALU_DEP_2) | instskip(NEXT) | instid1(VALU_DEP_2)
	v_cmp_ne_u32_e32 vcc_lo, 0, v3
	v_cmp_ne_u32_e64 s0, 0, v5
	s_and_b32 s0, vcc_lo, s0
	s_delay_alu instid0(SALU_CYCLE_1) | instskip(NEXT) | instid1(VALU_DEP_1)
	v_cndmask_b32_e64 v3, 0, 1, s0
	v_add_nc_u32_e32 v3, v7, v3
; %bb.1542:
	s_or_b32 exec_lo, exec_lo, s11
.LBB324_1543:
	s_mov_b32 s0, -1
.LBB324_1544:
	s_branch .LBB324_1585
.LBB324_1545:
	s_cmp_gt_i32 s1, 22
	s_cbranch_scc0 .LBB324_1559
; %bb.1546:
	s_cmp_lt_i32 s1, 24
	s_cbranch_scc1 .LBB324_1562
; %bb.1547:
	s_cmp_gt_i32 s1, 24
	s_cbranch_scc0 .LBB324_1563
; %bb.1548:
	s_wait_loadcnt 0x0
	global_load_u8 v3, v[12:13], off
	s_mov_b32 s0, 0
	s_mov_b32 s10, exec_lo
	s_wait_loadcnt 0x0
	v_cmpx_lt_i16_e32 0x7f, v3
	s_xor_b32 s10, exec_lo, s10
	s_cbranch_execz .LBB324_1552
; %bb.1549:
	s_mov_b32 s0, -1
	s_mov_b32 s11, exec_lo
	v_cmpx_eq_u16_e32 0x80, v3
; %bb.1550:
	s_xor_b32 s0, exec_lo, -1
; %bb.1551:
	s_or_b32 exec_lo, exec_lo, s11
	s_delay_alu instid0(SALU_CYCLE_1)
	s_and_b32 s0, s0, exec_lo
.LBB324_1552:
	s_or_saveexec_b32 s10, s10
	v_mov_b32_e32 v5, 0x7f800001
	v_and_b32_e32 v7, 0xffff, v3
	s_xor_b32 exec_lo, exec_lo, s10
; %bb.1553:
	v_cmp_ne_u16_e32 vcc_lo, 0, v3
	s_delay_alu instid0(VALU_DEP_2) | instskip(SKIP_2) | instid1(SALU_CYCLE_1)
	v_mov_b32_e32 v5, v7
	s_and_not1_b32 s0, s0, exec_lo
	s_and_b32 s11, vcc_lo, exec_lo
	s_or_b32 s0, s0, s11
; %bb.1554:
	s_or_b32 exec_lo, exec_lo, s10
	s_and_saveexec_b32 s10, s0
	s_cbranch_execz .LBB324_1556
; %bb.1555:
	v_and_b32_e32 v3, 3, v7
	s_delay_alu instid0(VALU_DEP_1) | instskip(NEXT) | instid1(VALU_DEP_1)
	v_clz_i32_u32_e32 v5, v3
	v_min_u32_e32 v5, 32, v5
	s_delay_alu instid0(VALU_DEP_1) | instskip(NEXT) | instid1(VALU_DEP_1)
	v_subrev_nc_u32_e32 v9, 29, v5
	v_lshlrev_b32_e32 v9, v9, v7
	v_bfe_u32 v7, v7, 2, 5
	s_delay_alu instid0(VALU_DEP_2) | instskip(NEXT) | instid1(VALU_DEP_2)
	v_and_b32_e32 v9, 3, v9
	v_cmp_eq_u32_e32 vcc_lo, 0, v7
	s_delay_alu instid0(VALU_DEP_2) | instskip(NEXT) | instid1(VALU_DEP_1)
	v_cndmask_b32_e32 v3, v3, v9, vcc_lo
	v_dual_sub_nc_u32 v5, 30, v5 :: v_dual_lshlrev_b32 v3, 21, v3
	s_delay_alu instid0(VALU_DEP_1) | instskip(NEXT) | instid1(VALU_DEP_1)
	v_cndmask_b32_e32 v5, v7, v5, vcc_lo
	v_lshl_or_b32 v3, v5, 23, v3
	s_delay_alu instid0(VALU_DEP_1)
	v_add_nc_u32_e32 v5, 0x37800000, v3
.LBB324_1556:
	s_or_b32 exec_lo, exec_lo, s10
	s_delay_alu instid0(VALU_DEP_1) | instskip(SKIP_2) | instid1(VALU_DEP_2)
	v_lshrrev_b32_e32 v7, 23, v5
	v_mov_b32_e32 v3, 0xff
	s_mov_b32 s10, exec_lo
	v_cmpx_ne_u32_e32 0xff, v7
; %bb.1557:
	v_and_b32_e32 v3, 0x400000, v5
	v_and_or_b32 v5, 0x3fffff, v5, v7
	s_delay_alu instid0(VALU_DEP_2) | instskip(NEXT) | instid1(VALU_DEP_2)
	v_cmp_ne_u32_e32 vcc_lo, 0, v3
	v_cmp_ne_u32_e64 s0, 0, v5
	s_and_b32 s0, vcc_lo, s0
	s_delay_alu instid0(SALU_CYCLE_1) | instskip(NEXT) | instid1(VALU_DEP_1)
	v_cndmask_b32_e64 v3, 0, 1, s0
	v_add_nc_u32_e32 v3, v7, v3
; %bb.1558:
	s_or_b32 exec_lo, exec_lo, s10
	s_mov_b32 s0, 0
	s_branch .LBB324_1564
.LBB324_1559:
	s_mov_b32 s10, -1
                                        ; implicit-def: $vgpr3
	s_branch .LBB324_1574
.LBB324_1560:
	s_or_saveexec_b32 s11, s11
	v_mov_b32_e32 v5, 0x7f800001
	s_xor_b32 exec_lo, exec_lo, s11
	s_cbranch_execz .LBB324_1538
.LBB324_1561:
	v_cmp_ne_u16_e32 vcc_lo, 0, v3
	v_and_b32_e32 v5, 0xffff, v3
	s_and_not1_b32 s0, s0, exec_lo
	s_and_b32 s12, vcc_lo, exec_lo
	s_delay_alu instid0(SALU_CYCLE_1)
	s_or_b32 s0, s0, s12
	s_or_b32 exec_lo, exec_lo, s11
	s_and_saveexec_b32 s11, s0
	s_cbranch_execnz .LBB324_1539
	s_branch .LBB324_1540
.LBB324_1562:
	s_mov_b32 s0, -1
                                        ; implicit-def: $vgpr3
	s_branch .LBB324_1569
.LBB324_1563:
	s_mov_b32 s0, -1
                                        ; implicit-def: $vgpr3
.LBB324_1564:
	s_delay_alu instid0(SALU_CYCLE_1)
	s_and_b32 vcc_lo, exec_lo, s0
	s_cbranch_vccz .LBB324_1568
; %bb.1565:
	s_wait_loadcnt 0x0
	global_load_u8 v3, v[12:13], off
	s_mov_b32 s10, exec_lo
	s_wait_loadcnt 0x0
	v_lshlrev_b32_e32 v3, 24, v3
	s_delay_alu instid0(VALU_DEP_1) | instskip(NEXT) | instid1(VALU_DEP_1)
	v_and_b32_e32 v3, 0x7f000000, v3
	v_clz_i32_u32_e32 v5, v3
	v_add_nc_u32_e32 v9, 0x1000000, v3
	v_cmp_ne_u32_e32 vcc_lo, 0, v3
	s_delay_alu instid0(VALU_DEP_3) | instskip(NEXT) | instid1(VALU_DEP_1)
	v_min_u32_e32 v5, 32, v5
	v_sub_nc_u32_e64 v5, v5, 4 clamp
	s_delay_alu instid0(VALU_DEP_1) | instskip(SKIP_1) | instid1(VALU_DEP_2)
	v_dual_lshlrev_b32 v7, v5, v3 :: v_dual_lshlrev_b32 v5, 23, v5
	v_mov_b32_e32 v3, 0xff
	v_lshrrev_b32_e32 v7, 4, v7
	s_delay_alu instid0(VALU_DEP_1) | instskip(SKIP_1) | instid1(VALU_DEP_2)
	v_sub_nc_u32_e32 v5, v7, v5
	v_ashrrev_i32_e32 v7, 8, v9
	v_add_nc_u32_e32 v5, 0x3c000000, v5
	s_delay_alu instid0(VALU_DEP_1) | instskip(NEXT) | instid1(VALU_DEP_1)
	v_and_or_b32 v5, 0x7f800000, v7, v5
	v_cndmask_b32_e32 v7, 0, v5, vcc_lo
	s_delay_alu instid0(VALU_DEP_1) | instskip(SKIP_1) | instid1(VALU_DEP_1)
	v_lshrrev_b32_e32 v5, 23, v7
	s_wait_xcnt 0x0
	v_cmpx_ne_u32_e32 0xff, v5
; %bb.1566:
	v_and_b32_e32 v3, 0x400000, v7
	v_and_or_b32 v7, 0x3fffff, v7, v5
	s_delay_alu instid0(VALU_DEP_2) | instskip(NEXT) | instid1(VALU_DEP_2)
	v_cmp_ne_u32_e32 vcc_lo, 0, v3
	v_cmp_ne_u32_e64 s0, 0, v7
	s_and_b32 s0, vcc_lo, s0
	s_delay_alu instid0(SALU_CYCLE_1) | instskip(NEXT) | instid1(VALU_DEP_1)
	v_cndmask_b32_e64 v3, 0, 1, s0
	v_add_nc_u32_e32 v3, v5, v3
; %bb.1567:
	s_or_b32 exec_lo, exec_lo, s10
.LBB324_1568:
	s_mov_b32 s0, 0
.LBB324_1569:
	s_delay_alu instid0(SALU_CYCLE_1)
	s_and_not1_b32 vcc_lo, exec_lo, s0
	s_cbranch_vccnz .LBB324_1573
; %bb.1570:
	s_wait_loadcnt 0x0
	global_load_u8 v3, v[12:13], off
	s_mov_b32 s10, exec_lo
	s_wait_loadcnt 0x0
	v_dual_lshlrev_b32 v5, 25, v3 :: v_dual_lshlrev_b32 v3, 8, v3
	s_delay_alu instid0(VALU_DEP_1) | instskip(NEXT) | instid1(VALU_DEP_2)
	v_cmp_gt_u32_e32 vcc_lo, 0x8000000, v5
	v_and_or_b32 v3, 0x7f00, v3, 0.5
	s_delay_alu instid0(VALU_DEP_1) | instskip(NEXT) | instid1(VALU_DEP_1)
	v_dual_lshrrev_b32 v7, 4, v5 :: v_dual_add_f32 v3, -0.5, v3
	v_or_b32_e32 v7, 0x70000000, v7
	s_delay_alu instid0(VALU_DEP_1) | instskip(NEXT) | instid1(VALU_DEP_1)
	v_mul_f32_e32 v7, 0x7800000, v7
	v_cndmask_b32_e32 v5, v7, v3, vcc_lo
	v_mov_b32_e32 v3, 0xff
	s_delay_alu instid0(VALU_DEP_2) | instskip(SKIP_1) | instid1(VALU_DEP_1)
	v_bfe_u32 v7, v5, 23, 8
	s_wait_xcnt 0x0
	v_cmpx_ne_u32_e32 0xff, v7
	s_cbranch_execz .LBB324_1572
; %bb.1571:
	v_and_b32_e32 v3, 0x400000, v5
	v_and_or_b32 v7, 0x3fffff, v5, v7
	s_delay_alu instid0(VALU_DEP_2) | instskip(NEXT) | instid1(VALU_DEP_2)
	v_cmp_ne_u32_e32 vcc_lo, 0, v3
	v_cmp_ne_u32_e64 s0, 0, v7
	v_lshrrev_b32_e32 v3, 23, v5
	s_and_b32 s0, vcc_lo, s0
	s_delay_alu instid0(SALU_CYCLE_1) | instskip(NEXT) | instid1(VALU_DEP_1)
	v_cndmask_b32_e64 v5, 0, 1, s0
	v_add_nc_u32_e32 v3, v3, v5
.LBB324_1572:
	s_or_b32 exec_lo, exec_lo, s10
.LBB324_1573:
	s_mov_b32 s10, 0
	s_mov_b32 s0, -1
.LBB324_1574:
	s_and_not1_b32 vcc_lo, exec_lo, s10
	s_mov_b32 s10, 0
	s_cbranch_vccnz .LBB324_1585
; %bb.1575:
	s_cmp_gt_i32 s1, 14
	s_cbranch_scc0 .LBB324_1580
; %bb.1576:
	s_cmp_eq_u32 s1, 15
	s_cbranch_scc0 .LBB324_1581
; %bb.1577:
	global_load_u16 v5, v[12:13], off
	s_wait_loadcnt 0x1
	v_mov_b32_e32 v3, 0xff
	s_mov_b32 s2, exec_lo
	s_wait_loadcnt 0x0
	v_bfe_u32 v7, v5, 7, 8
	s_wait_xcnt 0x0
	s_delay_alu instid0(VALU_DEP_1)
	v_cmpx_ne_u32_e32 0xff, v7
	s_cbranch_execz .LBB324_1579
; %bb.1578:
	v_dual_lshlrev_b32 v3, 16, v5 :: v_dual_bitop2_b32 v9, 64, v5 bitop3:0x40
	s_delay_alu instid0(VALU_DEP_1) | instskip(NEXT) | instid1(VALU_DEP_2)
	v_and_or_b32 v3, 0x3f0000, v3, v7
	v_cmp_ne_u32_e32 vcc_lo, 0, v9
	s_delay_alu instid0(VALU_DEP_2) | instskip(SKIP_2) | instid1(SALU_CYCLE_1)
	v_cmp_ne_u32_e64 s0, 0, v3
	v_lshrrev_b32_e32 v3, 7, v5
	s_and_b32 s0, vcc_lo, s0
	v_cndmask_b32_e64 v5, 0, 1, s0
	s_delay_alu instid0(VALU_DEP_1)
	v_add_nc_u32_e32 v3, v3, v5
.LBB324_1579:
	s_or_b32 exec_lo, exec_lo, s2
	s_mov_b32 s2, 0
	s_mov_b32 s0, -1
	s_branch .LBB324_1583
.LBB324_1580:
	s_mov_b32 s10, -1
	s_branch .LBB324_1582
.LBB324_1581:
	s_mov_b32 s2, -1
.LBB324_1582:
                                        ; implicit-def: $vgpr3
.LBB324_1583:
	s_and_b32 vcc_lo, exec_lo, s10
	s_mov_b32 s10, 0
	s_cbranch_vccz .LBB324_1585
; %bb.1584:
	s_cmp_lg_u32 s1, 11
	s_mov_b32 s10, -1
	s_cselect_b32 s2, -1, 0
.LBB324_1585:
	s_delay_alu instid0(SALU_CYCLE_1)
	s_and_b32 vcc_lo, exec_lo, s2
	s_cbranch_vccnz .LBB324_1674
; %bb.1586:
	s_and_not1_b32 vcc_lo, exec_lo, s10
	s_cbranch_vccnz .LBB324_1590
.LBB324_1587:
	s_wait_loadcnt 0x0
	global_load_u8 v3, v[12:13], off
	s_mov_b32 s2, exec_lo
	s_wait_loadcnt 0x0
	v_cmp_ne_u16_e32 vcc_lo, 0, v3
	v_mov_b32_e32 v3, 0xff
	v_cndmask_b32_e64 v7, 0, 1.0, vcc_lo
	s_delay_alu instid0(VALU_DEP_1) | instskip(SKIP_1) | instid1(VALU_DEP_1)
	v_lshrrev_b32_e32 v5, 23, v7
	s_wait_xcnt 0x0
	v_cmpx_ne_u32_e32 0xff, v5
; %bb.1588:
	v_and_b32_e32 v3, 0x400000, v7
	v_and_or_b32 v7, 0x3fffff, v7, v5
	s_delay_alu instid0(VALU_DEP_2) | instskip(NEXT) | instid1(VALU_DEP_2)
	v_cmp_ne_u32_e32 vcc_lo, 0, v3
	v_cmp_ne_u32_e64 s0, 0, v7
	s_and_b32 s0, vcc_lo, s0
	s_delay_alu instid0(SALU_CYCLE_1) | instskip(NEXT) | instid1(VALU_DEP_1)
	v_cndmask_b32_e64 v3, 0, 1, s0
	v_add_nc_u32_e32 v3, v5, v3
; %bb.1589:
	s_or_b32 exec_lo, exec_lo, s2
	s_mov_b32 s0, -1
.LBB324_1590:
	s_branch .LBB324_1498
.LBB324_1591:
	s_cmp_lt_i32 s1, 5
	s_cbranch_scc1 .LBB324_1598
; %bb.1592:
	s_cmp_lt_i32 s1, 8
	s_cbranch_scc1 .LBB324_1599
; %bb.1593:
	;; [unrolled: 3-line block ×3, first 2 shown]
	s_cmp_gt_i32 s1, 9
	s_cbranch_scc0 .LBB324_1601
; %bb.1595:
	global_load_b64 v[14:15], v[12:13], off
	s_wait_loadcnt 0x1
	v_mov_b32_e32 v3, 0xff
	s_mov_b32 s2, exec_lo
	s_wait_loadcnt 0x0
	v_cvt_f32_f64_e32 v5, v[14:15]
	s_delay_alu instid0(VALU_DEP_1) | instskip(SKIP_1) | instid1(VALU_DEP_1)
	v_bfe_u32 v7, v5, 23, 8
	s_wait_xcnt 0x0
	v_cmpx_ne_u32_e32 0xff, v7
	s_cbranch_execz .LBB324_1597
; %bb.1596:
	v_and_b32_e32 v3, 0x400000, v5
	v_and_or_b32 v7, 0x3fffff, v5, v7
	s_delay_alu instid0(VALU_DEP_2) | instskip(NEXT) | instid1(VALU_DEP_2)
	v_cmp_ne_u32_e32 vcc_lo, 0, v3
	v_cmp_ne_u32_e64 s0, 0, v7
	v_lshrrev_b32_e32 v3, 23, v5
	s_and_b32 s0, vcc_lo, s0
	s_delay_alu instid0(SALU_CYCLE_1) | instskip(NEXT) | instid1(VALU_DEP_1)
	v_cndmask_b32_e64 v5, 0, 1, s0
	v_add_nc_u32_e32 v3, v3, v5
.LBB324_1597:
	s_or_b32 exec_lo, exec_lo, s2
	s_mov_b32 s0, 0
	s_branch .LBB324_1602
.LBB324_1598:
                                        ; implicit-def: $vgpr3
	s_branch .LBB324_1630
.LBB324_1599:
	s_mov_b32 s0, -1
                                        ; implicit-def: $vgpr3
	s_branch .LBB324_1612
.LBB324_1600:
	s_mov_b32 s0, -1
                                        ; implicit-def: $vgpr3
	s_branch .LBB324_1607
.LBB324_1601:
	s_mov_b32 s0, -1
                                        ; implicit-def: $vgpr3
.LBB324_1602:
	s_delay_alu instid0(SALU_CYCLE_1)
	s_and_not1_b32 vcc_lo, exec_lo, s0
	s_cbranch_vccnz .LBB324_1606
; %bb.1603:
	global_load_b32 v5, v[12:13], off
	s_wait_loadcnt 0x1
	v_mov_b32_e32 v3, 0xff
	s_mov_b32 s2, exec_lo
	s_wait_loadcnt 0x0
	v_bfe_u32 v7, v5, 23, 8
	s_wait_xcnt 0x0
	s_delay_alu instid0(VALU_DEP_1)
	v_cmpx_ne_u32_e32 0xff, v7
	s_cbranch_execz .LBB324_1605
; %bb.1604:
	v_and_b32_e32 v3, 0x400000, v5
	v_and_or_b32 v7, 0x3fffff, v5, v7
	s_delay_alu instid0(VALU_DEP_2) | instskip(NEXT) | instid1(VALU_DEP_2)
	v_cmp_ne_u32_e32 vcc_lo, 0, v3
	v_cmp_ne_u32_e64 s0, 0, v7
	v_lshrrev_b32_e32 v3, 23, v5
	s_and_b32 s0, vcc_lo, s0
	s_delay_alu instid0(SALU_CYCLE_1) | instskip(NEXT) | instid1(VALU_DEP_1)
	v_cndmask_b32_e64 v5, 0, 1, s0
	v_add_nc_u32_e32 v3, v3, v5
.LBB324_1605:
	s_or_b32 exec_lo, exec_lo, s2
.LBB324_1606:
	s_mov_b32 s0, 0
.LBB324_1607:
	s_delay_alu instid0(SALU_CYCLE_1)
	s_and_not1_b32 vcc_lo, exec_lo, s0
	s_cbranch_vccnz .LBB324_1611
; %bb.1608:
	s_wait_loadcnt 0x0
	global_load_b32 v3, v[12:13], off
	s_mov_b32 s2, exec_lo
	s_wait_loadcnt 0x0
	v_cvt_f32_f16_e32 v5, v3
	v_mov_b32_e32 v3, 0xff
	s_delay_alu instid0(VALU_DEP_2) | instskip(SKIP_1) | instid1(VALU_DEP_1)
	v_bfe_u32 v7, v5, 23, 8
	s_wait_xcnt 0x0
	v_cmpx_ne_u32_e32 0xff, v7
	s_cbranch_execz .LBB324_1610
; %bb.1609:
	v_and_b32_e32 v3, 0x400000, v5
	v_and_or_b32 v7, 0x3fffff, v5, v7
	s_delay_alu instid0(VALU_DEP_2) | instskip(NEXT) | instid1(VALU_DEP_2)
	v_cmp_ne_u32_e32 vcc_lo, 0, v3
	v_cmp_ne_u32_e64 s0, 0, v7
	v_lshrrev_b32_e32 v3, 23, v5
	s_and_b32 s0, vcc_lo, s0
	s_delay_alu instid0(SALU_CYCLE_1) | instskip(NEXT) | instid1(VALU_DEP_1)
	v_cndmask_b32_e64 v5, 0, 1, s0
	v_add_nc_u32_e32 v3, v3, v5
.LBB324_1610:
	s_or_b32 exec_lo, exec_lo, s2
.LBB324_1611:
	s_mov_b32 s0, 0
.LBB324_1612:
	s_delay_alu instid0(SALU_CYCLE_1)
	s_and_not1_b32 vcc_lo, exec_lo, s0
	s_cbranch_vccnz .LBB324_1629
; %bb.1613:
	s_cmp_lt_i32 s1, 6
	s_cbranch_scc1 .LBB324_1618
; %bb.1614:
	s_cmp_gt_i32 s1, 6
	s_cbranch_scc0 .LBB324_1619
; %bb.1615:
	global_load_b64 v[14:15], v[12:13], off
	s_wait_loadcnt 0x1
	v_mov_b32_e32 v3, 0xff
	s_mov_b32 s2, exec_lo
	s_wait_loadcnt 0x0
	v_cvt_f32_f64_e32 v5, v[14:15]
	s_delay_alu instid0(VALU_DEP_1) | instskip(SKIP_1) | instid1(VALU_DEP_1)
	v_bfe_u32 v7, v5, 23, 8
	s_wait_xcnt 0x0
	v_cmpx_ne_u32_e32 0xff, v7
	s_cbranch_execz .LBB324_1617
; %bb.1616:
	v_and_b32_e32 v3, 0x400000, v5
	v_and_or_b32 v7, 0x3fffff, v5, v7
	s_delay_alu instid0(VALU_DEP_2) | instskip(NEXT) | instid1(VALU_DEP_2)
	v_cmp_ne_u32_e32 vcc_lo, 0, v3
	v_cmp_ne_u32_e64 s0, 0, v7
	v_lshrrev_b32_e32 v3, 23, v5
	s_and_b32 s0, vcc_lo, s0
	s_delay_alu instid0(SALU_CYCLE_1) | instskip(NEXT) | instid1(VALU_DEP_1)
	v_cndmask_b32_e64 v5, 0, 1, s0
	v_add_nc_u32_e32 v3, v3, v5
.LBB324_1617:
	s_or_b32 exec_lo, exec_lo, s2
	s_mov_b32 s0, 0
	s_branch .LBB324_1620
.LBB324_1618:
	s_mov_b32 s0, -1
                                        ; implicit-def: $vgpr3
	s_branch .LBB324_1625
.LBB324_1619:
	s_mov_b32 s0, -1
                                        ; implicit-def: $vgpr3
.LBB324_1620:
	s_delay_alu instid0(SALU_CYCLE_1)
	s_and_not1_b32 vcc_lo, exec_lo, s0
	s_cbranch_vccnz .LBB324_1624
; %bb.1621:
	global_load_b32 v5, v[12:13], off
	s_wait_loadcnt 0x1
	v_mov_b32_e32 v3, 0xff
	s_mov_b32 s2, exec_lo
	s_wait_loadcnt 0x0
	v_bfe_u32 v7, v5, 23, 8
	s_wait_xcnt 0x0
	s_delay_alu instid0(VALU_DEP_1)
	v_cmpx_ne_u32_e32 0xff, v7
	s_cbranch_execz .LBB324_1623
; %bb.1622:
	v_and_b32_e32 v3, 0x400000, v5
	v_and_or_b32 v7, 0x3fffff, v5, v7
	s_delay_alu instid0(VALU_DEP_2) | instskip(NEXT) | instid1(VALU_DEP_2)
	v_cmp_ne_u32_e32 vcc_lo, 0, v3
	v_cmp_ne_u32_e64 s0, 0, v7
	v_lshrrev_b32_e32 v3, 23, v5
	s_and_b32 s0, vcc_lo, s0
	s_delay_alu instid0(SALU_CYCLE_1) | instskip(NEXT) | instid1(VALU_DEP_1)
	v_cndmask_b32_e64 v5, 0, 1, s0
	v_add_nc_u32_e32 v3, v3, v5
.LBB324_1623:
	s_or_b32 exec_lo, exec_lo, s2
.LBB324_1624:
	s_mov_b32 s0, 0
.LBB324_1625:
	s_delay_alu instid0(SALU_CYCLE_1)
	s_and_not1_b32 vcc_lo, exec_lo, s0
	s_cbranch_vccnz .LBB324_1629
; %bb.1626:
	s_wait_loadcnt 0x0
	global_load_u16 v3, v[12:13], off
	s_mov_b32 s2, exec_lo
	s_wait_loadcnt 0x0
	v_cvt_f32_f16_e32 v5, v3
	v_mov_b32_e32 v3, 0xff
	s_delay_alu instid0(VALU_DEP_2) | instskip(SKIP_1) | instid1(VALU_DEP_1)
	v_bfe_u32 v7, v5, 23, 8
	s_wait_xcnt 0x0
	v_cmpx_ne_u32_e32 0xff, v7
	s_cbranch_execz .LBB324_1628
; %bb.1627:
	v_and_b32_e32 v3, 0x400000, v5
	v_and_or_b32 v7, 0x3fffff, v5, v7
	s_delay_alu instid0(VALU_DEP_2) | instskip(NEXT) | instid1(VALU_DEP_2)
	v_cmp_ne_u32_e32 vcc_lo, 0, v3
	v_cmp_ne_u32_e64 s0, 0, v7
	v_lshrrev_b32_e32 v3, 23, v5
	s_and_b32 s0, vcc_lo, s0
	s_delay_alu instid0(SALU_CYCLE_1) | instskip(NEXT) | instid1(VALU_DEP_1)
	v_cndmask_b32_e64 v5, 0, 1, s0
	v_add_nc_u32_e32 v3, v3, v5
.LBB324_1628:
	s_or_b32 exec_lo, exec_lo, s2
.LBB324_1629:
	s_cbranch_execnz .LBB324_1659
.LBB324_1630:
	s_cmp_lt_i32 s1, 2
	s_cbranch_scc1 .LBB324_1636
; %bb.1631:
	s_cmp_lt_i32 s1, 3
	s_cbranch_scc1 .LBB324_1637
; %bb.1632:
	s_cmp_gt_i32 s1, 3
	s_cbranch_scc0 .LBB324_1638
; %bb.1633:
	global_load_b64 v[14:15], v[12:13], off
	s_mov_b32 s2, exec_lo
	s_wait_loadcnt 0x0
	v_xor_b32_e32 v3, v14, v15
	v_cls_i32_e32 v5, v15
	s_delay_alu instid0(VALU_DEP_2) | instskip(NEXT) | instid1(VALU_DEP_1)
	v_ashrrev_i32_e32 v3, 31, v3
	v_add_nc_u32_e32 v3, 32, v3
	s_delay_alu instid0(VALU_DEP_1) | instskip(NEXT) | instid1(VALU_DEP_1)
	v_add_min_u32_e64 v3, v5, -1, v3
	v_lshlrev_b64_e32 v[14:15], v3, v[14:15]
	v_sub_nc_u32_e32 v3, 32, v3
	s_delay_alu instid0(VALU_DEP_2) | instskip(NEXT) | instid1(VALU_DEP_1)
	v_min_u32_e32 v5, 1, v14
	v_or_b32_e32 v5, v15, v5
	s_delay_alu instid0(VALU_DEP_1) | instskip(NEXT) | instid1(VALU_DEP_1)
	v_cvt_f32_i32_e32 v5, v5
	v_ldexp_f32 v5, v5, v3
	v_mov_b32_e32 v3, 0xff
	s_delay_alu instid0(VALU_DEP_2) | instskip(SKIP_1) | instid1(VALU_DEP_1)
	v_bfe_u32 v7, v5, 23, 8
	s_wait_xcnt 0x0
	v_cmpx_ne_u32_e32 0xff, v7
	s_cbranch_execz .LBB324_1635
; %bb.1634:
	v_and_b32_e32 v3, 0x400000, v5
	v_and_or_b32 v7, 0x3fffff, v5, v7
	s_delay_alu instid0(VALU_DEP_2) | instskip(NEXT) | instid1(VALU_DEP_2)
	v_cmp_ne_u32_e32 vcc_lo, 0, v3
	v_cmp_ne_u32_e64 s0, 0, v7
	v_lshrrev_b32_e32 v3, 23, v5
	s_and_b32 s0, vcc_lo, s0
	s_delay_alu instid0(SALU_CYCLE_1) | instskip(NEXT) | instid1(VALU_DEP_1)
	v_cndmask_b32_e64 v5, 0, 1, s0
	v_add_nc_u32_e32 v3, v3, v5
.LBB324_1635:
	s_or_b32 exec_lo, exec_lo, s2
	s_mov_b32 s0, 0
	s_branch .LBB324_1639
.LBB324_1636:
	s_mov_b32 s0, -1
                                        ; implicit-def: $vgpr3
	s_branch .LBB324_1649
.LBB324_1637:
	s_mov_b32 s0, -1
                                        ; implicit-def: $vgpr3
	s_branch .LBB324_1644
.LBB324_1638:
	s_mov_b32 s0, -1
                                        ; implicit-def: $vgpr3
.LBB324_1639:
	s_delay_alu instid0(SALU_CYCLE_1)
	s_and_not1_b32 vcc_lo, exec_lo, s0
	s_cbranch_vccnz .LBB324_1643
; %bb.1640:
	s_wait_loadcnt 0x0
	global_load_b32 v3, v[12:13], off
	s_mov_b32 s2, exec_lo
	s_wait_loadcnt 0x0
	v_cvt_f32_i32_e32 v5, v3
	v_mov_b32_e32 v3, 0xff
	s_delay_alu instid0(VALU_DEP_2) | instskip(SKIP_1) | instid1(VALU_DEP_1)
	v_bfe_u32 v7, v5, 23, 8
	s_wait_xcnt 0x0
	v_cmpx_ne_u32_e32 0xff, v7
	s_cbranch_execz .LBB324_1642
; %bb.1641:
	v_and_b32_e32 v3, 0x400000, v5
	v_and_or_b32 v7, 0x3fffff, v5, v7
	s_delay_alu instid0(VALU_DEP_2) | instskip(NEXT) | instid1(VALU_DEP_2)
	v_cmp_ne_u32_e32 vcc_lo, 0, v3
	v_cmp_ne_u32_e64 s0, 0, v7
	v_lshrrev_b32_e32 v3, 23, v5
	s_and_b32 s0, vcc_lo, s0
	s_delay_alu instid0(SALU_CYCLE_1) | instskip(NEXT) | instid1(VALU_DEP_1)
	v_cndmask_b32_e64 v5, 0, 1, s0
	v_add_nc_u32_e32 v3, v3, v5
.LBB324_1642:
	s_or_b32 exec_lo, exec_lo, s2
.LBB324_1643:
	s_mov_b32 s0, 0
.LBB324_1644:
	s_delay_alu instid0(SALU_CYCLE_1)
	s_and_not1_b32 vcc_lo, exec_lo, s0
	s_cbranch_vccnz .LBB324_1648
; %bb.1645:
	s_wait_loadcnt 0x0
	global_load_i16 v3, v[12:13], off
	s_mov_b32 s2, exec_lo
	s_wait_loadcnt 0x0
	v_cvt_f32_i32_e32 v5, v3
	v_mov_b32_e32 v3, 0xff
	s_delay_alu instid0(VALU_DEP_2) | instskip(SKIP_1) | instid1(VALU_DEP_1)
	v_bfe_u32 v7, v5, 23, 8
	s_wait_xcnt 0x0
	v_cmpx_ne_u32_e32 0xff, v7
	s_cbranch_execz .LBB324_1647
; %bb.1646:
	v_and_b32_e32 v3, 0x400000, v5
	v_and_or_b32 v7, 0x3fffff, v5, v7
	s_delay_alu instid0(VALU_DEP_2) | instskip(NEXT) | instid1(VALU_DEP_2)
	v_cmp_ne_u32_e32 vcc_lo, 0, v3
	v_cmp_ne_u32_e64 s0, 0, v7
	v_lshrrev_b32_e32 v3, 23, v5
	s_and_b32 s0, vcc_lo, s0
	s_delay_alu instid0(SALU_CYCLE_1) | instskip(NEXT) | instid1(VALU_DEP_1)
	v_cndmask_b32_e64 v5, 0, 1, s0
	v_add_nc_u32_e32 v3, v3, v5
.LBB324_1647:
	s_or_b32 exec_lo, exec_lo, s2
.LBB324_1648:
	s_mov_b32 s0, 0
.LBB324_1649:
	s_delay_alu instid0(SALU_CYCLE_1)
	s_and_not1_b32 vcc_lo, exec_lo, s0
	s_cbranch_vccnz .LBB324_1659
; %bb.1650:
	s_cmp_gt_i32 s1, 0
	s_cbranch_scc0 .LBB324_1654
; %bb.1651:
	s_wait_loadcnt 0x0
	global_load_i8 v3, v[12:13], off
	s_mov_b32 s2, exec_lo
	s_wait_loadcnt 0x0
	v_cvt_f32_i32_e32 v5, v3
	v_mov_b32_e32 v3, 0xff
	s_delay_alu instid0(VALU_DEP_2) | instskip(SKIP_1) | instid1(VALU_DEP_1)
	v_bfe_u32 v7, v5, 23, 8
	s_wait_xcnt 0x0
	v_cmpx_ne_u32_e32 0xff, v7
	s_cbranch_execz .LBB324_1653
; %bb.1652:
	v_and_b32_e32 v3, 0x400000, v5
	v_and_or_b32 v7, 0x3fffff, v5, v7
	s_delay_alu instid0(VALU_DEP_2) | instskip(NEXT) | instid1(VALU_DEP_2)
	v_cmp_ne_u32_e32 vcc_lo, 0, v3
	v_cmp_ne_u32_e64 s0, 0, v7
	v_lshrrev_b32_e32 v3, 23, v5
	s_and_b32 s0, vcc_lo, s0
	s_delay_alu instid0(SALU_CYCLE_1) | instskip(NEXT) | instid1(VALU_DEP_1)
	v_cndmask_b32_e64 v5, 0, 1, s0
	v_add_nc_u32_e32 v3, v3, v5
.LBB324_1653:
	s_or_b32 exec_lo, exec_lo, s2
	s_mov_b32 s0, 0
	s_branch .LBB324_1655
.LBB324_1654:
	s_mov_b32 s0, -1
                                        ; implicit-def: $vgpr3
.LBB324_1655:
	s_delay_alu instid0(SALU_CYCLE_1)
	s_and_not1_b32 vcc_lo, exec_lo, s0
	s_cbranch_vccnz .LBB324_1659
; %bb.1656:
	s_wait_loadcnt 0x0
	global_load_u8 v3, v[12:13], off
	s_mov_b32 s2, exec_lo
	s_wait_loadcnt 0x0
	v_cvt_f32_ubyte0_e32 v7, v3
	v_mov_b32_e32 v3, 0xff
	s_delay_alu instid0(VALU_DEP_2) | instskip(SKIP_1) | instid1(VALU_DEP_1)
	v_lshrrev_b32_e32 v5, 23, v7
	s_wait_xcnt 0x0
	v_cmpx_ne_u32_e32 0xff, v5
; %bb.1657:
	v_and_b32_e32 v3, 0x400000, v7
	v_and_or_b32 v7, 0x3fffff, v7, v5
	s_delay_alu instid0(VALU_DEP_2) | instskip(NEXT) | instid1(VALU_DEP_2)
	v_cmp_ne_u32_e32 vcc_lo, 0, v3
	v_cmp_ne_u32_e64 s0, 0, v7
	s_and_b32 s0, vcc_lo, s0
	s_delay_alu instid0(SALU_CYCLE_1) | instskip(NEXT) | instid1(VALU_DEP_1)
	v_cndmask_b32_e64 v3, 0, 1, s0
	v_add_nc_u32_e32 v3, v5, v3
; %bb.1658:
	s_or_b32 exec_lo, exec_lo, s2
.LBB324_1659:
.LBB324_1660:
	v_mov_b32_e32 v11, 0
	s_cmp_lt_i32 s1, 11
	s_delay_alu instid0(VALU_DEP_1)
	v_add_nc_u64_e32 v[10:11], s[6:7], v[10:11]
	s_cbranch_scc1 .LBB324_1669
; %bb.1661:
	s_cmp_gt_i32 s1, 25
	s_mov_b32 s10, 0
	s_cbranch_scc0 .LBB324_1671
; %bb.1662:
	s_cmp_gt_i32 s1, 28
	s_cbranch_scc0 .LBB324_1672
; %bb.1663:
	s_cmp_gt_i32 s1, 43
	;; [unrolled: 3-line block ×3, first 2 shown]
	s_cbranch_scc0 .LBB324_1675
; %bb.1665:
	s_cmp_eq_u32 s1, 46
	s_mov_b32 s11, 0
	s_cbranch_scc0 .LBB324_1676
; %bb.1666:
	global_load_b32 v5, v[10:11], off
	s_mov_b32 s2, exec_lo
	s_wait_loadcnt 0x0
	s_wait_xcnt 0x1
	v_dual_mov_b32 v12, 0xff :: v_dual_lshlrev_b32 v7, 16, v5
	s_delay_alu instid0(VALU_DEP_1) | instskip(SKIP_1) | instid1(VALU_DEP_1)
	v_bfe_u32 v9, v7, 23, 8
	s_wait_xcnt 0x0
	v_cmpx_ne_u32_e32 0xff, v9
	s_cbranch_execz .LBB324_1668
; %bb.1667:
	v_and_b32_e32 v12, 64, v5
	v_and_or_b32 v7, 0x3f0000, v7, v9
	v_bfe_u32 v5, v5, 7, 9
	s_delay_alu instid0(VALU_DEP_3) | instskip(NEXT) | instid1(VALU_DEP_3)
	v_cmp_ne_u32_e32 vcc_lo, 0, v12
	v_cmp_ne_u32_e64 s0, 0, v7
	s_and_b32 s0, vcc_lo, s0
	s_delay_alu instid0(SALU_CYCLE_1) | instskip(NEXT) | instid1(VALU_DEP_1)
	v_cndmask_b32_e64 v7, 0, 1, s0
	v_add_nc_u32_e32 v12, v5, v7
.LBB324_1668:
	s_or_b32 exec_lo, exec_lo, s2
	s_mov_b32 s2, 0
	s_mov_b32 s0, -1
	s_branch .LBB324_1678
.LBB324_1669:
	s_mov_b32 s0, 0
                                        ; implicit-def: $vgpr12
	s_cbranch_execnz .LBB324_1762
.LBB324_1670:
	s_and_not1_b32 vcc_lo, exec_lo, s0
	s_cbranch_vccz .LBB324_1832
	s_branch .LBB324_2435
.LBB324_1671:
	s_mov_b32 s11, -1
	s_mov_b32 s0, 0
	s_mov_b32 s2, 0
                                        ; implicit-def: $vgpr12
	s_branch .LBB324_1717
.LBB324_1672:
	s_mov_b32 s11, -1
	s_mov_b32 s0, 0
	s_mov_b32 s2, 0
                                        ; implicit-def: $vgpr12
	s_branch .LBB324_1690
.LBB324_1673:
	s_mov_b32 s11, -1
	s_mov_b32 s0, 0
	s_mov_b32 s2, 0
                                        ; implicit-def: $vgpr12
	s_branch .LBB324_1683
.LBB324_1674:
	s_or_b32 s3, s3, exec_lo
	s_trap 2
	s_cbranch_execz .LBB324_1587
	s_branch .LBB324_1590
.LBB324_1675:
	s_mov_b32 s11, -1
	s_mov_b32 s0, 0
	s_mov_b32 s2, 0
	s_branch .LBB324_1677
.LBB324_1676:
	s_mov_b32 s2, -1
	s_mov_b32 s0, 0
.LBB324_1677:
                                        ; implicit-def: $vgpr12
.LBB324_1678:
	s_and_b32 vcc_lo, exec_lo, s11
	s_cbranch_vccz .LBB324_1682
; %bb.1679:
	s_cmp_eq_u32 s1, 44
	s_cbranch_scc0 .LBB324_1681
; %bb.1680:
	global_load_u8 v12, v[10:11], off
	s_mov_b32 s2, 0
	s_mov_b32 s0, -1
	s_branch .LBB324_1682
.LBB324_1681:
	s_mov_b32 s2, -1
                                        ; implicit-def: $vgpr12
.LBB324_1682:
	s_mov_b32 s11, 0
.LBB324_1683:
	s_delay_alu instid0(SALU_CYCLE_1)
	s_and_b32 vcc_lo, exec_lo, s11
	s_cbranch_vccz .LBB324_1689
; %bb.1684:
	s_cmp_eq_u32 s1, 29
	s_cbranch_scc0 .LBB324_1688
; %bb.1685:
	s_wait_loadcnt 0x0
	global_load_b64 v[12:13], v[10:11], off
	s_mov_b32 s2, exec_lo
	s_wait_loadcnt 0x0
	v_clz_i32_u32_e32 v5, v13
	s_delay_alu instid0(VALU_DEP_1) | instskip(NEXT) | instid1(VALU_DEP_1)
	v_min_u32_e32 v5, 32, v5
	v_lshlrev_b64_e32 v[12:13], v5, v[12:13]
	v_sub_nc_u32_e32 v5, 32, v5
	s_delay_alu instid0(VALU_DEP_2) | instskip(SKIP_1) | instid1(VALU_DEP_2)
	v_min_u32_e32 v7, 1, v12
	v_mov_b32_e32 v12, 0xff
	v_or_b32_e32 v7, v13, v7
	s_delay_alu instid0(VALU_DEP_1) | instskip(NEXT) | instid1(VALU_DEP_1)
	v_cvt_f32_u32_e32 v7, v7
	v_ldexp_f32 v7, v7, v5
	s_delay_alu instid0(VALU_DEP_1) | instskip(SKIP_1) | instid1(VALU_DEP_1)
	v_lshrrev_b32_e32 v5, 23, v7
	s_wait_xcnt 0x0
	v_cmpx_ne_u32_e32 0xff, v5
; %bb.1686:
	v_and_b32_e32 v9, 0x400000, v7
	v_and_or_b32 v7, 0x3fffff, v7, v5
	s_delay_alu instid0(VALU_DEP_2) | instskip(NEXT) | instid1(VALU_DEP_2)
	v_cmp_ne_u32_e32 vcc_lo, 0, v9
	v_cmp_ne_u32_e64 s0, 0, v7
	s_and_b32 s0, vcc_lo, s0
	s_delay_alu instid0(SALU_CYCLE_1) | instskip(NEXT) | instid1(VALU_DEP_1)
	v_cndmask_b32_e64 v7, 0, 1, s0
	v_add_nc_u32_e32 v12, v5, v7
; %bb.1687:
	s_or_b32 exec_lo, exec_lo, s2
	s_mov_b32 s2, 0
	s_mov_b32 s0, -1
	s_branch .LBB324_1689
.LBB324_1688:
	s_mov_b32 s2, -1
                                        ; implicit-def: $vgpr12
.LBB324_1689:
	s_mov_b32 s11, 0
.LBB324_1690:
	s_delay_alu instid0(SALU_CYCLE_1)
	s_and_b32 vcc_lo, exec_lo, s11
	s_cbranch_vccz .LBB324_1716
; %bb.1691:
	s_cmp_lt_i32 s1, 27
	s_cbranch_scc1 .LBB324_1696
; %bb.1692:
	s_cmp_gt_i32 s1, 27
	s_cbranch_scc0 .LBB324_1697
; %bb.1693:
	global_load_b32 v5, v[10:11], off
	s_mov_b32 s11, exec_lo
	s_wait_loadcnt 0x1
	s_wait_xcnt 0x1
	v_mov_b32_e32 v12, 0xff
	s_wait_loadcnt 0x0
	v_cvt_f32_u32_e32 v7, v5
	s_delay_alu instid0(VALU_DEP_1) | instskip(SKIP_1) | instid1(VALU_DEP_1)
	v_lshrrev_b32_e32 v5, 23, v7
	s_wait_xcnt 0x0
	v_cmpx_ne_u32_e32 0xff, v5
; %bb.1694:
	v_and_b32_e32 v9, 0x400000, v7
	v_and_or_b32 v7, 0x3fffff, v7, v5
	s_delay_alu instid0(VALU_DEP_2) | instskip(NEXT) | instid1(VALU_DEP_2)
	v_cmp_ne_u32_e32 vcc_lo, 0, v9
	v_cmp_ne_u32_e64 s0, 0, v7
	s_and_b32 s0, vcc_lo, s0
	s_delay_alu instid0(SALU_CYCLE_1) | instskip(NEXT) | instid1(VALU_DEP_1)
	v_cndmask_b32_e64 v7, 0, 1, s0
	v_add_nc_u32_e32 v12, v5, v7
; %bb.1695:
	s_or_b32 exec_lo, exec_lo, s11
	s_mov_b32 s0, 0
	s_branch .LBB324_1698
.LBB324_1696:
	s_mov_b32 s0, -1
                                        ; implicit-def: $vgpr12
	s_branch .LBB324_1703
.LBB324_1697:
	s_mov_b32 s0, -1
                                        ; implicit-def: $vgpr12
.LBB324_1698:
	s_delay_alu instid0(SALU_CYCLE_1)
	s_and_not1_b32 vcc_lo, exec_lo, s0
	s_cbranch_vccnz .LBB324_1702
; %bb.1699:
	global_load_u16 v5, v[10:11], off
	s_mov_b32 s11, exec_lo
	s_wait_loadcnt 0x1
	s_wait_xcnt 0x1
	v_mov_b32_e32 v12, 0xff
	s_wait_loadcnt 0x0
	v_cvt_f32_u32_e32 v7, v5
	s_delay_alu instid0(VALU_DEP_1) | instskip(SKIP_1) | instid1(VALU_DEP_1)
	v_lshrrev_b32_e32 v5, 23, v7
	s_wait_xcnt 0x0
	v_cmpx_ne_u32_e32 0xff, v5
; %bb.1700:
	v_and_b32_e32 v9, 0x400000, v7
	v_and_or_b32 v7, 0x3fffff, v7, v5
	s_delay_alu instid0(VALU_DEP_2) | instskip(NEXT) | instid1(VALU_DEP_2)
	v_cmp_ne_u32_e32 vcc_lo, 0, v9
	v_cmp_ne_u32_e64 s0, 0, v7
	s_and_b32 s0, vcc_lo, s0
	s_delay_alu instid0(SALU_CYCLE_1) | instskip(NEXT) | instid1(VALU_DEP_1)
	v_cndmask_b32_e64 v7, 0, 1, s0
	v_add_nc_u32_e32 v12, v5, v7
; %bb.1701:
	s_or_b32 exec_lo, exec_lo, s11
.LBB324_1702:
	s_mov_b32 s0, 0
.LBB324_1703:
	s_delay_alu instid0(SALU_CYCLE_1)
	s_and_not1_b32 vcc_lo, exec_lo, s0
	s_cbranch_vccnz .LBB324_1715
; %bb.1704:
	global_load_u8 v5, v[10:11], off
	s_mov_b32 s0, 0
	s_mov_b32 s11, exec_lo
	s_wait_loadcnt 0x0
	v_cmpx_lt_i16_e32 0x7f, v5
	s_xor_b32 s11, exec_lo, s11
	s_cbranch_execz .LBB324_1708
; %bb.1705:
	s_mov_b32 s0, -1
	s_mov_b32 s12, exec_lo
	v_cmpx_eq_u16_e32 0x80, v5
; %bb.1706:
	s_xor_b32 s0, exec_lo, -1
; %bb.1707:
	s_or_b32 exec_lo, exec_lo, s12
	s_delay_alu instid0(SALU_CYCLE_1)
	s_and_b32 s0, s0, exec_lo
.LBB324_1708:
	s_or_saveexec_b32 s11, s11
	v_mov_b32_e32 v7, 0x7f800001
	v_and_b32_e32 v9, 0xffff, v5
	s_xor_b32 exec_lo, exec_lo, s11
; %bb.1709:
	v_cmp_ne_u16_e32 vcc_lo, 0, v5
	s_delay_alu instid0(VALU_DEP_2) | instskip(SKIP_2) | instid1(SALU_CYCLE_1)
	v_mov_b32_e32 v7, v9
	s_and_not1_b32 s0, s0, exec_lo
	s_and_b32 s12, vcc_lo, exec_lo
	s_or_b32 s0, s0, s12
; %bb.1710:
	s_or_b32 exec_lo, exec_lo, s11
	s_and_saveexec_b32 s11, s0
	s_cbranch_execz .LBB324_1712
; %bb.1711:
	v_and_b32_e32 v5, 7, v9
	s_delay_alu instid0(VALU_DEP_1) | instskip(NEXT) | instid1(VALU_DEP_1)
	v_clz_i32_u32_e32 v7, v5
	v_min_u32_e32 v7, 32, v7
	s_delay_alu instid0(VALU_DEP_1) | instskip(NEXT) | instid1(VALU_DEP_1)
	v_subrev_nc_u32_e32 v12, 28, v7
	v_lshlrev_b32_e32 v12, v12, v9
	v_bfe_u32 v9, v9, 3, 4
	s_delay_alu instid0(VALU_DEP_2) | instskip(NEXT) | instid1(VALU_DEP_2)
	v_dual_sub_nc_u32 v7, 29, v7 :: v_dual_bitop2_b32 v12, 7, v12 bitop3:0x40
	v_cmp_eq_u32_e32 vcc_lo, 0, v9
	s_delay_alu instid0(VALU_DEP_2) | instskip(NEXT) | instid1(VALU_DEP_1)
	v_cndmask_b32_e32 v5, v5, v12, vcc_lo
	v_dual_cndmask_b32 v7, v9, v7, vcc_lo :: v_dual_lshlrev_b32 v5, 20, v5
	s_delay_alu instid0(VALU_DEP_1) | instskip(NEXT) | instid1(VALU_DEP_1)
	v_lshl_or_b32 v5, v7, 23, v5
	v_add_nc_u32_e32 v7, 0x3b800000, v5
.LBB324_1712:
	s_or_b32 exec_lo, exec_lo, s11
	s_delay_alu instid0(VALU_DEP_1) | instskip(SKIP_1) | instid1(VALU_DEP_1)
	v_dual_mov_b32 v12, 0xff :: v_dual_lshrrev_b32 v5, 23, v7
	s_mov_b32 s11, exec_lo
	v_cmpx_ne_u32_e32 0xff, v5
; %bb.1713:
	v_and_b32_e32 v9, 0x400000, v7
	v_and_or_b32 v7, 0x3fffff, v7, v5
	s_delay_alu instid0(VALU_DEP_2) | instskip(NEXT) | instid1(VALU_DEP_2)
	v_cmp_ne_u32_e32 vcc_lo, 0, v9
	v_cmp_ne_u32_e64 s0, 0, v7
	s_and_b32 s0, vcc_lo, s0
	s_delay_alu instid0(SALU_CYCLE_1) | instskip(NEXT) | instid1(VALU_DEP_1)
	v_cndmask_b32_e64 v7, 0, 1, s0
	v_add_nc_u32_e32 v12, v5, v7
; %bb.1714:
	s_or_b32 exec_lo, exec_lo, s11
.LBB324_1715:
	s_mov_b32 s0, -1
.LBB324_1716:
	s_mov_b32 s11, 0
.LBB324_1717:
	s_delay_alu instid0(SALU_CYCLE_1)
	s_and_b32 vcc_lo, exec_lo, s11
	s_cbranch_vccz .LBB324_1756
; %bb.1718:
	s_cmp_gt_i32 s1, 22
	s_cbranch_scc0 .LBB324_1732
; %bb.1719:
	s_cmp_lt_i32 s1, 24
	s_cbranch_scc1 .LBB324_1733
; %bb.1720:
	s_cmp_gt_i32 s1, 24
	s_cbranch_scc0 .LBB324_1734
; %bb.1721:
	global_load_u8 v5, v[10:11], off
	s_mov_b32 s0, 0
	s_mov_b32 s10, exec_lo
	s_wait_loadcnt 0x0
	v_cmpx_lt_i16_e32 0x7f, v5
	s_xor_b32 s10, exec_lo, s10
	s_cbranch_execz .LBB324_1725
; %bb.1722:
	s_mov_b32 s0, -1
	s_mov_b32 s11, exec_lo
	v_cmpx_eq_u16_e32 0x80, v5
; %bb.1723:
	s_xor_b32 s0, exec_lo, -1
; %bb.1724:
	s_or_b32 exec_lo, exec_lo, s11
	s_delay_alu instid0(SALU_CYCLE_1)
	s_and_b32 s0, s0, exec_lo
.LBB324_1725:
	s_or_saveexec_b32 s10, s10
	v_mov_b32_e32 v7, 0x7f800001
	v_and_b32_e32 v9, 0xffff, v5
	s_xor_b32 exec_lo, exec_lo, s10
; %bb.1726:
	v_cmp_ne_u16_e32 vcc_lo, 0, v5
	s_delay_alu instid0(VALU_DEP_2) | instskip(SKIP_2) | instid1(SALU_CYCLE_1)
	v_mov_b32_e32 v7, v9
	s_and_not1_b32 s0, s0, exec_lo
	s_and_b32 s11, vcc_lo, exec_lo
	s_or_b32 s0, s0, s11
; %bb.1727:
	s_or_b32 exec_lo, exec_lo, s10
	s_and_saveexec_b32 s10, s0
	s_cbranch_execz .LBB324_1729
; %bb.1728:
	v_and_b32_e32 v5, 3, v9
	s_delay_alu instid0(VALU_DEP_1) | instskip(NEXT) | instid1(VALU_DEP_1)
	v_clz_i32_u32_e32 v7, v5
	v_min_u32_e32 v7, 32, v7
	s_delay_alu instid0(VALU_DEP_1) | instskip(NEXT) | instid1(VALU_DEP_1)
	v_subrev_nc_u32_e32 v12, 29, v7
	v_lshlrev_b32_e32 v12, v12, v9
	v_bfe_u32 v9, v9, 2, 5
	s_delay_alu instid0(VALU_DEP_2) | instskip(NEXT) | instid1(VALU_DEP_2)
	v_dual_sub_nc_u32 v7, 30, v7 :: v_dual_bitop2_b32 v12, 3, v12 bitop3:0x40
	v_cmp_eq_u32_e32 vcc_lo, 0, v9
	s_delay_alu instid0(VALU_DEP_2) | instskip(NEXT) | instid1(VALU_DEP_1)
	v_cndmask_b32_e32 v5, v5, v12, vcc_lo
	v_dual_cndmask_b32 v7, v9, v7, vcc_lo :: v_dual_lshlrev_b32 v5, 21, v5
	s_delay_alu instid0(VALU_DEP_1) | instskip(NEXT) | instid1(VALU_DEP_1)
	v_lshl_or_b32 v5, v7, 23, v5
	v_add_nc_u32_e32 v7, 0x37800000, v5
.LBB324_1729:
	s_or_b32 exec_lo, exec_lo, s10
	s_delay_alu instid0(VALU_DEP_1) | instskip(SKIP_1) | instid1(VALU_DEP_1)
	v_dual_mov_b32 v12, 0xff :: v_dual_lshrrev_b32 v5, 23, v7
	s_mov_b32 s10, exec_lo
	v_cmpx_ne_u32_e32 0xff, v5
; %bb.1730:
	v_and_b32_e32 v9, 0x400000, v7
	v_and_or_b32 v7, 0x3fffff, v7, v5
	s_delay_alu instid0(VALU_DEP_2) | instskip(NEXT) | instid1(VALU_DEP_2)
	v_cmp_ne_u32_e32 vcc_lo, 0, v9
	v_cmp_ne_u32_e64 s0, 0, v7
	s_and_b32 s0, vcc_lo, s0
	s_delay_alu instid0(SALU_CYCLE_1) | instskip(NEXT) | instid1(VALU_DEP_1)
	v_cndmask_b32_e64 v7, 0, 1, s0
	v_add_nc_u32_e32 v12, v5, v7
; %bb.1731:
	s_or_b32 exec_lo, exec_lo, s10
	s_mov_b32 s0, 0
	s_branch .LBB324_1735
.LBB324_1732:
	s_mov_b32 s10, -1
                                        ; implicit-def: $vgpr12
	s_branch .LBB324_1745
.LBB324_1733:
	s_mov_b32 s0, -1
                                        ; implicit-def: $vgpr12
	s_branch .LBB324_1740
.LBB324_1734:
	s_mov_b32 s0, -1
                                        ; implicit-def: $vgpr12
.LBB324_1735:
	s_delay_alu instid0(SALU_CYCLE_1)
	s_and_b32 vcc_lo, exec_lo, s0
	s_cbranch_vccz .LBB324_1739
; %bb.1736:
	global_load_u8 v5, v[10:11], off
	s_mov_b32 s10, exec_lo
	s_wait_loadcnt 0x0
	v_lshlrev_b32_e32 v5, 24, v5
	s_delay_alu instid0(VALU_DEP_1) | instskip(NEXT) | instid1(VALU_DEP_1)
	v_and_b32_e32 v5, 0x7f000000, v5
	v_clz_i32_u32_e32 v7, v5
	v_cmp_ne_u32_e32 vcc_lo, 0, v5
	s_wait_xcnt 0x1
	v_add_nc_u32_e32 v12, 0x1000000, v5
	s_delay_alu instid0(VALU_DEP_3) | instskip(NEXT) | instid1(VALU_DEP_1)
	v_min_u32_e32 v7, 32, v7
	v_sub_nc_u32_e64 v7, v7, 4 clamp
	s_delay_alu instid0(VALU_DEP_1) | instskip(NEXT) | instid1(VALU_DEP_1)
	v_dual_lshlrev_b32 v9, v7, v5 :: v_dual_lshlrev_b32 v7, 23, v7
	v_lshrrev_b32_e32 v9, 4, v9
	s_delay_alu instid0(VALU_DEP_1) | instskip(SKIP_1) | instid1(VALU_DEP_2)
	v_dual_sub_nc_u32 v7, v9, v7 :: v_dual_ashrrev_i32 v9, 8, v12
	v_mov_b32_e32 v12, 0xff
	v_add_nc_u32_e32 v7, 0x3c000000, v7
	s_delay_alu instid0(VALU_DEP_1) | instskip(NEXT) | instid1(VALU_DEP_1)
	v_and_or_b32 v7, 0x7f800000, v9, v7
	v_cndmask_b32_e32 v7, 0, v7, vcc_lo
	s_delay_alu instid0(VALU_DEP_1) | instskip(SKIP_1) | instid1(VALU_DEP_1)
	v_lshrrev_b32_e32 v5, 23, v7
	s_wait_xcnt 0x0
	v_cmpx_ne_u32_e32 0xff, v5
; %bb.1737:
	v_and_b32_e32 v9, 0x400000, v7
	v_and_or_b32 v7, 0x3fffff, v7, v5
	s_delay_alu instid0(VALU_DEP_2) | instskip(NEXT) | instid1(VALU_DEP_2)
	v_cmp_ne_u32_e32 vcc_lo, 0, v9
	v_cmp_ne_u32_e64 s0, 0, v7
	s_and_b32 s0, vcc_lo, s0
	s_delay_alu instid0(SALU_CYCLE_1) | instskip(NEXT) | instid1(VALU_DEP_1)
	v_cndmask_b32_e64 v7, 0, 1, s0
	v_add_nc_u32_e32 v12, v5, v7
; %bb.1738:
	s_or_b32 exec_lo, exec_lo, s10
.LBB324_1739:
	s_mov_b32 s0, 0
.LBB324_1740:
	s_delay_alu instid0(SALU_CYCLE_1)
	s_and_not1_b32 vcc_lo, exec_lo, s0
	s_cbranch_vccnz .LBB324_1744
; %bb.1741:
	global_load_u8 v5, v[10:11], off
	s_mov_b32 s10, exec_lo
	s_wait_loadcnt 0x0
	s_wait_xcnt 0x1
	v_dual_mov_b32 v12, 0xff :: v_dual_lshlrev_b32 v7, 25, v5
	v_lshlrev_b32_e32 v5, 8, v5
	s_delay_alu instid0(VALU_DEP_2) | instskip(NEXT) | instid1(VALU_DEP_2)
	v_cmp_gt_u32_e32 vcc_lo, 0x8000000, v7
	v_and_or_b32 v5, 0x7f00, v5, 0.5
	s_delay_alu instid0(VALU_DEP_1) | instskip(NEXT) | instid1(VALU_DEP_1)
	v_dual_lshrrev_b32 v9, 4, v7 :: v_dual_add_f32 v5, -0.5, v5
	v_or_b32_e32 v9, 0x70000000, v9
	s_delay_alu instid0(VALU_DEP_1) | instskip(NEXT) | instid1(VALU_DEP_1)
	v_mul_f32_e32 v9, 0x7800000, v9
	v_cndmask_b32_e32 v5, v9, v5, vcc_lo
	s_delay_alu instid0(VALU_DEP_1) | instskip(SKIP_1) | instid1(VALU_DEP_1)
	v_bfe_u32 v7, v5, 23, 8
	s_wait_xcnt 0x0
	v_cmpx_ne_u32_e32 0xff, v7
	s_cbranch_execz .LBB324_1743
; %bb.1742:
	v_and_b32_e32 v9, 0x400000, v5
	v_and_or_b32 v7, 0x3fffff, v5, v7
	v_lshrrev_b32_e32 v5, 23, v5
	s_delay_alu instid0(VALU_DEP_3) | instskip(NEXT) | instid1(VALU_DEP_3)
	v_cmp_ne_u32_e32 vcc_lo, 0, v9
	v_cmp_ne_u32_e64 s0, 0, v7
	s_and_b32 s0, vcc_lo, s0
	s_delay_alu instid0(SALU_CYCLE_1) | instskip(NEXT) | instid1(VALU_DEP_1)
	v_cndmask_b32_e64 v7, 0, 1, s0
	v_add_nc_u32_e32 v12, v5, v7
.LBB324_1743:
	s_or_b32 exec_lo, exec_lo, s10
.LBB324_1744:
	s_mov_b32 s10, 0
	s_mov_b32 s0, -1
.LBB324_1745:
	s_and_not1_b32 vcc_lo, exec_lo, s10
	s_mov_b32 s10, 0
	s_cbranch_vccnz .LBB324_1756
; %bb.1746:
	s_cmp_gt_i32 s1, 14
	s_cbranch_scc0 .LBB324_1751
; %bb.1747:
	s_cmp_eq_u32 s1, 15
	s_cbranch_scc0 .LBB324_1752
; %bb.1748:
	global_load_u16 v5, v[10:11], off
	s_wait_loadcnt 0x1
	s_wait_xcnt 0x1
	v_mov_b32_e32 v12, 0xff
	s_mov_b32 s2, exec_lo
	s_wait_loadcnt 0x0
	v_bfe_u32 v7, v5, 7, 8
	s_wait_xcnt 0x0
	s_delay_alu instid0(VALU_DEP_1)
	v_cmpx_ne_u32_e32 0xff, v7
	s_cbranch_execz .LBB324_1750
; %bb.1749:
	v_dual_lshlrev_b32 v9, 16, v5 :: v_dual_bitop2_b32 v12, 64, v5 bitop3:0x40
	v_lshrrev_b32_e32 v5, 7, v5
	s_delay_alu instid0(VALU_DEP_2) | instskip(NEXT) | instid1(VALU_DEP_3)
	v_and_or_b32 v7, 0x3f0000, v9, v7
	v_cmp_ne_u32_e32 vcc_lo, 0, v12
	s_delay_alu instid0(VALU_DEP_2) | instskip(SKIP_1) | instid1(SALU_CYCLE_1)
	v_cmp_ne_u32_e64 s0, 0, v7
	s_and_b32 s0, vcc_lo, s0
	v_cndmask_b32_e64 v7, 0, 1, s0
	s_delay_alu instid0(VALU_DEP_1)
	v_add_nc_u32_e32 v12, v5, v7
.LBB324_1750:
	s_or_b32 exec_lo, exec_lo, s2
	s_mov_b32 s2, 0
	s_mov_b32 s0, -1
	s_branch .LBB324_1754
.LBB324_1751:
	s_mov_b32 s10, -1
	s_branch .LBB324_1753
.LBB324_1752:
	s_mov_b32 s2, -1
.LBB324_1753:
                                        ; implicit-def: $vgpr12
.LBB324_1754:
	s_and_b32 vcc_lo, exec_lo, s10
	s_mov_b32 s10, 0
	s_cbranch_vccz .LBB324_1756
; %bb.1755:
	s_cmp_lg_u32 s1, 11
	s_mov_b32 s10, -1
	s_cselect_b32 s2, -1, 0
.LBB324_1756:
	s_delay_alu instid0(SALU_CYCLE_1)
	s_and_b32 vcc_lo, exec_lo, s2
	s_cbranch_vccnz .LBB324_1845
; %bb.1757:
	s_and_not1_b32 vcc_lo, exec_lo, s10
	s_cbranch_vccnz .LBB324_1761
.LBB324_1758:
	global_load_u8 v5, v[10:11], off
	s_mov_b32 s2, exec_lo
	s_wait_loadcnt 0x1
	s_wait_xcnt 0x1
	v_mov_b32_e32 v12, 0xff
	s_wait_loadcnt 0x0
	v_cmp_ne_u16_e32 vcc_lo, 0, v5
	v_cndmask_b32_e64 v7, 0, 1.0, vcc_lo
	s_delay_alu instid0(VALU_DEP_1) | instskip(SKIP_1) | instid1(VALU_DEP_1)
	v_lshrrev_b32_e32 v5, 23, v7
	s_wait_xcnt 0x0
	v_cmpx_ne_u32_e32 0xff, v5
; %bb.1759:
	v_and_b32_e32 v9, 0x400000, v7
	v_and_or_b32 v7, 0x3fffff, v7, v5
	s_delay_alu instid0(VALU_DEP_2) | instskip(NEXT) | instid1(VALU_DEP_2)
	v_cmp_ne_u32_e32 vcc_lo, 0, v9
	v_cmp_ne_u32_e64 s0, 0, v7
	s_and_b32 s0, vcc_lo, s0
	s_delay_alu instid0(SALU_CYCLE_1) | instskip(NEXT) | instid1(VALU_DEP_1)
	v_cndmask_b32_e64 v7, 0, 1, s0
	v_add_nc_u32_e32 v12, v5, v7
; %bb.1760:
	s_or_b32 exec_lo, exec_lo, s2
	s_mov_b32 s0, -1
.LBB324_1761:
	s_branch .LBB324_1670
.LBB324_1762:
	s_cmp_lt_i32 s1, 5
	s_cbranch_scc1 .LBB324_1769
; %bb.1763:
	s_cmp_lt_i32 s1, 8
	s_cbranch_scc1 .LBB324_1770
; %bb.1764:
	;; [unrolled: 3-line block ×3, first 2 shown]
	s_cmp_gt_i32 s1, 9
	s_cbranch_scc0 .LBB324_1772
; %bb.1766:
	s_wait_loadcnt 0x0
	global_load_b64 v[12:13], v[10:11], off
	s_mov_b32 s2, exec_lo
	s_wait_loadcnt 0x0
	v_cvt_f32_f64_e32 v5, v[12:13]
	v_mov_b32_e32 v12, 0xff
	s_delay_alu instid0(VALU_DEP_2) | instskip(SKIP_1) | instid1(VALU_DEP_1)
	v_bfe_u32 v7, v5, 23, 8
	s_wait_xcnt 0x0
	v_cmpx_ne_u32_e32 0xff, v7
	s_cbranch_execz .LBB324_1768
; %bb.1767:
	v_and_b32_e32 v9, 0x400000, v5
	v_and_or_b32 v7, 0x3fffff, v5, v7
	v_lshrrev_b32_e32 v5, 23, v5
	s_delay_alu instid0(VALU_DEP_3) | instskip(NEXT) | instid1(VALU_DEP_3)
	v_cmp_ne_u32_e32 vcc_lo, 0, v9
	v_cmp_ne_u32_e64 s0, 0, v7
	s_and_b32 s0, vcc_lo, s0
	s_delay_alu instid0(SALU_CYCLE_1) | instskip(NEXT) | instid1(VALU_DEP_1)
	v_cndmask_b32_e64 v7, 0, 1, s0
	v_add_nc_u32_e32 v12, v5, v7
.LBB324_1768:
	s_or_b32 exec_lo, exec_lo, s2
	s_mov_b32 s0, 0
	s_branch .LBB324_1773
.LBB324_1769:
	s_mov_b32 s0, -1
                                        ; implicit-def: $vgpr12
	s_branch .LBB324_1801
.LBB324_1770:
	s_mov_b32 s0, -1
                                        ; implicit-def: $vgpr12
	s_branch .LBB324_1783
.LBB324_1771:
	s_mov_b32 s0, -1
                                        ; implicit-def: $vgpr12
	s_branch .LBB324_1778
.LBB324_1772:
	s_mov_b32 s0, -1
                                        ; implicit-def: $vgpr12
.LBB324_1773:
	s_delay_alu instid0(SALU_CYCLE_1)
	s_and_not1_b32 vcc_lo, exec_lo, s0
	s_cbranch_vccnz .LBB324_1777
; %bb.1774:
	global_load_b32 v5, v[10:11], off
	s_wait_loadcnt 0x1
	s_wait_xcnt 0x1
	v_mov_b32_e32 v12, 0xff
	s_mov_b32 s2, exec_lo
	s_wait_loadcnt 0x0
	v_bfe_u32 v7, v5, 23, 8
	s_wait_xcnt 0x0
	s_delay_alu instid0(VALU_DEP_1)
	v_cmpx_ne_u32_e32 0xff, v7
	s_cbranch_execz .LBB324_1776
; %bb.1775:
	v_and_b32_e32 v9, 0x400000, v5
	v_and_or_b32 v7, 0x3fffff, v5, v7
	v_lshrrev_b32_e32 v5, 23, v5
	s_delay_alu instid0(VALU_DEP_3) | instskip(NEXT) | instid1(VALU_DEP_3)
	v_cmp_ne_u32_e32 vcc_lo, 0, v9
	v_cmp_ne_u32_e64 s0, 0, v7
	s_and_b32 s0, vcc_lo, s0
	s_delay_alu instid0(SALU_CYCLE_1) | instskip(NEXT) | instid1(VALU_DEP_1)
	v_cndmask_b32_e64 v7, 0, 1, s0
	v_add_nc_u32_e32 v12, v5, v7
.LBB324_1776:
	s_or_b32 exec_lo, exec_lo, s2
.LBB324_1777:
	s_mov_b32 s0, 0
.LBB324_1778:
	s_delay_alu instid0(SALU_CYCLE_1)
	s_and_not1_b32 vcc_lo, exec_lo, s0
	s_cbranch_vccnz .LBB324_1782
; %bb.1779:
	global_load_b32 v5, v[10:11], off
	s_wait_loadcnt 0x1
	s_wait_xcnt 0x1
	v_mov_b32_e32 v12, 0xff
	s_mov_b32 s2, exec_lo
	s_wait_loadcnt 0x0
	v_cvt_f32_f16_e32 v5, v5
	s_delay_alu instid0(VALU_DEP_1) | instskip(SKIP_1) | instid1(VALU_DEP_1)
	v_bfe_u32 v7, v5, 23, 8
	s_wait_xcnt 0x0
	v_cmpx_ne_u32_e32 0xff, v7
	s_cbranch_execz .LBB324_1781
; %bb.1780:
	v_and_b32_e32 v9, 0x400000, v5
	v_and_or_b32 v7, 0x3fffff, v5, v7
	v_lshrrev_b32_e32 v5, 23, v5
	s_delay_alu instid0(VALU_DEP_3) | instskip(NEXT) | instid1(VALU_DEP_3)
	v_cmp_ne_u32_e32 vcc_lo, 0, v9
	v_cmp_ne_u32_e64 s0, 0, v7
	s_and_b32 s0, vcc_lo, s0
	s_delay_alu instid0(SALU_CYCLE_1) | instskip(NEXT) | instid1(VALU_DEP_1)
	v_cndmask_b32_e64 v7, 0, 1, s0
	v_add_nc_u32_e32 v12, v5, v7
.LBB324_1781:
	s_or_b32 exec_lo, exec_lo, s2
.LBB324_1782:
	s_mov_b32 s0, 0
.LBB324_1783:
	s_delay_alu instid0(SALU_CYCLE_1)
	s_and_not1_b32 vcc_lo, exec_lo, s0
	s_cbranch_vccnz .LBB324_1800
; %bb.1784:
	s_cmp_lt_i32 s1, 6
	s_cbranch_scc1 .LBB324_1789
; %bb.1785:
	s_cmp_gt_i32 s1, 6
	s_cbranch_scc0 .LBB324_1790
; %bb.1786:
	s_wait_loadcnt 0x0
	global_load_b64 v[12:13], v[10:11], off
	s_mov_b32 s2, exec_lo
	s_wait_loadcnt 0x0
	v_cvt_f32_f64_e32 v5, v[12:13]
	v_mov_b32_e32 v12, 0xff
	s_delay_alu instid0(VALU_DEP_2) | instskip(SKIP_1) | instid1(VALU_DEP_1)
	v_bfe_u32 v7, v5, 23, 8
	s_wait_xcnt 0x0
	v_cmpx_ne_u32_e32 0xff, v7
	s_cbranch_execz .LBB324_1788
; %bb.1787:
	v_and_b32_e32 v9, 0x400000, v5
	v_and_or_b32 v7, 0x3fffff, v5, v7
	v_lshrrev_b32_e32 v5, 23, v5
	s_delay_alu instid0(VALU_DEP_3) | instskip(NEXT) | instid1(VALU_DEP_3)
	v_cmp_ne_u32_e32 vcc_lo, 0, v9
	v_cmp_ne_u32_e64 s0, 0, v7
	s_and_b32 s0, vcc_lo, s0
	s_delay_alu instid0(SALU_CYCLE_1) | instskip(NEXT) | instid1(VALU_DEP_1)
	v_cndmask_b32_e64 v7, 0, 1, s0
	v_add_nc_u32_e32 v12, v5, v7
.LBB324_1788:
	s_or_b32 exec_lo, exec_lo, s2
	s_mov_b32 s0, 0
	s_branch .LBB324_1791
.LBB324_1789:
	s_mov_b32 s0, -1
                                        ; implicit-def: $vgpr12
	s_branch .LBB324_1796
.LBB324_1790:
	s_mov_b32 s0, -1
                                        ; implicit-def: $vgpr12
.LBB324_1791:
	s_delay_alu instid0(SALU_CYCLE_1)
	s_and_not1_b32 vcc_lo, exec_lo, s0
	s_cbranch_vccnz .LBB324_1795
; %bb.1792:
	global_load_b32 v5, v[10:11], off
	s_wait_loadcnt 0x1
	s_wait_xcnt 0x1
	v_mov_b32_e32 v12, 0xff
	s_mov_b32 s2, exec_lo
	s_wait_loadcnt 0x0
	v_bfe_u32 v7, v5, 23, 8
	s_wait_xcnt 0x0
	s_delay_alu instid0(VALU_DEP_1)
	v_cmpx_ne_u32_e32 0xff, v7
	s_cbranch_execz .LBB324_1794
; %bb.1793:
	v_and_b32_e32 v9, 0x400000, v5
	v_and_or_b32 v7, 0x3fffff, v5, v7
	v_lshrrev_b32_e32 v5, 23, v5
	s_delay_alu instid0(VALU_DEP_3) | instskip(NEXT) | instid1(VALU_DEP_3)
	v_cmp_ne_u32_e32 vcc_lo, 0, v9
	v_cmp_ne_u32_e64 s0, 0, v7
	s_and_b32 s0, vcc_lo, s0
	s_delay_alu instid0(SALU_CYCLE_1) | instskip(NEXT) | instid1(VALU_DEP_1)
	v_cndmask_b32_e64 v7, 0, 1, s0
	v_add_nc_u32_e32 v12, v5, v7
.LBB324_1794:
	s_or_b32 exec_lo, exec_lo, s2
.LBB324_1795:
	s_mov_b32 s0, 0
.LBB324_1796:
	s_delay_alu instid0(SALU_CYCLE_1)
	s_and_not1_b32 vcc_lo, exec_lo, s0
	s_cbranch_vccnz .LBB324_1800
; %bb.1797:
	global_load_u16 v5, v[10:11], off
	s_wait_loadcnt 0x1
	s_wait_xcnt 0x1
	v_mov_b32_e32 v12, 0xff
	s_mov_b32 s2, exec_lo
	s_wait_loadcnt 0x0
	v_cvt_f32_f16_e32 v5, v5
	s_delay_alu instid0(VALU_DEP_1) | instskip(SKIP_1) | instid1(VALU_DEP_1)
	v_bfe_u32 v7, v5, 23, 8
	s_wait_xcnt 0x0
	v_cmpx_ne_u32_e32 0xff, v7
	s_cbranch_execz .LBB324_1799
; %bb.1798:
	v_and_b32_e32 v9, 0x400000, v5
	v_and_or_b32 v7, 0x3fffff, v5, v7
	v_lshrrev_b32_e32 v5, 23, v5
	s_delay_alu instid0(VALU_DEP_3) | instskip(NEXT) | instid1(VALU_DEP_3)
	v_cmp_ne_u32_e32 vcc_lo, 0, v9
	v_cmp_ne_u32_e64 s0, 0, v7
	s_and_b32 s0, vcc_lo, s0
	s_delay_alu instid0(SALU_CYCLE_1) | instskip(NEXT) | instid1(VALU_DEP_1)
	v_cndmask_b32_e64 v7, 0, 1, s0
	v_add_nc_u32_e32 v12, v5, v7
.LBB324_1799:
	s_or_b32 exec_lo, exec_lo, s2
.LBB324_1800:
	s_mov_b32 s0, 0
.LBB324_1801:
	s_delay_alu instid0(SALU_CYCLE_1)
	s_and_not1_b32 vcc_lo, exec_lo, s0
	s_cbranch_vccnz .LBB324_1831
; %bb.1802:
	s_cmp_lt_i32 s1, 2
	s_cbranch_scc1 .LBB324_1808
; %bb.1803:
	s_cmp_lt_i32 s1, 3
	s_cbranch_scc1 .LBB324_1809
; %bb.1804:
	s_cmp_gt_i32 s1, 3
	s_cbranch_scc0 .LBB324_1810
; %bb.1805:
	s_wait_loadcnt 0x0
	global_load_b64 v[12:13], v[10:11], off
	s_mov_b32 s2, exec_lo
	s_wait_loadcnt 0x0
	v_xor_b32_e32 v5, v12, v13
	v_cls_i32_e32 v7, v13
	s_delay_alu instid0(VALU_DEP_2) | instskip(NEXT) | instid1(VALU_DEP_1)
	v_ashrrev_i32_e32 v5, 31, v5
	v_add_nc_u32_e32 v5, 32, v5
	s_delay_alu instid0(VALU_DEP_1) | instskip(NEXT) | instid1(VALU_DEP_1)
	v_add_min_u32_e64 v5, v7, -1, v5
	v_lshlrev_b64_e32 v[12:13], v5, v[12:13]
	v_sub_nc_u32_e32 v5, 32, v5
	s_delay_alu instid0(VALU_DEP_2) | instskip(SKIP_1) | instid1(VALU_DEP_2)
	v_min_u32_e32 v7, 1, v12
	v_mov_b32_e32 v12, 0xff
	v_or_b32_e32 v7, v13, v7
	s_delay_alu instid0(VALU_DEP_1) | instskip(NEXT) | instid1(VALU_DEP_1)
	v_cvt_f32_i32_e32 v7, v7
	v_ldexp_f32 v5, v7, v5
	s_delay_alu instid0(VALU_DEP_1) | instskip(SKIP_1) | instid1(VALU_DEP_1)
	v_bfe_u32 v7, v5, 23, 8
	s_wait_xcnt 0x0
	v_cmpx_ne_u32_e32 0xff, v7
	s_cbranch_execz .LBB324_1807
; %bb.1806:
	v_and_b32_e32 v9, 0x400000, v5
	v_and_or_b32 v7, 0x3fffff, v5, v7
	v_lshrrev_b32_e32 v5, 23, v5
	s_delay_alu instid0(VALU_DEP_3) | instskip(NEXT) | instid1(VALU_DEP_3)
	v_cmp_ne_u32_e32 vcc_lo, 0, v9
	v_cmp_ne_u32_e64 s0, 0, v7
	s_and_b32 s0, vcc_lo, s0
	s_delay_alu instid0(SALU_CYCLE_1) | instskip(NEXT) | instid1(VALU_DEP_1)
	v_cndmask_b32_e64 v7, 0, 1, s0
	v_add_nc_u32_e32 v12, v5, v7
.LBB324_1807:
	s_or_b32 exec_lo, exec_lo, s2
	s_mov_b32 s0, 0
	s_branch .LBB324_1811
.LBB324_1808:
	s_mov_b32 s0, -1
                                        ; implicit-def: $vgpr12
	s_branch .LBB324_1821
.LBB324_1809:
	s_mov_b32 s0, -1
                                        ; implicit-def: $vgpr12
	s_branch .LBB324_1816
.LBB324_1810:
	s_mov_b32 s0, -1
                                        ; implicit-def: $vgpr12
.LBB324_1811:
	s_delay_alu instid0(SALU_CYCLE_1)
	s_and_not1_b32 vcc_lo, exec_lo, s0
	s_cbranch_vccnz .LBB324_1815
; %bb.1812:
	global_load_b32 v5, v[10:11], off
	s_wait_loadcnt 0x1
	s_wait_xcnt 0x1
	v_mov_b32_e32 v12, 0xff
	s_mov_b32 s2, exec_lo
	s_wait_loadcnt 0x0
	v_cvt_f32_i32_e32 v5, v5
	s_delay_alu instid0(VALU_DEP_1) | instskip(SKIP_1) | instid1(VALU_DEP_1)
	v_bfe_u32 v7, v5, 23, 8
	s_wait_xcnt 0x0
	v_cmpx_ne_u32_e32 0xff, v7
	s_cbranch_execz .LBB324_1814
; %bb.1813:
	v_and_b32_e32 v9, 0x400000, v5
	v_and_or_b32 v7, 0x3fffff, v5, v7
	v_lshrrev_b32_e32 v5, 23, v5
	s_delay_alu instid0(VALU_DEP_3) | instskip(NEXT) | instid1(VALU_DEP_3)
	v_cmp_ne_u32_e32 vcc_lo, 0, v9
	v_cmp_ne_u32_e64 s0, 0, v7
	s_and_b32 s0, vcc_lo, s0
	s_delay_alu instid0(SALU_CYCLE_1) | instskip(NEXT) | instid1(VALU_DEP_1)
	v_cndmask_b32_e64 v7, 0, 1, s0
	v_add_nc_u32_e32 v12, v5, v7
.LBB324_1814:
	s_or_b32 exec_lo, exec_lo, s2
.LBB324_1815:
	s_mov_b32 s0, 0
.LBB324_1816:
	s_delay_alu instid0(SALU_CYCLE_1)
	s_and_not1_b32 vcc_lo, exec_lo, s0
	s_cbranch_vccnz .LBB324_1820
; %bb.1817:
	global_load_i16 v5, v[10:11], off
	s_wait_loadcnt 0x1
	s_wait_xcnt 0x1
	v_mov_b32_e32 v12, 0xff
	s_mov_b32 s2, exec_lo
	s_wait_loadcnt 0x0
	v_cvt_f32_i32_e32 v5, v5
	s_delay_alu instid0(VALU_DEP_1) | instskip(SKIP_1) | instid1(VALU_DEP_1)
	v_bfe_u32 v7, v5, 23, 8
	s_wait_xcnt 0x0
	v_cmpx_ne_u32_e32 0xff, v7
	s_cbranch_execz .LBB324_1819
; %bb.1818:
	v_and_b32_e32 v9, 0x400000, v5
	v_and_or_b32 v7, 0x3fffff, v5, v7
	v_lshrrev_b32_e32 v5, 23, v5
	s_delay_alu instid0(VALU_DEP_3) | instskip(NEXT) | instid1(VALU_DEP_3)
	v_cmp_ne_u32_e32 vcc_lo, 0, v9
	v_cmp_ne_u32_e64 s0, 0, v7
	s_and_b32 s0, vcc_lo, s0
	s_delay_alu instid0(SALU_CYCLE_1) | instskip(NEXT) | instid1(VALU_DEP_1)
	v_cndmask_b32_e64 v7, 0, 1, s0
	v_add_nc_u32_e32 v12, v5, v7
.LBB324_1819:
	s_or_b32 exec_lo, exec_lo, s2
.LBB324_1820:
	s_mov_b32 s0, 0
.LBB324_1821:
	s_delay_alu instid0(SALU_CYCLE_1)
	s_and_not1_b32 vcc_lo, exec_lo, s0
	s_cbranch_vccnz .LBB324_1831
; %bb.1822:
	s_cmp_gt_i32 s1, 0
	s_cbranch_scc0 .LBB324_1826
; %bb.1823:
	global_load_i8 v5, v[10:11], off
	s_wait_loadcnt 0x1
	s_wait_xcnt 0x1
	v_mov_b32_e32 v12, 0xff
	s_mov_b32 s2, exec_lo
	s_wait_loadcnt 0x0
	v_cvt_f32_i32_e32 v5, v5
	s_delay_alu instid0(VALU_DEP_1) | instskip(SKIP_1) | instid1(VALU_DEP_1)
	v_bfe_u32 v7, v5, 23, 8
	s_wait_xcnt 0x0
	v_cmpx_ne_u32_e32 0xff, v7
	s_cbranch_execz .LBB324_1825
; %bb.1824:
	v_and_b32_e32 v9, 0x400000, v5
	v_and_or_b32 v7, 0x3fffff, v5, v7
	v_lshrrev_b32_e32 v5, 23, v5
	s_delay_alu instid0(VALU_DEP_3) | instskip(NEXT) | instid1(VALU_DEP_3)
	v_cmp_ne_u32_e32 vcc_lo, 0, v9
	v_cmp_ne_u32_e64 s0, 0, v7
	s_and_b32 s0, vcc_lo, s0
	s_delay_alu instid0(SALU_CYCLE_1) | instskip(NEXT) | instid1(VALU_DEP_1)
	v_cndmask_b32_e64 v7, 0, 1, s0
	v_add_nc_u32_e32 v12, v5, v7
.LBB324_1825:
	s_or_b32 exec_lo, exec_lo, s2
	s_mov_b32 s0, 0
	s_branch .LBB324_1827
.LBB324_1826:
	s_mov_b32 s0, -1
                                        ; implicit-def: $vgpr12
.LBB324_1827:
	s_delay_alu instid0(SALU_CYCLE_1)
	s_and_not1_b32 vcc_lo, exec_lo, s0
	s_cbranch_vccnz .LBB324_1831
; %bb.1828:
	global_load_u8 v5, v[10:11], off
	s_mov_b32 s2, exec_lo
	s_wait_loadcnt 0x1
	s_wait_xcnt 0x1
	v_mov_b32_e32 v12, 0xff
	s_wait_loadcnt 0x0
	v_cvt_f32_ubyte0_e32 v7, v5
	s_delay_alu instid0(VALU_DEP_1) | instskip(SKIP_1) | instid1(VALU_DEP_1)
	v_lshrrev_b32_e32 v5, 23, v7
	s_wait_xcnt 0x0
	v_cmpx_ne_u32_e32 0xff, v5
; %bb.1829:
	v_and_b32_e32 v9, 0x400000, v7
	v_and_or_b32 v7, 0x3fffff, v7, v5
	s_delay_alu instid0(VALU_DEP_2) | instskip(NEXT) | instid1(VALU_DEP_2)
	v_cmp_ne_u32_e32 vcc_lo, 0, v9
	v_cmp_ne_u32_e64 s0, 0, v7
	s_and_b32 s0, vcc_lo, s0
	s_delay_alu instid0(SALU_CYCLE_1) | instskip(NEXT) | instid1(VALU_DEP_1)
	v_cndmask_b32_e64 v7, 0, 1, s0
	v_add_nc_u32_e32 v12, v5, v7
; %bb.1830:
	s_or_b32 exec_lo, exec_lo, s2
.LBB324_1831:
.LBB324_1832:
	v_mov_b32_e32 v9, 0
	s_cmp_lt_i32 s1, 11
	s_delay_alu instid0(VALU_DEP_1)
	v_add_nc_u64_e32 v[8:9], s[6:7], v[8:9]
	s_cbranch_scc1 .LBB324_1841
; %bb.1833:
	s_cmp_gt_i32 s1, 25
	s_mov_b32 s6, 0
	s_cbranch_scc0 .LBB324_1842
; %bb.1834:
	s_cmp_gt_i32 s1, 28
	s_cbranch_scc0 .LBB324_1843
; %bb.1835:
	s_cmp_gt_i32 s1, 43
	;; [unrolled: 3-line block ×3, first 2 shown]
	s_cbranch_scc0 .LBB324_1846
; %bb.1837:
	s_cmp_eq_u32 s1, 46
	s_mov_b32 s7, 0
	s_cbranch_scc0 .LBB324_1847
; %bb.1838:
	global_load_b32 v5, v[8:9], off
	s_mov_b32 s2, exec_lo
	s_wait_loadcnt 0x0
	s_wait_xcnt 0x1
	v_dual_mov_b32 v10, 0xff :: v_dual_lshlrev_b32 v7, 16, v5
	s_delay_alu instid0(VALU_DEP_1) | instskip(SKIP_1) | instid1(VALU_DEP_1)
	v_bfe_u32 v11, v7, 23, 8
	s_wait_xcnt 0x0
	v_cmpx_ne_u32_e32 0xff, v11
	s_cbranch_execz .LBB324_1840
; %bb.1839:
	v_and_b32_e32 v10, 64, v5
	v_and_or_b32 v7, 0x3f0000, v7, v11
	v_bfe_u32 v5, v5, 7, 9
	s_delay_alu instid0(VALU_DEP_3) | instskip(NEXT) | instid1(VALU_DEP_3)
	v_cmp_ne_u32_e32 vcc_lo, 0, v10
	v_cmp_ne_u32_e64 s0, 0, v7
	s_and_b32 s0, vcc_lo, s0
	s_delay_alu instid0(SALU_CYCLE_1) | instskip(NEXT) | instid1(VALU_DEP_1)
	v_cndmask_b32_e64 v7, 0, 1, s0
	v_add_nc_u32_e32 v10, v5, v7
.LBB324_1840:
	s_or_b32 exec_lo, exec_lo, s2
	s_mov_b32 s2, 0
	s_mov_b32 s0, -1
	s_branch .LBB324_1849
.LBB324_1841:
	s_mov_b32 s2, -1
	s_mov_b32 s0, 0
                                        ; implicit-def: $vgpr10
	s_branch .LBB324_1933
.LBB324_1842:
	s_mov_b32 s7, -1
	s_mov_b32 s0, 0
	s_mov_b32 s2, 0
                                        ; implicit-def: $vgpr10
	s_branch .LBB324_1888
.LBB324_1843:
	s_mov_b32 s7, -1
	s_mov_b32 s0, 0
	s_mov_b32 s2, 0
                                        ; implicit-def: $vgpr10
	s_branch .LBB324_1861
.LBB324_1844:
	s_mov_b32 s7, -1
	s_mov_b32 s0, 0
	s_mov_b32 s2, 0
                                        ; implicit-def: $vgpr10
	s_branch .LBB324_1854
.LBB324_1845:
	s_or_b32 s3, s3, exec_lo
	s_trap 2
	s_cbranch_execz .LBB324_1758
	s_branch .LBB324_1761
.LBB324_1846:
	s_mov_b32 s7, -1
	s_mov_b32 s0, 0
	s_mov_b32 s2, 0
	s_branch .LBB324_1848
.LBB324_1847:
	s_mov_b32 s2, -1
	s_mov_b32 s0, 0
.LBB324_1848:
                                        ; implicit-def: $vgpr10
.LBB324_1849:
	s_and_b32 vcc_lo, exec_lo, s7
	s_cbranch_vccz .LBB324_1853
; %bb.1850:
	s_cmp_eq_u32 s1, 44
	s_cbranch_scc0 .LBB324_1852
; %bb.1851:
	global_load_u8 v10, v[8:9], off
	s_mov_b32 s2, 0
	s_mov_b32 s0, -1
	s_branch .LBB324_1853
.LBB324_1852:
	s_mov_b32 s2, -1
                                        ; implicit-def: $vgpr10
.LBB324_1853:
	s_mov_b32 s7, 0
.LBB324_1854:
	s_delay_alu instid0(SALU_CYCLE_1)
	s_and_b32 vcc_lo, exec_lo, s7
	s_cbranch_vccz .LBB324_1860
; %bb.1855:
	s_cmp_eq_u32 s1, 29
	s_cbranch_scc0 .LBB324_1859
; %bb.1856:
	s_wait_loadcnt 0x0
	global_load_b64 v[10:11], v[8:9], off
	s_mov_b32 s2, exec_lo
	s_wait_loadcnt 0x0
	v_clz_i32_u32_e32 v5, v11
	s_delay_alu instid0(VALU_DEP_1) | instskip(NEXT) | instid1(VALU_DEP_1)
	v_min_u32_e32 v5, 32, v5
	v_lshlrev_b64_e32 v[10:11], v5, v[10:11]
	v_sub_nc_u32_e32 v5, 32, v5
	s_delay_alu instid0(VALU_DEP_2) | instskip(SKIP_1) | instid1(VALU_DEP_2)
	v_min_u32_e32 v7, 1, v10
	v_mov_b32_e32 v10, 0xff
	v_or_b32_e32 v7, v11, v7
	s_delay_alu instid0(VALU_DEP_1) | instskip(NEXT) | instid1(VALU_DEP_1)
	v_cvt_f32_u32_e32 v7, v7
	v_ldexp_f32 v7, v7, v5
	s_delay_alu instid0(VALU_DEP_1) | instskip(SKIP_1) | instid1(VALU_DEP_1)
	v_lshrrev_b32_e32 v5, 23, v7
	s_wait_xcnt 0x0
	v_cmpx_ne_u32_e32 0xff, v5
; %bb.1857:
	v_and_b32_e32 v10, 0x400000, v7
	v_and_or_b32 v7, 0x3fffff, v7, v5
	s_delay_alu instid0(VALU_DEP_2) | instskip(NEXT) | instid1(VALU_DEP_2)
	v_cmp_ne_u32_e32 vcc_lo, 0, v10
	v_cmp_ne_u32_e64 s0, 0, v7
	s_and_b32 s0, vcc_lo, s0
	s_delay_alu instid0(SALU_CYCLE_1) | instskip(NEXT) | instid1(VALU_DEP_1)
	v_cndmask_b32_e64 v7, 0, 1, s0
	v_add_nc_u32_e32 v10, v5, v7
; %bb.1858:
	s_or_b32 exec_lo, exec_lo, s2
	s_mov_b32 s2, 0
	s_mov_b32 s0, -1
	s_branch .LBB324_1860
.LBB324_1859:
	s_mov_b32 s2, -1
                                        ; implicit-def: $vgpr10
.LBB324_1860:
	s_mov_b32 s7, 0
.LBB324_1861:
	s_delay_alu instid0(SALU_CYCLE_1)
	s_and_b32 vcc_lo, exec_lo, s7
	s_cbranch_vccz .LBB324_1887
; %bb.1862:
	s_cmp_lt_i32 s1, 27
	s_cbranch_scc1 .LBB324_1867
; %bb.1863:
	s_cmp_gt_i32 s1, 27
	s_cbranch_scc0 .LBB324_1868
; %bb.1864:
	global_load_b32 v5, v[8:9], off
	s_mov_b32 s7, exec_lo
	s_wait_loadcnt 0x1
	s_wait_xcnt 0x1
	v_mov_b32_e32 v10, 0xff
	s_wait_loadcnt 0x0
	v_cvt_f32_u32_e32 v7, v5
	s_delay_alu instid0(VALU_DEP_1) | instskip(SKIP_1) | instid1(VALU_DEP_1)
	v_lshrrev_b32_e32 v5, 23, v7
	s_wait_xcnt 0x0
	v_cmpx_ne_u32_e32 0xff, v5
; %bb.1865:
	v_and_b32_e32 v10, 0x400000, v7
	v_and_or_b32 v7, 0x3fffff, v7, v5
	s_delay_alu instid0(VALU_DEP_2) | instskip(NEXT) | instid1(VALU_DEP_2)
	v_cmp_ne_u32_e32 vcc_lo, 0, v10
	v_cmp_ne_u32_e64 s0, 0, v7
	s_and_b32 s0, vcc_lo, s0
	s_delay_alu instid0(SALU_CYCLE_1) | instskip(NEXT) | instid1(VALU_DEP_1)
	v_cndmask_b32_e64 v7, 0, 1, s0
	v_add_nc_u32_e32 v10, v5, v7
; %bb.1866:
	s_or_b32 exec_lo, exec_lo, s7
	s_mov_b32 s0, 0
	s_branch .LBB324_1869
.LBB324_1867:
	s_mov_b32 s0, -1
                                        ; implicit-def: $vgpr10
	s_branch .LBB324_1874
.LBB324_1868:
	s_mov_b32 s0, -1
                                        ; implicit-def: $vgpr10
.LBB324_1869:
	s_delay_alu instid0(SALU_CYCLE_1)
	s_and_not1_b32 vcc_lo, exec_lo, s0
	s_cbranch_vccnz .LBB324_1873
; %bb.1870:
	global_load_u16 v5, v[8:9], off
	s_mov_b32 s7, exec_lo
	s_wait_loadcnt 0x1
	s_wait_xcnt 0x1
	v_mov_b32_e32 v10, 0xff
	s_wait_loadcnt 0x0
	v_cvt_f32_u32_e32 v7, v5
	s_delay_alu instid0(VALU_DEP_1) | instskip(SKIP_1) | instid1(VALU_DEP_1)
	v_lshrrev_b32_e32 v5, 23, v7
	s_wait_xcnt 0x0
	v_cmpx_ne_u32_e32 0xff, v5
; %bb.1871:
	v_and_b32_e32 v10, 0x400000, v7
	v_and_or_b32 v7, 0x3fffff, v7, v5
	s_delay_alu instid0(VALU_DEP_2) | instskip(NEXT) | instid1(VALU_DEP_2)
	v_cmp_ne_u32_e32 vcc_lo, 0, v10
	v_cmp_ne_u32_e64 s0, 0, v7
	s_and_b32 s0, vcc_lo, s0
	s_delay_alu instid0(SALU_CYCLE_1) | instskip(NEXT) | instid1(VALU_DEP_1)
	v_cndmask_b32_e64 v7, 0, 1, s0
	v_add_nc_u32_e32 v10, v5, v7
; %bb.1872:
	s_or_b32 exec_lo, exec_lo, s7
.LBB324_1873:
	s_mov_b32 s0, 0
.LBB324_1874:
	s_delay_alu instid0(SALU_CYCLE_1)
	s_and_not1_b32 vcc_lo, exec_lo, s0
	s_cbranch_vccnz .LBB324_1886
; %bb.1875:
	global_load_u8 v5, v[8:9], off
	s_mov_b32 s0, 0
	s_mov_b32 s7, exec_lo
	s_wait_loadcnt 0x0
	v_cmpx_lt_i16_e32 0x7f, v5
	s_xor_b32 s7, exec_lo, s7
	s_cbranch_execz .LBB324_1879
; %bb.1876:
	s_mov_b32 s0, -1
	s_mov_b32 s10, exec_lo
	v_cmpx_eq_u16_e32 0x80, v5
; %bb.1877:
	s_xor_b32 s0, exec_lo, -1
; %bb.1878:
	s_or_b32 exec_lo, exec_lo, s10
	s_delay_alu instid0(SALU_CYCLE_1)
	s_and_b32 s0, s0, exec_lo
.LBB324_1879:
	s_or_saveexec_b32 s7, s7
	v_mov_b32_e32 v7, 0x7f800001
	v_and_b32_e32 v10, 0xffff, v5
	s_xor_b32 exec_lo, exec_lo, s7
; %bb.1880:
	v_cmp_ne_u16_e32 vcc_lo, 0, v5
	s_delay_alu instid0(VALU_DEP_2) | instskip(SKIP_2) | instid1(SALU_CYCLE_1)
	v_mov_b32_e32 v7, v10
	s_and_not1_b32 s0, s0, exec_lo
	s_and_b32 s10, vcc_lo, exec_lo
	s_or_b32 s0, s0, s10
; %bb.1881:
	s_or_b32 exec_lo, exec_lo, s7
	s_and_saveexec_b32 s7, s0
	s_cbranch_execz .LBB324_1883
; %bb.1882:
	v_and_b32_e32 v5, 7, v10
	s_delay_alu instid0(VALU_DEP_1) | instskip(NEXT) | instid1(VALU_DEP_1)
	v_clz_i32_u32_e32 v7, v5
	v_min_u32_e32 v7, 32, v7
	s_delay_alu instid0(VALU_DEP_1) | instskip(NEXT) | instid1(VALU_DEP_1)
	v_subrev_nc_u32_e32 v11, 28, v7
	v_lshlrev_b32_e32 v11, v11, v10
	v_bfe_u32 v10, v10, 3, 4
	s_delay_alu instid0(VALU_DEP_2) | instskip(NEXT) | instid1(VALU_DEP_2)
	v_and_b32_e32 v11, 7, v11
	v_cmp_eq_u32_e32 vcc_lo, 0, v10
	s_delay_alu instid0(VALU_DEP_2) | instskip(NEXT) | instid1(VALU_DEP_1)
	v_cndmask_b32_e32 v5, v5, v11, vcc_lo
	v_dual_sub_nc_u32 v7, 29, v7 :: v_dual_lshlrev_b32 v5, 20, v5
	s_delay_alu instid0(VALU_DEP_1) | instskip(NEXT) | instid1(VALU_DEP_1)
	v_cndmask_b32_e32 v7, v10, v7, vcc_lo
	v_lshl_or_b32 v5, v7, 23, v5
	s_delay_alu instid0(VALU_DEP_1)
	v_add_nc_u32_e32 v7, 0x3b800000, v5
.LBB324_1883:
	s_or_b32 exec_lo, exec_lo, s7
	s_delay_alu instid0(VALU_DEP_1) | instskip(SKIP_1) | instid1(VALU_DEP_1)
	v_dual_mov_b32 v10, 0xff :: v_dual_lshrrev_b32 v5, 23, v7
	s_mov_b32 s7, exec_lo
	v_cmpx_ne_u32_e32 0xff, v5
; %bb.1884:
	v_and_b32_e32 v10, 0x400000, v7
	v_and_or_b32 v7, 0x3fffff, v7, v5
	s_delay_alu instid0(VALU_DEP_2) | instskip(NEXT) | instid1(VALU_DEP_2)
	v_cmp_ne_u32_e32 vcc_lo, 0, v10
	v_cmp_ne_u32_e64 s0, 0, v7
	s_and_b32 s0, vcc_lo, s0
	s_delay_alu instid0(SALU_CYCLE_1) | instskip(NEXT) | instid1(VALU_DEP_1)
	v_cndmask_b32_e64 v7, 0, 1, s0
	v_add_nc_u32_e32 v10, v5, v7
; %bb.1885:
	s_or_b32 exec_lo, exec_lo, s7
.LBB324_1886:
	s_mov_b32 s0, -1
.LBB324_1887:
	s_mov_b32 s7, 0
.LBB324_1888:
	s_delay_alu instid0(SALU_CYCLE_1)
	s_and_b32 vcc_lo, exec_lo, s7
	s_cbranch_vccz .LBB324_1927
; %bb.1889:
	s_cmp_gt_i32 s1, 22
	s_cbranch_scc0 .LBB324_1903
; %bb.1890:
	s_cmp_lt_i32 s1, 24
	s_cbranch_scc1 .LBB324_1904
; %bb.1891:
	s_cmp_gt_i32 s1, 24
	s_cbranch_scc0 .LBB324_1905
; %bb.1892:
	global_load_u8 v5, v[8:9], off
	s_mov_b32 s0, 0
	s_mov_b32 s6, exec_lo
	s_wait_loadcnt 0x0
	v_cmpx_lt_i16_e32 0x7f, v5
	s_xor_b32 s6, exec_lo, s6
	s_cbranch_execz .LBB324_1896
; %bb.1893:
	s_mov_b32 s0, -1
	s_mov_b32 s7, exec_lo
	v_cmpx_eq_u16_e32 0x80, v5
; %bb.1894:
	s_xor_b32 s0, exec_lo, -1
; %bb.1895:
	s_or_b32 exec_lo, exec_lo, s7
	s_delay_alu instid0(SALU_CYCLE_1)
	s_and_b32 s0, s0, exec_lo
.LBB324_1896:
	s_or_saveexec_b32 s6, s6
	v_mov_b32_e32 v7, 0x7f800001
	v_and_b32_e32 v10, 0xffff, v5
	s_xor_b32 exec_lo, exec_lo, s6
; %bb.1897:
	v_cmp_ne_u16_e32 vcc_lo, 0, v5
	s_delay_alu instid0(VALU_DEP_2) | instskip(SKIP_2) | instid1(SALU_CYCLE_1)
	v_mov_b32_e32 v7, v10
	s_and_not1_b32 s0, s0, exec_lo
	s_and_b32 s7, vcc_lo, exec_lo
	s_or_b32 s0, s0, s7
; %bb.1898:
	s_or_b32 exec_lo, exec_lo, s6
	s_and_saveexec_b32 s6, s0
	s_cbranch_execz .LBB324_1900
; %bb.1899:
	v_and_b32_e32 v5, 3, v10
	s_delay_alu instid0(VALU_DEP_1) | instskip(NEXT) | instid1(VALU_DEP_1)
	v_clz_i32_u32_e32 v7, v5
	v_min_u32_e32 v7, 32, v7
	s_delay_alu instid0(VALU_DEP_1) | instskip(NEXT) | instid1(VALU_DEP_1)
	v_subrev_nc_u32_e32 v11, 29, v7
	v_lshlrev_b32_e32 v11, v11, v10
	v_bfe_u32 v10, v10, 2, 5
	s_delay_alu instid0(VALU_DEP_2) | instskip(NEXT) | instid1(VALU_DEP_2)
	v_and_b32_e32 v11, 3, v11
	v_cmp_eq_u32_e32 vcc_lo, 0, v10
	s_delay_alu instid0(VALU_DEP_2) | instskip(NEXT) | instid1(VALU_DEP_1)
	v_cndmask_b32_e32 v5, v5, v11, vcc_lo
	v_dual_sub_nc_u32 v7, 30, v7 :: v_dual_lshlrev_b32 v5, 21, v5
	s_delay_alu instid0(VALU_DEP_1) | instskip(NEXT) | instid1(VALU_DEP_1)
	v_cndmask_b32_e32 v7, v10, v7, vcc_lo
	v_lshl_or_b32 v5, v7, 23, v5
	s_delay_alu instid0(VALU_DEP_1)
	v_add_nc_u32_e32 v7, 0x37800000, v5
.LBB324_1900:
	s_or_b32 exec_lo, exec_lo, s6
	s_delay_alu instid0(VALU_DEP_1) | instskip(SKIP_1) | instid1(VALU_DEP_1)
	v_dual_mov_b32 v10, 0xff :: v_dual_lshrrev_b32 v5, 23, v7
	s_mov_b32 s6, exec_lo
	v_cmpx_ne_u32_e32 0xff, v5
; %bb.1901:
	v_and_b32_e32 v10, 0x400000, v7
	v_and_or_b32 v7, 0x3fffff, v7, v5
	s_delay_alu instid0(VALU_DEP_2) | instskip(NEXT) | instid1(VALU_DEP_2)
	v_cmp_ne_u32_e32 vcc_lo, 0, v10
	v_cmp_ne_u32_e64 s0, 0, v7
	s_and_b32 s0, vcc_lo, s0
	s_delay_alu instid0(SALU_CYCLE_1) | instskip(NEXT) | instid1(VALU_DEP_1)
	v_cndmask_b32_e64 v7, 0, 1, s0
	v_add_nc_u32_e32 v10, v5, v7
; %bb.1902:
	s_or_b32 exec_lo, exec_lo, s6
	s_mov_b32 s0, 0
	s_branch .LBB324_1906
.LBB324_1903:
	s_mov_b32 s6, -1
                                        ; implicit-def: $vgpr10
	s_branch .LBB324_1916
.LBB324_1904:
	s_mov_b32 s0, -1
                                        ; implicit-def: $vgpr10
	s_branch .LBB324_1911
.LBB324_1905:
	s_mov_b32 s0, -1
                                        ; implicit-def: $vgpr10
.LBB324_1906:
	s_delay_alu instid0(SALU_CYCLE_1)
	s_and_b32 vcc_lo, exec_lo, s0
	s_cbranch_vccz .LBB324_1910
; %bb.1907:
	global_load_u8 v5, v[8:9], off
	s_mov_b32 s6, exec_lo
	s_wait_loadcnt 0x0
	v_lshlrev_b32_e32 v5, 24, v5
	s_delay_alu instid0(VALU_DEP_1) | instskip(NEXT) | instid1(VALU_DEP_1)
	v_and_b32_e32 v5, 0x7f000000, v5
	v_clz_i32_u32_e32 v7, v5
	v_cmp_ne_u32_e32 vcc_lo, 0, v5
	s_wait_xcnt 0x1
	v_add_nc_u32_e32 v11, 0x1000000, v5
	s_delay_alu instid0(VALU_DEP_3) | instskip(NEXT) | instid1(VALU_DEP_1)
	v_min_u32_e32 v7, 32, v7
	v_sub_nc_u32_e64 v7, v7, 4 clamp
	s_delay_alu instid0(VALU_DEP_1) | instskip(NEXT) | instid1(VALU_DEP_1)
	v_dual_lshlrev_b32 v10, v7, v5 :: v_dual_lshlrev_b32 v7, 23, v7
	v_lshrrev_b32_e32 v10, 4, v10
	s_delay_alu instid0(VALU_DEP_1) | instskip(SKIP_1) | instid1(VALU_DEP_2)
	v_sub_nc_u32_e32 v7, v10, v7
	v_ashrrev_i32_e32 v10, 8, v11
	v_add_nc_u32_e32 v7, 0x3c000000, v7
	s_delay_alu instid0(VALU_DEP_1) | instskip(NEXT) | instid1(VALU_DEP_1)
	v_and_or_b32 v7, 0x7f800000, v10, v7
	v_dual_mov_b32 v10, 0xff :: v_dual_cndmask_b32 v7, 0, v7
	s_delay_alu instid0(VALU_DEP_1) | instskip(SKIP_1) | instid1(VALU_DEP_1)
	v_lshrrev_b32_e32 v5, 23, v7
	s_wait_xcnt 0x0
	v_cmpx_ne_u32_e32 0xff, v5
; %bb.1908:
	v_and_b32_e32 v10, 0x400000, v7
	v_and_or_b32 v7, 0x3fffff, v7, v5
	s_delay_alu instid0(VALU_DEP_2) | instskip(NEXT) | instid1(VALU_DEP_2)
	v_cmp_ne_u32_e32 vcc_lo, 0, v10
	v_cmp_ne_u32_e64 s0, 0, v7
	s_and_b32 s0, vcc_lo, s0
	s_delay_alu instid0(SALU_CYCLE_1) | instskip(NEXT) | instid1(VALU_DEP_1)
	v_cndmask_b32_e64 v7, 0, 1, s0
	v_add_nc_u32_e32 v10, v5, v7
; %bb.1909:
	s_or_b32 exec_lo, exec_lo, s6
.LBB324_1910:
	s_mov_b32 s0, 0
.LBB324_1911:
	s_delay_alu instid0(SALU_CYCLE_1)
	s_and_not1_b32 vcc_lo, exec_lo, s0
	s_cbranch_vccnz .LBB324_1915
; %bb.1912:
	global_load_u8 v5, v[8:9], off
	s_mov_b32 s6, exec_lo
	s_wait_loadcnt 0x0
	v_dual_lshlrev_b32 v7, 25, v5 :: v_dual_lshlrev_b32 v5, 8, v5
	s_delay_alu instid0(VALU_DEP_1) | instskip(NEXT) | instid1(VALU_DEP_2)
	v_cmp_gt_u32_e32 vcc_lo, 0x8000000, v7
	v_and_or_b32 v5, 0x7f00, v5, 0.5
	s_wait_xcnt 0x1
	s_delay_alu instid0(VALU_DEP_1) | instskip(NEXT) | instid1(VALU_DEP_1)
	v_dual_add_f32 v5, -0.5, v5 :: v_dual_lshrrev_b32 v10, 4, v7
	v_or_b32_e32 v10, 0x70000000, v10
	s_delay_alu instid0(VALU_DEP_1) | instskip(NEXT) | instid1(VALU_DEP_1)
	v_mul_f32_e32 v10, 0x7800000, v10
	v_dual_cndmask_b32 v5, v10, v5 :: v_dual_mov_b32 v10, 0xff
	s_delay_alu instid0(VALU_DEP_1) | instskip(SKIP_1) | instid1(VALU_DEP_1)
	v_bfe_u32 v7, v5, 23, 8
	s_wait_xcnt 0x0
	v_cmpx_ne_u32_e32 0xff, v7
	s_cbranch_execz .LBB324_1914
; %bb.1913:
	v_and_b32_e32 v10, 0x400000, v5
	v_and_or_b32 v7, 0x3fffff, v5, v7
	v_lshrrev_b32_e32 v5, 23, v5
	s_delay_alu instid0(VALU_DEP_3) | instskip(NEXT) | instid1(VALU_DEP_3)
	v_cmp_ne_u32_e32 vcc_lo, 0, v10
	v_cmp_ne_u32_e64 s0, 0, v7
	s_and_b32 s0, vcc_lo, s0
	s_delay_alu instid0(SALU_CYCLE_1) | instskip(NEXT) | instid1(VALU_DEP_1)
	v_cndmask_b32_e64 v7, 0, 1, s0
	v_add_nc_u32_e32 v10, v5, v7
.LBB324_1914:
	s_or_b32 exec_lo, exec_lo, s6
.LBB324_1915:
	s_mov_b32 s6, 0
	s_mov_b32 s0, -1
.LBB324_1916:
	s_and_not1_b32 vcc_lo, exec_lo, s6
	s_mov_b32 s6, 0
	s_cbranch_vccnz .LBB324_1927
; %bb.1917:
	s_cmp_gt_i32 s1, 14
	s_cbranch_scc0 .LBB324_1922
; %bb.1918:
	s_cmp_eq_u32 s1, 15
	s_cbranch_scc0 .LBB324_1923
; %bb.1919:
	global_load_u16 v5, v[8:9], off
	s_wait_loadcnt 0x1
	s_wait_xcnt 0x1
	v_mov_b32_e32 v10, 0xff
	s_mov_b32 s2, exec_lo
	s_wait_loadcnt 0x0
	v_bfe_u32 v7, v5, 7, 8
	s_wait_xcnt 0x0
	s_delay_alu instid0(VALU_DEP_1)
	v_cmpx_ne_u32_e32 0xff, v7
	s_cbranch_execz .LBB324_1921
; %bb.1920:
	v_dual_lshlrev_b32 v10, 16, v5 :: v_dual_bitop2_b32 v11, 64, v5 bitop3:0x40
	v_lshrrev_b32_e32 v5, 7, v5
	s_delay_alu instid0(VALU_DEP_2) | instskip(NEXT) | instid1(VALU_DEP_3)
	v_and_or_b32 v7, 0x3f0000, v10, v7
	v_cmp_ne_u32_e32 vcc_lo, 0, v11
	s_delay_alu instid0(VALU_DEP_2) | instskip(SKIP_1) | instid1(SALU_CYCLE_1)
	v_cmp_ne_u32_e64 s0, 0, v7
	s_and_b32 s0, vcc_lo, s0
	v_cndmask_b32_e64 v7, 0, 1, s0
	s_delay_alu instid0(VALU_DEP_1)
	v_add_nc_u32_e32 v10, v5, v7
.LBB324_1921:
	s_or_b32 exec_lo, exec_lo, s2
	s_mov_b32 s2, 0
	s_mov_b32 s0, -1
	s_branch .LBB324_1925
.LBB324_1922:
	s_mov_b32 s6, -1
	s_branch .LBB324_1924
.LBB324_1923:
	s_mov_b32 s2, -1
.LBB324_1924:
                                        ; implicit-def: $vgpr10
.LBB324_1925:
	s_and_b32 vcc_lo, exec_lo, s6
	s_mov_b32 s6, 0
	s_cbranch_vccz .LBB324_1927
; %bb.1926:
	s_cmp_lg_u32 s1, 11
	s_mov_b32 s6, -1
	s_cselect_b32 s2, -1, 0
.LBB324_1927:
	s_delay_alu instid0(SALU_CYCLE_1)
	s_and_b32 vcc_lo, exec_lo, s2
	s_cbranch_vccnz .LBB324_2480
; %bb.1928:
	s_and_not1_b32 vcc_lo, exec_lo, s6
	s_cbranch_vccnz .LBB324_1932
.LBB324_1929:
	global_load_u8 v5, v[8:9], off
	s_mov_b32 s2, exec_lo
	s_wait_loadcnt 0x1
	s_wait_xcnt 0x1
	v_mov_b32_e32 v10, 0xff
	s_wait_loadcnt 0x0
	v_cmp_ne_u16_e32 vcc_lo, 0, v5
	v_cndmask_b32_e64 v7, 0, 1.0, vcc_lo
	s_delay_alu instid0(VALU_DEP_1) | instskip(SKIP_1) | instid1(VALU_DEP_1)
	v_lshrrev_b32_e32 v5, 23, v7
	s_wait_xcnt 0x0
	v_cmpx_ne_u32_e32 0xff, v5
; %bb.1930:
	v_and_b32_e32 v10, 0x400000, v7
	v_and_or_b32 v7, 0x3fffff, v7, v5
	s_delay_alu instid0(VALU_DEP_2) | instskip(NEXT) | instid1(VALU_DEP_2)
	v_cmp_ne_u32_e32 vcc_lo, 0, v10
	v_cmp_ne_u32_e64 s0, 0, v7
	s_and_b32 s0, vcc_lo, s0
	s_delay_alu instid0(SALU_CYCLE_1) | instskip(NEXT) | instid1(VALU_DEP_1)
	v_cndmask_b32_e64 v7, 0, 1, s0
	v_add_nc_u32_e32 v10, v5, v7
; %bb.1931:
	s_or_b32 exec_lo, exec_lo, s2
	s_mov_b32 s0, -1
.LBB324_1932:
	s_mov_b32 s2, 0
.LBB324_1933:
	s_delay_alu instid0(SALU_CYCLE_1)
	s_and_b32 vcc_lo, exec_lo, s2
	s_cbranch_vccz .LBB324_2004
; %bb.1934:
	s_cmp_lt_i32 s1, 5
	s_cbranch_scc1 .LBB324_1941
; %bb.1935:
	s_cmp_lt_i32 s1, 8
	s_cbranch_scc1 .LBB324_1942
	;; [unrolled: 3-line block ×3, first 2 shown]
; %bb.1937:
	s_cmp_gt_i32 s1, 9
	s_cbranch_scc0 .LBB324_1944
; %bb.1938:
	s_wait_loadcnt 0x0
	global_load_b64 v[10:11], v[8:9], off
	s_mov_b32 s2, exec_lo
	s_wait_loadcnt 0x0
	v_cvt_f32_f64_e32 v5, v[10:11]
	v_mov_b32_e32 v10, 0xff
	s_delay_alu instid0(VALU_DEP_2) | instskip(SKIP_1) | instid1(VALU_DEP_1)
	v_bfe_u32 v7, v5, 23, 8
	s_wait_xcnt 0x0
	v_cmpx_ne_u32_e32 0xff, v7
	s_cbranch_execz .LBB324_1940
; %bb.1939:
	v_and_b32_e32 v10, 0x400000, v5
	v_and_or_b32 v7, 0x3fffff, v5, v7
	v_lshrrev_b32_e32 v5, 23, v5
	s_delay_alu instid0(VALU_DEP_3) | instskip(NEXT) | instid1(VALU_DEP_3)
	v_cmp_ne_u32_e32 vcc_lo, 0, v10
	v_cmp_ne_u32_e64 s0, 0, v7
	s_and_b32 s0, vcc_lo, s0
	s_delay_alu instid0(SALU_CYCLE_1) | instskip(NEXT) | instid1(VALU_DEP_1)
	v_cndmask_b32_e64 v7, 0, 1, s0
	v_add_nc_u32_e32 v10, v5, v7
.LBB324_1940:
	s_or_b32 exec_lo, exec_lo, s2
	s_mov_b32 s0, 0
	s_branch .LBB324_1945
.LBB324_1941:
	s_mov_b32 s0, -1
                                        ; implicit-def: $vgpr10
	s_branch .LBB324_1973
.LBB324_1942:
	s_mov_b32 s0, -1
                                        ; implicit-def: $vgpr10
	s_branch .LBB324_1955
.LBB324_1943:
	s_mov_b32 s0, -1
                                        ; implicit-def: $vgpr10
	s_branch .LBB324_1950
.LBB324_1944:
	s_mov_b32 s0, -1
                                        ; implicit-def: $vgpr10
.LBB324_1945:
	s_delay_alu instid0(SALU_CYCLE_1)
	s_and_not1_b32 vcc_lo, exec_lo, s0
	s_cbranch_vccnz .LBB324_1949
; %bb.1946:
	global_load_b32 v5, v[8:9], off
	s_wait_loadcnt 0x1
	s_wait_xcnt 0x1
	v_mov_b32_e32 v10, 0xff
	s_mov_b32 s2, exec_lo
	s_wait_loadcnt 0x0
	v_bfe_u32 v7, v5, 23, 8
	s_wait_xcnt 0x0
	s_delay_alu instid0(VALU_DEP_1)
	v_cmpx_ne_u32_e32 0xff, v7
	s_cbranch_execz .LBB324_1948
; %bb.1947:
	v_and_b32_e32 v10, 0x400000, v5
	v_and_or_b32 v7, 0x3fffff, v5, v7
	v_lshrrev_b32_e32 v5, 23, v5
	s_delay_alu instid0(VALU_DEP_3) | instskip(NEXT) | instid1(VALU_DEP_3)
	v_cmp_ne_u32_e32 vcc_lo, 0, v10
	v_cmp_ne_u32_e64 s0, 0, v7
	s_and_b32 s0, vcc_lo, s0
	s_delay_alu instid0(SALU_CYCLE_1) | instskip(NEXT) | instid1(VALU_DEP_1)
	v_cndmask_b32_e64 v7, 0, 1, s0
	v_add_nc_u32_e32 v10, v5, v7
.LBB324_1948:
	s_or_b32 exec_lo, exec_lo, s2
.LBB324_1949:
	s_mov_b32 s0, 0
.LBB324_1950:
	s_delay_alu instid0(SALU_CYCLE_1)
	s_and_not1_b32 vcc_lo, exec_lo, s0
	s_cbranch_vccnz .LBB324_1954
; %bb.1951:
	global_load_b32 v5, v[8:9], off
	s_wait_loadcnt 0x1
	s_wait_xcnt 0x1
	v_mov_b32_e32 v10, 0xff
	s_mov_b32 s2, exec_lo
	s_wait_loadcnt 0x0
	v_cvt_f32_f16_e32 v5, v5
	s_delay_alu instid0(VALU_DEP_1) | instskip(SKIP_1) | instid1(VALU_DEP_1)
	v_bfe_u32 v7, v5, 23, 8
	s_wait_xcnt 0x0
	v_cmpx_ne_u32_e32 0xff, v7
	s_cbranch_execz .LBB324_1953
; %bb.1952:
	v_and_b32_e32 v10, 0x400000, v5
	v_and_or_b32 v7, 0x3fffff, v5, v7
	v_lshrrev_b32_e32 v5, 23, v5
	s_delay_alu instid0(VALU_DEP_3) | instskip(NEXT) | instid1(VALU_DEP_3)
	v_cmp_ne_u32_e32 vcc_lo, 0, v10
	v_cmp_ne_u32_e64 s0, 0, v7
	s_and_b32 s0, vcc_lo, s0
	s_delay_alu instid0(SALU_CYCLE_1) | instskip(NEXT) | instid1(VALU_DEP_1)
	v_cndmask_b32_e64 v7, 0, 1, s0
	v_add_nc_u32_e32 v10, v5, v7
.LBB324_1953:
	s_or_b32 exec_lo, exec_lo, s2
.LBB324_1954:
	s_mov_b32 s0, 0
.LBB324_1955:
	s_delay_alu instid0(SALU_CYCLE_1)
	s_and_not1_b32 vcc_lo, exec_lo, s0
	s_cbranch_vccnz .LBB324_1972
; %bb.1956:
	s_cmp_lt_i32 s1, 6
	s_cbranch_scc1 .LBB324_1961
; %bb.1957:
	s_cmp_gt_i32 s1, 6
	s_cbranch_scc0 .LBB324_1962
; %bb.1958:
	s_wait_loadcnt 0x0
	global_load_b64 v[10:11], v[8:9], off
	s_mov_b32 s2, exec_lo
	s_wait_loadcnt 0x0
	v_cvt_f32_f64_e32 v5, v[10:11]
	v_mov_b32_e32 v10, 0xff
	s_delay_alu instid0(VALU_DEP_2) | instskip(SKIP_1) | instid1(VALU_DEP_1)
	v_bfe_u32 v7, v5, 23, 8
	s_wait_xcnt 0x0
	v_cmpx_ne_u32_e32 0xff, v7
	s_cbranch_execz .LBB324_1960
; %bb.1959:
	v_and_b32_e32 v10, 0x400000, v5
	v_and_or_b32 v7, 0x3fffff, v5, v7
	v_lshrrev_b32_e32 v5, 23, v5
	s_delay_alu instid0(VALU_DEP_3) | instskip(NEXT) | instid1(VALU_DEP_3)
	v_cmp_ne_u32_e32 vcc_lo, 0, v10
	v_cmp_ne_u32_e64 s0, 0, v7
	s_and_b32 s0, vcc_lo, s0
	s_delay_alu instid0(SALU_CYCLE_1) | instskip(NEXT) | instid1(VALU_DEP_1)
	v_cndmask_b32_e64 v7, 0, 1, s0
	v_add_nc_u32_e32 v10, v5, v7
.LBB324_1960:
	s_or_b32 exec_lo, exec_lo, s2
	s_mov_b32 s0, 0
	s_branch .LBB324_1963
.LBB324_1961:
	s_mov_b32 s0, -1
                                        ; implicit-def: $vgpr10
	s_branch .LBB324_1968
.LBB324_1962:
	s_mov_b32 s0, -1
                                        ; implicit-def: $vgpr10
.LBB324_1963:
	s_delay_alu instid0(SALU_CYCLE_1)
	s_and_not1_b32 vcc_lo, exec_lo, s0
	s_cbranch_vccnz .LBB324_1967
; %bb.1964:
	global_load_b32 v5, v[8:9], off
	s_wait_loadcnt 0x1
	s_wait_xcnt 0x1
	v_mov_b32_e32 v10, 0xff
	s_mov_b32 s2, exec_lo
	s_wait_loadcnt 0x0
	v_bfe_u32 v7, v5, 23, 8
	s_wait_xcnt 0x0
	s_delay_alu instid0(VALU_DEP_1)
	v_cmpx_ne_u32_e32 0xff, v7
	s_cbranch_execz .LBB324_1966
; %bb.1965:
	v_and_b32_e32 v10, 0x400000, v5
	v_and_or_b32 v7, 0x3fffff, v5, v7
	v_lshrrev_b32_e32 v5, 23, v5
	s_delay_alu instid0(VALU_DEP_3) | instskip(NEXT) | instid1(VALU_DEP_3)
	v_cmp_ne_u32_e32 vcc_lo, 0, v10
	v_cmp_ne_u32_e64 s0, 0, v7
	s_and_b32 s0, vcc_lo, s0
	s_delay_alu instid0(SALU_CYCLE_1) | instskip(NEXT) | instid1(VALU_DEP_1)
	v_cndmask_b32_e64 v7, 0, 1, s0
	v_add_nc_u32_e32 v10, v5, v7
.LBB324_1966:
	s_or_b32 exec_lo, exec_lo, s2
.LBB324_1967:
	s_mov_b32 s0, 0
.LBB324_1968:
	s_delay_alu instid0(SALU_CYCLE_1)
	s_and_not1_b32 vcc_lo, exec_lo, s0
	s_cbranch_vccnz .LBB324_1972
; %bb.1969:
	global_load_u16 v5, v[8:9], off
	s_wait_loadcnt 0x1
	s_wait_xcnt 0x1
	v_mov_b32_e32 v10, 0xff
	s_mov_b32 s2, exec_lo
	s_wait_loadcnt 0x0
	v_cvt_f32_f16_e32 v5, v5
	s_delay_alu instid0(VALU_DEP_1) | instskip(SKIP_1) | instid1(VALU_DEP_1)
	v_bfe_u32 v7, v5, 23, 8
	s_wait_xcnt 0x0
	v_cmpx_ne_u32_e32 0xff, v7
	s_cbranch_execz .LBB324_1971
; %bb.1970:
	v_and_b32_e32 v10, 0x400000, v5
	v_and_or_b32 v7, 0x3fffff, v5, v7
	v_lshrrev_b32_e32 v5, 23, v5
	s_delay_alu instid0(VALU_DEP_3) | instskip(NEXT) | instid1(VALU_DEP_3)
	v_cmp_ne_u32_e32 vcc_lo, 0, v10
	v_cmp_ne_u32_e64 s0, 0, v7
	s_and_b32 s0, vcc_lo, s0
	s_delay_alu instid0(SALU_CYCLE_1) | instskip(NEXT) | instid1(VALU_DEP_1)
	v_cndmask_b32_e64 v7, 0, 1, s0
	v_add_nc_u32_e32 v10, v5, v7
.LBB324_1971:
	s_or_b32 exec_lo, exec_lo, s2
.LBB324_1972:
	s_mov_b32 s0, 0
.LBB324_1973:
	s_delay_alu instid0(SALU_CYCLE_1)
	s_and_not1_b32 vcc_lo, exec_lo, s0
	s_cbranch_vccnz .LBB324_2003
; %bb.1974:
	s_cmp_lt_i32 s1, 2
	s_cbranch_scc1 .LBB324_1980
; %bb.1975:
	s_cmp_lt_i32 s1, 3
	s_cbranch_scc1 .LBB324_1981
; %bb.1976:
	s_cmp_gt_i32 s1, 3
	s_cbranch_scc0 .LBB324_1982
; %bb.1977:
	s_wait_loadcnt 0x0
	global_load_b64 v[10:11], v[8:9], off
	s_mov_b32 s2, exec_lo
	s_wait_loadcnt 0x0
	v_xor_b32_e32 v5, v10, v11
	v_cls_i32_e32 v7, v11
	s_delay_alu instid0(VALU_DEP_2) | instskip(NEXT) | instid1(VALU_DEP_1)
	v_ashrrev_i32_e32 v5, 31, v5
	v_add_nc_u32_e32 v5, 32, v5
	s_delay_alu instid0(VALU_DEP_1) | instskip(NEXT) | instid1(VALU_DEP_1)
	v_add_min_u32_e64 v5, v7, -1, v5
	v_lshlrev_b64_e32 v[10:11], v5, v[10:11]
	v_sub_nc_u32_e32 v5, 32, v5
	s_delay_alu instid0(VALU_DEP_2) | instskip(SKIP_1) | instid1(VALU_DEP_2)
	v_min_u32_e32 v7, 1, v10
	v_mov_b32_e32 v10, 0xff
	v_or_b32_e32 v7, v11, v7
	s_delay_alu instid0(VALU_DEP_1) | instskip(NEXT) | instid1(VALU_DEP_1)
	v_cvt_f32_i32_e32 v7, v7
	v_ldexp_f32 v5, v7, v5
	s_delay_alu instid0(VALU_DEP_1) | instskip(SKIP_1) | instid1(VALU_DEP_1)
	v_bfe_u32 v7, v5, 23, 8
	s_wait_xcnt 0x0
	v_cmpx_ne_u32_e32 0xff, v7
	s_cbranch_execz .LBB324_1979
; %bb.1978:
	v_and_b32_e32 v10, 0x400000, v5
	v_and_or_b32 v7, 0x3fffff, v5, v7
	v_lshrrev_b32_e32 v5, 23, v5
	s_delay_alu instid0(VALU_DEP_3) | instskip(NEXT) | instid1(VALU_DEP_3)
	v_cmp_ne_u32_e32 vcc_lo, 0, v10
	v_cmp_ne_u32_e64 s0, 0, v7
	s_and_b32 s0, vcc_lo, s0
	s_delay_alu instid0(SALU_CYCLE_1) | instskip(NEXT) | instid1(VALU_DEP_1)
	v_cndmask_b32_e64 v7, 0, 1, s0
	v_add_nc_u32_e32 v10, v5, v7
.LBB324_1979:
	s_or_b32 exec_lo, exec_lo, s2
	s_mov_b32 s0, 0
	s_branch .LBB324_1983
.LBB324_1980:
	s_mov_b32 s0, -1
                                        ; implicit-def: $vgpr10
	s_branch .LBB324_1993
.LBB324_1981:
	s_mov_b32 s0, -1
                                        ; implicit-def: $vgpr10
	s_branch .LBB324_1988
.LBB324_1982:
	s_mov_b32 s0, -1
                                        ; implicit-def: $vgpr10
.LBB324_1983:
	s_delay_alu instid0(SALU_CYCLE_1)
	s_and_not1_b32 vcc_lo, exec_lo, s0
	s_cbranch_vccnz .LBB324_1987
; %bb.1984:
	global_load_b32 v5, v[8:9], off
	s_wait_loadcnt 0x1
	s_wait_xcnt 0x1
	v_mov_b32_e32 v10, 0xff
	s_mov_b32 s2, exec_lo
	s_wait_loadcnt 0x0
	v_cvt_f32_i32_e32 v5, v5
	s_delay_alu instid0(VALU_DEP_1) | instskip(SKIP_1) | instid1(VALU_DEP_1)
	v_bfe_u32 v7, v5, 23, 8
	s_wait_xcnt 0x0
	v_cmpx_ne_u32_e32 0xff, v7
	s_cbranch_execz .LBB324_1986
; %bb.1985:
	v_and_b32_e32 v10, 0x400000, v5
	v_and_or_b32 v7, 0x3fffff, v5, v7
	v_lshrrev_b32_e32 v5, 23, v5
	s_delay_alu instid0(VALU_DEP_3) | instskip(NEXT) | instid1(VALU_DEP_3)
	v_cmp_ne_u32_e32 vcc_lo, 0, v10
	v_cmp_ne_u32_e64 s0, 0, v7
	s_and_b32 s0, vcc_lo, s0
	s_delay_alu instid0(SALU_CYCLE_1) | instskip(NEXT) | instid1(VALU_DEP_1)
	v_cndmask_b32_e64 v7, 0, 1, s0
	v_add_nc_u32_e32 v10, v5, v7
.LBB324_1986:
	s_or_b32 exec_lo, exec_lo, s2
.LBB324_1987:
	s_mov_b32 s0, 0
.LBB324_1988:
	s_delay_alu instid0(SALU_CYCLE_1)
	s_and_not1_b32 vcc_lo, exec_lo, s0
	s_cbranch_vccnz .LBB324_1992
; %bb.1989:
	global_load_i16 v5, v[8:9], off
	s_wait_loadcnt 0x1
	s_wait_xcnt 0x1
	v_mov_b32_e32 v10, 0xff
	s_mov_b32 s2, exec_lo
	s_wait_loadcnt 0x0
	v_cvt_f32_i32_e32 v5, v5
	s_delay_alu instid0(VALU_DEP_1) | instskip(SKIP_1) | instid1(VALU_DEP_1)
	v_bfe_u32 v7, v5, 23, 8
	s_wait_xcnt 0x0
	v_cmpx_ne_u32_e32 0xff, v7
	s_cbranch_execz .LBB324_1991
; %bb.1990:
	v_and_b32_e32 v10, 0x400000, v5
	v_and_or_b32 v7, 0x3fffff, v5, v7
	v_lshrrev_b32_e32 v5, 23, v5
	s_delay_alu instid0(VALU_DEP_3) | instskip(NEXT) | instid1(VALU_DEP_3)
	v_cmp_ne_u32_e32 vcc_lo, 0, v10
	v_cmp_ne_u32_e64 s0, 0, v7
	s_and_b32 s0, vcc_lo, s0
	s_delay_alu instid0(SALU_CYCLE_1) | instskip(NEXT) | instid1(VALU_DEP_1)
	v_cndmask_b32_e64 v7, 0, 1, s0
	v_add_nc_u32_e32 v10, v5, v7
.LBB324_1991:
	s_or_b32 exec_lo, exec_lo, s2
.LBB324_1992:
	s_mov_b32 s0, 0
.LBB324_1993:
	s_delay_alu instid0(SALU_CYCLE_1)
	s_and_not1_b32 vcc_lo, exec_lo, s0
	s_cbranch_vccnz .LBB324_2003
; %bb.1994:
	s_cmp_gt_i32 s1, 0
	s_cbranch_scc0 .LBB324_1998
; %bb.1995:
	global_load_i8 v5, v[8:9], off
	s_wait_loadcnt 0x1
	s_wait_xcnt 0x1
	v_mov_b32_e32 v10, 0xff
	s_mov_b32 s1, exec_lo
	s_wait_loadcnt 0x0
	v_cvt_f32_i32_e32 v5, v5
	s_delay_alu instid0(VALU_DEP_1) | instskip(SKIP_1) | instid1(VALU_DEP_1)
	v_bfe_u32 v7, v5, 23, 8
	s_wait_xcnt 0x0
	v_cmpx_ne_u32_e32 0xff, v7
	s_cbranch_execz .LBB324_1997
; %bb.1996:
	v_and_b32_e32 v10, 0x400000, v5
	v_and_or_b32 v7, 0x3fffff, v5, v7
	v_lshrrev_b32_e32 v5, 23, v5
	s_delay_alu instid0(VALU_DEP_3) | instskip(NEXT) | instid1(VALU_DEP_3)
	v_cmp_ne_u32_e32 vcc_lo, 0, v10
	v_cmp_ne_u32_e64 s0, 0, v7
	s_and_b32 s0, vcc_lo, s0
	s_delay_alu instid0(SALU_CYCLE_1) | instskip(NEXT) | instid1(VALU_DEP_1)
	v_cndmask_b32_e64 v7, 0, 1, s0
	v_add_nc_u32_e32 v10, v5, v7
.LBB324_1997:
	s_or_b32 exec_lo, exec_lo, s1
	s_mov_b32 s0, 0
	s_branch .LBB324_1999
.LBB324_1998:
	s_mov_b32 s0, -1
                                        ; implicit-def: $vgpr10
.LBB324_1999:
	s_delay_alu instid0(SALU_CYCLE_1)
	s_and_not1_b32 vcc_lo, exec_lo, s0
	s_cbranch_vccnz .LBB324_2003
; %bb.2000:
	global_load_u8 v5, v[8:9], off
	s_mov_b32 s1, exec_lo
	s_wait_loadcnt 0x1
	s_wait_xcnt 0x1
	v_mov_b32_e32 v10, 0xff
	s_wait_loadcnt 0x0
	v_cvt_f32_ubyte0_e32 v7, v5
	s_delay_alu instid0(VALU_DEP_1) | instskip(SKIP_1) | instid1(VALU_DEP_1)
	v_lshrrev_b32_e32 v5, 23, v7
	s_wait_xcnt 0x0
	v_cmpx_ne_u32_e32 0xff, v5
; %bb.2001:
	v_and_b32_e32 v8, 0x400000, v7
	v_and_or_b32 v7, 0x3fffff, v7, v5
	s_delay_alu instid0(VALU_DEP_2) | instskip(NEXT) | instid1(VALU_DEP_2)
	v_cmp_ne_u32_e32 vcc_lo, 0, v8
	v_cmp_ne_u32_e64 s0, 0, v7
	s_and_b32 s0, vcc_lo, s0
	s_delay_alu instid0(SALU_CYCLE_1) | instskip(NEXT) | instid1(VALU_DEP_1)
	v_cndmask_b32_e64 v7, 0, 1, s0
	v_add_nc_u32_e32 v10, v5, v7
; %bb.2002:
	s_or_b32 exec_lo, exec_lo, s1
.LBB324_2003:
	s_mov_b32 s0, -1
.LBB324_2004:
	s_delay_alu instid0(SALU_CYCLE_1)
	s_and_not1_b32 vcc_lo, exec_lo, s0
	s_cbranch_vccnz .LBB324_2435
; %bb.2005:
	s_load_b96 s[0:2], s[20:21], 0x158
	s_wait_loadcnt 0x0
	v_and_b32_e32 v1, 0xff, v1
	s_mov_b32 s12, 0
	s_delay_alu instid0(VALU_DEP_1) | instskip(SKIP_1) | instid1(VALU_DEP_2)
	v_dual_mov_b32 v7, 0 :: v_dual_lshlrev_b32 v5, 23, v1
	v_cmp_ne_u16_e32 vcc_lo, 0xff, v1
	v_add_nc_u64_e32 v[6:7], s[4:5], v[6:7]
	s_delay_alu instid0(VALU_DEP_3) | instskip(SKIP_1) | instid1(VALU_DEP_2)
	v_cndmask_b32_e32 v5, 0x7f800001, v5, vcc_lo
	v_cmp_ne_u16_e32 vcc_lo, 0, v1
	v_cndmask_b32_e32 v1, 0x400000, v5, vcc_lo
	s_wait_kmcnt 0x0
	s_and_b32 s1, s1, 0xff
	s_cmp_eq_u32 s0, 0
	s_cselect_b32 s0, -1, 0
	s_lshl_b32 s6, s1, 23
	s_cmp_lg_u32 s1, 0xff
	s_cselect_b32 s6, s6, 0x7f800001
	s_cmp_lg_u32 s1, 0
	s_cselect_b32 s7, s6, 0x400000
	s_and_b32 s6, s2, 0xff
	v_cmp_eq_f32_e32 vcc_lo, s7, v1
	s_cmp_lt_i32 s6, 11
	s_mov_b32 s2, -1
	v_cndmask_b32_e64 v5, 0, 1, vcc_lo
	v_cmp_neq_f32_e32 vcc_lo, s7, v1
	v_cndmask_b32_e64 v1, 0, 1, vcc_lo
	s_delay_alu instid0(VALU_DEP_1) | instskip(NEXT) | instid1(VALU_DEP_1)
	v_cndmask_b32_e64 v1, v1, v5, s0
	v_and_b32_e32 v1, 1, v1
	s_delay_alu instid0(VALU_DEP_1)
	v_cmp_eq_u32_e64 s1, 1, v1
	s_cbranch_scc1 .LBB324_2084
; %bb.2006:
	s_and_b32 s10, 0xffff, s6
	s_mov_b32 s13, -1
	s_mov_b32 s11, 0
	s_cmp_gt_i32 s10, 25
	s_mov_b32 s2, 0
	s_cbranch_scc0 .LBB324_2039
; %bb.2007:
	s_cmp_gt_i32 s10, 28
	s_cbranch_scc0 .LBB324_2022
; %bb.2008:
	s_cmp_gt_i32 s10, 43
	;; [unrolled: 3-line block ×3, first 2 shown]
	s_cbranch_scc0 .LBB324_2012
; %bb.2010:
	s_mov_b32 s2, -1
	s_mov_b32 s13, 0
	s_cmp_eq_u32 s10, 46
	s_cbranch_scc0 .LBB324_2012
; %bb.2011:
	v_cndmask_b32_e64 v1, 0, 1.0, s1
	s_mov_b32 s2, 0
	s_mov_b32 s12, -1
	s_delay_alu instid0(VALU_DEP_1) | instskip(NEXT) | instid1(VALU_DEP_1)
	v_bfe_u32 v5, v1, 16, 1
	v_add3_u32 v1, v1, v5, 0x7fff
	s_delay_alu instid0(VALU_DEP_1)
	v_lshrrev_b32_e32 v1, 16, v1
	global_store_b32 v[6:7], v1, off
.LBB324_2012:
	s_and_b32 vcc_lo, exec_lo, s13
	s_cbranch_vccz .LBB324_2017
; %bb.2013:
	s_cmp_eq_u32 s10, 44
	s_mov_b32 s2, -1
	s_cbranch_scc0 .LBB324_2017
; %bb.2014:
	v_cndmask_b32_e64 v8, 0, 1.0, s1
	v_mov_b32_e32 v5, 0xff
	s_mov_b32 s12, exec_lo
	s_wait_xcnt 0x0
	s_delay_alu instid0(VALU_DEP_2) | instskip(NEXT) | instid1(VALU_DEP_1)
	v_lshrrev_b32_e32 v1, 23, v8
	v_cmpx_ne_u32_e32 0xff, v1
; %bb.2015:
	v_and_b32_e32 v5, 0x400000, v8
	v_and_or_b32 v8, 0x3fffff, v8, v1
	s_delay_alu instid0(VALU_DEP_2) | instskip(NEXT) | instid1(VALU_DEP_2)
	v_cmp_ne_u32_e32 vcc_lo, 0, v5
	v_cmp_ne_u32_e64 s2, 0, v8
	s_and_b32 s2, vcc_lo, s2
	s_delay_alu instid0(SALU_CYCLE_1) | instskip(NEXT) | instid1(VALU_DEP_1)
	v_cndmask_b32_e64 v5, 0, 1, s2
	v_add_nc_u32_e32 v5, v1, v5
; %bb.2016:
	s_or_b32 exec_lo, exec_lo, s12
	s_mov_b32 s2, 0
	s_mov_b32 s12, -1
	global_store_b8 v[6:7], v5, off
.LBB324_2017:
	s_mov_b32 s13, 0
.LBB324_2018:
	s_delay_alu instid0(SALU_CYCLE_1)
	s_and_b32 vcc_lo, exec_lo, s13
	s_cbranch_vccz .LBB324_2021
; %bb.2019:
	s_cmp_eq_u32 s10, 29
	s_mov_b32 s2, -1
	s_cbranch_scc0 .LBB324_2021
; %bb.2020:
	s_mov_b32 s2, 0
	v_cndmask_b32_e64 v8, 0, 1, s1
	v_mov_b32_e32 v9, s2
	s_mov_b32 s12, -1
	global_store_b64 v[6:7], v[8:9], off
.LBB324_2021:
	s_mov_b32 s13, 0
.LBB324_2022:
	s_delay_alu instid0(SALU_CYCLE_1)
	s_and_b32 vcc_lo, exec_lo, s13
	s_cbranch_vccz .LBB324_2038
; %bb.2023:
	s_cmp_lt_i32 s10, 27
	s_mov_b32 s12, -1
	s_cbranch_scc1 .LBB324_2029
; %bb.2024:
	s_cmp_gt_i32 s10, 27
	s_cbranch_scc0 .LBB324_2026
; %bb.2025:
	s_wait_xcnt 0x0
	v_cndmask_b32_e64 v1, 0, 1, s1
	s_mov_b32 s12, 0
	global_store_b32 v[6:7], v1, off
.LBB324_2026:
	s_and_not1_b32 vcc_lo, exec_lo, s12
	s_cbranch_vccnz .LBB324_2028
; %bb.2027:
	s_wait_xcnt 0x0
	v_cndmask_b32_e64 v1, 0, 1, s1
	global_store_b16 v[6:7], v1, off
.LBB324_2028:
	s_mov_b32 s12, 0
.LBB324_2029:
	s_delay_alu instid0(SALU_CYCLE_1)
	s_and_not1_b32 vcc_lo, exec_lo, s12
	s_cbranch_vccnz .LBB324_2037
; %bb.2030:
	s_wait_xcnt 0x0
	v_cndmask_b32_e64 v5, 0, 1.0, s1
	v_mov_b32_e32 v8, 0x80
	s_mov_b32 s12, exec_lo
	s_delay_alu instid0(VALU_DEP_2)
	v_cmpx_gt_u32_e32 0x43800000, v5
	s_cbranch_execz .LBB324_2036
; %bb.2031:
	s_mov_b32 s13, 0
	s_mov_b32 s14, exec_lo
                                        ; implicit-def: $vgpr1
	v_cmpx_lt_u32_e32 0x3bffffff, v5
	s_xor_b32 s14, exec_lo, s14
	s_cbranch_execz .LBB324_2481
; %bb.2032:
	v_bfe_u32 v1, v5, 20, 1
	s_mov_b32 s13, exec_lo
	s_delay_alu instid0(VALU_DEP_1) | instskip(NEXT) | instid1(VALU_DEP_1)
	v_add3_u32 v1, v5, v1, 0x487ffff
                                        ; implicit-def: $vgpr5
	v_lshrrev_b32_e32 v1, 20, v1
	s_and_not1_saveexec_b32 s14, s14
	s_cbranch_execnz .LBB324_2482
.LBB324_2033:
	s_or_b32 exec_lo, exec_lo, s14
	v_mov_b32_e32 v8, 0
	s_and_saveexec_b32 s14, s13
.LBB324_2034:
	v_mov_b32_e32 v8, v1
.LBB324_2035:
	s_or_b32 exec_lo, exec_lo, s14
.LBB324_2036:
	s_delay_alu instid0(SALU_CYCLE_1)
	s_or_b32 exec_lo, exec_lo, s12
	global_store_b8 v[6:7], v8, off
.LBB324_2037:
	s_mov_b32 s12, -1
.LBB324_2038:
	s_mov_b32 s13, 0
.LBB324_2039:
	s_delay_alu instid0(SALU_CYCLE_1)
	s_and_b32 vcc_lo, exec_lo, s13
	s_cbranch_vccz .LBB324_2079
; %bb.2040:
	s_cmp_gt_i32 s10, 22
	s_mov_b32 s11, -1
	s_cbranch_scc0 .LBB324_2072
; %bb.2041:
	s_cmp_lt_i32 s10, 24
	s_cbranch_scc1 .LBB324_2061
; %bb.2042:
	s_cmp_gt_i32 s10, 24
	s_cbranch_scc0 .LBB324_2050
; %bb.2043:
	s_wait_xcnt 0x0
	v_cndmask_b32_e64 v5, 0, 1.0, s1
	v_mov_b32_e32 v8, 0x80
	s_mov_b32 s11, exec_lo
	s_delay_alu instid0(VALU_DEP_2)
	v_cmpx_gt_u32_e32 0x47800000, v5
	s_cbranch_execz .LBB324_2049
; %bb.2044:
	s_mov_b32 s12, 0
	s_mov_b32 s13, exec_lo
                                        ; implicit-def: $vgpr1
	v_cmpx_lt_u32_e32 0x37ffffff, v5
	s_xor_b32 s13, exec_lo, s13
	s_cbranch_execz .LBB324_2484
; %bb.2045:
	v_bfe_u32 v1, v5, 21, 1
	s_mov_b32 s12, exec_lo
	s_delay_alu instid0(VALU_DEP_1) | instskip(NEXT) | instid1(VALU_DEP_1)
	v_add3_u32 v1, v5, v1, 0x88fffff
                                        ; implicit-def: $vgpr5
	v_lshrrev_b32_e32 v1, 21, v1
	s_and_not1_saveexec_b32 s13, s13
	s_cbranch_execnz .LBB324_2485
.LBB324_2046:
	s_or_b32 exec_lo, exec_lo, s13
	v_mov_b32_e32 v8, 0
	s_and_saveexec_b32 s13, s12
.LBB324_2047:
	v_mov_b32_e32 v8, v1
.LBB324_2048:
	s_or_b32 exec_lo, exec_lo, s13
.LBB324_2049:
	s_delay_alu instid0(SALU_CYCLE_1)
	s_or_b32 exec_lo, exec_lo, s11
	s_mov_b32 s11, 0
	global_store_b8 v[6:7], v8, off
.LBB324_2050:
	s_and_b32 vcc_lo, exec_lo, s11
	s_cbranch_vccz .LBB324_2060
; %bb.2051:
	s_wait_xcnt 0x0
	v_cndmask_b32_e64 v5, 0, 1.0, s1
	s_mov_b32 s11, exec_lo
                                        ; implicit-def: $vgpr1
	s_delay_alu instid0(VALU_DEP_1)
	v_cmpx_gt_u32_e32 0x43f00000, v5
	s_xor_b32 s11, exec_lo, s11
	s_cbranch_execz .LBB324_2057
; %bb.2052:
	s_mov_b32 s12, exec_lo
                                        ; implicit-def: $vgpr1
	v_cmpx_lt_u32_e32 0x3c7fffff, v5
	s_xor_b32 s12, exec_lo, s12
; %bb.2053:
	v_bfe_u32 v1, v5, 20, 1
	s_delay_alu instid0(VALU_DEP_1) | instskip(NEXT) | instid1(VALU_DEP_1)
	v_add3_u32 v1, v5, v1, 0x407ffff
	v_and_b32_e32 v5, 0xff00000, v1
	v_lshrrev_b32_e32 v1, 20, v1
	s_delay_alu instid0(VALU_DEP_2) | instskip(NEXT) | instid1(VALU_DEP_2)
	v_cmp_ne_u32_e32 vcc_lo, 0x7f00000, v5
                                        ; implicit-def: $vgpr5
	v_cndmask_b32_e32 v1, 0x7e, v1, vcc_lo
; %bb.2054:
	s_and_not1_saveexec_b32 s12, s12
; %bb.2055:
	v_add_f32_e32 v1, 0x46800000, v5
; %bb.2056:
	s_or_b32 exec_lo, exec_lo, s12
                                        ; implicit-def: $vgpr5
.LBB324_2057:
	s_and_not1_saveexec_b32 s11, s11
; %bb.2058:
	v_mov_b32_e32 v1, 0x7f
	v_cmp_lt_u32_e32 vcc_lo, 0x7f800000, v5
	s_delay_alu instid0(VALU_DEP_2)
	v_cndmask_b32_e32 v1, 0x7e, v1, vcc_lo
; %bb.2059:
	s_or_b32 exec_lo, exec_lo, s11
	global_store_b8 v[6:7], v1, off
.LBB324_2060:
	s_mov_b32 s11, 0
.LBB324_2061:
	s_delay_alu instid0(SALU_CYCLE_1)
	s_and_not1_b32 vcc_lo, exec_lo, s11
	s_cbranch_vccnz .LBB324_2071
; %bb.2062:
	s_wait_xcnt 0x0
	v_cndmask_b32_e64 v5, 0, 1.0, s1
	s_mov_b32 s11, exec_lo
                                        ; implicit-def: $vgpr1
	s_delay_alu instid0(VALU_DEP_1)
	v_cmpx_gt_u32_e32 0x47800000, v5
	s_xor_b32 s11, exec_lo, s11
	s_cbranch_execz .LBB324_2068
; %bb.2063:
	s_mov_b32 s12, exec_lo
                                        ; implicit-def: $vgpr1
	v_cmpx_lt_u32_e32 0x387fffff, v5
	s_xor_b32 s12, exec_lo, s12
; %bb.2064:
	v_bfe_u32 v1, v5, 21, 1
	s_delay_alu instid0(VALU_DEP_1) | instskip(NEXT) | instid1(VALU_DEP_1)
	v_add3_u32 v1, v5, v1, 0x80fffff
                                        ; implicit-def: $vgpr5
	v_lshrrev_b32_e32 v1, 21, v1
; %bb.2065:
	s_and_not1_saveexec_b32 s12, s12
; %bb.2066:
	v_add_f32_e32 v1, 0x43000000, v5
; %bb.2067:
	s_or_b32 exec_lo, exec_lo, s12
                                        ; implicit-def: $vgpr5
.LBB324_2068:
	s_and_not1_saveexec_b32 s11, s11
; %bb.2069:
	v_mov_b32_e32 v1, 0x7f
	v_cmp_lt_u32_e32 vcc_lo, 0x7f800000, v5
	s_delay_alu instid0(VALU_DEP_2)
	v_cndmask_b32_e32 v1, 0x7c, v1, vcc_lo
; %bb.2070:
	s_or_b32 exec_lo, exec_lo, s11
	global_store_b8 v[6:7], v1, off
.LBB324_2071:
	s_mov_b32 s11, 0
	s_mov_b32 s12, -1
.LBB324_2072:
	s_and_not1_b32 vcc_lo, exec_lo, s11
	s_mov_b32 s11, 0
	s_cbranch_vccnz .LBB324_2079
; %bb.2073:
	s_cmp_gt_i32 s10, 14
	s_mov_b32 s11, -1
	s_cbranch_scc0 .LBB324_2077
; %bb.2074:
	s_cmp_eq_u32 s10, 15
	s_mov_b32 s2, -1
	s_cbranch_scc0 .LBB324_2076
; %bb.2075:
	s_wait_xcnt 0x0
	v_cndmask_b32_e64 v1, 0, 1.0, s1
	s_mov_b32 s2, 0
	s_mov_b32 s12, -1
	s_delay_alu instid0(VALU_DEP_1) | instskip(NEXT) | instid1(VALU_DEP_1)
	v_bfe_u32 v5, v1, 16, 1
	v_add3_u32 v1, v1, v5, 0x7fff
	global_store_d16_hi_b16 v[6:7], v1, off
.LBB324_2076:
	s_mov_b32 s11, 0
.LBB324_2077:
	s_delay_alu instid0(SALU_CYCLE_1)
	s_and_b32 vcc_lo, exec_lo, s11
	s_mov_b32 s11, 0
	s_cbranch_vccz .LBB324_2079
; %bb.2078:
	s_cmp_lg_u32 s10, 11
	s_mov_b32 s11, -1
	s_cselect_b32 s2, -1, 0
.LBB324_2079:
	s_delay_alu instid0(SALU_CYCLE_1)
	s_and_b32 vcc_lo, exec_lo, s2
	s_cbranch_vccnz .LBB324_2483
; %bb.2080:
	s_and_not1_b32 vcc_lo, exec_lo, s11
	s_cbranch_vccnz .LBB324_2082
.LBB324_2081:
	s_wait_xcnt 0x0
	v_cndmask_b32_e64 v1, 0, 1, s1
	s_mov_b32 s12, -1
	global_store_b8 v[6:7], v1, off
.LBB324_2082:
.LBB324_2083:
	s_and_not1_b32 vcc_lo, exec_lo, s12
	s_cbranch_vccz .LBB324_2123
	s_branch .LBB324_2435
.LBB324_2084:
	s_and_b32 vcc_lo, exec_lo, s2
	s_cbranch_vccz .LBB324_2083
; %bb.2085:
	s_and_b32 s2, 0xffff, s6
	s_mov_b32 s10, -1
	s_cmp_lt_i32 s2, 5
	s_cbranch_scc1 .LBB324_2106
; %bb.2086:
	s_cmp_lt_i32 s2, 8
	s_cbranch_scc1 .LBB324_2096
; %bb.2087:
	;; [unrolled: 3-line block ×3, first 2 shown]
	s_cmp_gt_i32 s2, 9
	s_cbranch_scc0 .LBB324_2090
; %bb.2089:
	s_wait_xcnt 0x0
	v_cndmask_b32_e64 v1, 0, 1, s1
	v_mov_b32_e32 v16, 0
	s_mov_b32 s10, 0
	s_delay_alu instid0(VALU_DEP_2) | instskip(NEXT) | instid1(VALU_DEP_2)
	v_cvt_f64_u32_e32 v[14:15], v1
	v_mov_b32_e32 v17, v16
	global_store_b128 v[6:7], v[14:17], off
.LBB324_2090:
	s_and_not1_b32 vcc_lo, exec_lo, s10
	s_cbranch_vccnz .LBB324_2092
; %bb.2091:
	s_wait_xcnt 0x0
	v_cndmask_b32_e64 v8, 0, 1.0, s1
	v_mov_b32_e32 v9, 0
	global_store_b64 v[6:7], v[8:9], off
.LBB324_2092:
	s_mov_b32 s10, 0
.LBB324_2093:
	s_delay_alu instid0(SALU_CYCLE_1)
	s_and_not1_b32 vcc_lo, exec_lo, s10
	s_cbranch_vccnz .LBB324_2095
; %bb.2094:
	s_wait_xcnt 0x0
	v_cndmask_b32_e64 v1, 0, 1.0, s1
	s_delay_alu instid0(VALU_DEP_1) | instskip(NEXT) | instid1(VALU_DEP_1)
	v_cvt_f16_f32_e32 v1, v1
	v_and_b32_e32 v1, 0xffff, v1
	global_store_b32 v[6:7], v1, off
.LBB324_2095:
	s_mov_b32 s10, 0
.LBB324_2096:
	s_delay_alu instid0(SALU_CYCLE_1)
	s_and_not1_b32 vcc_lo, exec_lo, s10
	s_cbranch_vccnz .LBB324_2105
; %bb.2097:
	s_cmp_lt_i32 s2, 6
	s_mov_b32 s10, -1
	s_cbranch_scc1 .LBB324_2103
; %bb.2098:
	s_cmp_gt_i32 s2, 6
	s_cbranch_scc0 .LBB324_2100
; %bb.2099:
	s_wait_xcnt 0x0
	v_cndmask_b32_e64 v1, 0, 1, s1
	s_mov_b32 s10, 0
	s_delay_alu instid0(VALU_DEP_1)
	v_cvt_f64_u32_e32 v[8:9], v1
	global_store_b64 v[6:7], v[8:9], off
.LBB324_2100:
	s_and_not1_b32 vcc_lo, exec_lo, s10
	s_cbranch_vccnz .LBB324_2102
; %bb.2101:
	s_wait_xcnt 0x0
	v_cndmask_b32_e64 v1, 0, 1.0, s1
	global_store_b32 v[6:7], v1, off
.LBB324_2102:
	s_mov_b32 s10, 0
.LBB324_2103:
	s_delay_alu instid0(SALU_CYCLE_1)
	s_and_not1_b32 vcc_lo, exec_lo, s10
	s_cbranch_vccnz .LBB324_2105
; %bb.2104:
	s_wait_xcnt 0x0
	v_cndmask_b32_e64 v1, 0, 1.0, s1
	s_delay_alu instid0(VALU_DEP_1)
	v_cvt_f16_f32_e32 v1, v1
	global_store_b16 v[6:7], v1, off
.LBB324_2105:
	s_mov_b32 s10, 0
.LBB324_2106:
	s_delay_alu instid0(SALU_CYCLE_1)
	s_and_not1_b32 vcc_lo, exec_lo, s10
	s_cbranch_vccnz .LBB324_2122
; %bb.2107:
	s_cmp_lt_i32 s2, 2
	s_mov_b32 s10, -1
	s_cbranch_scc1 .LBB324_2117
; %bb.2108:
	s_cmp_lt_i32 s2, 3
	s_cbranch_scc1 .LBB324_2114
; %bb.2109:
	s_cmp_gt_i32 s2, 3
	s_cbranch_scc0 .LBB324_2111
; %bb.2110:
	s_mov_b32 s10, 0
	s_wait_xcnt 0x0
	v_cndmask_b32_e64 v8, 0, 1, s1
	v_mov_b32_e32 v9, s10
	global_store_b64 v[6:7], v[8:9], off
.LBB324_2111:
	s_and_not1_b32 vcc_lo, exec_lo, s10
	s_cbranch_vccnz .LBB324_2113
; %bb.2112:
	s_wait_xcnt 0x0
	v_cndmask_b32_e64 v1, 0, 1, s1
	global_store_b32 v[6:7], v1, off
.LBB324_2113:
	s_mov_b32 s10, 0
.LBB324_2114:
	s_delay_alu instid0(SALU_CYCLE_1)
	s_and_not1_b32 vcc_lo, exec_lo, s10
	s_cbranch_vccnz .LBB324_2116
; %bb.2115:
	s_wait_xcnt 0x0
	v_cndmask_b32_e64 v1, 0, 1, s1
	global_store_b16 v[6:7], v1, off
.LBB324_2116:
	s_mov_b32 s10, 0
.LBB324_2117:
	s_delay_alu instid0(SALU_CYCLE_1)
	s_and_not1_b32 vcc_lo, exec_lo, s10
	s_cbranch_vccnz .LBB324_2122
; %bb.2118:
	s_wait_xcnt 0x0
	v_cndmask_b32_e64 v1, 0, 1, s1
	s_cmp_gt_i32 s2, 0
	s_mov_b32 s1, -1
	s_cbranch_scc0 .LBB324_2120
; %bb.2119:
	s_mov_b32 s1, 0
	global_store_b8 v[6:7], v1, off
.LBB324_2120:
	s_and_not1_b32 vcc_lo, exec_lo, s1
	s_cbranch_vccnz .LBB324_2122
; %bb.2121:
	global_store_b8 v[6:7], v1, off
.LBB324_2122:
.LBB324_2123:
	s_wait_xcnt 0x0
	v_and_b32_e32 v1, 0xff, v3
	s_and_b32 s10, 0xffff, s6
	s_mov_b32 s12, 0
	s_cmp_lt_i32 s10, 11
	s_mov_b32 s2, -1
	v_dual_lshlrev_b32 v3, 23, v1 :: v_dual_mov_b32 v5, 0
	v_cmp_ne_u16_e32 vcc_lo, 0xff, v1
	s_delay_alu instid0(VALU_DEP_2) | instskip(NEXT) | instid1(VALU_DEP_3)
	v_add_nc_u64_e32 v[4:5], s[4:5], v[4:5]
	v_cndmask_b32_e32 v3, 0x7f800001, v3, vcc_lo
	v_cmp_ne_u16_e32 vcc_lo, 0, v1
	s_delay_alu instid0(VALU_DEP_2) | instskip(NEXT) | instid1(VALU_DEP_1)
	v_cndmask_b32_e32 v1, 0x400000, v3, vcc_lo
	v_cmp_eq_f32_e32 vcc_lo, s7, v1
	v_cndmask_b32_e64 v3, 0, 1, vcc_lo
	v_cmp_neq_f32_e32 vcc_lo, s7, v1
	v_cndmask_b32_e64 v1, 0, 1, vcc_lo
	s_delay_alu instid0(VALU_DEP_1) | instskip(NEXT) | instid1(VALU_DEP_1)
	v_cndmask_b32_e64 v1, v1, v3, s0
	v_and_b32_e32 v1, 1, v1
	s_delay_alu instid0(VALU_DEP_1)
	v_cmp_eq_u32_e64 s1, 1, v1
	s_cbranch_scc1 .LBB324_2202
; %bb.2124:
	s_mov_b32 s13, -1
	s_mov_b32 s11, 0
	s_cmp_gt_i32 s10, 25
	s_mov_b32 s2, 0
	s_cbranch_scc0 .LBB324_2157
; %bb.2125:
	s_cmp_gt_i32 s10, 28
	s_cbranch_scc0 .LBB324_2140
; %bb.2126:
	s_cmp_gt_i32 s10, 43
	s_cbranch_scc0 .LBB324_2136
; %bb.2127:
	s_cmp_gt_i32 s10, 45
	s_cbranch_scc0 .LBB324_2130
; %bb.2128:
	s_mov_b32 s2, -1
	s_mov_b32 s13, 0
	s_cmp_eq_u32 s10, 46
	s_cbranch_scc0 .LBB324_2130
; %bb.2129:
	v_cndmask_b32_e64 v1, 0, 1.0, s1
	s_mov_b32 s2, 0
	s_mov_b32 s12, -1
	s_delay_alu instid0(VALU_DEP_1) | instskip(NEXT) | instid1(VALU_DEP_1)
	v_bfe_u32 v3, v1, 16, 1
	v_add3_u32 v1, v1, v3, 0x7fff
	s_delay_alu instid0(VALU_DEP_1)
	v_lshrrev_b32_e32 v1, 16, v1
	global_store_b32 v[4:5], v1, off
.LBB324_2130:
	s_and_b32 vcc_lo, exec_lo, s13
	s_cbranch_vccz .LBB324_2135
; %bb.2131:
	s_cmp_eq_u32 s10, 44
	s_mov_b32 s2, -1
	s_cbranch_scc0 .LBB324_2135
; %bb.2132:
	v_cndmask_b32_e64 v6, 0, 1.0, s1
	v_mov_b32_e32 v3, 0xff
	s_mov_b32 s12, exec_lo
	s_wait_xcnt 0x0
	s_delay_alu instid0(VALU_DEP_2) | instskip(NEXT) | instid1(VALU_DEP_1)
	v_lshrrev_b32_e32 v1, 23, v6
	v_cmpx_ne_u32_e32 0xff, v1
; %bb.2133:
	v_and_b32_e32 v3, 0x400000, v6
	v_and_or_b32 v6, 0x3fffff, v6, v1
	s_delay_alu instid0(VALU_DEP_2) | instskip(NEXT) | instid1(VALU_DEP_2)
	v_cmp_ne_u32_e32 vcc_lo, 0, v3
	v_cmp_ne_u32_e64 s2, 0, v6
	s_and_b32 s2, vcc_lo, s2
	s_delay_alu instid0(SALU_CYCLE_1) | instskip(NEXT) | instid1(VALU_DEP_1)
	v_cndmask_b32_e64 v3, 0, 1, s2
	v_add_nc_u32_e32 v3, v1, v3
; %bb.2134:
	s_or_b32 exec_lo, exec_lo, s12
	s_mov_b32 s2, 0
	s_mov_b32 s12, -1
	global_store_b8 v[4:5], v3, off
.LBB324_2135:
	s_mov_b32 s13, 0
.LBB324_2136:
	s_delay_alu instid0(SALU_CYCLE_1)
	s_and_b32 vcc_lo, exec_lo, s13
	s_cbranch_vccz .LBB324_2139
; %bb.2137:
	s_cmp_eq_u32 s10, 29
	s_mov_b32 s2, -1
	s_cbranch_scc0 .LBB324_2139
; %bb.2138:
	s_mov_b32 s2, 0
	v_cndmask_b32_e64 v6, 0, 1, s1
	v_mov_b32_e32 v7, s2
	s_mov_b32 s12, -1
	global_store_b64 v[4:5], v[6:7], off
.LBB324_2139:
	s_mov_b32 s13, 0
.LBB324_2140:
	s_delay_alu instid0(SALU_CYCLE_1)
	s_and_b32 vcc_lo, exec_lo, s13
	s_cbranch_vccz .LBB324_2156
; %bb.2141:
	s_cmp_lt_i32 s10, 27
	s_mov_b32 s12, -1
	s_cbranch_scc1 .LBB324_2147
; %bb.2142:
	s_cmp_gt_i32 s10, 27
	s_cbranch_scc0 .LBB324_2144
; %bb.2143:
	s_wait_xcnt 0x0
	v_cndmask_b32_e64 v1, 0, 1, s1
	s_mov_b32 s12, 0
	global_store_b32 v[4:5], v1, off
.LBB324_2144:
	s_and_not1_b32 vcc_lo, exec_lo, s12
	s_cbranch_vccnz .LBB324_2146
; %bb.2145:
	s_wait_xcnt 0x0
	v_cndmask_b32_e64 v1, 0, 1, s1
	global_store_b16 v[4:5], v1, off
.LBB324_2146:
	s_mov_b32 s12, 0
.LBB324_2147:
	s_delay_alu instid0(SALU_CYCLE_1)
	s_and_not1_b32 vcc_lo, exec_lo, s12
	s_cbranch_vccnz .LBB324_2155
; %bb.2148:
	s_wait_xcnt 0x0
	v_cndmask_b32_e64 v3, 0, 1.0, s1
	v_mov_b32_e32 v6, 0x80
	s_mov_b32 s12, exec_lo
	s_delay_alu instid0(VALU_DEP_2)
	v_cmpx_gt_u32_e32 0x43800000, v3
	s_cbranch_execz .LBB324_2154
; %bb.2149:
	s_mov_b32 s13, 0
	s_mov_b32 s14, exec_lo
                                        ; implicit-def: $vgpr1
	v_cmpx_lt_u32_e32 0x3bffffff, v3
	s_xor_b32 s14, exec_lo, s14
	s_cbranch_execz .LBB324_2486
; %bb.2150:
	v_bfe_u32 v1, v3, 20, 1
	s_mov_b32 s13, exec_lo
	s_delay_alu instid0(VALU_DEP_1) | instskip(NEXT) | instid1(VALU_DEP_1)
	v_add3_u32 v1, v3, v1, 0x487ffff
                                        ; implicit-def: $vgpr3
	v_lshrrev_b32_e32 v1, 20, v1
	s_and_not1_saveexec_b32 s14, s14
	s_cbranch_execnz .LBB324_2487
.LBB324_2151:
	s_or_b32 exec_lo, exec_lo, s14
	v_mov_b32_e32 v6, 0
	s_and_saveexec_b32 s14, s13
.LBB324_2152:
	v_mov_b32_e32 v6, v1
.LBB324_2153:
	s_or_b32 exec_lo, exec_lo, s14
.LBB324_2154:
	s_delay_alu instid0(SALU_CYCLE_1)
	s_or_b32 exec_lo, exec_lo, s12
	global_store_b8 v[4:5], v6, off
.LBB324_2155:
	s_mov_b32 s12, -1
.LBB324_2156:
	s_mov_b32 s13, 0
.LBB324_2157:
	s_delay_alu instid0(SALU_CYCLE_1)
	s_and_b32 vcc_lo, exec_lo, s13
	s_cbranch_vccz .LBB324_2197
; %bb.2158:
	s_cmp_gt_i32 s10, 22
	s_mov_b32 s11, -1
	s_cbranch_scc0 .LBB324_2190
; %bb.2159:
	s_cmp_lt_i32 s10, 24
	s_cbranch_scc1 .LBB324_2179
; %bb.2160:
	s_cmp_gt_i32 s10, 24
	s_cbranch_scc0 .LBB324_2168
; %bb.2161:
	s_wait_xcnt 0x0
	v_cndmask_b32_e64 v3, 0, 1.0, s1
	v_mov_b32_e32 v6, 0x80
	s_mov_b32 s11, exec_lo
	s_delay_alu instid0(VALU_DEP_2)
	v_cmpx_gt_u32_e32 0x47800000, v3
	s_cbranch_execz .LBB324_2167
; %bb.2162:
	s_mov_b32 s12, 0
	s_mov_b32 s13, exec_lo
                                        ; implicit-def: $vgpr1
	v_cmpx_lt_u32_e32 0x37ffffff, v3
	s_xor_b32 s13, exec_lo, s13
	s_cbranch_execz .LBB324_2489
; %bb.2163:
	v_bfe_u32 v1, v3, 21, 1
	s_mov_b32 s12, exec_lo
	s_delay_alu instid0(VALU_DEP_1) | instskip(NEXT) | instid1(VALU_DEP_1)
	v_add3_u32 v1, v3, v1, 0x88fffff
                                        ; implicit-def: $vgpr3
	v_lshrrev_b32_e32 v1, 21, v1
	s_and_not1_saveexec_b32 s13, s13
	s_cbranch_execnz .LBB324_2490
.LBB324_2164:
	s_or_b32 exec_lo, exec_lo, s13
	v_mov_b32_e32 v6, 0
	s_and_saveexec_b32 s13, s12
.LBB324_2165:
	v_mov_b32_e32 v6, v1
.LBB324_2166:
	s_or_b32 exec_lo, exec_lo, s13
.LBB324_2167:
	s_delay_alu instid0(SALU_CYCLE_1)
	s_or_b32 exec_lo, exec_lo, s11
	s_mov_b32 s11, 0
	global_store_b8 v[4:5], v6, off
.LBB324_2168:
	s_and_b32 vcc_lo, exec_lo, s11
	s_cbranch_vccz .LBB324_2178
; %bb.2169:
	s_wait_xcnt 0x0
	v_cndmask_b32_e64 v3, 0, 1.0, s1
	s_mov_b32 s11, exec_lo
                                        ; implicit-def: $vgpr1
	s_delay_alu instid0(VALU_DEP_1)
	v_cmpx_gt_u32_e32 0x43f00000, v3
	s_xor_b32 s11, exec_lo, s11
	s_cbranch_execz .LBB324_2175
; %bb.2170:
	s_mov_b32 s12, exec_lo
                                        ; implicit-def: $vgpr1
	v_cmpx_lt_u32_e32 0x3c7fffff, v3
	s_xor_b32 s12, exec_lo, s12
; %bb.2171:
	v_bfe_u32 v1, v3, 20, 1
	s_delay_alu instid0(VALU_DEP_1) | instskip(NEXT) | instid1(VALU_DEP_1)
	v_add3_u32 v1, v3, v1, 0x407ffff
	v_and_b32_e32 v3, 0xff00000, v1
	v_lshrrev_b32_e32 v1, 20, v1
	s_delay_alu instid0(VALU_DEP_2) | instskip(NEXT) | instid1(VALU_DEP_2)
	v_cmp_ne_u32_e32 vcc_lo, 0x7f00000, v3
                                        ; implicit-def: $vgpr3
	v_cndmask_b32_e32 v1, 0x7e, v1, vcc_lo
; %bb.2172:
	s_and_not1_saveexec_b32 s12, s12
; %bb.2173:
	v_add_f32_e32 v1, 0x46800000, v3
; %bb.2174:
	s_or_b32 exec_lo, exec_lo, s12
                                        ; implicit-def: $vgpr3
.LBB324_2175:
	s_and_not1_saveexec_b32 s11, s11
; %bb.2176:
	v_mov_b32_e32 v1, 0x7f
	v_cmp_lt_u32_e32 vcc_lo, 0x7f800000, v3
	s_delay_alu instid0(VALU_DEP_2)
	v_cndmask_b32_e32 v1, 0x7e, v1, vcc_lo
; %bb.2177:
	s_or_b32 exec_lo, exec_lo, s11
	global_store_b8 v[4:5], v1, off
.LBB324_2178:
	s_mov_b32 s11, 0
.LBB324_2179:
	s_delay_alu instid0(SALU_CYCLE_1)
	s_and_not1_b32 vcc_lo, exec_lo, s11
	s_cbranch_vccnz .LBB324_2189
; %bb.2180:
	s_wait_xcnt 0x0
	v_cndmask_b32_e64 v3, 0, 1.0, s1
	s_mov_b32 s11, exec_lo
                                        ; implicit-def: $vgpr1
	s_delay_alu instid0(VALU_DEP_1)
	v_cmpx_gt_u32_e32 0x47800000, v3
	s_xor_b32 s11, exec_lo, s11
	s_cbranch_execz .LBB324_2186
; %bb.2181:
	s_mov_b32 s12, exec_lo
                                        ; implicit-def: $vgpr1
	v_cmpx_lt_u32_e32 0x387fffff, v3
	s_xor_b32 s12, exec_lo, s12
; %bb.2182:
	v_bfe_u32 v1, v3, 21, 1
	s_delay_alu instid0(VALU_DEP_1) | instskip(NEXT) | instid1(VALU_DEP_1)
	v_add3_u32 v1, v3, v1, 0x80fffff
                                        ; implicit-def: $vgpr3
	v_lshrrev_b32_e32 v1, 21, v1
; %bb.2183:
	s_and_not1_saveexec_b32 s12, s12
; %bb.2184:
	v_add_f32_e32 v1, 0x43000000, v3
; %bb.2185:
	s_or_b32 exec_lo, exec_lo, s12
                                        ; implicit-def: $vgpr3
.LBB324_2186:
	s_and_not1_saveexec_b32 s11, s11
; %bb.2187:
	v_mov_b32_e32 v1, 0x7f
	v_cmp_lt_u32_e32 vcc_lo, 0x7f800000, v3
	s_delay_alu instid0(VALU_DEP_2)
	v_cndmask_b32_e32 v1, 0x7c, v1, vcc_lo
; %bb.2188:
	s_or_b32 exec_lo, exec_lo, s11
	global_store_b8 v[4:5], v1, off
.LBB324_2189:
	s_mov_b32 s11, 0
	s_mov_b32 s12, -1
.LBB324_2190:
	s_and_not1_b32 vcc_lo, exec_lo, s11
	s_mov_b32 s11, 0
	s_cbranch_vccnz .LBB324_2197
; %bb.2191:
	s_cmp_gt_i32 s10, 14
	s_mov_b32 s11, -1
	s_cbranch_scc0 .LBB324_2195
; %bb.2192:
	s_cmp_eq_u32 s10, 15
	s_mov_b32 s2, -1
	s_cbranch_scc0 .LBB324_2194
; %bb.2193:
	s_wait_xcnt 0x0
	v_cndmask_b32_e64 v1, 0, 1.0, s1
	s_mov_b32 s2, 0
	s_mov_b32 s12, -1
	s_delay_alu instid0(VALU_DEP_1) | instskip(NEXT) | instid1(VALU_DEP_1)
	v_bfe_u32 v3, v1, 16, 1
	v_add3_u32 v1, v1, v3, 0x7fff
	global_store_d16_hi_b16 v[4:5], v1, off
.LBB324_2194:
	s_mov_b32 s11, 0
.LBB324_2195:
	s_delay_alu instid0(SALU_CYCLE_1)
	s_and_b32 vcc_lo, exec_lo, s11
	s_mov_b32 s11, 0
	s_cbranch_vccz .LBB324_2197
; %bb.2196:
	s_cmp_lg_u32 s10, 11
	s_mov_b32 s11, -1
	s_cselect_b32 s2, -1, 0
.LBB324_2197:
	s_delay_alu instid0(SALU_CYCLE_1)
	s_and_b32 vcc_lo, exec_lo, s2
	s_cbranch_vccnz .LBB324_2488
; %bb.2198:
	s_and_not1_b32 vcc_lo, exec_lo, s11
	s_cbranch_vccnz .LBB324_2200
.LBB324_2199:
	s_wait_xcnt 0x0
	v_cndmask_b32_e64 v1, 0, 1, s1
	s_mov_b32 s12, -1
	global_store_b8 v[4:5], v1, off
.LBB324_2200:
.LBB324_2201:
	s_and_not1_b32 vcc_lo, exec_lo, s12
	s_cbranch_vccz .LBB324_2241
	s_branch .LBB324_2435
.LBB324_2202:
	s_and_b32 vcc_lo, exec_lo, s2
	s_cbranch_vccz .LBB324_2201
; %bb.2203:
	s_cmp_lt_i32 s10, 5
	s_mov_b32 s2, -1
	s_cbranch_scc1 .LBB324_2224
; %bb.2204:
	s_cmp_lt_i32 s10, 8
	s_cbranch_scc1 .LBB324_2214
; %bb.2205:
	s_cmp_lt_i32 s10, 9
	s_cbranch_scc1 .LBB324_2211
; %bb.2206:
	s_cmp_gt_i32 s10, 9
	s_cbranch_scc0 .LBB324_2208
; %bb.2207:
	s_wait_xcnt 0x0
	v_cndmask_b32_e64 v1, 0, 1, s1
	v_mov_b32_e32 v8, 0
	s_mov_b32 s2, 0
	s_delay_alu instid0(VALU_DEP_2) | instskip(NEXT) | instid1(VALU_DEP_2)
	v_cvt_f64_u32_e32 v[6:7], v1
	v_mov_b32_e32 v9, v8
	global_store_b128 v[4:5], v[6:9], off
.LBB324_2208:
	s_and_not1_b32 vcc_lo, exec_lo, s2
	s_cbranch_vccnz .LBB324_2210
; %bb.2209:
	s_wait_xcnt 0x0
	v_cndmask_b32_e64 v6, 0, 1.0, s1
	v_mov_b32_e32 v7, 0
	global_store_b64 v[4:5], v[6:7], off
.LBB324_2210:
	s_mov_b32 s2, 0
.LBB324_2211:
	s_delay_alu instid0(SALU_CYCLE_1)
	s_and_not1_b32 vcc_lo, exec_lo, s2
	s_cbranch_vccnz .LBB324_2213
; %bb.2212:
	s_wait_xcnt 0x0
	v_cndmask_b32_e64 v1, 0, 1.0, s1
	s_delay_alu instid0(VALU_DEP_1) | instskip(NEXT) | instid1(VALU_DEP_1)
	v_cvt_f16_f32_e32 v1, v1
	v_and_b32_e32 v1, 0xffff, v1
	global_store_b32 v[4:5], v1, off
.LBB324_2213:
	s_mov_b32 s2, 0
.LBB324_2214:
	s_delay_alu instid0(SALU_CYCLE_1)
	s_and_not1_b32 vcc_lo, exec_lo, s2
	s_cbranch_vccnz .LBB324_2223
; %bb.2215:
	s_cmp_lt_i32 s10, 6
	s_mov_b32 s2, -1
	s_cbranch_scc1 .LBB324_2221
; %bb.2216:
	s_cmp_gt_i32 s10, 6
	s_cbranch_scc0 .LBB324_2218
; %bb.2217:
	s_wait_xcnt 0x0
	v_cndmask_b32_e64 v1, 0, 1, s1
	s_mov_b32 s2, 0
	s_delay_alu instid0(VALU_DEP_1)
	v_cvt_f64_u32_e32 v[6:7], v1
	global_store_b64 v[4:5], v[6:7], off
.LBB324_2218:
	s_and_not1_b32 vcc_lo, exec_lo, s2
	s_cbranch_vccnz .LBB324_2220
; %bb.2219:
	s_wait_xcnt 0x0
	v_cndmask_b32_e64 v1, 0, 1.0, s1
	global_store_b32 v[4:5], v1, off
.LBB324_2220:
	s_mov_b32 s2, 0
.LBB324_2221:
	s_delay_alu instid0(SALU_CYCLE_1)
	s_and_not1_b32 vcc_lo, exec_lo, s2
	s_cbranch_vccnz .LBB324_2223
; %bb.2222:
	s_wait_xcnt 0x0
	v_cndmask_b32_e64 v1, 0, 1.0, s1
	s_delay_alu instid0(VALU_DEP_1)
	v_cvt_f16_f32_e32 v1, v1
	global_store_b16 v[4:5], v1, off
.LBB324_2223:
	s_mov_b32 s2, 0
.LBB324_2224:
	s_delay_alu instid0(SALU_CYCLE_1)
	s_and_not1_b32 vcc_lo, exec_lo, s2
	s_cbranch_vccnz .LBB324_2240
; %bb.2225:
	s_cmp_lt_i32 s10, 2
	s_mov_b32 s2, -1
	s_cbranch_scc1 .LBB324_2235
; %bb.2226:
	s_cmp_lt_i32 s10, 3
	s_cbranch_scc1 .LBB324_2232
; %bb.2227:
	s_cmp_gt_i32 s10, 3
	s_cbranch_scc0 .LBB324_2229
; %bb.2228:
	s_mov_b32 s2, 0
	s_wait_xcnt 0x0
	v_cndmask_b32_e64 v6, 0, 1, s1
	v_mov_b32_e32 v7, s2
	global_store_b64 v[4:5], v[6:7], off
.LBB324_2229:
	s_and_not1_b32 vcc_lo, exec_lo, s2
	s_cbranch_vccnz .LBB324_2231
; %bb.2230:
	s_wait_xcnt 0x0
	v_cndmask_b32_e64 v1, 0, 1, s1
	global_store_b32 v[4:5], v1, off
.LBB324_2231:
	s_mov_b32 s2, 0
.LBB324_2232:
	s_delay_alu instid0(SALU_CYCLE_1)
	s_and_not1_b32 vcc_lo, exec_lo, s2
	s_cbranch_vccnz .LBB324_2234
; %bb.2233:
	s_wait_xcnt 0x0
	v_cndmask_b32_e64 v1, 0, 1, s1
	global_store_b16 v[4:5], v1, off
.LBB324_2234:
	s_mov_b32 s2, 0
.LBB324_2235:
	s_delay_alu instid0(SALU_CYCLE_1)
	s_and_not1_b32 vcc_lo, exec_lo, s2
	s_cbranch_vccnz .LBB324_2240
; %bb.2236:
	s_wait_xcnt 0x0
	v_cndmask_b32_e64 v1, 0, 1, s1
	s_cmp_gt_i32 s10, 0
	s_mov_b32 s1, -1
	s_cbranch_scc0 .LBB324_2238
; %bb.2237:
	s_mov_b32 s1, 0
	global_store_b8 v[4:5], v1, off
.LBB324_2238:
	s_and_not1_b32 vcc_lo, exec_lo, s1
	s_cbranch_vccnz .LBB324_2240
; %bb.2239:
	global_store_b8 v[4:5], v1, off
.LBB324_2240:
.LBB324_2241:
	s_wait_xcnt 0x0
	v_and_b32_e32 v1, 0xff, v12
	s_mov_b32 s12, 0
	s_cmp_lt_i32 s10, 11
	s_mov_b32 s2, -1
	s_delay_alu instid0(VALU_DEP_1) | instskip(SKIP_1) | instid1(VALU_DEP_2)
	v_lshlrev_b32_e32 v3, 23, v1
	v_cmp_ne_u16_e32 vcc_lo, 0xff, v1
	v_cndmask_b32_e32 v3, 0x7f800001, v3, vcc_lo
	v_cmp_ne_u16_e32 vcc_lo, 0, v1
	s_delay_alu instid0(VALU_DEP_2) | instskip(NEXT) | instid1(VALU_DEP_1)
	v_cndmask_b32_e32 v1, 0x400000, v3, vcc_lo
	v_cmp_eq_f32_e32 vcc_lo, s7, v1
	v_cndmask_b32_e64 v3, 0, 1, vcc_lo
	v_cmp_neq_f32_e32 vcc_lo, s7, v1
	v_cndmask_b32_e64 v1, 0, 1, vcc_lo
	s_delay_alu instid0(VALU_DEP_1) | instskip(NEXT) | instid1(VALU_DEP_1)
	v_dual_cndmask_b32 v1, v1, v3, s0 :: v_dual_mov_b32 v3, 0
	v_and_b32_e32 v1, 1, v1
	s_delay_alu instid0(VALU_DEP_2) | instskip(NEXT) | instid1(VALU_DEP_2)
	v_add_nc_u64_e32 v[2:3], s[4:5], v[2:3]
	v_cmp_eq_u32_e64 s1, 1, v1
	s_cbranch_scc1 .LBB324_2396
; %bb.2242:
	s_mov_b32 s13, -1
	s_mov_b32 s11, 0
	s_cmp_gt_i32 s10, 25
	s_mov_b32 s2, 0
	s_cbranch_scc0 .LBB324_2275
; %bb.2243:
	s_cmp_gt_i32 s10, 28
	s_cbranch_scc0 .LBB324_2258
; %bb.2244:
	s_cmp_gt_i32 s10, 43
	;; [unrolled: 3-line block ×3, first 2 shown]
	s_cbranch_scc0 .LBB324_2248
; %bb.2246:
	s_mov_b32 s2, -1
	s_mov_b32 s13, 0
	s_cmp_eq_u32 s10, 46
	s_cbranch_scc0 .LBB324_2248
; %bb.2247:
	v_cndmask_b32_e64 v1, 0, 1.0, s1
	s_mov_b32 s2, 0
	s_mov_b32 s12, -1
	s_delay_alu instid0(VALU_DEP_1) | instskip(NEXT) | instid1(VALU_DEP_1)
	v_bfe_u32 v4, v1, 16, 1
	v_add3_u32 v1, v1, v4, 0x7fff
	s_delay_alu instid0(VALU_DEP_1)
	v_lshrrev_b32_e32 v1, 16, v1
	global_store_b32 v[2:3], v1, off
.LBB324_2248:
	s_and_b32 vcc_lo, exec_lo, s13
	s_cbranch_vccz .LBB324_2253
; %bb.2249:
	s_cmp_eq_u32 s10, 44
	s_mov_b32 s2, -1
	s_cbranch_scc0 .LBB324_2253
; %bb.2250:
	v_cndmask_b32_e64 v5, 0, 1.0, s1
	s_mov_b32 s12, exec_lo
	s_wait_xcnt 0x0
	s_delay_alu instid0(VALU_DEP_1) | instskip(NEXT) | instid1(VALU_DEP_1)
	v_dual_mov_b32 v4, 0xff :: v_dual_lshrrev_b32 v1, 23, v5
	v_cmpx_ne_u32_e32 0xff, v1
; %bb.2251:
	v_and_b32_e32 v4, 0x400000, v5
	v_and_or_b32 v5, 0x3fffff, v5, v1
	s_delay_alu instid0(VALU_DEP_2) | instskip(NEXT) | instid1(VALU_DEP_2)
	v_cmp_ne_u32_e32 vcc_lo, 0, v4
	v_cmp_ne_u32_e64 s2, 0, v5
	s_and_b32 s2, vcc_lo, s2
	s_delay_alu instid0(SALU_CYCLE_1) | instskip(NEXT) | instid1(VALU_DEP_1)
	v_cndmask_b32_e64 v4, 0, 1, s2
	v_add_nc_u32_e32 v4, v1, v4
; %bb.2252:
	s_or_b32 exec_lo, exec_lo, s12
	s_mov_b32 s2, 0
	s_mov_b32 s12, -1
	global_store_b8 v[2:3], v4, off
.LBB324_2253:
	s_mov_b32 s13, 0
.LBB324_2254:
	s_delay_alu instid0(SALU_CYCLE_1)
	s_and_b32 vcc_lo, exec_lo, s13
	s_cbranch_vccz .LBB324_2257
; %bb.2255:
	s_cmp_eq_u32 s10, 29
	s_mov_b32 s2, -1
	s_cbranch_scc0 .LBB324_2257
; %bb.2256:
	s_mov_b32 s2, 0
	s_wait_xcnt 0x0
	v_cndmask_b32_e64 v4, 0, 1, s1
	v_mov_b32_e32 v5, s2
	s_mov_b32 s12, -1
	global_store_b64 v[2:3], v[4:5], off
.LBB324_2257:
	s_mov_b32 s13, 0
.LBB324_2258:
	s_delay_alu instid0(SALU_CYCLE_1)
	s_and_b32 vcc_lo, exec_lo, s13
	s_cbranch_vccz .LBB324_2274
; %bb.2259:
	s_cmp_lt_i32 s10, 27
	s_mov_b32 s12, -1
	s_cbranch_scc1 .LBB324_2265
; %bb.2260:
	s_cmp_gt_i32 s10, 27
	s_cbranch_scc0 .LBB324_2262
; %bb.2261:
	s_wait_xcnt 0x0
	v_cndmask_b32_e64 v1, 0, 1, s1
	s_mov_b32 s12, 0
	global_store_b32 v[2:3], v1, off
.LBB324_2262:
	s_and_not1_b32 vcc_lo, exec_lo, s12
	s_cbranch_vccnz .LBB324_2264
; %bb.2263:
	s_wait_xcnt 0x0
	v_cndmask_b32_e64 v1, 0, 1, s1
	global_store_b16 v[2:3], v1, off
.LBB324_2264:
	s_mov_b32 s12, 0
.LBB324_2265:
	s_delay_alu instid0(SALU_CYCLE_1)
	s_and_not1_b32 vcc_lo, exec_lo, s12
	s_cbranch_vccnz .LBB324_2273
; %bb.2266:
	s_wait_xcnt 0x0
	v_cndmask_b32_e64 v4, 0, 1.0, s1
	v_mov_b32_e32 v5, 0x80
	s_mov_b32 s12, exec_lo
	s_delay_alu instid0(VALU_DEP_2)
	v_cmpx_gt_u32_e32 0x43800000, v4
	s_cbranch_execz .LBB324_2272
; %bb.2267:
	s_mov_b32 s13, 0
	s_mov_b32 s14, exec_lo
                                        ; implicit-def: $vgpr1
	v_cmpx_lt_u32_e32 0x3bffffff, v4
	s_xor_b32 s14, exec_lo, s14
	s_cbranch_execz .LBB324_2491
; %bb.2268:
	v_bfe_u32 v1, v4, 20, 1
	s_mov_b32 s13, exec_lo
	s_delay_alu instid0(VALU_DEP_1) | instskip(NEXT) | instid1(VALU_DEP_1)
	v_add3_u32 v1, v4, v1, 0x487ffff
                                        ; implicit-def: $vgpr4
	v_lshrrev_b32_e32 v1, 20, v1
	s_and_not1_saveexec_b32 s14, s14
	s_cbranch_execnz .LBB324_2492
.LBB324_2269:
	s_or_b32 exec_lo, exec_lo, s14
	v_mov_b32_e32 v5, 0
	s_and_saveexec_b32 s14, s13
.LBB324_2270:
	v_mov_b32_e32 v5, v1
.LBB324_2271:
	s_or_b32 exec_lo, exec_lo, s14
.LBB324_2272:
	s_delay_alu instid0(SALU_CYCLE_1)
	s_or_b32 exec_lo, exec_lo, s12
	global_store_b8 v[2:3], v5, off
.LBB324_2273:
	s_mov_b32 s12, -1
.LBB324_2274:
	s_mov_b32 s13, 0
.LBB324_2275:
	s_delay_alu instid0(SALU_CYCLE_1)
	s_and_b32 vcc_lo, exec_lo, s13
	s_cbranch_vccz .LBB324_2315
; %bb.2276:
	s_cmp_gt_i32 s10, 22
	s_mov_b32 s11, -1
	s_cbranch_scc0 .LBB324_2308
; %bb.2277:
	s_cmp_lt_i32 s10, 24
	s_cbranch_scc1 .LBB324_2297
; %bb.2278:
	s_cmp_gt_i32 s10, 24
	s_cbranch_scc0 .LBB324_2286
; %bb.2279:
	s_wait_xcnt 0x0
	v_cndmask_b32_e64 v4, 0, 1.0, s1
	v_mov_b32_e32 v5, 0x80
	s_mov_b32 s11, exec_lo
	s_delay_alu instid0(VALU_DEP_2)
	v_cmpx_gt_u32_e32 0x47800000, v4
	s_cbranch_execz .LBB324_2285
; %bb.2280:
	s_mov_b32 s12, 0
	s_mov_b32 s13, exec_lo
                                        ; implicit-def: $vgpr1
	v_cmpx_lt_u32_e32 0x37ffffff, v4
	s_xor_b32 s13, exec_lo, s13
	s_cbranch_execz .LBB324_2494
; %bb.2281:
	v_bfe_u32 v1, v4, 21, 1
	s_mov_b32 s12, exec_lo
	s_delay_alu instid0(VALU_DEP_1) | instskip(NEXT) | instid1(VALU_DEP_1)
	v_add3_u32 v1, v4, v1, 0x88fffff
                                        ; implicit-def: $vgpr4
	v_lshrrev_b32_e32 v1, 21, v1
	s_and_not1_saveexec_b32 s13, s13
	s_cbranch_execnz .LBB324_2495
.LBB324_2282:
	s_or_b32 exec_lo, exec_lo, s13
	v_mov_b32_e32 v5, 0
	s_and_saveexec_b32 s13, s12
.LBB324_2283:
	v_mov_b32_e32 v5, v1
.LBB324_2284:
	s_or_b32 exec_lo, exec_lo, s13
.LBB324_2285:
	s_delay_alu instid0(SALU_CYCLE_1)
	s_or_b32 exec_lo, exec_lo, s11
	s_mov_b32 s11, 0
	global_store_b8 v[2:3], v5, off
.LBB324_2286:
	s_and_b32 vcc_lo, exec_lo, s11
	s_cbranch_vccz .LBB324_2296
; %bb.2287:
	s_wait_xcnt 0x0
	v_cndmask_b32_e64 v4, 0, 1.0, s1
	s_mov_b32 s11, exec_lo
                                        ; implicit-def: $vgpr1
	s_delay_alu instid0(VALU_DEP_1)
	v_cmpx_gt_u32_e32 0x43f00000, v4
	s_xor_b32 s11, exec_lo, s11
	s_cbranch_execz .LBB324_2293
; %bb.2288:
	s_mov_b32 s12, exec_lo
                                        ; implicit-def: $vgpr1
	v_cmpx_lt_u32_e32 0x3c7fffff, v4
	s_xor_b32 s12, exec_lo, s12
; %bb.2289:
	v_bfe_u32 v1, v4, 20, 1
	s_delay_alu instid0(VALU_DEP_1) | instskip(NEXT) | instid1(VALU_DEP_1)
	v_add3_u32 v1, v4, v1, 0x407ffff
	v_and_b32_e32 v4, 0xff00000, v1
	v_lshrrev_b32_e32 v1, 20, v1
	s_delay_alu instid0(VALU_DEP_2) | instskip(NEXT) | instid1(VALU_DEP_2)
	v_cmp_ne_u32_e32 vcc_lo, 0x7f00000, v4
                                        ; implicit-def: $vgpr4
	v_cndmask_b32_e32 v1, 0x7e, v1, vcc_lo
; %bb.2290:
	s_and_not1_saveexec_b32 s12, s12
; %bb.2291:
	v_add_f32_e32 v1, 0x46800000, v4
; %bb.2292:
	s_or_b32 exec_lo, exec_lo, s12
                                        ; implicit-def: $vgpr4
.LBB324_2293:
	s_and_not1_saveexec_b32 s11, s11
; %bb.2294:
	v_mov_b32_e32 v1, 0x7f
	v_cmp_lt_u32_e32 vcc_lo, 0x7f800000, v4
	s_delay_alu instid0(VALU_DEP_2)
	v_cndmask_b32_e32 v1, 0x7e, v1, vcc_lo
; %bb.2295:
	s_or_b32 exec_lo, exec_lo, s11
	global_store_b8 v[2:3], v1, off
.LBB324_2296:
	s_mov_b32 s11, 0
.LBB324_2297:
	s_delay_alu instid0(SALU_CYCLE_1)
	s_and_not1_b32 vcc_lo, exec_lo, s11
	s_cbranch_vccnz .LBB324_2307
; %bb.2298:
	s_wait_xcnt 0x0
	v_cndmask_b32_e64 v4, 0, 1.0, s1
	s_mov_b32 s11, exec_lo
                                        ; implicit-def: $vgpr1
	s_delay_alu instid0(VALU_DEP_1)
	v_cmpx_gt_u32_e32 0x47800000, v4
	s_xor_b32 s11, exec_lo, s11
	s_cbranch_execz .LBB324_2304
; %bb.2299:
	s_mov_b32 s12, exec_lo
                                        ; implicit-def: $vgpr1
	v_cmpx_lt_u32_e32 0x387fffff, v4
	s_xor_b32 s12, exec_lo, s12
; %bb.2300:
	v_bfe_u32 v1, v4, 21, 1
	s_delay_alu instid0(VALU_DEP_1) | instskip(NEXT) | instid1(VALU_DEP_1)
	v_add3_u32 v1, v4, v1, 0x80fffff
                                        ; implicit-def: $vgpr4
	v_lshrrev_b32_e32 v1, 21, v1
; %bb.2301:
	s_and_not1_saveexec_b32 s12, s12
; %bb.2302:
	v_add_f32_e32 v1, 0x43000000, v4
; %bb.2303:
	s_or_b32 exec_lo, exec_lo, s12
                                        ; implicit-def: $vgpr4
.LBB324_2304:
	s_and_not1_saveexec_b32 s11, s11
; %bb.2305:
	v_mov_b32_e32 v1, 0x7f
	v_cmp_lt_u32_e32 vcc_lo, 0x7f800000, v4
	s_delay_alu instid0(VALU_DEP_2)
	v_cndmask_b32_e32 v1, 0x7c, v1, vcc_lo
; %bb.2306:
	s_or_b32 exec_lo, exec_lo, s11
	global_store_b8 v[2:3], v1, off
.LBB324_2307:
	s_mov_b32 s11, 0
	s_mov_b32 s12, -1
.LBB324_2308:
	s_and_not1_b32 vcc_lo, exec_lo, s11
	s_mov_b32 s11, 0
	s_cbranch_vccnz .LBB324_2315
; %bb.2309:
	s_cmp_gt_i32 s10, 14
	s_mov_b32 s11, -1
	s_cbranch_scc0 .LBB324_2313
; %bb.2310:
	s_cmp_eq_u32 s10, 15
	s_mov_b32 s2, -1
	s_cbranch_scc0 .LBB324_2312
; %bb.2311:
	s_wait_xcnt 0x0
	v_cndmask_b32_e64 v1, 0, 1.0, s1
	s_mov_b32 s2, 0
	s_mov_b32 s12, -1
	s_delay_alu instid0(VALU_DEP_1) | instskip(NEXT) | instid1(VALU_DEP_1)
	v_bfe_u32 v4, v1, 16, 1
	v_add3_u32 v1, v1, v4, 0x7fff
	global_store_d16_hi_b16 v[2:3], v1, off
.LBB324_2312:
	s_mov_b32 s11, 0
.LBB324_2313:
	s_delay_alu instid0(SALU_CYCLE_1)
	s_and_b32 vcc_lo, exec_lo, s11
	s_mov_b32 s11, 0
	s_cbranch_vccz .LBB324_2315
; %bb.2314:
	s_cmp_lg_u32 s10, 11
	s_mov_b32 s11, -1
	s_cselect_b32 s2, -1, 0
.LBB324_2315:
	s_delay_alu instid0(SALU_CYCLE_1)
	s_and_b32 vcc_lo, exec_lo, s2
	s_cbranch_vccnz .LBB324_2493
; %bb.2316:
	s_and_not1_b32 vcc_lo, exec_lo, s11
	s_cbranch_vccnz .LBB324_2318
.LBB324_2317:
	s_wait_xcnt 0x0
	v_cndmask_b32_e64 v1, 0, 1, s1
	s_mov_b32 s12, -1
	global_store_b8 v[2:3], v1, off
.LBB324_2318:
.LBB324_2319:
	s_and_not1_b32 vcc_lo, exec_lo, s12
	s_cbranch_vccnz .LBB324_2435
.LBB324_2320:
	s_wait_xcnt 0x0
	v_and_b32_e32 v1, 0xff, v10
	s_mov_b32 s2, 0
	s_cmp_lt_i32 s10, 11
	s_delay_alu instid0(VALU_DEP_1) | instskip(SKIP_1) | instid1(VALU_DEP_2)
	v_lshlrev_b32_e32 v2, 23, v1
	v_cmp_ne_u16_e32 vcc_lo, 0xff, v1
	v_cndmask_b32_e32 v2, 0x7f800001, v2, vcc_lo
	v_cmp_ne_u16_e32 vcc_lo, 0, v1
	s_delay_alu instid0(VALU_DEP_2) | instskip(NEXT) | instid1(VALU_DEP_1)
	v_cndmask_b32_e32 v1, 0x400000, v2, vcc_lo
	v_cmp_eq_f32_e32 vcc_lo, s7, v1
	v_cndmask_b32_e64 v2, 0, 1, vcc_lo
	v_cmp_neq_f32_e32 vcc_lo, s7, v1
	v_cndmask_b32_e64 v1, 0, 1, vcc_lo
	s_delay_alu instid0(VALU_DEP_1) | instskip(SKIP_1) | instid1(VALU_DEP_1)
	v_dual_cndmask_b32 v2, v1, v2, s0 :: v_dual_mov_b32 v1, 0
	s_mov_b32 s0, -1
	v_and_b32_e32 v4, 1, v2
	s_delay_alu instid0(VALU_DEP_2) | instskip(NEXT) | instid1(VALU_DEP_2)
	v_add_nc_u64_e32 v[2:3], s[4:5], v[0:1]
	v_cmp_eq_u32_e64 s1, 1, v4
	s_cbranch_scc1 .LBB324_2436
; %bb.2321:
	s_mov_b32 s4, -1
	s_cmp_gt_i32 s10, 25
	s_mov_b32 s0, 0
	s_cbranch_scc0 .LBB324_2354
; %bb.2322:
	s_cmp_gt_i32 s10, 28
	s_cbranch_scc0 .LBB324_2338
; %bb.2323:
	s_cmp_gt_i32 s10, 43
	;; [unrolled: 3-line block ×3, first 2 shown]
	s_cbranch_scc0 .LBB324_2328
; %bb.2325:
	s_cmp_eq_u32 s10, 46
	s_mov_b32 s0, -1
	s_cbranch_scc0 .LBB324_2327
; %bb.2326:
	v_cndmask_b32_e64 v0, 0, 1.0, s1
	s_mov_b32 s0, 0
	s_delay_alu instid0(VALU_DEP_1) | instskip(NEXT) | instid1(VALU_DEP_1)
	v_bfe_u32 v1, v0, 16, 1
	v_add3_u32 v0, v0, v1, 0x7fff
	s_delay_alu instid0(VALU_DEP_1)
	v_lshrrev_b32_e32 v0, 16, v0
	global_store_b32 v[2:3], v0, off
.LBB324_2327:
	s_mov_b32 s4, 0
.LBB324_2328:
	s_delay_alu instid0(SALU_CYCLE_1)
	s_and_b32 vcc_lo, exec_lo, s4
	s_cbranch_vccz .LBB324_2333
; %bb.2329:
	s_cmp_eq_u32 s10, 44
	s_mov_b32 s0, -1
	s_cbranch_scc0 .LBB324_2333
; %bb.2330:
	v_cndmask_b32_e64 v4, 0, 1.0, s1
	s_mov_b32 s4, exec_lo
	s_wait_xcnt 0x0
	s_delay_alu instid0(VALU_DEP_1) | instskip(NEXT) | instid1(VALU_DEP_1)
	v_dual_mov_b32 v1, 0xff :: v_dual_lshrrev_b32 v0, 23, v4
	v_cmpx_ne_u32_e32 0xff, v0
; %bb.2331:
	v_and_b32_e32 v1, 0x400000, v4
	v_and_or_b32 v4, 0x3fffff, v4, v0
	s_delay_alu instid0(VALU_DEP_2) | instskip(NEXT) | instid1(VALU_DEP_2)
	v_cmp_ne_u32_e32 vcc_lo, 0, v1
	v_cmp_ne_u32_e64 s0, 0, v4
	s_and_b32 s0, vcc_lo, s0
	s_delay_alu instid0(SALU_CYCLE_1) | instskip(NEXT) | instid1(VALU_DEP_1)
	v_cndmask_b32_e64 v1, 0, 1, s0
	v_add_nc_u32_e32 v1, v0, v1
; %bb.2332:
	s_or_b32 exec_lo, exec_lo, s4
	s_mov_b32 s0, 0
	global_store_b8 v[2:3], v1, off
.LBB324_2333:
	s_mov_b32 s4, 0
.LBB324_2334:
	s_delay_alu instid0(SALU_CYCLE_1)
	s_and_b32 vcc_lo, exec_lo, s4
	s_cbranch_vccz .LBB324_2337
; %bb.2335:
	s_cmp_eq_u32 s10, 29
	s_mov_b32 s0, -1
	s_cbranch_scc0 .LBB324_2337
; %bb.2336:
	s_mov_b32 s0, 0
	s_wait_xcnt 0x0
	v_cndmask_b32_e64 v0, 0, 1, s1
	v_mov_b32_e32 v1, s0
	global_store_b64 v[2:3], v[0:1], off
.LBB324_2337:
	s_mov_b32 s4, 0
.LBB324_2338:
	s_delay_alu instid0(SALU_CYCLE_1)
	s_and_b32 vcc_lo, exec_lo, s4
	s_cbranch_vccz .LBB324_2353
; %bb.2339:
	s_cmp_lt_i32 s10, 27
	s_mov_b32 s4, -1
	s_cbranch_scc1 .LBB324_2345
; %bb.2340:
	s_cmp_gt_i32 s10, 27
	s_cbranch_scc0 .LBB324_2342
; %bb.2341:
	s_wait_xcnt 0x0
	v_cndmask_b32_e64 v0, 0, 1, s1
	s_mov_b32 s4, 0
	global_store_b32 v[2:3], v0, off
.LBB324_2342:
	s_and_not1_b32 vcc_lo, exec_lo, s4
	s_cbranch_vccnz .LBB324_2344
; %bb.2343:
	s_wait_xcnt 0x0
	v_cndmask_b32_e64 v0, 0, 1, s1
	global_store_b16 v[2:3], v0, off
.LBB324_2344:
	s_mov_b32 s4, 0
.LBB324_2345:
	s_delay_alu instid0(SALU_CYCLE_1)
	s_and_not1_b32 vcc_lo, exec_lo, s4
	s_cbranch_vccnz .LBB324_2353
; %bb.2346:
	s_wait_xcnt 0x0
	v_cndmask_b32_e64 v1, 0, 1.0, s1
	v_mov_b32_e32 v4, 0x80
	s_mov_b32 s4, exec_lo
	s_delay_alu instid0(VALU_DEP_2)
	v_cmpx_gt_u32_e32 0x43800000, v1
	s_cbranch_execz .LBB324_2352
; %bb.2347:
	s_mov_b32 s5, 0
	s_mov_b32 s7, exec_lo
                                        ; implicit-def: $vgpr0
	v_cmpx_lt_u32_e32 0x3bffffff, v1
	s_xor_b32 s7, exec_lo, s7
	s_cbranch_execz .LBB324_2496
; %bb.2348:
	v_bfe_u32 v0, v1, 20, 1
	s_mov_b32 s5, exec_lo
	s_delay_alu instid0(VALU_DEP_1) | instskip(NEXT) | instid1(VALU_DEP_1)
	v_add3_u32 v0, v1, v0, 0x487ffff
                                        ; implicit-def: $vgpr1
	v_lshrrev_b32_e32 v0, 20, v0
	s_and_not1_saveexec_b32 s7, s7
	s_cbranch_execnz .LBB324_2497
.LBB324_2349:
	s_or_b32 exec_lo, exec_lo, s7
	v_mov_b32_e32 v4, 0
	s_and_saveexec_b32 s7, s5
.LBB324_2350:
	v_mov_b32_e32 v4, v0
.LBB324_2351:
	s_or_b32 exec_lo, exec_lo, s7
.LBB324_2352:
	s_delay_alu instid0(SALU_CYCLE_1)
	s_or_b32 exec_lo, exec_lo, s4
	global_store_b8 v[2:3], v4, off
.LBB324_2353:
	s_mov_b32 s4, 0
.LBB324_2354:
	s_delay_alu instid0(SALU_CYCLE_1)
	s_and_b32 vcc_lo, exec_lo, s4
	s_cbranch_vccz .LBB324_2394
; %bb.2355:
	s_cmp_gt_i32 s10, 22
	s_mov_b32 s2, -1
	s_cbranch_scc0 .LBB324_2387
; %bb.2356:
	s_cmp_lt_i32 s10, 24
	s_cbranch_scc1 .LBB324_2376
; %bb.2357:
	s_cmp_gt_i32 s10, 24
	s_cbranch_scc0 .LBB324_2365
; %bb.2358:
	s_wait_xcnt 0x0
	v_cndmask_b32_e64 v1, 0, 1.0, s1
	v_mov_b32_e32 v4, 0x80
	s_mov_b32 s2, exec_lo
	s_delay_alu instid0(VALU_DEP_2)
	v_cmpx_gt_u32_e32 0x47800000, v1
	s_cbranch_execz .LBB324_2364
; %bb.2359:
	s_mov_b32 s4, 0
	s_mov_b32 s5, exec_lo
                                        ; implicit-def: $vgpr0
	v_cmpx_lt_u32_e32 0x37ffffff, v1
	s_xor_b32 s5, exec_lo, s5
	s_cbranch_execz .LBB324_2499
; %bb.2360:
	v_bfe_u32 v0, v1, 21, 1
	s_mov_b32 s4, exec_lo
	s_delay_alu instid0(VALU_DEP_1) | instskip(NEXT) | instid1(VALU_DEP_1)
	v_add3_u32 v0, v1, v0, 0x88fffff
                                        ; implicit-def: $vgpr1
	v_lshrrev_b32_e32 v0, 21, v0
	s_and_not1_saveexec_b32 s5, s5
	s_cbranch_execnz .LBB324_2500
.LBB324_2361:
	s_or_b32 exec_lo, exec_lo, s5
	v_mov_b32_e32 v4, 0
	s_and_saveexec_b32 s5, s4
.LBB324_2362:
	v_mov_b32_e32 v4, v0
.LBB324_2363:
	s_or_b32 exec_lo, exec_lo, s5
.LBB324_2364:
	s_delay_alu instid0(SALU_CYCLE_1)
	s_or_b32 exec_lo, exec_lo, s2
	s_mov_b32 s2, 0
	global_store_b8 v[2:3], v4, off
.LBB324_2365:
	s_and_b32 vcc_lo, exec_lo, s2
	s_cbranch_vccz .LBB324_2375
; %bb.2366:
	s_wait_xcnt 0x0
	v_cndmask_b32_e64 v1, 0, 1.0, s1
	s_mov_b32 s2, exec_lo
                                        ; implicit-def: $vgpr0
	s_delay_alu instid0(VALU_DEP_1)
	v_cmpx_gt_u32_e32 0x43f00000, v1
	s_xor_b32 s2, exec_lo, s2
	s_cbranch_execz .LBB324_2372
; %bb.2367:
	s_mov_b32 s4, exec_lo
                                        ; implicit-def: $vgpr0
	v_cmpx_lt_u32_e32 0x3c7fffff, v1
	s_xor_b32 s4, exec_lo, s4
; %bb.2368:
	v_bfe_u32 v0, v1, 20, 1
	s_delay_alu instid0(VALU_DEP_1) | instskip(NEXT) | instid1(VALU_DEP_1)
	v_add3_u32 v0, v1, v0, 0x407ffff
	v_and_b32_e32 v1, 0xff00000, v0
	v_lshrrev_b32_e32 v0, 20, v0
	s_delay_alu instid0(VALU_DEP_2) | instskip(NEXT) | instid1(VALU_DEP_2)
	v_cmp_ne_u32_e32 vcc_lo, 0x7f00000, v1
                                        ; implicit-def: $vgpr1
	v_cndmask_b32_e32 v0, 0x7e, v0, vcc_lo
; %bb.2369:
	s_and_not1_saveexec_b32 s4, s4
; %bb.2370:
	v_add_f32_e32 v0, 0x46800000, v1
; %bb.2371:
	s_or_b32 exec_lo, exec_lo, s4
                                        ; implicit-def: $vgpr1
.LBB324_2372:
	s_and_not1_saveexec_b32 s2, s2
; %bb.2373:
	v_mov_b32_e32 v0, 0x7f
	v_cmp_lt_u32_e32 vcc_lo, 0x7f800000, v1
	s_delay_alu instid0(VALU_DEP_2)
	v_cndmask_b32_e32 v0, 0x7e, v0, vcc_lo
; %bb.2374:
	s_or_b32 exec_lo, exec_lo, s2
	global_store_b8 v[2:3], v0, off
.LBB324_2375:
	s_mov_b32 s2, 0
.LBB324_2376:
	s_delay_alu instid0(SALU_CYCLE_1)
	s_and_not1_b32 vcc_lo, exec_lo, s2
	s_cbranch_vccnz .LBB324_2386
; %bb.2377:
	s_wait_xcnt 0x0
	v_cndmask_b32_e64 v1, 0, 1.0, s1
	s_mov_b32 s2, exec_lo
                                        ; implicit-def: $vgpr0
	s_delay_alu instid0(VALU_DEP_1)
	v_cmpx_gt_u32_e32 0x47800000, v1
	s_xor_b32 s2, exec_lo, s2
	s_cbranch_execz .LBB324_2383
; %bb.2378:
	s_mov_b32 s4, exec_lo
                                        ; implicit-def: $vgpr0
	v_cmpx_lt_u32_e32 0x387fffff, v1
	s_xor_b32 s4, exec_lo, s4
; %bb.2379:
	v_bfe_u32 v0, v1, 21, 1
	s_delay_alu instid0(VALU_DEP_1) | instskip(NEXT) | instid1(VALU_DEP_1)
	v_add3_u32 v0, v1, v0, 0x80fffff
                                        ; implicit-def: $vgpr1
	v_lshrrev_b32_e32 v0, 21, v0
; %bb.2380:
	s_and_not1_saveexec_b32 s4, s4
; %bb.2381:
	v_add_f32_e32 v0, 0x43000000, v1
; %bb.2382:
	s_or_b32 exec_lo, exec_lo, s4
                                        ; implicit-def: $vgpr1
.LBB324_2383:
	s_and_not1_saveexec_b32 s2, s2
; %bb.2384:
	v_mov_b32_e32 v0, 0x7f
	v_cmp_lt_u32_e32 vcc_lo, 0x7f800000, v1
	s_delay_alu instid0(VALU_DEP_2)
	v_cndmask_b32_e32 v0, 0x7c, v0, vcc_lo
; %bb.2385:
	s_or_b32 exec_lo, exec_lo, s2
	global_store_b8 v[2:3], v0, off
.LBB324_2386:
	s_mov_b32 s2, 0
.LBB324_2387:
	s_delay_alu instid0(SALU_CYCLE_1)
	s_and_not1_b32 vcc_lo, exec_lo, s2
	s_mov_b32 s2, 0
	s_cbranch_vccnz .LBB324_2394
; %bb.2388:
	s_cmp_gt_i32 s10, 14
	s_mov_b32 s2, -1
	s_cbranch_scc0 .LBB324_2392
; %bb.2389:
	s_cmp_eq_u32 s10, 15
	s_mov_b32 s0, -1
	s_cbranch_scc0 .LBB324_2391
; %bb.2390:
	s_wait_xcnt 0x0
	v_cndmask_b32_e64 v0, 0, 1.0, s1
	s_mov_b32 s0, 0
	s_delay_alu instid0(VALU_DEP_1) | instskip(NEXT) | instid1(VALU_DEP_1)
	v_bfe_u32 v1, v0, 16, 1
	v_add3_u32 v0, v0, v1, 0x7fff
	global_store_d16_hi_b16 v[2:3], v0, off
.LBB324_2391:
	s_mov_b32 s2, 0
.LBB324_2392:
	s_delay_alu instid0(SALU_CYCLE_1)
	s_and_b32 vcc_lo, exec_lo, s2
	s_mov_b32 s2, 0
	s_cbranch_vccz .LBB324_2394
; %bb.2393:
	s_cmp_lg_u32 s10, 11
	s_mov_b32 s2, -1
	s_cselect_b32 s0, -1, 0
.LBB324_2394:
	s_delay_alu instid0(SALU_CYCLE_1)
	s_and_b32 vcc_lo, exec_lo, s0
	s_cbranch_vccnz .LBB324_2498
.LBB324_2395:
	s_mov_b32 s0, 0
	s_branch .LBB324_2436
.LBB324_2396:
	s_and_b32 vcc_lo, exec_lo, s2
	s_cbranch_vccz .LBB324_2319
; %bb.2397:
	s_cmp_lt_i32 s10, 5
	s_mov_b32 s2, -1
	s_cbranch_scc1 .LBB324_2418
; %bb.2398:
	s_cmp_lt_i32 s10, 8
	s_cbranch_scc1 .LBB324_2408
; %bb.2399:
	s_cmp_lt_i32 s10, 9
	s_cbranch_scc1 .LBB324_2405
; %bb.2400:
	s_cmp_gt_i32 s10, 9
	s_cbranch_scc0 .LBB324_2402
; %bb.2401:
	s_wait_xcnt 0x0
	v_cndmask_b32_e64 v1, 0, 1, s1
	v_mov_b32_e32 v6, 0
	s_mov_b32 s2, 0
	s_delay_alu instid0(VALU_DEP_2) | instskip(NEXT) | instid1(VALU_DEP_2)
	v_cvt_f64_u32_e32 v[4:5], v1
	v_mov_b32_e32 v7, v6
	global_store_b128 v[2:3], v[4:7], off
.LBB324_2402:
	s_and_not1_b32 vcc_lo, exec_lo, s2
	s_cbranch_vccnz .LBB324_2404
; %bb.2403:
	s_wait_xcnt 0x0
	v_cndmask_b32_e64 v4, 0, 1.0, s1
	v_mov_b32_e32 v5, 0
	global_store_b64 v[2:3], v[4:5], off
.LBB324_2404:
	s_mov_b32 s2, 0
.LBB324_2405:
	s_delay_alu instid0(SALU_CYCLE_1)
	s_and_not1_b32 vcc_lo, exec_lo, s2
	s_cbranch_vccnz .LBB324_2407
; %bb.2406:
	s_wait_xcnt 0x0
	v_cndmask_b32_e64 v1, 0, 1.0, s1
	s_delay_alu instid0(VALU_DEP_1) | instskip(NEXT) | instid1(VALU_DEP_1)
	v_cvt_f16_f32_e32 v1, v1
	v_and_b32_e32 v1, 0xffff, v1
	global_store_b32 v[2:3], v1, off
.LBB324_2407:
	s_mov_b32 s2, 0
.LBB324_2408:
	s_delay_alu instid0(SALU_CYCLE_1)
	s_and_not1_b32 vcc_lo, exec_lo, s2
	s_cbranch_vccnz .LBB324_2417
; %bb.2409:
	s_cmp_lt_i32 s10, 6
	s_mov_b32 s2, -1
	s_cbranch_scc1 .LBB324_2415
; %bb.2410:
	s_cmp_gt_i32 s10, 6
	s_cbranch_scc0 .LBB324_2412
; %bb.2411:
	s_wait_xcnt 0x0
	v_cndmask_b32_e64 v1, 0, 1, s1
	s_mov_b32 s2, 0
	s_delay_alu instid0(VALU_DEP_1)
	v_cvt_f64_u32_e32 v[4:5], v1
	global_store_b64 v[2:3], v[4:5], off
.LBB324_2412:
	s_and_not1_b32 vcc_lo, exec_lo, s2
	s_cbranch_vccnz .LBB324_2414
; %bb.2413:
	s_wait_xcnt 0x0
	v_cndmask_b32_e64 v1, 0, 1.0, s1
	global_store_b32 v[2:3], v1, off
.LBB324_2414:
	s_mov_b32 s2, 0
.LBB324_2415:
	s_delay_alu instid0(SALU_CYCLE_1)
	s_and_not1_b32 vcc_lo, exec_lo, s2
	s_cbranch_vccnz .LBB324_2417
; %bb.2416:
	s_wait_xcnt 0x0
	v_cndmask_b32_e64 v1, 0, 1.0, s1
	s_delay_alu instid0(VALU_DEP_1)
	v_cvt_f16_f32_e32 v1, v1
	global_store_b16 v[2:3], v1, off
.LBB324_2417:
	s_mov_b32 s2, 0
.LBB324_2418:
	s_delay_alu instid0(SALU_CYCLE_1)
	s_and_not1_b32 vcc_lo, exec_lo, s2
	s_cbranch_vccnz .LBB324_2434
; %bb.2419:
	s_cmp_lt_i32 s10, 2
	s_mov_b32 s2, -1
	s_cbranch_scc1 .LBB324_2429
; %bb.2420:
	s_cmp_lt_i32 s10, 3
	s_cbranch_scc1 .LBB324_2426
; %bb.2421:
	s_cmp_gt_i32 s10, 3
	s_cbranch_scc0 .LBB324_2423
; %bb.2422:
	s_mov_b32 s2, 0
	s_wait_xcnt 0x0
	v_cndmask_b32_e64 v4, 0, 1, s1
	v_mov_b32_e32 v5, s2
	global_store_b64 v[2:3], v[4:5], off
.LBB324_2423:
	s_and_not1_b32 vcc_lo, exec_lo, s2
	s_cbranch_vccnz .LBB324_2425
; %bb.2424:
	s_wait_xcnt 0x0
	v_cndmask_b32_e64 v1, 0, 1, s1
	global_store_b32 v[2:3], v1, off
.LBB324_2425:
	s_mov_b32 s2, 0
.LBB324_2426:
	s_delay_alu instid0(SALU_CYCLE_1)
	s_and_not1_b32 vcc_lo, exec_lo, s2
	s_cbranch_vccnz .LBB324_2428
; %bb.2427:
	s_wait_xcnt 0x0
	v_cndmask_b32_e64 v1, 0, 1, s1
	global_store_b16 v[2:3], v1, off
.LBB324_2428:
	s_mov_b32 s2, 0
.LBB324_2429:
	s_delay_alu instid0(SALU_CYCLE_1)
	s_and_not1_b32 vcc_lo, exec_lo, s2
	s_cbranch_vccnz .LBB324_2434
; %bb.2430:
	s_cmp_gt_i32 s10, 0
	s_mov_b32 s2, -1
	s_cbranch_scc0 .LBB324_2432
; %bb.2431:
	s_wait_xcnt 0x0
	v_cndmask_b32_e64 v1, 0, 1, s1
	s_mov_b32 s2, 0
	global_store_b8 v[2:3], v1, off
.LBB324_2432:
	s_and_not1_b32 vcc_lo, exec_lo, s2
	s_cbranch_vccnz .LBB324_2434
; %bb.2433:
	s_wait_xcnt 0x0
	v_cndmask_b32_e64 v1, 0, 1, s1
	global_store_b8 v[2:3], v1, off
.LBB324_2434:
	s_branch .LBB324_2320
.LBB324_2435:
	s_mov_b32 s0, 0
	s_mov_b32 s2, 0
                                        ; implicit-def: $sgpr1
                                        ; implicit-def: $vgpr2_vgpr3
                                        ; implicit-def: $sgpr6
.LBB324_2436:
	s_and_not1_b32 s4, s8, exec_lo
	s_and_b32 s3, s3, exec_lo
	s_and_b32 s0, s0, exec_lo
	;; [unrolled: 1-line block ×3, first 2 shown]
	s_or_b32 s8, s4, s3
.LBB324_2437:
	s_wait_xcnt 0x0
	s_or_b32 exec_lo, exec_lo, s9
	s_and_saveexec_b32 s2, s8
	s_cbranch_execz .LBB324_2440
; %bb.2438:
	; divergent unreachable
	s_or_b32 exec_lo, exec_lo, s2
	s_and_saveexec_b32 s2, s34
	s_delay_alu instid0(SALU_CYCLE_1)
	s_xor_b32 s2, exec_lo, s2
	s_cbranch_execnz .LBB324_2441
.LBB324_2439:
	s_or_b32 exec_lo, exec_lo, s2
	s_and_saveexec_b32 s2, s0
	s_cbranch_execnz .LBB324_2442
	s_branch .LBB324_2479
.LBB324_2440:
	s_or_b32 exec_lo, exec_lo, s2
	s_and_saveexec_b32 s2, s34
	s_delay_alu instid0(SALU_CYCLE_1)
	s_xor_b32 s2, exec_lo, s2
	s_cbranch_execz .LBB324_2439
.LBB324_2441:
	v_cndmask_b32_e64 v0, 0, 1, s1
	s_wait_loadcnt 0x0
	global_store_b8 v[2:3], v0, off
	s_wait_xcnt 0x0
	s_or_b32 exec_lo, exec_lo, s2
	s_and_saveexec_b32 s2, s0
	s_cbranch_execz .LBB324_2479
.LBB324_2442:
	s_sext_i32_i16 s2, s6
	s_mov_b32 s0, -1
	s_cmp_lt_i32 s2, 5
	s_cbranch_scc1 .LBB324_2463
; %bb.2443:
	s_cmp_lt_i32 s2, 8
	s_cbranch_scc1 .LBB324_2453
; %bb.2444:
	;; [unrolled: 3-line block ×3, first 2 shown]
	s_cmp_gt_i32 s2, 9
	s_cbranch_scc0 .LBB324_2447
; %bb.2446:
	v_cndmask_b32_e64 v0, 0, 1, s1
	v_mov_b32_e32 v6, 0
	s_mov_b32 s0, 0
	s_delay_alu instid0(VALU_DEP_2) | instskip(NEXT) | instid1(VALU_DEP_2)
	v_cvt_f64_u32_e32 v[4:5], v0
	v_mov_b32_e32 v7, v6
	s_wait_loadcnt 0x0
	global_store_b128 v[2:3], v[4:7], off
.LBB324_2447:
	s_and_not1_b32 vcc_lo, exec_lo, s0
	s_cbranch_vccnz .LBB324_2449
; %bb.2448:
	v_cndmask_b32_e64 v0, 0, 1.0, s1
	s_wait_loadcnt 0x0
	v_mov_b32_e32 v1, 0
	global_store_b64 v[2:3], v[0:1], off
.LBB324_2449:
	s_mov_b32 s0, 0
.LBB324_2450:
	s_delay_alu instid0(SALU_CYCLE_1)
	s_and_not1_b32 vcc_lo, exec_lo, s0
	s_cbranch_vccnz .LBB324_2452
; %bb.2451:
	s_wait_xcnt 0x0
	v_cndmask_b32_e64 v0, 0, 1.0, s1
	s_delay_alu instid0(VALU_DEP_1) | instskip(NEXT) | instid1(VALU_DEP_1)
	v_cvt_f16_f32_e32 v0, v0
	v_and_b32_e32 v0, 0xffff, v0
	s_wait_loadcnt 0x0
	global_store_b32 v[2:3], v0, off
.LBB324_2452:
	s_mov_b32 s0, 0
.LBB324_2453:
	s_delay_alu instid0(SALU_CYCLE_1)
	s_and_not1_b32 vcc_lo, exec_lo, s0
	s_cbranch_vccnz .LBB324_2462
; %bb.2454:
	s_sext_i32_i16 s2, s6
	s_mov_b32 s0, -1
	s_cmp_lt_i32 s2, 6
	s_cbranch_scc1 .LBB324_2460
; %bb.2455:
	s_cmp_gt_i32 s2, 6
	s_cbranch_scc0 .LBB324_2457
; %bb.2456:
	s_wait_xcnt 0x0
	v_cndmask_b32_e64 v0, 0, 1, s1
	s_mov_b32 s0, 0
	s_wait_loadcnt 0x0
	s_delay_alu instid0(VALU_DEP_1)
	v_cvt_f64_u32_e32 v[0:1], v0
	global_store_b64 v[2:3], v[0:1], off
.LBB324_2457:
	s_and_not1_b32 vcc_lo, exec_lo, s0
	s_cbranch_vccnz .LBB324_2459
; %bb.2458:
	s_wait_xcnt 0x0
	v_cndmask_b32_e64 v0, 0, 1.0, s1
	s_wait_loadcnt 0x0
	global_store_b32 v[2:3], v0, off
.LBB324_2459:
	s_mov_b32 s0, 0
.LBB324_2460:
	s_delay_alu instid0(SALU_CYCLE_1)
	s_and_not1_b32 vcc_lo, exec_lo, s0
	s_cbranch_vccnz .LBB324_2462
; %bb.2461:
	s_wait_xcnt 0x0
	v_cndmask_b32_e64 v0, 0, 1.0, s1
	s_delay_alu instid0(VALU_DEP_1)
	v_cvt_f16_f32_e32 v0, v0
	s_wait_loadcnt 0x0
	global_store_b16 v[2:3], v0, off
.LBB324_2462:
	s_mov_b32 s0, 0
.LBB324_2463:
	s_delay_alu instid0(SALU_CYCLE_1)
	s_and_not1_b32 vcc_lo, exec_lo, s0
	s_cbranch_vccnz .LBB324_2479
; %bb.2464:
	s_sext_i32_i16 s2, s6
	s_mov_b32 s0, -1
	s_cmp_lt_i32 s2, 2
	s_cbranch_scc1 .LBB324_2474
; %bb.2465:
	s_cmp_lt_i32 s2, 3
	s_cbranch_scc1 .LBB324_2471
; %bb.2466:
	s_cmp_gt_i32 s2, 3
	s_cbranch_scc0 .LBB324_2468
; %bb.2467:
	s_mov_b32 s0, 0
	s_wait_xcnt 0x0
	v_cndmask_b32_e64 v0, 0, 1, s1
	s_wait_loadcnt 0x0
	v_mov_b32_e32 v1, s0
	global_store_b64 v[2:3], v[0:1], off
.LBB324_2468:
	s_and_not1_b32 vcc_lo, exec_lo, s0
	s_cbranch_vccnz .LBB324_2470
; %bb.2469:
	s_wait_xcnt 0x0
	v_cndmask_b32_e64 v0, 0, 1, s1
	s_wait_loadcnt 0x0
	global_store_b32 v[2:3], v0, off
.LBB324_2470:
	s_mov_b32 s0, 0
.LBB324_2471:
	s_delay_alu instid0(SALU_CYCLE_1)
	s_and_not1_b32 vcc_lo, exec_lo, s0
	s_cbranch_vccnz .LBB324_2473
; %bb.2472:
	s_wait_xcnt 0x0
	v_cndmask_b32_e64 v0, 0, 1, s1
	s_wait_loadcnt 0x0
	global_store_b16 v[2:3], v0, off
.LBB324_2473:
	s_mov_b32 s0, 0
.LBB324_2474:
	s_delay_alu instid0(SALU_CYCLE_1)
	s_and_not1_b32 vcc_lo, exec_lo, s0
	s_cbranch_vccnz .LBB324_2479
; %bb.2475:
	s_sext_i32_i16 s0, s6
	s_delay_alu instid0(SALU_CYCLE_1)
	s_cmp_gt_i32 s0, 0
	s_mov_b32 s0, -1
	s_cbranch_scc0 .LBB324_2477
; %bb.2476:
	s_wait_xcnt 0x0
	v_cndmask_b32_e64 v0, 0, 1, s1
	s_mov_b32 s0, 0
	s_wait_loadcnt 0x0
	global_store_b8 v[2:3], v0, off
.LBB324_2477:
	s_and_not1_b32 vcc_lo, exec_lo, s0
	s_cbranch_vccnz .LBB324_2479
; %bb.2478:
	s_wait_xcnt 0x0
	v_cndmask_b32_e64 v0, 0, 1, s1
	s_wait_loadcnt 0x0
	global_store_b8 v[2:3], v0, off
	s_endpgm
.LBB324_2479:
	s_endpgm
.LBB324_2480:
	s_or_b32 s3, s3, exec_lo
	s_trap 2
	s_cbranch_execz .LBB324_1929
	s_branch .LBB324_1932
.LBB324_2481:
	s_and_not1_saveexec_b32 s14, s14
	s_cbranch_execz .LBB324_2033
.LBB324_2482:
	v_add_f32_e32 v1, 0x46000000, v5
	s_and_not1_b32 s13, s13, exec_lo
	s_delay_alu instid0(VALU_DEP_1) | instskip(NEXT) | instid1(VALU_DEP_1)
	v_and_b32_e32 v1, 0xff, v1
	v_cmp_ne_u32_e32 vcc_lo, 0, v1
	s_and_b32 s15, vcc_lo, exec_lo
	s_delay_alu instid0(SALU_CYCLE_1)
	s_or_b32 s13, s13, s15
	s_or_b32 exec_lo, exec_lo, s14
	v_mov_b32_e32 v8, 0
	s_and_saveexec_b32 s14, s13
	s_cbranch_execnz .LBB324_2034
	s_branch .LBB324_2035
.LBB324_2483:
	s_or_b32 s3, s3, exec_lo
	s_trap 2
	s_cbranch_execz .LBB324_2081
	s_branch .LBB324_2082
.LBB324_2484:
	s_and_not1_saveexec_b32 s13, s13
	s_cbranch_execz .LBB324_2046
.LBB324_2485:
	v_add_f32_e32 v1, 0x42800000, v5
	s_and_not1_b32 s12, s12, exec_lo
	s_delay_alu instid0(VALU_DEP_1) | instskip(NEXT) | instid1(VALU_DEP_1)
	v_and_b32_e32 v1, 0xff, v1
	v_cmp_ne_u32_e32 vcc_lo, 0, v1
	s_and_b32 s14, vcc_lo, exec_lo
	s_delay_alu instid0(SALU_CYCLE_1)
	s_or_b32 s12, s12, s14
	s_or_b32 exec_lo, exec_lo, s13
	v_mov_b32_e32 v8, 0
	s_and_saveexec_b32 s13, s12
	s_cbranch_execnz .LBB324_2047
	s_branch .LBB324_2048
.LBB324_2486:
	s_and_not1_saveexec_b32 s14, s14
	s_cbranch_execz .LBB324_2151
.LBB324_2487:
	v_add_f32_e32 v1, 0x46000000, v3
	s_and_not1_b32 s13, s13, exec_lo
	s_delay_alu instid0(VALU_DEP_1) | instskip(NEXT) | instid1(VALU_DEP_1)
	v_and_b32_e32 v1, 0xff, v1
	v_cmp_ne_u32_e32 vcc_lo, 0, v1
	s_and_b32 s15, vcc_lo, exec_lo
	s_delay_alu instid0(SALU_CYCLE_1)
	s_or_b32 s13, s13, s15
	s_or_b32 exec_lo, exec_lo, s14
	v_mov_b32_e32 v6, 0
	s_and_saveexec_b32 s14, s13
	s_cbranch_execnz .LBB324_2152
	s_branch .LBB324_2153
.LBB324_2488:
	s_or_b32 s3, s3, exec_lo
	s_trap 2
	s_cbranch_execz .LBB324_2199
	s_branch .LBB324_2200
.LBB324_2489:
	s_and_not1_saveexec_b32 s13, s13
	s_cbranch_execz .LBB324_2164
.LBB324_2490:
	v_add_f32_e32 v1, 0x42800000, v3
	s_and_not1_b32 s12, s12, exec_lo
	s_delay_alu instid0(VALU_DEP_1) | instskip(NEXT) | instid1(VALU_DEP_1)
	v_and_b32_e32 v1, 0xff, v1
	v_cmp_ne_u32_e32 vcc_lo, 0, v1
	s_and_b32 s14, vcc_lo, exec_lo
	s_delay_alu instid0(SALU_CYCLE_1)
	s_or_b32 s12, s12, s14
	s_or_b32 exec_lo, exec_lo, s13
	v_mov_b32_e32 v6, 0
	s_and_saveexec_b32 s13, s12
	s_cbranch_execnz .LBB324_2165
	s_branch .LBB324_2166
.LBB324_2491:
	s_and_not1_saveexec_b32 s14, s14
	s_cbranch_execz .LBB324_2269
.LBB324_2492:
	v_add_f32_e32 v1, 0x46000000, v4
	s_and_not1_b32 s13, s13, exec_lo
	s_delay_alu instid0(VALU_DEP_1) | instskip(NEXT) | instid1(VALU_DEP_1)
	v_and_b32_e32 v1, 0xff, v1
	v_cmp_ne_u32_e32 vcc_lo, 0, v1
	s_and_b32 s15, vcc_lo, exec_lo
	s_delay_alu instid0(SALU_CYCLE_1)
	s_or_b32 s13, s13, s15
	s_or_b32 exec_lo, exec_lo, s14
	v_mov_b32_e32 v5, 0
	s_and_saveexec_b32 s14, s13
	s_cbranch_execnz .LBB324_2270
	s_branch .LBB324_2271
.LBB324_2493:
	s_or_b32 s3, s3, exec_lo
	s_trap 2
	s_cbranch_execz .LBB324_2317
	s_branch .LBB324_2318
.LBB324_2494:
	s_and_not1_saveexec_b32 s13, s13
	s_cbranch_execz .LBB324_2282
.LBB324_2495:
	v_add_f32_e32 v1, 0x42800000, v4
	s_and_not1_b32 s12, s12, exec_lo
	s_delay_alu instid0(VALU_DEP_1) | instskip(NEXT) | instid1(VALU_DEP_1)
	v_and_b32_e32 v1, 0xff, v1
	v_cmp_ne_u32_e32 vcc_lo, 0, v1
	s_and_b32 s14, vcc_lo, exec_lo
	s_delay_alu instid0(SALU_CYCLE_1)
	s_or_b32 s12, s12, s14
	s_or_b32 exec_lo, exec_lo, s13
	v_mov_b32_e32 v5, 0
	s_and_saveexec_b32 s13, s12
	s_cbranch_execnz .LBB324_2283
	s_branch .LBB324_2284
.LBB324_2496:
	s_and_not1_saveexec_b32 s7, s7
	s_cbranch_execz .LBB324_2349
.LBB324_2497:
	v_add_f32_e32 v0, 0x46000000, v1
	s_and_not1_b32 s5, s5, exec_lo
	s_delay_alu instid0(VALU_DEP_1) | instskip(NEXT) | instid1(VALU_DEP_1)
	v_and_b32_e32 v0, 0xff, v0
	v_cmp_ne_u32_e32 vcc_lo, 0, v0
	s_and_b32 s11, vcc_lo, exec_lo
	s_delay_alu instid0(SALU_CYCLE_1)
	s_or_b32 s5, s5, s11
	s_or_b32 exec_lo, exec_lo, s7
	v_mov_b32_e32 v4, 0
	s_and_saveexec_b32 s7, s5
	s_cbranch_execnz .LBB324_2350
	s_branch .LBB324_2351
.LBB324_2498:
	s_mov_b32 s2, 0
	s_or_b32 s3, s3, exec_lo
	s_trap 2
	s_branch .LBB324_2395
.LBB324_2499:
	s_and_not1_saveexec_b32 s5, s5
	s_cbranch_execz .LBB324_2361
.LBB324_2500:
	v_add_f32_e32 v0, 0x42800000, v1
	s_and_not1_b32 s4, s4, exec_lo
	s_delay_alu instid0(VALU_DEP_1) | instskip(NEXT) | instid1(VALU_DEP_1)
	v_and_b32_e32 v0, 0xff, v0
	v_cmp_ne_u32_e32 vcc_lo, 0, v0
	s_and_b32 s7, vcc_lo, exec_lo
	s_delay_alu instid0(SALU_CYCLE_1)
	s_or_b32 s4, s4, s7
	s_or_b32 exec_lo, exec_lo, s5
	v_mov_b32_e32 v4, 0
	s_and_saveexec_b32 s5, s4
	s_cbranch_execnz .LBB324_2362
	s_branch .LBB324_2363
	.section	.rodata,"a",@progbits
	.p2align	6, 0x0
	.amdhsa_kernel _ZN2at6native32elementwise_kernel_manual_unrollILi128ELi4EZNS0_15gpu_kernel_implINS0_13AUnaryFunctorIN3c1014Float8_e8m0fnuES5_bNS0_12_GLOBAL__N_116CompareEqFunctorIS5_EEEEEEvRNS_18TensorIteratorBaseERKT_EUlibE0_EEviT1_
		.amdhsa_group_segment_fixed_size 0
		.amdhsa_private_segment_fixed_size 0
		.amdhsa_kernarg_size 368
		.amdhsa_user_sgpr_count 2
		.amdhsa_user_sgpr_dispatch_ptr 0
		.amdhsa_user_sgpr_queue_ptr 0
		.amdhsa_user_sgpr_kernarg_segment_ptr 1
		.amdhsa_user_sgpr_dispatch_id 0
		.amdhsa_user_sgpr_kernarg_preload_length 0
		.amdhsa_user_sgpr_kernarg_preload_offset 0
		.amdhsa_user_sgpr_private_segment_size 0
		.amdhsa_wavefront_size32 1
		.amdhsa_uses_dynamic_stack 0
		.amdhsa_enable_private_segment 0
		.amdhsa_system_sgpr_workgroup_id_x 1
		.amdhsa_system_sgpr_workgroup_id_y 0
		.amdhsa_system_sgpr_workgroup_id_z 0
		.amdhsa_system_sgpr_workgroup_info 0
		.amdhsa_system_vgpr_workitem_id 0
		.amdhsa_next_free_vgpr 18
		.amdhsa_next_free_sgpr 72
		.amdhsa_named_barrier_count 0
		.amdhsa_reserve_vcc 1
		.amdhsa_float_round_mode_32 0
		.amdhsa_float_round_mode_16_64 0
		.amdhsa_float_denorm_mode_32 3
		.amdhsa_float_denorm_mode_16_64 3
		.amdhsa_fp16_overflow 0
		.amdhsa_memory_ordered 1
		.amdhsa_forward_progress 1
		.amdhsa_inst_pref_size 255
		.amdhsa_round_robin_scheduling 0
		.amdhsa_exception_fp_ieee_invalid_op 0
		.amdhsa_exception_fp_denorm_src 0
		.amdhsa_exception_fp_ieee_div_zero 0
		.amdhsa_exception_fp_ieee_overflow 0
		.amdhsa_exception_fp_ieee_underflow 0
		.amdhsa_exception_fp_ieee_inexact 0
		.amdhsa_exception_int_div_zero 0
	.end_amdhsa_kernel
	.section	.text._ZN2at6native32elementwise_kernel_manual_unrollILi128ELi4EZNS0_15gpu_kernel_implINS0_13AUnaryFunctorIN3c1014Float8_e8m0fnuES5_bNS0_12_GLOBAL__N_116CompareEqFunctorIS5_EEEEEEvRNS_18TensorIteratorBaseERKT_EUlibE0_EEviT1_,"axG",@progbits,_ZN2at6native32elementwise_kernel_manual_unrollILi128ELi4EZNS0_15gpu_kernel_implINS0_13AUnaryFunctorIN3c1014Float8_e8m0fnuES5_bNS0_12_GLOBAL__N_116CompareEqFunctorIS5_EEEEEEvRNS_18TensorIteratorBaseERKT_EUlibE0_EEviT1_,comdat
.Lfunc_end324:
	.size	_ZN2at6native32elementwise_kernel_manual_unrollILi128ELi4EZNS0_15gpu_kernel_implINS0_13AUnaryFunctorIN3c1014Float8_e8m0fnuES5_bNS0_12_GLOBAL__N_116CompareEqFunctorIS5_EEEEEEvRNS_18TensorIteratorBaseERKT_EUlibE0_EEviT1_, .Lfunc_end324-_ZN2at6native32elementwise_kernel_manual_unrollILi128ELi4EZNS0_15gpu_kernel_implINS0_13AUnaryFunctorIN3c1014Float8_e8m0fnuES5_bNS0_12_GLOBAL__N_116CompareEqFunctorIS5_EEEEEEvRNS_18TensorIteratorBaseERKT_EUlibE0_EEviT1_
                                        ; -- End function
	.set _ZN2at6native32elementwise_kernel_manual_unrollILi128ELi4EZNS0_15gpu_kernel_implINS0_13AUnaryFunctorIN3c1014Float8_e8m0fnuES5_bNS0_12_GLOBAL__N_116CompareEqFunctorIS5_EEEEEEvRNS_18TensorIteratorBaseERKT_EUlibE0_EEviT1_.num_vgpr, 18
	.set _ZN2at6native32elementwise_kernel_manual_unrollILi128ELi4EZNS0_15gpu_kernel_implINS0_13AUnaryFunctorIN3c1014Float8_e8m0fnuES5_bNS0_12_GLOBAL__N_116CompareEqFunctorIS5_EEEEEEvRNS_18TensorIteratorBaseERKT_EUlibE0_EEviT1_.num_agpr, 0
	.set _ZN2at6native32elementwise_kernel_manual_unrollILi128ELi4EZNS0_15gpu_kernel_implINS0_13AUnaryFunctorIN3c1014Float8_e8m0fnuES5_bNS0_12_GLOBAL__N_116CompareEqFunctorIS5_EEEEEEvRNS_18TensorIteratorBaseERKT_EUlibE0_EEviT1_.numbered_sgpr, 72
	.set _ZN2at6native32elementwise_kernel_manual_unrollILi128ELi4EZNS0_15gpu_kernel_implINS0_13AUnaryFunctorIN3c1014Float8_e8m0fnuES5_bNS0_12_GLOBAL__N_116CompareEqFunctorIS5_EEEEEEvRNS_18TensorIteratorBaseERKT_EUlibE0_EEviT1_.num_named_barrier, 0
	.set _ZN2at6native32elementwise_kernel_manual_unrollILi128ELi4EZNS0_15gpu_kernel_implINS0_13AUnaryFunctorIN3c1014Float8_e8m0fnuES5_bNS0_12_GLOBAL__N_116CompareEqFunctorIS5_EEEEEEvRNS_18TensorIteratorBaseERKT_EUlibE0_EEviT1_.private_seg_size, 0
	.set _ZN2at6native32elementwise_kernel_manual_unrollILi128ELi4EZNS0_15gpu_kernel_implINS0_13AUnaryFunctorIN3c1014Float8_e8m0fnuES5_bNS0_12_GLOBAL__N_116CompareEqFunctorIS5_EEEEEEvRNS_18TensorIteratorBaseERKT_EUlibE0_EEviT1_.uses_vcc, 1
	.set _ZN2at6native32elementwise_kernel_manual_unrollILi128ELi4EZNS0_15gpu_kernel_implINS0_13AUnaryFunctorIN3c1014Float8_e8m0fnuES5_bNS0_12_GLOBAL__N_116CompareEqFunctorIS5_EEEEEEvRNS_18TensorIteratorBaseERKT_EUlibE0_EEviT1_.uses_flat_scratch, 0
	.set _ZN2at6native32elementwise_kernel_manual_unrollILi128ELi4EZNS0_15gpu_kernel_implINS0_13AUnaryFunctorIN3c1014Float8_e8m0fnuES5_bNS0_12_GLOBAL__N_116CompareEqFunctorIS5_EEEEEEvRNS_18TensorIteratorBaseERKT_EUlibE0_EEviT1_.has_dyn_sized_stack, 0
	.set _ZN2at6native32elementwise_kernel_manual_unrollILi128ELi4EZNS0_15gpu_kernel_implINS0_13AUnaryFunctorIN3c1014Float8_e8m0fnuES5_bNS0_12_GLOBAL__N_116CompareEqFunctorIS5_EEEEEEvRNS_18TensorIteratorBaseERKT_EUlibE0_EEviT1_.has_recursion, 0
	.set _ZN2at6native32elementwise_kernel_manual_unrollILi128ELi4EZNS0_15gpu_kernel_implINS0_13AUnaryFunctorIN3c1014Float8_e8m0fnuES5_bNS0_12_GLOBAL__N_116CompareEqFunctorIS5_EEEEEEvRNS_18TensorIteratorBaseERKT_EUlibE0_EEviT1_.has_indirect_call, 0
	.section	.AMDGPU.csdata,"",@progbits
; Kernel info:
; codeLenInByte = 57904
; TotalNumSgprs: 74
; NumVgprs: 18
; ScratchSize: 0
; MemoryBound: 0
; FloatMode: 240
; IeeeMode: 1
; LDSByteSize: 0 bytes/workgroup (compile time only)
; SGPRBlocks: 0
; VGPRBlocks: 1
; NumSGPRsForWavesPerEU: 74
; NumVGPRsForWavesPerEU: 18
; NamedBarCnt: 0
; Occupancy: 16
; WaveLimiterHint : 1
; COMPUTE_PGM_RSRC2:SCRATCH_EN: 0
; COMPUTE_PGM_RSRC2:USER_SGPR: 2
; COMPUTE_PGM_RSRC2:TRAP_HANDLER: 0
; COMPUTE_PGM_RSRC2:TGID_X_EN: 1
; COMPUTE_PGM_RSRC2:TGID_Y_EN: 0
; COMPUTE_PGM_RSRC2:TGID_Z_EN: 0
; COMPUTE_PGM_RSRC2:TIDIG_COMP_CNT: 0
	.section	.text._ZN2at6native29vectorized_elementwise_kernelILi16ENS0_13BinaryFunctorIttbNS0_12_GLOBAL__N_116CompareEqFunctorItEEEESt5arrayIPcLm3EEEEviT0_T1_,"axG",@progbits,_ZN2at6native29vectorized_elementwise_kernelILi16ENS0_13BinaryFunctorIttbNS0_12_GLOBAL__N_116CompareEqFunctorItEEEESt5arrayIPcLm3EEEEviT0_T1_,comdat
	.globl	_ZN2at6native29vectorized_elementwise_kernelILi16ENS0_13BinaryFunctorIttbNS0_12_GLOBAL__N_116CompareEqFunctorItEEEESt5arrayIPcLm3EEEEviT0_T1_ ; -- Begin function _ZN2at6native29vectorized_elementwise_kernelILi16ENS0_13BinaryFunctorIttbNS0_12_GLOBAL__N_116CompareEqFunctorItEEEESt5arrayIPcLm3EEEEviT0_T1_
	.p2align	8
	.type	_ZN2at6native29vectorized_elementwise_kernelILi16ENS0_13BinaryFunctorIttbNS0_12_GLOBAL__N_116CompareEqFunctorItEEEESt5arrayIPcLm3EEEEviT0_T1_,@function
_ZN2at6native29vectorized_elementwise_kernelILi16ENS0_13BinaryFunctorIttbNS0_12_GLOBAL__N_116CompareEqFunctorItEEEESt5arrayIPcLm3EEEEviT0_T1_: ; @_ZN2at6native29vectorized_elementwise_kernelILi16ENS0_13BinaryFunctorIttbNS0_12_GLOBAL__N_116CompareEqFunctorItEEEESt5arrayIPcLm3EEEEviT0_T1_
; %bb.0:
	s_clause 0x2
	s_load_b64 s[10:11], s[0:1], 0x0
	s_load_b128 s[12:15], s[0:1], 0x8
	s_load_b64 s[18:19], s[0:1], 0x18
	s_wait_xcnt 0x0
	s_bfe_u32 s0, ttmp6, 0x4000c
	s_and_b32 s1, ttmp6, 15
	s_add_co_i32 s0, s0, 1
	s_getreg_b32 s2, hwreg(HW_REG_IB_STS2, 6, 4)
	s_mul_i32 s0, ttmp9, s0
	s_delay_alu instid0(SALU_CYCLE_1) | instskip(SKIP_2) | instid1(SALU_CYCLE_1)
	s_add_co_i32 s1, s1, s0
	s_cmp_eq_u32 s2, 0
	s_cselect_b32 s0, ttmp9, s1
	s_lshl_b32 s16, s0, 12
	s_mov_b32 s0, -1
	s_wait_kmcnt 0x0
	s_sub_co_i32 s20, s10, s16
	s_delay_alu instid0(SALU_CYCLE_1)
	s_cmp_gt_i32 s20, 0xfff
	s_cbranch_scc0 .LBB325_2
; %bb.1:
	s_ashr_i32 s17, s16, 31
	v_lshlrev_b32_e32 v1, 5, v0
	s_lshl_b64 s[0:1], s[16:17], 1
	s_cmp_eq_u32 s11, 0
	s_add_nc_u64 s[2:3], s[18:19], s[0:1]
	s_add_nc_u64 s[0:1], s[14:15], s[0:1]
	s_clause 0x3
	global_load_b128 v[2:5], v1, s[2:3]
	global_load_b128 v[6:9], v1, s[0:1]
	global_load_b128 v[10:13], v1, s[2:3] offset:16
	global_load_b128 v[14:17], v1, s[0:1] offset:16
	s_cselect_b32 s21, -1, 0
	s_wait_loadcnt 0x3
	s_wait_xcnt 0x0
	v_lshrrev_b32_e32 v1, 16, v4
	s_wait_loadcnt 0x2
	v_lshrrev_b32_e32 v18, 16, v8
	v_cmp_ne_u16_e32 vcc_lo, v8, v4
	s_wait_loadcnt 0x0
	v_cmp_ne_u16_e64 s3, v16, v12
	v_lshrrev_b32_e32 v4, 16, v5
	v_lshrrev_b32_e32 v8, 16, v9
	v_cmp_ne_u16_e64 s0, v9, v5
	v_lshrrev_b32_e32 v5, 16, v2
	v_lshrrev_b32_e32 v9, 16, v6
	;; [unrolled: 3-line block ×3, first 2 shown]
	v_cmp_ne_u16_e64 s2, v7, v3
	v_lshrrev_b32_e32 v3, 16, v12
	v_dual_lshrrev_b32 v7, 16, v16 :: v_dual_lshrrev_b32 v12, 16, v13
	v_cmp_ne_u16_e64 s4, v17, v13
	v_cmp_ne_u16_e64 s5, v14, v10
	s_xor_b32 s3, s21, s3
	v_cmp_ne_u16_e64 s6, v15, v11
	s_xor_b32 s22, s21, vcc_lo
	v_cmp_ne_u16_e32 vcc_lo, v7, v3
	v_cndmask_b32_e64 v3, 0, 1, s3
	s_xor_b32 s3, s21, s4
	v_cmp_ne_u16_e64 s7, v18, v1
	v_cmp_ne_u16_e64 s10, v6, v2
	v_cndmask_b32_e64 v6, 0, 1, s3
	s_xor_b32 s3, s21, s5
	v_cmp_ne_u16_e64 s8, v8, v4
	v_cndmask_b32_e64 v7, 0, 1, s3
	s_xor_b32 s3, s21, s6
	;; [unrolled: 3-line block ×3, first 2 shown]
	s_xor_b32 s0, s21, s0
	v_cndmask_b32_e64 v9, 0, 1, s3
	v_dual_lshrrev_b32 v16, 16, v17 :: v_dual_lshrrev_b32 v13, 16, v10
	v_cndmask_b32_e64 v2, 0, 1, s0
	s_xor_b32 s0, s21, s1
	v_dual_lshrrev_b32 v17, 16, v14 :: v_dual_lshrrev_b32 v10, 16, v11
	v_cndmask_b32_e64 v1, 0, 1, s22
	v_cndmask_b32_e64 v4, 0, 1, s0
	s_xor_b32 s0, s21, s2
	v_lshlrev_b16 v9, 8, v9
	v_lshrrev_b32_e32 v14, 16, v15
	v_cndmask_b32_e64 v5, 0, 1, s0
	v_cmp_ne_u16_e64 s0, v16, v12
	s_xor_b32 s3, s21, s8
	v_cmp_ne_u16_e64 s1, v17, v13
	v_or_b32_e32 v1, v1, v9
	v_cmp_ne_u16_e64 s2, v14, v10
	v_cndmask_b32_e64 v10, 0, 1, s3
	s_xor_b32 s3, s21, s9
	s_xor_b32 s0, s21, s0
	v_cndmask_b32_e64 v11, 0, 1, s3
	s_xor_b32 s3, s21, s10
	v_cndmask_b32_e64 v14, 0, 1, s0
	v_cndmask_b32_e64 v12, 0, 1, s3
	s_xor_b32 s0, s21, s1
	s_xor_b32 s3, s21, vcc_lo
	v_cndmask_b32_e64 v15, 0, 1, s0
	s_xor_b32 s0, s21, s2
	v_cndmask_b32_e64 v13, 0, 1, s3
	v_cndmask_b32_e64 v16, 0, 1, s0
	v_lshlrev_b16 v12, 8, v12
	v_lshlrev_b16 v14, 8, v14
	;; [unrolled: 1-line block ×7, first 2 shown]
	v_or_b32_e32 v6, v6, v14
	v_or_b32_e32 v5, v5, v12
	v_and_b32_e32 v1, 0xffff, v1
	v_or_b32_e32 v7, v7, v15
	v_or_b32_e32 v8, v8, v16
	v_dual_lshlrev_b32 v6, 16, v6 :: v_dual_bitop2_b32 v3, v3, v13 bitop3:0x54
	v_dual_lshlrev_b32 v5, 16, v5 :: v_dual_bitop2_b32 v2, v2, v10 bitop3:0x54
	v_or_b32_e32 v4, v4, v11
	v_and_b32_e32 v7, 0xffff, v7
	s_delay_alu instid0(VALU_DEP_3) | instskip(SKIP_1) | instid1(VALU_DEP_4)
	v_dual_lshlrev_b32 v8, 16, v8 :: v_dual_lshlrev_b32 v2, 16, v2
	v_and_b32_e32 v9, 0xffff, v3
	v_and_b32_e32 v4, 0xffff, v4
	s_add_nc_u64 s[2:3], s[12:13], s[16:17]
	s_mov_b32 s0, 0
	v_or_b32_e32 v3, v1, v2
	s_delay_alu instid0(VALU_DEP_2)
	v_or_b32_e32 v2, v4, v5
	v_or_b32_e32 v5, v9, v6
	v_or_b32_e32 v4, v7, v8
	global_store_b128 v0, v[2:5], s[2:3] scale_offset
.LBB325_2:
	s_and_not1_b32 vcc_lo, exec_lo, s0
	s_cbranch_vccnz .LBB325_52
; %bb.3:
	v_cmp_gt_i32_e32 vcc_lo, s20, v0
	s_wait_xcnt 0x0
	v_dual_mov_b32 v3, v0 :: v_dual_bitop2_b32 v1, s16, v0 bitop3:0x54
	v_or_b32_e32 v2, 0x100, v0
	s_mov_b32 s1, 0
	s_mov_b32 s2, 0
	s_and_saveexec_b32 s3, vcc_lo
	s_cbranch_execz .LBB325_5
; %bb.4:
	s_clause 0x1
	global_load_u16 v3, v1, s[14:15] scale_offset
	global_load_u16 v4, v1, s[18:19] scale_offset
	s_wait_loadcnt 0x0
	v_cmp_ne_u16_e64 s0, v3, v4
	v_or_b32_e32 v3, 0x100, v0
	s_and_b32 s2, s0, exec_lo
.LBB325_5:
	s_wait_xcnt 0x0
	s_or_b32 exec_lo, exec_lo, s3
	s_delay_alu instid0(SALU_CYCLE_1)
	s_mov_b32 s3, exec_lo
	v_cmpx_gt_i32_e64 s20, v3
	s_cbranch_execz .LBB325_7
; %bb.6:
	v_add_nc_u32_e32 v4, s16, v3
	v_add_nc_u32_e32 v3, 0x100, v3
	s_clause 0x1
	global_load_u16 v5, v4, s[14:15] scale_offset
	global_load_u16 v6, v4, s[18:19] scale_offset
	s_wait_loadcnt 0x0
	v_cmp_ne_u16_e64 s0, v5, v6
	s_and_b32 s1, s0, exec_lo
.LBB325_7:
	s_wait_xcnt 0x0
	s_or_b32 exec_lo, exec_lo, s3
	s_mov_b32 s3, 0
	s_mov_b32 s5, 0
	s_mov_b32 s4, exec_lo
	v_cmpx_gt_i32_e64 s20, v3
	s_cbranch_execz .LBB325_9
; %bb.8:
	v_add_nc_u32_e32 v4, s16, v3
	v_add_nc_u32_e32 v3, 0x100, v3
	s_clause 0x1
	global_load_u16 v5, v4, s[14:15] scale_offset
	global_load_u16 v6, v4, s[18:19] scale_offset
	s_wait_loadcnt 0x0
	v_cmp_ne_u16_e64 s0, v5, v6
	s_and_b32 s5, s0, exec_lo
.LBB325_9:
	s_wait_xcnt 0x0
	s_or_b32 exec_lo, exec_lo, s4
	s_delay_alu instid0(SALU_CYCLE_1)
	s_mov_b32 s4, exec_lo
	v_cmpx_gt_i32_e64 s20, v3
	s_cbranch_execz .LBB325_11
; %bb.10:
	v_add_nc_u32_e32 v4, s16, v3
	v_add_nc_u32_e32 v3, 0x100, v3
	s_clause 0x1
	global_load_u16 v5, v4, s[14:15] scale_offset
	global_load_u16 v6, v4, s[18:19] scale_offset
	s_wait_loadcnt 0x0
	v_cmp_ne_u16_e64 s0, v5, v6
	s_and_b32 s3, s0, exec_lo
.LBB325_11:
	s_wait_xcnt 0x0
	s_or_b32 exec_lo, exec_lo, s4
	s_mov_b32 s4, 0
	s_mov_b32 s7, 0
	s_mov_b32 s6, exec_lo
	v_cmpx_gt_i32_e64 s20, v3
	s_cbranch_execz .LBB325_13
; %bb.12:
	v_add_nc_u32_e32 v4, s16, v3
	v_add_nc_u32_e32 v3, 0x100, v3
	s_clause 0x1
	global_load_u16 v5, v4, s[14:15] scale_offset
	global_load_u16 v6, v4, s[18:19] scale_offset
	s_wait_loadcnt 0x0
	v_cmp_ne_u16_e64 s0, v5, v6
	s_and_b32 s7, s0, exec_lo
.LBB325_13:
	;; [unrolled: 33-line block ×7, first 2 shown]
	s_wait_xcnt 0x0
	s_or_b32 exec_lo, exec_lo, s26
	s_delay_alu instid0(SALU_CYCLE_1)
	s_mov_b32 s26, exec_lo
	v_cmpx_gt_i32_e64 s20, v3
	s_cbranch_execz .LBB325_35
; %bb.34:
	v_add_nc_u32_e32 v3, s16, v3
	s_clause 0x1
	global_load_u16 v4, v3, s[14:15] scale_offset
	global_load_u16 v5, v3, s[18:19] scale_offset
	s_wait_loadcnt 0x0
	v_cmp_ne_u16_e64 s0, v4, v5
	s_and_b32 s23, s0, exec_lo
.LBB325_35:
	s_wait_xcnt 0x0
	s_or_b32 exec_lo, exec_lo, s26
	s_cmp_eq_u32 s11, 0
	s_cselect_b32 s0, -1, 0
	s_and_saveexec_b32 s11, vcc_lo
	s_cbranch_execnz .LBB325_53
; %bb.36:
	s_or_b32 exec_lo, exec_lo, s11
	s_delay_alu instid0(SALU_CYCLE_1)
	s_mov_b32 s2, exec_lo
	v_cmpx_gt_i32_e64 s20, v0
	s_cbranch_execnz .LBB325_54
.LBB325_37:
	s_or_b32 exec_lo, exec_lo, s2
	s_delay_alu instid0(SALU_CYCLE_1)
	s_mov_b32 s1, exec_lo
	v_cmpx_gt_i32_e64 s20, v0
	s_cbranch_execnz .LBB325_55
.LBB325_38:
	s_or_b32 exec_lo, exec_lo, s1
	s_delay_alu instid0(SALU_CYCLE_1)
	s_mov_b32 s1, exec_lo
	v_cmpx_gt_i32_e64 s20, v0
	s_cbranch_execnz .LBB325_56
.LBB325_39:
	s_or_b32 exec_lo, exec_lo, s1
	s_delay_alu instid0(SALU_CYCLE_1)
	s_mov_b32 s1, exec_lo
	v_cmpx_gt_i32_e64 s20, v0
	s_cbranch_execnz .LBB325_57
.LBB325_40:
	s_or_b32 exec_lo, exec_lo, s1
	s_delay_alu instid0(SALU_CYCLE_1)
	s_mov_b32 s1, exec_lo
	v_cmpx_gt_i32_e64 s20, v0
	s_cbranch_execnz .LBB325_58
.LBB325_41:
	s_or_b32 exec_lo, exec_lo, s1
	s_delay_alu instid0(SALU_CYCLE_1)
	s_mov_b32 s1, exec_lo
	v_cmpx_gt_i32_e64 s20, v0
	s_cbranch_execnz .LBB325_59
.LBB325_42:
	s_or_b32 exec_lo, exec_lo, s1
	s_delay_alu instid0(SALU_CYCLE_1)
	s_mov_b32 s1, exec_lo
	v_cmpx_gt_i32_e64 s20, v0
	s_cbranch_execnz .LBB325_60
.LBB325_43:
	s_or_b32 exec_lo, exec_lo, s1
	s_delay_alu instid0(SALU_CYCLE_1)
	s_mov_b32 s1, exec_lo
	v_cmpx_gt_i32_e64 s20, v0
	s_cbranch_execnz .LBB325_61
.LBB325_44:
	s_or_b32 exec_lo, exec_lo, s1
	s_delay_alu instid0(SALU_CYCLE_1)
	s_mov_b32 s1, exec_lo
	v_cmpx_gt_i32_e64 s20, v0
	s_cbranch_execnz .LBB325_62
.LBB325_45:
	s_or_b32 exec_lo, exec_lo, s1
	s_delay_alu instid0(SALU_CYCLE_1)
	s_mov_b32 s1, exec_lo
	v_cmpx_gt_i32_e64 s20, v0
	s_cbranch_execnz .LBB325_63
.LBB325_46:
	s_or_b32 exec_lo, exec_lo, s1
	s_delay_alu instid0(SALU_CYCLE_1)
	s_mov_b32 s1, exec_lo
	v_cmpx_gt_i32_e64 s20, v0
	s_cbranch_execnz .LBB325_64
.LBB325_47:
	s_or_b32 exec_lo, exec_lo, s1
	s_delay_alu instid0(SALU_CYCLE_1)
	s_mov_b32 s1, exec_lo
	v_cmpx_gt_i32_e64 s20, v0
	s_cbranch_execnz .LBB325_65
.LBB325_48:
	s_or_b32 exec_lo, exec_lo, s1
	s_delay_alu instid0(SALU_CYCLE_1)
	s_mov_b32 s1, exec_lo
	v_cmpx_gt_i32_e64 s20, v0
	s_cbranch_execnz .LBB325_66
.LBB325_49:
	s_or_b32 exec_lo, exec_lo, s1
	s_delay_alu instid0(SALU_CYCLE_1)
	s_mov_b32 s1, exec_lo
	v_cmpx_gt_i32_e64 s20, v0
	s_cbranch_execnz .LBB325_67
.LBB325_50:
	s_or_b32 exec_lo, exec_lo, s1
	s_delay_alu instid0(SALU_CYCLE_1)
	s_mov_b32 s1, exec_lo
	v_cmpx_gt_i32_e64 s20, v0
	s_cbranch_execz .LBB325_52
.LBB325_51:
	s_xor_b32 s0, s0, s23
	v_add_nc_u32_e32 v0, s16, v0
	v_cndmask_b32_e64 v1, 0, 1, s0
	global_store_b8 v0, v1, s[12:13]
.LBB325_52:
	s_endpgm
.LBB325_53:
	s_xor_b32 s2, s0, s2
	v_mov_b32_e32 v0, v2
	v_cndmask_b32_e64 v3, 0, 1, s2
	global_store_b8 v1, v3, s[12:13]
	s_wait_xcnt 0x0
	s_or_b32 exec_lo, exec_lo, s11
	s_delay_alu instid0(SALU_CYCLE_1)
	s_mov_b32 s2, exec_lo
	v_cmpx_gt_i32_e64 s20, v0
	s_cbranch_execz .LBB325_37
.LBB325_54:
	s_xor_b32 s1, s0, s1
	v_add_nc_u32_e32 v2, s16, v0
	v_cndmask_b32_e64 v1, 0, 1, s1
	v_add_nc_u32_e32 v0, 0x100, v0
	global_store_b8 v2, v1, s[12:13]
	s_wait_xcnt 0x0
	s_or_b32 exec_lo, exec_lo, s2
	s_delay_alu instid0(SALU_CYCLE_1)
	s_mov_b32 s1, exec_lo
	v_cmpx_gt_i32_e64 s20, v0
	s_cbranch_execz .LBB325_38
.LBB325_55:
	s_xor_b32 s2, s0, s5
	v_add_nc_u32_e32 v2, s16, v0
	v_cndmask_b32_e64 v1, 0, 1, s2
	v_add_nc_u32_e32 v0, 0x100, v0
	global_store_b8 v2, v1, s[12:13]
	s_wait_xcnt 0x0
	s_or_b32 exec_lo, exec_lo, s1
	s_delay_alu instid0(SALU_CYCLE_1)
	s_mov_b32 s1, exec_lo
	v_cmpx_gt_i32_e64 s20, v0
	s_cbranch_execz .LBB325_39
.LBB325_56:
	s_xor_b32 s2, s0, s3
	v_add_nc_u32_e32 v2, s16, v0
	v_cndmask_b32_e64 v1, 0, 1, s2
	v_add_nc_u32_e32 v0, 0x100, v0
	global_store_b8 v2, v1, s[12:13]
	s_wait_xcnt 0x0
	s_or_b32 exec_lo, exec_lo, s1
	s_delay_alu instid0(SALU_CYCLE_1)
	s_mov_b32 s1, exec_lo
	v_cmpx_gt_i32_e64 s20, v0
	s_cbranch_execz .LBB325_40
.LBB325_57:
	s_xor_b32 s2, s0, s7
	v_add_nc_u32_e32 v2, s16, v0
	v_cndmask_b32_e64 v1, 0, 1, s2
	v_add_nc_u32_e32 v0, 0x100, v0
	global_store_b8 v2, v1, s[12:13]
	s_wait_xcnt 0x0
	s_or_b32 exec_lo, exec_lo, s1
	s_delay_alu instid0(SALU_CYCLE_1)
	s_mov_b32 s1, exec_lo
	v_cmpx_gt_i32_e64 s20, v0
	s_cbranch_execz .LBB325_41
.LBB325_58:
	s_xor_b32 s2, s0, s4
	v_add_nc_u32_e32 v2, s16, v0
	v_cndmask_b32_e64 v1, 0, 1, s2
	v_add_nc_u32_e32 v0, 0x100, v0
	global_store_b8 v2, v1, s[12:13]
	s_wait_xcnt 0x0
	s_or_b32 exec_lo, exec_lo, s1
	s_delay_alu instid0(SALU_CYCLE_1)
	s_mov_b32 s1, exec_lo
	v_cmpx_gt_i32_e64 s20, v0
	s_cbranch_execz .LBB325_42
.LBB325_59:
	s_xor_b32 s2, s0, s9
	v_add_nc_u32_e32 v2, s16, v0
	v_cndmask_b32_e64 v1, 0, 1, s2
	v_add_nc_u32_e32 v0, 0x100, v0
	global_store_b8 v2, v1, s[12:13]
	s_wait_xcnt 0x0
	s_or_b32 exec_lo, exec_lo, s1
	s_delay_alu instid0(SALU_CYCLE_1)
	s_mov_b32 s1, exec_lo
	v_cmpx_gt_i32_e64 s20, v0
	s_cbranch_execz .LBB325_43
.LBB325_60:
	s_xor_b32 s2, s0, s6
	v_add_nc_u32_e32 v2, s16, v0
	v_cndmask_b32_e64 v1, 0, 1, s2
	v_add_nc_u32_e32 v0, 0x100, v0
	global_store_b8 v2, v1, s[12:13]
	s_wait_xcnt 0x0
	s_or_b32 exec_lo, exec_lo, s1
	s_delay_alu instid0(SALU_CYCLE_1)
	s_mov_b32 s1, exec_lo
	v_cmpx_gt_i32_e64 s20, v0
	s_cbranch_execz .LBB325_44
.LBB325_61:
	s_xor_b32 s2, s0, s17
	v_add_nc_u32_e32 v2, s16, v0
	v_cndmask_b32_e64 v1, 0, 1, s2
	v_add_nc_u32_e32 v0, 0x100, v0
	global_store_b8 v2, v1, s[12:13]
	s_wait_xcnt 0x0
	s_or_b32 exec_lo, exec_lo, s1
	s_delay_alu instid0(SALU_CYCLE_1)
	s_mov_b32 s1, exec_lo
	v_cmpx_gt_i32_e64 s20, v0
	s_cbranch_execz .LBB325_45
.LBB325_62:
	s_xor_b32 s2, s0, s8
	v_add_nc_u32_e32 v2, s16, v0
	v_cndmask_b32_e64 v1, 0, 1, s2
	v_add_nc_u32_e32 v0, 0x100, v0
	global_store_b8 v2, v1, s[12:13]
	s_wait_xcnt 0x0
	s_or_b32 exec_lo, exec_lo, s1
	s_delay_alu instid0(SALU_CYCLE_1)
	s_mov_b32 s1, exec_lo
	v_cmpx_gt_i32_e64 s20, v0
	s_cbranch_execz .LBB325_46
.LBB325_63:
	s_xor_b32 s2, s0, s22
	v_add_nc_u32_e32 v2, s16, v0
	v_cndmask_b32_e64 v1, 0, 1, s2
	v_add_nc_u32_e32 v0, 0x100, v0
	global_store_b8 v2, v1, s[12:13]
	s_wait_xcnt 0x0
	s_or_b32 exec_lo, exec_lo, s1
	s_delay_alu instid0(SALU_CYCLE_1)
	s_mov_b32 s1, exec_lo
	v_cmpx_gt_i32_e64 s20, v0
	s_cbranch_execz .LBB325_47
.LBB325_64:
	s_xor_b32 s2, s0, s10
	v_add_nc_u32_e32 v2, s16, v0
	v_cndmask_b32_e64 v1, 0, 1, s2
	v_add_nc_u32_e32 v0, 0x100, v0
	global_store_b8 v2, v1, s[12:13]
	s_wait_xcnt 0x0
	s_or_b32 exec_lo, exec_lo, s1
	s_delay_alu instid0(SALU_CYCLE_1)
	s_mov_b32 s1, exec_lo
	v_cmpx_gt_i32_e64 s20, v0
	s_cbranch_execz .LBB325_48
.LBB325_65:
	s_xor_b32 s2, s0, s24
	v_add_nc_u32_e32 v2, s16, v0
	v_cndmask_b32_e64 v1, 0, 1, s2
	v_add_nc_u32_e32 v0, 0x100, v0
	global_store_b8 v2, v1, s[12:13]
	s_wait_xcnt 0x0
	s_or_b32 exec_lo, exec_lo, s1
	s_delay_alu instid0(SALU_CYCLE_1)
	s_mov_b32 s1, exec_lo
	v_cmpx_gt_i32_e64 s20, v0
	s_cbranch_execz .LBB325_49
.LBB325_66:
	s_xor_b32 s2, s0, s21
	v_add_nc_u32_e32 v2, s16, v0
	v_cndmask_b32_e64 v1, 0, 1, s2
	v_add_nc_u32_e32 v0, 0x100, v0
	global_store_b8 v2, v1, s[12:13]
	s_wait_xcnt 0x0
	s_or_b32 exec_lo, exec_lo, s1
	s_delay_alu instid0(SALU_CYCLE_1)
	s_mov_b32 s1, exec_lo
	v_cmpx_gt_i32_e64 s20, v0
	s_cbranch_execz .LBB325_50
.LBB325_67:
	s_xor_b32 s2, s0, s25
	v_add_nc_u32_e32 v2, s16, v0
	v_cndmask_b32_e64 v1, 0, 1, s2
	v_add_nc_u32_e32 v0, 0x100, v0
	global_store_b8 v2, v1, s[12:13]
	s_wait_xcnt 0x0
	s_or_b32 exec_lo, exec_lo, s1
	s_delay_alu instid0(SALU_CYCLE_1)
	s_mov_b32 s1, exec_lo
	v_cmpx_gt_i32_e64 s20, v0
	s_cbranch_execnz .LBB325_51
	s_branch .LBB325_52
	.section	.rodata,"a",@progbits
	.p2align	6, 0x0
	.amdhsa_kernel _ZN2at6native29vectorized_elementwise_kernelILi16ENS0_13BinaryFunctorIttbNS0_12_GLOBAL__N_116CompareEqFunctorItEEEESt5arrayIPcLm3EEEEviT0_T1_
		.amdhsa_group_segment_fixed_size 0
		.amdhsa_private_segment_fixed_size 0
		.amdhsa_kernarg_size 32
		.amdhsa_user_sgpr_count 2
		.amdhsa_user_sgpr_dispatch_ptr 0
		.amdhsa_user_sgpr_queue_ptr 0
		.amdhsa_user_sgpr_kernarg_segment_ptr 1
		.amdhsa_user_sgpr_dispatch_id 0
		.amdhsa_user_sgpr_kernarg_preload_length 0
		.amdhsa_user_sgpr_kernarg_preload_offset 0
		.amdhsa_user_sgpr_private_segment_size 0
		.amdhsa_wavefront_size32 1
		.amdhsa_uses_dynamic_stack 0
		.amdhsa_enable_private_segment 0
		.amdhsa_system_sgpr_workgroup_id_x 1
		.amdhsa_system_sgpr_workgroup_id_y 0
		.amdhsa_system_sgpr_workgroup_id_z 0
		.amdhsa_system_sgpr_workgroup_info 0
		.amdhsa_system_vgpr_workitem_id 0
		.amdhsa_next_free_vgpr 19
		.amdhsa_next_free_sgpr 27
		.amdhsa_named_barrier_count 0
		.amdhsa_reserve_vcc 1
		.amdhsa_float_round_mode_32 0
		.amdhsa_float_round_mode_16_64 0
		.amdhsa_float_denorm_mode_32 3
		.amdhsa_float_denorm_mode_16_64 3
		.amdhsa_fp16_overflow 0
		.amdhsa_memory_ordered 1
		.amdhsa_forward_progress 1
		.amdhsa_inst_pref_size 28
		.amdhsa_round_robin_scheduling 0
		.amdhsa_exception_fp_ieee_invalid_op 0
		.amdhsa_exception_fp_denorm_src 0
		.amdhsa_exception_fp_ieee_div_zero 0
		.amdhsa_exception_fp_ieee_overflow 0
		.amdhsa_exception_fp_ieee_underflow 0
		.amdhsa_exception_fp_ieee_inexact 0
		.amdhsa_exception_int_div_zero 0
	.end_amdhsa_kernel
	.section	.text._ZN2at6native29vectorized_elementwise_kernelILi16ENS0_13BinaryFunctorIttbNS0_12_GLOBAL__N_116CompareEqFunctorItEEEESt5arrayIPcLm3EEEEviT0_T1_,"axG",@progbits,_ZN2at6native29vectorized_elementwise_kernelILi16ENS0_13BinaryFunctorIttbNS0_12_GLOBAL__N_116CompareEqFunctorItEEEESt5arrayIPcLm3EEEEviT0_T1_,comdat
.Lfunc_end325:
	.size	_ZN2at6native29vectorized_elementwise_kernelILi16ENS0_13BinaryFunctorIttbNS0_12_GLOBAL__N_116CompareEqFunctorItEEEESt5arrayIPcLm3EEEEviT0_T1_, .Lfunc_end325-_ZN2at6native29vectorized_elementwise_kernelILi16ENS0_13BinaryFunctorIttbNS0_12_GLOBAL__N_116CompareEqFunctorItEEEESt5arrayIPcLm3EEEEviT0_T1_
                                        ; -- End function
	.set _ZN2at6native29vectorized_elementwise_kernelILi16ENS0_13BinaryFunctorIttbNS0_12_GLOBAL__N_116CompareEqFunctorItEEEESt5arrayIPcLm3EEEEviT0_T1_.num_vgpr, 19
	.set _ZN2at6native29vectorized_elementwise_kernelILi16ENS0_13BinaryFunctorIttbNS0_12_GLOBAL__N_116CompareEqFunctorItEEEESt5arrayIPcLm3EEEEviT0_T1_.num_agpr, 0
	.set _ZN2at6native29vectorized_elementwise_kernelILi16ENS0_13BinaryFunctorIttbNS0_12_GLOBAL__N_116CompareEqFunctorItEEEESt5arrayIPcLm3EEEEviT0_T1_.numbered_sgpr, 27
	.set _ZN2at6native29vectorized_elementwise_kernelILi16ENS0_13BinaryFunctorIttbNS0_12_GLOBAL__N_116CompareEqFunctorItEEEESt5arrayIPcLm3EEEEviT0_T1_.num_named_barrier, 0
	.set _ZN2at6native29vectorized_elementwise_kernelILi16ENS0_13BinaryFunctorIttbNS0_12_GLOBAL__N_116CompareEqFunctorItEEEESt5arrayIPcLm3EEEEviT0_T1_.private_seg_size, 0
	.set _ZN2at6native29vectorized_elementwise_kernelILi16ENS0_13BinaryFunctorIttbNS0_12_GLOBAL__N_116CompareEqFunctorItEEEESt5arrayIPcLm3EEEEviT0_T1_.uses_vcc, 1
	.set _ZN2at6native29vectorized_elementwise_kernelILi16ENS0_13BinaryFunctorIttbNS0_12_GLOBAL__N_116CompareEqFunctorItEEEESt5arrayIPcLm3EEEEviT0_T1_.uses_flat_scratch, 0
	.set _ZN2at6native29vectorized_elementwise_kernelILi16ENS0_13BinaryFunctorIttbNS0_12_GLOBAL__N_116CompareEqFunctorItEEEESt5arrayIPcLm3EEEEviT0_T1_.has_dyn_sized_stack, 0
	.set _ZN2at6native29vectorized_elementwise_kernelILi16ENS0_13BinaryFunctorIttbNS0_12_GLOBAL__N_116CompareEqFunctorItEEEESt5arrayIPcLm3EEEEviT0_T1_.has_recursion, 0
	.set _ZN2at6native29vectorized_elementwise_kernelILi16ENS0_13BinaryFunctorIttbNS0_12_GLOBAL__N_116CompareEqFunctorItEEEESt5arrayIPcLm3EEEEviT0_T1_.has_indirect_call, 0
	.section	.AMDGPU.csdata,"",@progbits
; Kernel info:
; codeLenInByte = 3544
; TotalNumSgprs: 29
; NumVgprs: 19
; ScratchSize: 0
; MemoryBound: 0
; FloatMode: 240
; IeeeMode: 1
; LDSByteSize: 0 bytes/workgroup (compile time only)
; SGPRBlocks: 0
; VGPRBlocks: 1
; NumSGPRsForWavesPerEU: 29
; NumVGPRsForWavesPerEU: 19
; NamedBarCnt: 0
; Occupancy: 16
; WaveLimiterHint : 0
; COMPUTE_PGM_RSRC2:SCRATCH_EN: 0
; COMPUTE_PGM_RSRC2:USER_SGPR: 2
; COMPUTE_PGM_RSRC2:TRAP_HANDLER: 0
; COMPUTE_PGM_RSRC2:TGID_X_EN: 1
; COMPUTE_PGM_RSRC2:TGID_Y_EN: 0
; COMPUTE_PGM_RSRC2:TGID_Z_EN: 0
; COMPUTE_PGM_RSRC2:TIDIG_COMP_CNT: 0
	.section	.text._ZN2at6native29vectorized_elementwise_kernelILi8ENS0_13BinaryFunctorIttbNS0_12_GLOBAL__N_116CompareEqFunctorItEEEESt5arrayIPcLm3EEEEviT0_T1_,"axG",@progbits,_ZN2at6native29vectorized_elementwise_kernelILi8ENS0_13BinaryFunctorIttbNS0_12_GLOBAL__N_116CompareEqFunctorItEEEESt5arrayIPcLm3EEEEviT0_T1_,comdat
	.globl	_ZN2at6native29vectorized_elementwise_kernelILi8ENS0_13BinaryFunctorIttbNS0_12_GLOBAL__N_116CompareEqFunctorItEEEESt5arrayIPcLm3EEEEviT0_T1_ ; -- Begin function _ZN2at6native29vectorized_elementwise_kernelILi8ENS0_13BinaryFunctorIttbNS0_12_GLOBAL__N_116CompareEqFunctorItEEEESt5arrayIPcLm3EEEEviT0_T1_
	.p2align	8
	.type	_ZN2at6native29vectorized_elementwise_kernelILi8ENS0_13BinaryFunctorIttbNS0_12_GLOBAL__N_116CompareEqFunctorItEEEESt5arrayIPcLm3EEEEviT0_T1_,@function
_ZN2at6native29vectorized_elementwise_kernelILi8ENS0_13BinaryFunctorIttbNS0_12_GLOBAL__N_116CompareEqFunctorItEEEESt5arrayIPcLm3EEEEviT0_T1_: ; @_ZN2at6native29vectorized_elementwise_kernelILi8ENS0_13BinaryFunctorIttbNS0_12_GLOBAL__N_116CompareEqFunctorItEEEESt5arrayIPcLm3EEEEviT0_T1_
; %bb.0:
	s_clause 0x2
	s_load_b64 s[6:7], s[0:1], 0x0
	s_load_b128 s[8:11], s[0:1], 0x8
	s_load_b64 s[14:15], s[0:1], 0x18
	s_wait_xcnt 0x0
	s_bfe_u32 s0, ttmp6, 0x4000c
	s_and_b32 s1, ttmp6, 15
	s_add_co_i32 s0, s0, 1
	s_getreg_b32 s2, hwreg(HW_REG_IB_STS2, 6, 4)
	s_mul_i32 s0, ttmp9, s0
	s_delay_alu instid0(SALU_CYCLE_1) | instskip(SKIP_2) | instid1(SALU_CYCLE_1)
	s_add_co_i32 s1, s1, s0
	s_cmp_eq_u32 s2, 0
	s_cselect_b32 s0, ttmp9, s1
	s_lshl_b32 s12, s0, 12
	s_mov_b32 s0, -1
	s_wait_kmcnt 0x0
	s_sub_co_i32 s16, s6, s12
	s_delay_alu instid0(SALU_CYCLE_1)
	s_cmp_gt_i32 s16, 0xfff
	s_cbranch_scc0 .LBB326_2
; %bb.1:
	s_ashr_i32 s13, s12, 31
	v_or3_b32 v1, 0, 0, 0
	s_lshl_b64 s[0:1], s[12:13], 1
	s_cmp_eq_u32 s7, 0
	s_add_nc_u64 s[2:3], s[10:11], s[0:1]
	s_add_nc_u64 s[0:1], s[14:15], s[0:1]
	s_clause 0x3
	global_load_b128 v[2:5], v0, s[2:3] scale_offset
	global_load_b128 v[6:9], v0, s[2:3] offset:4096 scale_offset
	global_load_b128 v[10:13], v0, s[0:1] scale_offset
	global_load_b128 v[14:17], v0, s[0:1] offset:4096 scale_offset
	s_cselect_b32 s17, -1, 0
	s_wait_loadcnt 0x3
	v_dual_lshrrev_b32 v18, 16, v2 :: v_dual_lshrrev_b32 v19, 16, v3
	s_wait_loadcnt 0x1
	s_wait_xcnt 0x0
	v_cmp_ne_u16_e64 s0, v3, v11
	v_dual_lshrrev_b32 v26, 16, v10 :: v_dual_lshrrev_b32 v27, 16, v11
	s_wait_loadcnt 0x0
	v_cmp_ne_u16_e64 s3, v6, v14
	v_cmp_ne_u16_e32 vcc_lo, v2, v10
	v_dual_lshrrev_b32 v22, 16, v6 :: v_dual_lshrrev_b32 v23, 16, v7
	v_dual_lshrrev_b32 v30, 16, v14 :: v_dual_lshrrev_b32 v31, 16, v15
	v_cmp_ne_u16_e64 s1, v4, v12
	s_xor_b32 s0, s17, s0
	v_dual_lshrrev_b32 v20, 16, v4 :: v_dual_lshrrev_b32 v21, 16, v5
	v_dual_lshrrev_b32 v28, 16, v12 :: v_dual_lshrrev_b32 v29, 16, v13
	v_cmp_ne_u16_e64 s4, v7, v15
	v_cndmask_b32_e64 v3, 0, 0x10000, s0
	v_cmp_ne_u16_e64 s0, v19, v27
	s_xor_b32 s3, s17, s3
	s_xor_b32 s18, s17, vcc_lo
	v_cmp_ne_u16_e32 vcc_lo, v18, v26
	v_cndmask_b32_e64 v6, 0, 1, s3
	v_cmp_ne_u16_e64 s3, v22, v30
	v_cmp_ne_u16_e64 s2, v5, v13
	s_xor_b32 s1, s17, s1
	v_cmp_ne_u16_e64 s5, v8, v16
	v_cndmask_b32_e64 v4, 0, 1, s1
	v_cmp_ne_u16_e64 s1, v20, v28
	s_xor_b32 s4, s17, s4
	s_xor_b32 s0, s17, s0
	v_cndmask_b32_e64 v2, 0, 1, s18
	s_xor_b32 s18, s17, vcc_lo
	v_dual_lshrrev_b32 v24, 16, v8 :: v_dual_lshrrev_b32 v25, 16, v9
	v_dual_lshrrev_b32 v32, 16, v16 :: v_dual_lshrrev_b32 v33, 16, v17
	v_cndmask_b32_e64 v7, 0, 0x10000, s4
	v_cmp_ne_u16_e64 s4, v23, v31
	v_cndmask_b32_e64 v11, 0, 0x1000000, s0
	s_xor_b32 s0, s17, s3
	s_xor_b32 s2, s17, s2
	v_cndmask_b32_e64 v10, 0, 0x100, s18
	v_cndmask_b32_e64 v12, 0, 0x100, s0
	v_cmp_ne_u16_e64 s6, v9, v17
	v_cndmask_b32_e64 v5, 0, 0x10000, s2
	v_cmp_ne_u16_e64 s2, v21, v29
	s_xor_b32 s5, s17, s5
	s_xor_b32 s0, s17, s1
	v_cndmask_b32_e64 v8, 0, 1, s5
	v_cmp_ne_u16_e64 s5, v24, v32
	v_cndmask_b32_e64 v13, 0, 0x100, s0
	s_xor_b32 s0, s17, s4
	v_or_b32_e32 v2, v10, v2
	v_cndmask_b32_e64 v14, 0, 0x1000000, s0
	v_or_b32_e32 v6, v12, v6
	s_xor_b32 s6, s17, s6
	s_xor_b32 s0, s17, s2
	v_cndmask_b32_e64 v9, 0, 0x10000, s6
	v_cmp_ne_u16_e64 s6, v25, v33
	v_cndmask_b32_e64 v10, 0, 0x1000000, s0
	s_xor_b32 s0, s17, s5
	v_or3_b32 v2, v2, v3, v11
	v_cndmask_b32_e64 v12, 0, 0x100, s0
	v_or3_b32 v3, v6, v7, v14
	s_xor_b32 s0, s17, s6
	v_or3_b32 v4, v1, v4, v13
	v_or3_b32 v2, v2, 0, 0
	v_cndmask_b32_e64 v6, 0, 0x1000000, s0
	v_or3_b32 v1, v1, v8, v12
	v_or3_b32 v7, v3, 0, 0
	;; [unrolled: 1-line block ×4, first 2 shown]
	s_add_nc_u64 s[2:3], s[8:9], s[12:13]
	v_or3_b32 v5, v1, v9, v6
	v_or3_b32 v4, v7, 0, 0
	s_mov_b32 s0, 0
	s_clause 0x1
	global_store_b64 v0, v[2:3], s[2:3] scale_offset
	global_store_b64 v0, v[4:5], s[2:3] offset:2048 scale_offset
.LBB326_2:
	s_and_not1_b32 vcc_lo, exec_lo, s0
	s_cbranch_vccnz .LBB326_52
; %bb.3:
	v_cmp_gt_i32_e32 vcc_lo, s16, v0
	s_wait_xcnt 0x1
	v_dual_mov_b32 v3, v0 :: v_dual_bitop2_b32 v1, s12, v0 bitop3:0x54
	v_or_b32_e32 v2, 0x100, v0
	s_mov_b32 s1, 0
	s_wait_xcnt 0x0
	s_mov_b32 s2, 0
	s_and_saveexec_b32 s3, vcc_lo
	s_cbranch_execz .LBB326_5
; %bb.4:
	s_clause 0x1
	global_load_u16 v3, v1, s[10:11] scale_offset
	global_load_u16 v4, v1, s[14:15] scale_offset
	s_wait_loadcnt 0x0
	v_cmp_ne_u16_e64 s0, v3, v4
	v_or_b32_e32 v3, 0x100, v0
	s_and_b32 s2, s0, exec_lo
.LBB326_5:
	s_wait_xcnt 0x0
	s_or_b32 exec_lo, exec_lo, s3
	s_delay_alu instid0(SALU_CYCLE_1)
	s_mov_b32 s3, exec_lo
	v_cmpx_gt_i32_e64 s16, v3
	s_cbranch_execz .LBB326_7
; %bb.6:
	v_add_nc_u32_e32 v4, s12, v3
	v_add_nc_u32_e32 v3, 0x100, v3
	s_clause 0x1
	global_load_u16 v5, v4, s[10:11] scale_offset
	global_load_u16 v6, v4, s[14:15] scale_offset
	s_wait_loadcnt 0x0
	v_cmp_ne_u16_e64 s0, v5, v6
	s_and_b32 s1, s0, exec_lo
.LBB326_7:
	s_wait_xcnt 0x0
	s_or_b32 exec_lo, exec_lo, s3
	s_mov_b32 s3, 0
	s_mov_b32 s5, 0
	s_mov_b32 s4, exec_lo
	v_cmpx_gt_i32_e64 s16, v3
	s_cbranch_execz .LBB326_9
; %bb.8:
	v_add_nc_u32_e32 v4, s12, v3
	v_add_nc_u32_e32 v3, 0x100, v3
	s_clause 0x1
	global_load_u16 v5, v4, s[10:11] scale_offset
	global_load_u16 v6, v4, s[14:15] scale_offset
	s_wait_loadcnt 0x0
	v_cmp_ne_u16_e64 s0, v5, v6
	s_and_b32 s5, s0, exec_lo
.LBB326_9:
	s_wait_xcnt 0x0
	s_or_b32 exec_lo, exec_lo, s4
	s_delay_alu instid0(SALU_CYCLE_1)
	s_mov_b32 s4, exec_lo
	v_cmpx_gt_i32_e64 s16, v3
	s_cbranch_execz .LBB326_11
; %bb.10:
	v_add_nc_u32_e32 v4, s12, v3
	v_add_nc_u32_e32 v3, 0x100, v3
	s_clause 0x1
	global_load_u16 v5, v4, s[10:11] scale_offset
	global_load_u16 v6, v4, s[14:15] scale_offset
	s_wait_loadcnt 0x0
	v_cmp_ne_u16_e64 s0, v5, v6
	s_and_b32 s3, s0, exec_lo
.LBB326_11:
	s_wait_xcnt 0x0
	s_or_b32 exec_lo, exec_lo, s4
	s_mov_b32 s4, 0
	s_mov_b32 s13, 0
	s_mov_b32 s6, exec_lo
	v_cmpx_gt_i32_e64 s16, v3
	s_cbranch_execz .LBB326_13
; %bb.12:
	v_add_nc_u32_e32 v4, s12, v3
	v_add_nc_u32_e32 v3, 0x100, v3
	s_clause 0x1
	global_load_u16 v5, v4, s[10:11] scale_offset
	global_load_u16 v6, v4, s[14:15] scale_offset
	s_wait_loadcnt 0x0
	v_cmp_ne_u16_e64 s0, v5, v6
	s_and_b32 s13, s0, exec_lo
.LBB326_13:
	;; [unrolled: 33-line block ×7, first 2 shown]
	s_wait_xcnt 0x0
	s_or_b32 exec_lo, exec_lo, s26
	s_delay_alu instid0(SALU_CYCLE_1)
	s_mov_b32 s26, exec_lo
	v_cmpx_gt_i32_e64 s16, v3
	s_cbranch_execz .LBB326_35
; %bb.34:
	v_add_nc_u32_e32 v3, s12, v3
	s_clause 0x1
	global_load_u16 v4, v3, s[10:11] scale_offset
	global_load_u16 v5, v3, s[14:15] scale_offset
	s_wait_loadcnt 0x0
	v_cmp_ne_u16_e64 s0, v4, v5
	s_and_b32 s23, s0, exec_lo
.LBB326_35:
	s_wait_xcnt 0x0
	s_or_b32 exec_lo, exec_lo, s26
	s_cmp_eq_u32 s7, 0
	s_cselect_b32 s0, -1, 0
	s_and_saveexec_b32 s7, vcc_lo
	s_cbranch_execnz .LBB326_53
; %bb.36:
	s_or_b32 exec_lo, exec_lo, s7
	s_delay_alu instid0(SALU_CYCLE_1)
	s_mov_b32 s2, exec_lo
	v_cmpx_gt_i32_e64 s16, v0
	s_cbranch_execnz .LBB326_54
.LBB326_37:
	s_or_b32 exec_lo, exec_lo, s2
	s_delay_alu instid0(SALU_CYCLE_1)
	s_mov_b32 s1, exec_lo
	v_cmpx_gt_i32_e64 s16, v0
	s_cbranch_execnz .LBB326_55
.LBB326_38:
	s_or_b32 exec_lo, exec_lo, s1
	s_delay_alu instid0(SALU_CYCLE_1)
	s_mov_b32 s1, exec_lo
	v_cmpx_gt_i32_e64 s16, v0
	s_cbranch_execnz .LBB326_56
.LBB326_39:
	s_or_b32 exec_lo, exec_lo, s1
	s_delay_alu instid0(SALU_CYCLE_1)
	s_mov_b32 s1, exec_lo
	v_cmpx_gt_i32_e64 s16, v0
	s_cbranch_execnz .LBB326_57
.LBB326_40:
	s_or_b32 exec_lo, exec_lo, s1
	s_delay_alu instid0(SALU_CYCLE_1)
	s_mov_b32 s1, exec_lo
	v_cmpx_gt_i32_e64 s16, v0
	s_cbranch_execnz .LBB326_58
.LBB326_41:
	s_or_b32 exec_lo, exec_lo, s1
	s_delay_alu instid0(SALU_CYCLE_1)
	s_mov_b32 s1, exec_lo
	v_cmpx_gt_i32_e64 s16, v0
	s_cbranch_execnz .LBB326_59
.LBB326_42:
	s_or_b32 exec_lo, exec_lo, s1
	s_delay_alu instid0(SALU_CYCLE_1)
	s_mov_b32 s1, exec_lo
	v_cmpx_gt_i32_e64 s16, v0
	s_cbranch_execnz .LBB326_60
.LBB326_43:
	s_or_b32 exec_lo, exec_lo, s1
	s_delay_alu instid0(SALU_CYCLE_1)
	s_mov_b32 s1, exec_lo
	v_cmpx_gt_i32_e64 s16, v0
	s_cbranch_execnz .LBB326_61
.LBB326_44:
	s_or_b32 exec_lo, exec_lo, s1
	s_delay_alu instid0(SALU_CYCLE_1)
	s_mov_b32 s1, exec_lo
	v_cmpx_gt_i32_e64 s16, v0
	s_cbranch_execnz .LBB326_62
.LBB326_45:
	s_or_b32 exec_lo, exec_lo, s1
	s_delay_alu instid0(SALU_CYCLE_1)
	s_mov_b32 s1, exec_lo
	v_cmpx_gt_i32_e64 s16, v0
	s_cbranch_execnz .LBB326_63
.LBB326_46:
	s_or_b32 exec_lo, exec_lo, s1
	s_delay_alu instid0(SALU_CYCLE_1)
	s_mov_b32 s1, exec_lo
	v_cmpx_gt_i32_e64 s16, v0
	s_cbranch_execnz .LBB326_64
.LBB326_47:
	s_or_b32 exec_lo, exec_lo, s1
	s_delay_alu instid0(SALU_CYCLE_1)
	s_mov_b32 s1, exec_lo
	v_cmpx_gt_i32_e64 s16, v0
	s_cbranch_execnz .LBB326_65
.LBB326_48:
	s_or_b32 exec_lo, exec_lo, s1
	s_delay_alu instid0(SALU_CYCLE_1)
	s_mov_b32 s1, exec_lo
	v_cmpx_gt_i32_e64 s16, v0
	s_cbranch_execnz .LBB326_66
.LBB326_49:
	s_or_b32 exec_lo, exec_lo, s1
	s_delay_alu instid0(SALU_CYCLE_1)
	s_mov_b32 s1, exec_lo
	v_cmpx_gt_i32_e64 s16, v0
	s_cbranch_execnz .LBB326_67
.LBB326_50:
	s_or_b32 exec_lo, exec_lo, s1
	s_delay_alu instid0(SALU_CYCLE_1)
	s_mov_b32 s1, exec_lo
	v_cmpx_gt_i32_e64 s16, v0
	s_cbranch_execz .LBB326_52
.LBB326_51:
	s_xor_b32 s0, s0, s23
	v_add_nc_u32_e32 v0, s12, v0
	v_cndmask_b32_e64 v1, 0, 1, s0
	global_store_b8 v0, v1, s[8:9]
.LBB326_52:
	s_endpgm
.LBB326_53:
	s_xor_b32 s2, s0, s2
	v_mov_b32_e32 v0, v2
	v_cndmask_b32_e64 v3, 0, 1, s2
	global_store_b8 v1, v3, s[8:9]
	s_wait_xcnt 0x0
	s_or_b32 exec_lo, exec_lo, s7
	s_delay_alu instid0(SALU_CYCLE_1)
	s_mov_b32 s2, exec_lo
	v_cmpx_gt_i32_e64 s16, v0
	s_cbranch_execz .LBB326_37
.LBB326_54:
	s_xor_b32 s1, s0, s1
	v_add_nc_u32_e32 v2, s12, v0
	v_cndmask_b32_e64 v1, 0, 1, s1
	v_add_nc_u32_e32 v0, 0x100, v0
	global_store_b8 v2, v1, s[8:9]
	s_wait_xcnt 0x0
	s_or_b32 exec_lo, exec_lo, s2
	s_delay_alu instid0(SALU_CYCLE_1)
	s_mov_b32 s1, exec_lo
	v_cmpx_gt_i32_e64 s16, v0
	s_cbranch_execz .LBB326_38
.LBB326_55:
	s_xor_b32 s2, s0, s5
	v_add_nc_u32_e32 v2, s12, v0
	v_cndmask_b32_e64 v1, 0, 1, s2
	v_add_nc_u32_e32 v0, 0x100, v0
	global_store_b8 v2, v1, s[8:9]
	s_wait_xcnt 0x0
	s_or_b32 exec_lo, exec_lo, s1
	s_delay_alu instid0(SALU_CYCLE_1)
	s_mov_b32 s1, exec_lo
	v_cmpx_gt_i32_e64 s16, v0
	s_cbranch_execz .LBB326_39
.LBB326_56:
	s_xor_b32 s2, s0, s3
	v_add_nc_u32_e32 v2, s12, v0
	v_cndmask_b32_e64 v1, 0, 1, s2
	v_add_nc_u32_e32 v0, 0x100, v0
	global_store_b8 v2, v1, s[8:9]
	s_wait_xcnt 0x0
	s_or_b32 exec_lo, exec_lo, s1
	s_delay_alu instid0(SALU_CYCLE_1)
	s_mov_b32 s1, exec_lo
	v_cmpx_gt_i32_e64 s16, v0
	s_cbranch_execz .LBB326_40
.LBB326_57:
	s_xor_b32 s2, s0, s13
	v_add_nc_u32_e32 v2, s12, v0
	v_cndmask_b32_e64 v1, 0, 1, s2
	v_add_nc_u32_e32 v0, 0x100, v0
	global_store_b8 v2, v1, s[8:9]
	s_wait_xcnt 0x0
	s_or_b32 exec_lo, exec_lo, s1
	s_delay_alu instid0(SALU_CYCLE_1)
	s_mov_b32 s1, exec_lo
	v_cmpx_gt_i32_e64 s16, v0
	s_cbranch_execz .LBB326_41
.LBB326_58:
	s_xor_b32 s2, s0, s4
	v_add_nc_u32_e32 v2, s12, v0
	v_cndmask_b32_e64 v1, 0, 1, s2
	v_add_nc_u32_e32 v0, 0x100, v0
	global_store_b8 v2, v1, s[8:9]
	s_wait_xcnt 0x0
	s_or_b32 exec_lo, exec_lo, s1
	s_delay_alu instid0(SALU_CYCLE_1)
	s_mov_b32 s1, exec_lo
	v_cmpx_gt_i32_e64 s16, v0
	s_cbranch_execz .LBB326_42
.LBB326_59:
	s_xor_b32 s2, s0, s18
	v_add_nc_u32_e32 v2, s12, v0
	v_cndmask_b32_e64 v1, 0, 1, s2
	v_add_nc_u32_e32 v0, 0x100, v0
	global_store_b8 v2, v1, s[8:9]
	s_wait_xcnt 0x0
	s_or_b32 exec_lo, exec_lo, s1
	s_delay_alu instid0(SALU_CYCLE_1)
	s_mov_b32 s1, exec_lo
	v_cmpx_gt_i32_e64 s16, v0
	s_cbranch_execz .LBB326_43
.LBB326_60:
	s_xor_b32 s2, s0, s6
	v_add_nc_u32_e32 v2, s12, v0
	v_cndmask_b32_e64 v1, 0, 1, s2
	v_add_nc_u32_e32 v0, 0x100, v0
	global_store_b8 v2, v1, s[8:9]
	s_wait_xcnt 0x0
	s_or_b32 exec_lo, exec_lo, s1
	s_delay_alu instid0(SALU_CYCLE_1)
	s_mov_b32 s1, exec_lo
	v_cmpx_gt_i32_e64 s16, v0
	s_cbranch_execz .LBB326_44
.LBB326_61:
	s_xor_b32 s2, s0, s20
	v_add_nc_u32_e32 v2, s12, v0
	v_cndmask_b32_e64 v1, 0, 1, s2
	v_add_nc_u32_e32 v0, 0x100, v0
	global_store_b8 v2, v1, s[8:9]
	s_wait_xcnt 0x0
	s_or_b32 exec_lo, exec_lo, s1
	s_delay_alu instid0(SALU_CYCLE_1)
	s_mov_b32 s1, exec_lo
	v_cmpx_gt_i32_e64 s16, v0
	s_cbranch_execz .LBB326_45
.LBB326_62:
	s_xor_b32 s2, s0, s17
	v_add_nc_u32_e32 v2, s12, v0
	v_cndmask_b32_e64 v1, 0, 1, s2
	v_add_nc_u32_e32 v0, 0x100, v0
	global_store_b8 v2, v1, s[8:9]
	s_wait_xcnt 0x0
	s_or_b32 exec_lo, exec_lo, s1
	s_delay_alu instid0(SALU_CYCLE_1)
	s_mov_b32 s1, exec_lo
	v_cmpx_gt_i32_e64 s16, v0
	s_cbranch_execz .LBB326_46
.LBB326_63:
	s_xor_b32 s2, s0, s22
	v_add_nc_u32_e32 v2, s12, v0
	v_cndmask_b32_e64 v1, 0, 1, s2
	v_add_nc_u32_e32 v0, 0x100, v0
	global_store_b8 v2, v1, s[8:9]
	s_wait_xcnt 0x0
	s_or_b32 exec_lo, exec_lo, s1
	s_delay_alu instid0(SALU_CYCLE_1)
	s_mov_b32 s1, exec_lo
	v_cmpx_gt_i32_e64 s16, v0
	s_cbranch_execz .LBB326_47
.LBB326_64:
	s_xor_b32 s2, s0, s19
	v_add_nc_u32_e32 v2, s12, v0
	v_cndmask_b32_e64 v1, 0, 1, s2
	v_add_nc_u32_e32 v0, 0x100, v0
	global_store_b8 v2, v1, s[8:9]
	s_wait_xcnt 0x0
	s_or_b32 exec_lo, exec_lo, s1
	s_delay_alu instid0(SALU_CYCLE_1)
	s_mov_b32 s1, exec_lo
	v_cmpx_gt_i32_e64 s16, v0
	s_cbranch_execz .LBB326_48
.LBB326_65:
	s_xor_b32 s2, s0, s24
	v_add_nc_u32_e32 v2, s12, v0
	v_cndmask_b32_e64 v1, 0, 1, s2
	v_add_nc_u32_e32 v0, 0x100, v0
	global_store_b8 v2, v1, s[8:9]
	s_wait_xcnt 0x0
	s_or_b32 exec_lo, exec_lo, s1
	s_delay_alu instid0(SALU_CYCLE_1)
	s_mov_b32 s1, exec_lo
	v_cmpx_gt_i32_e64 s16, v0
	s_cbranch_execz .LBB326_49
.LBB326_66:
	s_xor_b32 s2, s0, s21
	v_add_nc_u32_e32 v2, s12, v0
	v_cndmask_b32_e64 v1, 0, 1, s2
	v_add_nc_u32_e32 v0, 0x100, v0
	global_store_b8 v2, v1, s[8:9]
	s_wait_xcnt 0x0
	s_or_b32 exec_lo, exec_lo, s1
	s_delay_alu instid0(SALU_CYCLE_1)
	s_mov_b32 s1, exec_lo
	v_cmpx_gt_i32_e64 s16, v0
	s_cbranch_execz .LBB326_50
.LBB326_67:
	s_xor_b32 s2, s0, s25
	v_add_nc_u32_e32 v2, s12, v0
	v_cndmask_b32_e64 v1, 0, 1, s2
	v_add_nc_u32_e32 v0, 0x100, v0
	global_store_b8 v2, v1, s[8:9]
	s_wait_xcnt 0x0
	s_or_b32 exec_lo, exec_lo, s1
	s_delay_alu instid0(SALU_CYCLE_1)
	s_mov_b32 s1, exec_lo
	v_cmpx_gt_i32_e64 s16, v0
	s_cbranch_execnz .LBB326_51
	s_branch .LBB326_52
	.section	.rodata,"a",@progbits
	.p2align	6, 0x0
	.amdhsa_kernel _ZN2at6native29vectorized_elementwise_kernelILi8ENS0_13BinaryFunctorIttbNS0_12_GLOBAL__N_116CompareEqFunctorItEEEESt5arrayIPcLm3EEEEviT0_T1_
		.amdhsa_group_segment_fixed_size 0
		.amdhsa_private_segment_fixed_size 0
		.amdhsa_kernarg_size 32
		.amdhsa_user_sgpr_count 2
		.amdhsa_user_sgpr_dispatch_ptr 0
		.amdhsa_user_sgpr_queue_ptr 0
		.amdhsa_user_sgpr_kernarg_segment_ptr 1
		.amdhsa_user_sgpr_dispatch_id 0
		.amdhsa_user_sgpr_kernarg_preload_length 0
		.amdhsa_user_sgpr_kernarg_preload_offset 0
		.amdhsa_user_sgpr_private_segment_size 0
		.amdhsa_wavefront_size32 1
		.amdhsa_uses_dynamic_stack 0
		.amdhsa_enable_private_segment 0
		.amdhsa_system_sgpr_workgroup_id_x 1
		.amdhsa_system_sgpr_workgroup_id_y 0
		.amdhsa_system_sgpr_workgroup_id_z 0
		.amdhsa_system_sgpr_workgroup_info 0
		.amdhsa_system_vgpr_workitem_id 0
		.amdhsa_next_free_vgpr 34
		.amdhsa_next_free_sgpr 27
		.amdhsa_named_barrier_count 0
		.amdhsa_reserve_vcc 1
		.amdhsa_float_round_mode_32 0
		.amdhsa_float_round_mode_16_64 0
		.amdhsa_float_denorm_mode_32 3
		.amdhsa_float_denorm_mode_16_64 3
		.amdhsa_fp16_overflow 0
		.amdhsa_memory_ordered 1
		.amdhsa_forward_progress 1
		.amdhsa_inst_pref_size 28
		.amdhsa_round_robin_scheduling 0
		.amdhsa_exception_fp_ieee_invalid_op 0
		.amdhsa_exception_fp_denorm_src 0
		.amdhsa_exception_fp_ieee_div_zero 0
		.amdhsa_exception_fp_ieee_overflow 0
		.amdhsa_exception_fp_ieee_underflow 0
		.amdhsa_exception_fp_ieee_inexact 0
		.amdhsa_exception_int_div_zero 0
	.end_amdhsa_kernel
	.section	.text._ZN2at6native29vectorized_elementwise_kernelILi8ENS0_13BinaryFunctorIttbNS0_12_GLOBAL__N_116CompareEqFunctorItEEEESt5arrayIPcLm3EEEEviT0_T1_,"axG",@progbits,_ZN2at6native29vectorized_elementwise_kernelILi8ENS0_13BinaryFunctorIttbNS0_12_GLOBAL__N_116CompareEqFunctorItEEEESt5arrayIPcLm3EEEEviT0_T1_,comdat
.Lfunc_end326:
	.size	_ZN2at6native29vectorized_elementwise_kernelILi8ENS0_13BinaryFunctorIttbNS0_12_GLOBAL__N_116CompareEqFunctorItEEEESt5arrayIPcLm3EEEEviT0_T1_, .Lfunc_end326-_ZN2at6native29vectorized_elementwise_kernelILi8ENS0_13BinaryFunctorIttbNS0_12_GLOBAL__N_116CompareEqFunctorItEEEESt5arrayIPcLm3EEEEviT0_T1_
                                        ; -- End function
	.set _ZN2at6native29vectorized_elementwise_kernelILi8ENS0_13BinaryFunctorIttbNS0_12_GLOBAL__N_116CompareEqFunctorItEEEESt5arrayIPcLm3EEEEviT0_T1_.num_vgpr, 34
	.set _ZN2at6native29vectorized_elementwise_kernelILi8ENS0_13BinaryFunctorIttbNS0_12_GLOBAL__N_116CompareEqFunctorItEEEESt5arrayIPcLm3EEEEviT0_T1_.num_agpr, 0
	.set _ZN2at6native29vectorized_elementwise_kernelILi8ENS0_13BinaryFunctorIttbNS0_12_GLOBAL__N_116CompareEqFunctorItEEEESt5arrayIPcLm3EEEEviT0_T1_.numbered_sgpr, 27
	.set _ZN2at6native29vectorized_elementwise_kernelILi8ENS0_13BinaryFunctorIttbNS0_12_GLOBAL__N_116CompareEqFunctorItEEEESt5arrayIPcLm3EEEEviT0_T1_.num_named_barrier, 0
	.set _ZN2at6native29vectorized_elementwise_kernelILi8ENS0_13BinaryFunctorIttbNS0_12_GLOBAL__N_116CompareEqFunctorItEEEESt5arrayIPcLm3EEEEviT0_T1_.private_seg_size, 0
	.set _ZN2at6native29vectorized_elementwise_kernelILi8ENS0_13BinaryFunctorIttbNS0_12_GLOBAL__N_116CompareEqFunctorItEEEESt5arrayIPcLm3EEEEviT0_T1_.uses_vcc, 1
	.set _ZN2at6native29vectorized_elementwise_kernelILi8ENS0_13BinaryFunctorIttbNS0_12_GLOBAL__N_116CompareEqFunctorItEEEESt5arrayIPcLm3EEEEviT0_T1_.uses_flat_scratch, 0
	.set _ZN2at6native29vectorized_elementwise_kernelILi8ENS0_13BinaryFunctorIttbNS0_12_GLOBAL__N_116CompareEqFunctorItEEEESt5arrayIPcLm3EEEEviT0_T1_.has_dyn_sized_stack, 0
	.set _ZN2at6native29vectorized_elementwise_kernelILi8ENS0_13BinaryFunctorIttbNS0_12_GLOBAL__N_116CompareEqFunctorItEEEESt5arrayIPcLm3EEEEviT0_T1_.has_recursion, 0
	.set _ZN2at6native29vectorized_elementwise_kernelILi8ENS0_13BinaryFunctorIttbNS0_12_GLOBAL__N_116CompareEqFunctorItEEEESt5arrayIPcLm3EEEEviT0_T1_.has_indirect_call, 0
	.section	.AMDGPU.csdata,"",@progbits
; Kernel info:
; codeLenInByte = 3544
; TotalNumSgprs: 29
; NumVgprs: 34
; ScratchSize: 0
; MemoryBound: 0
; FloatMode: 240
; IeeeMode: 1
; LDSByteSize: 0 bytes/workgroup (compile time only)
; SGPRBlocks: 0
; VGPRBlocks: 2
; NumSGPRsForWavesPerEU: 29
; NumVGPRsForWavesPerEU: 34
; NamedBarCnt: 0
; Occupancy: 16
; WaveLimiterHint : 1
; COMPUTE_PGM_RSRC2:SCRATCH_EN: 0
; COMPUTE_PGM_RSRC2:USER_SGPR: 2
; COMPUTE_PGM_RSRC2:TRAP_HANDLER: 0
; COMPUTE_PGM_RSRC2:TGID_X_EN: 1
; COMPUTE_PGM_RSRC2:TGID_Y_EN: 0
; COMPUTE_PGM_RSRC2:TGID_Z_EN: 0
; COMPUTE_PGM_RSRC2:TIDIG_COMP_CNT: 0
	.section	.text._ZN2at6native29vectorized_elementwise_kernelILi4ENS0_13BinaryFunctorIttbNS0_12_GLOBAL__N_116CompareEqFunctorItEEEESt5arrayIPcLm3EEEEviT0_T1_,"axG",@progbits,_ZN2at6native29vectorized_elementwise_kernelILi4ENS0_13BinaryFunctorIttbNS0_12_GLOBAL__N_116CompareEqFunctorItEEEESt5arrayIPcLm3EEEEviT0_T1_,comdat
	.globl	_ZN2at6native29vectorized_elementwise_kernelILi4ENS0_13BinaryFunctorIttbNS0_12_GLOBAL__N_116CompareEqFunctorItEEEESt5arrayIPcLm3EEEEviT0_T1_ ; -- Begin function _ZN2at6native29vectorized_elementwise_kernelILi4ENS0_13BinaryFunctorIttbNS0_12_GLOBAL__N_116CompareEqFunctorItEEEESt5arrayIPcLm3EEEEviT0_T1_
	.p2align	8
	.type	_ZN2at6native29vectorized_elementwise_kernelILi4ENS0_13BinaryFunctorIttbNS0_12_GLOBAL__N_116CompareEqFunctorItEEEESt5arrayIPcLm3EEEEviT0_T1_,@function
_ZN2at6native29vectorized_elementwise_kernelILi4ENS0_13BinaryFunctorIttbNS0_12_GLOBAL__N_116CompareEqFunctorItEEEESt5arrayIPcLm3EEEEviT0_T1_: ; @_ZN2at6native29vectorized_elementwise_kernelILi4ENS0_13BinaryFunctorIttbNS0_12_GLOBAL__N_116CompareEqFunctorItEEEESt5arrayIPcLm3EEEEviT0_T1_
; %bb.0:
	s_clause 0x2
	s_load_b64 s[6:7], s[0:1], 0x0
	s_load_b128 s[8:11], s[0:1], 0x8
	s_load_b64 s[14:15], s[0:1], 0x18
	s_wait_xcnt 0x0
	s_bfe_u32 s0, ttmp6, 0x4000c
	s_and_b32 s1, ttmp6, 15
	s_add_co_i32 s0, s0, 1
	s_getreg_b32 s2, hwreg(HW_REG_IB_STS2, 6, 4)
	s_mul_i32 s0, ttmp9, s0
	s_delay_alu instid0(SALU_CYCLE_1) | instskip(SKIP_2) | instid1(SALU_CYCLE_1)
	s_add_co_i32 s1, s1, s0
	s_cmp_eq_u32 s2, 0
	s_cselect_b32 s0, ttmp9, s1
	s_lshl_b32 s12, s0, 12
	s_mov_b32 s0, -1
	s_wait_kmcnt 0x0
	s_sub_co_i32 s16, s6, s12
	s_delay_alu instid0(SALU_CYCLE_1)
	s_cmp_gt_i32 s16, 0xfff
	s_cbranch_scc0 .LBB327_2
; %bb.1:
	s_ashr_i32 s13, s12, 31
	s_delay_alu instid0(SALU_CYCLE_1)
	s_lshl_b64 s[0:1], s[12:13], 1
	s_cmp_eq_u32 s7, 0
	s_add_nc_u64 s[2:3], s[14:15], s[0:1]
	s_add_nc_u64 s[0:1], s[10:11], s[0:1]
	s_clause 0x7
	global_load_b64 v[2:3], v0, s[2:3] scale_offset
	global_load_b64 v[4:5], v0, s[0:1] scale_offset
	global_load_b64 v[6:7], v0, s[0:1] offset:2048 scale_offset
	global_load_b64 v[8:9], v0, s[2:3] offset:2048 scale_offset
	;; [unrolled: 1-line block ×6, first 2 shown]
	s_cselect_b32 s17, -1, 0
	s_wait_loadcnt 0x6
	s_wait_xcnt 0x1
	v_cmp_ne_u16_e64 s0, v5, v3
	v_cmp_ne_u16_e32 vcc_lo, v4, v2
	v_xor_b32_e32 v1, v2, v4
	v_xor_b32_e32 v2, v3, v5
	s_wait_loadcnt 0x4
	v_cmp_ne_u16_e64 s1, v6, v8
	v_xor_b32_e32 v3, v8, v6
	s_wait_xcnt 0x0
	v_cmp_ne_u16_e64 s2, v7, v9
	s_xor_b32 s0, s17, s0
	v_xor_b32_e32 v4, v9, v7
	s_wait_loadcnt 0x2
	v_cmp_ne_u16_e64 s3, v12, v10
	s_xor_b32 s18, s17, vcc_lo
	v_cmp_lt_u32_e32 vcc_lo, 0xffff, v1
	v_cndmask_b32_e64 v1, 0, 0x10000, s0
	v_cmp_lt_u32_e64 s0, 0xffff, v2
	s_xor_b32 s1, s17, s1
	v_xor_b32_e32 v5, v10, v12
	v_cmp_ne_u16_e64 s4, v13, v11
	v_cndmask_b32_e64 v2, 0, 1, s1
	v_cmp_lt_u32_e64 s1, 0xffff, v3
	s_xor_b32 s2, s17, s2
	v_xor_b32_e32 v6, v11, v13
	s_wait_loadcnt 0x0
	v_cmp_ne_u16_e64 s5, v14, v16
	v_cndmask_b32_e64 v3, 0, 0x10000, s2
	v_cmp_lt_u32_e64 s2, 0xffff, v4
	s_xor_b32 s3, s17, s3
	v_xor_b32_e32 v7, v16, v14
	s_xor_b32 s0, s17, s0
	v_cndmask_b32_e64 v4, 0, 1, s3
	v_cmp_lt_u32_e64 s3, 0xffff, v5
	s_xor_b32 s4, s17, s4
	v_cmp_ne_u16_e64 s6, v15, v17
	v_cndmask_b32_e64 v10, 0, 0x1000000, s0
	s_xor_b32 s0, s17, s1
	v_cndmask_b32_e64 v5, 0, 0x10000, s4
	v_cmp_lt_u32_e64 s4, 0xffff, v6
	s_xor_b32 s5, s17, s5
	v_xor_b32_e32 v8, v17, v15
	v_cndmask_b32_e64 v11, 0, 0x100, s0
	s_xor_b32 s0, s17, s2
	v_cndmask_b32_e64 v6, 0, 1, s5
	v_cmp_lt_u32_e64 s5, 0xffff, v7
	v_cndmask_b32_e64 v12, 0, 0x1000000, s0
	s_xor_b32 s0, s17, s3
	v_cndmask_b32_e64 v9, 0, 1, s18
	s_xor_b32 s6, s17, s6
	s_xor_b32 s18, s17, vcc_lo
	v_cndmask_b32_e64 v13, 0, 0x100, s0
	s_xor_b32 s0, s17, s4
	v_cndmask_b32_e64 v7, 0, 0x10000, s6
	v_cmp_lt_u32_e64 s6, 0xffff, v8
	v_cndmask_b32_e64 v8, 0, 0x100, s18
	v_cndmask_b32_e64 v14, 0, 0x1000000, s0
	s_xor_b32 s0, s17, s5
	v_or_b32_e32 v2, v11, v2
	v_cndmask_b32_e64 v15, 0, 0x100, s0
	v_or_b32_e32 v8, v8, v9
	s_xor_b32 s0, s17, s6
	v_or_b32_e32 v4, v13, v4
	v_cndmask_b32_e64 v16, 0, 0x1000000, s0
	v_or_b32_e32 v6, v15, v6
	v_or3_b32 v1, v8, v1, v10
	v_or3_b32 v2, v2, v3, v12
	;; [unrolled: 1-line block ×3, first 2 shown]
	s_add_nc_u64 s[2:3], s[8:9], s[12:13]
	v_or3_b32 v4, v6, v7, v16
	s_mov_b32 s0, 0
	s_clause 0x3
	global_store_b32 v0, v1, s[2:3] scale_offset
	global_store_b32 v0, v2, s[2:3] offset:1024 scale_offset
	global_store_b32 v0, v3, s[2:3] offset:2048 scale_offset
	;; [unrolled: 1-line block ×3, first 2 shown]
.LBB327_2:
	s_and_not1_b32 vcc_lo, exec_lo, s0
	s_cbranch_vccnz .LBB327_52
; %bb.3:
	v_cmp_gt_i32_e32 vcc_lo, s16, v0
	s_wait_xcnt 0x1
	v_dual_mov_b32 v3, v0 :: v_dual_bitop2_b32 v1, s12, v0 bitop3:0x54
	v_or_b32_e32 v2, 0x100, v0
	s_mov_b32 s1, 0
	s_wait_xcnt 0x0
	s_mov_b32 s2, 0
	s_and_saveexec_b32 s3, vcc_lo
	s_cbranch_execz .LBB327_5
; %bb.4:
	s_clause 0x1
	global_load_u16 v3, v1, s[10:11] scale_offset
	global_load_u16 v4, v1, s[14:15] scale_offset
	s_wait_loadcnt 0x0
	v_cmp_ne_u16_e64 s0, v3, v4
	v_or_b32_e32 v3, 0x100, v0
	s_and_b32 s2, s0, exec_lo
.LBB327_5:
	s_wait_xcnt 0x0
	s_or_b32 exec_lo, exec_lo, s3
	s_delay_alu instid0(SALU_CYCLE_1)
	s_mov_b32 s3, exec_lo
	v_cmpx_gt_i32_e64 s16, v3
	s_cbranch_execz .LBB327_7
; %bb.6:
	v_add_nc_u32_e32 v4, s12, v3
	v_add_nc_u32_e32 v3, 0x100, v3
	s_clause 0x1
	global_load_u16 v5, v4, s[10:11] scale_offset
	global_load_u16 v6, v4, s[14:15] scale_offset
	s_wait_loadcnt 0x0
	v_cmp_ne_u16_e64 s0, v5, v6
	s_and_b32 s1, s0, exec_lo
.LBB327_7:
	s_wait_xcnt 0x0
	s_or_b32 exec_lo, exec_lo, s3
	s_mov_b32 s3, 0
	s_mov_b32 s5, 0
	s_mov_b32 s4, exec_lo
	v_cmpx_gt_i32_e64 s16, v3
	s_cbranch_execz .LBB327_9
; %bb.8:
	v_add_nc_u32_e32 v4, s12, v3
	v_add_nc_u32_e32 v3, 0x100, v3
	s_clause 0x1
	global_load_u16 v5, v4, s[10:11] scale_offset
	global_load_u16 v6, v4, s[14:15] scale_offset
	s_wait_loadcnt 0x0
	v_cmp_ne_u16_e64 s0, v5, v6
	s_and_b32 s5, s0, exec_lo
.LBB327_9:
	s_wait_xcnt 0x0
	s_or_b32 exec_lo, exec_lo, s4
	s_delay_alu instid0(SALU_CYCLE_1)
	s_mov_b32 s4, exec_lo
	v_cmpx_gt_i32_e64 s16, v3
	s_cbranch_execz .LBB327_11
; %bb.10:
	v_add_nc_u32_e32 v4, s12, v3
	v_add_nc_u32_e32 v3, 0x100, v3
	s_clause 0x1
	global_load_u16 v5, v4, s[10:11] scale_offset
	global_load_u16 v6, v4, s[14:15] scale_offset
	s_wait_loadcnt 0x0
	v_cmp_ne_u16_e64 s0, v5, v6
	s_and_b32 s3, s0, exec_lo
.LBB327_11:
	s_wait_xcnt 0x0
	s_or_b32 exec_lo, exec_lo, s4
	s_mov_b32 s4, 0
	s_mov_b32 s13, 0
	s_mov_b32 s6, exec_lo
	v_cmpx_gt_i32_e64 s16, v3
	s_cbranch_execz .LBB327_13
; %bb.12:
	v_add_nc_u32_e32 v4, s12, v3
	v_add_nc_u32_e32 v3, 0x100, v3
	s_clause 0x1
	global_load_u16 v5, v4, s[10:11] scale_offset
	global_load_u16 v6, v4, s[14:15] scale_offset
	s_wait_loadcnt 0x0
	v_cmp_ne_u16_e64 s0, v5, v6
	s_and_b32 s13, s0, exec_lo
.LBB327_13:
	;; [unrolled: 33-line block ×7, first 2 shown]
	s_wait_xcnt 0x0
	s_or_b32 exec_lo, exec_lo, s26
	s_delay_alu instid0(SALU_CYCLE_1)
	s_mov_b32 s26, exec_lo
	v_cmpx_gt_i32_e64 s16, v3
	s_cbranch_execz .LBB327_35
; %bb.34:
	v_add_nc_u32_e32 v3, s12, v3
	s_clause 0x1
	global_load_u16 v4, v3, s[10:11] scale_offset
	global_load_u16 v5, v3, s[14:15] scale_offset
	s_wait_loadcnt 0x0
	v_cmp_ne_u16_e64 s0, v4, v5
	s_and_b32 s23, s0, exec_lo
.LBB327_35:
	s_wait_xcnt 0x0
	s_or_b32 exec_lo, exec_lo, s26
	s_cmp_eq_u32 s7, 0
	s_cselect_b32 s0, -1, 0
	s_and_saveexec_b32 s7, vcc_lo
	s_cbranch_execnz .LBB327_53
; %bb.36:
	s_or_b32 exec_lo, exec_lo, s7
	s_delay_alu instid0(SALU_CYCLE_1)
	s_mov_b32 s2, exec_lo
	v_cmpx_gt_i32_e64 s16, v0
	s_cbranch_execnz .LBB327_54
.LBB327_37:
	s_or_b32 exec_lo, exec_lo, s2
	s_delay_alu instid0(SALU_CYCLE_1)
	s_mov_b32 s1, exec_lo
	v_cmpx_gt_i32_e64 s16, v0
	s_cbranch_execnz .LBB327_55
.LBB327_38:
	s_or_b32 exec_lo, exec_lo, s1
	s_delay_alu instid0(SALU_CYCLE_1)
	s_mov_b32 s1, exec_lo
	v_cmpx_gt_i32_e64 s16, v0
	s_cbranch_execnz .LBB327_56
.LBB327_39:
	s_or_b32 exec_lo, exec_lo, s1
	s_delay_alu instid0(SALU_CYCLE_1)
	s_mov_b32 s1, exec_lo
	v_cmpx_gt_i32_e64 s16, v0
	s_cbranch_execnz .LBB327_57
.LBB327_40:
	s_or_b32 exec_lo, exec_lo, s1
	s_delay_alu instid0(SALU_CYCLE_1)
	s_mov_b32 s1, exec_lo
	v_cmpx_gt_i32_e64 s16, v0
	s_cbranch_execnz .LBB327_58
.LBB327_41:
	s_or_b32 exec_lo, exec_lo, s1
	s_delay_alu instid0(SALU_CYCLE_1)
	s_mov_b32 s1, exec_lo
	v_cmpx_gt_i32_e64 s16, v0
	s_cbranch_execnz .LBB327_59
.LBB327_42:
	s_or_b32 exec_lo, exec_lo, s1
	s_delay_alu instid0(SALU_CYCLE_1)
	s_mov_b32 s1, exec_lo
	v_cmpx_gt_i32_e64 s16, v0
	s_cbranch_execnz .LBB327_60
.LBB327_43:
	s_or_b32 exec_lo, exec_lo, s1
	s_delay_alu instid0(SALU_CYCLE_1)
	s_mov_b32 s1, exec_lo
	v_cmpx_gt_i32_e64 s16, v0
	s_cbranch_execnz .LBB327_61
.LBB327_44:
	s_or_b32 exec_lo, exec_lo, s1
	s_delay_alu instid0(SALU_CYCLE_1)
	s_mov_b32 s1, exec_lo
	v_cmpx_gt_i32_e64 s16, v0
	s_cbranch_execnz .LBB327_62
.LBB327_45:
	s_or_b32 exec_lo, exec_lo, s1
	s_delay_alu instid0(SALU_CYCLE_1)
	s_mov_b32 s1, exec_lo
	v_cmpx_gt_i32_e64 s16, v0
	s_cbranch_execnz .LBB327_63
.LBB327_46:
	s_or_b32 exec_lo, exec_lo, s1
	s_delay_alu instid0(SALU_CYCLE_1)
	s_mov_b32 s1, exec_lo
	v_cmpx_gt_i32_e64 s16, v0
	s_cbranch_execnz .LBB327_64
.LBB327_47:
	s_or_b32 exec_lo, exec_lo, s1
	s_delay_alu instid0(SALU_CYCLE_1)
	s_mov_b32 s1, exec_lo
	v_cmpx_gt_i32_e64 s16, v0
	s_cbranch_execnz .LBB327_65
.LBB327_48:
	s_or_b32 exec_lo, exec_lo, s1
	s_delay_alu instid0(SALU_CYCLE_1)
	s_mov_b32 s1, exec_lo
	v_cmpx_gt_i32_e64 s16, v0
	s_cbranch_execnz .LBB327_66
.LBB327_49:
	s_or_b32 exec_lo, exec_lo, s1
	s_delay_alu instid0(SALU_CYCLE_1)
	s_mov_b32 s1, exec_lo
	v_cmpx_gt_i32_e64 s16, v0
	s_cbranch_execnz .LBB327_67
.LBB327_50:
	s_or_b32 exec_lo, exec_lo, s1
	s_delay_alu instid0(SALU_CYCLE_1)
	s_mov_b32 s1, exec_lo
	v_cmpx_gt_i32_e64 s16, v0
	s_cbranch_execz .LBB327_52
.LBB327_51:
	s_xor_b32 s0, s0, s23
	v_add_nc_u32_e32 v0, s12, v0
	v_cndmask_b32_e64 v1, 0, 1, s0
	global_store_b8 v0, v1, s[8:9]
.LBB327_52:
	s_endpgm
.LBB327_53:
	s_xor_b32 s2, s0, s2
	v_mov_b32_e32 v0, v2
	v_cndmask_b32_e64 v3, 0, 1, s2
	global_store_b8 v1, v3, s[8:9]
	s_wait_xcnt 0x0
	s_or_b32 exec_lo, exec_lo, s7
	s_delay_alu instid0(SALU_CYCLE_1)
	s_mov_b32 s2, exec_lo
	v_cmpx_gt_i32_e64 s16, v0
	s_cbranch_execz .LBB327_37
.LBB327_54:
	s_xor_b32 s1, s0, s1
	v_add_nc_u32_e32 v2, s12, v0
	v_cndmask_b32_e64 v1, 0, 1, s1
	v_add_nc_u32_e32 v0, 0x100, v0
	global_store_b8 v2, v1, s[8:9]
	s_wait_xcnt 0x0
	s_or_b32 exec_lo, exec_lo, s2
	s_delay_alu instid0(SALU_CYCLE_1)
	s_mov_b32 s1, exec_lo
	v_cmpx_gt_i32_e64 s16, v0
	s_cbranch_execz .LBB327_38
.LBB327_55:
	s_xor_b32 s2, s0, s5
	v_add_nc_u32_e32 v2, s12, v0
	v_cndmask_b32_e64 v1, 0, 1, s2
	v_add_nc_u32_e32 v0, 0x100, v0
	global_store_b8 v2, v1, s[8:9]
	s_wait_xcnt 0x0
	s_or_b32 exec_lo, exec_lo, s1
	s_delay_alu instid0(SALU_CYCLE_1)
	s_mov_b32 s1, exec_lo
	v_cmpx_gt_i32_e64 s16, v0
	s_cbranch_execz .LBB327_39
.LBB327_56:
	s_xor_b32 s2, s0, s3
	v_add_nc_u32_e32 v2, s12, v0
	v_cndmask_b32_e64 v1, 0, 1, s2
	v_add_nc_u32_e32 v0, 0x100, v0
	global_store_b8 v2, v1, s[8:9]
	s_wait_xcnt 0x0
	s_or_b32 exec_lo, exec_lo, s1
	s_delay_alu instid0(SALU_CYCLE_1)
	s_mov_b32 s1, exec_lo
	v_cmpx_gt_i32_e64 s16, v0
	s_cbranch_execz .LBB327_40
.LBB327_57:
	s_xor_b32 s2, s0, s13
	v_add_nc_u32_e32 v2, s12, v0
	v_cndmask_b32_e64 v1, 0, 1, s2
	v_add_nc_u32_e32 v0, 0x100, v0
	global_store_b8 v2, v1, s[8:9]
	s_wait_xcnt 0x0
	s_or_b32 exec_lo, exec_lo, s1
	s_delay_alu instid0(SALU_CYCLE_1)
	s_mov_b32 s1, exec_lo
	v_cmpx_gt_i32_e64 s16, v0
	s_cbranch_execz .LBB327_41
.LBB327_58:
	s_xor_b32 s2, s0, s4
	v_add_nc_u32_e32 v2, s12, v0
	v_cndmask_b32_e64 v1, 0, 1, s2
	v_add_nc_u32_e32 v0, 0x100, v0
	global_store_b8 v2, v1, s[8:9]
	s_wait_xcnt 0x0
	s_or_b32 exec_lo, exec_lo, s1
	s_delay_alu instid0(SALU_CYCLE_1)
	s_mov_b32 s1, exec_lo
	v_cmpx_gt_i32_e64 s16, v0
	s_cbranch_execz .LBB327_42
.LBB327_59:
	s_xor_b32 s2, s0, s18
	v_add_nc_u32_e32 v2, s12, v0
	v_cndmask_b32_e64 v1, 0, 1, s2
	v_add_nc_u32_e32 v0, 0x100, v0
	global_store_b8 v2, v1, s[8:9]
	s_wait_xcnt 0x0
	s_or_b32 exec_lo, exec_lo, s1
	s_delay_alu instid0(SALU_CYCLE_1)
	s_mov_b32 s1, exec_lo
	v_cmpx_gt_i32_e64 s16, v0
	s_cbranch_execz .LBB327_43
.LBB327_60:
	s_xor_b32 s2, s0, s6
	v_add_nc_u32_e32 v2, s12, v0
	v_cndmask_b32_e64 v1, 0, 1, s2
	v_add_nc_u32_e32 v0, 0x100, v0
	global_store_b8 v2, v1, s[8:9]
	s_wait_xcnt 0x0
	s_or_b32 exec_lo, exec_lo, s1
	s_delay_alu instid0(SALU_CYCLE_1)
	s_mov_b32 s1, exec_lo
	v_cmpx_gt_i32_e64 s16, v0
	s_cbranch_execz .LBB327_44
.LBB327_61:
	s_xor_b32 s2, s0, s20
	v_add_nc_u32_e32 v2, s12, v0
	v_cndmask_b32_e64 v1, 0, 1, s2
	v_add_nc_u32_e32 v0, 0x100, v0
	global_store_b8 v2, v1, s[8:9]
	s_wait_xcnt 0x0
	s_or_b32 exec_lo, exec_lo, s1
	s_delay_alu instid0(SALU_CYCLE_1)
	s_mov_b32 s1, exec_lo
	v_cmpx_gt_i32_e64 s16, v0
	s_cbranch_execz .LBB327_45
.LBB327_62:
	s_xor_b32 s2, s0, s17
	v_add_nc_u32_e32 v2, s12, v0
	v_cndmask_b32_e64 v1, 0, 1, s2
	v_add_nc_u32_e32 v0, 0x100, v0
	global_store_b8 v2, v1, s[8:9]
	s_wait_xcnt 0x0
	s_or_b32 exec_lo, exec_lo, s1
	s_delay_alu instid0(SALU_CYCLE_1)
	s_mov_b32 s1, exec_lo
	v_cmpx_gt_i32_e64 s16, v0
	s_cbranch_execz .LBB327_46
.LBB327_63:
	s_xor_b32 s2, s0, s22
	v_add_nc_u32_e32 v2, s12, v0
	v_cndmask_b32_e64 v1, 0, 1, s2
	v_add_nc_u32_e32 v0, 0x100, v0
	global_store_b8 v2, v1, s[8:9]
	s_wait_xcnt 0x0
	s_or_b32 exec_lo, exec_lo, s1
	s_delay_alu instid0(SALU_CYCLE_1)
	s_mov_b32 s1, exec_lo
	v_cmpx_gt_i32_e64 s16, v0
	s_cbranch_execz .LBB327_47
.LBB327_64:
	s_xor_b32 s2, s0, s19
	v_add_nc_u32_e32 v2, s12, v0
	v_cndmask_b32_e64 v1, 0, 1, s2
	v_add_nc_u32_e32 v0, 0x100, v0
	global_store_b8 v2, v1, s[8:9]
	s_wait_xcnt 0x0
	s_or_b32 exec_lo, exec_lo, s1
	s_delay_alu instid0(SALU_CYCLE_1)
	s_mov_b32 s1, exec_lo
	v_cmpx_gt_i32_e64 s16, v0
	s_cbranch_execz .LBB327_48
.LBB327_65:
	s_xor_b32 s2, s0, s24
	v_add_nc_u32_e32 v2, s12, v0
	v_cndmask_b32_e64 v1, 0, 1, s2
	v_add_nc_u32_e32 v0, 0x100, v0
	global_store_b8 v2, v1, s[8:9]
	s_wait_xcnt 0x0
	s_or_b32 exec_lo, exec_lo, s1
	s_delay_alu instid0(SALU_CYCLE_1)
	s_mov_b32 s1, exec_lo
	v_cmpx_gt_i32_e64 s16, v0
	s_cbranch_execz .LBB327_49
.LBB327_66:
	s_xor_b32 s2, s0, s21
	v_add_nc_u32_e32 v2, s12, v0
	v_cndmask_b32_e64 v1, 0, 1, s2
	v_add_nc_u32_e32 v0, 0x100, v0
	global_store_b8 v2, v1, s[8:9]
	s_wait_xcnt 0x0
	s_or_b32 exec_lo, exec_lo, s1
	s_delay_alu instid0(SALU_CYCLE_1)
	s_mov_b32 s1, exec_lo
	v_cmpx_gt_i32_e64 s16, v0
	s_cbranch_execz .LBB327_50
.LBB327_67:
	s_xor_b32 s2, s0, s25
	v_add_nc_u32_e32 v2, s12, v0
	v_cndmask_b32_e64 v1, 0, 1, s2
	v_add_nc_u32_e32 v0, 0x100, v0
	global_store_b8 v2, v1, s[8:9]
	s_wait_xcnt 0x0
	s_or_b32 exec_lo, exec_lo, s1
	s_delay_alu instid0(SALU_CYCLE_1)
	s_mov_b32 s1, exec_lo
	v_cmpx_gt_i32_e64 s16, v0
	s_cbranch_execnz .LBB327_51
	s_branch .LBB327_52
	.section	.rodata,"a",@progbits
	.p2align	6, 0x0
	.amdhsa_kernel _ZN2at6native29vectorized_elementwise_kernelILi4ENS0_13BinaryFunctorIttbNS0_12_GLOBAL__N_116CompareEqFunctorItEEEESt5arrayIPcLm3EEEEviT0_T1_
		.amdhsa_group_segment_fixed_size 0
		.amdhsa_private_segment_fixed_size 0
		.amdhsa_kernarg_size 32
		.amdhsa_user_sgpr_count 2
		.amdhsa_user_sgpr_dispatch_ptr 0
		.amdhsa_user_sgpr_queue_ptr 0
		.amdhsa_user_sgpr_kernarg_segment_ptr 1
		.amdhsa_user_sgpr_dispatch_id 0
		.amdhsa_user_sgpr_kernarg_preload_length 0
		.amdhsa_user_sgpr_kernarg_preload_offset 0
		.amdhsa_user_sgpr_private_segment_size 0
		.amdhsa_wavefront_size32 1
		.amdhsa_uses_dynamic_stack 0
		.amdhsa_enable_private_segment 0
		.amdhsa_system_sgpr_workgroup_id_x 1
		.amdhsa_system_sgpr_workgroup_id_y 0
		.amdhsa_system_sgpr_workgroup_id_z 0
		.amdhsa_system_sgpr_workgroup_info 0
		.amdhsa_system_vgpr_workitem_id 0
		.amdhsa_next_free_vgpr 18
		.amdhsa_next_free_sgpr 27
		.amdhsa_named_barrier_count 0
		.amdhsa_reserve_vcc 1
		.amdhsa_float_round_mode_32 0
		.amdhsa_float_round_mode_16_64 0
		.amdhsa_float_denorm_mode_32 3
		.amdhsa_float_denorm_mode_16_64 3
		.amdhsa_fp16_overflow 0
		.amdhsa_memory_ordered 1
		.amdhsa_forward_progress 1
		.amdhsa_inst_pref_size 28
		.amdhsa_round_robin_scheduling 0
		.amdhsa_exception_fp_ieee_invalid_op 0
		.amdhsa_exception_fp_denorm_src 0
		.amdhsa_exception_fp_ieee_div_zero 0
		.amdhsa_exception_fp_ieee_overflow 0
		.amdhsa_exception_fp_ieee_underflow 0
		.amdhsa_exception_fp_ieee_inexact 0
		.amdhsa_exception_int_div_zero 0
	.end_amdhsa_kernel
	.section	.text._ZN2at6native29vectorized_elementwise_kernelILi4ENS0_13BinaryFunctorIttbNS0_12_GLOBAL__N_116CompareEqFunctorItEEEESt5arrayIPcLm3EEEEviT0_T1_,"axG",@progbits,_ZN2at6native29vectorized_elementwise_kernelILi4ENS0_13BinaryFunctorIttbNS0_12_GLOBAL__N_116CompareEqFunctorItEEEESt5arrayIPcLm3EEEEviT0_T1_,comdat
.Lfunc_end327:
	.size	_ZN2at6native29vectorized_elementwise_kernelILi4ENS0_13BinaryFunctorIttbNS0_12_GLOBAL__N_116CompareEqFunctorItEEEESt5arrayIPcLm3EEEEviT0_T1_, .Lfunc_end327-_ZN2at6native29vectorized_elementwise_kernelILi4ENS0_13BinaryFunctorIttbNS0_12_GLOBAL__N_116CompareEqFunctorItEEEESt5arrayIPcLm3EEEEviT0_T1_
                                        ; -- End function
	.set _ZN2at6native29vectorized_elementwise_kernelILi4ENS0_13BinaryFunctorIttbNS0_12_GLOBAL__N_116CompareEqFunctorItEEEESt5arrayIPcLm3EEEEviT0_T1_.num_vgpr, 18
	.set _ZN2at6native29vectorized_elementwise_kernelILi4ENS0_13BinaryFunctorIttbNS0_12_GLOBAL__N_116CompareEqFunctorItEEEESt5arrayIPcLm3EEEEviT0_T1_.num_agpr, 0
	.set _ZN2at6native29vectorized_elementwise_kernelILi4ENS0_13BinaryFunctorIttbNS0_12_GLOBAL__N_116CompareEqFunctorItEEEESt5arrayIPcLm3EEEEviT0_T1_.numbered_sgpr, 27
	.set _ZN2at6native29vectorized_elementwise_kernelILi4ENS0_13BinaryFunctorIttbNS0_12_GLOBAL__N_116CompareEqFunctorItEEEESt5arrayIPcLm3EEEEviT0_T1_.num_named_barrier, 0
	.set _ZN2at6native29vectorized_elementwise_kernelILi4ENS0_13BinaryFunctorIttbNS0_12_GLOBAL__N_116CompareEqFunctorItEEEESt5arrayIPcLm3EEEEviT0_T1_.private_seg_size, 0
	.set _ZN2at6native29vectorized_elementwise_kernelILi4ENS0_13BinaryFunctorIttbNS0_12_GLOBAL__N_116CompareEqFunctorItEEEESt5arrayIPcLm3EEEEviT0_T1_.uses_vcc, 1
	.set _ZN2at6native29vectorized_elementwise_kernelILi4ENS0_13BinaryFunctorIttbNS0_12_GLOBAL__N_116CompareEqFunctorItEEEESt5arrayIPcLm3EEEEviT0_T1_.uses_flat_scratch, 0
	.set _ZN2at6native29vectorized_elementwise_kernelILi4ENS0_13BinaryFunctorIttbNS0_12_GLOBAL__N_116CompareEqFunctorItEEEESt5arrayIPcLm3EEEEviT0_T1_.has_dyn_sized_stack, 0
	.set _ZN2at6native29vectorized_elementwise_kernelILi4ENS0_13BinaryFunctorIttbNS0_12_GLOBAL__N_116CompareEqFunctorItEEEESt5arrayIPcLm3EEEEviT0_T1_.has_recursion, 0
	.set _ZN2at6native29vectorized_elementwise_kernelILi4ENS0_13BinaryFunctorIttbNS0_12_GLOBAL__N_116CompareEqFunctorItEEEESt5arrayIPcLm3EEEEviT0_T1_.has_indirect_call, 0
	.section	.AMDGPU.csdata,"",@progbits
; Kernel info:
; codeLenInByte = 3548
; TotalNumSgprs: 29
; NumVgprs: 18
; ScratchSize: 0
; MemoryBound: 0
; FloatMode: 240
; IeeeMode: 1
; LDSByteSize: 0 bytes/workgroup (compile time only)
; SGPRBlocks: 0
; VGPRBlocks: 1
; NumSGPRsForWavesPerEU: 29
; NumVGPRsForWavesPerEU: 18
; NamedBarCnt: 0
; Occupancy: 16
; WaveLimiterHint : 1
; COMPUTE_PGM_RSRC2:SCRATCH_EN: 0
; COMPUTE_PGM_RSRC2:USER_SGPR: 2
; COMPUTE_PGM_RSRC2:TRAP_HANDLER: 0
; COMPUTE_PGM_RSRC2:TGID_X_EN: 1
; COMPUTE_PGM_RSRC2:TGID_Y_EN: 0
; COMPUTE_PGM_RSRC2:TGID_Z_EN: 0
; COMPUTE_PGM_RSRC2:TIDIG_COMP_CNT: 0
	.section	.text._ZN2at6native29vectorized_elementwise_kernelILi2ENS0_13BinaryFunctorIttbNS0_12_GLOBAL__N_116CompareEqFunctorItEEEESt5arrayIPcLm3EEEEviT0_T1_,"axG",@progbits,_ZN2at6native29vectorized_elementwise_kernelILi2ENS0_13BinaryFunctorIttbNS0_12_GLOBAL__N_116CompareEqFunctorItEEEESt5arrayIPcLm3EEEEviT0_T1_,comdat
	.globl	_ZN2at6native29vectorized_elementwise_kernelILi2ENS0_13BinaryFunctorIttbNS0_12_GLOBAL__N_116CompareEqFunctorItEEEESt5arrayIPcLm3EEEEviT0_T1_ ; -- Begin function _ZN2at6native29vectorized_elementwise_kernelILi2ENS0_13BinaryFunctorIttbNS0_12_GLOBAL__N_116CompareEqFunctorItEEEESt5arrayIPcLm3EEEEviT0_T1_
	.p2align	8
	.type	_ZN2at6native29vectorized_elementwise_kernelILi2ENS0_13BinaryFunctorIttbNS0_12_GLOBAL__N_116CompareEqFunctorItEEEESt5arrayIPcLm3EEEEviT0_T1_,@function
_ZN2at6native29vectorized_elementwise_kernelILi2ENS0_13BinaryFunctorIttbNS0_12_GLOBAL__N_116CompareEqFunctorItEEEESt5arrayIPcLm3EEEEviT0_T1_: ; @_ZN2at6native29vectorized_elementwise_kernelILi2ENS0_13BinaryFunctorIttbNS0_12_GLOBAL__N_116CompareEqFunctorItEEEESt5arrayIPcLm3EEEEviT0_T1_
; %bb.0:
	s_clause 0x2
	s_load_b64 s[6:7], s[0:1], 0x0
	s_load_b128 s[8:11], s[0:1], 0x8
	s_load_b64 s[14:15], s[0:1], 0x18
	s_wait_xcnt 0x0
	s_bfe_u32 s0, ttmp6, 0x4000c
	s_and_b32 s1, ttmp6, 15
	s_add_co_i32 s0, s0, 1
	s_getreg_b32 s2, hwreg(HW_REG_IB_STS2, 6, 4)
	s_mul_i32 s0, ttmp9, s0
	s_mov_b32 s17, -1
	s_add_co_i32 s1, s1, s0
	s_cmp_eq_u32 s2, 0
	s_cselect_b32 s0, ttmp9, s1
	s_delay_alu instid0(SALU_CYCLE_1) | instskip(SKIP_2) | instid1(SALU_CYCLE_1)
	s_lshl_b32 s12, s0, 12
	s_wait_kmcnt 0x0
	s_sub_co_i32 s16, s6, s12
	s_cmp_gt_i32 s16, 0xfff
	s_cbranch_scc0 .LBB328_2
; %bb.1:
	s_ashr_i32 s13, s12, 31
	s_mov_b32 s17, 0
	s_lshl_b64 s[0:1], s[12:13], 1
	s_cmp_eq_u32 s7, 0
	s_add_nc_u64 s[2:3], s[14:15], s[0:1]
	s_add_nc_u64 s[0:1], s[10:11], s[0:1]
	s_clause 0xf
	global_load_b32 v1, v0, s[2:3] scale_offset
	global_load_b32 v2, v0, s[0:1] scale_offset
	global_load_b32 v3, v0, s[0:1] offset:1024 scale_offset
	global_load_b32 v4, v0, s[2:3] offset:1024 scale_offset
	;; [unrolled: 1-line block ×13, first 2 shown]
	; meta instruction
	global_load_b32 v16, v0, s[2:3] offset:7168 scale_offset
	s_add_nc_u64 s[18:19], s[8:9], s[12:13]
	s_cselect_b32 s13, -1, 0
	s_wait_loadcnt 0xe
	v_cmp_ne_u16_e32 vcc_lo, v2, v1
	v_xor_b32_e32 v1, v1, v2
	s_wait_loadcnt 0xc
	s_wait_xcnt 0x1
	v_cmp_ne_u16_e64 s0, v3, v4
	v_xor_b32_e32 v2, v4, v3
	s_wait_loadcnt 0xa
	v_cmp_ne_u16_e64 s1, v6, v5
	v_xor_b32_e32 v3, v5, v6
	s_wait_loadcnt 0x8
	s_wait_xcnt 0x0
	v_cmp_ne_u16_e64 s2, v7, v8
	s_xor_b32 s0, s13, s0
	v_xor_b32_e32 v4, v8, v7
	s_wait_loadcnt 0x6
	v_cmp_ne_u16_e64 s3, v10, v9
	s_xor_b32 s20, s13, vcc_lo
	v_cmp_lt_u32_e32 vcc_lo, 0xffff, v1
	v_cndmask_b32_e64 v1, 0, 1, s0
	v_cmp_lt_u32_e64 s0, 0xffff, v2
	s_xor_b32 s1, s13, s1
	v_xor_b32_e32 v5, v9, v10
	s_wait_loadcnt 0x4
	v_cmp_ne_u16_e64 s4, v11, v12
	v_cndmask_b32_e64 v2, 0, 1, s1
	v_cmp_lt_u32_e64 s1, 0xffff, v3
	s_xor_b32 s2, s13, s2
	v_xor_b32_e32 v6, v12, v11
	s_wait_loadcnt 0x2
	v_cmp_ne_u16_e64 s5, v14, v13
	;; [unrolled: 6-line block ×3, first 2 shown]
	s_xor_b32 s0, s13, s0
	v_cndmask_b32_e64 v4, 0, 1, s3
	v_cmp_lt_u32_e64 s3, 0xffff, v5
	s_xor_b32 s4, s13, s4
	v_xor_b32_e32 v8, v16, v15
	v_cndmask_b32_e64 v10, 0, 0x100, s0
	s_xor_b32 s0, s13, s1
	v_cndmask_b32_e64 v5, 0, 1, s4
	v_cmp_lt_u32_e64 s4, 0xffff, v6
	s_xor_b32 s5, s13, s5
	v_cndmask_b32_e64 v11, 0, 0x100, s0
	s_xor_b32 s0, s13, s2
	v_cndmask_b32_e64 v6, 0, 1, s5
	v_cmp_lt_u32_e64 s5, 0xffff, v7
	s_xor_b32 s6, s13, s6
	v_cndmask_b32_e64 v12, 0, 0x100, s0
	s_xor_b32 s0, s13, s3
	v_cndmask_b32_e64 v9, 0, 1, s20
	v_cndmask_b32_e64 v7, 0, 1, s6
	v_cmp_lt_u32_e64 s6, 0xffff, v8
	s_xor_b32 s20, s13, vcc_lo
	v_cndmask_b32_e64 v13, 0, 0x100, s0
	s_xor_b32 s0, s13, s4
	v_cndmask_b32_e64 v8, 0, 0x100, s20
	v_cndmask_b32_e64 v14, 0, 0x100, s0
	s_xor_b32 s0, s13, s5
	v_or_b32_e32 v1, v10, v1
	v_cndmask_b32_e64 v15, 0, 0x100, s0
	s_xor_b32 s0, s13, s6
	v_or_b32_e32 v8, v8, v9
	v_cndmask_b32_e64 v16, 0, 0x100, s0
	v_or_b32_e32 v2, v11, v2
	v_or_b32_e32 v3, v12, v3
	;; [unrolled: 1-line block ×6, first 2 shown]
	s_clause 0x7
	global_store_b16 v0, v8, s[18:19] scale_offset
	global_store_b16 v0, v1, s[18:19] offset:512 scale_offset
	global_store_b16 v0, v2, s[18:19] offset:1024 scale_offset
	;; [unrolled: 1-line block ×7, first 2 shown]
.LBB328_2:
	s_and_not1_b32 vcc_lo, exec_lo, s17
	s_cbranch_vccnz .LBB328_52
; %bb.3:
	v_cmp_gt_i32_e32 vcc_lo, s16, v0
	s_wait_xcnt 0x4
	v_dual_mov_b32 v3, v0 :: v_dual_bitop2_b32 v1, s12, v0 bitop3:0x54
	v_or_b32_e32 v2, 0x100, v0
	s_mov_b32 s1, 0
	s_mov_b32 s2, 0
	s_wait_xcnt 0x0
	s_and_saveexec_b32 s3, vcc_lo
	s_cbranch_execz .LBB328_5
; %bb.4:
	s_clause 0x1
	global_load_u16 v3, v1, s[10:11] scale_offset
	global_load_u16 v4, v1, s[14:15] scale_offset
	s_wait_loadcnt 0x0
	v_cmp_ne_u16_e64 s0, v3, v4
	v_or_b32_e32 v3, 0x100, v0
	s_and_b32 s2, s0, exec_lo
.LBB328_5:
	s_wait_xcnt 0x0
	s_or_b32 exec_lo, exec_lo, s3
	s_delay_alu instid0(SALU_CYCLE_1)
	s_mov_b32 s3, exec_lo
	v_cmpx_gt_i32_e64 s16, v3
	s_cbranch_execz .LBB328_7
; %bb.6:
	v_add_nc_u32_e32 v4, s12, v3
	v_add_nc_u32_e32 v3, 0x100, v3
	s_clause 0x1
	global_load_u16 v5, v4, s[10:11] scale_offset
	global_load_u16 v6, v4, s[14:15] scale_offset
	s_wait_loadcnt 0x0
	v_cmp_ne_u16_e64 s0, v5, v6
	s_and_b32 s1, s0, exec_lo
.LBB328_7:
	s_wait_xcnt 0x0
	s_or_b32 exec_lo, exec_lo, s3
	s_mov_b32 s3, 0
	s_mov_b32 s5, 0
	s_mov_b32 s4, exec_lo
	v_cmpx_gt_i32_e64 s16, v3
	s_cbranch_execz .LBB328_9
; %bb.8:
	v_add_nc_u32_e32 v4, s12, v3
	v_add_nc_u32_e32 v3, 0x100, v3
	s_clause 0x1
	global_load_u16 v5, v4, s[10:11] scale_offset
	global_load_u16 v6, v4, s[14:15] scale_offset
	s_wait_loadcnt 0x0
	v_cmp_ne_u16_e64 s0, v5, v6
	s_and_b32 s5, s0, exec_lo
.LBB328_9:
	s_wait_xcnt 0x0
	s_or_b32 exec_lo, exec_lo, s4
	s_delay_alu instid0(SALU_CYCLE_1)
	s_mov_b32 s4, exec_lo
	v_cmpx_gt_i32_e64 s16, v3
	s_cbranch_execz .LBB328_11
; %bb.10:
	v_add_nc_u32_e32 v4, s12, v3
	v_add_nc_u32_e32 v3, 0x100, v3
	s_clause 0x1
	global_load_u16 v5, v4, s[10:11] scale_offset
	global_load_u16 v6, v4, s[14:15] scale_offset
	s_wait_loadcnt 0x0
	v_cmp_ne_u16_e64 s0, v5, v6
	s_and_b32 s3, s0, exec_lo
.LBB328_11:
	s_wait_xcnt 0x0
	s_or_b32 exec_lo, exec_lo, s4
	s_mov_b32 s4, 0
	s_mov_b32 s13, 0
	s_mov_b32 s6, exec_lo
	v_cmpx_gt_i32_e64 s16, v3
	s_cbranch_execz .LBB328_13
; %bb.12:
	v_add_nc_u32_e32 v4, s12, v3
	v_add_nc_u32_e32 v3, 0x100, v3
	s_clause 0x1
	global_load_u16 v5, v4, s[10:11] scale_offset
	global_load_u16 v6, v4, s[14:15] scale_offset
	s_wait_loadcnt 0x0
	v_cmp_ne_u16_e64 s0, v5, v6
	s_and_b32 s13, s0, exec_lo
.LBB328_13:
	;; [unrolled: 33-line block ×7, first 2 shown]
	s_wait_xcnt 0x0
	s_or_b32 exec_lo, exec_lo, s26
	s_delay_alu instid0(SALU_CYCLE_1)
	s_mov_b32 s26, exec_lo
	v_cmpx_gt_i32_e64 s16, v3
	s_cbranch_execz .LBB328_35
; %bb.34:
	v_add_nc_u32_e32 v3, s12, v3
	s_clause 0x1
	global_load_u16 v4, v3, s[10:11] scale_offset
	global_load_u16 v5, v3, s[14:15] scale_offset
	s_wait_loadcnt 0x0
	v_cmp_ne_u16_e64 s0, v4, v5
	s_and_b32 s23, s0, exec_lo
.LBB328_35:
	s_wait_xcnt 0x0
	s_or_b32 exec_lo, exec_lo, s26
	s_cmp_eq_u32 s7, 0
	s_cselect_b32 s0, -1, 0
	s_and_saveexec_b32 s7, vcc_lo
	s_cbranch_execnz .LBB328_53
; %bb.36:
	s_or_b32 exec_lo, exec_lo, s7
	s_delay_alu instid0(SALU_CYCLE_1)
	s_mov_b32 s2, exec_lo
	v_cmpx_gt_i32_e64 s16, v0
	s_cbranch_execnz .LBB328_54
.LBB328_37:
	s_or_b32 exec_lo, exec_lo, s2
	s_delay_alu instid0(SALU_CYCLE_1)
	s_mov_b32 s1, exec_lo
	v_cmpx_gt_i32_e64 s16, v0
	s_cbranch_execnz .LBB328_55
.LBB328_38:
	s_or_b32 exec_lo, exec_lo, s1
	s_delay_alu instid0(SALU_CYCLE_1)
	s_mov_b32 s1, exec_lo
	v_cmpx_gt_i32_e64 s16, v0
	s_cbranch_execnz .LBB328_56
.LBB328_39:
	s_or_b32 exec_lo, exec_lo, s1
	s_delay_alu instid0(SALU_CYCLE_1)
	s_mov_b32 s1, exec_lo
	v_cmpx_gt_i32_e64 s16, v0
	s_cbranch_execnz .LBB328_57
.LBB328_40:
	s_or_b32 exec_lo, exec_lo, s1
	s_delay_alu instid0(SALU_CYCLE_1)
	s_mov_b32 s1, exec_lo
	v_cmpx_gt_i32_e64 s16, v0
	s_cbranch_execnz .LBB328_58
.LBB328_41:
	s_or_b32 exec_lo, exec_lo, s1
	s_delay_alu instid0(SALU_CYCLE_1)
	s_mov_b32 s1, exec_lo
	v_cmpx_gt_i32_e64 s16, v0
	s_cbranch_execnz .LBB328_59
.LBB328_42:
	s_or_b32 exec_lo, exec_lo, s1
	s_delay_alu instid0(SALU_CYCLE_1)
	s_mov_b32 s1, exec_lo
	v_cmpx_gt_i32_e64 s16, v0
	s_cbranch_execnz .LBB328_60
.LBB328_43:
	s_or_b32 exec_lo, exec_lo, s1
	s_delay_alu instid0(SALU_CYCLE_1)
	s_mov_b32 s1, exec_lo
	v_cmpx_gt_i32_e64 s16, v0
	s_cbranch_execnz .LBB328_61
.LBB328_44:
	s_or_b32 exec_lo, exec_lo, s1
	s_delay_alu instid0(SALU_CYCLE_1)
	s_mov_b32 s1, exec_lo
	v_cmpx_gt_i32_e64 s16, v0
	s_cbranch_execnz .LBB328_62
.LBB328_45:
	s_or_b32 exec_lo, exec_lo, s1
	s_delay_alu instid0(SALU_CYCLE_1)
	s_mov_b32 s1, exec_lo
	v_cmpx_gt_i32_e64 s16, v0
	s_cbranch_execnz .LBB328_63
.LBB328_46:
	s_or_b32 exec_lo, exec_lo, s1
	s_delay_alu instid0(SALU_CYCLE_1)
	s_mov_b32 s1, exec_lo
	v_cmpx_gt_i32_e64 s16, v0
	s_cbranch_execnz .LBB328_64
.LBB328_47:
	s_or_b32 exec_lo, exec_lo, s1
	s_delay_alu instid0(SALU_CYCLE_1)
	s_mov_b32 s1, exec_lo
	v_cmpx_gt_i32_e64 s16, v0
	s_cbranch_execnz .LBB328_65
.LBB328_48:
	s_or_b32 exec_lo, exec_lo, s1
	s_delay_alu instid0(SALU_CYCLE_1)
	s_mov_b32 s1, exec_lo
	v_cmpx_gt_i32_e64 s16, v0
	s_cbranch_execnz .LBB328_66
.LBB328_49:
	s_or_b32 exec_lo, exec_lo, s1
	s_delay_alu instid0(SALU_CYCLE_1)
	s_mov_b32 s1, exec_lo
	v_cmpx_gt_i32_e64 s16, v0
	s_cbranch_execnz .LBB328_67
.LBB328_50:
	s_or_b32 exec_lo, exec_lo, s1
	s_delay_alu instid0(SALU_CYCLE_1)
	s_mov_b32 s1, exec_lo
	v_cmpx_gt_i32_e64 s16, v0
	s_cbranch_execz .LBB328_52
.LBB328_51:
	s_xor_b32 s0, s0, s23
	v_add_nc_u32_e32 v0, s12, v0
	v_cndmask_b32_e64 v1, 0, 1, s0
	global_store_b8 v0, v1, s[8:9]
.LBB328_52:
	s_endpgm
.LBB328_53:
	s_xor_b32 s2, s0, s2
	v_mov_b32_e32 v0, v2
	v_cndmask_b32_e64 v3, 0, 1, s2
	global_store_b8 v1, v3, s[8:9]
	s_wait_xcnt 0x0
	s_or_b32 exec_lo, exec_lo, s7
	s_delay_alu instid0(SALU_CYCLE_1)
	s_mov_b32 s2, exec_lo
	v_cmpx_gt_i32_e64 s16, v0
	s_cbranch_execz .LBB328_37
.LBB328_54:
	s_xor_b32 s1, s0, s1
	v_add_nc_u32_e32 v2, s12, v0
	v_cndmask_b32_e64 v1, 0, 1, s1
	v_add_nc_u32_e32 v0, 0x100, v0
	global_store_b8 v2, v1, s[8:9]
	s_wait_xcnt 0x0
	s_or_b32 exec_lo, exec_lo, s2
	s_delay_alu instid0(SALU_CYCLE_1)
	s_mov_b32 s1, exec_lo
	v_cmpx_gt_i32_e64 s16, v0
	s_cbranch_execz .LBB328_38
.LBB328_55:
	s_xor_b32 s2, s0, s5
	v_add_nc_u32_e32 v2, s12, v0
	v_cndmask_b32_e64 v1, 0, 1, s2
	v_add_nc_u32_e32 v0, 0x100, v0
	global_store_b8 v2, v1, s[8:9]
	s_wait_xcnt 0x0
	s_or_b32 exec_lo, exec_lo, s1
	s_delay_alu instid0(SALU_CYCLE_1)
	s_mov_b32 s1, exec_lo
	v_cmpx_gt_i32_e64 s16, v0
	s_cbranch_execz .LBB328_39
.LBB328_56:
	s_xor_b32 s2, s0, s3
	v_add_nc_u32_e32 v2, s12, v0
	v_cndmask_b32_e64 v1, 0, 1, s2
	v_add_nc_u32_e32 v0, 0x100, v0
	global_store_b8 v2, v1, s[8:9]
	s_wait_xcnt 0x0
	s_or_b32 exec_lo, exec_lo, s1
	s_delay_alu instid0(SALU_CYCLE_1)
	s_mov_b32 s1, exec_lo
	v_cmpx_gt_i32_e64 s16, v0
	s_cbranch_execz .LBB328_40
.LBB328_57:
	s_xor_b32 s2, s0, s13
	v_add_nc_u32_e32 v2, s12, v0
	v_cndmask_b32_e64 v1, 0, 1, s2
	v_add_nc_u32_e32 v0, 0x100, v0
	global_store_b8 v2, v1, s[8:9]
	s_wait_xcnt 0x0
	s_or_b32 exec_lo, exec_lo, s1
	s_delay_alu instid0(SALU_CYCLE_1)
	s_mov_b32 s1, exec_lo
	v_cmpx_gt_i32_e64 s16, v0
	s_cbranch_execz .LBB328_41
.LBB328_58:
	s_xor_b32 s2, s0, s4
	v_add_nc_u32_e32 v2, s12, v0
	v_cndmask_b32_e64 v1, 0, 1, s2
	v_add_nc_u32_e32 v0, 0x100, v0
	global_store_b8 v2, v1, s[8:9]
	s_wait_xcnt 0x0
	s_or_b32 exec_lo, exec_lo, s1
	s_delay_alu instid0(SALU_CYCLE_1)
	s_mov_b32 s1, exec_lo
	v_cmpx_gt_i32_e64 s16, v0
	s_cbranch_execz .LBB328_42
.LBB328_59:
	s_xor_b32 s2, s0, s18
	v_add_nc_u32_e32 v2, s12, v0
	v_cndmask_b32_e64 v1, 0, 1, s2
	v_add_nc_u32_e32 v0, 0x100, v0
	global_store_b8 v2, v1, s[8:9]
	s_wait_xcnt 0x0
	s_or_b32 exec_lo, exec_lo, s1
	s_delay_alu instid0(SALU_CYCLE_1)
	s_mov_b32 s1, exec_lo
	v_cmpx_gt_i32_e64 s16, v0
	s_cbranch_execz .LBB328_43
.LBB328_60:
	s_xor_b32 s2, s0, s6
	v_add_nc_u32_e32 v2, s12, v0
	v_cndmask_b32_e64 v1, 0, 1, s2
	v_add_nc_u32_e32 v0, 0x100, v0
	global_store_b8 v2, v1, s[8:9]
	s_wait_xcnt 0x0
	s_or_b32 exec_lo, exec_lo, s1
	s_delay_alu instid0(SALU_CYCLE_1)
	s_mov_b32 s1, exec_lo
	v_cmpx_gt_i32_e64 s16, v0
	s_cbranch_execz .LBB328_44
.LBB328_61:
	s_xor_b32 s2, s0, s20
	v_add_nc_u32_e32 v2, s12, v0
	v_cndmask_b32_e64 v1, 0, 1, s2
	v_add_nc_u32_e32 v0, 0x100, v0
	global_store_b8 v2, v1, s[8:9]
	s_wait_xcnt 0x0
	s_or_b32 exec_lo, exec_lo, s1
	s_delay_alu instid0(SALU_CYCLE_1)
	s_mov_b32 s1, exec_lo
	v_cmpx_gt_i32_e64 s16, v0
	s_cbranch_execz .LBB328_45
.LBB328_62:
	s_xor_b32 s2, s0, s17
	v_add_nc_u32_e32 v2, s12, v0
	v_cndmask_b32_e64 v1, 0, 1, s2
	v_add_nc_u32_e32 v0, 0x100, v0
	global_store_b8 v2, v1, s[8:9]
	s_wait_xcnt 0x0
	s_or_b32 exec_lo, exec_lo, s1
	s_delay_alu instid0(SALU_CYCLE_1)
	s_mov_b32 s1, exec_lo
	v_cmpx_gt_i32_e64 s16, v0
	s_cbranch_execz .LBB328_46
.LBB328_63:
	s_xor_b32 s2, s0, s22
	v_add_nc_u32_e32 v2, s12, v0
	v_cndmask_b32_e64 v1, 0, 1, s2
	v_add_nc_u32_e32 v0, 0x100, v0
	global_store_b8 v2, v1, s[8:9]
	s_wait_xcnt 0x0
	s_or_b32 exec_lo, exec_lo, s1
	s_delay_alu instid0(SALU_CYCLE_1)
	s_mov_b32 s1, exec_lo
	v_cmpx_gt_i32_e64 s16, v0
	s_cbranch_execz .LBB328_47
.LBB328_64:
	s_xor_b32 s2, s0, s19
	v_add_nc_u32_e32 v2, s12, v0
	v_cndmask_b32_e64 v1, 0, 1, s2
	v_add_nc_u32_e32 v0, 0x100, v0
	global_store_b8 v2, v1, s[8:9]
	s_wait_xcnt 0x0
	s_or_b32 exec_lo, exec_lo, s1
	s_delay_alu instid0(SALU_CYCLE_1)
	s_mov_b32 s1, exec_lo
	v_cmpx_gt_i32_e64 s16, v0
	s_cbranch_execz .LBB328_48
.LBB328_65:
	s_xor_b32 s2, s0, s24
	v_add_nc_u32_e32 v2, s12, v0
	v_cndmask_b32_e64 v1, 0, 1, s2
	v_add_nc_u32_e32 v0, 0x100, v0
	global_store_b8 v2, v1, s[8:9]
	s_wait_xcnt 0x0
	s_or_b32 exec_lo, exec_lo, s1
	s_delay_alu instid0(SALU_CYCLE_1)
	s_mov_b32 s1, exec_lo
	v_cmpx_gt_i32_e64 s16, v0
	s_cbranch_execz .LBB328_49
.LBB328_66:
	s_xor_b32 s2, s0, s21
	v_add_nc_u32_e32 v2, s12, v0
	v_cndmask_b32_e64 v1, 0, 1, s2
	v_add_nc_u32_e32 v0, 0x100, v0
	global_store_b8 v2, v1, s[8:9]
	s_wait_xcnt 0x0
	s_or_b32 exec_lo, exec_lo, s1
	s_delay_alu instid0(SALU_CYCLE_1)
	s_mov_b32 s1, exec_lo
	v_cmpx_gt_i32_e64 s16, v0
	s_cbranch_execz .LBB328_50
.LBB328_67:
	s_xor_b32 s2, s0, s25
	v_add_nc_u32_e32 v2, s12, v0
	v_cndmask_b32_e64 v1, 0, 1, s2
	v_add_nc_u32_e32 v0, 0x100, v0
	global_store_b8 v2, v1, s[8:9]
	s_wait_xcnt 0x0
	s_or_b32 exec_lo, exec_lo, s1
	s_delay_alu instid0(SALU_CYCLE_1)
	s_mov_b32 s1, exec_lo
	v_cmpx_gt_i32_e64 s16, v0
	s_cbranch_execnz .LBB328_51
	s_branch .LBB328_52
	.section	.rodata,"a",@progbits
	.p2align	6, 0x0
	.amdhsa_kernel _ZN2at6native29vectorized_elementwise_kernelILi2ENS0_13BinaryFunctorIttbNS0_12_GLOBAL__N_116CompareEqFunctorItEEEESt5arrayIPcLm3EEEEviT0_T1_
		.amdhsa_group_segment_fixed_size 0
		.amdhsa_private_segment_fixed_size 0
		.amdhsa_kernarg_size 32
		.amdhsa_user_sgpr_count 2
		.amdhsa_user_sgpr_dispatch_ptr 0
		.amdhsa_user_sgpr_queue_ptr 0
		.amdhsa_user_sgpr_kernarg_segment_ptr 1
		.amdhsa_user_sgpr_dispatch_id 0
		.amdhsa_user_sgpr_kernarg_preload_length 0
		.amdhsa_user_sgpr_kernarg_preload_offset 0
		.amdhsa_user_sgpr_private_segment_size 0
		.amdhsa_wavefront_size32 1
		.amdhsa_uses_dynamic_stack 0
		.amdhsa_enable_private_segment 0
		.amdhsa_system_sgpr_workgroup_id_x 1
		.amdhsa_system_sgpr_workgroup_id_y 0
		.amdhsa_system_sgpr_workgroup_id_z 0
		.amdhsa_system_sgpr_workgroup_info 0
		.amdhsa_system_vgpr_workitem_id 0
		.amdhsa_next_free_vgpr 17
		.amdhsa_next_free_sgpr 27
		.amdhsa_named_barrier_count 0
		.amdhsa_reserve_vcc 1
		.amdhsa_float_round_mode_32 0
		.amdhsa_float_round_mode_16_64 0
		.amdhsa_float_denorm_mode_32 3
		.amdhsa_float_denorm_mode_16_64 3
		.amdhsa_fp16_overflow 0
		.amdhsa_memory_ordered 1
		.amdhsa_forward_progress 1
		.amdhsa_inst_pref_size 29
		.amdhsa_round_robin_scheduling 0
		.amdhsa_exception_fp_ieee_invalid_op 0
		.amdhsa_exception_fp_denorm_src 0
		.amdhsa_exception_fp_ieee_div_zero 0
		.amdhsa_exception_fp_ieee_overflow 0
		.amdhsa_exception_fp_ieee_underflow 0
		.amdhsa_exception_fp_ieee_inexact 0
		.amdhsa_exception_int_div_zero 0
	.end_amdhsa_kernel
	.section	.text._ZN2at6native29vectorized_elementwise_kernelILi2ENS0_13BinaryFunctorIttbNS0_12_GLOBAL__N_116CompareEqFunctorItEEEESt5arrayIPcLm3EEEEviT0_T1_,"axG",@progbits,_ZN2at6native29vectorized_elementwise_kernelILi2ENS0_13BinaryFunctorIttbNS0_12_GLOBAL__N_116CompareEqFunctorItEEEESt5arrayIPcLm3EEEEviT0_T1_,comdat
.Lfunc_end328:
	.size	_ZN2at6native29vectorized_elementwise_kernelILi2ENS0_13BinaryFunctorIttbNS0_12_GLOBAL__N_116CompareEqFunctorItEEEESt5arrayIPcLm3EEEEviT0_T1_, .Lfunc_end328-_ZN2at6native29vectorized_elementwise_kernelILi2ENS0_13BinaryFunctorIttbNS0_12_GLOBAL__N_116CompareEqFunctorItEEEESt5arrayIPcLm3EEEEviT0_T1_
                                        ; -- End function
	.set _ZN2at6native29vectorized_elementwise_kernelILi2ENS0_13BinaryFunctorIttbNS0_12_GLOBAL__N_116CompareEqFunctorItEEEESt5arrayIPcLm3EEEEviT0_T1_.num_vgpr, 17
	.set _ZN2at6native29vectorized_elementwise_kernelILi2ENS0_13BinaryFunctorIttbNS0_12_GLOBAL__N_116CompareEqFunctorItEEEESt5arrayIPcLm3EEEEviT0_T1_.num_agpr, 0
	.set _ZN2at6native29vectorized_elementwise_kernelILi2ENS0_13BinaryFunctorIttbNS0_12_GLOBAL__N_116CompareEqFunctorItEEEESt5arrayIPcLm3EEEEviT0_T1_.numbered_sgpr, 27
	.set _ZN2at6native29vectorized_elementwise_kernelILi2ENS0_13BinaryFunctorIttbNS0_12_GLOBAL__N_116CompareEqFunctorItEEEESt5arrayIPcLm3EEEEviT0_T1_.num_named_barrier, 0
	.set _ZN2at6native29vectorized_elementwise_kernelILi2ENS0_13BinaryFunctorIttbNS0_12_GLOBAL__N_116CompareEqFunctorItEEEESt5arrayIPcLm3EEEEviT0_T1_.private_seg_size, 0
	.set _ZN2at6native29vectorized_elementwise_kernelILi2ENS0_13BinaryFunctorIttbNS0_12_GLOBAL__N_116CompareEqFunctorItEEEESt5arrayIPcLm3EEEEviT0_T1_.uses_vcc, 1
	.set _ZN2at6native29vectorized_elementwise_kernelILi2ENS0_13BinaryFunctorIttbNS0_12_GLOBAL__N_116CompareEqFunctorItEEEESt5arrayIPcLm3EEEEviT0_T1_.uses_flat_scratch, 0
	.set _ZN2at6native29vectorized_elementwise_kernelILi2ENS0_13BinaryFunctorIttbNS0_12_GLOBAL__N_116CompareEqFunctorItEEEESt5arrayIPcLm3EEEEviT0_T1_.has_dyn_sized_stack, 0
	.set _ZN2at6native29vectorized_elementwise_kernelILi2ENS0_13BinaryFunctorIttbNS0_12_GLOBAL__N_116CompareEqFunctorItEEEESt5arrayIPcLm3EEEEviT0_T1_.has_recursion, 0
	.set _ZN2at6native29vectorized_elementwise_kernelILi2ENS0_13BinaryFunctorIttbNS0_12_GLOBAL__N_116CompareEqFunctorItEEEESt5arrayIPcLm3EEEEviT0_T1_.has_indirect_call, 0
	.section	.AMDGPU.csdata,"",@progbits
; Kernel info:
; codeLenInByte = 3668
; TotalNumSgprs: 29
; NumVgprs: 17
; ScratchSize: 0
; MemoryBound: 0
; FloatMode: 240
; IeeeMode: 1
; LDSByteSize: 0 bytes/workgroup (compile time only)
; SGPRBlocks: 0
; VGPRBlocks: 1
; NumSGPRsForWavesPerEU: 29
; NumVGPRsForWavesPerEU: 17
; NamedBarCnt: 0
; Occupancy: 16
; WaveLimiterHint : 1
; COMPUTE_PGM_RSRC2:SCRATCH_EN: 0
; COMPUTE_PGM_RSRC2:USER_SGPR: 2
; COMPUTE_PGM_RSRC2:TRAP_HANDLER: 0
; COMPUTE_PGM_RSRC2:TGID_X_EN: 1
; COMPUTE_PGM_RSRC2:TGID_Y_EN: 0
; COMPUTE_PGM_RSRC2:TGID_Z_EN: 0
; COMPUTE_PGM_RSRC2:TIDIG_COMP_CNT: 0
	.section	.text._ZN2at6native27unrolled_elementwise_kernelINS0_13BinaryFunctorIttbNS0_12_GLOBAL__N_116CompareEqFunctorItEEEESt5arrayIPcLm3EELi4E23TrivialOffsetCalculatorILi2EjESA_ILi1EjENS0_6memory15LoadWithoutCastENSD_16StoreWithoutCastEEEviT_T0_T2_T3_T4_T5_,"axG",@progbits,_ZN2at6native27unrolled_elementwise_kernelINS0_13BinaryFunctorIttbNS0_12_GLOBAL__N_116CompareEqFunctorItEEEESt5arrayIPcLm3EELi4E23TrivialOffsetCalculatorILi2EjESA_ILi1EjENS0_6memory15LoadWithoutCastENSD_16StoreWithoutCastEEEviT_T0_T2_T3_T4_T5_,comdat
	.globl	_ZN2at6native27unrolled_elementwise_kernelINS0_13BinaryFunctorIttbNS0_12_GLOBAL__N_116CompareEqFunctorItEEEESt5arrayIPcLm3EELi4E23TrivialOffsetCalculatorILi2EjESA_ILi1EjENS0_6memory15LoadWithoutCastENSD_16StoreWithoutCastEEEviT_T0_T2_T3_T4_T5_ ; -- Begin function _ZN2at6native27unrolled_elementwise_kernelINS0_13BinaryFunctorIttbNS0_12_GLOBAL__N_116CompareEqFunctorItEEEESt5arrayIPcLm3EELi4E23TrivialOffsetCalculatorILi2EjESA_ILi1EjENS0_6memory15LoadWithoutCastENSD_16StoreWithoutCastEEEviT_T0_T2_T3_T4_T5_
	.p2align	8
	.type	_ZN2at6native27unrolled_elementwise_kernelINS0_13BinaryFunctorIttbNS0_12_GLOBAL__N_116CompareEqFunctorItEEEESt5arrayIPcLm3EELi4E23TrivialOffsetCalculatorILi2EjESA_ILi1EjENS0_6memory15LoadWithoutCastENSD_16StoreWithoutCastEEEviT_T0_T2_T3_T4_T5_,@function
_ZN2at6native27unrolled_elementwise_kernelINS0_13BinaryFunctorIttbNS0_12_GLOBAL__N_116CompareEqFunctorItEEEESt5arrayIPcLm3EELi4E23TrivialOffsetCalculatorILi2EjESA_ILi1EjENS0_6memory15LoadWithoutCastENSD_16StoreWithoutCastEEEviT_T0_T2_T3_T4_T5_: ; @_ZN2at6native27unrolled_elementwise_kernelINS0_13BinaryFunctorIttbNS0_12_GLOBAL__N_116CompareEqFunctorItEEEESt5arrayIPcLm3EELi4E23TrivialOffsetCalculatorILi2EjESA_ILi1EjENS0_6memory15LoadWithoutCastENSD_16StoreWithoutCastEEEviT_T0_T2_T3_T4_T5_
; %bb.0:
	s_load_b64 s[2:3], s[0:1], 0x0
	s_bfe_u32 s10, ttmp6, 0x4000c
	s_clause 0x1
	s_load_b128 s[4:7], s[0:1], 0x8
	s_load_b64 s[8:9], s[0:1], 0x18
	s_add_co_i32 s10, s10, 1
	s_wait_xcnt 0x0
	s_and_b32 s0, ttmp6, 15
	s_mul_i32 s1, ttmp9, s10
	s_getreg_b32 s10, hwreg(HW_REG_IB_STS2, 6, 4)
	s_add_co_i32 s0, s0, s1
	s_cmp_eq_u32 s10, 0
	v_or_b32_e32 v1, 0x100, v0
	s_cselect_b32 s0, ttmp9, s0
	s_mov_b32 s10, 0
	s_lshl_b32 s1, s0, 10
	s_delay_alu instid0(SALU_CYCLE_1) | instskip(SKIP_3) | instid1(SALU_CYCLE_1)
	v_dual_mov_b32 v3, v0 :: v_dual_bitop2_b32 v2, s1, v0 bitop3:0x54
	s_mov_b32 s11, 0
	s_wait_kmcnt 0x0
	s_sub_co_i32 s2, s2, s1
	v_cmp_gt_i32_e32 vcc_lo, s2, v0
	s_and_saveexec_b32 s12, vcc_lo
	s_cbranch_execz .LBB329_2
; %bb.1:
	s_clause 0x1
	global_load_u16 v3, v2, s[6:7] scale_offset
	global_load_u16 v4, v2, s[8:9] scale_offset
	s_wait_loadcnt 0x0
	v_cmp_ne_u16_e64 s0, v3, v4
	v_or_b32_e32 v3, 0x100, v0
	s_and_b32 s11, s0, exec_lo
.LBB329_2:
	s_or_b32 exec_lo, exec_lo, s12
	s_delay_alu instid0(SALU_CYCLE_1) | instskip(NEXT) | instid1(VALU_DEP_1)
	s_mov_b32 s12, exec_lo
	v_cmpx_gt_i32_e64 s2, v3
	s_cbranch_execz .LBB329_4
; %bb.3:
	v_add_nc_u32_e32 v4, s1, v3
	v_add_nc_u32_e32 v3, 0x100, v3
	s_clause 0x1
	global_load_u16 v5, v4, s[6:7] scale_offset
	global_load_u16 v6, v4, s[8:9] scale_offset
	s_wait_loadcnt 0x0
	v_cmp_ne_u16_e64 s0, v5, v6
	s_and_b32 s10, s0, exec_lo
.LBB329_4:
	s_or_b32 exec_lo, exec_lo, s12
	s_mov_b32 s12, 0
	s_mov_b32 s13, 0
	s_mov_b32 s14, exec_lo
	v_cmpx_gt_i32_e64 s2, v3
	s_cbranch_execz .LBB329_6
; %bb.5:
	v_add_nc_u32_e32 v4, s1, v3
	v_add_nc_u32_e32 v3, 0x100, v3
	s_clause 0x1
	global_load_u16 v5, v4, s[6:7] scale_offset
	global_load_u16 v6, v4, s[8:9] scale_offset
	s_wait_loadcnt 0x0
	v_cmp_ne_u16_e64 s0, v5, v6
	s_and_b32 s13, s0, exec_lo
.LBB329_6:
	s_or_b32 exec_lo, exec_lo, s14
	s_delay_alu instid0(SALU_CYCLE_1)
	s_mov_b32 s14, exec_lo
	v_cmpx_gt_i32_e64 s2, v3
	s_cbranch_execz .LBB329_8
; %bb.7:
	v_add_nc_u32_e32 v3, s1, v3
	s_clause 0x1
	global_load_u16 v4, v3, s[6:7] scale_offset
	global_load_u16 v5, v3, s[8:9] scale_offset
	s_wait_loadcnt 0x0
	v_cmp_ne_u16_e64 s0, v4, v5
	s_and_b32 s12, s0, exec_lo
.LBB329_8:
	s_or_b32 exec_lo, exec_lo, s14
	s_cmp_eq_u32 s3, 0
	s_cselect_b32 s3, -1, 0
	s_delay_alu instid0(SALU_CYCLE_1) | instskip(NEXT) | instid1(SALU_CYCLE_1)
	s_xor_b32 s0, s3, s11
	v_cndmask_b32_e64 v3, 0, 1, s0
	s_xor_b32 s0, s3, s10
	s_delay_alu instid0(SALU_CYCLE_1) | instskip(SKIP_1) | instid1(SALU_CYCLE_1)
	v_cndmask_b32_e64 v4, 0, 1, s0
	s_xor_b32 s0, s3, s13
	v_cndmask_b32_e64 v5, 0, 1, s0
	v_cndmask_b32_e32 v3, 0, v3, vcc_lo
	s_delay_alu instid0(VALU_DEP_3) | instskip(SKIP_1) | instid1(VALU_DEP_2)
	v_lshlrev_b16 v4, 8, v4
	v_cmp_gt_i32_e64 s0, s2, v1
	v_dual_lshlrev_b32 v5, 16, v5 :: v_dual_bitop2_b32 v4, v3, v4 bitop3:0x54
	s_delay_alu instid0(VALU_DEP_1) | instskip(NEXT) | instid1(VALU_DEP_1)
	v_and_b32_e32 v4, 0xffff, v4
	v_cndmask_b32_e64 v3, v3, v4, s0
	v_or_b32_e32 v4, 0x200, v0
	s_delay_alu instid0(VALU_DEP_2) | instskip(NEXT) | instid1(VALU_DEP_2)
	v_or_b32_e32 v5, v3, v5
	v_cmp_gt_i32_e64 s0, s2, v4
	s_delay_alu instid0(VALU_DEP_1) | instskip(SKIP_1) | instid1(SALU_CYCLE_1)
	v_cndmask_b32_e64 v3, v3, v5, s0
	s_xor_b32 s0, s3, s12
	v_cndmask_b32_e64 v4, 0, 1, s0
	s_delay_alu instid0(VALU_DEP_2) | instskip(NEXT) | instid1(VALU_DEP_2)
	v_lshrrev_b32_e32 v5, 16, v3
	v_lshlrev_b16 v4, 8, v4
	s_delay_alu instid0(VALU_DEP_1) | instskip(SKIP_1) | instid1(VALU_DEP_2)
	v_bitop3_b16 v4, v5, v4, 0xff bitop3:0xec
	v_or_b32_e32 v5, 0x300, v0
	v_lshlrev_b32_e32 v4, 16, v4
	s_delay_alu instid0(VALU_DEP_2) | instskip(NEXT) | instid1(VALU_DEP_2)
	v_cmp_gt_i32_e64 s0, s2, v5
	v_and_or_b32 v4, 0xffff, v3, v4
	s_delay_alu instid0(VALU_DEP_1)
	v_cndmask_b32_e64 v3, v3, v4, s0
	s_and_saveexec_b32 s0, vcc_lo
	s_cbranch_execnz .LBB329_13
; %bb.9:
	s_or_b32 exec_lo, exec_lo, s0
	s_delay_alu instid0(SALU_CYCLE_1)
	s_mov_b32 s0, exec_lo
	v_cmpx_gt_i32_e64 s2, v0
	s_cbranch_execnz .LBB329_14
.LBB329_10:
	s_or_b32 exec_lo, exec_lo, s0
	s_delay_alu instid0(SALU_CYCLE_1)
	s_mov_b32 s0, exec_lo
	v_cmpx_gt_i32_e64 s2, v0
	s_cbranch_execnz .LBB329_15
.LBB329_11:
	s_or_b32 exec_lo, exec_lo, s0
	s_delay_alu instid0(SALU_CYCLE_1)
	s_mov_b32 s0, exec_lo
	v_cmpx_gt_i32_e64 s2, v0
	s_cbranch_execnz .LBB329_16
.LBB329_12:
	s_endpgm
.LBB329_13:
	v_mov_b32_e32 v0, v1
	global_store_b8 v2, v3, s[4:5]
	s_wait_xcnt 0x0
	s_or_b32 exec_lo, exec_lo, s0
	s_delay_alu instid0(SALU_CYCLE_1)
	s_mov_b32 s0, exec_lo
	v_cmpx_gt_i32_e64 s2, v0
	s_cbranch_execz .LBB329_10
.LBB329_14:
	v_add_nc_u32_e32 v1, 0x100, v0
	v_dual_add_nc_u32 v2, s1, v0 :: v_dual_lshrrev_b32 v4, 8, v3
	s_delay_alu instid0(VALU_DEP_2) | instskip(SKIP_3) | instid1(SALU_CYCLE_1)
	v_mov_b32_e32 v0, v1
	global_store_b8 v2, v4, s[4:5]
	s_wait_xcnt 0x0
	s_or_b32 exec_lo, exec_lo, s0
	s_mov_b32 s0, exec_lo
	v_cmpx_gt_i32_e64 s2, v0
	s_cbranch_execz .LBB329_11
.LBB329_15:
	v_add_nc_u32_e32 v1, 0x100, v0
	s_delay_alu instid0(VALU_DEP_1) | instskip(SKIP_3) | instid1(SALU_CYCLE_1)
	v_dual_add_nc_u32 v2, s1, v0 :: v_dual_mov_b32 v0, v1
	global_store_d16_hi_b8 v2, v3, s[4:5]
	s_wait_xcnt 0x0
	s_or_b32 exec_lo, exec_lo, s0
	s_mov_b32 s0, exec_lo
	v_cmpx_gt_i32_e64 s2, v0
	s_cbranch_execz .LBB329_12
.LBB329_16:
	v_dual_add_nc_u32 v0, s1, v0 :: v_dual_lshrrev_b32 v1, 24, v3
	global_store_b8 v0, v1, s[4:5]
	s_endpgm
	.section	.rodata,"a",@progbits
	.p2align	6, 0x0
	.amdhsa_kernel _ZN2at6native27unrolled_elementwise_kernelINS0_13BinaryFunctorIttbNS0_12_GLOBAL__N_116CompareEqFunctorItEEEESt5arrayIPcLm3EELi4E23TrivialOffsetCalculatorILi2EjESA_ILi1EjENS0_6memory15LoadWithoutCastENSD_16StoreWithoutCastEEEviT_T0_T2_T3_T4_T5_
		.amdhsa_group_segment_fixed_size 0
		.amdhsa_private_segment_fixed_size 0
		.amdhsa_kernarg_size 36
		.amdhsa_user_sgpr_count 2
		.amdhsa_user_sgpr_dispatch_ptr 0
		.amdhsa_user_sgpr_queue_ptr 0
		.amdhsa_user_sgpr_kernarg_segment_ptr 1
		.amdhsa_user_sgpr_dispatch_id 0
		.amdhsa_user_sgpr_kernarg_preload_length 0
		.amdhsa_user_sgpr_kernarg_preload_offset 0
		.amdhsa_user_sgpr_private_segment_size 0
		.amdhsa_wavefront_size32 1
		.amdhsa_uses_dynamic_stack 0
		.amdhsa_enable_private_segment 0
		.amdhsa_system_sgpr_workgroup_id_x 1
		.amdhsa_system_sgpr_workgroup_id_y 0
		.amdhsa_system_sgpr_workgroup_id_z 0
		.amdhsa_system_sgpr_workgroup_info 0
		.amdhsa_system_vgpr_workitem_id 0
		.amdhsa_next_free_vgpr 7
		.amdhsa_next_free_sgpr 15
		.amdhsa_named_barrier_count 0
		.amdhsa_reserve_vcc 1
		.amdhsa_float_round_mode_32 0
		.amdhsa_float_round_mode_16_64 0
		.amdhsa_float_denorm_mode_32 3
		.amdhsa_float_denorm_mode_16_64 3
		.amdhsa_fp16_overflow 0
		.amdhsa_memory_ordered 1
		.amdhsa_forward_progress 1
		.amdhsa_inst_pref_size 8
		.amdhsa_round_robin_scheduling 0
		.amdhsa_exception_fp_ieee_invalid_op 0
		.amdhsa_exception_fp_denorm_src 0
		.amdhsa_exception_fp_ieee_div_zero 0
		.amdhsa_exception_fp_ieee_overflow 0
		.amdhsa_exception_fp_ieee_underflow 0
		.amdhsa_exception_fp_ieee_inexact 0
		.amdhsa_exception_int_div_zero 0
	.end_amdhsa_kernel
	.section	.text._ZN2at6native27unrolled_elementwise_kernelINS0_13BinaryFunctorIttbNS0_12_GLOBAL__N_116CompareEqFunctorItEEEESt5arrayIPcLm3EELi4E23TrivialOffsetCalculatorILi2EjESA_ILi1EjENS0_6memory15LoadWithoutCastENSD_16StoreWithoutCastEEEviT_T0_T2_T3_T4_T5_,"axG",@progbits,_ZN2at6native27unrolled_elementwise_kernelINS0_13BinaryFunctorIttbNS0_12_GLOBAL__N_116CompareEqFunctorItEEEESt5arrayIPcLm3EELi4E23TrivialOffsetCalculatorILi2EjESA_ILi1EjENS0_6memory15LoadWithoutCastENSD_16StoreWithoutCastEEEviT_T0_T2_T3_T4_T5_,comdat
.Lfunc_end329:
	.size	_ZN2at6native27unrolled_elementwise_kernelINS0_13BinaryFunctorIttbNS0_12_GLOBAL__N_116CompareEqFunctorItEEEESt5arrayIPcLm3EELi4E23TrivialOffsetCalculatorILi2EjESA_ILi1EjENS0_6memory15LoadWithoutCastENSD_16StoreWithoutCastEEEviT_T0_T2_T3_T4_T5_, .Lfunc_end329-_ZN2at6native27unrolled_elementwise_kernelINS0_13BinaryFunctorIttbNS0_12_GLOBAL__N_116CompareEqFunctorItEEEESt5arrayIPcLm3EELi4E23TrivialOffsetCalculatorILi2EjESA_ILi1EjENS0_6memory15LoadWithoutCastENSD_16StoreWithoutCastEEEviT_T0_T2_T3_T4_T5_
                                        ; -- End function
	.set _ZN2at6native27unrolled_elementwise_kernelINS0_13BinaryFunctorIttbNS0_12_GLOBAL__N_116CompareEqFunctorItEEEESt5arrayIPcLm3EELi4E23TrivialOffsetCalculatorILi2EjESA_ILi1EjENS0_6memory15LoadWithoutCastENSD_16StoreWithoutCastEEEviT_T0_T2_T3_T4_T5_.num_vgpr, 7
	.set _ZN2at6native27unrolled_elementwise_kernelINS0_13BinaryFunctorIttbNS0_12_GLOBAL__N_116CompareEqFunctorItEEEESt5arrayIPcLm3EELi4E23TrivialOffsetCalculatorILi2EjESA_ILi1EjENS0_6memory15LoadWithoutCastENSD_16StoreWithoutCastEEEviT_T0_T2_T3_T4_T5_.num_agpr, 0
	.set _ZN2at6native27unrolled_elementwise_kernelINS0_13BinaryFunctorIttbNS0_12_GLOBAL__N_116CompareEqFunctorItEEEESt5arrayIPcLm3EELi4E23TrivialOffsetCalculatorILi2EjESA_ILi1EjENS0_6memory15LoadWithoutCastENSD_16StoreWithoutCastEEEviT_T0_T2_T3_T4_T5_.numbered_sgpr, 15
	.set _ZN2at6native27unrolled_elementwise_kernelINS0_13BinaryFunctorIttbNS0_12_GLOBAL__N_116CompareEqFunctorItEEEESt5arrayIPcLm3EELi4E23TrivialOffsetCalculatorILi2EjESA_ILi1EjENS0_6memory15LoadWithoutCastENSD_16StoreWithoutCastEEEviT_T0_T2_T3_T4_T5_.num_named_barrier, 0
	.set _ZN2at6native27unrolled_elementwise_kernelINS0_13BinaryFunctorIttbNS0_12_GLOBAL__N_116CompareEqFunctorItEEEESt5arrayIPcLm3EELi4E23TrivialOffsetCalculatorILi2EjESA_ILi1EjENS0_6memory15LoadWithoutCastENSD_16StoreWithoutCastEEEviT_T0_T2_T3_T4_T5_.private_seg_size, 0
	.set _ZN2at6native27unrolled_elementwise_kernelINS0_13BinaryFunctorIttbNS0_12_GLOBAL__N_116CompareEqFunctorItEEEESt5arrayIPcLm3EELi4E23TrivialOffsetCalculatorILi2EjESA_ILi1EjENS0_6memory15LoadWithoutCastENSD_16StoreWithoutCastEEEviT_T0_T2_T3_T4_T5_.uses_vcc, 1
	.set _ZN2at6native27unrolled_elementwise_kernelINS0_13BinaryFunctorIttbNS0_12_GLOBAL__N_116CompareEqFunctorItEEEESt5arrayIPcLm3EELi4E23TrivialOffsetCalculatorILi2EjESA_ILi1EjENS0_6memory15LoadWithoutCastENSD_16StoreWithoutCastEEEviT_T0_T2_T3_T4_T5_.uses_flat_scratch, 0
	.set _ZN2at6native27unrolled_elementwise_kernelINS0_13BinaryFunctorIttbNS0_12_GLOBAL__N_116CompareEqFunctorItEEEESt5arrayIPcLm3EELi4E23TrivialOffsetCalculatorILi2EjESA_ILi1EjENS0_6memory15LoadWithoutCastENSD_16StoreWithoutCastEEEviT_T0_T2_T3_T4_T5_.has_dyn_sized_stack, 0
	.set _ZN2at6native27unrolled_elementwise_kernelINS0_13BinaryFunctorIttbNS0_12_GLOBAL__N_116CompareEqFunctorItEEEESt5arrayIPcLm3EELi4E23TrivialOffsetCalculatorILi2EjESA_ILi1EjENS0_6memory15LoadWithoutCastENSD_16StoreWithoutCastEEEviT_T0_T2_T3_T4_T5_.has_recursion, 0
	.set _ZN2at6native27unrolled_elementwise_kernelINS0_13BinaryFunctorIttbNS0_12_GLOBAL__N_116CompareEqFunctorItEEEESt5arrayIPcLm3EELi4E23TrivialOffsetCalculatorILi2EjESA_ILi1EjENS0_6memory15LoadWithoutCastENSD_16StoreWithoutCastEEEviT_T0_T2_T3_T4_T5_.has_indirect_call, 0
	.section	.AMDGPU.csdata,"",@progbits
; Kernel info:
; codeLenInByte = 932
; TotalNumSgprs: 17
; NumVgprs: 7
; ScratchSize: 0
; MemoryBound: 0
; FloatMode: 240
; IeeeMode: 1
; LDSByteSize: 0 bytes/workgroup (compile time only)
; SGPRBlocks: 0
; VGPRBlocks: 0
; NumSGPRsForWavesPerEU: 17
; NumVGPRsForWavesPerEU: 7
; NamedBarCnt: 0
; Occupancy: 16
; WaveLimiterHint : 0
; COMPUTE_PGM_RSRC2:SCRATCH_EN: 0
; COMPUTE_PGM_RSRC2:USER_SGPR: 2
; COMPUTE_PGM_RSRC2:TRAP_HANDLER: 0
; COMPUTE_PGM_RSRC2:TGID_X_EN: 1
; COMPUTE_PGM_RSRC2:TGID_Y_EN: 0
; COMPUTE_PGM_RSRC2:TGID_Z_EN: 0
; COMPUTE_PGM_RSRC2:TIDIG_COMP_CNT: 0
	.section	.text._ZN2at6native32elementwise_kernel_manual_unrollILi128ELi8EZNS0_22gpu_kernel_impl_nocastINS0_13BinaryFunctorIttbNS0_12_GLOBAL__N_116CompareEqFunctorItEEEEEEvRNS_18TensorIteratorBaseERKT_EUlibE_EEviT1_,"axG",@progbits,_ZN2at6native32elementwise_kernel_manual_unrollILi128ELi8EZNS0_22gpu_kernel_impl_nocastINS0_13BinaryFunctorIttbNS0_12_GLOBAL__N_116CompareEqFunctorItEEEEEEvRNS_18TensorIteratorBaseERKT_EUlibE_EEviT1_,comdat
	.globl	_ZN2at6native32elementwise_kernel_manual_unrollILi128ELi8EZNS0_22gpu_kernel_impl_nocastINS0_13BinaryFunctorIttbNS0_12_GLOBAL__N_116CompareEqFunctorItEEEEEEvRNS_18TensorIteratorBaseERKT_EUlibE_EEviT1_ ; -- Begin function _ZN2at6native32elementwise_kernel_manual_unrollILi128ELi8EZNS0_22gpu_kernel_impl_nocastINS0_13BinaryFunctorIttbNS0_12_GLOBAL__N_116CompareEqFunctorItEEEEEEvRNS_18TensorIteratorBaseERKT_EUlibE_EEviT1_
	.p2align	8
	.type	_ZN2at6native32elementwise_kernel_manual_unrollILi128ELi8EZNS0_22gpu_kernel_impl_nocastINS0_13BinaryFunctorIttbNS0_12_GLOBAL__N_116CompareEqFunctorItEEEEEEvRNS_18TensorIteratorBaseERKT_EUlibE_EEviT1_,@function
_ZN2at6native32elementwise_kernel_manual_unrollILi128ELi8EZNS0_22gpu_kernel_impl_nocastINS0_13BinaryFunctorIttbNS0_12_GLOBAL__N_116CompareEqFunctorItEEEEEEvRNS_18TensorIteratorBaseERKT_EUlibE_EEviT1_: ; @_ZN2at6native32elementwise_kernel_manual_unrollILi128ELi8EZNS0_22gpu_kernel_impl_nocastINS0_13BinaryFunctorIttbNS0_12_GLOBAL__N_116CompareEqFunctorItEEEEEEvRNS_18TensorIteratorBaseERKT_EUlibE_EEviT1_
; %bb.0:
	s_clause 0x1
	s_load_b32 s26, s[0:1], 0x8
	s_load_b32 s33, s[0:1], 0x0
	s_bfe_u32 s2, ttmp6, 0x4000c
	s_and_b32 s3, ttmp6, 15
	s_add_co_i32 s2, s2, 1
	s_getreg_b32 s4, hwreg(HW_REG_IB_STS2, 6, 4)
	s_mul_i32 s2, ttmp9, s2
	s_add_nc_u64 s[16:17], s[0:1], 8
	s_add_co_i32 s3, s3, s2
	s_cmp_eq_u32 s4, 0
	s_mov_b32 s21, 0
	s_cselect_b32 s2, ttmp9, s3
	s_wait_xcnt 0x0
	s_mov_b32 s0, exec_lo
	v_lshl_or_b32 v0, s2, 10, v0
	s_delay_alu instid0(VALU_DEP_1) | instskip(SKIP_2) | instid1(SALU_CYCLE_1)
	v_or_b32_e32 v4, 0x380, v0
	s_wait_kmcnt 0x0
	s_add_co_i32 s27, s26, -1
	s_cmp_gt_u32 s27, 1
	s_cselect_b32 s28, -1, 0
	v_cmpx_le_i32_e64 s33, v4
	s_xor_b32 s29, exec_lo, s0
	s_cbranch_execz .LBB330_106
; %bb.1:
	s_clause 0x5
	s_load_b128 s[4:7], s[16:17], 0x4
	s_load_b64 s[18:19], s[16:17], 0x14
	s_load_b96 s[12:14], s[16:17], 0x198
	s_load_b128 s[8:11], s[16:17], 0xc4
	s_load_b64 s[22:23], s[16:17], 0xd4
	s_load_b128 s[0:3], s[16:17], 0x188
	s_cmp_lg_u32 s26, 0
	s_mov_b32 s25, s21
	s_cselect_b32 s34, -1, 0
	s_min_u32 s31, s27, 15
	s_cmp_gt_u32 s26, 1
	s_cselect_b32 s30, -1, 0
	s_wait_kmcnt 0x0
	s_mov_b32 s20, s5
	s_mov_b32 s24, s18
	s_cmp_eq_u32 s14, 0
	s_mov_b32 s18, exec_lo
	s_cselect_b32 s5, -1, 0
	v_cmpx_gt_i32_e64 s33, v0
	s_cbranch_execnz .LBB330_9
; %bb.2:
	s_or_b32 exec_lo, exec_lo, s18
	s_delay_alu instid0(SALU_CYCLE_1)
	s_mov_b32 s18, exec_lo
	v_cmpx_gt_i32_e64 s33, v0
	s_cbranch_execnz .LBB330_21
.LBB330_3:
	s_or_b32 exec_lo, exec_lo, s18
	s_delay_alu instid0(SALU_CYCLE_1)
	s_mov_b32 s18, exec_lo
	v_cmpx_gt_i32_e64 s33, v0
	s_cbranch_execnz .LBB330_33
.LBB330_4:
	s_or_b32 exec_lo, exec_lo, s18
	s_delay_alu instid0(SALU_CYCLE_1)
	s_mov_b32 s18, exec_lo
	v_cmpx_gt_i32_e64 s33, v0
	s_cbranch_execnz .LBB330_45
.LBB330_5:
	s_or_b32 exec_lo, exec_lo, s18
	s_delay_alu instid0(SALU_CYCLE_1)
	s_mov_b32 s18, exec_lo
	v_cmpx_gt_i32_e64 s33, v0
	s_cbranch_execnz .LBB330_57
.LBB330_6:
	s_or_b32 exec_lo, exec_lo, s18
	s_delay_alu instid0(SALU_CYCLE_1)
	s_mov_b32 s18, exec_lo
	v_cmpx_gt_i32_e64 s33, v0
	s_cbranch_execnz .LBB330_69
.LBB330_7:
	s_or_b32 exec_lo, exec_lo, s18
	s_delay_alu instid0(SALU_CYCLE_1)
	s_mov_b32 s18, exec_lo
	v_cmpx_gt_i32_e64 s33, v0
	s_cbranch_execnz .LBB330_81
.LBB330_8:
	s_or_b32 exec_lo, exec_lo, s18
	s_delay_alu instid0(SALU_CYCLE_1)
	s_mov_b32 s18, exec_lo
	v_cmpx_gt_i32_e64 s33, v0
	s_cbranch_execnz .LBB330_93
	s_branch .LBB330_105
.LBB330_9:
	s_and_not1_b32 vcc_lo, exec_lo, s28
	s_cbranch_vccnz .LBB330_15
; %bb.10:
	s_and_not1_b32 vcc_lo, exec_lo, s34
	s_cbranch_vccnz .LBB330_16
; %bb.11:
	v_dual_mov_b32 v4, 0 :: v_dual_mov_b32 v1, v0
	v_dual_mov_b32 v6, 0 :: v_dual_mov_b32 v5, 0
	s_add_co_i32 s35, s31, 1
	s_mov_b64 s[14:15], 0xffffffffffffffe8
	s_and_b32 s35, s35, 30
	s_add_nc_u64 s[14:15], s[16:17], s[14:15]
.LBB330_12:                             ; =>This Inner Loop Header: Depth=1
	s_clause 0x1
	s_load_b128 s[36:39], s[14:15], 0x1c
	s_load_b64 s[44:45], s[14:15], 0x2c
	s_add_co_i32 s35, s35, -2
	s_delay_alu instid0(SALU_CYCLE_1) | instskip(SKIP_2) | instid1(VALU_DEP_1)
	s_cmp_lg_u32 s35, 0
	s_wait_kmcnt 0x0
	v_mul_hi_u32 v2, s37, v1
	v_add_nc_u32_e32 v2, v1, v2
	s_delay_alu instid0(VALU_DEP_1) | instskip(NEXT) | instid1(VALU_DEP_1)
	v_lshrrev_b32_e32 v2, s38, v2
	v_mul_hi_u32 v3, s44, v2
	v_mul_lo_u32 v7, v2, s36
	s_clause 0x1
	s_load_b128 s[40:43], s[14:15], 0xdc
	s_load_b64 s[36:37], s[14:15], 0xec
	s_wait_xcnt 0x0
	s_add_nc_u64 s[14:15], s[14:15], 24
	s_delay_alu instid0(VALU_DEP_2) | instskip(NEXT) | instid1(VALU_DEP_2)
	v_add_nc_u32_e32 v3, v2, v3
	v_sub_nc_u32_e32 v7, v1, v7
	s_delay_alu instid0(VALU_DEP_2) | instskip(SKIP_1) | instid1(VALU_DEP_2)
	v_lshrrev_b32_e32 v1, s45, v3
	s_wait_kmcnt 0x0
	v_mad_u32 v4, v7, s40, v4
	s_delay_alu instid0(VALU_DEP_2) | instskip(SKIP_2) | instid1(VALU_DEP_3)
	v_mul_lo_u32 v3, v1, s39
	v_mad_u32 v5, v7, s42, v5
	v_mad_u32 v6, v7, s41, v6
	v_sub_nc_u32_e32 v2, v2, v3
	s_delay_alu instid0(VALU_DEP_1) | instskip(NEXT) | instid1(VALU_DEP_4)
	v_mad_u32 v4, v2, s43, v4
	v_mad_u32 v5, v2, s37, v5
	s_delay_alu instid0(VALU_DEP_4)
	v_mad_u32 v6, v2, s36, v6
	s_cbranch_scc1 .LBB330_12
; %bb.13:
	s_bitcmp1_b32 s31, 0
	s_cselect_b32 s35, -1, 0
	s_delay_alu instid0(SALU_CYCLE_1)
	s_and_b32 vcc_lo, exec_lo, s35
	s_cbranch_vccnz .LBB330_17
; %bb.14:
	s_clause 0x1
	s_load_b96 s[36:38], s[14:15], 0x1c
	s_load_b96 s[40:42], s[14:15], 0xdc
	s_wait_xcnt 0x0
	s_wait_kmcnt 0x0
	v_mul_hi_u32 v2, s37, v1
	s_delay_alu instid0(VALU_DEP_1) | instskip(NEXT) | instid1(VALU_DEP_1)
	v_add_nc_u32_e32 v2, v1, v2
	v_lshrrev_b32_e32 v2, s38, v2
	s_delay_alu instid0(VALU_DEP_1) | instskip(NEXT) | instid1(VALU_DEP_1)
	v_mul_lo_u32 v2, v2, s36
	v_sub_nc_u32_e32 v1, v1, v2
	s_delay_alu instid0(VALU_DEP_1)
	v_mad_u32 v4, v1, s40, v4
	v_mad_u32 v6, v1, s41, v6
	v_mad_u32 v5, v1, s42, v5
	s_cbranch_execz .LBB330_18
	s_branch .LBB330_20
.LBB330_15:
                                        ; implicit-def: $vgpr5
                                        ; implicit-def: $vgpr6
                                        ; implicit-def: $vgpr4
	s_branch .LBB330_18
.LBB330_16:
	v_dual_mov_b32 v5, 0 :: v_dual_mov_b32 v6, 0
	v_mov_b32_e32 v4, 0
.LBB330_17:
	s_cbranch_execnz .LBB330_20
.LBB330_18:
	v_mov_b32_e32 v1, 0
	s_and_not1_b32 vcc_lo, exec_lo, s30
	s_delay_alu instid0(VALU_DEP_1) | instskip(NEXT) | instid1(VALU_DEP_1)
	v_mul_u64_e32 v[2:3], s[20:21], v[0:1]
	v_add_nc_u32_e32 v2, v0, v3
	s_delay_alu instid0(VALU_DEP_1) | instskip(NEXT) | instid1(VALU_DEP_1)
	v_lshrrev_b32_e32 v2, s6, v2
	v_mul_lo_u32 v3, v2, s4
	s_delay_alu instid0(VALU_DEP_1) | instskip(NEXT) | instid1(VALU_DEP_1)
	v_sub_nc_u32_e32 v3, v0, v3
	v_mul_lo_u32 v4, v3, s8
	v_mul_lo_u32 v5, v3, s10
	v_mul_lo_u32 v6, v3, s9
	s_cbranch_vccnz .LBB330_20
; %bb.19:
	v_mov_b32_e32 v3, v1
	s_delay_alu instid0(VALU_DEP_1) | instskip(NEXT) | instid1(VALU_DEP_1)
	v_mul_u64_e32 v[8:9], s[24:25], v[2:3]
	v_add_nc_u32_e32 v1, v2, v9
	s_delay_alu instid0(VALU_DEP_1) | instskip(NEXT) | instid1(VALU_DEP_1)
	v_lshrrev_b32_e32 v1, s19, v1
	v_mul_lo_u32 v1, v1, s7
	s_delay_alu instid0(VALU_DEP_1) | instskip(NEXT) | instid1(VALU_DEP_1)
	v_sub_nc_u32_e32 v1, v2, v1
	v_mad_u32 v4, v1, s11, v4
	v_mad_u32 v6, v1, s22, v6
	;; [unrolled: 1-line block ×3, first 2 shown]
.LBB330_20:
	global_load_u16 v1, v6, s[2:3]
	global_load_u16 v2, v5, s[12:13]
	v_add_nc_u32_e32 v0, 0x80, v0
	s_wait_loadcnt 0x0
	v_cmp_ne_u16_e32 vcc_lo, v1, v2
	s_xor_b32 s14, s5, vcc_lo
	s_delay_alu instid0(SALU_CYCLE_1) | instskip(SKIP_3) | instid1(SALU_CYCLE_1)
	v_cndmask_b32_e64 v1, 0, 1, s14
	global_store_b8 v4, v1, s[0:1]
	s_wait_xcnt 0x0
	s_or_b32 exec_lo, exec_lo, s18
	s_mov_b32 s18, exec_lo
	v_cmpx_gt_i32_e64 s33, v0
	s_cbranch_execz .LBB330_3
.LBB330_21:
	s_and_not1_b32 vcc_lo, exec_lo, s28
	s_cbranch_vccnz .LBB330_27
; %bb.22:
	s_and_not1_b32 vcc_lo, exec_lo, s34
	s_cbranch_vccnz .LBB330_28
; %bb.23:
	v_dual_mov_b32 v4, 0 :: v_dual_mov_b32 v1, v0
	v_dual_mov_b32 v6, 0 :: v_dual_mov_b32 v5, 0
	s_add_co_i32 s35, s31, 1
	s_mov_b64 s[14:15], 0xffffffffffffffe8
	s_and_b32 s35, s35, 30
	s_add_nc_u64 s[14:15], s[16:17], s[14:15]
.LBB330_24:                             ; =>This Inner Loop Header: Depth=1
	s_clause 0x1
	s_load_b128 s[36:39], s[14:15], 0x1c
	s_load_b64 s[44:45], s[14:15], 0x2c
	s_add_co_i32 s35, s35, -2
	s_delay_alu instid0(SALU_CYCLE_1) | instskip(SKIP_2) | instid1(VALU_DEP_1)
	s_cmp_eq_u32 s35, 0
	s_wait_kmcnt 0x0
	v_mul_hi_u32 v2, s37, v1
	v_add_nc_u32_e32 v2, v1, v2
	s_delay_alu instid0(VALU_DEP_1) | instskip(NEXT) | instid1(VALU_DEP_1)
	v_lshrrev_b32_e32 v2, s38, v2
	v_mul_hi_u32 v3, s44, v2
	v_mul_lo_u32 v7, v2, s36
	s_clause 0x1
	s_load_b128 s[40:43], s[14:15], 0xdc
	s_load_b64 s[36:37], s[14:15], 0xec
	s_wait_xcnt 0x0
	s_add_nc_u64 s[14:15], s[14:15], 24
	s_delay_alu instid0(VALU_DEP_2) | instskip(NEXT) | instid1(VALU_DEP_2)
	v_add_nc_u32_e32 v3, v2, v3
	v_sub_nc_u32_e32 v7, v1, v7
	s_delay_alu instid0(VALU_DEP_2) | instskip(SKIP_1) | instid1(VALU_DEP_2)
	v_lshrrev_b32_e32 v1, s45, v3
	s_wait_kmcnt 0x0
	v_mad_u32 v4, v7, s40, v4
	s_delay_alu instid0(VALU_DEP_2) | instskip(SKIP_2) | instid1(VALU_DEP_3)
	v_mul_lo_u32 v3, v1, s39
	v_mad_u32 v5, v7, s42, v5
	v_mad_u32 v6, v7, s41, v6
	v_sub_nc_u32_e32 v2, v2, v3
	s_delay_alu instid0(VALU_DEP_1) | instskip(NEXT) | instid1(VALU_DEP_4)
	v_mad_u32 v4, v2, s43, v4
	v_mad_u32 v5, v2, s37, v5
	s_delay_alu instid0(VALU_DEP_4)
	v_mad_u32 v6, v2, s36, v6
	s_cbranch_scc0 .LBB330_24
; %bb.25:
	s_bitcmp1_b32 s31, 0
	s_cselect_b32 s35, -1, 0
	s_delay_alu instid0(SALU_CYCLE_1)
	s_and_b32 vcc_lo, exec_lo, s35
	s_cbranch_vccnz .LBB330_29
; %bb.26:
	s_clause 0x1
	s_load_b96 s[36:38], s[14:15], 0x1c
	s_load_b96 s[40:42], s[14:15], 0xdc
	s_wait_kmcnt 0x0
	v_mul_hi_u32 v2, s37, v1
	s_delay_alu instid0(VALU_DEP_1) | instskip(NEXT) | instid1(VALU_DEP_1)
	v_add_nc_u32_e32 v2, v1, v2
	v_lshrrev_b32_e32 v2, s38, v2
	s_delay_alu instid0(VALU_DEP_1) | instskip(NEXT) | instid1(VALU_DEP_1)
	v_mul_lo_u32 v2, v2, s36
	v_sub_nc_u32_e32 v1, v1, v2
	s_delay_alu instid0(VALU_DEP_1)
	v_mad_u32 v4, v1, s40, v4
	v_mad_u32 v6, v1, s41, v6
	;; [unrolled: 1-line block ×3, first 2 shown]
	s_branch .LBB330_29
.LBB330_27:
                                        ; implicit-def: $vgpr5
                                        ; implicit-def: $vgpr6
                                        ; implicit-def: $vgpr4
	s_branch .LBB330_30
.LBB330_28:
	v_dual_mov_b32 v5, 0 :: v_dual_mov_b32 v6, 0
	v_mov_b32_e32 v4, 0
.LBB330_29:
	s_cbranch_execnz .LBB330_32
.LBB330_30:
	v_mov_b32_e32 v1, 0
	s_and_not1_b32 vcc_lo, exec_lo, s30
	s_delay_alu instid0(VALU_DEP_1) | instskip(NEXT) | instid1(VALU_DEP_1)
	v_mul_u64_e32 v[2:3], s[20:21], v[0:1]
	v_add_nc_u32_e32 v2, v0, v3
	s_delay_alu instid0(VALU_DEP_1) | instskip(NEXT) | instid1(VALU_DEP_1)
	v_lshrrev_b32_e32 v2, s6, v2
	v_mul_lo_u32 v3, v2, s4
	s_delay_alu instid0(VALU_DEP_1) | instskip(NEXT) | instid1(VALU_DEP_1)
	v_sub_nc_u32_e32 v3, v0, v3
	v_mul_lo_u32 v4, v3, s8
	v_mul_lo_u32 v5, v3, s10
	;; [unrolled: 1-line block ×3, first 2 shown]
	s_cbranch_vccnz .LBB330_32
; %bb.31:
	v_mov_b32_e32 v3, v1
	s_delay_alu instid0(VALU_DEP_1) | instskip(NEXT) | instid1(VALU_DEP_1)
	v_mul_u64_e32 v[8:9], s[24:25], v[2:3]
	v_add_nc_u32_e32 v1, v2, v9
	s_delay_alu instid0(VALU_DEP_1) | instskip(NEXT) | instid1(VALU_DEP_1)
	v_lshrrev_b32_e32 v1, s19, v1
	v_mul_lo_u32 v1, v1, s7
	s_delay_alu instid0(VALU_DEP_1) | instskip(NEXT) | instid1(VALU_DEP_1)
	v_sub_nc_u32_e32 v1, v2, v1
	v_mad_u32 v4, v1, s11, v4
	v_mad_u32 v6, v1, s22, v6
	;; [unrolled: 1-line block ×3, first 2 shown]
.LBB330_32:
	global_load_u16 v1, v6, s[2:3]
	global_load_u16 v2, v5, s[12:13]
	v_add_nc_u32_e32 v0, 0x80, v0
	s_wait_loadcnt 0x0
	v_cmp_ne_u16_e32 vcc_lo, v1, v2
	s_xor_b32 s14, s5, vcc_lo
	s_delay_alu instid0(SALU_CYCLE_1) | instskip(SKIP_3) | instid1(SALU_CYCLE_1)
	v_cndmask_b32_e64 v1, 0, 1, s14
	global_store_b8 v4, v1, s[0:1]
	s_wait_xcnt 0x0
	s_or_b32 exec_lo, exec_lo, s18
	s_mov_b32 s18, exec_lo
	v_cmpx_gt_i32_e64 s33, v0
	s_cbranch_execz .LBB330_4
.LBB330_33:
	s_and_not1_b32 vcc_lo, exec_lo, s28
	s_cbranch_vccnz .LBB330_39
; %bb.34:
	s_and_not1_b32 vcc_lo, exec_lo, s34
	s_cbranch_vccnz .LBB330_40
; %bb.35:
	v_dual_mov_b32 v4, 0 :: v_dual_mov_b32 v1, v0
	v_dual_mov_b32 v6, 0 :: v_dual_mov_b32 v5, 0
	s_add_co_i32 s35, s31, 1
	s_mov_b64 s[14:15], 0xffffffffffffffe8
	s_and_b32 s35, s35, 30
	s_add_nc_u64 s[14:15], s[16:17], s[14:15]
.LBB330_36:                             ; =>This Inner Loop Header: Depth=1
	s_clause 0x1
	s_load_b128 s[36:39], s[14:15], 0x1c
	s_load_b64 s[44:45], s[14:15], 0x2c
	s_add_co_i32 s35, s35, -2
	s_delay_alu instid0(SALU_CYCLE_1) | instskip(SKIP_2) | instid1(VALU_DEP_1)
	s_cmp_eq_u32 s35, 0
	s_wait_kmcnt 0x0
	v_mul_hi_u32 v2, s37, v1
	v_add_nc_u32_e32 v2, v1, v2
	s_delay_alu instid0(VALU_DEP_1) | instskip(NEXT) | instid1(VALU_DEP_1)
	v_lshrrev_b32_e32 v2, s38, v2
	v_mul_hi_u32 v3, s44, v2
	v_mul_lo_u32 v7, v2, s36
	s_clause 0x1
	s_load_b128 s[40:43], s[14:15], 0xdc
	s_load_b64 s[36:37], s[14:15], 0xec
	s_wait_xcnt 0x0
	s_add_nc_u64 s[14:15], s[14:15], 24
	s_delay_alu instid0(VALU_DEP_2) | instskip(NEXT) | instid1(VALU_DEP_2)
	v_add_nc_u32_e32 v3, v2, v3
	v_sub_nc_u32_e32 v7, v1, v7
	s_delay_alu instid0(VALU_DEP_2) | instskip(SKIP_1) | instid1(VALU_DEP_2)
	v_lshrrev_b32_e32 v1, s45, v3
	s_wait_kmcnt 0x0
	v_mad_u32 v4, v7, s40, v4
	s_delay_alu instid0(VALU_DEP_2) | instskip(SKIP_2) | instid1(VALU_DEP_3)
	v_mul_lo_u32 v3, v1, s39
	v_mad_u32 v5, v7, s42, v5
	v_mad_u32 v6, v7, s41, v6
	v_sub_nc_u32_e32 v2, v2, v3
	s_delay_alu instid0(VALU_DEP_1) | instskip(NEXT) | instid1(VALU_DEP_4)
	v_mad_u32 v4, v2, s43, v4
	v_mad_u32 v5, v2, s37, v5
	s_delay_alu instid0(VALU_DEP_4)
	v_mad_u32 v6, v2, s36, v6
	s_cbranch_scc0 .LBB330_36
; %bb.37:
	s_bitcmp1_b32 s31, 0
	s_cselect_b32 s35, -1, 0
	s_delay_alu instid0(SALU_CYCLE_1)
	s_and_b32 vcc_lo, exec_lo, s35
	s_cbranch_vccnz .LBB330_41
; %bb.38:
	s_clause 0x1
	s_load_b96 s[36:38], s[14:15], 0x1c
	s_load_b96 s[40:42], s[14:15], 0xdc
	s_wait_kmcnt 0x0
	v_mul_hi_u32 v2, s37, v1
	s_delay_alu instid0(VALU_DEP_1) | instskip(NEXT) | instid1(VALU_DEP_1)
	v_add_nc_u32_e32 v2, v1, v2
	v_lshrrev_b32_e32 v2, s38, v2
	s_delay_alu instid0(VALU_DEP_1) | instskip(NEXT) | instid1(VALU_DEP_1)
	v_mul_lo_u32 v2, v2, s36
	v_sub_nc_u32_e32 v1, v1, v2
	s_delay_alu instid0(VALU_DEP_1)
	v_mad_u32 v4, v1, s40, v4
	v_mad_u32 v6, v1, s41, v6
	;; [unrolled: 1-line block ×3, first 2 shown]
	s_branch .LBB330_41
.LBB330_39:
                                        ; implicit-def: $vgpr5
                                        ; implicit-def: $vgpr6
                                        ; implicit-def: $vgpr4
	s_branch .LBB330_42
.LBB330_40:
	v_dual_mov_b32 v5, 0 :: v_dual_mov_b32 v6, 0
	v_mov_b32_e32 v4, 0
.LBB330_41:
	s_cbranch_execnz .LBB330_44
.LBB330_42:
	v_mov_b32_e32 v1, 0
	s_and_not1_b32 vcc_lo, exec_lo, s30
	s_delay_alu instid0(VALU_DEP_1) | instskip(NEXT) | instid1(VALU_DEP_1)
	v_mul_u64_e32 v[2:3], s[20:21], v[0:1]
	v_add_nc_u32_e32 v2, v0, v3
	s_delay_alu instid0(VALU_DEP_1) | instskip(NEXT) | instid1(VALU_DEP_1)
	v_lshrrev_b32_e32 v2, s6, v2
	v_mul_lo_u32 v3, v2, s4
	s_delay_alu instid0(VALU_DEP_1) | instskip(NEXT) | instid1(VALU_DEP_1)
	v_sub_nc_u32_e32 v3, v0, v3
	v_mul_lo_u32 v4, v3, s8
	v_mul_lo_u32 v5, v3, s10
	;; [unrolled: 1-line block ×3, first 2 shown]
	s_cbranch_vccnz .LBB330_44
; %bb.43:
	v_mov_b32_e32 v3, v1
	s_delay_alu instid0(VALU_DEP_1) | instskip(NEXT) | instid1(VALU_DEP_1)
	v_mul_u64_e32 v[8:9], s[24:25], v[2:3]
	v_add_nc_u32_e32 v1, v2, v9
	s_delay_alu instid0(VALU_DEP_1) | instskip(NEXT) | instid1(VALU_DEP_1)
	v_lshrrev_b32_e32 v1, s19, v1
	v_mul_lo_u32 v1, v1, s7
	s_delay_alu instid0(VALU_DEP_1) | instskip(NEXT) | instid1(VALU_DEP_1)
	v_sub_nc_u32_e32 v1, v2, v1
	v_mad_u32 v4, v1, s11, v4
	v_mad_u32 v6, v1, s22, v6
	;; [unrolled: 1-line block ×3, first 2 shown]
.LBB330_44:
	global_load_u16 v1, v6, s[2:3]
	global_load_u16 v2, v5, s[12:13]
	v_add_nc_u32_e32 v0, 0x80, v0
	s_wait_loadcnt 0x0
	v_cmp_ne_u16_e32 vcc_lo, v1, v2
	s_xor_b32 s14, s5, vcc_lo
	s_delay_alu instid0(SALU_CYCLE_1) | instskip(SKIP_3) | instid1(SALU_CYCLE_1)
	v_cndmask_b32_e64 v1, 0, 1, s14
	global_store_b8 v4, v1, s[0:1]
	s_wait_xcnt 0x0
	s_or_b32 exec_lo, exec_lo, s18
	s_mov_b32 s18, exec_lo
	v_cmpx_gt_i32_e64 s33, v0
	s_cbranch_execz .LBB330_5
.LBB330_45:
	s_and_not1_b32 vcc_lo, exec_lo, s28
	s_cbranch_vccnz .LBB330_51
; %bb.46:
	s_and_not1_b32 vcc_lo, exec_lo, s34
	s_cbranch_vccnz .LBB330_52
; %bb.47:
	v_dual_mov_b32 v4, 0 :: v_dual_mov_b32 v1, v0
	v_dual_mov_b32 v6, 0 :: v_dual_mov_b32 v5, 0
	s_add_co_i32 s35, s31, 1
	s_mov_b64 s[14:15], 0xffffffffffffffe8
	s_and_b32 s35, s35, 30
	s_add_nc_u64 s[14:15], s[16:17], s[14:15]
.LBB330_48:                             ; =>This Inner Loop Header: Depth=1
	s_clause 0x1
	s_load_b128 s[36:39], s[14:15], 0x1c
	s_load_b64 s[44:45], s[14:15], 0x2c
	s_add_co_i32 s35, s35, -2
	s_delay_alu instid0(SALU_CYCLE_1) | instskip(SKIP_2) | instid1(VALU_DEP_1)
	s_cmp_eq_u32 s35, 0
	s_wait_kmcnt 0x0
	v_mul_hi_u32 v2, s37, v1
	v_add_nc_u32_e32 v2, v1, v2
	s_delay_alu instid0(VALU_DEP_1) | instskip(NEXT) | instid1(VALU_DEP_1)
	v_lshrrev_b32_e32 v2, s38, v2
	v_mul_hi_u32 v3, s44, v2
	v_mul_lo_u32 v7, v2, s36
	s_clause 0x1
	s_load_b128 s[40:43], s[14:15], 0xdc
	s_load_b64 s[36:37], s[14:15], 0xec
	s_wait_xcnt 0x0
	s_add_nc_u64 s[14:15], s[14:15], 24
	s_delay_alu instid0(VALU_DEP_2) | instskip(NEXT) | instid1(VALU_DEP_2)
	v_add_nc_u32_e32 v3, v2, v3
	v_sub_nc_u32_e32 v7, v1, v7
	s_delay_alu instid0(VALU_DEP_2) | instskip(SKIP_1) | instid1(VALU_DEP_2)
	v_lshrrev_b32_e32 v1, s45, v3
	s_wait_kmcnt 0x0
	v_mad_u32 v4, v7, s40, v4
	s_delay_alu instid0(VALU_DEP_2) | instskip(SKIP_2) | instid1(VALU_DEP_3)
	v_mul_lo_u32 v3, v1, s39
	v_mad_u32 v5, v7, s42, v5
	v_mad_u32 v6, v7, s41, v6
	v_sub_nc_u32_e32 v2, v2, v3
	s_delay_alu instid0(VALU_DEP_1) | instskip(NEXT) | instid1(VALU_DEP_4)
	v_mad_u32 v4, v2, s43, v4
	v_mad_u32 v5, v2, s37, v5
	s_delay_alu instid0(VALU_DEP_4)
	v_mad_u32 v6, v2, s36, v6
	s_cbranch_scc0 .LBB330_48
; %bb.49:
	s_bitcmp1_b32 s31, 0
	s_cselect_b32 s35, -1, 0
	s_delay_alu instid0(SALU_CYCLE_1)
	s_and_b32 vcc_lo, exec_lo, s35
	s_cbranch_vccnz .LBB330_53
; %bb.50:
	s_clause 0x1
	s_load_b96 s[36:38], s[14:15], 0x1c
	s_load_b96 s[40:42], s[14:15], 0xdc
	s_wait_kmcnt 0x0
	v_mul_hi_u32 v2, s37, v1
	s_delay_alu instid0(VALU_DEP_1) | instskip(NEXT) | instid1(VALU_DEP_1)
	v_add_nc_u32_e32 v2, v1, v2
	v_lshrrev_b32_e32 v2, s38, v2
	s_delay_alu instid0(VALU_DEP_1) | instskip(NEXT) | instid1(VALU_DEP_1)
	v_mul_lo_u32 v2, v2, s36
	v_sub_nc_u32_e32 v1, v1, v2
	s_delay_alu instid0(VALU_DEP_1)
	v_mad_u32 v4, v1, s40, v4
	v_mad_u32 v6, v1, s41, v6
	;; [unrolled: 1-line block ×3, first 2 shown]
	s_branch .LBB330_53
.LBB330_51:
                                        ; implicit-def: $vgpr5
                                        ; implicit-def: $vgpr6
                                        ; implicit-def: $vgpr4
	s_branch .LBB330_54
.LBB330_52:
	v_dual_mov_b32 v5, 0 :: v_dual_mov_b32 v6, 0
	v_mov_b32_e32 v4, 0
.LBB330_53:
	s_cbranch_execnz .LBB330_56
.LBB330_54:
	v_mov_b32_e32 v1, 0
	s_and_not1_b32 vcc_lo, exec_lo, s30
	s_delay_alu instid0(VALU_DEP_1) | instskip(NEXT) | instid1(VALU_DEP_1)
	v_mul_u64_e32 v[2:3], s[20:21], v[0:1]
	v_add_nc_u32_e32 v2, v0, v3
	s_delay_alu instid0(VALU_DEP_1) | instskip(NEXT) | instid1(VALU_DEP_1)
	v_lshrrev_b32_e32 v2, s6, v2
	v_mul_lo_u32 v3, v2, s4
	s_delay_alu instid0(VALU_DEP_1) | instskip(NEXT) | instid1(VALU_DEP_1)
	v_sub_nc_u32_e32 v3, v0, v3
	v_mul_lo_u32 v4, v3, s8
	v_mul_lo_u32 v5, v3, s10
	v_mul_lo_u32 v6, v3, s9
	s_cbranch_vccnz .LBB330_56
; %bb.55:
	v_mov_b32_e32 v3, v1
	s_delay_alu instid0(VALU_DEP_1) | instskip(NEXT) | instid1(VALU_DEP_1)
	v_mul_u64_e32 v[8:9], s[24:25], v[2:3]
	v_add_nc_u32_e32 v1, v2, v9
	s_delay_alu instid0(VALU_DEP_1) | instskip(NEXT) | instid1(VALU_DEP_1)
	v_lshrrev_b32_e32 v1, s19, v1
	v_mul_lo_u32 v1, v1, s7
	s_delay_alu instid0(VALU_DEP_1) | instskip(NEXT) | instid1(VALU_DEP_1)
	v_sub_nc_u32_e32 v1, v2, v1
	v_mad_u32 v4, v1, s11, v4
	v_mad_u32 v6, v1, s22, v6
	;; [unrolled: 1-line block ×3, first 2 shown]
.LBB330_56:
	global_load_u16 v1, v6, s[2:3]
	global_load_u16 v2, v5, s[12:13]
	v_add_nc_u32_e32 v0, 0x80, v0
	s_wait_loadcnt 0x0
	v_cmp_ne_u16_e32 vcc_lo, v1, v2
	s_xor_b32 s14, s5, vcc_lo
	s_delay_alu instid0(SALU_CYCLE_1) | instskip(SKIP_3) | instid1(SALU_CYCLE_1)
	v_cndmask_b32_e64 v1, 0, 1, s14
	global_store_b8 v4, v1, s[0:1]
	s_wait_xcnt 0x0
	s_or_b32 exec_lo, exec_lo, s18
	s_mov_b32 s18, exec_lo
	v_cmpx_gt_i32_e64 s33, v0
	s_cbranch_execz .LBB330_6
.LBB330_57:
	s_and_not1_b32 vcc_lo, exec_lo, s28
	s_cbranch_vccnz .LBB330_63
; %bb.58:
	s_and_not1_b32 vcc_lo, exec_lo, s34
	s_cbranch_vccnz .LBB330_64
; %bb.59:
	v_dual_mov_b32 v4, 0 :: v_dual_mov_b32 v1, v0
	v_dual_mov_b32 v6, 0 :: v_dual_mov_b32 v5, 0
	s_add_co_i32 s35, s31, 1
	s_mov_b64 s[14:15], 0xffffffffffffffe8
	s_and_b32 s35, s35, 30
	s_add_nc_u64 s[14:15], s[16:17], s[14:15]
.LBB330_60:                             ; =>This Inner Loop Header: Depth=1
	s_clause 0x1
	s_load_b128 s[36:39], s[14:15], 0x1c
	s_load_b64 s[44:45], s[14:15], 0x2c
	s_add_co_i32 s35, s35, -2
	s_delay_alu instid0(SALU_CYCLE_1) | instskip(SKIP_2) | instid1(VALU_DEP_1)
	s_cmp_eq_u32 s35, 0
	s_wait_kmcnt 0x0
	v_mul_hi_u32 v2, s37, v1
	v_add_nc_u32_e32 v2, v1, v2
	s_delay_alu instid0(VALU_DEP_1) | instskip(NEXT) | instid1(VALU_DEP_1)
	v_lshrrev_b32_e32 v2, s38, v2
	v_mul_hi_u32 v3, s44, v2
	v_mul_lo_u32 v7, v2, s36
	s_clause 0x1
	s_load_b128 s[40:43], s[14:15], 0xdc
	s_load_b64 s[36:37], s[14:15], 0xec
	s_wait_xcnt 0x0
	s_add_nc_u64 s[14:15], s[14:15], 24
	s_delay_alu instid0(VALU_DEP_2) | instskip(NEXT) | instid1(VALU_DEP_2)
	v_add_nc_u32_e32 v3, v2, v3
	v_sub_nc_u32_e32 v7, v1, v7
	s_delay_alu instid0(VALU_DEP_2) | instskip(SKIP_1) | instid1(VALU_DEP_2)
	v_lshrrev_b32_e32 v1, s45, v3
	s_wait_kmcnt 0x0
	v_mad_u32 v4, v7, s40, v4
	s_delay_alu instid0(VALU_DEP_2) | instskip(SKIP_2) | instid1(VALU_DEP_3)
	v_mul_lo_u32 v3, v1, s39
	v_mad_u32 v5, v7, s42, v5
	v_mad_u32 v6, v7, s41, v6
	v_sub_nc_u32_e32 v2, v2, v3
	s_delay_alu instid0(VALU_DEP_1) | instskip(NEXT) | instid1(VALU_DEP_4)
	v_mad_u32 v4, v2, s43, v4
	v_mad_u32 v5, v2, s37, v5
	s_delay_alu instid0(VALU_DEP_4)
	v_mad_u32 v6, v2, s36, v6
	s_cbranch_scc0 .LBB330_60
; %bb.61:
	s_bitcmp1_b32 s31, 0
	s_cselect_b32 s35, -1, 0
	s_delay_alu instid0(SALU_CYCLE_1)
	s_and_b32 vcc_lo, exec_lo, s35
	s_cbranch_vccnz .LBB330_65
; %bb.62:
	s_clause 0x1
	s_load_b96 s[36:38], s[14:15], 0x1c
	s_load_b96 s[40:42], s[14:15], 0xdc
	s_wait_kmcnt 0x0
	v_mul_hi_u32 v2, s37, v1
	s_delay_alu instid0(VALU_DEP_1) | instskip(NEXT) | instid1(VALU_DEP_1)
	v_add_nc_u32_e32 v2, v1, v2
	v_lshrrev_b32_e32 v2, s38, v2
	s_delay_alu instid0(VALU_DEP_1) | instskip(NEXT) | instid1(VALU_DEP_1)
	v_mul_lo_u32 v2, v2, s36
	v_sub_nc_u32_e32 v1, v1, v2
	s_delay_alu instid0(VALU_DEP_1)
	v_mad_u32 v4, v1, s40, v4
	v_mad_u32 v6, v1, s41, v6
	;; [unrolled: 1-line block ×3, first 2 shown]
	s_branch .LBB330_65
.LBB330_63:
                                        ; implicit-def: $vgpr5
                                        ; implicit-def: $vgpr6
                                        ; implicit-def: $vgpr4
	s_branch .LBB330_66
.LBB330_64:
	v_dual_mov_b32 v5, 0 :: v_dual_mov_b32 v6, 0
	v_mov_b32_e32 v4, 0
.LBB330_65:
	s_cbranch_execnz .LBB330_68
.LBB330_66:
	v_mov_b32_e32 v1, 0
	s_and_not1_b32 vcc_lo, exec_lo, s30
	s_delay_alu instid0(VALU_DEP_1) | instskip(NEXT) | instid1(VALU_DEP_1)
	v_mul_u64_e32 v[2:3], s[20:21], v[0:1]
	v_add_nc_u32_e32 v2, v0, v3
	s_delay_alu instid0(VALU_DEP_1) | instskip(NEXT) | instid1(VALU_DEP_1)
	v_lshrrev_b32_e32 v2, s6, v2
	v_mul_lo_u32 v3, v2, s4
	s_delay_alu instid0(VALU_DEP_1) | instskip(NEXT) | instid1(VALU_DEP_1)
	v_sub_nc_u32_e32 v3, v0, v3
	v_mul_lo_u32 v4, v3, s8
	v_mul_lo_u32 v5, v3, s10
	;; [unrolled: 1-line block ×3, first 2 shown]
	s_cbranch_vccnz .LBB330_68
; %bb.67:
	v_mov_b32_e32 v3, v1
	s_delay_alu instid0(VALU_DEP_1) | instskip(NEXT) | instid1(VALU_DEP_1)
	v_mul_u64_e32 v[8:9], s[24:25], v[2:3]
	v_add_nc_u32_e32 v1, v2, v9
	s_delay_alu instid0(VALU_DEP_1) | instskip(NEXT) | instid1(VALU_DEP_1)
	v_lshrrev_b32_e32 v1, s19, v1
	v_mul_lo_u32 v1, v1, s7
	s_delay_alu instid0(VALU_DEP_1) | instskip(NEXT) | instid1(VALU_DEP_1)
	v_sub_nc_u32_e32 v1, v2, v1
	v_mad_u32 v4, v1, s11, v4
	v_mad_u32 v6, v1, s22, v6
	;; [unrolled: 1-line block ×3, first 2 shown]
.LBB330_68:
	global_load_u16 v1, v6, s[2:3]
	global_load_u16 v2, v5, s[12:13]
	v_add_nc_u32_e32 v0, 0x80, v0
	s_wait_loadcnt 0x0
	v_cmp_ne_u16_e32 vcc_lo, v1, v2
	s_xor_b32 s14, s5, vcc_lo
	s_delay_alu instid0(SALU_CYCLE_1) | instskip(SKIP_3) | instid1(SALU_CYCLE_1)
	v_cndmask_b32_e64 v1, 0, 1, s14
	global_store_b8 v4, v1, s[0:1]
	s_wait_xcnt 0x0
	s_or_b32 exec_lo, exec_lo, s18
	s_mov_b32 s18, exec_lo
	v_cmpx_gt_i32_e64 s33, v0
	s_cbranch_execz .LBB330_7
.LBB330_69:
	s_and_not1_b32 vcc_lo, exec_lo, s28
	s_cbranch_vccnz .LBB330_75
; %bb.70:
	s_and_not1_b32 vcc_lo, exec_lo, s34
	s_cbranch_vccnz .LBB330_76
; %bb.71:
	v_dual_mov_b32 v4, 0 :: v_dual_mov_b32 v1, v0
	v_dual_mov_b32 v6, 0 :: v_dual_mov_b32 v5, 0
	s_add_co_i32 s35, s31, 1
	s_mov_b64 s[14:15], 0xffffffffffffffe8
	s_and_b32 s35, s35, 30
	s_add_nc_u64 s[14:15], s[16:17], s[14:15]
.LBB330_72:                             ; =>This Inner Loop Header: Depth=1
	s_clause 0x1
	s_load_b128 s[36:39], s[14:15], 0x1c
	s_load_b64 s[44:45], s[14:15], 0x2c
	s_add_co_i32 s35, s35, -2
	s_delay_alu instid0(SALU_CYCLE_1) | instskip(SKIP_2) | instid1(VALU_DEP_1)
	s_cmp_eq_u32 s35, 0
	s_wait_kmcnt 0x0
	v_mul_hi_u32 v2, s37, v1
	v_add_nc_u32_e32 v2, v1, v2
	s_delay_alu instid0(VALU_DEP_1) | instskip(NEXT) | instid1(VALU_DEP_1)
	v_lshrrev_b32_e32 v2, s38, v2
	v_mul_hi_u32 v3, s44, v2
	v_mul_lo_u32 v7, v2, s36
	s_clause 0x1
	s_load_b128 s[40:43], s[14:15], 0xdc
	s_load_b64 s[36:37], s[14:15], 0xec
	s_wait_xcnt 0x0
	s_add_nc_u64 s[14:15], s[14:15], 24
	s_delay_alu instid0(VALU_DEP_2) | instskip(NEXT) | instid1(VALU_DEP_2)
	v_add_nc_u32_e32 v3, v2, v3
	v_sub_nc_u32_e32 v7, v1, v7
	s_delay_alu instid0(VALU_DEP_2) | instskip(SKIP_1) | instid1(VALU_DEP_2)
	v_lshrrev_b32_e32 v1, s45, v3
	s_wait_kmcnt 0x0
	v_mad_u32 v4, v7, s40, v4
	s_delay_alu instid0(VALU_DEP_2) | instskip(SKIP_2) | instid1(VALU_DEP_3)
	v_mul_lo_u32 v3, v1, s39
	v_mad_u32 v5, v7, s42, v5
	v_mad_u32 v6, v7, s41, v6
	v_sub_nc_u32_e32 v2, v2, v3
	s_delay_alu instid0(VALU_DEP_1) | instskip(NEXT) | instid1(VALU_DEP_4)
	v_mad_u32 v4, v2, s43, v4
	v_mad_u32 v5, v2, s37, v5
	s_delay_alu instid0(VALU_DEP_4)
	v_mad_u32 v6, v2, s36, v6
	s_cbranch_scc0 .LBB330_72
; %bb.73:
	s_bitcmp1_b32 s31, 0
	s_cselect_b32 s35, -1, 0
	s_delay_alu instid0(SALU_CYCLE_1)
	s_and_b32 vcc_lo, exec_lo, s35
	s_cbranch_vccnz .LBB330_77
; %bb.74:
	s_clause 0x1
	s_load_b96 s[36:38], s[14:15], 0x1c
	s_load_b96 s[40:42], s[14:15], 0xdc
	s_wait_kmcnt 0x0
	v_mul_hi_u32 v2, s37, v1
	s_delay_alu instid0(VALU_DEP_1) | instskip(NEXT) | instid1(VALU_DEP_1)
	v_add_nc_u32_e32 v2, v1, v2
	v_lshrrev_b32_e32 v2, s38, v2
	s_delay_alu instid0(VALU_DEP_1) | instskip(NEXT) | instid1(VALU_DEP_1)
	v_mul_lo_u32 v2, v2, s36
	v_sub_nc_u32_e32 v1, v1, v2
	s_delay_alu instid0(VALU_DEP_1)
	v_mad_u32 v4, v1, s40, v4
	v_mad_u32 v6, v1, s41, v6
	;; [unrolled: 1-line block ×3, first 2 shown]
	s_branch .LBB330_77
.LBB330_75:
                                        ; implicit-def: $vgpr5
                                        ; implicit-def: $vgpr6
                                        ; implicit-def: $vgpr4
	s_branch .LBB330_78
.LBB330_76:
	v_dual_mov_b32 v5, 0 :: v_dual_mov_b32 v6, 0
	v_mov_b32_e32 v4, 0
.LBB330_77:
	s_cbranch_execnz .LBB330_80
.LBB330_78:
	v_mov_b32_e32 v1, 0
	s_and_not1_b32 vcc_lo, exec_lo, s30
	s_delay_alu instid0(VALU_DEP_1) | instskip(NEXT) | instid1(VALU_DEP_1)
	v_mul_u64_e32 v[2:3], s[20:21], v[0:1]
	v_add_nc_u32_e32 v2, v0, v3
	s_delay_alu instid0(VALU_DEP_1) | instskip(NEXT) | instid1(VALU_DEP_1)
	v_lshrrev_b32_e32 v2, s6, v2
	v_mul_lo_u32 v3, v2, s4
	s_delay_alu instid0(VALU_DEP_1) | instskip(NEXT) | instid1(VALU_DEP_1)
	v_sub_nc_u32_e32 v3, v0, v3
	v_mul_lo_u32 v4, v3, s8
	v_mul_lo_u32 v5, v3, s10
	;; [unrolled: 1-line block ×3, first 2 shown]
	s_cbranch_vccnz .LBB330_80
; %bb.79:
	v_mov_b32_e32 v3, v1
	s_delay_alu instid0(VALU_DEP_1) | instskip(NEXT) | instid1(VALU_DEP_1)
	v_mul_u64_e32 v[8:9], s[24:25], v[2:3]
	v_add_nc_u32_e32 v1, v2, v9
	s_delay_alu instid0(VALU_DEP_1) | instskip(NEXT) | instid1(VALU_DEP_1)
	v_lshrrev_b32_e32 v1, s19, v1
	v_mul_lo_u32 v1, v1, s7
	s_delay_alu instid0(VALU_DEP_1) | instskip(NEXT) | instid1(VALU_DEP_1)
	v_sub_nc_u32_e32 v1, v2, v1
	v_mad_u32 v4, v1, s11, v4
	v_mad_u32 v6, v1, s22, v6
	;; [unrolled: 1-line block ×3, first 2 shown]
.LBB330_80:
	global_load_u16 v1, v6, s[2:3]
	global_load_u16 v2, v5, s[12:13]
	v_add_nc_u32_e32 v0, 0x80, v0
	s_wait_loadcnt 0x0
	v_cmp_ne_u16_e32 vcc_lo, v1, v2
	s_xor_b32 s14, s5, vcc_lo
	s_delay_alu instid0(SALU_CYCLE_1) | instskip(SKIP_3) | instid1(SALU_CYCLE_1)
	v_cndmask_b32_e64 v1, 0, 1, s14
	global_store_b8 v4, v1, s[0:1]
	s_wait_xcnt 0x0
	s_or_b32 exec_lo, exec_lo, s18
	s_mov_b32 s18, exec_lo
	v_cmpx_gt_i32_e64 s33, v0
	s_cbranch_execz .LBB330_8
.LBB330_81:
	s_and_not1_b32 vcc_lo, exec_lo, s28
	s_cbranch_vccnz .LBB330_87
; %bb.82:
	s_and_not1_b32 vcc_lo, exec_lo, s34
	s_cbranch_vccnz .LBB330_88
; %bb.83:
	v_dual_mov_b32 v4, 0 :: v_dual_mov_b32 v1, v0
	v_dual_mov_b32 v6, 0 :: v_dual_mov_b32 v5, 0
	s_add_co_i32 s35, s31, 1
	s_mov_b64 s[14:15], 0xffffffffffffffe8
	s_and_b32 s35, s35, 30
	s_add_nc_u64 s[14:15], s[16:17], s[14:15]
.LBB330_84:                             ; =>This Inner Loop Header: Depth=1
	s_clause 0x1
	s_load_b128 s[36:39], s[14:15], 0x1c
	s_load_b64 s[44:45], s[14:15], 0x2c
	s_add_co_i32 s35, s35, -2
	s_delay_alu instid0(SALU_CYCLE_1) | instskip(SKIP_2) | instid1(VALU_DEP_1)
	s_cmp_eq_u32 s35, 0
	s_wait_kmcnt 0x0
	v_mul_hi_u32 v2, s37, v1
	v_add_nc_u32_e32 v2, v1, v2
	s_delay_alu instid0(VALU_DEP_1) | instskip(NEXT) | instid1(VALU_DEP_1)
	v_lshrrev_b32_e32 v2, s38, v2
	v_mul_hi_u32 v3, s44, v2
	v_mul_lo_u32 v7, v2, s36
	s_clause 0x1
	s_load_b128 s[40:43], s[14:15], 0xdc
	s_load_b64 s[36:37], s[14:15], 0xec
	s_wait_xcnt 0x0
	s_add_nc_u64 s[14:15], s[14:15], 24
	s_delay_alu instid0(VALU_DEP_2) | instskip(NEXT) | instid1(VALU_DEP_2)
	v_add_nc_u32_e32 v3, v2, v3
	v_sub_nc_u32_e32 v7, v1, v7
	s_delay_alu instid0(VALU_DEP_2) | instskip(SKIP_1) | instid1(VALU_DEP_2)
	v_lshrrev_b32_e32 v1, s45, v3
	s_wait_kmcnt 0x0
	v_mad_u32 v4, v7, s40, v4
	s_delay_alu instid0(VALU_DEP_2) | instskip(SKIP_2) | instid1(VALU_DEP_3)
	v_mul_lo_u32 v3, v1, s39
	v_mad_u32 v5, v7, s42, v5
	v_mad_u32 v6, v7, s41, v6
	v_sub_nc_u32_e32 v2, v2, v3
	s_delay_alu instid0(VALU_DEP_1) | instskip(NEXT) | instid1(VALU_DEP_4)
	v_mad_u32 v4, v2, s43, v4
	v_mad_u32 v5, v2, s37, v5
	s_delay_alu instid0(VALU_DEP_4)
	v_mad_u32 v6, v2, s36, v6
	s_cbranch_scc0 .LBB330_84
; %bb.85:
	s_bitcmp1_b32 s31, 0
	s_cselect_b32 s35, -1, 0
	s_delay_alu instid0(SALU_CYCLE_1)
	s_and_b32 vcc_lo, exec_lo, s35
	s_cbranch_vccnz .LBB330_89
; %bb.86:
	s_clause 0x1
	s_load_b96 s[36:38], s[14:15], 0x1c
	s_load_b96 s[40:42], s[14:15], 0xdc
	s_wait_kmcnt 0x0
	v_mul_hi_u32 v2, s37, v1
	s_delay_alu instid0(VALU_DEP_1) | instskip(NEXT) | instid1(VALU_DEP_1)
	v_add_nc_u32_e32 v2, v1, v2
	v_lshrrev_b32_e32 v2, s38, v2
	s_delay_alu instid0(VALU_DEP_1) | instskip(NEXT) | instid1(VALU_DEP_1)
	v_mul_lo_u32 v2, v2, s36
	v_sub_nc_u32_e32 v1, v1, v2
	s_delay_alu instid0(VALU_DEP_1)
	v_mad_u32 v4, v1, s40, v4
	v_mad_u32 v6, v1, s41, v6
	;; [unrolled: 1-line block ×3, first 2 shown]
	s_branch .LBB330_89
.LBB330_87:
                                        ; implicit-def: $vgpr5
                                        ; implicit-def: $vgpr6
                                        ; implicit-def: $vgpr4
	s_branch .LBB330_90
.LBB330_88:
	v_dual_mov_b32 v5, 0 :: v_dual_mov_b32 v6, 0
	v_mov_b32_e32 v4, 0
.LBB330_89:
	s_cbranch_execnz .LBB330_92
.LBB330_90:
	v_mov_b32_e32 v1, 0
	s_and_not1_b32 vcc_lo, exec_lo, s30
	s_delay_alu instid0(VALU_DEP_1) | instskip(NEXT) | instid1(VALU_DEP_1)
	v_mul_u64_e32 v[2:3], s[20:21], v[0:1]
	v_add_nc_u32_e32 v2, v0, v3
	s_delay_alu instid0(VALU_DEP_1) | instskip(NEXT) | instid1(VALU_DEP_1)
	v_lshrrev_b32_e32 v2, s6, v2
	v_mul_lo_u32 v3, v2, s4
	s_delay_alu instid0(VALU_DEP_1) | instskip(NEXT) | instid1(VALU_DEP_1)
	v_sub_nc_u32_e32 v3, v0, v3
	v_mul_lo_u32 v4, v3, s8
	v_mul_lo_u32 v5, v3, s10
	;; [unrolled: 1-line block ×3, first 2 shown]
	s_cbranch_vccnz .LBB330_92
; %bb.91:
	v_mov_b32_e32 v3, v1
	s_delay_alu instid0(VALU_DEP_1) | instskip(NEXT) | instid1(VALU_DEP_1)
	v_mul_u64_e32 v[8:9], s[24:25], v[2:3]
	v_add_nc_u32_e32 v1, v2, v9
	s_delay_alu instid0(VALU_DEP_1) | instskip(NEXT) | instid1(VALU_DEP_1)
	v_lshrrev_b32_e32 v1, s19, v1
	v_mul_lo_u32 v1, v1, s7
	s_delay_alu instid0(VALU_DEP_1) | instskip(NEXT) | instid1(VALU_DEP_1)
	v_sub_nc_u32_e32 v1, v2, v1
	v_mad_u32 v4, v1, s11, v4
	v_mad_u32 v6, v1, s22, v6
	;; [unrolled: 1-line block ×3, first 2 shown]
.LBB330_92:
	global_load_u16 v1, v6, s[2:3]
	global_load_u16 v2, v5, s[12:13]
	v_add_nc_u32_e32 v0, 0x80, v0
	s_wait_loadcnt 0x0
	v_cmp_ne_u16_e32 vcc_lo, v1, v2
	s_xor_b32 s14, s5, vcc_lo
	s_delay_alu instid0(SALU_CYCLE_1) | instskip(SKIP_3) | instid1(SALU_CYCLE_1)
	v_cndmask_b32_e64 v1, 0, 1, s14
	global_store_b8 v4, v1, s[0:1]
	s_wait_xcnt 0x0
	s_or_b32 exec_lo, exec_lo, s18
	s_mov_b32 s18, exec_lo
	v_cmpx_gt_i32_e64 s33, v0
	s_cbranch_execz .LBB330_105
.LBB330_93:
	s_and_not1_b32 vcc_lo, exec_lo, s28
	s_cbranch_vccnz .LBB330_99
; %bb.94:
	s_and_not1_b32 vcc_lo, exec_lo, s34
	s_cbranch_vccnz .LBB330_100
; %bb.95:
	v_dual_mov_b32 v4, 0 :: v_dual_mov_b32 v1, v0
	v_dual_mov_b32 v6, 0 :: v_dual_mov_b32 v5, 0
	s_add_co_i32 s33, s31, 1
	s_mov_b64 s[14:15], 0xffffffffffffffe8
	s_and_b32 s33, s33, 30
	s_add_nc_u64 s[14:15], s[16:17], s[14:15]
.LBB330_96:                             ; =>This Inner Loop Header: Depth=1
	s_clause 0x1
	s_load_b128 s[36:39], s[14:15], 0x1c
	s_load_b64 s[34:35], s[14:15], 0x2c
	s_add_co_i32 s33, s33, -2
	s_delay_alu instid0(SALU_CYCLE_1) | instskip(SKIP_2) | instid1(VALU_DEP_1)
	s_cmp_eq_u32 s33, 0
	s_wait_kmcnt 0x0
	v_mul_hi_u32 v2, s37, v1
	v_add_nc_u32_e32 v2, v1, v2
	s_delay_alu instid0(VALU_DEP_1) | instskip(NEXT) | instid1(VALU_DEP_1)
	v_lshrrev_b32_e32 v2, s38, v2
	v_mul_hi_u32 v3, s34, v2
	v_mul_lo_u32 v7, v2, s36
	s_clause 0x1
	s_load_b128 s[40:43], s[14:15], 0xdc
	s_load_b64 s[36:37], s[14:15], 0xec
	s_wait_xcnt 0x0
	s_add_nc_u64 s[14:15], s[14:15], 24
	s_delay_alu instid0(VALU_DEP_2) | instskip(NEXT) | instid1(VALU_DEP_2)
	v_add_nc_u32_e32 v3, v2, v3
	v_sub_nc_u32_e32 v7, v1, v7
	s_delay_alu instid0(VALU_DEP_2) | instskip(SKIP_1) | instid1(VALU_DEP_2)
	v_lshrrev_b32_e32 v1, s35, v3
	s_wait_kmcnt 0x0
	v_mad_u32 v4, v7, s40, v4
	s_delay_alu instid0(VALU_DEP_2) | instskip(SKIP_2) | instid1(VALU_DEP_3)
	v_mul_lo_u32 v3, v1, s39
	v_mad_u32 v5, v7, s42, v5
	v_mad_u32 v6, v7, s41, v6
	v_sub_nc_u32_e32 v2, v2, v3
	s_delay_alu instid0(VALU_DEP_1) | instskip(NEXT) | instid1(VALU_DEP_4)
	v_mad_u32 v4, v2, s43, v4
	v_mad_u32 v5, v2, s37, v5
	s_delay_alu instid0(VALU_DEP_4)
	v_mad_u32 v6, v2, s36, v6
	s_cbranch_scc0 .LBB330_96
; %bb.97:
	s_bitcmp1_b32 s31, 0
	s_cselect_b32 s31, -1, 0
	s_delay_alu instid0(SALU_CYCLE_1)
	s_and_b32 vcc_lo, exec_lo, s31
	s_cbranch_vccnz .LBB330_101
; %bb.98:
	s_clause 0x1
	s_load_b96 s[36:38], s[14:15], 0x1c
	s_load_b96 s[40:42], s[14:15], 0xdc
	s_wait_kmcnt 0x0
	v_mul_hi_u32 v2, s37, v1
	s_delay_alu instid0(VALU_DEP_1) | instskip(NEXT) | instid1(VALU_DEP_1)
	v_add_nc_u32_e32 v2, v1, v2
	v_lshrrev_b32_e32 v2, s38, v2
	s_delay_alu instid0(VALU_DEP_1) | instskip(NEXT) | instid1(VALU_DEP_1)
	v_mul_lo_u32 v2, v2, s36
	v_sub_nc_u32_e32 v1, v1, v2
	s_delay_alu instid0(VALU_DEP_1)
	v_mad_u32 v4, v1, s40, v4
	v_mad_u32 v6, v1, s41, v6
	;; [unrolled: 1-line block ×3, first 2 shown]
	s_branch .LBB330_101
.LBB330_99:
                                        ; implicit-def: $vgpr5
                                        ; implicit-def: $vgpr6
                                        ; implicit-def: $vgpr4
	s_branch .LBB330_102
.LBB330_100:
	v_dual_mov_b32 v5, 0 :: v_dual_mov_b32 v6, 0
	v_mov_b32_e32 v4, 0
.LBB330_101:
	s_cbranch_execnz .LBB330_104
.LBB330_102:
	v_mov_b32_e32 v1, 0
	s_and_not1_b32 vcc_lo, exec_lo, s30
	s_delay_alu instid0(VALU_DEP_1) | instskip(NEXT) | instid1(VALU_DEP_1)
	v_mul_u64_e32 v[2:3], s[20:21], v[0:1]
	v_add_nc_u32_e32 v2, v0, v3
	s_delay_alu instid0(VALU_DEP_1) | instskip(NEXT) | instid1(VALU_DEP_1)
	v_lshrrev_b32_e32 v2, s6, v2
	v_mul_lo_u32 v3, v2, s4
	s_delay_alu instid0(VALU_DEP_1) | instskip(NEXT) | instid1(VALU_DEP_1)
	v_sub_nc_u32_e32 v0, v0, v3
	v_mul_lo_u32 v4, v0, s8
	v_mul_lo_u32 v5, v0, s10
	;; [unrolled: 1-line block ×3, first 2 shown]
	s_cbranch_vccnz .LBB330_104
; %bb.103:
	v_mov_b32_e32 v3, v1
	s_delay_alu instid0(VALU_DEP_1) | instskip(NEXT) | instid1(VALU_DEP_1)
	v_mul_u64_e32 v[0:1], s[24:25], v[2:3]
	v_add_nc_u32_e32 v0, v2, v1
	s_delay_alu instid0(VALU_DEP_1) | instskip(NEXT) | instid1(VALU_DEP_1)
	v_lshrrev_b32_e32 v0, s19, v0
	v_mul_lo_u32 v0, v0, s7
	s_delay_alu instid0(VALU_DEP_1) | instskip(NEXT) | instid1(VALU_DEP_1)
	v_sub_nc_u32_e32 v0, v2, v0
	v_mad_u32 v4, v0, s11, v4
	v_mad_u32 v6, v0, s22, v6
	;; [unrolled: 1-line block ×3, first 2 shown]
.LBB330_104:
	global_load_u16 v0, v6, s[2:3]
	global_load_u16 v1, v5, s[12:13]
	s_wait_loadcnt 0x0
	v_cmp_ne_u16_e32 vcc_lo, v0, v1
	s_wait_xcnt 0x1
	s_xor_b32 s2, s5, vcc_lo
	s_delay_alu instid0(SALU_CYCLE_1)
	v_cndmask_b32_e64 v0, 0, 1, s2
	global_store_b8 v4, v0, s[0:1]
.LBB330_105:
	s_wait_xcnt 0x0
	s_or_b32 exec_lo, exec_lo, s18
                                        ; implicit-def: $vgpr4
                                        ; implicit-def: $vgpr0
.LBB330_106:
	s_and_not1_saveexec_b32 s0, s29
	s_cbranch_execz .LBB330_113
; %bb.107:
	v_cndmask_b32_e64 v8, 0, 1, s28
	s_and_not1_b32 vcc_lo, exec_lo, s28
	s_cbranch_vccnz .LBB330_114
; %bb.108:
	s_cmp_lg_u32 s26, 0
	s_mov_b32 s2, 0
	s_cbranch_scc0 .LBB330_118
; %bb.109:
	s_min_u32 s3, s27, 15
	v_dual_mov_b32 v1, 0 :: v_dual_mov_b32 v5, v0
	v_dual_mov_b32 v3, 0 :: v_dual_mov_b32 v2, 0
	s_add_co_i32 s4, s3, 1
	s_mov_b64 s[0:1], 0xffffffffffffffe8
	s_and_b32 s4, s4, 30
	s_add_nc_u64 s[0:1], s[16:17], s[0:1]
.LBB330_110:                            ; =>This Inner Loop Header: Depth=1
	s_clause 0x1
	s_load_b128 s[8:11], s[0:1], 0x1c
	s_load_b64 s[6:7], s[0:1], 0x2c
	s_add_co_i32 s4, s4, -2
	s_delay_alu instid0(SALU_CYCLE_1) | instskip(SKIP_2) | instid1(VALU_DEP_1)
	s_cmp_lg_u32 s4, 0
	s_wait_kmcnt 0x0
	v_mul_hi_u32 v6, s9, v5
	v_add_nc_u32_e32 v6, v5, v6
	s_delay_alu instid0(VALU_DEP_1) | instskip(NEXT) | instid1(VALU_DEP_1)
	v_lshrrev_b32_e32 v6, s10, v6
	v_mul_hi_u32 v7, s6, v6
	v_mul_lo_u32 v9, v6, s8
	s_clause 0x1
	s_load_b128 s[12:15], s[0:1], 0xdc
	s_load_b64 s[8:9], s[0:1], 0xec
	s_wait_xcnt 0x0
	s_add_nc_u64 s[0:1], s[0:1], 24
	s_delay_alu instid0(VALU_DEP_1) | instskip(NEXT) | instid1(VALU_DEP_1)
	v_dual_add_nc_u32 v7, v6, v7 :: v_dual_sub_nc_u32 v9, v5, v9
	v_lshrrev_b32_e32 v5, s7, v7
	s_wait_kmcnt 0x0
	s_delay_alu instid0(VALU_DEP_2) | instskip(NEXT) | instid1(VALU_DEP_2)
	v_mad_u32 v1, v9, s12, v1
	v_mul_lo_u32 v7, v5, s11
	v_mad_u32 v2, v9, s14, v2
	v_mad_u32 v3, v9, s13, v3
	s_delay_alu instid0(VALU_DEP_3) | instskip(NEXT) | instid1(VALU_DEP_1)
	v_sub_nc_u32_e32 v6, v6, v7
	v_mad_u32 v1, v6, s15, v1
	s_delay_alu instid0(VALU_DEP_4) | instskip(NEXT) | instid1(VALU_DEP_4)
	v_mad_u32 v2, v6, s9, v2
	v_mad_u32 v3, v6, s8, v3
	s_cbranch_scc1 .LBB330_110
; %bb.111:
	s_bitcmp1_b32 s3, 0
	s_cselect_b32 s3, -1, 0
	s_delay_alu instid0(SALU_CYCLE_1)
	s_and_b32 vcc_lo, exec_lo, s3
	s_cbranch_vccnz .LBB330_115
; %bb.112:
	s_clause 0x1
	s_load_b96 s[4:6], s[0:1], 0x1c
	s_load_b96 s[8:10], s[0:1], 0xdc
	s_wait_kmcnt 0x0
	v_mul_hi_u32 v6, s5, v5
	s_delay_alu instid0(VALU_DEP_1) | instskip(NEXT) | instid1(VALU_DEP_1)
	v_add_nc_u32_e32 v6, v5, v6
	v_lshrrev_b32_e32 v6, s6, v6
	s_delay_alu instid0(VALU_DEP_1) | instskip(NEXT) | instid1(VALU_DEP_1)
	v_mul_lo_u32 v6, v6, s4
	v_sub_nc_u32_e32 v5, v5, v6
	s_delay_alu instid0(VALU_DEP_1)
	v_mad_u32 v1, v5, s8, v1
	v_mad_u32 v3, v5, s9, v3
	v_mad_u32 v2, v5, s10, v2
	s_and_not1_b32 vcc_lo, exec_lo, s2
	s_cbranch_vccz .LBB330_116
	s_branch .LBB330_119
.LBB330_113:
	s_endpgm
.LBB330_114:
	s_mov_b32 s2, -1
                                        ; implicit-def: $vgpr2
                                        ; implicit-def: $vgpr3
                                        ; implicit-def: $vgpr1
.LBB330_115:
	s_delay_alu instid0(SALU_CYCLE_1)
	s_and_not1_b32 vcc_lo, exec_lo, s2
	s_cbranch_vccnz .LBB330_119
.LBB330_116:
	s_clause 0x1
	s_load_b96 s[0:2], s[16:17], 0x4
	s_load_b96 s[4:6], s[16:17], 0xc4
	s_cmp_lt_u32 s26, 2
	s_wait_kmcnt 0x0
	v_mul_hi_u32 v1, s1, v0
	s_delay_alu instid0(VALU_DEP_1) | instskip(NEXT) | instid1(VALU_DEP_1)
	v_add_nc_u32_e32 v1, v0, v1
	v_lshrrev_b32_e32 v5, s2, v1
	s_delay_alu instid0(VALU_DEP_1) | instskip(NEXT) | instid1(VALU_DEP_1)
	v_mul_lo_u32 v1, v5, s0
	v_sub_nc_u32_e32 v3, v0, v1
	s_delay_alu instid0(VALU_DEP_1)
	v_mul_lo_u32 v1, v3, s4
	v_mul_lo_u32 v2, v3, s6
	;; [unrolled: 1-line block ×3, first 2 shown]
	s_cbranch_scc1 .LBB330_119
; %bb.117:
	s_clause 0x1
	s_load_b96 s[0:2], s[16:17], 0x10
	s_load_b96 s[4:6], s[16:17], 0xd0
	s_wait_kmcnt 0x0
	v_mul_hi_u32 v6, s1, v5
	s_delay_alu instid0(VALU_DEP_1) | instskip(NEXT) | instid1(VALU_DEP_1)
	v_add_nc_u32_e32 v6, v5, v6
	v_lshrrev_b32_e32 v6, s2, v6
	s_delay_alu instid0(VALU_DEP_1) | instskip(NEXT) | instid1(VALU_DEP_1)
	v_mul_lo_u32 v6, v6, s0
	v_sub_nc_u32_e32 v5, v5, v6
	s_delay_alu instid0(VALU_DEP_1)
	v_mad_u32 v1, v5, s4, v1
	v_mad_u32 v3, v5, s5, v3
	;; [unrolled: 1-line block ×3, first 2 shown]
	s_branch .LBB330_119
.LBB330_118:
	v_dual_mov_b32 v2, 0 :: v_dual_mov_b32 v3, 0
	v_mov_b32_e32 v1, 0
	s_and_not1_b32 vcc_lo, exec_lo, s2
	s_cbranch_vccz .LBB330_116
.LBB330_119:
	v_cmp_ne_u32_e32 vcc_lo, 1, v8
	v_add_nc_u32_e32 v9, 0x80, v0
	s_cbranch_vccnz .LBB330_125
; %bb.120:
	s_cmp_lg_u32 s26, 0
	s_mov_b32 s2, 0
	s_cbranch_scc0 .LBB330_129
; %bb.121:
	s_min_u32 s3, s27, 15
	v_dual_mov_b32 v5, 0 :: v_dual_mov_b32 v10, v9
	v_dual_mov_b32 v6, 0 :: v_dual_mov_b32 v7, 0
	s_add_co_i32 s4, s3, 1
	s_mov_b64 s[0:1], 0xffffffffffffffe8
	s_and_b32 s4, s4, 30
	s_add_nc_u64 s[0:1], s[16:17], s[0:1]
.LBB330_122:                            ; =>This Inner Loop Header: Depth=1
	s_clause 0x1
	s_load_b128 s[8:11], s[0:1], 0x1c
	s_load_b64 s[6:7], s[0:1], 0x2c
	s_add_co_i32 s4, s4, -2
	s_delay_alu instid0(SALU_CYCLE_1) | instskip(SKIP_2) | instid1(VALU_DEP_1)
	s_cmp_lg_u32 s4, 0
	s_wait_kmcnt 0x0
	v_mul_hi_u32 v11, s9, v10
	v_add_nc_u32_e32 v11, v10, v11
	s_delay_alu instid0(VALU_DEP_1) | instskip(NEXT) | instid1(VALU_DEP_1)
	v_lshrrev_b32_e32 v11, s10, v11
	v_mul_hi_u32 v12, s6, v11
	v_mul_lo_u32 v13, v11, s8
	s_clause 0x1
	s_load_b128 s[12:15], s[0:1], 0xdc
	s_load_b64 s[8:9], s[0:1], 0xec
	s_wait_xcnt 0x0
	s_add_nc_u64 s[0:1], s[0:1], 24
	s_delay_alu instid0(VALU_DEP_1) | instskip(NEXT) | instid1(VALU_DEP_1)
	v_dual_add_nc_u32 v12, v11, v12 :: v_dual_sub_nc_u32 v13, v10, v13
	v_lshrrev_b32_e32 v10, s7, v12
	s_wait_kmcnt 0x0
	s_delay_alu instid0(VALU_DEP_2) | instskip(NEXT) | instid1(VALU_DEP_2)
	v_mad_u32 v5, v13, s12, v5
	v_mul_lo_u32 v12, v10, s11
	v_mad_u32 v7, v13, s14, v7
	v_mad_u32 v6, v13, s13, v6
	s_delay_alu instid0(VALU_DEP_3) | instskip(NEXT) | instid1(VALU_DEP_1)
	v_sub_nc_u32_e32 v11, v11, v12
	v_mad_u32 v5, v11, s15, v5
	s_delay_alu instid0(VALU_DEP_4) | instskip(NEXT) | instid1(VALU_DEP_4)
	v_mad_u32 v7, v11, s9, v7
	v_mad_u32 v6, v11, s8, v6
	s_cbranch_scc1 .LBB330_122
; %bb.123:
	s_bitcmp1_b32 s3, 0
	s_cselect_b32 s3, -1, 0
	s_delay_alu instid0(SALU_CYCLE_1)
	s_and_b32 vcc_lo, exec_lo, s3
	s_cbranch_vccnz .LBB330_126
; %bb.124:
	s_clause 0x1
	s_load_b96 s[4:6], s[0:1], 0x1c
	s_load_b96 s[8:10], s[0:1], 0xdc
	s_wait_kmcnt 0x0
	v_mul_hi_u32 v11, s5, v10
	s_delay_alu instid0(VALU_DEP_1) | instskip(NEXT) | instid1(VALU_DEP_1)
	v_add_nc_u32_e32 v11, v10, v11
	v_lshrrev_b32_e32 v11, s6, v11
	s_delay_alu instid0(VALU_DEP_1) | instskip(NEXT) | instid1(VALU_DEP_1)
	v_mul_lo_u32 v11, v11, s4
	v_sub_nc_u32_e32 v10, v10, v11
	s_delay_alu instid0(VALU_DEP_1)
	v_mad_u32 v5, v10, s8, v5
	v_mad_u32 v6, v10, s9, v6
	;; [unrolled: 1-line block ×3, first 2 shown]
	s_and_not1_b32 vcc_lo, exec_lo, s2
	s_cbranch_vccz .LBB330_127
	s_branch .LBB330_130
.LBB330_125:
	s_mov_b32 s2, -1
                                        ; implicit-def: $vgpr7
                                        ; implicit-def: $vgpr6
                                        ; implicit-def: $vgpr5
.LBB330_126:
	s_delay_alu instid0(SALU_CYCLE_1)
	s_and_not1_b32 vcc_lo, exec_lo, s2
	s_cbranch_vccnz .LBB330_130
.LBB330_127:
	s_clause 0x1
	s_load_b96 s[0:2], s[16:17], 0x4
	s_load_b96 s[4:6], s[16:17], 0xc4
	s_cmp_lt_u32 s26, 2
	s_wait_kmcnt 0x0
	v_mul_hi_u32 v5, s1, v9
	s_delay_alu instid0(VALU_DEP_1) | instskip(NEXT) | instid1(VALU_DEP_1)
	v_add_nc_u32_e32 v5, v9, v5
	v_lshrrev_b32_e32 v10, s2, v5
	s_delay_alu instid0(VALU_DEP_1) | instskip(NEXT) | instid1(VALU_DEP_1)
	v_mul_lo_u32 v5, v10, s0
	v_sub_nc_u32_e32 v6, v9, v5
	s_delay_alu instid0(VALU_DEP_1)
	v_mul_lo_u32 v5, v6, s4
	v_mul_lo_u32 v7, v6, s6
	;; [unrolled: 1-line block ×3, first 2 shown]
	s_cbranch_scc1 .LBB330_130
; %bb.128:
	s_clause 0x1
	s_load_b96 s[0:2], s[16:17], 0x10
	s_load_b96 s[4:6], s[16:17], 0xd0
	s_wait_kmcnt 0x0
	v_mul_hi_u32 v9, s1, v10
	s_delay_alu instid0(VALU_DEP_1) | instskip(NEXT) | instid1(VALU_DEP_1)
	v_add_nc_u32_e32 v9, v10, v9
	v_lshrrev_b32_e32 v9, s2, v9
	s_delay_alu instid0(VALU_DEP_1) | instskip(NEXT) | instid1(VALU_DEP_1)
	v_mul_lo_u32 v9, v9, s0
	v_sub_nc_u32_e32 v9, v10, v9
	s_delay_alu instid0(VALU_DEP_1)
	v_mad_u32 v5, v9, s4, v5
	v_mad_u32 v6, v9, s5, v6
	;; [unrolled: 1-line block ×3, first 2 shown]
	s_branch .LBB330_130
.LBB330_129:
	v_dual_mov_b32 v7, 0 :: v_dual_mov_b32 v6, 0
	v_mov_b32_e32 v5, 0
	s_and_not1_b32 vcc_lo, exec_lo, s2
	s_cbranch_vccz .LBB330_127
.LBB330_130:
	v_cmp_ne_u32_e32 vcc_lo, 1, v8
	v_add_nc_u32_e32 v12, 0x100, v0
	s_cbranch_vccnz .LBB330_136
; %bb.131:
	s_cmp_lg_u32 s26, 0
	s_mov_b32 s2, 0
	s_cbranch_scc0 .LBB330_140
; %bb.132:
	s_min_u32 s3, s27, 15
	v_dual_mov_b32 v9, 0 :: v_dual_mov_b32 v13, v12
	v_dual_mov_b32 v11, 0 :: v_dual_mov_b32 v10, 0
	s_add_co_i32 s4, s3, 1
	s_mov_b64 s[0:1], 0xffffffffffffffe8
	s_and_b32 s4, s4, 30
	s_add_nc_u64 s[0:1], s[16:17], s[0:1]
.LBB330_133:                            ; =>This Inner Loop Header: Depth=1
	s_clause 0x1
	s_load_b128 s[8:11], s[0:1], 0x1c
	s_load_b64 s[6:7], s[0:1], 0x2c
	s_add_co_i32 s4, s4, -2
	s_delay_alu instid0(SALU_CYCLE_1) | instskip(SKIP_2) | instid1(VALU_DEP_1)
	s_cmp_lg_u32 s4, 0
	s_wait_kmcnt 0x0
	v_mul_hi_u32 v14, s9, v13
	v_add_nc_u32_e32 v14, v13, v14
	s_delay_alu instid0(VALU_DEP_1) | instskip(NEXT) | instid1(VALU_DEP_1)
	v_lshrrev_b32_e32 v14, s10, v14
	v_mul_hi_u32 v15, s6, v14
	v_mul_lo_u32 v16, v14, s8
	s_clause 0x1
	s_load_b128 s[12:15], s[0:1], 0xdc
	s_load_b64 s[8:9], s[0:1], 0xec
	s_wait_xcnt 0x0
	s_add_nc_u64 s[0:1], s[0:1], 24
	s_delay_alu instid0(VALU_DEP_1) | instskip(NEXT) | instid1(VALU_DEP_1)
	v_dual_add_nc_u32 v15, v14, v15 :: v_dual_sub_nc_u32 v16, v13, v16
	v_lshrrev_b32_e32 v13, s7, v15
	s_wait_kmcnt 0x0
	s_delay_alu instid0(VALU_DEP_2) | instskip(NEXT) | instid1(VALU_DEP_2)
	v_mad_u32 v9, v16, s12, v9
	v_mul_lo_u32 v15, v13, s11
	v_mad_u32 v10, v16, s14, v10
	v_mad_u32 v11, v16, s13, v11
	s_delay_alu instid0(VALU_DEP_3) | instskip(NEXT) | instid1(VALU_DEP_1)
	v_sub_nc_u32_e32 v14, v14, v15
	v_mad_u32 v9, v14, s15, v9
	s_delay_alu instid0(VALU_DEP_4) | instskip(NEXT) | instid1(VALU_DEP_4)
	v_mad_u32 v10, v14, s9, v10
	v_mad_u32 v11, v14, s8, v11
	s_cbranch_scc1 .LBB330_133
; %bb.134:
	s_bitcmp1_b32 s3, 0
	s_cselect_b32 s3, -1, 0
	s_delay_alu instid0(SALU_CYCLE_1)
	s_and_b32 vcc_lo, exec_lo, s3
	s_cbranch_vccnz .LBB330_137
; %bb.135:
	s_clause 0x1
	s_load_b96 s[4:6], s[0:1], 0x1c
	s_load_b96 s[8:10], s[0:1], 0xdc
	s_wait_kmcnt 0x0
	v_mul_hi_u32 v14, s5, v13
	s_delay_alu instid0(VALU_DEP_1) | instskip(NEXT) | instid1(VALU_DEP_1)
	v_add_nc_u32_e32 v14, v13, v14
	v_lshrrev_b32_e32 v14, s6, v14
	s_delay_alu instid0(VALU_DEP_1) | instskip(NEXT) | instid1(VALU_DEP_1)
	v_mul_lo_u32 v14, v14, s4
	v_sub_nc_u32_e32 v13, v13, v14
	s_delay_alu instid0(VALU_DEP_1)
	v_mad_u32 v9, v13, s8, v9
	v_mad_u32 v11, v13, s9, v11
	;; [unrolled: 1-line block ×3, first 2 shown]
	s_and_not1_b32 vcc_lo, exec_lo, s2
	s_cbranch_vccz .LBB330_138
	s_branch .LBB330_141
.LBB330_136:
	s_mov_b32 s2, -1
                                        ; implicit-def: $vgpr10
                                        ; implicit-def: $vgpr11
                                        ; implicit-def: $vgpr9
.LBB330_137:
	s_delay_alu instid0(SALU_CYCLE_1)
	s_and_not1_b32 vcc_lo, exec_lo, s2
	s_cbranch_vccnz .LBB330_141
.LBB330_138:
	s_clause 0x1
	s_load_b96 s[0:2], s[16:17], 0x4
	s_load_b96 s[4:6], s[16:17], 0xc4
	s_cmp_lt_u32 s26, 2
	s_wait_kmcnt 0x0
	v_mul_hi_u32 v9, s1, v12
	s_delay_alu instid0(VALU_DEP_1) | instskip(NEXT) | instid1(VALU_DEP_1)
	v_add_nc_u32_e32 v9, v12, v9
	v_lshrrev_b32_e32 v13, s2, v9
	s_delay_alu instid0(VALU_DEP_1) | instskip(NEXT) | instid1(VALU_DEP_1)
	v_mul_lo_u32 v9, v13, s0
	v_sub_nc_u32_e32 v11, v12, v9
	s_delay_alu instid0(VALU_DEP_1)
	v_mul_lo_u32 v9, v11, s4
	v_mul_lo_u32 v10, v11, s6
	;; [unrolled: 1-line block ×3, first 2 shown]
	s_cbranch_scc1 .LBB330_141
; %bb.139:
	s_clause 0x1
	s_load_b96 s[0:2], s[16:17], 0x10
	s_load_b96 s[4:6], s[16:17], 0xd0
	s_wait_kmcnt 0x0
	v_mul_hi_u32 v12, s1, v13
	s_delay_alu instid0(VALU_DEP_1) | instskip(NEXT) | instid1(VALU_DEP_1)
	v_add_nc_u32_e32 v12, v13, v12
	v_lshrrev_b32_e32 v12, s2, v12
	s_delay_alu instid0(VALU_DEP_1) | instskip(NEXT) | instid1(VALU_DEP_1)
	v_mul_lo_u32 v12, v12, s0
	v_sub_nc_u32_e32 v12, v13, v12
	s_delay_alu instid0(VALU_DEP_1)
	v_mad_u32 v9, v12, s4, v9
	v_mad_u32 v11, v12, s5, v11
	;; [unrolled: 1-line block ×3, first 2 shown]
	s_branch .LBB330_141
.LBB330_140:
	v_dual_mov_b32 v10, 0 :: v_dual_mov_b32 v11, 0
	v_mov_b32_e32 v9, 0
	s_and_not1_b32 vcc_lo, exec_lo, s2
	s_cbranch_vccz .LBB330_138
.LBB330_141:
	v_cmp_ne_u32_e32 vcc_lo, 1, v8
	v_add_nc_u32_e32 v15, 0x180, v0
	s_cbranch_vccnz .LBB330_147
; %bb.142:
	s_cmp_lg_u32 s26, 0
	s_mov_b32 s2, 0
	s_cbranch_scc0 .LBB330_151
; %bb.143:
	s_min_u32 s3, s27, 15
	v_dual_mov_b32 v12, 0 :: v_dual_mov_b32 v16, v15
	v_dual_mov_b32 v14, 0 :: v_dual_mov_b32 v13, 0
	s_add_co_i32 s4, s3, 1
	s_mov_b64 s[0:1], 0xffffffffffffffe8
	s_and_b32 s4, s4, 30
	s_add_nc_u64 s[0:1], s[16:17], s[0:1]
.LBB330_144:                            ; =>This Inner Loop Header: Depth=1
	s_clause 0x1
	s_load_b128 s[8:11], s[0:1], 0x1c
	s_load_b64 s[6:7], s[0:1], 0x2c
	s_add_co_i32 s4, s4, -2
	s_delay_alu instid0(SALU_CYCLE_1) | instskip(SKIP_2) | instid1(VALU_DEP_1)
	s_cmp_lg_u32 s4, 0
	s_wait_kmcnt 0x0
	v_mul_hi_u32 v17, s9, v16
	v_add_nc_u32_e32 v17, v16, v17
	s_delay_alu instid0(VALU_DEP_1) | instskip(NEXT) | instid1(VALU_DEP_1)
	v_lshrrev_b32_e32 v17, s10, v17
	v_mul_hi_u32 v18, s6, v17
	v_mul_lo_u32 v19, v17, s8
	s_clause 0x1
	s_load_b128 s[12:15], s[0:1], 0xdc
	s_load_b64 s[8:9], s[0:1], 0xec
	s_wait_xcnt 0x0
	s_add_nc_u64 s[0:1], s[0:1], 24
	s_delay_alu instid0(VALU_DEP_1) | instskip(NEXT) | instid1(VALU_DEP_1)
	v_dual_add_nc_u32 v18, v17, v18 :: v_dual_sub_nc_u32 v19, v16, v19
	v_lshrrev_b32_e32 v16, s7, v18
	s_wait_kmcnt 0x0
	s_delay_alu instid0(VALU_DEP_2) | instskip(NEXT) | instid1(VALU_DEP_2)
	v_mad_u32 v12, v19, s12, v12
	v_mul_lo_u32 v18, v16, s11
	v_mad_u32 v13, v19, s14, v13
	v_mad_u32 v14, v19, s13, v14
	s_delay_alu instid0(VALU_DEP_3) | instskip(NEXT) | instid1(VALU_DEP_1)
	v_sub_nc_u32_e32 v17, v17, v18
	v_mad_u32 v12, v17, s15, v12
	s_delay_alu instid0(VALU_DEP_4) | instskip(NEXT) | instid1(VALU_DEP_4)
	v_mad_u32 v13, v17, s9, v13
	v_mad_u32 v14, v17, s8, v14
	s_cbranch_scc1 .LBB330_144
; %bb.145:
	s_bitcmp1_b32 s3, 0
	s_cselect_b32 s3, -1, 0
	s_delay_alu instid0(SALU_CYCLE_1)
	s_and_b32 vcc_lo, exec_lo, s3
	s_cbranch_vccnz .LBB330_148
; %bb.146:
	s_clause 0x1
	s_load_b96 s[4:6], s[0:1], 0x1c
	s_load_b96 s[8:10], s[0:1], 0xdc
	s_wait_kmcnt 0x0
	v_mul_hi_u32 v17, s5, v16
	s_delay_alu instid0(VALU_DEP_1) | instskip(NEXT) | instid1(VALU_DEP_1)
	v_add_nc_u32_e32 v17, v16, v17
	v_lshrrev_b32_e32 v17, s6, v17
	s_delay_alu instid0(VALU_DEP_1) | instskip(NEXT) | instid1(VALU_DEP_1)
	v_mul_lo_u32 v17, v17, s4
	v_sub_nc_u32_e32 v16, v16, v17
	s_delay_alu instid0(VALU_DEP_1)
	v_mad_u32 v12, v16, s8, v12
	v_mad_u32 v14, v16, s9, v14
	;; [unrolled: 1-line block ×3, first 2 shown]
	s_and_not1_b32 vcc_lo, exec_lo, s2
	s_cbranch_vccz .LBB330_149
	s_branch .LBB330_152
.LBB330_147:
	s_mov_b32 s2, -1
                                        ; implicit-def: $vgpr13
                                        ; implicit-def: $vgpr14
                                        ; implicit-def: $vgpr12
.LBB330_148:
	s_delay_alu instid0(SALU_CYCLE_1)
	s_and_not1_b32 vcc_lo, exec_lo, s2
	s_cbranch_vccnz .LBB330_152
.LBB330_149:
	s_clause 0x1
	s_load_b96 s[0:2], s[16:17], 0x4
	s_load_b96 s[4:6], s[16:17], 0xc4
	s_cmp_lt_u32 s26, 2
	s_wait_kmcnt 0x0
	v_mul_hi_u32 v12, s1, v15
	s_delay_alu instid0(VALU_DEP_1) | instskip(NEXT) | instid1(VALU_DEP_1)
	v_add_nc_u32_e32 v12, v15, v12
	v_lshrrev_b32_e32 v16, s2, v12
	s_delay_alu instid0(VALU_DEP_1) | instskip(NEXT) | instid1(VALU_DEP_1)
	v_mul_lo_u32 v12, v16, s0
	v_sub_nc_u32_e32 v14, v15, v12
	s_delay_alu instid0(VALU_DEP_1)
	v_mul_lo_u32 v12, v14, s4
	v_mul_lo_u32 v13, v14, s6
	;; [unrolled: 1-line block ×3, first 2 shown]
	s_cbranch_scc1 .LBB330_152
; %bb.150:
	s_clause 0x1
	s_load_b96 s[0:2], s[16:17], 0x10
	s_load_b96 s[4:6], s[16:17], 0xd0
	s_wait_kmcnt 0x0
	v_mul_hi_u32 v15, s1, v16
	s_delay_alu instid0(VALU_DEP_1) | instskip(NEXT) | instid1(VALU_DEP_1)
	v_add_nc_u32_e32 v15, v16, v15
	v_lshrrev_b32_e32 v15, s2, v15
	s_delay_alu instid0(VALU_DEP_1) | instskip(NEXT) | instid1(VALU_DEP_1)
	v_mul_lo_u32 v15, v15, s0
	v_sub_nc_u32_e32 v15, v16, v15
	s_delay_alu instid0(VALU_DEP_1)
	v_mad_u32 v12, v15, s4, v12
	v_mad_u32 v14, v15, s5, v14
	;; [unrolled: 1-line block ×3, first 2 shown]
	s_branch .LBB330_152
.LBB330_151:
	v_dual_mov_b32 v13, 0 :: v_dual_mov_b32 v14, 0
	v_mov_b32_e32 v12, 0
	s_and_not1_b32 vcc_lo, exec_lo, s2
	s_cbranch_vccz .LBB330_149
.LBB330_152:
	v_cmp_ne_u32_e32 vcc_lo, 1, v8
	v_add_nc_u32_e32 v18, 0x200, v0
	s_cbranch_vccnz .LBB330_158
; %bb.153:
	s_cmp_lg_u32 s26, 0
	s_mov_b32 s2, 0
	s_cbranch_scc0 .LBB330_162
; %bb.154:
	s_min_u32 s3, s27, 15
	v_dual_mov_b32 v15, 0 :: v_dual_mov_b32 v19, v18
	v_dual_mov_b32 v16, 0 :: v_dual_mov_b32 v17, 0
	s_add_co_i32 s4, s3, 1
	s_mov_b64 s[0:1], 0xffffffffffffffe8
	s_and_b32 s4, s4, 30
	s_add_nc_u64 s[0:1], s[16:17], s[0:1]
.LBB330_155:                            ; =>This Inner Loop Header: Depth=1
	s_clause 0x1
	s_load_b128 s[8:11], s[0:1], 0x1c
	s_load_b64 s[6:7], s[0:1], 0x2c
	s_add_co_i32 s4, s4, -2
	s_delay_alu instid0(SALU_CYCLE_1) | instskip(SKIP_2) | instid1(VALU_DEP_1)
	s_cmp_lg_u32 s4, 0
	s_wait_kmcnt 0x0
	v_mul_hi_u32 v20, s9, v19
	v_add_nc_u32_e32 v20, v19, v20
	s_delay_alu instid0(VALU_DEP_1) | instskip(NEXT) | instid1(VALU_DEP_1)
	v_lshrrev_b32_e32 v20, s10, v20
	v_mul_hi_u32 v21, s6, v20
	v_mul_lo_u32 v22, v20, s8
	s_clause 0x1
	s_load_b128 s[12:15], s[0:1], 0xdc
	s_load_b64 s[8:9], s[0:1], 0xec
	s_wait_xcnt 0x0
	s_add_nc_u64 s[0:1], s[0:1], 24
	s_delay_alu instid0(VALU_DEP_1) | instskip(NEXT) | instid1(VALU_DEP_1)
	v_dual_add_nc_u32 v21, v20, v21 :: v_dual_sub_nc_u32 v22, v19, v22
	v_lshrrev_b32_e32 v19, s7, v21
	s_wait_kmcnt 0x0
	s_delay_alu instid0(VALU_DEP_2) | instskip(NEXT) | instid1(VALU_DEP_2)
	v_mad_u32 v15, v22, s12, v15
	v_mul_lo_u32 v21, v19, s11
	v_mad_u32 v17, v22, s14, v17
	v_mad_u32 v16, v22, s13, v16
	s_delay_alu instid0(VALU_DEP_3) | instskip(NEXT) | instid1(VALU_DEP_1)
	v_sub_nc_u32_e32 v20, v20, v21
	v_mad_u32 v15, v20, s15, v15
	s_delay_alu instid0(VALU_DEP_4) | instskip(NEXT) | instid1(VALU_DEP_4)
	v_mad_u32 v17, v20, s9, v17
	v_mad_u32 v16, v20, s8, v16
	s_cbranch_scc1 .LBB330_155
; %bb.156:
	s_bitcmp1_b32 s3, 0
	s_cselect_b32 s3, -1, 0
	s_delay_alu instid0(SALU_CYCLE_1)
	s_and_b32 vcc_lo, exec_lo, s3
	s_cbranch_vccnz .LBB330_159
; %bb.157:
	s_clause 0x1
	s_load_b96 s[4:6], s[0:1], 0x1c
	s_load_b96 s[8:10], s[0:1], 0xdc
	s_wait_kmcnt 0x0
	v_mul_hi_u32 v20, s5, v19
	s_delay_alu instid0(VALU_DEP_1) | instskip(NEXT) | instid1(VALU_DEP_1)
	v_add_nc_u32_e32 v20, v19, v20
	v_lshrrev_b32_e32 v20, s6, v20
	s_delay_alu instid0(VALU_DEP_1) | instskip(NEXT) | instid1(VALU_DEP_1)
	v_mul_lo_u32 v20, v20, s4
	v_sub_nc_u32_e32 v19, v19, v20
	s_delay_alu instid0(VALU_DEP_1)
	v_mad_u32 v15, v19, s8, v15
	v_mad_u32 v16, v19, s9, v16
	;; [unrolled: 1-line block ×3, first 2 shown]
	s_and_not1_b32 vcc_lo, exec_lo, s2
	s_cbranch_vccz .LBB330_160
	s_branch .LBB330_163
.LBB330_158:
	s_mov_b32 s2, -1
                                        ; implicit-def: $vgpr17
                                        ; implicit-def: $vgpr16
                                        ; implicit-def: $vgpr15
.LBB330_159:
	s_delay_alu instid0(SALU_CYCLE_1)
	s_and_not1_b32 vcc_lo, exec_lo, s2
	s_cbranch_vccnz .LBB330_163
.LBB330_160:
	s_clause 0x1
	s_load_b96 s[0:2], s[16:17], 0x4
	s_load_b96 s[4:6], s[16:17], 0xc4
	s_cmp_lt_u32 s26, 2
	s_wait_kmcnt 0x0
	v_mul_hi_u32 v15, s1, v18
	s_delay_alu instid0(VALU_DEP_1) | instskip(NEXT) | instid1(VALU_DEP_1)
	v_add_nc_u32_e32 v15, v18, v15
	v_lshrrev_b32_e32 v19, s2, v15
	s_delay_alu instid0(VALU_DEP_1) | instskip(NEXT) | instid1(VALU_DEP_1)
	v_mul_lo_u32 v15, v19, s0
	v_sub_nc_u32_e32 v16, v18, v15
	s_delay_alu instid0(VALU_DEP_1)
	v_mul_lo_u32 v15, v16, s4
	v_mul_lo_u32 v17, v16, s6
	;; [unrolled: 1-line block ×3, first 2 shown]
	s_cbranch_scc1 .LBB330_163
; %bb.161:
	s_clause 0x1
	s_load_b96 s[0:2], s[16:17], 0x10
	s_load_b96 s[4:6], s[16:17], 0xd0
	s_wait_kmcnt 0x0
	v_mul_hi_u32 v18, s1, v19
	s_delay_alu instid0(VALU_DEP_1) | instskip(NEXT) | instid1(VALU_DEP_1)
	v_add_nc_u32_e32 v18, v19, v18
	v_lshrrev_b32_e32 v18, s2, v18
	s_delay_alu instid0(VALU_DEP_1) | instskip(NEXT) | instid1(VALU_DEP_1)
	v_mul_lo_u32 v18, v18, s0
	v_sub_nc_u32_e32 v18, v19, v18
	s_delay_alu instid0(VALU_DEP_1)
	v_mad_u32 v15, v18, s4, v15
	v_mad_u32 v16, v18, s5, v16
	;; [unrolled: 1-line block ×3, first 2 shown]
	s_branch .LBB330_163
.LBB330_162:
	v_dual_mov_b32 v17, 0 :: v_dual_mov_b32 v16, 0
	v_mov_b32_e32 v15, 0
	s_and_not1_b32 vcc_lo, exec_lo, s2
	s_cbranch_vccz .LBB330_160
.LBB330_163:
	v_cmp_ne_u32_e32 vcc_lo, 1, v8
	v_add_nc_u32_e32 v21, 0x280, v0
	s_cbranch_vccnz .LBB330_169
; %bb.164:
	s_cmp_lg_u32 s26, 0
	s_mov_b32 s2, 0
	s_cbranch_scc0 .LBB330_173
; %bb.165:
	s_min_u32 s3, s27, 15
	v_dual_mov_b32 v18, 0 :: v_dual_mov_b32 v22, v21
	v_dual_mov_b32 v19, 0 :: v_dual_mov_b32 v20, 0
	s_add_co_i32 s4, s3, 1
	s_mov_b64 s[0:1], 0xffffffffffffffe8
	s_and_b32 s4, s4, 30
	s_add_nc_u64 s[0:1], s[16:17], s[0:1]
.LBB330_166:                            ; =>This Inner Loop Header: Depth=1
	s_clause 0x1
	s_load_b128 s[8:11], s[0:1], 0x1c
	s_load_b64 s[6:7], s[0:1], 0x2c
	s_add_co_i32 s4, s4, -2
	s_delay_alu instid0(SALU_CYCLE_1) | instskip(SKIP_2) | instid1(VALU_DEP_1)
	s_cmp_lg_u32 s4, 0
	s_wait_kmcnt 0x0
	v_mul_hi_u32 v23, s9, v22
	v_add_nc_u32_e32 v23, v22, v23
	s_delay_alu instid0(VALU_DEP_1) | instskip(NEXT) | instid1(VALU_DEP_1)
	v_lshrrev_b32_e32 v23, s10, v23
	v_mul_hi_u32 v24, s6, v23
	v_mul_lo_u32 v25, v23, s8
	s_clause 0x1
	s_load_b128 s[12:15], s[0:1], 0xdc
	s_load_b64 s[8:9], s[0:1], 0xec
	s_wait_xcnt 0x0
	s_add_nc_u64 s[0:1], s[0:1], 24
	s_delay_alu instid0(VALU_DEP_1) | instskip(NEXT) | instid1(VALU_DEP_1)
	v_dual_add_nc_u32 v24, v23, v24 :: v_dual_sub_nc_u32 v25, v22, v25
	v_lshrrev_b32_e32 v22, s7, v24
	s_wait_kmcnt 0x0
	s_delay_alu instid0(VALU_DEP_2) | instskip(NEXT) | instid1(VALU_DEP_2)
	v_mad_u32 v18, v25, s12, v18
	v_mul_lo_u32 v24, v22, s11
	v_mad_u32 v20, v25, s14, v20
	v_mad_u32 v19, v25, s13, v19
	s_delay_alu instid0(VALU_DEP_3) | instskip(NEXT) | instid1(VALU_DEP_1)
	v_sub_nc_u32_e32 v23, v23, v24
	v_mad_u32 v18, v23, s15, v18
	s_delay_alu instid0(VALU_DEP_4) | instskip(NEXT) | instid1(VALU_DEP_4)
	v_mad_u32 v20, v23, s9, v20
	v_mad_u32 v19, v23, s8, v19
	s_cbranch_scc1 .LBB330_166
; %bb.167:
	s_bitcmp1_b32 s3, 0
	s_cselect_b32 s3, -1, 0
	s_delay_alu instid0(SALU_CYCLE_1)
	s_and_b32 vcc_lo, exec_lo, s3
	s_cbranch_vccnz .LBB330_170
; %bb.168:
	s_clause 0x1
	s_load_b96 s[4:6], s[0:1], 0x1c
	s_load_b96 s[8:10], s[0:1], 0xdc
	s_wait_kmcnt 0x0
	v_mul_hi_u32 v23, s5, v22
	s_delay_alu instid0(VALU_DEP_1) | instskip(NEXT) | instid1(VALU_DEP_1)
	v_add_nc_u32_e32 v23, v22, v23
	v_lshrrev_b32_e32 v23, s6, v23
	s_delay_alu instid0(VALU_DEP_1) | instskip(NEXT) | instid1(VALU_DEP_1)
	v_mul_lo_u32 v23, v23, s4
	v_sub_nc_u32_e32 v22, v22, v23
	s_delay_alu instid0(VALU_DEP_1)
	v_mad_u32 v18, v22, s8, v18
	v_mad_u32 v19, v22, s9, v19
	;; [unrolled: 1-line block ×3, first 2 shown]
	s_and_not1_b32 vcc_lo, exec_lo, s2
	s_cbranch_vccz .LBB330_171
	s_branch .LBB330_174
.LBB330_169:
	s_mov_b32 s2, -1
                                        ; implicit-def: $vgpr20
                                        ; implicit-def: $vgpr19
                                        ; implicit-def: $vgpr18
.LBB330_170:
	s_delay_alu instid0(SALU_CYCLE_1)
	s_and_not1_b32 vcc_lo, exec_lo, s2
	s_cbranch_vccnz .LBB330_174
.LBB330_171:
	s_clause 0x1
	s_load_b96 s[0:2], s[16:17], 0x4
	s_load_b96 s[4:6], s[16:17], 0xc4
	s_cmp_lt_u32 s26, 2
	s_wait_kmcnt 0x0
	v_mul_hi_u32 v18, s1, v21
	s_delay_alu instid0(VALU_DEP_1) | instskip(NEXT) | instid1(VALU_DEP_1)
	v_add_nc_u32_e32 v18, v21, v18
	v_lshrrev_b32_e32 v22, s2, v18
	s_delay_alu instid0(VALU_DEP_1) | instskip(NEXT) | instid1(VALU_DEP_1)
	v_mul_lo_u32 v18, v22, s0
	v_sub_nc_u32_e32 v19, v21, v18
	s_delay_alu instid0(VALU_DEP_1)
	v_mul_lo_u32 v18, v19, s4
	v_mul_lo_u32 v20, v19, s6
	;; [unrolled: 1-line block ×3, first 2 shown]
	s_cbranch_scc1 .LBB330_174
; %bb.172:
	s_clause 0x1
	s_load_b96 s[0:2], s[16:17], 0x10
	s_load_b96 s[4:6], s[16:17], 0xd0
	s_wait_kmcnt 0x0
	v_mul_hi_u32 v21, s1, v22
	s_delay_alu instid0(VALU_DEP_1) | instskip(NEXT) | instid1(VALU_DEP_1)
	v_add_nc_u32_e32 v21, v22, v21
	v_lshrrev_b32_e32 v21, s2, v21
	s_delay_alu instid0(VALU_DEP_1) | instskip(NEXT) | instid1(VALU_DEP_1)
	v_mul_lo_u32 v21, v21, s0
	v_sub_nc_u32_e32 v21, v22, v21
	s_delay_alu instid0(VALU_DEP_1)
	v_mad_u32 v18, v21, s4, v18
	v_mad_u32 v19, v21, s5, v19
	;; [unrolled: 1-line block ×3, first 2 shown]
	s_branch .LBB330_174
.LBB330_173:
	v_dual_mov_b32 v20, 0 :: v_dual_mov_b32 v19, 0
	v_mov_b32_e32 v18, 0
	s_and_not1_b32 vcc_lo, exec_lo, s2
	s_cbranch_vccz .LBB330_171
.LBB330_174:
	v_cmp_ne_u32_e32 vcc_lo, 1, v8
	v_add_nc_u32_e32 v23, 0x300, v0
	s_cbranch_vccnz .LBB330_180
; %bb.175:
	s_cmp_lg_u32 s26, 0
	s_mov_b32 s2, 0
	s_cbranch_scc0 .LBB330_184
; %bb.176:
	s_min_u32 s3, s27, 15
	v_dual_mov_b32 v0, 0 :: v_dual_mov_b32 v24, v23
	v_dual_mov_b32 v22, 0 :: v_dual_mov_b32 v21, 0
	s_add_co_i32 s4, s3, 1
	s_mov_b64 s[0:1], 0xffffffffffffffe8
	s_and_b32 s4, s4, 30
	s_add_nc_u64 s[0:1], s[16:17], s[0:1]
.LBB330_177:                            ; =>This Inner Loop Header: Depth=1
	s_clause 0x1
	s_load_b128 s[8:11], s[0:1], 0x1c
	s_load_b64 s[6:7], s[0:1], 0x2c
	s_add_co_i32 s4, s4, -2
	s_delay_alu instid0(SALU_CYCLE_1) | instskip(SKIP_2) | instid1(VALU_DEP_1)
	s_cmp_lg_u32 s4, 0
	s_wait_kmcnt 0x0
	v_mul_hi_u32 v25, s9, v24
	v_add_nc_u32_e32 v25, v24, v25
	s_delay_alu instid0(VALU_DEP_1) | instskip(NEXT) | instid1(VALU_DEP_1)
	v_lshrrev_b32_e32 v25, s10, v25
	v_mul_hi_u32 v26, s6, v25
	v_mul_lo_u32 v27, v25, s8
	s_clause 0x1
	s_load_b128 s[12:15], s[0:1], 0xdc
	s_load_b64 s[8:9], s[0:1], 0xec
	s_wait_xcnt 0x0
	s_add_nc_u64 s[0:1], s[0:1], 24
	s_delay_alu instid0(VALU_DEP_1) | instskip(NEXT) | instid1(VALU_DEP_1)
	v_dual_add_nc_u32 v26, v25, v26 :: v_dual_sub_nc_u32 v27, v24, v27
	v_lshrrev_b32_e32 v24, s7, v26
	s_wait_kmcnt 0x0
	s_delay_alu instid0(VALU_DEP_2) | instskip(NEXT) | instid1(VALU_DEP_2)
	v_mad_u32 v0, v27, s12, v0
	v_mul_lo_u32 v26, v24, s11
	v_mad_u32 v21, v27, s14, v21
	v_mad_u32 v22, v27, s13, v22
	s_delay_alu instid0(VALU_DEP_3) | instskip(NEXT) | instid1(VALU_DEP_1)
	v_sub_nc_u32_e32 v25, v25, v26
	v_mad_u32 v0, v25, s15, v0
	s_delay_alu instid0(VALU_DEP_4) | instskip(NEXT) | instid1(VALU_DEP_4)
	v_mad_u32 v21, v25, s9, v21
	v_mad_u32 v22, v25, s8, v22
	s_cbranch_scc1 .LBB330_177
; %bb.178:
	s_bitcmp1_b32 s3, 0
	s_cselect_b32 s3, -1, 0
	s_delay_alu instid0(SALU_CYCLE_1)
	s_and_b32 vcc_lo, exec_lo, s3
	s_cbranch_vccnz .LBB330_181
; %bb.179:
	s_clause 0x1
	s_load_b96 s[4:6], s[0:1], 0x1c
	s_load_b96 s[8:10], s[0:1], 0xdc
	s_wait_kmcnt 0x0
	v_mul_hi_u32 v25, s5, v24
	s_delay_alu instid0(VALU_DEP_1) | instskip(NEXT) | instid1(VALU_DEP_1)
	v_add_nc_u32_e32 v25, v24, v25
	v_lshrrev_b32_e32 v25, s6, v25
	s_delay_alu instid0(VALU_DEP_1) | instskip(NEXT) | instid1(VALU_DEP_1)
	v_mul_lo_u32 v25, v25, s4
	v_sub_nc_u32_e32 v24, v24, v25
	s_delay_alu instid0(VALU_DEP_1)
	v_mad_u32 v0, v24, s8, v0
	v_mad_u32 v22, v24, s9, v22
	;; [unrolled: 1-line block ×3, first 2 shown]
	s_and_not1_b32 vcc_lo, exec_lo, s2
	s_cbranch_vccz .LBB330_182
	s_branch .LBB330_185
.LBB330_180:
	s_mov_b32 s2, -1
                                        ; implicit-def: $vgpr21
                                        ; implicit-def: $vgpr22
                                        ; implicit-def: $vgpr0
.LBB330_181:
	s_delay_alu instid0(SALU_CYCLE_1)
	s_and_not1_b32 vcc_lo, exec_lo, s2
	s_cbranch_vccnz .LBB330_185
.LBB330_182:
	s_clause 0x1
	s_load_b96 s[0:2], s[16:17], 0x4
	s_load_b96 s[4:6], s[16:17], 0xc4
	s_cmp_lt_u32 s26, 2
	s_wait_kmcnt 0x0
	v_mul_hi_u32 v0, s1, v23
	s_delay_alu instid0(VALU_DEP_1) | instskip(NEXT) | instid1(VALU_DEP_1)
	v_add_nc_u32_e32 v0, v23, v0
	v_lshrrev_b32_e32 v24, s2, v0
	s_delay_alu instid0(VALU_DEP_1) | instskip(NEXT) | instid1(VALU_DEP_1)
	v_mul_lo_u32 v0, v24, s0
	v_sub_nc_u32_e32 v22, v23, v0
	s_delay_alu instid0(VALU_DEP_1)
	v_mul_lo_u32 v0, v22, s4
	v_mul_lo_u32 v21, v22, s6
	;; [unrolled: 1-line block ×3, first 2 shown]
	s_cbranch_scc1 .LBB330_185
; %bb.183:
	s_clause 0x1
	s_load_b96 s[0:2], s[16:17], 0x10
	s_load_b96 s[4:6], s[16:17], 0xd0
	s_wait_kmcnt 0x0
	v_mul_hi_u32 v23, s1, v24
	s_delay_alu instid0(VALU_DEP_1) | instskip(NEXT) | instid1(VALU_DEP_1)
	v_add_nc_u32_e32 v23, v24, v23
	v_lshrrev_b32_e32 v23, s2, v23
	s_delay_alu instid0(VALU_DEP_1) | instskip(NEXT) | instid1(VALU_DEP_1)
	v_mul_lo_u32 v23, v23, s0
	v_sub_nc_u32_e32 v23, v24, v23
	s_delay_alu instid0(VALU_DEP_1)
	v_mad_u32 v0, v23, s4, v0
	v_mad_u32 v22, v23, s5, v22
	;; [unrolled: 1-line block ×3, first 2 shown]
	s_branch .LBB330_185
.LBB330_184:
	v_dual_mov_b32 v21, 0 :: v_dual_mov_b32 v22, 0
	v_mov_b32_e32 v0, 0
	s_and_not1_b32 vcc_lo, exec_lo, s2
	s_cbranch_vccz .LBB330_182
.LBB330_185:
	v_cmp_ne_u32_e32 vcc_lo, 1, v8
	s_cbranch_vccnz .LBB330_191
; %bb.186:
	s_cmp_lg_u32 s26, 0
	s_mov_b32 s2, 0
	s_cbranch_scc0 .LBB330_195
; %bb.187:
	s_min_u32 s3, s27, 15
	v_dual_mov_b32 v8, 0 :: v_dual_mov_b32 v25, v4
	v_dual_mov_b32 v24, 0 :: v_dual_mov_b32 v23, 0
	s_add_co_i32 s4, s3, 1
	s_mov_b64 s[0:1], 0xffffffffffffffe8
	s_and_b32 s4, s4, 30
	s_add_nc_u64 s[0:1], s[16:17], s[0:1]
.LBB330_188:                            ; =>This Inner Loop Header: Depth=1
	s_clause 0x1
	s_load_b128 s[8:11], s[0:1], 0x1c
	s_load_b64 s[6:7], s[0:1], 0x2c
	s_add_co_i32 s4, s4, -2
	s_delay_alu instid0(SALU_CYCLE_1) | instskip(SKIP_2) | instid1(VALU_DEP_1)
	s_cmp_lg_u32 s4, 0
	s_wait_kmcnt 0x0
	v_mul_hi_u32 v26, s9, v25
	v_add_nc_u32_e32 v26, v25, v26
	s_delay_alu instid0(VALU_DEP_1) | instskip(NEXT) | instid1(VALU_DEP_1)
	v_lshrrev_b32_e32 v26, s10, v26
	v_mul_hi_u32 v27, s6, v26
	v_mul_lo_u32 v28, v26, s8
	s_clause 0x1
	s_load_b128 s[12:15], s[0:1], 0xdc
	s_load_b64 s[8:9], s[0:1], 0xec
	s_wait_xcnt 0x0
	s_add_nc_u64 s[0:1], s[0:1], 24
	s_delay_alu instid0(VALU_DEP_1) | instskip(NEXT) | instid1(VALU_DEP_1)
	v_dual_add_nc_u32 v27, v26, v27 :: v_dual_sub_nc_u32 v28, v25, v28
	v_lshrrev_b32_e32 v25, s7, v27
	s_wait_kmcnt 0x0
	s_delay_alu instid0(VALU_DEP_2) | instskip(NEXT) | instid1(VALU_DEP_2)
	v_mad_u32 v8, v28, s12, v8
	v_mul_lo_u32 v27, v25, s11
	v_mad_u32 v23, v28, s14, v23
	v_mad_u32 v24, v28, s13, v24
	s_delay_alu instid0(VALU_DEP_3) | instskip(NEXT) | instid1(VALU_DEP_1)
	v_sub_nc_u32_e32 v26, v26, v27
	v_mad_u32 v8, v26, s15, v8
	s_delay_alu instid0(VALU_DEP_4) | instskip(NEXT) | instid1(VALU_DEP_4)
	v_mad_u32 v23, v26, s9, v23
	v_mad_u32 v24, v26, s8, v24
	s_cbranch_scc1 .LBB330_188
; %bb.189:
	s_bitcmp1_b32 s3, 0
	s_cselect_b32 s3, -1, 0
	s_delay_alu instid0(SALU_CYCLE_1)
	s_and_b32 vcc_lo, exec_lo, s3
	s_cbranch_vccnz .LBB330_192
; %bb.190:
	s_clause 0x1
	s_load_b96 s[4:6], s[0:1], 0x1c
	s_load_b96 s[8:10], s[0:1], 0xdc
	s_wait_kmcnt 0x0
	v_mul_hi_u32 v26, s5, v25
	s_delay_alu instid0(VALU_DEP_1) | instskip(NEXT) | instid1(VALU_DEP_1)
	v_add_nc_u32_e32 v26, v25, v26
	v_lshrrev_b32_e32 v26, s6, v26
	s_delay_alu instid0(VALU_DEP_1) | instskip(NEXT) | instid1(VALU_DEP_1)
	v_mul_lo_u32 v26, v26, s4
	v_sub_nc_u32_e32 v25, v25, v26
	s_delay_alu instid0(VALU_DEP_1)
	v_mad_u32 v8, v25, s8, v8
	v_mad_u32 v24, v25, s9, v24
	;; [unrolled: 1-line block ×3, first 2 shown]
	s_and_not1_b32 vcc_lo, exec_lo, s2
	s_cbranch_vccz .LBB330_193
	s_branch .LBB330_196
.LBB330_191:
	s_mov_b32 s2, -1
                                        ; implicit-def: $vgpr23
                                        ; implicit-def: $vgpr24
                                        ; implicit-def: $vgpr8
.LBB330_192:
	s_delay_alu instid0(SALU_CYCLE_1)
	s_and_not1_b32 vcc_lo, exec_lo, s2
	s_cbranch_vccnz .LBB330_196
.LBB330_193:
	s_clause 0x1
	s_load_b96 s[0:2], s[16:17], 0x4
	s_load_b96 s[4:6], s[16:17], 0xc4
	s_cmp_lt_u32 s26, 2
	s_wait_kmcnt 0x0
	v_mul_hi_u32 v8, s1, v4
	s_delay_alu instid0(VALU_DEP_1) | instskip(NEXT) | instid1(VALU_DEP_1)
	v_add_nc_u32_e32 v8, v4, v8
	v_lshrrev_b32_e32 v25, s2, v8
	s_delay_alu instid0(VALU_DEP_1) | instskip(NEXT) | instid1(VALU_DEP_1)
	v_mul_lo_u32 v8, v25, s0
	v_sub_nc_u32_e32 v4, v4, v8
	s_delay_alu instid0(VALU_DEP_1)
	v_mul_lo_u32 v8, v4, s4
	v_mul_lo_u32 v23, v4, s6
	;; [unrolled: 1-line block ×3, first 2 shown]
	s_cbranch_scc1 .LBB330_196
; %bb.194:
	s_clause 0x1
	s_load_b96 s[0:2], s[16:17], 0x10
	s_load_b96 s[4:6], s[16:17], 0xd0
	s_wait_kmcnt 0x0
	v_mul_hi_u32 v4, s1, v25
	s_delay_alu instid0(VALU_DEP_1) | instskip(NEXT) | instid1(VALU_DEP_1)
	v_add_nc_u32_e32 v4, v25, v4
	v_lshrrev_b32_e32 v4, s2, v4
	s_delay_alu instid0(VALU_DEP_1) | instskip(NEXT) | instid1(VALU_DEP_1)
	v_mul_lo_u32 v4, v4, s0
	v_sub_nc_u32_e32 v4, v25, v4
	s_delay_alu instid0(VALU_DEP_1)
	v_mad_u32 v8, v4, s4, v8
	v_mad_u32 v24, v4, s5, v24
	;; [unrolled: 1-line block ×3, first 2 shown]
	s_branch .LBB330_196
.LBB330_195:
	v_dual_mov_b32 v23, 0 :: v_dual_mov_b32 v24, 0
	v_mov_b32_e32 v8, 0
	s_and_not1_b32 vcc_lo, exec_lo, s2
	s_cbranch_vccz .LBB330_193
.LBB330_196:
	s_clause 0x1
	s_load_b128 s[8:11], s[16:17], 0x188
	s_load_b96 s[0:2], s[16:17], 0x198
	s_wait_kmcnt 0x0
	global_load_u16 v4, v3, s[10:11]
	global_load_u16 v25, v2, s[0:1]
	;; [unrolled: 1-line block ×15, first 2 shown]
                                        ; kill: killed $vgpr17
                                        ; kill: killed $vgpr11
                                        ; kill: killed $vgpr22
                                        ; kill: killed $vgpr7
                                        ; kill: killed $vgpr20
                                        ; kill: killed $vgpr14
                                        ; kill: killed $vgpr24
                                        ; kill: killed $vgpr10
                                        ; kill: killed $vgpr3
                                        ; kill: killed $vgpr21
                                        ; kill: killed $vgpr16
                                        ; kill: killed $vgpr13
                                        ; kill: killed $vgpr6
                                        ; kill: killed $sgpr10_sgpr11
                                        ; kill: killed $vgpr19
                                        ; kill: killed $vgpr2
	global_load_u16 v2, v23, s[0:1]
	s_cmp_eq_u32 s2, 0
	s_cselect_b32 s7, -1, 0
	s_wait_loadcnt 0xe
	v_cmp_ne_u16_e32 vcc_lo, v4, v25
	s_wait_loadcnt 0xc
	s_wait_xcnt 0x0
	v_cmp_ne_u16_e64 s0, v26, v27
	s_wait_loadcnt 0xa
	v_cmp_ne_u16_e64 s1, v28, v29
	s_xor_b32 s10, s7, vcc_lo
	s_wait_loadcnt 0x8
	v_cmp_ne_u16_e64 s2, v30, v31
	s_xor_b32 s0, s7, s0
	s_wait_loadcnt 0x6
	v_cmp_ne_u16_e64 s3, v32, v33
	v_cndmask_b32_e64 v3, 0, 1, s0
	s_xor_b32 s0, s7, s1
	s_wait_loadcnt 0x4
	v_cmp_ne_u16_e64 s4, v34, v35
	v_cndmask_b32_e64 v4, 0, 1, s0
	;; [unrolled: 4-line block ×3, first 2 shown]
	s_xor_b32 s0, s7, s3
	s_delay_alu instid0(SALU_CYCLE_1) | instskip(SKIP_1) | instid1(SALU_CYCLE_1)
	v_cndmask_b32_e64 v7, 0, 1, s0
	s_xor_b32 s0, s7, s4
	v_cndmask_b32_e64 v10, 0, 1, s0
	s_xor_b32 s0, s7, s5
	s_delay_alu instid0(SALU_CYCLE_1) | instskip(SKIP_4) | instid1(SALU_CYCLE_1)
	v_cndmask_b32_e64 v11, 0, 1, s0
	s_wait_loadcnt 0x0
	v_cmp_ne_u16_e64 s6, v38, v2
	v_cndmask_b32_e64 v2, 0, 1, s10
	s_xor_b32 s0, s7, s6
	v_cndmask_b32_e64 v13, 0, 1, s0
	s_clause 0x7
	global_store_b8 v1, v2, s[8:9]
	global_store_b8 v5, v3, s[8:9]
	;; [unrolled: 1-line block ×8, first 2 shown]
	s_endpgm
	.section	.rodata,"a",@progbits
	.p2align	6, 0x0
	.amdhsa_kernel _ZN2at6native32elementwise_kernel_manual_unrollILi128ELi8EZNS0_22gpu_kernel_impl_nocastINS0_13BinaryFunctorIttbNS0_12_GLOBAL__N_116CompareEqFunctorItEEEEEEvRNS_18TensorIteratorBaseERKT_EUlibE_EEviT1_
		.amdhsa_group_segment_fixed_size 0
		.amdhsa_private_segment_fixed_size 0
		.amdhsa_kernarg_size 432
		.amdhsa_user_sgpr_count 2
		.amdhsa_user_sgpr_dispatch_ptr 0
		.amdhsa_user_sgpr_queue_ptr 0
		.amdhsa_user_sgpr_kernarg_segment_ptr 1
		.amdhsa_user_sgpr_dispatch_id 0
		.amdhsa_user_sgpr_kernarg_preload_length 0
		.amdhsa_user_sgpr_kernarg_preload_offset 0
		.amdhsa_user_sgpr_private_segment_size 0
		.amdhsa_wavefront_size32 1
		.amdhsa_uses_dynamic_stack 0
		.amdhsa_enable_private_segment 0
		.amdhsa_system_sgpr_workgroup_id_x 1
		.amdhsa_system_sgpr_workgroup_id_y 0
		.amdhsa_system_sgpr_workgroup_id_z 0
		.amdhsa_system_sgpr_workgroup_info 0
		.amdhsa_system_vgpr_workitem_id 0
		.amdhsa_next_free_vgpr 39
		.amdhsa_next_free_sgpr 46
		.amdhsa_named_barrier_count 0
		.amdhsa_reserve_vcc 1
		.amdhsa_float_round_mode_32 0
		.amdhsa_float_round_mode_16_64 0
		.amdhsa_float_denorm_mode_32 3
		.amdhsa_float_denorm_mode_16_64 3
		.amdhsa_fp16_overflow 0
		.amdhsa_memory_ordered 1
		.amdhsa_forward_progress 1
		.amdhsa_inst_pref_size 84
		.amdhsa_round_robin_scheduling 0
		.amdhsa_exception_fp_ieee_invalid_op 0
		.amdhsa_exception_fp_denorm_src 0
		.amdhsa_exception_fp_ieee_div_zero 0
		.amdhsa_exception_fp_ieee_overflow 0
		.amdhsa_exception_fp_ieee_underflow 0
		.amdhsa_exception_fp_ieee_inexact 0
		.amdhsa_exception_int_div_zero 0
	.end_amdhsa_kernel
	.section	.text._ZN2at6native32elementwise_kernel_manual_unrollILi128ELi8EZNS0_22gpu_kernel_impl_nocastINS0_13BinaryFunctorIttbNS0_12_GLOBAL__N_116CompareEqFunctorItEEEEEEvRNS_18TensorIteratorBaseERKT_EUlibE_EEviT1_,"axG",@progbits,_ZN2at6native32elementwise_kernel_manual_unrollILi128ELi8EZNS0_22gpu_kernel_impl_nocastINS0_13BinaryFunctorIttbNS0_12_GLOBAL__N_116CompareEqFunctorItEEEEEEvRNS_18TensorIteratorBaseERKT_EUlibE_EEviT1_,comdat
.Lfunc_end330:
	.size	_ZN2at6native32elementwise_kernel_manual_unrollILi128ELi8EZNS0_22gpu_kernel_impl_nocastINS0_13BinaryFunctorIttbNS0_12_GLOBAL__N_116CompareEqFunctorItEEEEEEvRNS_18TensorIteratorBaseERKT_EUlibE_EEviT1_, .Lfunc_end330-_ZN2at6native32elementwise_kernel_manual_unrollILi128ELi8EZNS0_22gpu_kernel_impl_nocastINS0_13BinaryFunctorIttbNS0_12_GLOBAL__N_116CompareEqFunctorItEEEEEEvRNS_18TensorIteratorBaseERKT_EUlibE_EEviT1_
                                        ; -- End function
	.set _ZN2at6native32elementwise_kernel_manual_unrollILi128ELi8EZNS0_22gpu_kernel_impl_nocastINS0_13BinaryFunctorIttbNS0_12_GLOBAL__N_116CompareEqFunctorItEEEEEEvRNS_18TensorIteratorBaseERKT_EUlibE_EEviT1_.num_vgpr, 39
	.set _ZN2at6native32elementwise_kernel_manual_unrollILi128ELi8EZNS0_22gpu_kernel_impl_nocastINS0_13BinaryFunctorIttbNS0_12_GLOBAL__N_116CompareEqFunctorItEEEEEEvRNS_18TensorIteratorBaseERKT_EUlibE_EEviT1_.num_agpr, 0
	.set _ZN2at6native32elementwise_kernel_manual_unrollILi128ELi8EZNS0_22gpu_kernel_impl_nocastINS0_13BinaryFunctorIttbNS0_12_GLOBAL__N_116CompareEqFunctorItEEEEEEvRNS_18TensorIteratorBaseERKT_EUlibE_EEviT1_.numbered_sgpr, 46
	.set _ZN2at6native32elementwise_kernel_manual_unrollILi128ELi8EZNS0_22gpu_kernel_impl_nocastINS0_13BinaryFunctorIttbNS0_12_GLOBAL__N_116CompareEqFunctorItEEEEEEvRNS_18TensorIteratorBaseERKT_EUlibE_EEviT1_.num_named_barrier, 0
	.set _ZN2at6native32elementwise_kernel_manual_unrollILi128ELi8EZNS0_22gpu_kernel_impl_nocastINS0_13BinaryFunctorIttbNS0_12_GLOBAL__N_116CompareEqFunctorItEEEEEEvRNS_18TensorIteratorBaseERKT_EUlibE_EEviT1_.private_seg_size, 0
	.set _ZN2at6native32elementwise_kernel_manual_unrollILi128ELi8EZNS0_22gpu_kernel_impl_nocastINS0_13BinaryFunctorIttbNS0_12_GLOBAL__N_116CompareEqFunctorItEEEEEEvRNS_18TensorIteratorBaseERKT_EUlibE_EEviT1_.uses_vcc, 1
	.set _ZN2at6native32elementwise_kernel_manual_unrollILi128ELi8EZNS0_22gpu_kernel_impl_nocastINS0_13BinaryFunctorIttbNS0_12_GLOBAL__N_116CompareEqFunctorItEEEEEEvRNS_18TensorIteratorBaseERKT_EUlibE_EEviT1_.uses_flat_scratch, 0
	.set _ZN2at6native32elementwise_kernel_manual_unrollILi128ELi8EZNS0_22gpu_kernel_impl_nocastINS0_13BinaryFunctorIttbNS0_12_GLOBAL__N_116CompareEqFunctorItEEEEEEvRNS_18TensorIteratorBaseERKT_EUlibE_EEviT1_.has_dyn_sized_stack, 0
	.set _ZN2at6native32elementwise_kernel_manual_unrollILi128ELi8EZNS0_22gpu_kernel_impl_nocastINS0_13BinaryFunctorIttbNS0_12_GLOBAL__N_116CompareEqFunctorItEEEEEEvRNS_18TensorIteratorBaseERKT_EUlibE_EEviT1_.has_recursion, 0
	.set _ZN2at6native32elementwise_kernel_manual_unrollILi128ELi8EZNS0_22gpu_kernel_impl_nocastINS0_13BinaryFunctorIttbNS0_12_GLOBAL__N_116CompareEqFunctorItEEEEEEvRNS_18TensorIteratorBaseERKT_EUlibE_EEviT1_.has_indirect_call, 0
	.section	.AMDGPU.csdata,"",@progbits
; Kernel info:
; codeLenInByte = 10744
; TotalNumSgprs: 48
; NumVgprs: 39
; ScratchSize: 0
; MemoryBound: 0
; FloatMode: 240
; IeeeMode: 1
; LDSByteSize: 0 bytes/workgroup (compile time only)
; SGPRBlocks: 0
; VGPRBlocks: 2
; NumSGPRsForWavesPerEU: 48
; NumVGPRsForWavesPerEU: 39
; NamedBarCnt: 0
; Occupancy: 16
; WaveLimiterHint : 1
; COMPUTE_PGM_RSRC2:SCRATCH_EN: 0
; COMPUTE_PGM_RSRC2:USER_SGPR: 2
; COMPUTE_PGM_RSRC2:TRAP_HANDLER: 0
; COMPUTE_PGM_RSRC2:TGID_X_EN: 1
; COMPUTE_PGM_RSRC2:TGID_Y_EN: 0
; COMPUTE_PGM_RSRC2:TGID_Z_EN: 0
; COMPUTE_PGM_RSRC2:TIDIG_COMP_CNT: 0
	.section	.text._ZN2at6native32elementwise_kernel_manual_unrollILi128ELi4EZNS0_15gpu_kernel_implINS0_13BinaryFunctorIttbNS0_12_GLOBAL__N_116CompareEqFunctorItEEEEEEvRNS_18TensorIteratorBaseERKT_EUlibE_EEviT1_,"axG",@progbits,_ZN2at6native32elementwise_kernel_manual_unrollILi128ELi4EZNS0_15gpu_kernel_implINS0_13BinaryFunctorIttbNS0_12_GLOBAL__N_116CompareEqFunctorItEEEEEEvRNS_18TensorIteratorBaseERKT_EUlibE_EEviT1_,comdat
	.globl	_ZN2at6native32elementwise_kernel_manual_unrollILi128ELi4EZNS0_15gpu_kernel_implINS0_13BinaryFunctorIttbNS0_12_GLOBAL__N_116CompareEqFunctorItEEEEEEvRNS_18TensorIteratorBaseERKT_EUlibE_EEviT1_ ; -- Begin function _ZN2at6native32elementwise_kernel_manual_unrollILi128ELi4EZNS0_15gpu_kernel_implINS0_13BinaryFunctorIttbNS0_12_GLOBAL__N_116CompareEqFunctorItEEEEEEvRNS_18TensorIteratorBaseERKT_EUlibE_EEviT1_
	.p2align	8
	.type	_ZN2at6native32elementwise_kernel_manual_unrollILi128ELi4EZNS0_15gpu_kernel_implINS0_13BinaryFunctorIttbNS0_12_GLOBAL__N_116CompareEqFunctorItEEEEEEvRNS_18TensorIteratorBaseERKT_EUlibE_EEviT1_,@function
_ZN2at6native32elementwise_kernel_manual_unrollILi128ELi4EZNS0_15gpu_kernel_implINS0_13BinaryFunctorIttbNS0_12_GLOBAL__N_116CompareEqFunctorItEEEEEEvRNS_18TensorIteratorBaseERKT_EUlibE_EEviT1_: ; @_ZN2at6native32elementwise_kernel_manual_unrollILi128ELi4EZNS0_15gpu_kernel_implINS0_13BinaryFunctorIttbNS0_12_GLOBAL__N_116CompareEqFunctorItEEEEEEvRNS_18TensorIteratorBaseERKT_EUlibE_EEviT1_
; %bb.0:
	s_load_b32 s12, s[0:1], 0x30
	s_bfe_u32 s2, ttmp6, 0x4000c
	s_clause 0x1
	s_load_b32 s17, s[0:1], 0x0
	s_load_b128 s[4:7], s[0:1], 0x8
	s_add_co_i32 s14, s2, 1
	s_clause 0x1
	s_load_b64 s[2:3], s[0:1], 0x18
	s_load_b128 s[8:11], s[0:1], 0x20
	s_and_b32 s13, ttmp6, 15
	s_wait_xcnt 0x0
	s_mul_i32 s0, ttmp9, s14
	s_getreg_b32 s15, hwreg(HW_REG_IB_STS2, 6, 4)
	s_add_co_i32 s13, s13, s0
	s_mov_b32 s16, 0
	s_wait_kmcnt 0x0
	s_lshr_b32 s14, s12, 8
	s_lshr_b32 s1, s12, 16
	s_cmp_eq_u32 s15, 0
	s_cselect_b32 s0, ttmp9, s13
	s_mov_b32 s13, 0
	v_lshl_or_b32 v18, s0, 9, v0
	s_mov_b32 s0, exec_lo
	s_delay_alu instid0(VALU_DEP_1) | instskip(NEXT) | instid1(VALU_DEP_1)
	v_or_b32_e32 v0, 0x180, v18
	v_cmpx_le_i32_e64 s17, v0
	s_xor_b32 s15, exec_lo, s0
	s_cbranch_execz .LBB331_1515
; %bb.1:
	s_cmp_eq_u32 s11, 0
	s_mov_b32 s22, 0
	s_cselect_b32 s16, -1, 0
	s_mov_b32 s25, -1
	s_mov_b32 s20, 0
	s_mov_b32 s19, 0
	;; [unrolled: 1-line block ×3, first 2 shown]
	s_mov_b32 s21, exec_lo
	v_cmpx_gt_i32_e64 s17, v18
	s_cbranch_execz .LBB331_374
; %bb.2:
	v_mul_lo_u32 v0, v18, s9
	s_and_b32 s0, s14, 0xff
	s_delay_alu instid0(SALU_CYCLE_1) | instskip(NEXT) | instid1(VALU_DEP_1)
	s_cmp_lt_i32 s0, 11
	v_ashrrev_i32_e32 v1, 31, v0
	s_delay_alu instid0(VALU_DEP_1)
	v_add_nc_u64_e32 v[2:3], s[6:7], v[0:1]
	s_cbranch_scc1 .LBB331_9
; %bb.3:
	s_and_b32 s18, 0xffff, s0
	s_delay_alu instid0(SALU_CYCLE_1)
	s_cmp_gt_i32 s18, 25
	s_cbranch_scc0 .LBB331_18
; %bb.4:
	s_cmp_gt_i32 s18, 28
	s_cbranch_scc0 .LBB331_28
; %bb.5:
	;; [unrolled: 3-line block ×4, first 2 shown]
	s_cmp_eq_u32 s18, 46
	s_mov_b32 s23, 0
	s_cbranch_scc0 .LBB331_37
; %bb.8:
	global_load_b32 v0, v[2:3], off
	s_mov_b32 s19, -1
	s_wait_loadcnt 0x0
	v_lshlrev_b32_e32 v0, 16, v0
	s_delay_alu instid0(VALU_DEP_1)
	v_cvt_u32_f32_e32 v0, v0
	s_branch .LBB331_39
.LBB331_9:
                                        ; implicit-def: $vgpr0
	s_cbranch_execnz .LBB331_101
.LBB331_10:
	s_and_not1_b32 vcc_lo, exec_lo, s19
	s_cbranch_vccnz .LBB331_148
.LBB331_11:
	s_wait_xcnt 0x0
	v_mul_lo_u32 v2, v18, s10
	s_and_b32 s0, s1, 0xff
	s_delay_alu instid0(SALU_CYCLE_1) | instskip(NEXT) | instid1(VALU_DEP_1)
	s_cmp_lt_i32 s0, 11
	v_ashrrev_i32_e32 v3, 31, v2
	s_delay_alu instid0(VALU_DEP_1)
	v_add_nc_u64_e32 v[2:3], s[2:3], v[2:3]
	s_cbranch_scc1 .LBB331_19
; %bb.12:
	s_and_b32 s18, 0xffff, s0
	s_delay_alu instid0(SALU_CYCLE_1)
	s_cmp_gt_i32 s18, 25
	s_cbranch_scc0 .LBB331_29
; %bb.13:
	s_cmp_gt_i32 s18, 28
	s_cbranch_scc0 .LBB331_32
; %bb.14:
	;; [unrolled: 3-line block ×4, first 2 shown]
	s_cmp_eq_u32 s18, 46
	s_mov_b32 s24, 0
	s_cbranch_scc0 .LBB331_149
; %bb.17:
	s_wait_loadcnt 0x0
	global_load_b32 v1, v[2:3], off
	s_mov_b32 s23, -1
	s_mov_b32 s19, 0
	s_wait_loadcnt 0x0
	v_lshlrev_b32_e32 v1, 16, v1
	s_delay_alu instid0(VALU_DEP_1)
	v_cvt_u32_f32_e32 v4, v1
	s_branch .LBB331_151
.LBB331_18:
                                        ; implicit-def: $vgpr0
	s_cbranch_execnz .LBB331_68
	s_branch .LBB331_100
.LBB331_19:
	s_mov_b32 s19, 0
	s_mov_b32 s23, 0
                                        ; implicit-def: $vgpr4
	s_cbranch_execnz .LBB331_323
.LBB331_20:
	s_and_not1_b32 vcc_lo, exec_lo, s23
	s_cbranch_vccnz .LBB331_371
.LBB331_21:
	s_wait_xcnt 0x0
	v_mul_lo_u32 v2, v18, s8
	s_wait_loadcnt 0x0
	s_delay_alu instid0(VALU_DEP_2) | instskip(SKIP_3) | instid1(VALU_DEP_2)
	v_cmp_ne_u16_e32 vcc_lo, v0, v4
	s_and_b32 s23, s12, 0xff
	s_xor_b32 s18, s16, vcc_lo
	s_cmp_lt_i32 s23, 11
	v_ashrrev_i32_e32 v3, 31, v2
	s_delay_alu instid0(VALU_DEP_1)
	v_add_nc_u64_e32 v[0:1], s[4:5], v[2:3]
	s_cbranch_scc1 .LBB331_30
; %bb.22:
	s_and_b32 s24, 0xffff, s23
	s_delay_alu instid0(SALU_CYCLE_1)
	s_cmp_gt_i32 s24, 25
	s_cbranch_scc0 .LBB331_33
; %bb.23:
	s_cmp_gt_i32 s24, 28
	s_cbranch_scc0 .LBB331_36
; %bb.24:
	s_cmp_gt_i32 s24, 43
	s_cbranch_scc0 .LBB331_43
; %bb.25:
	s_cmp_gt_i32 s24, 45
	s_cbranch_scc0 .LBB331_154
; %bb.26:
	s_mov_b32 s26, 0
	s_mov_b32 s0, -1
	s_cmp_eq_u32 s24, 46
	s_mov_b32 s25, 0
	s_cbranch_scc0 .LBB331_155
; %bb.27:
	v_cndmask_b32_e64 v2, 0, 1.0, s18
	s_mov_b32 s25, -1
	s_mov_b32 s0, 0
	s_delay_alu instid0(VALU_DEP_1) | instskip(NEXT) | instid1(VALU_DEP_1)
	v_bfe_u32 v3, v2, 16, 1
	v_add3_u32 v2, v2, v3, 0x7fff
	s_delay_alu instid0(VALU_DEP_1)
	v_lshrrev_b32_e32 v2, 16, v2
	global_store_b32 v[0:1], v2, off
	s_branch .LBB331_155
.LBB331_28:
	s_mov_b32 s23, -1
                                        ; implicit-def: $vgpr0
	s_branch .LBB331_51
.LBB331_29:
	s_mov_b32 s24, -1
	s_mov_b32 s19, 0
	s_mov_b32 s23, 0
                                        ; implicit-def: $vgpr4
	s_branch .LBB331_289
.LBB331_30:
	s_mov_b32 s24, -1
	s_mov_b32 s0, 0
	s_mov_b32 s25, 0
	s_branch .LBB331_224
.LBB331_31:
	s_mov_b32 s23, -1
                                        ; implicit-def: $vgpr0
	s_branch .LBB331_46
.LBB331_32:
	s_mov_b32 s24, -1
	s_mov_b32 s19, 0
	s_mov_b32 s23, 0
                                        ; implicit-def: $vgpr4
	s_branch .LBB331_272
.LBB331_33:
	s_mov_b32 s26, -1
	s_mov_b32 s0, 0
	s_mov_b32 s25, 0
	s_branch .LBB331_182
.LBB331_34:
	s_mov_b32 s23, -1
	s_branch .LBB331_38
.LBB331_35:
	s_mov_b32 s24, -1
	s_mov_b32 s19, 0
	s_mov_b32 s23, 0
                                        ; implicit-def: $vgpr4
	s_branch .LBB331_267
.LBB331_36:
	s_mov_b32 s26, -1
	s_mov_b32 s0, 0
	s_mov_b32 s25, 0
	s_branch .LBB331_165
.LBB331_37:
	s_mov_b32 s20, -1
.LBB331_38:
                                        ; implicit-def: $vgpr0
.LBB331_39:
	s_and_b32 vcc_lo, exec_lo, s23
	s_cbranch_vccz .LBB331_45
; %bb.40:
	s_cmp_eq_u32 s18, 44
	s_cbranch_scc0 .LBB331_44
; %bb.41:
	global_load_u8 v0, v[2:3], off
	s_mov_b32 s20, 0
	s_mov_b32 s19, -1
	s_wait_loadcnt 0x0
	v_lshlrev_b32_e32 v1, 23, v0
	v_cmp_ne_u32_e32 vcc_lo, 0, v0
	s_delay_alu instid0(VALU_DEP_2) | instskip(NEXT) | instid1(VALU_DEP_1)
	v_cvt_u32_f32_e32 v1, v1
	v_cndmask_b32_e32 v0, 0, v1, vcc_lo
	s_branch .LBB331_45
.LBB331_42:
	s_mov_b32 s24, -1
	s_mov_b32 s19, 0
	s_branch .LBB331_150
.LBB331_43:
	s_mov_b32 s26, -1
	s_mov_b32 s0, 0
	s_mov_b32 s25, 0
	s_branch .LBB331_161
.LBB331_44:
	s_mov_b32 s20, -1
                                        ; implicit-def: $vgpr0
.LBB331_45:
	s_mov_b32 s23, 0
.LBB331_46:
	s_delay_alu instid0(SALU_CYCLE_1)
	s_and_b32 vcc_lo, exec_lo, s23
	s_cbranch_vccz .LBB331_50
; %bb.47:
	s_cmp_eq_u32 s18, 29
	s_cbranch_scc0 .LBB331_49
; %bb.48:
	global_load_b64 v[0:1], v[2:3], off
	s_mov_b32 s19, -1
	s_mov_b32 s20, 0
	s_branch .LBB331_50
.LBB331_49:
	s_mov_b32 s20, -1
                                        ; implicit-def: $vgpr0
.LBB331_50:
	s_mov_b32 s23, 0
.LBB331_51:
	s_delay_alu instid0(SALU_CYCLE_1)
	s_and_b32 vcc_lo, exec_lo, s23
	s_cbranch_vccz .LBB331_67
; %bb.52:
	s_cmp_lt_i32 s18, 27
	s_cbranch_scc1 .LBB331_55
; %bb.53:
	s_cmp_gt_i32 s18, 27
	s_cbranch_scc0 .LBB331_56
; %bb.54:
	s_wait_loadcnt 0x0
	global_load_b32 v0, v[2:3], off
	s_mov_b32 s19, 0
	s_branch .LBB331_57
.LBB331_55:
	s_mov_b32 s19, -1
                                        ; implicit-def: $vgpr0
	s_branch .LBB331_60
.LBB331_56:
	s_mov_b32 s19, -1
                                        ; implicit-def: $vgpr0
.LBB331_57:
	s_delay_alu instid0(SALU_CYCLE_1)
	s_and_not1_b32 vcc_lo, exec_lo, s19
	s_cbranch_vccnz .LBB331_59
; %bb.58:
	s_wait_loadcnt 0x0
	global_load_u16 v0, v[2:3], off
.LBB331_59:
	s_mov_b32 s19, 0
.LBB331_60:
	s_delay_alu instid0(SALU_CYCLE_1)
	s_and_not1_b32 vcc_lo, exec_lo, s19
	s_cbranch_vccnz .LBB331_66
; %bb.61:
	s_wait_loadcnt 0x0
	global_load_u8 v1, v[2:3], off
	s_mov_b32 s23, 0
	s_mov_b32 s19, exec_lo
	s_wait_loadcnt 0x0
	v_cmpx_lt_i16_e32 0x7f, v1
	s_xor_b32 s19, exec_lo, s19
	s_cbranch_execz .LBB331_77
; %bb.62:
	v_cmp_ne_u16_e32 vcc_lo, 0x80, v1
	s_and_b32 s23, vcc_lo, exec_lo
	s_and_not1_saveexec_b32 s19, s19
	s_cbranch_execnz .LBB331_78
.LBB331_63:
	s_or_b32 exec_lo, exec_lo, s19
	v_mov_b32_e32 v0, 0
	s_and_saveexec_b32 s19, s23
	s_cbranch_execz .LBB331_65
.LBB331_64:
	v_and_b32_e32 v0, 0xffff, v1
	s_delay_alu instid0(VALU_DEP_1) | instskip(SKIP_1) | instid1(VALU_DEP_2)
	v_and_b32_e32 v4, 7, v0
	v_bfe_u32 v7, v0, 3, 4
	v_clz_i32_u32_e32 v5, v4
	s_delay_alu instid0(VALU_DEP_2) | instskip(NEXT) | instid1(VALU_DEP_2)
	v_cmp_eq_u32_e32 vcc_lo, 0, v7
	v_min_u32_e32 v5, 32, v5
	s_delay_alu instid0(VALU_DEP_1) | instskip(NEXT) | instid1(VALU_DEP_1)
	v_subrev_nc_u32_e32 v6, 28, v5
	v_dual_lshlrev_b32 v0, v6, v0 :: v_dual_sub_nc_u32 v5, 29, v5
	s_delay_alu instid0(VALU_DEP_1) | instskip(NEXT) | instid1(VALU_DEP_1)
	v_dual_lshlrev_b32 v1, 24, v1 :: v_dual_bitop2_b32 v0, 7, v0 bitop3:0x40
	v_dual_cndmask_b32 v0, v4, v0 :: v_dual_cndmask_b32 v5, v7, v5
	s_delay_alu instid0(VALU_DEP_2) | instskip(NEXT) | instid1(VALU_DEP_2)
	v_and_b32_e32 v1, 0x80000000, v1
	v_lshlrev_b32_e32 v0, 20, v0
	s_delay_alu instid0(VALU_DEP_3) | instskip(NEXT) | instid1(VALU_DEP_1)
	v_lshl_add_u32 v4, v5, 23, 0x3b800000
	v_or3_b32 v0, v1, v4, v0
	s_delay_alu instid0(VALU_DEP_1)
	v_cvt_u32_f32_e32 v0, v0
.LBB331_65:
	s_or_b32 exec_lo, exec_lo, s19
.LBB331_66:
	s_mov_b32 s19, -1
.LBB331_67:
	s_branch .LBB331_100
.LBB331_68:
	s_cmp_gt_i32 s18, 22
	s_cbranch_scc0 .LBB331_76
; %bb.69:
	s_cmp_lt_i32 s18, 24
	s_cbranch_scc1 .LBB331_79
; %bb.70:
	s_cmp_gt_i32 s18, 24
	s_cbranch_scc0 .LBB331_80
; %bb.71:
	s_wait_loadcnt 0x0
	global_load_u8 v1, v[2:3], off
	s_mov_b32 s23, 0
	s_mov_b32 s19, exec_lo
	s_wait_loadcnt 0x0
	v_cmpx_lt_i16_e32 0x7f, v1
	s_xor_b32 s19, exec_lo, s19
	s_cbranch_execz .LBB331_92
; %bb.72:
	v_cmp_ne_u16_e32 vcc_lo, 0x80, v1
	s_and_b32 s23, vcc_lo, exec_lo
	s_and_not1_saveexec_b32 s19, s19
	s_cbranch_execnz .LBB331_93
.LBB331_73:
	s_or_b32 exec_lo, exec_lo, s19
	v_mov_b32_e32 v0, 0
	s_and_saveexec_b32 s19, s23
	s_cbranch_execz .LBB331_75
.LBB331_74:
	v_and_b32_e32 v0, 0xffff, v1
	s_delay_alu instid0(VALU_DEP_1) | instskip(SKIP_1) | instid1(VALU_DEP_2)
	v_and_b32_e32 v4, 3, v0
	v_bfe_u32 v7, v0, 2, 5
	v_clz_i32_u32_e32 v5, v4
	s_delay_alu instid0(VALU_DEP_2) | instskip(NEXT) | instid1(VALU_DEP_2)
	v_cmp_eq_u32_e32 vcc_lo, 0, v7
	v_min_u32_e32 v5, 32, v5
	s_delay_alu instid0(VALU_DEP_1) | instskip(NEXT) | instid1(VALU_DEP_1)
	v_subrev_nc_u32_e32 v6, 29, v5
	v_dual_lshlrev_b32 v0, v6, v0 :: v_dual_sub_nc_u32 v5, 30, v5
	s_delay_alu instid0(VALU_DEP_1) | instskip(NEXT) | instid1(VALU_DEP_1)
	v_dual_lshlrev_b32 v1, 24, v1 :: v_dual_bitop2_b32 v0, 3, v0 bitop3:0x40
	v_dual_cndmask_b32 v0, v4, v0 :: v_dual_cndmask_b32 v5, v7, v5
	s_delay_alu instid0(VALU_DEP_2) | instskip(NEXT) | instid1(VALU_DEP_2)
	v_and_b32_e32 v1, 0x80000000, v1
	v_lshlrev_b32_e32 v0, 21, v0
	s_delay_alu instid0(VALU_DEP_3) | instskip(NEXT) | instid1(VALU_DEP_1)
	v_lshl_add_u32 v4, v5, 23, 0x37800000
	v_or3_b32 v0, v1, v4, v0
	s_delay_alu instid0(VALU_DEP_1)
	v_cvt_u32_f32_e32 v0, v0
.LBB331_75:
	s_or_b32 exec_lo, exec_lo, s19
	s_mov_b32 s19, 0
	s_branch .LBB331_81
.LBB331_76:
	s_mov_b32 s23, -1
                                        ; implicit-def: $vgpr0
	s_branch .LBB331_87
.LBB331_77:
	s_and_not1_saveexec_b32 s19, s19
	s_cbranch_execz .LBB331_63
.LBB331_78:
	v_cmp_ne_u16_e32 vcc_lo, 0, v1
	s_and_not1_b32 s23, s23, exec_lo
	s_and_b32 s24, vcc_lo, exec_lo
	s_delay_alu instid0(SALU_CYCLE_1)
	s_or_b32 s23, s23, s24
	s_or_b32 exec_lo, exec_lo, s19
	v_mov_b32_e32 v0, 0
	s_and_saveexec_b32 s19, s23
	s_cbranch_execnz .LBB331_64
	s_branch .LBB331_65
.LBB331_79:
	s_mov_b32 s19, -1
                                        ; implicit-def: $vgpr0
	s_branch .LBB331_84
.LBB331_80:
	s_mov_b32 s19, -1
                                        ; implicit-def: $vgpr0
.LBB331_81:
	s_delay_alu instid0(SALU_CYCLE_1)
	s_and_b32 vcc_lo, exec_lo, s19
	s_cbranch_vccz .LBB331_83
; %bb.82:
	s_wait_loadcnt 0x0
	global_load_u8 v0, v[2:3], off
	s_wait_loadcnt 0x0
	v_lshlrev_b32_e32 v0, 24, v0
	s_delay_alu instid0(VALU_DEP_1) | instskip(NEXT) | instid1(VALU_DEP_1)
	v_and_b32_e32 v1, 0x7f000000, v0
	v_clz_i32_u32_e32 v4, v1
	v_cmp_ne_u32_e32 vcc_lo, 0, v1
	v_add_nc_u32_e32 v6, 0x1000000, v1
	s_delay_alu instid0(VALU_DEP_3) | instskip(NEXT) | instid1(VALU_DEP_1)
	v_min_u32_e32 v4, 32, v4
	v_sub_nc_u32_e64 v4, v4, 4 clamp
	s_delay_alu instid0(VALU_DEP_1) | instskip(NEXT) | instid1(VALU_DEP_1)
	v_dual_lshlrev_b32 v5, v4, v1 :: v_dual_lshlrev_b32 v4, 23, v4
	v_lshrrev_b32_e32 v5, 4, v5
	s_delay_alu instid0(VALU_DEP_1) | instskip(NEXT) | instid1(VALU_DEP_1)
	v_dual_sub_nc_u32 v4, v5, v4 :: v_dual_ashrrev_i32 v5, 8, v6
	v_add_nc_u32_e32 v4, 0x3c000000, v4
	s_delay_alu instid0(VALU_DEP_1) | instskip(NEXT) | instid1(VALU_DEP_1)
	v_and_or_b32 v4, 0x7f800000, v5, v4
	v_cndmask_b32_e32 v1, 0, v4, vcc_lo
	s_delay_alu instid0(VALU_DEP_1) | instskip(NEXT) | instid1(VALU_DEP_1)
	v_and_or_b32 v0, 0x80000000, v0, v1
	v_cvt_u32_f32_e32 v0, v0
.LBB331_83:
	s_mov_b32 s19, 0
.LBB331_84:
	s_delay_alu instid0(SALU_CYCLE_1)
	s_and_not1_b32 vcc_lo, exec_lo, s19
	s_cbranch_vccnz .LBB331_86
; %bb.85:
	s_wait_loadcnt 0x0
	global_load_u8 v0, v[2:3], off
	s_wait_loadcnt 0x0
	v_lshlrev_b32_e32 v1, 25, v0
	v_lshlrev_b16 v0, 8, v0
	s_delay_alu instid0(VALU_DEP_1) | instskip(SKIP_1) | instid1(VALU_DEP_2)
	v_and_or_b32 v5, 0x7f00, v0, 0.5
	v_bfe_i32 v0, v0, 0, 16
	v_add_f32_e32 v5, -0.5, v5
	v_lshrrev_b32_e32 v4, 4, v1
	v_cmp_gt_u32_e32 vcc_lo, 0x8000000, v1
	s_delay_alu instid0(VALU_DEP_2) | instskip(NEXT) | instid1(VALU_DEP_1)
	v_or_b32_e32 v4, 0x70000000, v4
	v_mul_f32_e32 v4, 0x7800000, v4
	s_delay_alu instid0(VALU_DEP_1) | instskip(NEXT) | instid1(VALU_DEP_1)
	v_cndmask_b32_e32 v1, v4, v5, vcc_lo
	v_and_or_b32 v0, 0x80000000, v0, v1
	s_delay_alu instid0(VALU_DEP_1)
	v_cvt_u32_f32_e32 v0, v0
.LBB331_86:
	s_mov_b32 s23, 0
	s_mov_b32 s19, -1
.LBB331_87:
	s_and_not1_b32 vcc_lo, exec_lo, s23
	s_cbranch_vccnz .LBB331_100
; %bb.88:
	s_cmp_gt_i32 s18, 14
	s_cbranch_scc0 .LBB331_91
; %bb.89:
	s_cmp_eq_u32 s18, 15
	s_cbranch_scc0 .LBB331_94
; %bb.90:
	s_wait_loadcnt 0x0
	global_load_u16 v0, v[2:3], off
	s_mov_b32 s19, -1
	s_mov_b32 s20, 0
	s_wait_loadcnt 0x0
	v_lshlrev_b32_e32 v0, 16, v0
	s_delay_alu instid0(VALU_DEP_1)
	v_cvt_u32_f32_e32 v0, v0
	s_branch .LBB331_95
.LBB331_91:
	s_mov_b32 s23, -1
                                        ; implicit-def: $vgpr0
	s_branch .LBB331_96
.LBB331_92:
	s_and_not1_saveexec_b32 s19, s19
	s_cbranch_execz .LBB331_73
.LBB331_93:
	v_cmp_ne_u16_e32 vcc_lo, 0, v1
	s_and_not1_b32 s23, s23, exec_lo
	s_and_b32 s24, vcc_lo, exec_lo
	s_delay_alu instid0(SALU_CYCLE_1)
	s_or_b32 s23, s23, s24
	s_or_b32 exec_lo, exec_lo, s19
	v_mov_b32_e32 v0, 0
	s_and_saveexec_b32 s19, s23
	s_cbranch_execnz .LBB331_74
	s_branch .LBB331_75
.LBB331_94:
	s_mov_b32 s20, -1
                                        ; implicit-def: $vgpr0
.LBB331_95:
	s_mov_b32 s23, 0
.LBB331_96:
	s_delay_alu instid0(SALU_CYCLE_1)
	s_and_b32 vcc_lo, exec_lo, s23
	s_cbranch_vccz .LBB331_100
; %bb.97:
	s_cmp_eq_u32 s18, 11
	s_cbranch_scc0 .LBB331_99
; %bb.98:
	s_wait_loadcnt 0x0
	global_load_u8 v0, v[2:3], off
	s_mov_b32 s20, 0
	s_mov_b32 s19, -1
	s_wait_loadcnt 0x0
	v_cmp_ne_u16_e32 vcc_lo, 0, v0
	v_cndmask_b32_e64 v0, 0, 1, vcc_lo
	s_branch .LBB331_100
.LBB331_99:
	s_mov_b32 s20, -1
                                        ; implicit-def: $vgpr0
.LBB331_100:
	s_branch .LBB331_10
.LBB331_101:
	s_and_b32 s0, 0xffff, s0
	s_delay_alu instid0(SALU_CYCLE_1)
	s_cmp_lt_i32 s0, 5
	s_cbranch_scc1 .LBB331_106
; %bb.102:
	s_cmp_lt_i32 s0, 8
	s_cbranch_scc1 .LBB331_107
; %bb.103:
	;; [unrolled: 3-line block ×3, first 2 shown]
	s_cmp_gt_i32 s0, 9
	s_cbranch_scc0 .LBB331_109
; %bb.105:
	s_wait_loadcnt 0x0
	global_load_b64 v[0:1], v[2:3], off
	s_mov_b32 s18, 0
	s_wait_loadcnt 0x0
	v_cvt_u32_f64_e32 v0, v[0:1]
	s_branch .LBB331_110
.LBB331_106:
                                        ; implicit-def: $vgpr0
	s_branch .LBB331_128
.LBB331_107:
	s_mov_b32 s18, -1
                                        ; implicit-def: $vgpr0
	s_branch .LBB331_116
.LBB331_108:
	s_mov_b32 s18, -1
                                        ; implicit-def: $vgpr0
	s_branch .LBB331_113
.LBB331_109:
	s_mov_b32 s18, -1
                                        ; implicit-def: $vgpr0
.LBB331_110:
	s_delay_alu instid0(SALU_CYCLE_1)
	s_and_not1_b32 vcc_lo, exec_lo, s18
	s_cbranch_vccnz .LBB331_112
; %bb.111:
	s_wait_loadcnt 0x0
	global_load_b32 v0, v[2:3], off
	s_wait_loadcnt 0x0
	v_cvt_u32_f32_e32 v0, v0
.LBB331_112:
	s_mov_b32 s18, 0
.LBB331_113:
	s_delay_alu instid0(SALU_CYCLE_1)
	s_and_not1_b32 vcc_lo, exec_lo, s18
	s_cbranch_vccnz .LBB331_115
; %bb.114:
	s_wait_loadcnt 0x0
	global_load_b32 v0, v[2:3], off
	s_wait_loadcnt 0x0
	v_cvt_u16_f16_e32 v0, v0
.LBB331_115:
	s_mov_b32 s18, 0
.LBB331_116:
	s_delay_alu instid0(SALU_CYCLE_1)
	s_and_not1_b32 vcc_lo, exec_lo, s18
	s_cbranch_vccnz .LBB331_127
; %bb.117:
	s_cmp_lt_i32 s0, 6
	s_cbranch_scc1 .LBB331_120
; %bb.118:
	s_cmp_gt_i32 s0, 6
	s_cbranch_scc0 .LBB331_121
; %bb.119:
	s_wait_loadcnt 0x0
	global_load_b64 v[0:1], v[2:3], off
	s_mov_b32 s18, 0
	s_wait_loadcnt 0x0
	v_cvt_u32_f64_e32 v0, v[0:1]
	s_branch .LBB331_122
.LBB331_120:
	s_mov_b32 s18, -1
                                        ; implicit-def: $vgpr0
	s_branch .LBB331_125
.LBB331_121:
	s_mov_b32 s18, -1
                                        ; implicit-def: $vgpr0
.LBB331_122:
	s_delay_alu instid0(SALU_CYCLE_1)
	s_and_not1_b32 vcc_lo, exec_lo, s18
	s_cbranch_vccnz .LBB331_124
; %bb.123:
	s_wait_loadcnt 0x0
	global_load_b32 v0, v[2:3], off
	s_wait_loadcnt 0x0
	v_cvt_u32_f32_e32 v0, v0
.LBB331_124:
	s_mov_b32 s18, 0
.LBB331_125:
	s_delay_alu instid0(SALU_CYCLE_1)
	s_and_not1_b32 vcc_lo, exec_lo, s18
	s_cbranch_vccnz .LBB331_127
; %bb.126:
	s_wait_loadcnt 0x0
	global_load_u16 v0, v[2:3], off
	s_wait_loadcnt 0x0
	v_cvt_u16_f16_e32 v0, v0
.LBB331_127:
	s_cbranch_execnz .LBB331_147
.LBB331_128:
	s_cmp_lt_i32 s0, 2
	s_cbranch_scc1 .LBB331_132
; %bb.129:
	s_cmp_lt_i32 s0, 3
	s_cbranch_scc1 .LBB331_133
; %bb.130:
	s_cmp_gt_i32 s0, 3
	s_cbranch_scc0 .LBB331_134
; %bb.131:
	s_wait_loadcnt 0x0
	global_load_b64 v[0:1], v[2:3], off
	s_mov_b32 s18, 0
	s_branch .LBB331_135
.LBB331_132:
	s_mov_b32 s18, -1
                                        ; implicit-def: $vgpr0
	s_branch .LBB331_141
.LBB331_133:
	s_mov_b32 s18, -1
                                        ; implicit-def: $vgpr0
	s_branch .LBB331_138
.LBB331_134:
	s_mov_b32 s18, -1
                                        ; implicit-def: $vgpr0
.LBB331_135:
	s_delay_alu instid0(SALU_CYCLE_1)
	s_and_not1_b32 vcc_lo, exec_lo, s18
	s_cbranch_vccnz .LBB331_137
; %bb.136:
	s_wait_loadcnt 0x0
	global_load_b32 v0, v[2:3], off
.LBB331_137:
	s_mov_b32 s18, 0
.LBB331_138:
	s_delay_alu instid0(SALU_CYCLE_1)
	s_and_not1_b32 vcc_lo, exec_lo, s18
	s_cbranch_vccnz .LBB331_140
; %bb.139:
	s_wait_loadcnt 0x0
	global_load_u16 v0, v[2:3], off
.LBB331_140:
	s_mov_b32 s18, 0
.LBB331_141:
	s_delay_alu instid0(SALU_CYCLE_1)
	s_and_not1_b32 vcc_lo, exec_lo, s18
	s_cbranch_vccnz .LBB331_147
; %bb.142:
	s_cmp_gt_i32 s0, 0
	s_mov_b32 s0, 0
	s_cbranch_scc0 .LBB331_144
; %bb.143:
	s_wait_loadcnt 0x0
	global_load_i8 v0, v[2:3], off
	s_branch .LBB331_145
.LBB331_144:
	s_mov_b32 s0, -1
                                        ; implicit-def: $vgpr0
.LBB331_145:
	s_delay_alu instid0(SALU_CYCLE_1)
	s_and_not1_b32 vcc_lo, exec_lo, s0
	s_cbranch_vccnz .LBB331_147
; %bb.146:
	s_wait_loadcnt 0x0
	global_load_u8 v0, v[2:3], off
.LBB331_147:
	s_branch .LBB331_11
.LBB331_148:
	s_mov_b32 s0, 0
	s_mov_b32 s19, 0
	s_branch .LBB331_372
.LBB331_149:
	s_mov_b32 s19, -1
.LBB331_150:
	s_mov_b32 s23, 0
                                        ; implicit-def: $vgpr4
.LBB331_151:
	s_and_b32 vcc_lo, exec_lo, s24
	s_cbranch_vccz .LBB331_266
; %bb.152:
	s_cmp_eq_u32 s18, 44
	s_cbranch_scc0 .LBB331_265
; %bb.153:
	s_wait_loadcnt 0x0
	global_load_u8 v1, v[2:3], off
	s_mov_b32 s19, 0
	s_mov_b32 s23, -1
	s_wait_loadcnt 0x0
	v_lshlrev_b32_e32 v4, 23, v1
	v_cmp_ne_u32_e32 vcc_lo, 0, v1
	s_delay_alu instid0(VALU_DEP_2) | instskip(NEXT) | instid1(VALU_DEP_1)
	v_cvt_u32_f32_e32 v4, v4
	v_cndmask_b32_e32 v4, 0, v4, vcc_lo
	s_branch .LBB331_266
.LBB331_154:
	s_mov_b32 s26, -1
	s_mov_b32 s0, 0
	s_mov_b32 s25, 0
.LBB331_155:
	s_and_b32 vcc_lo, exec_lo, s26
	s_cbranch_vccz .LBB331_160
; %bb.156:
	s_cmp_eq_u32 s24, 44
	s_mov_b32 s0, -1
	s_cbranch_scc0 .LBB331_160
; %bb.157:
	v_cndmask_b32_e64 v4, 0, 1.0, s18
	s_mov_b32 s25, exec_lo
	s_wait_xcnt 0x0
	s_delay_alu instid0(VALU_DEP_1) | instskip(NEXT) | instid1(VALU_DEP_1)
	v_dual_mov_b32 v3, 0xff :: v_dual_lshrrev_b32 v2, 23, v4
	v_cmpx_ne_u32_e32 0xff, v2
; %bb.158:
	v_and_b32_e32 v3, 0x400000, v4
	v_and_or_b32 v4, 0x3fffff, v4, v2
	s_delay_alu instid0(VALU_DEP_2) | instskip(NEXT) | instid1(VALU_DEP_2)
	v_cmp_ne_u32_e32 vcc_lo, 0, v3
	v_cmp_ne_u32_e64 s0, 0, v4
	s_and_b32 s0, vcc_lo, s0
	s_delay_alu instid0(SALU_CYCLE_1) | instskip(NEXT) | instid1(VALU_DEP_1)
	v_cndmask_b32_e64 v3, 0, 1, s0
	v_add_nc_u32_e32 v3, v2, v3
; %bb.159:
	s_or_b32 exec_lo, exec_lo, s25
	s_mov_b32 s25, -1
	s_mov_b32 s0, 0
	global_store_b8 v[0:1], v3, off
.LBB331_160:
	s_mov_b32 s26, 0
.LBB331_161:
	s_delay_alu instid0(SALU_CYCLE_1)
	s_and_b32 vcc_lo, exec_lo, s26
	s_cbranch_vccz .LBB331_164
; %bb.162:
	s_cmp_eq_u32 s24, 29
	s_mov_b32 s0, -1
	s_cbranch_scc0 .LBB331_164
; %bb.163:
	s_mov_b32 s0, 0
	s_wait_xcnt 0x0
	v_cndmask_b32_e64 v2, 0, 1, s18
	v_mov_b32_e32 v3, s0
	s_mov_b32 s25, -1
	s_mov_b32 s26, 0
	global_store_b64 v[0:1], v[2:3], off
	s_branch .LBB331_165
.LBB331_164:
	s_mov_b32 s26, 0
.LBB331_165:
	s_delay_alu instid0(SALU_CYCLE_1)
	s_and_b32 vcc_lo, exec_lo, s26
	s_cbranch_vccz .LBB331_181
; %bb.166:
	s_cmp_lt_i32 s24, 27
	s_mov_b32 s25, -1
	s_cbranch_scc1 .LBB331_172
; %bb.167:
	s_cmp_gt_i32 s24, 27
	s_cbranch_scc0 .LBB331_169
; %bb.168:
	s_wait_xcnt 0x0
	v_cndmask_b32_e64 v2, 0, 1, s18
	s_mov_b32 s25, 0
	global_store_b32 v[0:1], v2, off
.LBB331_169:
	s_and_not1_b32 vcc_lo, exec_lo, s25
	s_cbranch_vccnz .LBB331_171
; %bb.170:
	s_wait_xcnt 0x0
	v_cndmask_b32_e64 v2, 0, 1, s18
	global_store_b16 v[0:1], v2, off
.LBB331_171:
	s_mov_b32 s25, 0
.LBB331_172:
	s_delay_alu instid0(SALU_CYCLE_1)
	s_and_not1_b32 vcc_lo, exec_lo, s25
	s_cbranch_vccnz .LBB331_180
; %bb.173:
	s_wait_xcnt 0x0
	v_cndmask_b32_e64 v3, 0, 1.0, s18
	v_mov_b32_e32 v4, 0x80
	s_mov_b32 s25, exec_lo
	s_delay_alu instid0(VALU_DEP_2)
	v_cmpx_gt_u32_e32 0x43800000, v3
	s_cbranch_execz .LBB331_179
; %bb.174:
	s_mov_b32 s26, 0
	s_mov_b32 s27, exec_lo
                                        ; implicit-def: $vgpr2
	v_cmpx_lt_u32_e32 0x3bffffff, v3
	s_xor_b32 s27, exec_lo, s27
	s_cbranch_execz .LBB331_403
; %bb.175:
	v_bfe_u32 v2, v3, 20, 1
	s_mov_b32 s26, exec_lo
	s_delay_alu instid0(VALU_DEP_1) | instskip(NEXT) | instid1(VALU_DEP_1)
	v_add3_u32 v2, v3, v2, 0x487ffff
                                        ; implicit-def: $vgpr3
	v_lshrrev_b32_e32 v2, 20, v2
	s_and_not1_saveexec_b32 s27, s27
	s_cbranch_execnz .LBB331_404
.LBB331_176:
	s_or_b32 exec_lo, exec_lo, s27
	v_mov_b32_e32 v4, 0
	s_and_saveexec_b32 s27, s26
.LBB331_177:
	v_mov_b32_e32 v4, v2
.LBB331_178:
	s_or_b32 exec_lo, exec_lo, s27
.LBB331_179:
	s_delay_alu instid0(SALU_CYCLE_1)
	s_or_b32 exec_lo, exec_lo, s25
	global_store_b8 v[0:1], v4, off
.LBB331_180:
	s_mov_b32 s25, -1
.LBB331_181:
	s_mov_b32 s26, 0
.LBB331_182:
	s_delay_alu instid0(SALU_CYCLE_1)
	s_and_b32 vcc_lo, exec_lo, s26
	s_cbranch_vccz .LBB331_223
; %bb.183:
	s_cmp_gt_i32 s24, 22
	s_mov_b32 s26, -1
	s_cbranch_scc0 .LBB331_215
; %bb.184:
	s_cmp_lt_i32 s24, 24
	s_mov_b32 s25, -1
	s_cbranch_scc1 .LBB331_204
; %bb.185:
	s_cmp_gt_i32 s24, 24
	s_cbranch_scc0 .LBB331_193
; %bb.186:
	s_wait_xcnt 0x0
	v_cndmask_b32_e64 v3, 0, 1.0, s18
	v_mov_b32_e32 v4, 0x80
	s_mov_b32 s25, exec_lo
	s_delay_alu instid0(VALU_DEP_2)
	v_cmpx_gt_u32_e32 0x47800000, v3
	s_cbranch_execz .LBB331_192
; %bb.187:
	s_mov_b32 s26, 0
	s_mov_b32 s27, exec_lo
                                        ; implicit-def: $vgpr2
	v_cmpx_lt_u32_e32 0x37ffffff, v3
	s_xor_b32 s27, exec_lo, s27
	s_cbranch_execz .LBB331_518
; %bb.188:
	v_bfe_u32 v2, v3, 21, 1
	s_mov_b32 s26, exec_lo
	s_delay_alu instid0(VALU_DEP_1) | instskip(NEXT) | instid1(VALU_DEP_1)
	v_add3_u32 v2, v3, v2, 0x88fffff
                                        ; implicit-def: $vgpr3
	v_lshrrev_b32_e32 v2, 21, v2
	s_and_not1_saveexec_b32 s27, s27
	s_cbranch_execnz .LBB331_519
.LBB331_189:
	s_or_b32 exec_lo, exec_lo, s27
	v_mov_b32_e32 v4, 0
	s_and_saveexec_b32 s27, s26
.LBB331_190:
	v_mov_b32_e32 v4, v2
.LBB331_191:
	s_or_b32 exec_lo, exec_lo, s27
.LBB331_192:
	s_delay_alu instid0(SALU_CYCLE_1)
	s_or_b32 exec_lo, exec_lo, s25
	s_mov_b32 s25, 0
	global_store_b8 v[0:1], v4, off
.LBB331_193:
	s_and_b32 vcc_lo, exec_lo, s25
	s_cbranch_vccz .LBB331_203
; %bb.194:
	s_wait_xcnt 0x0
	v_cndmask_b32_e64 v3, 0, 1.0, s18
	s_mov_b32 s25, exec_lo
                                        ; implicit-def: $vgpr2
	s_delay_alu instid0(VALU_DEP_1)
	v_cmpx_gt_u32_e32 0x43f00000, v3
	s_xor_b32 s25, exec_lo, s25
	s_cbranch_execz .LBB331_200
; %bb.195:
	s_mov_b32 s26, exec_lo
                                        ; implicit-def: $vgpr2
	v_cmpx_lt_u32_e32 0x3c7fffff, v3
	s_xor_b32 s26, exec_lo, s26
; %bb.196:
	v_bfe_u32 v2, v3, 20, 1
	s_delay_alu instid0(VALU_DEP_1) | instskip(NEXT) | instid1(VALU_DEP_1)
	v_add3_u32 v2, v3, v2, 0x407ffff
	v_and_b32_e32 v3, 0xff00000, v2
	v_lshrrev_b32_e32 v2, 20, v2
	s_delay_alu instid0(VALU_DEP_2) | instskip(NEXT) | instid1(VALU_DEP_2)
	v_cmp_ne_u32_e32 vcc_lo, 0x7f00000, v3
                                        ; implicit-def: $vgpr3
	v_cndmask_b32_e32 v2, 0x7e, v2, vcc_lo
; %bb.197:
	s_and_not1_saveexec_b32 s26, s26
; %bb.198:
	v_add_f32_e32 v2, 0x46800000, v3
; %bb.199:
	s_or_b32 exec_lo, exec_lo, s26
                                        ; implicit-def: $vgpr3
.LBB331_200:
	s_and_not1_saveexec_b32 s25, s25
; %bb.201:
	v_mov_b32_e32 v2, 0x7f
	v_cmp_lt_u32_e32 vcc_lo, 0x7f800000, v3
	s_delay_alu instid0(VALU_DEP_2)
	v_cndmask_b32_e32 v2, 0x7e, v2, vcc_lo
; %bb.202:
	s_or_b32 exec_lo, exec_lo, s25
	global_store_b8 v[0:1], v2, off
.LBB331_203:
	s_mov_b32 s25, 0
.LBB331_204:
	s_delay_alu instid0(SALU_CYCLE_1)
	s_and_not1_b32 vcc_lo, exec_lo, s25
	s_cbranch_vccnz .LBB331_214
; %bb.205:
	s_wait_xcnt 0x0
	v_cndmask_b32_e64 v3, 0, 1.0, s18
	s_mov_b32 s25, exec_lo
                                        ; implicit-def: $vgpr2
	s_delay_alu instid0(VALU_DEP_1)
	v_cmpx_gt_u32_e32 0x47800000, v3
	s_xor_b32 s25, exec_lo, s25
	s_cbranch_execz .LBB331_211
; %bb.206:
	s_mov_b32 s26, exec_lo
                                        ; implicit-def: $vgpr2
	v_cmpx_lt_u32_e32 0x387fffff, v3
	s_xor_b32 s26, exec_lo, s26
; %bb.207:
	v_bfe_u32 v2, v3, 21, 1
	s_delay_alu instid0(VALU_DEP_1) | instskip(NEXT) | instid1(VALU_DEP_1)
	v_add3_u32 v2, v3, v2, 0x80fffff
                                        ; implicit-def: $vgpr3
	v_lshrrev_b32_e32 v2, 21, v2
; %bb.208:
	s_and_not1_saveexec_b32 s26, s26
; %bb.209:
	v_add_f32_e32 v2, 0x43000000, v3
; %bb.210:
	s_or_b32 exec_lo, exec_lo, s26
                                        ; implicit-def: $vgpr3
.LBB331_211:
	s_and_not1_saveexec_b32 s25, s25
; %bb.212:
	v_mov_b32_e32 v2, 0x7f
	v_cmp_lt_u32_e32 vcc_lo, 0x7f800000, v3
	s_delay_alu instid0(VALU_DEP_2)
	v_cndmask_b32_e32 v2, 0x7c, v2, vcc_lo
; %bb.213:
	s_or_b32 exec_lo, exec_lo, s25
	global_store_b8 v[0:1], v2, off
.LBB331_214:
	s_mov_b32 s26, 0
	s_mov_b32 s25, -1
.LBB331_215:
	s_and_not1_b32 vcc_lo, exec_lo, s26
	s_cbranch_vccnz .LBB331_223
; %bb.216:
	s_cmp_gt_i32 s24, 14
	s_mov_b32 s26, -1
	s_cbranch_scc0 .LBB331_220
; %bb.217:
	s_cmp_eq_u32 s24, 15
	s_mov_b32 s0, -1
	s_cbranch_scc0 .LBB331_219
; %bb.218:
	s_wait_xcnt 0x0
	v_cndmask_b32_e64 v2, 0, 1.0, s18
	s_mov_b32 s25, -1
	s_mov_b32 s0, 0
	s_delay_alu instid0(VALU_DEP_1) | instskip(NEXT) | instid1(VALU_DEP_1)
	v_bfe_u32 v3, v2, 16, 1
	v_add3_u32 v2, v2, v3, 0x7fff
	global_store_d16_hi_b16 v[0:1], v2, off
.LBB331_219:
	s_mov_b32 s26, 0
.LBB331_220:
	s_delay_alu instid0(SALU_CYCLE_1)
	s_and_b32 vcc_lo, exec_lo, s26
	s_cbranch_vccz .LBB331_223
; %bb.221:
	s_cmp_eq_u32 s24, 11
	s_mov_b32 s0, -1
	s_cbranch_scc0 .LBB331_223
; %bb.222:
	s_wait_xcnt 0x0
	v_cndmask_b32_e64 v2, 0, 1, s18
	s_mov_b32 s25, -1
	s_mov_b32 s0, 0
	global_store_b8 v[0:1], v2, off
.LBB331_223:
	s_mov_b32 s24, 0
.LBB331_224:
	s_delay_alu instid0(SALU_CYCLE_1)
	s_and_b32 vcc_lo, exec_lo, s24
	s_cbranch_vccz .LBB331_263
; %bb.225:
	s_and_b32 s23, 0xffff, s23
	s_mov_b32 s24, -1
	s_cmp_lt_i32 s23, 5
	s_cbranch_scc1 .LBB331_246
; %bb.226:
	s_cmp_lt_i32 s23, 8
	s_cbranch_scc1 .LBB331_236
; %bb.227:
	;; [unrolled: 3-line block ×3, first 2 shown]
	s_cmp_gt_i32 s23, 9
	s_cbranch_scc0 .LBB331_230
; %bb.229:
	s_wait_xcnt 0x0
	v_cndmask_b32_e64 v2, 0, 1, s18
	v_mov_b32_e32 v4, 0
	s_mov_b32 s24, 0
	s_delay_alu instid0(VALU_DEP_2) | instskip(NEXT) | instid1(VALU_DEP_2)
	v_cvt_f64_u32_e32 v[2:3], v2
	v_mov_b32_e32 v5, v4
	global_store_b128 v[0:1], v[2:5], off
.LBB331_230:
	s_and_not1_b32 vcc_lo, exec_lo, s24
	s_cbranch_vccnz .LBB331_232
; %bb.231:
	s_wait_xcnt 0x0
	v_cndmask_b32_e64 v2, 0, 1.0, s18
	v_mov_b32_e32 v3, 0
	global_store_b64 v[0:1], v[2:3], off
.LBB331_232:
	s_mov_b32 s24, 0
.LBB331_233:
	s_delay_alu instid0(SALU_CYCLE_1)
	s_and_not1_b32 vcc_lo, exec_lo, s24
	s_cbranch_vccnz .LBB331_235
; %bb.234:
	s_wait_xcnt 0x0
	v_cndmask_b32_e64 v2, 0, 1.0, s18
	s_delay_alu instid0(VALU_DEP_1) | instskip(NEXT) | instid1(VALU_DEP_1)
	v_cvt_f16_f32_e32 v2, v2
	v_and_b32_e32 v2, 0xffff, v2
	global_store_b32 v[0:1], v2, off
.LBB331_235:
	s_mov_b32 s24, 0
.LBB331_236:
	s_delay_alu instid0(SALU_CYCLE_1)
	s_and_not1_b32 vcc_lo, exec_lo, s24
	s_cbranch_vccnz .LBB331_245
; %bb.237:
	s_cmp_lt_i32 s23, 6
	s_mov_b32 s24, -1
	s_cbranch_scc1 .LBB331_243
; %bb.238:
	s_cmp_gt_i32 s23, 6
	s_cbranch_scc0 .LBB331_240
; %bb.239:
	s_wait_xcnt 0x0
	v_cndmask_b32_e64 v2, 0, 1, s18
	s_mov_b32 s24, 0
	s_delay_alu instid0(VALU_DEP_1)
	v_cvt_f64_u32_e32 v[2:3], v2
	global_store_b64 v[0:1], v[2:3], off
.LBB331_240:
	s_and_not1_b32 vcc_lo, exec_lo, s24
	s_cbranch_vccnz .LBB331_242
; %bb.241:
	s_wait_xcnt 0x0
	v_cndmask_b32_e64 v2, 0, 1.0, s18
	global_store_b32 v[0:1], v2, off
.LBB331_242:
	s_mov_b32 s24, 0
.LBB331_243:
	s_delay_alu instid0(SALU_CYCLE_1)
	s_and_not1_b32 vcc_lo, exec_lo, s24
	s_cbranch_vccnz .LBB331_245
; %bb.244:
	s_wait_xcnt 0x0
	v_cndmask_b32_e64 v2, 0, 1.0, s18
	s_delay_alu instid0(VALU_DEP_1)
	v_cvt_f16_f32_e32 v2, v2
	global_store_b16 v[0:1], v2, off
.LBB331_245:
	s_mov_b32 s24, 0
.LBB331_246:
	s_delay_alu instid0(SALU_CYCLE_1)
	s_and_not1_b32 vcc_lo, exec_lo, s24
	s_cbranch_vccnz .LBB331_262
; %bb.247:
	s_cmp_lt_i32 s23, 2
	s_mov_b32 s24, -1
	s_cbranch_scc1 .LBB331_257
; %bb.248:
	s_cmp_lt_i32 s23, 3
	s_cbranch_scc1 .LBB331_254
; %bb.249:
	s_cmp_gt_i32 s23, 3
	s_cbranch_scc0 .LBB331_251
; %bb.250:
	s_mov_b32 s24, 0
	s_wait_xcnt 0x0
	v_cndmask_b32_e64 v2, 0, 1, s18
	v_mov_b32_e32 v3, s24
	global_store_b64 v[0:1], v[2:3], off
.LBB331_251:
	s_and_not1_b32 vcc_lo, exec_lo, s24
	s_cbranch_vccnz .LBB331_253
; %bb.252:
	s_wait_xcnt 0x0
	v_cndmask_b32_e64 v2, 0, 1, s18
	global_store_b32 v[0:1], v2, off
.LBB331_253:
	s_mov_b32 s24, 0
.LBB331_254:
	s_delay_alu instid0(SALU_CYCLE_1)
	s_and_not1_b32 vcc_lo, exec_lo, s24
	s_cbranch_vccnz .LBB331_256
; %bb.255:
	s_wait_xcnt 0x0
	v_cndmask_b32_e64 v2, 0, 1, s18
	global_store_b16 v[0:1], v2, off
.LBB331_256:
	s_mov_b32 s24, 0
.LBB331_257:
	s_delay_alu instid0(SALU_CYCLE_1)
	s_and_not1_b32 vcc_lo, exec_lo, s24
	s_cbranch_vccnz .LBB331_262
; %bb.258:
	s_wait_xcnt 0x0
	v_cndmask_b32_e64 v2, 0, 1, s18
	s_cmp_gt_i32 s23, 0
	s_mov_b32 s18, -1
	s_cbranch_scc0 .LBB331_260
; %bb.259:
	s_mov_b32 s18, 0
	global_store_b8 v[0:1], v2, off
.LBB331_260:
	s_and_not1_b32 vcc_lo, exec_lo, s18
	s_cbranch_vccnz .LBB331_262
; %bb.261:
	global_store_b8 v[0:1], v2, off
.LBB331_262:
	s_mov_b32 s25, -1
.LBB331_263:
	s_delay_alu instid0(SALU_CYCLE_1)
	s_and_not1_b32 vcc_lo, exec_lo, s25
	s_cbranch_vccnz .LBB331_372
; %bb.264:
	v_add_nc_u32_e32 v18, 0x80, v18
	s_mov_b32 s23, -1
	s_branch .LBB331_373
.LBB331_265:
	s_mov_b32 s19, -1
                                        ; implicit-def: $vgpr4
.LBB331_266:
	s_mov_b32 s24, 0
.LBB331_267:
	s_delay_alu instid0(SALU_CYCLE_1)
	s_and_b32 vcc_lo, exec_lo, s24
	s_cbranch_vccz .LBB331_271
; %bb.268:
	s_cmp_eq_u32 s18, 29
	s_cbranch_scc0 .LBB331_270
; %bb.269:
	global_load_b64 v[4:5], v[2:3], off
	s_mov_b32 s23, -1
	s_mov_b32 s19, 0
	s_branch .LBB331_271
.LBB331_270:
	s_mov_b32 s19, -1
                                        ; implicit-def: $vgpr4
.LBB331_271:
	s_mov_b32 s24, 0
.LBB331_272:
	s_delay_alu instid0(SALU_CYCLE_1)
	s_and_b32 vcc_lo, exec_lo, s24
	s_cbranch_vccz .LBB331_288
; %bb.273:
	s_cmp_lt_i32 s18, 27
	s_cbranch_scc1 .LBB331_276
; %bb.274:
	s_cmp_gt_i32 s18, 27
	s_cbranch_scc0 .LBB331_277
; %bb.275:
	s_wait_loadcnt 0x0
	global_load_b32 v4, v[2:3], off
	s_mov_b32 s23, 0
	s_branch .LBB331_278
.LBB331_276:
	s_mov_b32 s23, -1
                                        ; implicit-def: $vgpr4
	s_branch .LBB331_281
.LBB331_277:
	s_mov_b32 s23, -1
                                        ; implicit-def: $vgpr4
.LBB331_278:
	s_delay_alu instid0(SALU_CYCLE_1)
	s_and_not1_b32 vcc_lo, exec_lo, s23
	s_cbranch_vccnz .LBB331_280
; %bb.279:
	s_wait_loadcnt 0x0
	global_load_u16 v4, v[2:3], off
.LBB331_280:
	s_mov_b32 s23, 0
.LBB331_281:
	s_delay_alu instid0(SALU_CYCLE_1)
	s_and_not1_b32 vcc_lo, exec_lo, s23
	s_cbranch_vccnz .LBB331_287
; %bb.282:
	s_wait_loadcnt 0x0
	global_load_u8 v1, v[2:3], off
	s_mov_b32 s24, 0
	s_mov_b32 s23, exec_lo
	s_wait_loadcnt 0x0
	v_cmpx_lt_i16_e32 0x7f, v1
	s_xor_b32 s23, exec_lo, s23
	s_cbranch_execz .LBB331_299
; %bb.283:
	v_cmp_ne_u16_e32 vcc_lo, 0x80, v1
	s_and_b32 s24, vcc_lo, exec_lo
	s_and_not1_saveexec_b32 s23, s23
	s_cbranch_execnz .LBB331_300
.LBB331_284:
	s_or_b32 exec_lo, exec_lo, s23
	v_mov_b32_e32 v4, 0
	s_and_saveexec_b32 s23, s24
	s_cbranch_execz .LBB331_286
.LBB331_285:
	v_and_b32_e32 v4, 0xffff, v1
	s_delay_alu instid0(VALU_DEP_1) | instskip(SKIP_1) | instid1(VALU_DEP_2)
	v_and_b32_e32 v5, 7, v4
	v_bfe_u32 v8, v4, 3, 4
	v_clz_i32_u32_e32 v6, v5
	s_delay_alu instid0(VALU_DEP_2) | instskip(NEXT) | instid1(VALU_DEP_2)
	v_cmp_eq_u32_e32 vcc_lo, 0, v8
	v_min_u32_e32 v6, 32, v6
	s_delay_alu instid0(VALU_DEP_1) | instskip(NEXT) | instid1(VALU_DEP_1)
	v_subrev_nc_u32_e32 v7, 28, v6
	v_dual_lshlrev_b32 v4, v7, v4 :: v_dual_sub_nc_u32 v6, 29, v6
	s_delay_alu instid0(VALU_DEP_1) | instskip(NEXT) | instid1(VALU_DEP_1)
	v_dual_lshlrev_b32 v1, 24, v1 :: v_dual_bitop2_b32 v4, 7, v4 bitop3:0x40
	v_dual_cndmask_b32 v6, v8, v6, vcc_lo :: v_dual_cndmask_b32 v4, v5, v4, vcc_lo
	s_delay_alu instid0(VALU_DEP_2) | instskip(NEXT) | instid1(VALU_DEP_2)
	v_and_b32_e32 v1, 0x80000000, v1
	v_lshl_add_u32 v5, v6, 23, 0x3b800000
	s_delay_alu instid0(VALU_DEP_3) | instskip(NEXT) | instid1(VALU_DEP_1)
	v_lshlrev_b32_e32 v4, 20, v4
	v_or3_b32 v1, v1, v5, v4
	s_delay_alu instid0(VALU_DEP_1)
	v_cvt_u32_f32_e32 v4, v1
.LBB331_286:
	s_or_b32 exec_lo, exec_lo, s23
.LBB331_287:
	s_mov_b32 s23, -1
.LBB331_288:
	s_mov_b32 s24, 0
.LBB331_289:
	s_delay_alu instid0(SALU_CYCLE_1)
	s_and_b32 vcc_lo, exec_lo, s24
	s_cbranch_vccz .LBB331_322
; %bb.290:
	s_cmp_gt_i32 s18, 22
	s_cbranch_scc0 .LBB331_298
; %bb.291:
	s_cmp_lt_i32 s18, 24
	s_cbranch_scc1 .LBB331_301
; %bb.292:
	s_cmp_gt_i32 s18, 24
	s_cbranch_scc0 .LBB331_302
; %bb.293:
	s_wait_loadcnt 0x0
	global_load_u8 v1, v[2:3], off
	s_mov_b32 s24, 0
	s_mov_b32 s23, exec_lo
	s_wait_loadcnt 0x0
	v_cmpx_lt_i16_e32 0x7f, v1
	s_xor_b32 s23, exec_lo, s23
	s_cbranch_execz .LBB331_314
; %bb.294:
	v_cmp_ne_u16_e32 vcc_lo, 0x80, v1
	s_and_b32 s24, vcc_lo, exec_lo
	s_and_not1_saveexec_b32 s23, s23
	s_cbranch_execnz .LBB331_315
.LBB331_295:
	s_or_b32 exec_lo, exec_lo, s23
	v_mov_b32_e32 v4, 0
	s_and_saveexec_b32 s23, s24
	s_cbranch_execz .LBB331_297
.LBB331_296:
	v_and_b32_e32 v4, 0xffff, v1
	s_delay_alu instid0(VALU_DEP_1) | instskip(SKIP_1) | instid1(VALU_DEP_2)
	v_and_b32_e32 v5, 3, v4
	v_bfe_u32 v8, v4, 2, 5
	v_clz_i32_u32_e32 v6, v5
	s_delay_alu instid0(VALU_DEP_2) | instskip(NEXT) | instid1(VALU_DEP_2)
	v_cmp_eq_u32_e32 vcc_lo, 0, v8
	v_min_u32_e32 v6, 32, v6
	s_delay_alu instid0(VALU_DEP_1) | instskip(NEXT) | instid1(VALU_DEP_1)
	v_subrev_nc_u32_e32 v7, 29, v6
	v_dual_lshlrev_b32 v4, v7, v4 :: v_dual_sub_nc_u32 v6, 30, v6
	s_delay_alu instid0(VALU_DEP_1) | instskip(NEXT) | instid1(VALU_DEP_1)
	v_dual_lshlrev_b32 v1, 24, v1 :: v_dual_bitop2_b32 v4, 3, v4 bitop3:0x40
	v_dual_cndmask_b32 v6, v8, v6, vcc_lo :: v_dual_cndmask_b32 v4, v5, v4, vcc_lo
	s_delay_alu instid0(VALU_DEP_2) | instskip(NEXT) | instid1(VALU_DEP_2)
	v_and_b32_e32 v1, 0x80000000, v1
	v_lshl_add_u32 v5, v6, 23, 0x37800000
	s_delay_alu instid0(VALU_DEP_3) | instskip(NEXT) | instid1(VALU_DEP_1)
	v_lshlrev_b32_e32 v4, 21, v4
	v_or3_b32 v1, v1, v5, v4
	s_delay_alu instid0(VALU_DEP_1)
	v_cvt_u32_f32_e32 v4, v1
.LBB331_297:
	s_or_b32 exec_lo, exec_lo, s23
	s_mov_b32 s23, 0
	s_branch .LBB331_303
.LBB331_298:
	s_mov_b32 s24, -1
                                        ; implicit-def: $vgpr4
	s_branch .LBB331_309
.LBB331_299:
	s_and_not1_saveexec_b32 s23, s23
	s_cbranch_execz .LBB331_284
.LBB331_300:
	v_cmp_ne_u16_e32 vcc_lo, 0, v1
	s_and_not1_b32 s24, s24, exec_lo
	s_and_b32 s25, vcc_lo, exec_lo
	s_delay_alu instid0(SALU_CYCLE_1)
	s_or_b32 s24, s24, s25
	s_or_b32 exec_lo, exec_lo, s23
	v_mov_b32_e32 v4, 0
	s_and_saveexec_b32 s23, s24
	s_cbranch_execnz .LBB331_285
	s_branch .LBB331_286
.LBB331_301:
	s_mov_b32 s23, -1
                                        ; implicit-def: $vgpr4
	s_branch .LBB331_306
.LBB331_302:
	s_mov_b32 s23, -1
                                        ; implicit-def: $vgpr4
.LBB331_303:
	s_delay_alu instid0(SALU_CYCLE_1)
	s_and_b32 vcc_lo, exec_lo, s23
	s_cbranch_vccz .LBB331_305
; %bb.304:
	s_wait_loadcnt 0x0
	global_load_u8 v1, v[2:3], off
	s_wait_loadcnt 0x0
	v_lshlrev_b32_e32 v1, 24, v1
	s_delay_alu instid0(VALU_DEP_1) | instskip(NEXT) | instid1(VALU_DEP_1)
	v_and_b32_e32 v4, 0x7f000000, v1
	v_clz_i32_u32_e32 v5, v4
	v_cmp_ne_u32_e32 vcc_lo, 0, v4
	v_add_nc_u32_e32 v7, 0x1000000, v4
	s_delay_alu instid0(VALU_DEP_3) | instskip(NEXT) | instid1(VALU_DEP_1)
	v_min_u32_e32 v5, 32, v5
	v_sub_nc_u32_e64 v5, v5, 4 clamp
	s_delay_alu instid0(VALU_DEP_1) | instskip(NEXT) | instid1(VALU_DEP_1)
	v_dual_lshlrev_b32 v6, v5, v4 :: v_dual_lshlrev_b32 v5, 23, v5
	v_lshrrev_b32_e32 v6, 4, v6
	s_delay_alu instid0(VALU_DEP_1) | instskip(NEXT) | instid1(VALU_DEP_1)
	v_dual_sub_nc_u32 v5, v6, v5 :: v_dual_ashrrev_i32 v6, 8, v7
	v_add_nc_u32_e32 v5, 0x3c000000, v5
	s_delay_alu instid0(VALU_DEP_1) | instskip(NEXT) | instid1(VALU_DEP_1)
	v_and_or_b32 v5, 0x7f800000, v6, v5
	v_cndmask_b32_e32 v4, 0, v5, vcc_lo
	s_delay_alu instid0(VALU_DEP_1) | instskip(NEXT) | instid1(VALU_DEP_1)
	v_and_or_b32 v1, 0x80000000, v1, v4
	v_cvt_u32_f32_e32 v4, v1
.LBB331_305:
	s_mov_b32 s23, 0
.LBB331_306:
	s_delay_alu instid0(SALU_CYCLE_1)
	s_and_not1_b32 vcc_lo, exec_lo, s23
	s_cbranch_vccnz .LBB331_308
; %bb.307:
	s_wait_loadcnt 0x0
	global_load_u8 v1, v[2:3], off
	s_wait_loadcnt 0x0
	v_lshlrev_b32_e32 v4, 25, v1
	v_lshlrev_b16 v1, 8, v1
	s_delay_alu instid0(VALU_DEP_1) | instskip(SKIP_1) | instid1(VALU_DEP_2)
	v_and_or_b32 v6, 0x7f00, v1, 0.5
	v_bfe_i32 v1, v1, 0, 16
	v_dual_add_f32 v6, -0.5, v6 :: v_dual_lshrrev_b32 v5, 4, v4
	v_cmp_gt_u32_e32 vcc_lo, 0x8000000, v4
	s_delay_alu instid0(VALU_DEP_2) | instskip(NEXT) | instid1(VALU_DEP_1)
	v_or_b32_e32 v5, 0x70000000, v5
	v_mul_f32_e32 v5, 0x7800000, v5
	s_delay_alu instid0(VALU_DEP_1) | instskip(NEXT) | instid1(VALU_DEP_1)
	v_cndmask_b32_e32 v4, v5, v6, vcc_lo
	v_and_or_b32 v1, 0x80000000, v1, v4
	s_delay_alu instid0(VALU_DEP_1)
	v_cvt_u32_f32_e32 v4, v1
.LBB331_308:
	s_mov_b32 s24, 0
	s_mov_b32 s23, -1
.LBB331_309:
	s_and_not1_b32 vcc_lo, exec_lo, s24
	s_cbranch_vccnz .LBB331_322
; %bb.310:
	s_cmp_gt_i32 s18, 14
	s_cbranch_scc0 .LBB331_313
; %bb.311:
	s_cmp_eq_u32 s18, 15
	s_cbranch_scc0 .LBB331_316
; %bb.312:
	s_wait_loadcnt 0x0
	global_load_u16 v1, v[2:3], off
	s_mov_b32 s23, -1
	s_mov_b32 s19, 0
	s_wait_loadcnt 0x0
	v_lshlrev_b32_e32 v1, 16, v1
	s_delay_alu instid0(VALU_DEP_1)
	v_cvt_u32_f32_e32 v4, v1
	s_branch .LBB331_317
.LBB331_313:
	s_mov_b32 s24, -1
                                        ; implicit-def: $vgpr4
	s_branch .LBB331_318
.LBB331_314:
	s_and_not1_saveexec_b32 s23, s23
	s_cbranch_execz .LBB331_295
.LBB331_315:
	v_cmp_ne_u16_e32 vcc_lo, 0, v1
	s_and_not1_b32 s24, s24, exec_lo
	s_and_b32 s25, vcc_lo, exec_lo
	s_delay_alu instid0(SALU_CYCLE_1)
	s_or_b32 s24, s24, s25
	s_or_b32 exec_lo, exec_lo, s23
	v_mov_b32_e32 v4, 0
	s_and_saveexec_b32 s23, s24
	s_cbranch_execnz .LBB331_296
	s_branch .LBB331_297
.LBB331_316:
	s_mov_b32 s19, -1
                                        ; implicit-def: $vgpr4
.LBB331_317:
	s_mov_b32 s24, 0
.LBB331_318:
	s_delay_alu instid0(SALU_CYCLE_1)
	s_and_b32 vcc_lo, exec_lo, s24
	s_cbranch_vccz .LBB331_322
; %bb.319:
	s_cmp_eq_u32 s18, 11
	s_cbranch_scc0 .LBB331_321
; %bb.320:
	s_wait_loadcnt 0x0
	global_load_u8 v1, v[2:3], off
	s_mov_b32 s19, 0
	s_mov_b32 s23, -1
	s_wait_loadcnt 0x0
	v_cmp_ne_u16_e32 vcc_lo, 0, v1
	v_cndmask_b32_e64 v4, 0, 1, vcc_lo
	s_branch .LBB331_322
.LBB331_321:
	s_mov_b32 s19, -1
                                        ; implicit-def: $vgpr4
.LBB331_322:
	s_branch .LBB331_20
.LBB331_323:
	s_and_b32 s0, 0xffff, s0
	s_delay_alu instid0(SALU_CYCLE_1)
	s_cmp_lt_i32 s0, 5
	s_cbranch_scc1 .LBB331_328
; %bb.324:
	s_cmp_lt_i32 s0, 8
	s_cbranch_scc1 .LBB331_329
; %bb.325:
	;; [unrolled: 3-line block ×3, first 2 shown]
	s_cmp_gt_i32 s0, 9
	s_cbranch_scc0 .LBB331_331
; %bb.327:
	s_wait_loadcnt 0x0
	global_load_b64 v[4:5], v[2:3], off
	s_mov_b32 s18, 0
	s_wait_loadcnt 0x0
	v_cvt_u32_f64_e32 v4, v[4:5]
	s_branch .LBB331_332
.LBB331_328:
	s_mov_b32 s18, -1
                                        ; implicit-def: $vgpr4
	s_branch .LBB331_350
.LBB331_329:
	s_mov_b32 s18, -1
                                        ; implicit-def: $vgpr4
	s_branch .LBB331_338
.LBB331_330:
	s_mov_b32 s18, -1
                                        ; implicit-def: $vgpr4
	s_branch .LBB331_335
.LBB331_331:
	s_mov_b32 s18, -1
                                        ; implicit-def: $vgpr4
.LBB331_332:
	s_delay_alu instid0(SALU_CYCLE_1)
	s_and_not1_b32 vcc_lo, exec_lo, s18
	s_cbranch_vccnz .LBB331_334
; %bb.333:
	s_wait_loadcnt 0x0
	global_load_b32 v1, v[2:3], off
	s_wait_loadcnt 0x0
	v_cvt_u32_f32_e32 v4, v1
.LBB331_334:
	s_mov_b32 s18, 0
.LBB331_335:
	s_delay_alu instid0(SALU_CYCLE_1)
	s_and_not1_b32 vcc_lo, exec_lo, s18
	s_cbranch_vccnz .LBB331_337
; %bb.336:
	s_wait_loadcnt 0x0
	global_load_b32 v1, v[2:3], off
	s_wait_loadcnt 0x0
	v_cvt_u16_f16_e32 v4, v1
.LBB331_337:
	s_mov_b32 s18, 0
.LBB331_338:
	s_delay_alu instid0(SALU_CYCLE_1)
	s_and_not1_b32 vcc_lo, exec_lo, s18
	s_cbranch_vccnz .LBB331_349
; %bb.339:
	s_cmp_lt_i32 s0, 6
	s_cbranch_scc1 .LBB331_342
; %bb.340:
	s_cmp_gt_i32 s0, 6
	s_cbranch_scc0 .LBB331_343
; %bb.341:
	s_wait_loadcnt 0x0
	global_load_b64 v[4:5], v[2:3], off
	s_mov_b32 s18, 0
	s_wait_loadcnt 0x0
	v_cvt_u32_f64_e32 v4, v[4:5]
	s_branch .LBB331_344
.LBB331_342:
	s_mov_b32 s18, -1
                                        ; implicit-def: $vgpr4
	s_branch .LBB331_347
.LBB331_343:
	s_mov_b32 s18, -1
                                        ; implicit-def: $vgpr4
.LBB331_344:
	s_delay_alu instid0(SALU_CYCLE_1)
	s_and_not1_b32 vcc_lo, exec_lo, s18
	s_cbranch_vccnz .LBB331_346
; %bb.345:
	s_wait_loadcnt 0x0
	global_load_b32 v1, v[2:3], off
	s_wait_loadcnt 0x0
	v_cvt_u32_f32_e32 v4, v1
.LBB331_346:
	s_mov_b32 s18, 0
.LBB331_347:
	s_delay_alu instid0(SALU_CYCLE_1)
	s_and_not1_b32 vcc_lo, exec_lo, s18
	s_cbranch_vccnz .LBB331_349
; %bb.348:
	s_wait_loadcnt 0x0
	global_load_u16 v1, v[2:3], off
	s_wait_loadcnt 0x0
	v_cvt_u16_f16_e32 v4, v1
.LBB331_349:
	s_mov_b32 s18, 0
.LBB331_350:
	s_delay_alu instid0(SALU_CYCLE_1)
	s_and_not1_b32 vcc_lo, exec_lo, s18
	s_cbranch_vccnz .LBB331_370
; %bb.351:
	s_cmp_lt_i32 s0, 2
	s_cbranch_scc1 .LBB331_355
; %bb.352:
	s_cmp_lt_i32 s0, 3
	s_cbranch_scc1 .LBB331_356
; %bb.353:
	s_cmp_gt_i32 s0, 3
	s_cbranch_scc0 .LBB331_357
; %bb.354:
	s_wait_loadcnt 0x0
	global_load_b64 v[4:5], v[2:3], off
	s_mov_b32 s18, 0
	s_branch .LBB331_358
.LBB331_355:
	s_mov_b32 s18, -1
                                        ; implicit-def: $vgpr4
	s_branch .LBB331_364
.LBB331_356:
	s_mov_b32 s18, -1
                                        ; implicit-def: $vgpr4
	s_branch .LBB331_361
.LBB331_357:
	s_mov_b32 s18, -1
                                        ; implicit-def: $vgpr4
.LBB331_358:
	s_delay_alu instid0(SALU_CYCLE_1)
	s_and_not1_b32 vcc_lo, exec_lo, s18
	s_cbranch_vccnz .LBB331_360
; %bb.359:
	s_wait_loadcnt 0x0
	global_load_b32 v4, v[2:3], off
.LBB331_360:
	s_mov_b32 s18, 0
.LBB331_361:
	s_delay_alu instid0(SALU_CYCLE_1)
	s_and_not1_b32 vcc_lo, exec_lo, s18
	s_cbranch_vccnz .LBB331_363
; %bb.362:
	s_wait_loadcnt 0x0
	global_load_u16 v4, v[2:3], off
.LBB331_363:
	s_mov_b32 s18, 0
.LBB331_364:
	s_delay_alu instid0(SALU_CYCLE_1)
	s_and_not1_b32 vcc_lo, exec_lo, s18
	s_cbranch_vccnz .LBB331_370
; %bb.365:
	s_cmp_gt_i32 s0, 0
	s_mov_b32 s0, 0
	s_cbranch_scc0 .LBB331_367
; %bb.366:
	s_wait_loadcnt 0x0
	global_load_i8 v4, v[2:3], off
	s_branch .LBB331_368
.LBB331_367:
	s_mov_b32 s0, -1
                                        ; implicit-def: $vgpr4
.LBB331_368:
	s_delay_alu instid0(SALU_CYCLE_1)
	s_and_not1_b32 vcc_lo, exec_lo, s0
	s_cbranch_vccnz .LBB331_370
; %bb.369:
	s_wait_loadcnt 0x0
	global_load_u8 v4, v[2:3], off
.LBB331_370:
	s_branch .LBB331_21
.LBB331_371:
	s_mov_b32 s0, 0
.LBB331_372:
	s_mov_b32 s23, 0
                                        ; implicit-def: $vgpr18
.LBB331_373:
	s_and_b32 s18, s0, exec_lo
	s_and_b32 s19, s19, exec_lo
	;; [unrolled: 1-line block ×3, first 2 shown]
	s_or_not1_b32 s25, s23, exec_lo
.LBB331_374:
	s_wait_xcnt 0x0
	s_or_b32 exec_lo, exec_lo, s21
	s_mov_b32 s24, 0
	s_mov_b32 s23, 0
                                        ; implicit-def: $sgpr0
                                        ; implicit-def: $vgpr2_vgpr3
                                        ; implicit-def: $vgpr0
	s_and_saveexec_b32 s21, s25
	s_cbranch_execz .LBB331_383
; %bb.375:
	s_mov_b32 s27, -1
	s_mov_b32 s22, s20
	s_mov_b32 s24, s19
	;; [unrolled: 1-line block ×3, first 2 shown]
	s_mov_b32 s25, exec_lo
	v_cmpx_gt_i32_e64 s17, v18
	s_cbranch_execz .LBB331_759
; %bb.376:
	s_wait_loadcnt 0x0
	v_mul_lo_u32 v0, v18, s9
	s_and_b32 s0, s14, 0xff
	s_delay_alu instid0(SALU_CYCLE_1) | instskip(NEXT) | instid1(VALU_DEP_1)
	s_cmp_lt_i32 s0, 11
	v_ashrrev_i32_e32 v1, 31, v0
	s_delay_alu instid0(VALU_DEP_1)
	v_add_nc_u64_e32 v[2:3], s[6:7], v[0:1]
	s_cbranch_scc1 .LBB331_386
; %bb.377:
	s_and_b32 s23, 0xffff, s0
	s_delay_alu instid0(SALU_CYCLE_1)
	s_cmp_gt_i32 s23, 25
	s_cbranch_scc0 .LBB331_395
; %bb.378:
	s_cmp_gt_i32 s23, 28
	s_cbranch_scc0 .LBB331_397
; %bb.379:
	;; [unrolled: 3-line block ×4, first 2 shown]
	s_cmp_eq_u32 s23, 46
	s_mov_b32 s26, 0
	s_cbranch_scc0 .LBB331_405
; %bb.382:
	global_load_b32 v0, v[2:3], off
	s_mov_b32 s24, -1
	s_mov_b32 s22, 0
	s_wait_loadcnt 0x0
	v_lshlrev_b32_e32 v0, 16, v0
	s_delay_alu instid0(VALU_DEP_1)
	v_cvt_u32_f32_e32 v0, v0
	s_branch .LBB331_407
.LBB331_383:
	s_or_b32 exec_lo, exec_lo, s21
	s_mov_b32 s17, 0
	s_and_saveexec_b32 s21, s20
	s_cbranch_execnz .LBB331_1223
.LBB331_384:
	s_or_b32 exec_lo, exec_lo, s21
	s_and_saveexec_b32 s20, s22
	s_delay_alu instid0(SALU_CYCLE_1)
	s_xor_b32 s20, exec_lo, s20
	s_cbranch_execz .LBB331_1224
.LBB331_385:
	s_wait_loadcnt 0x0
	global_load_u8 v0, v[2:3], off
	s_or_b32 s23, s23, exec_lo
	s_wait_loadcnt 0x0
	v_cmp_ne_u16_e32 vcc_lo, 0, v0
	v_cndmask_b32_e64 v0, 0, 1, vcc_lo
	s_wait_xcnt 0x0
	s_or_b32 exec_lo, exec_lo, s20
	s_and_saveexec_b32 s20, s24
	s_cbranch_execz .LBB331_1270
	s_branch .LBB331_1225
.LBB331_386:
	s_mov_b32 s24, 0
	s_mov_b32 s22, s20
                                        ; implicit-def: $vgpr0
	s_cbranch_execnz .LBB331_469
.LBB331_387:
	s_and_not1_b32 vcc_lo, exec_lo, s24
	s_cbranch_vccnz .LBB331_517
.LBB331_388:
	s_wait_xcnt 0x0
	v_mul_lo_u32 v2, v18, s10
	s_and_b32 s0, s1, 0xff
	s_delay_alu instid0(SALU_CYCLE_1) | instskip(NEXT) | instid1(VALU_DEP_1)
	s_cmp_lt_i32 s0, 11
	v_ashrrev_i32_e32 v3, 31, v2
	s_delay_alu instid0(VALU_DEP_1)
	v_add_nc_u64_e32 v[2:3], s[2:3], v[2:3]
	s_cbranch_scc1 .LBB331_396
; %bb.389:
	s_and_b32 s23, 0xffff, s0
	s_delay_alu instid0(SALU_CYCLE_1)
	s_cmp_gt_i32 s23, 25
	s_cbranch_scc0 .LBB331_398
; %bb.390:
	s_cmp_gt_i32 s23, 28
	s_cbranch_scc0 .LBB331_400
; %bb.391:
	;; [unrolled: 3-line block ×4, first 2 shown]
	s_cmp_eq_u32 s23, 46
	s_mov_b32 s27, 0
	s_cbranch_scc0 .LBB331_520
; %bb.394:
	s_wait_loadcnt 0x0
	global_load_b32 v1, v[2:3], off
	s_mov_b32 s26, -1
	s_mov_b32 s24, 0
	s_wait_loadcnt 0x0
	v_lshlrev_b32_e32 v1, 16, v1
	s_delay_alu instid0(VALU_DEP_1)
	v_cvt_u32_f32_e32 v4, v1
	s_branch .LBB331_522
.LBB331_395:
	s_mov_b32 s26, -1
	s_mov_b32 s24, 0
	s_mov_b32 s22, s20
                                        ; implicit-def: $vgpr0
	s_branch .LBB331_435
.LBB331_396:
	s_mov_b32 s23, -1
	s_mov_b32 s26, 0
	s_mov_b32 s24, s19
                                        ; implicit-def: $vgpr4
	s_branch .LBB331_583
.LBB331_397:
	s_mov_b32 s26, -1
	s_mov_b32 s24, 0
	s_mov_b32 s22, s20
                                        ; implicit-def: $vgpr0
	s_branch .LBB331_418
.LBB331_398:
	s_mov_b32 s27, -1
	s_mov_b32 s26, 0
	s_mov_b32 s24, s19
                                        ; implicit-def: $vgpr4
	s_branch .LBB331_549
.LBB331_399:
	s_mov_b32 s26, -1
	s_mov_b32 s24, 0
	s_mov_b32 s22, s20
                                        ; implicit-def: $vgpr0
	s_branch .LBB331_413
.LBB331_400:
	s_mov_b32 s27, -1
	s_mov_b32 s26, 0
	s_mov_b32 s24, s19
                                        ; implicit-def: $vgpr4
	s_branch .LBB331_532
.LBB331_401:
	s_mov_b32 s26, -1
	s_mov_b32 s24, 0
	s_mov_b32 s22, s20
	s_branch .LBB331_406
.LBB331_402:
	s_mov_b32 s27, -1
	s_mov_b32 s26, 0
	s_mov_b32 s24, s19
                                        ; implicit-def: $vgpr4
	s_branch .LBB331_527
.LBB331_403:
	s_and_not1_saveexec_b32 s27, s27
	s_cbranch_execz .LBB331_176
.LBB331_404:
	v_add_f32_e32 v2, 0x46000000, v3
	s_and_not1_b32 s26, s26, exec_lo
	s_delay_alu instid0(VALU_DEP_1) | instskip(NEXT) | instid1(VALU_DEP_1)
	v_and_b32_e32 v2, 0xff, v2
	v_cmp_ne_u32_e32 vcc_lo, 0, v2
	s_and_b32 s28, vcc_lo, exec_lo
	s_delay_alu instid0(SALU_CYCLE_1)
	s_or_b32 s26, s26, s28
	s_or_b32 exec_lo, exec_lo, s27
	v_mov_b32_e32 v4, 0
	s_and_saveexec_b32 s27, s26
	s_cbranch_execnz .LBB331_177
	s_branch .LBB331_178
.LBB331_405:
	s_mov_b32 s22, -1
	s_mov_b32 s24, 0
.LBB331_406:
                                        ; implicit-def: $vgpr0
.LBB331_407:
	s_and_b32 vcc_lo, exec_lo, s26
	s_cbranch_vccz .LBB331_412
; %bb.408:
	s_cmp_eq_u32 s23, 44
	s_cbranch_scc0 .LBB331_411
; %bb.409:
	global_load_u8 v0, v[2:3], off
	s_mov_b32 s22, 0
	s_mov_b32 s24, -1
	s_wait_loadcnt 0x0
	v_lshlrev_b32_e32 v1, 23, v0
	v_cmp_ne_u32_e32 vcc_lo, 0, v0
	s_delay_alu instid0(VALU_DEP_2) | instskip(NEXT) | instid1(VALU_DEP_1)
	v_cvt_u32_f32_e32 v1, v1
	v_cndmask_b32_e32 v0, 0, v1, vcc_lo
	s_branch .LBB331_412
.LBB331_410:
	s_mov_b32 s27, -1
	s_mov_b32 s26, 0
	s_mov_b32 s24, s19
	s_branch .LBB331_521
.LBB331_411:
	s_mov_b32 s22, -1
                                        ; implicit-def: $vgpr0
.LBB331_412:
	s_mov_b32 s26, 0
.LBB331_413:
	s_delay_alu instid0(SALU_CYCLE_1)
	s_and_b32 vcc_lo, exec_lo, s26
	s_cbranch_vccz .LBB331_417
; %bb.414:
	s_cmp_eq_u32 s23, 29
	s_cbranch_scc0 .LBB331_416
; %bb.415:
	global_load_b64 v[0:1], v[2:3], off
	s_mov_b32 s24, -1
	s_mov_b32 s22, 0
	s_branch .LBB331_417
.LBB331_416:
	s_mov_b32 s22, -1
                                        ; implicit-def: $vgpr0
.LBB331_417:
	s_mov_b32 s26, 0
.LBB331_418:
	s_delay_alu instid0(SALU_CYCLE_1)
	s_and_b32 vcc_lo, exec_lo, s26
	s_cbranch_vccz .LBB331_434
; %bb.419:
	s_cmp_lt_i32 s23, 27
	s_cbranch_scc1 .LBB331_422
; %bb.420:
	s_cmp_gt_i32 s23, 27
	s_cbranch_scc0 .LBB331_423
; %bb.421:
	s_wait_loadcnt 0x0
	global_load_b32 v0, v[2:3], off
	s_mov_b32 s24, 0
	s_branch .LBB331_424
.LBB331_422:
	s_mov_b32 s24, -1
                                        ; implicit-def: $vgpr0
	s_branch .LBB331_427
.LBB331_423:
	s_mov_b32 s24, -1
                                        ; implicit-def: $vgpr0
.LBB331_424:
	s_delay_alu instid0(SALU_CYCLE_1)
	s_and_not1_b32 vcc_lo, exec_lo, s24
	s_cbranch_vccnz .LBB331_426
; %bb.425:
	s_wait_loadcnt 0x0
	global_load_u16 v0, v[2:3], off
.LBB331_426:
	s_mov_b32 s24, 0
.LBB331_427:
	s_delay_alu instid0(SALU_CYCLE_1)
	s_and_not1_b32 vcc_lo, exec_lo, s24
	s_cbranch_vccnz .LBB331_433
; %bb.428:
	s_wait_loadcnt 0x0
	global_load_u8 v1, v[2:3], off
	s_mov_b32 s26, 0
	s_mov_b32 s24, exec_lo
	s_wait_loadcnt 0x0
	v_cmpx_lt_i16_e32 0x7f, v1
	s_xor_b32 s24, exec_lo, s24
	s_cbranch_execz .LBB331_445
; %bb.429:
	v_cmp_ne_u16_e32 vcc_lo, 0x80, v1
	s_and_b32 s26, vcc_lo, exec_lo
	s_and_not1_saveexec_b32 s24, s24
	s_cbranch_execnz .LBB331_446
.LBB331_430:
	s_or_b32 exec_lo, exec_lo, s24
	v_mov_b32_e32 v0, 0
	s_and_saveexec_b32 s24, s26
	s_cbranch_execz .LBB331_432
.LBB331_431:
	v_and_b32_e32 v0, 0xffff, v1
	s_delay_alu instid0(VALU_DEP_1) | instskip(SKIP_1) | instid1(VALU_DEP_2)
	v_and_b32_e32 v4, 7, v0
	v_bfe_u32 v7, v0, 3, 4
	v_clz_i32_u32_e32 v5, v4
	s_delay_alu instid0(VALU_DEP_2) | instskip(NEXT) | instid1(VALU_DEP_2)
	v_cmp_eq_u32_e32 vcc_lo, 0, v7
	v_min_u32_e32 v5, 32, v5
	s_delay_alu instid0(VALU_DEP_1) | instskip(NEXT) | instid1(VALU_DEP_1)
	v_subrev_nc_u32_e32 v6, 28, v5
	v_dual_lshlrev_b32 v0, v6, v0 :: v_dual_sub_nc_u32 v5, 29, v5
	s_delay_alu instid0(VALU_DEP_1) | instskip(NEXT) | instid1(VALU_DEP_1)
	v_dual_lshlrev_b32 v1, 24, v1 :: v_dual_bitop2_b32 v0, 7, v0 bitop3:0x40
	v_dual_cndmask_b32 v0, v4, v0 :: v_dual_cndmask_b32 v5, v7, v5
	s_delay_alu instid0(VALU_DEP_2) | instskip(NEXT) | instid1(VALU_DEP_2)
	v_and_b32_e32 v1, 0x80000000, v1
	v_lshlrev_b32_e32 v0, 20, v0
	s_delay_alu instid0(VALU_DEP_3) | instskip(NEXT) | instid1(VALU_DEP_1)
	v_lshl_add_u32 v4, v5, 23, 0x3b800000
	v_or3_b32 v0, v1, v4, v0
	s_delay_alu instid0(VALU_DEP_1)
	v_cvt_u32_f32_e32 v0, v0
.LBB331_432:
	s_or_b32 exec_lo, exec_lo, s24
.LBB331_433:
	s_mov_b32 s24, -1
.LBB331_434:
	s_mov_b32 s26, 0
.LBB331_435:
	s_delay_alu instid0(SALU_CYCLE_1)
	s_and_b32 vcc_lo, exec_lo, s26
	s_cbranch_vccz .LBB331_468
; %bb.436:
	s_cmp_gt_i32 s23, 22
	s_cbranch_scc0 .LBB331_444
; %bb.437:
	s_cmp_lt_i32 s23, 24
	s_cbranch_scc1 .LBB331_447
; %bb.438:
	s_cmp_gt_i32 s23, 24
	s_cbranch_scc0 .LBB331_448
; %bb.439:
	s_wait_loadcnt 0x0
	global_load_u8 v1, v[2:3], off
	s_mov_b32 s26, 0
	s_mov_b32 s24, exec_lo
	s_wait_loadcnt 0x0
	v_cmpx_lt_i16_e32 0x7f, v1
	s_xor_b32 s24, exec_lo, s24
	s_cbranch_execz .LBB331_460
; %bb.440:
	v_cmp_ne_u16_e32 vcc_lo, 0x80, v1
	s_and_b32 s26, vcc_lo, exec_lo
	s_and_not1_saveexec_b32 s24, s24
	s_cbranch_execnz .LBB331_461
.LBB331_441:
	s_or_b32 exec_lo, exec_lo, s24
	v_mov_b32_e32 v0, 0
	s_and_saveexec_b32 s24, s26
	s_cbranch_execz .LBB331_443
.LBB331_442:
	v_and_b32_e32 v0, 0xffff, v1
	s_delay_alu instid0(VALU_DEP_1) | instskip(SKIP_1) | instid1(VALU_DEP_2)
	v_and_b32_e32 v4, 3, v0
	v_bfe_u32 v7, v0, 2, 5
	v_clz_i32_u32_e32 v5, v4
	s_delay_alu instid0(VALU_DEP_2) | instskip(NEXT) | instid1(VALU_DEP_2)
	v_cmp_eq_u32_e32 vcc_lo, 0, v7
	v_min_u32_e32 v5, 32, v5
	s_delay_alu instid0(VALU_DEP_1) | instskip(NEXT) | instid1(VALU_DEP_1)
	v_subrev_nc_u32_e32 v6, 29, v5
	v_dual_lshlrev_b32 v0, v6, v0 :: v_dual_sub_nc_u32 v5, 30, v5
	s_delay_alu instid0(VALU_DEP_1) | instskip(NEXT) | instid1(VALU_DEP_1)
	v_dual_lshlrev_b32 v1, 24, v1 :: v_dual_bitop2_b32 v0, 3, v0 bitop3:0x40
	v_dual_cndmask_b32 v0, v4, v0 :: v_dual_cndmask_b32 v5, v7, v5
	s_delay_alu instid0(VALU_DEP_2) | instskip(NEXT) | instid1(VALU_DEP_2)
	v_and_b32_e32 v1, 0x80000000, v1
	v_lshlrev_b32_e32 v0, 21, v0
	s_delay_alu instid0(VALU_DEP_3) | instskip(NEXT) | instid1(VALU_DEP_1)
	v_lshl_add_u32 v4, v5, 23, 0x37800000
	v_or3_b32 v0, v1, v4, v0
	s_delay_alu instid0(VALU_DEP_1)
	v_cvt_u32_f32_e32 v0, v0
.LBB331_443:
	s_or_b32 exec_lo, exec_lo, s24
	s_mov_b32 s24, 0
	s_branch .LBB331_449
.LBB331_444:
	s_mov_b32 s26, -1
                                        ; implicit-def: $vgpr0
	s_branch .LBB331_455
.LBB331_445:
	s_and_not1_saveexec_b32 s24, s24
	s_cbranch_execz .LBB331_430
.LBB331_446:
	v_cmp_ne_u16_e32 vcc_lo, 0, v1
	s_and_not1_b32 s26, s26, exec_lo
	s_and_b32 s27, vcc_lo, exec_lo
	s_delay_alu instid0(SALU_CYCLE_1)
	s_or_b32 s26, s26, s27
	s_or_b32 exec_lo, exec_lo, s24
	v_mov_b32_e32 v0, 0
	s_and_saveexec_b32 s24, s26
	s_cbranch_execnz .LBB331_431
	s_branch .LBB331_432
.LBB331_447:
	s_mov_b32 s24, -1
                                        ; implicit-def: $vgpr0
	s_branch .LBB331_452
.LBB331_448:
	s_mov_b32 s24, -1
                                        ; implicit-def: $vgpr0
.LBB331_449:
	s_delay_alu instid0(SALU_CYCLE_1)
	s_and_b32 vcc_lo, exec_lo, s24
	s_cbranch_vccz .LBB331_451
; %bb.450:
	s_wait_loadcnt 0x0
	global_load_u8 v0, v[2:3], off
	s_wait_loadcnt 0x0
	v_lshlrev_b32_e32 v0, 24, v0
	s_delay_alu instid0(VALU_DEP_1) | instskip(NEXT) | instid1(VALU_DEP_1)
	v_and_b32_e32 v1, 0x7f000000, v0
	v_clz_i32_u32_e32 v4, v1
	v_cmp_ne_u32_e32 vcc_lo, 0, v1
	v_add_nc_u32_e32 v6, 0x1000000, v1
	s_delay_alu instid0(VALU_DEP_3) | instskip(NEXT) | instid1(VALU_DEP_1)
	v_min_u32_e32 v4, 32, v4
	v_sub_nc_u32_e64 v4, v4, 4 clamp
	s_delay_alu instid0(VALU_DEP_1) | instskip(NEXT) | instid1(VALU_DEP_1)
	v_dual_lshlrev_b32 v5, v4, v1 :: v_dual_lshlrev_b32 v4, 23, v4
	v_lshrrev_b32_e32 v5, 4, v5
	s_delay_alu instid0(VALU_DEP_1) | instskip(NEXT) | instid1(VALU_DEP_1)
	v_dual_sub_nc_u32 v4, v5, v4 :: v_dual_ashrrev_i32 v5, 8, v6
	v_add_nc_u32_e32 v4, 0x3c000000, v4
	s_delay_alu instid0(VALU_DEP_1) | instskip(NEXT) | instid1(VALU_DEP_1)
	v_and_or_b32 v4, 0x7f800000, v5, v4
	v_cndmask_b32_e32 v1, 0, v4, vcc_lo
	s_delay_alu instid0(VALU_DEP_1) | instskip(NEXT) | instid1(VALU_DEP_1)
	v_and_or_b32 v0, 0x80000000, v0, v1
	v_cvt_u32_f32_e32 v0, v0
.LBB331_451:
	s_mov_b32 s24, 0
.LBB331_452:
	s_delay_alu instid0(SALU_CYCLE_1)
	s_and_not1_b32 vcc_lo, exec_lo, s24
	s_cbranch_vccnz .LBB331_454
; %bb.453:
	s_wait_loadcnt 0x0
	global_load_u8 v0, v[2:3], off
	s_wait_loadcnt 0x0
	v_lshlrev_b32_e32 v1, 25, v0
	v_lshlrev_b16 v0, 8, v0
	s_delay_alu instid0(VALU_DEP_1) | instskip(SKIP_1) | instid1(VALU_DEP_2)
	v_and_or_b32 v5, 0x7f00, v0, 0.5
	v_bfe_i32 v0, v0, 0, 16
	v_add_f32_e32 v5, -0.5, v5
	v_lshrrev_b32_e32 v4, 4, v1
	v_cmp_gt_u32_e32 vcc_lo, 0x8000000, v1
	s_delay_alu instid0(VALU_DEP_2) | instskip(NEXT) | instid1(VALU_DEP_1)
	v_or_b32_e32 v4, 0x70000000, v4
	v_mul_f32_e32 v4, 0x7800000, v4
	s_delay_alu instid0(VALU_DEP_1) | instskip(NEXT) | instid1(VALU_DEP_1)
	v_cndmask_b32_e32 v1, v4, v5, vcc_lo
	v_and_or_b32 v0, 0x80000000, v0, v1
	s_delay_alu instid0(VALU_DEP_1)
	v_cvt_u32_f32_e32 v0, v0
.LBB331_454:
	s_mov_b32 s26, 0
	s_mov_b32 s24, -1
.LBB331_455:
	s_and_not1_b32 vcc_lo, exec_lo, s26
	s_cbranch_vccnz .LBB331_468
; %bb.456:
	s_cmp_gt_i32 s23, 14
	s_cbranch_scc0 .LBB331_459
; %bb.457:
	s_cmp_eq_u32 s23, 15
	s_cbranch_scc0 .LBB331_462
; %bb.458:
	s_wait_loadcnt 0x0
	global_load_u16 v0, v[2:3], off
	s_mov_b32 s24, -1
	s_mov_b32 s22, 0
	s_wait_loadcnt 0x0
	v_lshlrev_b32_e32 v0, 16, v0
	s_delay_alu instid0(VALU_DEP_1)
	v_cvt_u32_f32_e32 v0, v0
	s_branch .LBB331_463
.LBB331_459:
	s_mov_b32 s26, -1
                                        ; implicit-def: $vgpr0
	s_branch .LBB331_464
.LBB331_460:
	s_and_not1_saveexec_b32 s24, s24
	s_cbranch_execz .LBB331_441
.LBB331_461:
	v_cmp_ne_u16_e32 vcc_lo, 0, v1
	s_and_not1_b32 s26, s26, exec_lo
	s_and_b32 s27, vcc_lo, exec_lo
	s_delay_alu instid0(SALU_CYCLE_1)
	s_or_b32 s26, s26, s27
	s_or_b32 exec_lo, exec_lo, s24
	v_mov_b32_e32 v0, 0
	s_and_saveexec_b32 s24, s26
	s_cbranch_execnz .LBB331_442
	s_branch .LBB331_443
.LBB331_462:
	s_mov_b32 s22, -1
                                        ; implicit-def: $vgpr0
.LBB331_463:
	s_mov_b32 s26, 0
.LBB331_464:
	s_delay_alu instid0(SALU_CYCLE_1)
	s_and_b32 vcc_lo, exec_lo, s26
	s_cbranch_vccz .LBB331_468
; %bb.465:
	s_cmp_eq_u32 s23, 11
	s_cbranch_scc0 .LBB331_467
; %bb.466:
	s_wait_loadcnt 0x0
	global_load_u8 v0, v[2:3], off
	s_mov_b32 s22, 0
	s_mov_b32 s24, -1
	s_wait_loadcnt 0x0
	v_cmp_ne_u16_e32 vcc_lo, 0, v0
	v_cndmask_b32_e64 v0, 0, 1, vcc_lo
	s_branch .LBB331_468
.LBB331_467:
	s_mov_b32 s22, -1
                                        ; implicit-def: $vgpr0
.LBB331_468:
	s_branch .LBB331_387
.LBB331_469:
	s_and_b32 s0, 0xffff, s0
	s_delay_alu instid0(SALU_CYCLE_1)
	s_cmp_lt_i32 s0, 5
	s_cbranch_scc1 .LBB331_474
; %bb.470:
	s_cmp_lt_i32 s0, 8
	s_cbranch_scc1 .LBB331_475
; %bb.471:
	;; [unrolled: 3-line block ×3, first 2 shown]
	s_cmp_gt_i32 s0, 9
	s_cbranch_scc0 .LBB331_477
; %bb.473:
	s_wait_loadcnt 0x0
	global_load_b64 v[0:1], v[2:3], off
	s_mov_b32 s23, 0
	s_wait_loadcnt 0x0
	v_cvt_u32_f64_e32 v0, v[0:1]
	s_branch .LBB331_478
.LBB331_474:
	s_mov_b32 s23, -1
                                        ; implicit-def: $vgpr0
	s_branch .LBB331_496
.LBB331_475:
	s_mov_b32 s23, -1
                                        ; implicit-def: $vgpr0
	s_branch .LBB331_484
.LBB331_476:
	s_mov_b32 s23, -1
                                        ; implicit-def: $vgpr0
	s_branch .LBB331_481
.LBB331_477:
	s_mov_b32 s23, -1
                                        ; implicit-def: $vgpr0
.LBB331_478:
	s_delay_alu instid0(SALU_CYCLE_1)
	s_and_not1_b32 vcc_lo, exec_lo, s23
	s_cbranch_vccnz .LBB331_480
; %bb.479:
	s_wait_loadcnt 0x0
	global_load_b32 v0, v[2:3], off
	s_wait_loadcnt 0x0
	v_cvt_u32_f32_e32 v0, v0
.LBB331_480:
	s_mov_b32 s23, 0
.LBB331_481:
	s_delay_alu instid0(SALU_CYCLE_1)
	s_and_not1_b32 vcc_lo, exec_lo, s23
	s_cbranch_vccnz .LBB331_483
; %bb.482:
	s_wait_loadcnt 0x0
	global_load_b32 v0, v[2:3], off
	s_wait_loadcnt 0x0
	v_cvt_u16_f16_e32 v0, v0
.LBB331_483:
	s_mov_b32 s23, 0
.LBB331_484:
	s_delay_alu instid0(SALU_CYCLE_1)
	s_and_not1_b32 vcc_lo, exec_lo, s23
	s_cbranch_vccnz .LBB331_495
; %bb.485:
	s_cmp_lt_i32 s0, 6
	s_cbranch_scc1 .LBB331_488
; %bb.486:
	s_cmp_gt_i32 s0, 6
	s_cbranch_scc0 .LBB331_489
; %bb.487:
	s_wait_loadcnt 0x0
	global_load_b64 v[0:1], v[2:3], off
	s_mov_b32 s23, 0
	s_wait_loadcnt 0x0
	v_cvt_u32_f64_e32 v0, v[0:1]
	s_branch .LBB331_490
.LBB331_488:
	s_mov_b32 s23, -1
                                        ; implicit-def: $vgpr0
	s_branch .LBB331_493
.LBB331_489:
	s_mov_b32 s23, -1
                                        ; implicit-def: $vgpr0
.LBB331_490:
	s_delay_alu instid0(SALU_CYCLE_1)
	s_and_not1_b32 vcc_lo, exec_lo, s23
	s_cbranch_vccnz .LBB331_492
; %bb.491:
	s_wait_loadcnt 0x0
	global_load_b32 v0, v[2:3], off
	s_wait_loadcnt 0x0
	v_cvt_u32_f32_e32 v0, v0
.LBB331_492:
	s_mov_b32 s23, 0
.LBB331_493:
	s_delay_alu instid0(SALU_CYCLE_1)
	s_and_not1_b32 vcc_lo, exec_lo, s23
	s_cbranch_vccnz .LBB331_495
; %bb.494:
	s_wait_loadcnt 0x0
	global_load_u16 v0, v[2:3], off
	s_wait_loadcnt 0x0
	v_cvt_u16_f16_e32 v0, v0
.LBB331_495:
	s_mov_b32 s23, 0
.LBB331_496:
	s_delay_alu instid0(SALU_CYCLE_1)
	s_and_not1_b32 vcc_lo, exec_lo, s23
	s_cbranch_vccnz .LBB331_516
; %bb.497:
	s_cmp_lt_i32 s0, 2
	s_cbranch_scc1 .LBB331_501
; %bb.498:
	s_cmp_lt_i32 s0, 3
	s_cbranch_scc1 .LBB331_502
; %bb.499:
	s_cmp_gt_i32 s0, 3
	s_cbranch_scc0 .LBB331_503
; %bb.500:
	s_wait_loadcnt 0x0
	global_load_b64 v[0:1], v[2:3], off
	s_mov_b32 s23, 0
	s_branch .LBB331_504
.LBB331_501:
	s_mov_b32 s23, -1
                                        ; implicit-def: $vgpr0
	s_branch .LBB331_510
.LBB331_502:
	s_mov_b32 s23, -1
                                        ; implicit-def: $vgpr0
	s_branch .LBB331_507
.LBB331_503:
	s_mov_b32 s23, -1
                                        ; implicit-def: $vgpr0
.LBB331_504:
	s_delay_alu instid0(SALU_CYCLE_1)
	s_and_not1_b32 vcc_lo, exec_lo, s23
	s_cbranch_vccnz .LBB331_506
; %bb.505:
	s_wait_loadcnt 0x0
	global_load_b32 v0, v[2:3], off
.LBB331_506:
	s_mov_b32 s23, 0
.LBB331_507:
	s_delay_alu instid0(SALU_CYCLE_1)
	s_and_not1_b32 vcc_lo, exec_lo, s23
	s_cbranch_vccnz .LBB331_509
; %bb.508:
	s_wait_loadcnt 0x0
	global_load_u16 v0, v[2:3], off
.LBB331_509:
	s_mov_b32 s23, 0
.LBB331_510:
	s_delay_alu instid0(SALU_CYCLE_1)
	s_and_not1_b32 vcc_lo, exec_lo, s23
	s_cbranch_vccnz .LBB331_516
; %bb.511:
	s_cmp_gt_i32 s0, 0
	s_mov_b32 s0, 0
	s_cbranch_scc0 .LBB331_513
; %bb.512:
	s_wait_loadcnt 0x0
	global_load_i8 v0, v[2:3], off
	s_branch .LBB331_514
.LBB331_513:
	s_mov_b32 s0, -1
                                        ; implicit-def: $vgpr0
.LBB331_514:
	s_delay_alu instid0(SALU_CYCLE_1)
	s_and_not1_b32 vcc_lo, exec_lo, s0
	s_cbranch_vccnz .LBB331_516
; %bb.515:
	s_wait_loadcnt 0x0
	global_load_u8 v0, v[2:3], off
.LBB331_516:
	s_branch .LBB331_388
.LBB331_517:
	s_mov_b32 s26, 0
	s_mov_b32 s0, s18
	;; [unrolled: 1-line block ×3, first 2 shown]
	s_branch .LBB331_757
.LBB331_518:
	s_and_not1_saveexec_b32 s27, s27
	s_cbranch_execz .LBB331_189
.LBB331_519:
	v_add_f32_e32 v2, 0x42800000, v3
	s_and_not1_b32 s26, s26, exec_lo
	s_delay_alu instid0(VALU_DEP_1) | instskip(NEXT) | instid1(VALU_DEP_1)
	v_and_b32_e32 v2, 0xff, v2
	v_cmp_ne_u32_e32 vcc_lo, 0, v2
	s_and_b32 s28, vcc_lo, exec_lo
	s_delay_alu instid0(SALU_CYCLE_1)
	s_or_b32 s26, s26, s28
	s_or_b32 exec_lo, exec_lo, s27
	v_mov_b32_e32 v4, 0
	s_and_saveexec_b32 s27, s26
	s_cbranch_execnz .LBB331_190
	s_branch .LBB331_191
.LBB331_520:
	s_mov_b32 s24, -1
	s_mov_b32 s26, 0
.LBB331_521:
                                        ; implicit-def: $vgpr4
.LBB331_522:
	s_and_b32 vcc_lo, exec_lo, s27
	s_cbranch_vccz .LBB331_526
; %bb.523:
	s_cmp_eq_u32 s23, 44
	s_cbranch_scc0 .LBB331_525
; %bb.524:
	s_wait_loadcnt 0x0
	global_load_u8 v1, v[2:3], off
	s_mov_b32 s24, 0
	s_mov_b32 s26, -1
	s_wait_loadcnt 0x0
	v_lshlrev_b32_e32 v4, 23, v1
	v_cmp_ne_u32_e32 vcc_lo, 0, v1
	s_delay_alu instid0(VALU_DEP_2) | instskip(NEXT) | instid1(VALU_DEP_1)
	v_cvt_u32_f32_e32 v4, v4
	v_cndmask_b32_e32 v4, 0, v4, vcc_lo
	s_branch .LBB331_526
.LBB331_525:
	s_mov_b32 s24, -1
                                        ; implicit-def: $vgpr4
.LBB331_526:
	s_mov_b32 s27, 0
.LBB331_527:
	s_delay_alu instid0(SALU_CYCLE_1)
	s_and_b32 vcc_lo, exec_lo, s27
	s_cbranch_vccz .LBB331_531
; %bb.528:
	s_cmp_eq_u32 s23, 29
	s_cbranch_scc0 .LBB331_530
; %bb.529:
	global_load_b64 v[4:5], v[2:3], off
	s_mov_b32 s26, -1
	s_mov_b32 s24, 0
	s_branch .LBB331_531
.LBB331_530:
	s_mov_b32 s24, -1
                                        ; implicit-def: $vgpr4
.LBB331_531:
	s_mov_b32 s27, 0
.LBB331_532:
	s_delay_alu instid0(SALU_CYCLE_1)
	s_and_b32 vcc_lo, exec_lo, s27
	s_cbranch_vccz .LBB331_548
; %bb.533:
	s_cmp_lt_i32 s23, 27
	s_cbranch_scc1 .LBB331_536
; %bb.534:
	s_cmp_gt_i32 s23, 27
	s_cbranch_scc0 .LBB331_537
; %bb.535:
	s_wait_loadcnt 0x0
	global_load_b32 v4, v[2:3], off
	s_mov_b32 s26, 0
	s_branch .LBB331_538
.LBB331_536:
	s_mov_b32 s26, -1
                                        ; implicit-def: $vgpr4
	s_branch .LBB331_541
.LBB331_537:
	s_mov_b32 s26, -1
                                        ; implicit-def: $vgpr4
.LBB331_538:
	s_delay_alu instid0(SALU_CYCLE_1)
	s_and_not1_b32 vcc_lo, exec_lo, s26
	s_cbranch_vccnz .LBB331_540
; %bb.539:
	s_wait_loadcnt 0x0
	global_load_u16 v4, v[2:3], off
.LBB331_540:
	s_mov_b32 s26, 0
.LBB331_541:
	s_delay_alu instid0(SALU_CYCLE_1)
	s_and_not1_b32 vcc_lo, exec_lo, s26
	s_cbranch_vccnz .LBB331_547
; %bb.542:
	s_wait_loadcnt 0x0
	global_load_u8 v1, v[2:3], off
	s_mov_b32 s27, 0
	s_mov_b32 s26, exec_lo
	s_wait_loadcnt 0x0
	v_cmpx_lt_i16_e32 0x7f, v1
	s_xor_b32 s26, exec_lo, s26
	s_cbranch_execz .LBB331_559
; %bb.543:
	v_cmp_ne_u16_e32 vcc_lo, 0x80, v1
	s_and_b32 s27, vcc_lo, exec_lo
	s_and_not1_saveexec_b32 s26, s26
	s_cbranch_execnz .LBB331_560
.LBB331_544:
	s_or_b32 exec_lo, exec_lo, s26
	v_mov_b32_e32 v4, 0
	s_and_saveexec_b32 s26, s27
	s_cbranch_execz .LBB331_546
.LBB331_545:
	v_and_b32_e32 v4, 0xffff, v1
	s_delay_alu instid0(VALU_DEP_1) | instskip(SKIP_1) | instid1(VALU_DEP_2)
	v_and_b32_e32 v5, 7, v4
	v_bfe_u32 v8, v4, 3, 4
	v_clz_i32_u32_e32 v6, v5
	s_delay_alu instid0(VALU_DEP_2) | instskip(NEXT) | instid1(VALU_DEP_2)
	v_cmp_eq_u32_e32 vcc_lo, 0, v8
	v_min_u32_e32 v6, 32, v6
	s_delay_alu instid0(VALU_DEP_1) | instskip(NEXT) | instid1(VALU_DEP_1)
	v_subrev_nc_u32_e32 v7, 28, v6
	v_dual_lshlrev_b32 v4, v7, v4 :: v_dual_sub_nc_u32 v6, 29, v6
	s_delay_alu instid0(VALU_DEP_1) | instskip(NEXT) | instid1(VALU_DEP_1)
	v_dual_lshlrev_b32 v1, 24, v1 :: v_dual_bitop2_b32 v4, 7, v4 bitop3:0x40
	v_dual_cndmask_b32 v6, v8, v6, vcc_lo :: v_dual_cndmask_b32 v4, v5, v4, vcc_lo
	s_delay_alu instid0(VALU_DEP_2) | instskip(NEXT) | instid1(VALU_DEP_2)
	v_and_b32_e32 v1, 0x80000000, v1
	v_lshl_add_u32 v5, v6, 23, 0x3b800000
	s_delay_alu instid0(VALU_DEP_3) | instskip(NEXT) | instid1(VALU_DEP_1)
	v_lshlrev_b32_e32 v4, 20, v4
	v_or3_b32 v1, v1, v5, v4
	s_delay_alu instid0(VALU_DEP_1)
	v_cvt_u32_f32_e32 v4, v1
.LBB331_546:
	s_or_b32 exec_lo, exec_lo, s26
.LBB331_547:
	s_mov_b32 s26, -1
.LBB331_548:
	s_mov_b32 s27, 0
.LBB331_549:
	s_delay_alu instid0(SALU_CYCLE_1)
	s_and_b32 vcc_lo, exec_lo, s27
	s_cbranch_vccz .LBB331_582
; %bb.550:
	s_cmp_gt_i32 s23, 22
	s_cbranch_scc0 .LBB331_558
; %bb.551:
	s_cmp_lt_i32 s23, 24
	s_cbranch_scc1 .LBB331_561
; %bb.552:
	s_cmp_gt_i32 s23, 24
	s_cbranch_scc0 .LBB331_562
; %bb.553:
	s_wait_loadcnt 0x0
	global_load_u8 v1, v[2:3], off
	s_mov_b32 s27, 0
	s_mov_b32 s26, exec_lo
	s_wait_loadcnt 0x0
	v_cmpx_lt_i16_e32 0x7f, v1
	s_xor_b32 s26, exec_lo, s26
	s_cbranch_execz .LBB331_574
; %bb.554:
	v_cmp_ne_u16_e32 vcc_lo, 0x80, v1
	s_and_b32 s27, vcc_lo, exec_lo
	s_and_not1_saveexec_b32 s26, s26
	s_cbranch_execnz .LBB331_575
.LBB331_555:
	s_or_b32 exec_lo, exec_lo, s26
	v_mov_b32_e32 v4, 0
	s_and_saveexec_b32 s26, s27
	s_cbranch_execz .LBB331_557
.LBB331_556:
	v_and_b32_e32 v4, 0xffff, v1
	s_delay_alu instid0(VALU_DEP_1) | instskip(SKIP_1) | instid1(VALU_DEP_2)
	v_and_b32_e32 v5, 3, v4
	v_bfe_u32 v8, v4, 2, 5
	v_clz_i32_u32_e32 v6, v5
	s_delay_alu instid0(VALU_DEP_2) | instskip(NEXT) | instid1(VALU_DEP_2)
	v_cmp_eq_u32_e32 vcc_lo, 0, v8
	v_min_u32_e32 v6, 32, v6
	s_delay_alu instid0(VALU_DEP_1) | instskip(NEXT) | instid1(VALU_DEP_1)
	v_subrev_nc_u32_e32 v7, 29, v6
	v_dual_lshlrev_b32 v4, v7, v4 :: v_dual_sub_nc_u32 v6, 30, v6
	s_delay_alu instid0(VALU_DEP_1) | instskip(NEXT) | instid1(VALU_DEP_1)
	v_dual_lshlrev_b32 v1, 24, v1 :: v_dual_bitop2_b32 v4, 3, v4 bitop3:0x40
	v_dual_cndmask_b32 v6, v8, v6, vcc_lo :: v_dual_cndmask_b32 v4, v5, v4, vcc_lo
	s_delay_alu instid0(VALU_DEP_2) | instskip(NEXT) | instid1(VALU_DEP_2)
	v_and_b32_e32 v1, 0x80000000, v1
	v_lshl_add_u32 v5, v6, 23, 0x37800000
	s_delay_alu instid0(VALU_DEP_3) | instskip(NEXT) | instid1(VALU_DEP_1)
	v_lshlrev_b32_e32 v4, 21, v4
	v_or3_b32 v1, v1, v5, v4
	s_delay_alu instid0(VALU_DEP_1)
	v_cvt_u32_f32_e32 v4, v1
.LBB331_557:
	s_or_b32 exec_lo, exec_lo, s26
	s_mov_b32 s26, 0
	s_branch .LBB331_563
.LBB331_558:
	s_mov_b32 s27, -1
                                        ; implicit-def: $vgpr4
	s_branch .LBB331_569
.LBB331_559:
	s_and_not1_saveexec_b32 s26, s26
	s_cbranch_execz .LBB331_544
.LBB331_560:
	v_cmp_ne_u16_e32 vcc_lo, 0, v1
	s_and_not1_b32 s27, s27, exec_lo
	s_and_b32 s28, vcc_lo, exec_lo
	s_delay_alu instid0(SALU_CYCLE_1)
	s_or_b32 s27, s27, s28
	s_or_b32 exec_lo, exec_lo, s26
	v_mov_b32_e32 v4, 0
	s_and_saveexec_b32 s26, s27
	s_cbranch_execnz .LBB331_545
	s_branch .LBB331_546
.LBB331_561:
	s_mov_b32 s26, -1
                                        ; implicit-def: $vgpr4
	s_branch .LBB331_566
.LBB331_562:
	s_mov_b32 s26, -1
                                        ; implicit-def: $vgpr4
.LBB331_563:
	s_delay_alu instid0(SALU_CYCLE_1)
	s_and_b32 vcc_lo, exec_lo, s26
	s_cbranch_vccz .LBB331_565
; %bb.564:
	s_wait_loadcnt 0x0
	global_load_u8 v1, v[2:3], off
	s_wait_loadcnt 0x0
	v_lshlrev_b32_e32 v1, 24, v1
	s_delay_alu instid0(VALU_DEP_1) | instskip(NEXT) | instid1(VALU_DEP_1)
	v_and_b32_e32 v4, 0x7f000000, v1
	v_clz_i32_u32_e32 v5, v4
	v_cmp_ne_u32_e32 vcc_lo, 0, v4
	v_add_nc_u32_e32 v7, 0x1000000, v4
	s_delay_alu instid0(VALU_DEP_3) | instskip(NEXT) | instid1(VALU_DEP_1)
	v_min_u32_e32 v5, 32, v5
	v_sub_nc_u32_e64 v5, v5, 4 clamp
	s_delay_alu instid0(VALU_DEP_1) | instskip(NEXT) | instid1(VALU_DEP_1)
	v_dual_lshlrev_b32 v6, v5, v4 :: v_dual_lshlrev_b32 v5, 23, v5
	v_lshrrev_b32_e32 v6, 4, v6
	s_delay_alu instid0(VALU_DEP_1) | instskip(NEXT) | instid1(VALU_DEP_1)
	v_dual_sub_nc_u32 v5, v6, v5 :: v_dual_ashrrev_i32 v6, 8, v7
	v_add_nc_u32_e32 v5, 0x3c000000, v5
	s_delay_alu instid0(VALU_DEP_1) | instskip(NEXT) | instid1(VALU_DEP_1)
	v_and_or_b32 v5, 0x7f800000, v6, v5
	v_cndmask_b32_e32 v4, 0, v5, vcc_lo
	s_delay_alu instid0(VALU_DEP_1) | instskip(NEXT) | instid1(VALU_DEP_1)
	v_and_or_b32 v1, 0x80000000, v1, v4
	v_cvt_u32_f32_e32 v4, v1
.LBB331_565:
	s_mov_b32 s26, 0
.LBB331_566:
	s_delay_alu instid0(SALU_CYCLE_1)
	s_and_not1_b32 vcc_lo, exec_lo, s26
	s_cbranch_vccnz .LBB331_568
; %bb.567:
	s_wait_loadcnt 0x0
	global_load_u8 v1, v[2:3], off
	s_wait_loadcnt 0x0
	v_lshlrev_b32_e32 v4, 25, v1
	v_lshlrev_b16 v1, 8, v1
	s_delay_alu instid0(VALU_DEP_1) | instskip(SKIP_1) | instid1(VALU_DEP_2)
	v_and_or_b32 v6, 0x7f00, v1, 0.5
	v_bfe_i32 v1, v1, 0, 16
	v_dual_add_f32 v6, -0.5, v6 :: v_dual_lshrrev_b32 v5, 4, v4
	v_cmp_gt_u32_e32 vcc_lo, 0x8000000, v4
	s_delay_alu instid0(VALU_DEP_2) | instskip(NEXT) | instid1(VALU_DEP_1)
	v_or_b32_e32 v5, 0x70000000, v5
	v_mul_f32_e32 v5, 0x7800000, v5
	s_delay_alu instid0(VALU_DEP_1) | instskip(NEXT) | instid1(VALU_DEP_1)
	v_cndmask_b32_e32 v4, v5, v6, vcc_lo
	v_and_or_b32 v1, 0x80000000, v1, v4
	s_delay_alu instid0(VALU_DEP_1)
	v_cvt_u32_f32_e32 v4, v1
.LBB331_568:
	s_mov_b32 s27, 0
	s_mov_b32 s26, -1
.LBB331_569:
	s_and_not1_b32 vcc_lo, exec_lo, s27
	s_cbranch_vccnz .LBB331_582
; %bb.570:
	s_cmp_gt_i32 s23, 14
	s_cbranch_scc0 .LBB331_573
; %bb.571:
	s_cmp_eq_u32 s23, 15
	s_cbranch_scc0 .LBB331_576
; %bb.572:
	s_wait_loadcnt 0x0
	global_load_u16 v1, v[2:3], off
	s_mov_b32 s26, -1
	s_mov_b32 s24, 0
	s_wait_loadcnt 0x0
	v_lshlrev_b32_e32 v1, 16, v1
	s_delay_alu instid0(VALU_DEP_1)
	v_cvt_u32_f32_e32 v4, v1
	s_branch .LBB331_577
.LBB331_573:
	s_mov_b32 s27, -1
                                        ; implicit-def: $vgpr4
	s_branch .LBB331_578
.LBB331_574:
	s_and_not1_saveexec_b32 s26, s26
	s_cbranch_execz .LBB331_555
.LBB331_575:
	v_cmp_ne_u16_e32 vcc_lo, 0, v1
	s_and_not1_b32 s27, s27, exec_lo
	s_and_b32 s28, vcc_lo, exec_lo
	s_delay_alu instid0(SALU_CYCLE_1)
	s_or_b32 s27, s27, s28
	s_or_b32 exec_lo, exec_lo, s26
	v_mov_b32_e32 v4, 0
	s_and_saveexec_b32 s26, s27
	s_cbranch_execnz .LBB331_556
	s_branch .LBB331_557
.LBB331_576:
	s_mov_b32 s24, -1
                                        ; implicit-def: $vgpr4
.LBB331_577:
	s_mov_b32 s27, 0
.LBB331_578:
	s_delay_alu instid0(SALU_CYCLE_1)
	s_and_b32 vcc_lo, exec_lo, s27
	s_cbranch_vccz .LBB331_582
; %bb.579:
	s_cmp_eq_u32 s23, 11
	s_cbranch_scc0 .LBB331_581
; %bb.580:
	s_wait_loadcnt 0x0
	global_load_u8 v1, v[2:3], off
	s_mov_b32 s24, 0
	s_mov_b32 s26, -1
	s_wait_loadcnt 0x0
	v_cmp_ne_u16_e32 vcc_lo, 0, v1
	v_cndmask_b32_e64 v4, 0, 1, vcc_lo
	s_branch .LBB331_582
.LBB331_581:
	s_mov_b32 s24, -1
                                        ; implicit-def: $vgpr4
.LBB331_582:
	s_mov_b32 s23, 0
.LBB331_583:
	s_delay_alu instid0(SALU_CYCLE_1)
	s_and_b32 vcc_lo, exec_lo, s23
	s_cbranch_vccz .LBB331_632
; %bb.584:
	s_and_b32 s0, 0xffff, s0
	s_delay_alu instid0(SALU_CYCLE_1)
	s_cmp_lt_i32 s0, 5
	s_cbranch_scc1 .LBB331_589
; %bb.585:
	s_cmp_lt_i32 s0, 8
	s_cbranch_scc1 .LBB331_590
; %bb.586:
	;; [unrolled: 3-line block ×3, first 2 shown]
	s_cmp_gt_i32 s0, 9
	s_cbranch_scc0 .LBB331_592
; %bb.588:
	s_wait_loadcnt 0x0
	global_load_b64 v[4:5], v[2:3], off
	s_mov_b32 s23, 0
	s_wait_loadcnt 0x0
	v_cvt_u32_f64_e32 v4, v[4:5]
	s_branch .LBB331_593
.LBB331_589:
	s_mov_b32 s23, -1
                                        ; implicit-def: $vgpr4
	s_branch .LBB331_611
.LBB331_590:
	s_mov_b32 s23, -1
                                        ; implicit-def: $vgpr4
	s_branch .LBB331_599
.LBB331_591:
	s_mov_b32 s23, -1
                                        ; implicit-def: $vgpr4
	s_branch .LBB331_596
.LBB331_592:
	s_mov_b32 s23, -1
                                        ; implicit-def: $vgpr4
.LBB331_593:
	s_delay_alu instid0(SALU_CYCLE_1)
	s_and_not1_b32 vcc_lo, exec_lo, s23
	s_cbranch_vccnz .LBB331_595
; %bb.594:
	s_wait_loadcnt 0x0
	global_load_b32 v1, v[2:3], off
	s_wait_loadcnt 0x0
	v_cvt_u32_f32_e32 v4, v1
.LBB331_595:
	s_mov_b32 s23, 0
.LBB331_596:
	s_delay_alu instid0(SALU_CYCLE_1)
	s_and_not1_b32 vcc_lo, exec_lo, s23
	s_cbranch_vccnz .LBB331_598
; %bb.597:
	s_wait_loadcnt 0x0
	global_load_b32 v1, v[2:3], off
	s_wait_loadcnt 0x0
	v_cvt_u16_f16_e32 v4, v1
.LBB331_598:
	s_mov_b32 s23, 0
.LBB331_599:
	s_delay_alu instid0(SALU_CYCLE_1)
	s_and_not1_b32 vcc_lo, exec_lo, s23
	s_cbranch_vccnz .LBB331_610
; %bb.600:
	s_cmp_lt_i32 s0, 6
	s_cbranch_scc1 .LBB331_603
; %bb.601:
	s_cmp_gt_i32 s0, 6
	s_cbranch_scc0 .LBB331_604
; %bb.602:
	s_wait_loadcnt 0x0
	global_load_b64 v[4:5], v[2:3], off
	s_mov_b32 s23, 0
	s_wait_loadcnt 0x0
	v_cvt_u32_f64_e32 v4, v[4:5]
	s_branch .LBB331_605
.LBB331_603:
	s_mov_b32 s23, -1
                                        ; implicit-def: $vgpr4
	s_branch .LBB331_608
.LBB331_604:
	s_mov_b32 s23, -1
                                        ; implicit-def: $vgpr4
.LBB331_605:
	s_delay_alu instid0(SALU_CYCLE_1)
	s_and_not1_b32 vcc_lo, exec_lo, s23
	s_cbranch_vccnz .LBB331_607
; %bb.606:
	s_wait_loadcnt 0x0
	global_load_b32 v1, v[2:3], off
	s_wait_loadcnt 0x0
	v_cvt_u32_f32_e32 v4, v1
.LBB331_607:
	s_mov_b32 s23, 0
.LBB331_608:
	s_delay_alu instid0(SALU_CYCLE_1)
	s_and_not1_b32 vcc_lo, exec_lo, s23
	s_cbranch_vccnz .LBB331_610
; %bb.609:
	s_wait_loadcnt 0x0
	global_load_u16 v1, v[2:3], off
	s_wait_loadcnt 0x0
	v_cvt_u16_f16_e32 v4, v1
.LBB331_610:
	s_mov_b32 s23, 0
.LBB331_611:
	s_delay_alu instid0(SALU_CYCLE_1)
	s_and_not1_b32 vcc_lo, exec_lo, s23
	s_cbranch_vccnz .LBB331_631
; %bb.612:
	s_cmp_lt_i32 s0, 2
	s_cbranch_scc1 .LBB331_616
; %bb.613:
	s_cmp_lt_i32 s0, 3
	s_cbranch_scc1 .LBB331_617
; %bb.614:
	s_cmp_gt_i32 s0, 3
	s_cbranch_scc0 .LBB331_618
; %bb.615:
	s_wait_loadcnt 0x0
	global_load_b64 v[4:5], v[2:3], off
	s_mov_b32 s23, 0
	s_branch .LBB331_619
.LBB331_616:
	s_mov_b32 s23, -1
                                        ; implicit-def: $vgpr4
	s_branch .LBB331_625
.LBB331_617:
	s_mov_b32 s23, -1
                                        ; implicit-def: $vgpr4
	s_branch .LBB331_622
.LBB331_618:
	s_mov_b32 s23, -1
                                        ; implicit-def: $vgpr4
.LBB331_619:
	s_delay_alu instid0(SALU_CYCLE_1)
	s_and_not1_b32 vcc_lo, exec_lo, s23
	s_cbranch_vccnz .LBB331_621
; %bb.620:
	s_wait_loadcnt 0x0
	global_load_b32 v4, v[2:3], off
.LBB331_621:
	s_mov_b32 s23, 0
.LBB331_622:
	s_delay_alu instid0(SALU_CYCLE_1)
	s_and_not1_b32 vcc_lo, exec_lo, s23
	s_cbranch_vccnz .LBB331_624
; %bb.623:
	s_wait_loadcnt 0x0
	global_load_u16 v4, v[2:3], off
.LBB331_624:
	s_mov_b32 s23, 0
.LBB331_625:
	s_delay_alu instid0(SALU_CYCLE_1)
	s_and_not1_b32 vcc_lo, exec_lo, s23
	s_cbranch_vccnz .LBB331_631
; %bb.626:
	s_cmp_gt_i32 s0, 0
	s_mov_b32 s0, 0
	s_cbranch_scc0 .LBB331_628
; %bb.627:
	s_wait_loadcnt 0x0
	global_load_i8 v4, v[2:3], off
	s_branch .LBB331_629
.LBB331_628:
	s_mov_b32 s0, -1
                                        ; implicit-def: $vgpr4
.LBB331_629:
	s_delay_alu instid0(SALU_CYCLE_1)
	s_and_not1_b32 vcc_lo, exec_lo, s0
	s_cbranch_vccnz .LBB331_631
; %bb.630:
	s_wait_loadcnt 0x0
	global_load_u8 v4, v[2:3], off
.LBB331_631:
	s_mov_b32 s26, -1
.LBB331_632:
	s_delay_alu instid0(SALU_CYCLE_1)
	s_and_not1_b32 vcc_lo, exec_lo, s26
	s_cbranch_vccnz .LBB331_640
; %bb.633:
	s_wait_xcnt 0x0
	v_mul_lo_u32 v2, v18, s8
	s_wait_loadcnt 0x0
	s_delay_alu instid0(VALU_DEP_2) | instskip(SKIP_3) | instid1(VALU_DEP_2)
	v_cmp_ne_u16_e32 vcc_lo, v0, v4
	s_and_b32 s26, s12, 0xff
	s_xor_b32 s23, s16, vcc_lo
	s_cmp_lt_i32 s26, 11
	v_ashrrev_i32_e32 v3, 31, v2
	s_delay_alu instid0(VALU_DEP_1)
	v_add_nc_u64_e32 v[0:1], s[4:5], v[2:3]
	s_cbranch_scc1 .LBB331_641
; %bb.634:
	s_and_b32 s27, 0xffff, s26
	s_delay_alu instid0(SALU_CYCLE_1)
	s_cmp_gt_i32 s27, 25
	s_cbranch_scc0 .LBB331_642
; %bb.635:
	s_cmp_gt_i32 s27, 28
	s_cbranch_scc0 .LBB331_643
; %bb.636:
	;; [unrolled: 3-line block ×4, first 2 shown]
	s_mov_b32 s29, 0
	s_mov_b32 s0, -1
	s_cmp_eq_u32 s27, 46
	s_mov_b32 s28, 0
	s_cbranch_scc0 .LBB331_646
; %bb.639:
	v_cndmask_b32_e64 v2, 0, 1.0, s23
	s_mov_b32 s28, -1
	s_mov_b32 s0, 0
	s_delay_alu instid0(VALU_DEP_1) | instskip(NEXT) | instid1(VALU_DEP_1)
	v_bfe_u32 v3, v2, 16, 1
	v_add3_u32 v2, v2, v3, 0x7fff
	s_delay_alu instid0(VALU_DEP_1)
	v_lshrrev_b32_e32 v2, 16, v2
	global_store_b32 v[0:1], v2, off
	s_branch .LBB331_646
.LBB331_640:
	s_mov_b32 s26, 0
	s_mov_b32 s0, s18
	s_branch .LBB331_757
.LBB331_641:
	s_mov_b32 s27, -1
	s_mov_b32 s28, 0
	s_mov_b32 s0, s18
	s_branch .LBB331_715
.LBB331_642:
	s_mov_b32 s29, -1
	s_mov_b32 s28, 0
	s_mov_b32 s0, s18
	s_branch .LBB331_673
.LBB331_643:
	s_mov_b32 s29, -1
	s_mov_b32 s28, 0
	s_mov_b32 s0, s18
	s_branch .LBB331_656
.LBB331_644:
	s_mov_b32 s29, -1
	s_mov_b32 s28, 0
	s_mov_b32 s0, s18
	s_branch .LBB331_652
.LBB331_645:
	s_mov_b32 s29, -1
	s_mov_b32 s28, 0
	s_mov_b32 s0, s18
.LBB331_646:
	s_and_b32 vcc_lo, exec_lo, s29
	s_cbranch_vccz .LBB331_651
; %bb.647:
	s_cmp_eq_u32 s27, 44
	s_mov_b32 s0, -1
	s_cbranch_scc0 .LBB331_651
; %bb.648:
	v_cndmask_b32_e64 v4, 0, 1.0, s23
	s_mov_b32 s28, exec_lo
	s_wait_xcnt 0x0
	s_delay_alu instid0(VALU_DEP_1) | instskip(NEXT) | instid1(VALU_DEP_1)
	v_dual_mov_b32 v3, 0xff :: v_dual_lshrrev_b32 v2, 23, v4
	v_cmpx_ne_u32_e32 0xff, v2
; %bb.649:
	v_and_b32_e32 v3, 0x400000, v4
	v_and_or_b32 v4, 0x3fffff, v4, v2
	s_delay_alu instid0(VALU_DEP_2) | instskip(NEXT) | instid1(VALU_DEP_2)
	v_cmp_ne_u32_e32 vcc_lo, 0, v3
	v_cmp_ne_u32_e64 s0, 0, v4
	s_and_b32 s0, vcc_lo, s0
	s_delay_alu instid0(SALU_CYCLE_1) | instskip(NEXT) | instid1(VALU_DEP_1)
	v_cndmask_b32_e64 v3, 0, 1, s0
	v_add_nc_u32_e32 v3, v2, v3
; %bb.650:
	s_or_b32 exec_lo, exec_lo, s28
	s_mov_b32 s28, -1
	s_mov_b32 s0, 0
	global_store_b8 v[0:1], v3, off
.LBB331_651:
	s_mov_b32 s29, 0
.LBB331_652:
	s_delay_alu instid0(SALU_CYCLE_1)
	s_and_b32 vcc_lo, exec_lo, s29
	s_cbranch_vccz .LBB331_655
; %bb.653:
	s_cmp_eq_u32 s27, 29
	s_mov_b32 s0, -1
	s_cbranch_scc0 .LBB331_655
; %bb.654:
	s_mov_b32 s0, 0
	s_wait_xcnt 0x0
	v_cndmask_b32_e64 v2, 0, 1, s23
	v_mov_b32_e32 v3, s0
	s_mov_b32 s28, -1
	s_mov_b32 s29, 0
	global_store_b64 v[0:1], v[2:3], off
	s_branch .LBB331_656
.LBB331_655:
	s_mov_b32 s29, 0
.LBB331_656:
	s_delay_alu instid0(SALU_CYCLE_1)
	s_and_b32 vcc_lo, exec_lo, s29
	s_cbranch_vccz .LBB331_672
; %bb.657:
	s_cmp_lt_i32 s27, 27
	s_mov_b32 s28, -1
	s_cbranch_scc1 .LBB331_663
; %bb.658:
	s_cmp_gt_i32 s27, 27
	s_cbranch_scc0 .LBB331_660
; %bb.659:
	s_wait_xcnt 0x0
	v_cndmask_b32_e64 v2, 0, 1, s23
	s_mov_b32 s28, 0
	global_store_b32 v[0:1], v2, off
.LBB331_660:
	s_and_not1_b32 vcc_lo, exec_lo, s28
	s_cbranch_vccnz .LBB331_662
; %bb.661:
	s_wait_xcnt 0x0
	v_cndmask_b32_e64 v2, 0, 1, s23
	global_store_b16 v[0:1], v2, off
.LBB331_662:
	s_mov_b32 s28, 0
.LBB331_663:
	s_delay_alu instid0(SALU_CYCLE_1)
	s_and_not1_b32 vcc_lo, exec_lo, s28
	s_cbranch_vccnz .LBB331_671
; %bb.664:
	s_wait_xcnt 0x0
	v_cndmask_b32_e64 v3, 0, 1.0, s23
	v_mov_b32_e32 v4, 0x80
	s_mov_b32 s28, exec_lo
	s_delay_alu instid0(VALU_DEP_2)
	v_cmpx_gt_u32_e32 0x43800000, v3
	s_cbranch_execz .LBB331_670
; %bb.665:
	s_mov_b32 s29, 0
	s_mov_b32 s30, exec_lo
                                        ; implicit-def: $vgpr2
	v_cmpx_lt_u32_e32 0x3bffffff, v3
	s_xor_b32 s30, exec_lo, s30
	s_cbranch_execz .LBB331_773
; %bb.666:
	v_bfe_u32 v2, v3, 20, 1
	s_mov_b32 s29, exec_lo
	s_delay_alu instid0(VALU_DEP_1) | instskip(NEXT) | instid1(VALU_DEP_1)
	v_add3_u32 v2, v3, v2, 0x487ffff
                                        ; implicit-def: $vgpr3
	v_lshrrev_b32_e32 v2, 20, v2
	s_and_not1_saveexec_b32 s30, s30
	s_cbranch_execnz .LBB331_774
.LBB331_667:
	s_or_b32 exec_lo, exec_lo, s30
	v_mov_b32_e32 v4, 0
	s_and_saveexec_b32 s30, s29
.LBB331_668:
	v_mov_b32_e32 v4, v2
.LBB331_669:
	s_or_b32 exec_lo, exec_lo, s30
.LBB331_670:
	s_delay_alu instid0(SALU_CYCLE_1)
	s_or_b32 exec_lo, exec_lo, s28
	global_store_b8 v[0:1], v4, off
.LBB331_671:
	s_mov_b32 s28, -1
.LBB331_672:
	s_mov_b32 s29, 0
.LBB331_673:
	s_delay_alu instid0(SALU_CYCLE_1)
	s_and_b32 vcc_lo, exec_lo, s29
	s_cbranch_vccz .LBB331_714
; %bb.674:
	s_cmp_gt_i32 s27, 22
	s_mov_b32 s29, -1
	s_cbranch_scc0 .LBB331_706
; %bb.675:
	s_cmp_lt_i32 s27, 24
	s_mov_b32 s28, -1
	s_cbranch_scc1 .LBB331_695
; %bb.676:
	s_cmp_gt_i32 s27, 24
	s_cbranch_scc0 .LBB331_684
; %bb.677:
	s_wait_xcnt 0x0
	v_cndmask_b32_e64 v3, 0, 1.0, s23
	v_mov_b32_e32 v4, 0x80
	s_mov_b32 s28, exec_lo
	s_delay_alu instid0(VALU_DEP_2)
	v_cmpx_gt_u32_e32 0x47800000, v3
	s_cbranch_execz .LBB331_683
; %bb.678:
	s_mov_b32 s29, 0
	s_mov_b32 s30, exec_lo
                                        ; implicit-def: $vgpr2
	v_cmpx_lt_u32_e32 0x37ffffff, v3
	s_xor_b32 s30, exec_lo, s30
	s_cbranch_execz .LBB331_901
; %bb.679:
	v_bfe_u32 v2, v3, 21, 1
	s_mov_b32 s29, exec_lo
	s_delay_alu instid0(VALU_DEP_1) | instskip(NEXT) | instid1(VALU_DEP_1)
	v_add3_u32 v2, v3, v2, 0x88fffff
                                        ; implicit-def: $vgpr3
	v_lshrrev_b32_e32 v2, 21, v2
	s_and_not1_saveexec_b32 s30, s30
	s_cbranch_execnz .LBB331_902
.LBB331_680:
	s_or_b32 exec_lo, exec_lo, s30
	v_mov_b32_e32 v4, 0
	s_and_saveexec_b32 s30, s29
.LBB331_681:
	v_mov_b32_e32 v4, v2
.LBB331_682:
	s_or_b32 exec_lo, exec_lo, s30
.LBB331_683:
	s_delay_alu instid0(SALU_CYCLE_1)
	s_or_b32 exec_lo, exec_lo, s28
	s_mov_b32 s28, 0
	global_store_b8 v[0:1], v4, off
.LBB331_684:
	s_and_b32 vcc_lo, exec_lo, s28
	s_cbranch_vccz .LBB331_694
; %bb.685:
	s_wait_xcnt 0x0
	v_cndmask_b32_e64 v3, 0, 1.0, s23
	s_mov_b32 s28, exec_lo
                                        ; implicit-def: $vgpr2
	s_delay_alu instid0(VALU_DEP_1)
	v_cmpx_gt_u32_e32 0x43f00000, v3
	s_xor_b32 s28, exec_lo, s28
	s_cbranch_execz .LBB331_691
; %bb.686:
	s_mov_b32 s29, exec_lo
                                        ; implicit-def: $vgpr2
	v_cmpx_lt_u32_e32 0x3c7fffff, v3
	s_xor_b32 s29, exec_lo, s29
; %bb.687:
	v_bfe_u32 v2, v3, 20, 1
	s_delay_alu instid0(VALU_DEP_1) | instskip(NEXT) | instid1(VALU_DEP_1)
	v_add3_u32 v2, v3, v2, 0x407ffff
	v_and_b32_e32 v3, 0xff00000, v2
	v_lshrrev_b32_e32 v2, 20, v2
	s_delay_alu instid0(VALU_DEP_2) | instskip(NEXT) | instid1(VALU_DEP_2)
	v_cmp_ne_u32_e32 vcc_lo, 0x7f00000, v3
                                        ; implicit-def: $vgpr3
	v_cndmask_b32_e32 v2, 0x7e, v2, vcc_lo
; %bb.688:
	s_and_not1_saveexec_b32 s29, s29
; %bb.689:
	v_add_f32_e32 v2, 0x46800000, v3
; %bb.690:
	s_or_b32 exec_lo, exec_lo, s29
                                        ; implicit-def: $vgpr3
.LBB331_691:
	s_and_not1_saveexec_b32 s28, s28
; %bb.692:
	v_mov_b32_e32 v2, 0x7f
	v_cmp_lt_u32_e32 vcc_lo, 0x7f800000, v3
	s_delay_alu instid0(VALU_DEP_2)
	v_cndmask_b32_e32 v2, 0x7e, v2, vcc_lo
; %bb.693:
	s_or_b32 exec_lo, exec_lo, s28
	global_store_b8 v[0:1], v2, off
.LBB331_694:
	s_mov_b32 s28, 0
.LBB331_695:
	s_delay_alu instid0(SALU_CYCLE_1)
	s_and_not1_b32 vcc_lo, exec_lo, s28
	s_cbranch_vccnz .LBB331_705
; %bb.696:
	s_wait_xcnt 0x0
	v_cndmask_b32_e64 v3, 0, 1.0, s23
	s_mov_b32 s28, exec_lo
                                        ; implicit-def: $vgpr2
	s_delay_alu instid0(VALU_DEP_1)
	v_cmpx_gt_u32_e32 0x47800000, v3
	s_xor_b32 s28, exec_lo, s28
	s_cbranch_execz .LBB331_702
; %bb.697:
	s_mov_b32 s29, exec_lo
                                        ; implicit-def: $vgpr2
	v_cmpx_lt_u32_e32 0x387fffff, v3
	s_xor_b32 s29, exec_lo, s29
; %bb.698:
	v_bfe_u32 v2, v3, 21, 1
	s_delay_alu instid0(VALU_DEP_1) | instskip(NEXT) | instid1(VALU_DEP_1)
	v_add3_u32 v2, v3, v2, 0x80fffff
                                        ; implicit-def: $vgpr3
	v_lshrrev_b32_e32 v2, 21, v2
; %bb.699:
	s_and_not1_saveexec_b32 s29, s29
; %bb.700:
	v_add_f32_e32 v2, 0x43000000, v3
; %bb.701:
	s_or_b32 exec_lo, exec_lo, s29
                                        ; implicit-def: $vgpr3
.LBB331_702:
	s_and_not1_saveexec_b32 s28, s28
; %bb.703:
	v_mov_b32_e32 v2, 0x7f
	v_cmp_lt_u32_e32 vcc_lo, 0x7f800000, v3
	s_delay_alu instid0(VALU_DEP_2)
	v_cndmask_b32_e32 v2, 0x7c, v2, vcc_lo
; %bb.704:
	s_or_b32 exec_lo, exec_lo, s28
	global_store_b8 v[0:1], v2, off
.LBB331_705:
	s_mov_b32 s29, 0
	s_mov_b32 s28, -1
.LBB331_706:
	s_and_not1_b32 vcc_lo, exec_lo, s29
	s_cbranch_vccnz .LBB331_714
; %bb.707:
	s_cmp_gt_i32 s27, 14
	s_mov_b32 s29, -1
	s_cbranch_scc0 .LBB331_711
; %bb.708:
	s_cmp_eq_u32 s27, 15
	s_mov_b32 s0, -1
	s_cbranch_scc0 .LBB331_710
; %bb.709:
	s_wait_xcnt 0x0
	v_cndmask_b32_e64 v2, 0, 1.0, s23
	s_mov_b32 s28, -1
	s_mov_b32 s0, 0
	s_delay_alu instid0(VALU_DEP_1) | instskip(NEXT) | instid1(VALU_DEP_1)
	v_bfe_u32 v3, v2, 16, 1
	v_add3_u32 v2, v2, v3, 0x7fff
	global_store_d16_hi_b16 v[0:1], v2, off
.LBB331_710:
	s_mov_b32 s29, 0
.LBB331_711:
	s_delay_alu instid0(SALU_CYCLE_1)
	s_and_b32 vcc_lo, exec_lo, s29
	s_cbranch_vccz .LBB331_714
; %bb.712:
	s_cmp_eq_u32 s27, 11
	s_mov_b32 s0, -1
	s_cbranch_scc0 .LBB331_714
; %bb.713:
	s_wait_xcnt 0x0
	v_cndmask_b32_e64 v2, 0, 1, s23
	s_mov_b32 s28, -1
	s_mov_b32 s0, 0
	global_store_b8 v[0:1], v2, off
.LBB331_714:
	s_mov_b32 s27, 0
.LBB331_715:
	s_delay_alu instid0(SALU_CYCLE_1)
	s_and_b32 vcc_lo, exec_lo, s27
	s_cbranch_vccz .LBB331_754
; %bb.716:
	s_and_b32 s26, 0xffff, s26
	s_mov_b32 s27, -1
	s_cmp_lt_i32 s26, 5
	s_cbranch_scc1 .LBB331_737
; %bb.717:
	s_cmp_lt_i32 s26, 8
	s_cbranch_scc1 .LBB331_727
; %bb.718:
	;; [unrolled: 3-line block ×3, first 2 shown]
	s_cmp_gt_i32 s26, 9
	s_cbranch_scc0 .LBB331_721
; %bb.720:
	s_wait_xcnt 0x0
	v_cndmask_b32_e64 v2, 0, 1, s23
	v_mov_b32_e32 v4, 0
	s_mov_b32 s27, 0
	s_delay_alu instid0(VALU_DEP_2) | instskip(NEXT) | instid1(VALU_DEP_2)
	v_cvt_f64_u32_e32 v[2:3], v2
	v_mov_b32_e32 v5, v4
	global_store_b128 v[0:1], v[2:5], off
.LBB331_721:
	s_and_not1_b32 vcc_lo, exec_lo, s27
	s_cbranch_vccnz .LBB331_723
; %bb.722:
	s_wait_xcnt 0x0
	v_cndmask_b32_e64 v2, 0, 1.0, s23
	v_mov_b32_e32 v3, 0
	global_store_b64 v[0:1], v[2:3], off
.LBB331_723:
	s_mov_b32 s27, 0
.LBB331_724:
	s_delay_alu instid0(SALU_CYCLE_1)
	s_and_not1_b32 vcc_lo, exec_lo, s27
	s_cbranch_vccnz .LBB331_726
; %bb.725:
	s_wait_xcnt 0x0
	v_cndmask_b32_e64 v2, 0, 1.0, s23
	s_delay_alu instid0(VALU_DEP_1) | instskip(NEXT) | instid1(VALU_DEP_1)
	v_cvt_f16_f32_e32 v2, v2
	v_and_b32_e32 v2, 0xffff, v2
	global_store_b32 v[0:1], v2, off
.LBB331_726:
	s_mov_b32 s27, 0
.LBB331_727:
	s_delay_alu instid0(SALU_CYCLE_1)
	s_and_not1_b32 vcc_lo, exec_lo, s27
	s_cbranch_vccnz .LBB331_736
; %bb.728:
	s_cmp_lt_i32 s26, 6
	s_mov_b32 s27, -1
	s_cbranch_scc1 .LBB331_734
; %bb.729:
	s_cmp_gt_i32 s26, 6
	s_cbranch_scc0 .LBB331_731
; %bb.730:
	s_wait_xcnt 0x0
	v_cndmask_b32_e64 v2, 0, 1, s23
	s_mov_b32 s27, 0
	s_delay_alu instid0(VALU_DEP_1)
	v_cvt_f64_u32_e32 v[2:3], v2
	global_store_b64 v[0:1], v[2:3], off
.LBB331_731:
	s_and_not1_b32 vcc_lo, exec_lo, s27
	s_cbranch_vccnz .LBB331_733
; %bb.732:
	s_wait_xcnt 0x0
	v_cndmask_b32_e64 v2, 0, 1.0, s23
	global_store_b32 v[0:1], v2, off
.LBB331_733:
	s_mov_b32 s27, 0
.LBB331_734:
	s_delay_alu instid0(SALU_CYCLE_1)
	s_and_not1_b32 vcc_lo, exec_lo, s27
	s_cbranch_vccnz .LBB331_736
; %bb.735:
	s_wait_xcnt 0x0
	v_cndmask_b32_e64 v2, 0, 1.0, s23
	s_delay_alu instid0(VALU_DEP_1)
	v_cvt_f16_f32_e32 v2, v2
	global_store_b16 v[0:1], v2, off
.LBB331_736:
	s_mov_b32 s27, 0
.LBB331_737:
	s_delay_alu instid0(SALU_CYCLE_1)
	s_and_not1_b32 vcc_lo, exec_lo, s27
	s_cbranch_vccnz .LBB331_753
; %bb.738:
	s_cmp_lt_i32 s26, 2
	s_mov_b32 s27, -1
	s_cbranch_scc1 .LBB331_748
; %bb.739:
	s_cmp_lt_i32 s26, 3
	s_cbranch_scc1 .LBB331_745
; %bb.740:
	s_cmp_gt_i32 s26, 3
	s_cbranch_scc0 .LBB331_742
; %bb.741:
	s_mov_b32 s27, 0
	s_wait_xcnt 0x0
	v_cndmask_b32_e64 v2, 0, 1, s23
	v_mov_b32_e32 v3, s27
	global_store_b64 v[0:1], v[2:3], off
.LBB331_742:
	s_and_not1_b32 vcc_lo, exec_lo, s27
	s_cbranch_vccnz .LBB331_744
; %bb.743:
	s_wait_xcnt 0x0
	v_cndmask_b32_e64 v2, 0, 1, s23
	global_store_b32 v[0:1], v2, off
.LBB331_744:
	s_mov_b32 s27, 0
.LBB331_745:
	s_delay_alu instid0(SALU_CYCLE_1)
	s_and_not1_b32 vcc_lo, exec_lo, s27
	s_cbranch_vccnz .LBB331_747
; %bb.746:
	s_wait_xcnt 0x0
	v_cndmask_b32_e64 v2, 0, 1, s23
	global_store_b16 v[0:1], v2, off
.LBB331_747:
	s_mov_b32 s27, 0
.LBB331_748:
	s_delay_alu instid0(SALU_CYCLE_1)
	s_and_not1_b32 vcc_lo, exec_lo, s27
	s_cbranch_vccnz .LBB331_753
; %bb.749:
	s_wait_xcnt 0x0
	v_cndmask_b32_e64 v2, 0, 1, s23
	s_cmp_gt_i32 s26, 0
	s_mov_b32 s23, -1
	s_cbranch_scc0 .LBB331_751
; %bb.750:
	s_mov_b32 s23, 0
	global_store_b8 v[0:1], v2, off
.LBB331_751:
	s_and_not1_b32 vcc_lo, exec_lo, s23
	s_cbranch_vccnz .LBB331_753
; %bb.752:
	global_store_b8 v[0:1], v2, off
.LBB331_753:
	s_mov_b32 s28, -1
.LBB331_754:
	s_delay_alu instid0(SALU_CYCLE_1)
	s_and_not1_b32 vcc_lo, exec_lo, s28
	s_cbranch_vccnz .LBB331_756
; %bb.755:
	v_add_nc_u32_e32 v18, 0x80, v18
	s_mov_b32 s26, -1
	s_branch .LBB331_758
.LBB331_756:
	s_mov_b32 s26, 0
.LBB331_757:
                                        ; implicit-def: $vgpr18
.LBB331_758:
	s_and_not1_b32 s23, s18, exec_lo
	s_and_b32 s0, s0, exec_lo
	s_and_b32 s24, s24, exec_lo
	s_or_b32 s23, s23, s0
	s_and_not1_b32 s0, s19, exec_lo
	s_and_not1_b32 s27, s20, exec_lo
	s_and_b32 s22, s22, exec_lo
	s_or_b32 s24, s0, s24
	s_or_b32 s22, s27, s22
	s_or_not1_b32 s27, s26, exec_lo
.LBB331_759:
	s_wait_xcnt 0x0
	s_or_b32 exec_lo, exec_lo, s25
	s_mov_b32 s26, 0
	s_mov_b32 s28, 0
	;; [unrolled: 1-line block ×3, first 2 shown]
                                        ; implicit-def: $sgpr0
                                        ; implicit-def: $vgpr2_vgpr3
                                        ; implicit-def: $vgpr0
	s_and_saveexec_b32 s25, s27
	s_cbranch_execz .LBB331_1222
; %bb.760:
	s_mov_b32 s34, -1
	s_mov_b32 s27, s22
	s_mov_b32 s28, s24
	;; [unrolled: 1-line block ×3, first 2 shown]
	s_mov_b32 s26, exec_lo
	v_cmpx_gt_i32_e64 s17, v18
	s_cbranch_execz .LBB331_1142
; %bb.761:
	s_wait_loadcnt 0x0
	v_mul_lo_u32 v0, v18, s9
	s_and_b32 s0, s14, 0xff
	s_delay_alu instid0(SALU_CYCLE_1) | instskip(NEXT) | instid1(VALU_DEP_1)
	s_cmp_lt_i32 s0, 11
	v_ashrrev_i32_e32 v1, 31, v0
	s_delay_alu instid0(VALU_DEP_1)
	v_add_nc_u64_e32 v[2:3], s[6:7], v[0:1]
	s_cbranch_scc1 .LBB331_768
; %bb.762:
	s_and_b32 s28, 0xffff, s0
	s_delay_alu instid0(SALU_CYCLE_1)
	s_cmp_gt_i32 s28, 25
	s_cbranch_scc0 .LBB331_769
; %bb.763:
	s_cmp_gt_i32 s28, 28
	s_cbranch_scc0 .LBB331_770
; %bb.764:
	;; [unrolled: 3-line block ×4, first 2 shown]
	s_cmp_eq_u32 s28, 46
	s_mov_b32 s30, 0
	s_cbranch_scc0 .LBB331_775
; %bb.767:
	global_load_b32 v0, v[2:3], off
	s_mov_b32 s29, -1
	s_mov_b32 s27, 0
	s_wait_loadcnt 0x0
	v_lshlrev_b32_e32 v0, 16, v0
	s_delay_alu instid0(VALU_DEP_1)
	v_cvt_u32_f32_e32 v0, v0
	s_branch .LBB331_777
.LBB331_768:
	s_mov_b32 s28, -1
	s_mov_b32 s29, 0
	s_mov_b32 s27, s22
                                        ; implicit-def: $vgpr0
	s_branch .LBB331_838
.LBB331_769:
	s_mov_b32 s30, -1
	s_mov_b32 s29, 0
	s_mov_b32 s27, s22
                                        ; implicit-def: $vgpr0
	s_branch .LBB331_804
.LBB331_770:
	s_mov_b32 s30, -1
	s_mov_b32 s29, 0
	s_mov_b32 s27, s22
                                        ; implicit-def: $vgpr0
	s_branch .LBB331_787
.LBB331_771:
	s_mov_b32 s30, -1
	s_mov_b32 s29, 0
	s_mov_b32 s27, s22
                                        ; implicit-def: $vgpr0
	s_branch .LBB331_782
.LBB331_772:
	s_mov_b32 s30, -1
	s_mov_b32 s29, 0
	s_mov_b32 s27, s22
	s_branch .LBB331_776
.LBB331_773:
	s_and_not1_saveexec_b32 s30, s30
	s_cbranch_execz .LBB331_667
.LBB331_774:
	v_add_f32_e32 v2, 0x46000000, v3
	s_and_not1_b32 s29, s29, exec_lo
	s_delay_alu instid0(VALU_DEP_1) | instskip(NEXT) | instid1(VALU_DEP_1)
	v_and_b32_e32 v2, 0xff, v2
	v_cmp_ne_u32_e32 vcc_lo, 0, v2
	s_and_b32 s31, vcc_lo, exec_lo
	s_delay_alu instid0(SALU_CYCLE_1)
	s_or_b32 s29, s29, s31
	s_or_b32 exec_lo, exec_lo, s30
	v_mov_b32_e32 v4, 0
	s_and_saveexec_b32 s30, s29
	s_cbranch_execnz .LBB331_668
	s_branch .LBB331_669
.LBB331_775:
	s_mov_b32 s27, -1
	s_mov_b32 s29, 0
.LBB331_776:
                                        ; implicit-def: $vgpr0
.LBB331_777:
	s_and_b32 vcc_lo, exec_lo, s30
	s_cbranch_vccz .LBB331_781
; %bb.778:
	s_cmp_eq_u32 s28, 44
	s_cbranch_scc0 .LBB331_780
; %bb.779:
	global_load_u8 v0, v[2:3], off
	s_mov_b32 s27, 0
	s_mov_b32 s29, -1
	s_wait_loadcnt 0x0
	v_lshlrev_b32_e32 v1, 23, v0
	v_cmp_ne_u32_e32 vcc_lo, 0, v0
	s_delay_alu instid0(VALU_DEP_2) | instskip(NEXT) | instid1(VALU_DEP_1)
	v_cvt_u32_f32_e32 v1, v1
	v_cndmask_b32_e32 v0, 0, v1, vcc_lo
	s_branch .LBB331_781
.LBB331_780:
	s_mov_b32 s27, -1
                                        ; implicit-def: $vgpr0
.LBB331_781:
	s_mov_b32 s30, 0
.LBB331_782:
	s_delay_alu instid0(SALU_CYCLE_1)
	s_and_b32 vcc_lo, exec_lo, s30
	s_cbranch_vccz .LBB331_786
; %bb.783:
	s_cmp_eq_u32 s28, 29
	s_cbranch_scc0 .LBB331_785
; %bb.784:
	global_load_b64 v[0:1], v[2:3], off
	s_mov_b32 s29, -1
	s_mov_b32 s27, 0
	s_branch .LBB331_786
.LBB331_785:
	s_mov_b32 s27, -1
                                        ; implicit-def: $vgpr0
.LBB331_786:
	s_mov_b32 s30, 0
.LBB331_787:
	s_delay_alu instid0(SALU_CYCLE_1)
	s_and_b32 vcc_lo, exec_lo, s30
	s_cbranch_vccz .LBB331_803
; %bb.788:
	s_cmp_lt_i32 s28, 27
	s_cbranch_scc1 .LBB331_791
; %bb.789:
	s_cmp_gt_i32 s28, 27
	s_cbranch_scc0 .LBB331_792
; %bb.790:
	s_wait_loadcnt 0x0
	global_load_b32 v0, v[2:3], off
	s_mov_b32 s29, 0
	s_branch .LBB331_793
.LBB331_791:
	s_mov_b32 s29, -1
                                        ; implicit-def: $vgpr0
	s_branch .LBB331_796
.LBB331_792:
	s_mov_b32 s29, -1
                                        ; implicit-def: $vgpr0
.LBB331_793:
	s_delay_alu instid0(SALU_CYCLE_1)
	s_and_not1_b32 vcc_lo, exec_lo, s29
	s_cbranch_vccnz .LBB331_795
; %bb.794:
	s_wait_loadcnt 0x0
	global_load_u16 v0, v[2:3], off
.LBB331_795:
	s_mov_b32 s29, 0
.LBB331_796:
	s_delay_alu instid0(SALU_CYCLE_1)
	s_and_not1_b32 vcc_lo, exec_lo, s29
	s_cbranch_vccnz .LBB331_802
; %bb.797:
	s_wait_loadcnt 0x0
	global_load_u8 v1, v[2:3], off
	s_mov_b32 s30, 0
	s_mov_b32 s29, exec_lo
	s_wait_loadcnt 0x0
	v_cmpx_lt_i16_e32 0x7f, v1
	s_xor_b32 s29, exec_lo, s29
	s_cbranch_execz .LBB331_814
; %bb.798:
	v_cmp_ne_u16_e32 vcc_lo, 0x80, v1
	s_and_b32 s30, vcc_lo, exec_lo
	s_and_not1_saveexec_b32 s29, s29
	s_cbranch_execnz .LBB331_815
.LBB331_799:
	s_or_b32 exec_lo, exec_lo, s29
	v_mov_b32_e32 v0, 0
	s_and_saveexec_b32 s29, s30
	s_cbranch_execz .LBB331_801
.LBB331_800:
	v_and_b32_e32 v0, 0xffff, v1
	s_delay_alu instid0(VALU_DEP_1) | instskip(SKIP_1) | instid1(VALU_DEP_2)
	v_and_b32_e32 v4, 7, v0
	v_bfe_u32 v7, v0, 3, 4
	v_clz_i32_u32_e32 v5, v4
	s_delay_alu instid0(VALU_DEP_2) | instskip(NEXT) | instid1(VALU_DEP_2)
	v_cmp_eq_u32_e32 vcc_lo, 0, v7
	v_min_u32_e32 v5, 32, v5
	s_delay_alu instid0(VALU_DEP_1) | instskip(NEXT) | instid1(VALU_DEP_1)
	v_subrev_nc_u32_e32 v6, 28, v5
	v_dual_lshlrev_b32 v0, v6, v0 :: v_dual_sub_nc_u32 v5, 29, v5
	s_delay_alu instid0(VALU_DEP_1) | instskip(NEXT) | instid1(VALU_DEP_1)
	v_dual_lshlrev_b32 v1, 24, v1 :: v_dual_bitop2_b32 v0, 7, v0 bitop3:0x40
	v_dual_cndmask_b32 v0, v4, v0 :: v_dual_cndmask_b32 v5, v7, v5
	s_delay_alu instid0(VALU_DEP_2) | instskip(NEXT) | instid1(VALU_DEP_2)
	v_and_b32_e32 v1, 0x80000000, v1
	v_lshlrev_b32_e32 v0, 20, v0
	s_delay_alu instid0(VALU_DEP_3) | instskip(NEXT) | instid1(VALU_DEP_1)
	v_lshl_add_u32 v4, v5, 23, 0x3b800000
	v_or3_b32 v0, v1, v4, v0
	s_delay_alu instid0(VALU_DEP_1)
	v_cvt_u32_f32_e32 v0, v0
.LBB331_801:
	s_or_b32 exec_lo, exec_lo, s29
.LBB331_802:
	s_mov_b32 s29, -1
.LBB331_803:
	s_mov_b32 s30, 0
.LBB331_804:
	s_delay_alu instid0(SALU_CYCLE_1)
	s_and_b32 vcc_lo, exec_lo, s30
	s_cbranch_vccz .LBB331_837
; %bb.805:
	s_cmp_gt_i32 s28, 22
	s_cbranch_scc0 .LBB331_813
; %bb.806:
	s_cmp_lt_i32 s28, 24
	s_cbranch_scc1 .LBB331_816
; %bb.807:
	s_cmp_gt_i32 s28, 24
	s_cbranch_scc0 .LBB331_817
; %bb.808:
	s_wait_loadcnt 0x0
	global_load_u8 v1, v[2:3], off
	s_mov_b32 s30, 0
	s_mov_b32 s29, exec_lo
	s_wait_loadcnt 0x0
	v_cmpx_lt_i16_e32 0x7f, v1
	s_xor_b32 s29, exec_lo, s29
	s_cbranch_execz .LBB331_829
; %bb.809:
	v_cmp_ne_u16_e32 vcc_lo, 0x80, v1
	s_and_b32 s30, vcc_lo, exec_lo
	s_and_not1_saveexec_b32 s29, s29
	s_cbranch_execnz .LBB331_830
.LBB331_810:
	s_or_b32 exec_lo, exec_lo, s29
	v_mov_b32_e32 v0, 0
	s_and_saveexec_b32 s29, s30
	s_cbranch_execz .LBB331_812
.LBB331_811:
	v_and_b32_e32 v0, 0xffff, v1
	s_delay_alu instid0(VALU_DEP_1) | instskip(SKIP_1) | instid1(VALU_DEP_2)
	v_and_b32_e32 v4, 3, v0
	v_bfe_u32 v7, v0, 2, 5
	v_clz_i32_u32_e32 v5, v4
	s_delay_alu instid0(VALU_DEP_2) | instskip(NEXT) | instid1(VALU_DEP_2)
	v_cmp_eq_u32_e32 vcc_lo, 0, v7
	v_min_u32_e32 v5, 32, v5
	s_delay_alu instid0(VALU_DEP_1) | instskip(NEXT) | instid1(VALU_DEP_1)
	v_subrev_nc_u32_e32 v6, 29, v5
	v_dual_lshlrev_b32 v0, v6, v0 :: v_dual_sub_nc_u32 v5, 30, v5
	s_delay_alu instid0(VALU_DEP_1) | instskip(NEXT) | instid1(VALU_DEP_1)
	v_dual_lshlrev_b32 v1, 24, v1 :: v_dual_bitop2_b32 v0, 3, v0 bitop3:0x40
	v_dual_cndmask_b32 v0, v4, v0 :: v_dual_cndmask_b32 v5, v7, v5
	s_delay_alu instid0(VALU_DEP_2) | instskip(NEXT) | instid1(VALU_DEP_2)
	v_and_b32_e32 v1, 0x80000000, v1
	v_lshlrev_b32_e32 v0, 21, v0
	s_delay_alu instid0(VALU_DEP_3) | instskip(NEXT) | instid1(VALU_DEP_1)
	v_lshl_add_u32 v4, v5, 23, 0x37800000
	v_or3_b32 v0, v1, v4, v0
	s_delay_alu instid0(VALU_DEP_1)
	v_cvt_u32_f32_e32 v0, v0
.LBB331_812:
	s_or_b32 exec_lo, exec_lo, s29
	s_mov_b32 s29, 0
	s_branch .LBB331_818
.LBB331_813:
	s_mov_b32 s30, -1
                                        ; implicit-def: $vgpr0
	s_branch .LBB331_824
.LBB331_814:
	s_and_not1_saveexec_b32 s29, s29
	s_cbranch_execz .LBB331_799
.LBB331_815:
	v_cmp_ne_u16_e32 vcc_lo, 0, v1
	s_and_not1_b32 s30, s30, exec_lo
	s_and_b32 s31, vcc_lo, exec_lo
	s_delay_alu instid0(SALU_CYCLE_1)
	s_or_b32 s30, s30, s31
	s_or_b32 exec_lo, exec_lo, s29
	v_mov_b32_e32 v0, 0
	s_and_saveexec_b32 s29, s30
	s_cbranch_execnz .LBB331_800
	s_branch .LBB331_801
.LBB331_816:
	s_mov_b32 s29, -1
                                        ; implicit-def: $vgpr0
	s_branch .LBB331_821
.LBB331_817:
	s_mov_b32 s29, -1
                                        ; implicit-def: $vgpr0
.LBB331_818:
	s_delay_alu instid0(SALU_CYCLE_1)
	s_and_b32 vcc_lo, exec_lo, s29
	s_cbranch_vccz .LBB331_820
; %bb.819:
	s_wait_loadcnt 0x0
	global_load_u8 v0, v[2:3], off
	s_wait_loadcnt 0x0
	v_lshlrev_b32_e32 v0, 24, v0
	s_delay_alu instid0(VALU_DEP_1) | instskip(NEXT) | instid1(VALU_DEP_1)
	v_and_b32_e32 v1, 0x7f000000, v0
	v_clz_i32_u32_e32 v4, v1
	v_cmp_ne_u32_e32 vcc_lo, 0, v1
	v_add_nc_u32_e32 v6, 0x1000000, v1
	s_delay_alu instid0(VALU_DEP_3) | instskip(NEXT) | instid1(VALU_DEP_1)
	v_min_u32_e32 v4, 32, v4
	v_sub_nc_u32_e64 v4, v4, 4 clamp
	s_delay_alu instid0(VALU_DEP_1) | instskip(NEXT) | instid1(VALU_DEP_1)
	v_dual_lshlrev_b32 v5, v4, v1 :: v_dual_lshlrev_b32 v4, 23, v4
	v_lshrrev_b32_e32 v5, 4, v5
	s_delay_alu instid0(VALU_DEP_1) | instskip(NEXT) | instid1(VALU_DEP_1)
	v_dual_sub_nc_u32 v4, v5, v4 :: v_dual_ashrrev_i32 v5, 8, v6
	v_add_nc_u32_e32 v4, 0x3c000000, v4
	s_delay_alu instid0(VALU_DEP_1) | instskip(NEXT) | instid1(VALU_DEP_1)
	v_and_or_b32 v4, 0x7f800000, v5, v4
	v_cndmask_b32_e32 v1, 0, v4, vcc_lo
	s_delay_alu instid0(VALU_DEP_1) | instskip(NEXT) | instid1(VALU_DEP_1)
	v_and_or_b32 v0, 0x80000000, v0, v1
	v_cvt_u32_f32_e32 v0, v0
.LBB331_820:
	s_mov_b32 s29, 0
.LBB331_821:
	s_delay_alu instid0(SALU_CYCLE_1)
	s_and_not1_b32 vcc_lo, exec_lo, s29
	s_cbranch_vccnz .LBB331_823
; %bb.822:
	s_wait_loadcnt 0x0
	global_load_u8 v0, v[2:3], off
	s_wait_loadcnt 0x0
	v_lshlrev_b32_e32 v1, 25, v0
	v_lshlrev_b16 v0, 8, v0
	s_delay_alu instid0(VALU_DEP_1) | instskip(SKIP_1) | instid1(VALU_DEP_2)
	v_and_or_b32 v5, 0x7f00, v0, 0.5
	v_bfe_i32 v0, v0, 0, 16
	v_add_f32_e32 v5, -0.5, v5
	v_lshrrev_b32_e32 v4, 4, v1
	v_cmp_gt_u32_e32 vcc_lo, 0x8000000, v1
	s_delay_alu instid0(VALU_DEP_2) | instskip(NEXT) | instid1(VALU_DEP_1)
	v_or_b32_e32 v4, 0x70000000, v4
	v_mul_f32_e32 v4, 0x7800000, v4
	s_delay_alu instid0(VALU_DEP_1) | instskip(NEXT) | instid1(VALU_DEP_1)
	v_cndmask_b32_e32 v1, v4, v5, vcc_lo
	v_and_or_b32 v0, 0x80000000, v0, v1
	s_delay_alu instid0(VALU_DEP_1)
	v_cvt_u32_f32_e32 v0, v0
.LBB331_823:
	s_mov_b32 s30, 0
	s_mov_b32 s29, -1
.LBB331_824:
	s_and_not1_b32 vcc_lo, exec_lo, s30
	s_cbranch_vccnz .LBB331_837
; %bb.825:
	s_cmp_gt_i32 s28, 14
	s_cbranch_scc0 .LBB331_828
; %bb.826:
	s_cmp_eq_u32 s28, 15
	s_cbranch_scc0 .LBB331_831
; %bb.827:
	s_wait_loadcnt 0x0
	global_load_u16 v0, v[2:3], off
	s_mov_b32 s29, -1
	s_mov_b32 s27, 0
	s_wait_loadcnt 0x0
	v_lshlrev_b32_e32 v0, 16, v0
	s_delay_alu instid0(VALU_DEP_1)
	v_cvt_u32_f32_e32 v0, v0
	s_branch .LBB331_832
.LBB331_828:
	s_mov_b32 s30, -1
                                        ; implicit-def: $vgpr0
	s_branch .LBB331_833
.LBB331_829:
	s_and_not1_saveexec_b32 s29, s29
	s_cbranch_execz .LBB331_810
.LBB331_830:
	v_cmp_ne_u16_e32 vcc_lo, 0, v1
	s_and_not1_b32 s30, s30, exec_lo
	s_and_b32 s31, vcc_lo, exec_lo
	s_delay_alu instid0(SALU_CYCLE_1)
	s_or_b32 s30, s30, s31
	s_or_b32 exec_lo, exec_lo, s29
	v_mov_b32_e32 v0, 0
	s_and_saveexec_b32 s29, s30
	s_cbranch_execnz .LBB331_811
	s_branch .LBB331_812
.LBB331_831:
	s_mov_b32 s27, -1
                                        ; implicit-def: $vgpr0
.LBB331_832:
	s_mov_b32 s30, 0
.LBB331_833:
	s_delay_alu instid0(SALU_CYCLE_1)
	s_and_b32 vcc_lo, exec_lo, s30
	s_cbranch_vccz .LBB331_837
; %bb.834:
	s_cmp_eq_u32 s28, 11
	s_cbranch_scc0 .LBB331_836
; %bb.835:
	s_wait_loadcnt 0x0
	global_load_u8 v0, v[2:3], off
	s_mov_b32 s27, 0
	s_mov_b32 s29, -1
	s_wait_loadcnt 0x0
	v_cmp_ne_u16_e32 vcc_lo, 0, v0
	v_cndmask_b32_e64 v0, 0, 1, vcc_lo
	s_branch .LBB331_837
.LBB331_836:
	s_mov_b32 s27, -1
                                        ; implicit-def: $vgpr0
.LBB331_837:
	s_mov_b32 s28, 0
.LBB331_838:
	s_delay_alu instid0(SALU_CYCLE_1)
	s_and_b32 vcc_lo, exec_lo, s28
	s_cbranch_vccz .LBB331_887
; %bb.839:
	s_and_b32 s0, 0xffff, s0
	s_delay_alu instid0(SALU_CYCLE_1)
	s_cmp_lt_i32 s0, 5
	s_cbranch_scc1 .LBB331_844
; %bb.840:
	s_cmp_lt_i32 s0, 8
	s_cbranch_scc1 .LBB331_845
; %bb.841:
	;; [unrolled: 3-line block ×3, first 2 shown]
	s_cmp_gt_i32 s0, 9
	s_cbranch_scc0 .LBB331_847
; %bb.843:
	s_wait_loadcnt 0x0
	global_load_b64 v[0:1], v[2:3], off
	s_mov_b32 s28, 0
	s_wait_loadcnt 0x0
	v_cvt_u32_f64_e32 v0, v[0:1]
	s_branch .LBB331_848
.LBB331_844:
	s_mov_b32 s28, -1
                                        ; implicit-def: $vgpr0
	s_branch .LBB331_866
.LBB331_845:
	s_mov_b32 s28, -1
                                        ; implicit-def: $vgpr0
	s_branch .LBB331_854
.LBB331_846:
	s_mov_b32 s28, -1
                                        ; implicit-def: $vgpr0
	s_branch .LBB331_851
.LBB331_847:
	s_mov_b32 s28, -1
                                        ; implicit-def: $vgpr0
.LBB331_848:
	s_delay_alu instid0(SALU_CYCLE_1)
	s_and_not1_b32 vcc_lo, exec_lo, s28
	s_cbranch_vccnz .LBB331_850
; %bb.849:
	s_wait_loadcnt 0x0
	global_load_b32 v0, v[2:3], off
	s_wait_loadcnt 0x0
	v_cvt_u32_f32_e32 v0, v0
.LBB331_850:
	s_mov_b32 s28, 0
.LBB331_851:
	s_delay_alu instid0(SALU_CYCLE_1)
	s_and_not1_b32 vcc_lo, exec_lo, s28
	s_cbranch_vccnz .LBB331_853
; %bb.852:
	s_wait_loadcnt 0x0
	global_load_b32 v0, v[2:3], off
	s_wait_loadcnt 0x0
	v_cvt_u16_f16_e32 v0, v0
.LBB331_853:
	s_mov_b32 s28, 0
.LBB331_854:
	s_delay_alu instid0(SALU_CYCLE_1)
	s_and_not1_b32 vcc_lo, exec_lo, s28
	s_cbranch_vccnz .LBB331_865
; %bb.855:
	s_cmp_lt_i32 s0, 6
	s_cbranch_scc1 .LBB331_858
; %bb.856:
	s_cmp_gt_i32 s0, 6
	s_cbranch_scc0 .LBB331_859
; %bb.857:
	s_wait_loadcnt 0x0
	global_load_b64 v[0:1], v[2:3], off
	s_mov_b32 s28, 0
	s_wait_loadcnt 0x0
	v_cvt_u32_f64_e32 v0, v[0:1]
	s_branch .LBB331_860
.LBB331_858:
	s_mov_b32 s28, -1
                                        ; implicit-def: $vgpr0
	s_branch .LBB331_863
.LBB331_859:
	s_mov_b32 s28, -1
                                        ; implicit-def: $vgpr0
.LBB331_860:
	s_delay_alu instid0(SALU_CYCLE_1)
	s_and_not1_b32 vcc_lo, exec_lo, s28
	s_cbranch_vccnz .LBB331_862
; %bb.861:
	s_wait_loadcnt 0x0
	global_load_b32 v0, v[2:3], off
	s_wait_loadcnt 0x0
	v_cvt_u32_f32_e32 v0, v0
.LBB331_862:
	s_mov_b32 s28, 0
.LBB331_863:
	s_delay_alu instid0(SALU_CYCLE_1)
	s_and_not1_b32 vcc_lo, exec_lo, s28
	s_cbranch_vccnz .LBB331_865
; %bb.864:
	s_wait_loadcnt 0x0
	global_load_u16 v0, v[2:3], off
	s_wait_loadcnt 0x0
	v_cvt_u16_f16_e32 v0, v0
.LBB331_865:
	s_mov_b32 s28, 0
.LBB331_866:
	s_delay_alu instid0(SALU_CYCLE_1)
	s_and_not1_b32 vcc_lo, exec_lo, s28
	s_cbranch_vccnz .LBB331_886
; %bb.867:
	s_cmp_lt_i32 s0, 2
	s_cbranch_scc1 .LBB331_871
; %bb.868:
	s_cmp_lt_i32 s0, 3
	s_cbranch_scc1 .LBB331_872
; %bb.869:
	s_cmp_gt_i32 s0, 3
	s_cbranch_scc0 .LBB331_873
; %bb.870:
	s_wait_loadcnt 0x0
	global_load_b64 v[0:1], v[2:3], off
	s_mov_b32 s28, 0
	s_branch .LBB331_874
.LBB331_871:
	s_mov_b32 s28, -1
                                        ; implicit-def: $vgpr0
	s_branch .LBB331_880
.LBB331_872:
	s_mov_b32 s28, -1
                                        ; implicit-def: $vgpr0
	s_branch .LBB331_877
.LBB331_873:
	s_mov_b32 s28, -1
                                        ; implicit-def: $vgpr0
.LBB331_874:
	s_delay_alu instid0(SALU_CYCLE_1)
	s_and_not1_b32 vcc_lo, exec_lo, s28
	s_cbranch_vccnz .LBB331_876
; %bb.875:
	s_wait_loadcnt 0x0
	global_load_b32 v0, v[2:3], off
.LBB331_876:
	s_mov_b32 s28, 0
.LBB331_877:
	s_delay_alu instid0(SALU_CYCLE_1)
	s_and_not1_b32 vcc_lo, exec_lo, s28
	s_cbranch_vccnz .LBB331_879
; %bb.878:
	s_wait_loadcnt 0x0
	global_load_u16 v0, v[2:3], off
.LBB331_879:
	s_mov_b32 s28, 0
.LBB331_880:
	s_delay_alu instid0(SALU_CYCLE_1)
	s_and_not1_b32 vcc_lo, exec_lo, s28
	s_cbranch_vccnz .LBB331_886
; %bb.881:
	s_cmp_gt_i32 s0, 0
	s_mov_b32 s0, 0
	s_cbranch_scc0 .LBB331_883
; %bb.882:
	s_wait_loadcnt 0x0
	global_load_i8 v0, v[2:3], off
	s_branch .LBB331_884
.LBB331_883:
	s_mov_b32 s0, -1
                                        ; implicit-def: $vgpr0
.LBB331_884:
	s_delay_alu instid0(SALU_CYCLE_1)
	s_and_not1_b32 vcc_lo, exec_lo, s0
	s_cbranch_vccnz .LBB331_886
; %bb.885:
	s_wait_loadcnt 0x0
	global_load_u8 v0, v[2:3], off
.LBB331_886:
	s_mov_b32 s29, -1
.LBB331_887:
	s_delay_alu instid0(SALU_CYCLE_1)
	s_and_not1_b32 vcc_lo, exec_lo, s29
	s_cbranch_vccnz .LBB331_895
; %bb.888:
	s_wait_xcnt 0x0
	v_mul_lo_u32 v2, v18, s10
	s_and_b32 s0, s1, 0xff
	s_delay_alu instid0(SALU_CYCLE_1) | instskip(NEXT) | instid1(VALU_DEP_1)
	s_cmp_lt_i32 s0, 11
	v_ashrrev_i32_e32 v3, 31, v2
	s_delay_alu instid0(VALU_DEP_1)
	v_add_nc_u64_e32 v[2:3], s[2:3], v[2:3]
	s_cbranch_scc1 .LBB331_896
; %bb.889:
	s_and_b32 s29, 0xffff, s0
	s_delay_alu instid0(SALU_CYCLE_1)
	s_cmp_gt_i32 s29, 25
	s_cbranch_scc0 .LBB331_897
; %bb.890:
	s_cmp_gt_i32 s29, 28
	s_cbranch_scc0 .LBB331_898
; %bb.891:
	;; [unrolled: 3-line block ×4, first 2 shown]
	s_cmp_eq_u32 s29, 46
	s_mov_b32 s31, 0
	s_cbranch_scc0 .LBB331_903
; %bb.894:
	s_wait_loadcnt 0x0
	global_load_b32 v1, v[2:3], off
	s_mov_b32 s30, -1
	s_mov_b32 s28, 0
	s_wait_loadcnt 0x0
	v_lshlrev_b32_e32 v1, 16, v1
	s_delay_alu instid0(VALU_DEP_1)
	v_cvt_u32_f32_e32 v4, v1
	s_branch .LBB331_905
.LBB331_895:
	s_mov_b32 s30, 0
	s_mov_b32 s0, s23
	;; [unrolled: 1-line block ×3, first 2 shown]
	s_branch .LBB331_1140
.LBB331_896:
	s_mov_b32 s29, -1
	s_mov_b32 s30, 0
	s_mov_b32 s28, s24
                                        ; implicit-def: $vgpr4
	s_branch .LBB331_966
.LBB331_897:
	s_mov_b32 s31, -1
	s_mov_b32 s30, 0
	s_mov_b32 s28, s24
                                        ; implicit-def: $vgpr4
	s_branch .LBB331_932
.LBB331_898:
	s_mov_b32 s31, -1
	s_mov_b32 s30, 0
	s_mov_b32 s28, s24
                                        ; implicit-def: $vgpr4
	s_branch .LBB331_915
.LBB331_899:
	s_mov_b32 s31, -1
	s_mov_b32 s30, 0
	s_mov_b32 s28, s24
                                        ; implicit-def: $vgpr4
	s_branch .LBB331_910
.LBB331_900:
	s_mov_b32 s31, -1
	s_mov_b32 s30, 0
	s_mov_b32 s28, s24
	s_branch .LBB331_904
.LBB331_901:
	s_and_not1_saveexec_b32 s30, s30
	s_cbranch_execz .LBB331_680
.LBB331_902:
	v_add_f32_e32 v2, 0x42800000, v3
	s_and_not1_b32 s29, s29, exec_lo
	s_delay_alu instid0(VALU_DEP_1) | instskip(NEXT) | instid1(VALU_DEP_1)
	v_and_b32_e32 v2, 0xff, v2
	v_cmp_ne_u32_e32 vcc_lo, 0, v2
	s_and_b32 s31, vcc_lo, exec_lo
	s_delay_alu instid0(SALU_CYCLE_1)
	s_or_b32 s29, s29, s31
	s_or_b32 exec_lo, exec_lo, s30
	v_mov_b32_e32 v4, 0
	s_and_saveexec_b32 s30, s29
	s_cbranch_execnz .LBB331_681
	s_branch .LBB331_682
.LBB331_903:
	s_mov_b32 s28, -1
	s_mov_b32 s30, 0
.LBB331_904:
                                        ; implicit-def: $vgpr4
.LBB331_905:
	s_and_b32 vcc_lo, exec_lo, s31
	s_cbranch_vccz .LBB331_909
; %bb.906:
	s_cmp_eq_u32 s29, 44
	s_cbranch_scc0 .LBB331_908
; %bb.907:
	s_wait_loadcnt 0x0
	global_load_u8 v1, v[2:3], off
	s_mov_b32 s28, 0
	s_mov_b32 s30, -1
	s_wait_loadcnt 0x0
	v_lshlrev_b32_e32 v4, 23, v1
	v_cmp_ne_u32_e32 vcc_lo, 0, v1
	s_delay_alu instid0(VALU_DEP_2) | instskip(NEXT) | instid1(VALU_DEP_1)
	v_cvt_u32_f32_e32 v4, v4
	v_cndmask_b32_e32 v4, 0, v4, vcc_lo
	s_branch .LBB331_909
.LBB331_908:
	s_mov_b32 s28, -1
                                        ; implicit-def: $vgpr4
.LBB331_909:
	s_mov_b32 s31, 0
.LBB331_910:
	s_delay_alu instid0(SALU_CYCLE_1)
	s_and_b32 vcc_lo, exec_lo, s31
	s_cbranch_vccz .LBB331_914
; %bb.911:
	s_cmp_eq_u32 s29, 29
	s_cbranch_scc0 .LBB331_913
; %bb.912:
	global_load_b64 v[4:5], v[2:3], off
	s_mov_b32 s30, -1
	s_mov_b32 s28, 0
	s_branch .LBB331_914
.LBB331_913:
	s_mov_b32 s28, -1
                                        ; implicit-def: $vgpr4
.LBB331_914:
	s_mov_b32 s31, 0
.LBB331_915:
	s_delay_alu instid0(SALU_CYCLE_1)
	s_and_b32 vcc_lo, exec_lo, s31
	s_cbranch_vccz .LBB331_931
; %bb.916:
	s_cmp_lt_i32 s29, 27
	s_cbranch_scc1 .LBB331_919
; %bb.917:
	s_cmp_gt_i32 s29, 27
	s_cbranch_scc0 .LBB331_920
; %bb.918:
	s_wait_loadcnt 0x0
	global_load_b32 v4, v[2:3], off
	s_mov_b32 s30, 0
	s_branch .LBB331_921
.LBB331_919:
	s_mov_b32 s30, -1
                                        ; implicit-def: $vgpr4
	s_branch .LBB331_924
.LBB331_920:
	s_mov_b32 s30, -1
                                        ; implicit-def: $vgpr4
.LBB331_921:
	s_delay_alu instid0(SALU_CYCLE_1)
	s_and_not1_b32 vcc_lo, exec_lo, s30
	s_cbranch_vccnz .LBB331_923
; %bb.922:
	s_wait_loadcnt 0x0
	global_load_u16 v4, v[2:3], off
.LBB331_923:
	s_mov_b32 s30, 0
.LBB331_924:
	s_delay_alu instid0(SALU_CYCLE_1)
	s_and_not1_b32 vcc_lo, exec_lo, s30
	s_cbranch_vccnz .LBB331_930
; %bb.925:
	s_wait_loadcnt 0x0
	global_load_u8 v1, v[2:3], off
	s_mov_b32 s31, 0
	s_mov_b32 s30, exec_lo
	s_wait_loadcnt 0x0
	v_cmpx_lt_i16_e32 0x7f, v1
	s_xor_b32 s30, exec_lo, s30
	s_cbranch_execz .LBB331_942
; %bb.926:
	v_cmp_ne_u16_e32 vcc_lo, 0x80, v1
	s_and_b32 s31, vcc_lo, exec_lo
	s_and_not1_saveexec_b32 s30, s30
	s_cbranch_execnz .LBB331_943
.LBB331_927:
	s_or_b32 exec_lo, exec_lo, s30
	v_mov_b32_e32 v4, 0
	s_and_saveexec_b32 s30, s31
	s_cbranch_execz .LBB331_929
.LBB331_928:
	v_and_b32_e32 v4, 0xffff, v1
	s_delay_alu instid0(VALU_DEP_1) | instskip(SKIP_1) | instid1(VALU_DEP_2)
	v_and_b32_e32 v5, 7, v4
	v_bfe_u32 v8, v4, 3, 4
	v_clz_i32_u32_e32 v6, v5
	s_delay_alu instid0(VALU_DEP_2) | instskip(NEXT) | instid1(VALU_DEP_2)
	v_cmp_eq_u32_e32 vcc_lo, 0, v8
	v_min_u32_e32 v6, 32, v6
	s_delay_alu instid0(VALU_DEP_1) | instskip(NEXT) | instid1(VALU_DEP_1)
	v_subrev_nc_u32_e32 v7, 28, v6
	v_dual_lshlrev_b32 v4, v7, v4 :: v_dual_sub_nc_u32 v6, 29, v6
	s_delay_alu instid0(VALU_DEP_1) | instskip(NEXT) | instid1(VALU_DEP_1)
	v_dual_lshlrev_b32 v1, 24, v1 :: v_dual_bitop2_b32 v4, 7, v4 bitop3:0x40
	v_dual_cndmask_b32 v6, v8, v6, vcc_lo :: v_dual_cndmask_b32 v4, v5, v4, vcc_lo
	s_delay_alu instid0(VALU_DEP_2) | instskip(NEXT) | instid1(VALU_DEP_2)
	v_and_b32_e32 v1, 0x80000000, v1
	v_lshl_add_u32 v5, v6, 23, 0x3b800000
	s_delay_alu instid0(VALU_DEP_3) | instskip(NEXT) | instid1(VALU_DEP_1)
	v_lshlrev_b32_e32 v4, 20, v4
	v_or3_b32 v1, v1, v5, v4
	s_delay_alu instid0(VALU_DEP_1)
	v_cvt_u32_f32_e32 v4, v1
.LBB331_929:
	s_or_b32 exec_lo, exec_lo, s30
.LBB331_930:
	s_mov_b32 s30, -1
.LBB331_931:
	s_mov_b32 s31, 0
.LBB331_932:
	s_delay_alu instid0(SALU_CYCLE_1)
	s_and_b32 vcc_lo, exec_lo, s31
	s_cbranch_vccz .LBB331_965
; %bb.933:
	s_cmp_gt_i32 s29, 22
	s_cbranch_scc0 .LBB331_941
; %bb.934:
	s_cmp_lt_i32 s29, 24
	s_cbranch_scc1 .LBB331_944
; %bb.935:
	s_cmp_gt_i32 s29, 24
	s_cbranch_scc0 .LBB331_945
; %bb.936:
	s_wait_loadcnt 0x0
	global_load_u8 v1, v[2:3], off
	s_mov_b32 s31, 0
	s_mov_b32 s30, exec_lo
	s_wait_loadcnt 0x0
	v_cmpx_lt_i16_e32 0x7f, v1
	s_xor_b32 s30, exec_lo, s30
	s_cbranch_execz .LBB331_957
; %bb.937:
	v_cmp_ne_u16_e32 vcc_lo, 0x80, v1
	s_and_b32 s31, vcc_lo, exec_lo
	s_and_not1_saveexec_b32 s30, s30
	s_cbranch_execnz .LBB331_958
.LBB331_938:
	s_or_b32 exec_lo, exec_lo, s30
	v_mov_b32_e32 v4, 0
	s_and_saveexec_b32 s30, s31
	s_cbranch_execz .LBB331_940
.LBB331_939:
	v_and_b32_e32 v4, 0xffff, v1
	s_delay_alu instid0(VALU_DEP_1) | instskip(SKIP_1) | instid1(VALU_DEP_2)
	v_and_b32_e32 v5, 3, v4
	v_bfe_u32 v8, v4, 2, 5
	v_clz_i32_u32_e32 v6, v5
	s_delay_alu instid0(VALU_DEP_2) | instskip(NEXT) | instid1(VALU_DEP_2)
	v_cmp_eq_u32_e32 vcc_lo, 0, v8
	v_min_u32_e32 v6, 32, v6
	s_delay_alu instid0(VALU_DEP_1) | instskip(NEXT) | instid1(VALU_DEP_1)
	v_subrev_nc_u32_e32 v7, 29, v6
	v_dual_lshlrev_b32 v4, v7, v4 :: v_dual_sub_nc_u32 v6, 30, v6
	s_delay_alu instid0(VALU_DEP_1) | instskip(NEXT) | instid1(VALU_DEP_1)
	v_dual_lshlrev_b32 v1, 24, v1 :: v_dual_bitop2_b32 v4, 3, v4 bitop3:0x40
	v_dual_cndmask_b32 v6, v8, v6, vcc_lo :: v_dual_cndmask_b32 v4, v5, v4, vcc_lo
	s_delay_alu instid0(VALU_DEP_2) | instskip(NEXT) | instid1(VALU_DEP_2)
	v_and_b32_e32 v1, 0x80000000, v1
	v_lshl_add_u32 v5, v6, 23, 0x37800000
	s_delay_alu instid0(VALU_DEP_3) | instskip(NEXT) | instid1(VALU_DEP_1)
	v_lshlrev_b32_e32 v4, 21, v4
	v_or3_b32 v1, v1, v5, v4
	s_delay_alu instid0(VALU_DEP_1)
	v_cvt_u32_f32_e32 v4, v1
.LBB331_940:
	s_or_b32 exec_lo, exec_lo, s30
	s_mov_b32 s30, 0
	s_branch .LBB331_946
.LBB331_941:
	s_mov_b32 s31, -1
                                        ; implicit-def: $vgpr4
	s_branch .LBB331_952
.LBB331_942:
	s_and_not1_saveexec_b32 s30, s30
	s_cbranch_execz .LBB331_927
.LBB331_943:
	v_cmp_ne_u16_e32 vcc_lo, 0, v1
	s_and_not1_b32 s31, s31, exec_lo
	s_and_b32 s33, vcc_lo, exec_lo
	s_delay_alu instid0(SALU_CYCLE_1)
	s_or_b32 s31, s31, s33
	s_or_b32 exec_lo, exec_lo, s30
	v_mov_b32_e32 v4, 0
	s_and_saveexec_b32 s30, s31
	s_cbranch_execnz .LBB331_928
	s_branch .LBB331_929
.LBB331_944:
	s_mov_b32 s30, -1
                                        ; implicit-def: $vgpr4
	s_branch .LBB331_949
.LBB331_945:
	s_mov_b32 s30, -1
                                        ; implicit-def: $vgpr4
.LBB331_946:
	s_delay_alu instid0(SALU_CYCLE_1)
	s_and_b32 vcc_lo, exec_lo, s30
	s_cbranch_vccz .LBB331_948
; %bb.947:
	s_wait_loadcnt 0x0
	global_load_u8 v1, v[2:3], off
	s_wait_loadcnt 0x0
	v_lshlrev_b32_e32 v1, 24, v1
	s_delay_alu instid0(VALU_DEP_1) | instskip(NEXT) | instid1(VALU_DEP_1)
	v_and_b32_e32 v4, 0x7f000000, v1
	v_clz_i32_u32_e32 v5, v4
	v_cmp_ne_u32_e32 vcc_lo, 0, v4
	v_add_nc_u32_e32 v7, 0x1000000, v4
	s_delay_alu instid0(VALU_DEP_3) | instskip(NEXT) | instid1(VALU_DEP_1)
	v_min_u32_e32 v5, 32, v5
	v_sub_nc_u32_e64 v5, v5, 4 clamp
	s_delay_alu instid0(VALU_DEP_1) | instskip(NEXT) | instid1(VALU_DEP_1)
	v_dual_lshlrev_b32 v6, v5, v4 :: v_dual_lshlrev_b32 v5, 23, v5
	v_lshrrev_b32_e32 v6, 4, v6
	s_delay_alu instid0(VALU_DEP_1) | instskip(NEXT) | instid1(VALU_DEP_1)
	v_dual_sub_nc_u32 v5, v6, v5 :: v_dual_ashrrev_i32 v6, 8, v7
	v_add_nc_u32_e32 v5, 0x3c000000, v5
	s_delay_alu instid0(VALU_DEP_1) | instskip(NEXT) | instid1(VALU_DEP_1)
	v_and_or_b32 v5, 0x7f800000, v6, v5
	v_cndmask_b32_e32 v4, 0, v5, vcc_lo
	s_delay_alu instid0(VALU_DEP_1) | instskip(NEXT) | instid1(VALU_DEP_1)
	v_and_or_b32 v1, 0x80000000, v1, v4
	v_cvt_u32_f32_e32 v4, v1
.LBB331_948:
	s_mov_b32 s30, 0
.LBB331_949:
	s_delay_alu instid0(SALU_CYCLE_1)
	s_and_not1_b32 vcc_lo, exec_lo, s30
	s_cbranch_vccnz .LBB331_951
; %bb.950:
	s_wait_loadcnt 0x0
	global_load_u8 v1, v[2:3], off
	s_wait_loadcnt 0x0
	v_lshlrev_b32_e32 v4, 25, v1
	v_lshlrev_b16 v1, 8, v1
	s_delay_alu instid0(VALU_DEP_1) | instskip(SKIP_1) | instid1(VALU_DEP_2)
	v_and_or_b32 v6, 0x7f00, v1, 0.5
	v_bfe_i32 v1, v1, 0, 16
	v_dual_add_f32 v6, -0.5, v6 :: v_dual_lshrrev_b32 v5, 4, v4
	v_cmp_gt_u32_e32 vcc_lo, 0x8000000, v4
	s_delay_alu instid0(VALU_DEP_2) | instskip(NEXT) | instid1(VALU_DEP_1)
	v_or_b32_e32 v5, 0x70000000, v5
	v_mul_f32_e32 v5, 0x7800000, v5
	s_delay_alu instid0(VALU_DEP_1) | instskip(NEXT) | instid1(VALU_DEP_1)
	v_cndmask_b32_e32 v4, v5, v6, vcc_lo
	v_and_or_b32 v1, 0x80000000, v1, v4
	s_delay_alu instid0(VALU_DEP_1)
	v_cvt_u32_f32_e32 v4, v1
.LBB331_951:
	s_mov_b32 s31, 0
	s_mov_b32 s30, -1
.LBB331_952:
	s_and_not1_b32 vcc_lo, exec_lo, s31
	s_cbranch_vccnz .LBB331_965
; %bb.953:
	s_cmp_gt_i32 s29, 14
	s_cbranch_scc0 .LBB331_956
; %bb.954:
	s_cmp_eq_u32 s29, 15
	s_cbranch_scc0 .LBB331_959
; %bb.955:
	s_wait_loadcnt 0x0
	global_load_u16 v1, v[2:3], off
	s_mov_b32 s30, -1
	s_mov_b32 s28, 0
	s_wait_loadcnt 0x0
	v_lshlrev_b32_e32 v1, 16, v1
	s_delay_alu instid0(VALU_DEP_1)
	v_cvt_u32_f32_e32 v4, v1
	s_branch .LBB331_960
.LBB331_956:
	s_mov_b32 s31, -1
                                        ; implicit-def: $vgpr4
	s_branch .LBB331_961
.LBB331_957:
	s_and_not1_saveexec_b32 s30, s30
	s_cbranch_execz .LBB331_938
.LBB331_958:
	v_cmp_ne_u16_e32 vcc_lo, 0, v1
	s_and_not1_b32 s31, s31, exec_lo
	s_and_b32 s33, vcc_lo, exec_lo
	s_delay_alu instid0(SALU_CYCLE_1)
	s_or_b32 s31, s31, s33
	s_or_b32 exec_lo, exec_lo, s30
	v_mov_b32_e32 v4, 0
	s_and_saveexec_b32 s30, s31
	s_cbranch_execnz .LBB331_939
	s_branch .LBB331_940
.LBB331_959:
	s_mov_b32 s28, -1
                                        ; implicit-def: $vgpr4
.LBB331_960:
	s_mov_b32 s31, 0
.LBB331_961:
	s_delay_alu instid0(SALU_CYCLE_1)
	s_and_b32 vcc_lo, exec_lo, s31
	s_cbranch_vccz .LBB331_965
; %bb.962:
	s_cmp_eq_u32 s29, 11
	s_cbranch_scc0 .LBB331_964
; %bb.963:
	s_wait_loadcnt 0x0
	global_load_u8 v1, v[2:3], off
	s_mov_b32 s28, 0
	s_mov_b32 s30, -1
	s_wait_loadcnt 0x0
	v_cmp_ne_u16_e32 vcc_lo, 0, v1
	v_cndmask_b32_e64 v4, 0, 1, vcc_lo
	s_branch .LBB331_965
.LBB331_964:
	s_mov_b32 s28, -1
                                        ; implicit-def: $vgpr4
.LBB331_965:
	s_mov_b32 s29, 0
.LBB331_966:
	s_delay_alu instid0(SALU_CYCLE_1)
	s_and_b32 vcc_lo, exec_lo, s29
	s_cbranch_vccz .LBB331_1015
; %bb.967:
	s_and_b32 s0, 0xffff, s0
	s_delay_alu instid0(SALU_CYCLE_1)
	s_cmp_lt_i32 s0, 5
	s_cbranch_scc1 .LBB331_972
; %bb.968:
	s_cmp_lt_i32 s0, 8
	s_cbranch_scc1 .LBB331_973
; %bb.969:
	;; [unrolled: 3-line block ×3, first 2 shown]
	s_cmp_gt_i32 s0, 9
	s_cbranch_scc0 .LBB331_975
; %bb.971:
	s_wait_loadcnt 0x0
	global_load_b64 v[4:5], v[2:3], off
	s_mov_b32 s29, 0
	s_wait_loadcnt 0x0
	v_cvt_u32_f64_e32 v4, v[4:5]
	s_branch .LBB331_976
.LBB331_972:
	s_mov_b32 s29, -1
                                        ; implicit-def: $vgpr4
	s_branch .LBB331_994
.LBB331_973:
	s_mov_b32 s29, -1
                                        ; implicit-def: $vgpr4
	s_branch .LBB331_982
.LBB331_974:
	s_mov_b32 s29, -1
                                        ; implicit-def: $vgpr4
	s_branch .LBB331_979
.LBB331_975:
	s_mov_b32 s29, -1
                                        ; implicit-def: $vgpr4
.LBB331_976:
	s_delay_alu instid0(SALU_CYCLE_1)
	s_and_not1_b32 vcc_lo, exec_lo, s29
	s_cbranch_vccnz .LBB331_978
; %bb.977:
	s_wait_loadcnt 0x0
	global_load_b32 v1, v[2:3], off
	s_wait_loadcnt 0x0
	v_cvt_u32_f32_e32 v4, v1
.LBB331_978:
	s_mov_b32 s29, 0
.LBB331_979:
	s_delay_alu instid0(SALU_CYCLE_1)
	s_and_not1_b32 vcc_lo, exec_lo, s29
	s_cbranch_vccnz .LBB331_981
; %bb.980:
	s_wait_loadcnt 0x0
	global_load_b32 v1, v[2:3], off
	s_wait_loadcnt 0x0
	v_cvt_u16_f16_e32 v4, v1
.LBB331_981:
	s_mov_b32 s29, 0
.LBB331_982:
	s_delay_alu instid0(SALU_CYCLE_1)
	s_and_not1_b32 vcc_lo, exec_lo, s29
	s_cbranch_vccnz .LBB331_993
; %bb.983:
	s_cmp_lt_i32 s0, 6
	s_cbranch_scc1 .LBB331_986
; %bb.984:
	s_cmp_gt_i32 s0, 6
	s_cbranch_scc0 .LBB331_987
; %bb.985:
	s_wait_loadcnt 0x0
	global_load_b64 v[4:5], v[2:3], off
	s_mov_b32 s29, 0
	s_wait_loadcnt 0x0
	v_cvt_u32_f64_e32 v4, v[4:5]
	s_branch .LBB331_988
.LBB331_986:
	s_mov_b32 s29, -1
                                        ; implicit-def: $vgpr4
	s_branch .LBB331_991
.LBB331_987:
	s_mov_b32 s29, -1
                                        ; implicit-def: $vgpr4
.LBB331_988:
	s_delay_alu instid0(SALU_CYCLE_1)
	s_and_not1_b32 vcc_lo, exec_lo, s29
	s_cbranch_vccnz .LBB331_990
; %bb.989:
	s_wait_loadcnt 0x0
	global_load_b32 v1, v[2:3], off
	s_wait_loadcnt 0x0
	v_cvt_u32_f32_e32 v4, v1
.LBB331_990:
	s_mov_b32 s29, 0
.LBB331_991:
	s_delay_alu instid0(SALU_CYCLE_1)
	s_and_not1_b32 vcc_lo, exec_lo, s29
	s_cbranch_vccnz .LBB331_993
; %bb.992:
	s_wait_loadcnt 0x0
	global_load_u16 v1, v[2:3], off
	s_wait_loadcnt 0x0
	v_cvt_u16_f16_e32 v4, v1
.LBB331_993:
	s_mov_b32 s29, 0
.LBB331_994:
	s_delay_alu instid0(SALU_CYCLE_1)
	s_and_not1_b32 vcc_lo, exec_lo, s29
	s_cbranch_vccnz .LBB331_1014
; %bb.995:
	s_cmp_lt_i32 s0, 2
	s_cbranch_scc1 .LBB331_999
; %bb.996:
	s_cmp_lt_i32 s0, 3
	s_cbranch_scc1 .LBB331_1000
; %bb.997:
	s_cmp_gt_i32 s0, 3
	s_cbranch_scc0 .LBB331_1001
; %bb.998:
	s_wait_loadcnt 0x0
	global_load_b64 v[4:5], v[2:3], off
	s_mov_b32 s29, 0
	s_branch .LBB331_1002
.LBB331_999:
	s_mov_b32 s29, -1
                                        ; implicit-def: $vgpr4
	s_branch .LBB331_1008
.LBB331_1000:
	s_mov_b32 s29, -1
                                        ; implicit-def: $vgpr4
	s_branch .LBB331_1005
.LBB331_1001:
	s_mov_b32 s29, -1
                                        ; implicit-def: $vgpr4
.LBB331_1002:
	s_delay_alu instid0(SALU_CYCLE_1)
	s_and_not1_b32 vcc_lo, exec_lo, s29
	s_cbranch_vccnz .LBB331_1004
; %bb.1003:
	s_wait_loadcnt 0x0
	global_load_b32 v4, v[2:3], off
.LBB331_1004:
	s_mov_b32 s29, 0
.LBB331_1005:
	s_delay_alu instid0(SALU_CYCLE_1)
	s_and_not1_b32 vcc_lo, exec_lo, s29
	s_cbranch_vccnz .LBB331_1007
; %bb.1006:
	s_wait_loadcnt 0x0
	global_load_u16 v4, v[2:3], off
.LBB331_1007:
	s_mov_b32 s29, 0
.LBB331_1008:
	s_delay_alu instid0(SALU_CYCLE_1)
	s_and_not1_b32 vcc_lo, exec_lo, s29
	s_cbranch_vccnz .LBB331_1014
; %bb.1009:
	s_cmp_gt_i32 s0, 0
	s_mov_b32 s0, 0
	s_cbranch_scc0 .LBB331_1011
; %bb.1010:
	s_wait_loadcnt 0x0
	global_load_i8 v4, v[2:3], off
	s_branch .LBB331_1012
.LBB331_1011:
	s_mov_b32 s0, -1
                                        ; implicit-def: $vgpr4
.LBB331_1012:
	s_delay_alu instid0(SALU_CYCLE_1)
	s_and_not1_b32 vcc_lo, exec_lo, s0
	s_cbranch_vccnz .LBB331_1014
; %bb.1013:
	s_wait_loadcnt 0x0
	global_load_u8 v4, v[2:3], off
.LBB331_1014:
	s_mov_b32 s30, -1
.LBB331_1015:
	s_delay_alu instid0(SALU_CYCLE_1)
	s_and_not1_b32 vcc_lo, exec_lo, s30
	s_cbranch_vccnz .LBB331_1023
; %bb.1016:
	s_wait_xcnt 0x0
	v_mul_lo_u32 v2, v18, s8
	s_wait_loadcnt 0x0
	s_delay_alu instid0(VALU_DEP_2) | instskip(SKIP_3) | instid1(VALU_DEP_2)
	v_cmp_ne_u16_e32 vcc_lo, v0, v4
	s_and_b32 s30, s12, 0xff
	s_xor_b32 s29, s16, vcc_lo
	s_cmp_lt_i32 s30, 11
	v_ashrrev_i32_e32 v3, 31, v2
	s_delay_alu instid0(VALU_DEP_1)
	v_add_nc_u64_e32 v[0:1], s[4:5], v[2:3]
	s_cbranch_scc1 .LBB331_1024
; %bb.1017:
	s_and_b32 s31, 0xffff, s30
	s_delay_alu instid0(SALU_CYCLE_1)
	s_cmp_gt_i32 s31, 25
	s_cbranch_scc0 .LBB331_1025
; %bb.1018:
	s_cmp_gt_i32 s31, 28
	s_cbranch_scc0 .LBB331_1026
; %bb.1019:
	;; [unrolled: 3-line block ×4, first 2 shown]
	s_mov_b32 s34, 0
	s_mov_b32 s0, -1
	s_cmp_eq_u32 s31, 46
	s_mov_b32 s33, 0
	s_cbranch_scc0 .LBB331_1029
; %bb.1022:
	v_cndmask_b32_e64 v2, 0, 1.0, s29
	s_mov_b32 s33, -1
	s_mov_b32 s0, 0
	s_delay_alu instid0(VALU_DEP_1) | instskip(NEXT) | instid1(VALU_DEP_1)
	v_bfe_u32 v3, v2, 16, 1
	v_add3_u32 v2, v2, v3, 0x7fff
	s_delay_alu instid0(VALU_DEP_1)
	v_lshrrev_b32_e32 v2, 16, v2
	global_store_b32 v[0:1], v2, off
	s_branch .LBB331_1029
.LBB331_1023:
	s_mov_b32 s30, 0
	s_mov_b32 s0, s23
	s_branch .LBB331_1140
.LBB331_1024:
	s_mov_b32 s31, -1
	s_mov_b32 s33, 0
	s_mov_b32 s0, s23
	s_branch .LBB331_1098
.LBB331_1025:
	s_mov_b32 s33, 0
	s_mov_b32 s0, s23
	s_branch .LBB331_1056
.LBB331_1026:
	s_mov_b32 s33, 0
	s_mov_b32 s0, s23
	s_branch .LBB331_1039
.LBB331_1027:
	s_mov_b32 s33, 0
	s_mov_b32 s0, s23
	s_branch .LBB331_1035
.LBB331_1028:
	s_mov_b32 s33, 0
	s_mov_b32 s0, s23
.LBB331_1029:
	s_and_b32 vcc_lo, exec_lo, s34
	s_cbranch_vccz .LBB331_1034
; %bb.1030:
	s_cmp_eq_u32 s31, 44
	s_mov_b32 s0, -1
	s_cbranch_scc0 .LBB331_1034
; %bb.1031:
	v_cndmask_b32_e64 v4, 0, 1.0, s29
	s_mov_b32 s33, exec_lo
	s_wait_xcnt 0x0
	s_delay_alu instid0(VALU_DEP_1) | instskip(NEXT) | instid1(VALU_DEP_1)
	v_dual_mov_b32 v3, 0xff :: v_dual_lshrrev_b32 v2, 23, v4
	v_cmpx_ne_u32_e32 0xff, v2
; %bb.1032:
	v_and_b32_e32 v3, 0x400000, v4
	v_and_or_b32 v4, 0x3fffff, v4, v2
	s_delay_alu instid0(VALU_DEP_2) | instskip(NEXT) | instid1(VALU_DEP_2)
	v_cmp_ne_u32_e32 vcc_lo, 0, v3
	v_cmp_ne_u32_e64 s0, 0, v4
	s_and_b32 s0, vcc_lo, s0
	s_delay_alu instid0(SALU_CYCLE_1) | instskip(NEXT) | instid1(VALU_DEP_1)
	v_cndmask_b32_e64 v3, 0, 1, s0
	v_add_nc_u32_e32 v3, v2, v3
; %bb.1033:
	s_or_b32 exec_lo, exec_lo, s33
	s_mov_b32 s33, -1
	s_mov_b32 s0, 0
	global_store_b8 v[0:1], v3, off
.LBB331_1034:
	s_mov_b32 s34, 0
.LBB331_1035:
	s_delay_alu instid0(SALU_CYCLE_1)
	s_and_b32 vcc_lo, exec_lo, s34
	s_cbranch_vccz .LBB331_1038
; %bb.1036:
	s_cmp_eq_u32 s31, 29
	s_mov_b32 s0, -1
	s_cbranch_scc0 .LBB331_1038
; %bb.1037:
	s_mov_b32 s0, 0
	s_wait_xcnt 0x0
	v_cndmask_b32_e64 v2, 0, 1, s29
	v_mov_b32_e32 v3, s0
	s_mov_b32 s33, -1
	s_mov_b32 s34, 0
	global_store_b64 v[0:1], v[2:3], off
	s_branch .LBB331_1039
.LBB331_1038:
	s_mov_b32 s34, 0
.LBB331_1039:
	s_delay_alu instid0(SALU_CYCLE_1)
	s_and_b32 vcc_lo, exec_lo, s34
	s_cbranch_vccz .LBB331_1055
; %bb.1040:
	s_cmp_lt_i32 s31, 27
	s_mov_b32 s33, -1
	s_cbranch_scc1 .LBB331_1046
; %bb.1041:
	s_cmp_gt_i32 s31, 27
	s_cbranch_scc0 .LBB331_1043
; %bb.1042:
	s_wait_xcnt 0x0
	v_cndmask_b32_e64 v2, 0, 1, s29
	s_mov_b32 s33, 0
	global_store_b32 v[0:1], v2, off
.LBB331_1043:
	s_and_not1_b32 vcc_lo, exec_lo, s33
	s_cbranch_vccnz .LBB331_1045
; %bb.1044:
	s_wait_xcnt 0x0
	v_cndmask_b32_e64 v2, 0, 1, s29
	global_store_b16 v[0:1], v2, off
.LBB331_1045:
	s_mov_b32 s33, 0
.LBB331_1046:
	s_delay_alu instid0(SALU_CYCLE_1)
	s_and_not1_b32 vcc_lo, exec_lo, s33
	s_cbranch_vccnz .LBB331_1054
; %bb.1047:
	s_wait_xcnt 0x0
	v_cndmask_b32_e64 v3, 0, 1.0, s29
	v_mov_b32_e32 v4, 0x80
	s_mov_b32 s33, exec_lo
	s_delay_alu instid0(VALU_DEP_2)
	v_cmpx_gt_u32_e32 0x43800000, v3
	s_cbranch_execz .LBB331_1053
; %bb.1048:
	s_mov_b32 s34, 0
	s_mov_b32 s35, exec_lo
                                        ; implicit-def: $vgpr2
	v_cmpx_lt_u32_e32 0x3bffffff, v3
	s_xor_b32 s35, exec_lo, s35
	s_cbranch_execz .LBB331_1156
; %bb.1049:
	v_bfe_u32 v2, v3, 20, 1
	s_mov_b32 s34, exec_lo
	s_delay_alu instid0(VALU_DEP_1) | instskip(NEXT) | instid1(VALU_DEP_1)
	v_add3_u32 v2, v3, v2, 0x487ffff
                                        ; implicit-def: $vgpr3
	v_lshrrev_b32_e32 v2, 20, v2
	s_and_not1_saveexec_b32 s35, s35
	s_cbranch_execnz .LBB331_1157
.LBB331_1050:
	s_or_b32 exec_lo, exec_lo, s35
	v_mov_b32_e32 v4, 0
	s_and_saveexec_b32 s35, s34
.LBB331_1051:
	v_mov_b32_e32 v4, v2
.LBB331_1052:
	s_or_b32 exec_lo, exec_lo, s35
.LBB331_1053:
	s_delay_alu instid0(SALU_CYCLE_1)
	s_or_b32 exec_lo, exec_lo, s33
	global_store_b8 v[0:1], v4, off
.LBB331_1054:
	s_mov_b32 s33, -1
.LBB331_1055:
	s_mov_b32 s34, 0
.LBB331_1056:
	s_delay_alu instid0(SALU_CYCLE_1)
	s_and_b32 vcc_lo, exec_lo, s34
	s_cbranch_vccz .LBB331_1097
; %bb.1057:
	s_cmp_gt_i32 s31, 22
	s_mov_b32 s34, -1
	s_cbranch_scc0 .LBB331_1089
; %bb.1058:
	s_cmp_lt_i32 s31, 24
	s_mov_b32 s33, -1
	s_cbranch_scc1 .LBB331_1078
; %bb.1059:
	s_cmp_gt_i32 s31, 24
	s_cbranch_scc0 .LBB331_1067
; %bb.1060:
	s_wait_xcnt 0x0
	v_cndmask_b32_e64 v3, 0, 1.0, s29
	v_mov_b32_e32 v4, 0x80
	s_mov_b32 s33, exec_lo
	s_delay_alu instid0(VALU_DEP_2)
	v_cmpx_gt_u32_e32 0x47800000, v3
	s_cbranch_execz .LBB331_1066
; %bb.1061:
	s_mov_b32 s34, 0
	s_mov_b32 s35, exec_lo
                                        ; implicit-def: $vgpr2
	v_cmpx_lt_u32_e32 0x37ffffff, v3
	s_xor_b32 s35, exec_lo, s35
	s_cbranch_execz .LBB331_2155
; %bb.1062:
	v_bfe_u32 v2, v3, 21, 1
	s_mov_b32 s34, exec_lo
	s_delay_alu instid0(VALU_DEP_1) | instskip(NEXT) | instid1(VALU_DEP_1)
	v_add3_u32 v2, v3, v2, 0x88fffff
                                        ; implicit-def: $vgpr3
	v_lshrrev_b32_e32 v2, 21, v2
	s_and_not1_saveexec_b32 s35, s35
	s_cbranch_execnz .LBB331_2156
.LBB331_1063:
	s_or_b32 exec_lo, exec_lo, s35
	v_mov_b32_e32 v4, 0
	s_and_saveexec_b32 s35, s34
.LBB331_1064:
	v_mov_b32_e32 v4, v2
.LBB331_1065:
	s_or_b32 exec_lo, exec_lo, s35
.LBB331_1066:
	s_delay_alu instid0(SALU_CYCLE_1)
	s_or_b32 exec_lo, exec_lo, s33
	s_mov_b32 s33, 0
	global_store_b8 v[0:1], v4, off
.LBB331_1067:
	s_and_b32 vcc_lo, exec_lo, s33
	s_cbranch_vccz .LBB331_1077
; %bb.1068:
	s_wait_xcnt 0x0
	v_cndmask_b32_e64 v3, 0, 1.0, s29
	s_mov_b32 s33, exec_lo
                                        ; implicit-def: $vgpr2
	s_delay_alu instid0(VALU_DEP_1)
	v_cmpx_gt_u32_e32 0x43f00000, v3
	s_xor_b32 s33, exec_lo, s33
	s_cbranch_execz .LBB331_1074
; %bb.1069:
	s_mov_b32 s34, exec_lo
                                        ; implicit-def: $vgpr2
	v_cmpx_lt_u32_e32 0x3c7fffff, v3
	s_xor_b32 s34, exec_lo, s34
; %bb.1070:
	v_bfe_u32 v2, v3, 20, 1
	s_delay_alu instid0(VALU_DEP_1) | instskip(NEXT) | instid1(VALU_DEP_1)
	v_add3_u32 v2, v3, v2, 0x407ffff
	v_and_b32_e32 v3, 0xff00000, v2
	v_lshrrev_b32_e32 v2, 20, v2
	s_delay_alu instid0(VALU_DEP_2) | instskip(NEXT) | instid1(VALU_DEP_2)
	v_cmp_ne_u32_e32 vcc_lo, 0x7f00000, v3
                                        ; implicit-def: $vgpr3
	v_cndmask_b32_e32 v2, 0x7e, v2, vcc_lo
; %bb.1071:
	s_and_not1_saveexec_b32 s34, s34
; %bb.1072:
	v_add_f32_e32 v2, 0x46800000, v3
; %bb.1073:
	s_or_b32 exec_lo, exec_lo, s34
                                        ; implicit-def: $vgpr3
.LBB331_1074:
	s_and_not1_saveexec_b32 s33, s33
; %bb.1075:
	v_mov_b32_e32 v2, 0x7f
	v_cmp_lt_u32_e32 vcc_lo, 0x7f800000, v3
	s_delay_alu instid0(VALU_DEP_2)
	v_cndmask_b32_e32 v2, 0x7e, v2, vcc_lo
; %bb.1076:
	s_or_b32 exec_lo, exec_lo, s33
	global_store_b8 v[0:1], v2, off
.LBB331_1077:
	s_mov_b32 s33, 0
.LBB331_1078:
	s_delay_alu instid0(SALU_CYCLE_1)
	s_and_not1_b32 vcc_lo, exec_lo, s33
	s_cbranch_vccnz .LBB331_1088
; %bb.1079:
	s_wait_xcnt 0x0
	v_cndmask_b32_e64 v3, 0, 1.0, s29
	s_mov_b32 s33, exec_lo
                                        ; implicit-def: $vgpr2
	s_delay_alu instid0(VALU_DEP_1)
	v_cmpx_gt_u32_e32 0x47800000, v3
	s_xor_b32 s33, exec_lo, s33
	s_cbranch_execz .LBB331_1085
; %bb.1080:
	s_mov_b32 s34, exec_lo
                                        ; implicit-def: $vgpr2
	v_cmpx_lt_u32_e32 0x387fffff, v3
	s_xor_b32 s34, exec_lo, s34
; %bb.1081:
	v_bfe_u32 v2, v3, 21, 1
	s_delay_alu instid0(VALU_DEP_1) | instskip(NEXT) | instid1(VALU_DEP_1)
	v_add3_u32 v2, v3, v2, 0x80fffff
                                        ; implicit-def: $vgpr3
	v_lshrrev_b32_e32 v2, 21, v2
; %bb.1082:
	s_and_not1_saveexec_b32 s34, s34
; %bb.1083:
	v_add_f32_e32 v2, 0x43000000, v3
; %bb.1084:
	s_or_b32 exec_lo, exec_lo, s34
                                        ; implicit-def: $vgpr3
.LBB331_1085:
	s_and_not1_saveexec_b32 s33, s33
; %bb.1086:
	v_mov_b32_e32 v2, 0x7f
	v_cmp_lt_u32_e32 vcc_lo, 0x7f800000, v3
	s_delay_alu instid0(VALU_DEP_2)
	v_cndmask_b32_e32 v2, 0x7c, v2, vcc_lo
; %bb.1087:
	s_or_b32 exec_lo, exec_lo, s33
	global_store_b8 v[0:1], v2, off
.LBB331_1088:
	s_mov_b32 s34, 0
	s_mov_b32 s33, -1
.LBB331_1089:
	s_and_not1_b32 vcc_lo, exec_lo, s34
	s_cbranch_vccnz .LBB331_1097
; %bb.1090:
	s_cmp_gt_i32 s31, 14
	s_mov_b32 s34, -1
	s_cbranch_scc0 .LBB331_1094
; %bb.1091:
	s_cmp_eq_u32 s31, 15
	s_mov_b32 s0, -1
	s_cbranch_scc0 .LBB331_1093
; %bb.1092:
	s_wait_xcnt 0x0
	v_cndmask_b32_e64 v2, 0, 1.0, s29
	s_mov_b32 s33, -1
	s_mov_b32 s0, 0
	s_delay_alu instid0(VALU_DEP_1) | instskip(NEXT) | instid1(VALU_DEP_1)
	v_bfe_u32 v3, v2, 16, 1
	v_add3_u32 v2, v2, v3, 0x7fff
	global_store_d16_hi_b16 v[0:1], v2, off
.LBB331_1093:
	s_mov_b32 s34, 0
.LBB331_1094:
	s_delay_alu instid0(SALU_CYCLE_1)
	s_and_b32 vcc_lo, exec_lo, s34
	s_cbranch_vccz .LBB331_1097
; %bb.1095:
	s_cmp_eq_u32 s31, 11
	s_mov_b32 s0, -1
	s_cbranch_scc0 .LBB331_1097
; %bb.1096:
	s_wait_xcnt 0x0
	v_cndmask_b32_e64 v2, 0, 1, s29
	s_mov_b32 s33, -1
	s_mov_b32 s0, 0
	global_store_b8 v[0:1], v2, off
.LBB331_1097:
	s_mov_b32 s31, 0
.LBB331_1098:
	s_delay_alu instid0(SALU_CYCLE_1)
	s_and_b32 vcc_lo, exec_lo, s31
	s_cbranch_vccz .LBB331_1137
; %bb.1099:
	s_and_b32 s30, 0xffff, s30
	s_mov_b32 s31, -1
	s_cmp_lt_i32 s30, 5
	s_cbranch_scc1 .LBB331_1120
; %bb.1100:
	s_cmp_lt_i32 s30, 8
	s_cbranch_scc1 .LBB331_1110
; %bb.1101:
	;; [unrolled: 3-line block ×3, first 2 shown]
	s_cmp_gt_i32 s30, 9
	s_cbranch_scc0 .LBB331_1104
; %bb.1103:
	s_wait_xcnt 0x0
	v_cndmask_b32_e64 v2, 0, 1, s29
	v_mov_b32_e32 v4, 0
	s_mov_b32 s31, 0
	s_delay_alu instid0(VALU_DEP_2) | instskip(NEXT) | instid1(VALU_DEP_2)
	v_cvt_f64_u32_e32 v[2:3], v2
	v_mov_b32_e32 v5, v4
	global_store_b128 v[0:1], v[2:5], off
.LBB331_1104:
	s_and_not1_b32 vcc_lo, exec_lo, s31
	s_cbranch_vccnz .LBB331_1106
; %bb.1105:
	s_wait_xcnt 0x0
	v_cndmask_b32_e64 v2, 0, 1.0, s29
	v_mov_b32_e32 v3, 0
	global_store_b64 v[0:1], v[2:3], off
.LBB331_1106:
	s_mov_b32 s31, 0
.LBB331_1107:
	s_delay_alu instid0(SALU_CYCLE_1)
	s_and_not1_b32 vcc_lo, exec_lo, s31
	s_cbranch_vccnz .LBB331_1109
; %bb.1108:
	s_wait_xcnt 0x0
	v_cndmask_b32_e64 v2, 0, 1.0, s29
	s_delay_alu instid0(VALU_DEP_1) | instskip(NEXT) | instid1(VALU_DEP_1)
	v_cvt_f16_f32_e32 v2, v2
	v_and_b32_e32 v2, 0xffff, v2
	global_store_b32 v[0:1], v2, off
.LBB331_1109:
	s_mov_b32 s31, 0
.LBB331_1110:
	s_delay_alu instid0(SALU_CYCLE_1)
	s_and_not1_b32 vcc_lo, exec_lo, s31
	s_cbranch_vccnz .LBB331_1119
; %bb.1111:
	s_cmp_lt_i32 s30, 6
	s_mov_b32 s31, -1
	s_cbranch_scc1 .LBB331_1117
; %bb.1112:
	s_cmp_gt_i32 s30, 6
	s_cbranch_scc0 .LBB331_1114
; %bb.1113:
	s_wait_xcnt 0x0
	v_cndmask_b32_e64 v2, 0, 1, s29
	s_mov_b32 s31, 0
	s_delay_alu instid0(VALU_DEP_1)
	v_cvt_f64_u32_e32 v[2:3], v2
	global_store_b64 v[0:1], v[2:3], off
.LBB331_1114:
	s_and_not1_b32 vcc_lo, exec_lo, s31
	s_cbranch_vccnz .LBB331_1116
; %bb.1115:
	s_wait_xcnt 0x0
	v_cndmask_b32_e64 v2, 0, 1.0, s29
	global_store_b32 v[0:1], v2, off
.LBB331_1116:
	s_mov_b32 s31, 0
.LBB331_1117:
	s_delay_alu instid0(SALU_CYCLE_1)
	s_and_not1_b32 vcc_lo, exec_lo, s31
	s_cbranch_vccnz .LBB331_1119
; %bb.1118:
	s_wait_xcnt 0x0
	v_cndmask_b32_e64 v2, 0, 1.0, s29
	s_delay_alu instid0(VALU_DEP_1)
	v_cvt_f16_f32_e32 v2, v2
	global_store_b16 v[0:1], v2, off
.LBB331_1119:
	s_mov_b32 s31, 0
.LBB331_1120:
	s_delay_alu instid0(SALU_CYCLE_1)
	s_and_not1_b32 vcc_lo, exec_lo, s31
	s_cbranch_vccnz .LBB331_1136
; %bb.1121:
	s_cmp_lt_i32 s30, 2
	s_mov_b32 s31, -1
	s_cbranch_scc1 .LBB331_1131
; %bb.1122:
	s_cmp_lt_i32 s30, 3
	s_cbranch_scc1 .LBB331_1128
; %bb.1123:
	s_cmp_gt_i32 s30, 3
	s_cbranch_scc0 .LBB331_1125
; %bb.1124:
	s_mov_b32 s31, 0
	s_wait_xcnt 0x0
	v_cndmask_b32_e64 v2, 0, 1, s29
	v_mov_b32_e32 v3, s31
	global_store_b64 v[0:1], v[2:3], off
.LBB331_1125:
	s_and_not1_b32 vcc_lo, exec_lo, s31
	s_cbranch_vccnz .LBB331_1127
; %bb.1126:
	s_wait_xcnt 0x0
	v_cndmask_b32_e64 v2, 0, 1, s29
	global_store_b32 v[0:1], v2, off
.LBB331_1127:
	s_mov_b32 s31, 0
.LBB331_1128:
	s_delay_alu instid0(SALU_CYCLE_1)
	s_and_not1_b32 vcc_lo, exec_lo, s31
	s_cbranch_vccnz .LBB331_1130
; %bb.1129:
	s_wait_xcnt 0x0
	v_cndmask_b32_e64 v2, 0, 1, s29
	global_store_b16 v[0:1], v2, off
.LBB331_1130:
	s_mov_b32 s31, 0
.LBB331_1131:
	s_delay_alu instid0(SALU_CYCLE_1)
	s_and_not1_b32 vcc_lo, exec_lo, s31
	s_cbranch_vccnz .LBB331_1136
; %bb.1132:
	s_wait_xcnt 0x0
	v_cndmask_b32_e64 v2, 0, 1, s29
	s_cmp_gt_i32 s30, 0
	s_mov_b32 s29, -1
	s_cbranch_scc0 .LBB331_1134
; %bb.1133:
	s_mov_b32 s29, 0
	global_store_b8 v[0:1], v2, off
.LBB331_1134:
	s_and_not1_b32 vcc_lo, exec_lo, s29
	s_cbranch_vccnz .LBB331_1136
; %bb.1135:
	global_store_b8 v[0:1], v2, off
.LBB331_1136:
	s_mov_b32 s33, -1
.LBB331_1137:
	s_delay_alu instid0(SALU_CYCLE_1)
	s_and_not1_b32 vcc_lo, exec_lo, s33
	s_cbranch_vccnz .LBB331_1139
; %bb.1138:
	v_add_nc_u32_e32 v18, 0x80, v18
	s_mov_b32 s30, -1
	s_branch .LBB331_1141
.LBB331_1139:
	s_mov_b32 s30, 0
.LBB331_1140:
                                        ; implicit-def: $vgpr18
.LBB331_1141:
	s_and_not1_b32 s29, s23, exec_lo
	s_and_b32 s0, s0, exec_lo
	s_and_b32 s28, s28, exec_lo
	s_or_b32 s29, s29, s0
	s_and_not1_b32 s0, s24, exec_lo
	s_and_not1_b32 s31, s22, exec_lo
	s_and_b32 s27, s27, exec_lo
	s_or_b32 s28, s0, s28
	s_or_b32 s27, s31, s27
	s_or_not1_b32 s34, s30, exec_lo
.LBB331_1142:
	s_wait_xcnt 0x0
	s_or_b32 exec_lo, exec_lo, s26
	s_mov_b32 s30, 0
	s_mov_b32 s31, 0
	;; [unrolled: 1-line block ×3, first 2 shown]
                                        ; implicit-def: $sgpr0
                                        ; implicit-def: $vgpr2_vgpr3
                                        ; implicit-def: $vgpr0
	s_and_saveexec_b32 s26, s34
	s_cbranch_execz .LBB331_1221
; %bb.1143:
	v_cmp_gt_i32_e32 vcc_lo, s17, v18
	s_mov_b32 s35, s27
	s_mov_b32 s34, 0
	;; [unrolled: 1-line block ×3, first 2 shown]
                                        ; implicit-def: $sgpr0
                                        ; implicit-def: $vgpr2_vgpr3
                                        ; implicit-def: $vgpr0
	s_and_saveexec_b32 s17, vcc_lo
	s_cbranch_execz .LBB331_1220
; %bb.1144:
	s_wait_loadcnt 0x0
	v_mul_lo_u32 v0, v18, s9
	s_and_b32 s0, s14, 0xff
	s_delay_alu instid0(SALU_CYCLE_1) | instskip(NEXT) | instid1(VALU_DEP_1)
	s_cmp_lt_i32 s0, 11
	v_ashrrev_i32_e32 v1, 31, v0
	s_delay_alu instid0(VALU_DEP_1)
	v_add_nc_u64_e32 v[2:3], s[6:7], v[0:1]
	s_cbranch_scc1 .LBB331_1151
; %bb.1145:
	s_and_b32 s30, 0xffff, s0
	s_delay_alu instid0(SALU_CYCLE_1)
	s_cmp_gt_i32 s30, 25
	s_cbranch_scc0 .LBB331_1152
; %bb.1146:
	s_cmp_gt_i32 s30, 28
	s_cbranch_scc0 .LBB331_1153
; %bb.1147:
	;; [unrolled: 3-line block ×4, first 2 shown]
	s_cmp_eq_u32 s30, 46
	s_mov_b32 s35, 0
	s_cbranch_scc0 .LBB331_1158
; %bb.1150:
	global_load_b32 v0, v[2:3], off
	s_mov_b32 s34, -1
	s_wait_loadcnt 0x0
	v_lshlrev_b32_e32 v0, 16, v0
	s_delay_alu instid0(VALU_DEP_1)
	v_cvt_u32_f32_e32 v0, v0
	s_branch .LBB331_1160
.LBB331_1151:
	s_mov_b32 s30, -1
	s_mov_b32 s31, s27
                                        ; implicit-def: $vgpr0
	s_branch .LBB331_1219
.LBB331_1152:
	s_mov_b32 s35, -1
	s_mov_b32 s31, s27
                                        ; implicit-def: $vgpr0
	s_branch .LBB331_1187
.LBB331_1153:
	s_mov_b32 s35, -1
	s_mov_b32 s31, s27
                                        ; implicit-def: $vgpr0
	s_branch .LBB331_1170
.LBB331_1154:
	s_mov_b32 s35, -1
	s_mov_b32 s31, s27
                                        ; implicit-def: $vgpr0
	s_branch .LBB331_1165
.LBB331_1155:
	s_mov_b32 s35, -1
	s_mov_b32 s31, s27
	s_branch .LBB331_1159
.LBB331_1156:
	s_and_not1_saveexec_b32 s35, s35
	s_cbranch_execz .LBB331_1050
.LBB331_1157:
	v_add_f32_e32 v2, 0x46000000, v3
	s_and_not1_b32 s34, s34, exec_lo
	s_delay_alu instid0(VALU_DEP_1) | instskip(NEXT) | instid1(VALU_DEP_1)
	v_and_b32_e32 v2, 0xff, v2
	v_cmp_ne_u32_e32 vcc_lo, 0, v2
	s_and_b32 s36, vcc_lo, exec_lo
	s_delay_alu instid0(SALU_CYCLE_1)
	s_or_b32 s34, s34, s36
	s_or_b32 exec_lo, exec_lo, s35
	v_mov_b32_e32 v4, 0
	s_and_saveexec_b32 s35, s34
	s_cbranch_execnz .LBB331_1051
	s_branch .LBB331_1052
.LBB331_1158:
	s_mov_b32 s31, -1
.LBB331_1159:
                                        ; implicit-def: $vgpr0
.LBB331_1160:
	s_and_b32 vcc_lo, exec_lo, s35
	s_cbranch_vccz .LBB331_1164
; %bb.1161:
	s_cmp_eq_u32 s30, 44
	s_cbranch_scc0 .LBB331_1163
; %bb.1162:
	global_load_u8 v0, v[2:3], off
	s_mov_b32 s31, 0
	s_mov_b32 s34, -1
	s_wait_loadcnt 0x0
	v_lshlrev_b32_e32 v1, 23, v0
	v_cmp_ne_u32_e32 vcc_lo, 0, v0
	s_delay_alu instid0(VALU_DEP_2) | instskip(NEXT) | instid1(VALU_DEP_1)
	v_cvt_u32_f32_e32 v1, v1
	v_cndmask_b32_e32 v0, 0, v1, vcc_lo
	s_branch .LBB331_1164
.LBB331_1163:
	s_mov_b32 s31, -1
                                        ; implicit-def: $vgpr0
.LBB331_1164:
	s_mov_b32 s35, 0
.LBB331_1165:
	s_delay_alu instid0(SALU_CYCLE_1)
	s_and_b32 vcc_lo, exec_lo, s35
	s_cbranch_vccz .LBB331_1169
; %bb.1166:
	s_cmp_eq_u32 s30, 29
	s_cbranch_scc0 .LBB331_1168
; %bb.1167:
	global_load_b64 v[0:1], v[2:3], off
	s_mov_b32 s31, 0
	s_mov_b32 s34, -1
	s_branch .LBB331_1169
.LBB331_1168:
	s_mov_b32 s31, -1
                                        ; implicit-def: $vgpr0
.LBB331_1169:
	s_mov_b32 s35, 0
.LBB331_1170:
	s_delay_alu instid0(SALU_CYCLE_1)
	s_and_b32 vcc_lo, exec_lo, s35
	s_cbranch_vccz .LBB331_1186
; %bb.1171:
	s_cmp_lt_i32 s30, 27
	s_cbranch_scc1 .LBB331_1174
; %bb.1172:
	s_cmp_gt_i32 s30, 27
	s_cbranch_scc0 .LBB331_1175
; %bb.1173:
	s_wait_loadcnt 0x0
	global_load_b32 v0, v[2:3], off
	s_mov_b32 s34, 0
	s_branch .LBB331_1176
.LBB331_1174:
	s_mov_b32 s34, -1
                                        ; implicit-def: $vgpr0
	s_branch .LBB331_1179
.LBB331_1175:
	s_mov_b32 s34, -1
                                        ; implicit-def: $vgpr0
.LBB331_1176:
	s_delay_alu instid0(SALU_CYCLE_1)
	s_and_not1_b32 vcc_lo, exec_lo, s34
	s_cbranch_vccnz .LBB331_1178
; %bb.1177:
	s_wait_loadcnt 0x0
	global_load_u16 v0, v[2:3], off
.LBB331_1178:
	s_mov_b32 s34, 0
.LBB331_1179:
	s_delay_alu instid0(SALU_CYCLE_1)
	s_and_not1_b32 vcc_lo, exec_lo, s34
	s_cbranch_vccnz .LBB331_1185
; %bb.1180:
	s_wait_loadcnt 0x0
	global_load_u8 v1, v[2:3], off
	s_mov_b32 s35, 0
	s_mov_b32 s34, exec_lo
	s_wait_loadcnt 0x0
	v_cmpx_lt_i16_e32 0x7f, v1
	s_xor_b32 s34, exec_lo, s34
	s_cbranch_execz .LBB331_1197
; %bb.1181:
	v_cmp_ne_u16_e32 vcc_lo, 0x80, v1
	s_and_b32 s35, vcc_lo, exec_lo
	s_and_not1_saveexec_b32 s34, s34
	s_cbranch_execnz .LBB331_1198
.LBB331_1182:
	s_or_b32 exec_lo, exec_lo, s34
	v_mov_b32_e32 v0, 0
	s_and_saveexec_b32 s34, s35
	s_cbranch_execz .LBB331_1184
.LBB331_1183:
	v_and_b32_e32 v0, 0xffff, v1
	s_delay_alu instid0(VALU_DEP_1) | instskip(SKIP_1) | instid1(VALU_DEP_2)
	v_and_b32_e32 v4, 7, v0
	v_bfe_u32 v7, v0, 3, 4
	v_clz_i32_u32_e32 v5, v4
	s_delay_alu instid0(VALU_DEP_2) | instskip(NEXT) | instid1(VALU_DEP_2)
	v_cmp_eq_u32_e32 vcc_lo, 0, v7
	v_min_u32_e32 v5, 32, v5
	s_delay_alu instid0(VALU_DEP_1) | instskip(NEXT) | instid1(VALU_DEP_1)
	v_subrev_nc_u32_e32 v6, 28, v5
	v_dual_lshlrev_b32 v0, v6, v0 :: v_dual_sub_nc_u32 v5, 29, v5
	s_delay_alu instid0(VALU_DEP_1) | instskip(NEXT) | instid1(VALU_DEP_1)
	v_dual_lshlrev_b32 v1, 24, v1 :: v_dual_bitop2_b32 v0, 7, v0 bitop3:0x40
	v_dual_cndmask_b32 v0, v4, v0 :: v_dual_cndmask_b32 v5, v7, v5
	s_delay_alu instid0(VALU_DEP_2) | instskip(NEXT) | instid1(VALU_DEP_2)
	v_and_b32_e32 v1, 0x80000000, v1
	v_lshlrev_b32_e32 v0, 20, v0
	s_delay_alu instid0(VALU_DEP_3) | instskip(NEXT) | instid1(VALU_DEP_1)
	v_lshl_add_u32 v4, v5, 23, 0x3b800000
	v_or3_b32 v0, v1, v4, v0
	s_delay_alu instid0(VALU_DEP_1)
	v_cvt_u32_f32_e32 v0, v0
.LBB331_1184:
	s_or_b32 exec_lo, exec_lo, s34
.LBB331_1185:
	s_mov_b32 s34, -1
.LBB331_1186:
	s_mov_b32 s35, 0
.LBB331_1187:
	s_delay_alu instid0(SALU_CYCLE_1)
	s_and_b32 vcc_lo, exec_lo, s35
	s_cbranch_vccz .LBB331_1218
; %bb.1188:
	s_cmp_gt_i32 s30, 22
	s_cbranch_scc0 .LBB331_1196
; %bb.1189:
	s_cmp_lt_i32 s30, 24
	s_cbranch_scc1 .LBB331_1199
; %bb.1190:
	s_cmp_gt_i32 s30, 24
	s_cbranch_scc0 .LBB331_1200
; %bb.1191:
	s_wait_loadcnt 0x0
	global_load_u8 v1, v[2:3], off
	s_mov_b32 s34, 0
	s_mov_b32 s33, exec_lo
	s_wait_loadcnt 0x0
	v_cmpx_lt_i16_e32 0x7f, v1
	s_xor_b32 s33, exec_lo, s33
	s_cbranch_execz .LBB331_1212
; %bb.1192:
	v_cmp_ne_u16_e32 vcc_lo, 0x80, v1
	s_and_b32 s34, vcc_lo, exec_lo
	s_and_not1_saveexec_b32 s33, s33
	s_cbranch_execnz .LBB331_1213
.LBB331_1193:
	s_or_b32 exec_lo, exec_lo, s33
	v_mov_b32_e32 v0, 0
	s_and_saveexec_b32 s33, s34
	s_cbranch_execz .LBB331_1195
.LBB331_1194:
	v_and_b32_e32 v0, 0xffff, v1
	s_delay_alu instid0(VALU_DEP_1) | instskip(SKIP_1) | instid1(VALU_DEP_2)
	v_and_b32_e32 v4, 3, v0
	v_bfe_u32 v7, v0, 2, 5
	v_clz_i32_u32_e32 v5, v4
	s_delay_alu instid0(VALU_DEP_2) | instskip(NEXT) | instid1(VALU_DEP_2)
	v_cmp_eq_u32_e32 vcc_lo, 0, v7
	v_min_u32_e32 v5, 32, v5
	s_delay_alu instid0(VALU_DEP_1) | instskip(NEXT) | instid1(VALU_DEP_1)
	v_subrev_nc_u32_e32 v6, 29, v5
	v_dual_lshlrev_b32 v0, v6, v0 :: v_dual_sub_nc_u32 v5, 30, v5
	s_delay_alu instid0(VALU_DEP_1) | instskip(NEXT) | instid1(VALU_DEP_1)
	v_dual_lshlrev_b32 v1, 24, v1 :: v_dual_bitop2_b32 v0, 3, v0 bitop3:0x40
	v_dual_cndmask_b32 v0, v4, v0 :: v_dual_cndmask_b32 v5, v7, v5
	s_delay_alu instid0(VALU_DEP_2) | instskip(NEXT) | instid1(VALU_DEP_2)
	v_and_b32_e32 v1, 0x80000000, v1
	v_lshlrev_b32_e32 v0, 21, v0
	s_delay_alu instid0(VALU_DEP_3) | instskip(NEXT) | instid1(VALU_DEP_1)
	v_lshl_add_u32 v4, v5, 23, 0x37800000
	v_or3_b32 v0, v1, v4, v0
	s_delay_alu instid0(VALU_DEP_1)
	v_cvt_u32_f32_e32 v0, v0
.LBB331_1195:
	s_or_b32 exec_lo, exec_lo, s33
	s_mov_b32 s33, 0
	s_branch .LBB331_1201
.LBB331_1196:
	s_mov_b32 s33, -1
                                        ; implicit-def: $vgpr0
	s_branch .LBB331_1207
.LBB331_1197:
	s_and_not1_saveexec_b32 s34, s34
	s_cbranch_execz .LBB331_1182
.LBB331_1198:
	v_cmp_ne_u16_e32 vcc_lo, 0, v1
	s_and_not1_b32 s35, s35, exec_lo
	s_and_b32 s36, vcc_lo, exec_lo
	s_delay_alu instid0(SALU_CYCLE_1)
	s_or_b32 s35, s35, s36
	s_or_b32 exec_lo, exec_lo, s34
	v_mov_b32_e32 v0, 0
	s_and_saveexec_b32 s34, s35
	s_cbranch_execnz .LBB331_1183
	s_branch .LBB331_1184
.LBB331_1199:
	s_mov_b32 s33, -1
                                        ; implicit-def: $vgpr0
	s_branch .LBB331_1204
.LBB331_1200:
	s_mov_b32 s33, -1
                                        ; implicit-def: $vgpr0
.LBB331_1201:
	s_delay_alu instid0(SALU_CYCLE_1)
	s_and_b32 vcc_lo, exec_lo, s33
	s_cbranch_vccz .LBB331_1203
; %bb.1202:
	s_wait_loadcnt 0x0
	global_load_u8 v0, v[2:3], off
	s_wait_loadcnt 0x0
	v_lshlrev_b32_e32 v0, 24, v0
	s_delay_alu instid0(VALU_DEP_1) | instskip(NEXT) | instid1(VALU_DEP_1)
	v_and_b32_e32 v1, 0x7f000000, v0
	v_clz_i32_u32_e32 v4, v1
	v_cmp_ne_u32_e32 vcc_lo, 0, v1
	v_add_nc_u32_e32 v6, 0x1000000, v1
	s_delay_alu instid0(VALU_DEP_3) | instskip(NEXT) | instid1(VALU_DEP_1)
	v_min_u32_e32 v4, 32, v4
	v_sub_nc_u32_e64 v4, v4, 4 clamp
	s_delay_alu instid0(VALU_DEP_1) | instskip(NEXT) | instid1(VALU_DEP_1)
	v_dual_lshlrev_b32 v5, v4, v1 :: v_dual_lshlrev_b32 v4, 23, v4
	v_lshrrev_b32_e32 v5, 4, v5
	s_delay_alu instid0(VALU_DEP_1) | instskip(NEXT) | instid1(VALU_DEP_1)
	v_dual_sub_nc_u32 v4, v5, v4 :: v_dual_ashrrev_i32 v5, 8, v6
	v_add_nc_u32_e32 v4, 0x3c000000, v4
	s_delay_alu instid0(VALU_DEP_1) | instskip(NEXT) | instid1(VALU_DEP_1)
	v_and_or_b32 v4, 0x7f800000, v5, v4
	v_cndmask_b32_e32 v1, 0, v4, vcc_lo
	s_delay_alu instid0(VALU_DEP_1) | instskip(NEXT) | instid1(VALU_DEP_1)
	v_and_or_b32 v0, 0x80000000, v0, v1
	v_cvt_u32_f32_e32 v0, v0
.LBB331_1203:
	s_mov_b32 s33, 0
.LBB331_1204:
	s_delay_alu instid0(SALU_CYCLE_1)
	s_and_not1_b32 vcc_lo, exec_lo, s33
	s_cbranch_vccnz .LBB331_1206
; %bb.1205:
	s_wait_loadcnt 0x0
	global_load_u8 v0, v[2:3], off
	s_wait_loadcnt 0x0
	v_lshlrev_b32_e32 v1, 25, v0
	v_lshlrev_b16 v0, 8, v0
	s_delay_alu instid0(VALU_DEP_1) | instskip(SKIP_1) | instid1(VALU_DEP_2)
	v_and_or_b32 v5, 0x7f00, v0, 0.5
	v_bfe_i32 v0, v0, 0, 16
	v_add_f32_e32 v5, -0.5, v5
	v_lshrrev_b32_e32 v4, 4, v1
	v_cmp_gt_u32_e32 vcc_lo, 0x8000000, v1
	s_delay_alu instid0(VALU_DEP_2) | instskip(NEXT) | instid1(VALU_DEP_1)
	v_or_b32_e32 v4, 0x70000000, v4
	v_mul_f32_e32 v4, 0x7800000, v4
	s_delay_alu instid0(VALU_DEP_1) | instskip(NEXT) | instid1(VALU_DEP_1)
	v_cndmask_b32_e32 v1, v4, v5, vcc_lo
	v_and_or_b32 v0, 0x80000000, v0, v1
	s_delay_alu instid0(VALU_DEP_1)
	v_cvt_u32_f32_e32 v0, v0
.LBB331_1206:
	s_mov_b32 s33, 0
	s_mov_b32 s34, -1
.LBB331_1207:
	s_and_not1_b32 vcc_lo, exec_lo, s33
	s_mov_b32 s33, 0
	s_cbranch_vccnz .LBB331_1218
; %bb.1208:
	s_cmp_gt_i32 s30, 14
	s_cbranch_scc0 .LBB331_1211
; %bb.1209:
	s_cmp_eq_u32 s30, 15
	s_cbranch_scc0 .LBB331_1214
; %bb.1210:
	s_wait_loadcnt 0x0
	global_load_u16 v0, v[2:3], off
	s_mov_b32 s31, 0
	s_mov_b32 s34, -1
	s_wait_loadcnt 0x0
	v_lshlrev_b32_e32 v0, 16, v0
	s_delay_alu instid0(VALU_DEP_1)
	v_cvt_u32_f32_e32 v0, v0
	s_branch .LBB331_1216
.LBB331_1211:
	s_mov_b32 s33, -1
	s_branch .LBB331_1215
.LBB331_1212:
	s_and_not1_saveexec_b32 s33, s33
	s_cbranch_execz .LBB331_1193
.LBB331_1213:
	v_cmp_ne_u16_e32 vcc_lo, 0, v1
	s_and_not1_b32 s34, s34, exec_lo
	s_and_b32 s35, vcc_lo, exec_lo
	s_delay_alu instid0(SALU_CYCLE_1)
	s_or_b32 s34, s34, s35
	s_or_b32 exec_lo, exec_lo, s33
	v_mov_b32_e32 v0, 0
	s_and_saveexec_b32 s33, s34
	s_cbranch_execnz .LBB331_1194
	s_branch .LBB331_1195
.LBB331_1214:
	s_mov_b32 s31, -1
.LBB331_1215:
                                        ; implicit-def: $vgpr0
.LBB331_1216:
	s_and_b32 vcc_lo, exec_lo, s33
	s_mov_b32 s33, 0
	s_cbranch_vccz .LBB331_1218
; %bb.1217:
	s_cmp_lg_u32 s30, 11
	s_mov_b32 s33, -1
	s_cselect_b32 s30, -1, 0
	s_and_not1_b32 s31, s31, exec_lo
	s_and_b32 s30, s30, exec_lo
	s_delay_alu instid0(SALU_CYCLE_1)
	s_or_b32 s31, s31, s30
.LBB331_1218:
	s_mov_b32 s30, 0
.LBB331_1219:
	s_and_not1_b32 s35, s27, exec_lo
	s_and_b32 s31, s31, exec_lo
	s_and_b32 s36, s34, exec_lo
	s_and_b32 s34, s30, exec_lo
	s_and_b32 s30, s33, exec_lo
	s_or_b32 s35, s35, s31
.LBB331_1220:
	s_wait_xcnt 0x0
	s_or_b32 exec_lo, exec_lo, s17
	s_delay_alu instid0(SALU_CYCLE_1)
	s_and_not1_b32 s17, s27, exec_lo
	s_and_b32 s27, s35, exec_lo
	s_and_b32 s33, s36, exec_lo
	;; [unrolled: 1-line block ×4, first 2 shown]
	s_or_b32 s27, s17, s27
.LBB331_1221:
	s_or_b32 exec_lo, exec_lo, s26
	s_delay_alu instid0(SALU_CYCLE_1)
	s_and_not1_b32 s17, s23, exec_lo
	s_and_b32 s23, s29, exec_lo
	s_and_not1_b32 s24, s24, exec_lo
	s_and_b32 s26, s28, exec_lo
	s_or_b32 s23, s17, s23
	s_and_not1_b32 s17, s22, exec_lo
	s_and_b32 s22, s27, exec_lo
	s_or_b32 s24, s24, s26
	s_and_b32 s29, s33, exec_lo
	s_and_b32 s28, s31, exec_lo
	;; [unrolled: 1-line block ×3, first 2 shown]
	s_or_b32 s22, s17, s22
.LBB331_1222:
	s_or_b32 exec_lo, exec_lo, s25
	s_delay_alu instid0(SALU_CYCLE_1)
	s_and_not1_b32 s17, s18, exec_lo
	s_and_b32 s18, s23, exec_lo
	s_and_not1_b32 s19, s19, exec_lo
	s_and_b32 s23, s24, exec_lo
	s_or_b32 s18, s17, s18
	s_and_not1_b32 s17, s20, exec_lo
	s_and_b32 s20, s22, exec_lo
	s_or_b32 s19, s19, s23
	s_and_b32 s23, s29, exec_lo
	s_and_b32 s24, s28, exec_lo
	;; [unrolled: 1-line block ×3, first 2 shown]
	s_or_b32 s20, s17, s20
	s_or_b32 exec_lo, exec_lo, s21
	s_mov_b32 s17, 0
	s_and_saveexec_b32 s21, s20
	s_cbranch_execz .LBB331_384
.LBB331_1223:
	s_mov_b32 s17, exec_lo
	s_and_not1_b32 s22, s22, exec_lo
	s_trap 2
	s_or_b32 exec_lo, exec_lo, s21
	s_and_saveexec_b32 s20, s22
	s_delay_alu instid0(SALU_CYCLE_1)
	s_xor_b32 s20, exec_lo, s20
	s_cbranch_execnz .LBB331_385
.LBB331_1224:
	s_or_b32 exec_lo, exec_lo, s20
	s_and_saveexec_b32 s20, s24
	s_cbranch_execz .LBB331_1270
.LBB331_1225:
	s_sext_i32_i16 s21, s0
	s_delay_alu instid0(SALU_CYCLE_1)
	s_cmp_lt_i32 s21, 5
	s_cbranch_scc1 .LBB331_1230
; %bb.1226:
	s_cmp_lt_i32 s21, 8
	s_cbranch_scc1 .LBB331_1231
; %bb.1227:
	;; [unrolled: 3-line block ×3, first 2 shown]
	s_cmp_gt_i32 s21, 9
	s_cbranch_scc0 .LBB331_1233
; %bb.1229:
	s_wait_loadcnt 0x0
	global_load_b64 v[0:1], v[2:3], off
	s_mov_b32 s21, 0
	s_wait_loadcnt 0x0
	v_cvt_u32_f64_e32 v0, v[0:1]
	s_branch .LBB331_1234
.LBB331_1230:
                                        ; implicit-def: $vgpr0
	s_branch .LBB331_1251
.LBB331_1231:
                                        ; implicit-def: $vgpr0
	s_branch .LBB331_1240
.LBB331_1232:
	s_mov_b32 s21, -1
                                        ; implicit-def: $vgpr0
	s_branch .LBB331_1237
.LBB331_1233:
	s_mov_b32 s21, -1
                                        ; implicit-def: $vgpr0
.LBB331_1234:
	s_delay_alu instid0(SALU_CYCLE_1)
	s_and_not1_b32 vcc_lo, exec_lo, s21
	s_cbranch_vccnz .LBB331_1236
; %bb.1235:
	s_wait_loadcnt 0x0
	global_load_b32 v0, v[2:3], off
	s_wait_loadcnt 0x0
	v_cvt_u32_f32_e32 v0, v0
.LBB331_1236:
	s_mov_b32 s21, 0
.LBB331_1237:
	s_delay_alu instid0(SALU_CYCLE_1)
	s_and_not1_b32 vcc_lo, exec_lo, s21
	s_cbranch_vccnz .LBB331_1239
; %bb.1238:
	s_wait_loadcnt 0x0
	global_load_b32 v0, v[2:3], off
	s_wait_loadcnt 0x0
	v_cvt_u16_f16_e32 v0, v0
.LBB331_1239:
	s_cbranch_execnz .LBB331_1250
.LBB331_1240:
	s_sext_i32_i16 s21, s0
	s_delay_alu instid0(SALU_CYCLE_1)
	s_cmp_lt_i32 s21, 6
	s_cbranch_scc1 .LBB331_1243
; %bb.1241:
	s_cmp_gt_i32 s21, 6
	s_cbranch_scc0 .LBB331_1244
; %bb.1242:
	s_wait_loadcnt 0x0
	global_load_b64 v[0:1], v[2:3], off
	s_mov_b32 s21, 0
	s_wait_loadcnt 0x0
	v_cvt_u32_f64_e32 v0, v[0:1]
	s_branch .LBB331_1245
.LBB331_1243:
	s_mov_b32 s21, -1
                                        ; implicit-def: $vgpr0
	s_branch .LBB331_1248
.LBB331_1244:
	s_mov_b32 s21, -1
                                        ; implicit-def: $vgpr0
.LBB331_1245:
	s_delay_alu instid0(SALU_CYCLE_1)
	s_and_not1_b32 vcc_lo, exec_lo, s21
	s_cbranch_vccnz .LBB331_1247
; %bb.1246:
	s_wait_loadcnt 0x0
	global_load_b32 v0, v[2:3], off
	s_wait_loadcnt 0x0
	v_cvt_u32_f32_e32 v0, v0
.LBB331_1247:
	s_mov_b32 s21, 0
.LBB331_1248:
	s_delay_alu instid0(SALU_CYCLE_1)
	s_and_not1_b32 vcc_lo, exec_lo, s21
	s_cbranch_vccnz .LBB331_1250
; %bb.1249:
	s_wait_loadcnt 0x0
	global_load_u16 v0, v[2:3], off
	s_wait_loadcnt 0x0
	v_cvt_u16_f16_e32 v0, v0
.LBB331_1250:
	s_cbranch_execnz .LBB331_1269
.LBB331_1251:
	s_sext_i32_i16 s21, s0
	s_delay_alu instid0(SALU_CYCLE_1)
	s_cmp_lt_i32 s21, 2
	s_cbranch_scc1 .LBB331_1255
; %bb.1252:
	s_cmp_lt_i32 s21, 3
	s_cbranch_scc1 .LBB331_1256
; %bb.1253:
	s_cmp_gt_i32 s21, 3
	s_cbranch_scc0 .LBB331_1257
; %bb.1254:
	s_wait_loadcnt 0x0
	global_load_b64 v[0:1], v[2:3], off
	s_mov_b32 s21, 0
	s_branch .LBB331_1258
.LBB331_1255:
                                        ; implicit-def: $vgpr0
	s_branch .LBB331_1264
.LBB331_1256:
	s_mov_b32 s21, -1
                                        ; implicit-def: $vgpr0
	s_branch .LBB331_1261
.LBB331_1257:
	s_mov_b32 s21, -1
                                        ; implicit-def: $vgpr0
.LBB331_1258:
	s_delay_alu instid0(SALU_CYCLE_1)
	s_and_not1_b32 vcc_lo, exec_lo, s21
	s_cbranch_vccnz .LBB331_1260
; %bb.1259:
	s_wait_loadcnt 0x0
	global_load_b32 v0, v[2:3], off
.LBB331_1260:
	s_mov_b32 s21, 0
.LBB331_1261:
	s_delay_alu instid0(SALU_CYCLE_1)
	s_and_not1_b32 vcc_lo, exec_lo, s21
	s_cbranch_vccnz .LBB331_1263
; %bb.1262:
	s_wait_loadcnt 0x0
	global_load_u16 v0, v[2:3], off
.LBB331_1263:
	s_cbranch_execnz .LBB331_1269
.LBB331_1264:
	s_sext_i32_i16 s0, s0
	s_delay_alu instid0(SALU_CYCLE_1)
	s_cmp_gt_i32 s0, 0
	s_mov_b32 s0, 0
	s_cbranch_scc0 .LBB331_1266
; %bb.1265:
	s_wait_loadcnt 0x0
	global_load_i8 v0, v[2:3], off
	s_branch .LBB331_1267
.LBB331_1266:
	s_mov_b32 s0, -1
                                        ; implicit-def: $vgpr0
.LBB331_1267:
	s_delay_alu instid0(SALU_CYCLE_1)
	s_and_not1_b32 vcc_lo, exec_lo, s0
	s_cbranch_vccnz .LBB331_1269
; %bb.1268:
	s_wait_loadcnt 0x0
	global_load_u8 v0, v[2:3], off
.LBB331_1269:
	s_or_b32 s23, s23, exec_lo
.LBB331_1270:
	s_wait_xcnt 0x0
	s_or_b32 exec_lo, exec_lo, s20
	s_mov_b32 s22, 0
	s_mov_b32 s21, 0
	;; [unrolled: 1-line block ×3, first 2 shown]
                                        ; implicit-def: $sgpr0
                                        ; implicit-def: $vgpr2_vgpr3
                                        ; implicit-def: $vgpr4
	s_and_saveexec_b32 s20, s23
	s_cbranch_execz .LBB331_1278
; %bb.1271:
	v_mul_lo_u32 v2, v18, s10
	s_and_b32 s0, s1, 0xff
	s_delay_alu instid0(SALU_CYCLE_1) | instskip(NEXT) | instid1(VALU_DEP_1)
	s_cmp_lt_i32 s0, 11
	v_ashrrev_i32_e32 v3, 31, v2
	s_delay_alu instid0(VALU_DEP_1)
	v_add_nc_u64_e32 v[2:3], s[2:3], v[2:3]
	s_cbranch_scc1 .LBB331_1281
; %bb.1272:
	s_and_b32 s21, 0xffff, s0
	s_mov_b32 s23, 0
	s_cmp_gt_i32 s21, 25
	s_cbranch_scc0 .LBB331_1282
; %bb.1273:
	s_cmp_gt_i32 s21, 28
	s_cbranch_scc0 .LBB331_1283
; %bb.1274:
	;; [unrolled: 3-line block ×4, first 2 shown]
	s_cmp_eq_u32 s21, 46
	s_mov_b32 s25, 0
	s_cbranch_scc0 .LBB331_1286
; %bb.1277:
	s_wait_loadcnt 0x0
	global_load_b32 v1, v[2:3], off
	s_mov_b32 s24, -1
	s_wait_loadcnt 0x0
	v_lshlrev_b32_e32 v1, 16, v1
	s_delay_alu instid0(VALU_DEP_1)
	v_cvt_u32_f32_e32 v4, v1
	s_branch .LBB331_1288
.LBB331_1278:
	s_or_b32 exec_lo, exec_lo, s20
	s_and_saveexec_b32 s20, s19
	s_cbranch_execnz .LBB331_1347
.LBB331_1279:
	s_or_b32 exec_lo, exec_lo, s20
	s_and_saveexec_b32 s19, s22
	s_delay_alu instid0(SALU_CYCLE_1)
	s_xor_b32 s19, exec_lo, s19
	s_cbranch_execz .LBB331_1348
.LBB331_1280:
	s_wait_loadcnt 0x0
	global_load_u8 v1, v[2:3], off
	s_or_b32 s24, s24, exec_lo
	s_wait_loadcnt 0x0
	v_cmp_ne_u16_e32 vcc_lo, 0, v1
	v_cndmask_b32_e64 v4, 0, 1, vcc_lo
	s_wait_xcnt 0x0
	s_or_b32 exec_lo, exec_lo, s19
	s_and_saveexec_b32 s19, s21
	s_cbranch_execz .LBB331_1394
	s_branch .LBB331_1349
.LBB331_1281:
	s_mov_b32 s21, -1
	s_mov_b32 s23, 0
	s_mov_b32 s22, s19
                                        ; implicit-def: $vgpr4
	s_branch .LBB331_1346
.LBB331_1282:
	s_mov_b32 s22, s19
                                        ; implicit-def: $vgpr4
	s_cbranch_execnz .LBB331_1315
	s_branch .LBB331_1345
.LBB331_1283:
	s_mov_b32 s25, -1
	s_mov_b32 s22, s19
                                        ; implicit-def: $vgpr4
	s_branch .LBB331_1298
.LBB331_1284:
	s_mov_b32 s25, -1
	s_mov_b32 s22, s19
                                        ; implicit-def: $vgpr4
	s_branch .LBB331_1293
.LBB331_1285:
	s_mov_b32 s25, -1
	s_mov_b32 s22, s19
	s_branch .LBB331_1287
.LBB331_1286:
	s_mov_b32 s22, -1
.LBB331_1287:
                                        ; implicit-def: $vgpr4
.LBB331_1288:
	s_and_b32 vcc_lo, exec_lo, s25
	s_cbranch_vccz .LBB331_1292
; %bb.1289:
	s_cmp_eq_u32 s21, 44
	s_cbranch_scc0 .LBB331_1291
; %bb.1290:
	s_wait_loadcnt 0x0
	global_load_u8 v1, v[2:3], off
	s_mov_b32 s22, 0
	s_mov_b32 s24, -1
	s_wait_loadcnt 0x0
	v_lshlrev_b32_e32 v4, 23, v1
	v_cmp_ne_u32_e32 vcc_lo, 0, v1
	s_delay_alu instid0(VALU_DEP_2) | instskip(NEXT) | instid1(VALU_DEP_1)
	v_cvt_u32_f32_e32 v4, v4
	v_cndmask_b32_e32 v4, 0, v4, vcc_lo
	s_branch .LBB331_1292
.LBB331_1291:
	s_mov_b32 s22, -1
                                        ; implicit-def: $vgpr4
.LBB331_1292:
	s_mov_b32 s25, 0
.LBB331_1293:
	s_delay_alu instid0(SALU_CYCLE_1)
	s_and_b32 vcc_lo, exec_lo, s25
	s_cbranch_vccz .LBB331_1297
; %bb.1294:
	s_cmp_eq_u32 s21, 29
	s_cbranch_scc0 .LBB331_1296
; %bb.1295:
	s_wait_loadcnt 0x0
	global_load_b64 v[4:5], v[2:3], off
	s_mov_b32 s22, 0
	s_mov_b32 s24, -1
	s_branch .LBB331_1297
.LBB331_1296:
	s_mov_b32 s22, -1
                                        ; implicit-def: $vgpr4
.LBB331_1297:
	s_mov_b32 s25, 0
.LBB331_1298:
	s_delay_alu instid0(SALU_CYCLE_1)
	s_and_b32 vcc_lo, exec_lo, s25
	s_cbranch_vccz .LBB331_1314
; %bb.1299:
	s_cmp_lt_i32 s21, 27
	s_cbranch_scc1 .LBB331_1302
; %bb.1300:
	s_cmp_gt_i32 s21, 27
	s_cbranch_scc0 .LBB331_1303
; %bb.1301:
	s_wait_loadcnt 0x0
	global_load_b32 v4, v[2:3], off
	s_mov_b32 s24, 0
	s_branch .LBB331_1304
.LBB331_1302:
	s_mov_b32 s24, -1
                                        ; implicit-def: $vgpr4
	s_branch .LBB331_1307
.LBB331_1303:
	s_mov_b32 s24, -1
                                        ; implicit-def: $vgpr4
.LBB331_1304:
	s_delay_alu instid0(SALU_CYCLE_1)
	s_and_not1_b32 vcc_lo, exec_lo, s24
	s_cbranch_vccnz .LBB331_1306
; %bb.1305:
	s_wait_loadcnt 0x0
	global_load_u16 v4, v[2:3], off
.LBB331_1306:
	s_mov_b32 s24, 0
.LBB331_1307:
	s_delay_alu instid0(SALU_CYCLE_1)
	s_and_not1_b32 vcc_lo, exec_lo, s24
	s_cbranch_vccnz .LBB331_1313
; %bb.1308:
	s_wait_loadcnt 0x0
	global_load_u8 v1, v[2:3], off
	s_mov_b32 s25, 0
	s_mov_b32 s24, exec_lo
	s_wait_loadcnt 0x0
	v_cmpx_lt_i16_e32 0x7f, v1
	s_xor_b32 s24, exec_lo, s24
	s_cbranch_execz .LBB331_1324
; %bb.1309:
	v_cmp_ne_u16_e32 vcc_lo, 0x80, v1
	s_and_b32 s25, vcc_lo, exec_lo
	s_and_not1_saveexec_b32 s24, s24
	s_cbranch_execnz .LBB331_1325
.LBB331_1310:
	s_or_b32 exec_lo, exec_lo, s24
	v_mov_b32_e32 v4, 0
	s_and_saveexec_b32 s24, s25
	s_cbranch_execz .LBB331_1312
.LBB331_1311:
	v_and_b32_e32 v4, 0xffff, v1
	s_delay_alu instid0(VALU_DEP_1) | instskip(SKIP_1) | instid1(VALU_DEP_2)
	v_and_b32_e32 v5, 7, v4
	v_bfe_u32 v8, v4, 3, 4
	v_clz_i32_u32_e32 v6, v5
	s_delay_alu instid0(VALU_DEP_2) | instskip(NEXT) | instid1(VALU_DEP_2)
	v_cmp_eq_u32_e32 vcc_lo, 0, v8
	v_min_u32_e32 v6, 32, v6
	s_delay_alu instid0(VALU_DEP_1) | instskip(NEXT) | instid1(VALU_DEP_1)
	v_subrev_nc_u32_e32 v7, 28, v6
	v_dual_lshlrev_b32 v4, v7, v4 :: v_dual_sub_nc_u32 v6, 29, v6
	s_delay_alu instid0(VALU_DEP_1) | instskip(NEXT) | instid1(VALU_DEP_1)
	v_dual_lshlrev_b32 v1, 24, v1 :: v_dual_bitop2_b32 v4, 7, v4 bitop3:0x40
	v_dual_cndmask_b32 v6, v8, v6, vcc_lo :: v_dual_cndmask_b32 v4, v5, v4, vcc_lo
	s_delay_alu instid0(VALU_DEP_2) | instskip(NEXT) | instid1(VALU_DEP_2)
	v_and_b32_e32 v1, 0x80000000, v1
	v_lshl_add_u32 v5, v6, 23, 0x3b800000
	s_delay_alu instid0(VALU_DEP_3) | instskip(NEXT) | instid1(VALU_DEP_1)
	v_lshlrev_b32_e32 v4, 20, v4
	v_or3_b32 v1, v1, v5, v4
	s_delay_alu instid0(VALU_DEP_1)
	v_cvt_u32_f32_e32 v4, v1
.LBB331_1312:
	s_or_b32 exec_lo, exec_lo, s24
.LBB331_1313:
	s_mov_b32 s24, -1
.LBB331_1314:
	s_branch .LBB331_1345
.LBB331_1315:
	s_cmp_gt_i32 s21, 22
	s_cbranch_scc0 .LBB331_1323
; %bb.1316:
	s_cmp_lt_i32 s21, 24
	s_cbranch_scc1 .LBB331_1326
; %bb.1317:
	s_cmp_gt_i32 s21, 24
	s_cbranch_scc0 .LBB331_1327
; %bb.1318:
	s_wait_loadcnt 0x0
	global_load_u8 v1, v[2:3], off
	s_mov_b32 s24, 0
	s_mov_b32 s23, exec_lo
	s_wait_loadcnt 0x0
	v_cmpx_lt_i16_e32 0x7f, v1
	s_xor_b32 s23, exec_lo, s23
	s_cbranch_execz .LBB331_1339
; %bb.1319:
	v_cmp_ne_u16_e32 vcc_lo, 0x80, v1
	s_and_b32 s24, vcc_lo, exec_lo
	s_and_not1_saveexec_b32 s23, s23
	s_cbranch_execnz .LBB331_1340
.LBB331_1320:
	s_or_b32 exec_lo, exec_lo, s23
	v_mov_b32_e32 v4, 0
	s_and_saveexec_b32 s23, s24
	s_cbranch_execz .LBB331_1322
.LBB331_1321:
	v_and_b32_e32 v4, 0xffff, v1
	s_delay_alu instid0(VALU_DEP_1) | instskip(SKIP_1) | instid1(VALU_DEP_2)
	v_and_b32_e32 v5, 3, v4
	v_bfe_u32 v8, v4, 2, 5
	v_clz_i32_u32_e32 v6, v5
	s_delay_alu instid0(VALU_DEP_2) | instskip(NEXT) | instid1(VALU_DEP_2)
	v_cmp_eq_u32_e32 vcc_lo, 0, v8
	v_min_u32_e32 v6, 32, v6
	s_delay_alu instid0(VALU_DEP_1) | instskip(NEXT) | instid1(VALU_DEP_1)
	v_subrev_nc_u32_e32 v7, 29, v6
	v_dual_lshlrev_b32 v4, v7, v4 :: v_dual_sub_nc_u32 v6, 30, v6
	s_delay_alu instid0(VALU_DEP_1) | instskip(NEXT) | instid1(VALU_DEP_1)
	v_dual_lshlrev_b32 v1, 24, v1 :: v_dual_bitop2_b32 v4, 3, v4 bitop3:0x40
	v_dual_cndmask_b32 v6, v8, v6, vcc_lo :: v_dual_cndmask_b32 v4, v5, v4, vcc_lo
	s_delay_alu instid0(VALU_DEP_2) | instskip(NEXT) | instid1(VALU_DEP_2)
	v_and_b32_e32 v1, 0x80000000, v1
	v_lshl_add_u32 v5, v6, 23, 0x37800000
	s_delay_alu instid0(VALU_DEP_3) | instskip(NEXT) | instid1(VALU_DEP_1)
	v_lshlrev_b32_e32 v4, 21, v4
	v_or3_b32 v1, v1, v5, v4
	s_delay_alu instid0(VALU_DEP_1)
	v_cvt_u32_f32_e32 v4, v1
.LBB331_1322:
	s_or_b32 exec_lo, exec_lo, s23
	s_mov_b32 s23, 0
	s_branch .LBB331_1328
.LBB331_1323:
	s_mov_b32 s23, -1
                                        ; implicit-def: $vgpr4
	s_branch .LBB331_1334
.LBB331_1324:
	s_and_not1_saveexec_b32 s24, s24
	s_cbranch_execz .LBB331_1310
.LBB331_1325:
	v_cmp_ne_u16_e32 vcc_lo, 0, v1
	s_and_not1_b32 s25, s25, exec_lo
	s_and_b32 s26, vcc_lo, exec_lo
	s_delay_alu instid0(SALU_CYCLE_1)
	s_or_b32 s25, s25, s26
	s_or_b32 exec_lo, exec_lo, s24
	v_mov_b32_e32 v4, 0
	s_and_saveexec_b32 s24, s25
	s_cbranch_execnz .LBB331_1311
	s_branch .LBB331_1312
.LBB331_1326:
	s_mov_b32 s23, -1
                                        ; implicit-def: $vgpr4
	s_branch .LBB331_1331
.LBB331_1327:
	s_mov_b32 s23, -1
                                        ; implicit-def: $vgpr4
.LBB331_1328:
	s_delay_alu instid0(SALU_CYCLE_1)
	s_and_b32 vcc_lo, exec_lo, s23
	s_cbranch_vccz .LBB331_1330
; %bb.1329:
	s_wait_loadcnt 0x0
	global_load_u8 v1, v[2:3], off
	s_wait_loadcnt 0x0
	v_lshlrev_b32_e32 v1, 24, v1
	s_delay_alu instid0(VALU_DEP_1) | instskip(NEXT) | instid1(VALU_DEP_1)
	v_and_b32_e32 v4, 0x7f000000, v1
	v_clz_i32_u32_e32 v5, v4
	v_cmp_ne_u32_e32 vcc_lo, 0, v4
	v_add_nc_u32_e32 v7, 0x1000000, v4
	s_delay_alu instid0(VALU_DEP_3) | instskip(NEXT) | instid1(VALU_DEP_1)
	v_min_u32_e32 v5, 32, v5
	v_sub_nc_u32_e64 v5, v5, 4 clamp
	s_delay_alu instid0(VALU_DEP_1) | instskip(NEXT) | instid1(VALU_DEP_1)
	v_dual_lshlrev_b32 v6, v5, v4 :: v_dual_lshlrev_b32 v5, 23, v5
	v_lshrrev_b32_e32 v6, 4, v6
	s_delay_alu instid0(VALU_DEP_1) | instskip(NEXT) | instid1(VALU_DEP_1)
	v_dual_sub_nc_u32 v5, v6, v5 :: v_dual_ashrrev_i32 v6, 8, v7
	v_add_nc_u32_e32 v5, 0x3c000000, v5
	s_delay_alu instid0(VALU_DEP_1) | instskip(NEXT) | instid1(VALU_DEP_1)
	v_and_or_b32 v5, 0x7f800000, v6, v5
	v_cndmask_b32_e32 v4, 0, v5, vcc_lo
	s_delay_alu instid0(VALU_DEP_1) | instskip(NEXT) | instid1(VALU_DEP_1)
	v_and_or_b32 v1, 0x80000000, v1, v4
	v_cvt_u32_f32_e32 v4, v1
.LBB331_1330:
	s_mov_b32 s23, 0
.LBB331_1331:
	s_delay_alu instid0(SALU_CYCLE_1)
	s_and_not1_b32 vcc_lo, exec_lo, s23
	s_cbranch_vccnz .LBB331_1333
; %bb.1332:
	s_wait_loadcnt 0x0
	global_load_u8 v1, v[2:3], off
	s_wait_loadcnt 0x0
	v_lshlrev_b32_e32 v4, 25, v1
	v_lshlrev_b16 v1, 8, v1
	s_delay_alu instid0(VALU_DEP_1) | instskip(SKIP_1) | instid1(VALU_DEP_2)
	v_and_or_b32 v6, 0x7f00, v1, 0.5
	v_bfe_i32 v1, v1, 0, 16
	v_dual_add_f32 v6, -0.5, v6 :: v_dual_lshrrev_b32 v5, 4, v4
	v_cmp_gt_u32_e32 vcc_lo, 0x8000000, v4
	s_delay_alu instid0(VALU_DEP_2) | instskip(NEXT) | instid1(VALU_DEP_1)
	v_or_b32_e32 v5, 0x70000000, v5
	v_mul_f32_e32 v5, 0x7800000, v5
	s_delay_alu instid0(VALU_DEP_1) | instskip(NEXT) | instid1(VALU_DEP_1)
	v_cndmask_b32_e32 v4, v5, v6, vcc_lo
	v_and_or_b32 v1, 0x80000000, v1, v4
	s_delay_alu instid0(VALU_DEP_1)
	v_cvt_u32_f32_e32 v4, v1
.LBB331_1333:
	s_mov_b32 s23, 0
	s_mov_b32 s24, -1
.LBB331_1334:
	s_and_not1_b32 vcc_lo, exec_lo, s23
	s_mov_b32 s23, 0
	s_cbranch_vccnz .LBB331_1345
; %bb.1335:
	s_cmp_gt_i32 s21, 14
	s_cbranch_scc0 .LBB331_1338
; %bb.1336:
	s_cmp_eq_u32 s21, 15
	s_cbranch_scc0 .LBB331_1341
; %bb.1337:
	s_wait_loadcnt 0x0
	global_load_u16 v1, v[2:3], off
	s_mov_b32 s22, 0
	s_mov_b32 s24, -1
	s_wait_loadcnt 0x0
	v_lshlrev_b32_e32 v1, 16, v1
	s_delay_alu instid0(VALU_DEP_1)
	v_cvt_u32_f32_e32 v4, v1
	s_branch .LBB331_1343
.LBB331_1338:
	s_mov_b32 s23, -1
	s_branch .LBB331_1342
.LBB331_1339:
	s_and_not1_saveexec_b32 s23, s23
	s_cbranch_execz .LBB331_1320
.LBB331_1340:
	v_cmp_ne_u16_e32 vcc_lo, 0, v1
	s_and_not1_b32 s24, s24, exec_lo
	s_and_b32 s25, vcc_lo, exec_lo
	s_delay_alu instid0(SALU_CYCLE_1)
	s_or_b32 s24, s24, s25
	s_or_b32 exec_lo, exec_lo, s23
	v_mov_b32_e32 v4, 0
	s_and_saveexec_b32 s23, s24
	s_cbranch_execnz .LBB331_1321
	s_branch .LBB331_1322
.LBB331_1341:
	s_mov_b32 s22, -1
.LBB331_1342:
                                        ; implicit-def: $vgpr4
.LBB331_1343:
	s_and_b32 vcc_lo, exec_lo, s23
	s_mov_b32 s23, 0
	s_cbranch_vccz .LBB331_1345
; %bb.1344:
	s_cmp_lg_u32 s21, 11
	s_mov_b32 s23, -1
	s_cselect_b32 s21, -1, 0
	s_and_not1_b32 s22, s22, exec_lo
	s_and_b32 s21, s21, exec_lo
	s_delay_alu instid0(SALU_CYCLE_1)
	s_or_b32 s22, s22, s21
.LBB331_1345:
	s_mov_b32 s21, 0
.LBB331_1346:
	s_and_not1_b32 s19, s19, exec_lo
	s_and_b32 s25, s22, exec_lo
	s_and_b32 s24, s24, exec_lo
	;; [unrolled: 1-line block ×4, first 2 shown]
	s_or_b32 s19, s19, s25
	s_wait_xcnt 0x0
	s_or_b32 exec_lo, exec_lo, s20
	s_and_saveexec_b32 s20, s19
	s_cbranch_execz .LBB331_1279
.LBB331_1347:
	s_or_b32 s17, s17, exec_lo
	s_and_not1_b32 s22, s22, exec_lo
	s_trap 2
	s_or_b32 exec_lo, exec_lo, s20
	s_and_saveexec_b32 s19, s22
	s_delay_alu instid0(SALU_CYCLE_1)
	s_xor_b32 s19, exec_lo, s19
	s_cbranch_execnz .LBB331_1280
.LBB331_1348:
	s_or_b32 exec_lo, exec_lo, s19
	s_and_saveexec_b32 s19, s21
	s_cbranch_execz .LBB331_1394
.LBB331_1349:
	s_sext_i32_i16 s20, s0
	s_delay_alu instid0(SALU_CYCLE_1)
	s_cmp_lt_i32 s20, 5
	s_cbranch_scc1 .LBB331_1354
; %bb.1350:
	s_cmp_lt_i32 s20, 8
	s_cbranch_scc1 .LBB331_1355
; %bb.1351:
	;; [unrolled: 3-line block ×3, first 2 shown]
	s_cmp_gt_i32 s20, 9
	s_cbranch_scc0 .LBB331_1357
; %bb.1353:
	s_wait_loadcnt 0x0
	global_load_b64 v[4:5], v[2:3], off
	s_mov_b32 s20, 0
	s_wait_loadcnt 0x0
	v_cvt_u32_f64_e32 v4, v[4:5]
	s_branch .LBB331_1358
.LBB331_1354:
                                        ; implicit-def: $vgpr4
	s_branch .LBB331_1375
.LBB331_1355:
                                        ; implicit-def: $vgpr4
	s_branch .LBB331_1364
.LBB331_1356:
	s_mov_b32 s20, -1
                                        ; implicit-def: $vgpr4
	s_branch .LBB331_1361
.LBB331_1357:
	s_mov_b32 s20, -1
                                        ; implicit-def: $vgpr4
.LBB331_1358:
	s_delay_alu instid0(SALU_CYCLE_1)
	s_and_not1_b32 vcc_lo, exec_lo, s20
	s_cbranch_vccnz .LBB331_1360
; %bb.1359:
	s_wait_loadcnt 0x0
	global_load_b32 v1, v[2:3], off
	s_wait_loadcnt 0x0
	v_cvt_u32_f32_e32 v4, v1
.LBB331_1360:
	s_mov_b32 s20, 0
.LBB331_1361:
	s_delay_alu instid0(SALU_CYCLE_1)
	s_and_not1_b32 vcc_lo, exec_lo, s20
	s_cbranch_vccnz .LBB331_1363
; %bb.1362:
	s_wait_loadcnt 0x0
	global_load_b32 v1, v[2:3], off
	s_wait_loadcnt 0x0
	v_cvt_u16_f16_e32 v4, v1
.LBB331_1363:
	s_cbranch_execnz .LBB331_1374
.LBB331_1364:
	s_sext_i32_i16 s20, s0
	s_delay_alu instid0(SALU_CYCLE_1)
	s_cmp_lt_i32 s20, 6
	s_cbranch_scc1 .LBB331_1367
; %bb.1365:
	s_cmp_gt_i32 s20, 6
	s_cbranch_scc0 .LBB331_1368
; %bb.1366:
	s_wait_loadcnt 0x0
	global_load_b64 v[4:5], v[2:3], off
	s_mov_b32 s20, 0
	s_wait_loadcnt 0x0
	v_cvt_u32_f64_e32 v4, v[4:5]
	s_branch .LBB331_1369
.LBB331_1367:
	s_mov_b32 s20, -1
                                        ; implicit-def: $vgpr4
	s_branch .LBB331_1372
.LBB331_1368:
	s_mov_b32 s20, -1
                                        ; implicit-def: $vgpr4
.LBB331_1369:
	s_delay_alu instid0(SALU_CYCLE_1)
	s_and_not1_b32 vcc_lo, exec_lo, s20
	s_cbranch_vccnz .LBB331_1371
; %bb.1370:
	s_wait_loadcnt 0x0
	global_load_b32 v1, v[2:3], off
	s_wait_loadcnt 0x0
	v_cvt_u32_f32_e32 v4, v1
.LBB331_1371:
	s_mov_b32 s20, 0
.LBB331_1372:
	s_delay_alu instid0(SALU_CYCLE_1)
	s_and_not1_b32 vcc_lo, exec_lo, s20
	s_cbranch_vccnz .LBB331_1374
; %bb.1373:
	s_wait_loadcnt 0x0
	global_load_u16 v1, v[2:3], off
	s_wait_loadcnt 0x0
	v_cvt_u16_f16_e32 v4, v1
.LBB331_1374:
	s_cbranch_execnz .LBB331_1393
.LBB331_1375:
	s_sext_i32_i16 s20, s0
	s_delay_alu instid0(SALU_CYCLE_1)
	s_cmp_lt_i32 s20, 2
	s_cbranch_scc1 .LBB331_1379
; %bb.1376:
	s_cmp_lt_i32 s20, 3
	s_cbranch_scc1 .LBB331_1380
; %bb.1377:
	s_cmp_gt_i32 s20, 3
	s_cbranch_scc0 .LBB331_1381
; %bb.1378:
	s_wait_loadcnt 0x0
	global_load_b64 v[4:5], v[2:3], off
	s_mov_b32 s20, 0
	s_branch .LBB331_1382
.LBB331_1379:
                                        ; implicit-def: $vgpr4
	s_branch .LBB331_1388
.LBB331_1380:
	s_mov_b32 s20, -1
                                        ; implicit-def: $vgpr4
	s_branch .LBB331_1385
.LBB331_1381:
	s_mov_b32 s20, -1
                                        ; implicit-def: $vgpr4
.LBB331_1382:
	s_delay_alu instid0(SALU_CYCLE_1)
	s_and_not1_b32 vcc_lo, exec_lo, s20
	s_cbranch_vccnz .LBB331_1384
; %bb.1383:
	s_wait_loadcnt 0x0
	global_load_b32 v4, v[2:3], off
.LBB331_1384:
	s_mov_b32 s20, 0
.LBB331_1385:
	s_delay_alu instid0(SALU_CYCLE_1)
	s_and_not1_b32 vcc_lo, exec_lo, s20
	s_cbranch_vccnz .LBB331_1387
; %bb.1386:
	s_wait_loadcnt 0x0
	global_load_u16 v4, v[2:3], off
.LBB331_1387:
	s_cbranch_execnz .LBB331_1393
.LBB331_1388:
	s_sext_i32_i16 s0, s0
	s_delay_alu instid0(SALU_CYCLE_1)
	s_cmp_gt_i32 s0, 0
	s_mov_b32 s0, 0
	s_cbranch_scc0 .LBB331_1390
; %bb.1389:
	s_wait_loadcnt 0x0
	global_load_i8 v4, v[2:3], off
	s_branch .LBB331_1391
.LBB331_1390:
	s_mov_b32 s0, -1
                                        ; implicit-def: $vgpr4
.LBB331_1391:
	s_delay_alu instid0(SALU_CYCLE_1)
	s_and_not1_b32 vcc_lo, exec_lo, s0
	s_cbranch_vccnz .LBB331_1393
; %bb.1392:
	s_wait_loadcnt 0x0
	global_load_u8 v4, v[2:3], off
.LBB331_1393:
	s_or_b32 s24, s24, exec_lo
.LBB331_1394:
	s_wait_xcnt 0x0
	s_or_b32 exec_lo, exec_lo, s19
	s_mov_b32 s0, 0
	s_mov_b32 s22, 0
                                        ; implicit-def: $sgpr19
                                        ; implicit-def: $sgpr20
                                        ; implicit-def: $vgpr2_vgpr3
	s_and_saveexec_b32 s21, s24
	s_cbranch_execz .LBB331_1402
; %bb.1395:
	v_mul_lo_u32 v2, v18, s8
	s_wait_loadcnt 0x0
	s_delay_alu instid0(VALU_DEP_2) | instskip(SKIP_3) | instid1(VALU_DEP_2)
	v_cmp_ne_u16_e32 vcc_lo, v0, v4
	s_and_b32 s20, s12, 0xff
	s_xor_b32 s19, s16, vcc_lo
	s_cmp_lt_i32 s20, 11
	v_ashrrev_i32_e32 v3, 31, v2
	s_delay_alu instid0(VALU_DEP_1)
	v_add_nc_u64_e32 v[2:3], s[4:5], v[2:3]
	s_cbranch_scc1 .LBB331_1405
; %bb.1396:
	s_and_b32 s16, 0xffff, s20
	s_mov_b32 s22, -1
	s_cmp_gt_i32 s16, 25
	s_mov_b32 s0, s18
	s_cbranch_scc0 .LBB331_1433
; %bb.1397:
	s_cmp_gt_i32 s16, 28
	s_mov_b32 s0, s18
	s_cbranch_scc0 .LBB331_1417
; %bb.1398:
	;; [unrolled: 4-line block ×4, first 2 shown]
	s_cmp_eq_u32 s16, 46
	s_mov_b32 s0, -1
	s_cbranch_scc0 .LBB331_1406
; %bb.1401:
	v_cndmask_b32_e64 v0, 0, 1.0, s19
	s_mov_b32 s0, 0
	s_mov_b32 s22, 0
	s_delay_alu instid0(VALU_DEP_1) | instskip(NEXT) | instid1(VALU_DEP_1)
	v_bfe_u32 v1, v0, 16, 1
	v_add3_u32 v0, v0, v1, 0x7fff
	s_delay_alu instid0(VALU_DEP_1)
	v_lshrrev_b32_e32 v0, 16, v0
	global_store_b32 v[2:3], v0, off
	s_branch .LBB331_1407
.LBB331_1402:
	s_or_b32 exec_lo, exec_lo, s21
	s_and_saveexec_b32 s16, s18
	s_cbranch_execnz .LBB331_1475
.LBB331_1403:
	s_or_b32 exec_lo, exec_lo, s16
	s_and_saveexec_b32 s16, s0
	s_delay_alu instid0(SALU_CYCLE_1)
	s_xor_b32 s0, exec_lo, s16
	s_cbranch_execz .LBB331_1476
.LBB331_1404:
	s_wait_loadcnt 0x0
	v_cndmask_b32_e64 v0, 0, 1, s19
	global_store_b8 v[2:3], v0, off
	s_wait_xcnt 0x0
	s_or_b32 exec_lo, exec_lo, s0
	s_and_saveexec_b32 s0, s22
	s_delay_alu instid0(SALU_CYCLE_1)
	s_xor_b32 s0, exec_lo, s0
	s_cbranch_execz .LBB331_1514
	s_branch .LBB331_1477
.LBB331_1405:
	s_mov_b32 s23, 0
	s_mov_b32 s22, -1
	s_mov_b32 s0, s18
	s_branch .LBB331_1474
.LBB331_1406:
	s_mov_b32 s22, 0
.LBB331_1407:
	s_delay_alu instid0(SALU_CYCLE_1)
	s_and_b32 vcc_lo, exec_lo, s22
	s_cbranch_vccz .LBB331_1412
; %bb.1408:
	s_cmp_eq_u32 s16, 44
	s_mov_b32 s0, -1
	s_cbranch_scc0 .LBB331_1412
; %bb.1409:
	v_cndmask_b32_e64 v4, 0, 1.0, s19
	s_mov_b32 s22, exec_lo
	s_wait_xcnt 0x0
	s_delay_alu instid0(VALU_DEP_1) | instskip(NEXT) | instid1(VALU_DEP_1)
	v_dual_mov_b32 v1, 0xff :: v_dual_lshrrev_b32 v0, 23, v4
	v_cmpx_ne_u32_e32 0xff, v0
; %bb.1410:
	v_and_b32_e32 v1, 0x400000, v4
	v_and_or_b32 v4, 0x3fffff, v4, v0
	s_delay_alu instid0(VALU_DEP_2) | instskip(NEXT) | instid1(VALU_DEP_2)
	v_cmp_ne_u32_e32 vcc_lo, 0, v1
	v_cmp_ne_u32_e64 s0, 0, v4
	s_and_b32 s0, vcc_lo, s0
	s_delay_alu instid0(SALU_CYCLE_1) | instskip(NEXT) | instid1(VALU_DEP_1)
	v_cndmask_b32_e64 v1, 0, 1, s0
	v_add_nc_u32_e32 v1, v0, v1
; %bb.1411:
	s_or_b32 exec_lo, exec_lo, s22
	s_mov_b32 s0, 0
	global_store_b8 v[2:3], v1, off
.LBB331_1412:
	s_mov_b32 s22, 0
.LBB331_1413:
	s_delay_alu instid0(SALU_CYCLE_1)
	s_and_b32 vcc_lo, exec_lo, s22
	s_cbranch_vccz .LBB331_1416
; %bb.1414:
	s_cmp_eq_u32 s16, 29
	s_mov_b32 s0, -1
	s_cbranch_scc0 .LBB331_1416
; %bb.1415:
	s_mov_b32 s0, 0
	s_wait_xcnt 0x0
	v_cndmask_b32_e64 v0, 0, 1, s19
	v_mov_b32_e32 v1, s0
	s_mov_b32 s22, 0
	global_store_b64 v[2:3], v[0:1], off
	s_branch .LBB331_1417
.LBB331_1416:
	s_mov_b32 s22, 0
.LBB331_1417:
	s_delay_alu instid0(SALU_CYCLE_1)
	s_and_b32 vcc_lo, exec_lo, s22
	s_cbranch_vccz .LBB331_1432
; %bb.1418:
	s_cmp_lt_i32 s16, 27
	s_mov_b32 s22, -1
	s_cbranch_scc1 .LBB331_1424
; %bb.1419:
	s_wait_xcnt 0x0
	v_cndmask_b32_e64 v0, 0, 1, s19
	s_cmp_gt_i32 s16, 27
	s_cbranch_scc0 .LBB331_1421
; %bb.1420:
	s_mov_b32 s22, 0
	global_store_b32 v[2:3], v0, off
.LBB331_1421:
	s_and_not1_b32 vcc_lo, exec_lo, s22
	s_cbranch_vccnz .LBB331_1423
; %bb.1422:
	global_store_b16 v[2:3], v0, off
.LBB331_1423:
	s_mov_b32 s22, 0
.LBB331_1424:
	s_delay_alu instid0(SALU_CYCLE_1)
	s_and_not1_b32 vcc_lo, exec_lo, s22
	s_cbranch_vccnz .LBB331_1432
; %bb.1425:
	s_wait_xcnt 0x0
	v_cndmask_b32_e64 v1, 0, 1.0, s19
	v_mov_b32_e32 v4, 0x80
	s_mov_b32 s22, exec_lo
	s_delay_alu instid0(VALU_DEP_2)
	v_cmpx_gt_u32_e32 0x43800000, v1
	s_cbranch_execz .LBB331_1431
; %bb.1426:
	s_mov_b32 s23, 0
	s_mov_b32 s24, exec_lo
                                        ; implicit-def: $vgpr0
	v_cmpx_lt_u32_e32 0x3bffffff, v1
	s_xor_b32 s24, exec_lo, s24
	s_cbranch_execz .LBB331_1529
; %bb.1427:
	v_bfe_u32 v0, v1, 20, 1
	s_mov_b32 s23, exec_lo
	s_delay_alu instid0(VALU_DEP_1) | instskip(NEXT) | instid1(VALU_DEP_1)
	v_add3_u32 v0, v1, v0, 0x487ffff
                                        ; implicit-def: $vgpr1
	v_lshrrev_b32_e32 v0, 20, v0
	s_and_not1_saveexec_b32 s24, s24
	s_cbranch_execnz .LBB331_1530
.LBB331_1428:
	s_or_b32 exec_lo, exec_lo, s24
	v_mov_b32_e32 v4, 0
	s_and_saveexec_b32 s24, s23
.LBB331_1429:
	v_mov_b32_e32 v4, v0
.LBB331_1430:
	s_or_b32 exec_lo, exec_lo, s24
.LBB331_1431:
	s_delay_alu instid0(SALU_CYCLE_1)
	s_or_b32 exec_lo, exec_lo, s22
	global_store_b8 v[2:3], v4, off
.LBB331_1432:
	s_mov_b32 s22, 0
.LBB331_1433:
	s_delay_alu instid0(SALU_CYCLE_1)
	s_and_b32 vcc_lo, exec_lo, s22
	s_mov_b32 s22, 0
	s_cbranch_vccz .LBB331_1473
; %bb.1434:
	s_cmp_gt_i32 s16, 22
	s_mov_b32 s23, -1
	s_cbranch_scc0 .LBB331_1466
; %bb.1435:
	s_cmp_lt_i32 s16, 24
	s_cbranch_scc1 .LBB331_1455
; %bb.1436:
	s_cmp_gt_i32 s16, 24
	s_cbranch_scc0 .LBB331_1444
; %bb.1437:
	s_wait_xcnt 0x0
	v_cndmask_b32_e64 v1, 0, 1.0, s19
	v_mov_b32_e32 v4, 0x80
	s_mov_b32 s23, exec_lo
	s_delay_alu instid0(VALU_DEP_2)
	v_cmpx_gt_u32_e32 0x47800000, v1
	s_cbranch_execz .LBB331_1443
; %bb.1438:
	s_mov_b32 s24, 0
	s_mov_b32 s25, exec_lo
                                        ; implicit-def: $vgpr0
	v_cmpx_lt_u32_e32 0x37ffffff, v1
	s_xor_b32 s25, exec_lo, s25
	s_cbranch_execz .LBB331_1650
; %bb.1439:
	v_bfe_u32 v0, v1, 21, 1
	s_mov_b32 s24, exec_lo
	s_delay_alu instid0(VALU_DEP_1) | instskip(NEXT) | instid1(VALU_DEP_1)
	v_add3_u32 v0, v1, v0, 0x88fffff
                                        ; implicit-def: $vgpr1
	v_lshrrev_b32_e32 v0, 21, v0
	s_and_not1_saveexec_b32 s25, s25
	s_cbranch_execnz .LBB331_1651
.LBB331_1440:
	s_or_b32 exec_lo, exec_lo, s25
	v_mov_b32_e32 v4, 0
	s_and_saveexec_b32 s25, s24
.LBB331_1441:
	v_mov_b32_e32 v4, v0
.LBB331_1442:
	s_or_b32 exec_lo, exec_lo, s25
.LBB331_1443:
	s_delay_alu instid0(SALU_CYCLE_1)
	s_or_b32 exec_lo, exec_lo, s23
	s_mov_b32 s23, 0
	global_store_b8 v[2:3], v4, off
.LBB331_1444:
	s_and_b32 vcc_lo, exec_lo, s23
	s_cbranch_vccz .LBB331_1454
; %bb.1445:
	s_wait_xcnt 0x0
	v_cndmask_b32_e64 v1, 0, 1.0, s19
	s_mov_b32 s23, exec_lo
                                        ; implicit-def: $vgpr0
	s_delay_alu instid0(VALU_DEP_1)
	v_cmpx_gt_u32_e32 0x43f00000, v1
	s_xor_b32 s23, exec_lo, s23
	s_cbranch_execz .LBB331_1451
; %bb.1446:
	s_mov_b32 s24, exec_lo
                                        ; implicit-def: $vgpr0
	v_cmpx_lt_u32_e32 0x3c7fffff, v1
	s_xor_b32 s24, exec_lo, s24
; %bb.1447:
	v_bfe_u32 v0, v1, 20, 1
	s_delay_alu instid0(VALU_DEP_1) | instskip(NEXT) | instid1(VALU_DEP_1)
	v_add3_u32 v0, v1, v0, 0x407ffff
	v_and_b32_e32 v1, 0xff00000, v0
	v_lshrrev_b32_e32 v0, 20, v0
	s_delay_alu instid0(VALU_DEP_2) | instskip(NEXT) | instid1(VALU_DEP_2)
	v_cmp_ne_u32_e32 vcc_lo, 0x7f00000, v1
                                        ; implicit-def: $vgpr1
	v_cndmask_b32_e32 v0, 0x7e, v0, vcc_lo
; %bb.1448:
	s_and_not1_saveexec_b32 s24, s24
; %bb.1449:
	v_add_f32_e32 v0, 0x46800000, v1
; %bb.1450:
	s_or_b32 exec_lo, exec_lo, s24
                                        ; implicit-def: $vgpr1
.LBB331_1451:
	s_and_not1_saveexec_b32 s23, s23
; %bb.1452:
	v_mov_b32_e32 v0, 0x7f
	v_cmp_lt_u32_e32 vcc_lo, 0x7f800000, v1
	s_delay_alu instid0(VALU_DEP_2)
	v_cndmask_b32_e32 v0, 0x7e, v0, vcc_lo
; %bb.1453:
	s_or_b32 exec_lo, exec_lo, s23
	global_store_b8 v[2:3], v0, off
.LBB331_1454:
	s_mov_b32 s23, 0
.LBB331_1455:
	s_delay_alu instid0(SALU_CYCLE_1)
	s_and_not1_b32 vcc_lo, exec_lo, s23
	s_cbranch_vccnz .LBB331_1465
; %bb.1456:
	s_wait_xcnt 0x0
	v_cndmask_b32_e64 v1, 0, 1.0, s19
	s_mov_b32 s23, exec_lo
                                        ; implicit-def: $vgpr0
	s_delay_alu instid0(VALU_DEP_1)
	v_cmpx_gt_u32_e32 0x47800000, v1
	s_xor_b32 s23, exec_lo, s23
	s_cbranch_execz .LBB331_1462
; %bb.1457:
	s_mov_b32 s24, exec_lo
                                        ; implicit-def: $vgpr0
	v_cmpx_lt_u32_e32 0x387fffff, v1
	s_xor_b32 s24, exec_lo, s24
; %bb.1458:
	v_bfe_u32 v0, v1, 21, 1
	s_delay_alu instid0(VALU_DEP_1) | instskip(NEXT) | instid1(VALU_DEP_1)
	v_add3_u32 v0, v1, v0, 0x80fffff
                                        ; implicit-def: $vgpr1
	v_lshrrev_b32_e32 v0, 21, v0
; %bb.1459:
	s_and_not1_saveexec_b32 s24, s24
; %bb.1460:
	v_add_f32_e32 v0, 0x43000000, v1
; %bb.1461:
	s_or_b32 exec_lo, exec_lo, s24
                                        ; implicit-def: $vgpr1
.LBB331_1462:
	s_and_not1_saveexec_b32 s23, s23
; %bb.1463:
	v_mov_b32_e32 v0, 0x7f
	v_cmp_lt_u32_e32 vcc_lo, 0x7f800000, v1
	s_delay_alu instid0(VALU_DEP_2)
	v_cndmask_b32_e32 v0, 0x7c, v0, vcc_lo
; %bb.1464:
	s_or_b32 exec_lo, exec_lo, s23
	global_store_b8 v[2:3], v0, off
.LBB331_1465:
	s_mov_b32 s23, 0
.LBB331_1466:
	s_delay_alu instid0(SALU_CYCLE_1)
	s_and_not1_b32 vcc_lo, exec_lo, s23
	s_mov_b32 s23, 0
	s_cbranch_vccnz .LBB331_1474
; %bb.1467:
	s_cmp_gt_i32 s16, 14
	s_mov_b32 s23, -1
	s_cbranch_scc0 .LBB331_1471
; %bb.1468:
	s_cmp_eq_u32 s16, 15
	s_mov_b32 s0, -1
	s_cbranch_scc0 .LBB331_1470
; %bb.1469:
	s_wait_xcnt 0x0
	v_cndmask_b32_e64 v0, 0, 1.0, s19
	s_mov_b32 s0, 0
	s_delay_alu instid0(VALU_DEP_1) | instskip(NEXT) | instid1(VALU_DEP_1)
	v_bfe_u32 v1, v0, 16, 1
	v_add3_u32 v0, v0, v1, 0x7fff
	global_store_d16_hi_b16 v[2:3], v0, off
.LBB331_1470:
	s_mov_b32 s23, 0
.LBB331_1471:
	s_delay_alu instid0(SALU_CYCLE_1)
	s_and_b32 vcc_lo, exec_lo, s23
	s_mov_b32 s23, 0
	s_cbranch_vccz .LBB331_1474
; %bb.1472:
	s_cmp_lg_u32 s16, 11
	s_mov_b32 s23, -1
	s_cselect_b32 s16, -1, 0
	s_and_not1_b32 s0, s0, exec_lo
	s_and_b32 s16, s16, exec_lo
	s_delay_alu instid0(SALU_CYCLE_1)
	s_or_b32 s0, s0, s16
	s_branch .LBB331_1474
.LBB331_1473:
	s_mov_b32 s23, 0
.LBB331_1474:
	s_and_not1_b32 s16, s18, exec_lo
	s_and_b32 s18, s0, exec_lo
	s_and_b32 s22, s22, exec_lo
	;; [unrolled: 1-line block ×3, first 2 shown]
	s_or_b32 s18, s16, s18
	s_wait_xcnt 0x0
	s_or_b32 exec_lo, exec_lo, s21
	s_and_saveexec_b32 s16, s18
	s_cbranch_execz .LBB331_1403
.LBB331_1475:
	s_or_b32 s17, s17, exec_lo
	s_and_not1_b32 s0, s0, exec_lo
	s_trap 2
	s_or_b32 exec_lo, exec_lo, s16
	s_and_saveexec_b32 s16, s0
	s_delay_alu instid0(SALU_CYCLE_1)
	s_xor_b32 s0, exec_lo, s16
	s_cbranch_execnz .LBB331_1404
.LBB331_1476:
	s_or_b32 exec_lo, exec_lo, s0
	s_and_saveexec_b32 s0, s22
	s_delay_alu instid0(SALU_CYCLE_1)
	s_xor_b32 s0, exec_lo, s0
	s_cbranch_execz .LBB331_1514
.LBB331_1477:
	s_sext_i32_i16 s18, s20
	s_mov_b32 s16, -1
	s_cmp_lt_i32 s18, 5
	s_cbranch_scc1 .LBB331_1498
; %bb.1478:
	s_cmp_lt_i32 s18, 8
	s_cbranch_scc1 .LBB331_1488
; %bb.1479:
	;; [unrolled: 3-line block ×3, first 2 shown]
	s_cmp_gt_i32 s18, 9
	s_cbranch_scc0 .LBB331_1482
; %bb.1481:
	s_wait_loadcnt 0x0
	v_cndmask_b32_e64 v0, 0, 1, s19
	v_mov_b32_e32 v6, 0
	s_mov_b32 s16, 0
	s_delay_alu instid0(VALU_DEP_2) | instskip(NEXT) | instid1(VALU_DEP_2)
	v_cvt_f64_u32_e32 v[4:5], v0
	v_mov_b32_e32 v7, v6
	global_store_b128 v[2:3], v[4:7], off
.LBB331_1482:
	s_and_not1_b32 vcc_lo, exec_lo, s16
	s_cbranch_vccnz .LBB331_1484
; %bb.1483:
	s_wait_loadcnt 0x0
	v_cndmask_b32_e64 v0, 0, 1.0, s19
	v_mov_b32_e32 v1, 0
	global_store_b64 v[2:3], v[0:1], off
.LBB331_1484:
	s_mov_b32 s16, 0
.LBB331_1485:
	s_delay_alu instid0(SALU_CYCLE_1)
	s_and_not1_b32 vcc_lo, exec_lo, s16
	s_cbranch_vccnz .LBB331_1487
; %bb.1486:
	s_wait_loadcnt 0x0
	v_cndmask_b32_e64 v0, 0, 1.0, s19
	s_delay_alu instid0(VALU_DEP_1) | instskip(NEXT) | instid1(VALU_DEP_1)
	v_cvt_f16_f32_e32 v0, v0
	v_and_b32_e32 v0, 0xffff, v0
	global_store_b32 v[2:3], v0, off
.LBB331_1487:
	s_mov_b32 s16, 0
.LBB331_1488:
	s_delay_alu instid0(SALU_CYCLE_1)
	s_and_not1_b32 vcc_lo, exec_lo, s16
	s_cbranch_vccnz .LBB331_1497
; %bb.1489:
	s_sext_i32_i16 s18, s20
	s_mov_b32 s16, -1
	s_cmp_lt_i32 s18, 6
	s_cbranch_scc1 .LBB331_1495
; %bb.1490:
	s_cmp_gt_i32 s18, 6
	s_cbranch_scc0 .LBB331_1492
; %bb.1491:
	s_wait_loadcnt 0x0
	v_cndmask_b32_e64 v0, 0, 1, s19
	s_mov_b32 s16, 0
	s_delay_alu instid0(VALU_DEP_1)
	v_cvt_f64_u32_e32 v[0:1], v0
	global_store_b64 v[2:3], v[0:1], off
.LBB331_1492:
	s_and_not1_b32 vcc_lo, exec_lo, s16
	s_cbranch_vccnz .LBB331_1494
; %bb.1493:
	s_wait_loadcnt 0x0
	v_cndmask_b32_e64 v0, 0, 1.0, s19
	global_store_b32 v[2:3], v0, off
.LBB331_1494:
	s_mov_b32 s16, 0
.LBB331_1495:
	s_delay_alu instid0(SALU_CYCLE_1)
	s_and_not1_b32 vcc_lo, exec_lo, s16
	s_cbranch_vccnz .LBB331_1497
; %bb.1496:
	s_wait_loadcnt 0x0
	v_cndmask_b32_e64 v0, 0, 1.0, s19
	s_delay_alu instid0(VALU_DEP_1)
	v_cvt_f16_f32_e32 v0, v0
	global_store_b16 v[2:3], v0, off
.LBB331_1497:
	s_mov_b32 s16, 0
.LBB331_1498:
	s_delay_alu instid0(SALU_CYCLE_1)
	s_and_not1_b32 vcc_lo, exec_lo, s16
	s_cbranch_vccnz .LBB331_1514
; %bb.1499:
	s_sext_i32_i16 s18, s20
	s_mov_b32 s16, -1
	s_cmp_lt_i32 s18, 2
	s_cbranch_scc1 .LBB331_1509
; %bb.1500:
	s_cmp_lt_i32 s18, 3
	s_cbranch_scc1 .LBB331_1506
; %bb.1501:
	s_cmp_gt_i32 s18, 3
	s_cbranch_scc0 .LBB331_1503
; %bb.1502:
	s_mov_b32 s16, 0
	s_wait_loadcnt 0x0
	v_cndmask_b32_e64 v0, 0, 1, s19
	v_mov_b32_e32 v1, s16
	global_store_b64 v[2:3], v[0:1], off
.LBB331_1503:
	s_and_not1_b32 vcc_lo, exec_lo, s16
	s_cbranch_vccnz .LBB331_1505
; %bb.1504:
	s_wait_loadcnt 0x0
	v_cndmask_b32_e64 v0, 0, 1, s19
	global_store_b32 v[2:3], v0, off
.LBB331_1505:
	s_mov_b32 s16, 0
.LBB331_1506:
	s_delay_alu instid0(SALU_CYCLE_1)
	s_and_not1_b32 vcc_lo, exec_lo, s16
	s_cbranch_vccnz .LBB331_1508
; %bb.1507:
	s_wait_loadcnt 0x0
	v_cndmask_b32_e64 v0, 0, 1, s19
	global_store_b16 v[2:3], v0, off
.LBB331_1508:
	s_mov_b32 s16, 0
.LBB331_1509:
	s_delay_alu instid0(SALU_CYCLE_1)
	s_and_not1_b32 vcc_lo, exec_lo, s16
	s_cbranch_vccnz .LBB331_1514
; %bb.1510:
	s_wait_loadcnt 0x0
	v_cndmask_b32_e64 v0, 0, 1, s19
	s_sext_i32_i16 s16, s20
	s_delay_alu instid0(SALU_CYCLE_1)
	s_cmp_gt_i32 s16, 0
	s_mov_b32 s16, -1
	s_cbranch_scc0 .LBB331_1512
; %bb.1511:
	s_mov_b32 s16, 0
	global_store_b8 v[2:3], v0, off
.LBB331_1512:
	s_and_not1_b32 vcc_lo, exec_lo, s16
	s_cbranch_vccnz .LBB331_1514
; %bb.1513:
	global_store_b8 v[2:3], v0, off
.LBB331_1514:
	s_wait_xcnt 0x0
	s_or_b32 exec_lo, exec_lo, s0
	s_delay_alu instid0(SALU_CYCLE_1)
	s_and_b32 s16, s17, exec_lo
                                        ; implicit-def: $vgpr18
.LBB331_1515:
	s_or_saveexec_b32 s15, s15
	s_mov_b32 s0, 0
                                        ; implicit-def: $sgpr18
                                        ; implicit-def: $sgpr17
                                        ; implicit-def: $vgpr0_vgpr1
	s_xor_b32 exec_lo, exec_lo, s15
	s_cbranch_execz .LBB331_2959
; %bb.1516:
	v_mul_lo_u32 v2, s9, v18
	s_and_b32 s0, s14, 0xff
	s_delay_alu instid0(SALU_CYCLE_1) | instskip(NEXT) | instid1(VALU_DEP_1)
	s_cmp_lt_i32 s0, 11
	v_ashrrev_i32_e32 v3, 31, v2
	s_wait_loadcnt 0x0
	s_delay_alu instid0(VALU_DEP_1)
	v_add_nc_u64_e32 v[4:5], s[6:7], v[2:3]
	s_cbranch_scc1 .LBB331_1523
; %bb.1517:
	s_and_b32 s13, 0xffff, s0
	s_mov_b32 s17, 0
	s_cmp_gt_i32 s13, 25
	s_cbranch_scc0 .LBB331_1525
; %bb.1518:
	s_cmp_gt_i32 s13, 28
	s_cbranch_scc0 .LBB331_1526
; %bb.1519:
	;; [unrolled: 3-line block ×4, first 2 shown]
	s_cmp_eq_u32 s13, 46
	s_mov_b32 s19, 0
	s_cbranch_scc0 .LBB331_1531
; %bb.1522:
	global_load_b32 v0, v[4:5], off
	s_mov_b32 s14, 0
	s_mov_b32 s18, -1
	s_wait_loadcnt 0x0
	v_lshlrev_b32_e32 v0, 16, v0
	s_delay_alu instid0(VALU_DEP_1)
	v_cvt_u32_f32_e32 v0, v0
	s_branch .LBB331_1533
.LBB331_1523:
	s_mov_b32 s18, 0
	s_mov_b32 s13, s16
                                        ; implicit-def: $vgpr0
	s_cbranch_execnz .LBB331_1591
.LBB331_1524:
	s_and_not1_b32 vcc_lo, exec_lo, s18
	s_cbranch_vccz .LBB331_1636
	s_branch .LBB331_2957
.LBB331_1525:
	s_mov_b32 s18, 0
	s_mov_b32 s14, 0
                                        ; implicit-def: $vgpr0
	s_cbranch_execnz .LBB331_1558
	s_branch .LBB331_1587
.LBB331_1526:
	s_mov_b32 s18, 0
	s_mov_b32 s14, 0
                                        ; implicit-def: $vgpr0
	s_cbranch_execz .LBB331_1557
	s_branch .LBB331_1542
.LBB331_1527:
	s_mov_b32 s18, 0
	s_mov_b32 s14, 0
                                        ; implicit-def: $vgpr0
	s_cbranch_execnz .LBB331_1538
	s_branch .LBB331_1541
.LBB331_1528:
	s_mov_b32 s19, -1
	s_mov_b32 s18, 0
	s_mov_b32 s14, 0
	s_branch .LBB331_1532
.LBB331_1529:
	s_and_not1_saveexec_b32 s24, s24
	s_cbranch_execz .LBB331_1428
.LBB331_1530:
	v_add_f32_e32 v0, 0x46000000, v1
	s_and_not1_b32 s23, s23, exec_lo
	s_delay_alu instid0(VALU_DEP_1) | instskip(NEXT) | instid1(VALU_DEP_1)
	v_and_b32_e32 v0, 0xff, v0
	v_cmp_ne_u32_e32 vcc_lo, 0, v0
	s_and_b32 s25, vcc_lo, exec_lo
	s_delay_alu instid0(SALU_CYCLE_1)
	s_or_b32 s23, s23, s25
	s_or_b32 exec_lo, exec_lo, s24
	v_mov_b32_e32 v4, 0
	s_and_saveexec_b32 s24, s23
	s_cbranch_execnz .LBB331_1429
	s_branch .LBB331_1430
.LBB331_1531:
	s_mov_b32 s14, -1
	s_mov_b32 s18, 0
.LBB331_1532:
                                        ; implicit-def: $vgpr0
.LBB331_1533:
	s_and_b32 vcc_lo, exec_lo, s19
	s_cbranch_vccz .LBB331_1536
; %bb.1534:
	s_cmp_eq_u32 s13, 44
	s_cbranch_scc0 .LBB331_1537
; %bb.1535:
	global_load_u8 v0, v[4:5], off
	s_mov_b32 s14, 0
	s_mov_b32 s18, -1
	s_wait_loadcnt 0x0
	v_lshlrev_b32_e32 v1, 23, v0
	v_cmp_ne_u32_e32 vcc_lo, 0, v0
	s_delay_alu instid0(VALU_DEP_2) | instskip(NEXT) | instid1(VALU_DEP_1)
	v_cvt_u32_f32_e32 v1, v1
	v_cndmask_b32_e32 v0, 0, v1, vcc_lo
.LBB331_1536:
	s_branch .LBB331_1541
.LBB331_1537:
	s_mov_b32 s14, -1
                                        ; implicit-def: $vgpr0
	s_branch .LBB331_1541
.LBB331_1538:
	s_cmp_eq_u32 s13, 29
	s_cbranch_scc0 .LBB331_1540
; %bb.1539:
	global_load_b64 v[0:1], v[4:5], off
	s_mov_b32 s14, 0
	s_mov_b32 s18, -1
	s_branch .LBB331_1541
.LBB331_1540:
	s_mov_b32 s14, -1
                                        ; implicit-def: $vgpr0
.LBB331_1541:
	s_branch .LBB331_1557
.LBB331_1542:
	s_cmp_lt_i32 s13, 27
	s_cbranch_scc1 .LBB331_1545
; %bb.1543:
	s_cmp_gt_i32 s13, 27
	s_cbranch_scc0 .LBB331_1546
; %bb.1544:
	s_wait_loadcnt 0x0
	global_load_b32 v0, v[4:5], off
	s_mov_b32 s18, 0
	s_branch .LBB331_1547
.LBB331_1545:
	s_mov_b32 s18, -1
                                        ; implicit-def: $vgpr0
	s_branch .LBB331_1550
.LBB331_1546:
	s_mov_b32 s18, -1
                                        ; implicit-def: $vgpr0
.LBB331_1547:
	s_delay_alu instid0(SALU_CYCLE_1)
	s_and_not1_b32 vcc_lo, exec_lo, s18
	s_cbranch_vccnz .LBB331_1549
; %bb.1548:
	s_wait_loadcnt 0x0
	global_load_u16 v0, v[4:5], off
.LBB331_1549:
	s_mov_b32 s18, 0
.LBB331_1550:
	s_delay_alu instid0(SALU_CYCLE_1)
	s_and_not1_b32 vcc_lo, exec_lo, s18
	s_cbranch_vccnz .LBB331_1556
; %bb.1551:
	s_wait_loadcnt 0x0
	global_load_u8 v1, v[4:5], off
	s_mov_b32 s19, 0
	s_mov_b32 s18, exec_lo
	s_wait_loadcnt 0x0
	v_cmpx_lt_i16_e32 0x7f, v1
	s_xor_b32 s18, exec_lo, s18
	s_cbranch_execz .LBB331_1567
; %bb.1552:
	v_cmp_ne_u16_e32 vcc_lo, 0x80, v1
	s_and_b32 s19, vcc_lo, exec_lo
	s_and_not1_saveexec_b32 s18, s18
	s_cbranch_execnz .LBB331_1568
.LBB331_1553:
	s_or_b32 exec_lo, exec_lo, s18
	v_mov_b32_e32 v0, 0
	s_and_saveexec_b32 s18, s19
	s_cbranch_execz .LBB331_1555
.LBB331_1554:
	v_and_b32_e32 v0, 0xffff, v1
	s_delay_alu instid0(VALU_DEP_1) | instskip(SKIP_1) | instid1(VALU_DEP_2)
	v_and_b32_e32 v3, 7, v0
	v_bfe_u32 v8, v0, 3, 4
	v_clz_i32_u32_e32 v6, v3
	s_delay_alu instid0(VALU_DEP_2) | instskip(NEXT) | instid1(VALU_DEP_2)
	v_cmp_eq_u32_e32 vcc_lo, 0, v8
	v_min_u32_e32 v6, 32, v6
	s_delay_alu instid0(VALU_DEP_1) | instskip(NEXT) | instid1(VALU_DEP_1)
	v_subrev_nc_u32_e32 v7, 28, v6
	v_dual_lshlrev_b32 v0, v7, v0 :: v_dual_sub_nc_u32 v6, 29, v6
	s_delay_alu instid0(VALU_DEP_1) | instskip(NEXT) | instid1(VALU_DEP_1)
	v_dual_lshlrev_b32 v1, 24, v1 :: v_dual_bitop2_b32 v0, 7, v0 bitop3:0x40
	v_dual_cndmask_b32 v6, v8, v6, vcc_lo :: v_dual_cndmask_b32 v0, v3, v0, vcc_lo
	s_delay_alu instid0(VALU_DEP_2) | instskip(NEXT) | instid1(VALU_DEP_2)
	v_and_b32_e32 v1, 0x80000000, v1
	v_lshl_add_u32 v3, v6, 23, 0x3b800000
	s_delay_alu instid0(VALU_DEP_3) | instskip(NEXT) | instid1(VALU_DEP_1)
	v_lshlrev_b32_e32 v0, 20, v0
	v_or3_b32 v0, v1, v3, v0
	s_delay_alu instid0(VALU_DEP_1)
	v_cvt_u32_f32_e32 v0, v0
.LBB331_1555:
	s_or_b32 exec_lo, exec_lo, s18
.LBB331_1556:
	s_mov_b32 s18, -1
.LBB331_1557:
	s_branch .LBB331_1587
.LBB331_1558:
	s_cmp_gt_i32 s13, 22
	s_cbranch_scc0 .LBB331_1566
; %bb.1559:
	s_cmp_lt_i32 s13, 24
	s_cbranch_scc1 .LBB331_1569
; %bb.1560:
	s_cmp_gt_i32 s13, 24
	s_cbranch_scc0 .LBB331_1570
; %bb.1561:
	s_wait_loadcnt 0x0
	global_load_u8 v1, v[4:5], off
	s_mov_b32 s18, 0
	s_mov_b32 s17, exec_lo
	s_wait_loadcnt 0x0
	v_cmpx_lt_i16_e32 0x7f, v1
	s_xor_b32 s17, exec_lo, s17
	s_cbranch_execz .LBB331_1581
; %bb.1562:
	v_cmp_ne_u16_e32 vcc_lo, 0x80, v1
	s_and_b32 s18, vcc_lo, exec_lo
	s_and_not1_saveexec_b32 s17, s17
	s_cbranch_execnz .LBB331_1582
.LBB331_1563:
	s_or_b32 exec_lo, exec_lo, s17
	v_mov_b32_e32 v0, 0
	s_and_saveexec_b32 s17, s18
	s_cbranch_execz .LBB331_1565
.LBB331_1564:
	v_and_b32_e32 v0, 0xffff, v1
	s_delay_alu instid0(VALU_DEP_1) | instskip(SKIP_1) | instid1(VALU_DEP_2)
	v_and_b32_e32 v3, 3, v0
	v_bfe_u32 v8, v0, 2, 5
	v_clz_i32_u32_e32 v6, v3
	s_delay_alu instid0(VALU_DEP_2) | instskip(NEXT) | instid1(VALU_DEP_2)
	v_cmp_eq_u32_e32 vcc_lo, 0, v8
	v_min_u32_e32 v6, 32, v6
	s_delay_alu instid0(VALU_DEP_1) | instskip(NEXT) | instid1(VALU_DEP_1)
	v_subrev_nc_u32_e32 v7, 29, v6
	v_dual_lshlrev_b32 v0, v7, v0 :: v_dual_sub_nc_u32 v6, 30, v6
	s_delay_alu instid0(VALU_DEP_1) | instskip(NEXT) | instid1(VALU_DEP_1)
	v_dual_lshlrev_b32 v1, 24, v1 :: v_dual_bitop2_b32 v0, 3, v0 bitop3:0x40
	v_dual_cndmask_b32 v6, v8, v6, vcc_lo :: v_dual_cndmask_b32 v0, v3, v0, vcc_lo
	s_delay_alu instid0(VALU_DEP_2) | instskip(NEXT) | instid1(VALU_DEP_2)
	v_and_b32_e32 v1, 0x80000000, v1
	v_lshl_add_u32 v3, v6, 23, 0x37800000
	s_delay_alu instid0(VALU_DEP_3) | instskip(NEXT) | instid1(VALU_DEP_1)
	v_lshlrev_b32_e32 v0, 21, v0
	v_or3_b32 v0, v1, v3, v0
	s_delay_alu instid0(VALU_DEP_1)
	v_cvt_u32_f32_e32 v0, v0
.LBB331_1565:
	s_or_b32 exec_lo, exec_lo, s17
	s_mov_b32 s17, 0
	s_branch .LBB331_1571
.LBB331_1566:
                                        ; implicit-def: $vgpr0
	s_mov_b32 s17, 0
	s_branch .LBB331_1577
.LBB331_1567:
	s_and_not1_saveexec_b32 s18, s18
	s_cbranch_execz .LBB331_1553
.LBB331_1568:
	v_cmp_ne_u16_e32 vcc_lo, 0, v1
	s_and_not1_b32 s19, s19, exec_lo
	s_and_b32 s20, vcc_lo, exec_lo
	s_delay_alu instid0(SALU_CYCLE_1)
	s_or_b32 s19, s19, s20
	s_or_b32 exec_lo, exec_lo, s18
	v_mov_b32_e32 v0, 0
	s_and_saveexec_b32 s18, s19
	s_cbranch_execnz .LBB331_1554
	s_branch .LBB331_1555
.LBB331_1569:
	s_mov_b32 s17, -1
                                        ; implicit-def: $vgpr0
	s_branch .LBB331_1574
.LBB331_1570:
	s_mov_b32 s17, -1
                                        ; implicit-def: $vgpr0
.LBB331_1571:
	s_delay_alu instid0(SALU_CYCLE_1)
	s_and_b32 vcc_lo, exec_lo, s17
	s_cbranch_vccz .LBB331_1573
; %bb.1572:
	s_wait_loadcnt 0x0
	global_load_u8 v0, v[4:5], off
	s_wait_loadcnt 0x0
	v_lshlrev_b32_e32 v0, 24, v0
	s_delay_alu instid0(VALU_DEP_1) | instskip(NEXT) | instid1(VALU_DEP_1)
	v_and_b32_e32 v1, 0x7f000000, v0
	v_clz_i32_u32_e32 v3, v1
	v_add_nc_u32_e32 v7, 0x1000000, v1
	v_cmp_ne_u32_e32 vcc_lo, 0, v1
	s_delay_alu instid0(VALU_DEP_3) | instskip(NEXT) | instid1(VALU_DEP_1)
	v_min_u32_e32 v3, 32, v3
	v_sub_nc_u32_e64 v3, v3, 4 clamp
	s_delay_alu instid0(VALU_DEP_1) | instskip(NEXT) | instid1(VALU_DEP_1)
	v_dual_lshlrev_b32 v6, v3, v1 :: v_dual_lshlrev_b32 v3, 23, v3
	v_lshrrev_b32_e32 v6, 4, v6
	s_delay_alu instid0(VALU_DEP_1) | instskip(SKIP_1) | instid1(VALU_DEP_2)
	v_sub_nc_u32_e32 v3, v6, v3
	v_ashrrev_i32_e32 v6, 8, v7
	v_add_nc_u32_e32 v3, 0x3c000000, v3
	s_delay_alu instid0(VALU_DEP_1) | instskip(NEXT) | instid1(VALU_DEP_1)
	v_and_or_b32 v3, 0x7f800000, v6, v3
	v_cndmask_b32_e32 v1, 0, v3, vcc_lo
	s_delay_alu instid0(VALU_DEP_1) | instskip(NEXT) | instid1(VALU_DEP_1)
	v_and_or_b32 v0, 0x80000000, v0, v1
	v_cvt_u32_f32_e32 v0, v0
.LBB331_1573:
	s_mov_b32 s17, 0
.LBB331_1574:
	s_delay_alu instid0(SALU_CYCLE_1)
	s_and_not1_b32 vcc_lo, exec_lo, s17
	s_cbranch_vccnz .LBB331_1576
; %bb.1575:
	s_wait_loadcnt 0x0
	global_load_u8 v0, v[4:5], off
	s_wait_loadcnt 0x0
	v_lshlrev_b32_e32 v1, 25, v0
	v_lshlrev_b16 v0, 8, v0
	s_delay_alu instid0(VALU_DEP_1) | instskip(SKIP_1) | instid1(VALU_DEP_2)
	v_and_or_b32 v6, 0x7f00, v0, 0.5
	v_bfe_i32 v0, v0, 0, 16
	v_dual_add_f32 v6, -0.5, v6 :: v_dual_lshrrev_b32 v3, 4, v1
	v_cmp_gt_u32_e32 vcc_lo, 0x8000000, v1
	s_delay_alu instid0(VALU_DEP_2) | instskip(NEXT) | instid1(VALU_DEP_1)
	v_or_b32_e32 v3, 0x70000000, v3
	v_mul_f32_e32 v3, 0x7800000, v3
	s_delay_alu instid0(VALU_DEP_1) | instskip(NEXT) | instid1(VALU_DEP_1)
	v_cndmask_b32_e32 v1, v3, v6, vcc_lo
	v_and_or_b32 v0, 0x80000000, v0, v1
	s_delay_alu instid0(VALU_DEP_1)
	v_cvt_u32_f32_e32 v0, v0
.LBB331_1576:
	s_mov_b32 s18, -1
	s_mov_b32 s17, 0
	s_cbranch_execnz .LBB331_1587
.LBB331_1577:
	s_cmp_gt_i32 s13, 14
	s_cbranch_scc0 .LBB331_1580
; %bb.1578:
	s_cmp_eq_u32 s13, 15
	s_cbranch_scc0 .LBB331_1583
; %bb.1579:
	s_wait_loadcnt 0x0
	global_load_u16 v0, v[4:5], off
	s_mov_b32 s14, 0
	s_mov_b32 s18, -1
	s_wait_loadcnt 0x0
	v_lshlrev_b32_e32 v0, 16, v0
	s_delay_alu instid0(VALU_DEP_1)
	v_cvt_u32_f32_e32 v0, v0
	s_branch .LBB331_1585
.LBB331_1580:
	s_mov_b32 s17, -1
	s_branch .LBB331_1584
.LBB331_1581:
	s_and_not1_saveexec_b32 s17, s17
	s_cbranch_execz .LBB331_1563
.LBB331_1582:
	v_cmp_ne_u16_e32 vcc_lo, 0, v1
	s_and_not1_b32 s18, s18, exec_lo
	s_and_b32 s19, vcc_lo, exec_lo
	s_delay_alu instid0(SALU_CYCLE_1)
	s_or_b32 s18, s18, s19
	s_or_b32 exec_lo, exec_lo, s17
	v_mov_b32_e32 v0, 0
	s_and_saveexec_b32 s17, s18
	s_cbranch_execnz .LBB331_1564
	s_branch .LBB331_1565
.LBB331_1583:
	s_mov_b32 s14, -1
.LBB331_1584:
                                        ; implicit-def: $vgpr0
.LBB331_1585:
	s_and_b32 vcc_lo, exec_lo, s17
	s_mov_b32 s17, 0
	s_cbranch_vccz .LBB331_1587
; %bb.1586:
	s_cmp_lg_u32 s13, 11
	s_mov_b32 s17, -1
	s_cselect_b32 s14, -1, 0
.LBB331_1587:
	s_delay_alu instid0(SALU_CYCLE_1)
	s_and_b32 vcc_lo, exec_lo, s14
	s_mov_b32 s13, s16
	s_cbranch_vccnz .LBB331_1648
; %bb.1588:
	s_and_not1_b32 vcc_lo, exec_lo, s17
	s_cbranch_vccnz .LBB331_1590
.LBB331_1589:
	s_wait_loadcnt 0x0
	global_load_u8 v0, v[4:5], off
	s_mov_b32 s18, -1
	s_wait_loadcnt 0x0
	v_cmp_ne_u16_e32 vcc_lo, 0, v0
	v_cndmask_b32_e64 v0, 0, 1, vcc_lo
.LBB331_1590:
	s_branch .LBB331_1524
.LBB331_1591:
	s_and_b32 s14, 0xffff, s0
	s_delay_alu instid0(SALU_CYCLE_1)
	s_cmp_lt_i32 s14, 5
	s_cbranch_scc1 .LBB331_1596
; %bb.1592:
	s_cmp_lt_i32 s14, 8
	s_cbranch_scc1 .LBB331_1597
; %bb.1593:
	;; [unrolled: 3-line block ×3, first 2 shown]
	s_cmp_gt_i32 s14, 9
	s_cbranch_scc0 .LBB331_1599
; %bb.1595:
	s_wait_loadcnt 0x0
	global_load_b64 v[0:1], v[4:5], off
	s_mov_b32 s17, 0
	s_wait_loadcnt 0x0
	v_cvt_u32_f64_e32 v0, v[0:1]
	s_branch .LBB331_1600
.LBB331_1596:
                                        ; implicit-def: $vgpr0
	s_branch .LBB331_1617
.LBB331_1597:
                                        ; implicit-def: $vgpr0
	s_branch .LBB331_1606
.LBB331_1598:
	s_mov_b32 s17, -1
                                        ; implicit-def: $vgpr0
	s_branch .LBB331_1603
.LBB331_1599:
	s_mov_b32 s17, -1
                                        ; implicit-def: $vgpr0
.LBB331_1600:
	s_delay_alu instid0(SALU_CYCLE_1)
	s_and_not1_b32 vcc_lo, exec_lo, s17
	s_cbranch_vccnz .LBB331_1602
; %bb.1601:
	s_wait_loadcnt 0x0
	global_load_b32 v0, v[4:5], off
	s_wait_loadcnt 0x0
	v_cvt_u32_f32_e32 v0, v0
.LBB331_1602:
	s_mov_b32 s17, 0
.LBB331_1603:
	s_delay_alu instid0(SALU_CYCLE_1)
	s_and_not1_b32 vcc_lo, exec_lo, s17
	s_cbranch_vccnz .LBB331_1605
; %bb.1604:
	s_wait_loadcnt 0x0
	global_load_b32 v0, v[4:5], off
	s_wait_loadcnt 0x0
	v_cvt_u16_f16_e32 v0, v0
.LBB331_1605:
	s_cbranch_execnz .LBB331_1616
.LBB331_1606:
	s_cmp_lt_i32 s14, 6
	s_cbranch_scc1 .LBB331_1609
; %bb.1607:
	s_cmp_gt_i32 s14, 6
	s_cbranch_scc0 .LBB331_1610
; %bb.1608:
	s_wait_loadcnt 0x0
	global_load_b64 v[0:1], v[4:5], off
	s_mov_b32 s17, 0
	s_wait_loadcnt 0x0
	v_cvt_u32_f64_e32 v0, v[0:1]
	s_branch .LBB331_1611
.LBB331_1609:
	s_mov_b32 s17, -1
                                        ; implicit-def: $vgpr0
	s_branch .LBB331_1614
.LBB331_1610:
	s_mov_b32 s17, -1
                                        ; implicit-def: $vgpr0
.LBB331_1611:
	s_delay_alu instid0(SALU_CYCLE_1)
	s_and_not1_b32 vcc_lo, exec_lo, s17
	s_cbranch_vccnz .LBB331_1613
; %bb.1612:
	s_wait_loadcnt 0x0
	global_load_b32 v0, v[4:5], off
	s_wait_loadcnt 0x0
	v_cvt_u32_f32_e32 v0, v0
.LBB331_1613:
	s_mov_b32 s17, 0
.LBB331_1614:
	s_delay_alu instid0(SALU_CYCLE_1)
	s_and_not1_b32 vcc_lo, exec_lo, s17
	s_cbranch_vccnz .LBB331_1616
; %bb.1615:
	s_wait_loadcnt 0x0
	global_load_u16 v0, v[4:5], off
	s_wait_loadcnt 0x0
	v_cvt_u16_f16_e32 v0, v0
.LBB331_1616:
	s_cbranch_execnz .LBB331_1635
.LBB331_1617:
	s_cmp_lt_i32 s14, 2
	s_cbranch_scc1 .LBB331_1621
; %bb.1618:
	s_cmp_lt_i32 s14, 3
	s_cbranch_scc1 .LBB331_1622
; %bb.1619:
	s_cmp_gt_i32 s14, 3
	s_cbranch_scc0 .LBB331_1623
; %bb.1620:
	s_wait_loadcnt 0x0
	global_load_b64 v[0:1], v[4:5], off
	s_mov_b32 s17, 0
	s_branch .LBB331_1624
.LBB331_1621:
                                        ; implicit-def: $vgpr0
	s_branch .LBB331_1630
.LBB331_1622:
	s_mov_b32 s17, -1
                                        ; implicit-def: $vgpr0
	s_branch .LBB331_1627
.LBB331_1623:
	s_mov_b32 s17, -1
                                        ; implicit-def: $vgpr0
.LBB331_1624:
	s_delay_alu instid0(SALU_CYCLE_1)
	s_and_not1_b32 vcc_lo, exec_lo, s17
	s_cbranch_vccnz .LBB331_1626
; %bb.1625:
	s_wait_loadcnt 0x0
	global_load_b32 v0, v[4:5], off
.LBB331_1626:
	s_mov_b32 s17, 0
.LBB331_1627:
	s_delay_alu instid0(SALU_CYCLE_1)
	s_and_not1_b32 vcc_lo, exec_lo, s17
	s_cbranch_vccnz .LBB331_1629
; %bb.1628:
	s_wait_loadcnt 0x0
	global_load_u16 v0, v[4:5], off
.LBB331_1629:
	s_cbranch_execnz .LBB331_1635
.LBB331_1630:
	s_cmp_gt_i32 s14, 0
	s_mov_b32 s14, 0
	s_cbranch_scc0 .LBB331_1632
; %bb.1631:
	s_wait_loadcnt 0x0
	global_load_i8 v0, v[4:5], off
	s_branch .LBB331_1633
.LBB331_1632:
	s_mov_b32 s14, -1
                                        ; implicit-def: $vgpr0
.LBB331_1633:
	s_delay_alu instid0(SALU_CYCLE_1)
	s_and_not1_b32 vcc_lo, exec_lo, s14
	s_cbranch_vccnz .LBB331_1635
; %bb.1634:
	s_wait_loadcnt 0x0
	global_load_u8 v0, v[4:5], off
.LBB331_1635:
.LBB331_1636:
	v_mul_lo_u32 v6, s10, v18
	s_and_b32 s1, s1, 0xff
	s_delay_alu instid0(SALU_CYCLE_1) | instskip(NEXT) | instid1(VALU_DEP_1)
	s_cmp_lt_i32 s1, 11
	v_ashrrev_i32_e32 v7, 31, v6
	s_delay_alu instid0(VALU_DEP_1)
	v_add_nc_u64_e32 v[8:9], s[2:3], v[6:7]
	s_cbranch_scc1 .LBB331_1643
; %bb.1637:
	s_and_b32 s14, 0xffff, s1
	s_mov_b32 s18, 0
	s_cmp_gt_i32 s14, 25
	s_cbranch_scc0 .LBB331_1645
; %bb.1638:
	s_cmp_gt_i32 s14, 28
	s_cbranch_scc0 .LBB331_1646
; %bb.1639:
	;; [unrolled: 3-line block ×4, first 2 shown]
	s_cmp_eq_u32 s14, 46
	s_mov_b32 s20, 0
	s_cbranch_scc0 .LBB331_1652
; %bb.1642:
	s_wait_loadcnt 0x0
	global_load_b32 v1, v[8:9], off
	s_mov_b32 s17, 0
	s_mov_b32 s19, -1
	s_wait_loadcnt 0x0
	v_lshlrev_b32_e32 v1, 16, v1
	s_wait_xcnt 0x1
	s_delay_alu instid0(VALU_DEP_1)
	v_cvt_u32_f32_e32 v4, v1
	s_branch .LBB331_1654
.LBB331_1643:
	s_mov_b32 s19, 0
                                        ; implicit-def: $vgpr4
	s_cbranch_execnz .LBB331_1715
.LBB331_1644:
	s_and_not1_b32 vcc_lo, exec_lo, s19
	s_cbranch_vccnz .LBB331_2957
	s_branch .LBB331_1762
.LBB331_1645:
	s_mov_b32 s19, 0
	s_mov_b32 s17, 0
                                        ; implicit-def: $vgpr4
	s_cbranch_execnz .LBB331_1681
	s_branch .LBB331_1711
.LBB331_1646:
	s_mov_b32 s20, -1
	s_mov_b32 s19, 0
	s_mov_b32 s17, 0
                                        ; implicit-def: $vgpr4
	s_branch .LBB331_1664
.LBB331_1647:
	s_mov_b32 s20, -1
	s_mov_b32 s19, 0
	s_mov_b32 s17, 0
                                        ; implicit-def: $vgpr4
	s_branch .LBB331_1659
.LBB331_1648:
	s_or_b32 s13, s16, exec_lo
	s_trap 2
	s_cbranch_execz .LBB331_1589
	s_branch .LBB331_1590
.LBB331_1649:
	s_mov_b32 s20, -1
	s_mov_b32 s19, 0
	s_mov_b32 s17, 0
	s_branch .LBB331_1653
.LBB331_1650:
	s_and_not1_saveexec_b32 s25, s25
	s_cbranch_execz .LBB331_1440
.LBB331_1651:
	v_add_f32_e32 v0, 0x42800000, v1
	s_and_not1_b32 s24, s24, exec_lo
	s_delay_alu instid0(VALU_DEP_1) | instskip(NEXT) | instid1(VALU_DEP_1)
	v_and_b32_e32 v0, 0xff, v0
	v_cmp_ne_u32_e32 vcc_lo, 0, v0
	s_and_b32 s26, vcc_lo, exec_lo
	s_delay_alu instid0(SALU_CYCLE_1)
	s_or_b32 s24, s24, s26
	s_or_b32 exec_lo, exec_lo, s25
	v_mov_b32_e32 v4, 0
	s_and_saveexec_b32 s25, s24
	s_cbranch_execnz .LBB331_1441
	s_branch .LBB331_1442
.LBB331_1652:
	s_mov_b32 s17, -1
	s_mov_b32 s19, 0
.LBB331_1653:
                                        ; implicit-def: $vgpr4
.LBB331_1654:
	s_and_b32 vcc_lo, exec_lo, s20
	s_cbranch_vccz .LBB331_1658
; %bb.1655:
	s_cmp_eq_u32 s14, 44
	s_cbranch_scc0 .LBB331_1657
; %bb.1656:
	s_wait_loadcnt 0x0
	global_load_u8 v1, v[8:9], off
	s_mov_b32 s17, 0
	s_mov_b32 s19, -1
	s_wait_loadcnt 0x0
	v_lshlrev_b32_e32 v3, 23, v1
	v_cmp_ne_u32_e32 vcc_lo, 0, v1
	s_delay_alu instid0(VALU_DEP_2) | instskip(SKIP_1) | instid1(VALU_DEP_1)
	v_cvt_u32_f32_e32 v3, v3
	s_wait_xcnt 0x1
	v_cndmask_b32_e32 v4, 0, v3, vcc_lo
	s_branch .LBB331_1658
.LBB331_1657:
	s_mov_b32 s17, -1
                                        ; implicit-def: $vgpr4
.LBB331_1658:
	s_mov_b32 s20, 0
.LBB331_1659:
	s_delay_alu instid0(SALU_CYCLE_1)
	s_and_b32 vcc_lo, exec_lo, s20
	s_cbranch_vccz .LBB331_1663
; %bb.1660:
	s_cmp_eq_u32 s14, 29
	s_cbranch_scc0 .LBB331_1662
; %bb.1661:
	global_load_b64 v[4:5], v[8:9], off
	s_mov_b32 s17, 0
	s_mov_b32 s19, -1
	s_branch .LBB331_1663
.LBB331_1662:
	s_mov_b32 s17, -1
                                        ; implicit-def: $vgpr4
.LBB331_1663:
	s_mov_b32 s20, 0
.LBB331_1664:
	s_delay_alu instid0(SALU_CYCLE_1)
	s_and_b32 vcc_lo, exec_lo, s20
	s_cbranch_vccz .LBB331_1680
; %bb.1665:
	s_cmp_lt_i32 s14, 27
	s_cbranch_scc1 .LBB331_1668
; %bb.1666:
	s_cmp_gt_i32 s14, 27
	s_cbranch_scc0 .LBB331_1669
; %bb.1667:
	s_wait_loadcnt 0x0
	global_load_b32 v4, v[8:9], off
	s_mov_b32 s19, 0
	s_branch .LBB331_1670
.LBB331_1668:
	s_mov_b32 s19, -1
                                        ; implicit-def: $vgpr4
	s_branch .LBB331_1673
.LBB331_1669:
	s_mov_b32 s19, -1
                                        ; implicit-def: $vgpr4
.LBB331_1670:
	s_delay_alu instid0(SALU_CYCLE_1)
	s_and_not1_b32 vcc_lo, exec_lo, s19
	s_cbranch_vccnz .LBB331_1672
; %bb.1671:
	s_wait_loadcnt 0x0
	global_load_u16 v4, v[8:9], off
.LBB331_1672:
	s_mov_b32 s19, 0
.LBB331_1673:
	s_delay_alu instid0(SALU_CYCLE_1)
	s_and_not1_b32 vcc_lo, exec_lo, s19
	s_cbranch_vccnz .LBB331_1679
; %bb.1674:
	s_wait_loadcnt 0x0
	global_load_u8 v1, v[8:9], off
	s_mov_b32 s20, 0
	s_mov_b32 s19, exec_lo
	s_wait_loadcnt 0x0
	v_cmpx_lt_i16_e32 0x7f, v1
	s_xor_b32 s19, exec_lo, s19
	s_cbranch_execz .LBB331_1690
; %bb.1675:
	v_cmp_ne_u16_e32 vcc_lo, 0x80, v1
	s_and_b32 s20, vcc_lo, exec_lo
	s_and_not1_saveexec_b32 s19, s19
	s_cbranch_execnz .LBB331_1691
.LBB331_1676:
	s_or_b32 exec_lo, exec_lo, s19
	v_mov_b32_e32 v4, 0
	s_and_saveexec_b32 s19, s20
	s_cbranch_execz .LBB331_1678
.LBB331_1677:
	v_and_b32_e32 v3, 0xffff, v1
	s_delay_alu instid0(VALU_DEP_1) | instskip(SKIP_1) | instid1(VALU_DEP_2)
	v_and_b32_e32 v4, 7, v3
	v_bfe_u32 v10, v3, 3, 4
	v_clz_i32_u32_e32 v5, v4
	s_delay_alu instid0(VALU_DEP_2) | instskip(NEXT) | instid1(VALU_DEP_2)
	v_cmp_eq_u32_e32 vcc_lo, 0, v10
	v_min_u32_e32 v5, 32, v5
	s_delay_alu instid0(VALU_DEP_1) | instskip(NEXT) | instid1(VALU_DEP_1)
	v_subrev_nc_u32_e32 v7, 28, v5
	v_dual_lshlrev_b32 v3, v7, v3 :: v_dual_sub_nc_u32 v5, 29, v5
	s_delay_alu instid0(VALU_DEP_1) | instskip(NEXT) | instid1(VALU_DEP_1)
	v_dual_lshlrev_b32 v1, 24, v1 :: v_dual_bitop2_b32 v3, 7, v3 bitop3:0x40
	v_dual_cndmask_b32 v3, v4, v3, vcc_lo :: v_dual_cndmask_b32 v5, v10, v5, vcc_lo
	s_delay_alu instid0(VALU_DEP_2) | instskip(NEXT) | instid1(VALU_DEP_2)
	v_and_b32_e32 v1, 0x80000000, v1
	v_lshlrev_b32_e32 v3, 20, v3
	s_delay_alu instid0(VALU_DEP_3) | instskip(NEXT) | instid1(VALU_DEP_1)
	v_lshl_add_u32 v4, v5, 23, 0x3b800000
	v_or3_b32 v1, v1, v4, v3
	s_delay_alu instid0(VALU_DEP_1)
	v_cvt_u32_f32_e32 v4, v1
.LBB331_1678:
	s_or_b32 exec_lo, exec_lo, s19
.LBB331_1679:
	s_mov_b32 s19, -1
.LBB331_1680:
	s_branch .LBB331_1711
.LBB331_1681:
	s_cmp_gt_i32 s14, 22
	s_cbranch_scc0 .LBB331_1689
; %bb.1682:
	s_cmp_lt_i32 s14, 24
	s_cbranch_scc1 .LBB331_1692
; %bb.1683:
	s_cmp_gt_i32 s14, 24
	s_cbranch_scc0 .LBB331_1693
; %bb.1684:
	s_wait_loadcnt 0x0
	global_load_u8 v1, v[8:9], off
	s_mov_b32 s19, 0
	s_mov_b32 s18, exec_lo
	s_wait_loadcnt 0x0
	v_cmpx_lt_i16_e32 0x7f, v1
	s_xor_b32 s18, exec_lo, s18
	s_cbranch_execz .LBB331_1705
; %bb.1685:
	v_cmp_ne_u16_e32 vcc_lo, 0x80, v1
	s_and_b32 s19, vcc_lo, exec_lo
	s_and_not1_saveexec_b32 s18, s18
	s_cbranch_execnz .LBB331_1706
.LBB331_1686:
	s_or_b32 exec_lo, exec_lo, s18
	v_mov_b32_e32 v4, 0
	s_and_saveexec_b32 s18, s19
	s_cbranch_execz .LBB331_1688
.LBB331_1687:
	v_and_b32_e32 v3, 0xffff, v1
	s_delay_alu instid0(VALU_DEP_1) | instskip(SKIP_1) | instid1(VALU_DEP_2)
	v_and_b32_e32 v4, 3, v3
	v_bfe_u32 v10, v3, 2, 5
	v_clz_i32_u32_e32 v5, v4
	s_delay_alu instid0(VALU_DEP_2) | instskip(NEXT) | instid1(VALU_DEP_2)
	v_cmp_eq_u32_e32 vcc_lo, 0, v10
	v_min_u32_e32 v5, 32, v5
	s_delay_alu instid0(VALU_DEP_1) | instskip(NEXT) | instid1(VALU_DEP_1)
	v_subrev_nc_u32_e32 v7, 29, v5
	v_dual_lshlrev_b32 v3, v7, v3 :: v_dual_sub_nc_u32 v5, 30, v5
	s_delay_alu instid0(VALU_DEP_1) | instskip(NEXT) | instid1(VALU_DEP_1)
	v_dual_lshlrev_b32 v1, 24, v1 :: v_dual_bitop2_b32 v3, 3, v3 bitop3:0x40
	v_dual_cndmask_b32 v3, v4, v3, vcc_lo :: v_dual_cndmask_b32 v5, v10, v5, vcc_lo
	s_delay_alu instid0(VALU_DEP_2) | instskip(NEXT) | instid1(VALU_DEP_2)
	v_and_b32_e32 v1, 0x80000000, v1
	v_lshlrev_b32_e32 v3, 21, v3
	s_delay_alu instid0(VALU_DEP_3) | instskip(NEXT) | instid1(VALU_DEP_1)
	v_lshl_add_u32 v4, v5, 23, 0x37800000
	v_or3_b32 v1, v1, v4, v3
	s_delay_alu instid0(VALU_DEP_1)
	v_cvt_u32_f32_e32 v4, v1
.LBB331_1688:
	s_or_b32 exec_lo, exec_lo, s18
	s_mov_b32 s18, 0
	s_branch .LBB331_1694
.LBB331_1689:
	s_mov_b32 s18, -1
                                        ; implicit-def: $vgpr4
	s_branch .LBB331_1700
.LBB331_1690:
	s_and_not1_saveexec_b32 s19, s19
	s_cbranch_execz .LBB331_1676
.LBB331_1691:
	v_cmp_ne_u16_e32 vcc_lo, 0, v1
	s_and_not1_b32 s20, s20, exec_lo
	s_and_b32 s21, vcc_lo, exec_lo
	s_delay_alu instid0(SALU_CYCLE_1)
	s_or_b32 s20, s20, s21
	s_or_b32 exec_lo, exec_lo, s19
	v_mov_b32_e32 v4, 0
	s_and_saveexec_b32 s19, s20
	s_cbranch_execnz .LBB331_1677
	s_branch .LBB331_1678
.LBB331_1692:
	s_mov_b32 s18, -1
                                        ; implicit-def: $vgpr4
	s_branch .LBB331_1697
.LBB331_1693:
	s_mov_b32 s18, -1
                                        ; implicit-def: $vgpr4
.LBB331_1694:
	s_delay_alu instid0(SALU_CYCLE_1)
	s_and_b32 vcc_lo, exec_lo, s18
	s_cbranch_vccz .LBB331_1696
; %bb.1695:
	s_wait_loadcnt 0x0
	global_load_u8 v1, v[8:9], off
	s_wait_loadcnt 0x0
	v_lshlrev_b32_e32 v1, 24, v1
	s_delay_alu instid0(VALU_DEP_1) | instskip(SKIP_1) | instid1(VALU_DEP_1)
	v_and_b32_e32 v3, 0x7f000000, v1
	s_wait_xcnt 0x1
	v_clz_i32_u32_e32 v4, v3
	v_add_nc_u32_e32 v7, 0x1000000, v3
	v_cmp_ne_u32_e32 vcc_lo, 0, v3
	s_delay_alu instid0(VALU_DEP_3) | instskip(NEXT) | instid1(VALU_DEP_1)
	v_min_u32_e32 v4, 32, v4
	v_sub_nc_u32_e64 v4, v4, 4 clamp
	s_delay_alu instid0(VALU_DEP_1) | instskip(NEXT) | instid1(VALU_DEP_1)
	v_dual_lshlrev_b32 v5, v4, v3 :: v_dual_lshlrev_b32 v4, 23, v4
	v_lshrrev_b32_e32 v5, 4, v5
	s_delay_alu instid0(VALU_DEP_1) | instskip(NEXT) | instid1(VALU_DEP_1)
	v_dual_sub_nc_u32 v4, v5, v4 :: v_dual_ashrrev_i32 v5, 8, v7
	v_add_nc_u32_e32 v4, 0x3c000000, v4
	s_delay_alu instid0(VALU_DEP_1) | instskip(NEXT) | instid1(VALU_DEP_1)
	v_and_or_b32 v4, 0x7f800000, v5, v4
	v_cndmask_b32_e32 v3, 0, v4, vcc_lo
	s_delay_alu instid0(VALU_DEP_1) | instskip(NEXT) | instid1(VALU_DEP_1)
	v_and_or_b32 v1, 0x80000000, v1, v3
	v_cvt_u32_f32_e32 v4, v1
.LBB331_1696:
	s_mov_b32 s18, 0
.LBB331_1697:
	s_delay_alu instid0(SALU_CYCLE_1)
	s_and_not1_b32 vcc_lo, exec_lo, s18
	s_cbranch_vccnz .LBB331_1699
; %bb.1698:
	s_wait_loadcnt 0x0
	global_load_u8 v1, v[8:9], off
	s_wait_loadcnt 0x0
	v_lshlrev_b32_e32 v3, 25, v1
	v_lshlrev_b16 v1, 8, v1
	s_wait_xcnt 0x1
	s_delay_alu instid0(VALU_DEP_1) | instskip(NEXT) | instid1(VALU_DEP_3)
	v_and_or_b32 v5, 0x7f00, v1, 0.5
	v_lshrrev_b32_e32 v4, 4, v3
	v_bfe_i32 v1, v1, 0, 16
	s_delay_alu instid0(VALU_DEP_3) | instskip(NEXT) | instid1(VALU_DEP_3)
	v_add_f32_e32 v5, -0.5, v5
	v_or_b32_e32 v4, 0x70000000, v4
	s_delay_alu instid0(VALU_DEP_1) | instskip(SKIP_1) | instid1(VALU_DEP_2)
	v_mul_f32_e32 v4, 0x7800000, v4
	v_cmp_gt_u32_e32 vcc_lo, 0x8000000, v3
	v_cndmask_b32_e32 v3, v4, v5, vcc_lo
	s_delay_alu instid0(VALU_DEP_1) | instskip(NEXT) | instid1(VALU_DEP_1)
	v_and_or_b32 v1, 0x80000000, v1, v3
	v_cvt_u32_f32_e32 v4, v1
.LBB331_1699:
	s_mov_b32 s18, 0
	s_mov_b32 s19, -1
.LBB331_1700:
	s_and_not1_b32 vcc_lo, exec_lo, s18
	s_mov_b32 s18, 0
	s_cbranch_vccnz .LBB331_1711
; %bb.1701:
	s_cmp_gt_i32 s14, 14
	s_cbranch_scc0 .LBB331_1704
; %bb.1702:
	s_cmp_eq_u32 s14, 15
	s_cbranch_scc0 .LBB331_1707
; %bb.1703:
	s_wait_loadcnt 0x0
	global_load_u16 v1, v[8:9], off
	s_mov_b32 s17, 0
	s_mov_b32 s19, -1
	s_wait_loadcnt 0x0
	v_lshlrev_b32_e32 v1, 16, v1
	s_wait_xcnt 0x1
	s_delay_alu instid0(VALU_DEP_1)
	v_cvt_u32_f32_e32 v4, v1
	s_branch .LBB331_1709
.LBB331_1704:
	s_mov_b32 s18, -1
	s_branch .LBB331_1708
.LBB331_1705:
	s_and_not1_saveexec_b32 s18, s18
	s_cbranch_execz .LBB331_1686
.LBB331_1706:
	v_cmp_ne_u16_e32 vcc_lo, 0, v1
	s_and_not1_b32 s19, s19, exec_lo
	s_and_b32 s20, vcc_lo, exec_lo
	s_delay_alu instid0(SALU_CYCLE_1)
	s_or_b32 s19, s19, s20
	s_or_b32 exec_lo, exec_lo, s18
	v_mov_b32_e32 v4, 0
	s_and_saveexec_b32 s18, s19
	s_cbranch_execnz .LBB331_1687
	s_branch .LBB331_1688
.LBB331_1707:
	s_mov_b32 s17, -1
.LBB331_1708:
                                        ; implicit-def: $vgpr4
.LBB331_1709:
	s_and_b32 vcc_lo, exec_lo, s18
	s_mov_b32 s18, 0
	s_cbranch_vccz .LBB331_1711
; %bb.1710:
	s_cmp_lg_u32 s14, 11
	s_mov_b32 s18, -1
	s_cselect_b32 s17, -1, 0
.LBB331_1711:
	s_delay_alu instid0(SALU_CYCLE_1)
	s_and_b32 vcc_lo, exec_lo, s17
	s_cbranch_vccnz .LBB331_1774
; %bb.1712:
	s_and_not1_b32 vcc_lo, exec_lo, s18
	s_cbranch_vccnz .LBB331_1714
.LBB331_1713:
	s_wait_loadcnt 0x0
	global_load_u8 v1, v[8:9], off
	s_mov_b32 s19, -1
	s_wait_loadcnt 0x0
	v_cmp_ne_u16_e32 vcc_lo, 0, v1
	s_wait_xcnt 0x1
	v_cndmask_b32_e64 v4, 0, 1, vcc_lo
.LBB331_1714:
	s_branch .LBB331_1644
.LBB331_1715:
	s_and_b32 s14, 0xffff, s1
	s_delay_alu instid0(SALU_CYCLE_1)
	s_cmp_lt_i32 s14, 5
	s_cbranch_scc1 .LBB331_1720
; %bb.1716:
	s_cmp_lt_i32 s14, 8
	s_cbranch_scc1 .LBB331_1721
; %bb.1717:
	;; [unrolled: 3-line block ×3, first 2 shown]
	s_cmp_gt_i32 s14, 9
	s_cbranch_scc0 .LBB331_1723
; %bb.1719:
	s_wait_loadcnt 0x0
	global_load_b64 v[4:5], v[8:9], off
	s_mov_b32 s17, 0
	s_wait_loadcnt 0x0
	v_cvt_u32_f64_e32 v4, v[4:5]
	s_branch .LBB331_1724
.LBB331_1720:
                                        ; implicit-def: $vgpr4
	s_branch .LBB331_1742
.LBB331_1721:
	s_mov_b32 s17, -1
                                        ; implicit-def: $vgpr4
	s_branch .LBB331_1730
.LBB331_1722:
	s_mov_b32 s17, -1
                                        ; implicit-def: $vgpr4
	s_branch .LBB331_1727
.LBB331_1723:
	s_mov_b32 s17, -1
                                        ; implicit-def: $vgpr4
.LBB331_1724:
	s_delay_alu instid0(SALU_CYCLE_1)
	s_and_not1_b32 vcc_lo, exec_lo, s17
	s_cbranch_vccnz .LBB331_1726
; %bb.1725:
	s_wait_loadcnt 0x0
	global_load_b32 v1, v[8:9], off
	s_wait_loadcnt 0x0
	s_wait_xcnt 0x1
	v_cvt_u32_f32_e32 v4, v1
.LBB331_1726:
	s_mov_b32 s17, 0
.LBB331_1727:
	s_delay_alu instid0(SALU_CYCLE_1)
	s_and_not1_b32 vcc_lo, exec_lo, s17
	s_cbranch_vccnz .LBB331_1729
; %bb.1728:
	s_wait_loadcnt 0x0
	global_load_b32 v1, v[8:9], off
	s_wait_loadcnt 0x0
	s_wait_xcnt 0x1
	v_cvt_u16_f16_e32 v4, v1
.LBB331_1729:
	s_mov_b32 s17, 0
.LBB331_1730:
	s_delay_alu instid0(SALU_CYCLE_1)
	s_and_not1_b32 vcc_lo, exec_lo, s17
	s_cbranch_vccnz .LBB331_1741
; %bb.1731:
	s_cmp_lt_i32 s14, 6
	s_cbranch_scc1 .LBB331_1734
; %bb.1732:
	s_cmp_gt_i32 s14, 6
	s_cbranch_scc0 .LBB331_1735
; %bb.1733:
	s_wait_loadcnt 0x0
	global_load_b64 v[4:5], v[8:9], off
	s_mov_b32 s17, 0
	s_wait_loadcnt 0x0
	v_cvt_u32_f64_e32 v4, v[4:5]
	s_branch .LBB331_1736
.LBB331_1734:
	s_mov_b32 s17, -1
                                        ; implicit-def: $vgpr4
	s_branch .LBB331_1739
.LBB331_1735:
	s_mov_b32 s17, -1
                                        ; implicit-def: $vgpr4
.LBB331_1736:
	s_delay_alu instid0(SALU_CYCLE_1)
	s_and_not1_b32 vcc_lo, exec_lo, s17
	s_cbranch_vccnz .LBB331_1738
; %bb.1737:
	s_wait_loadcnt 0x0
	global_load_b32 v1, v[8:9], off
	s_wait_loadcnt 0x0
	s_wait_xcnt 0x1
	v_cvt_u32_f32_e32 v4, v1
.LBB331_1738:
	s_mov_b32 s17, 0
.LBB331_1739:
	s_delay_alu instid0(SALU_CYCLE_1)
	s_and_not1_b32 vcc_lo, exec_lo, s17
	s_cbranch_vccnz .LBB331_1741
; %bb.1740:
	s_wait_loadcnt 0x0
	global_load_u16 v1, v[8:9], off
	s_wait_loadcnt 0x0
	s_wait_xcnt 0x1
	v_cvt_u16_f16_e32 v4, v1
.LBB331_1741:
	s_cbranch_execnz .LBB331_1761
.LBB331_1742:
	s_cmp_lt_i32 s14, 2
	s_cbranch_scc1 .LBB331_1746
; %bb.1743:
	s_cmp_lt_i32 s14, 3
	s_cbranch_scc1 .LBB331_1747
; %bb.1744:
	s_cmp_gt_i32 s14, 3
	s_cbranch_scc0 .LBB331_1748
; %bb.1745:
	s_wait_loadcnt 0x0
	global_load_b64 v[4:5], v[8:9], off
	s_mov_b32 s17, 0
	s_branch .LBB331_1749
.LBB331_1746:
	s_mov_b32 s17, -1
                                        ; implicit-def: $vgpr4
	s_branch .LBB331_1755
.LBB331_1747:
	s_mov_b32 s17, -1
                                        ; implicit-def: $vgpr4
	s_branch .LBB331_1752
.LBB331_1748:
	s_mov_b32 s17, -1
                                        ; implicit-def: $vgpr4
.LBB331_1749:
	s_delay_alu instid0(SALU_CYCLE_1)
	s_and_not1_b32 vcc_lo, exec_lo, s17
	s_cbranch_vccnz .LBB331_1751
; %bb.1750:
	s_wait_loadcnt 0x0
	global_load_b32 v4, v[8:9], off
.LBB331_1751:
	s_mov_b32 s17, 0
.LBB331_1752:
	s_delay_alu instid0(SALU_CYCLE_1)
	s_and_not1_b32 vcc_lo, exec_lo, s17
	s_cbranch_vccnz .LBB331_1754
; %bb.1753:
	s_wait_loadcnt 0x0
	global_load_u16 v4, v[8:9], off
.LBB331_1754:
	s_mov_b32 s17, 0
.LBB331_1755:
	s_delay_alu instid0(SALU_CYCLE_1)
	s_and_not1_b32 vcc_lo, exec_lo, s17
	s_cbranch_vccnz .LBB331_1761
; %bb.1756:
	s_cmp_gt_i32 s14, 0
	s_mov_b32 s14, 0
	s_cbranch_scc0 .LBB331_1758
; %bb.1757:
	s_wait_loadcnt 0x0
	global_load_i8 v4, v[8:9], off
	s_branch .LBB331_1759
.LBB331_1758:
	s_mov_b32 s14, -1
                                        ; implicit-def: $vgpr4
.LBB331_1759:
	s_delay_alu instid0(SALU_CYCLE_1)
	s_and_not1_b32 vcc_lo, exec_lo, s14
	s_cbranch_vccnz .LBB331_1761
; %bb.1760:
	s_wait_loadcnt 0x0
	global_load_u8 v4, v[8:9], off
.LBB331_1761:
.LBB331_1762:
	s_lshl_b32 s9, s9, 7
	s_cmp_lt_i32 s0, 11
	v_add_nc_u32_e32 v10, s9, v2
	s_delay_alu instid0(VALU_DEP_1) | instskip(SKIP_1) | instid1(VALU_DEP_1)
	v_ashrrev_i32_e32 v11, 31, v10
	s_wait_xcnt 0x0
	v_add_nc_u64_e32 v[8:9], s[6:7], v[10:11]
	s_cbranch_scc1 .LBB331_1769
; %bb.1763:
	s_and_b32 s14, 0xffff, s0
	s_mov_b32 s18, 0
	s_cmp_gt_i32 s14, 25
	s_cbranch_scc0 .LBB331_1771
; %bb.1764:
	s_cmp_gt_i32 s14, 28
	s_cbranch_scc0 .LBB331_1772
; %bb.1765:
	;; [unrolled: 3-line block ×4, first 2 shown]
	s_cmp_eq_u32 s14, 46
	s_mov_b32 s20, 0
	s_cbranch_scc0 .LBB331_1776
; %bb.1768:
	s_wait_loadcnt 0x0
	global_load_b32 v1, v[8:9], off
	s_mov_b32 s17, 0
	s_mov_b32 s19, -1
	s_wait_loadcnt 0x0
	v_lshlrev_b32_e32 v1, 16, v1
	s_delay_alu instid0(VALU_DEP_1)
	v_cvt_u32_f32_e32 v2, v1
	s_branch .LBB331_1778
.LBB331_1769:
	s_mov_b32 s19, 0
                                        ; implicit-def: $vgpr2
	s_cbranch_execnz .LBB331_1840
.LBB331_1770:
	s_and_not1_b32 vcc_lo, exec_lo, s19
	s_cbranch_vccnz .LBB331_2957
	s_branch .LBB331_1888
.LBB331_1771:
	s_mov_b32 s20, -1
	s_mov_b32 s19, 0
	s_mov_b32 s17, 0
                                        ; implicit-def: $vgpr2
	s_branch .LBB331_1805
.LBB331_1772:
	s_mov_b32 s20, -1
	s_mov_b32 s19, 0
	s_mov_b32 s17, 0
                                        ; implicit-def: $vgpr2
	s_branch .LBB331_1788
.LBB331_1773:
	s_mov_b32 s20, -1
	s_mov_b32 s19, 0
	s_mov_b32 s17, 0
                                        ; implicit-def: $vgpr2
	s_branch .LBB331_1783
.LBB331_1774:
	s_or_b32 s13, s13, exec_lo
	s_trap 2
	s_cbranch_execz .LBB331_1713
	s_branch .LBB331_1714
.LBB331_1775:
	s_mov_b32 s20, -1
	s_mov_b32 s19, 0
	s_mov_b32 s17, 0
	s_branch .LBB331_1777
.LBB331_1776:
	s_mov_b32 s17, -1
	s_mov_b32 s19, 0
.LBB331_1777:
                                        ; implicit-def: $vgpr2
.LBB331_1778:
	s_and_b32 vcc_lo, exec_lo, s20
	s_cbranch_vccz .LBB331_1782
; %bb.1779:
	s_cmp_eq_u32 s14, 44
	s_cbranch_scc0 .LBB331_1781
; %bb.1780:
	s_wait_loadcnt 0x0
	global_load_u8 v1, v[8:9], off
	s_mov_b32 s17, 0
	s_mov_b32 s19, -1
	s_wait_loadcnt 0x0
	v_lshlrev_b32_e32 v2, 23, v1
	v_cmp_ne_u32_e32 vcc_lo, 0, v1
	s_delay_alu instid0(VALU_DEP_2) | instskip(NEXT) | instid1(VALU_DEP_1)
	v_cvt_u32_f32_e32 v2, v2
	v_cndmask_b32_e32 v2, 0, v2, vcc_lo
	s_branch .LBB331_1782
.LBB331_1781:
	s_mov_b32 s17, -1
                                        ; implicit-def: $vgpr2
.LBB331_1782:
	s_mov_b32 s20, 0
.LBB331_1783:
	s_delay_alu instid0(SALU_CYCLE_1)
	s_and_b32 vcc_lo, exec_lo, s20
	s_cbranch_vccz .LBB331_1787
; %bb.1784:
	s_cmp_eq_u32 s14, 29
	s_cbranch_scc0 .LBB331_1786
; %bb.1785:
	global_load_b64 v[2:3], v[8:9], off
	s_mov_b32 s17, 0
	s_mov_b32 s19, -1
	s_branch .LBB331_1787
.LBB331_1786:
	s_mov_b32 s17, -1
                                        ; implicit-def: $vgpr2
.LBB331_1787:
	s_mov_b32 s20, 0
.LBB331_1788:
	s_delay_alu instid0(SALU_CYCLE_1)
	s_and_b32 vcc_lo, exec_lo, s20
	s_cbranch_vccz .LBB331_1804
; %bb.1789:
	s_cmp_lt_i32 s14, 27
	s_cbranch_scc1 .LBB331_1792
; %bb.1790:
	s_cmp_gt_i32 s14, 27
	s_cbranch_scc0 .LBB331_1793
; %bb.1791:
	s_wait_loadcnt 0x0
	global_load_b32 v2, v[8:9], off
	s_mov_b32 s19, 0
	s_branch .LBB331_1794
.LBB331_1792:
	s_mov_b32 s19, -1
                                        ; implicit-def: $vgpr2
	s_branch .LBB331_1797
.LBB331_1793:
	s_mov_b32 s19, -1
                                        ; implicit-def: $vgpr2
.LBB331_1794:
	s_delay_alu instid0(SALU_CYCLE_1)
	s_and_not1_b32 vcc_lo, exec_lo, s19
	s_cbranch_vccnz .LBB331_1796
; %bb.1795:
	s_wait_loadcnt 0x0
	global_load_u16 v2, v[8:9], off
.LBB331_1796:
	s_mov_b32 s19, 0
.LBB331_1797:
	s_delay_alu instid0(SALU_CYCLE_1)
	s_and_not1_b32 vcc_lo, exec_lo, s19
	s_cbranch_vccnz .LBB331_1803
; %bb.1798:
	s_wait_loadcnt 0x0
	global_load_u8 v1, v[8:9], off
	s_mov_b32 s20, 0
	s_mov_b32 s19, exec_lo
	s_wait_loadcnt 0x0
	v_cmpx_lt_i16_e32 0x7f, v1
	s_xor_b32 s19, exec_lo, s19
	s_cbranch_execz .LBB331_1815
; %bb.1799:
	v_cmp_ne_u16_e32 vcc_lo, 0x80, v1
	s_and_b32 s20, vcc_lo, exec_lo
	s_and_not1_saveexec_b32 s19, s19
	s_cbranch_execnz .LBB331_1816
.LBB331_1800:
	s_or_b32 exec_lo, exec_lo, s19
	v_mov_b32_e32 v2, 0
	s_and_saveexec_b32 s19, s20
	s_cbranch_execz .LBB331_1802
.LBB331_1801:
	v_and_b32_e32 v2, 0xffff, v1
	s_delay_alu instid0(VALU_DEP_1) | instskip(SKIP_1) | instid1(VALU_DEP_2)
	v_and_b32_e32 v3, 7, v2
	v_bfe_u32 v11, v2, 3, 4
	v_clz_i32_u32_e32 v5, v3
	s_delay_alu instid0(VALU_DEP_2) | instskip(NEXT) | instid1(VALU_DEP_2)
	v_cmp_eq_u32_e32 vcc_lo, 0, v11
	v_min_u32_e32 v5, 32, v5
	s_delay_alu instid0(VALU_DEP_1) | instskip(NEXT) | instid1(VALU_DEP_1)
	v_subrev_nc_u32_e32 v7, 28, v5
	v_dual_lshlrev_b32 v2, v7, v2 :: v_dual_sub_nc_u32 v5, 29, v5
	s_delay_alu instid0(VALU_DEP_1) | instskip(NEXT) | instid1(VALU_DEP_1)
	v_dual_lshlrev_b32 v1, 24, v1 :: v_dual_bitop2_b32 v2, 7, v2 bitop3:0x40
	v_cndmask_b32_e32 v2, v3, v2, vcc_lo
	s_delay_alu instid0(VALU_DEP_3) | instskip(NEXT) | instid1(VALU_DEP_3)
	v_cndmask_b32_e32 v5, v11, v5, vcc_lo
	v_and_b32_e32 v1, 0x80000000, v1
	s_delay_alu instid0(VALU_DEP_3) | instskip(NEXT) | instid1(VALU_DEP_3)
	v_lshlrev_b32_e32 v2, 20, v2
	v_lshl_add_u32 v3, v5, 23, 0x3b800000
	s_delay_alu instid0(VALU_DEP_1) | instskip(NEXT) | instid1(VALU_DEP_1)
	v_or3_b32 v1, v1, v3, v2
	v_cvt_u32_f32_e32 v2, v1
.LBB331_1802:
	s_or_b32 exec_lo, exec_lo, s19
.LBB331_1803:
	s_mov_b32 s19, -1
.LBB331_1804:
	s_mov_b32 s20, 0
.LBB331_1805:
	s_delay_alu instid0(SALU_CYCLE_1)
	s_and_b32 vcc_lo, exec_lo, s20
	s_cbranch_vccz .LBB331_1836
; %bb.1806:
	s_cmp_gt_i32 s14, 22
	s_cbranch_scc0 .LBB331_1814
; %bb.1807:
	s_cmp_lt_i32 s14, 24
	s_cbranch_scc1 .LBB331_1817
; %bb.1808:
	s_cmp_gt_i32 s14, 24
	s_cbranch_scc0 .LBB331_1818
; %bb.1809:
	s_wait_loadcnt 0x0
	global_load_u8 v1, v[8:9], off
	s_mov_b32 s19, 0
	s_mov_b32 s18, exec_lo
	s_wait_loadcnt 0x0
	v_cmpx_lt_i16_e32 0x7f, v1
	s_xor_b32 s18, exec_lo, s18
	s_cbranch_execz .LBB331_1830
; %bb.1810:
	v_cmp_ne_u16_e32 vcc_lo, 0x80, v1
	s_and_b32 s19, vcc_lo, exec_lo
	s_and_not1_saveexec_b32 s18, s18
	s_cbranch_execnz .LBB331_1831
.LBB331_1811:
	s_or_b32 exec_lo, exec_lo, s18
	v_mov_b32_e32 v2, 0
	s_and_saveexec_b32 s18, s19
	s_cbranch_execz .LBB331_1813
.LBB331_1812:
	v_and_b32_e32 v2, 0xffff, v1
	s_delay_alu instid0(VALU_DEP_1) | instskip(SKIP_1) | instid1(VALU_DEP_2)
	v_and_b32_e32 v3, 3, v2
	v_bfe_u32 v11, v2, 2, 5
	v_clz_i32_u32_e32 v5, v3
	s_delay_alu instid0(VALU_DEP_2) | instskip(NEXT) | instid1(VALU_DEP_2)
	v_cmp_eq_u32_e32 vcc_lo, 0, v11
	v_min_u32_e32 v5, 32, v5
	s_delay_alu instid0(VALU_DEP_1) | instskip(NEXT) | instid1(VALU_DEP_1)
	v_subrev_nc_u32_e32 v7, 29, v5
	v_dual_lshlrev_b32 v2, v7, v2 :: v_dual_sub_nc_u32 v5, 30, v5
	s_delay_alu instid0(VALU_DEP_1) | instskip(NEXT) | instid1(VALU_DEP_1)
	v_dual_lshlrev_b32 v1, 24, v1 :: v_dual_bitop2_b32 v2, 3, v2 bitop3:0x40
	v_cndmask_b32_e32 v2, v3, v2, vcc_lo
	s_delay_alu instid0(VALU_DEP_3) | instskip(NEXT) | instid1(VALU_DEP_3)
	v_cndmask_b32_e32 v5, v11, v5, vcc_lo
	v_and_b32_e32 v1, 0x80000000, v1
	s_delay_alu instid0(VALU_DEP_3) | instskip(NEXT) | instid1(VALU_DEP_3)
	v_lshlrev_b32_e32 v2, 21, v2
	v_lshl_add_u32 v3, v5, 23, 0x37800000
	s_delay_alu instid0(VALU_DEP_1) | instskip(NEXT) | instid1(VALU_DEP_1)
	v_or3_b32 v1, v1, v3, v2
	v_cvt_u32_f32_e32 v2, v1
.LBB331_1813:
	s_or_b32 exec_lo, exec_lo, s18
	s_mov_b32 s18, 0
	s_branch .LBB331_1819
.LBB331_1814:
	s_mov_b32 s18, -1
                                        ; implicit-def: $vgpr2
	s_branch .LBB331_1825
.LBB331_1815:
	s_and_not1_saveexec_b32 s19, s19
	s_cbranch_execz .LBB331_1800
.LBB331_1816:
	v_cmp_ne_u16_e32 vcc_lo, 0, v1
	s_and_not1_b32 s20, s20, exec_lo
	s_and_b32 s21, vcc_lo, exec_lo
	s_delay_alu instid0(SALU_CYCLE_1)
	s_or_b32 s20, s20, s21
	s_or_b32 exec_lo, exec_lo, s19
	v_mov_b32_e32 v2, 0
	s_and_saveexec_b32 s19, s20
	s_cbranch_execnz .LBB331_1801
	s_branch .LBB331_1802
.LBB331_1817:
	s_mov_b32 s18, -1
                                        ; implicit-def: $vgpr2
	s_branch .LBB331_1822
.LBB331_1818:
	s_mov_b32 s18, -1
                                        ; implicit-def: $vgpr2
.LBB331_1819:
	s_delay_alu instid0(SALU_CYCLE_1)
	s_and_b32 vcc_lo, exec_lo, s18
	s_cbranch_vccz .LBB331_1821
; %bb.1820:
	s_wait_loadcnt 0x0
	global_load_u8 v1, v[8:9], off
	s_wait_loadcnt 0x0
	v_lshlrev_b32_e32 v1, 24, v1
	s_delay_alu instid0(VALU_DEP_1) | instskip(NEXT) | instid1(VALU_DEP_1)
	v_and_b32_e32 v2, 0x7f000000, v1
	v_clz_i32_u32_e32 v3, v2
	v_cmp_ne_u32_e32 vcc_lo, 0, v2
	v_add_nc_u32_e32 v7, 0x1000000, v2
	s_delay_alu instid0(VALU_DEP_3) | instskip(NEXT) | instid1(VALU_DEP_1)
	v_min_u32_e32 v3, 32, v3
	v_sub_nc_u32_e64 v3, v3, 4 clamp
	s_delay_alu instid0(VALU_DEP_1) | instskip(NEXT) | instid1(VALU_DEP_1)
	v_dual_lshlrev_b32 v5, v3, v2 :: v_dual_lshlrev_b32 v3, 23, v3
	v_lshrrev_b32_e32 v5, 4, v5
	s_delay_alu instid0(VALU_DEP_1) | instskip(SKIP_1) | instid1(VALU_DEP_2)
	v_sub_nc_u32_e32 v3, v5, v3
	v_ashrrev_i32_e32 v5, 8, v7
	v_add_nc_u32_e32 v3, 0x3c000000, v3
	s_delay_alu instid0(VALU_DEP_1) | instskip(NEXT) | instid1(VALU_DEP_1)
	v_and_or_b32 v3, 0x7f800000, v5, v3
	v_cndmask_b32_e32 v2, 0, v3, vcc_lo
	s_delay_alu instid0(VALU_DEP_1) | instskip(NEXT) | instid1(VALU_DEP_1)
	v_and_or_b32 v1, 0x80000000, v1, v2
	v_cvt_u32_f32_e32 v2, v1
.LBB331_1821:
	s_mov_b32 s18, 0
.LBB331_1822:
	s_delay_alu instid0(SALU_CYCLE_1)
	s_and_not1_b32 vcc_lo, exec_lo, s18
	s_cbranch_vccnz .LBB331_1824
; %bb.1823:
	s_wait_loadcnt 0x0
	global_load_u8 v1, v[8:9], off
	s_wait_loadcnt 0x0
	v_lshlrev_b32_e32 v2, 25, v1
	v_lshlrev_b16 v1, 8, v1
	s_delay_alu instid0(VALU_DEP_1) | instskip(NEXT) | instid1(VALU_DEP_3)
	v_and_or_b32 v5, 0x7f00, v1, 0.5
	v_lshrrev_b32_e32 v3, 4, v2
	v_bfe_i32 v1, v1, 0, 16
	s_delay_alu instid0(VALU_DEP_3) | instskip(NEXT) | instid1(VALU_DEP_3)
	v_add_f32_e32 v5, -0.5, v5
	v_or_b32_e32 v3, 0x70000000, v3
	s_delay_alu instid0(VALU_DEP_1) | instskip(SKIP_1) | instid1(VALU_DEP_2)
	v_mul_f32_e32 v3, 0x7800000, v3
	v_cmp_gt_u32_e32 vcc_lo, 0x8000000, v2
	v_cndmask_b32_e32 v2, v3, v5, vcc_lo
	s_delay_alu instid0(VALU_DEP_1) | instskip(NEXT) | instid1(VALU_DEP_1)
	v_and_or_b32 v1, 0x80000000, v1, v2
	v_cvt_u32_f32_e32 v2, v1
.LBB331_1824:
	s_mov_b32 s18, 0
	s_mov_b32 s19, -1
.LBB331_1825:
	s_and_not1_b32 vcc_lo, exec_lo, s18
	s_mov_b32 s18, 0
	s_cbranch_vccnz .LBB331_1836
; %bb.1826:
	s_cmp_gt_i32 s14, 14
	s_cbranch_scc0 .LBB331_1829
; %bb.1827:
	s_cmp_eq_u32 s14, 15
	s_cbranch_scc0 .LBB331_1832
; %bb.1828:
	s_wait_loadcnt 0x0
	global_load_u16 v1, v[8:9], off
	s_mov_b32 s17, 0
	s_mov_b32 s19, -1
	s_wait_loadcnt 0x0
	v_lshlrev_b32_e32 v1, 16, v1
	s_delay_alu instid0(VALU_DEP_1)
	v_cvt_u32_f32_e32 v2, v1
	s_branch .LBB331_1834
.LBB331_1829:
	s_mov_b32 s18, -1
	s_branch .LBB331_1833
.LBB331_1830:
	s_and_not1_saveexec_b32 s18, s18
	s_cbranch_execz .LBB331_1811
.LBB331_1831:
	v_cmp_ne_u16_e32 vcc_lo, 0, v1
	s_and_not1_b32 s19, s19, exec_lo
	s_and_b32 s20, vcc_lo, exec_lo
	s_delay_alu instid0(SALU_CYCLE_1)
	s_or_b32 s19, s19, s20
	s_or_b32 exec_lo, exec_lo, s18
	v_mov_b32_e32 v2, 0
	s_and_saveexec_b32 s18, s19
	s_cbranch_execnz .LBB331_1812
	s_branch .LBB331_1813
.LBB331_1832:
	s_mov_b32 s17, -1
.LBB331_1833:
                                        ; implicit-def: $vgpr2
.LBB331_1834:
	s_and_b32 vcc_lo, exec_lo, s18
	s_mov_b32 s18, 0
	s_cbranch_vccz .LBB331_1836
; %bb.1835:
	s_cmp_lg_u32 s14, 11
	s_mov_b32 s18, -1
	s_cselect_b32 s17, -1, 0
.LBB331_1836:
	s_delay_alu instid0(SALU_CYCLE_1)
	s_and_b32 vcc_lo, exec_lo, s17
	s_cbranch_vccnz .LBB331_1899
; %bb.1837:
	s_and_not1_b32 vcc_lo, exec_lo, s18
	s_cbranch_vccnz .LBB331_1839
.LBB331_1838:
	s_wait_loadcnt 0x0
	global_load_u8 v1, v[8:9], off
	s_mov_b32 s19, -1
	s_wait_loadcnt 0x0
	v_cmp_ne_u16_e32 vcc_lo, 0, v1
	v_cndmask_b32_e64 v2, 0, 1, vcc_lo
.LBB331_1839:
	s_branch .LBB331_1770
.LBB331_1840:
	s_and_b32 s14, 0xffff, s0
	s_delay_alu instid0(SALU_CYCLE_1)
	s_cmp_lt_i32 s14, 5
	s_cbranch_scc1 .LBB331_1845
; %bb.1841:
	s_cmp_lt_i32 s14, 8
	s_cbranch_scc1 .LBB331_1846
; %bb.1842:
	;; [unrolled: 3-line block ×3, first 2 shown]
	s_cmp_gt_i32 s14, 9
	s_cbranch_scc0 .LBB331_1848
; %bb.1844:
	s_wait_loadcnt 0x0
	global_load_b64 v[2:3], v[8:9], off
	s_mov_b32 s17, 0
	s_wait_loadcnt 0x0
	v_cvt_u32_f64_e32 v2, v[2:3]
	s_branch .LBB331_1849
.LBB331_1845:
	s_mov_b32 s17, -1
                                        ; implicit-def: $vgpr2
	s_branch .LBB331_1867
.LBB331_1846:
	s_mov_b32 s17, -1
                                        ; implicit-def: $vgpr2
	s_branch .LBB331_1855
.LBB331_1847:
	s_mov_b32 s17, -1
                                        ; implicit-def: $vgpr2
	s_branch .LBB331_1852
.LBB331_1848:
	s_mov_b32 s17, -1
                                        ; implicit-def: $vgpr2
.LBB331_1849:
	s_delay_alu instid0(SALU_CYCLE_1)
	s_and_not1_b32 vcc_lo, exec_lo, s17
	s_cbranch_vccnz .LBB331_1851
; %bb.1850:
	s_wait_loadcnt 0x0
	global_load_b32 v1, v[8:9], off
	s_wait_loadcnt 0x0
	v_cvt_u32_f32_e32 v2, v1
.LBB331_1851:
	s_mov_b32 s17, 0
.LBB331_1852:
	s_delay_alu instid0(SALU_CYCLE_1)
	s_and_not1_b32 vcc_lo, exec_lo, s17
	s_cbranch_vccnz .LBB331_1854
; %bb.1853:
	s_wait_loadcnt 0x0
	global_load_b32 v1, v[8:9], off
	s_wait_loadcnt 0x0
	v_cvt_u16_f16_e32 v2, v1
.LBB331_1854:
	s_mov_b32 s17, 0
.LBB331_1855:
	s_delay_alu instid0(SALU_CYCLE_1)
	s_and_not1_b32 vcc_lo, exec_lo, s17
	s_cbranch_vccnz .LBB331_1866
; %bb.1856:
	s_cmp_lt_i32 s14, 6
	s_cbranch_scc1 .LBB331_1859
; %bb.1857:
	s_cmp_gt_i32 s14, 6
	s_cbranch_scc0 .LBB331_1860
; %bb.1858:
	s_wait_loadcnt 0x0
	global_load_b64 v[2:3], v[8:9], off
	s_mov_b32 s17, 0
	s_wait_loadcnt 0x0
	v_cvt_u32_f64_e32 v2, v[2:3]
	s_branch .LBB331_1861
.LBB331_1859:
	s_mov_b32 s17, -1
                                        ; implicit-def: $vgpr2
	s_branch .LBB331_1864
.LBB331_1860:
	s_mov_b32 s17, -1
                                        ; implicit-def: $vgpr2
.LBB331_1861:
	s_delay_alu instid0(SALU_CYCLE_1)
	s_and_not1_b32 vcc_lo, exec_lo, s17
	s_cbranch_vccnz .LBB331_1863
; %bb.1862:
	s_wait_loadcnt 0x0
	global_load_b32 v1, v[8:9], off
	s_wait_loadcnt 0x0
	v_cvt_u32_f32_e32 v2, v1
.LBB331_1863:
	s_mov_b32 s17, 0
.LBB331_1864:
	s_delay_alu instid0(SALU_CYCLE_1)
	s_and_not1_b32 vcc_lo, exec_lo, s17
	s_cbranch_vccnz .LBB331_1866
; %bb.1865:
	s_wait_loadcnt 0x0
	global_load_u16 v1, v[8:9], off
	s_wait_loadcnt 0x0
	v_cvt_u16_f16_e32 v2, v1
.LBB331_1866:
	s_mov_b32 s17, 0
.LBB331_1867:
	s_delay_alu instid0(SALU_CYCLE_1)
	s_and_not1_b32 vcc_lo, exec_lo, s17
	s_cbranch_vccnz .LBB331_1887
; %bb.1868:
	s_cmp_lt_i32 s14, 2
	s_cbranch_scc1 .LBB331_1872
; %bb.1869:
	s_cmp_lt_i32 s14, 3
	s_cbranch_scc1 .LBB331_1873
; %bb.1870:
	s_cmp_gt_i32 s14, 3
	s_cbranch_scc0 .LBB331_1874
; %bb.1871:
	s_wait_loadcnt 0x0
	global_load_b64 v[2:3], v[8:9], off
	s_mov_b32 s17, 0
	s_branch .LBB331_1875
.LBB331_1872:
	s_mov_b32 s17, -1
                                        ; implicit-def: $vgpr2
	s_branch .LBB331_1881
.LBB331_1873:
	s_mov_b32 s17, -1
                                        ; implicit-def: $vgpr2
	s_branch .LBB331_1878
.LBB331_1874:
	s_mov_b32 s17, -1
                                        ; implicit-def: $vgpr2
.LBB331_1875:
	s_delay_alu instid0(SALU_CYCLE_1)
	s_and_not1_b32 vcc_lo, exec_lo, s17
	s_cbranch_vccnz .LBB331_1877
; %bb.1876:
	s_wait_loadcnt 0x0
	global_load_b32 v2, v[8:9], off
.LBB331_1877:
	s_mov_b32 s17, 0
.LBB331_1878:
	s_delay_alu instid0(SALU_CYCLE_1)
	s_and_not1_b32 vcc_lo, exec_lo, s17
	s_cbranch_vccnz .LBB331_1880
; %bb.1879:
	s_wait_loadcnt 0x0
	global_load_u16 v2, v[8:9], off
.LBB331_1880:
	s_mov_b32 s17, 0
.LBB331_1881:
	s_delay_alu instid0(SALU_CYCLE_1)
	s_and_not1_b32 vcc_lo, exec_lo, s17
	s_cbranch_vccnz .LBB331_1887
; %bb.1882:
	s_cmp_gt_i32 s14, 0
	s_mov_b32 s14, 0
	s_cbranch_scc0 .LBB331_1884
; %bb.1883:
	s_wait_loadcnt 0x0
	global_load_i8 v2, v[8:9], off
	s_branch .LBB331_1885
.LBB331_1884:
	s_mov_b32 s14, -1
                                        ; implicit-def: $vgpr2
.LBB331_1885:
	s_delay_alu instid0(SALU_CYCLE_1)
	s_and_not1_b32 vcc_lo, exec_lo, s14
	s_cbranch_vccnz .LBB331_1887
; %bb.1886:
	s_wait_loadcnt 0x0
	global_load_u8 v2, v[8:9], off
.LBB331_1887:
.LBB331_1888:
	s_lshl_b32 s10, s10, 7
	s_cmp_lt_i32 s1, 11
	v_add_nc_u32_e32 v12, s10, v6
	s_delay_alu instid0(VALU_DEP_1) | instskip(NEXT) | instid1(VALU_DEP_1)
	v_ashrrev_i32_e32 v13, 31, v12
	v_add_nc_u64_e32 v[6:7], s[2:3], v[12:13]
	s_cbranch_scc1 .LBB331_1895
; %bb.1889:
	s_and_b32 s14, 0xffff, s1
	s_mov_b32 s18, 0
	s_cmp_gt_i32 s14, 25
	s_cbranch_scc0 .LBB331_1896
; %bb.1890:
	s_cmp_gt_i32 s14, 28
	s_cbranch_scc0 .LBB331_1897
; %bb.1891:
	;; [unrolled: 3-line block ×4, first 2 shown]
	s_cmp_eq_u32 s14, 46
	s_mov_b32 s20, 0
	s_cbranch_scc0 .LBB331_1901
; %bb.1894:
	s_wait_loadcnt 0x0
	global_load_b32 v1, v[6:7], off
	s_mov_b32 s17, 0
	s_mov_b32 s19, -1
	s_wait_loadcnt 0x0
	v_lshlrev_b32_e32 v1, 16, v1
	s_wait_xcnt 0x1
	s_delay_alu instid0(VALU_DEP_1)
	v_cvt_u32_f32_e32 v8, v1
	s_branch .LBB331_1903
.LBB331_1895:
	s_mov_b32 s14, -1
	s_mov_b32 s19, 0
                                        ; implicit-def: $vgpr8
	s_branch .LBB331_1965
.LBB331_1896:
	s_mov_b32 s20, -1
	s_mov_b32 s19, 0
	s_mov_b32 s17, 0
                                        ; implicit-def: $vgpr8
	s_branch .LBB331_1930
.LBB331_1897:
	s_mov_b32 s20, -1
	s_mov_b32 s19, 0
	s_mov_b32 s17, 0
                                        ; implicit-def: $vgpr8
	s_branch .LBB331_1913
.LBB331_1898:
	s_mov_b32 s20, -1
	s_mov_b32 s19, 0
	s_mov_b32 s17, 0
                                        ; implicit-def: $vgpr8
	s_branch .LBB331_1908
.LBB331_1899:
	s_or_b32 s13, s13, exec_lo
	s_trap 2
	s_cbranch_execz .LBB331_1838
	s_branch .LBB331_1839
.LBB331_1900:
	s_mov_b32 s20, -1
	s_mov_b32 s19, 0
	s_mov_b32 s17, 0
	s_branch .LBB331_1902
.LBB331_1901:
	s_mov_b32 s17, -1
	s_mov_b32 s19, 0
.LBB331_1902:
                                        ; implicit-def: $vgpr8
.LBB331_1903:
	s_and_b32 vcc_lo, exec_lo, s20
	s_cbranch_vccz .LBB331_1907
; %bb.1904:
	s_cmp_eq_u32 s14, 44
	s_cbranch_scc0 .LBB331_1906
; %bb.1905:
	s_wait_loadcnt 0x0
	global_load_u8 v1, v[6:7], off
	s_mov_b32 s17, 0
	s_mov_b32 s19, -1
	s_wait_loadcnt 0x0
	v_lshlrev_b32_e32 v3, 23, v1
	v_cmp_ne_u32_e32 vcc_lo, 0, v1
	s_delay_alu instid0(VALU_DEP_2) | instskip(SKIP_1) | instid1(VALU_DEP_1)
	v_cvt_u32_f32_e32 v3, v3
	s_wait_xcnt 0x1
	v_cndmask_b32_e32 v8, 0, v3, vcc_lo
	s_branch .LBB331_1907
.LBB331_1906:
	s_mov_b32 s17, -1
                                        ; implicit-def: $vgpr8
.LBB331_1907:
	s_mov_b32 s20, 0
.LBB331_1908:
	s_delay_alu instid0(SALU_CYCLE_1)
	s_and_b32 vcc_lo, exec_lo, s20
	s_cbranch_vccz .LBB331_1912
; %bb.1909:
	s_cmp_eq_u32 s14, 29
	s_cbranch_scc0 .LBB331_1911
; %bb.1910:
	global_load_b64 v[8:9], v[6:7], off
	s_mov_b32 s17, 0
	s_mov_b32 s19, -1
	s_branch .LBB331_1912
.LBB331_1911:
	s_mov_b32 s17, -1
                                        ; implicit-def: $vgpr8
.LBB331_1912:
	s_mov_b32 s20, 0
.LBB331_1913:
	s_delay_alu instid0(SALU_CYCLE_1)
	s_and_b32 vcc_lo, exec_lo, s20
	s_cbranch_vccz .LBB331_1929
; %bb.1914:
	s_cmp_lt_i32 s14, 27
	s_cbranch_scc1 .LBB331_1917
; %bb.1915:
	s_cmp_gt_i32 s14, 27
	s_cbranch_scc0 .LBB331_1918
; %bb.1916:
	s_wait_loadcnt 0x0
	global_load_b32 v8, v[6:7], off
	s_mov_b32 s19, 0
	s_branch .LBB331_1919
.LBB331_1917:
	s_mov_b32 s19, -1
                                        ; implicit-def: $vgpr8
	s_branch .LBB331_1922
.LBB331_1918:
	s_mov_b32 s19, -1
                                        ; implicit-def: $vgpr8
.LBB331_1919:
	s_delay_alu instid0(SALU_CYCLE_1)
	s_and_not1_b32 vcc_lo, exec_lo, s19
	s_cbranch_vccnz .LBB331_1921
; %bb.1920:
	s_wait_loadcnt 0x0
	global_load_u16 v8, v[6:7], off
.LBB331_1921:
	s_mov_b32 s19, 0
.LBB331_1922:
	s_delay_alu instid0(SALU_CYCLE_1)
	s_and_not1_b32 vcc_lo, exec_lo, s19
	s_cbranch_vccnz .LBB331_1928
; %bb.1923:
	s_wait_loadcnt 0x0
	global_load_u8 v1, v[6:7], off
	s_mov_b32 s20, 0
	s_mov_b32 s19, exec_lo
	s_wait_loadcnt 0x0
	v_cmpx_lt_i16_e32 0x7f, v1
	s_xor_b32 s19, exec_lo, s19
	s_cbranch_execz .LBB331_1940
; %bb.1924:
	v_cmp_ne_u16_e32 vcc_lo, 0x80, v1
	s_and_b32 s20, vcc_lo, exec_lo
	s_and_not1_saveexec_b32 s19, s19
	s_cbranch_execnz .LBB331_1941
.LBB331_1925:
	s_or_b32 exec_lo, exec_lo, s19
	v_mov_b32_e32 v8, 0
	s_and_saveexec_b32 s19, s20
	s_cbranch_execz .LBB331_1927
.LBB331_1926:
	v_and_b32_e32 v3, 0xffff, v1
	s_delay_alu instid0(VALU_DEP_1) | instskip(SKIP_1) | instid1(VALU_DEP_2)
	v_and_b32_e32 v5, 7, v3
	v_bfe_u32 v11, v3, 3, 4
	v_clz_i32_u32_e32 v8, v5
	s_delay_alu instid0(VALU_DEP_2) | instskip(NEXT) | instid1(VALU_DEP_2)
	v_cmp_eq_u32_e32 vcc_lo, 0, v11
	v_min_u32_e32 v8, 32, v8
	s_delay_alu instid0(VALU_DEP_1) | instskip(NEXT) | instid1(VALU_DEP_1)
	v_subrev_nc_u32_e32 v9, 28, v8
	v_dual_lshlrev_b32 v3, v9, v3 :: v_dual_sub_nc_u32 v8, 29, v8
	s_delay_alu instid0(VALU_DEP_1) | instskip(NEXT) | instid1(VALU_DEP_1)
	v_dual_lshlrev_b32 v1, 24, v1 :: v_dual_bitop2_b32 v3, 7, v3 bitop3:0x40
	v_dual_cndmask_b32 v8, v11, v8 :: v_dual_cndmask_b32 v3, v5, v3
	s_delay_alu instid0(VALU_DEP_2) | instskip(NEXT) | instid1(VALU_DEP_2)
	v_and_b32_e32 v1, 0x80000000, v1
	v_lshl_add_u32 v5, v8, 23, 0x3b800000
	s_delay_alu instid0(VALU_DEP_3) | instskip(NEXT) | instid1(VALU_DEP_1)
	v_lshlrev_b32_e32 v3, 20, v3
	v_or3_b32 v1, v1, v5, v3
	s_delay_alu instid0(VALU_DEP_1)
	v_cvt_u32_f32_e32 v8, v1
.LBB331_1927:
	s_or_b32 exec_lo, exec_lo, s19
.LBB331_1928:
	s_mov_b32 s19, -1
.LBB331_1929:
	s_mov_b32 s20, 0
.LBB331_1930:
	s_delay_alu instid0(SALU_CYCLE_1)
	s_and_b32 vcc_lo, exec_lo, s20
	s_cbranch_vccz .LBB331_1961
; %bb.1931:
	s_cmp_gt_i32 s14, 22
	s_cbranch_scc0 .LBB331_1939
; %bb.1932:
	s_cmp_lt_i32 s14, 24
	s_cbranch_scc1 .LBB331_1942
; %bb.1933:
	s_cmp_gt_i32 s14, 24
	s_cbranch_scc0 .LBB331_1943
; %bb.1934:
	s_wait_loadcnt 0x0
	global_load_u8 v1, v[6:7], off
	s_mov_b32 s19, 0
	s_mov_b32 s18, exec_lo
	s_wait_loadcnt 0x0
	v_cmpx_lt_i16_e32 0x7f, v1
	s_xor_b32 s18, exec_lo, s18
	s_cbranch_execz .LBB331_1955
; %bb.1935:
	v_cmp_ne_u16_e32 vcc_lo, 0x80, v1
	s_and_b32 s19, vcc_lo, exec_lo
	s_and_not1_saveexec_b32 s18, s18
	s_cbranch_execnz .LBB331_1956
.LBB331_1936:
	s_or_b32 exec_lo, exec_lo, s18
	v_mov_b32_e32 v8, 0
	s_and_saveexec_b32 s18, s19
	s_cbranch_execz .LBB331_1938
.LBB331_1937:
	v_and_b32_e32 v3, 0xffff, v1
	s_delay_alu instid0(VALU_DEP_1) | instskip(SKIP_1) | instid1(VALU_DEP_2)
	v_and_b32_e32 v5, 3, v3
	v_bfe_u32 v11, v3, 2, 5
	v_clz_i32_u32_e32 v8, v5
	s_delay_alu instid0(VALU_DEP_2) | instskip(NEXT) | instid1(VALU_DEP_2)
	v_cmp_eq_u32_e32 vcc_lo, 0, v11
	v_min_u32_e32 v8, 32, v8
	s_delay_alu instid0(VALU_DEP_1) | instskip(NEXT) | instid1(VALU_DEP_1)
	v_subrev_nc_u32_e32 v9, 29, v8
	v_dual_lshlrev_b32 v3, v9, v3 :: v_dual_sub_nc_u32 v8, 30, v8
	s_delay_alu instid0(VALU_DEP_1) | instskip(NEXT) | instid1(VALU_DEP_1)
	v_dual_lshlrev_b32 v1, 24, v1 :: v_dual_bitop2_b32 v3, 3, v3 bitop3:0x40
	v_dual_cndmask_b32 v8, v11, v8 :: v_dual_cndmask_b32 v3, v5, v3
	s_delay_alu instid0(VALU_DEP_2) | instskip(NEXT) | instid1(VALU_DEP_2)
	v_and_b32_e32 v1, 0x80000000, v1
	v_lshl_add_u32 v5, v8, 23, 0x37800000
	s_delay_alu instid0(VALU_DEP_3) | instskip(NEXT) | instid1(VALU_DEP_1)
	v_lshlrev_b32_e32 v3, 21, v3
	v_or3_b32 v1, v1, v5, v3
	s_delay_alu instid0(VALU_DEP_1)
	v_cvt_u32_f32_e32 v8, v1
.LBB331_1938:
	s_or_b32 exec_lo, exec_lo, s18
	s_mov_b32 s18, 0
	s_branch .LBB331_1944
.LBB331_1939:
	s_mov_b32 s18, -1
                                        ; implicit-def: $vgpr8
	s_branch .LBB331_1950
.LBB331_1940:
	s_and_not1_saveexec_b32 s19, s19
	s_cbranch_execz .LBB331_1925
.LBB331_1941:
	v_cmp_ne_u16_e32 vcc_lo, 0, v1
	s_and_not1_b32 s20, s20, exec_lo
	s_and_b32 s21, vcc_lo, exec_lo
	s_delay_alu instid0(SALU_CYCLE_1)
	s_or_b32 s20, s20, s21
	s_or_b32 exec_lo, exec_lo, s19
	v_mov_b32_e32 v8, 0
	s_and_saveexec_b32 s19, s20
	s_cbranch_execnz .LBB331_1926
	s_branch .LBB331_1927
.LBB331_1942:
	s_mov_b32 s18, -1
                                        ; implicit-def: $vgpr8
	s_branch .LBB331_1947
.LBB331_1943:
	s_mov_b32 s18, -1
                                        ; implicit-def: $vgpr8
.LBB331_1944:
	s_delay_alu instid0(SALU_CYCLE_1)
	s_and_b32 vcc_lo, exec_lo, s18
	s_cbranch_vccz .LBB331_1946
; %bb.1945:
	s_wait_loadcnt 0x0
	global_load_u8 v1, v[6:7], off
	s_wait_loadcnt 0x0
	v_lshlrev_b32_e32 v1, 24, v1
	s_delay_alu instid0(VALU_DEP_1) | instskip(NEXT) | instid1(VALU_DEP_1)
	v_and_b32_e32 v3, 0x7f000000, v1
	v_clz_i32_u32_e32 v5, v3
	s_wait_xcnt 0x1
	v_add_nc_u32_e32 v9, 0x1000000, v3
	v_cmp_ne_u32_e32 vcc_lo, 0, v3
	s_delay_alu instid0(VALU_DEP_3) | instskip(NEXT) | instid1(VALU_DEP_1)
	v_min_u32_e32 v5, 32, v5
	v_sub_nc_u32_e64 v5, v5, 4 clamp
	s_delay_alu instid0(VALU_DEP_1) | instskip(NEXT) | instid1(VALU_DEP_1)
	v_dual_lshlrev_b32 v8, v5, v3 :: v_dual_lshlrev_b32 v5, 23, v5
	v_lshrrev_b32_e32 v8, 4, v8
	s_delay_alu instid0(VALU_DEP_1) | instskip(SKIP_1) | instid1(VALU_DEP_2)
	v_sub_nc_u32_e32 v5, v8, v5
	v_ashrrev_i32_e32 v8, 8, v9
	v_add_nc_u32_e32 v5, 0x3c000000, v5
	s_delay_alu instid0(VALU_DEP_1) | instskip(NEXT) | instid1(VALU_DEP_1)
	v_and_or_b32 v5, 0x7f800000, v8, v5
	v_cndmask_b32_e32 v3, 0, v5, vcc_lo
	s_delay_alu instid0(VALU_DEP_1) | instskip(NEXT) | instid1(VALU_DEP_1)
	v_and_or_b32 v1, 0x80000000, v1, v3
	v_cvt_u32_f32_e32 v8, v1
.LBB331_1946:
	s_mov_b32 s18, 0
.LBB331_1947:
	s_delay_alu instid0(SALU_CYCLE_1)
	s_and_not1_b32 vcc_lo, exec_lo, s18
	s_cbranch_vccnz .LBB331_1949
; %bb.1948:
	s_wait_loadcnt 0x0
	global_load_u8 v1, v[6:7], off
	s_wait_loadcnt 0x0
	v_lshlrev_b32_e32 v3, 25, v1
	v_lshlrev_b16 v1, 8, v1
	s_wait_xcnt 0x1
	s_delay_alu instid0(VALU_DEP_1) | instskip(SKIP_1) | instid1(VALU_DEP_2)
	v_and_or_b32 v8, 0x7f00, v1, 0.5
	v_bfe_i32 v1, v1, 0, 16
	v_dual_add_f32 v8, -0.5, v8 :: v_dual_lshrrev_b32 v5, 4, v3
	v_cmp_gt_u32_e32 vcc_lo, 0x8000000, v3
	s_delay_alu instid0(VALU_DEP_2) | instskip(NEXT) | instid1(VALU_DEP_1)
	v_or_b32_e32 v5, 0x70000000, v5
	v_mul_f32_e32 v5, 0x7800000, v5
	s_delay_alu instid0(VALU_DEP_1) | instskip(NEXT) | instid1(VALU_DEP_1)
	v_cndmask_b32_e32 v3, v5, v8, vcc_lo
	v_and_or_b32 v1, 0x80000000, v1, v3
	s_delay_alu instid0(VALU_DEP_1)
	v_cvt_u32_f32_e32 v8, v1
.LBB331_1949:
	s_mov_b32 s18, 0
	s_mov_b32 s19, -1
.LBB331_1950:
	s_and_not1_b32 vcc_lo, exec_lo, s18
	s_mov_b32 s18, 0
	s_cbranch_vccnz .LBB331_1961
; %bb.1951:
	s_cmp_gt_i32 s14, 14
	s_cbranch_scc0 .LBB331_1954
; %bb.1952:
	s_cmp_eq_u32 s14, 15
	s_cbranch_scc0 .LBB331_1957
; %bb.1953:
	s_wait_loadcnt 0x0
	global_load_u16 v1, v[6:7], off
	s_mov_b32 s17, 0
	s_mov_b32 s19, -1
	s_wait_loadcnt 0x0
	v_lshlrev_b32_e32 v1, 16, v1
	s_wait_xcnt 0x1
	s_delay_alu instid0(VALU_DEP_1)
	v_cvt_u32_f32_e32 v8, v1
	s_branch .LBB331_1959
.LBB331_1954:
	s_mov_b32 s18, -1
	s_branch .LBB331_1958
.LBB331_1955:
	s_and_not1_saveexec_b32 s18, s18
	s_cbranch_execz .LBB331_1936
.LBB331_1956:
	v_cmp_ne_u16_e32 vcc_lo, 0, v1
	s_and_not1_b32 s19, s19, exec_lo
	s_and_b32 s20, vcc_lo, exec_lo
	s_delay_alu instid0(SALU_CYCLE_1)
	s_or_b32 s19, s19, s20
	s_or_b32 exec_lo, exec_lo, s18
	v_mov_b32_e32 v8, 0
	s_and_saveexec_b32 s18, s19
	s_cbranch_execnz .LBB331_1937
	s_branch .LBB331_1938
.LBB331_1957:
	s_mov_b32 s17, -1
.LBB331_1958:
                                        ; implicit-def: $vgpr8
.LBB331_1959:
	s_and_b32 vcc_lo, exec_lo, s18
	s_mov_b32 s18, 0
	s_cbranch_vccz .LBB331_1961
; %bb.1960:
	s_cmp_lg_u32 s14, 11
	s_mov_b32 s18, -1
	s_cselect_b32 s17, -1, 0
.LBB331_1961:
	s_delay_alu instid0(SALU_CYCLE_1)
	s_and_b32 vcc_lo, exec_lo, s17
	s_cbranch_vccnz .LBB331_2026
; %bb.1962:
	s_and_not1_b32 vcc_lo, exec_lo, s18
	s_cbranch_vccnz .LBB331_1964
.LBB331_1963:
	s_wait_loadcnt 0x0
	global_load_u8 v1, v[6:7], off
	s_mov_b32 s19, -1
	s_wait_loadcnt 0x0
	v_cmp_ne_u16_e32 vcc_lo, 0, v1
	s_wait_xcnt 0x1
	v_cndmask_b32_e64 v8, 0, 1, vcc_lo
.LBB331_1964:
	s_mov_b32 s14, 0
.LBB331_1965:
	s_delay_alu instid0(SALU_CYCLE_1)
	s_and_b32 vcc_lo, exec_lo, s14
	s_cbranch_vccz .LBB331_2014
; %bb.1966:
	s_and_b32 s14, 0xffff, s1
	s_delay_alu instid0(SALU_CYCLE_1)
	s_cmp_lt_i32 s14, 5
	s_cbranch_scc1 .LBB331_1971
; %bb.1967:
	s_cmp_lt_i32 s14, 8
	s_cbranch_scc1 .LBB331_1972
; %bb.1968:
	;; [unrolled: 3-line block ×3, first 2 shown]
	s_cmp_gt_i32 s14, 9
	s_cbranch_scc0 .LBB331_1974
; %bb.1970:
	s_wait_loadcnt 0x0
	global_load_b64 v[8:9], v[6:7], off
	s_mov_b32 s17, 0
	s_wait_loadcnt 0x0
	v_cvt_u32_f64_e32 v8, v[8:9]
	s_branch .LBB331_1975
.LBB331_1971:
	s_mov_b32 s17, -1
                                        ; implicit-def: $vgpr8
	s_branch .LBB331_1993
.LBB331_1972:
	s_mov_b32 s17, -1
                                        ; implicit-def: $vgpr8
	s_branch .LBB331_1981
.LBB331_1973:
	s_mov_b32 s17, -1
                                        ; implicit-def: $vgpr8
	s_branch .LBB331_1978
.LBB331_1974:
	s_mov_b32 s17, -1
                                        ; implicit-def: $vgpr8
.LBB331_1975:
	s_delay_alu instid0(SALU_CYCLE_1)
	s_and_not1_b32 vcc_lo, exec_lo, s17
	s_cbranch_vccnz .LBB331_1977
; %bb.1976:
	s_wait_loadcnt 0x0
	global_load_b32 v1, v[6:7], off
	s_wait_loadcnt 0x0
	s_wait_xcnt 0x1
	v_cvt_u32_f32_e32 v8, v1
.LBB331_1977:
	s_mov_b32 s17, 0
.LBB331_1978:
	s_delay_alu instid0(SALU_CYCLE_1)
	s_and_not1_b32 vcc_lo, exec_lo, s17
	s_cbranch_vccnz .LBB331_1980
; %bb.1979:
	s_wait_loadcnt 0x0
	global_load_b32 v1, v[6:7], off
	s_wait_loadcnt 0x0
	s_wait_xcnt 0x1
	v_cvt_u16_f16_e32 v8, v1
.LBB331_1980:
	s_mov_b32 s17, 0
.LBB331_1981:
	s_delay_alu instid0(SALU_CYCLE_1)
	s_and_not1_b32 vcc_lo, exec_lo, s17
	s_cbranch_vccnz .LBB331_1992
; %bb.1982:
	s_cmp_lt_i32 s14, 6
	s_cbranch_scc1 .LBB331_1985
; %bb.1983:
	s_cmp_gt_i32 s14, 6
	s_cbranch_scc0 .LBB331_1986
; %bb.1984:
	s_wait_loadcnt 0x0
	global_load_b64 v[8:9], v[6:7], off
	s_mov_b32 s17, 0
	s_wait_loadcnt 0x0
	v_cvt_u32_f64_e32 v8, v[8:9]
	s_branch .LBB331_1987
.LBB331_1985:
	s_mov_b32 s17, -1
                                        ; implicit-def: $vgpr8
	s_branch .LBB331_1990
.LBB331_1986:
	s_mov_b32 s17, -1
                                        ; implicit-def: $vgpr8
.LBB331_1987:
	s_delay_alu instid0(SALU_CYCLE_1)
	s_and_not1_b32 vcc_lo, exec_lo, s17
	s_cbranch_vccnz .LBB331_1989
; %bb.1988:
	s_wait_loadcnt 0x0
	global_load_b32 v1, v[6:7], off
	s_wait_loadcnt 0x0
	s_wait_xcnt 0x1
	v_cvt_u32_f32_e32 v8, v1
.LBB331_1989:
	s_mov_b32 s17, 0
.LBB331_1990:
	s_delay_alu instid0(SALU_CYCLE_1)
	s_and_not1_b32 vcc_lo, exec_lo, s17
	s_cbranch_vccnz .LBB331_1992
; %bb.1991:
	s_wait_loadcnt 0x0
	global_load_u16 v1, v[6:7], off
	s_wait_loadcnt 0x0
	s_wait_xcnt 0x1
	v_cvt_u16_f16_e32 v8, v1
.LBB331_1992:
	s_mov_b32 s17, 0
.LBB331_1993:
	s_delay_alu instid0(SALU_CYCLE_1)
	s_and_not1_b32 vcc_lo, exec_lo, s17
	s_cbranch_vccnz .LBB331_2013
; %bb.1994:
	s_cmp_lt_i32 s14, 2
	s_cbranch_scc1 .LBB331_1998
; %bb.1995:
	s_cmp_lt_i32 s14, 3
	s_cbranch_scc1 .LBB331_1999
; %bb.1996:
	s_cmp_gt_i32 s14, 3
	s_cbranch_scc0 .LBB331_2000
; %bb.1997:
	s_wait_loadcnt 0x0
	global_load_b64 v[8:9], v[6:7], off
	s_mov_b32 s17, 0
	s_branch .LBB331_2001
.LBB331_1998:
	s_mov_b32 s17, -1
                                        ; implicit-def: $vgpr8
	s_branch .LBB331_2007
.LBB331_1999:
	s_mov_b32 s17, -1
                                        ; implicit-def: $vgpr8
	s_branch .LBB331_2004
.LBB331_2000:
	s_mov_b32 s17, -1
                                        ; implicit-def: $vgpr8
.LBB331_2001:
	s_delay_alu instid0(SALU_CYCLE_1)
	s_and_not1_b32 vcc_lo, exec_lo, s17
	s_cbranch_vccnz .LBB331_2003
; %bb.2002:
	s_wait_loadcnt 0x0
	global_load_b32 v8, v[6:7], off
.LBB331_2003:
	s_mov_b32 s17, 0
.LBB331_2004:
	s_delay_alu instid0(SALU_CYCLE_1)
	s_and_not1_b32 vcc_lo, exec_lo, s17
	s_cbranch_vccnz .LBB331_2006
; %bb.2005:
	s_wait_loadcnt 0x0
	global_load_u16 v8, v[6:7], off
.LBB331_2006:
	s_mov_b32 s17, 0
.LBB331_2007:
	s_delay_alu instid0(SALU_CYCLE_1)
	s_and_not1_b32 vcc_lo, exec_lo, s17
	s_cbranch_vccnz .LBB331_2013
; %bb.2008:
	s_cmp_gt_i32 s14, 0
	s_mov_b32 s14, 0
	s_cbranch_scc0 .LBB331_2010
; %bb.2009:
	s_wait_loadcnt 0x0
	global_load_i8 v8, v[6:7], off
	s_branch .LBB331_2011
.LBB331_2010:
	s_mov_b32 s14, -1
                                        ; implicit-def: $vgpr8
.LBB331_2011:
	s_delay_alu instid0(SALU_CYCLE_1)
	s_and_not1_b32 vcc_lo, exec_lo, s14
	s_cbranch_vccnz .LBB331_2013
; %bb.2012:
	s_wait_loadcnt 0x0
	global_load_u8 v8, v[6:7], off
.LBB331_2013:
	s_mov_b32 s19, -1
.LBB331_2014:
	s_delay_alu instid0(SALU_CYCLE_1)
	s_and_not1_b32 vcc_lo, exec_lo, s19
	s_cbranch_vccnz .LBB331_2957
; %bb.2015:
	v_add_nc_u32_e32 v10, s9, v10
	s_cmp_lt_i32 s0, 11
	s_delay_alu instid0(VALU_DEP_1) | instskip(NEXT) | instid1(VALU_DEP_1)
	v_ashrrev_i32_e32 v11, 31, v10
	v_add_nc_u64_e32 v[14:15], s[6:7], v[10:11]
	s_cbranch_scc1 .LBB331_2022
; %bb.2016:
	s_and_b32 s14, 0xffff, s0
	s_mov_b32 s18, 0
	s_cmp_gt_i32 s14, 25
	s_cbranch_scc0 .LBB331_2023
; %bb.2017:
	s_cmp_gt_i32 s14, 28
	s_cbranch_scc0 .LBB331_2024
; %bb.2018:
	;; [unrolled: 3-line block ×4, first 2 shown]
	s_cmp_eq_u32 s14, 46
	s_mov_b32 s20, 0
	s_cbranch_scc0 .LBB331_2028
; %bb.2021:
	s_wait_loadcnt 0x0
	global_load_b32 v1, v[14:15], off
	s_mov_b32 s17, 0
	s_mov_b32 s19, -1
	s_wait_loadcnt 0x0
	v_lshlrev_b32_e32 v1, 16, v1
	s_wait_xcnt 0x1
	s_delay_alu instid0(VALU_DEP_1)
	v_cvt_u32_f32_e32 v6, v1
	s_branch .LBB331_2030
.LBB331_2022:
	s_mov_b32 s14, -1
	s_mov_b32 s19, 0
                                        ; implicit-def: $vgpr6
	s_branch .LBB331_2092
.LBB331_2023:
	s_mov_b32 s20, -1
	s_mov_b32 s19, 0
	s_mov_b32 s17, 0
                                        ; implicit-def: $vgpr6
	s_branch .LBB331_2057
.LBB331_2024:
	s_mov_b32 s20, -1
	s_mov_b32 s19, 0
	s_mov_b32 s17, 0
                                        ; implicit-def: $vgpr6
	s_branch .LBB331_2040
.LBB331_2025:
	s_mov_b32 s20, -1
	s_mov_b32 s19, 0
	s_mov_b32 s17, 0
                                        ; implicit-def: $vgpr6
	s_branch .LBB331_2035
.LBB331_2026:
	s_or_b32 s13, s13, exec_lo
	s_trap 2
	s_cbranch_execz .LBB331_1963
	s_branch .LBB331_1964
.LBB331_2027:
	s_mov_b32 s20, -1
	s_mov_b32 s19, 0
	s_mov_b32 s17, 0
	s_branch .LBB331_2029
.LBB331_2028:
	s_mov_b32 s17, -1
	s_mov_b32 s19, 0
.LBB331_2029:
                                        ; implicit-def: $vgpr6
.LBB331_2030:
	s_and_b32 vcc_lo, exec_lo, s20
	s_cbranch_vccz .LBB331_2034
; %bb.2031:
	s_cmp_eq_u32 s14, 44
	s_cbranch_scc0 .LBB331_2033
; %bb.2032:
	s_wait_loadcnt 0x0
	global_load_u8 v1, v[14:15], off
	s_mov_b32 s17, 0
	s_mov_b32 s19, -1
	s_wait_loadcnt 0x0
	v_lshlrev_b32_e32 v3, 23, v1
	v_cmp_ne_u32_e32 vcc_lo, 0, v1
	s_delay_alu instid0(VALU_DEP_2) | instskip(SKIP_1) | instid1(VALU_DEP_1)
	v_cvt_u32_f32_e32 v3, v3
	s_wait_xcnt 0x1
	v_cndmask_b32_e32 v6, 0, v3, vcc_lo
	s_branch .LBB331_2034
.LBB331_2033:
	s_mov_b32 s17, -1
                                        ; implicit-def: $vgpr6
.LBB331_2034:
	s_mov_b32 s20, 0
.LBB331_2035:
	s_delay_alu instid0(SALU_CYCLE_1)
	s_and_b32 vcc_lo, exec_lo, s20
	s_cbranch_vccz .LBB331_2039
; %bb.2036:
	s_cmp_eq_u32 s14, 29
	s_cbranch_scc0 .LBB331_2038
; %bb.2037:
	global_load_b64 v[6:7], v[14:15], off
	s_mov_b32 s17, 0
	s_mov_b32 s19, -1
	s_branch .LBB331_2039
.LBB331_2038:
	s_mov_b32 s17, -1
                                        ; implicit-def: $vgpr6
.LBB331_2039:
	s_mov_b32 s20, 0
.LBB331_2040:
	s_delay_alu instid0(SALU_CYCLE_1)
	s_and_b32 vcc_lo, exec_lo, s20
	s_cbranch_vccz .LBB331_2056
; %bb.2041:
	s_cmp_lt_i32 s14, 27
	s_cbranch_scc1 .LBB331_2044
; %bb.2042:
	s_cmp_gt_i32 s14, 27
	s_cbranch_scc0 .LBB331_2045
; %bb.2043:
	s_wait_loadcnt 0x0
	global_load_b32 v6, v[14:15], off
	s_mov_b32 s19, 0
	s_branch .LBB331_2046
.LBB331_2044:
	s_mov_b32 s19, -1
                                        ; implicit-def: $vgpr6
	s_branch .LBB331_2049
.LBB331_2045:
	s_mov_b32 s19, -1
                                        ; implicit-def: $vgpr6
.LBB331_2046:
	s_delay_alu instid0(SALU_CYCLE_1)
	s_and_not1_b32 vcc_lo, exec_lo, s19
	s_cbranch_vccnz .LBB331_2048
; %bb.2047:
	s_wait_loadcnt 0x0
	global_load_u16 v6, v[14:15], off
.LBB331_2048:
	s_mov_b32 s19, 0
.LBB331_2049:
	s_delay_alu instid0(SALU_CYCLE_1)
	s_and_not1_b32 vcc_lo, exec_lo, s19
	s_cbranch_vccnz .LBB331_2055
; %bb.2050:
	s_wait_loadcnt 0x0
	global_load_u8 v1, v[14:15], off
	s_mov_b32 s20, 0
	s_mov_b32 s19, exec_lo
	s_wait_loadcnt 0x0
	v_cmpx_lt_i16_e32 0x7f, v1
	s_xor_b32 s19, exec_lo, s19
	s_cbranch_execz .LBB331_2067
; %bb.2051:
	v_cmp_ne_u16_e32 vcc_lo, 0x80, v1
	s_and_b32 s20, vcc_lo, exec_lo
	s_and_not1_saveexec_b32 s19, s19
	s_cbranch_execnz .LBB331_2068
.LBB331_2052:
	s_or_b32 exec_lo, exec_lo, s19
	v_mov_b32_e32 v6, 0
	s_and_saveexec_b32 s19, s20
	s_cbranch_execz .LBB331_2054
.LBB331_2053:
	v_and_b32_e32 v3, 0xffff, v1
	s_delay_alu instid0(VALU_DEP_1) | instskip(SKIP_1) | instid1(VALU_DEP_2)
	v_and_b32_e32 v5, 7, v3
	v_bfe_u32 v9, v3, 3, 4
	v_clz_i32_u32_e32 v6, v5
	s_delay_alu instid0(VALU_DEP_2) | instskip(NEXT) | instid1(VALU_DEP_2)
	v_cmp_eq_u32_e32 vcc_lo, 0, v9
	v_min_u32_e32 v6, 32, v6
	s_delay_alu instid0(VALU_DEP_1) | instskip(NEXT) | instid1(VALU_DEP_1)
	v_subrev_nc_u32_e32 v7, 28, v6
	v_dual_lshlrev_b32 v3, v7, v3 :: v_dual_sub_nc_u32 v6, 29, v6
	s_delay_alu instid0(VALU_DEP_1) | instskip(NEXT) | instid1(VALU_DEP_2)
	v_dual_lshlrev_b32 v1, 24, v1 :: v_dual_bitop2_b32 v3, 7, v3 bitop3:0x40
	v_cndmask_b32_e32 v6, v9, v6, vcc_lo
	s_delay_alu instid0(VALU_DEP_2) | instskip(NEXT) | instid1(VALU_DEP_3)
	v_cndmask_b32_e32 v3, v5, v3, vcc_lo
	v_and_b32_e32 v1, 0x80000000, v1
	s_delay_alu instid0(VALU_DEP_3) | instskip(NEXT) | instid1(VALU_DEP_3)
	v_lshl_add_u32 v5, v6, 23, 0x3b800000
	v_lshlrev_b32_e32 v3, 20, v3
	s_delay_alu instid0(VALU_DEP_1) | instskip(NEXT) | instid1(VALU_DEP_1)
	v_or3_b32 v1, v1, v5, v3
	v_cvt_u32_f32_e32 v6, v1
.LBB331_2054:
	s_or_b32 exec_lo, exec_lo, s19
.LBB331_2055:
	s_mov_b32 s19, -1
.LBB331_2056:
	s_mov_b32 s20, 0
.LBB331_2057:
	s_delay_alu instid0(SALU_CYCLE_1)
	s_and_b32 vcc_lo, exec_lo, s20
	s_cbranch_vccz .LBB331_2088
; %bb.2058:
	s_cmp_gt_i32 s14, 22
	s_cbranch_scc0 .LBB331_2066
; %bb.2059:
	s_cmp_lt_i32 s14, 24
	s_cbranch_scc1 .LBB331_2069
; %bb.2060:
	s_cmp_gt_i32 s14, 24
	s_cbranch_scc0 .LBB331_2070
; %bb.2061:
	s_wait_loadcnt 0x0
	global_load_u8 v1, v[14:15], off
	s_mov_b32 s19, 0
	s_mov_b32 s18, exec_lo
	s_wait_loadcnt 0x0
	v_cmpx_lt_i16_e32 0x7f, v1
	s_xor_b32 s18, exec_lo, s18
	s_cbranch_execz .LBB331_2082
; %bb.2062:
	v_cmp_ne_u16_e32 vcc_lo, 0x80, v1
	s_and_b32 s19, vcc_lo, exec_lo
	s_and_not1_saveexec_b32 s18, s18
	s_cbranch_execnz .LBB331_2083
.LBB331_2063:
	s_or_b32 exec_lo, exec_lo, s18
	v_mov_b32_e32 v6, 0
	s_and_saveexec_b32 s18, s19
	s_cbranch_execz .LBB331_2065
.LBB331_2064:
	v_and_b32_e32 v3, 0xffff, v1
	s_delay_alu instid0(VALU_DEP_1) | instskip(SKIP_1) | instid1(VALU_DEP_2)
	v_and_b32_e32 v5, 3, v3
	v_bfe_u32 v9, v3, 2, 5
	v_clz_i32_u32_e32 v6, v5
	s_delay_alu instid0(VALU_DEP_2) | instskip(NEXT) | instid1(VALU_DEP_2)
	v_cmp_eq_u32_e32 vcc_lo, 0, v9
	v_min_u32_e32 v6, 32, v6
	s_delay_alu instid0(VALU_DEP_1) | instskip(NEXT) | instid1(VALU_DEP_1)
	v_subrev_nc_u32_e32 v7, 29, v6
	v_dual_lshlrev_b32 v3, v7, v3 :: v_dual_sub_nc_u32 v6, 30, v6
	s_delay_alu instid0(VALU_DEP_1) | instskip(NEXT) | instid1(VALU_DEP_2)
	v_dual_lshlrev_b32 v1, 24, v1 :: v_dual_bitop2_b32 v3, 3, v3 bitop3:0x40
	v_cndmask_b32_e32 v6, v9, v6, vcc_lo
	s_delay_alu instid0(VALU_DEP_2) | instskip(NEXT) | instid1(VALU_DEP_3)
	v_cndmask_b32_e32 v3, v5, v3, vcc_lo
	v_and_b32_e32 v1, 0x80000000, v1
	s_delay_alu instid0(VALU_DEP_3) | instskip(NEXT) | instid1(VALU_DEP_3)
	v_lshl_add_u32 v5, v6, 23, 0x37800000
	v_lshlrev_b32_e32 v3, 21, v3
	s_delay_alu instid0(VALU_DEP_1) | instskip(NEXT) | instid1(VALU_DEP_1)
	v_or3_b32 v1, v1, v5, v3
	v_cvt_u32_f32_e32 v6, v1
.LBB331_2065:
	s_or_b32 exec_lo, exec_lo, s18
	s_mov_b32 s18, 0
	s_branch .LBB331_2071
.LBB331_2066:
	s_mov_b32 s18, -1
                                        ; implicit-def: $vgpr6
	s_branch .LBB331_2077
.LBB331_2067:
	s_and_not1_saveexec_b32 s19, s19
	s_cbranch_execz .LBB331_2052
.LBB331_2068:
	v_cmp_ne_u16_e32 vcc_lo, 0, v1
	s_and_not1_b32 s20, s20, exec_lo
	s_and_b32 s21, vcc_lo, exec_lo
	s_delay_alu instid0(SALU_CYCLE_1)
	s_or_b32 s20, s20, s21
	s_or_b32 exec_lo, exec_lo, s19
	v_mov_b32_e32 v6, 0
	s_and_saveexec_b32 s19, s20
	s_cbranch_execnz .LBB331_2053
	s_branch .LBB331_2054
.LBB331_2069:
	s_mov_b32 s18, -1
                                        ; implicit-def: $vgpr6
	s_branch .LBB331_2074
.LBB331_2070:
	s_mov_b32 s18, -1
                                        ; implicit-def: $vgpr6
.LBB331_2071:
	s_delay_alu instid0(SALU_CYCLE_1)
	s_and_b32 vcc_lo, exec_lo, s18
	s_cbranch_vccz .LBB331_2073
; %bb.2072:
	s_wait_loadcnt 0x0
	global_load_u8 v1, v[14:15], off
	s_wait_loadcnt 0x0
	v_lshlrev_b32_e32 v1, 24, v1
	s_delay_alu instid0(VALU_DEP_1) | instskip(NEXT) | instid1(VALU_DEP_1)
	v_and_b32_e32 v3, 0x7f000000, v1
	v_clz_i32_u32_e32 v5, v3
	s_wait_xcnt 0x1
	v_add_nc_u32_e32 v7, 0x1000000, v3
	v_cmp_ne_u32_e32 vcc_lo, 0, v3
	s_delay_alu instid0(VALU_DEP_3) | instskip(NEXT) | instid1(VALU_DEP_1)
	v_min_u32_e32 v5, 32, v5
	v_sub_nc_u32_e64 v5, v5, 4 clamp
	s_delay_alu instid0(VALU_DEP_1) | instskip(NEXT) | instid1(VALU_DEP_1)
	v_dual_lshlrev_b32 v6, v5, v3 :: v_dual_lshlrev_b32 v5, 23, v5
	v_lshrrev_b32_e32 v6, 4, v6
	s_delay_alu instid0(VALU_DEP_1) | instskip(NEXT) | instid1(VALU_DEP_1)
	v_dual_sub_nc_u32 v5, v6, v5 :: v_dual_ashrrev_i32 v6, 8, v7
	v_add_nc_u32_e32 v5, 0x3c000000, v5
	s_delay_alu instid0(VALU_DEP_1) | instskip(NEXT) | instid1(VALU_DEP_1)
	v_and_or_b32 v5, 0x7f800000, v6, v5
	v_cndmask_b32_e32 v3, 0, v5, vcc_lo
	s_delay_alu instid0(VALU_DEP_1) | instskip(NEXT) | instid1(VALU_DEP_1)
	v_and_or_b32 v1, 0x80000000, v1, v3
	v_cvt_u32_f32_e32 v6, v1
.LBB331_2073:
	s_mov_b32 s18, 0
.LBB331_2074:
	s_delay_alu instid0(SALU_CYCLE_1)
	s_and_not1_b32 vcc_lo, exec_lo, s18
	s_cbranch_vccnz .LBB331_2076
; %bb.2075:
	s_wait_loadcnt 0x0
	global_load_u8 v1, v[14:15], off
	s_wait_loadcnt 0x0
	v_lshlrev_b32_e32 v3, 25, v1
	v_lshlrev_b16 v1, 8, v1
	s_wait_xcnt 0x1
	s_delay_alu instid0(VALU_DEP_1) | instskip(SKIP_1) | instid1(VALU_DEP_2)
	v_and_or_b32 v6, 0x7f00, v1, 0.5
	v_bfe_i32 v1, v1, 0, 16
	v_dual_add_f32 v6, -0.5, v6 :: v_dual_lshrrev_b32 v5, 4, v3
	v_cmp_gt_u32_e32 vcc_lo, 0x8000000, v3
	s_delay_alu instid0(VALU_DEP_2) | instskip(NEXT) | instid1(VALU_DEP_1)
	v_or_b32_e32 v5, 0x70000000, v5
	v_mul_f32_e32 v5, 0x7800000, v5
	s_delay_alu instid0(VALU_DEP_1) | instskip(NEXT) | instid1(VALU_DEP_1)
	v_cndmask_b32_e32 v3, v5, v6, vcc_lo
	v_and_or_b32 v1, 0x80000000, v1, v3
	s_delay_alu instid0(VALU_DEP_1)
	v_cvt_u32_f32_e32 v6, v1
.LBB331_2076:
	s_mov_b32 s18, 0
	s_mov_b32 s19, -1
.LBB331_2077:
	s_and_not1_b32 vcc_lo, exec_lo, s18
	s_mov_b32 s18, 0
	s_cbranch_vccnz .LBB331_2088
; %bb.2078:
	s_cmp_gt_i32 s14, 14
	s_cbranch_scc0 .LBB331_2081
; %bb.2079:
	s_cmp_eq_u32 s14, 15
	s_cbranch_scc0 .LBB331_2084
; %bb.2080:
	s_wait_loadcnt 0x0
	global_load_u16 v1, v[14:15], off
	s_mov_b32 s17, 0
	s_mov_b32 s19, -1
	s_wait_loadcnt 0x0
	v_lshlrev_b32_e32 v1, 16, v1
	s_wait_xcnt 0x1
	s_delay_alu instid0(VALU_DEP_1)
	v_cvt_u32_f32_e32 v6, v1
	s_branch .LBB331_2086
.LBB331_2081:
	s_mov_b32 s18, -1
	s_branch .LBB331_2085
.LBB331_2082:
	s_and_not1_saveexec_b32 s18, s18
	s_cbranch_execz .LBB331_2063
.LBB331_2083:
	v_cmp_ne_u16_e32 vcc_lo, 0, v1
	s_and_not1_b32 s19, s19, exec_lo
	s_and_b32 s20, vcc_lo, exec_lo
	s_delay_alu instid0(SALU_CYCLE_1)
	s_or_b32 s19, s19, s20
	s_or_b32 exec_lo, exec_lo, s18
	v_mov_b32_e32 v6, 0
	s_and_saveexec_b32 s18, s19
	s_cbranch_execnz .LBB331_2064
	s_branch .LBB331_2065
.LBB331_2084:
	s_mov_b32 s17, -1
.LBB331_2085:
                                        ; implicit-def: $vgpr6
.LBB331_2086:
	s_and_b32 vcc_lo, exec_lo, s18
	s_mov_b32 s18, 0
	s_cbranch_vccz .LBB331_2088
; %bb.2087:
	s_cmp_lg_u32 s14, 11
	s_mov_b32 s18, -1
	s_cselect_b32 s17, -1, 0
.LBB331_2088:
	s_delay_alu instid0(SALU_CYCLE_1)
	s_and_b32 vcc_lo, exec_lo, s17
	s_cbranch_vccnz .LBB331_2153
; %bb.2089:
	s_and_not1_b32 vcc_lo, exec_lo, s18
	s_cbranch_vccnz .LBB331_2091
.LBB331_2090:
	s_wait_loadcnt 0x0
	global_load_u8 v1, v[14:15], off
	s_mov_b32 s19, -1
	s_wait_loadcnt 0x0
	v_cmp_ne_u16_e32 vcc_lo, 0, v1
	s_wait_xcnt 0x1
	v_cndmask_b32_e64 v6, 0, 1, vcc_lo
.LBB331_2091:
	s_mov_b32 s14, 0
.LBB331_2092:
	s_delay_alu instid0(SALU_CYCLE_1)
	s_and_b32 vcc_lo, exec_lo, s14
	s_cbranch_vccz .LBB331_2141
; %bb.2093:
	s_and_b32 s14, 0xffff, s0
	s_delay_alu instid0(SALU_CYCLE_1)
	s_cmp_lt_i32 s14, 5
	s_cbranch_scc1 .LBB331_2098
; %bb.2094:
	s_cmp_lt_i32 s14, 8
	s_cbranch_scc1 .LBB331_2099
; %bb.2095:
	;; [unrolled: 3-line block ×3, first 2 shown]
	s_cmp_gt_i32 s14, 9
	s_cbranch_scc0 .LBB331_2101
; %bb.2097:
	s_wait_loadcnt 0x0
	global_load_b64 v[6:7], v[14:15], off
	s_mov_b32 s17, 0
	s_wait_loadcnt 0x0
	v_cvt_u32_f64_e32 v6, v[6:7]
	s_branch .LBB331_2102
.LBB331_2098:
	s_mov_b32 s17, -1
                                        ; implicit-def: $vgpr6
	s_branch .LBB331_2120
.LBB331_2099:
	s_mov_b32 s17, -1
                                        ; implicit-def: $vgpr6
	s_branch .LBB331_2108
.LBB331_2100:
	s_mov_b32 s17, -1
                                        ; implicit-def: $vgpr6
	s_branch .LBB331_2105
.LBB331_2101:
	s_mov_b32 s17, -1
                                        ; implicit-def: $vgpr6
.LBB331_2102:
	s_delay_alu instid0(SALU_CYCLE_1)
	s_and_not1_b32 vcc_lo, exec_lo, s17
	s_cbranch_vccnz .LBB331_2104
; %bb.2103:
	s_wait_loadcnt 0x0
	global_load_b32 v1, v[14:15], off
	s_wait_loadcnt 0x0
	s_wait_xcnt 0x1
	v_cvt_u32_f32_e32 v6, v1
.LBB331_2104:
	s_mov_b32 s17, 0
.LBB331_2105:
	s_delay_alu instid0(SALU_CYCLE_1)
	s_and_not1_b32 vcc_lo, exec_lo, s17
	s_cbranch_vccnz .LBB331_2107
; %bb.2106:
	s_wait_loadcnt 0x0
	global_load_b32 v1, v[14:15], off
	s_wait_loadcnt 0x0
	s_wait_xcnt 0x1
	v_cvt_u16_f16_e32 v6, v1
.LBB331_2107:
	s_mov_b32 s17, 0
.LBB331_2108:
	s_delay_alu instid0(SALU_CYCLE_1)
	s_and_not1_b32 vcc_lo, exec_lo, s17
	s_cbranch_vccnz .LBB331_2119
; %bb.2109:
	s_cmp_lt_i32 s14, 6
	s_cbranch_scc1 .LBB331_2112
; %bb.2110:
	s_cmp_gt_i32 s14, 6
	s_cbranch_scc0 .LBB331_2113
; %bb.2111:
	s_wait_loadcnt 0x0
	global_load_b64 v[6:7], v[14:15], off
	s_mov_b32 s17, 0
	s_wait_loadcnt 0x0
	v_cvt_u32_f64_e32 v6, v[6:7]
	s_branch .LBB331_2114
.LBB331_2112:
	s_mov_b32 s17, -1
                                        ; implicit-def: $vgpr6
	s_branch .LBB331_2117
.LBB331_2113:
	s_mov_b32 s17, -1
                                        ; implicit-def: $vgpr6
.LBB331_2114:
	s_delay_alu instid0(SALU_CYCLE_1)
	s_and_not1_b32 vcc_lo, exec_lo, s17
	s_cbranch_vccnz .LBB331_2116
; %bb.2115:
	s_wait_loadcnt 0x0
	global_load_b32 v1, v[14:15], off
	s_wait_loadcnt 0x0
	s_wait_xcnt 0x1
	v_cvt_u32_f32_e32 v6, v1
.LBB331_2116:
	s_mov_b32 s17, 0
.LBB331_2117:
	s_delay_alu instid0(SALU_CYCLE_1)
	s_and_not1_b32 vcc_lo, exec_lo, s17
	s_cbranch_vccnz .LBB331_2119
; %bb.2118:
	s_wait_loadcnt 0x0
	global_load_u16 v1, v[14:15], off
	s_wait_loadcnt 0x0
	s_wait_xcnt 0x1
	v_cvt_u16_f16_e32 v6, v1
.LBB331_2119:
	s_mov_b32 s17, 0
.LBB331_2120:
	s_delay_alu instid0(SALU_CYCLE_1)
	s_and_not1_b32 vcc_lo, exec_lo, s17
	s_cbranch_vccnz .LBB331_2140
; %bb.2121:
	s_cmp_lt_i32 s14, 2
	s_cbranch_scc1 .LBB331_2125
; %bb.2122:
	s_cmp_lt_i32 s14, 3
	s_cbranch_scc1 .LBB331_2126
; %bb.2123:
	s_cmp_gt_i32 s14, 3
	s_cbranch_scc0 .LBB331_2127
; %bb.2124:
	s_wait_loadcnt 0x0
	global_load_b64 v[6:7], v[14:15], off
	s_mov_b32 s17, 0
	s_branch .LBB331_2128
.LBB331_2125:
	s_mov_b32 s17, -1
                                        ; implicit-def: $vgpr6
	s_branch .LBB331_2134
.LBB331_2126:
	s_mov_b32 s17, -1
                                        ; implicit-def: $vgpr6
	s_branch .LBB331_2131
.LBB331_2127:
	s_mov_b32 s17, -1
                                        ; implicit-def: $vgpr6
.LBB331_2128:
	s_delay_alu instid0(SALU_CYCLE_1)
	s_and_not1_b32 vcc_lo, exec_lo, s17
	s_cbranch_vccnz .LBB331_2130
; %bb.2129:
	s_wait_loadcnt 0x0
	global_load_b32 v6, v[14:15], off
.LBB331_2130:
	s_mov_b32 s17, 0
.LBB331_2131:
	s_delay_alu instid0(SALU_CYCLE_1)
	s_and_not1_b32 vcc_lo, exec_lo, s17
	s_cbranch_vccnz .LBB331_2133
; %bb.2132:
	s_wait_loadcnt 0x0
	global_load_u16 v6, v[14:15], off
.LBB331_2133:
	s_mov_b32 s17, 0
.LBB331_2134:
	s_delay_alu instid0(SALU_CYCLE_1)
	s_and_not1_b32 vcc_lo, exec_lo, s17
	s_cbranch_vccnz .LBB331_2140
; %bb.2135:
	s_cmp_gt_i32 s14, 0
	s_mov_b32 s14, 0
	s_cbranch_scc0 .LBB331_2137
; %bb.2136:
	s_wait_loadcnt 0x0
	global_load_i8 v6, v[14:15], off
	s_branch .LBB331_2138
.LBB331_2137:
	s_mov_b32 s14, -1
                                        ; implicit-def: $vgpr6
.LBB331_2138:
	s_delay_alu instid0(SALU_CYCLE_1)
	s_and_not1_b32 vcc_lo, exec_lo, s14
	s_cbranch_vccnz .LBB331_2140
; %bb.2139:
	s_wait_loadcnt 0x0
	global_load_u8 v6, v[14:15], off
.LBB331_2140:
	s_mov_b32 s19, -1
.LBB331_2141:
	s_delay_alu instid0(SALU_CYCLE_1)
	s_and_not1_b32 vcc_lo, exec_lo, s19
	s_cbranch_vccnz .LBB331_2957
; %bb.2142:
	s_wait_xcnt 0x0
	v_add_nc_u32_e32 v14, s10, v12
	s_cmp_lt_i32 s1, 11
	s_delay_alu instid0(VALU_DEP_1) | instskip(NEXT) | instid1(VALU_DEP_1)
	v_ashrrev_i32_e32 v15, 31, v14
	v_add_nc_u64_e32 v[16:17], s[2:3], v[14:15]
	s_cbranch_scc1 .LBB331_2149
; %bb.2143:
	s_and_b32 s14, 0xffff, s1
	s_mov_b32 s18, 0
	s_cmp_gt_i32 s14, 25
	s_cbranch_scc0 .LBB331_2150
; %bb.2144:
	s_cmp_gt_i32 s14, 28
	s_cbranch_scc0 .LBB331_2151
; %bb.2145:
	;; [unrolled: 3-line block ×4, first 2 shown]
	s_cmp_eq_u32 s14, 46
	s_mov_b32 s20, 0
	s_cbranch_scc0 .LBB331_2157
; %bb.2148:
	s_wait_loadcnt 0x0
	global_load_b32 v1, v[16:17], off
	s_mov_b32 s17, 0
	s_mov_b32 s19, -1
	s_wait_loadcnt 0x0
	v_lshlrev_b32_e32 v1, 16, v1
	s_delay_alu instid0(VALU_DEP_1)
	v_cvt_u32_f32_e32 v12, v1
	s_branch .LBB331_2159
.LBB331_2149:
	s_mov_b32 s14, -1
	s_mov_b32 s19, 0
                                        ; implicit-def: $vgpr12
	s_branch .LBB331_2221
.LBB331_2150:
	s_mov_b32 s20, -1
	s_mov_b32 s19, 0
	s_mov_b32 s17, 0
                                        ; implicit-def: $vgpr12
	s_branch .LBB331_2186
.LBB331_2151:
	s_mov_b32 s20, -1
	s_mov_b32 s19, 0
	s_mov_b32 s17, 0
                                        ; implicit-def: $vgpr12
	s_branch .LBB331_2169
.LBB331_2152:
	s_mov_b32 s20, -1
	s_mov_b32 s19, 0
	s_mov_b32 s17, 0
                                        ; implicit-def: $vgpr12
	s_branch .LBB331_2164
.LBB331_2153:
	s_or_b32 s13, s13, exec_lo
	s_trap 2
	s_cbranch_execz .LBB331_2090
	s_branch .LBB331_2091
.LBB331_2154:
	s_mov_b32 s20, -1
	s_mov_b32 s19, 0
	s_mov_b32 s17, 0
	s_branch .LBB331_2158
.LBB331_2155:
	s_and_not1_saveexec_b32 s35, s35
	s_cbranch_execz .LBB331_1063
.LBB331_2156:
	v_add_f32_e32 v2, 0x42800000, v3
	s_and_not1_b32 s34, s34, exec_lo
	s_delay_alu instid0(VALU_DEP_1) | instskip(NEXT) | instid1(VALU_DEP_1)
	v_and_b32_e32 v2, 0xff, v2
	v_cmp_ne_u32_e32 vcc_lo, 0, v2
	s_and_b32 s36, vcc_lo, exec_lo
	s_delay_alu instid0(SALU_CYCLE_1)
	s_or_b32 s34, s34, s36
	s_or_b32 exec_lo, exec_lo, s35
	v_mov_b32_e32 v4, 0
	s_and_saveexec_b32 s35, s34
	s_cbranch_execnz .LBB331_1064
	s_branch .LBB331_1065
.LBB331_2157:
	s_mov_b32 s17, -1
	s_mov_b32 s19, 0
.LBB331_2158:
                                        ; implicit-def: $vgpr12
.LBB331_2159:
	s_and_b32 vcc_lo, exec_lo, s20
	s_cbranch_vccz .LBB331_2163
; %bb.2160:
	s_cmp_eq_u32 s14, 44
	s_cbranch_scc0 .LBB331_2162
; %bb.2161:
	s_wait_loadcnt 0x0
	global_load_u8 v1, v[16:17], off
	s_mov_b32 s17, 0
	s_mov_b32 s19, -1
	s_wait_loadcnt 0x0
	v_lshlrev_b32_e32 v3, 23, v1
	v_cmp_ne_u32_e32 vcc_lo, 0, v1
	s_delay_alu instid0(VALU_DEP_2) | instskip(NEXT) | instid1(VALU_DEP_1)
	v_cvt_u32_f32_e32 v3, v3
	v_cndmask_b32_e32 v12, 0, v3, vcc_lo
	s_branch .LBB331_2163
.LBB331_2162:
	s_mov_b32 s17, -1
                                        ; implicit-def: $vgpr12
.LBB331_2163:
	s_mov_b32 s20, 0
.LBB331_2164:
	s_delay_alu instid0(SALU_CYCLE_1)
	s_and_b32 vcc_lo, exec_lo, s20
	s_cbranch_vccz .LBB331_2168
; %bb.2165:
	s_cmp_eq_u32 s14, 29
	s_cbranch_scc0 .LBB331_2167
; %bb.2166:
	global_load_b64 v[12:13], v[16:17], off
	s_mov_b32 s17, 0
	s_mov_b32 s19, -1
	s_branch .LBB331_2168
.LBB331_2167:
	s_mov_b32 s17, -1
                                        ; implicit-def: $vgpr12
.LBB331_2168:
	s_mov_b32 s20, 0
.LBB331_2169:
	s_delay_alu instid0(SALU_CYCLE_1)
	s_and_b32 vcc_lo, exec_lo, s20
	s_cbranch_vccz .LBB331_2185
; %bb.2170:
	s_cmp_lt_i32 s14, 27
	s_cbranch_scc1 .LBB331_2173
; %bb.2171:
	s_cmp_gt_i32 s14, 27
	s_cbranch_scc0 .LBB331_2174
; %bb.2172:
	s_wait_loadcnt 0x0
	global_load_b32 v12, v[16:17], off
	s_mov_b32 s19, 0
	s_branch .LBB331_2175
.LBB331_2173:
	s_mov_b32 s19, -1
                                        ; implicit-def: $vgpr12
	s_branch .LBB331_2178
.LBB331_2174:
	s_mov_b32 s19, -1
                                        ; implicit-def: $vgpr12
.LBB331_2175:
	s_delay_alu instid0(SALU_CYCLE_1)
	s_and_not1_b32 vcc_lo, exec_lo, s19
	s_cbranch_vccnz .LBB331_2177
; %bb.2176:
	s_wait_loadcnt 0x0
	global_load_u16 v12, v[16:17], off
.LBB331_2177:
	s_mov_b32 s19, 0
.LBB331_2178:
	s_delay_alu instid0(SALU_CYCLE_1)
	s_and_not1_b32 vcc_lo, exec_lo, s19
	s_cbranch_vccnz .LBB331_2184
; %bb.2179:
	s_wait_loadcnt 0x0
	global_load_u8 v1, v[16:17], off
	s_mov_b32 s20, 0
	s_mov_b32 s19, exec_lo
	s_wait_loadcnt 0x0
	v_cmpx_lt_i16_e32 0x7f, v1
	s_xor_b32 s19, exec_lo, s19
	s_cbranch_execz .LBB331_2196
; %bb.2180:
	v_cmp_ne_u16_e32 vcc_lo, 0x80, v1
	s_and_b32 s20, vcc_lo, exec_lo
	s_and_not1_saveexec_b32 s19, s19
	s_cbranch_execnz .LBB331_2197
.LBB331_2181:
	s_or_b32 exec_lo, exec_lo, s19
	v_mov_b32_e32 v12, 0
	s_and_saveexec_b32 s19, s20
	s_cbranch_execz .LBB331_2183
.LBB331_2182:
	v_and_b32_e32 v3, 0xffff, v1
	s_delay_alu instid0(VALU_DEP_1) | instskip(SKIP_1) | instid1(VALU_DEP_2)
	v_dual_lshlrev_b32 v1, 24, v1 :: v_dual_bitop2_b32 v5, 7, v3 bitop3:0x40
	v_bfe_u32 v11, v3, 3, 4
	v_and_b32_e32 v1, 0x80000000, v1
	s_delay_alu instid0(VALU_DEP_3) | instskip(NEXT) | instid1(VALU_DEP_3)
	v_clz_i32_u32_e32 v7, v5
	v_cmp_eq_u32_e32 vcc_lo, 0, v11
	s_delay_alu instid0(VALU_DEP_2) | instskip(NEXT) | instid1(VALU_DEP_1)
	v_min_u32_e32 v7, 32, v7
	v_subrev_nc_u32_e32 v9, 28, v7
	v_sub_nc_u32_e32 v7, 29, v7
	s_delay_alu instid0(VALU_DEP_2) | instskip(NEXT) | instid1(VALU_DEP_2)
	v_lshlrev_b32_e32 v3, v9, v3
	v_cndmask_b32_e32 v7, v11, v7, vcc_lo
	s_delay_alu instid0(VALU_DEP_2) | instskip(NEXT) | instid1(VALU_DEP_1)
	v_and_b32_e32 v3, 7, v3
	v_cndmask_b32_e32 v3, v5, v3, vcc_lo
	s_delay_alu instid0(VALU_DEP_3) | instskip(NEXT) | instid1(VALU_DEP_2)
	v_lshl_add_u32 v5, v7, 23, 0x3b800000
	v_lshlrev_b32_e32 v3, 20, v3
	s_delay_alu instid0(VALU_DEP_1) | instskip(NEXT) | instid1(VALU_DEP_1)
	v_or3_b32 v1, v1, v5, v3
	v_cvt_u32_f32_e32 v12, v1
.LBB331_2183:
	s_or_b32 exec_lo, exec_lo, s19
.LBB331_2184:
	s_mov_b32 s19, -1
.LBB331_2185:
	s_mov_b32 s20, 0
.LBB331_2186:
	s_delay_alu instid0(SALU_CYCLE_1)
	s_and_b32 vcc_lo, exec_lo, s20
	s_cbranch_vccz .LBB331_2217
; %bb.2187:
	s_cmp_gt_i32 s14, 22
	s_cbranch_scc0 .LBB331_2195
; %bb.2188:
	s_cmp_lt_i32 s14, 24
	s_cbranch_scc1 .LBB331_2198
; %bb.2189:
	s_cmp_gt_i32 s14, 24
	s_cbranch_scc0 .LBB331_2199
; %bb.2190:
	s_wait_loadcnt 0x0
	global_load_u8 v1, v[16:17], off
	s_mov_b32 s19, 0
	s_mov_b32 s18, exec_lo
	s_wait_loadcnt 0x0
	v_cmpx_lt_i16_e32 0x7f, v1
	s_xor_b32 s18, exec_lo, s18
	s_cbranch_execz .LBB331_2211
; %bb.2191:
	v_cmp_ne_u16_e32 vcc_lo, 0x80, v1
	s_and_b32 s19, vcc_lo, exec_lo
	s_and_not1_saveexec_b32 s18, s18
	s_cbranch_execnz .LBB331_2212
.LBB331_2192:
	s_or_b32 exec_lo, exec_lo, s18
	v_mov_b32_e32 v12, 0
	s_and_saveexec_b32 s18, s19
	s_cbranch_execz .LBB331_2194
.LBB331_2193:
	v_and_b32_e32 v3, 0xffff, v1
	s_delay_alu instid0(VALU_DEP_1) | instskip(SKIP_1) | instid1(VALU_DEP_2)
	v_dual_lshlrev_b32 v1, 24, v1 :: v_dual_bitop2_b32 v5, 3, v3 bitop3:0x40
	v_bfe_u32 v11, v3, 2, 5
	v_and_b32_e32 v1, 0x80000000, v1
	s_delay_alu instid0(VALU_DEP_3) | instskip(NEXT) | instid1(VALU_DEP_3)
	v_clz_i32_u32_e32 v7, v5
	v_cmp_eq_u32_e32 vcc_lo, 0, v11
	s_delay_alu instid0(VALU_DEP_2) | instskip(NEXT) | instid1(VALU_DEP_1)
	v_min_u32_e32 v7, 32, v7
	v_subrev_nc_u32_e32 v9, 29, v7
	v_sub_nc_u32_e32 v7, 30, v7
	s_delay_alu instid0(VALU_DEP_2) | instskip(NEXT) | instid1(VALU_DEP_2)
	v_lshlrev_b32_e32 v3, v9, v3
	v_cndmask_b32_e32 v7, v11, v7, vcc_lo
	s_delay_alu instid0(VALU_DEP_2) | instskip(NEXT) | instid1(VALU_DEP_1)
	v_and_b32_e32 v3, 3, v3
	v_cndmask_b32_e32 v3, v5, v3, vcc_lo
	s_delay_alu instid0(VALU_DEP_3) | instskip(NEXT) | instid1(VALU_DEP_2)
	v_lshl_add_u32 v5, v7, 23, 0x37800000
	v_lshlrev_b32_e32 v3, 21, v3
	s_delay_alu instid0(VALU_DEP_1) | instskip(NEXT) | instid1(VALU_DEP_1)
	v_or3_b32 v1, v1, v5, v3
	v_cvt_u32_f32_e32 v12, v1
.LBB331_2194:
	s_or_b32 exec_lo, exec_lo, s18
	s_mov_b32 s18, 0
	s_branch .LBB331_2200
.LBB331_2195:
	s_mov_b32 s18, -1
                                        ; implicit-def: $vgpr12
	s_branch .LBB331_2206
.LBB331_2196:
	s_and_not1_saveexec_b32 s19, s19
	s_cbranch_execz .LBB331_2181
.LBB331_2197:
	v_cmp_ne_u16_e32 vcc_lo, 0, v1
	s_and_not1_b32 s20, s20, exec_lo
	s_and_b32 s21, vcc_lo, exec_lo
	s_delay_alu instid0(SALU_CYCLE_1)
	s_or_b32 s20, s20, s21
	s_or_b32 exec_lo, exec_lo, s19
	v_mov_b32_e32 v12, 0
	s_and_saveexec_b32 s19, s20
	s_cbranch_execnz .LBB331_2182
	s_branch .LBB331_2183
.LBB331_2198:
	s_mov_b32 s18, -1
                                        ; implicit-def: $vgpr12
	s_branch .LBB331_2203
.LBB331_2199:
	s_mov_b32 s18, -1
                                        ; implicit-def: $vgpr12
.LBB331_2200:
	s_delay_alu instid0(SALU_CYCLE_1)
	s_and_b32 vcc_lo, exec_lo, s18
	s_cbranch_vccz .LBB331_2202
; %bb.2201:
	s_wait_loadcnt 0x0
	global_load_u8 v1, v[16:17], off
	s_wait_loadcnt 0x0
	v_lshlrev_b32_e32 v1, 24, v1
	s_delay_alu instid0(VALU_DEP_1) | instskip(NEXT) | instid1(VALU_DEP_1)
	v_and_b32_e32 v3, 0x7f000000, v1
	v_clz_i32_u32_e32 v5, v3
	v_add_nc_u32_e32 v9, 0x1000000, v3
	v_cmp_ne_u32_e32 vcc_lo, 0, v3
	s_delay_alu instid0(VALU_DEP_3) | instskip(NEXT) | instid1(VALU_DEP_1)
	v_min_u32_e32 v5, 32, v5
	v_sub_nc_u32_e64 v5, v5, 4 clamp
	s_delay_alu instid0(VALU_DEP_1) | instskip(NEXT) | instid1(VALU_DEP_1)
	v_dual_lshlrev_b32 v7, v5, v3 :: v_dual_lshlrev_b32 v5, 23, v5
	v_lshrrev_b32_e32 v7, 4, v7
	s_delay_alu instid0(VALU_DEP_1) | instskip(SKIP_1) | instid1(VALU_DEP_2)
	v_sub_nc_u32_e32 v5, v7, v5
	v_ashrrev_i32_e32 v7, 8, v9
	v_add_nc_u32_e32 v5, 0x3c000000, v5
	s_delay_alu instid0(VALU_DEP_1) | instskip(NEXT) | instid1(VALU_DEP_1)
	v_and_or_b32 v5, 0x7f800000, v7, v5
	v_cndmask_b32_e32 v3, 0, v5, vcc_lo
	s_delay_alu instid0(VALU_DEP_1) | instskip(NEXT) | instid1(VALU_DEP_1)
	v_and_or_b32 v1, 0x80000000, v1, v3
	v_cvt_u32_f32_e32 v12, v1
.LBB331_2202:
	s_mov_b32 s18, 0
.LBB331_2203:
	s_delay_alu instid0(SALU_CYCLE_1)
	s_and_not1_b32 vcc_lo, exec_lo, s18
	s_cbranch_vccnz .LBB331_2205
; %bb.2204:
	s_wait_loadcnt 0x0
	global_load_u8 v1, v[16:17], off
	s_wait_loadcnt 0x0
	v_lshlrev_b32_e32 v3, 25, v1
	v_lshlrev_b16 v1, 8, v1
	s_delay_alu instid0(VALU_DEP_1) | instskip(SKIP_1) | instid1(VALU_DEP_2)
	v_and_or_b32 v7, 0x7f00, v1, 0.5
	v_bfe_i32 v1, v1, 0, 16
	v_add_f32_e32 v7, -0.5, v7
	v_lshrrev_b32_e32 v5, 4, v3
	v_cmp_gt_u32_e32 vcc_lo, 0x8000000, v3
	s_delay_alu instid0(VALU_DEP_2) | instskip(NEXT) | instid1(VALU_DEP_1)
	v_or_b32_e32 v5, 0x70000000, v5
	v_mul_f32_e32 v5, 0x7800000, v5
	s_delay_alu instid0(VALU_DEP_1) | instskip(NEXT) | instid1(VALU_DEP_1)
	v_cndmask_b32_e32 v3, v5, v7, vcc_lo
	v_and_or_b32 v1, 0x80000000, v1, v3
	s_delay_alu instid0(VALU_DEP_1)
	v_cvt_u32_f32_e32 v12, v1
.LBB331_2205:
	s_mov_b32 s18, 0
	s_mov_b32 s19, -1
.LBB331_2206:
	s_and_not1_b32 vcc_lo, exec_lo, s18
	s_mov_b32 s18, 0
	s_cbranch_vccnz .LBB331_2217
; %bb.2207:
	s_cmp_gt_i32 s14, 14
	s_cbranch_scc0 .LBB331_2210
; %bb.2208:
	s_cmp_eq_u32 s14, 15
	s_cbranch_scc0 .LBB331_2213
; %bb.2209:
	s_wait_loadcnt 0x0
	global_load_u16 v1, v[16:17], off
	s_mov_b32 s17, 0
	s_mov_b32 s19, -1
	s_wait_loadcnt 0x0
	v_lshlrev_b32_e32 v1, 16, v1
	s_delay_alu instid0(VALU_DEP_1)
	v_cvt_u32_f32_e32 v12, v1
	s_branch .LBB331_2215
.LBB331_2210:
	s_mov_b32 s18, -1
	s_branch .LBB331_2214
.LBB331_2211:
	s_and_not1_saveexec_b32 s18, s18
	s_cbranch_execz .LBB331_2192
.LBB331_2212:
	v_cmp_ne_u16_e32 vcc_lo, 0, v1
	s_and_not1_b32 s19, s19, exec_lo
	s_and_b32 s20, vcc_lo, exec_lo
	s_delay_alu instid0(SALU_CYCLE_1)
	s_or_b32 s19, s19, s20
	s_or_b32 exec_lo, exec_lo, s18
	v_mov_b32_e32 v12, 0
	s_and_saveexec_b32 s18, s19
	s_cbranch_execnz .LBB331_2193
	s_branch .LBB331_2194
.LBB331_2213:
	s_mov_b32 s17, -1
.LBB331_2214:
                                        ; implicit-def: $vgpr12
.LBB331_2215:
	s_and_b32 vcc_lo, exec_lo, s18
	s_mov_b32 s18, 0
	s_cbranch_vccz .LBB331_2217
; %bb.2216:
	s_cmp_lg_u32 s14, 11
	s_mov_b32 s18, -1
	s_cselect_b32 s17, -1, 0
.LBB331_2217:
	s_delay_alu instid0(SALU_CYCLE_1)
	s_and_b32 vcc_lo, exec_lo, s17
	s_cbranch_vccnz .LBB331_2282
; %bb.2218:
	s_and_not1_b32 vcc_lo, exec_lo, s18
	s_cbranch_vccnz .LBB331_2220
.LBB331_2219:
	s_wait_loadcnt 0x0
	global_load_u8 v1, v[16:17], off
	s_mov_b32 s19, -1
	s_wait_loadcnt 0x0
	v_cmp_ne_u16_e32 vcc_lo, 0, v1
	v_cndmask_b32_e64 v12, 0, 1, vcc_lo
.LBB331_2220:
	s_mov_b32 s14, 0
.LBB331_2221:
	s_delay_alu instid0(SALU_CYCLE_1)
	s_and_b32 vcc_lo, exec_lo, s14
	s_cbranch_vccz .LBB331_2270
; %bb.2222:
	s_and_b32 s14, 0xffff, s1
	s_delay_alu instid0(SALU_CYCLE_1)
	s_cmp_lt_i32 s14, 5
	s_cbranch_scc1 .LBB331_2227
; %bb.2223:
	s_cmp_lt_i32 s14, 8
	s_cbranch_scc1 .LBB331_2228
; %bb.2224:
	;; [unrolled: 3-line block ×3, first 2 shown]
	s_cmp_gt_i32 s14, 9
	s_cbranch_scc0 .LBB331_2230
; %bb.2226:
	s_wait_loadcnt 0x0
	global_load_b64 v[12:13], v[16:17], off
	s_mov_b32 s17, 0
	s_wait_loadcnt 0x0
	v_cvt_u32_f64_e32 v12, v[12:13]
	s_branch .LBB331_2231
.LBB331_2227:
	s_mov_b32 s17, -1
                                        ; implicit-def: $vgpr12
	s_branch .LBB331_2249
.LBB331_2228:
	s_mov_b32 s17, -1
                                        ; implicit-def: $vgpr12
	s_branch .LBB331_2237
.LBB331_2229:
	s_mov_b32 s17, -1
                                        ; implicit-def: $vgpr12
	s_branch .LBB331_2234
.LBB331_2230:
	s_mov_b32 s17, -1
                                        ; implicit-def: $vgpr12
.LBB331_2231:
	s_delay_alu instid0(SALU_CYCLE_1)
	s_and_not1_b32 vcc_lo, exec_lo, s17
	s_cbranch_vccnz .LBB331_2233
; %bb.2232:
	s_wait_loadcnt 0x0
	global_load_b32 v1, v[16:17], off
	s_wait_loadcnt 0x0
	v_cvt_u32_f32_e32 v12, v1
.LBB331_2233:
	s_mov_b32 s17, 0
.LBB331_2234:
	s_delay_alu instid0(SALU_CYCLE_1)
	s_and_not1_b32 vcc_lo, exec_lo, s17
	s_cbranch_vccnz .LBB331_2236
; %bb.2235:
	s_wait_loadcnt 0x0
	global_load_b32 v1, v[16:17], off
	s_wait_loadcnt 0x0
	v_cvt_u16_f16_e32 v12, v1
.LBB331_2236:
	s_mov_b32 s17, 0
.LBB331_2237:
	s_delay_alu instid0(SALU_CYCLE_1)
	s_and_not1_b32 vcc_lo, exec_lo, s17
	s_cbranch_vccnz .LBB331_2248
; %bb.2238:
	s_cmp_lt_i32 s14, 6
	s_cbranch_scc1 .LBB331_2241
; %bb.2239:
	s_cmp_gt_i32 s14, 6
	s_cbranch_scc0 .LBB331_2242
; %bb.2240:
	s_wait_loadcnt 0x0
	global_load_b64 v[12:13], v[16:17], off
	s_mov_b32 s17, 0
	s_wait_loadcnt 0x0
	v_cvt_u32_f64_e32 v12, v[12:13]
	s_branch .LBB331_2243
.LBB331_2241:
	s_mov_b32 s17, -1
                                        ; implicit-def: $vgpr12
	s_branch .LBB331_2246
.LBB331_2242:
	s_mov_b32 s17, -1
                                        ; implicit-def: $vgpr12
.LBB331_2243:
	s_delay_alu instid0(SALU_CYCLE_1)
	s_and_not1_b32 vcc_lo, exec_lo, s17
	s_cbranch_vccnz .LBB331_2245
; %bb.2244:
	s_wait_loadcnt 0x0
	global_load_b32 v1, v[16:17], off
	s_wait_loadcnt 0x0
	v_cvt_u32_f32_e32 v12, v1
.LBB331_2245:
	s_mov_b32 s17, 0
.LBB331_2246:
	s_delay_alu instid0(SALU_CYCLE_1)
	s_and_not1_b32 vcc_lo, exec_lo, s17
	s_cbranch_vccnz .LBB331_2248
; %bb.2247:
	s_wait_loadcnt 0x0
	global_load_u16 v1, v[16:17], off
	s_wait_loadcnt 0x0
	v_cvt_u16_f16_e32 v12, v1
.LBB331_2248:
	s_mov_b32 s17, 0
.LBB331_2249:
	s_delay_alu instid0(SALU_CYCLE_1)
	s_and_not1_b32 vcc_lo, exec_lo, s17
	s_cbranch_vccnz .LBB331_2269
; %bb.2250:
	s_cmp_lt_i32 s14, 2
	s_cbranch_scc1 .LBB331_2254
; %bb.2251:
	s_cmp_lt_i32 s14, 3
	s_cbranch_scc1 .LBB331_2255
; %bb.2252:
	s_cmp_gt_i32 s14, 3
	s_cbranch_scc0 .LBB331_2256
; %bb.2253:
	s_wait_loadcnt 0x0
	global_load_b64 v[12:13], v[16:17], off
	s_mov_b32 s17, 0
	s_branch .LBB331_2257
.LBB331_2254:
	s_mov_b32 s17, -1
                                        ; implicit-def: $vgpr12
	s_branch .LBB331_2263
.LBB331_2255:
	s_mov_b32 s17, -1
                                        ; implicit-def: $vgpr12
	s_branch .LBB331_2260
.LBB331_2256:
	s_mov_b32 s17, -1
                                        ; implicit-def: $vgpr12
.LBB331_2257:
	s_delay_alu instid0(SALU_CYCLE_1)
	s_and_not1_b32 vcc_lo, exec_lo, s17
	s_cbranch_vccnz .LBB331_2259
; %bb.2258:
	s_wait_loadcnt 0x0
	global_load_b32 v12, v[16:17], off
.LBB331_2259:
	s_mov_b32 s17, 0
.LBB331_2260:
	s_delay_alu instid0(SALU_CYCLE_1)
	s_and_not1_b32 vcc_lo, exec_lo, s17
	s_cbranch_vccnz .LBB331_2262
; %bb.2261:
	s_wait_loadcnt 0x0
	global_load_u16 v12, v[16:17], off
.LBB331_2262:
	s_mov_b32 s17, 0
.LBB331_2263:
	s_delay_alu instid0(SALU_CYCLE_1)
	s_and_not1_b32 vcc_lo, exec_lo, s17
	s_cbranch_vccnz .LBB331_2269
; %bb.2264:
	s_cmp_gt_i32 s14, 0
	s_mov_b32 s14, 0
	s_cbranch_scc0 .LBB331_2266
; %bb.2265:
	s_wait_loadcnt 0x0
	global_load_i8 v12, v[16:17], off
	s_branch .LBB331_2267
.LBB331_2266:
	s_mov_b32 s14, -1
                                        ; implicit-def: $vgpr12
.LBB331_2267:
	s_delay_alu instid0(SALU_CYCLE_1)
	s_and_not1_b32 vcc_lo, exec_lo, s14
	s_cbranch_vccnz .LBB331_2269
; %bb.2268:
	s_wait_loadcnt 0x0
	global_load_u8 v12, v[16:17], off
.LBB331_2269:
	s_mov_b32 s19, -1
.LBB331_2270:
	s_delay_alu instid0(SALU_CYCLE_1)
	s_and_not1_b32 vcc_lo, exec_lo, s19
	s_cbranch_vccnz .LBB331_2957
; %bb.2271:
	v_add_nc_u32_e32 v10, s9, v10
	s_cmp_lt_i32 s0, 11
	s_delay_alu instid0(VALU_DEP_1) | instskip(SKIP_1) | instid1(VALU_DEP_1)
	v_ashrrev_i32_e32 v11, 31, v10
	s_wait_xcnt 0x0
	v_add_nc_u64_e32 v[16:17], s[6:7], v[10:11]
	s_cbranch_scc1 .LBB331_2278
; %bb.2272:
	s_and_b32 s6, 0xffff, s0
	s_mov_b32 s9, 0
	s_cmp_gt_i32 s6, 25
	s_cbranch_scc0 .LBB331_2279
; %bb.2273:
	s_cmp_gt_i32 s6, 28
	s_cbranch_scc0 .LBB331_2280
; %bb.2274:
	;; [unrolled: 3-line block ×4, first 2 shown]
	s_cmp_eq_u32 s6, 46
	s_mov_b32 s17, 0
	s_cbranch_scc0 .LBB331_2284
; %bb.2277:
	s_wait_loadcnt 0x0
	global_load_b32 v1, v[16:17], off
	s_mov_b32 s7, 0
	s_mov_b32 s14, -1
	s_wait_loadcnt 0x0
	v_lshlrev_b32_e32 v1, 16, v1
	s_delay_alu instid0(VALU_DEP_1)
	v_cvt_u32_f32_e32 v10, v1
	s_branch .LBB331_2286
.LBB331_2278:
	s_mov_b32 s6, -1
	s_mov_b32 s14, 0
                                        ; implicit-def: $vgpr10
	s_branch .LBB331_2348
.LBB331_2279:
	s_mov_b32 s17, -1
	s_mov_b32 s14, 0
	s_mov_b32 s7, 0
                                        ; implicit-def: $vgpr10
	s_branch .LBB331_2313
.LBB331_2280:
	s_mov_b32 s17, -1
	s_mov_b32 s14, 0
	s_mov_b32 s7, 0
                                        ; implicit-def: $vgpr10
	s_branch .LBB331_2296
.LBB331_2281:
	s_mov_b32 s17, -1
	s_mov_b32 s14, 0
	s_mov_b32 s7, 0
                                        ; implicit-def: $vgpr10
	s_branch .LBB331_2291
.LBB331_2282:
	s_or_b32 s13, s13, exec_lo
	s_trap 2
	s_cbranch_execz .LBB331_2219
	s_branch .LBB331_2220
.LBB331_2283:
	s_mov_b32 s17, -1
	s_mov_b32 s14, 0
	s_mov_b32 s7, 0
	s_branch .LBB331_2285
.LBB331_2284:
	s_mov_b32 s7, -1
	s_mov_b32 s14, 0
.LBB331_2285:
                                        ; implicit-def: $vgpr10
.LBB331_2286:
	s_and_b32 vcc_lo, exec_lo, s17
	s_cbranch_vccz .LBB331_2290
; %bb.2287:
	s_cmp_eq_u32 s6, 44
	s_cbranch_scc0 .LBB331_2289
; %bb.2288:
	s_wait_loadcnt 0x0
	global_load_u8 v1, v[16:17], off
	s_mov_b32 s7, 0
	s_mov_b32 s14, -1
	s_wait_loadcnt 0x0
	v_lshlrev_b32_e32 v3, 23, v1
	v_cmp_ne_u32_e32 vcc_lo, 0, v1
	s_delay_alu instid0(VALU_DEP_2) | instskip(NEXT) | instid1(VALU_DEP_1)
	v_cvt_u32_f32_e32 v3, v3
	v_cndmask_b32_e32 v10, 0, v3, vcc_lo
	s_branch .LBB331_2290
.LBB331_2289:
	s_mov_b32 s7, -1
                                        ; implicit-def: $vgpr10
.LBB331_2290:
	s_mov_b32 s17, 0
.LBB331_2291:
	s_delay_alu instid0(SALU_CYCLE_1)
	s_and_b32 vcc_lo, exec_lo, s17
	s_cbranch_vccz .LBB331_2295
; %bb.2292:
	s_cmp_eq_u32 s6, 29
	s_cbranch_scc0 .LBB331_2294
; %bb.2293:
	global_load_b64 v[10:11], v[16:17], off
	s_mov_b32 s7, 0
	s_mov_b32 s14, -1
	s_branch .LBB331_2295
.LBB331_2294:
	s_mov_b32 s7, -1
                                        ; implicit-def: $vgpr10
.LBB331_2295:
	s_mov_b32 s17, 0
.LBB331_2296:
	s_delay_alu instid0(SALU_CYCLE_1)
	s_and_b32 vcc_lo, exec_lo, s17
	s_cbranch_vccz .LBB331_2312
; %bb.2297:
	s_cmp_lt_i32 s6, 27
	s_cbranch_scc1 .LBB331_2300
; %bb.2298:
	s_cmp_gt_i32 s6, 27
	s_cbranch_scc0 .LBB331_2301
; %bb.2299:
	s_wait_loadcnt 0x0
	global_load_b32 v10, v[16:17], off
	s_mov_b32 s14, 0
	s_branch .LBB331_2302
.LBB331_2300:
	s_mov_b32 s14, -1
                                        ; implicit-def: $vgpr10
	s_branch .LBB331_2305
.LBB331_2301:
	s_mov_b32 s14, -1
                                        ; implicit-def: $vgpr10
.LBB331_2302:
	s_delay_alu instid0(SALU_CYCLE_1)
	s_and_not1_b32 vcc_lo, exec_lo, s14
	s_cbranch_vccnz .LBB331_2304
; %bb.2303:
	s_wait_loadcnt 0x0
	global_load_u16 v10, v[16:17], off
.LBB331_2304:
	s_mov_b32 s14, 0
.LBB331_2305:
	s_delay_alu instid0(SALU_CYCLE_1)
	s_and_not1_b32 vcc_lo, exec_lo, s14
	s_cbranch_vccnz .LBB331_2311
; %bb.2306:
	s_wait_loadcnt 0x0
	global_load_u8 v1, v[16:17], off
	s_mov_b32 s17, 0
	s_mov_b32 s14, exec_lo
	s_wait_loadcnt 0x0
	v_cmpx_lt_i16_e32 0x7f, v1
	s_xor_b32 s14, exec_lo, s14
	s_cbranch_execz .LBB331_2323
; %bb.2307:
	v_cmp_ne_u16_e32 vcc_lo, 0x80, v1
	s_and_b32 s17, vcc_lo, exec_lo
	s_and_not1_saveexec_b32 s14, s14
	s_cbranch_execnz .LBB331_2324
.LBB331_2308:
	s_or_b32 exec_lo, exec_lo, s14
	v_mov_b32_e32 v10, 0
	s_and_saveexec_b32 s14, s17
	s_cbranch_execz .LBB331_2310
.LBB331_2309:
	v_and_b32_e32 v3, 0xffff, v1
	s_delay_alu instid0(VALU_DEP_1) | instskip(SKIP_1) | instid1(VALU_DEP_2)
	v_dual_lshlrev_b32 v1, 24, v1 :: v_dual_bitop2_b32 v5, 7, v3 bitop3:0x40
	v_bfe_u32 v10, v3, 3, 4
	v_and_b32_e32 v1, 0x80000000, v1
	s_delay_alu instid0(VALU_DEP_3) | instskip(NEXT) | instid1(VALU_DEP_3)
	v_clz_i32_u32_e32 v7, v5
	v_cmp_eq_u32_e32 vcc_lo, 0, v10
	s_delay_alu instid0(VALU_DEP_2) | instskip(NEXT) | instid1(VALU_DEP_1)
	v_min_u32_e32 v7, 32, v7
	v_subrev_nc_u32_e32 v9, 28, v7
	v_sub_nc_u32_e32 v7, 29, v7
	s_delay_alu instid0(VALU_DEP_2) | instskip(NEXT) | instid1(VALU_DEP_2)
	v_lshlrev_b32_e32 v3, v9, v3
	v_cndmask_b32_e32 v7, v10, v7, vcc_lo
	s_delay_alu instid0(VALU_DEP_2) | instskip(NEXT) | instid1(VALU_DEP_1)
	v_and_b32_e32 v3, 7, v3
	v_cndmask_b32_e32 v3, v5, v3, vcc_lo
	s_delay_alu instid0(VALU_DEP_3) | instskip(NEXT) | instid1(VALU_DEP_2)
	v_lshl_add_u32 v5, v7, 23, 0x3b800000
	v_lshlrev_b32_e32 v3, 20, v3
	s_delay_alu instid0(VALU_DEP_1) | instskip(NEXT) | instid1(VALU_DEP_1)
	v_or3_b32 v1, v1, v5, v3
	v_cvt_u32_f32_e32 v10, v1
.LBB331_2310:
	s_or_b32 exec_lo, exec_lo, s14
.LBB331_2311:
	s_mov_b32 s14, -1
.LBB331_2312:
	s_mov_b32 s17, 0
.LBB331_2313:
	s_delay_alu instid0(SALU_CYCLE_1)
	s_and_b32 vcc_lo, exec_lo, s17
	s_cbranch_vccz .LBB331_2344
; %bb.2314:
	s_cmp_gt_i32 s6, 22
	s_cbranch_scc0 .LBB331_2322
; %bb.2315:
	s_cmp_lt_i32 s6, 24
	s_cbranch_scc1 .LBB331_2325
; %bb.2316:
	s_cmp_gt_i32 s6, 24
	s_cbranch_scc0 .LBB331_2326
; %bb.2317:
	s_wait_loadcnt 0x0
	global_load_u8 v1, v[16:17], off
	s_mov_b32 s14, 0
	s_mov_b32 s9, exec_lo
	s_wait_loadcnt 0x0
	v_cmpx_lt_i16_e32 0x7f, v1
	s_xor_b32 s9, exec_lo, s9
	s_cbranch_execz .LBB331_2338
; %bb.2318:
	v_cmp_ne_u16_e32 vcc_lo, 0x80, v1
	s_and_b32 s14, vcc_lo, exec_lo
	s_and_not1_saveexec_b32 s9, s9
	s_cbranch_execnz .LBB331_2339
.LBB331_2319:
	s_or_b32 exec_lo, exec_lo, s9
	v_mov_b32_e32 v10, 0
	s_and_saveexec_b32 s9, s14
	s_cbranch_execz .LBB331_2321
.LBB331_2320:
	v_and_b32_e32 v3, 0xffff, v1
	s_delay_alu instid0(VALU_DEP_1) | instskip(SKIP_1) | instid1(VALU_DEP_2)
	v_dual_lshlrev_b32 v1, 24, v1 :: v_dual_bitop2_b32 v5, 3, v3 bitop3:0x40
	v_bfe_u32 v10, v3, 2, 5
	v_and_b32_e32 v1, 0x80000000, v1
	s_delay_alu instid0(VALU_DEP_3) | instskip(NEXT) | instid1(VALU_DEP_3)
	v_clz_i32_u32_e32 v7, v5
	v_cmp_eq_u32_e32 vcc_lo, 0, v10
	s_delay_alu instid0(VALU_DEP_2) | instskip(NEXT) | instid1(VALU_DEP_1)
	v_min_u32_e32 v7, 32, v7
	v_subrev_nc_u32_e32 v9, 29, v7
	v_sub_nc_u32_e32 v7, 30, v7
	s_delay_alu instid0(VALU_DEP_2) | instskip(NEXT) | instid1(VALU_DEP_2)
	v_lshlrev_b32_e32 v3, v9, v3
	v_cndmask_b32_e32 v7, v10, v7, vcc_lo
	s_delay_alu instid0(VALU_DEP_2) | instskip(NEXT) | instid1(VALU_DEP_1)
	v_and_b32_e32 v3, 3, v3
	v_cndmask_b32_e32 v3, v5, v3, vcc_lo
	s_delay_alu instid0(VALU_DEP_3) | instskip(NEXT) | instid1(VALU_DEP_2)
	v_lshl_add_u32 v5, v7, 23, 0x37800000
	v_lshlrev_b32_e32 v3, 21, v3
	s_delay_alu instid0(VALU_DEP_1) | instskip(NEXT) | instid1(VALU_DEP_1)
	v_or3_b32 v1, v1, v5, v3
	v_cvt_u32_f32_e32 v10, v1
.LBB331_2321:
	s_or_b32 exec_lo, exec_lo, s9
	s_mov_b32 s9, 0
	s_branch .LBB331_2327
.LBB331_2322:
	s_mov_b32 s9, -1
                                        ; implicit-def: $vgpr10
	s_branch .LBB331_2333
.LBB331_2323:
	s_and_not1_saveexec_b32 s14, s14
	s_cbranch_execz .LBB331_2308
.LBB331_2324:
	v_cmp_ne_u16_e32 vcc_lo, 0, v1
	s_and_not1_b32 s17, s17, exec_lo
	s_and_b32 s18, vcc_lo, exec_lo
	s_delay_alu instid0(SALU_CYCLE_1)
	s_or_b32 s17, s17, s18
	s_or_b32 exec_lo, exec_lo, s14
	v_mov_b32_e32 v10, 0
	s_and_saveexec_b32 s14, s17
	s_cbranch_execnz .LBB331_2309
	s_branch .LBB331_2310
.LBB331_2325:
	s_mov_b32 s9, -1
                                        ; implicit-def: $vgpr10
	s_branch .LBB331_2330
.LBB331_2326:
	s_mov_b32 s9, -1
                                        ; implicit-def: $vgpr10
.LBB331_2327:
	s_delay_alu instid0(SALU_CYCLE_1)
	s_and_b32 vcc_lo, exec_lo, s9
	s_cbranch_vccz .LBB331_2329
; %bb.2328:
	s_wait_loadcnt 0x0
	global_load_u8 v1, v[16:17], off
	s_wait_loadcnt 0x0
	v_lshlrev_b32_e32 v1, 24, v1
	s_delay_alu instid0(VALU_DEP_1) | instskip(NEXT) | instid1(VALU_DEP_1)
	v_and_b32_e32 v3, 0x7f000000, v1
	v_clz_i32_u32_e32 v5, v3
	v_add_nc_u32_e32 v9, 0x1000000, v3
	v_cmp_ne_u32_e32 vcc_lo, 0, v3
	s_delay_alu instid0(VALU_DEP_3) | instskip(NEXT) | instid1(VALU_DEP_1)
	v_min_u32_e32 v5, 32, v5
	v_sub_nc_u32_e64 v5, v5, 4 clamp
	s_delay_alu instid0(VALU_DEP_1) | instskip(NEXT) | instid1(VALU_DEP_1)
	v_dual_lshlrev_b32 v7, v5, v3 :: v_dual_lshlrev_b32 v5, 23, v5
	v_lshrrev_b32_e32 v7, 4, v7
	s_delay_alu instid0(VALU_DEP_1) | instskip(SKIP_1) | instid1(VALU_DEP_2)
	v_sub_nc_u32_e32 v5, v7, v5
	v_ashrrev_i32_e32 v7, 8, v9
	v_add_nc_u32_e32 v5, 0x3c000000, v5
	s_delay_alu instid0(VALU_DEP_1) | instskip(NEXT) | instid1(VALU_DEP_1)
	v_and_or_b32 v5, 0x7f800000, v7, v5
	v_cndmask_b32_e32 v3, 0, v5, vcc_lo
	s_delay_alu instid0(VALU_DEP_1) | instskip(NEXT) | instid1(VALU_DEP_1)
	v_and_or_b32 v1, 0x80000000, v1, v3
	v_cvt_u32_f32_e32 v10, v1
.LBB331_2329:
	s_mov_b32 s9, 0
.LBB331_2330:
	s_delay_alu instid0(SALU_CYCLE_1)
	s_and_not1_b32 vcc_lo, exec_lo, s9
	s_cbranch_vccnz .LBB331_2332
; %bb.2331:
	s_wait_loadcnt 0x0
	global_load_u8 v1, v[16:17], off
	s_wait_loadcnt 0x0
	v_lshlrev_b32_e32 v3, 25, v1
	v_lshlrev_b16 v1, 8, v1
	s_delay_alu instid0(VALU_DEP_1) | instskip(SKIP_1) | instid1(VALU_DEP_2)
	v_and_or_b32 v7, 0x7f00, v1, 0.5
	v_bfe_i32 v1, v1, 0, 16
	v_add_f32_e32 v7, -0.5, v7
	v_lshrrev_b32_e32 v5, 4, v3
	v_cmp_gt_u32_e32 vcc_lo, 0x8000000, v3
	s_delay_alu instid0(VALU_DEP_2) | instskip(NEXT) | instid1(VALU_DEP_1)
	v_or_b32_e32 v5, 0x70000000, v5
	v_mul_f32_e32 v5, 0x7800000, v5
	s_delay_alu instid0(VALU_DEP_1) | instskip(NEXT) | instid1(VALU_DEP_1)
	v_cndmask_b32_e32 v3, v5, v7, vcc_lo
	v_and_or_b32 v1, 0x80000000, v1, v3
	s_delay_alu instid0(VALU_DEP_1)
	v_cvt_u32_f32_e32 v10, v1
.LBB331_2332:
	s_mov_b32 s9, 0
	s_mov_b32 s14, -1
.LBB331_2333:
	s_and_not1_b32 vcc_lo, exec_lo, s9
	s_mov_b32 s9, 0
	s_cbranch_vccnz .LBB331_2344
; %bb.2334:
	s_cmp_gt_i32 s6, 14
	s_cbranch_scc0 .LBB331_2337
; %bb.2335:
	s_cmp_eq_u32 s6, 15
	s_cbranch_scc0 .LBB331_2340
; %bb.2336:
	s_wait_loadcnt 0x0
	global_load_u16 v1, v[16:17], off
	s_mov_b32 s7, 0
	s_mov_b32 s14, -1
	s_wait_loadcnt 0x0
	v_lshlrev_b32_e32 v1, 16, v1
	s_delay_alu instid0(VALU_DEP_1)
	v_cvt_u32_f32_e32 v10, v1
	s_branch .LBB331_2342
.LBB331_2337:
	s_mov_b32 s9, -1
	s_branch .LBB331_2341
.LBB331_2338:
	s_and_not1_saveexec_b32 s9, s9
	s_cbranch_execz .LBB331_2319
.LBB331_2339:
	v_cmp_ne_u16_e32 vcc_lo, 0, v1
	s_and_not1_b32 s14, s14, exec_lo
	s_and_b32 s17, vcc_lo, exec_lo
	s_delay_alu instid0(SALU_CYCLE_1)
	s_or_b32 s14, s14, s17
	s_or_b32 exec_lo, exec_lo, s9
	v_mov_b32_e32 v10, 0
	s_and_saveexec_b32 s9, s14
	s_cbranch_execnz .LBB331_2320
	s_branch .LBB331_2321
.LBB331_2340:
	s_mov_b32 s7, -1
.LBB331_2341:
                                        ; implicit-def: $vgpr10
.LBB331_2342:
	s_and_b32 vcc_lo, exec_lo, s9
	s_mov_b32 s9, 0
	s_cbranch_vccz .LBB331_2344
; %bb.2343:
	s_cmp_lg_u32 s6, 11
	s_mov_b32 s9, -1
	s_cselect_b32 s7, -1, 0
.LBB331_2344:
	s_delay_alu instid0(SALU_CYCLE_1)
	s_and_b32 vcc_lo, exec_lo, s7
	s_cbranch_vccnz .LBB331_2409
; %bb.2345:
	s_and_not1_b32 vcc_lo, exec_lo, s9
	s_cbranch_vccnz .LBB331_2347
.LBB331_2346:
	s_wait_loadcnt 0x0
	global_load_u8 v1, v[16:17], off
	s_mov_b32 s14, -1
	s_wait_loadcnt 0x0
	v_cmp_ne_u16_e32 vcc_lo, 0, v1
	v_cndmask_b32_e64 v10, 0, 1, vcc_lo
.LBB331_2347:
	s_mov_b32 s6, 0
.LBB331_2348:
	s_delay_alu instid0(SALU_CYCLE_1)
	s_and_b32 vcc_lo, exec_lo, s6
	s_cbranch_vccz .LBB331_2397
; %bb.2349:
	s_and_b32 s0, 0xffff, s0
	s_delay_alu instid0(SALU_CYCLE_1)
	s_cmp_lt_i32 s0, 5
	s_cbranch_scc1 .LBB331_2354
; %bb.2350:
	s_cmp_lt_i32 s0, 8
	s_cbranch_scc1 .LBB331_2355
; %bb.2351:
	;; [unrolled: 3-line block ×3, first 2 shown]
	s_cmp_gt_i32 s0, 9
	s_cbranch_scc0 .LBB331_2357
; %bb.2353:
	s_wait_loadcnt 0x0
	global_load_b64 v[10:11], v[16:17], off
	s_mov_b32 s6, 0
	s_wait_loadcnt 0x0
	v_cvt_u32_f64_e32 v10, v[10:11]
	s_branch .LBB331_2358
.LBB331_2354:
	s_mov_b32 s6, -1
                                        ; implicit-def: $vgpr10
	s_branch .LBB331_2376
.LBB331_2355:
	s_mov_b32 s6, -1
                                        ; implicit-def: $vgpr10
	s_branch .LBB331_2364
.LBB331_2356:
	s_mov_b32 s6, -1
                                        ; implicit-def: $vgpr10
	s_branch .LBB331_2361
.LBB331_2357:
	s_mov_b32 s6, -1
                                        ; implicit-def: $vgpr10
.LBB331_2358:
	s_delay_alu instid0(SALU_CYCLE_1)
	s_and_not1_b32 vcc_lo, exec_lo, s6
	s_cbranch_vccnz .LBB331_2360
; %bb.2359:
	s_wait_loadcnt 0x0
	global_load_b32 v1, v[16:17], off
	s_wait_loadcnt 0x0
	v_cvt_u32_f32_e32 v10, v1
.LBB331_2360:
	s_mov_b32 s6, 0
.LBB331_2361:
	s_delay_alu instid0(SALU_CYCLE_1)
	s_and_not1_b32 vcc_lo, exec_lo, s6
	s_cbranch_vccnz .LBB331_2363
; %bb.2362:
	s_wait_loadcnt 0x0
	global_load_b32 v1, v[16:17], off
	s_wait_loadcnt 0x0
	v_cvt_u16_f16_e32 v10, v1
.LBB331_2363:
	s_mov_b32 s6, 0
.LBB331_2364:
	s_delay_alu instid0(SALU_CYCLE_1)
	s_and_not1_b32 vcc_lo, exec_lo, s6
	s_cbranch_vccnz .LBB331_2375
; %bb.2365:
	s_cmp_lt_i32 s0, 6
	s_cbranch_scc1 .LBB331_2368
; %bb.2366:
	s_cmp_gt_i32 s0, 6
	s_cbranch_scc0 .LBB331_2369
; %bb.2367:
	s_wait_loadcnt 0x0
	global_load_b64 v[10:11], v[16:17], off
	s_mov_b32 s6, 0
	s_wait_loadcnt 0x0
	v_cvt_u32_f64_e32 v10, v[10:11]
	s_branch .LBB331_2370
.LBB331_2368:
	s_mov_b32 s6, -1
                                        ; implicit-def: $vgpr10
	s_branch .LBB331_2373
.LBB331_2369:
	s_mov_b32 s6, -1
                                        ; implicit-def: $vgpr10
.LBB331_2370:
	s_delay_alu instid0(SALU_CYCLE_1)
	s_and_not1_b32 vcc_lo, exec_lo, s6
	s_cbranch_vccnz .LBB331_2372
; %bb.2371:
	s_wait_loadcnt 0x0
	global_load_b32 v1, v[16:17], off
	s_wait_loadcnt 0x0
	v_cvt_u32_f32_e32 v10, v1
.LBB331_2372:
	s_mov_b32 s6, 0
.LBB331_2373:
	s_delay_alu instid0(SALU_CYCLE_1)
	s_and_not1_b32 vcc_lo, exec_lo, s6
	s_cbranch_vccnz .LBB331_2375
; %bb.2374:
	s_wait_loadcnt 0x0
	global_load_u16 v1, v[16:17], off
	s_wait_loadcnt 0x0
	v_cvt_u16_f16_e32 v10, v1
.LBB331_2375:
	s_mov_b32 s6, 0
.LBB331_2376:
	s_delay_alu instid0(SALU_CYCLE_1)
	s_and_not1_b32 vcc_lo, exec_lo, s6
	s_cbranch_vccnz .LBB331_2396
; %bb.2377:
	s_cmp_lt_i32 s0, 2
	s_cbranch_scc1 .LBB331_2381
; %bb.2378:
	s_cmp_lt_i32 s0, 3
	s_cbranch_scc1 .LBB331_2382
; %bb.2379:
	s_cmp_gt_i32 s0, 3
	s_cbranch_scc0 .LBB331_2383
; %bb.2380:
	s_wait_loadcnt 0x0
	global_load_b64 v[10:11], v[16:17], off
	s_mov_b32 s6, 0
	s_branch .LBB331_2384
.LBB331_2381:
	s_mov_b32 s6, -1
                                        ; implicit-def: $vgpr10
	s_branch .LBB331_2390
.LBB331_2382:
	s_mov_b32 s6, -1
                                        ; implicit-def: $vgpr10
	s_branch .LBB331_2387
.LBB331_2383:
	s_mov_b32 s6, -1
                                        ; implicit-def: $vgpr10
.LBB331_2384:
	s_delay_alu instid0(SALU_CYCLE_1)
	s_and_not1_b32 vcc_lo, exec_lo, s6
	s_cbranch_vccnz .LBB331_2386
; %bb.2385:
	s_wait_loadcnt 0x0
	global_load_b32 v10, v[16:17], off
.LBB331_2386:
	s_mov_b32 s6, 0
.LBB331_2387:
	s_delay_alu instid0(SALU_CYCLE_1)
	s_and_not1_b32 vcc_lo, exec_lo, s6
	s_cbranch_vccnz .LBB331_2389
; %bb.2388:
	s_wait_loadcnt 0x0
	global_load_u16 v10, v[16:17], off
.LBB331_2389:
	s_mov_b32 s6, 0
.LBB331_2390:
	s_delay_alu instid0(SALU_CYCLE_1)
	s_and_not1_b32 vcc_lo, exec_lo, s6
	s_cbranch_vccnz .LBB331_2396
; %bb.2391:
	s_cmp_gt_i32 s0, 0
	s_mov_b32 s0, 0
	s_cbranch_scc0 .LBB331_2393
; %bb.2392:
	s_wait_loadcnt 0x0
	global_load_i8 v10, v[16:17], off
	s_branch .LBB331_2394
.LBB331_2393:
	s_mov_b32 s0, -1
                                        ; implicit-def: $vgpr10
.LBB331_2394:
	s_delay_alu instid0(SALU_CYCLE_1)
	s_and_not1_b32 vcc_lo, exec_lo, s0
	s_cbranch_vccnz .LBB331_2396
; %bb.2395:
	s_wait_loadcnt 0x0
	global_load_u8 v10, v[16:17], off
.LBB331_2396:
	s_mov_b32 s14, -1
.LBB331_2397:
	s_delay_alu instid0(SALU_CYCLE_1)
	s_and_not1_b32 vcc_lo, exec_lo, s14
	s_cbranch_vccnz .LBB331_2957
; %bb.2398:
	v_add_nc_u32_e32 v14, s10, v14
	s_cmp_lt_i32 s1, 11
	s_delay_alu instid0(VALU_DEP_1) | instskip(SKIP_1) | instid1(VALU_DEP_1)
	v_ashrrev_i32_e32 v15, 31, v14
	s_wait_xcnt 0x0
	v_add_nc_u64_e32 v[16:17], s[2:3], v[14:15]
	s_cbranch_scc1 .LBB331_2405
; %bb.2399:
	s_and_b32 s0, 0xffff, s1
	s_mov_b32 s3, 0
	s_cmp_gt_i32 s0, 25
	s_cbranch_scc0 .LBB331_2406
; %bb.2400:
	s_cmp_gt_i32 s0, 28
	s_cbranch_scc0 .LBB331_2407
; %bb.2401:
	;; [unrolled: 3-line block ×4, first 2 shown]
	s_cmp_eq_u32 s0, 46
	s_mov_b32 s7, 0
	s_cbranch_scc0 .LBB331_2411
; %bb.2404:
	s_wait_loadcnt 0x0
	global_load_b32 v1, v[16:17], off
	s_mov_b32 s2, 0
	s_mov_b32 s6, -1
	s_wait_loadcnt 0x0
	v_lshlrev_b32_e32 v1, 16, v1
	s_delay_alu instid0(VALU_DEP_1)
	v_cvt_u32_f32_e32 v14, v1
	s_branch .LBB331_2413
.LBB331_2405:
	s_mov_b32 s0, -1
	s_mov_b32 s6, 0
                                        ; implicit-def: $vgpr14
	s_branch .LBB331_2475
.LBB331_2406:
	s_mov_b32 s7, -1
	s_mov_b32 s6, 0
	s_mov_b32 s2, 0
                                        ; implicit-def: $vgpr14
	s_branch .LBB331_2440
.LBB331_2407:
	s_mov_b32 s7, -1
	s_mov_b32 s6, 0
	s_mov_b32 s2, 0
                                        ; implicit-def: $vgpr14
	s_branch .LBB331_2423
.LBB331_2408:
	s_mov_b32 s7, -1
	s_mov_b32 s6, 0
	s_mov_b32 s2, 0
                                        ; implicit-def: $vgpr14
	s_branch .LBB331_2418
.LBB331_2409:
	s_or_b32 s13, s13, exec_lo
	s_trap 2
	s_cbranch_execz .LBB331_2346
	s_branch .LBB331_2347
.LBB331_2410:
	s_mov_b32 s7, -1
	s_mov_b32 s6, 0
	s_mov_b32 s2, 0
	s_branch .LBB331_2412
.LBB331_2411:
	s_mov_b32 s2, -1
	s_mov_b32 s6, 0
.LBB331_2412:
                                        ; implicit-def: $vgpr14
.LBB331_2413:
	s_and_b32 vcc_lo, exec_lo, s7
	s_cbranch_vccz .LBB331_2417
; %bb.2414:
	s_cmp_eq_u32 s0, 44
	s_cbranch_scc0 .LBB331_2416
; %bb.2415:
	s_wait_loadcnt 0x0
	global_load_u8 v1, v[16:17], off
	s_mov_b32 s2, 0
	s_mov_b32 s6, -1
	s_wait_loadcnt 0x0
	v_lshlrev_b32_e32 v3, 23, v1
	v_cmp_ne_u32_e32 vcc_lo, 0, v1
	s_delay_alu instid0(VALU_DEP_2) | instskip(NEXT) | instid1(VALU_DEP_1)
	v_cvt_u32_f32_e32 v3, v3
	v_cndmask_b32_e32 v14, 0, v3, vcc_lo
	s_branch .LBB331_2417
.LBB331_2416:
	s_mov_b32 s2, -1
                                        ; implicit-def: $vgpr14
.LBB331_2417:
	s_mov_b32 s7, 0
.LBB331_2418:
	s_delay_alu instid0(SALU_CYCLE_1)
	s_and_b32 vcc_lo, exec_lo, s7
	s_cbranch_vccz .LBB331_2422
; %bb.2419:
	s_cmp_eq_u32 s0, 29
	s_cbranch_scc0 .LBB331_2421
; %bb.2420:
	global_load_b64 v[14:15], v[16:17], off
	s_mov_b32 s2, 0
	s_mov_b32 s6, -1
	s_branch .LBB331_2422
.LBB331_2421:
	s_mov_b32 s2, -1
                                        ; implicit-def: $vgpr14
.LBB331_2422:
	s_mov_b32 s7, 0
.LBB331_2423:
	s_delay_alu instid0(SALU_CYCLE_1)
	s_and_b32 vcc_lo, exec_lo, s7
	s_cbranch_vccz .LBB331_2439
; %bb.2424:
	s_cmp_lt_i32 s0, 27
	s_cbranch_scc1 .LBB331_2427
; %bb.2425:
	s_cmp_gt_i32 s0, 27
	s_cbranch_scc0 .LBB331_2428
; %bb.2426:
	s_wait_loadcnt 0x0
	global_load_b32 v14, v[16:17], off
	s_mov_b32 s6, 0
	s_branch .LBB331_2429
.LBB331_2427:
	s_mov_b32 s6, -1
                                        ; implicit-def: $vgpr14
	s_branch .LBB331_2432
.LBB331_2428:
	s_mov_b32 s6, -1
                                        ; implicit-def: $vgpr14
.LBB331_2429:
	s_delay_alu instid0(SALU_CYCLE_1)
	s_and_not1_b32 vcc_lo, exec_lo, s6
	s_cbranch_vccnz .LBB331_2431
; %bb.2430:
	s_wait_loadcnt 0x0
	global_load_u16 v14, v[16:17], off
.LBB331_2431:
	s_mov_b32 s6, 0
.LBB331_2432:
	s_delay_alu instid0(SALU_CYCLE_1)
	s_and_not1_b32 vcc_lo, exec_lo, s6
	s_cbranch_vccnz .LBB331_2438
; %bb.2433:
	s_wait_loadcnt 0x0
	global_load_u8 v1, v[16:17], off
	s_mov_b32 s7, 0
	s_mov_b32 s6, exec_lo
	s_wait_loadcnt 0x0
	v_cmpx_lt_i16_e32 0x7f, v1
	s_xor_b32 s6, exec_lo, s6
	s_cbranch_execz .LBB331_2450
; %bb.2434:
	v_cmp_ne_u16_e32 vcc_lo, 0x80, v1
	s_and_b32 s7, vcc_lo, exec_lo
	s_and_not1_saveexec_b32 s6, s6
	s_cbranch_execnz .LBB331_2451
.LBB331_2435:
	s_or_b32 exec_lo, exec_lo, s6
	v_mov_b32_e32 v14, 0
	s_and_saveexec_b32 s6, s7
	s_cbranch_execz .LBB331_2437
.LBB331_2436:
	v_and_b32_e32 v3, 0xffff, v1
	s_delay_alu instid0(VALU_DEP_1) | instskip(SKIP_1) | instid1(VALU_DEP_2)
	v_dual_lshlrev_b32 v1, 24, v1 :: v_dual_bitop2_b32 v5, 7, v3 bitop3:0x40
	v_bfe_u32 v11, v3, 3, 4
	v_and_b32_e32 v1, 0x80000000, v1
	s_delay_alu instid0(VALU_DEP_3) | instskip(NEXT) | instid1(VALU_DEP_3)
	v_clz_i32_u32_e32 v7, v5
	v_cmp_eq_u32_e32 vcc_lo, 0, v11
	s_delay_alu instid0(VALU_DEP_2) | instskip(NEXT) | instid1(VALU_DEP_1)
	v_min_u32_e32 v7, 32, v7
	v_subrev_nc_u32_e32 v9, 28, v7
	v_sub_nc_u32_e32 v7, 29, v7
	s_delay_alu instid0(VALU_DEP_2) | instskip(NEXT) | instid1(VALU_DEP_2)
	v_lshlrev_b32_e32 v3, v9, v3
	v_cndmask_b32_e32 v7, v11, v7, vcc_lo
	s_delay_alu instid0(VALU_DEP_2) | instskip(NEXT) | instid1(VALU_DEP_1)
	v_and_b32_e32 v3, 7, v3
	v_cndmask_b32_e32 v3, v5, v3, vcc_lo
	s_delay_alu instid0(VALU_DEP_3) | instskip(NEXT) | instid1(VALU_DEP_2)
	v_lshl_add_u32 v5, v7, 23, 0x3b800000
	v_lshlrev_b32_e32 v3, 20, v3
	s_delay_alu instid0(VALU_DEP_1) | instskip(NEXT) | instid1(VALU_DEP_1)
	v_or3_b32 v1, v1, v5, v3
	v_cvt_u32_f32_e32 v14, v1
.LBB331_2437:
	s_or_b32 exec_lo, exec_lo, s6
.LBB331_2438:
	s_mov_b32 s6, -1
.LBB331_2439:
	s_mov_b32 s7, 0
.LBB331_2440:
	s_delay_alu instid0(SALU_CYCLE_1)
	s_and_b32 vcc_lo, exec_lo, s7
	s_cbranch_vccz .LBB331_2471
; %bb.2441:
	s_cmp_gt_i32 s0, 22
	s_cbranch_scc0 .LBB331_2449
; %bb.2442:
	s_cmp_lt_i32 s0, 24
	s_cbranch_scc1 .LBB331_2452
; %bb.2443:
	s_cmp_gt_i32 s0, 24
	s_cbranch_scc0 .LBB331_2453
; %bb.2444:
	s_wait_loadcnt 0x0
	global_load_u8 v1, v[16:17], off
	s_mov_b32 s6, 0
	s_mov_b32 s3, exec_lo
	s_wait_loadcnt 0x0
	v_cmpx_lt_i16_e32 0x7f, v1
	s_xor_b32 s3, exec_lo, s3
	s_cbranch_execz .LBB331_2465
; %bb.2445:
	v_cmp_ne_u16_e32 vcc_lo, 0x80, v1
	s_and_b32 s6, vcc_lo, exec_lo
	s_and_not1_saveexec_b32 s3, s3
	s_cbranch_execnz .LBB331_2466
.LBB331_2446:
	s_or_b32 exec_lo, exec_lo, s3
	v_mov_b32_e32 v14, 0
	s_and_saveexec_b32 s3, s6
	s_cbranch_execz .LBB331_2448
.LBB331_2447:
	v_and_b32_e32 v3, 0xffff, v1
	s_delay_alu instid0(VALU_DEP_1) | instskip(SKIP_1) | instid1(VALU_DEP_2)
	v_dual_lshlrev_b32 v1, 24, v1 :: v_dual_bitop2_b32 v5, 3, v3 bitop3:0x40
	v_bfe_u32 v11, v3, 2, 5
	v_and_b32_e32 v1, 0x80000000, v1
	s_delay_alu instid0(VALU_DEP_3) | instskip(NEXT) | instid1(VALU_DEP_3)
	v_clz_i32_u32_e32 v7, v5
	v_cmp_eq_u32_e32 vcc_lo, 0, v11
	s_delay_alu instid0(VALU_DEP_2) | instskip(NEXT) | instid1(VALU_DEP_1)
	v_min_u32_e32 v7, 32, v7
	v_subrev_nc_u32_e32 v9, 29, v7
	v_sub_nc_u32_e32 v7, 30, v7
	s_delay_alu instid0(VALU_DEP_2) | instskip(NEXT) | instid1(VALU_DEP_2)
	v_lshlrev_b32_e32 v3, v9, v3
	v_cndmask_b32_e32 v7, v11, v7, vcc_lo
	s_delay_alu instid0(VALU_DEP_2) | instskip(NEXT) | instid1(VALU_DEP_1)
	v_and_b32_e32 v3, 3, v3
	v_cndmask_b32_e32 v3, v5, v3, vcc_lo
	s_delay_alu instid0(VALU_DEP_3) | instskip(NEXT) | instid1(VALU_DEP_2)
	v_lshl_add_u32 v5, v7, 23, 0x37800000
	v_lshlrev_b32_e32 v3, 21, v3
	s_delay_alu instid0(VALU_DEP_1) | instskip(NEXT) | instid1(VALU_DEP_1)
	v_or3_b32 v1, v1, v5, v3
	v_cvt_u32_f32_e32 v14, v1
.LBB331_2448:
	s_or_b32 exec_lo, exec_lo, s3
	s_mov_b32 s3, 0
	s_branch .LBB331_2454
.LBB331_2449:
	s_mov_b32 s3, -1
                                        ; implicit-def: $vgpr14
	s_branch .LBB331_2460
.LBB331_2450:
	s_and_not1_saveexec_b32 s6, s6
	s_cbranch_execz .LBB331_2435
.LBB331_2451:
	v_cmp_ne_u16_e32 vcc_lo, 0, v1
	s_and_not1_b32 s7, s7, exec_lo
	s_and_b32 s9, vcc_lo, exec_lo
	s_delay_alu instid0(SALU_CYCLE_1)
	s_or_b32 s7, s7, s9
	s_or_b32 exec_lo, exec_lo, s6
	v_mov_b32_e32 v14, 0
	s_and_saveexec_b32 s6, s7
	s_cbranch_execnz .LBB331_2436
	s_branch .LBB331_2437
.LBB331_2452:
	s_mov_b32 s3, -1
                                        ; implicit-def: $vgpr14
	s_branch .LBB331_2457
.LBB331_2453:
	s_mov_b32 s3, -1
                                        ; implicit-def: $vgpr14
.LBB331_2454:
	s_delay_alu instid0(SALU_CYCLE_1)
	s_and_b32 vcc_lo, exec_lo, s3
	s_cbranch_vccz .LBB331_2456
; %bb.2455:
	s_wait_loadcnt 0x0
	global_load_u8 v1, v[16:17], off
	s_wait_loadcnt 0x0
	v_lshlrev_b32_e32 v1, 24, v1
	s_delay_alu instid0(VALU_DEP_1) | instskip(NEXT) | instid1(VALU_DEP_1)
	v_and_b32_e32 v3, 0x7f000000, v1
	v_clz_i32_u32_e32 v5, v3
	v_add_nc_u32_e32 v9, 0x1000000, v3
	v_cmp_ne_u32_e32 vcc_lo, 0, v3
	s_delay_alu instid0(VALU_DEP_3) | instskip(NEXT) | instid1(VALU_DEP_1)
	v_min_u32_e32 v5, 32, v5
	v_sub_nc_u32_e64 v5, v5, 4 clamp
	s_delay_alu instid0(VALU_DEP_1) | instskip(NEXT) | instid1(VALU_DEP_1)
	v_dual_lshlrev_b32 v7, v5, v3 :: v_dual_lshlrev_b32 v5, 23, v5
	v_lshrrev_b32_e32 v7, 4, v7
	s_delay_alu instid0(VALU_DEP_1) | instskip(SKIP_1) | instid1(VALU_DEP_2)
	v_sub_nc_u32_e32 v5, v7, v5
	v_ashrrev_i32_e32 v7, 8, v9
	v_add_nc_u32_e32 v5, 0x3c000000, v5
	s_delay_alu instid0(VALU_DEP_1) | instskip(NEXT) | instid1(VALU_DEP_1)
	v_and_or_b32 v5, 0x7f800000, v7, v5
	v_cndmask_b32_e32 v3, 0, v5, vcc_lo
	s_delay_alu instid0(VALU_DEP_1) | instskip(NEXT) | instid1(VALU_DEP_1)
	v_and_or_b32 v1, 0x80000000, v1, v3
	v_cvt_u32_f32_e32 v14, v1
.LBB331_2456:
	s_mov_b32 s3, 0
.LBB331_2457:
	s_delay_alu instid0(SALU_CYCLE_1)
	s_and_not1_b32 vcc_lo, exec_lo, s3
	s_cbranch_vccnz .LBB331_2459
; %bb.2458:
	s_wait_loadcnt 0x0
	global_load_u8 v1, v[16:17], off
	s_wait_loadcnt 0x0
	v_lshlrev_b32_e32 v3, 25, v1
	v_lshlrev_b16 v1, 8, v1
	s_delay_alu instid0(VALU_DEP_1) | instskip(SKIP_1) | instid1(VALU_DEP_2)
	v_and_or_b32 v7, 0x7f00, v1, 0.5
	v_bfe_i32 v1, v1, 0, 16
	v_add_f32_e32 v7, -0.5, v7
	v_lshrrev_b32_e32 v5, 4, v3
	v_cmp_gt_u32_e32 vcc_lo, 0x8000000, v3
	s_delay_alu instid0(VALU_DEP_2) | instskip(NEXT) | instid1(VALU_DEP_1)
	v_or_b32_e32 v5, 0x70000000, v5
	v_mul_f32_e32 v5, 0x7800000, v5
	s_delay_alu instid0(VALU_DEP_1) | instskip(NEXT) | instid1(VALU_DEP_1)
	v_cndmask_b32_e32 v3, v5, v7, vcc_lo
	v_and_or_b32 v1, 0x80000000, v1, v3
	s_delay_alu instid0(VALU_DEP_1)
	v_cvt_u32_f32_e32 v14, v1
.LBB331_2459:
	s_mov_b32 s3, 0
	s_mov_b32 s6, -1
.LBB331_2460:
	s_and_not1_b32 vcc_lo, exec_lo, s3
	s_mov_b32 s3, 0
	s_cbranch_vccnz .LBB331_2471
; %bb.2461:
	s_cmp_gt_i32 s0, 14
	s_cbranch_scc0 .LBB331_2464
; %bb.2462:
	s_cmp_eq_u32 s0, 15
	s_cbranch_scc0 .LBB331_2467
; %bb.2463:
	s_wait_loadcnt 0x0
	global_load_u16 v1, v[16:17], off
	s_mov_b32 s2, 0
	s_mov_b32 s6, -1
	s_wait_loadcnt 0x0
	v_lshlrev_b32_e32 v1, 16, v1
	s_delay_alu instid0(VALU_DEP_1)
	v_cvt_u32_f32_e32 v14, v1
	s_branch .LBB331_2469
.LBB331_2464:
	s_mov_b32 s3, -1
	s_branch .LBB331_2468
.LBB331_2465:
	s_and_not1_saveexec_b32 s3, s3
	s_cbranch_execz .LBB331_2446
.LBB331_2466:
	v_cmp_ne_u16_e32 vcc_lo, 0, v1
	s_and_not1_b32 s6, s6, exec_lo
	s_and_b32 s7, vcc_lo, exec_lo
	s_delay_alu instid0(SALU_CYCLE_1)
	s_or_b32 s6, s6, s7
	s_or_b32 exec_lo, exec_lo, s3
	v_mov_b32_e32 v14, 0
	s_and_saveexec_b32 s3, s6
	s_cbranch_execnz .LBB331_2447
	s_branch .LBB331_2448
.LBB331_2467:
	s_mov_b32 s2, -1
.LBB331_2468:
                                        ; implicit-def: $vgpr14
.LBB331_2469:
	s_and_b32 vcc_lo, exec_lo, s3
	s_mov_b32 s3, 0
	s_cbranch_vccz .LBB331_2471
; %bb.2470:
	s_cmp_lg_u32 s0, 11
	s_mov_b32 s3, -1
	s_cselect_b32 s2, -1, 0
.LBB331_2471:
	s_delay_alu instid0(SALU_CYCLE_1)
	s_and_b32 vcc_lo, exec_lo, s2
	s_cbranch_vccnz .LBB331_3003
; %bb.2472:
	s_and_not1_b32 vcc_lo, exec_lo, s3
	s_cbranch_vccnz .LBB331_2474
.LBB331_2473:
	s_wait_loadcnt 0x0
	global_load_u8 v1, v[16:17], off
	s_mov_b32 s6, -1
	s_wait_loadcnt 0x0
	v_cmp_ne_u16_e32 vcc_lo, 0, v1
	v_cndmask_b32_e64 v14, 0, 1, vcc_lo
.LBB331_2474:
	s_mov_b32 s0, 0
.LBB331_2475:
	s_delay_alu instid0(SALU_CYCLE_1)
	s_and_b32 vcc_lo, exec_lo, s0
	s_cbranch_vccz .LBB331_2524
; %bb.2476:
	s_and_b32 s0, 0xffff, s1
	s_delay_alu instid0(SALU_CYCLE_1)
	s_cmp_lt_i32 s0, 5
	s_cbranch_scc1 .LBB331_2481
; %bb.2477:
	s_cmp_lt_i32 s0, 8
	s_cbranch_scc1 .LBB331_2482
; %bb.2478:
	;; [unrolled: 3-line block ×3, first 2 shown]
	s_cmp_gt_i32 s0, 9
	s_cbranch_scc0 .LBB331_2484
; %bb.2480:
	s_wait_loadcnt 0x0
	global_load_b64 v[14:15], v[16:17], off
	s_mov_b32 s1, 0
	s_wait_loadcnt 0x0
	v_cvt_u32_f64_e32 v14, v[14:15]
	s_branch .LBB331_2485
.LBB331_2481:
	s_mov_b32 s1, -1
                                        ; implicit-def: $vgpr14
	s_branch .LBB331_2503
.LBB331_2482:
	s_mov_b32 s1, -1
                                        ; implicit-def: $vgpr14
	s_branch .LBB331_2491
.LBB331_2483:
	s_mov_b32 s1, -1
                                        ; implicit-def: $vgpr14
	s_branch .LBB331_2488
.LBB331_2484:
	s_mov_b32 s1, -1
                                        ; implicit-def: $vgpr14
.LBB331_2485:
	s_delay_alu instid0(SALU_CYCLE_1)
	s_and_not1_b32 vcc_lo, exec_lo, s1
	s_cbranch_vccnz .LBB331_2487
; %bb.2486:
	s_wait_loadcnt 0x0
	global_load_b32 v1, v[16:17], off
	s_wait_loadcnt 0x0
	v_cvt_u32_f32_e32 v14, v1
.LBB331_2487:
	s_mov_b32 s1, 0
.LBB331_2488:
	s_delay_alu instid0(SALU_CYCLE_1)
	s_and_not1_b32 vcc_lo, exec_lo, s1
	s_cbranch_vccnz .LBB331_2490
; %bb.2489:
	s_wait_loadcnt 0x0
	global_load_b32 v1, v[16:17], off
	s_wait_loadcnt 0x0
	v_cvt_u16_f16_e32 v14, v1
.LBB331_2490:
	s_mov_b32 s1, 0
.LBB331_2491:
	s_delay_alu instid0(SALU_CYCLE_1)
	s_and_not1_b32 vcc_lo, exec_lo, s1
	s_cbranch_vccnz .LBB331_2502
; %bb.2492:
	s_cmp_lt_i32 s0, 6
	s_cbranch_scc1 .LBB331_2495
; %bb.2493:
	s_cmp_gt_i32 s0, 6
	s_cbranch_scc0 .LBB331_2496
; %bb.2494:
	s_wait_loadcnt 0x0
	global_load_b64 v[14:15], v[16:17], off
	s_mov_b32 s1, 0
	s_wait_loadcnt 0x0
	v_cvt_u32_f64_e32 v14, v[14:15]
	s_branch .LBB331_2497
.LBB331_2495:
	s_mov_b32 s1, -1
                                        ; implicit-def: $vgpr14
	s_branch .LBB331_2500
.LBB331_2496:
	s_mov_b32 s1, -1
                                        ; implicit-def: $vgpr14
.LBB331_2497:
	s_delay_alu instid0(SALU_CYCLE_1)
	s_and_not1_b32 vcc_lo, exec_lo, s1
	s_cbranch_vccnz .LBB331_2499
; %bb.2498:
	s_wait_loadcnt 0x0
	global_load_b32 v1, v[16:17], off
	s_wait_loadcnt 0x0
	v_cvt_u32_f32_e32 v14, v1
.LBB331_2499:
	s_mov_b32 s1, 0
.LBB331_2500:
	s_delay_alu instid0(SALU_CYCLE_1)
	s_and_not1_b32 vcc_lo, exec_lo, s1
	s_cbranch_vccnz .LBB331_2502
; %bb.2501:
	s_wait_loadcnt 0x0
	global_load_u16 v1, v[16:17], off
	s_wait_loadcnt 0x0
	v_cvt_u16_f16_e32 v14, v1
.LBB331_2502:
	s_mov_b32 s1, 0
.LBB331_2503:
	s_delay_alu instid0(SALU_CYCLE_1)
	s_and_not1_b32 vcc_lo, exec_lo, s1
	s_cbranch_vccnz .LBB331_2523
; %bb.2504:
	s_cmp_lt_i32 s0, 2
	s_cbranch_scc1 .LBB331_2508
; %bb.2505:
	s_cmp_lt_i32 s0, 3
	s_cbranch_scc1 .LBB331_2509
; %bb.2506:
	s_cmp_gt_i32 s0, 3
	s_cbranch_scc0 .LBB331_2510
; %bb.2507:
	s_wait_loadcnt 0x0
	global_load_b64 v[14:15], v[16:17], off
	s_mov_b32 s1, 0
	s_branch .LBB331_2511
.LBB331_2508:
	s_mov_b32 s1, -1
                                        ; implicit-def: $vgpr14
	s_branch .LBB331_2517
.LBB331_2509:
	s_mov_b32 s1, -1
                                        ; implicit-def: $vgpr14
	s_branch .LBB331_2514
.LBB331_2510:
	s_mov_b32 s1, -1
                                        ; implicit-def: $vgpr14
.LBB331_2511:
	s_delay_alu instid0(SALU_CYCLE_1)
	s_and_not1_b32 vcc_lo, exec_lo, s1
	s_cbranch_vccnz .LBB331_2513
; %bb.2512:
	s_wait_loadcnt 0x0
	global_load_b32 v14, v[16:17], off
.LBB331_2513:
	s_mov_b32 s1, 0
.LBB331_2514:
	s_delay_alu instid0(SALU_CYCLE_1)
	s_and_not1_b32 vcc_lo, exec_lo, s1
	s_cbranch_vccnz .LBB331_2516
; %bb.2515:
	s_wait_loadcnt 0x0
	global_load_u16 v14, v[16:17], off
.LBB331_2516:
	s_mov_b32 s1, 0
.LBB331_2517:
	s_delay_alu instid0(SALU_CYCLE_1)
	s_and_not1_b32 vcc_lo, exec_lo, s1
	s_cbranch_vccnz .LBB331_2523
; %bb.2518:
	s_cmp_gt_i32 s0, 0
	s_mov_b32 s0, 0
	s_cbranch_scc0 .LBB331_2520
; %bb.2519:
	s_wait_loadcnt 0x0
	global_load_i8 v14, v[16:17], off
	s_branch .LBB331_2521
.LBB331_2520:
	s_mov_b32 s0, -1
                                        ; implicit-def: $vgpr14
.LBB331_2521:
	s_delay_alu instid0(SALU_CYCLE_1)
	s_and_not1_b32 vcc_lo, exec_lo, s0
	s_cbranch_vccnz .LBB331_2523
; %bb.2522:
	s_wait_loadcnt 0x0
	global_load_u8 v14, v[16:17], off
.LBB331_2523:
	s_mov_b32 s6, -1
.LBB331_2524:
	s_delay_alu instid0(SALU_CYCLE_1)
	s_and_not1_b32 vcc_lo, exec_lo, s6
	s_cbranch_vccnz .LBB331_2957
; %bb.2525:
	s_wait_xcnt 0x0
	v_mul_lo_u32 v16, s8, v18
	s_wait_loadcnt 0x0
	v_cmp_ne_u16_e32 vcc_lo, v0, v4
	s_cmp_eq_u32 s11, 0
	s_mov_b32 s7, 0
	s_cselect_b32 s1, -1, 0
	s_and_b32 s17, s12, 0xff
	s_xor_b32 s2, s1, vcc_lo
	s_cmp_lt_i32 s17, 11
	s_mov_b32 s0, -1
	s_delay_alu instid0(VALU_DEP_2) | instskip(NEXT) | instid1(VALU_DEP_1)
	v_ashrrev_i32_e32 v17, 31, v16
	v_add_nc_u64_e32 v[0:1], s[4:5], v[16:17]
	s_cbranch_scc1 .LBB331_2604
; %bb.2526:
	s_and_b32 s3, 0xffff, s17
	s_mov_b32 s9, -1
	s_mov_b32 s6, 0
	s_cmp_gt_i32 s3, 25
	s_mov_b32 s0, 0
	s_cbranch_scc0 .LBB331_2559
; %bb.2527:
	s_cmp_gt_i32 s3, 28
	s_cbranch_scc0 .LBB331_2542
; %bb.2528:
	s_cmp_gt_i32 s3, 43
	;; [unrolled: 3-line block ×3, first 2 shown]
	s_cbranch_scc0 .LBB331_2532
; %bb.2530:
	s_mov_b32 s0, -1
	s_mov_b32 s9, 0
	s_cmp_eq_u32 s3, 46
	s_cbranch_scc0 .LBB331_2532
; %bb.2531:
	v_cndmask_b32_e64 v3, 0, 1.0, s2
	s_mov_b32 s0, 0
	s_mov_b32 s7, -1
	s_delay_alu instid0(VALU_DEP_1) | instskip(NEXT) | instid1(VALU_DEP_1)
	v_bfe_u32 v4, v3, 16, 1
	v_add3_u32 v3, v3, v4, 0x7fff
	s_delay_alu instid0(VALU_DEP_1)
	v_lshrrev_b32_e32 v3, 16, v3
	global_store_b32 v[0:1], v3, off
.LBB331_2532:
	s_and_b32 vcc_lo, exec_lo, s9
	s_cbranch_vccz .LBB331_2537
; %bb.2533:
	s_cmp_eq_u32 s3, 44
	s_mov_b32 s0, -1
	s_cbranch_scc0 .LBB331_2537
; %bb.2534:
	v_cndmask_b32_e64 v5, 0, 1.0, s2
	s_mov_b32 s7, exec_lo
	s_wait_xcnt 0x0
	s_delay_alu instid0(VALU_DEP_1) | instskip(NEXT) | instid1(VALU_DEP_1)
	v_dual_mov_b32 v4, 0xff :: v_dual_lshrrev_b32 v3, 23, v5
	v_cmpx_ne_u32_e32 0xff, v3
; %bb.2535:
	v_and_b32_e32 v4, 0x400000, v5
	v_and_or_b32 v5, 0x3fffff, v5, v3
	s_delay_alu instid0(VALU_DEP_2) | instskip(NEXT) | instid1(VALU_DEP_2)
	v_cmp_ne_u32_e32 vcc_lo, 0, v4
	v_cmp_ne_u32_e64 s0, 0, v5
	s_and_b32 s0, vcc_lo, s0
	s_delay_alu instid0(SALU_CYCLE_1) | instskip(NEXT) | instid1(VALU_DEP_1)
	v_cndmask_b32_e64 v4, 0, 1, s0
	v_add_nc_u32_e32 v4, v3, v4
; %bb.2536:
	s_or_b32 exec_lo, exec_lo, s7
	s_mov_b32 s0, 0
	s_mov_b32 s7, -1
	global_store_b8 v[0:1], v4, off
.LBB331_2537:
	s_mov_b32 s9, 0
.LBB331_2538:
	s_delay_alu instid0(SALU_CYCLE_1)
	s_and_b32 vcc_lo, exec_lo, s9
	s_cbranch_vccz .LBB331_2541
; %bb.2539:
	s_cmp_eq_u32 s3, 29
	s_mov_b32 s0, -1
	s_cbranch_scc0 .LBB331_2541
; %bb.2540:
	s_mov_b32 s0, 0
	s_wait_xcnt 0x0
	v_cndmask_b32_e64 v4, 0, 1, s2
	v_mov_b32_e32 v5, s0
	s_mov_b32 s7, -1
	global_store_b64 v[0:1], v[4:5], off
.LBB331_2541:
	s_mov_b32 s9, 0
.LBB331_2542:
	s_delay_alu instid0(SALU_CYCLE_1)
	s_and_b32 vcc_lo, exec_lo, s9
	s_cbranch_vccz .LBB331_2558
; %bb.2543:
	s_cmp_lt_i32 s3, 27
	s_mov_b32 s7, -1
	s_cbranch_scc1 .LBB331_2549
; %bb.2544:
	s_cmp_gt_i32 s3, 27
	s_cbranch_scc0 .LBB331_2546
; %bb.2545:
	s_wait_xcnt 0x0
	v_cndmask_b32_e64 v3, 0, 1, s2
	s_mov_b32 s7, 0
	global_store_b32 v[0:1], v3, off
.LBB331_2546:
	s_and_not1_b32 vcc_lo, exec_lo, s7
	s_cbranch_vccnz .LBB331_2548
; %bb.2547:
	s_wait_xcnt 0x0
	v_cndmask_b32_e64 v3, 0, 1, s2
	global_store_b16 v[0:1], v3, off
.LBB331_2548:
	s_mov_b32 s7, 0
.LBB331_2549:
	s_delay_alu instid0(SALU_CYCLE_1)
	s_and_not1_b32 vcc_lo, exec_lo, s7
	s_cbranch_vccnz .LBB331_2557
; %bb.2550:
	s_wait_xcnt 0x0
	v_cndmask_b32_e64 v4, 0, 1.0, s2
	v_mov_b32_e32 v5, 0x80
	s_mov_b32 s7, exec_lo
	s_delay_alu instid0(VALU_DEP_2)
	v_cmpx_gt_u32_e32 0x43800000, v4
	s_cbranch_execz .LBB331_2556
; %bb.2551:
	s_mov_b32 s9, 0
	s_mov_b32 s10, exec_lo
                                        ; implicit-def: $vgpr3
	v_cmpx_lt_u32_e32 0x3bffffff, v4
	s_xor_b32 s10, exec_lo, s10
	s_cbranch_execz .LBB331_3004
; %bb.2552:
	v_bfe_u32 v3, v4, 20, 1
	s_mov_b32 s9, exec_lo
	s_delay_alu instid0(VALU_DEP_1) | instskip(NEXT) | instid1(VALU_DEP_1)
	v_add3_u32 v3, v4, v3, 0x487ffff
                                        ; implicit-def: $vgpr4
	v_lshrrev_b32_e32 v3, 20, v3
	s_and_not1_saveexec_b32 s10, s10
	s_cbranch_execnz .LBB331_3005
.LBB331_2553:
	s_or_b32 exec_lo, exec_lo, s10
	v_mov_b32_e32 v5, 0
	s_and_saveexec_b32 s10, s9
.LBB331_2554:
	v_mov_b32_e32 v5, v3
.LBB331_2555:
	s_or_b32 exec_lo, exec_lo, s10
.LBB331_2556:
	s_delay_alu instid0(SALU_CYCLE_1)
	s_or_b32 exec_lo, exec_lo, s7
	global_store_b8 v[0:1], v5, off
.LBB331_2557:
	s_mov_b32 s7, -1
.LBB331_2558:
	s_mov_b32 s9, 0
.LBB331_2559:
	s_delay_alu instid0(SALU_CYCLE_1)
	s_and_b32 vcc_lo, exec_lo, s9
	s_cbranch_vccz .LBB331_2599
; %bb.2560:
	s_cmp_gt_i32 s3, 22
	s_mov_b32 s6, -1
	s_cbranch_scc0 .LBB331_2592
; %bb.2561:
	s_cmp_lt_i32 s3, 24
	s_cbranch_scc1 .LBB331_2581
; %bb.2562:
	s_cmp_gt_i32 s3, 24
	s_cbranch_scc0 .LBB331_2570
; %bb.2563:
	s_wait_xcnt 0x0
	v_cndmask_b32_e64 v4, 0, 1.0, s2
	v_mov_b32_e32 v5, 0x80
	s_mov_b32 s6, exec_lo
	s_delay_alu instid0(VALU_DEP_2)
	v_cmpx_gt_u32_e32 0x47800000, v4
	s_cbranch_execz .LBB331_2569
; %bb.2564:
	s_mov_b32 s7, 0
	s_mov_b32 s9, exec_lo
                                        ; implicit-def: $vgpr3
	v_cmpx_lt_u32_e32 0x37ffffff, v4
	s_xor_b32 s9, exec_lo, s9
	s_cbranch_execz .LBB331_3007
; %bb.2565:
	v_bfe_u32 v3, v4, 21, 1
	s_mov_b32 s7, exec_lo
	s_delay_alu instid0(VALU_DEP_1) | instskip(NEXT) | instid1(VALU_DEP_1)
	v_add3_u32 v3, v4, v3, 0x88fffff
                                        ; implicit-def: $vgpr4
	v_lshrrev_b32_e32 v3, 21, v3
	s_and_not1_saveexec_b32 s9, s9
	s_cbranch_execnz .LBB331_3008
.LBB331_2566:
	s_or_b32 exec_lo, exec_lo, s9
	v_mov_b32_e32 v5, 0
	s_and_saveexec_b32 s9, s7
.LBB331_2567:
	v_mov_b32_e32 v5, v3
.LBB331_2568:
	s_or_b32 exec_lo, exec_lo, s9
.LBB331_2569:
	s_delay_alu instid0(SALU_CYCLE_1)
	s_or_b32 exec_lo, exec_lo, s6
	s_mov_b32 s6, 0
	global_store_b8 v[0:1], v5, off
.LBB331_2570:
	s_and_b32 vcc_lo, exec_lo, s6
	s_cbranch_vccz .LBB331_2580
; %bb.2571:
	s_wait_xcnt 0x0
	v_cndmask_b32_e64 v4, 0, 1.0, s2
	s_mov_b32 s6, exec_lo
                                        ; implicit-def: $vgpr3
	s_delay_alu instid0(VALU_DEP_1)
	v_cmpx_gt_u32_e32 0x43f00000, v4
	s_xor_b32 s6, exec_lo, s6
	s_cbranch_execz .LBB331_2577
; %bb.2572:
	s_mov_b32 s7, exec_lo
                                        ; implicit-def: $vgpr3
	v_cmpx_lt_u32_e32 0x3c7fffff, v4
	s_xor_b32 s7, exec_lo, s7
; %bb.2573:
	v_bfe_u32 v3, v4, 20, 1
	s_delay_alu instid0(VALU_DEP_1) | instskip(NEXT) | instid1(VALU_DEP_1)
	v_add3_u32 v3, v4, v3, 0x407ffff
	v_and_b32_e32 v4, 0xff00000, v3
	v_lshrrev_b32_e32 v3, 20, v3
	s_delay_alu instid0(VALU_DEP_2) | instskip(NEXT) | instid1(VALU_DEP_2)
	v_cmp_ne_u32_e32 vcc_lo, 0x7f00000, v4
                                        ; implicit-def: $vgpr4
	v_cndmask_b32_e32 v3, 0x7e, v3, vcc_lo
; %bb.2574:
	s_and_not1_saveexec_b32 s7, s7
; %bb.2575:
	v_add_f32_e32 v3, 0x46800000, v4
; %bb.2576:
	s_or_b32 exec_lo, exec_lo, s7
                                        ; implicit-def: $vgpr4
.LBB331_2577:
	s_and_not1_saveexec_b32 s6, s6
; %bb.2578:
	v_mov_b32_e32 v3, 0x7f
	v_cmp_lt_u32_e32 vcc_lo, 0x7f800000, v4
	s_delay_alu instid0(VALU_DEP_2)
	v_cndmask_b32_e32 v3, 0x7e, v3, vcc_lo
; %bb.2579:
	s_or_b32 exec_lo, exec_lo, s6
	global_store_b8 v[0:1], v3, off
.LBB331_2580:
	s_mov_b32 s6, 0
.LBB331_2581:
	s_delay_alu instid0(SALU_CYCLE_1)
	s_and_not1_b32 vcc_lo, exec_lo, s6
	s_cbranch_vccnz .LBB331_2591
; %bb.2582:
	s_wait_xcnt 0x0
	v_cndmask_b32_e64 v4, 0, 1.0, s2
	s_mov_b32 s6, exec_lo
                                        ; implicit-def: $vgpr3
	s_delay_alu instid0(VALU_DEP_1)
	v_cmpx_gt_u32_e32 0x47800000, v4
	s_xor_b32 s6, exec_lo, s6
	s_cbranch_execz .LBB331_2588
; %bb.2583:
	s_mov_b32 s7, exec_lo
                                        ; implicit-def: $vgpr3
	v_cmpx_lt_u32_e32 0x387fffff, v4
	s_xor_b32 s7, exec_lo, s7
; %bb.2584:
	v_bfe_u32 v3, v4, 21, 1
	s_delay_alu instid0(VALU_DEP_1) | instskip(NEXT) | instid1(VALU_DEP_1)
	v_add3_u32 v3, v4, v3, 0x80fffff
                                        ; implicit-def: $vgpr4
	v_lshrrev_b32_e32 v3, 21, v3
; %bb.2585:
	s_and_not1_saveexec_b32 s7, s7
; %bb.2586:
	v_add_f32_e32 v3, 0x43000000, v4
; %bb.2587:
	s_or_b32 exec_lo, exec_lo, s7
                                        ; implicit-def: $vgpr4
.LBB331_2588:
	s_and_not1_saveexec_b32 s6, s6
; %bb.2589:
	v_mov_b32_e32 v3, 0x7f
	v_cmp_lt_u32_e32 vcc_lo, 0x7f800000, v4
	s_delay_alu instid0(VALU_DEP_2)
	v_cndmask_b32_e32 v3, 0x7c, v3, vcc_lo
; %bb.2590:
	s_or_b32 exec_lo, exec_lo, s6
	global_store_b8 v[0:1], v3, off
.LBB331_2591:
	s_mov_b32 s6, 0
	s_mov_b32 s7, -1
.LBB331_2592:
	s_and_not1_b32 vcc_lo, exec_lo, s6
	s_mov_b32 s6, 0
	s_cbranch_vccnz .LBB331_2599
; %bb.2593:
	s_cmp_gt_i32 s3, 14
	s_mov_b32 s6, -1
	s_cbranch_scc0 .LBB331_2597
; %bb.2594:
	s_cmp_eq_u32 s3, 15
	s_mov_b32 s0, -1
	s_cbranch_scc0 .LBB331_2596
; %bb.2595:
	s_wait_xcnt 0x0
	v_cndmask_b32_e64 v3, 0, 1.0, s2
	s_mov_b32 s0, 0
	s_mov_b32 s7, -1
	s_delay_alu instid0(VALU_DEP_1) | instskip(NEXT) | instid1(VALU_DEP_1)
	v_bfe_u32 v4, v3, 16, 1
	v_add3_u32 v3, v3, v4, 0x7fff
	global_store_d16_hi_b16 v[0:1], v3, off
.LBB331_2596:
	s_mov_b32 s6, 0
.LBB331_2597:
	s_delay_alu instid0(SALU_CYCLE_1)
	s_and_b32 vcc_lo, exec_lo, s6
	s_mov_b32 s6, 0
	s_cbranch_vccz .LBB331_2599
; %bb.2598:
	s_cmp_lg_u32 s3, 11
	s_mov_b32 s6, -1
	s_cselect_b32 s0, -1, 0
.LBB331_2599:
	s_delay_alu instid0(SALU_CYCLE_1)
	s_and_b32 vcc_lo, exec_lo, s0
	s_cbranch_vccnz .LBB331_3006
; %bb.2600:
	s_and_not1_b32 vcc_lo, exec_lo, s6
	s_cbranch_vccnz .LBB331_2602
.LBB331_2601:
	s_wait_xcnt 0x0
	v_cndmask_b32_e64 v3, 0, 1, s2
	s_mov_b32 s7, -1
	global_store_b8 v[0:1], v3, off
.LBB331_2602:
.LBB331_2603:
	s_and_not1_b32 vcc_lo, exec_lo, s7
	s_cbranch_vccnz .LBB331_2957
	s_branch .LBB331_2643
.LBB331_2604:
	s_and_b32 vcc_lo, exec_lo, s0
	s_cbranch_vccz .LBB331_2603
; %bb.2605:
	s_and_b32 s0, 0xffff, s17
	s_mov_b32 s3, -1
	s_cmp_lt_i32 s0, 5
	s_cbranch_scc1 .LBB331_2626
; %bb.2606:
	s_cmp_lt_i32 s0, 8
	s_cbranch_scc1 .LBB331_2616
; %bb.2607:
	;; [unrolled: 3-line block ×3, first 2 shown]
	s_cmp_gt_i32 s0, 9
	s_cbranch_scc0 .LBB331_2610
; %bb.2609:
	s_wait_xcnt 0x0
	v_cndmask_b32_e64 v3, 0, 1, s2
	v_mov_b32_e32 v20, 0
	s_mov_b32 s3, 0
	s_delay_alu instid0(VALU_DEP_2) | instskip(NEXT) | instid1(VALU_DEP_2)
	v_cvt_f64_u32_e32 v[18:19], v3
	v_mov_b32_e32 v21, v20
	global_store_b128 v[0:1], v[18:21], off
.LBB331_2610:
	s_and_not1_b32 vcc_lo, exec_lo, s3
	s_cbranch_vccnz .LBB331_2612
; %bb.2611:
	s_wait_xcnt 0x0
	v_cndmask_b32_e64 v4, 0, 1.0, s2
	v_mov_b32_e32 v5, 0
	global_store_b64 v[0:1], v[4:5], off
.LBB331_2612:
	s_mov_b32 s3, 0
.LBB331_2613:
	s_delay_alu instid0(SALU_CYCLE_1)
	s_and_not1_b32 vcc_lo, exec_lo, s3
	s_cbranch_vccnz .LBB331_2615
; %bb.2614:
	s_wait_xcnt 0x0
	v_cndmask_b32_e64 v3, 0, 1.0, s2
	s_delay_alu instid0(VALU_DEP_1) | instskip(NEXT) | instid1(VALU_DEP_1)
	v_cvt_f16_f32_e32 v3, v3
	v_and_b32_e32 v3, 0xffff, v3
	global_store_b32 v[0:1], v3, off
.LBB331_2615:
	s_mov_b32 s3, 0
.LBB331_2616:
	s_delay_alu instid0(SALU_CYCLE_1)
	s_and_not1_b32 vcc_lo, exec_lo, s3
	s_cbranch_vccnz .LBB331_2625
; %bb.2617:
	s_cmp_lt_i32 s0, 6
	s_mov_b32 s3, -1
	s_cbranch_scc1 .LBB331_2623
; %bb.2618:
	s_cmp_gt_i32 s0, 6
	s_cbranch_scc0 .LBB331_2620
; %bb.2619:
	s_wait_xcnt 0x0
	v_cndmask_b32_e64 v3, 0, 1, s2
	s_mov_b32 s3, 0
	s_delay_alu instid0(VALU_DEP_1)
	v_cvt_f64_u32_e32 v[4:5], v3
	global_store_b64 v[0:1], v[4:5], off
.LBB331_2620:
	s_and_not1_b32 vcc_lo, exec_lo, s3
	s_cbranch_vccnz .LBB331_2622
; %bb.2621:
	s_wait_xcnt 0x0
	v_cndmask_b32_e64 v3, 0, 1.0, s2
	global_store_b32 v[0:1], v3, off
.LBB331_2622:
	s_mov_b32 s3, 0
.LBB331_2623:
	s_delay_alu instid0(SALU_CYCLE_1)
	s_and_not1_b32 vcc_lo, exec_lo, s3
	s_cbranch_vccnz .LBB331_2625
; %bb.2624:
	s_wait_xcnt 0x0
	v_cndmask_b32_e64 v3, 0, 1.0, s2
	s_delay_alu instid0(VALU_DEP_1)
	v_cvt_f16_f32_e32 v3, v3
	global_store_b16 v[0:1], v3, off
.LBB331_2625:
	s_mov_b32 s3, 0
.LBB331_2626:
	s_delay_alu instid0(SALU_CYCLE_1)
	s_and_not1_b32 vcc_lo, exec_lo, s3
	s_cbranch_vccnz .LBB331_2642
; %bb.2627:
	s_cmp_lt_i32 s0, 2
	s_mov_b32 s3, -1
	s_cbranch_scc1 .LBB331_2637
; %bb.2628:
	s_cmp_lt_i32 s0, 3
	s_cbranch_scc1 .LBB331_2634
; %bb.2629:
	s_cmp_gt_i32 s0, 3
	s_cbranch_scc0 .LBB331_2631
; %bb.2630:
	s_mov_b32 s3, 0
	s_wait_xcnt 0x0
	v_cndmask_b32_e64 v4, 0, 1, s2
	v_mov_b32_e32 v5, s3
	global_store_b64 v[0:1], v[4:5], off
.LBB331_2631:
	s_and_not1_b32 vcc_lo, exec_lo, s3
	s_cbranch_vccnz .LBB331_2633
; %bb.2632:
	s_wait_xcnt 0x0
	v_cndmask_b32_e64 v3, 0, 1, s2
	global_store_b32 v[0:1], v3, off
.LBB331_2633:
	s_mov_b32 s3, 0
.LBB331_2634:
	s_delay_alu instid0(SALU_CYCLE_1)
	s_and_not1_b32 vcc_lo, exec_lo, s3
	s_cbranch_vccnz .LBB331_2636
; %bb.2635:
	s_wait_xcnt 0x0
	v_cndmask_b32_e64 v3, 0, 1, s2
	global_store_b16 v[0:1], v3, off
.LBB331_2636:
	s_mov_b32 s3, 0
.LBB331_2637:
	s_delay_alu instid0(SALU_CYCLE_1)
	s_and_not1_b32 vcc_lo, exec_lo, s3
	s_cbranch_vccnz .LBB331_2642
; %bb.2638:
	s_wait_xcnt 0x0
	v_cndmask_b32_e64 v3, 0, 1, s2
	s_cmp_gt_i32 s0, 0
	s_mov_b32 s0, -1
	s_cbranch_scc0 .LBB331_2640
; %bb.2639:
	s_mov_b32 s0, 0
	global_store_b8 v[0:1], v3, off
.LBB331_2640:
	s_and_not1_b32 vcc_lo, exec_lo, s0
	s_cbranch_vccnz .LBB331_2642
; %bb.2641:
	global_store_b8 v[0:1], v3, off
.LBB331_2642:
.LBB331_2643:
	s_lshl_b32 s2, s8, 7
	v_cmp_ne_u16_e32 vcc_lo, v2, v8
	s_wait_xcnt 0x0
	v_add_nc_u32_e32 v0, s2, v16
	s_xor_b32 s3, s1, vcc_lo
	s_delay_alu instid0(VALU_DEP_1) | instskip(SKIP_1) | instid1(VALU_DEP_1)
	v_ashrrev_i32_e32 v1, 31, v0
	s_cmp_lt_i32 s17, 11
	v_add_nc_u64_e32 v[2:3], s[4:5], v[0:1]
	s_cbranch_scc1 .LBB331_2721
; %bb.2644:
	s_and_b32 s6, 0xffff, s17
	s_mov_b32 s9, -1
	s_mov_b32 s7, 0
	s_cmp_gt_i32 s6, 25
	s_mov_b32 s8, 0
	s_mov_b32 s0, 0
	s_cbranch_scc0 .LBB331_2677
; %bb.2645:
	s_cmp_gt_i32 s6, 28
	s_cbranch_scc0 .LBB331_2660
; %bb.2646:
	s_cmp_gt_i32 s6, 43
	;; [unrolled: 3-line block ×3, first 2 shown]
	s_cbranch_scc0 .LBB331_2650
; %bb.2648:
	s_mov_b32 s0, -1
	s_mov_b32 s9, 0
	s_cmp_eq_u32 s6, 46
	s_cbranch_scc0 .LBB331_2650
; %bb.2649:
	v_cndmask_b32_e64 v1, 0, 1.0, s3
	s_mov_b32 s0, 0
	s_mov_b32 s8, -1
	s_delay_alu instid0(VALU_DEP_1) | instskip(NEXT) | instid1(VALU_DEP_1)
	v_bfe_u32 v4, v1, 16, 1
	v_add3_u32 v1, v1, v4, 0x7fff
	s_delay_alu instid0(VALU_DEP_1)
	v_lshrrev_b32_e32 v1, 16, v1
	global_store_b32 v[2:3], v1, off
.LBB331_2650:
	s_and_b32 vcc_lo, exec_lo, s9
	s_cbranch_vccz .LBB331_2655
; %bb.2651:
	s_cmp_eq_u32 s6, 44
	s_mov_b32 s0, -1
	s_cbranch_scc0 .LBB331_2655
; %bb.2652:
	v_cndmask_b32_e64 v5, 0, 1.0, s3
	s_mov_b32 s8, exec_lo
	s_wait_xcnt 0x0
	s_delay_alu instid0(VALU_DEP_1) | instskip(NEXT) | instid1(VALU_DEP_1)
	v_dual_mov_b32 v4, 0xff :: v_dual_lshrrev_b32 v1, 23, v5
	v_cmpx_ne_u32_e32 0xff, v1
; %bb.2653:
	v_and_b32_e32 v4, 0x400000, v5
	v_and_or_b32 v5, 0x3fffff, v5, v1
	s_delay_alu instid0(VALU_DEP_2) | instskip(NEXT) | instid1(VALU_DEP_2)
	v_cmp_ne_u32_e32 vcc_lo, 0, v4
	v_cmp_ne_u32_e64 s0, 0, v5
	s_and_b32 s0, vcc_lo, s0
	s_delay_alu instid0(SALU_CYCLE_1) | instskip(NEXT) | instid1(VALU_DEP_1)
	v_cndmask_b32_e64 v4, 0, 1, s0
	v_add_nc_u32_e32 v4, v1, v4
; %bb.2654:
	s_or_b32 exec_lo, exec_lo, s8
	s_mov_b32 s0, 0
	s_mov_b32 s8, -1
	global_store_b8 v[2:3], v4, off
.LBB331_2655:
	s_mov_b32 s9, 0
.LBB331_2656:
	s_delay_alu instid0(SALU_CYCLE_1)
	s_and_b32 vcc_lo, exec_lo, s9
	s_cbranch_vccz .LBB331_2659
; %bb.2657:
	s_cmp_eq_u32 s6, 29
	s_mov_b32 s0, -1
	s_cbranch_scc0 .LBB331_2659
; %bb.2658:
	s_mov_b32 s0, 0
	s_wait_xcnt 0x0
	v_cndmask_b32_e64 v4, 0, 1, s3
	v_mov_b32_e32 v5, s0
	s_mov_b32 s8, -1
	global_store_b64 v[2:3], v[4:5], off
.LBB331_2659:
	s_mov_b32 s9, 0
.LBB331_2660:
	s_delay_alu instid0(SALU_CYCLE_1)
	s_and_b32 vcc_lo, exec_lo, s9
	s_cbranch_vccz .LBB331_2676
; %bb.2661:
	s_cmp_lt_i32 s6, 27
	s_mov_b32 s8, -1
	s_cbranch_scc1 .LBB331_2667
; %bb.2662:
	s_cmp_gt_i32 s6, 27
	s_cbranch_scc0 .LBB331_2664
; %bb.2663:
	s_wait_xcnt 0x0
	v_cndmask_b32_e64 v1, 0, 1, s3
	s_mov_b32 s8, 0
	global_store_b32 v[2:3], v1, off
.LBB331_2664:
	s_and_not1_b32 vcc_lo, exec_lo, s8
	s_cbranch_vccnz .LBB331_2666
; %bb.2665:
	s_wait_xcnt 0x0
	v_cndmask_b32_e64 v1, 0, 1, s3
	global_store_b16 v[2:3], v1, off
.LBB331_2666:
	s_mov_b32 s8, 0
.LBB331_2667:
	s_delay_alu instid0(SALU_CYCLE_1)
	s_and_not1_b32 vcc_lo, exec_lo, s8
	s_cbranch_vccnz .LBB331_2675
; %bb.2668:
	s_wait_xcnt 0x0
	v_cndmask_b32_e64 v4, 0, 1.0, s3
	v_mov_b32_e32 v5, 0x80
	s_mov_b32 s8, exec_lo
	s_delay_alu instid0(VALU_DEP_2)
	v_cmpx_gt_u32_e32 0x43800000, v4
	s_cbranch_execz .LBB331_2674
; %bb.2669:
	s_mov_b32 s9, 0
	s_mov_b32 s10, exec_lo
                                        ; implicit-def: $vgpr1
	v_cmpx_lt_u32_e32 0x3bffffff, v4
	s_xor_b32 s10, exec_lo, s10
	s_cbranch_execz .LBB331_3009
; %bb.2670:
	v_bfe_u32 v1, v4, 20, 1
	s_mov_b32 s9, exec_lo
	s_delay_alu instid0(VALU_DEP_1) | instskip(NEXT) | instid1(VALU_DEP_1)
	v_add3_u32 v1, v4, v1, 0x487ffff
                                        ; implicit-def: $vgpr4
	v_lshrrev_b32_e32 v1, 20, v1
	s_and_not1_saveexec_b32 s10, s10
	s_cbranch_execnz .LBB331_3010
.LBB331_2671:
	s_or_b32 exec_lo, exec_lo, s10
	v_mov_b32_e32 v5, 0
	s_and_saveexec_b32 s10, s9
.LBB331_2672:
	v_mov_b32_e32 v5, v1
.LBB331_2673:
	s_or_b32 exec_lo, exec_lo, s10
.LBB331_2674:
	s_delay_alu instid0(SALU_CYCLE_1)
	s_or_b32 exec_lo, exec_lo, s8
	global_store_b8 v[2:3], v5, off
.LBB331_2675:
	s_mov_b32 s8, -1
.LBB331_2676:
	s_mov_b32 s9, 0
.LBB331_2677:
	s_delay_alu instid0(SALU_CYCLE_1)
	s_and_b32 vcc_lo, exec_lo, s9
	s_cbranch_vccz .LBB331_2717
; %bb.2678:
	s_cmp_gt_i32 s6, 22
	s_mov_b32 s7, -1
	s_cbranch_scc0 .LBB331_2710
; %bb.2679:
	s_cmp_lt_i32 s6, 24
	s_cbranch_scc1 .LBB331_2699
; %bb.2680:
	s_cmp_gt_i32 s6, 24
	s_cbranch_scc0 .LBB331_2688
; %bb.2681:
	s_wait_xcnt 0x0
	v_cndmask_b32_e64 v4, 0, 1.0, s3
	v_mov_b32_e32 v5, 0x80
	s_mov_b32 s7, exec_lo
	s_delay_alu instid0(VALU_DEP_2)
	v_cmpx_gt_u32_e32 0x47800000, v4
	s_cbranch_execz .LBB331_2687
; %bb.2682:
	s_mov_b32 s8, 0
	s_mov_b32 s9, exec_lo
                                        ; implicit-def: $vgpr1
	v_cmpx_lt_u32_e32 0x37ffffff, v4
	s_xor_b32 s9, exec_lo, s9
	s_cbranch_execz .LBB331_3012
; %bb.2683:
	v_bfe_u32 v1, v4, 21, 1
	s_mov_b32 s8, exec_lo
	s_delay_alu instid0(VALU_DEP_1) | instskip(NEXT) | instid1(VALU_DEP_1)
	v_add3_u32 v1, v4, v1, 0x88fffff
                                        ; implicit-def: $vgpr4
	v_lshrrev_b32_e32 v1, 21, v1
	s_and_not1_saveexec_b32 s9, s9
	s_cbranch_execnz .LBB331_3013
.LBB331_2684:
	s_or_b32 exec_lo, exec_lo, s9
	v_mov_b32_e32 v5, 0
	s_and_saveexec_b32 s9, s8
.LBB331_2685:
	v_mov_b32_e32 v5, v1
.LBB331_2686:
	s_or_b32 exec_lo, exec_lo, s9
.LBB331_2687:
	s_delay_alu instid0(SALU_CYCLE_1)
	s_or_b32 exec_lo, exec_lo, s7
	s_mov_b32 s7, 0
	global_store_b8 v[2:3], v5, off
.LBB331_2688:
	s_and_b32 vcc_lo, exec_lo, s7
	s_cbranch_vccz .LBB331_2698
; %bb.2689:
	s_wait_xcnt 0x0
	v_cndmask_b32_e64 v4, 0, 1.0, s3
	s_mov_b32 s7, exec_lo
                                        ; implicit-def: $vgpr1
	s_delay_alu instid0(VALU_DEP_1)
	v_cmpx_gt_u32_e32 0x43f00000, v4
	s_xor_b32 s7, exec_lo, s7
	s_cbranch_execz .LBB331_2695
; %bb.2690:
	s_mov_b32 s8, exec_lo
                                        ; implicit-def: $vgpr1
	v_cmpx_lt_u32_e32 0x3c7fffff, v4
	s_xor_b32 s8, exec_lo, s8
; %bb.2691:
	v_bfe_u32 v1, v4, 20, 1
	s_delay_alu instid0(VALU_DEP_1) | instskip(NEXT) | instid1(VALU_DEP_1)
	v_add3_u32 v1, v4, v1, 0x407ffff
	v_and_b32_e32 v4, 0xff00000, v1
	v_lshrrev_b32_e32 v1, 20, v1
	s_delay_alu instid0(VALU_DEP_2) | instskip(NEXT) | instid1(VALU_DEP_2)
	v_cmp_ne_u32_e32 vcc_lo, 0x7f00000, v4
                                        ; implicit-def: $vgpr4
	v_cndmask_b32_e32 v1, 0x7e, v1, vcc_lo
; %bb.2692:
	s_and_not1_saveexec_b32 s8, s8
; %bb.2693:
	v_add_f32_e32 v1, 0x46800000, v4
; %bb.2694:
	s_or_b32 exec_lo, exec_lo, s8
                                        ; implicit-def: $vgpr4
.LBB331_2695:
	s_and_not1_saveexec_b32 s7, s7
; %bb.2696:
	v_mov_b32_e32 v1, 0x7f
	v_cmp_lt_u32_e32 vcc_lo, 0x7f800000, v4
	s_delay_alu instid0(VALU_DEP_2)
	v_cndmask_b32_e32 v1, 0x7e, v1, vcc_lo
; %bb.2697:
	s_or_b32 exec_lo, exec_lo, s7
	global_store_b8 v[2:3], v1, off
.LBB331_2698:
	s_mov_b32 s7, 0
.LBB331_2699:
	s_delay_alu instid0(SALU_CYCLE_1)
	s_and_not1_b32 vcc_lo, exec_lo, s7
	s_cbranch_vccnz .LBB331_2709
; %bb.2700:
	s_wait_xcnt 0x0
	v_cndmask_b32_e64 v4, 0, 1.0, s3
	s_mov_b32 s7, exec_lo
                                        ; implicit-def: $vgpr1
	s_delay_alu instid0(VALU_DEP_1)
	v_cmpx_gt_u32_e32 0x47800000, v4
	s_xor_b32 s7, exec_lo, s7
	s_cbranch_execz .LBB331_2706
; %bb.2701:
	s_mov_b32 s8, exec_lo
                                        ; implicit-def: $vgpr1
	v_cmpx_lt_u32_e32 0x387fffff, v4
	s_xor_b32 s8, exec_lo, s8
; %bb.2702:
	v_bfe_u32 v1, v4, 21, 1
	s_delay_alu instid0(VALU_DEP_1) | instskip(NEXT) | instid1(VALU_DEP_1)
	v_add3_u32 v1, v4, v1, 0x80fffff
                                        ; implicit-def: $vgpr4
	v_lshrrev_b32_e32 v1, 21, v1
; %bb.2703:
	s_and_not1_saveexec_b32 s8, s8
; %bb.2704:
	v_add_f32_e32 v1, 0x43000000, v4
; %bb.2705:
	s_or_b32 exec_lo, exec_lo, s8
                                        ; implicit-def: $vgpr4
.LBB331_2706:
	s_and_not1_saveexec_b32 s7, s7
; %bb.2707:
	v_mov_b32_e32 v1, 0x7f
	v_cmp_lt_u32_e32 vcc_lo, 0x7f800000, v4
	s_delay_alu instid0(VALU_DEP_2)
	v_cndmask_b32_e32 v1, 0x7c, v1, vcc_lo
; %bb.2708:
	s_or_b32 exec_lo, exec_lo, s7
	global_store_b8 v[2:3], v1, off
.LBB331_2709:
	s_mov_b32 s7, 0
	s_mov_b32 s8, -1
.LBB331_2710:
	s_and_not1_b32 vcc_lo, exec_lo, s7
	s_mov_b32 s7, 0
	s_cbranch_vccnz .LBB331_2717
; %bb.2711:
	s_cmp_gt_i32 s6, 14
	s_mov_b32 s7, -1
	s_cbranch_scc0 .LBB331_2715
; %bb.2712:
	s_cmp_eq_u32 s6, 15
	s_mov_b32 s0, -1
	s_cbranch_scc0 .LBB331_2714
; %bb.2713:
	s_wait_xcnt 0x0
	v_cndmask_b32_e64 v1, 0, 1.0, s3
	s_mov_b32 s0, 0
	s_mov_b32 s8, -1
	s_delay_alu instid0(VALU_DEP_1) | instskip(NEXT) | instid1(VALU_DEP_1)
	v_bfe_u32 v4, v1, 16, 1
	v_add3_u32 v1, v1, v4, 0x7fff
	global_store_d16_hi_b16 v[2:3], v1, off
.LBB331_2714:
	s_mov_b32 s7, 0
.LBB331_2715:
	s_delay_alu instid0(SALU_CYCLE_1)
	s_and_b32 vcc_lo, exec_lo, s7
	s_mov_b32 s7, 0
	s_cbranch_vccz .LBB331_2717
; %bb.2716:
	s_cmp_lg_u32 s6, 11
	s_mov_b32 s7, -1
	s_cselect_b32 s0, -1, 0
.LBB331_2717:
	s_delay_alu instid0(SALU_CYCLE_1)
	s_and_b32 vcc_lo, exec_lo, s0
	s_cbranch_vccnz .LBB331_3011
; %bb.2718:
	s_and_not1_b32 vcc_lo, exec_lo, s7
	s_cbranch_vccnz .LBB331_2720
.LBB331_2719:
	s_wait_xcnt 0x0
	v_cndmask_b32_e64 v1, 0, 1, s3
	s_mov_b32 s8, -1
	global_store_b8 v[2:3], v1, off
.LBB331_2720:
	s_mov_b32 s0, 0
	s_branch .LBB331_2722
.LBB331_2721:
	s_mov_b32 s0, -1
	s_mov_b32 s8, 0
.LBB331_2722:
	s_and_b32 vcc_lo, exec_lo, s0
	s_cbranch_vccz .LBB331_2761
; %bb.2723:
	s_and_b32 s0, 0xffff, s17
	s_mov_b32 s6, -1
	s_cmp_lt_i32 s0, 5
	s_cbranch_scc1 .LBB331_2744
; %bb.2724:
	s_cmp_lt_i32 s0, 8
	s_cbranch_scc1 .LBB331_2734
; %bb.2725:
	;; [unrolled: 3-line block ×3, first 2 shown]
	s_cmp_gt_i32 s0, 9
	s_cbranch_scc0 .LBB331_2728
; %bb.2727:
	s_wait_xcnt 0x0
	v_cndmask_b32_e64 v1, 0, 1, s3
	v_mov_b32_e32 v18, 0
	s_mov_b32 s6, 0
	s_delay_alu instid0(VALU_DEP_2) | instskip(NEXT) | instid1(VALU_DEP_2)
	v_cvt_f64_u32_e32 v[16:17], v1
	v_mov_b32_e32 v19, v18
	global_store_b128 v[2:3], v[16:19], off
.LBB331_2728:
	s_and_not1_b32 vcc_lo, exec_lo, s6
	s_cbranch_vccnz .LBB331_2730
; %bb.2729:
	s_wait_xcnt 0x0
	v_cndmask_b32_e64 v4, 0, 1.0, s3
	v_mov_b32_e32 v5, 0
	global_store_b64 v[2:3], v[4:5], off
.LBB331_2730:
	s_mov_b32 s6, 0
.LBB331_2731:
	s_delay_alu instid0(SALU_CYCLE_1)
	s_and_not1_b32 vcc_lo, exec_lo, s6
	s_cbranch_vccnz .LBB331_2733
; %bb.2732:
	s_wait_xcnt 0x0
	v_cndmask_b32_e64 v1, 0, 1.0, s3
	s_delay_alu instid0(VALU_DEP_1) | instskip(NEXT) | instid1(VALU_DEP_1)
	v_cvt_f16_f32_e32 v1, v1
	v_and_b32_e32 v1, 0xffff, v1
	global_store_b32 v[2:3], v1, off
.LBB331_2733:
	s_mov_b32 s6, 0
.LBB331_2734:
	s_delay_alu instid0(SALU_CYCLE_1)
	s_and_not1_b32 vcc_lo, exec_lo, s6
	s_cbranch_vccnz .LBB331_2743
; %bb.2735:
	s_cmp_lt_i32 s0, 6
	s_mov_b32 s6, -1
	s_cbranch_scc1 .LBB331_2741
; %bb.2736:
	s_cmp_gt_i32 s0, 6
	s_cbranch_scc0 .LBB331_2738
; %bb.2737:
	s_wait_xcnt 0x0
	v_cndmask_b32_e64 v1, 0, 1, s3
	s_mov_b32 s6, 0
	s_delay_alu instid0(VALU_DEP_1)
	v_cvt_f64_u32_e32 v[4:5], v1
	global_store_b64 v[2:3], v[4:5], off
.LBB331_2738:
	s_and_not1_b32 vcc_lo, exec_lo, s6
	s_cbranch_vccnz .LBB331_2740
; %bb.2739:
	s_wait_xcnt 0x0
	v_cndmask_b32_e64 v1, 0, 1.0, s3
	global_store_b32 v[2:3], v1, off
.LBB331_2740:
	s_mov_b32 s6, 0
.LBB331_2741:
	s_delay_alu instid0(SALU_CYCLE_1)
	s_and_not1_b32 vcc_lo, exec_lo, s6
	s_cbranch_vccnz .LBB331_2743
; %bb.2742:
	s_wait_xcnt 0x0
	v_cndmask_b32_e64 v1, 0, 1.0, s3
	s_delay_alu instid0(VALU_DEP_1)
	v_cvt_f16_f32_e32 v1, v1
	global_store_b16 v[2:3], v1, off
.LBB331_2743:
	s_mov_b32 s6, 0
.LBB331_2744:
	s_delay_alu instid0(SALU_CYCLE_1)
	s_and_not1_b32 vcc_lo, exec_lo, s6
	s_cbranch_vccnz .LBB331_2760
; %bb.2745:
	s_cmp_lt_i32 s0, 2
	s_mov_b32 s6, -1
	s_cbranch_scc1 .LBB331_2755
; %bb.2746:
	s_cmp_lt_i32 s0, 3
	s_cbranch_scc1 .LBB331_2752
; %bb.2747:
	s_cmp_gt_i32 s0, 3
	s_cbranch_scc0 .LBB331_2749
; %bb.2748:
	s_mov_b32 s6, 0
	s_wait_xcnt 0x0
	v_cndmask_b32_e64 v4, 0, 1, s3
	v_mov_b32_e32 v5, s6
	global_store_b64 v[2:3], v[4:5], off
.LBB331_2749:
	s_and_not1_b32 vcc_lo, exec_lo, s6
	s_cbranch_vccnz .LBB331_2751
; %bb.2750:
	s_wait_xcnt 0x0
	v_cndmask_b32_e64 v1, 0, 1, s3
	global_store_b32 v[2:3], v1, off
.LBB331_2751:
	s_mov_b32 s6, 0
.LBB331_2752:
	s_delay_alu instid0(SALU_CYCLE_1)
	s_and_not1_b32 vcc_lo, exec_lo, s6
	s_cbranch_vccnz .LBB331_2754
; %bb.2753:
	s_wait_xcnt 0x0
	v_cndmask_b32_e64 v1, 0, 1, s3
	global_store_b16 v[2:3], v1, off
.LBB331_2754:
	s_mov_b32 s6, 0
.LBB331_2755:
	s_delay_alu instid0(SALU_CYCLE_1)
	s_and_not1_b32 vcc_lo, exec_lo, s6
	s_cbranch_vccnz .LBB331_2760
; %bb.2756:
	s_wait_xcnt 0x0
	v_cndmask_b32_e64 v1, 0, 1, s3
	s_cmp_gt_i32 s0, 0
	s_mov_b32 s0, -1
	s_cbranch_scc0 .LBB331_2758
; %bb.2757:
	s_mov_b32 s0, 0
	global_store_b8 v[2:3], v1, off
.LBB331_2758:
	s_and_not1_b32 vcc_lo, exec_lo, s0
	s_cbranch_vccnz .LBB331_2760
; %bb.2759:
	global_store_b8 v[2:3], v1, off
.LBB331_2760:
	s_mov_b32 s8, -1
.LBB331_2761:
	s_delay_alu instid0(SALU_CYCLE_1)
	s_and_not1_b32 vcc_lo, exec_lo, s8
	s_cbranch_vccnz .LBB331_2957
; %bb.2762:
	v_add_nc_u32_e32 v0, s2, v0
	v_cmp_ne_u16_e32 vcc_lo, v6, v12
	s_wait_xcnt 0x0
	s_delay_alu instid0(VALU_DEP_2) | instskip(SKIP_2) | instid1(VALU_DEP_1)
	v_ashrrev_i32_e32 v1, 31, v0
	s_xor_b32 s3, s1, vcc_lo
	s_cmp_lt_i32 s17, 11
	v_add_nc_u64_e32 v[2:3], s[4:5], v[0:1]
	s_cbranch_scc1 .LBB331_2840
; %bb.2763:
	s_and_b32 s6, 0xffff, s17
	s_mov_b32 s9, -1
	s_mov_b32 s7, 0
	s_cmp_gt_i32 s6, 25
	s_mov_b32 s8, 0
	s_mov_b32 s0, 0
	s_cbranch_scc0 .LBB331_2796
; %bb.2764:
	s_cmp_gt_i32 s6, 28
	s_cbranch_scc0 .LBB331_2779
; %bb.2765:
	s_cmp_gt_i32 s6, 43
	;; [unrolled: 3-line block ×3, first 2 shown]
	s_cbranch_scc0 .LBB331_2769
; %bb.2767:
	s_mov_b32 s0, -1
	s_mov_b32 s9, 0
	s_cmp_eq_u32 s6, 46
	s_cbranch_scc0 .LBB331_2769
; %bb.2768:
	v_cndmask_b32_e64 v1, 0, 1.0, s3
	s_mov_b32 s0, 0
	s_mov_b32 s8, -1
	s_delay_alu instid0(VALU_DEP_1) | instskip(NEXT) | instid1(VALU_DEP_1)
	v_bfe_u32 v4, v1, 16, 1
	v_add3_u32 v1, v1, v4, 0x7fff
	s_delay_alu instid0(VALU_DEP_1)
	v_lshrrev_b32_e32 v1, 16, v1
	global_store_b32 v[2:3], v1, off
.LBB331_2769:
	s_and_b32 vcc_lo, exec_lo, s9
	s_cbranch_vccz .LBB331_2774
; %bb.2770:
	s_cmp_eq_u32 s6, 44
	s_mov_b32 s0, -1
	s_cbranch_scc0 .LBB331_2774
; %bb.2771:
	v_cndmask_b32_e64 v5, 0, 1.0, s3
	s_mov_b32 s8, exec_lo
	s_wait_xcnt 0x0
	s_delay_alu instid0(VALU_DEP_1) | instskip(NEXT) | instid1(VALU_DEP_1)
	v_dual_mov_b32 v4, 0xff :: v_dual_lshrrev_b32 v1, 23, v5
	v_cmpx_ne_u32_e32 0xff, v1
; %bb.2772:
	v_and_b32_e32 v4, 0x400000, v5
	v_and_or_b32 v5, 0x3fffff, v5, v1
	s_delay_alu instid0(VALU_DEP_2) | instskip(NEXT) | instid1(VALU_DEP_2)
	v_cmp_ne_u32_e32 vcc_lo, 0, v4
	v_cmp_ne_u32_e64 s0, 0, v5
	s_and_b32 s0, vcc_lo, s0
	s_delay_alu instid0(SALU_CYCLE_1) | instskip(NEXT) | instid1(VALU_DEP_1)
	v_cndmask_b32_e64 v4, 0, 1, s0
	v_add_nc_u32_e32 v4, v1, v4
; %bb.2773:
	s_or_b32 exec_lo, exec_lo, s8
	s_mov_b32 s0, 0
	s_mov_b32 s8, -1
	global_store_b8 v[2:3], v4, off
.LBB331_2774:
	s_mov_b32 s9, 0
.LBB331_2775:
	s_delay_alu instid0(SALU_CYCLE_1)
	s_and_b32 vcc_lo, exec_lo, s9
	s_cbranch_vccz .LBB331_2778
; %bb.2776:
	s_cmp_eq_u32 s6, 29
	s_mov_b32 s0, -1
	s_cbranch_scc0 .LBB331_2778
; %bb.2777:
	s_mov_b32 s0, 0
	s_wait_xcnt 0x0
	v_cndmask_b32_e64 v4, 0, 1, s3
	v_mov_b32_e32 v5, s0
	s_mov_b32 s8, -1
	global_store_b64 v[2:3], v[4:5], off
.LBB331_2778:
	s_mov_b32 s9, 0
.LBB331_2779:
	s_delay_alu instid0(SALU_CYCLE_1)
	s_and_b32 vcc_lo, exec_lo, s9
	s_cbranch_vccz .LBB331_2795
; %bb.2780:
	s_cmp_lt_i32 s6, 27
	s_mov_b32 s8, -1
	s_cbranch_scc1 .LBB331_2786
; %bb.2781:
	s_cmp_gt_i32 s6, 27
	s_cbranch_scc0 .LBB331_2783
; %bb.2782:
	s_wait_xcnt 0x0
	v_cndmask_b32_e64 v1, 0, 1, s3
	s_mov_b32 s8, 0
	global_store_b32 v[2:3], v1, off
.LBB331_2783:
	s_and_not1_b32 vcc_lo, exec_lo, s8
	s_cbranch_vccnz .LBB331_2785
; %bb.2784:
	s_wait_xcnt 0x0
	v_cndmask_b32_e64 v1, 0, 1, s3
	global_store_b16 v[2:3], v1, off
.LBB331_2785:
	s_mov_b32 s8, 0
.LBB331_2786:
	s_delay_alu instid0(SALU_CYCLE_1)
	s_and_not1_b32 vcc_lo, exec_lo, s8
	s_cbranch_vccnz .LBB331_2794
; %bb.2787:
	s_wait_xcnt 0x0
	v_cndmask_b32_e64 v4, 0, 1.0, s3
	v_mov_b32_e32 v5, 0x80
	s_mov_b32 s8, exec_lo
	s_delay_alu instid0(VALU_DEP_2)
	v_cmpx_gt_u32_e32 0x43800000, v4
	s_cbranch_execz .LBB331_2793
; %bb.2788:
	s_mov_b32 s9, 0
	s_mov_b32 s10, exec_lo
                                        ; implicit-def: $vgpr1
	v_cmpx_lt_u32_e32 0x3bffffff, v4
	s_xor_b32 s10, exec_lo, s10
	s_cbranch_execz .LBB331_3014
; %bb.2789:
	v_bfe_u32 v1, v4, 20, 1
	s_mov_b32 s9, exec_lo
	s_delay_alu instid0(VALU_DEP_1) | instskip(NEXT) | instid1(VALU_DEP_1)
	v_add3_u32 v1, v4, v1, 0x487ffff
                                        ; implicit-def: $vgpr4
	v_lshrrev_b32_e32 v1, 20, v1
	s_and_not1_saveexec_b32 s10, s10
	s_cbranch_execnz .LBB331_3015
.LBB331_2790:
	s_or_b32 exec_lo, exec_lo, s10
	v_mov_b32_e32 v5, 0
	s_and_saveexec_b32 s10, s9
.LBB331_2791:
	v_mov_b32_e32 v5, v1
.LBB331_2792:
	s_or_b32 exec_lo, exec_lo, s10
.LBB331_2793:
	s_delay_alu instid0(SALU_CYCLE_1)
	s_or_b32 exec_lo, exec_lo, s8
	global_store_b8 v[2:3], v5, off
.LBB331_2794:
	s_mov_b32 s8, -1
.LBB331_2795:
	s_mov_b32 s9, 0
.LBB331_2796:
	s_delay_alu instid0(SALU_CYCLE_1)
	s_and_b32 vcc_lo, exec_lo, s9
	s_cbranch_vccz .LBB331_2836
; %bb.2797:
	s_cmp_gt_i32 s6, 22
	s_mov_b32 s7, -1
	s_cbranch_scc0 .LBB331_2829
; %bb.2798:
	s_cmp_lt_i32 s6, 24
	s_cbranch_scc1 .LBB331_2818
; %bb.2799:
	s_cmp_gt_i32 s6, 24
	s_cbranch_scc0 .LBB331_2807
; %bb.2800:
	s_wait_xcnt 0x0
	v_cndmask_b32_e64 v4, 0, 1.0, s3
	v_mov_b32_e32 v5, 0x80
	s_mov_b32 s7, exec_lo
	s_delay_alu instid0(VALU_DEP_2)
	v_cmpx_gt_u32_e32 0x47800000, v4
	s_cbranch_execz .LBB331_2806
; %bb.2801:
	s_mov_b32 s8, 0
	s_mov_b32 s9, exec_lo
                                        ; implicit-def: $vgpr1
	v_cmpx_lt_u32_e32 0x37ffffff, v4
	s_xor_b32 s9, exec_lo, s9
	s_cbranch_execz .LBB331_3017
; %bb.2802:
	v_bfe_u32 v1, v4, 21, 1
	s_mov_b32 s8, exec_lo
	s_delay_alu instid0(VALU_DEP_1) | instskip(NEXT) | instid1(VALU_DEP_1)
	v_add3_u32 v1, v4, v1, 0x88fffff
                                        ; implicit-def: $vgpr4
	v_lshrrev_b32_e32 v1, 21, v1
	s_and_not1_saveexec_b32 s9, s9
	s_cbranch_execnz .LBB331_3018
.LBB331_2803:
	s_or_b32 exec_lo, exec_lo, s9
	v_mov_b32_e32 v5, 0
	s_and_saveexec_b32 s9, s8
.LBB331_2804:
	v_mov_b32_e32 v5, v1
.LBB331_2805:
	s_or_b32 exec_lo, exec_lo, s9
.LBB331_2806:
	s_delay_alu instid0(SALU_CYCLE_1)
	s_or_b32 exec_lo, exec_lo, s7
	s_mov_b32 s7, 0
	global_store_b8 v[2:3], v5, off
.LBB331_2807:
	s_and_b32 vcc_lo, exec_lo, s7
	s_cbranch_vccz .LBB331_2817
; %bb.2808:
	s_wait_xcnt 0x0
	v_cndmask_b32_e64 v4, 0, 1.0, s3
	s_mov_b32 s7, exec_lo
                                        ; implicit-def: $vgpr1
	s_delay_alu instid0(VALU_DEP_1)
	v_cmpx_gt_u32_e32 0x43f00000, v4
	s_xor_b32 s7, exec_lo, s7
	s_cbranch_execz .LBB331_2814
; %bb.2809:
	s_mov_b32 s8, exec_lo
                                        ; implicit-def: $vgpr1
	v_cmpx_lt_u32_e32 0x3c7fffff, v4
	s_xor_b32 s8, exec_lo, s8
; %bb.2810:
	v_bfe_u32 v1, v4, 20, 1
	s_delay_alu instid0(VALU_DEP_1) | instskip(NEXT) | instid1(VALU_DEP_1)
	v_add3_u32 v1, v4, v1, 0x407ffff
	v_and_b32_e32 v4, 0xff00000, v1
	v_lshrrev_b32_e32 v1, 20, v1
	s_delay_alu instid0(VALU_DEP_2) | instskip(NEXT) | instid1(VALU_DEP_2)
	v_cmp_ne_u32_e32 vcc_lo, 0x7f00000, v4
                                        ; implicit-def: $vgpr4
	v_cndmask_b32_e32 v1, 0x7e, v1, vcc_lo
; %bb.2811:
	s_and_not1_saveexec_b32 s8, s8
; %bb.2812:
	v_add_f32_e32 v1, 0x46800000, v4
; %bb.2813:
	s_or_b32 exec_lo, exec_lo, s8
                                        ; implicit-def: $vgpr4
.LBB331_2814:
	s_and_not1_saveexec_b32 s7, s7
; %bb.2815:
	v_mov_b32_e32 v1, 0x7f
	v_cmp_lt_u32_e32 vcc_lo, 0x7f800000, v4
	s_delay_alu instid0(VALU_DEP_2)
	v_cndmask_b32_e32 v1, 0x7e, v1, vcc_lo
; %bb.2816:
	s_or_b32 exec_lo, exec_lo, s7
	global_store_b8 v[2:3], v1, off
.LBB331_2817:
	s_mov_b32 s7, 0
.LBB331_2818:
	s_delay_alu instid0(SALU_CYCLE_1)
	s_and_not1_b32 vcc_lo, exec_lo, s7
	s_cbranch_vccnz .LBB331_2828
; %bb.2819:
	s_wait_xcnt 0x0
	v_cndmask_b32_e64 v4, 0, 1.0, s3
	s_mov_b32 s7, exec_lo
                                        ; implicit-def: $vgpr1
	s_delay_alu instid0(VALU_DEP_1)
	v_cmpx_gt_u32_e32 0x47800000, v4
	s_xor_b32 s7, exec_lo, s7
	s_cbranch_execz .LBB331_2825
; %bb.2820:
	s_mov_b32 s8, exec_lo
                                        ; implicit-def: $vgpr1
	v_cmpx_lt_u32_e32 0x387fffff, v4
	s_xor_b32 s8, exec_lo, s8
; %bb.2821:
	v_bfe_u32 v1, v4, 21, 1
	s_delay_alu instid0(VALU_DEP_1) | instskip(NEXT) | instid1(VALU_DEP_1)
	v_add3_u32 v1, v4, v1, 0x80fffff
                                        ; implicit-def: $vgpr4
	v_lshrrev_b32_e32 v1, 21, v1
; %bb.2822:
	s_and_not1_saveexec_b32 s8, s8
; %bb.2823:
	v_add_f32_e32 v1, 0x43000000, v4
; %bb.2824:
	s_or_b32 exec_lo, exec_lo, s8
                                        ; implicit-def: $vgpr4
.LBB331_2825:
	s_and_not1_saveexec_b32 s7, s7
; %bb.2826:
	v_mov_b32_e32 v1, 0x7f
	v_cmp_lt_u32_e32 vcc_lo, 0x7f800000, v4
	s_delay_alu instid0(VALU_DEP_2)
	v_cndmask_b32_e32 v1, 0x7c, v1, vcc_lo
; %bb.2827:
	s_or_b32 exec_lo, exec_lo, s7
	global_store_b8 v[2:3], v1, off
.LBB331_2828:
	s_mov_b32 s7, 0
	s_mov_b32 s8, -1
.LBB331_2829:
	s_and_not1_b32 vcc_lo, exec_lo, s7
	s_mov_b32 s7, 0
	s_cbranch_vccnz .LBB331_2836
; %bb.2830:
	s_cmp_gt_i32 s6, 14
	s_mov_b32 s7, -1
	s_cbranch_scc0 .LBB331_2834
; %bb.2831:
	s_cmp_eq_u32 s6, 15
	s_mov_b32 s0, -1
	s_cbranch_scc0 .LBB331_2833
; %bb.2832:
	s_wait_xcnt 0x0
	v_cndmask_b32_e64 v1, 0, 1.0, s3
	s_mov_b32 s0, 0
	s_mov_b32 s8, -1
	s_delay_alu instid0(VALU_DEP_1) | instskip(NEXT) | instid1(VALU_DEP_1)
	v_bfe_u32 v4, v1, 16, 1
	v_add3_u32 v1, v1, v4, 0x7fff
	global_store_d16_hi_b16 v[2:3], v1, off
.LBB331_2833:
	s_mov_b32 s7, 0
.LBB331_2834:
	s_delay_alu instid0(SALU_CYCLE_1)
	s_and_b32 vcc_lo, exec_lo, s7
	s_mov_b32 s7, 0
	s_cbranch_vccz .LBB331_2836
; %bb.2835:
	s_cmp_lg_u32 s6, 11
	s_mov_b32 s7, -1
	s_cselect_b32 s0, -1, 0
.LBB331_2836:
	s_delay_alu instid0(SALU_CYCLE_1)
	s_and_b32 vcc_lo, exec_lo, s0
	s_cbranch_vccnz .LBB331_3016
; %bb.2837:
	s_and_not1_b32 vcc_lo, exec_lo, s7
	s_cbranch_vccnz .LBB331_2839
.LBB331_2838:
	s_wait_xcnt 0x0
	v_cndmask_b32_e64 v1, 0, 1, s3
	s_mov_b32 s8, -1
	global_store_b8 v[2:3], v1, off
.LBB331_2839:
	s_mov_b32 s0, 0
	s_branch .LBB331_2841
.LBB331_2840:
	s_mov_b32 s0, -1
	s_mov_b32 s8, 0
.LBB331_2841:
	s_and_b32 vcc_lo, exec_lo, s0
	s_cbranch_vccz .LBB331_2880
; %bb.2842:
	s_and_b32 s0, 0xffff, s17
	s_mov_b32 s6, -1
	s_cmp_lt_i32 s0, 5
	s_cbranch_scc1 .LBB331_2863
; %bb.2843:
	s_cmp_lt_i32 s0, 8
	s_cbranch_scc1 .LBB331_2853
; %bb.2844:
	;; [unrolled: 3-line block ×3, first 2 shown]
	s_cmp_gt_i32 s0, 9
	s_cbranch_scc0 .LBB331_2847
; %bb.2846:
	s_wait_xcnt 0x0
	v_cndmask_b32_e64 v1, 0, 1, s3
	v_mov_b32_e32 v6, 0
	s_mov_b32 s6, 0
	s_delay_alu instid0(VALU_DEP_2) | instskip(NEXT) | instid1(VALU_DEP_2)
	v_cvt_f64_u32_e32 v[4:5], v1
	v_mov_b32_e32 v7, v6
	global_store_b128 v[2:3], v[4:7], off
.LBB331_2847:
	s_and_not1_b32 vcc_lo, exec_lo, s6
	s_cbranch_vccnz .LBB331_2849
; %bb.2848:
	s_wait_xcnt 0x0
	v_cndmask_b32_e64 v4, 0, 1.0, s3
	v_mov_b32_e32 v5, 0
	global_store_b64 v[2:3], v[4:5], off
.LBB331_2849:
	s_mov_b32 s6, 0
.LBB331_2850:
	s_delay_alu instid0(SALU_CYCLE_1)
	s_and_not1_b32 vcc_lo, exec_lo, s6
	s_cbranch_vccnz .LBB331_2852
; %bb.2851:
	s_wait_xcnt 0x0
	v_cndmask_b32_e64 v1, 0, 1.0, s3
	s_delay_alu instid0(VALU_DEP_1) | instskip(NEXT) | instid1(VALU_DEP_1)
	v_cvt_f16_f32_e32 v1, v1
	v_and_b32_e32 v1, 0xffff, v1
	global_store_b32 v[2:3], v1, off
.LBB331_2852:
	s_mov_b32 s6, 0
.LBB331_2853:
	s_delay_alu instid0(SALU_CYCLE_1)
	s_and_not1_b32 vcc_lo, exec_lo, s6
	s_cbranch_vccnz .LBB331_2862
; %bb.2854:
	s_cmp_lt_i32 s0, 6
	s_mov_b32 s6, -1
	s_cbranch_scc1 .LBB331_2860
; %bb.2855:
	s_cmp_gt_i32 s0, 6
	s_cbranch_scc0 .LBB331_2857
; %bb.2856:
	s_wait_xcnt 0x0
	v_cndmask_b32_e64 v1, 0, 1, s3
	s_mov_b32 s6, 0
	s_delay_alu instid0(VALU_DEP_1)
	v_cvt_f64_u32_e32 v[4:5], v1
	global_store_b64 v[2:3], v[4:5], off
.LBB331_2857:
	s_and_not1_b32 vcc_lo, exec_lo, s6
	s_cbranch_vccnz .LBB331_2859
; %bb.2858:
	s_wait_xcnt 0x0
	v_cndmask_b32_e64 v1, 0, 1.0, s3
	global_store_b32 v[2:3], v1, off
.LBB331_2859:
	s_mov_b32 s6, 0
.LBB331_2860:
	s_delay_alu instid0(SALU_CYCLE_1)
	s_and_not1_b32 vcc_lo, exec_lo, s6
	s_cbranch_vccnz .LBB331_2862
; %bb.2861:
	s_wait_xcnt 0x0
	v_cndmask_b32_e64 v1, 0, 1.0, s3
	s_delay_alu instid0(VALU_DEP_1)
	v_cvt_f16_f32_e32 v1, v1
	global_store_b16 v[2:3], v1, off
.LBB331_2862:
	s_mov_b32 s6, 0
.LBB331_2863:
	s_delay_alu instid0(SALU_CYCLE_1)
	s_and_not1_b32 vcc_lo, exec_lo, s6
	s_cbranch_vccnz .LBB331_2879
; %bb.2864:
	s_cmp_lt_i32 s0, 2
	s_mov_b32 s6, -1
	s_cbranch_scc1 .LBB331_2874
; %bb.2865:
	s_cmp_lt_i32 s0, 3
	s_cbranch_scc1 .LBB331_2871
; %bb.2866:
	s_cmp_gt_i32 s0, 3
	s_cbranch_scc0 .LBB331_2868
; %bb.2867:
	s_mov_b32 s6, 0
	s_wait_xcnt 0x0
	v_cndmask_b32_e64 v4, 0, 1, s3
	v_mov_b32_e32 v5, s6
	global_store_b64 v[2:3], v[4:5], off
.LBB331_2868:
	s_and_not1_b32 vcc_lo, exec_lo, s6
	s_cbranch_vccnz .LBB331_2870
; %bb.2869:
	s_wait_xcnt 0x0
	v_cndmask_b32_e64 v1, 0, 1, s3
	global_store_b32 v[2:3], v1, off
.LBB331_2870:
	s_mov_b32 s6, 0
.LBB331_2871:
	s_delay_alu instid0(SALU_CYCLE_1)
	s_and_not1_b32 vcc_lo, exec_lo, s6
	s_cbranch_vccnz .LBB331_2873
; %bb.2872:
	s_wait_xcnt 0x0
	v_cndmask_b32_e64 v1, 0, 1, s3
	global_store_b16 v[2:3], v1, off
.LBB331_2873:
	s_mov_b32 s6, 0
.LBB331_2874:
	s_delay_alu instid0(SALU_CYCLE_1)
	s_and_not1_b32 vcc_lo, exec_lo, s6
	s_cbranch_vccnz .LBB331_2879
; %bb.2875:
	s_wait_xcnt 0x0
	v_cndmask_b32_e64 v1, 0, 1, s3
	s_cmp_gt_i32 s0, 0
	s_mov_b32 s0, -1
	s_cbranch_scc0 .LBB331_2877
; %bb.2876:
	s_mov_b32 s0, 0
	global_store_b8 v[2:3], v1, off
.LBB331_2877:
	s_and_not1_b32 vcc_lo, exec_lo, s0
	s_cbranch_vccnz .LBB331_2879
; %bb.2878:
	global_store_b8 v[2:3], v1, off
.LBB331_2879:
	s_mov_b32 s8, -1
.LBB331_2880:
	s_delay_alu instid0(SALU_CYCLE_1)
	s_and_not1_b32 vcc_lo, exec_lo, s8
	s_cbranch_vccnz .LBB331_2957
; %bb.2881:
	v_add_nc_u32_e32 v0, s2, v0
	v_cmp_ne_u16_e32 vcc_lo, v10, v14
	s_wait_xcnt 0x0
	s_delay_alu instid0(VALU_DEP_2) | instskip(SKIP_2) | instid1(VALU_DEP_1)
	v_ashrrev_i32_e32 v1, 31, v0
	s_xor_b32 s18, s1, vcc_lo
	s_cmp_lt_i32 s17, 11
	v_add_nc_u64_e32 v[0:1], s[4:5], v[0:1]
	s_cbranch_scc1 .LBB331_3002
; %bb.2882:
	s_and_b32 s1, 0xffff, s17
	s_mov_b32 s3, -1
	s_mov_b32 s2, 0
	s_cmp_gt_i32 s1, 25
	s_mov_b32 s0, 0
	s_cbranch_scc0 .LBB331_2915
; %bb.2883:
	s_cmp_gt_i32 s1, 28
	s_cbranch_scc0 .LBB331_2899
; %bb.2884:
	s_cmp_gt_i32 s1, 43
	;; [unrolled: 3-line block ×3, first 2 shown]
	s_cbranch_scc0 .LBB331_2889
; %bb.2886:
	s_cmp_eq_u32 s1, 46
	s_mov_b32 s0, -1
	s_cbranch_scc0 .LBB331_2888
; %bb.2887:
	v_cndmask_b32_e64 v2, 0, 1.0, s18
	s_mov_b32 s0, 0
	s_delay_alu instid0(VALU_DEP_1) | instskip(NEXT) | instid1(VALU_DEP_1)
	v_bfe_u32 v3, v2, 16, 1
	v_add3_u32 v2, v2, v3, 0x7fff
	s_delay_alu instid0(VALU_DEP_1)
	v_lshrrev_b32_e32 v2, 16, v2
	global_store_b32 v[0:1], v2, off
.LBB331_2888:
	s_mov_b32 s3, 0
.LBB331_2889:
	s_delay_alu instid0(SALU_CYCLE_1)
	s_and_b32 vcc_lo, exec_lo, s3
	s_cbranch_vccz .LBB331_2894
; %bb.2890:
	s_cmp_eq_u32 s1, 44
	s_mov_b32 s0, -1
	s_cbranch_scc0 .LBB331_2894
; %bb.2891:
	v_cndmask_b32_e64 v4, 0, 1.0, s18
	s_mov_b32 s3, exec_lo
	s_wait_xcnt 0x0
	s_delay_alu instid0(VALU_DEP_1) | instskip(NEXT) | instid1(VALU_DEP_1)
	v_dual_mov_b32 v3, 0xff :: v_dual_lshrrev_b32 v2, 23, v4
	v_cmpx_ne_u32_e32 0xff, v2
; %bb.2892:
	v_and_b32_e32 v3, 0x400000, v4
	v_and_or_b32 v4, 0x3fffff, v4, v2
	s_delay_alu instid0(VALU_DEP_2) | instskip(NEXT) | instid1(VALU_DEP_2)
	v_cmp_ne_u32_e32 vcc_lo, 0, v3
	v_cmp_ne_u32_e64 s0, 0, v4
	s_and_b32 s0, vcc_lo, s0
	s_delay_alu instid0(SALU_CYCLE_1) | instskip(NEXT) | instid1(VALU_DEP_1)
	v_cndmask_b32_e64 v3, 0, 1, s0
	v_add_nc_u32_e32 v3, v2, v3
; %bb.2893:
	s_or_b32 exec_lo, exec_lo, s3
	s_mov_b32 s0, 0
	global_store_b8 v[0:1], v3, off
.LBB331_2894:
	s_mov_b32 s3, 0
.LBB331_2895:
	s_delay_alu instid0(SALU_CYCLE_1)
	s_and_b32 vcc_lo, exec_lo, s3
	s_cbranch_vccz .LBB331_2898
; %bb.2896:
	s_cmp_eq_u32 s1, 29
	s_mov_b32 s0, -1
	s_cbranch_scc0 .LBB331_2898
; %bb.2897:
	s_mov_b32 s0, 0
	s_wait_xcnt 0x0
	v_cndmask_b32_e64 v2, 0, 1, s18
	v_mov_b32_e32 v3, s0
	global_store_b64 v[0:1], v[2:3], off
.LBB331_2898:
	s_mov_b32 s3, 0
.LBB331_2899:
	s_delay_alu instid0(SALU_CYCLE_1)
	s_and_b32 vcc_lo, exec_lo, s3
	s_cbranch_vccz .LBB331_2914
; %bb.2900:
	s_cmp_lt_i32 s1, 27
	s_mov_b32 s3, -1
	s_cbranch_scc1 .LBB331_2906
; %bb.2901:
	s_wait_xcnt 0x0
	v_cndmask_b32_e64 v2, 0, 1, s18
	s_cmp_gt_i32 s1, 27
	s_cbranch_scc0 .LBB331_2903
; %bb.2902:
	s_mov_b32 s3, 0
	global_store_b32 v[0:1], v2, off
.LBB331_2903:
	s_and_not1_b32 vcc_lo, exec_lo, s3
	s_cbranch_vccnz .LBB331_2905
; %bb.2904:
	global_store_b16 v[0:1], v2, off
.LBB331_2905:
	s_mov_b32 s3, 0
.LBB331_2906:
	s_delay_alu instid0(SALU_CYCLE_1)
	s_and_not1_b32 vcc_lo, exec_lo, s3
	s_cbranch_vccnz .LBB331_2914
; %bb.2907:
	s_wait_xcnt 0x0
	v_cndmask_b32_e64 v3, 0, 1.0, s18
	v_mov_b32_e32 v4, 0x80
	s_mov_b32 s3, exec_lo
	s_delay_alu instid0(VALU_DEP_2)
	v_cmpx_gt_u32_e32 0x43800000, v3
	s_cbranch_execz .LBB331_2913
; %bb.2908:
	s_mov_b32 s4, 0
	s_mov_b32 s5, exec_lo
                                        ; implicit-def: $vgpr2
	v_cmpx_lt_u32_e32 0x3bffffff, v3
	s_xor_b32 s5, exec_lo, s5
	s_cbranch_execz .LBB331_3019
; %bb.2909:
	v_bfe_u32 v2, v3, 20, 1
	s_mov_b32 s4, exec_lo
	s_delay_alu instid0(VALU_DEP_1) | instskip(NEXT) | instid1(VALU_DEP_1)
	v_add3_u32 v2, v3, v2, 0x487ffff
                                        ; implicit-def: $vgpr3
	v_lshrrev_b32_e32 v2, 20, v2
	s_and_not1_saveexec_b32 s5, s5
	s_cbranch_execnz .LBB331_3020
.LBB331_2910:
	s_or_b32 exec_lo, exec_lo, s5
	v_mov_b32_e32 v4, 0
	s_and_saveexec_b32 s5, s4
.LBB331_2911:
	v_mov_b32_e32 v4, v2
.LBB331_2912:
	s_or_b32 exec_lo, exec_lo, s5
.LBB331_2913:
	s_delay_alu instid0(SALU_CYCLE_1)
	s_or_b32 exec_lo, exec_lo, s3
	global_store_b8 v[0:1], v4, off
.LBB331_2914:
	s_mov_b32 s3, 0
.LBB331_2915:
	s_delay_alu instid0(SALU_CYCLE_1)
	s_and_b32 vcc_lo, exec_lo, s3
	s_cbranch_vccz .LBB331_2955
; %bb.2916:
	s_cmp_gt_i32 s1, 22
	s_mov_b32 s2, -1
	s_cbranch_scc0 .LBB331_2948
; %bb.2917:
	s_cmp_lt_i32 s1, 24
	s_cbranch_scc1 .LBB331_2937
; %bb.2918:
	s_cmp_gt_i32 s1, 24
	s_cbranch_scc0 .LBB331_2926
; %bb.2919:
	s_wait_xcnt 0x0
	v_cndmask_b32_e64 v3, 0, 1.0, s18
	v_mov_b32_e32 v4, 0x80
	s_mov_b32 s2, exec_lo
	s_delay_alu instid0(VALU_DEP_2)
	v_cmpx_gt_u32_e32 0x47800000, v3
	s_cbranch_execz .LBB331_2925
; %bb.2920:
	s_mov_b32 s3, 0
	s_mov_b32 s4, exec_lo
                                        ; implicit-def: $vgpr2
	v_cmpx_lt_u32_e32 0x37ffffff, v3
	s_xor_b32 s4, exec_lo, s4
	s_cbranch_execz .LBB331_3022
; %bb.2921:
	v_bfe_u32 v2, v3, 21, 1
	s_mov_b32 s3, exec_lo
	s_delay_alu instid0(VALU_DEP_1) | instskip(NEXT) | instid1(VALU_DEP_1)
	v_add3_u32 v2, v3, v2, 0x88fffff
                                        ; implicit-def: $vgpr3
	v_lshrrev_b32_e32 v2, 21, v2
	s_and_not1_saveexec_b32 s4, s4
	s_cbranch_execnz .LBB331_3023
.LBB331_2922:
	s_or_b32 exec_lo, exec_lo, s4
	v_mov_b32_e32 v4, 0
	s_and_saveexec_b32 s4, s3
.LBB331_2923:
	v_mov_b32_e32 v4, v2
.LBB331_2924:
	s_or_b32 exec_lo, exec_lo, s4
.LBB331_2925:
	s_delay_alu instid0(SALU_CYCLE_1)
	s_or_b32 exec_lo, exec_lo, s2
	s_mov_b32 s2, 0
	global_store_b8 v[0:1], v4, off
.LBB331_2926:
	s_and_b32 vcc_lo, exec_lo, s2
	s_cbranch_vccz .LBB331_2936
; %bb.2927:
	s_wait_xcnt 0x0
	v_cndmask_b32_e64 v3, 0, 1.0, s18
	s_mov_b32 s2, exec_lo
                                        ; implicit-def: $vgpr2
	s_delay_alu instid0(VALU_DEP_1)
	v_cmpx_gt_u32_e32 0x43f00000, v3
	s_xor_b32 s2, exec_lo, s2
	s_cbranch_execz .LBB331_2933
; %bb.2928:
	s_mov_b32 s3, exec_lo
                                        ; implicit-def: $vgpr2
	v_cmpx_lt_u32_e32 0x3c7fffff, v3
	s_xor_b32 s3, exec_lo, s3
; %bb.2929:
	v_bfe_u32 v2, v3, 20, 1
	s_delay_alu instid0(VALU_DEP_1) | instskip(NEXT) | instid1(VALU_DEP_1)
	v_add3_u32 v2, v3, v2, 0x407ffff
	v_and_b32_e32 v3, 0xff00000, v2
	v_lshrrev_b32_e32 v2, 20, v2
	s_delay_alu instid0(VALU_DEP_2) | instskip(NEXT) | instid1(VALU_DEP_2)
	v_cmp_ne_u32_e32 vcc_lo, 0x7f00000, v3
                                        ; implicit-def: $vgpr3
	v_cndmask_b32_e32 v2, 0x7e, v2, vcc_lo
; %bb.2930:
	s_and_not1_saveexec_b32 s3, s3
; %bb.2931:
	v_add_f32_e32 v2, 0x46800000, v3
; %bb.2932:
	s_or_b32 exec_lo, exec_lo, s3
                                        ; implicit-def: $vgpr3
.LBB331_2933:
	s_and_not1_saveexec_b32 s2, s2
; %bb.2934:
	v_mov_b32_e32 v2, 0x7f
	v_cmp_lt_u32_e32 vcc_lo, 0x7f800000, v3
	s_delay_alu instid0(VALU_DEP_2)
	v_cndmask_b32_e32 v2, 0x7e, v2, vcc_lo
; %bb.2935:
	s_or_b32 exec_lo, exec_lo, s2
	global_store_b8 v[0:1], v2, off
.LBB331_2936:
	s_mov_b32 s2, 0
.LBB331_2937:
	s_delay_alu instid0(SALU_CYCLE_1)
	s_and_not1_b32 vcc_lo, exec_lo, s2
	s_cbranch_vccnz .LBB331_2947
; %bb.2938:
	s_wait_xcnt 0x0
	v_cndmask_b32_e64 v3, 0, 1.0, s18
	s_mov_b32 s2, exec_lo
                                        ; implicit-def: $vgpr2
	s_delay_alu instid0(VALU_DEP_1)
	v_cmpx_gt_u32_e32 0x47800000, v3
	s_xor_b32 s2, exec_lo, s2
	s_cbranch_execz .LBB331_2944
; %bb.2939:
	s_mov_b32 s3, exec_lo
                                        ; implicit-def: $vgpr2
	v_cmpx_lt_u32_e32 0x387fffff, v3
	s_xor_b32 s3, exec_lo, s3
; %bb.2940:
	v_bfe_u32 v2, v3, 21, 1
	s_delay_alu instid0(VALU_DEP_1) | instskip(NEXT) | instid1(VALU_DEP_1)
	v_add3_u32 v2, v3, v2, 0x80fffff
                                        ; implicit-def: $vgpr3
	v_lshrrev_b32_e32 v2, 21, v2
; %bb.2941:
	s_and_not1_saveexec_b32 s3, s3
; %bb.2942:
	v_add_f32_e32 v2, 0x43000000, v3
; %bb.2943:
	s_or_b32 exec_lo, exec_lo, s3
                                        ; implicit-def: $vgpr3
.LBB331_2944:
	s_and_not1_saveexec_b32 s2, s2
; %bb.2945:
	v_mov_b32_e32 v2, 0x7f
	v_cmp_lt_u32_e32 vcc_lo, 0x7f800000, v3
	s_delay_alu instid0(VALU_DEP_2)
	v_cndmask_b32_e32 v2, 0x7c, v2, vcc_lo
; %bb.2946:
	s_or_b32 exec_lo, exec_lo, s2
	global_store_b8 v[0:1], v2, off
.LBB331_2947:
	s_mov_b32 s2, 0
.LBB331_2948:
	s_delay_alu instid0(SALU_CYCLE_1)
	s_and_not1_b32 vcc_lo, exec_lo, s2
	s_mov_b32 s2, 0
	s_cbranch_vccnz .LBB331_2955
; %bb.2949:
	s_cmp_gt_i32 s1, 14
	s_mov_b32 s2, -1
	s_cbranch_scc0 .LBB331_2953
; %bb.2950:
	s_cmp_eq_u32 s1, 15
	s_mov_b32 s0, -1
	s_cbranch_scc0 .LBB331_2952
; %bb.2951:
	s_wait_xcnt 0x0
	v_cndmask_b32_e64 v2, 0, 1.0, s18
	s_mov_b32 s0, 0
	s_delay_alu instid0(VALU_DEP_1) | instskip(NEXT) | instid1(VALU_DEP_1)
	v_bfe_u32 v3, v2, 16, 1
	v_add3_u32 v2, v2, v3, 0x7fff
	global_store_d16_hi_b16 v[0:1], v2, off
.LBB331_2952:
	s_mov_b32 s2, 0
.LBB331_2953:
	s_delay_alu instid0(SALU_CYCLE_1)
	s_and_b32 vcc_lo, exec_lo, s2
	s_mov_b32 s2, 0
	s_cbranch_vccz .LBB331_2955
; %bb.2954:
	s_cmp_lg_u32 s1, 11
	s_mov_b32 s2, -1
	s_cselect_b32 s0, -1, 0
.LBB331_2955:
	s_delay_alu instid0(SALU_CYCLE_1)
	s_and_b32 vcc_lo, exec_lo, s0
	s_cbranch_vccnz .LBB331_3021
.LBB331_2956:
	s_mov_b32 s0, 0
	s_branch .LBB331_2958
.LBB331_2957:
	s_mov_b32 s0, 0
	s_mov_b32 s2, 0
                                        ; implicit-def: $sgpr18
                                        ; implicit-def: $sgpr17
                                        ; implicit-def: $vgpr0_vgpr1
.LBB331_2958:
	s_and_not1_b32 s1, s16, exec_lo
	s_and_b32 s3, s13, exec_lo
	s_and_b32 s0, s0, exec_lo
	;; [unrolled: 1-line block ×3, first 2 shown]
	s_or_b32 s16, s1, s3
.LBB331_2959:
	s_wait_xcnt 0x0
	s_or_b32 exec_lo, exec_lo, s15
	s_and_saveexec_b32 s1, s16
	s_cbranch_execz .LBB331_2962
; %bb.2960:
	; divergent unreachable
	s_or_b32 exec_lo, exec_lo, s1
	s_and_saveexec_b32 s1, s13
	s_delay_alu instid0(SALU_CYCLE_1)
	s_xor_b32 s1, exec_lo, s1
	s_cbranch_execnz .LBB331_2963
.LBB331_2961:
	s_or_b32 exec_lo, exec_lo, s1
	s_and_saveexec_b32 s1, s0
	s_cbranch_execnz .LBB331_2964
	s_branch .LBB331_3001
.LBB331_2962:
	s_or_b32 exec_lo, exec_lo, s1
	s_and_saveexec_b32 s1, s13
	s_delay_alu instid0(SALU_CYCLE_1)
	s_xor_b32 s1, exec_lo, s1
	s_cbranch_execz .LBB331_2961
.LBB331_2963:
	s_wait_loadcnt 0x0
	v_cndmask_b32_e64 v2, 0, 1, s18
	global_store_b8 v[0:1], v2, off
	s_wait_xcnt 0x0
	s_or_b32 exec_lo, exec_lo, s1
	s_and_saveexec_b32 s1, s0
	s_cbranch_execz .LBB331_3001
.LBB331_2964:
	s_sext_i32_i16 s1, s17
	s_mov_b32 s0, -1
	s_cmp_lt_i32 s1, 5
	s_cbranch_scc1 .LBB331_2985
; %bb.2965:
	s_cmp_lt_i32 s1, 8
	s_cbranch_scc1 .LBB331_2975
; %bb.2966:
	;; [unrolled: 3-line block ×3, first 2 shown]
	s_cmp_gt_i32 s1, 9
	s_cbranch_scc0 .LBB331_2969
; %bb.2968:
	s_wait_loadcnt 0x0
	v_cndmask_b32_e64 v2, 0, 1, s18
	v_mov_b32_e32 v4, 0
	s_mov_b32 s0, 0
	s_delay_alu instid0(VALU_DEP_2) | instskip(NEXT) | instid1(VALU_DEP_2)
	v_cvt_f64_u32_e32 v[2:3], v2
	v_mov_b32_e32 v5, v4
	global_store_b128 v[0:1], v[2:5], off
.LBB331_2969:
	s_and_not1_b32 vcc_lo, exec_lo, s0
	s_cbranch_vccnz .LBB331_2971
; %bb.2970:
	s_wait_loadcnt 0x0
	v_cndmask_b32_e64 v2, 0, 1.0, s18
	v_mov_b32_e32 v3, 0
	global_store_b64 v[0:1], v[2:3], off
.LBB331_2971:
	s_mov_b32 s0, 0
.LBB331_2972:
	s_delay_alu instid0(SALU_CYCLE_1)
	s_and_not1_b32 vcc_lo, exec_lo, s0
	s_cbranch_vccnz .LBB331_2974
; %bb.2973:
	s_wait_loadcnt 0x0
	v_cndmask_b32_e64 v2, 0, 1.0, s18
	s_delay_alu instid0(VALU_DEP_1) | instskip(NEXT) | instid1(VALU_DEP_1)
	v_cvt_f16_f32_e32 v2, v2
	v_and_b32_e32 v2, 0xffff, v2
	global_store_b32 v[0:1], v2, off
.LBB331_2974:
	s_mov_b32 s0, 0
.LBB331_2975:
	s_delay_alu instid0(SALU_CYCLE_1)
	s_and_not1_b32 vcc_lo, exec_lo, s0
	s_cbranch_vccnz .LBB331_2984
; %bb.2976:
	s_sext_i32_i16 s1, s17
	s_mov_b32 s0, -1
	s_cmp_lt_i32 s1, 6
	s_cbranch_scc1 .LBB331_2982
; %bb.2977:
	s_cmp_gt_i32 s1, 6
	s_cbranch_scc0 .LBB331_2979
; %bb.2978:
	s_wait_loadcnt 0x0
	v_cndmask_b32_e64 v2, 0, 1, s18
	s_mov_b32 s0, 0
	s_delay_alu instid0(VALU_DEP_1)
	v_cvt_f64_u32_e32 v[2:3], v2
	global_store_b64 v[0:1], v[2:3], off
.LBB331_2979:
	s_and_not1_b32 vcc_lo, exec_lo, s0
	s_cbranch_vccnz .LBB331_2981
; %bb.2980:
	s_wait_loadcnt 0x0
	v_cndmask_b32_e64 v2, 0, 1.0, s18
	global_store_b32 v[0:1], v2, off
.LBB331_2981:
	s_mov_b32 s0, 0
.LBB331_2982:
	s_delay_alu instid0(SALU_CYCLE_1)
	s_and_not1_b32 vcc_lo, exec_lo, s0
	s_cbranch_vccnz .LBB331_2984
; %bb.2983:
	s_wait_loadcnt 0x0
	v_cndmask_b32_e64 v2, 0, 1.0, s18
	s_delay_alu instid0(VALU_DEP_1)
	v_cvt_f16_f32_e32 v2, v2
	global_store_b16 v[0:1], v2, off
.LBB331_2984:
	s_mov_b32 s0, 0
.LBB331_2985:
	s_delay_alu instid0(SALU_CYCLE_1)
	s_and_not1_b32 vcc_lo, exec_lo, s0
	s_cbranch_vccnz .LBB331_3001
; %bb.2986:
	s_sext_i32_i16 s1, s17
	s_mov_b32 s0, -1
	s_cmp_lt_i32 s1, 2
	s_cbranch_scc1 .LBB331_2996
; %bb.2987:
	s_cmp_lt_i32 s1, 3
	s_cbranch_scc1 .LBB331_2993
; %bb.2988:
	s_cmp_gt_i32 s1, 3
	s_cbranch_scc0 .LBB331_2990
; %bb.2989:
	s_mov_b32 s0, 0
	s_wait_loadcnt 0x0
	v_cndmask_b32_e64 v2, 0, 1, s18
	v_mov_b32_e32 v3, s0
	global_store_b64 v[0:1], v[2:3], off
.LBB331_2990:
	s_and_not1_b32 vcc_lo, exec_lo, s0
	s_cbranch_vccnz .LBB331_2992
; %bb.2991:
	s_wait_loadcnt 0x0
	v_cndmask_b32_e64 v2, 0, 1, s18
	global_store_b32 v[0:1], v2, off
.LBB331_2992:
	s_mov_b32 s0, 0
.LBB331_2993:
	s_delay_alu instid0(SALU_CYCLE_1)
	s_and_not1_b32 vcc_lo, exec_lo, s0
	s_cbranch_vccnz .LBB331_2995
; %bb.2994:
	s_wait_loadcnt 0x0
	v_cndmask_b32_e64 v2, 0, 1, s18
	global_store_b16 v[0:1], v2, off
.LBB331_2995:
	s_mov_b32 s0, 0
.LBB331_2996:
	s_delay_alu instid0(SALU_CYCLE_1)
	s_and_not1_b32 vcc_lo, exec_lo, s0
	s_cbranch_vccnz .LBB331_3001
; %bb.2997:
	s_wait_loadcnt 0x0
	v_cndmask_b32_e64 v2, 0, 1, s18
	s_sext_i32_i16 s0, s17
	s_delay_alu instid0(SALU_CYCLE_1)
	s_cmp_gt_i32 s0, 0
	s_mov_b32 s0, -1
	s_cbranch_scc0 .LBB331_2999
; %bb.2998:
	s_mov_b32 s0, 0
	global_store_b8 v[0:1], v2, off
.LBB331_2999:
	s_and_not1_b32 vcc_lo, exec_lo, s0
	s_cbranch_vccnz .LBB331_3001
; %bb.3000:
	global_store_b8 v[0:1], v2, off
	s_endpgm
.LBB331_3001:
	s_endpgm
.LBB331_3002:
	s_mov_b32 s2, 0
	s_mov_b32 s0, -1
	s_branch .LBB331_2958
.LBB331_3003:
	s_or_b32 s13, s13, exec_lo
	s_trap 2
	s_cbranch_execz .LBB331_2473
	s_branch .LBB331_2474
.LBB331_3004:
	s_and_not1_saveexec_b32 s10, s10
	s_cbranch_execz .LBB331_2553
.LBB331_3005:
	v_add_f32_e32 v3, 0x46000000, v4
	s_and_not1_b32 s9, s9, exec_lo
	s_delay_alu instid0(VALU_DEP_1) | instskip(NEXT) | instid1(VALU_DEP_1)
	v_and_b32_e32 v3, 0xff, v3
	v_cmp_ne_u32_e32 vcc_lo, 0, v3
	s_and_b32 s11, vcc_lo, exec_lo
	s_delay_alu instid0(SALU_CYCLE_1)
	s_or_b32 s9, s9, s11
	s_or_b32 exec_lo, exec_lo, s10
	v_mov_b32_e32 v5, 0
	s_and_saveexec_b32 s10, s9
	s_cbranch_execnz .LBB331_2554
	s_branch .LBB331_2555
.LBB331_3006:
	s_or_b32 s13, s13, exec_lo
	s_trap 2
	s_cbranch_execz .LBB331_2601
	s_branch .LBB331_2602
.LBB331_3007:
	s_and_not1_saveexec_b32 s9, s9
	s_cbranch_execz .LBB331_2566
.LBB331_3008:
	v_add_f32_e32 v3, 0x42800000, v4
	s_and_not1_b32 s7, s7, exec_lo
	s_delay_alu instid0(VALU_DEP_1) | instskip(NEXT) | instid1(VALU_DEP_1)
	v_and_b32_e32 v3, 0xff, v3
	v_cmp_ne_u32_e32 vcc_lo, 0, v3
	s_and_b32 s10, vcc_lo, exec_lo
	s_delay_alu instid0(SALU_CYCLE_1)
	s_or_b32 s7, s7, s10
	s_or_b32 exec_lo, exec_lo, s9
	v_mov_b32_e32 v5, 0
	s_and_saveexec_b32 s9, s7
	s_cbranch_execnz .LBB331_2567
	s_branch .LBB331_2568
.LBB331_3009:
	s_and_not1_saveexec_b32 s10, s10
	s_cbranch_execz .LBB331_2671
.LBB331_3010:
	v_add_f32_e32 v1, 0x46000000, v4
	s_and_not1_b32 s9, s9, exec_lo
	s_delay_alu instid0(VALU_DEP_1) | instskip(NEXT) | instid1(VALU_DEP_1)
	v_and_b32_e32 v1, 0xff, v1
	v_cmp_ne_u32_e32 vcc_lo, 0, v1
	s_and_b32 s11, vcc_lo, exec_lo
	s_delay_alu instid0(SALU_CYCLE_1)
	s_or_b32 s9, s9, s11
	s_or_b32 exec_lo, exec_lo, s10
	v_mov_b32_e32 v5, 0
	s_and_saveexec_b32 s10, s9
	s_cbranch_execnz .LBB331_2672
	s_branch .LBB331_2673
.LBB331_3011:
	s_or_b32 s13, s13, exec_lo
	s_trap 2
	s_cbranch_execz .LBB331_2719
	s_branch .LBB331_2720
.LBB331_3012:
	s_and_not1_saveexec_b32 s9, s9
	s_cbranch_execz .LBB331_2684
.LBB331_3013:
	v_add_f32_e32 v1, 0x42800000, v4
	s_and_not1_b32 s8, s8, exec_lo
	s_delay_alu instid0(VALU_DEP_1) | instskip(NEXT) | instid1(VALU_DEP_1)
	v_and_b32_e32 v1, 0xff, v1
	v_cmp_ne_u32_e32 vcc_lo, 0, v1
	s_and_b32 s10, vcc_lo, exec_lo
	s_delay_alu instid0(SALU_CYCLE_1)
	s_or_b32 s8, s8, s10
	s_or_b32 exec_lo, exec_lo, s9
	v_mov_b32_e32 v5, 0
	s_and_saveexec_b32 s9, s8
	s_cbranch_execnz .LBB331_2685
	s_branch .LBB331_2686
.LBB331_3014:
	s_and_not1_saveexec_b32 s10, s10
	s_cbranch_execz .LBB331_2790
.LBB331_3015:
	v_add_f32_e32 v1, 0x46000000, v4
	s_and_not1_b32 s9, s9, exec_lo
	s_delay_alu instid0(VALU_DEP_1) | instskip(NEXT) | instid1(VALU_DEP_1)
	v_and_b32_e32 v1, 0xff, v1
	v_cmp_ne_u32_e32 vcc_lo, 0, v1
	s_and_b32 s11, vcc_lo, exec_lo
	s_delay_alu instid0(SALU_CYCLE_1)
	s_or_b32 s9, s9, s11
	s_or_b32 exec_lo, exec_lo, s10
	v_mov_b32_e32 v5, 0
	s_and_saveexec_b32 s10, s9
	s_cbranch_execnz .LBB331_2791
	s_branch .LBB331_2792
.LBB331_3016:
	s_or_b32 s13, s13, exec_lo
	s_trap 2
	s_cbranch_execz .LBB331_2838
	s_branch .LBB331_2839
.LBB331_3017:
	s_and_not1_saveexec_b32 s9, s9
	s_cbranch_execz .LBB331_2803
.LBB331_3018:
	v_add_f32_e32 v1, 0x42800000, v4
	s_and_not1_b32 s8, s8, exec_lo
	s_delay_alu instid0(VALU_DEP_1) | instskip(NEXT) | instid1(VALU_DEP_1)
	v_and_b32_e32 v1, 0xff, v1
	v_cmp_ne_u32_e32 vcc_lo, 0, v1
	s_and_b32 s10, vcc_lo, exec_lo
	s_delay_alu instid0(SALU_CYCLE_1)
	s_or_b32 s8, s8, s10
	s_or_b32 exec_lo, exec_lo, s9
	v_mov_b32_e32 v5, 0
	s_and_saveexec_b32 s9, s8
	s_cbranch_execnz .LBB331_2804
	s_branch .LBB331_2805
.LBB331_3019:
	s_and_not1_saveexec_b32 s5, s5
	s_cbranch_execz .LBB331_2910
.LBB331_3020:
	v_add_f32_e32 v2, 0x46000000, v3
	s_and_not1_b32 s4, s4, exec_lo
	s_delay_alu instid0(VALU_DEP_1) | instskip(NEXT) | instid1(VALU_DEP_1)
	v_and_b32_e32 v2, 0xff, v2
	v_cmp_ne_u32_e32 vcc_lo, 0, v2
	s_and_b32 s6, vcc_lo, exec_lo
	s_delay_alu instid0(SALU_CYCLE_1)
	s_or_b32 s4, s4, s6
	s_or_b32 exec_lo, exec_lo, s5
	v_mov_b32_e32 v4, 0
	s_and_saveexec_b32 s5, s4
	s_cbranch_execnz .LBB331_2911
	s_branch .LBB331_2912
.LBB331_3021:
	s_mov_b32 s2, 0
	s_or_b32 s13, s13, exec_lo
	s_trap 2
	s_branch .LBB331_2956
.LBB331_3022:
	s_and_not1_saveexec_b32 s4, s4
	s_cbranch_execz .LBB331_2922
.LBB331_3023:
	v_add_f32_e32 v2, 0x42800000, v3
	s_and_not1_b32 s3, s3, exec_lo
	s_delay_alu instid0(VALU_DEP_1) | instskip(NEXT) | instid1(VALU_DEP_1)
	v_and_b32_e32 v2, 0xff, v2
	v_cmp_ne_u32_e32 vcc_lo, 0, v2
	s_and_b32 s5, vcc_lo, exec_lo
	s_delay_alu instid0(SALU_CYCLE_1)
	s_or_b32 s3, s3, s5
	s_or_b32 exec_lo, exec_lo, s4
	v_mov_b32_e32 v4, 0
	s_and_saveexec_b32 s4, s3
	s_cbranch_execnz .LBB331_2923
	s_branch .LBB331_2924
	.section	.rodata,"a",@progbits
	.p2align	6, 0x0
	.amdhsa_kernel _ZN2at6native32elementwise_kernel_manual_unrollILi128ELi4EZNS0_15gpu_kernel_implINS0_13BinaryFunctorIttbNS0_12_GLOBAL__N_116CompareEqFunctorItEEEEEEvRNS_18TensorIteratorBaseERKT_EUlibE_EEviT1_
		.amdhsa_group_segment_fixed_size 0
		.amdhsa_private_segment_fixed_size 0
		.amdhsa_kernarg_size 56
		.amdhsa_user_sgpr_count 2
		.amdhsa_user_sgpr_dispatch_ptr 0
		.amdhsa_user_sgpr_queue_ptr 0
		.amdhsa_user_sgpr_kernarg_segment_ptr 1
		.amdhsa_user_sgpr_dispatch_id 0
		.amdhsa_user_sgpr_kernarg_preload_length 0
		.amdhsa_user_sgpr_kernarg_preload_offset 0
		.amdhsa_user_sgpr_private_segment_size 0
		.amdhsa_wavefront_size32 1
		.amdhsa_uses_dynamic_stack 0
		.amdhsa_enable_private_segment 0
		.amdhsa_system_sgpr_workgroup_id_x 1
		.amdhsa_system_sgpr_workgroup_id_y 0
		.amdhsa_system_sgpr_workgroup_id_z 0
		.amdhsa_system_sgpr_workgroup_info 0
		.amdhsa_system_vgpr_workitem_id 0
		.amdhsa_next_free_vgpr 22
		.amdhsa_next_free_sgpr 37
		.amdhsa_named_barrier_count 0
		.amdhsa_reserve_vcc 1
		.amdhsa_float_round_mode_32 0
		.amdhsa_float_round_mode_16_64 0
		.amdhsa_float_denorm_mode_32 3
		.amdhsa_float_denorm_mode_16_64 3
		.amdhsa_fp16_overflow 0
		.amdhsa_memory_ordered 1
		.amdhsa_forward_progress 1
		.amdhsa_inst_pref_size 255
		.amdhsa_round_robin_scheduling 0
		.amdhsa_exception_fp_ieee_invalid_op 0
		.amdhsa_exception_fp_denorm_src 0
		.amdhsa_exception_fp_ieee_div_zero 0
		.amdhsa_exception_fp_ieee_overflow 0
		.amdhsa_exception_fp_ieee_underflow 0
		.amdhsa_exception_fp_ieee_inexact 0
		.amdhsa_exception_int_div_zero 0
	.end_amdhsa_kernel
	.section	.text._ZN2at6native32elementwise_kernel_manual_unrollILi128ELi4EZNS0_15gpu_kernel_implINS0_13BinaryFunctorIttbNS0_12_GLOBAL__N_116CompareEqFunctorItEEEEEEvRNS_18TensorIteratorBaseERKT_EUlibE_EEviT1_,"axG",@progbits,_ZN2at6native32elementwise_kernel_manual_unrollILi128ELi4EZNS0_15gpu_kernel_implINS0_13BinaryFunctorIttbNS0_12_GLOBAL__N_116CompareEqFunctorItEEEEEEvRNS_18TensorIteratorBaseERKT_EUlibE_EEviT1_,comdat
.Lfunc_end331:
	.size	_ZN2at6native32elementwise_kernel_manual_unrollILi128ELi4EZNS0_15gpu_kernel_implINS0_13BinaryFunctorIttbNS0_12_GLOBAL__N_116CompareEqFunctorItEEEEEEvRNS_18TensorIteratorBaseERKT_EUlibE_EEviT1_, .Lfunc_end331-_ZN2at6native32elementwise_kernel_manual_unrollILi128ELi4EZNS0_15gpu_kernel_implINS0_13BinaryFunctorIttbNS0_12_GLOBAL__N_116CompareEqFunctorItEEEEEEvRNS_18TensorIteratorBaseERKT_EUlibE_EEviT1_
                                        ; -- End function
	.set _ZN2at6native32elementwise_kernel_manual_unrollILi128ELi4EZNS0_15gpu_kernel_implINS0_13BinaryFunctorIttbNS0_12_GLOBAL__N_116CompareEqFunctorItEEEEEEvRNS_18TensorIteratorBaseERKT_EUlibE_EEviT1_.num_vgpr, 22
	.set _ZN2at6native32elementwise_kernel_manual_unrollILi128ELi4EZNS0_15gpu_kernel_implINS0_13BinaryFunctorIttbNS0_12_GLOBAL__N_116CompareEqFunctorItEEEEEEvRNS_18TensorIteratorBaseERKT_EUlibE_EEviT1_.num_agpr, 0
	.set _ZN2at6native32elementwise_kernel_manual_unrollILi128ELi4EZNS0_15gpu_kernel_implINS0_13BinaryFunctorIttbNS0_12_GLOBAL__N_116CompareEqFunctorItEEEEEEvRNS_18TensorIteratorBaseERKT_EUlibE_EEviT1_.numbered_sgpr, 37
	.set _ZN2at6native32elementwise_kernel_manual_unrollILi128ELi4EZNS0_15gpu_kernel_implINS0_13BinaryFunctorIttbNS0_12_GLOBAL__N_116CompareEqFunctorItEEEEEEvRNS_18TensorIteratorBaseERKT_EUlibE_EEviT1_.num_named_barrier, 0
	.set _ZN2at6native32elementwise_kernel_manual_unrollILi128ELi4EZNS0_15gpu_kernel_implINS0_13BinaryFunctorIttbNS0_12_GLOBAL__N_116CompareEqFunctorItEEEEEEvRNS_18TensorIteratorBaseERKT_EUlibE_EEviT1_.private_seg_size, 0
	.set _ZN2at6native32elementwise_kernel_manual_unrollILi128ELi4EZNS0_15gpu_kernel_implINS0_13BinaryFunctorIttbNS0_12_GLOBAL__N_116CompareEqFunctorItEEEEEEvRNS_18TensorIteratorBaseERKT_EUlibE_EEviT1_.uses_vcc, 1
	.set _ZN2at6native32elementwise_kernel_manual_unrollILi128ELi4EZNS0_15gpu_kernel_implINS0_13BinaryFunctorIttbNS0_12_GLOBAL__N_116CompareEqFunctorItEEEEEEvRNS_18TensorIteratorBaseERKT_EUlibE_EEviT1_.uses_flat_scratch, 0
	.set _ZN2at6native32elementwise_kernel_manual_unrollILi128ELi4EZNS0_15gpu_kernel_implINS0_13BinaryFunctorIttbNS0_12_GLOBAL__N_116CompareEqFunctorItEEEEEEvRNS_18TensorIteratorBaseERKT_EUlibE_EEviT1_.has_dyn_sized_stack, 0
	.set _ZN2at6native32elementwise_kernel_manual_unrollILi128ELi4EZNS0_15gpu_kernel_implINS0_13BinaryFunctorIttbNS0_12_GLOBAL__N_116CompareEqFunctorItEEEEEEvRNS_18TensorIteratorBaseERKT_EUlibE_EEviT1_.has_recursion, 0
	.set _ZN2at6native32elementwise_kernel_manual_unrollILi128ELi4EZNS0_15gpu_kernel_implINS0_13BinaryFunctorIttbNS0_12_GLOBAL__N_116CompareEqFunctorItEEEEEEvRNS_18TensorIteratorBaseERKT_EUlibE_EEviT1_.has_indirect_call, 0
	.section	.AMDGPU.csdata,"",@progbits
; Kernel info:
; codeLenInByte = 51760
; TotalNumSgprs: 39
; NumVgprs: 22
; ScratchSize: 0
; MemoryBound: 1
; FloatMode: 240
; IeeeMode: 1
; LDSByteSize: 0 bytes/workgroup (compile time only)
; SGPRBlocks: 0
; VGPRBlocks: 1
; NumSGPRsForWavesPerEU: 39
; NumVGPRsForWavesPerEU: 22
; NamedBarCnt: 0
; Occupancy: 16
; WaveLimiterHint : 0
; COMPUTE_PGM_RSRC2:SCRATCH_EN: 0
; COMPUTE_PGM_RSRC2:USER_SGPR: 2
; COMPUTE_PGM_RSRC2:TRAP_HANDLER: 0
; COMPUTE_PGM_RSRC2:TGID_X_EN: 1
; COMPUTE_PGM_RSRC2:TGID_Y_EN: 0
; COMPUTE_PGM_RSRC2:TGID_Z_EN: 0
; COMPUTE_PGM_RSRC2:TIDIG_COMP_CNT: 0
	.section	.text._ZN2at6native32elementwise_kernel_manual_unrollILi128ELi4EZNS0_15gpu_kernel_implINS0_13BinaryFunctorIttbNS0_12_GLOBAL__N_116CompareEqFunctorItEEEEEEvRNS_18TensorIteratorBaseERKT_EUlibE0_EEviT1_,"axG",@progbits,_ZN2at6native32elementwise_kernel_manual_unrollILi128ELi4EZNS0_15gpu_kernel_implINS0_13BinaryFunctorIttbNS0_12_GLOBAL__N_116CompareEqFunctorItEEEEEEvRNS_18TensorIteratorBaseERKT_EUlibE0_EEviT1_,comdat
	.globl	_ZN2at6native32elementwise_kernel_manual_unrollILi128ELi4EZNS0_15gpu_kernel_implINS0_13BinaryFunctorIttbNS0_12_GLOBAL__N_116CompareEqFunctorItEEEEEEvRNS_18TensorIteratorBaseERKT_EUlibE0_EEviT1_ ; -- Begin function _ZN2at6native32elementwise_kernel_manual_unrollILi128ELi4EZNS0_15gpu_kernel_implINS0_13BinaryFunctorIttbNS0_12_GLOBAL__N_116CompareEqFunctorItEEEEEEvRNS_18TensorIteratorBaseERKT_EUlibE0_EEviT1_
	.p2align	8
	.type	_ZN2at6native32elementwise_kernel_manual_unrollILi128ELi4EZNS0_15gpu_kernel_implINS0_13BinaryFunctorIttbNS0_12_GLOBAL__N_116CompareEqFunctorItEEEEEEvRNS_18TensorIteratorBaseERKT_EUlibE0_EEviT1_,@function
_ZN2at6native32elementwise_kernel_manual_unrollILi128ELi4EZNS0_15gpu_kernel_implINS0_13BinaryFunctorIttbNS0_12_GLOBAL__N_116CompareEqFunctorItEEEEEEvRNS_18TensorIteratorBaseERKT_EUlibE0_EEviT1_: ; @_ZN2at6native32elementwise_kernel_manual_unrollILi128ELi4EZNS0_15gpu_kernel_implINS0_13BinaryFunctorIttbNS0_12_GLOBAL__N_116CompareEqFunctorItEEEEEEvRNS_18TensorIteratorBaseERKT_EUlibE0_EEviT1_
; %bb.0:
	s_clause 0x1
	s_load_b32 s28, s[0:1], 0x8
	s_load_b32 s37, s[0:1], 0x0
	s_bfe_u32 s2, ttmp6, 0x4000c
	s_and_b32 s3, ttmp6, 15
	s_add_co_i32 s2, s2, 1
	s_getreg_b32 s4, hwreg(HW_REG_IB_STS2, 6, 4)
	s_mul_i32 s2, ttmp9, s2
	s_mov_b32 s30, 0
	s_add_co_i32 s3, s3, s2
	s_cmp_eq_u32 s4, 0
	s_mov_b32 s27, -1
	s_cselect_b32 s2, ttmp9, s3
	s_mov_b32 s8, 0
	v_lshl_or_b32 v0, s2, 9, v0
	s_add_nc_u64 s[2:3], s[0:1], 8
	s_wait_xcnt 0x0
	s_mov_b32 s0, exec_lo
	s_delay_alu instid0(VALU_DEP_1) | instskip(SKIP_2) | instid1(SALU_CYCLE_1)
	v_or_b32_e32 v1, 0x180, v0
	s_wait_kmcnt 0x0
	s_add_co_i32 s29, s28, -1
	s_cmp_gt_u32 s29, 1
	s_cselect_b32 s31, -1, 0
	v_cmpx_le_i32_e64 s37, v1
	s_xor_b32 s33, exec_lo, s0
	s_cbranch_execz .LBB332_1561
; %bb.1:
	s_clause 0x4
	s_load_b128 s[12:15], s[2:3], 0x4
	s_load_b256 s[4:11], s[2:3], 0x188
	s_load_b64 s[0:1], s[2:3], 0x14
	s_load_b128 s[16:19], s[2:3], 0xc4
	s_load_b64 s[22:23], s[2:3], 0xd4
	s_cmp_lg_u32 s28, 0
	s_mov_b32 s21, 0
	s_cselect_b32 s38, -1, 0
	s_min_u32 s36, s29, 15
	s_cmp_gt_u32 s28, 1
	s_mov_b32 s25, s21
	s_cselect_b32 s35, -1, 0
	s_mov_b32 s41, s21
	s_mov_b32 s40, s21
	;; [unrolled: 1-line block ×3, first 2 shown]
	s_mov_b32 s42, exec_lo
	s_wait_kmcnt 0x0
	s_mov_b32 s20, s13
	s_lshr_b32 s34, s11, 8
	s_lshr_b32 s13, s11, 16
	s_cmp_eq_u32 s10, 0
	s_mov_b32 s24, s0
	s_cselect_b32 s10, -1, 0
	v_cmpx_gt_i32_e64 s37, v0
	s_cbranch_execz .LBB332_385
; %bb.2:
	s_and_not1_b32 vcc_lo, exec_lo, s31
	s_cbranch_vccnz .LBB332_8
; %bb.3:
	s_and_not1_b32 vcc_lo, exec_lo, s38
	s_cbranch_vccnz .LBB332_9
; %bb.4:
	v_dual_mov_b32 v2, 0 :: v_dual_mov_b32 v1, v0
	v_dual_mov_b32 v4, 0 :: v_dual_mov_b32 v6, 0
	s_add_co_i32 s0, s36, 1
	s_mov_b64 s[26:27], 0xffffffffffffffe8
	s_and_b32 s0, s0, 30
	s_add_nc_u64 s[26:27], s[2:3], s[26:27]
.LBB332_5:                              ; =>This Inner Loop Header: Depth=1
	s_clause 0x1
	s_load_b128 s[44:47], s[26:27], 0x1c
	s_load_b64 s[40:41], s[26:27], 0x2c
	s_add_co_i32 s0, s0, -2
	s_delay_alu instid0(SALU_CYCLE_1) | instskip(SKIP_2) | instid1(VALU_DEP_1)
	s_cmp_lg_u32 s0, 0
	s_wait_kmcnt 0x0
	v_mul_hi_u32 v3, s45, v1
	v_add_nc_u32_e32 v3, v1, v3
	s_delay_alu instid0(VALU_DEP_1) | instskip(NEXT) | instid1(VALU_DEP_1)
	v_lshrrev_b32_e32 v3, s46, v3
	v_mul_hi_u32 v5, s40, v3
	v_mul_lo_u32 v7, v3, s44
	s_clause 0x1
	s_load_b128 s[48:51], s[26:27], 0xdc
	s_load_b64 s[44:45], s[26:27], 0xec
	s_wait_xcnt 0x0
	s_add_nc_u64 s[26:27], s[26:27], 24
	s_delay_alu instid0(VALU_DEP_1) | instskip(NEXT) | instid1(VALU_DEP_1)
	v_dual_add_nc_u32 v5, v3, v5 :: v_dual_sub_nc_u32 v7, v1, v7
	v_lshrrev_b32_e32 v1, s41, v5
	s_wait_kmcnt 0x0
	s_delay_alu instid0(VALU_DEP_2) | instskip(NEXT) | instid1(VALU_DEP_2)
	v_mad_u32 v2, v7, s48, v2
	v_mul_lo_u32 v5, v1, s47
	v_mad_u32 v6, v7, s50, v6
	v_mad_u32 v4, v7, s49, v4
	s_delay_alu instid0(VALU_DEP_3) | instskip(NEXT) | instid1(VALU_DEP_1)
	v_sub_nc_u32_e32 v3, v3, v5
	v_mad_u32 v2, v3, s51, v2
	s_delay_alu instid0(VALU_DEP_4) | instskip(NEXT) | instid1(VALU_DEP_4)
	v_mad_u32 v6, v3, s45, v6
	v_mad_u32 v4, v3, s44, v4
	s_cbranch_scc1 .LBB332_5
; %bb.6:
	s_bitcmp1_b32 s36, 0
	s_cselect_b32 s0, -1, 0
	s_delay_alu instid0(SALU_CYCLE_1)
	s_and_b32 vcc_lo, exec_lo, s0
	s_cbranch_vccnz .LBB332_10
; %bb.7:
	s_clause 0x1
	s_load_b96 s[44:46], s[26:27], 0x1c
	s_load_b96 s[48:50], s[26:27], 0xdc
	s_wait_kmcnt 0x0
	v_mul_hi_u32 v3, s45, v1
	s_delay_alu instid0(VALU_DEP_1) | instskip(NEXT) | instid1(VALU_DEP_1)
	v_add_nc_u32_e32 v3, v1, v3
	v_lshrrev_b32_e32 v3, s46, v3
	s_delay_alu instid0(VALU_DEP_1) | instskip(NEXT) | instid1(VALU_DEP_1)
	v_mul_lo_u32 v3, v3, s44
	v_sub_nc_u32_e32 v1, v1, v3
	s_delay_alu instid0(VALU_DEP_1)
	v_mad_u32 v2, v1, s48, v2
	v_mad_u32 v4, v1, s49, v4
	;; [unrolled: 1-line block ×3, first 2 shown]
	s_cbranch_execz .LBB332_11
	s_branch .LBB332_13
.LBB332_8:
                                        ; implicit-def: $vgpr6
                                        ; implicit-def: $vgpr4
                                        ; implicit-def: $vgpr2
	s_branch .LBB332_11
.LBB332_9:
	v_dual_mov_b32 v6, 0 :: v_dual_mov_b32 v4, 0
	v_mov_b32_e32 v2, 0
.LBB332_10:
	s_cbranch_execnz .LBB332_13
.LBB332_11:
	v_mov_b32_e32 v1, 0
	s_and_not1_b32 vcc_lo, exec_lo, s35
	s_delay_alu instid0(VALU_DEP_1) | instskip(NEXT) | instid1(VALU_DEP_1)
	v_mul_u64_e32 v[2:3], s[20:21], v[0:1]
	v_add_nc_u32_e32 v2, v0, v3
	s_delay_alu instid0(VALU_DEP_1) | instskip(NEXT) | instid1(VALU_DEP_1)
	v_lshrrev_b32_e32 v8, s14, v2
	v_mul_lo_u32 v2, v8, s12
	s_delay_alu instid0(VALU_DEP_1) | instskip(NEXT) | instid1(VALU_DEP_1)
	v_sub_nc_u32_e32 v3, v0, v2
	v_mul_lo_u32 v2, v3, s16
	v_mul_lo_u32 v6, v3, s18
	;; [unrolled: 1-line block ×3, first 2 shown]
	s_cbranch_vccnz .LBB332_13
; %bb.12:
	v_mov_b32_e32 v9, v1
	s_delay_alu instid0(VALU_DEP_1) | instskip(NEXT) | instid1(VALU_DEP_1)
	v_mul_u64_e32 v[10:11], s[24:25], v[8:9]
	v_add_nc_u32_e32 v1, v8, v11
	s_delay_alu instid0(VALU_DEP_1) | instskip(NEXT) | instid1(VALU_DEP_1)
	v_lshrrev_b32_e32 v1, s1, v1
	v_mul_lo_u32 v1, v1, s15
	s_delay_alu instid0(VALU_DEP_1) | instskip(NEXT) | instid1(VALU_DEP_1)
	v_sub_nc_u32_e32 v1, v8, v1
	v_mad_u32 v2, v1, s19, v2
	v_mad_u32 v4, v1, s22, v4
	;; [unrolled: 1-line block ×3, first 2 shown]
.LBB332_13:
	v_mov_b32_e32 v5, 0
	s_and_b32 s0, s34, 0xff
	s_delay_alu instid0(SALU_CYCLE_1) | instskip(NEXT) | instid1(VALU_DEP_1)
	s_cmp_lt_i32 s0, 11
	v_add_nc_u64_e32 v[8:9], s[6:7], v[4:5]
	s_cbranch_scc1 .LBB332_20
; %bb.14:
	s_and_b32 s27, 0xffff, s0
	s_delay_alu instid0(SALU_CYCLE_1)
	s_cmp_gt_i32 s27, 25
	s_cbranch_scc0 .LBB332_29
; %bb.15:
	s_cmp_gt_i32 s27, 28
	s_cbranch_scc0 .LBB332_39
; %bb.16:
	;; [unrolled: 3-line block ×4, first 2 shown]
	s_cmp_eq_u32 s27, 46
	s_mov_b32 s40, 0
	s_cbranch_scc0 .LBB332_48
; %bb.19:
	global_load_b32 v1, v[8:9], off
	s_mov_b32 s39, -1
	s_mov_b32 s26, 0
	s_wait_loadcnt 0x0
	v_lshlrev_b32_e32 v1, 16, v1
	s_delay_alu instid0(VALU_DEP_1)
	v_cvt_u32_f32_e32 v4, v1
	s_branch .LBB332_50
.LBB332_20:
	s_mov_b32 s26, 0
	s_mov_b32 s39, 0
                                        ; implicit-def: $vgpr4
	s_cbranch_execnz .LBB332_112
.LBB332_21:
	s_and_not1_b32 vcc_lo, exec_lo, s39
	s_cbranch_vccnz .LBB332_159
.LBB332_22:
	v_mov_b32_e32 v7, 0
	s_and_b32 s0, s13, 0xff
	s_delay_alu instid0(SALU_CYCLE_1) | instskip(NEXT) | instid1(VALU_DEP_1)
	s_cmp_lt_i32 s0, 11
	v_add_nc_u64_e32 v[6:7], s[8:9], v[6:7]
	s_cbranch_scc1 .LBB332_30
; %bb.23:
	s_and_b32 s39, 0xffff, s0
	s_delay_alu instid0(SALU_CYCLE_1)
	s_cmp_gt_i32 s39, 25
	s_cbranch_scc0 .LBB332_40
; %bb.24:
	s_cmp_gt_i32 s39, 28
	s_cbranch_scc0 .LBB332_43
; %bb.25:
	;; [unrolled: 3-line block ×4, first 2 shown]
	s_cmp_eq_u32 s39, 46
	s_mov_b32 s41, 0
	s_cbranch_scc0 .LBB332_160
; %bb.28:
	global_load_b32 v1, v[6:7], off
	s_mov_b32 s40, -1
	s_mov_b32 s27, 0
	s_wait_loadcnt 0x0
	v_lshlrev_b32_e32 v1, 16, v1
	s_delay_alu instid0(VALU_DEP_1)
	v_cvt_u32_f32_e32 v8, v1
	s_branch .LBB332_162
.LBB332_29:
	s_mov_b32 s26, 0
	s_mov_b32 s39, 0
                                        ; implicit-def: $vgpr4
	s_cbranch_execnz .LBB332_79
	s_branch .LBB332_111
.LBB332_30:
	s_mov_b32 s27, 0
	s_mov_b32 s40, 0
                                        ; implicit-def: $vgpr8
	s_cbranch_execnz .LBB332_334
.LBB332_31:
	s_and_not1_b32 vcc_lo, exec_lo, s40
	s_cbranch_vccnz .LBB332_382
.LBB332_32:
	v_mov_b32_e32 v3, 0
	s_wait_loadcnt 0x0
	s_delay_alu instid0(VALU_DEP_2) | instskip(SKIP_1) | instid1(VALU_DEP_2)
	v_cmp_ne_u16_e32 vcc_lo, v4, v8
	s_and_b32 s40, s11, 0xff
	v_add_nc_u64_e32 v[2:3], s[4:5], v[2:3]
	s_xor_b32 s39, s10, vcc_lo
	s_cmp_lt_i32 s40, 11
	s_cbranch_scc1 .LBB332_41
; %bb.33:
	s_and_b32 s41, 0xffff, s40
	s_delay_alu instid0(SALU_CYCLE_1)
	s_cmp_gt_i32 s41, 25
	s_cbranch_scc0 .LBB332_44
; %bb.34:
	s_cmp_gt_i32 s41, 28
	s_cbranch_scc0 .LBB332_47
; %bb.35:
	;; [unrolled: 3-line block ×4, first 2 shown]
	s_mov_b32 s44, 0
	s_mov_b32 s0, -1
	s_cmp_eq_u32 s41, 46
	s_mov_b32 s43, 0
	s_cbranch_scc0 .LBB332_166
; %bb.38:
	v_cndmask_b32_e64 v1, 0, 1.0, s39
	s_mov_b32 s43, -1
	s_mov_b32 s0, 0
	s_delay_alu instid0(VALU_DEP_1) | instskip(NEXT) | instid1(VALU_DEP_1)
	v_bfe_u32 v4, v1, 16, 1
	v_add3_u32 v1, v1, v4, 0x7fff
	s_delay_alu instid0(VALU_DEP_1)
	v_lshrrev_b32_e32 v1, 16, v1
	global_store_b32 v[2:3], v1, off
	s_branch .LBB332_166
.LBB332_39:
	s_mov_b32 s40, -1
	s_mov_b32 s26, 0
	s_mov_b32 s39, 0
                                        ; implicit-def: $vgpr4
	s_branch .LBB332_62
.LBB332_40:
	s_mov_b32 s41, -1
	s_mov_b32 s27, 0
	s_mov_b32 s40, 0
                                        ; implicit-def: $vgpr8
	s_branch .LBB332_300
.LBB332_41:
	s_mov_b32 s41, -1
	s_mov_b32 s0, 0
	s_mov_b32 s43, 0
	s_branch .LBB332_235
.LBB332_42:
	s_mov_b32 s40, -1
	s_mov_b32 s26, 0
	s_mov_b32 s39, 0
                                        ; implicit-def: $vgpr4
	s_branch .LBB332_57
.LBB332_43:
	s_mov_b32 s41, -1
	s_mov_b32 s27, 0
	s_mov_b32 s40, 0
                                        ; implicit-def: $vgpr8
	s_branch .LBB332_283
.LBB332_44:
	s_mov_b32 s44, -1
	s_mov_b32 s0, 0
	s_mov_b32 s43, 0
	s_branch .LBB332_193
.LBB332_45:
	s_mov_b32 s40, -1
	s_mov_b32 s26, 0
	s_branch .LBB332_49
.LBB332_46:
	s_mov_b32 s41, -1
	s_mov_b32 s27, 0
	s_mov_b32 s40, 0
                                        ; implicit-def: $vgpr8
	s_branch .LBB332_278
.LBB332_47:
	s_mov_b32 s44, -1
	s_mov_b32 s0, 0
	s_mov_b32 s43, 0
	s_branch .LBB332_176
.LBB332_48:
	s_mov_b32 s26, -1
.LBB332_49:
	s_mov_b32 s39, 0
                                        ; implicit-def: $vgpr4
.LBB332_50:
	s_and_b32 vcc_lo, exec_lo, s40
	s_cbranch_vccz .LBB332_56
; %bb.51:
	s_cmp_eq_u32 s27, 44
	s_cbranch_scc0 .LBB332_55
; %bb.52:
	global_load_u8 v1, v[8:9], off
	s_mov_b32 s26, 0
	s_mov_b32 s39, -1
	s_wait_loadcnt 0x0
	v_lshlrev_b32_e32 v3, 23, v1
	v_cmp_ne_u32_e32 vcc_lo, 0, v1
	s_delay_alu instid0(VALU_DEP_2) | instskip(NEXT) | instid1(VALU_DEP_1)
	v_cvt_u32_f32_e32 v3, v3
	v_cndmask_b32_e32 v4, 0, v3, vcc_lo
	s_branch .LBB332_56
.LBB332_53:
	s_mov_b32 s41, -1
	s_mov_b32 s27, 0
	s_branch .LBB332_161
.LBB332_54:
	s_mov_b32 s44, -1
	s_mov_b32 s0, 0
	s_mov_b32 s43, 0
	s_branch .LBB332_172
.LBB332_55:
	s_mov_b32 s26, -1
                                        ; implicit-def: $vgpr4
.LBB332_56:
	s_mov_b32 s40, 0
.LBB332_57:
	s_delay_alu instid0(SALU_CYCLE_1)
	s_and_b32 vcc_lo, exec_lo, s40
	s_cbranch_vccz .LBB332_61
; %bb.58:
	s_cmp_eq_u32 s27, 29
	s_cbranch_scc0 .LBB332_60
; %bb.59:
	global_load_b64 v[4:5], v[8:9], off
	s_mov_b32 s39, -1
	s_mov_b32 s26, 0
	s_branch .LBB332_61
.LBB332_60:
	s_mov_b32 s26, -1
                                        ; implicit-def: $vgpr4
.LBB332_61:
	s_mov_b32 s40, 0
.LBB332_62:
	s_delay_alu instid0(SALU_CYCLE_1)
	s_and_b32 vcc_lo, exec_lo, s40
	s_cbranch_vccz .LBB332_78
; %bb.63:
	s_cmp_lt_i32 s27, 27
	s_cbranch_scc1 .LBB332_66
; %bb.64:
	s_cmp_gt_i32 s27, 27
	s_cbranch_scc0 .LBB332_67
; %bb.65:
	s_wait_loadcnt 0x0
	global_load_b32 v4, v[8:9], off
	s_mov_b32 s39, 0
	s_branch .LBB332_68
.LBB332_66:
	s_mov_b32 s39, -1
                                        ; implicit-def: $vgpr4
	s_branch .LBB332_71
.LBB332_67:
	s_mov_b32 s39, -1
                                        ; implicit-def: $vgpr4
.LBB332_68:
	s_delay_alu instid0(SALU_CYCLE_1)
	s_and_not1_b32 vcc_lo, exec_lo, s39
	s_cbranch_vccnz .LBB332_70
; %bb.69:
	s_wait_loadcnt 0x0
	global_load_u16 v4, v[8:9], off
.LBB332_70:
	s_mov_b32 s39, 0
.LBB332_71:
	s_delay_alu instid0(SALU_CYCLE_1)
	s_and_not1_b32 vcc_lo, exec_lo, s39
	s_cbranch_vccnz .LBB332_77
; %bb.72:
	global_load_u8 v1, v[8:9], off
	s_mov_b32 s40, 0
	s_mov_b32 s39, exec_lo
	s_wait_loadcnt 0x0
	v_cmpx_lt_i16_e32 0x7f, v1
	s_xor_b32 s39, exec_lo, s39
	s_cbranch_execz .LBB332_88
; %bb.73:
	v_cmp_ne_u16_e32 vcc_lo, 0x80, v1
	s_and_b32 s40, vcc_lo, exec_lo
	s_and_not1_saveexec_b32 s39, s39
	s_cbranch_execnz .LBB332_89
.LBB332_74:
	s_or_b32 exec_lo, exec_lo, s39
	v_mov_b32_e32 v4, 0
	s_and_saveexec_b32 s39, s40
	s_cbranch_execz .LBB332_76
.LBB332_75:
	v_and_b32_e32 v3, 0xffff, v1
	s_delay_alu instid0(VALU_DEP_1) | instskip(SKIP_1) | instid1(VALU_DEP_2)
	v_and_b32_e32 v4, 7, v3
	v_bfe_u32 v10, v3, 3, 4
	v_clz_i32_u32_e32 v5, v4
	s_delay_alu instid0(VALU_DEP_2) | instskip(NEXT) | instid1(VALU_DEP_2)
	v_cmp_eq_u32_e32 vcc_lo, 0, v10
	v_min_u32_e32 v5, 32, v5
	s_delay_alu instid0(VALU_DEP_1) | instskip(NEXT) | instid1(VALU_DEP_1)
	v_subrev_nc_u32_e32 v7, 28, v5
	v_dual_lshlrev_b32 v3, v7, v3 :: v_dual_sub_nc_u32 v5, 29, v5
	s_delay_alu instid0(VALU_DEP_1) | instskip(NEXT) | instid1(VALU_DEP_1)
	v_dual_lshlrev_b32 v1, 24, v1 :: v_dual_bitop2_b32 v3, 7, v3 bitop3:0x40
	v_dual_cndmask_b32 v3, v4, v3, vcc_lo :: v_dual_cndmask_b32 v5, v10, v5, vcc_lo
	s_delay_alu instid0(VALU_DEP_2) | instskip(NEXT) | instid1(VALU_DEP_2)
	v_and_b32_e32 v1, 0x80000000, v1
	v_lshlrev_b32_e32 v3, 20, v3
	s_delay_alu instid0(VALU_DEP_3) | instskip(NEXT) | instid1(VALU_DEP_1)
	v_lshl_add_u32 v4, v5, 23, 0x3b800000
	v_or3_b32 v1, v1, v4, v3
	s_delay_alu instid0(VALU_DEP_1)
	v_cvt_u32_f32_e32 v4, v1
.LBB332_76:
	s_or_b32 exec_lo, exec_lo, s39
.LBB332_77:
	s_mov_b32 s39, -1
.LBB332_78:
	s_branch .LBB332_111
.LBB332_79:
	s_cmp_gt_i32 s27, 22
	s_cbranch_scc0 .LBB332_87
; %bb.80:
	s_cmp_lt_i32 s27, 24
	s_cbranch_scc1 .LBB332_90
; %bb.81:
	s_cmp_gt_i32 s27, 24
	s_cbranch_scc0 .LBB332_91
; %bb.82:
	global_load_u8 v1, v[8:9], off
	s_mov_b32 s40, 0
	s_mov_b32 s39, exec_lo
	s_wait_loadcnt 0x0
	v_cmpx_lt_i16_e32 0x7f, v1
	s_xor_b32 s39, exec_lo, s39
	s_cbranch_execz .LBB332_103
; %bb.83:
	v_cmp_ne_u16_e32 vcc_lo, 0x80, v1
	s_and_b32 s40, vcc_lo, exec_lo
	s_and_not1_saveexec_b32 s39, s39
	s_cbranch_execnz .LBB332_104
.LBB332_84:
	s_or_b32 exec_lo, exec_lo, s39
	v_mov_b32_e32 v4, 0
	s_and_saveexec_b32 s39, s40
	s_cbranch_execz .LBB332_86
.LBB332_85:
	v_and_b32_e32 v3, 0xffff, v1
	s_delay_alu instid0(VALU_DEP_1) | instskip(SKIP_1) | instid1(VALU_DEP_2)
	v_and_b32_e32 v4, 3, v3
	v_bfe_u32 v10, v3, 2, 5
	v_clz_i32_u32_e32 v5, v4
	s_delay_alu instid0(VALU_DEP_2) | instskip(NEXT) | instid1(VALU_DEP_2)
	v_cmp_eq_u32_e32 vcc_lo, 0, v10
	v_min_u32_e32 v5, 32, v5
	s_delay_alu instid0(VALU_DEP_1) | instskip(NEXT) | instid1(VALU_DEP_1)
	v_subrev_nc_u32_e32 v7, 29, v5
	v_dual_lshlrev_b32 v3, v7, v3 :: v_dual_sub_nc_u32 v5, 30, v5
	s_delay_alu instid0(VALU_DEP_1) | instskip(NEXT) | instid1(VALU_DEP_1)
	v_dual_lshlrev_b32 v1, 24, v1 :: v_dual_bitop2_b32 v3, 3, v3 bitop3:0x40
	v_dual_cndmask_b32 v3, v4, v3, vcc_lo :: v_dual_cndmask_b32 v5, v10, v5, vcc_lo
	s_delay_alu instid0(VALU_DEP_2) | instskip(NEXT) | instid1(VALU_DEP_2)
	v_and_b32_e32 v1, 0x80000000, v1
	v_lshlrev_b32_e32 v3, 21, v3
	s_delay_alu instid0(VALU_DEP_3) | instskip(NEXT) | instid1(VALU_DEP_1)
	v_lshl_add_u32 v4, v5, 23, 0x37800000
	v_or3_b32 v1, v1, v4, v3
	s_delay_alu instid0(VALU_DEP_1)
	v_cvt_u32_f32_e32 v4, v1
.LBB332_86:
	s_or_b32 exec_lo, exec_lo, s39
	s_mov_b32 s39, 0
	s_branch .LBB332_92
.LBB332_87:
	s_mov_b32 s40, -1
                                        ; implicit-def: $vgpr4
	s_branch .LBB332_98
.LBB332_88:
	s_and_not1_saveexec_b32 s39, s39
	s_cbranch_execz .LBB332_74
.LBB332_89:
	v_cmp_ne_u16_e32 vcc_lo, 0, v1
	s_and_not1_b32 s40, s40, exec_lo
	s_and_b32 s41, vcc_lo, exec_lo
	s_delay_alu instid0(SALU_CYCLE_1)
	s_or_b32 s40, s40, s41
	s_or_b32 exec_lo, exec_lo, s39
	v_mov_b32_e32 v4, 0
	s_and_saveexec_b32 s39, s40
	s_cbranch_execnz .LBB332_75
	s_branch .LBB332_76
.LBB332_90:
	s_mov_b32 s39, -1
                                        ; implicit-def: $vgpr4
	s_branch .LBB332_95
.LBB332_91:
	s_mov_b32 s39, -1
                                        ; implicit-def: $vgpr4
.LBB332_92:
	s_delay_alu instid0(SALU_CYCLE_1)
	s_and_b32 vcc_lo, exec_lo, s39
	s_cbranch_vccz .LBB332_94
; %bb.93:
	global_load_u8 v1, v[8:9], off
	s_wait_loadcnt 0x0
	v_lshlrev_b32_e32 v1, 24, v1
	s_delay_alu instid0(VALU_DEP_1) | instskip(NEXT) | instid1(VALU_DEP_1)
	v_and_b32_e32 v3, 0x7f000000, v1
	v_clz_i32_u32_e32 v4, v3
	v_add_nc_u32_e32 v7, 0x1000000, v3
	v_cmp_ne_u32_e32 vcc_lo, 0, v3
	s_delay_alu instid0(VALU_DEP_3) | instskip(NEXT) | instid1(VALU_DEP_1)
	v_min_u32_e32 v4, 32, v4
	v_sub_nc_u32_e64 v4, v4, 4 clamp
	s_delay_alu instid0(VALU_DEP_1) | instskip(NEXT) | instid1(VALU_DEP_1)
	v_dual_lshlrev_b32 v5, v4, v3 :: v_dual_lshlrev_b32 v4, 23, v4
	v_lshrrev_b32_e32 v5, 4, v5
	s_delay_alu instid0(VALU_DEP_1) | instskip(NEXT) | instid1(VALU_DEP_1)
	v_dual_sub_nc_u32 v4, v5, v4 :: v_dual_ashrrev_i32 v5, 8, v7
	v_add_nc_u32_e32 v4, 0x3c000000, v4
	s_delay_alu instid0(VALU_DEP_1) | instskip(NEXT) | instid1(VALU_DEP_1)
	v_and_or_b32 v4, 0x7f800000, v5, v4
	v_cndmask_b32_e32 v3, 0, v4, vcc_lo
	s_delay_alu instid0(VALU_DEP_1) | instskip(NEXT) | instid1(VALU_DEP_1)
	v_and_or_b32 v1, 0x80000000, v1, v3
	v_cvt_u32_f32_e32 v4, v1
.LBB332_94:
	s_mov_b32 s39, 0
.LBB332_95:
	s_delay_alu instid0(SALU_CYCLE_1)
	s_and_not1_b32 vcc_lo, exec_lo, s39
	s_cbranch_vccnz .LBB332_97
; %bb.96:
	global_load_u8 v1, v[8:9], off
	s_wait_loadcnt 0x0
	v_lshlrev_b32_e32 v3, 25, v1
	v_lshlrev_b16 v1, 8, v1
	s_delay_alu instid0(VALU_DEP_1) | instskip(NEXT) | instid1(VALU_DEP_3)
	v_and_or_b32 v5, 0x7f00, v1, 0.5
	v_lshrrev_b32_e32 v4, 4, v3
	v_bfe_i32 v1, v1, 0, 16
	s_delay_alu instid0(VALU_DEP_3) | instskip(NEXT) | instid1(VALU_DEP_3)
	v_add_f32_e32 v5, -0.5, v5
	v_or_b32_e32 v4, 0x70000000, v4
	s_delay_alu instid0(VALU_DEP_1) | instskip(SKIP_1) | instid1(VALU_DEP_2)
	v_mul_f32_e32 v4, 0x7800000, v4
	v_cmp_gt_u32_e32 vcc_lo, 0x8000000, v3
	v_cndmask_b32_e32 v3, v4, v5, vcc_lo
	s_delay_alu instid0(VALU_DEP_1) | instskip(NEXT) | instid1(VALU_DEP_1)
	v_and_or_b32 v1, 0x80000000, v1, v3
	v_cvt_u32_f32_e32 v4, v1
.LBB332_97:
	s_mov_b32 s40, 0
	s_mov_b32 s39, -1
.LBB332_98:
	s_and_not1_b32 vcc_lo, exec_lo, s40
	s_cbranch_vccnz .LBB332_111
; %bb.99:
	s_cmp_gt_i32 s27, 14
	s_cbranch_scc0 .LBB332_102
; %bb.100:
	s_cmp_eq_u32 s27, 15
	s_cbranch_scc0 .LBB332_105
; %bb.101:
	global_load_u16 v1, v[8:9], off
	s_mov_b32 s39, -1
	s_mov_b32 s26, 0
	s_wait_loadcnt 0x0
	v_lshlrev_b32_e32 v1, 16, v1
	s_delay_alu instid0(VALU_DEP_1)
	v_cvt_u32_f32_e32 v4, v1
	s_branch .LBB332_106
.LBB332_102:
	s_mov_b32 s40, -1
                                        ; implicit-def: $vgpr4
	s_branch .LBB332_107
.LBB332_103:
	s_and_not1_saveexec_b32 s39, s39
	s_cbranch_execz .LBB332_84
.LBB332_104:
	v_cmp_ne_u16_e32 vcc_lo, 0, v1
	s_and_not1_b32 s40, s40, exec_lo
	s_and_b32 s41, vcc_lo, exec_lo
	s_delay_alu instid0(SALU_CYCLE_1)
	s_or_b32 s40, s40, s41
	s_or_b32 exec_lo, exec_lo, s39
	v_mov_b32_e32 v4, 0
	s_and_saveexec_b32 s39, s40
	s_cbranch_execnz .LBB332_85
	s_branch .LBB332_86
.LBB332_105:
	s_mov_b32 s26, -1
                                        ; implicit-def: $vgpr4
.LBB332_106:
	s_mov_b32 s40, 0
.LBB332_107:
	s_delay_alu instid0(SALU_CYCLE_1)
	s_and_b32 vcc_lo, exec_lo, s40
	s_cbranch_vccz .LBB332_111
; %bb.108:
	s_cmp_eq_u32 s27, 11
	s_cbranch_scc0 .LBB332_110
; %bb.109:
	global_load_u8 v1, v[8:9], off
	s_mov_b32 s26, 0
	s_mov_b32 s39, -1
	s_wait_loadcnt 0x0
	v_cmp_ne_u16_e32 vcc_lo, 0, v1
	v_cndmask_b32_e64 v4, 0, 1, vcc_lo
	s_branch .LBB332_111
.LBB332_110:
	s_mov_b32 s26, -1
                                        ; implicit-def: $vgpr4
.LBB332_111:
	s_branch .LBB332_21
.LBB332_112:
	s_and_b32 s0, 0xffff, s0
	s_delay_alu instid0(SALU_CYCLE_1)
	s_cmp_lt_i32 s0, 5
	s_cbranch_scc1 .LBB332_117
; %bb.113:
	s_cmp_lt_i32 s0, 8
	s_cbranch_scc1 .LBB332_118
; %bb.114:
	;; [unrolled: 3-line block ×3, first 2 shown]
	s_cmp_gt_i32 s0, 9
	s_cbranch_scc0 .LBB332_120
; %bb.116:
	s_wait_loadcnt 0x0
	global_load_b64 v[4:5], v[8:9], off
	s_mov_b32 s27, 0
	s_wait_loadcnt 0x0
	v_cvt_u32_f64_e32 v4, v[4:5]
	s_branch .LBB332_121
.LBB332_117:
                                        ; implicit-def: $vgpr4
	s_branch .LBB332_139
.LBB332_118:
	s_mov_b32 s27, -1
                                        ; implicit-def: $vgpr4
	s_branch .LBB332_127
.LBB332_119:
	s_mov_b32 s27, -1
                                        ; implicit-def: $vgpr4
	s_branch .LBB332_124
.LBB332_120:
	s_mov_b32 s27, -1
                                        ; implicit-def: $vgpr4
.LBB332_121:
	s_delay_alu instid0(SALU_CYCLE_1)
	s_and_not1_b32 vcc_lo, exec_lo, s27
	s_cbranch_vccnz .LBB332_123
; %bb.122:
	global_load_b32 v1, v[8:9], off
	s_wait_loadcnt 0x0
	v_cvt_u32_f32_e32 v4, v1
.LBB332_123:
	s_mov_b32 s27, 0
.LBB332_124:
	s_delay_alu instid0(SALU_CYCLE_1)
	s_and_not1_b32 vcc_lo, exec_lo, s27
	s_cbranch_vccnz .LBB332_126
; %bb.125:
	global_load_b32 v1, v[8:9], off
	s_wait_loadcnt 0x0
	v_cvt_u16_f16_e32 v4, v1
.LBB332_126:
	s_mov_b32 s27, 0
.LBB332_127:
	s_delay_alu instid0(SALU_CYCLE_1)
	s_and_not1_b32 vcc_lo, exec_lo, s27
	s_cbranch_vccnz .LBB332_138
; %bb.128:
	s_cmp_lt_i32 s0, 6
	s_cbranch_scc1 .LBB332_131
; %bb.129:
	s_cmp_gt_i32 s0, 6
	s_cbranch_scc0 .LBB332_132
; %bb.130:
	s_wait_loadcnt 0x0
	global_load_b64 v[4:5], v[8:9], off
	s_mov_b32 s27, 0
	s_wait_loadcnt 0x0
	v_cvt_u32_f64_e32 v4, v[4:5]
	s_branch .LBB332_133
.LBB332_131:
	s_mov_b32 s27, -1
                                        ; implicit-def: $vgpr4
	s_branch .LBB332_136
.LBB332_132:
	s_mov_b32 s27, -1
                                        ; implicit-def: $vgpr4
.LBB332_133:
	s_delay_alu instid0(SALU_CYCLE_1)
	s_and_not1_b32 vcc_lo, exec_lo, s27
	s_cbranch_vccnz .LBB332_135
; %bb.134:
	global_load_b32 v1, v[8:9], off
	s_wait_loadcnt 0x0
	v_cvt_u32_f32_e32 v4, v1
.LBB332_135:
	s_mov_b32 s27, 0
.LBB332_136:
	s_delay_alu instid0(SALU_CYCLE_1)
	s_and_not1_b32 vcc_lo, exec_lo, s27
	s_cbranch_vccnz .LBB332_138
; %bb.137:
	global_load_u16 v1, v[8:9], off
	s_wait_loadcnt 0x0
	v_cvt_u16_f16_e32 v4, v1
.LBB332_138:
	s_cbranch_execnz .LBB332_158
.LBB332_139:
	s_cmp_lt_i32 s0, 2
	s_cbranch_scc1 .LBB332_143
; %bb.140:
	s_cmp_lt_i32 s0, 3
	s_cbranch_scc1 .LBB332_144
; %bb.141:
	s_cmp_gt_i32 s0, 3
	s_cbranch_scc0 .LBB332_145
; %bb.142:
	s_wait_loadcnt 0x0
	global_load_b64 v[4:5], v[8:9], off
	s_mov_b32 s27, 0
	s_branch .LBB332_146
.LBB332_143:
	s_mov_b32 s27, -1
                                        ; implicit-def: $vgpr4
	s_branch .LBB332_152
.LBB332_144:
	s_mov_b32 s27, -1
                                        ; implicit-def: $vgpr4
	s_branch .LBB332_149
.LBB332_145:
	s_mov_b32 s27, -1
                                        ; implicit-def: $vgpr4
.LBB332_146:
	s_delay_alu instid0(SALU_CYCLE_1)
	s_and_not1_b32 vcc_lo, exec_lo, s27
	s_cbranch_vccnz .LBB332_148
; %bb.147:
	s_wait_loadcnt 0x0
	global_load_b32 v4, v[8:9], off
.LBB332_148:
	s_mov_b32 s27, 0
.LBB332_149:
	s_delay_alu instid0(SALU_CYCLE_1)
	s_and_not1_b32 vcc_lo, exec_lo, s27
	s_cbranch_vccnz .LBB332_151
; %bb.150:
	s_wait_loadcnt 0x0
	global_load_u16 v4, v[8:9], off
.LBB332_151:
	s_mov_b32 s27, 0
.LBB332_152:
	s_delay_alu instid0(SALU_CYCLE_1)
	s_and_not1_b32 vcc_lo, exec_lo, s27
	s_cbranch_vccnz .LBB332_158
; %bb.153:
	s_cmp_gt_i32 s0, 0
	s_mov_b32 s0, 0
	s_cbranch_scc0 .LBB332_155
; %bb.154:
	s_wait_loadcnt 0x0
	global_load_i8 v4, v[8:9], off
	s_branch .LBB332_156
.LBB332_155:
	s_mov_b32 s0, -1
                                        ; implicit-def: $vgpr4
.LBB332_156:
	s_delay_alu instid0(SALU_CYCLE_1)
	s_and_not1_b32 vcc_lo, exec_lo, s0
	s_cbranch_vccnz .LBB332_158
; %bb.157:
	s_wait_loadcnt 0x0
	global_load_u8 v4, v[8:9], off
.LBB332_158:
	s_branch .LBB332_22
.LBB332_159:
	s_mov_b32 s0, 0
	s_mov_b32 s27, 0
	s_branch .LBB332_383
.LBB332_160:
	s_mov_b32 s27, -1
.LBB332_161:
	s_mov_b32 s40, 0
                                        ; implicit-def: $vgpr8
.LBB332_162:
	s_and_b32 vcc_lo, exec_lo, s41
	s_cbranch_vccz .LBB332_277
; %bb.163:
	s_cmp_eq_u32 s39, 44
	s_cbranch_scc0 .LBB332_276
; %bb.164:
	global_load_u8 v1, v[6:7], off
	s_mov_b32 s27, 0
	s_mov_b32 s40, -1
	s_wait_loadcnt 0x0
	v_lshlrev_b32_e32 v3, 23, v1
	v_cmp_ne_u32_e32 vcc_lo, 0, v1
	s_delay_alu instid0(VALU_DEP_2) | instskip(NEXT) | instid1(VALU_DEP_1)
	v_cvt_u32_f32_e32 v3, v3
	v_cndmask_b32_e32 v8, 0, v3, vcc_lo
	s_branch .LBB332_277
.LBB332_165:
	s_mov_b32 s44, -1
	s_mov_b32 s0, 0
	s_mov_b32 s43, 0
.LBB332_166:
	s_and_b32 vcc_lo, exec_lo, s44
	s_cbranch_vccz .LBB332_171
; %bb.167:
	s_cmp_eq_u32 s41, 44
	s_mov_b32 s0, -1
	s_cbranch_scc0 .LBB332_171
; %bb.168:
	v_cndmask_b32_e64 v5, 0, 1.0, s39
	s_mov_b32 s43, exec_lo
	s_wait_xcnt 0x0
	s_delay_alu instid0(VALU_DEP_1) | instskip(NEXT) | instid1(VALU_DEP_1)
	v_dual_mov_b32 v4, 0xff :: v_dual_lshrrev_b32 v1, 23, v5
	v_cmpx_ne_u32_e32 0xff, v1
; %bb.169:
	v_and_b32_e32 v4, 0x400000, v5
	v_and_or_b32 v5, 0x3fffff, v5, v1
	s_delay_alu instid0(VALU_DEP_2) | instskip(NEXT) | instid1(VALU_DEP_2)
	v_cmp_ne_u32_e32 vcc_lo, 0, v4
	v_cmp_ne_u32_e64 s0, 0, v5
	s_and_b32 s0, vcc_lo, s0
	s_delay_alu instid0(SALU_CYCLE_1) | instskip(NEXT) | instid1(VALU_DEP_1)
	v_cndmask_b32_e64 v4, 0, 1, s0
	v_add_nc_u32_e32 v4, v1, v4
; %bb.170:
	s_or_b32 exec_lo, exec_lo, s43
	s_mov_b32 s43, -1
	s_mov_b32 s0, 0
	global_store_b8 v[2:3], v4, off
.LBB332_171:
	s_mov_b32 s44, 0
.LBB332_172:
	s_delay_alu instid0(SALU_CYCLE_1)
	s_and_b32 vcc_lo, exec_lo, s44
	s_cbranch_vccz .LBB332_175
; %bb.173:
	s_cmp_eq_u32 s41, 29
	s_mov_b32 s0, -1
	s_cbranch_scc0 .LBB332_175
; %bb.174:
	s_mov_b32 s0, 0
	s_wait_xcnt 0x0
	v_cndmask_b32_e64 v4, 0, 1, s39
	v_mov_b32_e32 v5, s0
	s_mov_b32 s43, -1
	s_mov_b32 s44, 0
	global_store_b64 v[2:3], v[4:5], off
	s_branch .LBB332_176
.LBB332_175:
	s_mov_b32 s44, 0
.LBB332_176:
	s_delay_alu instid0(SALU_CYCLE_1)
	s_and_b32 vcc_lo, exec_lo, s44
	s_cbranch_vccz .LBB332_192
; %bb.177:
	s_cmp_lt_i32 s41, 27
	s_mov_b32 s43, -1
	s_cbranch_scc1 .LBB332_183
; %bb.178:
	s_cmp_gt_i32 s41, 27
	s_cbranch_scc0 .LBB332_180
; %bb.179:
	s_wait_xcnt 0x0
	v_cndmask_b32_e64 v1, 0, 1, s39
	s_mov_b32 s43, 0
	global_store_b32 v[2:3], v1, off
.LBB332_180:
	s_and_not1_b32 vcc_lo, exec_lo, s43
	s_cbranch_vccnz .LBB332_182
; %bb.181:
	s_wait_xcnt 0x0
	v_cndmask_b32_e64 v1, 0, 1, s39
	global_store_b16 v[2:3], v1, off
.LBB332_182:
	s_mov_b32 s43, 0
.LBB332_183:
	s_delay_alu instid0(SALU_CYCLE_1)
	s_and_not1_b32 vcc_lo, exec_lo, s43
	s_cbranch_vccnz .LBB332_191
; %bb.184:
	s_wait_xcnt 0x0
	v_cndmask_b32_e64 v4, 0, 1.0, s39
	v_mov_b32_e32 v5, 0x80
	s_mov_b32 s43, exec_lo
	s_delay_alu instid0(VALU_DEP_2)
	v_cmpx_gt_u32_e32 0x43800000, v4
	s_cbranch_execz .LBB332_190
; %bb.185:
	s_mov_b32 s44, 0
	s_mov_b32 s45, exec_lo
                                        ; implicit-def: $vgpr1
	v_cmpx_lt_u32_e32 0x3bffffff, v4
	s_xor_b32 s45, exec_lo, s45
	s_cbranch_execz .LBB332_425
; %bb.186:
	v_bfe_u32 v1, v4, 20, 1
	s_mov_b32 s44, exec_lo
	s_delay_alu instid0(VALU_DEP_1) | instskip(NEXT) | instid1(VALU_DEP_1)
	v_add3_u32 v1, v4, v1, 0x487ffff
                                        ; implicit-def: $vgpr4
	v_lshrrev_b32_e32 v1, 20, v1
	s_and_not1_saveexec_b32 s45, s45
	s_cbranch_execnz .LBB332_426
.LBB332_187:
	s_or_b32 exec_lo, exec_lo, s45
	v_mov_b32_e32 v5, 0
	s_and_saveexec_b32 s45, s44
.LBB332_188:
	v_mov_b32_e32 v5, v1
.LBB332_189:
	s_or_b32 exec_lo, exec_lo, s45
.LBB332_190:
	s_delay_alu instid0(SALU_CYCLE_1)
	s_or_b32 exec_lo, exec_lo, s43
	global_store_b8 v[2:3], v5, off
.LBB332_191:
	s_mov_b32 s43, -1
.LBB332_192:
	s_mov_b32 s44, 0
.LBB332_193:
	s_delay_alu instid0(SALU_CYCLE_1)
	s_and_b32 vcc_lo, exec_lo, s44
	s_cbranch_vccz .LBB332_234
; %bb.194:
	s_cmp_gt_i32 s41, 22
	s_mov_b32 s44, -1
	s_cbranch_scc0 .LBB332_226
; %bb.195:
	s_cmp_lt_i32 s41, 24
	s_mov_b32 s43, -1
	s_cbranch_scc1 .LBB332_215
; %bb.196:
	s_cmp_gt_i32 s41, 24
	s_cbranch_scc0 .LBB332_204
; %bb.197:
	s_wait_xcnt 0x0
	v_cndmask_b32_e64 v4, 0, 1.0, s39
	v_mov_b32_e32 v5, 0x80
	s_mov_b32 s43, exec_lo
	s_delay_alu instid0(VALU_DEP_2)
	v_cmpx_gt_u32_e32 0x47800000, v4
	s_cbranch_execz .LBB332_203
; %bb.198:
	s_mov_b32 s44, 0
	s_mov_b32 s45, exec_lo
                                        ; implicit-def: $vgpr1
	v_cmpx_lt_u32_e32 0x37ffffff, v4
	s_xor_b32 s45, exec_lo, s45
	s_cbranch_execz .LBB332_540
; %bb.199:
	v_bfe_u32 v1, v4, 21, 1
	s_mov_b32 s44, exec_lo
	s_delay_alu instid0(VALU_DEP_1) | instskip(NEXT) | instid1(VALU_DEP_1)
	v_add3_u32 v1, v4, v1, 0x88fffff
                                        ; implicit-def: $vgpr4
	v_lshrrev_b32_e32 v1, 21, v1
	s_and_not1_saveexec_b32 s45, s45
	s_cbranch_execnz .LBB332_541
.LBB332_200:
	s_or_b32 exec_lo, exec_lo, s45
	v_mov_b32_e32 v5, 0
	s_and_saveexec_b32 s45, s44
.LBB332_201:
	v_mov_b32_e32 v5, v1
.LBB332_202:
	s_or_b32 exec_lo, exec_lo, s45
.LBB332_203:
	s_delay_alu instid0(SALU_CYCLE_1)
	s_or_b32 exec_lo, exec_lo, s43
	s_mov_b32 s43, 0
	global_store_b8 v[2:3], v5, off
.LBB332_204:
	s_and_b32 vcc_lo, exec_lo, s43
	s_cbranch_vccz .LBB332_214
; %bb.205:
	s_wait_xcnt 0x0
	v_cndmask_b32_e64 v4, 0, 1.0, s39
	s_mov_b32 s43, exec_lo
                                        ; implicit-def: $vgpr1
	s_delay_alu instid0(VALU_DEP_1)
	v_cmpx_gt_u32_e32 0x43f00000, v4
	s_xor_b32 s43, exec_lo, s43
	s_cbranch_execz .LBB332_211
; %bb.206:
	s_mov_b32 s44, exec_lo
                                        ; implicit-def: $vgpr1
	v_cmpx_lt_u32_e32 0x3c7fffff, v4
	s_xor_b32 s44, exec_lo, s44
; %bb.207:
	v_bfe_u32 v1, v4, 20, 1
	s_delay_alu instid0(VALU_DEP_1) | instskip(NEXT) | instid1(VALU_DEP_1)
	v_add3_u32 v1, v4, v1, 0x407ffff
	v_and_b32_e32 v4, 0xff00000, v1
	v_lshrrev_b32_e32 v1, 20, v1
	s_delay_alu instid0(VALU_DEP_2) | instskip(NEXT) | instid1(VALU_DEP_2)
	v_cmp_ne_u32_e32 vcc_lo, 0x7f00000, v4
                                        ; implicit-def: $vgpr4
	v_cndmask_b32_e32 v1, 0x7e, v1, vcc_lo
; %bb.208:
	s_and_not1_saveexec_b32 s44, s44
; %bb.209:
	v_add_f32_e32 v1, 0x46800000, v4
; %bb.210:
	s_or_b32 exec_lo, exec_lo, s44
                                        ; implicit-def: $vgpr4
.LBB332_211:
	s_and_not1_saveexec_b32 s43, s43
; %bb.212:
	v_mov_b32_e32 v1, 0x7f
	v_cmp_lt_u32_e32 vcc_lo, 0x7f800000, v4
	s_delay_alu instid0(VALU_DEP_2)
	v_cndmask_b32_e32 v1, 0x7e, v1, vcc_lo
; %bb.213:
	s_or_b32 exec_lo, exec_lo, s43
	global_store_b8 v[2:3], v1, off
.LBB332_214:
	s_mov_b32 s43, 0
.LBB332_215:
	s_delay_alu instid0(SALU_CYCLE_1)
	s_and_not1_b32 vcc_lo, exec_lo, s43
	s_cbranch_vccnz .LBB332_225
; %bb.216:
	s_wait_xcnt 0x0
	v_cndmask_b32_e64 v4, 0, 1.0, s39
	s_mov_b32 s43, exec_lo
                                        ; implicit-def: $vgpr1
	s_delay_alu instid0(VALU_DEP_1)
	v_cmpx_gt_u32_e32 0x47800000, v4
	s_xor_b32 s43, exec_lo, s43
	s_cbranch_execz .LBB332_222
; %bb.217:
	s_mov_b32 s44, exec_lo
                                        ; implicit-def: $vgpr1
	v_cmpx_lt_u32_e32 0x387fffff, v4
	s_xor_b32 s44, exec_lo, s44
; %bb.218:
	v_bfe_u32 v1, v4, 21, 1
	s_delay_alu instid0(VALU_DEP_1) | instskip(NEXT) | instid1(VALU_DEP_1)
	v_add3_u32 v1, v4, v1, 0x80fffff
                                        ; implicit-def: $vgpr4
	v_lshrrev_b32_e32 v1, 21, v1
; %bb.219:
	s_and_not1_saveexec_b32 s44, s44
; %bb.220:
	v_add_f32_e32 v1, 0x43000000, v4
; %bb.221:
	s_or_b32 exec_lo, exec_lo, s44
                                        ; implicit-def: $vgpr4
.LBB332_222:
	s_and_not1_saveexec_b32 s43, s43
; %bb.223:
	v_mov_b32_e32 v1, 0x7f
	v_cmp_lt_u32_e32 vcc_lo, 0x7f800000, v4
	s_delay_alu instid0(VALU_DEP_2)
	v_cndmask_b32_e32 v1, 0x7c, v1, vcc_lo
; %bb.224:
	s_or_b32 exec_lo, exec_lo, s43
	global_store_b8 v[2:3], v1, off
.LBB332_225:
	s_mov_b32 s44, 0
	s_mov_b32 s43, -1
.LBB332_226:
	s_and_not1_b32 vcc_lo, exec_lo, s44
	s_cbranch_vccnz .LBB332_234
; %bb.227:
	s_cmp_gt_i32 s41, 14
	s_mov_b32 s44, -1
	s_cbranch_scc0 .LBB332_231
; %bb.228:
	s_cmp_eq_u32 s41, 15
	s_mov_b32 s0, -1
	s_cbranch_scc0 .LBB332_230
; %bb.229:
	s_wait_xcnt 0x0
	v_cndmask_b32_e64 v1, 0, 1.0, s39
	s_mov_b32 s43, -1
	s_mov_b32 s0, 0
	s_delay_alu instid0(VALU_DEP_1) | instskip(NEXT) | instid1(VALU_DEP_1)
	v_bfe_u32 v4, v1, 16, 1
	v_add3_u32 v1, v1, v4, 0x7fff
	global_store_d16_hi_b16 v[2:3], v1, off
.LBB332_230:
	s_mov_b32 s44, 0
.LBB332_231:
	s_delay_alu instid0(SALU_CYCLE_1)
	s_and_b32 vcc_lo, exec_lo, s44
	s_cbranch_vccz .LBB332_234
; %bb.232:
	s_cmp_eq_u32 s41, 11
	s_mov_b32 s0, -1
	s_cbranch_scc0 .LBB332_234
; %bb.233:
	s_wait_xcnt 0x0
	v_cndmask_b32_e64 v1, 0, 1, s39
	s_mov_b32 s43, -1
	s_mov_b32 s0, 0
	global_store_b8 v[2:3], v1, off
.LBB332_234:
	s_mov_b32 s41, 0
.LBB332_235:
	s_delay_alu instid0(SALU_CYCLE_1)
	s_and_b32 vcc_lo, exec_lo, s41
	s_cbranch_vccz .LBB332_274
; %bb.236:
	s_and_b32 s40, 0xffff, s40
	s_mov_b32 s41, -1
	s_cmp_lt_i32 s40, 5
	s_cbranch_scc1 .LBB332_257
; %bb.237:
	s_cmp_lt_i32 s40, 8
	s_cbranch_scc1 .LBB332_247
; %bb.238:
	;; [unrolled: 3-line block ×3, first 2 shown]
	s_cmp_gt_i32 s40, 9
	s_cbranch_scc0 .LBB332_241
; %bb.240:
	s_wait_xcnt 0x0
	v_cndmask_b32_e64 v1, 0, 1, s39
	v_mov_b32_e32 v6, 0
	s_mov_b32 s41, 0
	s_delay_alu instid0(VALU_DEP_2) | instskip(NEXT) | instid1(VALU_DEP_2)
	v_cvt_f64_u32_e32 v[4:5], v1
	v_mov_b32_e32 v7, v6
	global_store_b128 v[2:3], v[4:7], off
.LBB332_241:
	s_and_not1_b32 vcc_lo, exec_lo, s41
	s_cbranch_vccnz .LBB332_243
; %bb.242:
	s_wait_xcnt 0x0
	v_cndmask_b32_e64 v4, 0, 1.0, s39
	v_mov_b32_e32 v5, 0
	global_store_b64 v[2:3], v[4:5], off
.LBB332_243:
	s_mov_b32 s41, 0
.LBB332_244:
	s_delay_alu instid0(SALU_CYCLE_1)
	s_and_not1_b32 vcc_lo, exec_lo, s41
	s_cbranch_vccnz .LBB332_246
; %bb.245:
	s_wait_xcnt 0x0
	v_cndmask_b32_e64 v1, 0, 1.0, s39
	s_delay_alu instid0(VALU_DEP_1) | instskip(NEXT) | instid1(VALU_DEP_1)
	v_cvt_f16_f32_e32 v1, v1
	v_and_b32_e32 v1, 0xffff, v1
	global_store_b32 v[2:3], v1, off
.LBB332_246:
	s_mov_b32 s41, 0
.LBB332_247:
	s_delay_alu instid0(SALU_CYCLE_1)
	s_and_not1_b32 vcc_lo, exec_lo, s41
	s_cbranch_vccnz .LBB332_256
; %bb.248:
	s_cmp_lt_i32 s40, 6
	s_mov_b32 s41, -1
	s_cbranch_scc1 .LBB332_254
; %bb.249:
	s_cmp_gt_i32 s40, 6
	s_cbranch_scc0 .LBB332_251
; %bb.250:
	s_wait_xcnt 0x0
	v_cndmask_b32_e64 v1, 0, 1, s39
	s_mov_b32 s41, 0
	s_delay_alu instid0(VALU_DEP_1)
	v_cvt_f64_u32_e32 v[4:5], v1
	global_store_b64 v[2:3], v[4:5], off
.LBB332_251:
	s_and_not1_b32 vcc_lo, exec_lo, s41
	s_cbranch_vccnz .LBB332_253
; %bb.252:
	s_wait_xcnt 0x0
	v_cndmask_b32_e64 v1, 0, 1.0, s39
	global_store_b32 v[2:3], v1, off
.LBB332_253:
	s_mov_b32 s41, 0
.LBB332_254:
	s_delay_alu instid0(SALU_CYCLE_1)
	s_and_not1_b32 vcc_lo, exec_lo, s41
	s_cbranch_vccnz .LBB332_256
; %bb.255:
	s_wait_xcnt 0x0
	v_cndmask_b32_e64 v1, 0, 1.0, s39
	s_delay_alu instid0(VALU_DEP_1)
	v_cvt_f16_f32_e32 v1, v1
	global_store_b16 v[2:3], v1, off
.LBB332_256:
	s_mov_b32 s41, 0
.LBB332_257:
	s_delay_alu instid0(SALU_CYCLE_1)
	s_and_not1_b32 vcc_lo, exec_lo, s41
	s_cbranch_vccnz .LBB332_273
; %bb.258:
	s_cmp_lt_i32 s40, 2
	s_mov_b32 s41, -1
	s_cbranch_scc1 .LBB332_268
; %bb.259:
	s_cmp_lt_i32 s40, 3
	s_cbranch_scc1 .LBB332_265
; %bb.260:
	s_cmp_gt_i32 s40, 3
	s_cbranch_scc0 .LBB332_262
; %bb.261:
	s_mov_b32 s41, 0
	s_wait_xcnt 0x0
	v_cndmask_b32_e64 v4, 0, 1, s39
	v_mov_b32_e32 v5, s41
	global_store_b64 v[2:3], v[4:5], off
.LBB332_262:
	s_and_not1_b32 vcc_lo, exec_lo, s41
	s_cbranch_vccnz .LBB332_264
; %bb.263:
	s_wait_xcnt 0x0
	v_cndmask_b32_e64 v1, 0, 1, s39
	global_store_b32 v[2:3], v1, off
.LBB332_264:
	s_mov_b32 s41, 0
.LBB332_265:
	s_delay_alu instid0(SALU_CYCLE_1)
	s_and_not1_b32 vcc_lo, exec_lo, s41
	s_cbranch_vccnz .LBB332_267
; %bb.266:
	s_wait_xcnt 0x0
	v_cndmask_b32_e64 v1, 0, 1, s39
	global_store_b16 v[2:3], v1, off
.LBB332_267:
	s_mov_b32 s41, 0
.LBB332_268:
	s_delay_alu instid0(SALU_CYCLE_1)
	s_and_not1_b32 vcc_lo, exec_lo, s41
	s_cbranch_vccnz .LBB332_273
; %bb.269:
	s_cmp_gt_i32 s40, 0
	s_mov_b32 s40, -1
	s_cbranch_scc0 .LBB332_271
; %bb.270:
	s_wait_xcnt 0x0
	v_cndmask_b32_e64 v1, 0, 1, s39
	s_mov_b32 s40, 0
	global_store_b8 v[2:3], v1, off
.LBB332_271:
	s_and_not1_b32 vcc_lo, exec_lo, s40
	s_cbranch_vccnz .LBB332_273
; %bb.272:
	s_wait_xcnt 0x0
	v_cndmask_b32_e64 v1, 0, 1, s39
	global_store_b8 v[2:3], v1, off
.LBB332_273:
	s_mov_b32 s43, -1
.LBB332_274:
	s_delay_alu instid0(SALU_CYCLE_1)
	s_and_not1_b32 vcc_lo, exec_lo, s43
	s_cbranch_vccnz .LBB332_383
; %bb.275:
	v_add_nc_u32_e32 v0, 0x80, v0
	s_mov_b32 s43, -1
	s_branch .LBB332_384
.LBB332_276:
	s_mov_b32 s27, -1
                                        ; implicit-def: $vgpr8
.LBB332_277:
	s_mov_b32 s41, 0
.LBB332_278:
	s_delay_alu instid0(SALU_CYCLE_1)
	s_and_b32 vcc_lo, exec_lo, s41
	s_cbranch_vccz .LBB332_282
; %bb.279:
	s_cmp_eq_u32 s39, 29
	s_cbranch_scc0 .LBB332_281
; %bb.280:
	global_load_b64 v[8:9], v[6:7], off
	s_mov_b32 s40, -1
	s_mov_b32 s27, 0
	s_branch .LBB332_282
.LBB332_281:
	s_mov_b32 s27, -1
                                        ; implicit-def: $vgpr8
.LBB332_282:
	s_mov_b32 s41, 0
.LBB332_283:
	s_delay_alu instid0(SALU_CYCLE_1)
	s_and_b32 vcc_lo, exec_lo, s41
	s_cbranch_vccz .LBB332_299
; %bb.284:
	s_cmp_lt_i32 s39, 27
	s_cbranch_scc1 .LBB332_287
; %bb.285:
	s_cmp_gt_i32 s39, 27
	s_cbranch_scc0 .LBB332_288
; %bb.286:
	s_wait_loadcnt 0x0
	global_load_b32 v8, v[6:7], off
	s_mov_b32 s40, 0
	s_branch .LBB332_289
.LBB332_287:
	s_mov_b32 s40, -1
                                        ; implicit-def: $vgpr8
	s_branch .LBB332_292
.LBB332_288:
	s_mov_b32 s40, -1
                                        ; implicit-def: $vgpr8
.LBB332_289:
	s_delay_alu instid0(SALU_CYCLE_1)
	s_and_not1_b32 vcc_lo, exec_lo, s40
	s_cbranch_vccnz .LBB332_291
; %bb.290:
	s_wait_loadcnt 0x0
	global_load_u16 v8, v[6:7], off
.LBB332_291:
	s_mov_b32 s40, 0
.LBB332_292:
	s_delay_alu instid0(SALU_CYCLE_1)
	s_and_not1_b32 vcc_lo, exec_lo, s40
	s_cbranch_vccnz .LBB332_298
; %bb.293:
	global_load_u8 v1, v[6:7], off
	s_mov_b32 s41, 0
	s_mov_b32 s40, exec_lo
	s_wait_loadcnt 0x0
	v_cmpx_lt_i16_e32 0x7f, v1
	s_xor_b32 s40, exec_lo, s40
	s_cbranch_execz .LBB332_310
; %bb.294:
	v_cmp_ne_u16_e32 vcc_lo, 0x80, v1
	s_and_b32 s41, vcc_lo, exec_lo
	s_and_not1_saveexec_b32 s40, s40
	s_cbranch_execnz .LBB332_311
.LBB332_295:
	s_or_b32 exec_lo, exec_lo, s40
	v_mov_b32_e32 v8, 0
	s_and_saveexec_b32 s40, s41
	s_cbranch_execz .LBB332_297
.LBB332_296:
	v_and_b32_e32 v3, 0xffff, v1
	s_delay_alu instid0(VALU_DEP_1) | instskip(SKIP_1) | instid1(VALU_DEP_2)
	v_and_b32_e32 v5, 7, v3
	v_bfe_u32 v10, v3, 3, 4
	v_clz_i32_u32_e32 v8, v5
	s_delay_alu instid0(VALU_DEP_2) | instskip(NEXT) | instid1(VALU_DEP_2)
	v_cmp_eq_u32_e32 vcc_lo, 0, v10
	v_min_u32_e32 v8, 32, v8
	s_delay_alu instid0(VALU_DEP_1) | instskip(NEXT) | instid1(VALU_DEP_1)
	v_subrev_nc_u32_e32 v9, 28, v8
	v_dual_lshlrev_b32 v3, v9, v3 :: v_dual_sub_nc_u32 v8, 29, v8
	s_delay_alu instid0(VALU_DEP_1) | instskip(NEXT) | instid1(VALU_DEP_1)
	v_dual_lshlrev_b32 v1, 24, v1 :: v_dual_bitop2_b32 v3, 7, v3 bitop3:0x40
	v_dual_cndmask_b32 v8, v10, v8 :: v_dual_cndmask_b32 v3, v5, v3
	s_delay_alu instid0(VALU_DEP_2) | instskip(NEXT) | instid1(VALU_DEP_2)
	v_and_b32_e32 v1, 0x80000000, v1
	v_lshl_add_u32 v5, v8, 23, 0x3b800000
	s_delay_alu instid0(VALU_DEP_3) | instskip(NEXT) | instid1(VALU_DEP_1)
	v_lshlrev_b32_e32 v3, 20, v3
	v_or3_b32 v1, v1, v5, v3
	s_delay_alu instid0(VALU_DEP_1)
	v_cvt_u32_f32_e32 v8, v1
.LBB332_297:
	s_or_b32 exec_lo, exec_lo, s40
.LBB332_298:
	s_mov_b32 s40, -1
.LBB332_299:
	s_mov_b32 s41, 0
.LBB332_300:
	s_delay_alu instid0(SALU_CYCLE_1)
	s_and_b32 vcc_lo, exec_lo, s41
	s_cbranch_vccz .LBB332_333
; %bb.301:
	s_cmp_gt_i32 s39, 22
	s_cbranch_scc0 .LBB332_309
; %bb.302:
	s_cmp_lt_i32 s39, 24
	s_cbranch_scc1 .LBB332_312
; %bb.303:
	s_cmp_gt_i32 s39, 24
	s_cbranch_scc0 .LBB332_313
; %bb.304:
	global_load_u8 v1, v[6:7], off
	s_mov_b32 s41, 0
	s_mov_b32 s40, exec_lo
	s_wait_loadcnt 0x0
	v_cmpx_lt_i16_e32 0x7f, v1
	s_xor_b32 s40, exec_lo, s40
	s_cbranch_execz .LBB332_325
; %bb.305:
	v_cmp_ne_u16_e32 vcc_lo, 0x80, v1
	s_and_b32 s41, vcc_lo, exec_lo
	s_and_not1_saveexec_b32 s40, s40
	s_cbranch_execnz .LBB332_326
.LBB332_306:
	s_or_b32 exec_lo, exec_lo, s40
	v_mov_b32_e32 v8, 0
	s_and_saveexec_b32 s40, s41
	s_cbranch_execz .LBB332_308
.LBB332_307:
	v_and_b32_e32 v3, 0xffff, v1
	s_delay_alu instid0(VALU_DEP_1) | instskip(SKIP_1) | instid1(VALU_DEP_2)
	v_and_b32_e32 v5, 3, v3
	v_bfe_u32 v10, v3, 2, 5
	v_clz_i32_u32_e32 v8, v5
	s_delay_alu instid0(VALU_DEP_2) | instskip(NEXT) | instid1(VALU_DEP_2)
	v_cmp_eq_u32_e32 vcc_lo, 0, v10
	v_min_u32_e32 v8, 32, v8
	s_delay_alu instid0(VALU_DEP_1) | instskip(NEXT) | instid1(VALU_DEP_1)
	v_subrev_nc_u32_e32 v9, 29, v8
	v_dual_lshlrev_b32 v3, v9, v3 :: v_dual_sub_nc_u32 v8, 30, v8
	s_delay_alu instid0(VALU_DEP_1) | instskip(NEXT) | instid1(VALU_DEP_1)
	v_dual_lshlrev_b32 v1, 24, v1 :: v_dual_bitop2_b32 v3, 3, v3 bitop3:0x40
	v_dual_cndmask_b32 v8, v10, v8 :: v_dual_cndmask_b32 v3, v5, v3
	s_delay_alu instid0(VALU_DEP_2) | instskip(NEXT) | instid1(VALU_DEP_2)
	v_and_b32_e32 v1, 0x80000000, v1
	v_lshl_add_u32 v5, v8, 23, 0x37800000
	s_delay_alu instid0(VALU_DEP_3) | instskip(NEXT) | instid1(VALU_DEP_1)
	v_lshlrev_b32_e32 v3, 21, v3
	v_or3_b32 v1, v1, v5, v3
	s_delay_alu instid0(VALU_DEP_1)
	v_cvt_u32_f32_e32 v8, v1
.LBB332_308:
	s_or_b32 exec_lo, exec_lo, s40
	s_mov_b32 s40, 0
	s_branch .LBB332_314
.LBB332_309:
	s_mov_b32 s41, -1
                                        ; implicit-def: $vgpr8
	s_branch .LBB332_320
.LBB332_310:
	s_and_not1_saveexec_b32 s40, s40
	s_cbranch_execz .LBB332_295
.LBB332_311:
	v_cmp_ne_u16_e32 vcc_lo, 0, v1
	s_and_not1_b32 s41, s41, exec_lo
	s_and_b32 s43, vcc_lo, exec_lo
	s_delay_alu instid0(SALU_CYCLE_1)
	s_or_b32 s41, s41, s43
	s_or_b32 exec_lo, exec_lo, s40
	v_mov_b32_e32 v8, 0
	s_and_saveexec_b32 s40, s41
	s_cbranch_execnz .LBB332_296
	s_branch .LBB332_297
.LBB332_312:
	s_mov_b32 s40, -1
                                        ; implicit-def: $vgpr8
	s_branch .LBB332_317
.LBB332_313:
	s_mov_b32 s40, -1
                                        ; implicit-def: $vgpr8
.LBB332_314:
	s_delay_alu instid0(SALU_CYCLE_1)
	s_and_b32 vcc_lo, exec_lo, s40
	s_cbranch_vccz .LBB332_316
; %bb.315:
	global_load_u8 v1, v[6:7], off
	s_wait_loadcnt 0x0
	v_lshlrev_b32_e32 v1, 24, v1
	s_delay_alu instid0(VALU_DEP_1) | instskip(NEXT) | instid1(VALU_DEP_1)
	v_and_b32_e32 v3, 0x7f000000, v1
	v_clz_i32_u32_e32 v5, v3
	v_add_nc_u32_e32 v9, 0x1000000, v3
	v_cmp_ne_u32_e32 vcc_lo, 0, v3
	s_delay_alu instid0(VALU_DEP_3) | instskip(NEXT) | instid1(VALU_DEP_1)
	v_min_u32_e32 v5, 32, v5
	v_sub_nc_u32_e64 v5, v5, 4 clamp
	s_delay_alu instid0(VALU_DEP_1) | instskip(NEXT) | instid1(VALU_DEP_1)
	v_dual_lshlrev_b32 v8, v5, v3 :: v_dual_lshlrev_b32 v5, 23, v5
	v_lshrrev_b32_e32 v8, 4, v8
	s_delay_alu instid0(VALU_DEP_1) | instskip(SKIP_1) | instid1(VALU_DEP_2)
	v_sub_nc_u32_e32 v5, v8, v5
	v_ashrrev_i32_e32 v8, 8, v9
	v_add_nc_u32_e32 v5, 0x3c000000, v5
	s_delay_alu instid0(VALU_DEP_1) | instskip(NEXT) | instid1(VALU_DEP_1)
	v_and_or_b32 v5, 0x7f800000, v8, v5
	v_cndmask_b32_e32 v3, 0, v5, vcc_lo
	s_delay_alu instid0(VALU_DEP_1) | instskip(NEXT) | instid1(VALU_DEP_1)
	v_and_or_b32 v1, 0x80000000, v1, v3
	v_cvt_u32_f32_e32 v8, v1
.LBB332_316:
	s_mov_b32 s40, 0
.LBB332_317:
	s_delay_alu instid0(SALU_CYCLE_1)
	s_and_not1_b32 vcc_lo, exec_lo, s40
	s_cbranch_vccnz .LBB332_319
; %bb.318:
	global_load_u8 v1, v[6:7], off
	s_wait_loadcnt 0x0
	v_lshlrev_b32_e32 v3, 25, v1
	v_lshlrev_b16 v1, 8, v1
	s_delay_alu instid0(VALU_DEP_1) | instskip(SKIP_1) | instid1(VALU_DEP_2)
	v_and_or_b32 v8, 0x7f00, v1, 0.5
	v_bfe_i32 v1, v1, 0, 16
	v_dual_add_f32 v8, -0.5, v8 :: v_dual_lshrrev_b32 v5, 4, v3
	v_cmp_gt_u32_e32 vcc_lo, 0x8000000, v3
	s_delay_alu instid0(VALU_DEP_2) | instskip(NEXT) | instid1(VALU_DEP_1)
	v_or_b32_e32 v5, 0x70000000, v5
	v_mul_f32_e32 v5, 0x7800000, v5
	s_delay_alu instid0(VALU_DEP_1) | instskip(NEXT) | instid1(VALU_DEP_1)
	v_cndmask_b32_e32 v3, v5, v8, vcc_lo
	v_and_or_b32 v1, 0x80000000, v1, v3
	s_delay_alu instid0(VALU_DEP_1)
	v_cvt_u32_f32_e32 v8, v1
.LBB332_319:
	s_mov_b32 s41, 0
	s_mov_b32 s40, -1
.LBB332_320:
	s_and_not1_b32 vcc_lo, exec_lo, s41
	s_cbranch_vccnz .LBB332_333
; %bb.321:
	s_cmp_gt_i32 s39, 14
	s_cbranch_scc0 .LBB332_324
; %bb.322:
	s_cmp_eq_u32 s39, 15
	s_cbranch_scc0 .LBB332_327
; %bb.323:
	global_load_u16 v1, v[6:7], off
	s_mov_b32 s40, -1
	s_mov_b32 s27, 0
	s_wait_loadcnt 0x0
	v_lshlrev_b32_e32 v1, 16, v1
	s_delay_alu instid0(VALU_DEP_1)
	v_cvt_u32_f32_e32 v8, v1
	s_branch .LBB332_328
.LBB332_324:
	s_mov_b32 s41, -1
                                        ; implicit-def: $vgpr8
	s_branch .LBB332_329
.LBB332_325:
	s_and_not1_saveexec_b32 s40, s40
	s_cbranch_execz .LBB332_306
.LBB332_326:
	v_cmp_ne_u16_e32 vcc_lo, 0, v1
	s_and_not1_b32 s41, s41, exec_lo
	s_and_b32 s43, vcc_lo, exec_lo
	s_delay_alu instid0(SALU_CYCLE_1)
	s_or_b32 s41, s41, s43
	s_or_b32 exec_lo, exec_lo, s40
	v_mov_b32_e32 v8, 0
	s_and_saveexec_b32 s40, s41
	s_cbranch_execnz .LBB332_307
	s_branch .LBB332_308
.LBB332_327:
	s_mov_b32 s27, -1
                                        ; implicit-def: $vgpr8
.LBB332_328:
	s_mov_b32 s41, 0
.LBB332_329:
	s_delay_alu instid0(SALU_CYCLE_1)
	s_and_b32 vcc_lo, exec_lo, s41
	s_cbranch_vccz .LBB332_333
; %bb.330:
	s_cmp_eq_u32 s39, 11
	s_cbranch_scc0 .LBB332_332
; %bb.331:
	global_load_u8 v1, v[6:7], off
	s_mov_b32 s27, 0
	s_mov_b32 s40, -1
	s_wait_loadcnt 0x0
	v_cmp_ne_u16_e32 vcc_lo, 0, v1
	v_cndmask_b32_e64 v8, 0, 1, vcc_lo
	s_branch .LBB332_333
.LBB332_332:
	s_mov_b32 s27, -1
                                        ; implicit-def: $vgpr8
.LBB332_333:
	s_branch .LBB332_31
.LBB332_334:
	s_and_b32 s0, 0xffff, s0
	s_delay_alu instid0(SALU_CYCLE_1)
	s_cmp_lt_i32 s0, 5
	s_cbranch_scc1 .LBB332_339
; %bb.335:
	s_cmp_lt_i32 s0, 8
	s_cbranch_scc1 .LBB332_340
; %bb.336:
	;; [unrolled: 3-line block ×3, first 2 shown]
	s_cmp_gt_i32 s0, 9
	s_cbranch_scc0 .LBB332_342
; %bb.338:
	s_wait_loadcnt 0x0
	global_load_b64 v[8:9], v[6:7], off
	s_mov_b32 s39, 0
	s_wait_loadcnt 0x0
	v_cvt_u32_f64_e32 v8, v[8:9]
	s_branch .LBB332_343
.LBB332_339:
	s_mov_b32 s39, -1
                                        ; implicit-def: $vgpr8
	s_branch .LBB332_361
.LBB332_340:
	s_mov_b32 s39, -1
                                        ; implicit-def: $vgpr8
	s_branch .LBB332_349
.LBB332_341:
	s_mov_b32 s39, -1
                                        ; implicit-def: $vgpr8
	s_branch .LBB332_346
.LBB332_342:
	s_mov_b32 s39, -1
                                        ; implicit-def: $vgpr8
.LBB332_343:
	s_delay_alu instid0(SALU_CYCLE_1)
	s_and_not1_b32 vcc_lo, exec_lo, s39
	s_cbranch_vccnz .LBB332_345
; %bb.344:
	global_load_b32 v1, v[6:7], off
	s_wait_loadcnt 0x0
	v_cvt_u32_f32_e32 v8, v1
.LBB332_345:
	s_mov_b32 s39, 0
.LBB332_346:
	s_delay_alu instid0(SALU_CYCLE_1)
	s_and_not1_b32 vcc_lo, exec_lo, s39
	s_cbranch_vccnz .LBB332_348
; %bb.347:
	global_load_b32 v1, v[6:7], off
	s_wait_loadcnt 0x0
	v_cvt_u16_f16_e32 v8, v1
.LBB332_348:
	s_mov_b32 s39, 0
.LBB332_349:
	s_delay_alu instid0(SALU_CYCLE_1)
	s_and_not1_b32 vcc_lo, exec_lo, s39
	s_cbranch_vccnz .LBB332_360
; %bb.350:
	s_cmp_lt_i32 s0, 6
	s_cbranch_scc1 .LBB332_353
; %bb.351:
	s_cmp_gt_i32 s0, 6
	s_cbranch_scc0 .LBB332_354
; %bb.352:
	s_wait_loadcnt 0x0
	global_load_b64 v[8:9], v[6:7], off
	s_mov_b32 s39, 0
	s_wait_loadcnt 0x0
	v_cvt_u32_f64_e32 v8, v[8:9]
	s_branch .LBB332_355
.LBB332_353:
	s_mov_b32 s39, -1
                                        ; implicit-def: $vgpr8
	s_branch .LBB332_358
.LBB332_354:
	s_mov_b32 s39, -1
                                        ; implicit-def: $vgpr8
.LBB332_355:
	s_delay_alu instid0(SALU_CYCLE_1)
	s_and_not1_b32 vcc_lo, exec_lo, s39
	s_cbranch_vccnz .LBB332_357
; %bb.356:
	global_load_b32 v1, v[6:7], off
	s_wait_loadcnt 0x0
	v_cvt_u32_f32_e32 v8, v1
.LBB332_357:
	s_mov_b32 s39, 0
.LBB332_358:
	s_delay_alu instid0(SALU_CYCLE_1)
	s_and_not1_b32 vcc_lo, exec_lo, s39
	s_cbranch_vccnz .LBB332_360
; %bb.359:
	global_load_u16 v1, v[6:7], off
	s_wait_loadcnt 0x0
	v_cvt_u16_f16_e32 v8, v1
.LBB332_360:
	s_mov_b32 s39, 0
.LBB332_361:
	s_delay_alu instid0(SALU_CYCLE_1)
	s_and_not1_b32 vcc_lo, exec_lo, s39
	s_cbranch_vccnz .LBB332_381
; %bb.362:
	s_cmp_lt_i32 s0, 2
	s_cbranch_scc1 .LBB332_366
; %bb.363:
	s_cmp_lt_i32 s0, 3
	s_cbranch_scc1 .LBB332_367
; %bb.364:
	s_cmp_gt_i32 s0, 3
	s_cbranch_scc0 .LBB332_368
; %bb.365:
	s_wait_loadcnt 0x0
	global_load_b64 v[8:9], v[6:7], off
	s_mov_b32 s39, 0
	s_branch .LBB332_369
.LBB332_366:
	s_mov_b32 s39, -1
                                        ; implicit-def: $vgpr8
	s_branch .LBB332_375
.LBB332_367:
	s_mov_b32 s39, -1
                                        ; implicit-def: $vgpr8
	s_branch .LBB332_372
.LBB332_368:
	s_mov_b32 s39, -1
                                        ; implicit-def: $vgpr8
.LBB332_369:
	s_delay_alu instid0(SALU_CYCLE_1)
	s_and_not1_b32 vcc_lo, exec_lo, s39
	s_cbranch_vccnz .LBB332_371
; %bb.370:
	s_wait_loadcnt 0x0
	global_load_b32 v8, v[6:7], off
.LBB332_371:
	s_mov_b32 s39, 0
.LBB332_372:
	s_delay_alu instid0(SALU_CYCLE_1)
	s_and_not1_b32 vcc_lo, exec_lo, s39
	s_cbranch_vccnz .LBB332_374
; %bb.373:
	s_wait_loadcnt 0x0
	global_load_u16 v8, v[6:7], off
.LBB332_374:
	s_mov_b32 s39, 0
.LBB332_375:
	s_delay_alu instid0(SALU_CYCLE_1)
	s_and_not1_b32 vcc_lo, exec_lo, s39
	s_cbranch_vccnz .LBB332_381
; %bb.376:
	s_cmp_gt_i32 s0, 0
	s_mov_b32 s0, 0
	s_cbranch_scc0 .LBB332_378
; %bb.377:
	s_wait_loadcnt 0x0
	global_load_i8 v8, v[6:7], off
	s_branch .LBB332_379
.LBB332_378:
	s_mov_b32 s0, -1
                                        ; implicit-def: $vgpr8
.LBB332_379:
	s_delay_alu instid0(SALU_CYCLE_1)
	s_and_not1_b32 vcc_lo, exec_lo, s0
	s_cbranch_vccnz .LBB332_381
; %bb.380:
	s_wait_loadcnt 0x0
	global_load_u8 v8, v[6:7], off
.LBB332_381:
	s_branch .LBB332_32
.LBB332_382:
	s_mov_b32 s0, 0
.LBB332_383:
	s_mov_b32 s43, 0
                                        ; implicit-def: $vgpr0
.LBB332_384:
	s_and_b32 s39, s0, exec_lo
	s_and_b32 s40, s27, exec_lo
	;; [unrolled: 1-line block ×3, first 2 shown]
	s_or_not1_b32 s27, s43, exec_lo
.LBB332_385:
	s_wait_xcnt 0x0
	s_or_b32 exec_lo, exec_lo, s42
	s_mov_b32 s44, 0
	s_mov_b32 s26, 0
                                        ; implicit-def: $sgpr0
                                        ; implicit-def: $vgpr8_vgpr9
                                        ; implicit-def: $vgpr6
                                        ; implicit-def: $vgpr2
                                        ; implicit-def: $vgpr4
	s_and_saveexec_b32 s42, s27
	s_cbranch_execz .LBB332_393
; %bb.386:
	s_mov_b32 s48, -1
	s_mov_b32 s43, s41
	s_mov_b32 s45, s40
	;; [unrolled: 1-line block ×3, first 2 shown]
	s_mov_b32 s46, exec_lo
	v_cmpx_gt_i32_e64 s37, v0
	s_cbranch_execz .LBB332_781
; %bb.387:
	s_and_not1_b32 vcc_lo, exec_lo, s31
	s_cbranch_vccnz .LBB332_396
; %bb.388:
	s_and_not1_b32 vcc_lo, exec_lo, s38
	s_cbranch_vccnz .LBB332_397
; %bb.389:
	v_dual_mov_b32 v2, 0 :: v_dual_mov_b32 v1, v0
	s_wait_loadcnt 0x0
	v_dual_mov_b32 v4, 0 :: v_dual_mov_b32 v6, 0
	s_add_co_i32 s0, s36, 1
	s_mov_b64 s[26:27], 0xffffffffffffffe8
	s_and_b32 s0, s0, 30
	s_add_nc_u64 s[26:27], s[2:3], s[26:27]
.LBB332_390:                            ; =>This Inner Loop Header: Depth=1
	s_clause 0x1
	s_load_b128 s[48:51], s[26:27], 0x1c
	s_load_b64 s[44:45], s[26:27], 0x2c
	s_add_co_i32 s0, s0, -2
	s_delay_alu instid0(SALU_CYCLE_1) | instskip(SKIP_2) | instid1(VALU_DEP_1)
	s_cmp_eq_u32 s0, 0
	s_wait_kmcnt 0x0
	v_mul_hi_u32 v3, s49, v1
	v_add_nc_u32_e32 v3, v1, v3
	s_delay_alu instid0(VALU_DEP_1) | instskip(NEXT) | instid1(VALU_DEP_1)
	v_lshrrev_b32_e32 v3, s50, v3
	v_mul_hi_u32 v5, s44, v3
	v_mul_lo_u32 v7, v3, s48
	s_clause 0x1
	s_load_b128 s[52:55], s[26:27], 0xdc
	s_load_b64 s[48:49], s[26:27], 0xec
	s_wait_xcnt 0x0
	s_add_nc_u64 s[26:27], s[26:27], 24
	s_delay_alu instid0(VALU_DEP_1) | instskip(NEXT) | instid1(VALU_DEP_1)
	v_dual_add_nc_u32 v5, v3, v5 :: v_dual_sub_nc_u32 v7, v1, v7
	v_lshrrev_b32_e32 v1, s45, v5
	s_wait_kmcnt 0x0
	s_delay_alu instid0(VALU_DEP_2) | instskip(NEXT) | instid1(VALU_DEP_2)
	v_mad_u32 v2, v7, s52, v2
	v_mul_lo_u32 v5, v1, s51
	v_mad_u32 v6, v7, s54, v6
	v_mad_u32 v4, v7, s53, v4
	s_delay_alu instid0(VALU_DEP_3) | instskip(NEXT) | instid1(VALU_DEP_1)
	v_sub_nc_u32_e32 v3, v3, v5
	v_mad_u32 v2, v3, s55, v2
	s_delay_alu instid0(VALU_DEP_4) | instskip(NEXT) | instid1(VALU_DEP_4)
	v_mad_u32 v6, v3, s49, v6
	v_mad_u32 v4, v3, s48, v4
	s_cbranch_scc0 .LBB332_390
; %bb.391:
	s_bitcmp1_b32 s36, 0
	s_cselect_b32 s0, -1, 0
	s_delay_alu instid0(SALU_CYCLE_1)
	s_and_b32 vcc_lo, exec_lo, s0
	s_cbranch_vccnz .LBB332_398
; %bb.392:
	s_clause 0x1
	s_load_b96 s[48:50], s[26:27], 0x1c
	s_load_b96 s[52:54], s[26:27], 0xdc
	s_wait_kmcnt 0x0
	v_mul_hi_u32 v3, s49, v1
	s_delay_alu instid0(VALU_DEP_1) | instskip(NEXT) | instid1(VALU_DEP_1)
	v_add_nc_u32_e32 v3, v1, v3
	v_lshrrev_b32_e32 v3, s50, v3
	s_delay_alu instid0(VALU_DEP_1) | instskip(NEXT) | instid1(VALU_DEP_1)
	v_mul_lo_u32 v3, v3, s48
	v_sub_nc_u32_e32 v1, v1, v3
	s_delay_alu instid0(VALU_DEP_1)
	v_mad_u32 v2, v1, s52, v2
	v_mad_u32 v4, v1, s53, v4
	;; [unrolled: 1-line block ×3, first 2 shown]
	s_branch .LBB332_398
.LBB332_393:
	s_or_b32 exec_lo, exec_lo, s42
	s_mov_b32 s1, 0
	s_and_saveexec_b32 s6, s41
	s_cbranch_execnz .LBB332_1269
.LBB332_394:
	s_or_b32 exec_lo, exec_lo, s6
	s_and_saveexec_b32 s6, s21
	s_delay_alu instid0(SALU_CYCLE_1)
	s_xor_b32 s6, exec_lo, s6
	s_cbranch_execz .LBB332_1270
.LBB332_395:
	s_wait_loadcnt 0x0
	global_load_u8 v0, v[8:9], off
	s_or_b32 s26, s26, exec_lo
	s_wait_loadcnt 0x0
	v_cmp_ne_u16_e32 vcc_lo, 0, v0
	v_cndmask_b32_e64 v4, 0, 1, vcc_lo
	s_wait_xcnt 0x0
	s_or_b32 exec_lo, exec_lo, s6
	s_and_saveexec_b32 s6, s44
	s_cbranch_execz .LBB332_1316
	s_branch .LBB332_1271
.LBB332_396:
                                        ; implicit-def: $vgpr6
                                        ; implicit-def: $vgpr4
                                        ; implicit-def: $vgpr2
	s_branch .LBB332_399
.LBB332_397:
	s_wait_loadcnt 0x0
	v_dual_mov_b32 v6, 0 :: v_dual_mov_b32 v4, 0
	v_mov_b32_e32 v2, 0
.LBB332_398:
	s_cbranch_execnz .LBB332_401
.LBB332_399:
	v_mov_b32_e32 v1, 0
	s_and_not1_b32 vcc_lo, exec_lo, s35
	s_delay_alu instid0(VALU_DEP_1) | instskip(NEXT) | instid1(VALU_DEP_1)
	v_mul_u64_e32 v[2:3], s[20:21], v[0:1]
	v_add_nc_u32_e32 v2, v0, v3
	s_wait_loadcnt 0x0
	s_delay_alu instid0(VALU_DEP_1) | instskip(NEXT) | instid1(VALU_DEP_1)
	v_lshrrev_b32_e32 v8, s14, v2
	v_mul_lo_u32 v2, v8, s12
	s_delay_alu instid0(VALU_DEP_1) | instskip(NEXT) | instid1(VALU_DEP_1)
	v_sub_nc_u32_e32 v3, v0, v2
	v_mul_lo_u32 v2, v3, s16
	v_mul_lo_u32 v6, v3, s18
	;; [unrolled: 1-line block ×3, first 2 shown]
	s_cbranch_vccnz .LBB332_401
; %bb.400:
	v_mov_b32_e32 v9, v1
	s_delay_alu instid0(VALU_DEP_1) | instskip(NEXT) | instid1(VALU_DEP_1)
	v_mul_u64_e32 v[10:11], s[24:25], v[8:9]
	v_add_nc_u32_e32 v1, v8, v11
	s_delay_alu instid0(VALU_DEP_1) | instskip(NEXT) | instid1(VALU_DEP_1)
	v_lshrrev_b32_e32 v1, s1, v1
	v_mul_lo_u32 v1, v1, s15
	s_delay_alu instid0(VALU_DEP_1) | instskip(NEXT) | instid1(VALU_DEP_1)
	v_sub_nc_u32_e32 v1, v8, v1
	v_mad_u32 v2, v1, s19, v2
	v_mad_u32 v4, v1, s22, v4
	;; [unrolled: 1-line block ×3, first 2 shown]
.LBB332_401:
	s_wait_loadcnt 0x0
	v_mov_b32_e32 v5, 0
	s_and_b32 s0, s34, 0xff
	s_delay_alu instid0(SALU_CYCLE_1) | instskip(NEXT) | instid1(VALU_DEP_1)
	s_cmp_lt_i32 s0, 11
	v_add_nc_u64_e32 v[8:9], s[6:7], v[4:5]
	s_cbranch_scc1 .LBB332_408
; %bb.402:
	s_and_b32 s27, 0xffff, s0
	s_delay_alu instid0(SALU_CYCLE_1)
	s_cmp_gt_i32 s27, 25
	s_cbranch_scc0 .LBB332_417
; %bb.403:
	s_cmp_gt_i32 s27, 28
	s_cbranch_scc0 .LBB332_419
; %bb.404:
	;; [unrolled: 3-line block ×4, first 2 shown]
	s_cmp_eq_u32 s27, 46
	s_mov_b32 s44, 0
	s_cbranch_scc0 .LBB332_427
; %bb.407:
	global_load_b32 v1, v[8:9], off
	s_mov_b32 s43, -1
	s_mov_b32 s26, 0
	s_wait_loadcnt 0x0
	v_lshlrev_b32_e32 v1, 16, v1
	s_delay_alu instid0(VALU_DEP_1)
	v_cvt_u32_f32_e32 v4, v1
	s_branch .LBB332_429
.LBB332_408:
	s_mov_b32 s43, 0
	s_mov_b32 s26, s41
                                        ; implicit-def: $vgpr4
	s_cbranch_execnz .LBB332_491
.LBB332_409:
	s_and_not1_b32 vcc_lo, exec_lo, s43
	s_cbranch_vccnz .LBB332_539
.LBB332_410:
	v_mov_b32_e32 v7, 0
	s_and_b32 s0, s13, 0xff
	s_delay_alu instid0(SALU_CYCLE_1) | instskip(NEXT) | instid1(VALU_DEP_1)
	s_cmp_lt_i32 s0, 11
	v_add_nc_u64_e32 v[6:7], s[8:9], v[6:7]
	s_cbranch_scc1 .LBB332_418
; %bb.411:
	s_and_b32 s43, 0xffff, s0
	s_delay_alu instid0(SALU_CYCLE_1)
	s_cmp_gt_i32 s43, 25
	s_cbranch_scc0 .LBB332_420
; %bb.412:
	s_cmp_gt_i32 s43, 28
	s_cbranch_scc0 .LBB332_422
; %bb.413:
	;; [unrolled: 3-line block ×4, first 2 shown]
	s_cmp_eq_u32 s43, 46
	s_mov_b32 s45, 0
	s_cbranch_scc0 .LBB332_542
; %bb.416:
	global_load_b32 v1, v[6:7], off
	s_mov_b32 s44, -1
	s_mov_b32 s27, 0
	s_wait_loadcnt 0x0
	v_lshlrev_b32_e32 v1, 16, v1
	s_wait_xcnt 0x1
	s_delay_alu instid0(VALU_DEP_1)
	v_cvt_u32_f32_e32 v8, v1
	s_branch .LBB332_544
.LBB332_417:
	s_mov_b32 s44, -1
	s_mov_b32 s43, 0
	s_mov_b32 s26, s41
                                        ; implicit-def: $vgpr4
	s_branch .LBB332_457
.LBB332_418:
	s_mov_b32 s43, -1
	s_mov_b32 s44, 0
	s_mov_b32 s27, s40
                                        ; implicit-def: $vgpr8
	s_branch .LBB332_605
.LBB332_419:
	s_mov_b32 s44, -1
	s_mov_b32 s43, 0
	s_mov_b32 s26, s41
                                        ; implicit-def: $vgpr4
	s_branch .LBB332_440
.LBB332_420:
	s_mov_b32 s45, -1
	s_mov_b32 s44, 0
	s_mov_b32 s27, s40
                                        ; implicit-def: $vgpr8
	s_branch .LBB332_571
.LBB332_421:
	s_mov_b32 s44, -1
	s_mov_b32 s43, 0
	s_mov_b32 s26, s41
                                        ; implicit-def: $vgpr4
	s_branch .LBB332_435
.LBB332_422:
	s_mov_b32 s45, -1
	s_mov_b32 s44, 0
	s_mov_b32 s27, s40
                                        ; implicit-def: $vgpr8
	s_branch .LBB332_554
.LBB332_423:
	s_mov_b32 s44, -1
	s_mov_b32 s43, 0
	s_mov_b32 s26, s41
	s_branch .LBB332_428
.LBB332_424:
	s_mov_b32 s45, -1
	s_mov_b32 s44, 0
	s_mov_b32 s27, s40
                                        ; implicit-def: $vgpr8
	s_branch .LBB332_549
.LBB332_425:
	s_and_not1_saveexec_b32 s45, s45
	s_cbranch_execz .LBB332_187
.LBB332_426:
	v_add_f32_e32 v1, 0x46000000, v4
	s_and_not1_b32 s44, s44, exec_lo
	s_delay_alu instid0(VALU_DEP_1) | instskip(NEXT) | instid1(VALU_DEP_1)
	v_and_b32_e32 v1, 0xff, v1
	v_cmp_ne_u32_e32 vcc_lo, 0, v1
	s_and_b32 s46, vcc_lo, exec_lo
	s_delay_alu instid0(SALU_CYCLE_1)
	s_or_b32 s44, s44, s46
	s_or_b32 exec_lo, exec_lo, s45
	v_mov_b32_e32 v5, 0
	s_and_saveexec_b32 s45, s44
	s_cbranch_execnz .LBB332_188
	s_branch .LBB332_189
.LBB332_427:
	s_mov_b32 s26, -1
	s_mov_b32 s43, 0
.LBB332_428:
                                        ; implicit-def: $vgpr4
.LBB332_429:
	s_and_b32 vcc_lo, exec_lo, s44
	s_cbranch_vccz .LBB332_434
; %bb.430:
	s_cmp_eq_u32 s27, 44
	s_cbranch_scc0 .LBB332_433
; %bb.431:
	global_load_u8 v1, v[8:9], off
	s_mov_b32 s26, 0
	s_mov_b32 s43, -1
	s_wait_loadcnt 0x0
	v_lshlrev_b32_e32 v3, 23, v1
	v_cmp_ne_u32_e32 vcc_lo, 0, v1
	s_delay_alu instid0(VALU_DEP_2) | instskip(NEXT) | instid1(VALU_DEP_1)
	v_cvt_u32_f32_e32 v3, v3
	v_cndmask_b32_e32 v4, 0, v3, vcc_lo
	s_branch .LBB332_434
.LBB332_432:
	s_mov_b32 s45, -1
	s_mov_b32 s44, 0
	s_mov_b32 s27, s40
	s_branch .LBB332_543
.LBB332_433:
	s_mov_b32 s26, -1
                                        ; implicit-def: $vgpr4
.LBB332_434:
	s_mov_b32 s44, 0
.LBB332_435:
	s_delay_alu instid0(SALU_CYCLE_1)
	s_and_b32 vcc_lo, exec_lo, s44
	s_cbranch_vccz .LBB332_439
; %bb.436:
	s_cmp_eq_u32 s27, 29
	s_cbranch_scc0 .LBB332_438
; %bb.437:
	global_load_b64 v[4:5], v[8:9], off
	s_mov_b32 s43, -1
	s_mov_b32 s26, 0
	s_branch .LBB332_439
.LBB332_438:
	s_mov_b32 s26, -1
                                        ; implicit-def: $vgpr4
.LBB332_439:
	s_mov_b32 s44, 0
.LBB332_440:
	s_delay_alu instid0(SALU_CYCLE_1)
	s_and_b32 vcc_lo, exec_lo, s44
	s_cbranch_vccz .LBB332_456
; %bb.441:
	s_cmp_lt_i32 s27, 27
	s_cbranch_scc1 .LBB332_444
; %bb.442:
	s_cmp_gt_i32 s27, 27
	s_cbranch_scc0 .LBB332_445
; %bb.443:
	s_wait_loadcnt 0x0
	global_load_b32 v4, v[8:9], off
	s_mov_b32 s43, 0
	s_branch .LBB332_446
.LBB332_444:
	s_mov_b32 s43, -1
                                        ; implicit-def: $vgpr4
	s_branch .LBB332_449
.LBB332_445:
	s_mov_b32 s43, -1
                                        ; implicit-def: $vgpr4
.LBB332_446:
	s_delay_alu instid0(SALU_CYCLE_1)
	s_and_not1_b32 vcc_lo, exec_lo, s43
	s_cbranch_vccnz .LBB332_448
; %bb.447:
	s_wait_loadcnt 0x0
	global_load_u16 v4, v[8:9], off
.LBB332_448:
	s_mov_b32 s43, 0
.LBB332_449:
	s_delay_alu instid0(SALU_CYCLE_1)
	s_and_not1_b32 vcc_lo, exec_lo, s43
	s_cbranch_vccnz .LBB332_455
; %bb.450:
	global_load_u8 v1, v[8:9], off
	s_mov_b32 s44, 0
	s_mov_b32 s43, exec_lo
	s_wait_loadcnt 0x0
	v_cmpx_lt_i16_e32 0x7f, v1
	s_xor_b32 s43, exec_lo, s43
	s_cbranch_execz .LBB332_467
; %bb.451:
	v_cmp_ne_u16_e32 vcc_lo, 0x80, v1
	s_and_b32 s44, vcc_lo, exec_lo
	s_and_not1_saveexec_b32 s43, s43
	s_cbranch_execnz .LBB332_468
.LBB332_452:
	s_or_b32 exec_lo, exec_lo, s43
	v_mov_b32_e32 v4, 0
	s_and_saveexec_b32 s43, s44
	s_cbranch_execz .LBB332_454
.LBB332_453:
	v_and_b32_e32 v3, 0xffff, v1
	s_delay_alu instid0(VALU_DEP_1) | instskip(SKIP_1) | instid1(VALU_DEP_2)
	v_and_b32_e32 v4, 7, v3
	v_bfe_u32 v10, v3, 3, 4
	v_clz_i32_u32_e32 v5, v4
	s_delay_alu instid0(VALU_DEP_2) | instskip(NEXT) | instid1(VALU_DEP_2)
	v_cmp_eq_u32_e32 vcc_lo, 0, v10
	v_min_u32_e32 v5, 32, v5
	s_delay_alu instid0(VALU_DEP_1) | instskip(NEXT) | instid1(VALU_DEP_1)
	v_subrev_nc_u32_e32 v7, 28, v5
	v_dual_lshlrev_b32 v3, v7, v3 :: v_dual_sub_nc_u32 v5, 29, v5
	s_delay_alu instid0(VALU_DEP_1) | instskip(NEXT) | instid1(VALU_DEP_1)
	v_dual_lshlrev_b32 v1, 24, v1 :: v_dual_bitop2_b32 v3, 7, v3 bitop3:0x40
	v_dual_cndmask_b32 v3, v4, v3, vcc_lo :: v_dual_cndmask_b32 v5, v10, v5, vcc_lo
	s_delay_alu instid0(VALU_DEP_2) | instskip(NEXT) | instid1(VALU_DEP_2)
	v_and_b32_e32 v1, 0x80000000, v1
	v_lshlrev_b32_e32 v3, 20, v3
	s_delay_alu instid0(VALU_DEP_3) | instskip(NEXT) | instid1(VALU_DEP_1)
	v_lshl_add_u32 v4, v5, 23, 0x3b800000
	v_or3_b32 v1, v1, v4, v3
	s_delay_alu instid0(VALU_DEP_1)
	v_cvt_u32_f32_e32 v4, v1
.LBB332_454:
	s_or_b32 exec_lo, exec_lo, s43
.LBB332_455:
	s_mov_b32 s43, -1
.LBB332_456:
	s_mov_b32 s44, 0
.LBB332_457:
	s_delay_alu instid0(SALU_CYCLE_1)
	s_and_b32 vcc_lo, exec_lo, s44
	s_cbranch_vccz .LBB332_490
; %bb.458:
	s_cmp_gt_i32 s27, 22
	s_cbranch_scc0 .LBB332_466
; %bb.459:
	s_cmp_lt_i32 s27, 24
	s_cbranch_scc1 .LBB332_469
; %bb.460:
	s_cmp_gt_i32 s27, 24
	s_cbranch_scc0 .LBB332_470
; %bb.461:
	global_load_u8 v1, v[8:9], off
	s_mov_b32 s44, 0
	s_mov_b32 s43, exec_lo
	s_wait_loadcnt 0x0
	v_cmpx_lt_i16_e32 0x7f, v1
	s_xor_b32 s43, exec_lo, s43
	s_cbranch_execz .LBB332_482
; %bb.462:
	v_cmp_ne_u16_e32 vcc_lo, 0x80, v1
	s_and_b32 s44, vcc_lo, exec_lo
	s_and_not1_saveexec_b32 s43, s43
	s_cbranch_execnz .LBB332_483
.LBB332_463:
	s_or_b32 exec_lo, exec_lo, s43
	v_mov_b32_e32 v4, 0
	s_and_saveexec_b32 s43, s44
	s_cbranch_execz .LBB332_465
.LBB332_464:
	v_and_b32_e32 v3, 0xffff, v1
	s_delay_alu instid0(VALU_DEP_1) | instskip(SKIP_1) | instid1(VALU_DEP_2)
	v_and_b32_e32 v4, 3, v3
	v_bfe_u32 v10, v3, 2, 5
	v_clz_i32_u32_e32 v5, v4
	s_delay_alu instid0(VALU_DEP_2) | instskip(NEXT) | instid1(VALU_DEP_2)
	v_cmp_eq_u32_e32 vcc_lo, 0, v10
	v_min_u32_e32 v5, 32, v5
	s_delay_alu instid0(VALU_DEP_1) | instskip(NEXT) | instid1(VALU_DEP_1)
	v_subrev_nc_u32_e32 v7, 29, v5
	v_dual_lshlrev_b32 v3, v7, v3 :: v_dual_sub_nc_u32 v5, 30, v5
	s_delay_alu instid0(VALU_DEP_1) | instskip(NEXT) | instid1(VALU_DEP_1)
	v_dual_lshlrev_b32 v1, 24, v1 :: v_dual_bitop2_b32 v3, 3, v3 bitop3:0x40
	v_dual_cndmask_b32 v3, v4, v3, vcc_lo :: v_dual_cndmask_b32 v5, v10, v5, vcc_lo
	s_delay_alu instid0(VALU_DEP_2) | instskip(NEXT) | instid1(VALU_DEP_2)
	v_and_b32_e32 v1, 0x80000000, v1
	v_lshlrev_b32_e32 v3, 21, v3
	s_delay_alu instid0(VALU_DEP_3) | instskip(NEXT) | instid1(VALU_DEP_1)
	v_lshl_add_u32 v4, v5, 23, 0x37800000
	v_or3_b32 v1, v1, v4, v3
	s_delay_alu instid0(VALU_DEP_1)
	v_cvt_u32_f32_e32 v4, v1
.LBB332_465:
	s_or_b32 exec_lo, exec_lo, s43
	s_mov_b32 s43, 0
	s_branch .LBB332_471
.LBB332_466:
	s_mov_b32 s44, -1
                                        ; implicit-def: $vgpr4
	s_branch .LBB332_477
.LBB332_467:
	s_and_not1_saveexec_b32 s43, s43
	s_cbranch_execz .LBB332_452
.LBB332_468:
	v_cmp_ne_u16_e32 vcc_lo, 0, v1
	s_and_not1_b32 s44, s44, exec_lo
	s_and_b32 s45, vcc_lo, exec_lo
	s_delay_alu instid0(SALU_CYCLE_1)
	s_or_b32 s44, s44, s45
	s_or_b32 exec_lo, exec_lo, s43
	v_mov_b32_e32 v4, 0
	s_and_saveexec_b32 s43, s44
	s_cbranch_execnz .LBB332_453
	s_branch .LBB332_454
.LBB332_469:
	s_mov_b32 s43, -1
                                        ; implicit-def: $vgpr4
	s_branch .LBB332_474
.LBB332_470:
	s_mov_b32 s43, -1
                                        ; implicit-def: $vgpr4
.LBB332_471:
	s_delay_alu instid0(SALU_CYCLE_1)
	s_and_b32 vcc_lo, exec_lo, s43
	s_cbranch_vccz .LBB332_473
; %bb.472:
	global_load_u8 v1, v[8:9], off
	s_wait_loadcnt 0x0
	v_lshlrev_b32_e32 v1, 24, v1
	s_delay_alu instid0(VALU_DEP_1) | instskip(NEXT) | instid1(VALU_DEP_1)
	v_and_b32_e32 v3, 0x7f000000, v1
	v_clz_i32_u32_e32 v4, v3
	v_add_nc_u32_e32 v7, 0x1000000, v3
	v_cmp_ne_u32_e32 vcc_lo, 0, v3
	s_delay_alu instid0(VALU_DEP_3) | instskip(NEXT) | instid1(VALU_DEP_1)
	v_min_u32_e32 v4, 32, v4
	v_sub_nc_u32_e64 v4, v4, 4 clamp
	s_delay_alu instid0(VALU_DEP_1) | instskip(NEXT) | instid1(VALU_DEP_1)
	v_dual_lshlrev_b32 v5, v4, v3 :: v_dual_lshlrev_b32 v4, 23, v4
	v_lshrrev_b32_e32 v5, 4, v5
	s_delay_alu instid0(VALU_DEP_1) | instskip(NEXT) | instid1(VALU_DEP_1)
	v_dual_sub_nc_u32 v4, v5, v4 :: v_dual_ashrrev_i32 v5, 8, v7
	v_add_nc_u32_e32 v4, 0x3c000000, v4
	s_delay_alu instid0(VALU_DEP_1) | instskip(NEXT) | instid1(VALU_DEP_1)
	v_and_or_b32 v4, 0x7f800000, v5, v4
	v_cndmask_b32_e32 v3, 0, v4, vcc_lo
	s_delay_alu instid0(VALU_DEP_1) | instskip(NEXT) | instid1(VALU_DEP_1)
	v_and_or_b32 v1, 0x80000000, v1, v3
	v_cvt_u32_f32_e32 v4, v1
.LBB332_473:
	s_mov_b32 s43, 0
.LBB332_474:
	s_delay_alu instid0(SALU_CYCLE_1)
	s_and_not1_b32 vcc_lo, exec_lo, s43
	s_cbranch_vccnz .LBB332_476
; %bb.475:
	global_load_u8 v1, v[8:9], off
	s_wait_loadcnt 0x0
	v_lshlrev_b32_e32 v3, 25, v1
	v_lshlrev_b16 v1, 8, v1
	s_delay_alu instid0(VALU_DEP_1) | instskip(NEXT) | instid1(VALU_DEP_3)
	v_and_or_b32 v5, 0x7f00, v1, 0.5
	v_lshrrev_b32_e32 v4, 4, v3
	v_bfe_i32 v1, v1, 0, 16
	s_delay_alu instid0(VALU_DEP_3) | instskip(NEXT) | instid1(VALU_DEP_3)
	v_add_f32_e32 v5, -0.5, v5
	v_or_b32_e32 v4, 0x70000000, v4
	s_delay_alu instid0(VALU_DEP_1) | instskip(SKIP_1) | instid1(VALU_DEP_2)
	v_mul_f32_e32 v4, 0x7800000, v4
	v_cmp_gt_u32_e32 vcc_lo, 0x8000000, v3
	v_cndmask_b32_e32 v3, v4, v5, vcc_lo
	s_delay_alu instid0(VALU_DEP_1) | instskip(NEXT) | instid1(VALU_DEP_1)
	v_and_or_b32 v1, 0x80000000, v1, v3
	v_cvt_u32_f32_e32 v4, v1
.LBB332_476:
	s_mov_b32 s44, 0
	s_mov_b32 s43, -1
.LBB332_477:
	s_and_not1_b32 vcc_lo, exec_lo, s44
	s_cbranch_vccnz .LBB332_490
; %bb.478:
	s_cmp_gt_i32 s27, 14
	s_cbranch_scc0 .LBB332_481
; %bb.479:
	s_cmp_eq_u32 s27, 15
	s_cbranch_scc0 .LBB332_484
; %bb.480:
	global_load_u16 v1, v[8:9], off
	s_mov_b32 s43, -1
	s_mov_b32 s26, 0
	s_wait_loadcnt 0x0
	v_lshlrev_b32_e32 v1, 16, v1
	s_delay_alu instid0(VALU_DEP_1)
	v_cvt_u32_f32_e32 v4, v1
	s_branch .LBB332_485
.LBB332_481:
	s_mov_b32 s44, -1
                                        ; implicit-def: $vgpr4
	s_branch .LBB332_486
.LBB332_482:
	s_and_not1_saveexec_b32 s43, s43
	s_cbranch_execz .LBB332_463
.LBB332_483:
	v_cmp_ne_u16_e32 vcc_lo, 0, v1
	s_and_not1_b32 s44, s44, exec_lo
	s_and_b32 s45, vcc_lo, exec_lo
	s_delay_alu instid0(SALU_CYCLE_1)
	s_or_b32 s44, s44, s45
	s_or_b32 exec_lo, exec_lo, s43
	v_mov_b32_e32 v4, 0
	s_and_saveexec_b32 s43, s44
	s_cbranch_execnz .LBB332_464
	s_branch .LBB332_465
.LBB332_484:
	s_mov_b32 s26, -1
                                        ; implicit-def: $vgpr4
.LBB332_485:
	s_mov_b32 s44, 0
.LBB332_486:
	s_delay_alu instid0(SALU_CYCLE_1)
	s_and_b32 vcc_lo, exec_lo, s44
	s_cbranch_vccz .LBB332_490
; %bb.487:
	s_cmp_eq_u32 s27, 11
	s_cbranch_scc0 .LBB332_489
; %bb.488:
	global_load_u8 v1, v[8:9], off
	s_mov_b32 s26, 0
	s_mov_b32 s43, -1
	s_wait_loadcnt 0x0
	v_cmp_ne_u16_e32 vcc_lo, 0, v1
	v_cndmask_b32_e64 v4, 0, 1, vcc_lo
	s_branch .LBB332_490
.LBB332_489:
	s_mov_b32 s26, -1
                                        ; implicit-def: $vgpr4
.LBB332_490:
	s_branch .LBB332_409
.LBB332_491:
	s_and_b32 s0, 0xffff, s0
	s_delay_alu instid0(SALU_CYCLE_1)
	s_cmp_lt_i32 s0, 5
	s_cbranch_scc1 .LBB332_496
; %bb.492:
	s_cmp_lt_i32 s0, 8
	s_cbranch_scc1 .LBB332_497
; %bb.493:
	;; [unrolled: 3-line block ×3, first 2 shown]
	s_cmp_gt_i32 s0, 9
	s_cbranch_scc0 .LBB332_499
; %bb.495:
	s_wait_loadcnt 0x0
	global_load_b64 v[4:5], v[8:9], off
	s_mov_b32 s27, 0
	s_wait_loadcnt 0x0
	v_cvt_u32_f64_e32 v4, v[4:5]
	s_branch .LBB332_500
.LBB332_496:
	s_mov_b32 s27, -1
                                        ; implicit-def: $vgpr4
	s_branch .LBB332_518
.LBB332_497:
	s_mov_b32 s27, -1
                                        ; implicit-def: $vgpr4
	s_branch .LBB332_506
.LBB332_498:
	s_mov_b32 s27, -1
                                        ; implicit-def: $vgpr4
	s_branch .LBB332_503
.LBB332_499:
	s_mov_b32 s27, -1
                                        ; implicit-def: $vgpr4
.LBB332_500:
	s_delay_alu instid0(SALU_CYCLE_1)
	s_and_not1_b32 vcc_lo, exec_lo, s27
	s_cbranch_vccnz .LBB332_502
; %bb.501:
	global_load_b32 v1, v[8:9], off
	s_wait_loadcnt 0x0
	v_cvt_u32_f32_e32 v4, v1
.LBB332_502:
	s_mov_b32 s27, 0
.LBB332_503:
	s_delay_alu instid0(SALU_CYCLE_1)
	s_and_not1_b32 vcc_lo, exec_lo, s27
	s_cbranch_vccnz .LBB332_505
; %bb.504:
	global_load_b32 v1, v[8:9], off
	s_wait_loadcnt 0x0
	v_cvt_u16_f16_e32 v4, v1
.LBB332_505:
	s_mov_b32 s27, 0
.LBB332_506:
	s_delay_alu instid0(SALU_CYCLE_1)
	s_and_not1_b32 vcc_lo, exec_lo, s27
	s_cbranch_vccnz .LBB332_517
; %bb.507:
	s_cmp_lt_i32 s0, 6
	s_cbranch_scc1 .LBB332_510
; %bb.508:
	s_cmp_gt_i32 s0, 6
	s_cbranch_scc0 .LBB332_511
; %bb.509:
	s_wait_loadcnt 0x0
	global_load_b64 v[4:5], v[8:9], off
	s_mov_b32 s27, 0
	s_wait_loadcnt 0x0
	v_cvt_u32_f64_e32 v4, v[4:5]
	s_branch .LBB332_512
.LBB332_510:
	s_mov_b32 s27, -1
                                        ; implicit-def: $vgpr4
	s_branch .LBB332_515
.LBB332_511:
	s_mov_b32 s27, -1
                                        ; implicit-def: $vgpr4
.LBB332_512:
	s_delay_alu instid0(SALU_CYCLE_1)
	s_and_not1_b32 vcc_lo, exec_lo, s27
	s_cbranch_vccnz .LBB332_514
; %bb.513:
	global_load_b32 v1, v[8:9], off
	s_wait_loadcnt 0x0
	v_cvt_u32_f32_e32 v4, v1
.LBB332_514:
	s_mov_b32 s27, 0
.LBB332_515:
	s_delay_alu instid0(SALU_CYCLE_1)
	s_and_not1_b32 vcc_lo, exec_lo, s27
	s_cbranch_vccnz .LBB332_517
; %bb.516:
	global_load_u16 v1, v[8:9], off
	s_wait_loadcnt 0x0
	v_cvt_u16_f16_e32 v4, v1
.LBB332_517:
	s_mov_b32 s27, 0
.LBB332_518:
	s_delay_alu instid0(SALU_CYCLE_1)
	s_and_not1_b32 vcc_lo, exec_lo, s27
	s_cbranch_vccnz .LBB332_538
; %bb.519:
	s_cmp_lt_i32 s0, 2
	s_cbranch_scc1 .LBB332_523
; %bb.520:
	s_cmp_lt_i32 s0, 3
	s_cbranch_scc1 .LBB332_524
; %bb.521:
	s_cmp_gt_i32 s0, 3
	s_cbranch_scc0 .LBB332_525
; %bb.522:
	s_wait_loadcnt 0x0
	global_load_b64 v[4:5], v[8:9], off
	s_mov_b32 s27, 0
	s_branch .LBB332_526
.LBB332_523:
	s_mov_b32 s27, -1
                                        ; implicit-def: $vgpr4
	s_branch .LBB332_532
.LBB332_524:
	s_mov_b32 s27, -1
                                        ; implicit-def: $vgpr4
	s_branch .LBB332_529
.LBB332_525:
	s_mov_b32 s27, -1
                                        ; implicit-def: $vgpr4
.LBB332_526:
	s_delay_alu instid0(SALU_CYCLE_1)
	s_and_not1_b32 vcc_lo, exec_lo, s27
	s_cbranch_vccnz .LBB332_528
; %bb.527:
	s_wait_loadcnt 0x0
	global_load_b32 v4, v[8:9], off
.LBB332_528:
	s_mov_b32 s27, 0
.LBB332_529:
	s_delay_alu instid0(SALU_CYCLE_1)
	s_and_not1_b32 vcc_lo, exec_lo, s27
	s_cbranch_vccnz .LBB332_531
; %bb.530:
	s_wait_loadcnt 0x0
	global_load_u16 v4, v[8:9], off
.LBB332_531:
	s_mov_b32 s27, 0
.LBB332_532:
	s_delay_alu instid0(SALU_CYCLE_1)
	s_and_not1_b32 vcc_lo, exec_lo, s27
	s_cbranch_vccnz .LBB332_538
; %bb.533:
	s_cmp_gt_i32 s0, 0
	s_mov_b32 s0, 0
	s_cbranch_scc0 .LBB332_535
; %bb.534:
	s_wait_loadcnt 0x0
	global_load_i8 v4, v[8:9], off
	s_branch .LBB332_536
.LBB332_535:
	s_mov_b32 s0, -1
                                        ; implicit-def: $vgpr4
.LBB332_536:
	s_delay_alu instid0(SALU_CYCLE_1)
	s_and_not1_b32 vcc_lo, exec_lo, s0
	s_cbranch_vccnz .LBB332_538
; %bb.537:
	s_wait_loadcnt 0x0
	global_load_u8 v4, v[8:9], off
.LBB332_538:
	s_branch .LBB332_410
.LBB332_539:
	s_mov_b32 s47, 0
	s_mov_b32 s0, s39
	s_mov_b32 s27, s40
	s_branch .LBB332_779
.LBB332_540:
	s_and_not1_saveexec_b32 s45, s45
	s_cbranch_execz .LBB332_200
.LBB332_541:
	v_add_f32_e32 v1, 0x42800000, v4
	s_and_not1_b32 s44, s44, exec_lo
	s_delay_alu instid0(VALU_DEP_1) | instskip(NEXT) | instid1(VALU_DEP_1)
	v_and_b32_e32 v1, 0xff, v1
	v_cmp_ne_u32_e32 vcc_lo, 0, v1
	s_and_b32 s46, vcc_lo, exec_lo
	s_delay_alu instid0(SALU_CYCLE_1)
	s_or_b32 s44, s44, s46
	s_or_b32 exec_lo, exec_lo, s45
	v_mov_b32_e32 v5, 0
	s_and_saveexec_b32 s45, s44
	s_cbranch_execnz .LBB332_201
	s_branch .LBB332_202
.LBB332_542:
	s_mov_b32 s27, -1
	s_mov_b32 s44, 0
.LBB332_543:
                                        ; implicit-def: $vgpr8
.LBB332_544:
	s_and_b32 vcc_lo, exec_lo, s45
	s_cbranch_vccz .LBB332_548
; %bb.545:
	s_cmp_eq_u32 s43, 44
	s_cbranch_scc0 .LBB332_547
; %bb.546:
	global_load_u8 v1, v[6:7], off
	s_mov_b32 s27, 0
	s_mov_b32 s44, -1
	s_wait_loadcnt 0x0
	v_lshlrev_b32_e32 v3, 23, v1
	v_cmp_ne_u32_e32 vcc_lo, 0, v1
	s_delay_alu instid0(VALU_DEP_2) | instskip(SKIP_1) | instid1(VALU_DEP_1)
	v_cvt_u32_f32_e32 v3, v3
	s_wait_xcnt 0x1
	v_cndmask_b32_e32 v8, 0, v3, vcc_lo
	s_branch .LBB332_548
.LBB332_547:
	s_mov_b32 s27, -1
                                        ; implicit-def: $vgpr8
.LBB332_548:
	s_mov_b32 s45, 0
.LBB332_549:
	s_delay_alu instid0(SALU_CYCLE_1)
	s_and_b32 vcc_lo, exec_lo, s45
	s_cbranch_vccz .LBB332_553
; %bb.550:
	s_cmp_eq_u32 s43, 29
	s_cbranch_scc0 .LBB332_552
; %bb.551:
	global_load_b64 v[8:9], v[6:7], off
	s_mov_b32 s44, -1
	s_mov_b32 s27, 0
	s_branch .LBB332_553
.LBB332_552:
	s_mov_b32 s27, -1
                                        ; implicit-def: $vgpr8
.LBB332_553:
	s_mov_b32 s45, 0
.LBB332_554:
	s_delay_alu instid0(SALU_CYCLE_1)
	s_and_b32 vcc_lo, exec_lo, s45
	s_cbranch_vccz .LBB332_570
; %bb.555:
	s_cmp_lt_i32 s43, 27
	s_cbranch_scc1 .LBB332_558
; %bb.556:
	s_cmp_gt_i32 s43, 27
	s_cbranch_scc0 .LBB332_559
; %bb.557:
	s_wait_loadcnt 0x0
	global_load_b32 v8, v[6:7], off
	s_mov_b32 s44, 0
	s_branch .LBB332_560
.LBB332_558:
	s_mov_b32 s44, -1
                                        ; implicit-def: $vgpr8
	s_branch .LBB332_563
.LBB332_559:
	s_mov_b32 s44, -1
                                        ; implicit-def: $vgpr8
.LBB332_560:
	s_delay_alu instid0(SALU_CYCLE_1)
	s_and_not1_b32 vcc_lo, exec_lo, s44
	s_cbranch_vccnz .LBB332_562
; %bb.561:
	s_wait_loadcnt 0x0
	global_load_u16 v8, v[6:7], off
.LBB332_562:
	s_mov_b32 s44, 0
.LBB332_563:
	s_delay_alu instid0(SALU_CYCLE_1)
	s_and_not1_b32 vcc_lo, exec_lo, s44
	s_cbranch_vccnz .LBB332_569
; %bb.564:
	global_load_u8 v1, v[6:7], off
	s_mov_b32 s45, 0
	s_mov_b32 s44, exec_lo
	s_wait_loadcnt 0x0
	v_cmpx_lt_i16_e32 0x7f, v1
	s_xor_b32 s44, exec_lo, s44
	s_cbranch_execz .LBB332_581
; %bb.565:
	v_cmp_ne_u16_e32 vcc_lo, 0x80, v1
	s_and_b32 s45, vcc_lo, exec_lo
	s_and_not1_saveexec_b32 s44, s44
	s_cbranch_execnz .LBB332_582
.LBB332_566:
	s_or_b32 exec_lo, exec_lo, s44
	v_mov_b32_e32 v8, 0
	s_and_saveexec_b32 s44, s45
	s_cbranch_execz .LBB332_568
.LBB332_567:
	v_and_b32_e32 v3, 0xffff, v1
	s_delay_alu instid0(VALU_DEP_1) | instskip(SKIP_1) | instid1(VALU_DEP_2)
	v_and_b32_e32 v5, 7, v3
	v_bfe_u32 v10, v3, 3, 4
	v_clz_i32_u32_e32 v8, v5
	s_delay_alu instid0(VALU_DEP_2) | instskip(NEXT) | instid1(VALU_DEP_2)
	v_cmp_eq_u32_e32 vcc_lo, 0, v10
	v_min_u32_e32 v8, 32, v8
	s_delay_alu instid0(VALU_DEP_1) | instskip(NEXT) | instid1(VALU_DEP_1)
	v_subrev_nc_u32_e32 v9, 28, v8
	v_dual_lshlrev_b32 v3, v9, v3 :: v_dual_sub_nc_u32 v8, 29, v8
	s_delay_alu instid0(VALU_DEP_1) | instskip(NEXT) | instid1(VALU_DEP_1)
	v_dual_lshlrev_b32 v1, 24, v1 :: v_dual_bitop2_b32 v3, 7, v3 bitop3:0x40
	v_dual_cndmask_b32 v8, v10, v8 :: v_dual_cndmask_b32 v3, v5, v3
	s_delay_alu instid0(VALU_DEP_2) | instskip(NEXT) | instid1(VALU_DEP_2)
	v_and_b32_e32 v1, 0x80000000, v1
	v_lshl_add_u32 v5, v8, 23, 0x3b800000
	s_delay_alu instid0(VALU_DEP_3) | instskip(NEXT) | instid1(VALU_DEP_1)
	v_lshlrev_b32_e32 v3, 20, v3
	v_or3_b32 v1, v1, v5, v3
	s_delay_alu instid0(VALU_DEP_1)
	v_cvt_u32_f32_e32 v8, v1
.LBB332_568:
	s_or_b32 exec_lo, exec_lo, s44
.LBB332_569:
	s_mov_b32 s44, -1
.LBB332_570:
	s_mov_b32 s45, 0
.LBB332_571:
	s_delay_alu instid0(SALU_CYCLE_1)
	s_and_b32 vcc_lo, exec_lo, s45
	s_cbranch_vccz .LBB332_604
; %bb.572:
	s_cmp_gt_i32 s43, 22
	s_cbranch_scc0 .LBB332_580
; %bb.573:
	s_cmp_lt_i32 s43, 24
	s_cbranch_scc1 .LBB332_583
; %bb.574:
	s_cmp_gt_i32 s43, 24
	s_cbranch_scc0 .LBB332_584
; %bb.575:
	global_load_u8 v1, v[6:7], off
	s_mov_b32 s45, 0
	s_mov_b32 s44, exec_lo
	s_wait_loadcnt 0x0
	v_cmpx_lt_i16_e32 0x7f, v1
	s_xor_b32 s44, exec_lo, s44
	s_cbranch_execz .LBB332_596
; %bb.576:
	v_cmp_ne_u16_e32 vcc_lo, 0x80, v1
	s_and_b32 s45, vcc_lo, exec_lo
	s_and_not1_saveexec_b32 s44, s44
	s_cbranch_execnz .LBB332_597
.LBB332_577:
	s_or_b32 exec_lo, exec_lo, s44
	v_mov_b32_e32 v8, 0
	s_and_saveexec_b32 s44, s45
	s_cbranch_execz .LBB332_579
.LBB332_578:
	v_and_b32_e32 v3, 0xffff, v1
	s_delay_alu instid0(VALU_DEP_1) | instskip(SKIP_1) | instid1(VALU_DEP_2)
	v_and_b32_e32 v5, 3, v3
	v_bfe_u32 v10, v3, 2, 5
	v_clz_i32_u32_e32 v8, v5
	s_delay_alu instid0(VALU_DEP_2) | instskip(NEXT) | instid1(VALU_DEP_2)
	v_cmp_eq_u32_e32 vcc_lo, 0, v10
	v_min_u32_e32 v8, 32, v8
	s_delay_alu instid0(VALU_DEP_1) | instskip(NEXT) | instid1(VALU_DEP_1)
	v_subrev_nc_u32_e32 v9, 29, v8
	v_dual_lshlrev_b32 v3, v9, v3 :: v_dual_sub_nc_u32 v8, 30, v8
	s_delay_alu instid0(VALU_DEP_1) | instskip(NEXT) | instid1(VALU_DEP_1)
	v_dual_lshlrev_b32 v1, 24, v1 :: v_dual_bitop2_b32 v3, 3, v3 bitop3:0x40
	v_dual_cndmask_b32 v8, v10, v8 :: v_dual_cndmask_b32 v3, v5, v3
	s_delay_alu instid0(VALU_DEP_2) | instskip(NEXT) | instid1(VALU_DEP_2)
	v_and_b32_e32 v1, 0x80000000, v1
	v_lshl_add_u32 v5, v8, 23, 0x37800000
	s_delay_alu instid0(VALU_DEP_3) | instskip(NEXT) | instid1(VALU_DEP_1)
	v_lshlrev_b32_e32 v3, 21, v3
	v_or3_b32 v1, v1, v5, v3
	s_delay_alu instid0(VALU_DEP_1)
	v_cvt_u32_f32_e32 v8, v1
.LBB332_579:
	s_or_b32 exec_lo, exec_lo, s44
	s_mov_b32 s44, 0
	s_branch .LBB332_585
.LBB332_580:
	s_mov_b32 s45, -1
                                        ; implicit-def: $vgpr8
	s_branch .LBB332_591
.LBB332_581:
	s_and_not1_saveexec_b32 s44, s44
	s_cbranch_execz .LBB332_566
.LBB332_582:
	v_cmp_ne_u16_e32 vcc_lo, 0, v1
	s_and_not1_b32 s45, s45, exec_lo
	s_and_b32 s47, vcc_lo, exec_lo
	s_delay_alu instid0(SALU_CYCLE_1)
	s_or_b32 s45, s45, s47
	s_or_b32 exec_lo, exec_lo, s44
	v_mov_b32_e32 v8, 0
	s_and_saveexec_b32 s44, s45
	s_cbranch_execnz .LBB332_567
	s_branch .LBB332_568
.LBB332_583:
	s_mov_b32 s44, -1
                                        ; implicit-def: $vgpr8
	s_branch .LBB332_588
.LBB332_584:
	s_mov_b32 s44, -1
                                        ; implicit-def: $vgpr8
.LBB332_585:
	s_delay_alu instid0(SALU_CYCLE_1)
	s_and_b32 vcc_lo, exec_lo, s44
	s_cbranch_vccz .LBB332_587
; %bb.586:
	global_load_u8 v1, v[6:7], off
	s_wait_loadcnt 0x0
	v_lshlrev_b32_e32 v1, 24, v1
	s_delay_alu instid0(VALU_DEP_1) | instskip(NEXT) | instid1(VALU_DEP_1)
	v_and_b32_e32 v3, 0x7f000000, v1
	v_clz_i32_u32_e32 v5, v3
	s_wait_xcnt 0x1
	v_add_nc_u32_e32 v9, 0x1000000, v3
	v_cmp_ne_u32_e32 vcc_lo, 0, v3
	s_delay_alu instid0(VALU_DEP_3) | instskip(NEXT) | instid1(VALU_DEP_1)
	v_min_u32_e32 v5, 32, v5
	v_sub_nc_u32_e64 v5, v5, 4 clamp
	s_delay_alu instid0(VALU_DEP_1) | instskip(NEXT) | instid1(VALU_DEP_1)
	v_dual_lshlrev_b32 v8, v5, v3 :: v_dual_lshlrev_b32 v5, 23, v5
	v_lshrrev_b32_e32 v8, 4, v8
	s_delay_alu instid0(VALU_DEP_1) | instskip(SKIP_1) | instid1(VALU_DEP_2)
	v_sub_nc_u32_e32 v5, v8, v5
	v_ashrrev_i32_e32 v8, 8, v9
	v_add_nc_u32_e32 v5, 0x3c000000, v5
	s_delay_alu instid0(VALU_DEP_1) | instskip(NEXT) | instid1(VALU_DEP_1)
	v_and_or_b32 v5, 0x7f800000, v8, v5
	v_cndmask_b32_e32 v3, 0, v5, vcc_lo
	s_delay_alu instid0(VALU_DEP_1) | instskip(NEXT) | instid1(VALU_DEP_1)
	v_and_or_b32 v1, 0x80000000, v1, v3
	v_cvt_u32_f32_e32 v8, v1
.LBB332_587:
	s_mov_b32 s44, 0
.LBB332_588:
	s_delay_alu instid0(SALU_CYCLE_1)
	s_and_not1_b32 vcc_lo, exec_lo, s44
	s_cbranch_vccnz .LBB332_590
; %bb.589:
	global_load_u8 v1, v[6:7], off
	s_wait_loadcnt 0x0
	v_lshlrev_b32_e32 v3, 25, v1
	v_lshlrev_b16 v1, 8, v1
	s_wait_xcnt 0x1
	s_delay_alu instid0(VALU_DEP_1) | instskip(SKIP_1) | instid1(VALU_DEP_2)
	v_and_or_b32 v8, 0x7f00, v1, 0.5
	v_bfe_i32 v1, v1, 0, 16
	v_dual_add_f32 v8, -0.5, v8 :: v_dual_lshrrev_b32 v5, 4, v3
	v_cmp_gt_u32_e32 vcc_lo, 0x8000000, v3
	s_delay_alu instid0(VALU_DEP_2) | instskip(NEXT) | instid1(VALU_DEP_1)
	v_or_b32_e32 v5, 0x70000000, v5
	v_mul_f32_e32 v5, 0x7800000, v5
	s_delay_alu instid0(VALU_DEP_1) | instskip(NEXT) | instid1(VALU_DEP_1)
	v_cndmask_b32_e32 v3, v5, v8, vcc_lo
	v_and_or_b32 v1, 0x80000000, v1, v3
	s_delay_alu instid0(VALU_DEP_1)
	v_cvt_u32_f32_e32 v8, v1
.LBB332_590:
	s_mov_b32 s45, 0
	s_mov_b32 s44, -1
.LBB332_591:
	s_and_not1_b32 vcc_lo, exec_lo, s45
	s_cbranch_vccnz .LBB332_604
; %bb.592:
	s_cmp_gt_i32 s43, 14
	s_cbranch_scc0 .LBB332_595
; %bb.593:
	s_cmp_eq_u32 s43, 15
	s_cbranch_scc0 .LBB332_598
; %bb.594:
	global_load_u16 v1, v[6:7], off
	s_mov_b32 s44, -1
	s_mov_b32 s27, 0
	s_wait_loadcnt 0x0
	v_lshlrev_b32_e32 v1, 16, v1
	s_wait_xcnt 0x1
	s_delay_alu instid0(VALU_DEP_1)
	v_cvt_u32_f32_e32 v8, v1
	s_branch .LBB332_599
.LBB332_595:
	s_mov_b32 s45, -1
                                        ; implicit-def: $vgpr8
	s_branch .LBB332_600
.LBB332_596:
	s_and_not1_saveexec_b32 s44, s44
	s_cbranch_execz .LBB332_577
.LBB332_597:
	v_cmp_ne_u16_e32 vcc_lo, 0, v1
	s_and_not1_b32 s45, s45, exec_lo
	s_and_b32 s47, vcc_lo, exec_lo
	s_delay_alu instid0(SALU_CYCLE_1)
	s_or_b32 s45, s45, s47
	s_or_b32 exec_lo, exec_lo, s44
	v_mov_b32_e32 v8, 0
	s_and_saveexec_b32 s44, s45
	s_cbranch_execnz .LBB332_578
	s_branch .LBB332_579
.LBB332_598:
	s_mov_b32 s27, -1
                                        ; implicit-def: $vgpr8
.LBB332_599:
	s_mov_b32 s45, 0
.LBB332_600:
	s_delay_alu instid0(SALU_CYCLE_1)
	s_and_b32 vcc_lo, exec_lo, s45
	s_cbranch_vccz .LBB332_604
; %bb.601:
	s_cmp_eq_u32 s43, 11
	s_cbranch_scc0 .LBB332_603
; %bb.602:
	global_load_u8 v1, v[6:7], off
	s_mov_b32 s27, 0
	s_mov_b32 s44, -1
	s_wait_loadcnt 0x0
	v_cmp_ne_u16_e32 vcc_lo, 0, v1
	s_wait_xcnt 0x1
	v_cndmask_b32_e64 v8, 0, 1, vcc_lo
	s_branch .LBB332_604
.LBB332_603:
	s_mov_b32 s27, -1
                                        ; implicit-def: $vgpr8
.LBB332_604:
	s_mov_b32 s43, 0
.LBB332_605:
	s_delay_alu instid0(SALU_CYCLE_1)
	s_and_b32 vcc_lo, exec_lo, s43
	s_cbranch_vccz .LBB332_654
; %bb.606:
	s_and_b32 s0, 0xffff, s0
	s_delay_alu instid0(SALU_CYCLE_1)
	s_cmp_lt_i32 s0, 5
	s_cbranch_scc1 .LBB332_611
; %bb.607:
	s_cmp_lt_i32 s0, 8
	s_cbranch_scc1 .LBB332_612
; %bb.608:
	s_cmp_lt_i32 s0, 9
	s_cbranch_scc1 .LBB332_613
; %bb.609:
	s_cmp_gt_i32 s0, 9
	s_cbranch_scc0 .LBB332_614
; %bb.610:
	s_wait_loadcnt 0x0
	global_load_b64 v[8:9], v[6:7], off
	s_mov_b32 s43, 0
	s_wait_loadcnt 0x0
	v_cvt_u32_f64_e32 v8, v[8:9]
	s_branch .LBB332_615
.LBB332_611:
	s_mov_b32 s43, -1
                                        ; implicit-def: $vgpr8
	s_branch .LBB332_633
.LBB332_612:
	s_mov_b32 s43, -1
                                        ; implicit-def: $vgpr8
	s_branch .LBB332_621
.LBB332_613:
	s_mov_b32 s43, -1
                                        ; implicit-def: $vgpr8
	s_branch .LBB332_618
.LBB332_614:
	s_mov_b32 s43, -1
                                        ; implicit-def: $vgpr8
.LBB332_615:
	s_delay_alu instid0(SALU_CYCLE_1)
	s_and_not1_b32 vcc_lo, exec_lo, s43
	s_cbranch_vccnz .LBB332_617
; %bb.616:
	global_load_b32 v1, v[6:7], off
	s_wait_loadcnt 0x0
	s_wait_xcnt 0x1
	v_cvt_u32_f32_e32 v8, v1
.LBB332_617:
	s_mov_b32 s43, 0
.LBB332_618:
	s_delay_alu instid0(SALU_CYCLE_1)
	s_and_not1_b32 vcc_lo, exec_lo, s43
	s_cbranch_vccnz .LBB332_620
; %bb.619:
	global_load_b32 v1, v[6:7], off
	s_wait_loadcnt 0x0
	s_wait_xcnt 0x1
	v_cvt_u16_f16_e32 v8, v1
.LBB332_620:
	s_mov_b32 s43, 0
.LBB332_621:
	s_delay_alu instid0(SALU_CYCLE_1)
	s_and_not1_b32 vcc_lo, exec_lo, s43
	s_cbranch_vccnz .LBB332_632
; %bb.622:
	s_cmp_lt_i32 s0, 6
	s_cbranch_scc1 .LBB332_625
; %bb.623:
	s_cmp_gt_i32 s0, 6
	s_cbranch_scc0 .LBB332_626
; %bb.624:
	s_wait_loadcnt 0x0
	global_load_b64 v[8:9], v[6:7], off
	s_mov_b32 s43, 0
	s_wait_loadcnt 0x0
	v_cvt_u32_f64_e32 v8, v[8:9]
	s_branch .LBB332_627
.LBB332_625:
	s_mov_b32 s43, -1
                                        ; implicit-def: $vgpr8
	s_branch .LBB332_630
.LBB332_626:
	s_mov_b32 s43, -1
                                        ; implicit-def: $vgpr8
.LBB332_627:
	s_delay_alu instid0(SALU_CYCLE_1)
	s_and_not1_b32 vcc_lo, exec_lo, s43
	s_cbranch_vccnz .LBB332_629
; %bb.628:
	global_load_b32 v1, v[6:7], off
	s_wait_loadcnt 0x0
	s_wait_xcnt 0x1
	v_cvt_u32_f32_e32 v8, v1
.LBB332_629:
	s_mov_b32 s43, 0
.LBB332_630:
	s_delay_alu instid0(SALU_CYCLE_1)
	s_and_not1_b32 vcc_lo, exec_lo, s43
	s_cbranch_vccnz .LBB332_632
; %bb.631:
	global_load_u16 v1, v[6:7], off
	s_wait_loadcnt 0x0
	s_wait_xcnt 0x1
	v_cvt_u16_f16_e32 v8, v1
.LBB332_632:
	s_mov_b32 s43, 0
.LBB332_633:
	s_delay_alu instid0(SALU_CYCLE_1)
	s_and_not1_b32 vcc_lo, exec_lo, s43
	s_cbranch_vccnz .LBB332_653
; %bb.634:
	s_cmp_lt_i32 s0, 2
	s_cbranch_scc1 .LBB332_638
; %bb.635:
	s_cmp_lt_i32 s0, 3
	s_cbranch_scc1 .LBB332_639
; %bb.636:
	s_cmp_gt_i32 s0, 3
	s_cbranch_scc0 .LBB332_640
; %bb.637:
	s_wait_loadcnt 0x0
	global_load_b64 v[8:9], v[6:7], off
	s_mov_b32 s43, 0
	s_branch .LBB332_641
.LBB332_638:
	s_mov_b32 s43, -1
                                        ; implicit-def: $vgpr8
	s_branch .LBB332_647
.LBB332_639:
	s_mov_b32 s43, -1
                                        ; implicit-def: $vgpr8
	s_branch .LBB332_644
.LBB332_640:
	s_mov_b32 s43, -1
                                        ; implicit-def: $vgpr8
.LBB332_641:
	s_delay_alu instid0(SALU_CYCLE_1)
	s_and_not1_b32 vcc_lo, exec_lo, s43
	s_cbranch_vccnz .LBB332_643
; %bb.642:
	s_wait_loadcnt 0x0
	global_load_b32 v8, v[6:7], off
.LBB332_643:
	s_mov_b32 s43, 0
.LBB332_644:
	s_delay_alu instid0(SALU_CYCLE_1)
	s_and_not1_b32 vcc_lo, exec_lo, s43
	s_cbranch_vccnz .LBB332_646
; %bb.645:
	s_wait_loadcnt 0x0
	global_load_u16 v8, v[6:7], off
.LBB332_646:
	s_mov_b32 s43, 0
.LBB332_647:
	s_delay_alu instid0(SALU_CYCLE_1)
	s_and_not1_b32 vcc_lo, exec_lo, s43
	s_cbranch_vccnz .LBB332_653
; %bb.648:
	s_cmp_gt_i32 s0, 0
	s_mov_b32 s0, 0
	s_cbranch_scc0 .LBB332_650
; %bb.649:
	s_wait_loadcnt 0x0
	global_load_i8 v8, v[6:7], off
	s_branch .LBB332_651
.LBB332_650:
	s_mov_b32 s0, -1
                                        ; implicit-def: $vgpr8
.LBB332_651:
	s_delay_alu instid0(SALU_CYCLE_1)
	s_and_not1_b32 vcc_lo, exec_lo, s0
	s_cbranch_vccnz .LBB332_653
; %bb.652:
	s_wait_loadcnt 0x0
	global_load_u8 v8, v[6:7], off
.LBB332_653:
	s_mov_b32 s44, -1
.LBB332_654:
	s_delay_alu instid0(SALU_CYCLE_1)
	s_and_not1_b32 vcc_lo, exec_lo, s44
	s_cbranch_vccnz .LBB332_662
; %bb.655:
	v_mov_b32_e32 v3, 0
	s_wait_loadcnt 0x0
	s_delay_alu instid0(VALU_DEP_2) | instskip(SKIP_1) | instid1(VALU_DEP_2)
	v_cmp_ne_u16_e32 vcc_lo, v4, v8
	s_and_b32 s44, s11, 0xff
	v_add_nc_u64_e32 v[2:3], s[4:5], v[2:3]
	s_xor_b32 s43, s10, vcc_lo
	s_cmp_lt_i32 s44, 11
	s_cbranch_scc1 .LBB332_663
; %bb.656:
	s_and_b32 s45, 0xffff, s44
	s_delay_alu instid0(SALU_CYCLE_1)
	s_cmp_gt_i32 s45, 25
	s_cbranch_scc0 .LBB332_664
; %bb.657:
	s_cmp_gt_i32 s45, 28
	s_cbranch_scc0 .LBB332_665
; %bb.658:
	;; [unrolled: 3-line block ×4, first 2 shown]
	s_mov_b32 s48, 0
	s_mov_b32 s0, -1
	s_cmp_eq_u32 s45, 46
	s_mov_b32 s47, 0
	s_cbranch_scc0 .LBB332_668
; %bb.661:
	v_cndmask_b32_e64 v1, 0, 1.0, s43
	s_mov_b32 s47, -1
	s_mov_b32 s0, 0
	s_delay_alu instid0(VALU_DEP_1) | instskip(NEXT) | instid1(VALU_DEP_1)
	v_bfe_u32 v4, v1, 16, 1
	v_add3_u32 v1, v1, v4, 0x7fff
	s_delay_alu instid0(VALU_DEP_1)
	v_lshrrev_b32_e32 v1, 16, v1
	global_store_b32 v[2:3], v1, off
	s_branch .LBB332_668
.LBB332_662:
	s_mov_b32 s47, 0
	s_mov_b32 s0, s39
	s_branch .LBB332_779
.LBB332_663:
	s_mov_b32 s45, -1
	s_mov_b32 s47, 0
	s_mov_b32 s0, s39
	s_branch .LBB332_737
.LBB332_664:
	s_mov_b32 s48, -1
	s_mov_b32 s47, 0
	s_mov_b32 s0, s39
	s_branch .LBB332_695
.LBB332_665:
	s_mov_b32 s48, -1
	s_mov_b32 s47, 0
	s_mov_b32 s0, s39
	s_branch .LBB332_678
.LBB332_666:
	s_mov_b32 s48, -1
	s_mov_b32 s47, 0
	s_mov_b32 s0, s39
	s_branch .LBB332_674
.LBB332_667:
	s_mov_b32 s48, -1
	s_mov_b32 s47, 0
	s_mov_b32 s0, s39
.LBB332_668:
	s_and_b32 vcc_lo, exec_lo, s48
	s_cbranch_vccz .LBB332_673
; %bb.669:
	s_cmp_eq_u32 s45, 44
	s_mov_b32 s0, -1
	s_cbranch_scc0 .LBB332_673
; %bb.670:
	v_cndmask_b32_e64 v5, 0, 1.0, s43
	s_mov_b32 s47, exec_lo
	s_wait_xcnt 0x0
	s_delay_alu instid0(VALU_DEP_1) | instskip(NEXT) | instid1(VALU_DEP_1)
	v_dual_mov_b32 v4, 0xff :: v_dual_lshrrev_b32 v1, 23, v5
	v_cmpx_ne_u32_e32 0xff, v1
; %bb.671:
	v_and_b32_e32 v4, 0x400000, v5
	v_and_or_b32 v5, 0x3fffff, v5, v1
	s_delay_alu instid0(VALU_DEP_2) | instskip(NEXT) | instid1(VALU_DEP_2)
	v_cmp_ne_u32_e32 vcc_lo, 0, v4
	v_cmp_ne_u32_e64 s0, 0, v5
	s_and_b32 s0, vcc_lo, s0
	s_delay_alu instid0(SALU_CYCLE_1) | instskip(NEXT) | instid1(VALU_DEP_1)
	v_cndmask_b32_e64 v4, 0, 1, s0
	v_add_nc_u32_e32 v4, v1, v4
; %bb.672:
	s_or_b32 exec_lo, exec_lo, s47
	s_mov_b32 s47, -1
	s_mov_b32 s0, 0
	global_store_b8 v[2:3], v4, off
.LBB332_673:
	s_mov_b32 s48, 0
.LBB332_674:
	s_delay_alu instid0(SALU_CYCLE_1)
	s_and_b32 vcc_lo, exec_lo, s48
	s_cbranch_vccz .LBB332_677
; %bb.675:
	s_cmp_eq_u32 s45, 29
	s_mov_b32 s0, -1
	s_cbranch_scc0 .LBB332_677
; %bb.676:
	s_mov_b32 s0, 0
	s_wait_xcnt 0x0
	v_cndmask_b32_e64 v4, 0, 1, s43
	v_mov_b32_e32 v5, s0
	s_mov_b32 s47, -1
	s_mov_b32 s48, 0
	global_store_b64 v[2:3], v[4:5], off
	s_branch .LBB332_678
.LBB332_677:
	s_mov_b32 s48, 0
.LBB332_678:
	s_delay_alu instid0(SALU_CYCLE_1)
	s_and_b32 vcc_lo, exec_lo, s48
	s_cbranch_vccz .LBB332_694
; %bb.679:
	s_cmp_lt_i32 s45, 27
	s_mov_b32 s47, -1
	s_cbranch_scc1 .LBB332_685
; %bb.680:
	s_cmp_gt_i32 s45, 27
	s_cbranch_scc0 .LBB332_682
; %bb.681:
	s_wait_xcnt 0x0
	v_cndmask_b32_e64 v1, 0, 1, s43
	s_mov_b32 s47, 0
	global_store_b32 v[2:3], v1, off
.LBB332_682:
	s_and_not1_b32 vcc_lo, exec_lo, s47
	s_cbranch_vccnz .LBB332_684
; %bb.683:
	s_wait_xcnt 0x0
	v_cndmask_b32_e64 v1, 0, 1, s43
	global_store_b16 v[2:3], v1, off
.LBB332_684:
	s_mov_b32 s47, 0
.LBB332_685:
	s_delay_alu instid0(SALU_CYCLE_1)
	s_and_not1_b32 vcc_lo, exec_lo, s47
	s_cbranch_vccnz .LBB332_693
; %bb.686:
	s_wait_xcnt 0x0
	v_cndmask_b32_e64 v4, 0, 1.0, s43
	v_mov_b32_e32 v5, 0x80
	s_mov_b32 s47, exec_lo
	s_delay_alu instid0(VALU_DEP_2)
	v_cmpx_gt_u32_e32 0x43800000, v4
	s_cbranch_execz .LBB332_692
; %bb.687:
	s_mov_b32 s48, 0
	s_mov_b32 s49, exec_lo
                                        ; implicit-def: $vgpr1
	v_cmpx_lt_u32_e32 0x3bffffff, v4
	s_xor_b32 s49, exec_lo, s49
	s_cbranch_execz .LBB332_807
; %bb.688:
	v_bfe_u32 v1, v4, 20, 1
	s_mov_b32 s48, exec_lo
	s_delay_alu instid0(VALU_DEP_1) | instskip(NEXT) | instid1(VALU_DEP_1)
	v_add3_u32 v1, v4, v1, 0x487ffff
                                        ; implicit-def: $vgpr4
	v_lshrrev_b32_e32 v1, 20, v1
	s_and_not1_saveexec_b32 s49, s49
	s_cbranch_execnz .LBB332_808
.LBB332_689:
	s_or_b32 exec_lo, exec_lo, s49
	v_mov_b32_e32 v5, 0
	s_and_saveexec_b32 s49, s48
.LBB332_690:
	v_mov_b32_e32 v5, v1
.LBB332_691:
	s_or_b32 exec_lo, exec_lo, s49
.LBB332_692:
	s_delay_alu instid0(SALU_CYCLE_1)
	s_or_b32 exec_lo, exec_lo, s47
	global_store_b8 v[2:3], v5, off
.LBB332_693:
	s_mov_b32 s47, -1
.LBB332_694:
	s_mov_b32 s48, 0
.LBB332_695:
	s_delay_alu instid0(SALU_CYCLE_1)
	s_and_b32 vcc_lo, exec_lo, s48
	s_cbranch_vccz .LBB332_736
; %bb.696:
	s_cmp_gt_i32 s45, 22
	s_mov_b32 s48, -1
	s_cbranch_scc0 .LBB332_728
; %bb.697:
	s_cmp_lt_i32 s45, 24
	s_mov_b32 s47, -1
	s_cbranch_scc1 .LBB332_717
; %bb.698:
	s_cmp_gt_i32 s45, 24
	s_cbranch_scc0 .LBB332_706
; %bb.699:
	s_wait_xcnt 0x0
	v_cndmask_b32_e64 v4, 0, 1.0, s43
	v_mov_b32_e32 v5, 0x80
	s_mov_b32 s47, exec_lo
	s_delay_alu instid0(VALU_DEP_2)
	v_cmpx_gt_u32_e32 0x47800000, v4
	s_cbranch_execz .LBB332_705
; %bb.700:
	s_mov_b32 s48, 0
	s_mov_b32 s49, exec_lo
                                        ; implicit-def: $vgpr1
	v_cmpx_lt_u32_e32 0x37ffffff, v4
	s_xor_b32 s49, exec_lo, s49
	s_cbranch_execz .LBB332_935
; %bb.701:
	v_bfe_u32 v1, v4, 21, 1
	s_mov_b32 s48, exec_lo
	s_delay_alu instid0(VALU_DEP_1) | instskip(NEXT) | instid1(VALU_DEP_1)
	v_add3_u32 v1, v4, v1, 0x88fffff
                                        ; implicit-def: $vgpr4
	v_lshrrev_b32_e32 v1, 21, v1
	s_and_not1_saveexec_b32 s49, s49
	s_cbranch_execnz .LBB332_936
.LBB332_702:
	s_or_b32 exec_lo, exec_lo, s49
	v_mov_b32_e32 v5, 0
	s_and_saveexec_b32 s49, s48
.LBB332_703:
	v_mov_b32_e32 v5, v1
.LBB332_704:
	s_or_b32 exec_lo, exec_lo, s49
.LBB332_705:
	s_delay_alu instid0(SALU_CYCLE_1)
	s_or_b32 exec_lo, exec_lo, s47
	s_mov_b32 s47, 0
	global_store_b8 v[2:3], v5, off
.LBB332_706:
	s_and_b32 vcc_lo, exec_lo, s47
	s_cbranch_vccz .LBB332_716
; %bb.707:
	s_wait_xcnt 0x0
	v_cndmask_b32_e64 v4, 0, 1.0, s43
	s_mov_b32 s47, exec_lo
                                        ; implicit-def: $vgpr1
	s_delay_alu instid0(VALU_DEP_1)
	v_cmpx_gt_u32_e32 0x43f00000, v4
	s_xor_b32 s47, exec_lo, s47
	s_cbranch_execz .LBB332_713
; %bb.708:
	s_mov_b32 s48, exec_lo
                                        ; implicit-def: $vgpr1
	v_cmpx_lt_u32_e32 0x3c7fffff, v4
	s_xor_b32 s48, exec_lo, s48
; %bb.709:
	v_bfe_u32 v1, v4, 20, 1
	s_delay_alu instid0(VALU_DEP_1) | instskip(NEXT) | instid1(VALU_DEP_1)
	v_add3_u32 v1, v4, v1, 0x407ffff
	v_and_b32_e32 v4, 0xff00000, v1
	v_lshrrev_b32_e32 v1, 20, v1
	s_delay_alu instid0(VALU_DEP_2) | instskip(NEXT) | instid1(VALU_DEP_2)
	v_cmp_ne_u32_e32 vcc_lo, 0x7f00000, v4
                                        ; implicit-def: $vgpr4
	v_cndmask_b32_e32 v1, 0x7e, v1, vcc_lo
; %bb.710:
	s_and_not1_saveexec_b32 s48, s48
; %bb.711:
	v_add_f32_e32 v1, 0x46800000, v4
; %bb.712:
	s_or_b32 exec_lo, exec_lo, s48
                                        ; implicit-def: $vgpr4
.LBB332_713:
	s_and_not1_saveexec_b32 s47, s47
; %bb.714:
	v_mov_b32_e32 v1, 0x7f
	v_cmp_lt_u32_e32 vcc_lo, 0x7f800000, v4
	s_delay_alu instid0(VALU_DEP_2)
	v_cndmask_b32_e32 v1, 0x7e, v1, vcc_lo
; %bb.715:
	s_or_b32 exec_lo, exec_lo, s47
	global_store_b8 v[2:3], v1, off
.LBB332_716:
	s_mov_b32 s47, 0
.LBB332_717:
	s_delay_alu instid0(SALU_CYCLE_1)
	s_and_not1_b32 vcc_lo, exec_lo, s47
	s_cbranch_vccnz .LBB332_727
; %bb.718:
	s_wait_xcnt 0x0
	v_cndmask_b32_e64 v4, 0, 1.0, s43
	s_mov_b32 s47, exec_lo
                                        ; implicit-def: $vgpr1
	s_delay_alu instid0(VALU_DEP_1)
	v_cmpx_gt_u32_e32 0x47800000, v4
	s_xor_b32 s47, exec_lo, s47
	s_cbranch_execz .LBB332_724
; %bb.719:
	s_mov_b32 s48, exec_lo
                                        ; implicit-def: $vgpr1
	v_cmpx_lt_u32_e32 0x387fffff, v4
	s_xor_b32 s48, exec_lo, s48
; %bb.720:
	v_bfe_u32 v1, v4, 21, 1
	s_delay_alu instid0(VALU_DEP_1) | instskip(NEXT) | instid1(VALU_DEP_1)
	v_add3_u32 v1, v4, v1, 0x80fffff
                                        ; implicit-def: $vgpr4
	v_lshrrev_b32_e32 v1, 21, v1
; %bb.721:
	s_and_not1_saveexec_b32 s48, s48
; %bb.722:
	v_add_f32_e32 v1, 0x43000000, v4
; %bb.723:
	s_or_b32 exec_lo, exec_lo, s48
                                        ; implicit-def: $vgpr4
.LBB332_724:
	s_and_not1_saveexec_b32 s47, s47
; %bb.725:
	v_mov_b32_e32 v1, 0x7f
	v_cmp_lt_u32_e32 vcc_lo, 0x7f800000, v4
	s_delay_alu instid0(VALU_DEP_2)
	v_cndmask_b32_e32 v1, 0x7c, v1, vcc_lo
; %bb.726:
	s_or_b32 exec_lo, exec_lo, s47
	global_store_b8 v[2:3], v1, off
.LBB332_727:
	s_mov_b32 s48, 0
	s_mov_b32 s47, -1
.LBB332_728:
	s_and_not1_b32 vcc_lo, exec_lo, s48
	s_cbranch_vccnz .LBB332_736
; %bb.729:
	s_cmp_gt_i32 s45, 14
	s_mov_b32 s48, -1
	s_cbranch_scc0 .LBB332_733
; %bb.730:
	s_cmp_eq_u32 s45, 15
	s_mov_b32 s0, -1
	s_cbranch_scc0 .LBB332_732
; %bb.731:
	s_wait_xcnt 0x0
	v_cndmask_b32_e64 v1, 0, 1.0, s43
	s_mov_b32 s47, -1
	s_mov_b32 s0, 0
	s_delay_alu instid0(VALU_DEP_1) | instskip(NEXT) | instid1(VALU_DEP_1)
	v_bfe_u32 v4, v1, 16, 1
	v_add3_u32 v1, v1, v4, 0x7fff
	global_store_d16_hi_b16 v[2:3], v1, off
.LBB332_732:
	s_mov_b32 s48, 0
.LBB332_733:
	s_delay_alu instid0(SALU_CYCLE_1)
	s_and_b32 vcc_lo, exec_lo, s48
	s_cbranch_vccz .LBB332_736
; %bb.734:
	s_cmp_eq_u32 s45, 11
	s_mov_b32 s0, -1
	s_cbranch_scc0 .LBB332_736
; %bb.735:
	s_wait_xcnt 0x0
	v_cndmask_b32_e64 v1, 0, 1, s43
	s_mov_b32 s47, -1
	s_mov_b32 s0, 0
	global_store_b8 v[2:3], v1, off
.LBB332_736:
	s_mov_b32 s45, 0
.LBB332_737:
	s_delay_alu instid0(SALU_CYCLE_1)
	s_and_b32 vcc_lo, exec_lo, s45
	s_cbranch_vccz .LBB332_776
; %bb.738:
	s_and_b32 s44, 0xffff, s44
	s_mov_b32 s45, -1
	s_cmp_lt_i32 s44, 5
	s_cbranch_scc1 .LBB332_759
; %bb.739:
	s_cmp_lt_i32 s44, 8
	s_cbranch_scc1 .LBB332_749
; %bb.740:
	;; [unrolled: 3-line block ×3, first 2 shown]
	s_cmp_gt_i32 s44, 9
	s_cbranch_scc0 .LBB332_743
; %bb.742:
	s_wait_xcnt 0x0
	v_cndmask_b32_e64 v1, 0, 1, s43
	v_mov_b32_e32 v6, 0
	s_mov_b32 s45, 0
	s_delay_alu instid0(VALU_DEP_2) | instskip(NEXT) | instid1(VALU_DEP_2)
	v_cvt_f64_u32_e32 v[4:5], v1
	v_mov_b32_e32 v7, v6
	global_store_b128 v[2:3], v[4:7], off
.LBB332_743:
	s_and_not1_b32 vcc_lo, exec_lo, s45
	s_cbranch_vccnz .LBB332_745
; %bb.744:
	s_wait_xcnt 0x0
	v_cndmask_b32_e64 v4, 0, 1.0, s43
	v_mov_b32_e32 v5, 0
	global_store_b64 v[2:3], v[4:5], off
.LBB332_745:
	s_mov_b32 s45, 0
.LBB332_746:
	s_delay_alu instid0(SALU_CYCLE_1)
	s_and_not1_b32 vcc_lo, exec_lo, s45
	s_cbranch_vccnz .LBB332_748
; %bb.747:
	s_wait_xcnt 0x0
	v_cndmask_b32_e64 v1, 0, 1.0, s43
	s_delay_alu instid0(VALU_DEP_1) | instskip(NEXT) | instid1(VALU_DEP_1)
	v_cvt_f16_f32_e32 v1, v1
	v_and_b32_e32 v1, 0xffff, v1
	global_store_b32 v[2:3], v1, off
.LBB332_748:
	s_mov_b32 s45, 0
.LBB332_749:
	s_delay_alu instid0(SALU_CYCLE_1)
	s_and_not1_b32 vcc_lo, exec_lo, s45
	s_cbranch_vccnz .LBB332_758
; %bb.750:
	s_cmp_lt_i32 s44, 6
	s_mov_b32 s45, -1
	s_cbranch_scc1 .LBB332_756
; %bb.751:
	s_cmp_gt_i32 s44, 6
	s_cbranch_scc0 .LBB332_753
; %bb.752:
	s_wait_xcnt 0x0
	v_cndmask_b32_e64 v1, 0, 1, s43
	s_mov_b32 s45, 0
	s_delay_alu instid0(VALU_DEP_1)
	v_cvt_f64_u32_e32 v[4:5], v1
	global_store_b64 v[2:3], v[4:5], off
.LBB332_753:
	s_and_not1_b32 vcc_lo, exec_lo, s45
	s_cbranch_vccnz .LBB332_755
; %bb.754:
	s_wait_xcnt 0x0
	v_cndmask_b32_e64 v1, 0, 1.0, s43
	global_store_b32 v[2:3], v1, off
.LBB332_755:
	s_mov_b32 s45, 0
.LBB332_756:
	s_delay_alu instid0(SALU_CYCLE_1)
	s_and_not1_b32 vcc_lo, exec_lo, s45
	s_cbranch_vccnz .LBB332_758
; %bb.757:
	s_wait_xcnt 0x0
	v_cndmask_b32_e64 v1, 0, 1.0, s43
	s_delay_alu instid0(VALU_DEP_1)
	v_cvt_f16_f32_e32 v1, v1
	global_store_b16 v[2:3], v1, off
.LBB332_758:
	s_mov_b32 s45, 0
.LBB332_759:
	s_delay_alu instid0(SALU_CYCLE_1)
	s_and_not1_b32 vcc_lo, exec_lo, s45
	s_cbranch_vccnz .LBB332_775
; %bb.760:
	s_cmp_lt_i32 s44, 2
	s_mov_b32 s45, -1
	s_cbranch_scc1 .LBB332_770
; %bb.761:
	s_cmp_lt_i32 s44, 3
	s_cbranch_scc1 .LBB332_767
; %bb.762:
	s_cmp_gt_i32 s44, 3
	s_cbranch_scc0 .LBB332_764
; %bb.763:
	s_mov_b32 s45, 0
	s_wait_xcnt 0x0
	v_cndmask_b32_e64 v4, 0, 1, s43
	v_mov_b32_e32 v5, s45
	global_store_b64 v[2:3], v[4:5], off
.LBB332_764:
	s_and_not1_b32 vcc_lo, exec_lo, s45
	s_cbranch_vccnz .LBB332_766
; %bb.765:
	s_wait_xcnt 0x0
	v_cndmask_b32_e64 v1, 0, 1, s43
	global_store_b32 v[2:3], v1, off
.LBB332_766:
	s_mov_b32 s45, 0
.LBB332_767:
	s_delay_alu instid0(SALU_CYCLE_1)
	s_and_not1_b32 vcc_lo, exec_lo, s45
	s_cbranch_vccnz .LBB332_769
; %bb.768:
	s_wait_xcnt 0x0
	v_cndmask_b32_e64 v1, 0, 1, s43
	global_store_b16 v[2:3], v1, off
.LBB332_769:
	s_mov_b32 s45, 0
.LBB332_770:
	s_delay_alu instid0(SALU_CYCLE_1)
	s_and_not1_b32 vcc_lo, exec_lo, s45
	s_cbranch_vccnz .LBB332_775
; %bb.771:
	s_wait_xcnt 0x0
	v_cndmask_b32_e64 v1, 0, 1, s43
	s_cmp_gt_i32 s44, 0
	s_mov_b32 s43, -1
	s_cbranch_scc0 .LBB332_773
; %bb.772:
	s_mov_b32 s43, 0
	global_store_b8 v[2:3], v1, off
.LBB332_773:
	s_and_not1_b32 vcc_lo, exec_lo, s43
	s_cbranch_vccnz .LBB332_775
; %bb.774:
	global_store_b8 v[2:3], v1, off
.LBB332_775:
	s_mov_b32 s47, -1
.LBB332_776:
	s_delay_alu instid0(SALU_CYCLE_1)
	s_and_not1_b32 vcc_lo, exec_lo, s47
	s_cbranch_vccnz .LBB332_778
; %bb.777:
	v_add_nc_u32_e32 v0, 0x80, v0
	s_mov_b32 s47, -1
	s_branch .LBB332_780
.LBB332_778:
	s_mov_b32 s47, 0
.LBB332_779:
                                        ; implicit-def: $vgpr0
.LBB332_780:
	s_and_not1_b32 s43, s39, exec_lo
	s_and_b32 s0, s0, exec_lo
	s_and_b32 s27, s27, exec_lo
	s_or_b32 s44, s43, s0
	s_and_not1_b32 s0, s40, exec_lo
	s_and_not1_b32 s43, s41, exec_lo
	s_and_b32 s26, s26, exec_lo
	s_or_b32 s45, s0, s27
	s_or_b32 s43, s43, s26
	s_or_not1_b32 s48, s47, exec_lo
.LBB332_781:
	s_wait_xcnt 0x0
	s_or_b32 exec_lo, exec_lo, s46
	s_mov_b32 s27, 0
	s_mov_b32 s47, 0
	;; [unrolled: 1-line block ×3, first 2 shown]
                                        ; implicit-def: $sgpr0
                                        ; implicit-def: $vgpr8_vgpr9
                                        ; implicit-def: $vgpr6
                                        ; implicit-def: $vgpr2
                                        ; implicit-def: $vgpr4
	s_and_saveexec_b32 s46, s48
	s_cbranch_execz .LBB332_1268
; %bb.782:
	s_mov_b32 s52, -1
	s_mov_b32 s48, s43
	s_mov_b32 s50, s45
	;; [unrolled: 1-line block ×3, first 2 shown]
	s_mov_b32 s47, exec_lo
	v_cmpx_gt_i32_e64 s37, v0
	s_cbranch_execz .LBB332_1176
; %bb.783:
	s_and_not1_b32 vcc_lo, exec_lo, s31
	s_cbranch_vccnz .LBB332_789
; %bb.784:
	s_and_not1_b32 vcc_lo, exec_lo, s38
	s_cbranch_vccnz .LBB332_790
; %bb.785:
	v_dual_mov_b32 v2, 0 :: v_dual_mov_b32 v1, v0
	s_wait_loadcnt 0x0
	v_dual_mov_b32 v4, 0 :: v_dual_mov_b32 v6, 0
	s_add_co_i32 s0, s36, 1
	s_mov_b64 s[26:27], 0xffffffffffffffe8
	s_and_b32 s0, s0, 30
	s_add_nc_u64 s[26:27], s[2:3], s[26:27]
.LBB332_786:                            ; =>This Inner Loop Header: Depth=1
	s_clause 0x1
	s_load_b128 s[48:51], s[26:27], 0x1c
	s_load_b64 s[56:57], s[26:27], 0x2c
	s_add_co_i32 s0, s0, -2
	s_delay_alu instid0(SALU_CYCLE_1) | instskip(SKIP_2) | instid1(VALU_DEP_1)
	s_cmp_eq_u32 s0, 0
	s_wait_kmcnt 0x0
	v_mul_hi_u32 v3, s49, v1
	v_add_nc_u32_e32 v3, v1, v3
	s_delay_alu instid0(VALU_DEP_1) | instskip(NEXT) | instid1(VALU_DEP_1)
	v_lshrrev_b32_e32 v3, s50, v3
	v_mul_hi_u32 v5, s56, v3
	v_mul_lo_u32 v7, v3, s48
	s_clause 0x1
	s_load_b128 s[52:55], s[26:27], 0xdc
	s_load_b64 s[48:49], s[26:27], 0xec
	s_wait_xcnt 0x0
	s_add_nc_u64 s[26:27], s[26:27], 24
	s_delay_alu instid0(VALU_DEP_1) | instskip(NEXT) | instid1(VALU_DEP_1)
	v_dual_add_nc_u32 v5, v3, v5 :: v_dual_sub_nc_u32 v7, v1, v7
	v_lshrrev_b32_e32 v1, s57, v5
	s_wait_kmcnt 0x0
	s_delay_alu instid0(VALU_DEP_2) | instskip(NEXT) | instid1(VALU_DEP_2)
	v_mad_u32 v2, v7, s52, v2
	v_mul_lo_u32 v5, v1, s51
	v_mad_u32 v6, v7, s54, v6
	v_mad_u32 v4, v7, s53, v4
	s_delay_alu instid0(VALU_DEP_3) | instskip(NEXT) | instid1(VALU_DEP_1)
	v_sub_nc_u32_e32 v3, v3, v5
	v_mad_u32 v2, v3, s55, v2
	s_delay_alu instid0(VALU_DEP_4) | instskip(NEXT) | instid1(VALU_DEP_4)
	v_mad_u32 v6, v3, s49, v6
	v_mad_u32 v4, v3, s48, v4
	s_cbranch_scc0 .LBB332_786
; %bb.787:
	s_bitcmp1_b32 s36, 0
	s_cselect_b32 s0, -1, 0
	s_delay_alu instid0(SALU_CYCLE_1)
	s_and_b32 vcc_lo, exec_lo, s0
	s_cbranch_vccnz .LBB332_791
; %bb.788:
	s_clause 0x1
	s_load_b96 s[48:50], s[26:27], 0x1c
	s_load_b96 s[52:54], s[26:27], 0xdc
	s_wait_kmcnt 0x0
	v_mul_hi_u32 v3, s49, v1
	s_delay_alu instid0(VALU_DEP_1) | instskip(NEXT) | instid1(VALU_DEP_1)
	v_add_nc_u32_e32 v3, v1, v3
	v_lshrrev_b32_e32 v3, s50, v3
	s_delay_alu instid0(VALU_DEP_1) | instskip(NEXT) | instid1(VALU_DEP_1)
	v_mul_lo_u32 v3, v3, s48
	v_sub_nc_u32_e32 v1, v1, v3
	s_delay_alu instid0(VALU_DEP_1)
	v_mad_u32 v2, v1, s52, v2
	v_mad_u32 v4, v1, s53, v4
	;; [unrolled: 1-line block ×3, first 2 shown]
	s_branch .LBB332_791
.LBB332_789:
	s_mov_b32 s0, -1
                                        ; implicit-def: $vgpr6
                                        ; implicit-def: $vgpr4
                                        ; implicit-def: $vgpr2
	s_branch .LBB332_792
.LBB332_790:
	s_wait_loadcnt 0x0
	v_dual_mov_b32 v6, 0 :: v_dual_mov_b32 v4, 0
	v_mov_b32_e32 v2, 0
.LBB332_791:
	s_mov_b32 s0, 0
.LBB332_792:
	s_delay_alu instid0(SALU_CYCLE_1)
	s_and_not1_b32 vcc_lo, exec_lo, s0
	s_cbranch_vccnz .LBB332_795
; %bb.793:
	v_mov_b32_e32 v1, 0
	s_and_not1_b32 vcc_lo, exec_lo, s35
	s_delay_alu instid0(VALU_DEP_1) | instskip(NEXT) | instid1(VALU_DEP_1)
	v_mul_u64_e32 v[2:3], s[20:21], v[0:1]
	v_add_nc_u32_e32 v2, v0, v3
	s_wait_loadcnt 0x0
	s_delay_alu instid0(VALU_DEP_1) | instskip(NEXT) | instid1(VALU_DEP_1)
	v_lshrrev_b32_e32 v8, s14, v2
	v_mul_lo_u32 v2, v8, s12
	s_delay_alu instid0(VALU_DEP_1) | instskip(NEXT) | instid1(VALU_DEP_1)
	v_sub_nc_u32_e32 v3, v0, v2
	v_mul_lo_u32 v2, v3, s16
	v_mul_lo_u32 v6, v3, s18
	;; [unrolled: 1-line block ×3, first 2 shown]
	s_cbranch_vccnz .LBB332_795
; %bb.794:
	v_mov_b32_e32 v9, v1
	s_delay_alu instid0(VALU_DEP_1) | instskip(NEXT) | instid1(VALU_DEP_1)
	v_mul_u64_e32 v[10:11], s[24:25], v[8:9]
	v_add_nc_u32_e32 v1, v8, v11
	s_delay_alu instid0(VALU_DEP_1) | instskip(NEXT) | instid1(VALU_DEP_1)
	v_lshrrev_b32_e32 v1, s1, v1
	v_mul_lo_u32 v1, v1, s15
	s_delay_alu instid0(VALU_DEP_1) | instskip(NEXT) | instid1(VALU_DEP_1)
	v_sub_nc_u32_e32 v1, v8, v1
	v_mad_u32 v2, v1, s19, v2
	v_mad_u32 v4, v1, s22, v4
	;; [unrolled: 1-line block ×3, first 2 shown]
.LBB332_795:
	s_wait_loadcnt 0x0
	v_mov_b32_e32 v5, 0
	s_and_b32 s0, s34, 0xff
	s_delay_alu instid0(SALU_CYCLE_1) | instskip(NEXT) | instid1(VALU_DEP_1)
	s_cmp_lt_i32 s0, 11
	v_add_nc_u64_e32 v[8:9], s[6:7], v[4:5]
	s_cbranch_scc1 .LBB332_802
; %bb.796:
	s_and_b32 s27, 0xffff, s0
	s_delay_alu instid0(SALU_CYCLE_1)
	s_cmp_gt_i32 s27, 25
	s_cbranch_scc0 .LBB332_803
; %bb.797:
	s_cmp_gt_i32 s27, 28
	s_cbranch_scc0 .LBB332_804
; %bb.798:
	;; [unrolled: 3-line block ×4, first 2 shown]
	s_cmp_eq_u32 s27, 46
	s_mov_b32 s49, 0
	s_cbranch_scc0 .LBB332_809
; %bb.801:
	global_load_b32 v1, v[8:9], off
	s_mov_b32 s48, -1
	s_mov_b32 s26, 0
	s_wait_loadcnt 0x0
	v_lshlrev_b32_e32 v1, 16, v1
	s_delay_alu instid0(VALU_DEP_1)
	v_cvt_u32_f32_e32 v4, v1
	s_branch .LBB332_811
.LBB332_802:
	s_mov_b32 s27, -1
	s_mov_b32 s48, 0
	s_mov_b32 s26, s43
                                        ; implicit-def: $vgpr4
	s_branch .LBB332_872
.LBB332_803:
	s_mov_b32 s49, -1
	s_mov_b32 s48, 0
	s_mov_b32 s26, s43
                                        ; implicit-def: $vgpr4
	s_branch .LBB332_838
.LBB332_804:
	s_mov_b32 s49, -1
	s_mov_b32 s48, 0
	s_mov_b32 s26, s43
                                        ; implicit-def: $vgpr4
	s_branch .LBB332_821
.LBB332_805:
	s_mov_b32 s49, -1
	s_mov_b32 s48, 0
	s_mov_b32 s26, s43
                                        ; implicit-def: $vgpr4
	s_branch .LBB332_816
.LBB332_806:
	s_mov_b32 s49, -1
	s_mov_b32 s48, 0
	s_mov_b32 s26, s43
	s_branch .LBB332_810
.LBB332_807:
	s_and_not1_saveexec_b32 s49, s49
	s_cbranch_execz .LBB332_689
.LBB332_808:
	v_add_f32_e32 v1, 0x46000000, v4
	s_and_not1_b32 s48, s48, exec_lo
	s_delay_alu instid0(VALU_DEP_1) | instskip(NEXT) | instid1(VALU_DEP_1)
	v_and_b32_e32 v1, 0xff, v1
	v_cmp_ne_u32_e32 vcc_lo, 0, v1
	s_and_b32 s50, vcc_lo, exec_lo
	s_delay_alu instid0(SALU_CYCLE_1)
	s_or_b32 s48, s48, s50
	s_or_b32 exec_lo, exec_lo, s49
	v_mov_b32_e32 v5, 0
	s_and_saveexec_b32 s49, s48
	s_cbranch_execnz .LBB332_690
	s_branch .LBB332_691
.LBB332_809:
	s_mov_b32 s26, -1
	s_mov_b32 s48, 0
.LBB332_810:
                                        ; implicit-def: $vgpr4
.LBB332_811:
	s_and_b32 vcc_lo, exec_lo, s49
	s_cbranch_vccz .LBB332_815
; %bb.812:
	s_cmp_eq_u32 s27, 44
	s_cbranch_scc0 .LBB332_814
; %bb.813:
	global_load_u8 v1, v[8:9], off
	s_mov_b32 s26, 0
	s_mov_b32 s48, -1
	s_wait_loadcnt 0x0
	v_lshlrev_b32_e32 v3, 23, v1
	v_cmp_ne_u32_e32 vcc_lo, 0, v1
	s_delay_alu instid0(VALU_DEP_2) | instskip(NEXT) | instid1(VALU_DEP_1)
	v_cvt_u32_f32_e32 v3, v3
	v_cndmask_b32_e32 v4, 0, v3, vcc_lo
	s_branch .LBB332_815
.LBB332_814:
	s_mov_b32 s26, -1
                                        ; implicit-def: $vgpr4
.LBB332_815:
	s_mov_b32 s49, 0
.LBB332_816:
	s_delay_alu instid0(SALU_CYCLE_1)
	s_and_b32 vcc_lo, exec_lo, s49
	s_cbranch_vccz .LBB332_820
; %bb.817:
	s_cmp_eq_u32 s27, 29
	s_cbranch_scc0 .LBB332_819
; %bb.818:
	global_load_b64 v[4:5], v[8:9], off
	s_mov_b32 s48, -1
	s_mov_b32 s26, 0
	s_branch .LBB332_820
.LBB332_819:
	s_mov_b32 s26, -1
                                        ; implicit-def: $vgpr4
.LBB332_820:
	s_mov_b32 s49, 0
.LBB332_821:
	s_delay_alu instid0(SALU_CYCLE_1)
	s_and_b32 vcc_lo, exec_lo, s49
	s_cbranch_vccz .LBB332_837
; %bb.822:
	s_cmp_lt_i32 s27, 27
	s_cbranch_scc1 .LBB332_825
; %bb.823:
	s_cmp_gt_i32 s27, 27
	s_cbranch_scc0 .LBB332_826
; %bb.824:
	s_wait_loadcnt 0x0
	global_load_b32 v4, v[8:9], off
	s_mov_b32 s48, 0
	s_branch .LBB332_827
.LBB332_825:
	s_mov_b32 s48, -1
                                        ; implicit-def: $vgpr4
	s_branch .LBB332_830
.LBB332_826:
	s_mov_b32 s48, -1
                                        ; implicit-def: $vgpr4
.LBB332_827:
	s_delay_alu instid0(SALU_CYCLE_1)
	s_and_not1_b32 vcc_lo, exec_lo, s48
	s_cbranch_vccnz .LBB332_829
; %bb.828:
	s_wait_loadcnt 0x0
	global_load_u16 v4, v[8:9], off
.LBB332_829:
	s_mov_b32 s48, 0
.LBB332_830:
	s_delay_alu instid0(SALU_CYCLE_1)
	s_and_not1_b32 vcc_lo, exec_lo, s48
	s_cbranch_vccnz .LBB332_836
; %bb.831:
	global_load_u8 v1, v[8:9], off
	s_mov_b32 s49, 0
	s_mov_b32 s48, exec_lo
	s_wait_loadcnt 0x0
	v_cmpx_lt_i16_e32 0x7f, v1
	s_xor_b32 s48, exec_lo, s48
	s_cbranch_execz .LBB332_848
; %bb.832:
	v_cmp_ne_u16_e32 vcc_lo, 0x80, v1
	s_and_b32 s49, vcc_lo, exec_lo
	s_and_not1_saveexec_b32 s48, s48
	s_cbranch_execnz .LBB332_849
.LBB332_833:
	s_or_b32 exec_lo, exec_lo, s48
	v_mov_b32_e32 v4, 0
	s_and_saveexec_b32 s48, s49
	s_cbranch_execz .LBB332_835
.LBB332_834:
	v_and_b32_e32 v3, 0xffff, v1
	s_delay_alu instid0(VALU_DEP_1) | instskip(SKIP_1) | instid1(VALU_DEP_2)
	v_and_b32_e32 v4, 7, v3
	v_bfe_u32 v10, v3, 3, 4
	v_clz_i32_u32_e32 v5, v4
	s_delay_alu instid0(VALU_DEP_2) | instskip(NEXT) | instid1(VALU_DEP_2)
	v_cmp_eq_u32_e32 vcc_lo, 0, v10
	v_min_u32_e32 v5, 32, v5
	s_delay_alu instid0(VALU_DEP_1) | instskip(NEXT) | instid1(VALU_DEP_1)
	v_subrev_nc_u32_e32 v7, 28, v5
	v_dual_lshlrev_b32 v3, v7, v3 :: v_dual_sub_nc_u32 v5, 29, v5
	s_delay_alu instid0(VALU_DEP_1) | instskip(NEXT) | instid1(VALU_DEP_1)
	v_dual_lshlrev_b32 v1, 24, v1 :: v_dual_bitop2_b32 v3, 7, v3 bitop3:0x40
	v_dual_cndmask_b32 v3, v4, v3, vcc_lo :: v_dual_cndmask_b32 v5, v10, v5, vcc_lo
	s_delay_alu instid0(VALU_DEP_2) | instskip(NEXT) | instid1(VALU_DEP_2)
	v_and_b32_e32 v1, 0x80000000, v1
	v_lshlrev_b32_e32 v3, 20, v3
	s_delay_alu instid0(VALU_DEP_3) | instskip(NEXT) | instid1(VALU_DEP_1)
	v_lshl_add_u32 v4, v5, 23, 0x3b800000
	v_or3_b32 v1, v1, v4, v3
	s_delay_alu instid0(VALU_DEP_1)
	v_cvt_u32_f32_e32 v4, v1
.LBB332_835:
	s_or_b32 exec_lo, exec_lo, s48
.LBB332_836:
	s_mov_b32 s48, -1
.LBB332_837:
	s_mov_b32 s49, 0
.LBB332_838:
	s_delay_alu instid0(SALU_CYCLE_1)
	s_and_b32 vcc_lo, exec_lo, s49
	s_cbranch_vccz .LBB332_871
; %bb.839:
	s_cmp_gt_i32 s27, 22
	s_cbranch_scc0 .LBB332_847
; %bb.840:
	s_cmp_lt_i32 s27, 24
	s_cbranch_scc1 .LBB332_850
; %bb.841:
	s_cmp_gt_i32 s27, 24
	s_cbranch_scc0 .LBB332_851
; %bb.842:
	global_load_u8 v1, v[8:9], off
	s_mov_b32 s49, 0
	s_mov_b32 s48, exec_lo
	s_wait_loadcnt 0x0
	v_cmpx_lt_i16_e32 0x7f, v1
	s_xor_b32 s48, exec_lo, s48
	s_cbranch_execz .LBB332_863
; %bb.843:
	v_cmp_ne_u16_e32 vcc_lo, 0x80, v1
	s_and_b32 s49, vcc_lo, exec_lo
	s_and_not1_saveexec_b32 s48, s48
	s_cbranch_execnz .LBB332_864
.LBB332_844:
	s_or_b32 exec_lo, exec_lo, s48
	v_mov_b32_e32 v4, 0
	s_and_saveexec_b32 s48, s49
	s_cbranch_execz .LBB332_846
.LBB332_845:
	v_and_b32_e32 v3, 0xffff, v1
	s_delay_alu instid0(VALU_DEP_1) | instskip(SKIP_1) | instid1(VALU_DEP_2)
	v_and_b32_e32 v4, 3, v3
	v_bfe_u32 v10, v3, 2, 5
	v_clz_i32_u32_e32 v5, v4
	s_delay_alu instid0(VALU_DEP_2) | instskip(NEXT) | instid1(VALU_DEP_2)
	v_cmp_eq_u32_e32 vcc_lo, 0, v10
	v_min_u32_e32 v5, 32, v5
	s_delay_alu instid0(VALU_DEP_1) | instskip(NEXT) | instid1(VALU_DEP_1)
	v_subrev_nc_u32_e32 v7, 29, v5
	v_dual_lshlrev_b32 v3, v7, v3 :: v_dual_sub_nc_u32 v5, 30, v5
	s_delay_alu instid0(VALU_DEP_1) | instskip(NEXT) | instid1(VALU_DEP_1)
	v_dual_lshlrev_b32 v1, 24, v1 :: v_dual_bitop2_b32 v3, 3, v3 bitop3:0x40
	v_dual_cndmask_b32 v3, v4, v3, vcc_lo :: v_dual_cndmask_b32 v5, v10, v5, vcc_lo
	s_delay_alu instid0(VALU_DEP_2) | instskip(NEXT) | instid1(VALU_DEP_2)
	v_and_b32_e32 v1, 0x80000000, v1
	v_lshlrev_b32_e32 v3, 21, v3
	s_delay_alu instid0(VALU_DEP_3) | instskip(NEXT) | instid1(VALU_DEP_1)
	v_lshl_add_u32 v4, v5, 23, 0x37800000
	v_or3_b32 v1, v1, v4, v3
	s_delay_alu instid0(VALU_DEP_1)
	v_cvt_u32_f32_e32 v4, v1
.LBB332_846:
	s_or_b32 exec_lo, exec_lo, s48
	s_mov_b32 s48, 0
	s_branch .LBB332_852
.LBB332_847:
	s_mov_b32 s49, -1
                                        ; implicit-def: $vgpr4
	s_branch .LBB332_858
.LBB332_848:
	s_and_not1_saveexec_b32 s48, s48
	s_cbranch_execz .LBB332_833
.LBB332_849:
	v_cmp_ne_u16_e32 vcc_lo, 0, v1
	s_and_not1_b32 s49, s49, exec_lo
	s_and_b32 s50, vcc_lo, exec_lo
	s_delay_alu instid0(SALU_CYCLE_1)
	s_or_b32 s49, s49, s50
	s_or_b32 exec_lo, exec_lo, s48
	v_mov_b32_e32 v4, 0
	s_and_saveexec_b32 s48, s49
	s_cbranch_execnz .LBB332_834
	s_branch .LBB332_835
.LBB332_850:
	s_mov_b32 s48, -1
                                        ; implicit-def: $vgpr4
	s_branch .LBB332_855
.LBB332_851:
	s_mov_b32 s48, -1
                                        ; implicit-def: $vgpr4
.LBB332_852:
	s_delay_alu instid0(SALU_CYCLE_1)
	s_and_b32 vcc_lo, exec_lo, s48
	s_cbranch_vccz .LBB332_854
; %bb.853:
	global_load_u8 v1, v[8:9], off
	s_wait_loadcnt 0x0
	v_lshlrev_b32_e32 v1, 24, v1
	s_delay_alu instid0(VALU_DEP_1) | instskip(NEXT) | instid1(VALU_DEP_1)
	v_and_b32_e32 v3, 0x7f000000, v1
	v_clz_i32_u32_e32 v4, v3
	v_add_nc_u32_e32 v7, 0x1000000, v3
	v_cmp_ne_u32_e32 vcc_lo, 0, v3
	s_delay_alu instid0(VALU_DEP_3) | instskip(NEXT) | instid1(VALU_DEP_1)
	v_min_u32_e32 v4, 32, v4
	v_sub_nc_u32_e64 v4, v4, 4 clamp
	s_delay_alu instid0(VALU_DEP_1) | instskip(NEXT) | instid1(VALU_DEP_1)
	v_dual_lshlrev_b32 v5, v4, v3 :: v_dual_lshlrev_b32 v4, 23, v4
	v_lshrrev_b32_e32 v5, 4, v5
	s_delay_alu instid0(VALU_DEP_1) | instskip(NEXT) | instid1(VALU_DEP_1)
	v_dual_sub_nc_u32 v4, v5, v4 :: v_dual_ashrrev_i32 v5, 8, v7
	v_add_nc_u32_e32 v4, 0x3c000000, v4
	s_delay_alu instid0(VALU_DEP_1) | instskip(NEXT) | instid1(VALU_DEP_1)
	v_and_or_b32 v4, 0x7f800000, v5, v4
	v_cndmask_b32_e32 v3, 0, v4, vcc_lo
	s_delay_alu instid0(VALU_DEP_1) | instskip(NEXT) | instid1(VALU_DEP_1)
	v_and_or_b32 v1, 0x80000000, v1, v3
	v_cvt_u32_f32_e32 v4, v1
.LBB332_854:
	s_mov_b32 s48, 0
.LBB332_855:
	s_delay_alu instid0(SALU_CYCLE_1)
	s_and_not1_b32 vcc_lo, exec_lo, s48
	s_cbranch_vccnz .LBB332_857
; %bb.856:
	global_load_u8 v1, v[8:9], off
	s_wait_loadcnt 0x0
	v_lshlrev_b32_e32 v3, 25, v1
	v_lshlrev_b16 v1, 8, v1
	s_delay_alu instid0(VALU_DEP_1) | instskip(NEXT) | instid1(VALU_DEP_3)
	v_and_or_b32 v5, 0x7f00, v1, 0.5
	v_lshrrev_b32_e32 v4, 4, v3
	v_bfe_i32 v1, v1, 0, 16
	s_delay_alu instid0(VALU_DEP_3) | instskip(NEXT) | instid1(VALU_DEP_3)
	v_add_f32_e32 v5, -0.5, v5
	v_or_b32_e32 v4, 0x70000000, v4
	s_delay_alu instid0(VALU_DEP_1) | instskip(SKIP_1) | instid1(VALU_DEP_2)
	v_mul_f32_e32 v4, 0x7800000, v4
	v_cmp_gt_u32_e32 vcc_lo, 0x8000000, v3
	v_cndmask_b32_e32 v3, v4, v5, vcc_lo
	s_delay_alu instid0(VALU_DEP_1) | instskip(NEXT) | instid1(VALU_DEP_1)
	v_and_or_b32 v1, 0x80000000, v1, v3
	v_cvt_u32_f32_e32 v4, v1
.LBB332_857:
	s_mov_b32 s49, 0
	s_mov_b32 s48, -1
.LBB332_858:
	s_and_not1_b32 vcc_lo, exec_lo, s49
	s_cbranch_vccnz .LBB332_871
; %bb.859:
	s_cmp_gt_i32 s27, 14
	s_cbranch_scc0 .LBB332_862
; %bb.860:
	s_cmp_eq_u32 s27, 15
	s_cbranch_scc0 .LBB332_865
; %bb.861:
	global_load_u16 v1, v[8:9], off
	s_mov_b32 s48, -1
	s_mov_b32 s26, 0
	s_wait_loadcnt 0x0
	v_lshlrev_b32_e32 v1, 16, v1
	s_delay_alu instid0(VALU_DEP_1)
	v_cvt_u32_f32_e32 v4, v1
	s_branch .LBB332_866
.LBB332_862:
	s_mov_b32 s49, -1
                                        ; implicit-def: $vgpr4
	s_branch .LBB332_867
.LBB332_863:
	s_and_not1_saveexec_b32 s48, s48
	s_cbranch_execz .LBB332_844
.LBB332_864:
	v_cmp_ne_u16_e32 vcc_lo, 0, v1
	s_and_not1_b32 s49, s49, exec_lo
	s_and_b32 s50, vcc_lo, exec_lo
	s_delay_alu instid0(SALU_CYCLE_1)
	s_or_b32 s49, s49, s50
	s_or_b32 exec_lo, exec_lo, s48
	v_mov_b32_e32 v4, 0
	s_and_saveexec_b32 s48, s49
	s_cbranch_execnz .LBB332_845
	s_branch .LBB332_846
.LBB332_865:
	s_mov_b32 s26, -1
                                        ; implicit-def: $vgpr4
.LBB332_866:
	s_mov_b32 s49, 0
.LBB332_867:
	s_delay_alu instid0(SALU_CYCLE_1)
	s_and_b32 vcc_lo, exec_lo, s49
	s_cbranch_vccz .LBB332_871
; %bb.868:
	s_cmp_eq_u32 s27, 11
	s_cbranch_scc0 .LBB332_870
; %bb.869:
	global_load_u8 v1, v[8:9], off
	s_mov_b32 s26, 0
	s_mov_b32 s48, -1
	s_wait_loadcnt 0x0
	v_cmp_ne_u16_e32 vcc_lo, 0, v1
	v_cndmask_b32_e64 v4, 0, 1, vcc_lo
	s_branch .LBB332_871
.LBB332_870:
	s_mov_b32 s26, -1
                                        ; implicit-def: $vgpr4
.LBB332_871:
	s_mov_b32 s27, 0
.LBB332_872:
	s_delay_alu instid0(SALU_CYCLE_1)
	s_and_b32 vcc_lo, exec_lo, s27
	s_cbranch_vccz .LBB332_921
; %bb.873:
	s_and_b32 s0, 0xffff, s0
	s_delay_alu instid0(SALU_CYCLE_1)
	s_cmp_lt_i32 s0, 5
	s_cbranch_scc1 .LBB332_878
; %bb.874:
	s_cmp_lt_i32 s0, 8
	s_cbranch_scc1 .LBB332_879
; %bb.875:
	;; [unrolled: 3-line block ×3, first 2 shown]
	s_cmp_gt_i32 s0, 9
	s_cbranch_scc0 .LBB332_881
; %bb.877:
	s_wait_loadcnt 0x0
	global_load_b64 v[4:5], v[8:9], off
	s_mov_b32 s27, 0
	s_wait_loadcnt 0x0
	v_cvt_u32_f64_e32 v4, v[4:5]
	s_branch .LBB332_882
.LBB332_878:
	s_mov_b32 s27, -1
                                        ; implicit-def: $vgpr4
	s_branch .LBB332_900
.LBB332_879:
	s_mov_b32 s27, -1
                                        ; implicit-def: $vgpr4
	s_branch .LBB332_888
.LBB332_880:
	s_mov_b32 s27, -1
                                        ; implicit-def: $vgpr4
	s_branch .LBB332_885
.LBB332_881:
	s_mov_b32 s27, -1
                                        ; implicit-def: $vgpr4
.LBB332_882:
	s_delay_alu instid0(SALU_CYCLE_1)
	s_and_not1_b32 vcc_lo, exec_lo, s27
	s_cbranch_vccnz .LBB332_884
; %bb.883:
	global_load_b32 v1, v[8:9], off
	s_wait_loadcnt 0x0
	v_cvt_u32_f32_e32 v4, v1
.LBB332_884:
	s_mov_b32 s27, 0
.LBB332_885:
	s_delay_alu instid0(SALU_CYCLE_1)
	s_and_not1_b32 vcc_lo, exec_lo, s27
	s_cbranch_vccnz .LBB332_887
; %bb.886:
	global_load_b32 v1, v[8:9], off
	s_wait_loadcnt 0x0
	v_cvt_u16_f16_e32 v4, v1
.LBB332_887:
	s_mov_b32 s27, 0
.LBB332_888:
	s_delay_alu instid0(SALU_CYCLE_1)
	s_and_not1_b32 vcc_lo, exec_lo, s27
	s_cbranch_vccnz .LBB332_899
; %bb.889:
	s_cmp_lt_i32 s0, 6
	s_cbranch_scc1 .LBB332_892
; %bb.890:
	s_cmp_gt_i32 s0, 6
	s_cbranch_scc0 .LBB332_893
; %bb.891:
	s_wait_loadcnt 0x0
	global_load_b64 v[4:5], v[8:9], off
	s_mov_b32 s27, 0
	s_wait_loadcnt 0x0
	v_cvt_u32_f64_e32 v4, v[4:5]
	s_branch .LBB332_894
.LBB332_892:
	s_mov_b32 s27, -1
                                        ; implicit-def: $vgpr4
	s_branch .LBB332_897
.LBB332_893:
	s_mov_b32 s27, -1
                                        ; implicit-def: $vgpr4
.LBB332_894:
	s_delay_alu instid0(SALU_CYCLE_1)
	s_and_not1_b32 vcc_lo, exec_lo, s27
	s_cbranch_vccnz .LBB332_896
; %bb.895:
	global_load_b32 v1, v[8:9], off
	s_wait_loadcnt 0x0
	v_cvt_u32_f32_e32 v4, v1
.LBB332_896:
	s_mov_b32 s27, 0
.LBB332_897:
	s_delay_alu instid0(SALU_CYCLE_1)
	s_and_not1_b32 vcc_lo, exec_lo, s27
	s_cbranch_vccnz .LBB332_899
; %bb.898:
	global_load_u16 v1, v[8:9], off
	s_wait_loadcnt 0x0
	v_cvt_u16_f16_e32 v4, v1
.LBB332_899:
	s_mov_b32 s27, 0
.LBB332_900:
	s_delay_alu instid0(SALU_CYCLE_1)
	s_and_not1_b32 vcc_lo, exec_lo, s27
	s_cbranch_vccnz .LBB332_920
; %bb.901:
	s_cmp_lt_i32 s0, 2
	s_cbranch_scc1 .LBB332_905
; %bb.902:
	s_cmp_lt_i32 s0, 3
	s_cbranch_scc1 .LBB332_906
; %bb.903:
	s_cmp_gt_i32 s0, 3
	s_cbranch_scc0 .LBB332_907
; %bb.904:
	s_wait_loadcnt 0x0
	global_load_b64 v[4:5], v[8:9], off
	s_mov_b32 s27, 0
	s_branch .LBB332_908
.LBB332_905:
	s_mov_b32 s27, -1
                                        ; implicit-def: $vgpr4
	s_branch .LBB332_914
.LBB332_906:
	s_mov_b32 s27, -1
                                        ; implicit-def: $vgpr4
	s_branch .LBB332_911
.LBB332_907:
	s_mov_b32 s27, -1
                                        ; implicit-def: $vgpr4
.LBB332_908:
	s_delay_alu instid0(SALU_CYCLE_1)
	s_and_not1_b32 vcc_lo, exec_lo, s27
	s_cbranch_vccnz .LBB332_910
; %bb.909:
	s_wait_loadcnt 0x0
	global_load_b32 v4, v[8:9], off
.LBB332_910:
	s_mov_b32 s27, 0
.LBB332_911:
	s_delay_alu instid0(SALU_CYCLE_1)
	s_and_not1_b32 vcc_lo, exec_lo, s27
	s_cbranch_vccnz .LBB332_913
; %bb.912:
	s_wait_loadcnt 0x0
	global_load_u16 v4, v[8:9], off
.LBB332_913:
	s_mov_b32 s27, 0
.LBB332_914:
	s_delay_alu instid0(SALU_CYCLE_1)
	s_and_not1_b32 vcc_lo, exec_lo, s27
	s_cbranch_vccnz .LBB332_920
; %bb.915:
	s_cmp_gt_i32 s0, 0
	s_mov_b32 s0, 0
	s_cbranch_scc0 .LBB332_917
; %bb.916:
	s_wait_loadcnt 0x0
	global_load_i8 v4, v[8:9], off
	s_branch .LBB332_918
.LBB332_917:
	s_mov_b32 s0, -1
                                        ; implicit-def: $vgpr4
.LBB332_918:
	s_delay_alu instid0(SALU_CYCLE_1)
	s_and_not1_b32 vcc_lo, exec_lo, s0
	s_cbranch_vccnz .LBB332_920
; %bb.919:
	s_wait_loadcnt 0x0
	global_load_u8 v4, v[8:9], off
.LBB332_920:
	s_mov_b32 s48, -1
.LBB332_921:
	s_delay_alu instid0(SALU_CYCLE_1)
	s_and_not1_b32 vcc_lo, exec_lo, s48
	s_cbranch_vccnz .LBB332_929
; %bb.922:
	v_mov_b32_e32 v7, 0
	s_and_b32 s0, s13, 0xff
	s_delay_alu instid0(SALU_CYCLE_1) | instskip(NEXT) | instid1(VALU_DEP_1)
	s_cmp_lt_i32 s0, 11
	v_add_nc_u64_e32 v[6:7], s[8:9], v[6:7]
	s_cbranch_scc1 .LBB332_930
; %bb.923:
	s_and_b32 s48, 0xffff, s0
	s_delay_alu instid0(SALU_CYCLE_1)
	s_cmp_gt_i32 s48, 25
	s_cbranch_scc0 .LBB332_931
; %bb.924:
	s_cmp_gt_i32 s48, 28
	s_cbranch_scc0 .LBB332_932
; %bb.925:
	;; [unrolled: 3-line block ×4, first 2 shown]
	s_cmp_eq_u32 s48, 46
	s_mov_b32 s50, 0
	s_cbranch_scc0 .LBB332_937
; %bb.928:
	global_load_b32 v1, v[6:7], off
	s_mov_b32 s49, -1
	s_mov_b32 s27, 0
	s_wait_loadcnt 0x0
	v_lshlrev_b32_e32 v1, 16, v1
	s_wait_xcnt 0x1
	s_delay_alu instid0(VALU_DEP_1)
	v_cvt_u32_f32_e32 v8, v1
	s_branch .LBB332_939
.LBB332_929:
	s_mov_b32 s51, 0
	s_mov_b32 s0, s44
	;; [unrolled: 1-line block ×3, first 2 shown]
	s_branch .LBB332_1174
.LBB332_930:
	s_mov_b32 s48, -1
	s_mov_b32 s49, 0
	s_mov_b32 s27, s45
                                        ; implicit-def: $vgpr8
	s_branch .LBB332_1000
.LBB332_931:
	s_mov_b32 s50, -1
	s_mov_b32 s49, 0
	s_mov_b32 s27, s45
                                        ; implicit-def: $vgpr8
	s_branch .LBB332_966
.LBB332_932:
	s_mov_b32 s50, -1
	s_mov_b32 s49, 0
	s_mov_b32 s27, s45
                                        ; implicit-def: $vgpr8
	s_branch .LBB332_949
.LBB332_933:
	s_mov_b32 s50, -1
	s_mov_b32 s49, 0
	s_mov_b32 s27, s45
                                        ; implicit-def: $vgpr8
	s_branch .LBB332_944
.LBB332_934:
	s_mov_b32 s50, -1
	s_mov_b32 s49, 0
	s_mov_b32 s27, s45
	s_branch .LBB332_938
.LBB332_935:
	s_and_not1_saveexec_b32 s49, s49
	s_cbranch_execz .LBB332_702
.LBB332_936:
	v_add_f32_e32 v1, 0x42800000, v4
	s_and_not1_b32 s48, s48, exec_lo
	s_delay_alu instid0(VALU_DEP_1) | instskip(NEXT) | instid1(VALU_DEP_1)
	v_and_b32_e32 v1, 0xff, v1
	v_cmp_ne_u32_e32 vcc_lo, 0, v1
	s_and_b32 s50, vcc_lo, exec_lo
	s_delay_alu instid0(SALU_CYCLE_1)
	s_or_b32 s48, s48, s50
	s_or_b32 exec_lo, exec_lo, s49
	v_mov_b32_e32 v5, 0
	s_and_saveexec_b32 s49, s48
	s_cbranch_execnz .LBB332_703
	s_branch .LBB332_704
.LBB332_937:
	s_mov_b32 s27, -1
	s_mov_b32 s49, 0
.LBB332_938:
                                        ; implicit-def: $vgpr8
.LBB332_939:
	s_and_b32 vcc_lo, exec_lo, s50
	s_cbranch_vccz .LBB332_943
; %bb.940:
	s_cmp_eq_u32 s48, 44
	s_cbranch_scc0 .LBB332_942
; %bb.941:
	global_load_u8 v1, v[6:7], off
	s_mov_b32 s27, 0
	s_mov_b32 s49, -1
	s_wait_loadcnt 0x0
	v_lshlrev_b32_e32 v3, 23, v1
	v_cmp_ne_u32_e32 vcc_lo, 0, v1
	s_delay_alu instid0(VALU_DEP_2) | instskip(SKIP_1) | instid1(VALU_DEP_1)
	v_cvt_u32_f32_e32 v3, v3
	s_wait_xcnt 0x1
	v_cndmask_b32_e32 v8, 0, v3, vcc_lo
	s_branch .LBB332_943
.LBB332_942:
	s_mov_b32 s27, -1
                                        ; implicit-def: $vgpr8
.LBB332_943:
	s_mov_b32 s50, 0
.LBB332_944:
	s_delay_alu instid0(SALU_CYCLE_1)
	s_and_b32 vcc_lo, exec_lo, s50
	s_cbranch_vccz .LBB332_948
; %bb.945:
	s_cmp_eq_u32 s48, 29
	s_cbranch_scc0 .LBB332_947
; %bb.946:
	global_load_b64 v[8:9], v[6:7], off
	s_mov_b32 s49, -1
	s_mov_b32 s27, 0
	s_branch .LBB332_948
.LBB332_947:
	s_mov_b32 s27, -1
                                        ; implicit-def: $vgpr8
.LBB332_948:
	s_mov_b32 s50, 0
.LBB332_949:
	s_delay_alu instid0(SALU_CYCLE_1)
	s_and_b32 vcc_lo, exec_lo, s50
	s_cbranch_vccz .LBB332_965
; %bb.950:
	s_cmp_lt_i32 s48, 27
	s_cbranch_scc1 .LBB332_953
; %bb.951:
	s_cmp_gt_i32 s48, 27
	s_cbranch_scc0 .LBB332_954
; %bb.952:
	s_wait_loadcnt 0x0
	global_load_b32 v8, v[6:7], off
	s_mov_b32 s49, 0
	s_branch .LBB332_955
.LBB332_953:
	s_mov_b32 s49, -1
                                        ; implicit-def: $vgpr8
	s_branch .LBB332_958
.LBB332_954:
	s_mov_b32 s49, -1
                                        ; implicit-def: $vgpr8
.LBB332_955:
	s_delay_alu instid0(SALU_CYCLE_1)
	s_and_not1_b32 vcc_lo, exec_lo, s49
	s_cbranch_vccnz .LBB332_957
; %bb.956:
	s_wait_loadcnt 0x0
	global_load_u16 v8, v[6:7], off
.LBB332_957:
	s_mov_b32 s49, 0
.LBB332_958:
	s_delay_alu instid0(SALU_CYCLE_1)
	s_and_not1_b32 vcc_lo, exec_lo, s49
	s_cbranch_vccnz .LBB332_964
; %bb.959:
	global_load_u8 v1, v[6:7], off
	s_mov_b32 s50, 0
	s_mov_b32 s49, exec_lo
	s_wait_loadcnt 0x0
	v_cmpx_lt_i16_e32 0x7f, v1
	s_xor_b32 s49, exec_lo, s49
	s_cbranch_execz .LBB332_976
; %bb.960:
	v_cmp_ne_u16_e32 vcc_lo, 0x80, v1
	s_and_b32 s50, vcc_lo, exec_lo
	s_and_not1_saveexec_b32 s49, s49
	s_cbranch_execnz .LBB332_977
.LBB332_961:
	s_or_b32 exec_lo, exec_lo, s49
	v_mov_b32_e32 v8, 0
	s_and_saveexec_b32 s49, s50
	s_cbranch_execz .LBB332_963
.LBB332_962:
	v_and_b32_e32 v3, 0xffff, v1
	s_delay_alu instid0(VALU_DEP_1) | instskip(SKIP_1) | instid1(VALU_DEP_2)
	v_and_b32_e32 v5, 7, v3
	v_bfe_u32 v10, v3, 3, 4
	v_clz_i32_u32_e32 v8, v5
	s_delay_alu instid0(VALU_DEP_2) | instskip(NEXT) | instid1(VALU_DEP_2)
	v_cmp_eq_u32_e32 vcc_lo, 0, v10
	v_min_u32_e32 v8, 32, v8
	s_delay_alu instid0(VALU_DEP_1) | instskip(NEXT) | instid1(VALU_DEP_1)
	v_subrev_nc_u32_e32 v9, 28, v8
	v_dual_lshlrev_b32 v3, v9, v3 :: v_dual_sub_nc_u32 v8, 29, v8
	s_delay_alu instid0(VALU_DEP_1) | instskip(NEXT) | instid1(VALU_DEP_1)
	v_dual_lshlrev_b32 v1, 24, v1 :: v_dual_bitop2_b32 v3, 7, v3 bitop3:0x40
	v_dual_cndmask_b32 v8, v10, v8 :: v_dual_cndmask_b32 v3, v5, v3
	s_delay_alu instid0(VALU_DEP_2) | instskip(NEXT) | instid1(VALU_DEP_2)
	v_and_b32_e32 v1, 0x80000000, v1
	v_lshl_add_u32 v5, v8, 23, 0x3b800000
	s_delay_alu instid0(VALU_DEP_3) | instskip(NEXT) | instid1(VALU_DEP_1)
	v_lshlrev_b32_e32 v3, 20, v3
	v_or3_b32 v1, v1, v5, v3
	s_delay_alu instid0(VALU_DEP_1)
	v_cvt_u32_f32_e32 v8, v1
.LBB332_963:
	s_or_b32 exec_lo, exec_lo, s49
.LBB332_964:
	s_mov_b32 s49, -1
.LBB332_965:
	s_mov_b32 s50, 0
.LBB332_966:
	s_delay_alu instid0(SALU_CYCLE_1)
	s_and_b32 vcc_lo, exec_lo, s50
	s_cbranch_vccz .LBB332_999
; %bb.967:
	s_cmp_gt_i32 s48, 22
	s_cbranch_scc0 .LBB332_975
; %bb.968:
	s_cmp_lt_i32 s48, 24
	s_cbranch_scc1 .LBB332_978
; %bb.969:
	s_cmp_gt_i32 s48, 24
	s_cbranch_scc0 .LBB332_979
; %bb.970:
	global_load_u8 v1, v[6:7], off
	s_mov_b32 s50, 0
	s_mov_b32 s49, exec_lo
	s_wait_loadcnt 0x0
	v_cmpx_lt_i16_e32 0x7f, v1
	s_xor_b32 s49, exec_lo, s49
	s_cbranch_execz .LBB332_991
; %bb.971:
	v_cmp_ne_u16_e32 vcc_lo, 0x80, v1
	s_and_b32 s50, vcc_lo, exec_lo
	s_and_not1_saveexec_b32 s49, s49
	s_cbranch_execnz .LBB332_992
.LBB332_972:
	s_or_b32 exec_lo, exec_lo, s49
	v_mov_b32_e32 v8, 0
	s_and_saveexec_b32 s49, s50
	s_cbranch_execz .LBB332_974
.LBB332_973:
	v_and_b32_e32 v3, 0xffff, v1
	s_delay_alu instid0(VALU_DEP_1) | instskip(SKIP_1) | instid1(VALU_DEP_2)
	v_and_b32_e32 v5, 3, v3
	v_bfe_u32 v10, v3, 2, 5
	v_clz_i32_u32_e32 v8, v5
	s_delay_alu instid0(VALU_DEP_2) | instskip(NEXT) | instid1(VALU_DEP_2)
	v_cmp_eq_u32_e32 vcc_lo, 0, v10
	v_min_u32_e32 v8, 32, v8
	s_delay_alu instid0(VALU_DEP_1) | instskip(NEXT) | instid1(VALU_DEP_1)
	v_subrev_nc_u32_e32 v9, 29, v8
	v_dual_lshlrev_b32 v3, v9, v3 :: v_dual_sub_nc_u32 v8, 30, v8
	s_delay_alu instid0(VALU_DEP_1) | instskip(NEXT) | instid1(VALU_DEP_1)
	v_dual_lshlrev_b32 v1, 24, v1 :: v_dual_bitop2_b32 v3, 3, v3 bitop3:0x40
	v_dual_cndmask_b32 v8, v10, v8 :: v_dual_cndmask_b32 v3, v5, v3
	s_delay_alu instid0(VALU_DEP_2) | instskip(NEXT) | instid1(VALU_DEP_2)
	v_and_b32_e32 v1, 0x80000000, v1
	v_lshl_add_u32 v5, v8, 23, 0x37800000
	s_delay_alu instid0(VALU_DEP_3) | instskip(NEXT) | instid1(VALU_DEP_1)
	v_lshlrev_b32_e32 v3, 21, v3
	v_or3_b32 v1, v1, v5, v3
	s_delay_alu instid0(VALU_DEP_1)
	v_cvt_u32_f32_e32 v8, v1
.LBB332_974:
	s_or_b32 exec_lo, exec_lo, s49
	s_mov_b32 s49, 0
	s_branch .LBB332_980
.LBB332_975:
	s_mov_b32 s50, -1
                                        ; implicit-def: $vgpr8
	s_branch .LBB332_986
.LBB332_976:
	s_and_not1_saveexec_b32 s49, s49
	s_cbranch_execz .LBB332_961
.LBB332_977:
	v_cmp_ne_u16_e32 vcc_lo, 0, v1
	s_and_not1_b32 s50, s50, exec_lo
	s_and_b32 s51, vcc_lo, exec_lo
	s_delay_alu instid0(SALU_CYCLE_1)
	s_or_b32 s50, s50, s51
	s_or_b32 exec_lo, exec_lo, s49
	v_mov_b32_e32 v8, 0
	s_and_saveexec_b32 s49, s50
	s_cbranch_execnz .LBB332_962
	s_branch .LBB332_963
.LBB332_978:
	s_mov_b32 s49, -1
                                        ; implicit-def: $vgpr8
	s_branch .LBB332_983
.LBB332_979:
	s_mov_b32 s49, -1
                                        ; implicit-def: $vgpr8
.LBB332_980:
	s_delay_alu instid0(SALU_CYCLE_1)
	s_and_b32 vcc_lo, exec_lo, s49
	s_cbranch_vccz .LBB332_982
; %bb.981:
	global_load_u8 v1, v[6:7], off
	s_wait_loadcnt 0x0
	v_lshlrev_b32_e32 v1, 24, v1
	s_delay_alu instid0(VALU_DEP_1) | instskip(NEXT) | instid1(VALU_DEP_1)
	v_and_b32_e32 v3, 0x7f000000, v1
	v_clz_i32_u32_e32 v5, v3
	s_wait_xcnt 0x1
	v_add_nc_u32_e32 v9, 0x1000000, v3
	v_cmp_ne_u32_e32 vcc_lo, 0, v3
	s_delay_alu instid0(VALU_DEP_3) | instskip(NEXT) | instid1(VALU_DEP_1)
	v_min_u32_e32 v5, 32, v5
	v_sub_nc_u32_e64 v5, v5, 4 clamp
	s_delay_alu instid0(VALU_DEP_1) | instskip(NEXT) | instid1(VALU_DEP_1)
	v_dual_lshlrev_b32 v8, v5, v3 :: v_dual_lshlrev_b32 v5, 23, v5
	v_lshrrev_b32_e32 v8, 4, v8
	s_delay_alu instid0(VALU_DEP_1) | instskip(SKIP_1) | instid1(VALU_DEP_2)
	v_sub_nc_u32_e32 v5, v8, v5
	v_ashrrev_i32_e32 v8, 8, v9
	v_add_nc_u32_e32 v5, 0x3c000000, v5
	s_delay_alu instid0(VALU_DEP_1) | instskip(NEXT) | instid1(VALU_DEP_1)
	v_and_or_b32 v5, 0x7f800000, v8, v5
	v_cndmask_b32_e32 v3, 0, v5, vcc_lo
	s_delay_alu instid0(VALU_DEP_1) | instskip(NEXT) | instid1(VALU_DEP_1)
	v_and_or_b32 v1, 0x80000000, v1, v3
	v_cvt_u32_f32_e32 v8, v1
.LBB332_982:
	s_mov_b32 s49, 0
.LBB332_983:
	s_delay_alu instid0(SALU_CYCLE_1)
	s_and_not1_b32 vcc_lo, exec_lo, s49
	s_cbranch_vccnz .LBB332_985
; %bb.984:
	global_load_u8 v1, v[6:7], off
	s_wait_loadcnt 0x0
	v_lshlrev_b32_e32 v3, 25, v1
	v_lshlrev_b16 v1, 8, v1
	s_wait_xcnt 0x1
	s_delay_alu instid0(VALU_DEP_1) | instskip(SKIP_1) | instid1(VALU_DEP_2)
	v_and_or_b32 v8, 0x7f00, v1, 0.5
	v_bfe_i32 v1, v1, 0, 16
	v_dual_add_f32 v8, -0.5, v8 :: v_dual_lshrrev_b32 v5, 4, v3
	v_cmp_gt_u32_e32 vcc_lo, 0x8000000, v3
	s_delay_alu instid0(VALU_DEP_2) | instskip(NEXT) | instid1(VALU_DEP_1)
	v_or_b32_e32 v5, 0x70000000, v5
	v_mul_f32_e32 v5, 0x7800000, v5
	s_delay_alu instid0(VALU_DEP_1) | instskip(NEXT) | instid1(VALU_DEP_1)
	v_cndmask_b32_e32 v3, v5, v8, vcc_lo
	v_and_or_b32 v1, 0x80000000, v1, v3
	s_delay_alu instid0(VALU_DEP_1)
	v_cvt_u32_f32_e32 v8, v1
.LBB332_985:
	s_mov_b32 s50, 0
	s_mov_b32 s49, -1
.LBB332_986:
	s_and_not1_b32 vcc_lo, exec_lo, s50
	s_cbranch_vccnz .LBB332_999
; %bb.987:
	s_cmp_gt_i32 s48, 14
	s_cbranch_scc0 .LBB332_990
; %bb.988:
	s_cmp_eq_u32 s48, 15
	s_cbranch_scc0 .LBB332_993
; %bb.989:
	global_load_u16 v1, v[6:7], off
	s_mov_b32 s49, -1
	s_mov_b32 s27, 0
	s_wait_loadcnt 0x0
	v_lshlrev_b32_e32 v1, 16, v1
	s_wait_xcnt 0x1
	s_delay_alu instid0(VALU_DEP_1)
	v_cvt_u32_f32_e32 v8, v1
	s_branch .LBB332_994
.LBB332_990:
	s_mov_b32 s50, -1
                                        ; implicit-def: $vgpr8
	s_branch .LBB332_995
.LBB332_991:
	s_and_not1_saveexec_b32 s49, s49
	s_cbranch_execz .LBB332_972
.LBB332_992:
	v_cmp_ne_u16_e32 vcc_lo, 0, v1
	s_and_not1_b32 s50, s50, exec_lo
	s_and_b32 s51, vcc_lo, exec_lo
	s_delay_alu instid0(SALU_CYCLE_1)
	s_or_b32 s50, s50, s51
	s_or_b32 exec_lo, exec_lo, s49
	v_mov_b32_e32 v8, 0
	s_and_saveexec_b32 s49, s50
	s_cbranch_execnz .LBB332_973
	s_branch .LBB332_974
.LBB332_993:
	s_mov_b32 s27, -1
                                        ; implicit-def: $vgpr8
.LBB332_994:
	s_mov_b32 s50, 0
.LBB332_995:
	s_delay_alu instid0(SALU_CYCLE_1)
	s_and_b32 vcc_lo, exec_lo, s50
	s_cbranch_vccz .LBB332_999
; %bb.996:
	s_cmp_eq_u32 s48, 11
	s_cbranch_scc0 .LBB332_998
; %bb.997:
	global_load_u8 v1, v[6:7], off
	s_mov_b32 s27, 0
	s_mov_b32 s49, -1
	s_wait_loadcnt 0x0
	v_cmp_ne_u16_e32 vcc_lo, 0, v1
	s_wait_xcnt 0x1
	v_cndmask_b32_e64 v8, 0, 1, vcc_lo
	s_branch .LBB332_999
.LBB332_998:
	s_mov_b32 s27, -1
                                        ; implicit-def: $vgpr8
.LBB332_999:
	s_mov_b32 s48, 0
.LBB332_1000:
	s_delay_alu instid0(SALU_CYCLE_1)
	s_and_b32 vcc_lo, exec_lo, s48
	s_cbranch_vccz .LBB332_1049
; %bb.1001:
	s_and_b32 s0, 0xffff, s0
	s_delay_alu instid0(SALU_CYCLE_1)
	s_cmp_lt_i32 s0, 5
	s_cbranch_scc1 .LBB332_1006
; %bb.1002:
	s_cmp_lt_i32 s0, 8
	s_cbranch_scc1 .LBB332_1007
; %bb.1003:
	;; [unrolled: 3-line block ×3, first 2 shown]
	s_cmp_gt_i32 s0, 9
	s_cbranch_scc0 .LBB332_1009
; %bb.1005:
	s_wait_loadcnt 0x0
	global_load_b64 v[8:9], v[6:7], off
	s_mov_b32 s48, 0
	s_wait_loadcnt 0x0
	v_cvt_u32_f64_e32 v8, v[8:9]
	s_branch .LBB332_1010
.LBB332_1006:
	s_mov_b32 s48, -1
                                        ; implicit-def: $vgpr8
	s_branch .LBB332_1028
.LBB332_1007:
	s_mov_b32 s48, -1
                                        ; implicit-def: $vgpr8
	s_branch .LBB332_1016
.LBB332_1008:
	s_mov_b32 s48, -1
                                        ; implicit-def: $vgpr8
	s_branch .LBB332_1013
.LBB332_1009:
	s_mov_b32 s48, -1
                                        ; implicit-def: $vgpr8
.LBB332_1010:
	s_delay_alu instid0(SALU_CYCLE_1)
	s_and_not1_b32 vcc_lo, exec_lo, s48
	s_cbranch_vccnz .LBB332_1012
; %bb.1011:
	global_load_b32 v1, v[6:7], off
	s_wait_loadcnt 0x0
	s_wait_xcnt 0x1
	v_cvt_u32_f32_e32 v8, v1
.LBB332_1012:
	s_mov_b32 s48, 0
.LBB332_1013:
	s_delay_alu instid0(SALU_CYCLE_1)
	s_and_not1_b32 vcc_lo, exec_lo, s48
	s_cbranch_vccnz .LBB332_1015
; %bb.1014:
	global_load_b32 v1, v[6:7], off
	s_wait_loadcnt 0x0
	s_wait_xcnt 0x1
	v_cvt_u16_f16_e32 v8, v1
.LBB332_1015:
	s_mov_b32 s48, 0
.LBB332_1016:
	s_delay_alu instid0(SALU_CYCLE_1)
	s_and_not1_b32 vcc_lo, exec_lo, s48
	s_cbranch_vccnz .LBB332_1027
; %bb.1017:
	s_cmp_lt_i32 s0, 6
	s_cbranch_scc1 .LBB332_1020
; %bb.1018:
	s_cmp_gt_i32 s0, 6
	s_cbranch_scc0 .LBB332_1021
; %bb.1019:
	s_wait_loadcnt 0x0
	global_load_b64 v[8:9], v[6:7], off
	s_mov_b32 s48, 0
	s_wait_loadcnt 0x0
	v_cvt_u32_f64_e32 v8, v[8:9]
	s_branch .LBB332_1022
.LBB332_1020:
	s_mov_b32 s48, -1
                                        ; implicit-def: $vgpr8
	s_branch .LBB332_1025
.LBB332_1021:
	s_mov_b32 s48, -1
                                        ; implicit-def: $vgpr8
.LBB332_1022:
	s_delay_alu instid0(SALU_CYCLE_1)
	s_and_not1_b32 vcc_lo, exec_lo, s48
	s_cbranch_vccnz .LBB332_1024
; %bb.1023:
	global_load_b32 v1, v[6:7], off
	s_wait_loadcnt 0x0
	s_wait_xcnt 0x1
	v_cvt_u32_f32_e32 v8, v1
.LBB332_1024:
	s_mov_b32 s48, 0
.LBB332_1025:
	s_delay_alu instid0(SALU_CYCLE_1)
	s_and_not1_b32 vcc_lo, exec_lo, s48
	s_cbranch_vccnz .LBB332_1027
; %bb.1026:
	global_load_u16 v1, v[6:7], off
	s_wait_loadcnt 0x0
	s_wait_xcnt 0x1
	v_cvt_u16_f16_e32 v8, v1
.LBB332_1027:
	s_mov_b32 s48, 0
.LBB332_1028:
	s_delay_alu instid0(SALU_CYCLE_1)
	s_and_not1_b32 vcc_lo, exec_lo, s48
	s_cbranch_vccnz .LBB332_1048
; %bb.1029:
	s_cmp_lt_i32 s0, 2
	s_cbranch_scc1 .LBB332_1033
; %bb.1030:
	s_cmp_lt_i32 s0, 3
	s_cbranch_scc1 .LBB332_1034
; %bb.1031:
	s_cmp_gt_i32 s0, 3
	s_cbranch_scc0 .LBB332_1035
; %bb.1032:
	s_wait_loadcnt 0x0
	global_load_b64 v[8:9], v[6:7], off
	s_mov_b32 s48, 0
	s_branch .LBB332_1036
.LBB332_1033:
	s_mov_b32 s48, -1
                                        ; implicit-def: $vgpr8
	s_branch .LBB332_1042
.LBB332_1034:
	s_mov_b32 s48, -1
                                        ; implicit-def: $vgpr8
	s_branch .LBB332_1039
.LBB332_1035:
	s_mov_b32 s48, -1
                                        ; implicit-def: $vgpr8
.LBB332_1036:
	s_delay_alu instid0(SALU_CYCLE_1)
	s_and_not1_b32 vcc_lo, exec_lo, s48
	s_cbranch_vccnz .LBB332_1038
; %bb.1037:
	s_wait_loadcnt 0x0
	global_load_b32 v8, v[6:7], off
.LBB332_1038:
	s_mov_b32 s48, 0
.LBB332_1039:
	s_delay_alu instid0(SALU_CYCLE_1)
	s_and_not1_b32 vcc_lo, exec_lo, s48
	s_cbranch_vccnz .LBB332_1041
; %bb.1040:
	s_wait_loadcnt 0x0
	global_load_u16 v8, v[6:7], off
.LBB332_1041:
	s_mov_b32 s48, 0
.LBB332_1042:
	s_delay_alu instid0(SALU_CYCLE_1)
	s_and_not1_b32 vcc_lo, exec_lo, s48
	s_cbranch_vccnz .LBB332_1048
; %bb.1043:
	s_cmp_gt_i32 s0, 0
	s_mov_b32 s0, 0
	s_cbranch_scc0 .LBB332_1045
; %bb.1044:
	s_wait_loadcnt 0x0
	global_load_i8 v8, v[6:7], off
	s_branch .LBB332_1046
.LBB332_1045:
	s_mov_b32 s0, -1
                                        ; implicit-def: $vgpr8
.LBB332_1046:
	s_delay_alu instid0(SALU_CYCLE_1)
	s_and_not1_b32 vcc_lo, exec_lo, s0
	s_cbranch_vccnz .LBB332_1048
; %bb.1047:
	s_wait_loadcnt 0x0
	global_load_u8 v8, v[6:7], off
.LBB332_1048:
	s_mov_b32 s49, -1
.LBB332_1049:
	s_delay_alu instid0(SALU_CYCLE_1)
	s_and_not1_b32 vcc_lo, exec_lo, s49
	s_cbranch_vccnz .LBB332_1057
; %bb.1050:
	v_mov_b32_e32 v3, 0
	s_wait_loadcnt 0x0
	s_delay_alu instid0(VALU_DEP_2) | instskip(SKIP_1) | instid1(VALU_DEP_2)
	v_cmp_ne_u16_e32 vcc_lo, v4, v8
	s_and_b32 s49, s11, 0xff
	v_add_nc_u64_e32 v[2:3], s[4:5], v[2:3]
	s_xor_b32 s48, s10, vcc_lo
	s_cmp_lt_i32 s49, 11
	s_cbranch_scc1 .LBB332_1058
; %bb.1051:
	s_and_b32 s50, 0xffff, s49
	s_delay_alu instid0(SALU_CYCLE_1)
	s_cmp_gt_i32 s50, 25
	s_cbranch_scc0 .LBB332_1059
; %bb.1052:
	s_cmp_gt_i32 s50, 28
	s_cbranch_scc0 .LBB332_1060
; %bb.1053:
	;; [unrolled: 3-line block ×4, first 2 shown]
	s_mov_b32 s52, 0
	s_mov_b32 s0, -1
	s_cmp_eq_u32 s50, 46
	s_mov_b32 s51, 0
	s_cbranch_scc0 .LBB332_1063
; %bb.1056:
	v_cndmask_b32_e64 v1, 0, 1.0, s48
	s_mov_b32 s51, -1
	s_mov_b32 s0, 0
	s_delay_alu instid0(VALU_DEP_1) | instskip(NEXT) | instid1(VALU_DEP_1)
	v_bfe_u32 v4, v1, 16, 1
	v_add3_u32 v1, v1, v4, 0x7fff
	s_delay_alu instid0(VALU_DEP_1)
	v_lshrrev_b32_e32 v1, 16, v1
	global_store_b32 v[2:3], v1, off
	s_branch .LBB332_1063
.LBB332_1057:
	s_mov_b32 s51, 0
	s_mov_b32 s0, s44
	s_branch .LBB332_1174
.LBB332_1058:
	s_mov_b32 s50, -1
	s_mov_b32 s51, 0
	s_mov_b32 s0, s44
	s_branch .LBB332_1132
.LBB332_1059:
	s_mov_b32 s52, -1
	s_mov_b32 s51, 0
	s_mov_b32 s0, s44
	s_branch .LBB332_1090
.LBB332_1060:
	s_mov_b32 s52, -1
	s_mov_b32 s51, 0
	s_mov_b32 s0, s44
	s_branch .LBB332_1073
.LBB332_1061:
	s_mov_b32 s52, -1
	s_mov_b32 s51, 0
	s_mov_b32 s0, s44
	s_branch .LBB332_1069
.LBB332_1062:
	s_mov_b32 s52, -1
	s_mov_b32 s51, 0
	s_mov_b32 s0, s44
.LBB332_1063:
	s_and_b32 vcc_lo, exec_lo, s52
	s_cbranch_vccz .LBB332_1068
; %bb.1064:
	s_cmp_eq_u32 s50, 44
	s_mov_b32 s0, -1
	s_cbranch_scc0 .LBB332_1068
; %bb.1065:
	v_cndmask_b32_e64 v5, 0, 1.0, s48
	s_mov_b32 s51, exec_lo
	s_wait_xcnt 0x0
	s_delay_alu instid0(VALU_DEP_1) | instskip(NEXT) | instid1(VALU_DEP_1)
	v_dual_mov_b32 v4, 0xff :: v_dual_lshrrev_b32 v1, 23, v5
	v_cmpx_ne_u32_e32 0xff, v1
; %bb.1066:
	v_and_b32_e32 v4, 0x400000, v5
	v_and_or_b32 v5, 0x3fffff, v5, v1
	s_delay_alu instid0(VALU_DEP_2) | instskip(NEXT) | instid1(VALU_DEP_2)
	v_cmp_ne_u32_e32 vcc_lo, 0, v4
	v_cmp_ne_u32_e64 s0, 0, v5
	s_and_b32 s0, vcc_lo, s0
	s_delay_alu instid0(SALU_CYCLE_1) | instskip(NEXT) | instid1(VALU_DEP_1)
	v_cndmask_b32_e64 v4, 0, 1, s0
	v_add_nc_u32_e32 v4, v1, v4
; %bb.1067:
	s_or_b32 exec_lo, exec_lo, s51
	s_mov_b32 s51, -1
	s_mov_b32 s0, 0
	global_store_b8 v[2:3], v4, off
.LBB332_1068:
	s_mov_b32 s52, 0
.LBB332_1069:
	s_delay_alu instid0(SALU_CYCLE_1)
	s_and_b32 vcc_lo, exec_lo, s52
	s_cbranch_vccz .LBB332_1072
; %bb.1070:
	s_cmp_eq_u32 s50, 29
	s_mov_b32 s0, -1
	s_cbranch_scc0 .LBB332_1072
; %bb.1071:
	s_mov_b32 s0, 0
	s_wait_xcnt 0x0
	v_cndmask_b32_e64 v4, 0, 1, s48
	v_mov_b32_e32 v5, s0
	s_mov_b32 s51, -1
	s_mov_b32 s52, 0
	global_store_b64 v[2:3], v[4:5], off
	s_branch .LBB332_1073
.LBB332_1072:
	s_mov_b32 s52, 0
.LBB332_1073:
	s_delay_alu instid0(SALU_CYCLE_1)
	s_and_b32 vcc_lo, exec_lo, s52
	s_cbranch_vccz .LBB332_1089
; %bb.1074:
	s_cmp_lt_i32 s50, 27
	s_mov_b32 s51, -1
	s_cbranch_scc1 .LBB332_1080
; %bb.1075:
	s_cmp_gt_i32 s50, 27
	s_cbranch_scc0 .LBB332_1077
; %bb.1076:
	s_wait_xcnt 0x0
	v_cndmask_b32_e64 v1, 0, 1, s48
	s_mov_b32 s51, 0
	global_store_b32 v[2:3], v1, off
.LBB332_1077:
	s_and_not1_b32 vcc_lo, exec_lo, s51
	s_cbranch_vccnz .LBB332_1079
; %bb.1078:
	s_wait_xcnt 0x0
	v_cndmask_b32_e64 v1, 0, 1, s48
	global_store_b16 v[2:3], v1, off
.LBB332_1079:
	s_mov_b32 s51, 0
.LBB332_1080:
	s_delay_alu instid0(SALU_CYCLE_1)
	s_and_not1_b32 vcc_lo, exec_lo, s51
	s_cbranch_vccnz .LBB332_1088
; %bb.1081:
	s_wait_xcnt 0x0
	v_cndmask_b32_e64 v4, 0, 1.0, s48
	v_mov_b32_e32 v5, 0x80
	s_mov_b32 s51, exec_lo
	s_delay_alu instid0(VALU_DEP_2)
	v_cmpx_gt_u32_e32 0x43800000, v4
	s_cbranch_execz .LBB332_1087
; %bb.1082:
	s_mov_b32 s52, 0
	s_mov_b32 s53, exec_lo
                                        ; implicit-def: $vgpr1
	v_cmpx_lt_u32_e32 0x3bffffff, v4
	s_xor_b32 s53, exec_lo, s53
	s_cbranch_execz .LBB332_1202
; %bb.1083:
	v_bfe_u32 v1, v4, 20, 1
	s_mov_b32 s52, exec_lo
	s_delay_alu instid0(VALU_DEP_1) | instskip(NEXT) | instid1(VALU_DEP_1)
	v_add3_u32 v1, v4, v1, 0x487ffff
                                        ; implicit-def: $vgpr4
	v_lshrrev_b32_e32 v1, 20, v1
	s_and_not1_saveexec_b32 s53, s53
	s_cbranch_execnz .LBB332_1203
.LBB332_1084:
	s_or_b32 exec_lo, exec_lo, s53
	v_mov_b32_e32 v5, 0
	s_and_saveexec_b32 s53, s52
.LBB332_1085:
	v_mov_b32_e32 v5, v1
.LBB332_1086:
	s_or_b32 exec_lo, exec_lo, s53
.LBB332_1087:
	s_delay_alu instid0(SALU_CYCLE_1)
	s_or_b32 exec_lo, exec_lo, s51
	global_store_b8 v[2:3], v5, off
.LBB332_1088:
	s_mov_b32 s51, -1
.LBB332_1089:
	s_mov_b32 s52, 0
.LBB332_1090:
	s_delay_alu instid0(SALU_CYCLE_1)
	s_and_b32 vcc_lo, exec_lo, s52
	s_cbranch_vccz .LBB332_1131
; %bb.1091:
	s_cmp_gt_i32 s50, 22
	s_mov_b32 s52, -1
	s_cbranch_scc0 .LBB332_1123
; %bb.1092:
	s_cmp_lt_i32 s50, 24
	s_mov_b32 s51, -1
	s_cbranch_scc1 .LBB332_1112
; %bb.1093:
	s_cmp_gt_i32 s50, 24
	s_cbranch_scc0 .LBB332_1101
; %bb.1094:
	s_wait_xcnt 0x0
	v_cndmask_b32_e64 v4, 0, 1.0, s48
	v_mov_b32_e32 v5, 0x80
	s_mov_b32 s51, exec_lo
	s_delay_alu instid0(VALU_DEP_2)
	v_cmpx_gt_u32_e32 0x47800000, v4
	s_cbranch_execz .LBB332_1100
; %bb.1095:
	s_mov_b32 s52, 0
	s_mov_b32 s53, exec_lo
                                        ; implicit-def: $vgpr1
	v_cmpx_lt_u32_e32 0x37ffffff, v4
	s_xor_b32 s53, exec_lo, s53
	s_cbranch_execz .LBB332_2245
; %bb.1096:
	v_bfe_u32 v1, v4, 21, 1
	s_mov_b32 s52, exec_lo
	s_delay_alu instid0(VALU_DEP_1) | instskip(NEXT) | instid1(VALU_DEP_1)
	v_add3_u32 v1, v4, v1, 0x88fffff
                                        ; implicit-def: $vgpr4
	v_lshrrev_b32_e32 v1, 21, v1
	s_and_not1_saveexec_b32 s53, s53
	s_cbranch_execnz .LBB332_2246
.LBB332_1097:
	s_or_b32 exec_lo, exec_lo, s53
	v_mov_b32_e32 v5, 0
	s_and_saveexec_b32 s53, s52
.LBB332_1098:
	v_mov_b32_e32 v5, v1
.LBB332_1099:
	s_or_b32 exec_lo, exec_lo, s53
.LBB332_1100:
	s_delay_alu instid0(SALU_CYCLE_1)
	s_or_b32 exec_lo, exec_lo, s51
	s_mov_b32 s51, 0
	global_store_b8 v[2:3], v5, off
.LBB332_1101:
	s_and_b32 vcc_lo, exec_lo, s51
	s_cbranch_vccz .LBB332_1111
; %bb.1102:
	s_wait_xcnt 0x0
	v_cndmask_b32_e64 v4, 0, 1.0, s48
	s_mov_b32 s51, exec_lo
                                        ; implicit-def: $vgpr1
	s_delay_alu instid0(VALU_DEP_1)
	v_cmpx_gt_u32_e32 0x43f00000, v4
	s_xor_b32 s51, exec_lo, s51
	s_cbranch_execz .LBB332_1108
; %bb.1103:
	s_mov_b32 s52, exec_lo
                                        ; implicit-def: $vgpr1
	v_cmpx_lt_u32_e32 0x3c7fffff, v4
	s_xor_b32 s52, exec_lo, s52
; %bb.1104:
	v_bfe_u32 v1, v4, 20, 1
	s_delay_alu instid0(VALU_DEP_1) | instskip(NEXT) | instid1(VALU_DEP_1)
	v_add3_u32 v1, v4, v1, 0x407ffff
	v_and_b32_e32 v4, 0xff00000, v1
	v_lshrrev_b32_e32 v1, 20, v1
	s_delay_alu instid0(VALU_DEP_2) | instskip(NEXT) | instid1(VALU_DEP_2)
	v_cmp_ne_u32_e32 vcc_lo, 0x7f00000, v4
                                        ; implicit-def: $vgpr4
	v_cndmask_b32_e32 v1, 0x7e, v1, vcc_lo
; %bb.1105:
	s_and_not1_saveexec_b32 s52, s52
; %bb.1106:
	v_add_f32_e32 v1, 0x46800000, v4
; %bb.1107:
	s_or_b32 exec_lo, exec_lo, s52
                                        ; implicit-def: $vgpr4
.LBB332_1108:
	s_and_not1_saveexec_b32 s51, s51
; %bb.1109:
	v_mov_b32_e32 v1, 0x7f
	v_cmp_lt_u32_e32 vcc_lo, 0x7f800000, v4
	s_delay_alu instid0(VALU_DEP_2)
	v_cndmask_b32_e32 v1, 0x7e, v1, vcc_lo
; %bb.1110:
	s_or_b32 exec_lo, exec_lo, s51
	global_store_b8 v[2:3], v1, off
.LBB332_1111:
	s_mov_b32 s51, 0
.LBB332_1112:
	s_delay_alu instid0(SALU_CYCLE_1)
	s_and_not1_b32 vcc_lo, exec_lo, s51
	s_cbranch_vccnz .LBB332_1122
; %bb.1113:
	s_wait_xcnt 0x0
	v_cndmask_b32_e64 v4, 0, 1.0, s48
	s_mov_b32 s51, exec_lo
                                        ; implicit-def: $vgpr1
	s_delay_alu instid0(VALU_DEP_1)
	v_cmpx_gt_u32_e32 0x47800000, v4
	s_xor_b32 s51, exec_lo, s51
	s_cbranch_execz .LBB332_1119
; %bb.1114:
	s_mov_b32 s52, exec_lo
                                        ; implicit-def: $vgpr1
	v_cmpx_lt_u32_e32 0x387fffff, v4
	s_xor_b32 s52, exec_lo, s52
; %bb.1115:
	v_bfe_u32 v1, v4, 21, 1
	s_delay_alu instid0(VALU_DEP_1) | instskip(NEXT) | instid1(VALU_DEP_1)
	v_add3_u32 v1, v4, v1, 0x80fffff
                                        ; implicit-def: $vgpr4
	v_lshrrev_b32_e32 v1, 21, v1
; %bb.1116:
	s_and_not1_saveexec_b32 s52, s52
; %bb.1117:
	v_add_f32_e32 v1, 0x43000000, v4
; %bb.1118:
	s_or_b32 exec_lo, exec_lo, s52
                                        ; implicit-def: $vgpr4
.LBB332_1119:
	s_and_not1_saveexec_b32 s51, s51
; %bb.1120:
	v_mov_b32_e32 v1, 0x7f
	v_cmp_lt_u32_e32 vcc_lo, 0x7f800000, v4
	s_delay_alu instid0(VALU_DEP_2)
	v_cndmask_b32_e32 v1, 0x7c, v1, vcc_lo
; %bb.1121:
	s_or_b32 exec_lo, exec_lo, s51
	global_store_b8 v[2:3], v1, off
.LBB332_1122:
	s_mov_b32 s52, 0
	s_mov_b32 s51, -1
.LBB332_1123:
	s_and_not1_b32 vcc_lo, exec_lo, s52
	s_cbranch_vccnz .LBB332_1131
; %bb.1124:
	s_cmp_gt_i32 s50, 14
	s_mov_b32 s52, -1
	s_cbranch_scc0 .LBB332_1128
; %bb.1125:
	s_cmp_eq_u32 s50, 15
	s_mov_b32 s0, -1
	s_cbranch_scc0 .LBB332_1127
; %bb.1126:
	s_wait_xcnt 0x0
	v_cndmask_b32_e64 v1, 0, 1.0, s48
	s_mov_b32 s51, -1
	s_mov_b32 s0, 0
	s_delay_alu instid0(VALU_DEP_1) | instskip(NEXT) | instid1(VALU_DEP_1)
	v_bfe_u32 v4, v1, 16, 1
	v_add3_u32 v1, v1, v4, 0x7fff
	global_store_d16_hi_b16 v[2:3], v1, off
.LBB332_1127:
	s_mov_b32 s52, 0
.LBB332_1128:
	s_delay_alu instid0(SALU_CYCLE_1)
	s_and_b32 vcc_lo, exec_lo, s52
	s_cbranch_vccz .LBB332_1131
; %bb.1129:
	s_cmp_eq_u32 s50, 11
	s_mov_b32 s0, -1
	s_cbranch_scc0 .LBB332_1131
; %bb.1130:
	s_wait_xcnt 0x0
	v_cndmask_b32_e64 v1, 0, 1, s48
	s_mov_b32 s51, -1
	s_mov_b32 s0, 0
	global_store_b8 v[2:3], v1, off
.LBB332_1131:
	s_mov_b32 s50, 0
.LBB332_1132:
	s_delay_alu instid0(SALU_CYCLE_1)
	s_and_b32 vcc_lo, exec_lo, s50
	s_cbranch_vccz .LBB332_1171
; %bb.1133:
	s_and_b32 s49, 0xffff, s49
	s_mov_b32 s50, -1
	s_cmp_lt_i32 s49, 5
	s_cbranch_scc1 .LBB332_1154
; %bb.1134:
	s_cmp_lt_i32 s49, 8
	s_cbranch_scc1 .LBB332_1144
; %bb.1135:
	;; [unrolled: 3-line block ×3, first 2 shown]
	s_cmp_gt_i32 s49, 9
	s_cbranch_scc0 .LBB332_1138
; %bb.1137:
	s_wait_xcnt 0x0
	v_cndmask_b32_e64 v1, 0, 1, s48
	v_mov_b32_e32 v6, 0
	s_mov_b32 s50, 0
	s_delay_alu instid0(VALU_DEP_2) | instskip(NEXT) | instid1(VALU_DEP_2)
	v_cvt_f64_u32_e32 v[4:5], v1
	v_mov_b32_e32 v7, v6
	global_store_b128 v[2:3], v[4:7], off
.LBB332_1138:
	s_and_not1_b32 vcc_lo, exec_lo, s50
	s_cbranch_vccnz .LBB332_1140
; %bb.1139:
	s_wait_xcnt 0x0
	v_cndmask_b32_e64 v4, 0, 1.0, s48
	v_mov_b32_e32 v5, 0
	global_store_b64 v[2:3], v[4:5], off
.LBB332_1140:
	s_mov_b32 s50, 0
.LBB332_1141:
	s_delay_alu instid0(SALU_CYCLE_1)
	s_and_not1_b32 vcc_lo, exec_lo, s50
	s_cbranch_vccnz .LBB332_1143
; %bb.1142:
	s_wait_xcnt 0x0
	v_cndmask_b32_e64 v1, 0, 1.0, s48
	s_delay_alu instid0(VALU_DEP_1) | instskip(NEXT) | instid1(VALU_DEP_1)
	v_cvt_f16_f32_e32 v1, v1
	v_and_b32_e32 v1, 0xffff, v1
	global_store_b32 v[2:3], v1, off
.LBB332_1143:
	s_mov_b32 s50, 0
.LBB332_1144:
	s_delay_alu instid0(SALU_CYCLE_1)
	s_and_not1_b32 vcc_lo, exec_lo, s50
	s_cbranch_vccnz .LBB332_1153
; %bb.1145:
	s_cmp_lt_i32 s49, 6
	s_mov_b32 s50, -1
	s_cbranch_scc1 .LBB332_1151
; %bb.1146:
	s_cmp_gt_i32 s49, 6
	s_cbranch_scc0 .LBB332_1148
; %bb.1147:
	s_wait_xcnt 0x0
	v_cndmask_b32_e64 v1, 0, 1, s48
	s_mov_b32 s50, 0
	s_delay_alu instid0(VALU_DEP_1)
	v_cvt_f64_u32_e32 v[4:5], v1
	global_store_b64 v[2:3], v[4:5], off
.LBB332_1148:
	s_and_not1_b32 vcc_lo, exec_lo, s50
	s_cbranch_vccnz .LBB332_1150
; %bb.1149:
	s_wait_xcnt 0x0
	v_cndmask_b32_e64 v1, 0, 1.0, s48
	global_store_b32 v[2:3], v1, off
.LBB332_1150:
	s_mov_b32 s50, 0
.LBB332_1151:
	s_delay_alu instid0(SALU_CYCLE_1)
	s_and_not1_b32 vcc_lo, exec_lo, s50
	s_cbranch_vccnz .LBB332_1153
; %bb.1152:
	s_wait_xcnt 0x0
	v_cndmask_b32_e64 v1, 0, 1.0, s48
	s_delay_alu instid0(VALU_DEP_1)
	v_cvt_f16_f32_e32 v1, v1
	global_store_b16 v[2:3], v1, off
.LBB332_1153:
	s_mov_b32 s50, 0
.LBB332_1154:
	s_delay_alu instid0(SALU_CYCLE_1)
	s_and_not1_b32 vcc_lo, exec_lo, s50
	s_cbranch_vccnz .LBB332_1170
; %bb.1155:
	s_cmp_lt_i32 s49, 2
	s_mov_b32 s50, -1
	s_cbranch_scc1 .LBB332_1165
; %bb.1156:
	s_cmp_lt_i32 s49, 3
	s_cbranch_scc1 .LBB332_1162
; %bb.1157:
	s_cmp_gt_i32 s49, 3
	s_cbranch_scc0 .LBB332_1159
; %bb.1158:
	s_mov_b32 s50, 0
	s_wait_xcnt 0x0
	v_cndmask_b32_e64 v4, 0, 1, s48
	v_mov_b32_e32 v5, s50
	global_store_b64 v[2:3], v[4:5], off
.LBB332_1159:
	s_and_not1_b32 vcc_lo, exec_lo, s50
	s_cbranch_vccnz .LBB332_1161
; %bb.1160:
	s_wait_xcnt 0x0
	v_cndmask_b32_e64 v1, 0, 1, s48
	global_store_b32 v[2:3], v1, off
.LBB332_1161:
	s_mov_b32 s50, 0
.LBB332_1162:
	s_delay_alu instid0(SALU_CYCLE_1)
	s_and_not1_b32 vcc_lo, exec_lo, s50
	s_cbranch_vccnz .LBB332_1164
; %bb.1163:
	s_wait_xcnt 0x0
	v_cndmask_b32_e64 v1, 0, 1, s48
	global_store_b16 v[2:3], v1, off
.LBB332_1164:
	s_mov_b32 s50, 0
.LBB332_1165:
	s_delay_alu instid0(SALU_CYCLE_1)
	s_and_not1_b32 vcc_lo, exec_lo, s50
	s_cbranch_vccnz .LBB332_1170
; %bb.1166:
	s_wait_xcnt 0x0
	v_cndmask_b32_e64 v1, 0, 1, s48
	s_cmp_gt_i32 s49, 0
	s_mov_b32 s48, -1
	s_cbranch_scc0 .LBB332_1168
; %bb.1167:
	s_mov_b32 s48, 0
	global_store_b8 v[2:3], v1, off
.LBB332_1168:
	s_and_not1_b32 vcc_lo, exec_lo, s48
	s_cbranch_vccnz .LBB332_1170
; %bb.1169:
	global_store_b8 v[2:3], v1, off
.LBB332_1170:
	s_mov_b32 s51, -1
.LBB332_1171:
	s_delay_alu instid0(SALU_CYCLE_1)
	s_and_not1_b32 vcc_lo, exec_lo, s51
	s_cbranch_vccnz .LBB332_1173
; %bb.1172:
	v_add_nc_u32_e32 v0, 0x80, v0
	s_mov_b32 s51, -1
	s_branch .LBB332_1175
.LBB332_1173:
	s_mov_b32 s51, 0
.LBB332_1174:
                                        ; implicit-def: $vgpr0
.LBB332_1175:
	s_and_not1_b32 s48, s44, exec_lo
	s_and_b32 s0, s0, exec_lo
	s_and_b32 s27, s27, exec_lo
	s_or_b32 s49, s48, s0
	s_and_not1_b32 s0, s45, exec_lo
	s_and_not1_b32 s48, s43, exec_lo
	s_and_b32 s26, s26, exec_lo
	s_or_b32 s50, s0, s27
	s_or_b32 s48, s48, s26
	s_or_not1_b32 s52, s51, exec_lo
.LBB332_1176:
	s_wait_xcnt 0x0
	s_or_b32 exec_lo, exec_lo, s47
	s_mov_b32 s27, 0
	s_mov_b32 s51, 0
	;; [unrolled: 1-line block ×3, first 2 shown]
                                        ; implicit-def: $sgpr0
                                        ; implicit-def: $vgpr8_vgpr9
                                        ; implicit-def: $vgpr6
                                        ; implicit-def: $vgpr2
                                        ; implicit-def: $vgpr4
	s_and_saveexec_b32 s47, s52
	s_cbranch_execz .LBB332_1267
; %bb.1177:
	v_cmp_gt_i32_e32 vcc_lo, s37, v0
	s_mov_b32 s52, s48
                                        ; implicit-def: $sgpr0
                                        ; implicit-def: $vgpr8_vgpr9
                                        ; implicit-def: $vgpr6
                                        ; implicit-def: $vgpr2
                                        ; implicit-def: $vgpr4
	s_and_saveexec_b32 s37, vcc_lo
	s_cbranch_execz .LBB332_1266
; %bb.1178:
	s_and_not1_b32 vcc_lo, exec_lo, s31
	s_cbranch_vccnz .LBB332_1184
; %bb.1179:
	s_and_not1_b32 vcc_lo, exec_lo, s38
	s_cbranch_vccnz .LBB332_1185
; %bb.1180:
	v_dual_mov_b32 v2, 0 :: v_dual_mov_b32 v1, v0
	s_wait_loadcnt 0x0
	v_dual_mov_b32 v4, 0 :: v_dual_mov_b32 v6, 0
	s_add_co_i32 s0, s36, 1
	s_mov_b64 s[26:27], 0xffffffffffffffe8
	s_and_b32 s0, s0, 30
	s_add_nc_u64 s[26:27], s[2:3], s[26:27]
.LBB332_1181:                           ; =>This Inner Loop Header: Depth=1
	s_clause 0x1
	s_load_b128 s[52:55], s[26:27], 0x1c
	s_load_b64 s[60:61], s[26:27], 0x2c
	s_add_co_i32 s0, s0, -2
	s_delay_alu instid0(SALU_CYCLE_1) | instskip(SKIP_2) | instid1(VALU_DEP_1)
	s_cmp_eq_u32 s0, 0
	s_wait_kmcnt 0x0
	v_mul_hi_u32 v3, s53, v1
	v_add_nc_u32_e32 v3, v1, v3
	s_delay_alu instid0(VALU_DEP_1) | instskip(NEXT) | instid1(VALU_DEP_1)
	v_lshrrev_b32_e32 v3, s54, v3
	v_mul_hi_u32 v5, s60, v3
	v_mul_lo_u32 v7, v3, s52
	s_clause 0x1
	s_load_b128 s[56:59], s[26:27], 0xdc
	s_load_b64 s[52:53], s[26:27], 0xec
	s_wait_xcnt 0x0
	s_add_nc_u64 s[26:27], s[26:27], 24
	s_delay_alu instid0(VALU_DEP_1) | instskip(NEXT) | instid1(VALU_DEP_1)
	v_dual_add_nc_u32 v5, v3, v5 :: v_dual_sub_nc_u32 v7, v1, v7
	v_lshrrev_b32_e32 v1, s61, v5
	s_wait_kmcnt 0x0
	s_delay_alu instid0(VALU_DEP_2) | instskip(NEXT) | instid1(VALU_DEP_2)
	v_mad_u32 v2, v7, s56, v2
	v_mul_lo_u32 v5, v1, s55
	v_mad_u32 v6, v7, s58, v6
	v_mad_u32 v4, v7, s57, v4
	s_delay_alu instid0(VALU_DEP_3) | instskip(NEXT) | instid1(VALU_DEP_1)
	v_sub_nc_u32_e32 v3, v3, v5
	v_mad_u32 v2, v3, s59, v2
	s_delay_alu instid0(VALU_DEP_4) | instskip(NEXT) | instid1(VALU_DEP_4)
	v_mad_u32 v6, v3, s53, v6
	v_mad_u32 v4, v3, s52, v4
	s_cbranch_scc0 .LBB332_1181
; %bb.1182:
	s_bitcmp1_b32 s36, 0
	s_cselect_b32 s0, -1, 0
	s_delay_alu instid0(SALU_CYCLE_1)
	s_and_b32 vcc_lo, exec_lo, s0
	s_cbranch_vccnz .LBB332_1186
; %bb.1183:
	s_clause 0x1
	s_load_b96 s[52:54], s[26:27], 0x1c
	s_load_b96 s[56:58], s[26:27], 0xdc
	s_wait_kmcnt 0x0
	v_mul_hi_u32 v3, s53, v1
	s_delay_alu instid0(VALU_DEP_1) | instskip(NEXT) | instid1(VALU_DEP_1)
	v_add_nc_u32_e32 v3, v1, v3
	v_lshrrev_b32_e32 v3, s54, v3
	s_delay_alu instid0(VALU_DEP_1) | instskip(NEXT) | instid1(VALU_DEP_1)
	v_mul_lo_u32 v3, v3, s52
	v_sub_nc_u32_e32 v1, v1, v3
	s_delay_alu instid0(VALU_DEP_1)
	v_mad_u32 v2, v1, s56, v2
	v_mad_u32 v4, v1, s57, v4
	;; [unrolled: 1-line block ×3, first 2 shown]
	s_branch .LBB332_1186
.LBB332_1184:
	s_mov_b32 s0, -1
                                        ; implicit-def: $vgpr6
                                        ; implicit-def: $vgpr4
                                        ; implicit-def: $vgpr2
	s_branch .LBB332_1187
.LBB332_1185:
	s_wait_loadcnt 0x0
	v_dual_mov_b32 v6, 0 :: v_dual_mov_b32 v4, 0
	v_mov_b32_e32 v2, 0
.LBB332_1186:
	s_mov_b32 s0, 0
.LBB332_1187:
	s_delay_alu instid0(SALU_CYCLE_1)
	s_and_not1_b32 vcc_lo, exec_lo, s0
	s_cbranch_vccnz .LBB332_1190
; %bb.1188:
	v_mov_b32_e32 v1, 0
	s_and_not1_b32 vcc_lo, exec_lo, s35
	s_delay_alu instid0(VALU_DEP_1) | instskip(NEXT) | instid1(VALU_DEP_1)
	v_mul_u64_e32 v[2:3], s[20:21], v[0:1]
	v_add_nc_u32_e32 v2, v0, v3
	s_wait_loadcnt 0x0
	s_delay_alu instid0(VALU_DEP_1) | instskip(NEXT) | instid1(VALU_DEP_1)
	v_lshrrev_b32_e32 v8, s14, v2
	v_mul_lo_u32 v2, v8, s12
	s_delay_alu instid0(VALU_DEP_1) | instskip(NEXT) | instid1(VALU_DEP_1)
	v_sub_nc_u32_e32 v0, v0, v2
	v_mul_lo_u32 v2, v0, s16
	v_mul_lo_u32 v6, v0, s18
	v_mul_lo_u32 v4, v0, s17
	s_cbranch_vccnz .LBB332_1190
; %bb.1189:
	v_mov_b32_e32 v9, v1
	s_delay_alu instid0(VALU_DEP_1) | instskip(NEXT) | instid1(VALU_DEP_1)
	v_mul_u64_e32 v[0:1], s[24:25], v[8:9]
	v_add_nc_u32_e32 v0, v8, v1
	s_delay_alu instid0(VALU_DEP_1) | instskip(NEXT) | instid1(VALU_DEP_1)
	v_lshrrev_b32_e32 v0, s1, v0
	v_mul_lo_u32 v0, v0, s15
	s_delay_alu instid0(VALU_DEP_1) | instskip(NEXT) | instid1(VALU_DEP_1)
	v_sub_nc_u32_e32 v0, v8, v0
	v_mad_u32 v2, v0, s19, v2
	v_mad_u32 v4, v0, s22, v4
	;; [unrolled: 1-line block ×3, first 2 shown]
.LBB332_1190:
	s_wait_loadcnt 0x0
	v_mov_b32_e32 v5, 0
	s_and_b32 s0, s34, 0xff
	s_delay_alu instid0(SALU_CYCLE_1) | instskip(NEXT) | instid1(VALU_DEP_1)
	s_cmp_lt_i32 s0, 11
	v_add_nc_u64_e32 v[8:9], s[6:7], v[4:5]
	s_cbranch_scc1 .LBB332_1197
; %bb.1191:
	s_and_b32 s1, 0xffff, s0
	s_mov_b32 s7, 0
	s_cmp_gt_i32 s1, 25
	s_cbranch_scc0 .LBB332_1198
; %bb.1192:
	s_cmp_gt_i32 s1, 28
	s_cbranch_scc0 .LBB332_1199
; %bb.1193:
	;; [unrolled: 3-line block ×4, first 2 shown]
	s_cmp_eq_u32 s1, 46
	s_mov_b32 s14, 0
	s_cbranch_scc0 .LBB332_1204
; %bb.1196:
	global_load_b32 v0, v[8:9], off
	s_mov_b32 s6, 0
	s_mov_b32 s12, -1
	s_wait_loadcnt 0x0
	v_lshlrev_b32_e32 v0, 16, v0
	s_delay_alu instid0(VALU_DEP_1)
	v_cvt_u32_f32_e32 v4, v0
	s_branch .LBB332_1206
.LBB332_1197:
	s_mov_b32 s1, -1
	s_mov_b32 s12, 0
	s_mov_b32 s7, 0
	;; [unrolled: 1-line block ×3, first 2 shown]
                                        ; implicit-def: $vgpr4
	s_branch .LBB332_1265
.LBB332_1198:
	s_mov_b32 s14, -1
	s_mov_b32 s12, 0
	s_mov_b32 s6, s48
                                        ; implicit-def: $vgpr4
	s_branch .LBB332_1233
.LBB332_1199:
	s_mov_b32 s14, -1
	s_mov_b32 s12, 0
	s_mov_b32 s6, s48
                                        ; implicit-def: $vgpr4
	s_branch .LBB332_1216
.LBB332_1200:
	s_mov_b32 s14, -1
	s_mov_b32 s12, 0
	s_mov_b32 s6, s48
                                        ; implicit-def: $vgpr4
	s_branch .LBB332_1211
.LBB332_1201:
	s_mov_b32 s14, -1
	s_mov_b32 s12, 0
	s_mov_b32 s6, s48
	s_branch .LBB332_1205
.LBB332_1202:
	s_and_not1_saveexec_b32 s53, s53
	s_cbranch_execz .LBB332_1084
.LBB332_1203:
	v_add_f32_e32 v1, 0x46000000, v4
	s_and_not1_b32 s52, s52, exec_lo
	s_delay_alu instid0(VALU_DEP_1) | instskip(NEXT) | instid1(VALU_DEP_1)
	v_and_b32_e32 v1, 0xff, v1
	v_cmp_ne_u32_e32 vcc_lo, 0, v1
	s_and_b32 s54, vcc_lo, exec_lo
	s_delay_alu instid0(SALU_CYCLE_1)
	s_or_b32 s52, s52, s54
	s_or_b32 exec_lo, exec_lo, s53
	v_mov_b32_e32 v5, 0
	s_and_saveexec_b32 s53, s52
	s_cbranch_execnz .LBB332_1085
	s_branch .LBB332_1086
.LBB332_1204:
	s_mov_b32 s6, -1
	s_mov_b32 s12, 0
.LBB332_1205:
                                        ; implicit-def: $vgpr4
.LBB332_1206:
	s_and_b32 vcc_lo, exec_lo, s14
	s_cbranch_vccz .LBB332_1210
; %bb.1207:
	s_cmp_eq_u32 s1, 44
	s_cbranch_scc0 .LBB332_1209
; %bb.1208:
	global_load_u8 v0, v[8:9], off
	s_mov_b32 s6, 0
	s_mov_b32 s12, -1
	s_wait_loadcnt 0x0
	v_lshlrev_b32_e32 v1, 23, v0
	v_cmp_ne_u32_e32 vcc_lo, 0, v0
	s_delay_alu instid0(VALU_DEP_2) | instskip(NEXT) | instid1(VALU_DEP_1)
	v_cvt_u32_f32_e32 v1, v1
	v_cndmask_b32_e32 v4, 0, v1, vcc_lo
	s_branch .LBB332_1210
.LBB332_1209:
	s_mov_b32 s6, -1
                                        ; implicit-def: $vgpr4
.LBB332_1210:
	s_mov_b32 s14, 0
.LBB332_1211:
	s_delay_alu instid0(SALU_CYCLE_1)
	s_and_b32 vcc_lo, exec_lo, s14
	s_cbranch_vccz .LBB332_1215
; %bb.1212:
	s_cmp_eq_u32 s1, 29
	s_cbranch_scc0 .LBB332_1214
; %bb.1213:
	global_load_b64 v[4:5], v[8:9], off
	s_mov_b32 s6, 0
	s_mov_b32 s12, -1
	s_branch .LBB332_1215
.LBB332_1214:
	s_mov_b32 s6, -1
                                        ; implicit-def: $vgpr4
.LBB332_1215:
	s_mov_b32 s14, 0
.LBB332_1216:
	s_delay_alu instid0(SALU_CYCLE_1)
	s_and_b32 vcc_lo, exec_lo, s14
	s_cbranch_vccz .LBB332_1232
; %bb.1217:
	s_cmp_lt_i32 s1, 27
	s_cbranch_scc1 .LBB332_1220
; %bb.1218:
	s_cmp_gt_i32 s1, 27
	s_cbranch_scc0 .LBB332_1221
; %bb.1219:
	s_wait_loadcnt 0x0
	global_load_b32 v4, v[8:9], off
	s_mov_b32 s12, 0
	s_branch .LBB332_1222
.LBB332_1220:
	s_mov_b32 s12, -1
                                        ; implicit-def: $vgpr4
	s_branch .LBB332_1225
.LBB332_1221:
	s_mov_b32 s12, -1
                                        ; implicit-def: $vgpr4
.LBB332_1222:
	s_delay_alu instid0(SALU_CYCLE_1)
	s_and_not1_b32 vcc_lo, exec_lo, s12
	s_cbranch_vccnz .LBB332_1224
; %bb.1223:
	s_wait_loadcnt 0x0
	global_load_u16 v4, v[8:9], off
.LBB332_1224:
	s_mov_b32 s12, 0
.LBB332_1225:
	s_delay_alu instid0(SALU_CYCLE_1)
	s_and_not1_b32 vcc_lo, exec_lo, s12
	s_cbranch_vccnz .LBB332_1231
; %bb.1226:
	global_load_u8 v0, v[8:9], off
	s_mov_b32 s14, 0
	s_mov_b32 s12, exec_lo
	s_wait_loadcnt 0x0
	v_cmpx_lt_i16_e32 0x7f, v0
	s_xor_b32 s12, exec_lo, s12
	s_cbranch_execz .LBB332_1243
; %bb.1227:
	v_cmp_ne_u16_e32 vcc_lo, 0x80, v0
	s_and_b32 s14, vcc_lo, exec_lo
	s_and_not1_saveexec_b32 s12, s12
	s_cbranch_execnz .LBB332_1244
.LBB332_1228:
	s_or_b32 exec_lo, exec_lo, s12
	v_mov_b32_e32 v4, 0
	s_and_saveexec_b32 s12, s14
	s_cbranch_execz .LBB332_1230
.LBB332_1229:
	v_and_b32_e32 v1, 0xffff, v0
	s_delay_alu instid0(VALU_DEP_1) | instskip(SKIP_1) | instid1(VALU_DEP_2)
	v_and_b32_e32 v3, 7, v1
	v_bfe_u32 v7, v1, 3, 4
	v_clz_i32_u32_e32 v4, v3
	s_delay_alu instid0(VALU_DEP_2) | instskip(NEXT) | instid1(VALU_DEP_2)
	v_cmp_eq_u32_e32 vcc_lo, 0, v7
	v_min_u32_e32 v4, 32, v4
	s_delay_alu instid0(VALU_DEP_1) | instskip(NEXT) | instid1(VALU_DEP_1)
	v_subrev_nc_u32_e32 v5, 28, v4
	v_dual_lshlrev_b32 v1, v5, v1 :: v_dual_sub_nc_u32 v4, 29, v4
	s_delay_alu instid0(VALU_DEP_1) | instskip(NEXT) | instid1(VALU_DEP_1)
	v_dual_lshlrev_b32 v0, 24, v0 :: v_dual_bitop2_b32 v1, 7, v1 bitop3:0x40
	v_cndmask_b32_e32 v1, v3, v1, vcc_lo
	s_delay_alu instid0(VALU_DEP_3) | instskip(NEXT) | instid1(VALU_DEP_3)
	v_cndmask_b32_e32 v4, v7, v4, vcc_lo
	v_and_b32_e32 v0, 0x80000000, v0
	s_delay_alu instid0(VALU_DEP_3) | instskip(NEXT) | instid1(VALU_DEP_3)
	v_lshlrev_b32_e32 v1, 20, v1
	v_lshl_add_u32 v3, v4, 23, 0x3b800000
	s_delay_alu instid0(VALU_DEP_1) | instskip(NEXT) | instid1(VALU_DEP_1)
	v_or3_b32 v0, v0, v3, v1
	v_cvt_u32_f32_e32 v4, v0
.LBB332_1230:
	s_or_b32 exec_lo, exec_lo, s12
.LBB332_1231:
	s_mov_b32 s12, -1
.LBB332_1232:
	s_mov_b32 s14, 0
.LBB332_1233:
	s_delay_alu instid0(SALU_CYCLE_1)
	s_and_b32 vcc_lo, exec_lo, s14
	s_cbranch_vccz .LBB332_1264
; %bb.1234:
	s_cmp_gt_i32 s1, 22
	s_cbranch_scc0 .LBB332_1242
; %bb.1235:
	s_cmp_lt_i32 s1, 24
	s_cbranch_scc1 .LBB332_1245
; %bb.1236:
	s_cmp_gt_i32 s1, 24
	s_cbranch_scc0 .LBB332_1246
; %bb.1237:
	global_load_u8 v0, v[8:9], off
	s_mov_b32 s12, 0
	s_mov_b32 s7, exec_lo
	s_wait_loadcnt 0x0
	v_cmpx_lt_i16_e32 0x7f, v0
	s_xor_b32 s7, exec_lo, s7
	s_cbranch_execz .LBB332_1258
; %bb.1238:
	v_cmp_ne_u16_e32 vcc_lo, 0x80, v0
	s_and_b32 s12, vcc_lo, exec_lo
	s_and_not1_saveexec_b32 s7, s7
	s_cbranch_execnz .LBB332_1259
.LBB332_1239:
	s_or_b32 exec_lo, exec_lo, s7
	v_mov_b32_e32 v4, 0
	s_and_saveexec_b32 s7, s12
	s_cbranch_execz .LBB332_1241
.LBB332_1240:
	v_and_b32_e32 v1, 0xffff, v0
	s_delay_alu instid0(VALU_DEP_1) | instskip(SKIP_1) | instid1(VALU_DEP_2)
	v_and_b32_e32 v3, 3, v1
	v_bfe_u32 v7, v1, 2, 5
	v_clz_i32_u32_e32 v4, v3
	s_delay_alu instid0(VALU_DEP_2) | instskip(NEXT) | instid1(VALU_DEP_2)
	v_cmp_eq_u32_e32 vcc_lo, 0, v7
	v_min_u32_e32 v4, 32, v4
	s_delay_alu instid0(VALU_DEP_1) | instskip(NEXT) | instid1(VALU_DEP_1)
	v_subrev_nc_u32_e32 v5, 29, v4
	v_dual_lshlrev_b32 v1, v5, v1 :: v_dual_sub_nc_u32 v4, 30, v4
	s_delay_alu instid0(VALU_DEP_1) | instskip(NEXT) | instid1(VALU_DEP_1)
	v_dual_lshlrev_b32 v0, 24, v0 :: v_dual_bitop2_b32 v1, 3, v1 bitop3:0x40
	v_cndmask_b32_e32 v1, v3, v1, vcc_lo
	s_delay_alu instid0(VALU_DEP_3) | instskip(NEXT) | instid1(VALU_DEP_3)
	v_cndmask_b32_e32 v4, v7, v4, vcc_lo
	v_and_b32_e32 v0, 0x80000000, v0
	s_delay_alu instid0(VALU_DEP_3) | instskip(NEXT) | instid1(VALU_DEP_3)
	v_lshlrev_b32_e32 v1, 21, v1
	v_lshl_add_u32 v3, v4, 23, 0x37800000
	s_delay_alu instid0(VALU_DEP_1) | instskip(NEXT) | instid1(VALU_DEP_1)
	v_or3_b32 v0, v0, v3, v1
	v_cvt_u32_f32_e32 v4, v0
.LBB332_1241:
	s_or_b32 exec_lo, exec_lo, s7
	s_mov_b32 s7, 0
	s_branch .LBB332_1247
.LBB332_1242:
	s_mov_b32 s7, -1
                                        ; implicit-def: $vgpr4
	s_branch .LBB332_1253
.LBB332_1243:
	s_and_not1_saveexec_b32 s12, s12
	s_cbranch_execz .LBB332_1228
.LBB332_1244:
	v_cmp_ne_u16_e32 vcc_lo, 0, v0
	s_and_not1_b32 s14, s14, exec_lo
	s_and_b32 s15, vcc_lo, exec_lo
	s_delay_alu instid0(SALU_CYCLE_1)
	s_or_b32 s14, s14, s15
	s_or_b32 exec_lo, exec_lo, s12
	v_mov_b32_e32 v4, 0
	s_and_saveexec_b32 s12, s14
	s_cbranch_execnz .LBB332_1229
	s_branch .LBB332_1230
.LBB332_1245:
	s_mov_b32 s7, -1
                                        ; implicit-def: $vgpr4
	s_branch .LBB332_1250
.LBB332_1246:
	s_mov_b32 s7, -1
                                        ; implicit-def: $vgpr4
.LBB332_1247:
	s_delay_alu instid0(SALU_CYCLE_1)
	s_and_b32 vcc_lo, exec_lo, s7
	s_cbranch_vccz .LBB332_1249
; %bb.1248:
	global_load_u8 v0, v[8:9], off
	s_wait_loadcnt 0x0
	v_lshlrev_b32_e32 v0, 24, v0
	s_delay_alu instid0(VALU_DEP_1) | instskip(NEXT) | instid1(VALU_DEP_1)
	v_and_b32_e32 v1, 0x7f000000, v0
	v_clz_i32_u32_e32 v3, v1
	v_add_nc_u32_e32 v5, 0x1000000, v1
	v_cmp_ne_u32_e32 vcc_lo, 0, v1
	s_delay_alu instid0(VALU_DEP_3) | instskip(NEXT) | instid1(VALU_DEP_1)
	v_min_u32_e32 v3, 32, v3
	v_sub_nc_u32_e64 v3, v3, 4 clamp
	s_delay_alu instid0(VALU_DEP_1) | instskip(NEXT) | instid1(VALU_DEP_1)
	v_dual_lshlrev_b32 v4, v3, v1 :: v_dual_lshlrev_b32 v3, 23, v3
	v_lshrrev_b32_e32 v4, 4, v4
	s_delay_alu instid0(VALU_DEP_1) | instskip(NEXT) | instid1(VALU_DEP_1)
	v_dual_sub_nc_u32 v3, v4, v3 :: v_dual_ashrrev_i32 v4, 8, v5
	v_add_nc_u32_e32 v3, 0x3c000000, v3
	s_delay_alu instid0(VALU_DEP_1) | instskip(NEXT) | instid1(VALU_DEP_1)
	v_and_or_b32 v3, 0x7f800000, v4, v3
	v_cndmask_b32_e32 v1, 0, v3, vcc_lo
	s_delay_alu instid0(VALU_DEP_1) | instskip(NEXT) | instid1(VALU_DEP_1)
	v_and_or_b32 v0, 0x80000000, v0, v1
	v_cvt_u32_f32_e32 v4, v0
.LBB332_1249:
	s_mov_b32 s7, 0
.LBB332_1250:
	s_delay_alu instid0(SALU_CYCLE_1)
	s_and_not1_b32 vcc_lo, exec_lo, s7
	s_cbranch_vccnz .LBB332_1252
; %bb.1251:
	global_load_u8 v0, v[8:9], off
	s_wait_loadcnt 0x0
	v_lshlrev_b32_e32 v1, 25, v0
	v_lshlrev_b16 v0, 8, v0
	s_delay_alu instid0(VALU_DEP_2) | instskip(NEXT) | instid1(VALU_DEP_2)
	v_cmp_gt_u32_e32 vcc_lo, 0x8000000, v1
	v_and_or_b32 v4, 0x7f00, v0, 0.5
	v_lshrrev_b32_e32 v3, 4, v1
	v_bfe_i32 v0, v0, 0, 16
	s_delay_alu instid0(VALU_DEP_3) | instskip(NEXT) | instid1(VALU_DEP_3)
	v_add_f32_e32 v4, -0.5, v4
	v_or_b32_e32 v3, 0x70000000, v3
	s_delay_alu instid0(VALU_DEP_1) | instskip(NEXT) | instid1(VALU_DEP_1)
	v_mul_f32_e32 v3, 0x7800000, v3
	v_cndmask_b32_e32 v1, v3, v4, vcc_lo
	s_delay_alu instid0(VALU_DEP_1) | instskip(NEXT) | instid1(VALU_DEP_1)
	v_and_or_b32 v0, 0x80000000, v0, v1
	v_cvt_u32_f32_e32 v4, v0
.LBB332_1252:
	s_mov_b32 s7, 0
	s_mov_b32 s12, -1
.LBB332_1253:
	s_and_not1_b32 vcc_lo, exec_lo, s7
	s_mov_b32 s7, 0
	s_cbranch_vccnz .LBB332_1264
; %bb.1254:
	s_cmp_gt_i32 s1, 14
	s_cbranch_scc0 .LBB332_1257
; %bb.1255:
	s_cmp_eq_u32 s1, 15
	s_cbranch_scc0 .LBB332_1260
; %bb.1256:
	global_load_u16 v0, v[8:9], off
	s_mov_b32 s6, 0
	s_mov_b32 s12, -1
	s_wait_loadcnt 0x0
	v_lshlrev_b32_e32 v0, 16, v0
	s_delay_alu instid0(VALU_DEP_1)
	v_cvt_u32_f32_e32 v4, v0
	s_branch .LBB332_1262
.LBB332_1257:
	s_mov_b32 s7, -1
	s_branch .LBB332_1261
.LBB332_1258:
	s_and_not1_saveexec_b32 s7, s7
	s_cbranch_execz .LBB332_1239
.LBB332_1259:
	v_cmp_ne_u16_e32 vcc_lo, 0, v0
	s_and_not1_b32 s12, s12, exec_lo
	s_and_b32 s14, vcc_lo, exec_lo
	s_delay_alu instid0(SALU_CYCLE_1)
	s_or_b32 s12, s12, s14
	s_or_b32 exec_lo, exec_lo, s7
	v_mov_b32_e32 v4, 0
	s_and_saveexec_b32 s7, s12
	s_cbranch_execnz .LBB332_1240
	s_branch .LBB332_1241
.LBB332_1260:
	s_mov_b32 s6, -1
.LBB332_1261:
                                        ; implicit-def: $vgpr4
.LBB332_1262:
	s_and_b32 vcc_lo, exec_lo, s7
	s_mov_b32 s7, 0
	s_cbranch_vccz .LBB332_1264
; %bb.1263:
	s_cmp_lg_u32 s1, 11
	s_mov_b32 s7, -1
	s_cselect_b32 s1, -1, 0
	s_and_not1_b32 s6, s6, exec_lo
	s_and_b32 s1, s1, exec_lo
	s_delay_alu instid0(SALU_CYCLE_1)
	s_or_b32 s6, s6, s1
.LBB332_1264:
	s_mov_b32 s1, 0
.LBB332_1265:
	s_delay_alu instid0(SALU_CYCLE_1)
	s_and_b32 s51, s1, exec_lo
	s_and_not1_b32 s1, s48, exec_lo
	s_and_b32 s6, s6, exec_lo
	s_and_b32 s26, s12, exec_lo
	;; [unrolled: 1-line block ×3, first 2 shown]
	s_or_b32 s52, s1, s6
.LBB332_1266:
	s_wait_xcnt 0x0
	s_or_b32 exec_lo, exec_lo, s37
	s_delay_alu instid0(SALU_CYCLE_1)
	s_and_not1_b32 s1, s48, exec_lo
	s_and_b32 s6, s52, exec_lo
	s_and_b32 s26, s26, exec_lo
	;; [unrolled: 1-line block ×4, first 2 shown]
	s_or_b32 s48, s1, s6
.LBB332_1267:
	s_or_b32 exec_lo, exec_lo, s47
	s_delay_alu instid0(SALU_CYCLE_1)
	s_and_not1_b32 s1, s44, exec_lo
	s_and_b32 s6, s49, exec_lo
	s_and_not1_b32 s7, s45, exec_lo
	s_and_b32 s12, s50, exec_lo
	s_or_b32 s44, s1, s6
	s_and_not1_b32 s1, s43, exec_lo
	s_and_b32 s6, s48, exec_lo
	s_or_b32 s45, s7, s12
	s_and_b32 s26, s26, exec_lo
	s_and_b32 s47, s51, exec_lo
	;; [unrolled: 1-line block ×3, first 2 shown]
	s_or_b32 s43, s1, s6
.LBB332_1268:
	s_or_b32 exec_lo, exec_lo, s46
	s_delay_alu instid0(SALU_CYCLE_1)
	s_and_not1_b32 s1, s39, exec_lo
	s_and_b32 s6, s44, exec_lo
	s_and_not1_b32 s7, s40, exec_lo
	s_and_b32 s12, s45, exec_lo
	s_or_b32 s39, s1, s6
	s_and_not1_b32 s1, s41, exec_lo
	s_and_b32 s6, s43, exec_lo
	s_or_b32 s40, s7, s12
	s_and_b32 s26, s26, exec_lo
	s_and_b32 s44, s47, exec_lo
	;; [unrolled: 1-line block ×3, first 2 shown]
	s_or_b32 s41, s1, s6
	s_or_b32 exec_lo, exec_lo, s42
	s_mov_b32 s1, 0
	s_and_saveexec_b32 s6, s41
	s_cbranch_execz .LBB332_394
.LBB332_1269:
	s_mov_b32 s1, exec_lo
	s_and_not1_b32 s21, s21, exec_lo
	s_trap 2
	s_or_b32 exec_lo, exec_lo, s6
	s_and_saveexec_b32 s6, s21
	s_delay_alu instid0(SALU_CYCLE_1)
	s_xor_b32 s6, exec_lo, s6
	s_cbranch_execnz .LBB332_395
.LBB332_1270:
	s_or_b32 exec_lo, exec_lo, s6
	s_and_saveexec_b32 s6, s44
	s_cbranch_execz .LBB332_1316
.LBB332_1271:
	s_sext_i32_i16 s7, s0
	s_delay_alu instid0(SALU_CYCLE_1)
	s_cmp_lt_i32 s7, 5
	s_cbranch_scc1 .LBB332_1276
; %bb.1272:
	s_cmp_lt_i32 s7, 8
	s_cbranch_scc1 .LBB332_1277
; %bb.1273:
	;; [unrolled: 3-line block ×3, first 2 shown]
	s_cmp_gt_i32 s7, 9
	s_cbranch_scc0 .LBB332_1279
; %bb.1275:
	s_wait_loadcnt 0x0
	global_load_b64 v[0:1], v[8:9], off
	s_mov_b32 s7, 0
	s_wait_loadcnt 0x0
	v_cvt_u32_f64_e32 v4, v[0:1]
	s_branch .LBB332_1280
.LBB332_1276:
                                        ; implicit-def: $vgpr4
	s_branch .LBB332_1297
.LBB332_1277:
                                        ; implicit-def: $vgpr4
	s_branch .LBB332_1286
.LBB332_1278:
	s_mov_b32 s7, -1
                                        ; implicit-def: $vgpr4
	s_branch .LBB332_1283
.LBB332_1279:
	s_mov_b32 s7, -1
                                        ; implicit-def: $vgpr4
.LBB332_1280:
	s_delay_alu instid0(SALU_CYCLE_1)
	s_and_not1_b32 vcc_lo, exec_lo, s7
	s_cbranch_vccnz .LBB332_1282
; %bb.1281:
	s_wait_loadcnt 0x0
	global_load_b32 v0, v[8:9], off
	s_wait_loadcnt 0x0
	v_cvt_u32_f32_e32 v4, v0
.LBB332_1282:
	s_mov_b32 s7, 0
.LBB332_1283:
	s_delay_alu instid0(SALU_CYCLE_1)
	s_and_not1_b32 vcc_lo, exec_lo, s7
	s_cbranch_vccnz .LBB332_1285
; %bb.1284:
	s_wait_loadcnt 0x0
	global_load_b32 v0, v[8:9], off
	s_wait_loadcnt 0x0
	v_cvt_u16_f16_e32 v4, v0
.LBB332_1285:
	s_cbranch_execnz .LBB332_1296
.LBB332_1286:
	s_sext_i32_i16 s7, s0
	s_delay_alu instid0(SALU_CYCLE_1)
	s_cmp_lt_i32 s7, 6
	s_cbranch_scc1 .LBB332_1289
; %bb.1287:
	s_cmp_gt_i32 s7, 6
	s_cbranch_scc0 .LBB332_1290
; %bb.1288:
	s_wait_loadcnt 0x0
	global_load_b64 v[0:1], v[8:9], off
	s_mov_b32 s7, 0
	s_wait_loadcnt 0x0
	v_cvt_u32_f64_e32 v4, v[0:1]
	s_branch .LBB332_1291
.LBB332_1289:
	s_mov_b32 s7, -1
                                        ; implicit-def: $vgpr4
	s_branch .LBB332_1294
.LBB332_1290:
	s_mov_b32 s7, -1
                                        ; implicit-def: $vgpr4
.LBB332_1291:
	s_delay_alu instid0(SALU_CYCLE_1)
	s_and_not1_b32 vcc_lo, exec_lo, s7
	s_cbranch_vccnz .LBB332_1293
; %bb.1292:
	s_wait_loadcnt 0x0
	global_load_b32 v0, v[8:9], off
	s_wait_loadcnt 0x0
	v_cvt_u32_f32_e32 v4, v0
.LBB332_1293:
	s_mov_b32 s7, 0
.LBB332_1294:
	s_delay_alu instid0(SALU_CYCLE_1)
	s_and_not1_b32 vcc_lo, exec_lo, s7
	s_cbranch_vccnz .LBB332_1296
; %bb.1295:
	s_wait_loadcnt 0x0
	global_load_u16 v0, v[8:9], off
	s_wait_loadcnt 0x0
	v_cvt_u16_f16_e32 v4, v0
.LBB332_1296:
	s_cbranch_execnz .LBB332_1315
.LBB332_1297:
	s_sext_i32_i16 s7, s0
	s_delay_alu instid0(SALU_CYCLE_1)
	s_cmp_lt_i32 s7, 2
	s_cbranch_scc1 .LBB332_1301
; %bb.1298:
	s_cmp_lt_i32 s7, 3
	s_cbranch_scc1 .LBB332_1302
; %bb.1299:
	s_cmp_gt_i32 s7, 3
	s_cbranch_scc0 .LBB332_1303
; %bb.1300:
	s_wait_loadcnt 0x0
	global_load_b64 v[4:5], v[8:9], off
	s_mov_b32 s7, 0
	s_branch .LBB332_1304
.LBB332_1301:
                                        ; implicit-def: $vgpr4
	s_branch .LBB332_1310
.LBB332_1302:
	s_mov_b32 s7, -1
                                        ; implicit-def: $vgpr4
	s_branch .LBB332_1307
.LBB332_1303:
	s_mov_b32 s7, -1
                                        ; implicit-def: $vgpr4
.LBB332_1304:
	s_delay_alu instid0(SALU_CYCLE_1)
	s_and_not1_b32 vcc_lo, exec_lo, s7
	s_cbranch_vccnz .LBB332_1306
; %bb.1305:
	s_wait_loadcnt 0x0
	global_load_b32 v4, v[8:9], off
.LBB332_1306:
	s_mov_b32 s7, 0
.LBB332_1307:
	s_delay_alu instid0(SALU_CYCLE_1)
	s_and_not1_b32 vcc_lo, exec_lo, s7
	s_cbranch_vccnz .LBB332_1309
; %bb.1308:
	s_wait_loadcnt 0x0
	global_load_u16 v4, v[8:9], off
.LBB332_1309:
	s_cbranch_execnz .LBB332_1315
.LBB332_1310:
	s_sext_i32_i16 s0, s0
	s_delay_alu instid0(SALU_CYCLE_1)
	s_cmp_gt_i32 s0, 0
	s_mov_b32 s0, 0
	s_cbranch_scc0 .LBB332_1312
; %bb.1311:
	s_wait_loadcnt 0x0
	global_load_i8 v4, v[8:9], off
	s_branch .LBB332_1313
.LBB332_1312:
	s_mov_b32 s0, -1
                                        ; implicit-def: $vgpr4
.LBB332_1313:
	s_delay_alu instid0(SALU_CYCLE_1)
	s_and_not1_b32 vcc_lo, exec_lo, s0
	s_cbranch_vccnz .LBB332_1315
; %bb.1314:
	s_wait_loadcnt 0x0
	global_load_u8 v4, v[8:9], off
.LBB332_1315:
	s_or_b32 s26, s26, exec_lo
.LBB332_1316:
	s_wait_xcnt 0x0
	s_or_b32 exec_lo, exec_lo, s6
	s_mov_b32 s14, 0
	s_mov_b32 s7, 0
	;; [unrolled: 1-line block ×3, first 2 shown]
                                        ; implicit-def: $sgpr0
                                        ; implicit-def: $vgpr0_vgpr1
                                        ; implicit-def: $vgpr8
	s_and_saveexec_b32 s6, s26
	s_cbranch_execz .LBB332_1324
; %bb.1317:
	v_mov_b32_e32 v7, 0
	s_and_b32 s0, s13, 0xff
	s_delay_alu instid0(SALU_CYCLE_1) | instskip(NEXT) | instid1(VALU_DEP_1)
	s_cmp_lt_i32 s0, 11
	v_add_nc_u64_e32 v[0:1], s[8:9], v[6:7]
	s_cbranch_scc1 .LBB332_1327
; %bb.1318:
	s_and_b32 s7, 0xffff, s0
	s_mov_b32 s9, 0
	s_cmp_gt_i32 s7, 25
	s_cbranch_scc0 .LBB332_1328
; %bb.1319:
	s_cmp_gt_i32 s7, 28
	s_cbranch_scc0 .LBB332_1329
; %bb.1320:
	s_cmp_gt_i32 s7, 43
	s_cbranch_scc0 .LBB332_1330
; %bb.1321:
	s_cmp_gt_i32 s7, 45
	s_cbranch_scc0 .LBB332_1331
; %bb.1322:
	s_cmp_eq_u32 s7, 46
	s_mov_b32 s13, 0
	s_cbranch_scc0 .LBB332_1332
; %bb.1323:
	global_load_b32 v3, v[0:1], off
	s_mov_b32 s8, 0
	s_mov_b32 s12, -1
	s_wait_loadcnt 0x0
	v_lshlrev_b32_e32 v3, 16, v3
	s_delay_alu instid0(VALU_DEP_1)
	v_cvt_u32_f32_e32 v8, v3
	s_branch .LBB332_1334
.LBB332_1324:
	s_or_b32 exec_lo, exec_lo, s6
	s_and_saveexec_b32 s6, s40
	s_cbranch_execnz .LBB332_1393
.LBB332_1325:
	s_or_b32 exec_lo, exec_lo, s6
	s_and_saveexec_b32 s6, s14
	s_delay_alu instid0(SALU_CYCLE_1)
	s_xor_b32 s6, exec_lo, s6
	s_cbranch_execz .LBB332_1394
.LBB332_1326:
	global_load_u8 v3, v[0:1], off
	s_or_b32 s12, s12, exec_lo
	s_wait_loadcnt 0x0
	v_cmp_ne_u16_e32 vcc_lo, 0, v3
	v_cndmask_b32_e64 v8, 0, 1, vcc_lo
	s_wait_xcnt 0x0
	s_or_b32 exec_lo, exec_lo, s6
	s_and_saveexec_b32 s6, s7
	s_cbranch_execz .LBB332_1440
	s_branch .LBB332_1395
.LBB332_1327:
	s_mov_b32 s7, -1
	s_mov_b32 s9, 0
	s_mov_b32 s8, s40
                                        ; implicit-def: $vgpr8
	s_branch .LBB332_1392
.LBB332_1328:
	s_mov_b32 s8, s40
                                        ; implicit-def: $vgpr8
	s_cbranch_execnz .LBB332_1361
	s_branch .LBB332_1391
.LBB332_1329:
	s_mov_b32 s13, -1
	s_mov_b32 s8, s40
                                        ; implicit-def: $vgpr8
	s_branch .LBB332_1344
.LBB332_1330:
	s_mov_b32 s13, -1
	s_mov_b32 s8, s40
                                        ; implicit-def: $vgpr8
	s_branch .LBB332_1339
.LBB332_1331:
	s_mov_b32 s13, -1
	s_mov_b32 s8, s40
	s_branch .LBB332_1333
.LBB332_1332:
	s_mov_b32 s8, -1
.LBB332_1333:
                                        ; implicit-def: $vgpr8
.LBB332_1334:
	s_and_b32 vcc_lo, exec_lo, s13
	s_cbranch_vccz .LBB332_1338
; %bb.1335:
	s_cmp_eq_u32 s7, 44
	s_cbranch_scc0 .LBB332_1337
; %bb.1336:
	global_load_u8 v3, v[0:1], off
	s_mov_b32 s8, 0
	s_mov_b32 s12, -1
	s_wait_loadcnt 0x0
	v_lshlrev_b32_e32 v5, 23, v3
	v_cmp_ne_u32_e32 vcc_lo, 0, v3
	s_delay_alu instid0(VALU_DEP_2) | instskip(NEXT) | instid1(VALU_DEP_1)
	v_cvt_u32_f32_e32 v5, v5
	v_cndmask_b32_e32 v8, 0, v5, vcc_lo
	s_branch .LBB332_1338
.LBB332_1337:
	s_mov_b32 s8, -1
                                        ; implicit-def: $vgpr8
.LBB332_1338:
	s_mov_b32 s13, 0
.LBB332_1339:
	s_delay_alu instid0(SALU_CYCLE_1)
	s_and_b32 vcc_lo, exec_lo, s13
	s_cbranch_vccz .LBB332_1343
; %bb.1340:
	s_cmp_eq_u32 s7, 29
	s_cbranch_scc0 .LBB332_1342
; %bb.1341:
	s_wait_loadcnt 0x0
	global_load_b64 v[8:9], v[0:1], off
	s_mov_b32 s8, 0
	s_mov_b32 s12, -1
	s_branch .LBB332_1343
.LBB332_1342:
	s_mov_b32 s8, -1
                                        ; implicit-def: $vgpr8
.LBB332_1343:
	s_mov_b32 s13, 0
.LBB332_1344:
	s_delay_alu instid0(SALU_CYCLE_1)
	s_and_b32 vcc_lo, exec_lo, s13
	s_cbranch_vccz .LBB332_1360
; %bb.1345:
	s_cmp_lt_i32 s7, 27
	s_cbranch_scc1 .LBB332_1348
; %bb.1346:
	s_cmp_gt_i32 s7, 27
	s_cbranch_scc0 .LBB332_1349
; %bb.1347:
	s_wait_loadcnt 0x0
	global_load_b32 v8, v[0:1], off
	s_mov_b32 s12, 0
	s_branch .LBB332_1350
.LBB332_1348:
	s_mov_b32 s12, -1
                                        ; implicit-def: $vgpr8
	s_branch .LBB332_1353
.LBB332_1349:
	s_mov_b32 s12, -1
                                        ; implicit-def: $vgpr8
.LBB332_1350:
	s_delay_alu instid0(SALU_CYCLE_1)
	s_and_not1_b32 vcc_lo, exec_lo, s12
	s_cbranch_vccnz .LBB332_1352
; %bb.1351:
	s_wait_loadcnt 0x0
	global_load_u16 v8, v[0:1], off
.LBB332_1352:
	s_mov_b32 s12, 0
.LBB332_1353:
	s_delay_alu instid0(SALU_CYCLE_1)
	s_and_not1_b32 vcc_lo, exec_lo, s12
	s_cbranch_vccnz .LBB332_1359
; %bb.1354:
	global_load_u8 v3, v[0:1], off
	s_mov_b32 s13, 0
	s_mov_b32 s12, exec_lo
	s_wait_loadcnt 0x0
	v_cmpx_lt_i16_e32 0x7f, v3
	s_xor_b32 s12, exec_lo, s12
	s_cbranch_execz .LBB332_1370
; %bb.1355:
	v_cmp_ne_u16_e32 vcc_lo, 0x80, v3
	s_and_b32 s13, vcc_lo, exec_lo
	s_and_not1_saveexec_b32 s12, s12
	s_cbranch_execnz .LBB332_1371
.LBB332_1356:
	s_or_b32 exec_lo, exec_lo, s12
	v_mov_b32_e32 v8, 0
	s_and_saveexec_b32 s12, s13
	s_cbranch_execz .LBB332_1358
.LBB332_1357:
	v_and_b32_e32 v5, 0xffff, v3
	s_delay_alu instid0(VALU_DEP_1) | instskip(SKIP_1) | instid1(VALU_DEP_2)
	v_and_b32_e32 v6, 7, v5
	v_bfe_u32 v9, v5, 3, 4
	v_clz_i32_u32_e32 v7, v6
	s_delay_alu instid0(VALU_DEP_2) | instskip(NEXT) | instid1(VALU_DEP_2)
	v_cmp_eq_u32_e32 vcc_lo, 0, v9
	v_min_u32_e32 v7, 32, v7
	s_delay_alu instid0(VALU_DEP_1) | instskip(NEXT) | instid1(VALU_DEP_1)
	v_subrev_nc_u32_e32 v8, 28, v7
	v_dual_lshlrev_b32 v5, v8, v5 :: v_dual_sub_nc_u32 v7, 29, v7
	s_delay_alu instid0(VALU_DEP_1) | instskip(NEXT) | instid1(VALU_DEP_1)
	v_dual_lshlrev_b32 v3, 24, v3 :: v_dual_bitop2_b32 v5, 7, v5 bitop3:0x40
	v_dual_cndmask_b32 v5, v6, v5, vcc_lo :: v_dual_cndmask_b32 v7, v9, v7, vcc_lo
	s_delay_alu instid0(VALU_DEP_2) | instskip(NEXT) | instid1(VALU_DEP_2)
	v_and_b32_e32 v3, 0x80000000, v3
	v_lshlrev_b32_e32 v5, 20, v5
	s_delay_alu instid0(VALU_DEP_3) | instskip(NEXT) | instid1(VALU_DEP_1)
	v_lshl_add_u32 v6, v7, 23, 0x3b800000
	v_or3_b32 v3, v3, v6, v5
	s_delay_alu instid0(VALU_DEP_1)
	v_cvt_u32_f32_e32 v8, v3
.LBB332_1358:
	s_or_b32 exec_lo, exec_lo, s12
.LBB332_1359:
	s_mov_b32 s12, -1
.LBB332_1360:
	s_branch .LBB332_1391
.LBB332_1361:
	s_cmp_gt_i32 s7, 22
	s_cbranch_scc0 .LBB332_1369
; %bb.1362:
	s_cmp_lt_i32 s7, 24
	s_cbranch_scc1 .LBB332_1372
; %bb.1363:
	s_cmp_gt_i32 s7, 24
	s_cbranch_scc0 .LBB332_1373
; %bb.1364:
	global_load_u8 v3, v[0:1], off
	s_mov_b32 s12, 0
	s_mov_b32 s9, exec_lo
	s_wait_loadcnt 0x0
	v_cmpx_lt_i16_e32 0x7f, v3
	s_xor_b32 s9, exec_lo, s9
	s_cbranch_execz .LBB332_1385
; %bb.1365:
	v_cmp_ne_u16_e32 vcc_lo, 0x80, v3
	s_and_b32 s12, vcc_lo, exec_lo
	s_and_not1_saveexec_b32 s9, s9
	s_cbranch_execnz .LBB332_1386
.LBB332_1366:
	s_or_b32 exec_lo, exec_lo, s9
	v_mov_b32_e32 v8, 0
	s_and_saveexec_b32 s9, s12
	s_cbranch_execz .LBB332_1368
.LBB332_1367:
	v_and_b32_e32 v5, 0xffff, v3
	s_delay_alu instid0(VALU_DEP_1) | instskip(SKIP_1) | instid1(VALU_DEP_2)
	v_and_b32_e32 v6, 3, v5
	v_bfe_u32 v9, v5, 2, 5
	v_clz_i32_u32_e32 v7, v6
	s_delay_alu instid0(VALU_DEP_2) | instskip(NEXT) | instid1(VALU_DEP_2)
	v_cmp_eq_u32_e32 vcc_lo, 0, v9
	v_min_u32_e32 v7, 32, v7
	s_delay_alu instid0(VALU_DEP_1) | instskip(NEXT) | instid1(VALU_DEP_1)
	v_subrev_nc_u32_e32 v8, 29, v7
	v_dual_lshlrev_b32 v5, v8, v5 :: v_dual_sub_nc_u32 v7, 30, v7
	s_delay_alu instid0(VALU_DEP_1) | instskip(NEXT) | instid1(VALU_DEP_1)
	v_dual_lshlrev_b32 v3, 24, v3 :: v_dual_bitop2_b32 v5, 3, v5 bitop3:0x40
	v_dual_cndmask_b32 v5, v6, v5, vcc_lo :: v_dual_cndmask_b32 v7, v9, v7, vcc_lo
	s_delay_alu instid0(VALU_DEP_2) | instskip(NEXT) | instid1(VALU_DEP_2)
	v_and_b32_e32 v3, 0x80000000, v3
	v_lshlrev_b32_e32 v5, 21, v5
	s_delay_alu instid0(VALU_DEP_3) | instskip(NEXT) | instid1(VALU_DEP_1)
	v_lshl_add_u32 v6, v7, 23, 0x37800000
	v_or3_b32 v3, v3, v6, v5
	s_delay_alu instid0(VALU_DEP_1)
	v_cvt_u32_f32_e32 v8, v3
.LBB332_1368:
	s_or_b32 exec_lo, exec_lo, s9
	s_mov_b32 s9, 0
	s_branch .LBB332_1374
.LBB332_1369:
	s_mov_b32 s9, -1
                                        ; implicit-def: $vgpr8
	s_branch .LBB332_1380
.LBB332_1370:
	s_and_not1_saveexec_b32 s12, s12
	s_cbranch_execz .LBB332_1356
.LBB332_1371:
	v_cmp_ne_u16_e32 vcc_lo, 0, v3
	s_and_not1_b32 s13, s13, exec_lo
	s_and_b32 s14, vcc_lo, exec_lo
	s_delay_alu instid0(SALU_CYCLE_1)
	s_or_b32 s13, s13, s14
	s_or_b32 exec_lo, exec_lo, s12
	v_mov_b32_e32 v8, 0
	s_and_saveexec_b32 s12, s13
	s_cbranch_execnz .LBB332_1357
	s_branch .LBB332_1358
.LBB332_1372:
	s_mov_b32 s9, -1
                                        ; implicit-def: $vgpr8
	s_branch .LBB332_1377
.LBB332_1373:
	s_mov_b32 s9, -1
                                        ; implicit-def: $vgpr8
.LBB332_1374:
	s_delay_alu instid0(SALU_CYCLE_1)
	s_and_b32 vcc_lo, exec_lo, s9
	s_cbranch_vccz .LBB332_1376
; %bb.1375:
	global_load_u8 v3, v[0:1], off
	s_wait_loadcnt 0x0
	v_lshlrev_b32_e32 v3, 24, v3
	s_delay_alu instid0(VALU_DEP_1) | instskip(NEXT) | instid1(VALU_DEP_1)
	v_and_b32_e32 v5, 0x7f000000, v3
	v_clz_i32_u32_e32 v6, v5
	v_cmp_ne_u32_e32 vcc_lo, 0, v5
	v_add_nc_u32_e32 v8, 0x1000000, v5
	s_delay_alu instid0(VALU_DEP_3) | instskip(NEXT) | instid1(VALU_DEP_1)
	v_min_u32_e32 v6, 32, v6
	v_sub_nc_u32_e64 v6, v6, 4 clamp
	s_delay_alu instid0(VALU_DEP_1) | instskip(NEXT) | instid1(VALU_DEP_1)
	v_dual_lshlrev_b32 v7, v6, v5 :: v_dual_lshlrev_b32 v6, 23, v6
	v_lshrrev_b32_e32 v7, 4, v7
	s_delay_alu instid0(VALU_DEP_1) | instskip(NEXT) | instid1(VALU_DEP_1)
	v_dual_sub_nc_u32 v6, v7, v6 :: v_dual_ashrrev_i32 v7, 8, v8
	v_add_nc_u32_e32 v6, 0x3c000000, v6
	s_delay_alu instid0(VALU_DEP_1) | instskip(NEXT) | instid1(VALU_DEP_1)
	v_and_or_b32 v6, 0x7f800000, v7, v6
	v_cndmask_b32_e32 v5, 0, v6, vcc_lo
	s_delay_alu instid0(VALU_DEP_1) | instskip(NEXT) | instid1(VALU_DEP_1)
	v_and_or_b32 v3, 0x80000000, v3, v5
	v_cvt_u32_f32_e32 v8, v3
.LBB332_1376:
	s_mov_b32 s9, 0
.LBB332_1377:
	s_delay_alu instid0(SALU_CYCLE_1)
	s_and_not1_b32 vcc_lo, exec_lo, s9
	s_cbranch_vccnz .LBB332_1379
; %bb.1378:
	global_load_u8 v3, v[0:1], off
	s_wait_loadcnt 0x0
	v_lshlrev_b32_e32 v5, 25, v3
	v_lshlrev_b16 v3, 8, v3
	s_delay_alu instid0(VALU_DEP_1) | instskip(NEXT) | instid1(VALU_DEP_3)
	v_and_or_b32 v7, 0x7f00, v3, 0.5
	v_lshrrev_b32_e32 v6, 4, v5
	v_bfe_i32 v3, v3, 0, 16
	s_delay_alu instid0(VALU_DEP_3) | instskip(NEXT) | instid1(VALU_DEP_3)
	v_add_f32_e32 v7, -0.5, v7
	v_or_b32_e32 v6, 0x70000000, v6
	s_delay_alu instid0(VALU_DEP_1) | instskip(SKIP_1) | instid1(VALU_DEP_2)
	v_mul_f32_e32 v6, 0x7800000, v6
	v_cmp_gt_u32_e32 vcc_lo, 0x8000000, v5
	v_cndmask_b32_e32 v5, v6, v7, vcc_lo
	s_delay_alu instid0(VALU_DEP_1) | instskip(NEXT) | instid1(VALU_DEP_1)
	v_and_or_b32 v3, 0x80000000, v3, v5
	v_cvt_u32_f32_e32 v8, v3
.LBB332_1379:
	s_mov_b32 s9, 0
	s_mov_b32 s12, -1
.LBB332_1380:
	s_and_not1_b32 vcc_lo, exec_lo, s9
	s_mov_b32 s9, 0
	s_cbranch_vccnz .LBB332_1391
; %bb.1381:
	s_cmp_gt_i32 s7, 14
	s_cbranch_scc0 .LBB332_1384
; %bb.1382:
	s_cmp_eq_u32 s7, 15
	s_cbranch_scc0 .LBB332_1387
; %bb.1383:
	global_load_u16 v3, v[0:1], off
	s_mov_b32 s8, 0
	s_mov_b32 s12, -1
	s_wait_loadcnt 0x0
	v_lshlrev_b32_e32 v3, 16, v3
	s_delay_alu instid0(VALU_DEP_1)
	v_cvt_u32_f32_e32 v8, v3
	s_branch .LBB332_1389
.LBB332_1384:
	s_mov_b32 s9, -1
	s_branch .LBB332_1388
.LBB332_1385:
	s_and_not1_saveexec_b32 s9, s9
	s_cbranch_execz .LBB332_1366
.LBB332_1386:
	v_cmp_ne_u16_e32 vcc_lo, 0, v3
	s_and_not1_b32 s12, s12, exec_lo
	s_and_b32 s13, vcc_lo, exec_lo
	s_delay_alu instid0(SALU_CYCLE_1)
	s_or_b32 s12, s12, s13
	s_or_b32 exec_lo, exec_lo, s9
	v_mov_b32_e32 v8, 0
	s_and_saveexec_b32 s9, s12
	s_cbranch_execnz .LBB332_1367
	s_branch .LBB332_1368
.LBB332_1387:
	s_mov_b32 s8, -1
.LBB332_1388:
                                        ; implicit-def: $vgpr8
.LBB332_1389:
	s_and_b32 vcc_lo, exec_lo, s9
	s_mov_b32 s9, 0
	s_cbranch_vccz .LBB332_1391
; %bb.1390:
	s_cmp_lg_u32 s7, 11
	s_mov_b32 s9, -1
	s_cselect_b32 s7, -1, 0
	s_and_not1_b32 s8, s8, exec_lo
	s_and_b32 s7, s7, exec_lo
	s_delay_alu instid0(SALU_CYCLE_1)
	s_or_b32 s8, s8, s7
.LBB332_1391:
	s_mov_b32 s7, 0
.LBB332_1392:
	s_and_not1_b32 s13, s40, exec_lo
	s_and_b32 s8, s8, exec_lo
	s_and_b32 s12, s12, exec_lo
	;; [unrolled: 1-line block ×4, first 2 shown]
	s_or_b32 s40, s13, s8
	s_wait_xcnt 0x0
	s_or_b32 exec_lo, exec_lo, s6
	s_and_saveexec_b32 s6, s40
	s_cbranch_execz .LBB332_1325
.LBB332_1393:
	s_or_b32 s1, s1, exec_lo
	s_and_not1_b32 s14, s14, exec_lo
	s_trap 2
	s_or_b32 exec_lo, exec_lo, s6
	s_and_saveexec_b32 s6, s14
	s_delay_alu instid0(SALU_CYCLE_1)
	s_xor_b32 s6, exec_lo, s6
	s_cbranch_execnz .LBB332_1326
.LBB332_1394:
	s_or_b32 exec_lo, exec_lo, s6
	s_and_saveexec_b32 s6, s7
	s_cbranch_execz .LBB332_1440
.LBB332_1395:
	s_sext_i32_i16 s7, s0
	s_delay_alu instid0(SALU_CYCLE_1)
	s_cmp_lt_i32 s7, 5
	s_cbranch_scc1 .LBB332_1400
; %bb.1396:
	s_cmp_lt_i32 s7, 8
	s_cbranch_scc1 .LBB332_1401
; %bb.1397:
	;; [unrolled: 3-line block ×3, first 2 shown]
	s_cmp_gt_i32 s7, 9
	s_cbranch_scc0 .LBB332_1403
; %bb.1399:
	global_load_b64 v[6:7], v[0:1], off
	s_mov_b32 s7, 0
	s_wait_loadcnt 0x0
	v_cvt_u32_f64_e32 v8, v[6:7]
	s_branch .LBB332_1404
.LBB332_1400:
                                        ; implicit-def: $vgpr8
	s_branch .LBB332_1421
.LBB332_1401:
                                        ; implicit-def: $vgpr8
	s_branch .LBB332_1410
.LBB332_1402:
	s_mov_b32 s7, -1
                                        ; implicit-def: $vgpr8
	s_branch .LBB332_1407
.LBB332_1403:
	s_mov_b32 s7, -1
                                        ; implicit-def: $vgpr8
.LBB332_1404:
	s_delay_alu instid0(SALU_CYCLE_1)
	s_and_not1_b32 vcc_lo, exec_lo, s7
	s_cbranch_vccnz .LBB332_1406
; %bb.1405:
	global_load_b32 v3, v[0:1], off
	s_wait_loadcnt 0x0
	v_cvt_u32_f32_e32 v8, v3
.LBB332_1406:
	s_mov_b32 s7, 0
.LBB332_1407:
	s_delay_alu instid0(SALU_CYCLE_1)
	s_and_not1_b32 vcc_lo, exec_lo, s7
	s_cbranch_vccnz .LBB332_1409
; %bb.1408:
	global_load_b32 v3, v[0:1], off
	s_wait_loadcnt 0x0
	v_cvt_u16_f16_e32 v8, v3
.LBB332_1409:
	s_cbranch_execnz .LBB332_1420
.LBB332_1410:
	s_sext_i32_i16 s7, s0
	s_delay_alu instid0(SALU_CYCLE_1)
	s_cmp_lt_i32 s7, 6
	s_cbranch_scc1 .LBB332_1413
; %bb.1411:
	s_cmp_gt_i32 s7, 6
	s_cbranch_scc0 .LBB332_1414
; %bb.1412:
	global_load_b64 v[6:7], v[0:1], off
	s_mov_b32 s7, 0
	s_wait_loadcnt 0x0
	v_cvt_u32_f64_e32 v8, v[6:7]
	s_branch .LBB332_1415
.LBB332_1413:
	s_mov_b32 s7, -1
                                        ; implicit-def: $vgpr8
	s_branch .LBB332_1418
.LBB332_1414:
	s_mov_b32 s7, -1
                                        ; implicit-def: $vgpr8
.LBB332_1415:
	s_delay_alu instid0(SALU_CYCLE_1)
	s_and_not1_b32 vcc_lo, exec_lo, s7
	s_cbranch_vccnz .LBB332_1417
; %bb.1416:
	global_load_b32 v3, v[0:1], off
	s_wait_loadcnt 0x0
	v_cvt_u32_f32_e32 v8, v3
.LBB332_1417:
	s_mov_b32 s7, 0
.LBB332_1418:
	s_delay_alu instid0(SALU_CYCLE_1)
	s_and_not1_b32 vcc_lo, exec_lo, s7
	s_cbranch_vccnz .LBB332_1420
; %bb.1419:
	global_load_u16 v3, v[0:1], off
	s_wait_loadcnt 0x0
	v_cvt_u16_f16_e32 v8, v3
.LBB332_1420:
	s_cbranch_execnz .LBB332_1439
.LBB332_1421:
	s_sext_i32_i16 s7, s0
	s_delay_alu instid0(SALU_CYCLE_1)
	s_cmp_lt_i32 s7, 2
	s_cbranch_scc1 .LBB332_1425
; %bb.1422:
	s_cmp_lt_i32 s7, 3
	s_cbranch_scc1 .LBB332_1426
; %bb.1423:
	s_cmp_gt_i32 s7, 3
	s_cbranch_scc0 .LBB332_1427
; %bb.1424:
	s_wait_loadcnt 0x0
	global_load_b64 v[8:9], v[0:1], off
	s_mov_b32 s7, 0
	s_branch .LBB332_1428
.LBB332_1425:
                                        ; implicit-def: $vgpr8
	s_branch .LBB332_1434
.LBB332_1426:
	s_mov_b32 s7, -1
                                        ; implicit-def: $vgpr8
	s_branch .LBB332_1431
.LBB332_1427:
	s_mov_b32 s7, -1
                                        ; implicit-def: $vgpr8
.LBB332_1428:
	s_delay_alu instid0(SALU_CYCLE_1)
	s_and_not1_b32 vcc_lo, exec_lo, s7
	s_cbranch_vccnz .LBB332_1430
; %bb.1429:
	s_wait_loadcnt 0x0
	global_load_b32 v8, v[0:1], off
.LBB332_1430:
	s_mov_b32 s7, 0
.LBB332_1431:
	s_delay_alu instid0(SALU_CYCLE_1)
	s_and_not1_b32 vcc_lo, exec_lo, s7
	s_cbranch_vccnz .LBB332_1433
; %bb.1432:
	s_wait_loadcnt 0x0
	global_load_u16 v8, v[0:1], off
.LBB332_1433:
	s_cbranch_execnz .LBB332_1439
.LBB332_1434:
	s_sext_i32_i16 s0, s0
	s_delay_alu instid0(SALU_CYCLE_1)
	s_cmp_gt_i32 s0, 0
	s_mov_b32 s0, 0
	s_cbranch_scc0 .LBB332_1436
; %bb.1435:
	s_wait_loadcnt 0x0
	global_load_i8 v8, v[0:1], off
	s_branch .LBB332_1437
.LBB332_1436:
	s_mov_b32 s0, -1
                                        ; implicit-def: $vgpr8
.LBB332_1437:
	s_delay_alu instid0(SALU_CYCLE_1)
	s_and_not1_b32 vcc_lo, exec_lo, s0
	s_cbranch_vccnz .LBB332_1439
; %bb.1438:
	s_wait_loadcnt 0x0
	global_load_u8 v8, v[0:1], off
.LBB332_1439:
	s_or_b32 s12, s12, exec_lo
.LBB332_1440:
	s_wait_xcnt 0x0
	s_or_b32 exec_lo, exec_lo, s6
	s_mov_b32 s0, 0
	s_mov_b32 s9, 0
                                        ; implicit-def: $sgpr6
                                        ; implicit-def: $sgpr7
                                        ; implicit-def: $vgpr0_vgpr1
	s_and_saveexec_b32 s8, s12
	s_cbranch_execz .LBB332_1448
; %bb.1441:
	v_mov_b32_e32 v3, 0
	s_wait_loadcnt 0x0
	s_delay_alu instid0(VALU_DEP_2) | instskip(SKIP_1) | instid1(VALU_DEP_2)
	v_cmp_ne_u16_e32 vcc_lo, v4, v8
	s_and_b32 s7, s11, 0xff
	v_add_nc_u64_e32 v[0:1], s[4:5], v[2:3]
	s_xor_b32 s6, s10, vcc_lo
	s_cmp_lt_i32 s7, 11
	s_cbranch_scc1 .LBB332_1451
; %bb.1442:
	s_and_b32 s4, 0xffff, s7
	s_mov_b32 s5, -1
	s_cmp_gt_i32 s4, 25
	s_mov_b32 s0, s39
	s_cbranch_scc0 .LBB332_1479
; %bb.1443:
	s_cmp_gt_i32 s4, 28
	s_mov_b32 s0, s39
	s_cbranch_scc0 .LBB332_1463
; %bb.1444:
	;; [unrolled: 4-line block ×4, first 2 shown]
	s_cmp_eq_u32 s4, 46
	s_mov_b32 s0, -1
	s_cbranch_scc0 .LBB332_1452
; %bb.1447:
	v_cndmask_b32_e64 v2, 0, 1.0, s6
	s_mov_b32 s0, 0
	s_mov_b32 s5, 0
	s_delay_alu instid0(VALU_DEP_1) | instskip(NEXT) | instid1(VALU_DEP_1)
	v_bfe_u32 v3, v2, 16, 1
	v_add3_u32 v2, v2, v3, 0x7fff
	s_delay_alu instid0(VALU_DEP_1)
	v_lshrrev_b32_e32 v2, 16, v2
	global_store_b32 v[0:1], v2, off
	s_branch .LBB332_1453
.LBB332_1448:
	s_or_b32 exec_lo, exec_lo, s8
	s_and_saveexec_b32 s4, s39
	s_cbranch_execnz .LBB332_1521
.LBB332_1449:
	s_or_b32 exec_lo, exec_lo, s4
	s_and_saveexec_b32 s4, s0
	s_delay_alu instid0(SALU_CYCLE_1)
	s_xor_b32 s0, exec_lo, s4
	s_cbranch_execz .LBB332_1522
.LBB332_1450:
	v_cndmask_b32_e64 v2, 0, 1, s6
	global_store_b8 v[0:1], v2, off
	s_wait_xcnt 0x0
	s_or_b32 exec_lo, exec_lo, s0
	s_and_saveexec_b32 s0, s9
	s_delay_alu instid0(SALU_CYCLE_1)
	s_xor_b32 s0, exec_lo, s0
	s_cbranch_execz .LBB332_1560
	s_branch .LBB332_1523
.LBB332_1451:
	s_mov_b32 s10, 0
	s_mov_b32 s5, -1
	s_mov_b32 s0, s39
	s_branch .LBB332_1520
.LBB332_1452:
	s_mov_b32 s5, 0
.LBB332_1453:
	s_delay_alu instid0(SALU_CYCLE_1)
	s_and_b32 vcc_lo, exec_lo, s5
	s_cbranch_vccz .LBB332_1458
; %bb.1454:
	s_cmp_eq_u32 s4, 44
	s_mov_b32 s0, -1
	s_cbranch_scc0 .LBB332_1458
; %bb.1455:
	v_cndmask_b32_e64 v4, 0, 1.0, s6
	s_mov_b32 s5, exec_lo
	s_wait_xcnt 0x0
	s_delay_alu instid0(VALU_DEP_1) | instskip(NEXT) | instid1(VALU_DEP_1)
	v_dual_mov_b32 v3, 0xff :: v_dual_lshrrev_b32 v2, 23, v4
	v_cmpx_ne_u32_e32 0xff, v2
; %bb.1456:
	v_and_b32_e32 v3, 0x400000, v4
	v_and_or_b32 v4, 0x3fffff, v4, v2
	s_delay_alu instid0(VALU_DEP_2) | instskip(NEXT) | instid1(VALU_DEP_2)
	v_cmp_ne_u32_e32 vcc_lo, 0, v3
	v_cmp_ne_u32_e64 s0, 0, v4
	s_and_b32 s0, vcc_lo, s0
	s_delay_alu instid0(SALU_CYCLE_1) | instskip(NEXT) | instid1(VALU_DEP_1)
	v_cndmask_b32_e64 v3, 0, 1, s0
	v_add_nc_u32_e32 v3, v2, v3
; %bb.1457:
	s_or_b32 exec_lo, exec_lo, s5
	s_mov_b32 s0, 0
	global_store_b8 v[0:1], v3, off
.LBB332_1458:
	s_mov_b32 s5, 0
.LBB332_1459:
	s_delay_alu instid0(SALU_CYCLE_1)
	s_and_b32 vcc_lo, exec_lo, s5
	s_cbranch_vccz .LBB332_1462
; %bb.1460:
	s_cmp_eq_u32 s4, 29
	s_mov_b32 s0, -1
	s_cbranch_scc0 .LBB332_1462
; %bb.1461:
	s_mov_b32 s0, 0
	s_wait_xcnt 0x0
	v_cndmask_b32_e64 v2, 0, 1, s6
	v_mov_b32_e32 v3, s0
	s_mov_b32 s5, 0
	global_store_b64 v[0:1], v[2:3], off
	s_branch .LBB332_1463
.LBB332_1462:
	s_mov_b32 s5, 0
.LBB332_1463:
	s_delay_alu instid0(SALU_CYCLE_1)
	s_and_b32 vcc_lo, exec_lo, s5
	s_cbranch_vccz .LBB332_1478
; %bb.1464:
	s_cmp_lt_i32 s4, 27
	s_mov_b32 s5, -1
	s_cbranch_scc1 .LBB332_1470
; %bb.1465:
	s_cmp_gt_i32 s4, 27
	s_cbranch_scc0 .LBB332_1467
; %bb.1466:
	s_wait_xcnt 0x0
	v_cndmask_b32_e64 v2, 0, 1, s6
	s_mov_b32 s5, 0
	global_store_b32 v[0:1], v2, off
.LBB332_1467:
	s_and_not1_b32 vcc_lo, exec_lo, s5
	s_cbranch_vccnz .LBB332_1469
; %bb.1468:
	s_wait_xcnt 0x0
	v_cndmask_b32_e64 v2, 0, 1, s6
	global_store_b16 v[0:1], v2, off
.LBB332_1469:
	s_mov_b32 s5, 0
.LBB332_1470:
	s_delay_alu instid0(SALU_CYCLE_1)
	s_and_not1_b32 vcc_lo, exec_lo, s5
	s_cbranch_vccnz .LBB332_1478
; %bb.1471:
	s_wait_xcnt 0x0
	v_cndmask_b32_e64 v3, 0, 1.0, s6
	v_mov_b32_e32 v4, 0x80
	s_mov_b32 s5, exec_lo
	s_delay_alu instid0(VALU_DEP_2)
	v_cmpx_gt_u32_e32 0x43800000, v3
	s_cbranch_execz .LBB332_1477
; %bb.1472:
	s_mov_b32 s10, exec_lo
                                        ; implicit-def: $vgpr2
	v_cmpx_lt_u32_e32 0x3bffffff, v3
	s_xor_b32 s10, exec_lo, s10
	s_cbranch_execz .LBB332_1619
; %bb.1473:
	v_bfe_u32 v2, v3, 20, 1
	s_mov_b32 s9, exec_lo
	s_delay_alu instid0(VALU_DEP_1) | instskip(NEXT) | instid1(VALU_DEP_1)
	v_add3_u32 v2, v3, v2, 0x487ffff
                                        ; implicit-def: $vgpr3
	v_lshrrev_b32_e32 v2, 20, v2
	s_and_not1_saveexec_b32 s10, s10
	s_cbranch_execnz .LBB332_1620
.LBB332_1474:
	s_or_b32 exec_lo, exec_lo, s10
	v_mov_b32_e32 v4, 0
	s_and_saveexec_b32 s10, s9
.LBB332_1475:
	v_mov_b32_e32 v4, v2
.LBB332_1476:
	s_or_b32 exec_lo, exec_lo, s10
.LBB332_1477:
	s_delay_alu instid0(SALU_CYCLE_1)
	s_or_b32 exec_lo, exec_lo, s5
	global_store_b8 v[0:1], v4, off
.LBB332_1478:
	s_mov_b32 s5, 0
.LBB332_1479:
	s_delay_alu instid0(SALU_CYCLE_1)
	s_and_b32 vcc_lo, exec_lo, s5
	s_mov_b32 s5, 0
	s_cbranch_vccz .LBB332_1519
; %bb.1480:
	s_cmp_gt_i32 s4, 22
	s_mov_b32 s9, -1
	s_cbranch_scc0 .LBB332_1512
; %bb.1481:
	s_cmp_lt_i32 s4, 24
	s_cbranch_scc1 .LBB332_1501
; %bb.1482:
	s_cmp_gt_i32 s4, 24
	s_cbranch_scc0 .LBB332_1490
; %bb.1483:
	s_wait_xcnt 0x0
	v_cndmask_b32_e64 v3, 0, 1.0, s6
	v_mov_b32_e32 v4, 0x80
	s_mov_b32 s9, exec_lo
	s_delay_alu instid0(VALU_DEP_2)
	v_cmpx_gt_u32_e32 0x47800000, v3
	s_cbranch_execz .LBB332_1489
; %bb.1484:
	s_mov_b32 s10, 0
	s_mov_b32 s11, exec_lo
                                        ; implicit-def: $vgpr2
	v_cmpx_lt_u32_e32 0x37ffffff, v3
	s_xor_b32 s11, exec_lo, s11
	s_cbranch_execz .LBB332_1740
; %bb.1485:
	v_bfe_u32 v2, v3, 21, 1
	s_mov_b32 s10, exec_lo
	s_delay_alu instid0(VALU_DEP_1) | instskip(NEXT) | instid1(VALU_DEP_1)
	v_add3_u32 v2, v3, v2, 0x88fffff
                                        ; implicit-def: $vgpr3
	v_lshrrev_b32_e32 v2, 21, v2
	s_and_not1_saveexec_b32 s11, s11
	s_cbranch_execnz .LBB332_1741
.LBB332_1486:
	s_or_b32 exec_lo, exec_lo, s11
	v_mov_b32_e32 v4, 0
	s_and_saveexec_b32 s11, s10
.LBB332_1487:
	v_mov_b32_e32 v4, v2
.LBB332_1488:
	s_or_b32 exec_lo, exec_lo, s11
.LBB332_1489:
	s_delay_alu instid0(SALU_CYCLE_1)
	s_or_b32 exec_lo, exec_lo, s9
	s_mov_b32 s9, 0
	global_store_b8 v[0:1], v4, off
.LBB332_1490:
	s_and_b32 vcc_lo, exec_lo, s9
	s_cbranch_vccz .LBB332_1500
; %bb.1491:
	s_wait_xcnt 0x0
	v_cndmask_b32_e64 v3, 0, 1.0, s6
	s_mov_b32 s9, exec_lo
                                        ; implicit-def: $vgpr2
	s_delay_alu instid0(VALU_DEP_1)
	v_cmpx_gt_u32_e32 0x43f00000, v3
	s_xor_b32 s9, exec_lo, s9
	s_cbranch_execz .LBB332_1497
; %bb.1492:
	s_mov_b32 s10, exec_lo
                                        ; implicit-def: $vgpr2
	v_cmpx_lt_u32_e32 0x3c7fffff, v3
	s_xor_b32 s10, exec_lo, s10
; %bb.1493:
	v_bfe_u32 v2, v3, 20, 1
	s_delay_alu instid0(VALU_DEP_1) | instskip(NEXT) | instid1(VALU_DEP_1)
	v_add3_u32 v2, v3, v2, 0x407ffff
	v_and_b32_e32 v3, 0xff00000, v2
	v_lshrrev_b32_e32 v2, 20, v2
	s_delay_alu instid0(VALU_DEP_2) | instskip(NEXT) | instid1(VALU_DEP_2)
	v_cmp_ne_u32_e32 vcc_lo, 0x7f00000, v3
                                        ; implicit-def: $vgpr3
	v_cndmask_b32_e32 v2, 0x7e, v2, vcc_lo
; %bb.1494:
	s_and_not1_saveexec_b32 s10, s10
; %bb.1495:
	v_add_f32_e32 v2, 0x46800000, v3
; %bb.1496:
	s_or_b32 exec_lo, exec_lo, s10
                                        ; implicit-def: $vgpr3
.LBB332_1497:
	s_and_not1_saveexec_b32 s9, s9
; %bb.1498:
	v_mov_b32_e32 v2, 0x7f
	v_cmp_lt_u32_e32 vcc_lo, 0x7f800000, v3
	s_delay_alu instid0(VALU_DEP_2)
	v_cndmask_b32_e32 v2, 0x7e, v2, vcc_lo
; %bb.1499:
	s_or_b32 exec_lo, exec_lo, s9
	global_store_b8 v[0:1], v2, off
.LBB332_1500:
	s_mov_b32 s9, 0
.LBB332_1501:
	s_delay_alu instid0(SALU_CYCLE_1)
	s_and_not1_b32 vcc_lo, exec_lo, s9
	s_cbranch_vccnz .LBB332_1511
; %bb.1502:
	s_wait_xcnt 0x0
	v_cndmask_b32_e64 v3, 0, 1.0, s6
	s_mov_b32 s9, exec_lo
                                        ; implicit-def: $vgpr2
	s_delay_alu instid0(VALU_DEP_1)
	v_cmpx_gt_u32_e32 0x47800000, v3
	s_xor_b32 s9, exec_lo, s9
	s_cbranch_execz .LBB332_1508
; %bb.1503:
	s_mov_b32 s10, exec_lo
                                        ; implicit-def: $vgpr2
	v_cmpx_lt_u32_e32 0x387fffff, v3
	s_xor_b32 s10, exec_lo, s10
; %bb.1504:
	v_bfe_u32 v2, v3, 21, 1
	s_delay_alu instid0(VALU_DEP_1) | instskip(NEXT) | instid1(VALU_DEP_1)
	v_add3_u32 v2, v3, v2, 0x80fffff
                                        ; implicit-def: $vgpr3
	v_lshrrev_b32_e32 v2, 21, v2
; %bb.1505:
	s_and_not1_saveexec_b32 s10, s10
; %bb.1506:
	v_add_f32_e32 v2, 0x43000000, v3
; %bb.1507:
	s_or_b32 exec_lo, exec_lo, s10
                                        ; implicit-def: $vgpr3
.LBB332_1508:
	s_and_not1_saveexec_b32 s9, s9
; %bb.1509:
	v_mov_b32_e32 v2, 0x7f
	v_cmp_lt_u32_e32 vcc_lo, 0x7f800000, v3
	s_delay_alu instid0(VALU_DEP_2)
	v_cndmask_b32_e32 v2, 0x7c, v2, vcc_lo
; %bb.1510:
	s_or_b32 exec_lo, exec_lo, s9
	global_store_b8 v[0:1], v2, off
.LBB332_1511:
	s_mov_b32 s9, 0
.LBB332_1512:
	s_delay_alu instid0(SALU_CYCLE_1)
	s_and_not1_b32 vcc_lo, exec_lo, s9
	s_mov_b32 s10, 0
	s_cbranch_vccnz .LBB332_1520
; %bb.1513:
	s_cmp_gt_i32 s4, 14
	s_mov_b32 s9, -1
	s_cbranch_scc0 .LBB332_1517
; %bb.1514:
	s_cmp_eq_u32 s4, 15
	s_mov_b32 s0, -1
	s_cbranch_scc0 .LBB332_1516
; %bb.1515:
	s_wait_xcnt 0x0
	v_cndmask_b32_e64 v2, 0, 1.0, s6
	s_mov_b32 s0, 0
	s_delay_alu instid0(VALU_DEP_1) | instskip(NEXT) | instid1(VALU_DEP_1)
	v_bfe_u32 v3, v2, 16, 1
	v_add3_u32 v2, v2, v3, 0x7fff
	global_store_d16_hi_b16 v[0:1], v2, off
.LBB332_1516:
	s_mov_b32 s9, 0
.LBB332_1517:
	s_delay_alu instid0(SALU_CYCLE_1)
	s_and_b32 vcc_lo, exec_lo, s9
	s_cbranch_vccz .LBB332_1520
; %bb.1518:
	s_cmp_lg_u32 s4, 11
	s_mov_b32 s10, -1
	s_cselect_b32 s4, -1, 0
	s_and_not1_b32 s0, s0, exec_lo
	s_and_b32 s4, s4, exec_lo
	s_delay_alu instid0(SALU_CYCLE_1)
	s_or_b32 s0, s0, s4
	s_branch .LBB332_1520
.LBB332_1519:
	s_mov_b32 s10, 0
.LBB332_1520:
	s_and_b32 s9, s5, exec_lo
	s_and_not1_b32 s4, s39, exec_lo
	s_and_b32 s5, s0, exec_lo
	s_and_b32 s0, s10, exec_lo
	s_or_b32 s39, s4, s5
	s_wait_xcnt 0x0
	s_or_b32 exec_lo, exec_lo, s8
	s_and_saveexec_b32 s4, s39
	s_cbranch_execz .LBB332_1449
.LBB332_1521:
	s_or_b32 s1, s1, exec_lo
	s_and_not1_b32 s0, s0, exec_lo
	s_trap 2
	s_or_b32 exec_lo, exec_lo, s4
	s_and_saveexec_b32 s4, s0
	s_delay_alu instid0(SALU_CYCLE_1)
	s_xor_b32 s0, exec_lo, s4
	s_cbranch_execnz .LBB332_1450
.LBB332_1522:
	s_or_b32 exec_lo, exec_lo, s0
	s_and_saveexec_b32 s0, s9
	s_delay_alu instid0(SALU_CYCLE_1)
	s_xor_b32 s0, exec_lo, s0
	s_cbranch_execz .LBB332_1560
.LBB332_1523:
	s_sext_i32_i16 s5, s7
	s_mov_b32 s4, -1
	s_cmp_lt_i32 s5, 5
	s_cbranch_scc1 .LBB332_1544
; %bb.1524:
	s_cmp_lt_i32 s5, 8
	s_cbranch_scc1 .LBB332_1534
; %bb.1525:
	;; [unrolled: 3-line block ×3, first 2 shown]
	s_cmp_gt_i32 s5, 9
	s_cbranch_scc0 .LBB332_1528
; %bb.1527:
	v_cndmask_b32_e64 v2, 0, 1, s6
	s_wait_loadcnt 0x0
	v_mov_b32_e32 v4, 0
	s_mov_b32 s4, 0
	s_delay_alu instid0(VALU_DEP_2) | instskip(NEXT) | instid1(VALU_DEP_2)
	v_cvt_f64_u32_e32 v[2:3], v2
	v_mov_b32_e32 v5, v4
	global_store_b128 v[0:1], v[2:5], off
.LBB332_1528:
	s_and_not1_b32 vcc_lo, exec_lo, s4
	s_cbranch_vccnz .LBB332_1530
; %bb.1529:
	s_wait_xcnt 0x0
	v_cndmask_b32_e64 v2, 0, 1.0, s6
	v_mov_b32_e32 v3, 0
	global_store_b64 v[0:1], v[2:3], off
.LBB332_1530:
	s_mov_b32 s4, 0
.LBB332_1531:
	s_delay_alu instid0(SALU_CYCLE_1)
	s_and_not1_b32 vcc_lo, exec_lo, s4
	s_cbranch_vccnz .LBB332_1533
; %bb.1532:
	s_wait_xcnt 0x0
	v_cndmask_b32_e64 v2, 0, 1.0, s6
	s_delay_alu instid0(VALU_DEP_1) | instskip(NEXT) | instid1(VALU_DEP_1)
	v_cvt_f16_f32_e32 v2, v2
	v_and_b32_e32 v2, 0xffff, v2
	global_store_b32 v[0:1], v2, off
.LBB332_1533:
	s_mov_b32 s4, 0
.LBB332_1534:
	s_delay_alu instid0(SALU_CYCLE_1)
	s_and_not1_b32 vcc_lo, exec_lo, s4
	s_cbranch_vccnz .LBB332_1543
; %bb.1535:
	s_sext_i32_i16 s5, s7
	s_mov_b32 s4, -1
	s_cmp_lt_i32 s5, 6
	s_cbranch_scc1 .LBB332_1541
; %bb.1536:
	s_cmp_gt_i32 s5, 6
	s_cbranch_scc0 .LBB332_1538
; %bb.1537:
	s_wait_xcnt 0x0
	v_cndmask_b32_e64 v2, 0, 1, s6
	s_mov_b32 s4, 0
	s_delay_alu instid0(VALU_DEP_1)
	v_cvt_f64_u32_e32 v[2:3], v2
	global_store_b64 v[0:1], v[2:3], off
.LBB332_1538:
	s_and_not1_b32 vcc_lo, exec_lo, s4
	s_cbranch_vccnz .LBB332_1540
; %bb.1539:
	s_wait_xcnt 0x0
	v_cndmask_b32_e64 v2, 0, 1.0, s6
	global_store_b32 v[0:1], v2, off
.LBB332_1540:
	s_mov_b32 s4, 0
.LBB332_1541:
	s_delay_alu instid0(SALU_CYCLE_1)
	s_and_not1_b32 vcc_lo, exec_lo, s4
	s_cbranch_vccnz .LBB332_1543
; %bb.1542:
	s_wait_xcnt 0x0
	v_cndmask_b32_e64 v2, 0, 1.0, s6
	s_delay_alu instid0(VALU_DEP_1)
	v_cvt_f16_f32_e32 v2, v2
	global_store_b16 v[0:1], v2, off
.LBB332_1543:
	s_mov_b32 s4, 0
.LBB332_1544:
	s_delay_alu instid0(SALU_CYCLE_1)
	s_and_not1_b32 vcc_lo, exec_lo, s4
	s_cbranch_vccnz .LBB332_1560
; %bb.1545:
	s_sext_i32_i16 s5, s7
	s_mov_b32 s4, -1
	s_cmp_lt_i32 s5, 2
	s_cbranch_scc1 .LBB332_1555
; %bb.1546:
	s_cmp_lt_i32 s5, 3
	s_cbranch_scc1 .LBB332_1552
; %bb.1547:
	s_cmp_gt_i32 s5, 3
	s_cbranch_scc0 .LBB332_1549
; %bb.1548:
	s_mov_b32 s4, 0
	s_wait_xcnt 0x0
	v_cndmask_b32_e64 v2, 0, 1, s6
	v_mov_b32_e32 v3, s4
	global_store_b64 v[0:1], v[2:3], off
.LBB332_1549:
	s_and_not1_b32 vcc_lo, exec_lo, s4
	s_cbranch_vccnz .LBB332_1551
; %bb.1550:
	s_wait_xcnt 0x0
	v_cndmask_b32_e64 v2, 0, 1, s6
	global_store_b32 v[0:1], v2, off
.LBB332_1551:
	s_mov_b32 s4, 0
.LBB332_1552:
	s_delay_alu instid0(SALU_CYCLE_1)
	s_and_not1_b32 vcc_lo, exec_lo, s4
	s_cbranch_vccnz .LBB332_1554
; %bb.1553:
	s_wait_xcnt 0x0
	v_cndmask_b32_e64 v2, 0, 1, s6
	global_store_b16 v[0:1], v2, off
.LBB332_1554:
	s_mov_b32 s4, 0
.LBB332_1555:
	s_delay_alu instid0(SALU_CYCLE_1)
	s_and_not1_b32 vcc_lo, exec_lo, s4
	s_cbranch_vccnz .LBB332_1560
; %bb.1556:
	s_wait_xcnt 0x0
	v_cndmask_b32_e64 v2, 0, 1, s6
	s_sext_i32_i16 s4, s7
	s_delay_alu instid0(SALU_CYCLE_1)
	s_cmp_gt_i32 s4, 0
	s_mov_b32 s4, -1
	s_cbranch_scc0 .LBB332_1558
; %bb.1557:
	s_mov_b32 s4, 0
	global_store_b8 v[0:1], v2, off
.LBB332_1558:
	s_and_not1_b32 vcc_lo, exec_lo, s4
	s_cbranch_vccnz .LBB332_1560
; %bb.1559:
	global_store_b8 v[0:1], v2, off
.LBB332_1560:
	s_wait_xcnt 0x0
	s_or_b32 exec_lo, exec_lo, s0
	s_delay_alu instid0(SALU_CYCLE_1)
	s_and_b32 s8, s1, exec_lo
                                        ; implicit-def: $vgpr1
                                        ; implicit-def: $vgpr0
.LBB332_1561:
	s_or_saveexec_b32 s9, s33
	s_mov_b32 s0, 0
                                        ; implicit-def: $sgpr4
                                        ; implicit-def: $vgpr2_vgpr3
                                        ; implicit-def: $sgpr1
	s_xor_b32 exec_lo, exec_lo, s9
	s_cbranch_execz .LBB332_3049
; %bb.1562:
	v_cndmask_b32_e64 v3, 0, 1, s31
	s_and_not1_b32 vcc_lo, exec_lo, s31
	s_cbranch_vccnz .LBB332_1568
; %bb.1563:
	s_cmp_lg_u32 s28, 0
	s_mov_b32 s4, 0
	s_cbranch_scc0 .LBB332_1572
; %bb.1564:
	s_min_u32 s5, s29, 15
	v_dual_mov_b32 v6, 0 :: v_dual_mov_b32 v2, v0
	s_wait_loadcnt 0x0
	v_dual_mov_b32 v8, 0 :: v_dual_mov_b32 v14, 0
	s_add_co_i32 s6, s5, 1
	s_mov_b64 s[0:1], 0xffffffffffffffe8
	s_and_b32 s6, s6, 30
	s_add_nc_u64 s[0:1], s[2:3], s[0:1]
.LBB332_1565:                           ; =>This Inner Loop Header: Depth=1
	s_clause 0x1
	s_load_b128 s[12:15], s[0:1], 0x1c
	s_load_b64 s[10:11], s[0:1], 0x2c
	s_add_co_i32 s6, s6, -2
	s_delay_alu instid0(SALU_CYCLE_1) | instskip(SKIP_2) | instid1(VALU_DEP_1)
	s_cmp_lg_u32 s6, 0
	s_wait_kmcnt 0x0
	v_mul_hi_u32 v4, s13, v2
	v_add_nc_u32_e32 v4, v2, v4
	s_delay_alu instid0(VALU_DEP_1) | instskip(NEXT) | instid1(VALU_DEP_1)
	v_lshrrev_b32_e32 v4, s14, v4
	v_mul_hi_u32 v5, s10, v4
	v_mul_lo_u32 v7, v4, s12
	s_clause 0x1
	s_load_b128 s[16:19], s[0:1], 0xdc
	s_load_b64 s[12:13], s[0:1], 0xec
	s_wait_xcnt 0x0
	s_add_nc_u64 s[0:1], s[0:1], 24
	s_delay_alu instid0(VALU_DEP_1) | instskip(NEXT) | instid1(VALU_DEP_1)
	v_dual_add_nc_u32 v5, v4, v5 :: v_dual_sub_nc_u32 v7, v2, v7
	v_lshrrev_b32_e32 v2, s11, v5
	s_wait_kmcnt 0x0
	s_delay_alu instid0(VALU_DEP_2) | instskip(NEXT) | instid1(VALU_DEP_2)
	v_mad_u32 v6, v7, s16, v6
	v_mul_lo_u32 v5, v2, s15
	v_mad_u32 v9, v7, s18, v14
	v_mad_u32 v7, v7, s17, v8
	s_delay_alu instid0(VALU_DEP_3) | instskip(NEXT) | instid1(VALU_DEP_1)
	v_sub_nc_u32_e32 v4, v4, v5
	v_mad_u32 v6, v4, s19, v6
	s_delay_alu instid0(VALU_DEP_4) | instskip(NEXT) | instid1(VALU_DEP_4)
	v_mad_u32 v14, v4, s13, v9
	v_mad_u32 v8, v4, s12, v7
	s_cbranch_scc1 .LBB332_1565
; %bb.1566:
	s_bitcmp1_b32 s5, 0
	s_cselect_b32 s5, -1, 0
	s_delay_alu instid0(SALU_CYCLE_1)
	s_and_b32 vcc_lo, exec_lo, s5
	s_cbranch_vccnz .LBB332_1569
; %bb.1567:
	s_clause 0x1
	s_load_b96 s[12:14], s[0:1], 0x1c
	s_load_b96 s[16:18], s[0:1], 0xdc
	s_wait_kmcnt 0x0
	v_mul_hi_u32 v4, s13, v2
	s_delay_alu instid0(VALU_DEP_1) | instskip(NEXT) | instid1(VALU_DEP_1)
	v_add_nc_u32_e32 v4, v2, v4
	v_lshrrev_b32_e32 v4, s14, v4
	s_delay_alu instid0(VALU_DEP_1) | instskip(NEXT) | instid1(VALU_DEP_1)
	v_mul_lo_u32 v4, v4, s12
	v_sub_nc_u32_e32 v2, v2, v4
	s_delay_alu instid0(VALU_DEP_1)
	v_mad_u32 v6, v2, s16, v6
	v_mad_u32 v8, v2, s17, v8
	;; [unrolled: 1-line block ×3, first 2 shown]
	s_and_not1_b32 vcc_lo, exec_lo, s4
	s_cbranch_vccz .LBB332_1570
	s_branch .LBB332_1573
.LBB332_1568:
	s_mov_b32 s4, -1
                                        ; implicit-def: $vgpr14
                                        ; implicit-def: $vgpr8
                                        ; implicit-def: $vgpr6
.LBB332_1569:
	s_delay_alu instid0(SALU_CYCLE_1)
	s_and_not1_b32 vcc_lo, exec_lo, s4
	s_cbranch_vccnz .LBB332_1573
.LBB332_1570:
	s_clause 0x1
	s_load_b96 s[4:6], s[2:3], 0x4
	s_load_b96 s[12:14], s[2:3], 0xc4
	s_cmp_lt_u32 s28, 2
	s_wait_kmcnt 0x0
	v_mul_hi_u32 v2, s5, v0
	s_delay_alu instid0(VALU_DEP_1) | instskip(NEXT) | instid1(VALU_DEP_1)
	v_add_nc_u32_e32 v2, v0, v2
	v_lshrrev_b32_e32 v2, s6, v2
	s_wait_loadcnt 0x0
	s_delay_alu instid0(VALU_DEP_1) | instskip(NEXT) | instid1(VALU_DEP_1)
	v_mul_lo_u32 v4, v2, s4
	v_sub_nc_u32_e32 v4, v0, v4
	s_delay_alu instid0(VALU_DEP_1)
	v_mul_lo_u32 v6, v4, s12
	v_mul_lo_u32 v14, v4, s14
	;; [unrolled: 1-line block ×3, first 2 shown]
	s_cbranch_scc1 .LBB332_1573
; %bb.1571:
	s_clause 0x1
	s_load_b96 s[4:6], s[2:3], 0x10
	s_load_b96 s[12:14], s[2:3], 0xd0
	s_wait_kmcnt 0x0
	v_mul_hi_u32 v4, s5, v2
	s_delay_alu instid0(VALU_DEP_1) | instskip(NEXT) | instid1(VALU_DEP_1)
	v_add_nc_u32_e32 v4, v2, v4
	v_lshrrev_b32_e32 v4, s6, v4
	s_delay_alu instid0(VALU_DEP_1) | instskip(NEXT) | instid1(VALU_DEP_1)
	v_mul_lo_u32 v4, v4, s4
	v_sub_nc_u32_e32 v2, v2, v4
	s_delay_alu instid0(VALU_DEP_1)
	v_mad_u32 v6, v2, s12, v6
	v_mad_u32 v8, v2, s13, v8
	;; [unrolled: 1-line block ×3, first 2 shown]
	s_branch .LBB332_1573
.LBB332_1572:
	s_wait_loadcnt 0x0
	v_dual_mov_b32 v14, 0 :: v_dual_mov_b32 v8, 0
	v_mov_b32_e32 v6, 0
	s_and_not1_b32 vcc_lo, exec_lo, s4
	s_cbranch_vccz .LBB332_1570
.LBB332_1573:
	v_cmp_ne_u32_e32 vcc_lo, 1, v3
	v_add_nc_u32_e32 v2, 0x80, v0
	s_cbranch_vccnz .LBB332_1579
; %bb.1574:
	s_cmp_lg_u32 s28, 0
	s_mov_b32 s4, 0
	s_cbranch_scc0 .LBB332_1583
; %bb.1575:
	s_min_u32 s5, s29, 15
	s_wait_loadcnt 0x0
	v_dual_mov_b32 v4, 0 :: v_dual_mov_b32 v5, v2
	v_dual_mov_b32 v12, 0 :: v_dual_mov_b32 v20, 0
	s_add_co_i32 s6, s5, 1
	s_mov_b64 s[0:1], 0xffffffffffffffe8
	s_and_b32 s6, s6, 30
	s_add_nc_u64 s[0:1], s[2:3], s[0:1]
.LBB332_1576:                           ; =>This Inner Loop Header: Depth=1
	s_clause 0x1
	s_load_b128 s[12:15], s[0:1], 0x1c
	s_load_b64 s[10:11], s[0:1], 0x2c
	s_add_co_i32 s6, s6, -2
	s_delay_alu instid0(SALU_CYCLE_1) | instskip(SKIP_2) | instid1(VALU_DEP_1)
	s_cmp_lg_u32 s6, 0
	s_wait_kmcnt 0x0
	v_mul_hi_u32 v7, s13, v5
	v_add_nc_u32_e32 v7, v5, v7
	s_delay_alu instid0(VALU_DEP_1) | instskip(NEXT) | instid1(VALU_DEP_1)
	v_lshrrev_b32_e32 v7, s14, v7
	v_mul_hi_u32 v9, s10, v7
	v_mul_lo_u32 v10, v7, s12
	s_clause 0x1
	s_load_b128 s[16:19], s[0:1], 0xdc
	s_load_b64 s[12:13], s[0:1], 0xec
	s_wait_xcnt 0x0
	s_add_nc_u64 s[0:1], s[0:1], 24
	s_delay_alu instid0(VALU_DEP_1) | instskip(NEXT) | instid1(VALU_DEP_1)
	v_dual_add_nc_u32 v9, v7, v9 :: v_dual_sub_nc_u32 v10, v5, v10
	v_lshrrev_b32_e32 v5, s11, v9
	s_wait_kmcnt 0x0
	s_delay_alu instid0(VALU_DEP_2) | instskip(NEXT) | instid1(VALU_DEP_2)
	v_mad_u32 v4, v10, s16, v4
	v_mul_lo_u32 v9, v5, s15
	v_mad_u32 v11, v10, s18, v20
	v_mad_u32 v10, v10, s17, v12
	s_delay_alu instid0(VALU_DEP_3) | instskip(NEXT) | instid1(VALU_DEP_1)
	v_sub_nc_u32_e32 v7, v7, v9
	v_mad_u32 v4, v7, s19, v4
	s_delay_alu instid0(VALU_DEP_4) | instskip(NEXT) | instid1(VALU_DEP_4)
	v_mad_u32 v20, v7, s13, v11
	v_mad_u32 v12, v7, s12, v10
	s_cbranch_scc1 .LBB332_1576
; %bb.1577:
	s_bitcmp1_b32 s5, 0
	s_cselect_b32 s5, -1, 0
	s_delay_alu instid0(SALU_CYCLE_1)
	s_and_b32 vcc_lo, exec_lo, s5
	s_cbranch_vccnz .LBB332_1580
; %bb.1578:
	s_clause 0x1
	s_load_b96 s[12:14], s[0:1], 0x1c
	s_load_b96 s[16:18], s[0:1], 0xdc
	s_wait_kmcnt 0x0
	v_mul_hi_u32 v7, s13, v5
	s_delay_alu instid0(VALU_DEP_1) | instskip(NEXT) | instid1(VALU_DEP_1)
	v_add_nc_u32_e32 v7, v5, v7
	v_lshrrev_b32_e32 v7, s14, v7
	s_delay_alu instid0(VALU_DEP_1) | instskip(NEXT) | instid1(VALU_DEP_1)
	v_mul_lo_u32 v7, v7, s12
	v_sub_nc_u32_e32 v5, v5, v7
	s_delay_alu instid0(VALU_DEP_1)
	v_mad_u32 v4, v5, s16, v4
	v_mad_u32 v12, v5, s17, v12
	;; [unrolled: 1-line block ×3, first 2 shown]
	s_and_not1_b32 vcc_lo, exec_lo, s4
	s_cbranch_vccz .LBB332_1581
	s_branch .LBB332_1584
.LBB332_1579:
	s_mov_b32 s4, -1
                                        ; implicit-def: $vgpr20
                                        ; implicit-def: $vgpr12
                                        ; implicit-def: $vgpr4
.LBB332_1580:
	s_delay_alu instid0(SALU_CYCLE_1)
	s_and_not1_b32 vcc_lo, exec_lo, s4
	s_cbranch_vccnz .LBB332_1584
.LBB332_1581:
	s_clause 0x1
	s_load_b96 s[4:6], s[2:3], 0x4
	s_load_b96 s[12:14], s[2:3], 0xc4
	s_cmp_lt_u32 s28, 2
	s_wait_loadcnt 0x0
	s_wait_kmcnt 0x0
	v_mul_hi_u32 v4, s5, v2
	s_delay_alu instid0(VALU_DEP_1) | instskip(NEXT) | instid1(VALU_DEP_1)
	v_add_nc_u32_e32 v4, v2, v4
	v_lshrrev_b32_e32 v5, s6, v4
	s_delay_alu instid0(VALU_DEP_1) | instskip(NEXT) | instid1(VALU_DEP_1)
	v_mul_lo_u32 v4, v5, s4
	v_sub_nc_u32_e32 v2, v2, v4
	s_delay_alu instid0(VALU_DEP_1)
	v_mul_lo_u32 v4, v2, s12
	v_mul_lo_u32 v20, v2, s14
	;; [unrolled: 1-line block ×3, first 2 shown]
	s_cbranch_scc1 .LBB332_1584
; %bb.1582:
	s_clause 0x1
	s_load_b96 s[4:6], s[2:3], 0x10
	s_load_b96 s[12:14], s[2:3], 0xd0
	s_wait_kmcnt 0x0
	v_mul_hi_u32 v2, s5, v5
	s_delay_alu instid0(VALU_DEP_1) | instskip(NEXT) | instid1(VALU_DEP_1)
	v_add_nc_u32_e32 v2, v5, v2
	v_lshrrev_b32_e32 v2, s6, v2
	s_delay_alu instid0(VALU_DEP_1) | instskip(NEXT) | instid1(VALU_DEP_1)
	v_mul_lo_u32 v2, v2, s4
	v_sub_nc_u32_e32 v2, v5, v2
	s_delay_alu instid0(VALU_DEP_1)
	v_mad_u32 v4, v2, s12, v4
	v_mad_u32 v12, v2, s13, v12
	;; [unrolled: 1-line block ×3, first 2 shown]
	s_branch .LBB332_1584
.LBB332_1583:
	v_dual_mov_b32 v20, 0 :: v_dual_mov_b32 v12, 0
	s_wait_loadcnt 0x0
	v_mov_b32_e32 v4, 0
	s_and_not1_b32 vcc_lo, exec_lo, s4
	s_cbranch_vccz .LBB332_1581
.LBB332_1584:
	v_cmp_ne_u32_e32 vcc_lo, 1, v3
	v_add_nc_u32_e32 v0, 0x100, v0
	s_cbranch_vccnz .LBB332_1590
; %bb.1585:
	s_cmp_lg_u32 s28, 0
	s_mov_b32 s4, 0
	s_cbranch_scc0 .LBB332_1594
; %bb.1586:
	s_min_u32 s5, s29, 15
	s_wait_loadcnt 0x0
	v_dual_mov_b32 v2, 0 :: v_dual_mov_b32 v5, v0
	v_dual_mov_b32 v18, 0 :: v_dual_mov_b32 v22, 0
	s_add_co_i32 s6, s5, 1
	s_mov_b64 s[0:1], 0xffffffffffffffe8
	s_and_b32 s6, s6, 30
	s_add_nc_u64 s[0:1], s[2:3], s[0:1]
.LBB332_1587:                           ; =>This Inner Loop Header: Depth=1
	s_clause 0x1
	s_load_b128 s[12:15], s[0:1], 0x1c
	s_load_b64 s[10:11], s[0:1], 0x2c
	s_add_co_i32 s6, s6, -2
	s_delay_alu instid0(SALU_CYCLE_1) | instskip(SKIP_2) | instid1(VALU_DEP_1)
	s_cmp_lg_u32 s6, 0
	s_wait_kmcnt 0x0
	v_mul_hi_u32 v7, s13, v5
	v_add_nc_u32_e32 v7, v5, v7
	s_delay_alu instid0(VALU_DEP_1) | instskip(NEXT) | instid1(VALU_DEP_1)
	v_lshrrev_b32_e32 v7, s14, v7
	v_mul_hi_u32 v9, s10, v7
	v_mul_lo_u32 v10, v7, s12
	s_clause 0x1
	s_load_b128 s[16:19], s[0:1], 0xdc
	s_load_b64 s[12:13], s[0:1], 0xec
	s_wait_xcnt 0x0
	s_add_nc_u64 s[0:1], s[0:1], 24
	s_delay_alu instid0(VALU_DEP_1) | instskip(NEXT) | instid1(VALU_DEP_1)
	v_dual_add_nc_u32 v9, v7, v9 :: v_dual_sub_nc_u32 v10, v5, v10
	v_lshrrev_b32_e32 v5, s11, v9
	s_wait_kmcnt 0x0
	s_delay_alu instid0(VALU_DEP_2) | instskip(NEXT) | instid1(VALU_DEP_2)
	v_mad_u32 v2, v10, s16, v2
	v_mul_lo_u32 v9, v5, s15
	v_mad_u32 v11, v10, s18, v22
	v_mad_u32 v10, v10, s17, v18
	s_delay_alu instid0(VALU_DEP_3) | instskip(NEXT) | instid1(VALU_DEP_1)
	v_sub_nc_u32_e32 v7, v7, v9
	v_mad_u32 v2, v7, s19, v2
	s_delay_alu instid0(VALU_DEP_4) | instskip(NEXT) | instid1(VALU_DEP_4)
	v_mad_u32 v22, v7, s13, v11
	v_mad_u32 v18, v7, s12, v10
	s_cbranch_scc1 .LBB332_1587
; %bb.1588:
	s_bitcmp1_b32 s5, 0
	s_cselect_b32 s5, -1, 0
	s_delay_alu instid0(SALU_CYCLE_1)
	s_and_b32 vcc_lo, exec_lo, s5
	s_cbranch_vccnz .LBB332_1591
; %bb.1589:
	s_clause 0x1
	s_load_b96 s[12:14], s[0:1], 0x1c
	s_load_b96 s[16:18], s[0:1], 0xdc
	s_wait_kmcnt 0x0
	v_mul_hi_u32 v7, s13, v5
	s_delay_alu instid0(VALU_DEP_1) | instskip(NEXT) | instid1(VALU_DEP_1)
	v_add_nc_u32_e32 v7, v5, v7
	v_lshrrev_b32_e32 v7, s14, v7
	s_delay_alu instid0(VALU_DEP_1) | instskip(NEXT) | instid1(VALU_DEP_1)
	v_mul_lo_u32 v7, v7, s12
	v_sub_nc_u32_e32 v5, v5, v7
	s_delay_alu instid0(VALU_DEP_1)
	v_mad_u32 v2, v5, s16, v2
	v_mad_u32 v18, v5, s17, v18
	v_mad_u32 v22, v5, s18, v22
	s_and_not1_b32 vcc_lo, exec_lo, s4
	s_cbranch_vccz .LBB332_1592
	s_branch .LBB332_1595
.LBB332_1590:
	s_mov_b32 s4, -1
                                        ; implicit-def: $vgpr22
                                        ; implicit-def: $vgpr18
                                        ; implicit-def: $vgpr2
.LBB332_1591:
	s_delay_alu instid0(SALU_CYCLE_1)
	s_and_not1_b32 vcc_lo, exec_lo, s4
	s_cbranch_vccnz .LBB332_1595
.LBB332_1592:
	s_clause 0x1
	s_load_b96 s[4:6], s[2:3], 0x4
	s_load_b96 s[12:14], s[2:3], 0xc4
	s_cmp_lt_u32 s28, 2
	s_wait_kmcnt 0x0
	v_mul_hi_u32 v2, s5, v0
	s_delay_alu instid0(VALU_DEP_1) | instskip(SKIP_1) | instid1(VALU_DEP_1)
	v_add_nc_u32_e32 v2, v0, v2
	s_wait_loadcnt 0x0
	v_lshrrev_b32_e32 v5, s6, v2
	s_delay_alu instid0(VALU_DEP_1) | instskip(NEXT) | instid1(VALU_DEP_1)
	v_mul_lo_u32 v2, v5, s4
	v_sub_nc_u32_e32 v0, v0, v2
	s_delay_alu instid0(VALU_DEP_1)
	v_mul_lo_u32 v2, v0, s12
	v_mul_lo_u32 v22, v0, s14
	;; [unrolled: 1-line block ×3, first 2 shown]
	s_cbranch_scc1 .LBB332_1595
; %bb.1593:
	s_clause 0x1
	s_load_b96 s[4:6], s[2:3], 0x10
	s_load_b96 s[12:14], s[2:3], 0xd0
	s_wait_kmcnt 0x0
	v_mul_hi_u32 v0, s5, v5
	s_delay_alu instid0(VALU_DEP_1) | instskip(NEXT) | instid1(VALU_DEP_1)
	v_add_nc_u32_e32 v0, v5, v0
	v_lshrrev_b32_e32 v0, s6, v0
	s_delay_alu instid0(VALU_DEP_1) | instskip(NEXT) | instid1(VALU_DEP_1)
	v_mul_lo_u32 v0, v0, s4
	v_sub_nc_u32_e32 v0, v5, v0
	s_delay_alu instid0(VALU_DEP_1)
	v_mad_u32 v2, v0, s12, v2
	v_mad_u32 v18, v0, s13, v18
	;; [unrolled: 1-line block ×3, first 2 shown]
	s_branch .LBB332_1595
.LBB332_1594:
	v_dual_mov_b32 v22, 0 :: v_dual_mov_b32 v18, 0
	v_mov_b32_e32 v2, 0
	s_and_not1_b32 vcc_lo, exec_lo, s4
	s_cbranch_vccz .LBB332_1592
.LBB332_1595:
	v_cmp_ne_u32_e32 vcc_lo, 1, v3
	s_cbranch_vccnz .LBB332_1601
; %bb.1596:
	s_cmp_lg_u32 s28, 0
	s_mov_b32 s4, 0
	s_cbranch_scc0 .LBB332_1605
; %bb.1597:
	s_min_u32 s5, s29, 15
	v_dual_mov_b32 v0, 0 :: v_dual_mov_b32 v3, v1
	v_dual_mov_b32 v16, 0 :: v_dual_mov_b32 v10, 0
	s_add_co_i32 s6, s5, 1
	s_mov_b64 s[0:1], 0xffffffffffffffe8
	s_and_b32 s6, s6, 30
	s_add_nc_u64 s[0:1], s[2:3], s[0:1]
.LBB332_1598:                           ; =>This Inner Loop Header: Depth=1
	s_clause 0x1
	s_load_b128 s[12:15], s[0:1], 0x1c
	s_load_b64 s[10:11], s[0:1], 0x2c
	s_add_co_i32 s6, s6, -2
	s_delay_alu instid0(SALU_CYCLE_1) | instskip(SKIP_3) | instid1(VALU_DEP_1)
	s_cmp_lg_u32 s6, 0
	s_wait_loadcnt 0x0
	s_wait_kmcnt 0x0
	v_mul_hi_u32 v5, s13, v3
	v_add_nc_u32_e32 v5, v3, v5
	s_delay_alu instid0(VALU_DEP_1) | instskip(NEXT) | instid1(VALU_DEP_1)
	v_lshrrev_b32_e32 v5, s14, v5
	v_mul_hi_u32 v7, s10, v5
	v_mul_lo_u32 v9, v5, s12
	s_clause 0x1
	s_load_b128 s[16:19], s[0:1], 0xdc
	s_load_b64 s[12:13], s[0:1], 0xec
	s_wait_xcnt 0x0
	s_add_nc_u64 s[0:1], s[0:1], 24
	s_delay_alu instid0(VALU_DEP_1) | instskip(NEXT) | instid1(VALU_DEP_1)
	v_dual_add_nc_u32 v7, v5, v7 :: v_dual_sub_nc_u32 v9, v3, v9
	v_lshrrev_b32_e32 v3, s11, v7
	s_wait_kmcnt 0x0
	s_delay_alu instid0(VALU_DEP_2) | instskip(NEXT) | instid1(VALU_DEP_2)
	v_mad_u32 v0, v9, s16, v0
	v_mul_lo_u32 v7, v3, s15
	v_mad_u32 v10, v9, s18, v10
	v_mad_u32 v9, v9, s17, v16
	s_delay_alu instid0(VALU_DEP_3) | instskip(NEXT) | instid1(VALU_DEP_1)
	v_sub_nc_u32_e32 v5, v5, v7
	v_mad_u32 v0, v5, s19, v0
	s_delay_alu instid0(VALU_DEP_4) | instskip(NEXT) | instid1(VALU_DEP_4)
	v_mad_u32 v10, v5, s13, v10
	v_mad_u32 v16, v5, s12, v9
	s_cbranch_scc1 .LBB332_1598
; %bb.1599:
	s_bitcmp1_b32 s5, 0
	s_cselect_b32 s5, -1, 0
	s_delay_alu instid0(SALU_CYCLE_1)
	s_and_b32 vcc_lo, exec_lo, s5
	s_cbranch_vccnz .LBB332_1602
; %bb.1600:
	s_clause 0x1
	s_load_b96 s[12:14], s[0:1], 0x1c
	s_load_b96 s[16:18], s[0:1], 0xdc
	s_wait_kmcnt 0x0
	v_mul_hi_u32 v5, s13, v3
	s_delay_alu instid0(VALU_DEP_1) | instskip(NEXT) | instid1(VALU_DEP_1)
	v_add_nc_u32_e32 v5, v3, v5
	v_lshrrev_b32_e32 v5, s14, v5
	s_delay_alu instid0(VALU_DEP_1) | instskip(NEXT) | instid1(VALU_DEP_1)
	v_mul_lo_u32 v5, v5, s12
	v_sub_nc_u32_e32 v3, v3, v5
	s_delay_alu instid0(VALU_DEP_1)
	v_mad_u32 v0, v3, s16, v0
	v_mad_u32 v16, v3, s17, v16
	;; [unrolled: 1-line block ×3, first 2 shown]
	s_and_not1_b32 vcc_lo, exec_lo, s4
	s_cbranch_vccz .LBB332_1603
	s_branch .LBB332_1606
.LBB332_1601:
	s_mov_b32 s4, -1
                                        ; implicit-def: $vgpr10
                                        ; implicit-def: $vgpr16
                                        ; implicit-def: $vgpr0
.LBB332_1602:
	s_delay_alu instid0(SALU_CYCLE_1)
	s_and_not1_b32 vcc_lo, exec_lo, s4
	s_cbranch_vccnz .LBB332_1606
.LBB332_1603:
	s_clause 0x1
	s_load_b96 s[4:6], s[2:3], 0x4
	s_load_b96 s[12:14], s[2:3], 0xc4
	s_cmp_lt_u32 s28, 2
	s_wait_kmcnt 0x0
	v_mul_hi_u32 v0, s5, v1
	s_delay_alu instid0(VALU_DEP_1) | instskip(NEXT) | instid1(VALU_DEP_1)
	v_add_nc_u32_e32 v0, v1, v0
	v_lshrrev_b32_e32 v3, s6, v0
	s_delay_alu instid0(VALU_DEP_1) | instskip(NEXT) | instid1(VALU_DEP_1)
	v_mul_lo_u32 v0, v3, s4
	v_sub_nc_u32_e32 v1, v1, v0
	s_delay_alu instid0(VALU_DEP_1)
	v_mul_lo_u32 v0, v1, s12
	v_mul_lo_u32 v10, v1, s14
	;; [unrolled: 1-line block ×3, first 2 shown]
	s_cbranch_scc1 .LBB332_1606
; %bb.1604:
	s_clause 0x1
	s_load_b96 s[4:6], s[2:3], 0x10
	s_load_b96 s[12:14], s[2:3], 0xd0
	s_wait_kmcnt 0x0
	v_mul_hi_u32 v1, s5, v3
	s_delay_alu instid0(VALU_DEP_1) | instskip(NEXT) | instid1(VALU_DEP_1)
	v_add_nc_u32_e32 v1, v3, v1
	v_lshrrev_b32_e32 v1, s6, v1
	s_delay_alu instid0(VALU_DEP_1) | instskip(NEXT) | instid1(VALU_DEP_1)
	v_mul_lo_u32 v1, v1, s4
	v_sub_nc_u32_e32 v1, v3, v1
	s_delay_alu instid0(VALU_DEP_1)
	v_mad_u32 v0, v1, s12, v0
	v_mad_u32 v16, v1, s13, v16
	;; [unrolled: 1-line block ×3, first 2 shown]
	s_branch .LBB332_1606
.LBB332_1605:
	v_dual_mov_b32 v10, 0 :: v_dual_mov_b32 v16, 0
	v_mov_b32_e32 v0, 0
	s_and_not1_b32 vcc_lo, exec_lo, s4
	s_cbranch_vccz .LBB332_1603
.LBB332_1606:
	s_wait_loadcnt 0x0
	v_mov_b32_e32 v9, 0
	s_load_b128 s[4:7], s[2:3], 0x188
	global_load_u8 v1, v9, s[2:3] offset:421
	s_wait_kmcnt 0x0
	v_add_nc_u64_e32 v[24:25], s[6:7], v[8:9]
	s_wait_loadcnt 0x0
	v_and_b32_e32 v3, 0xffff, v1
	v_readfirstlane_b32 s11, v1
	s_delay_alu instid0(VALU_DEP_2)
	v_cmp_gt_i32_e32 vcc_lo, 11, v3
	s_cbranch_vccnz .LBB332_1613
; %bb.1607:
	s_and_b32 s0, 0xffff, s11
	s_mov_b32 s12, 0
	s_cmp_gt_i32 s0, 25
	s_cbranch_scc0 .LBB332_1615
; %bb.1608:
	s_cmp_gt_i32 s0, 28
	s_cbranch_scc0 .LBB332_1616
; %bb.1609:
	;; [unrolled: 3-line block ×4, first 2 shown]
	s_cmp_eq_u32 s0, 46
	s_mov_b32 s10, 0
	s_cbranch_scc0 .LBB332_1621
; %bb.1612:
	global_load_b32 v1, v[24:25], off
	s_mov_b32 s1, 0
	s_mov_b32 s13, -1
	s_wait_loadcnt 0x0
	v_lshlrev_b32_e32 v1, 16, v1
	s_delay_alu instid0(VALU_DEP_1)
	v_cvt_u32_f32_e32 v8, v1
	s_branch .LBB332_1623
.LBB332_1613:
	s_mov_b32 s13, 0
	s_mov_b32 s10, s8
                                        ; implicit-def: $vgpr8
	s_cbranch_execnz .LBB332_1681
.LBB332_1614:
	s_and_not1_b32 vcc_lo, exec_lo, s13
	s_cbranch_vccz .LBB332_1726
	s_branch .LBB332_3047
.LBB332_1615:
	s_mov_b32 s13, 0
	s_mov_b32 s1, 0
                                        ; implicit-def: $vgpr8
	s_cbranch_execnz .LBB332_1648
	s_branch .LBB332_1677
.LBB332_1616:
	s_mov_b32 s13, 0
	s_mov_b32 s1, 0
                                        ; implicit-def: $vgpr8
	s_cbranch_execz .LBB332_1647
	s_branch .LBB332_1632
.LBB332_1617:
	s_mov_b32 s13, 0
	s_mov_b32 s1, 0
                                        ; implicit-def: $vgpr8
	s_cbranch_execnz .LBB332_1628
	s_branch .LBB332_1631
.LBB332_1618:
	s_mov_b32 s10, -1
	s_mov_b32 s13, 0
	s_mov_b32 s1, 0
	s_branch .LBB332_1622
.LBB332_1619:
	s_and_not1_saveexec_b32 s10, s10
	s_cbranch_execz .LBB332_1474
.LBB332_1620:
	v_add_f32_e32 v2, 0x46000000, v3
	s_and_not1_b32 s9, s9, exec_lo
	s_delay_alu instid0(VALU_DEP_1) | instskip(NEXT) | instid1(VALU_DEP_1)
	v_and_b32_e32 v2, 0xff, v2
	v_cmp_ne_u32_e32 vcc_lo, 0, v2
	s_and_b32 s11, vcc_lo, exec_lo
	s_delay_alu instid0(SALU_CYCLE_1)
	s_or_b32 s9, s9, s11
	s_or_b32 exec_lo, exec_lo, s10
	v_mov_b32_e32 v4, 0
	s_and_saveexec_b32 s10, s9
	s_cbranch_execnz .LBB332_1475
	s_branch .LBB332_1476
.LBB332_1621:
	s_mov_b32 s1, -1
	s_mov_b32 s13, 0
.LBB332_1622:
                                        ; implicit-def: $vgpr8
.LBB332_1623:
	s_and_b32 vcc_lo, exec_lo, s10
	s_cbranch_vccz .LBB332_1626
; %bb.1624:
	s_cmp_eq_u32 s0, 44
	s_cbranch_scc0 .LBB332_1627
; %bb.1625:
	global_load_u8 v1, v[24:25], off
	s_mov_b32 s1, 0
	s_mov_b32 s13, -1
	s_wait_loadcnt 0x0
	v_lshlrev_b32_e32 v3, 23, v1
	v_cmp_ne_u32_e32 vcc_lo, 0, v1
	s_delay_alu instid0(VALU_DEP_2) | instskip(NEXT) | instid1(VALU_DEP_1)
	v_cvt_u32_f32_e32 v3, v3
	v_cndmask_b32_e32 v8, 0, v3, vcc_lo
.LBB332_1626:
	s_branch .LBB332_1631
.LBB332_1627:
	s_mov_b32 s1, -1
                                        ; implicit-def: $vgpr8
	s_branch .LBB332_1631
.LBB332_1628:
	s_cmp_eq_u32 s0, 29
	s_cbranch_scc0 .LBB332_1630
; %bb.1629:
	global_load_b64 v[8:9], v[24:25], off
	s_mov_b32 s1, 0
	s_mov_b32 s13, -1
	s_branch .LBB332_1631
.LBB332_1630:
	s_mov_b32 s1, -1
                                        ; implicit-def: $vgpr8
.LBB332_1631:
	s_branch .LBB332_1647
.LBB332_1632:
	s_cmp_lt_i32 s0, 27
	s_cbranch_scc1 .LBB332_1635
; %bb.1633:
	s_cmp_gt_i32 s0, 27
	s_cbranch_scc0 .LBB332_1636
; %bb.1634:
	s_wait_loadcnt 0x0
	global_load_b32 v8, v[24:25], off
	s_mov_b32 s10, 0
	s_branch .LBB332_1637
.LBB332_1635:
	s_mov_b32 s10, -1
                                        ; implicit-def: $vgpr8
	s_branch .LBB332_1640
.LBB332_1636:
	s_mov_b32 s10, -1
                                        ; implicit-def: $vgpr8
.LBB332_1637:
	s_delay_alu instid0(SALU_CYCLE_1)
	s_and_not1_b32 vcc_lo, exec_lo, s10
	s_cbranch_vccnz .LBB332_1639
; %bb.1638:
	s_wait_loadcnt 0x0
	global_load_u16 v8, v[24:25], off
.LBB332_1639:
	s_mov_b32 s10, 0
.LBB332_1640:
	s_delay_alu instid0(SALU_CYCLE_1)
	s_and_not1_b32 vcc_lo, exec_lo, s10
	s_cbranch_vccnz .LBB332_1646
; %bb.1641:
	global_load_u8 v1, v[24:25], off
	s_mov_b32 s13, 0
	s_mov_b32 s10, exec_lo
	s_wait_loadcnt 0x0
	v_cmpx_lt_i16_e32 0x7f, v1
	s_xor_b32 s10, exec_lo, s10
	s_cbranch_execz .LBB332_1657
; %bb.1642:
	v_cmp_ne_u16_e32 vcc_lo, 0x80, v1
	s_and_b32 s13, vcc_lo, exec_lo
	s_and_not1_saveexec_b32 s10, s10
	s_cbranch_execnz .LBB332_1658
.LBB332_1643:
	s_or_b32 exec_lo, exec_lo, s10
	v_mov_b32_e32 v8, 0
	s_and_saveexec_b32 s10, s13
	s_cbranch_execz .LBB332_1645
.LBB332_1644:
	v_and_b32_e32 v3, 0xffff, v1
	s_delay_alu instid0(VALU_DEP_1) | instskip(SKIP_1) | instid1(VALU_DEP_2)
	v_dual_lshlrev_b32 v1, 24, v1 :: v_dual_bitop2_b32 v5, 7, v3 bitop3:0x40
	v_bfe_u32 v9, v3, 3, 4
	v_and_b32_e32 v1, 0x80000000, v1
	s_delay_alu instid0(VALU_DEP_3) | instskip(NEXT) | instid1(VALU_DEP_3)
	v_clz_i32_u32_e32 v7, v5
	v_cmp_eq_u32_e32 vcc_lo, 0, v9
	s_delay_alu instid0(VALU_DEP_2) | instskip(NEXT) | instid1(VALU_DEP_1)
	v_min_u32_e32 v7, 32, v7
	v_subrev_nc_u32_e32 v8, 28, v7
	v_sub_nc_u32_e32 v7, 29, v7
	s_delay_alu instid0(VALU_DEP_2) | instskip(NEXT) | instid1(VALU_DEP_2)
	v_lshlrev_b32_e32 v3, v8, v3
	v_cndmask_b32_e32 v7, v9, v7, vcc_lo
	s_delay_alu instid0(VALU_DEP_2) | instskip(NEXT) | instid1(VALU_DEP_1)
	v_and_b32_e32 v3, 7, v3
	v_cndmask_b32_e32 v3, v5, v3, vcc_lo
	s_delay_alu instid0(VALU_DEP_3) | instskip(NEXT) | instid1(VALU_DEP_2)
	v_lshl_add_u32 v5, v7, 23, 0x3b800000
	v_lshlrev_b32_e32 v3, 20, v3
	s_delay_alu instid0(VALU_DEP_1) | instskip(NEXT) | instid1(VALU_DEP_1)
	v_or3_b32 v1, v1, v5, v3
	v_cvt_u32_f32_e32 v8, v1
.LBB332_1645:
	s_or_b32 exec_lo, exec_lo, s10
.LBB332_1646:
	s_mov_b32 s13, -1
.LBB332_1647:
	s_branch .LBB332_1677
.LBB332_1648:
	s_cmp_gt_i32 s0, 22
	s_cbranch_scc0 .LBB332_1656
; %bb.1649:
	s_cmp_lt_i32 s0, 24
	s_cbranch_scc1 .LBB332_1659
; %bb.1650:
	s_cmp_gt_i32 s0, 24
	s_cbranch_scc0 .LBB332_1660
; %bb.1651:
	global_load_u8 v1, v[24:25], off
	s_mov_b32 s10, exec_lo
	s_wait_loadcnt 0x0
	v_cmpx_lt_i16_e32 0x7f, v1
	s_xor_b32 s10, exec_lo, s10
	s_cbranch_execz .LBB332_1671
; %bb.1652:
	v_cmp_ne_u16_e32 vcc_lo, 0x80, v1
	s_and_b32 s12, vcc_lo, exec_lo
	s_and_not1_saveexec_b32 s10, s10
	s_cbranch_execnz .LBB332_1672
.LBB332_1653:
	s_or_b32 exec_lo, exec_lo, s10
	v_mov_b32_e32 v8, 0
	s_and_saveexec_b32 s10, s12
	s_cbranch_execz .LBB332_1655
.LBB332_1654:
	v_and_b32_e32 v3, 0xffff, v1
	s_delay_alu instid0(VALU_DEP_1) | instskip(SKIP_1) | instid1(VALU_DEP_2)
	v_dual_lshlrev_b32 v1, 24, v1 :: v_dual_bitop2_b32 v5, 3, v3 bitop3:0x40
	v_bfe_u32 v9, v3, 2, 5
	v_and_b32_e32 v1, 0x80000000, v1
	s_delay_alu instid0(VALU_DEP_3) | instskip(NEXT) | instid1(VALU_DEP_3)
	v_clz_i32_u32_e32 v7, v5
	v_cmp_eq_u32_e32 vcc_lo, 0, v9
	s_delay_alu instid0(VALU_DEP_2) | instskip(NEXT) | instid1(VALU_DEP_1)
	v_min_u32_e32 v7, 32, v7
	v_subrev_nc_u32_e32 v8, 29, v7
	v_sub_nc_u32_e32 v7, 30, v7
	s_delay_alu instid0(VALU_DEP_2) | instskip(NEXT) | instid1(VALU_DEP_2)
	v_lshlrev_b32_e32 v3, v8, v3
	v_cndmask_b32_e32 v7, v9, v7, vcc_lo
	s_delay_alu instid0(VALU_DEP_2) | instskip(NEXT) | instid1(VALU_DEP_1)
	v_and_b32_e32 v3, 3, v3
	v_cndmask_b32_e32 v3, v5, v3, vcc_lo
	s_delay_alu instid0(VALU_DEP_3) | instskip(NEXT) | instid1(VALU_DEP_2)
	v_lshl_add_u32 v5, v7, 23, 0x37800000
	v_lshlrev_b32_e32 v3, 21, v3
	s_delay_alu instid0(VALU_DEP_1) | instskip(NEXT) | instid1(VALU_DEP_1)
	v_or3_b32 v1, v1, v5, v3
	v_cvt_u32_f32_e32 v8, v1
.LBB332_1655:
	s_or_b32 exec_lo, exec_lo, s10
	s_mov_b32 s10, 0
	s_branch .LBB332_1661
.LBB332_1656:
                                        ; implicit-def: $vgpr8
	s_mov_b32 s12, 0
	s_branch .LBB332_1667
.LBB332_1657:
	s_and_not1_saveexec_b32 s10, s10
	s_cbranch_execz .LBB332_1643
.LBB332_1658:
	v_cmp_ne_u16_e32 vcc_lo, 0, v1
	s_and_not1_b32 s13, s13, exec_lo
	s_and_b32 s14, vcc_lo, exec_lo
	s_delay_alu instid0(SALU_CYCLE_1)
	s_or_b32 s13, s13, s14
	s_or_b32 exec_lo, exec_lo, s10
	v_mov_b32_e32 v8, 0
	s_and_saveexec_b32 s10, s13
	s_cbranch_execnz .LBB332_1644
	s_branch .LBB332_1645
.LBB332_1659:
	s_mov_b32 s10, -1
                                        ; implicit-def: $vgpr8
	s_branch .LBB332_1664
.LBB332_1660:
	s_mov_b32 s10, -1
                                        ; implicit-def: $vgpr8
.LBB332_1661:
	s_delay_alu instid0(SALU_CYCLE_1)
	s_and_b32 vcc_lo, exec_lo, s10
	s_cbranch_vccz .LBB332_1663
; %bb.1662:
	global_load_u8 v1, v[24:25], off
	s_wait_loadcnt 0x0
	v_lshlrev_b32_e32 v1, 24, v1
	s_delay_alu instid0(VALU_DEP_1) | instskip(NEXT) | instid1(VALU_DEP_1)
	v_and_b32_e32 v3, 0x7f000000, v1
	v_clz_i32_u32_e32 v5, v3
	v_cmp_ne_u32_e32 vcc_lo, 0, v3
	v_add_nc_u32_e32 v8, 0x1000000, v3
	s_delay_alu instid0(VALU_DEP_3) | instskip(NEXT) | instid1(VALU_DEP_1)
	v_min_u32_e32 v5, 32, v5
	v_sub_nc_u32_e64 v5, v5, 4 clamp
	s_delay_alu instid0(VALU_DEP_1) | instskip(NEXT) | instid1(VALU_DEP_1)
	v_dual_lshlrev_b32 v7, v5, v3 :: v_dual_lshlrev_b32 v5, 23, v5
	v_lshrrev_b32_e32 v7, 4, v7
	s_delay_alu instid0(VALU_DEP_1) | instskip(NEXT) | instid1(VALU_DEP_1)
	v_dual_sub_nc_u32 v5, v7, v5 :: v_dual_ashrrev_i32 v7, 8, v8
	v_add_nc_u32_e32 v5, 0x3c000000, v5
	s_delay_alu instid0(VALU_DEP_1) | instskip(NEXT) | instid1(VALU_DEP_1)
	v_and_or_b32 v5, 0x7f800000, v7, v5
	v_cndmask_b32_e32 v3, 0, v5, vcc_lo
	s_delay_alu instid0(VALU_DEP_1) | instskip(NEXT) | instid1(VALU_DEP_1)
	v_and_or_b32 v1, 0x80000000, v1, v3
	v_cvt_u32_f32_e32 v8, v1
.LBB332_1663:
	s_mov_b32 s10, 0
.LBB332_1664:
	s_delay_alu instid0(SALU_CYCLE_1)
	s_and_not1_b32 vcc_lo, exec_lo, s10
	s_cbranch_vccnz .LBB332_1666
; %bb.1665:
	global_load_u8 v1, v[24:25], off
	s_wait_loadcnt 0x0
	v_lshlrev_b32_e32 v3, 25, v1
	v_lshlrev_b16 v1, 8, v1
	s_delay_alu instid0(VALU_DEP_1) | instskip(SKIP_1) | instid1(VALU_DEP_2)
	v_and_or_b32 v7, 0x7f00, v1, 0.5
	v_bfe_i32 v1, v1, 0, 16
	v_add_f32_e32 v7, -0.5, v7
	v_lshrrev_b32_e32 v5, 4, v3
	v_cmp_gt_u32_e32 vcc_lo, 0x8000000, v3
	s_delay_alu instid0(VALU_DEP_2) | instskip(NEXT) | instid1(VALU_DEP_1)
	v_or_b32_e32 v5, 0x70000000, v5
	v_mul_f32_e32 v5, 0x7800000, v5
	s_delay_alu instid0(VALU_DEP_1) | instskip(NEXT) | instid1(VALU_DEP_1)
	v_cndmask_b32_e32 v3, v5, v7, vcc_lo
	v_and_or_b32 v1, 0x80000000, v1, v3
	s_delay_alu instid0(VALU_DEP_1)
	v_cvt_u32_f32_e32 v8, v1
.LBB332_1666:
	s_mov_b32 s13, -1
	s_mov_b32 s12, 0
	s_cbranch_execnz .LBB332_1677
.LBB332_1667:
	s_cmp_gt_i32 s0, 14
	s_cbranch_scc0 .LBB332_1670
; %bb.1668:
	s_cmp_eq_u32 s0, 15
	s_cbranch_scc0 .LBB332_1673
; %bb.1669:
	global_load_u16 v1, v[24:25], off
	s_mov_b32 s1, 0
	s_mov_b32 s13, -1
	s_wait_loadcnt 0x0
	v_lshlrev_b32_e32 v1, 16, v1
	s_delay_alu instid0(VALU_DEP_1)
	v_cvt_u32_f32_e32 v8, v1
	s_branch .LBB332_1674
.LBB332_1670:
	s_mov_b32 s10, -1
                                        ; implicit-def: $vgpr8
	s_branch .LBB332_1675
.LBB332_1671:
	s_and_not1_saveexec_b32 s10, s10
	s_cbranch_execz .LBB332_1653
.LBB332_1672:
	v_cmp_ne_u16_e32 vcc_lo, 0, v1
	s_and_not1_b32 s12, s12, exec_lo
	s_and_b32 s13, vcc_lo, exec_lo
	s_delay_alu instid0(SALU_CYCLE_1)
	s_or_b32 s12, s12, s13
	s_or_b32 exec_lo, exec_lo, s10
	v_mov_b32_e32 v8, 0
	s_and_saveexec_b32 s10, s12
	s_cbranch_execnz .LBB332_1654
	s_branch .LBB332_1655
.LBB332_1673:
	s_mov_b32 s1, -1
                                        ; implicit-def: $vgpr8
.LBB332_1674:
	s_mov_b32 s10, 0
.LBB332_1675:
	s_delay_alu instid0(SALU_CYCLE_1)
	s_and_b32 vcc_lo, exec_lo, s10
	s_cbranch_vccz .LBB332_1677
; %bb.1676:
	s_cmp_lg_u32 s0, 11
	s_mov_b32 s12, -1
	s_cselect_b32 s1, -1, 0
.LBB332_1677:
	s_delay_alu instid0(SALU_CYCLE_1)
	s_and_b32 vcc_lo, exec_lo, s1
	s_mov_b32 s10, s8
	s_cbranch_vccnz .LBB332_1738
; %bb.1678:
	s_and_not1_b32 vcc_lo, exec_lo, s12
	s_cbranch_vccnz .LBB332_1680
.LBB332_1679:
	global_load_u8 v1, v[24:25], off
	s_mov_b32 s13, -1
	s_wait_loadcnt 0x0
	v_cmp_ne_u16_e32 vcc_lo, 0, v1
	v_cndmask_b32_e64 v8, 0, 1, vcc_lo
.LBB332_1680:
	s_branch .LBB332_1614
.LBB332_1681:
	s_and_b32 s0, 0xffff, s11
	s_delay_alu instid0(SALU_CYCLE_1)
	s_cmp_lt_i32 s0, 5
	s_cbranch_scc1 .LBB332_1686
; %bb.1682:
	s_cmp_lt_i32 s0, 8
	s_cbranch_scc1 .LBB332_1687
; %bb.1683:
	;; [unrolled: 3-line block ×3, first 2 shown]
	s_cmp_gt_i32 s0, 9
	s_cbranch_scc0 .LBB332_1689
; %bb.1685:
	s_wait_loadcnt 0x0
	global_load_b64 v[8:9], v[24:25], off
	s_mov_b32 s1, 0
	s_wait_loadcnt 0x0
	v_cvt_u32_f64_e32 v8, v[8:9]
	s_branch .LBB332_1690
.LBB332_1686:
                                        ; implicit-def: $vgpr8
	s_branch .LBB332_1707
.LBB332_1687:
                                        ; implicit-def: $vgpr8
	s_branch .LBB332_1696
.LBB332_1688:
	s_mov_b32 s1, -1
                                        ; implicit-def: $vgpr8
	s_branch .LBB332_1693
.LBB332_1689:
	s_mov_b32 s1, -1
                                        ; implicit-def: $vgpr8
.LBB332_1690:
	s_delay_alu instid0(SALU_CYCLE_1)
	s_and_not1_b32 vcc_lo, exec_lo, s1
	s_cbranch_vccnz .LBB332_1692
; %bb.1691:
	global_load_b32 v1, v[24:25], off
	s_wait_loadcnt 0x0
	v_cvt_u32_f32_e32 v8, v1
.LBB332_1692:
	s_mov_b32 s1, 0
.LBB332_1693:
	s_delay_alu instid0(SALU_CYCLE_1)
	s_and_not1_b32 vcc_lo, exec_lo, s1
	s_cbranch_vccnz .LBB332_1695
; %bb.1694:
	global_load_b32 v1, v[24:25], off
	s_wait_loadcnt 0x0
	v_cvt_u16_f16_e32 v8, v1
.LBB332_1695:
	s_cbranch_execnz .LBB332_1706
.LBB332_1696:
	s_cmp_lt_i32 s0, 6
	s_cbranch_scc1 .LBB332_1699
; %bb.1697:
	s_cmp_gt_i32 s0, 6
	s_cbranch_scc0 .LBB332_1700
; %bb.1698:
	s_wait_loadcnt 0x0
	global_load_b64 v[8:9], v[24:25], off
	s_mov_b32 s1, 0
	s_wait_loadcnt 0x0
	v_cvt_u32_f64_e32 v8, v[8:9]
	s_branch .LBB332_1701
.LBB332_1699:
	s_mov_b32 s1, -1
                                        ; implicit-def: $vgpr8
	s_branch .LBB332_1704
.LBB332_1700:
	s_mov_b32 s1, -1
                                        ; implicit-def: $vgpr8
.LBB332_1701:
	s_delay_alu instid0(SALU_CYCLE_1)
	s_and_not1_b32 vcc_lo, exec_lo, s1
	s_cbranch_vccnz .LBB332_1703
; %bb.1702:
	global_load_b32 v1, v[24:25], off
	s_wait_loadcnt 0x0
	v_cvt_u32_f32_e32 v8, v1
.LBB332_1703:
	s_mov_b32 s1, 0
.LBB332_1704:
	s_delay_alu instid0(SALU_CYCLE_1)
	s_and_not1_b32 vcc_lo, exec_lo, s1
	s_cbranch_vccnz .LBB332_1706
; %bb.1705:
	global_load_u16 v1, v[24:25], off
	s_wait_loadcnt 0x0
	v_cvt_u16_f16_e32 v8, v1
.LBB332_1706:
	s_cbranch_execnz .LBB332_1725
.LBB332_1707:
	s_cmp_lt_i32 s0, 2
	s_cbranch_scc1 .LBB332_1711
; %bb.1708:
	s_cmp_lt_i32 s0, 3
	s_cbranch_scc1 .LBB332_1712
; %bb.1709:
	s_cmp_gt_i32 s0, 3
	s_cbranch_scc0 .LBB332_1713
; %bb.1710:
	s_wait_loadcnt 0x0
	global_load_b64 v[8:9], v[24:25], off
	s_mov_b32 s1, 0
	s_branch .LBB332_1714
.LBB332_1711:
                                        ; implicit-def: $vgpr8
	s_branch .LBB332_1720
.LBB332_1712:
	s_mov_b32 s1, -1
                                        ; implicit-def: $vgpr8
	s_branch .LBB332_1717
.LBB332_1713:
	s_mov_b32 s1, -1
                                        ; implicit-def: $vgpr8
.LBB332_1714:
	s_delay_alu instid0(SALU_CYCLE_1)
	s_and_not1_b32 vcc_lo, exec_lo, s1
	s_cbranch_vccnz .LBB332_1716
; %bb.1715:
	s_wait_loadcnt 0x0
	global_load_b32 v8, v[24:25], off
.LBB332_1716:
	s_mov_b32 s1, 0
.LBB332_1717:
	s_delay_alu instid0(SALU_CYCLE_1)
	s_and_not1_b32 vcc_lo, exec_lo, s1
	s_cbranch_vccnz .LBB332_1719
; %bb.1718:
	s_wait_loadcnt 0x0
	global_load_u16 v8, v[24:25], off
.LBB332_1719:
	s_cbranch_execnz .LBB332_1725
.LBB332_1720:
	s_cmp_gt_i32 s0, 0
	s_mov_b32 s0, 0
	s_cbranch_scc0 .LBB332_1722
; %bb.1721:
	s_wait_loadcnt 0x0
	global_load_i8 v8, v[24:25], off
	s_branch .LBB332_1723
.LBB332_1722:
	s_mov_b32 s0, -1
                                        ; implicit-def: $vgpr8
.LBB332_1723:
	s_delay_alu instid0(SALU_CYCLE_1)
	s_and_not1_b32 vcc_lo, exec_lo, s0
	s_cbranch_vccnz .LBB332_1725
; %bb.1724:
	s_wait_loadcnt 0x0
	global_load_u8 v8, v[24:25], off
.LBB332_1725:
.LBB332_1726:
	v_mov_b32_e32 v15, 0
	s_load_b64 s[0:1], s[2:3], 0x198
	global_load_u8 v1, v15, s[2:3] offset:422
	s_wait_kmcnt 0x0
	v_add_nc_u64_e32 v[24:25], s[0:1], v[14:15]
	s_wait_loadcnt 0x0
	v_and_b32_e32 v3, 0xffff, v1
	v_readfirstlane_b32 s12, v1
	s_delay_alu instid0(VALU_DEP_2)
	v_cmp_gt_i32_e32 vcc_lo, 11, v3
	s_cbranch_vccnz .LBB332_1733
; %bb.1727:
	s_and_b32 s13, 0xffff, s12
	s_mov_b32 s15, 0
	s_cmp_gt_i32 s13, 25
	s_cbranch_scc0 .LBB332_1735
; %bb.1728:
	s_cmp_gt_i32 s13, 28
	s_cbranch_scc0 .LBB332_1736
; %bb.1729:
	;; [unrolled: 3-line block ×4, first 2 shown]
	s_cmp_eq_u32 s13, 46
	s_mov_b32 s17, 0
	s_cbranch_scc0 .LBB332_1742
; %bb.1732:
	global_load_b32 v1, v[24:25], off
	s_mov_b32 s14, 0
	s_mov_b32 s16, -1
	s_wait_loadcnt 0x0
	v_lshlrev_b32_e32 v1, 16, v1
	s_delay_alu instid0(VALU_DEP_1)
	v_cvt_u32_f32_e32 v14, v1
	s_branch .LBB332_1744
.LBB332_1733:
	s_mov_b32 s16, 0
                                        ; implicit-def: $vgpr14
	s_cbranch_execnz .LBB332_1805
.LBB332_1734:
	s_and_not1_b32 vcc_lo, exec_lo, s16
	s_cbranch_vccnz .LBB332_3047
	s_branch .LBB332_1852
.LBB332_1735:
	s_mov_b32 s16, 0
	s_mov_b32 s14, 0
                                        ; implicit-def: $vgpr14
	s_cbranch_execnz .LBB332_1771
	s_branch .LBB332_1801
.LBB332_1736:
	s_mov_b32 s17, -1
	s_mov_b32 s16, 0
	s_mov_b32 s14, 0
                                        ; implicit-def: $vgpr14
	s_branch .LBB332_1754
.LBB332_1737:
	s_mov_b32 s17, -1
	s_mov_b32 s16, 0
	s_mov_b32 s14, 0
                                        ; implicit-def: $vgpr14
	s_branch .LBB332_1749
.LBB332_1738:
	s_or_b32 s10, s8, exec_lo
	s_trap 2
	s_cbranch_execz .LBB332_1679
	s_branch .LBB332_1680
.LBB332_1739:
	s_mov_b32 s17, -1
	s_mov_b32 s16, 0
	s_mov_b32 s14, 0
	s_branch .LBB332_1743
.LBB332_1740:
	s_and_not1_saveexec_b32 s11, s11
	s_cbranch_execz .LBB332_1486
.LBB332_1741:
	v_add_f32_e32 v2, 0x42800000, v3
	s_and_not1_b32 s10, s10, exec_lo
	s_delay_alu instid0(VALU_DEP_1) | instskip(NEXT) | instid1(VALU_DEP_1)
	v_and_b32_e32 v2, 0xff, v2
	v_cmp_ne_u32_e32 vcc_lo, 0, v2
	s_and_b32 s12, vcc_lo, exec_lo
	s_delay_alu instid0(SALU_CYCLE_1)
	s_or_b32 s10, s10, s12
	s_or_b32 exec_lo, exec_lo, s11
	v_mov_b32_e32 v4, 0
	s_and_saveexec_b32 s11, s10
	s_cbranch_execnz .LBB332_1487
	s_branch .LBB332_1488
.LBB332_1742:
	s_mov_b32 s14, -1
	s_mov_b32 s16, 0
.LBB332_1743:
                                        ; implicit-def: $vgpr14
.LBB332_1744:
	s_and_b32 vcc_lo, exec_lo, s17
	s_cbranch_vccz .LBB332_1748
; %bb.1745:
	s_cmp_eq_u32 s13, 44
	s_cbranch_scc0 .LBB332_1747
; %bb.1746:
	global_load_u8 v1, v[24:25], off
	s_mov_b32 s14, 0
	s_mov_b32 s16, -1
	s_wait_loadcnt 0x0
	v_lshlrev_b32_e32 v3, 23, v1
	v_cmp_ne_u32_e32 vcc_lo, 0, v1
	s_delay_alu instid0(VALU_DEP_2) | instskip(NEXT) | instid1(VALU_DEP_1)
	v_cvt_u32_f32_e32 v3, v3
	v_cndmask_b32_e32 v14, 0, v3, vcc_lo
	s_branch .LBB332_1748
.LBB332_1747:
	s_mov_b32 s14, -1
                                        ; implicit-def: $vgpr14
.LBB332_1748:
	s_mov_b32 s17, 0
.LBB332_1749:
	s_delay_alu instid0(SALU_CYCLE_1)
	s_and_b32 vcc_lo, exec_lo, s17
	s_cbranch_vccz .LBB332_1753
; %bb.1750:
	s_cmp_eq_u32 s13, 29
	s_cbranch_scc0 .LBB332_1752
; %bb.1751:
	global_load_b64 v[14:15], v[24:25], off
	s_mov_b32 s14, 0
	s_mov_b32 s16, -1
	s_branch .LBB332_1753
.LBB332_1752:
	s_mov_b32 s14, -1
                                        ; implicit-def: $vgpr14
.LBB332_1753:
	s_mov_b32 s17, 0
.LBB332_1754:
	s_delay_alu instid0(SALU_CYCLE_1)
	s_and_b32 vcc_lo, exec_lo, s17
	s_cbranch_vccz .LBB332_1770
; %bb.1755:
	s_cmp_lt_i32 s13, 27
	s_cbranch_scc1 .LBB332_1758
; %bb.1756:
	s_cmp_gt_i32 s13, 27
	s_cbranch_scc0 .LBB332_1759
; %bb.1757:
	s_wait_loadcnt 0x0
	global_load_b32 v14, v[24:25], off
	s_mov_b32 s16, 0
	s_branch .LBB332_1760
.LBB332_1758:
	s_mov_b32 s16, -1
                                        ; implicit-def: $vgpr14
	s_branch .LBB332_1763
.LBB332_1759:
	s_mov_b32 s16, -1
                                        ; implicit-def: $vgpr14
.LBB332_1760:
	s_delay_alu instid0(SALU_CYCLE_1)
	s_and_not1_b32 vcc_lo, exec_lo, s16
	s_cbranch_vccnz .LBB332_1762
; %bb.1761:
	s_wait_loadcnt 0x0
	global_load_u16 v14, v[24:25], off
.LBB332_1762:
	s_mov_b32 s16, 0
.LBB332_1763:
	s_delay_alu instid0(SALU_CYCLE_1)
	s_and_not1_b32 vcc_lo, exec_lo, s16
	s_cbranch_vccnz .LBB332_1769
; %bb.1764:
	global_load_u8 v1, v[24:25], off
	s_mov_b32 s17, 0
	s_mov_b32 s16, exec_lo
	s_wait_loadcnt 0x0
	v_cmpx_lt_i16_e32 0x7f, v1
	s_xor_b32 s16, exec_lo, s16
	s_cbranch_execz .LBB332_1780
; %bb.1765:
	v_cmp_ne_u16_e32 vcc_lo, 0x80, v1
	s_and_b32 s17, vcc_lo, exec_lo
	s_and_not1_saveexec_b32 s16, s16
	s_cbranch_execnz .LBB332_1781
.LBB332_1766:
	s_or_b32 exec_lo, exec_lo, s16
	v_mov_b32_e32 v14, 0
	s_and_saveexec_b32 s16, s17
	s_cbranch_execz .LBB332_1768
.LBB332_1767:
	v_and_b32_e32 v3, 0xffff, v1
	s_delay_alu instid0(VALU_DEP_1) | instskip(SKIP_1) | instid1(VALU_DEP_2)
	v_dual_lshlrev_b32 v1, 24, v1 :: v_dual_bitop2_b32 v5, 7, v3 bitop3:0x40
	v_bfe_u32 v11, v3, 3, 4
	v_and_b32_e32 v1, 0x80000000, v1
	s_delay_alu instid0(VALU_DEP_3) | instskip(NEXT) | instid1(VALU_DEP_3)
	v_clz_i32_u32_e32 v7, v5
	v_cmp_eq_u32_e32 vcc_lo, 0, v11
	s_delay_alu instid0(VALU_DEP_2) | instskip(NEXT) | instid1(VALU_DEP_1)
	v_min_u32_e32 v7, 32, v7
	v_subrev_nc_u32_e32 v9, 28, v7
	v_sub_nc_u32_e32 v7, 29, v7
	s_delay_alu instid0(VALU_DEP_2) | instskip(NEXT) | instid1(VALU_DEP_2)
	v_lshlrev_b32_e32 v3, v9, v3
	v_cndmask_b32_e32 v7, v11, v7, vcc_lo
	s_delay_alu instid0(VALU_DEP_2) | instskip(NEXT) | instid1(VALU_DEP_1)
	v_and_b32_e32 v3, 7, v3
	v_cndmask_b32_e32 v3, v5, v3, vcc_lo
	s_delay_alu instid0(VALU_DEP_3) | instskip(NEXT) | instid1(VALU_DEP_2)
	v_lshl_add_u32 v5, v7, 23, 0x3b800000
	v_lshlrev_b32_e32 v3, 20, v3
	s_delay_alu instid0(VALU_DEP_1) | instskip(NEXT) | instid1(VALU_DEP_1)
	v_or3_b32 v1, v1, v5, v3
	v_cvt_u32_f32_e32 v14, v1
.LBB332_1768:
	s_or_b32 exec_lo, exec_lo, s16
.LBB332_1769:
	s_mov_b32 s16, -1
.LBB332_1770:
	s_branch .LBB332_1801
.LBB332_1771:
	s_cmp_gt_i32 s13, 22
	s_cbranch_scc0 .LBB332_1779
; %bb.1772:
	s_cmp_lt_i32 s13, 24
	s_cbranch_scc1 .LBB332_1782
; %bb.1773:
	s_cmp_gt_i32 s13, 24
	s_cbranch_scc0 .LBB332_1783
; %bb.1774:
	global_load_u8 v1, v[24:25], off
	s_mov_b32 s16, 0
	s_mov_b32 s15, exec_lo
	s_wait_loadcnt 0x0
	v_cmpx_lt_i16_e32 0x7f, v1
	s_xor_b32 s15, exec_lo, s15
	s_cbranch_execz .LBB332_1795
; %bb.1775:
	v_cmp_ne_u16_e32 vcc_lo, 0x80, v1
	s_and_b32 s16, vcc_lo, exec_lo
	s_and_not1_saveexec_b32 s15, s15
	s_cbranch_execnz .LBB332_1796
.LBB332_1776:
	s_or_b32 exec_lo, exec_lo, s15
	v_mov_b32_e32 v14, 0
	s_and_saveexec_b32 s15, s16
	s_cbranch_execz .LBB332_1778
.LBB332_1777:
	v_and_b32_e32 v3, 0xffff, v1
	s_delay_alu instid0(VALU_DEP_1) | instskip(SKIP_1) | instid1(VALU_DEP_2)
	v_dual_lshlrev_b32 v1, 24, v1 :: v_dual_bitop2_b32 v5, 3, v3 bitop3:0x40
	v_bfe_u32 v11, v3, 2, 5
	v_and_b32_e32 v1, 0x80000000, v1
	s_delay_alu instid0(VALU_DEP_3) | instskip(NEXT) | instid1(VALU_DEP_3)
	v_clz_i32_u32_e32 v7, v5
	v_cmp_eq_u32_e32 vcc_lo, 0, v11
	s_delay_alu instid0(VALU_DEP_2) | instskip(NEXT) | instid1(VALU_DEP_1)
	v_min_u32_e32 v7, 32, v7
	v_subrev_nc_u32_e32 v9, 29, v7
	v_sub_nc_u32_e32 v7, 30, v7
	s_delay_alu instid0(VALU_DEP_2) | instskip(NEXT) | instid1(VALU_DEP_2)
	v_lshlrev_b32_e32 v3, v9, v3
	v_cndmask_b32_e32 v7, v11, v7, vcc_lo
	s_delay_alu instid0(VALU_DEP_2) | instskip(NEXT) | instid1(VALU_DEP_1)
	v_and_b32_e32 v3, 3, v3
	v_cndmask_b32_e32 v3, v5, v3, vcc_lo
	s_delay_alu instid0(VALU_DEP_3) | instskip(NEXT) | instid1(VALU_DEP_2)
	v_lshl_add_u32 v5, v7, 23, 0x37800000
	v_lshlrev_b32_e32 v3, 21, v3
	s_delay_alu instid0(VALU_DEP_1) | instskip(NEXT) | instid1(VALU_DEP_1)
	v_or3_b32 v1, v1, v5, v3
	v_cvt_u32_f32_e32 v14, v1
.LBB332_1778:
	s_or_b32 exec_lo, exec_lo, s15
	s_mov_b32 s15, 0
	s_branch .LBB332_1784
.LBB332_1779:
	s_mov_b32 s15, -1
                                        ; implicit-def: $vgpr14
	s_branch .LBB332_1790
.LBB332_1780:
	s_and_not1_saveexec_b32 s16, s16
	s_cbranch_execz .LBB332_1766
.LBB332_1781:
	v_cmp_ne_u16_e32 vcc_lo, 0, v1
	s_and_not1_b32 s17, s17, exec_lo
	s_and_b32 s18, vcc_lo, exec_lo
	s_delay_alu instid0(SALU_CYCLE_1)
	s_or_b32 s17, s17, s18
	s_or_b32 exec_lo, exec_lo, s16
	v_mov_b32_e32 v14, 0
	s_and_saveexec_b32 s16, s17
	s_cbranch_execnz .LBB332_1767
	s_branch .LBB332_1768
.LBB332_1782:
	s_mov_b32 s15, -1
                                        ; implicit-def: $vgpr14
	s_branch .LBB332_1787
.LBB332_1783:
	s_mov_b32 s15, -1
                                        ; implicit-def: $vgpr14
.LBB332_1784:
	s_delay_alu instid0(SALU_CYCLE_1)
	s_and_b32 vcc_lo, exec_lo, s15
	s_cbranch_vccz .LBB332_1786
; %bb.1785:
	global_load_u8 v1, v[24:25], off
	s_wait_loadcnt 0x0
	v_lshlrev_b32_e32 v1, 24, v1
	s_delay_alu instid0(VALU_DEP_1) | instskip(NEXT) | instid1(VALU_DEP_1)
	v_and_b32_e32 v3, 0x7f000000, v1
	v_clz_i32_u32_e32 v5, v3
	v_add_nc_u32_e32 v9, 0x1000000, v3
	v_cmp_ne_u32_e32 vcc_lo, 0, v3
	s_delay_alu instid0(VALU_DEP_3) | instskip(NEXT) | instid1(VALU_DEP_1)
	v_min_u32_e32 v5, 32, v5
	v_sub_nc_u32_e64 v5, v5, 4 clamp
	s_delay_alu instid0(VALU_DEP_1) | instskip(NEXT) | instid1(VALU_DEP_1)
	v_dual_lshlrev_b32 v7, v5, v3 :: v_dual_lshlrev_b32 v5, 23, v5
	v_lshrrev_b32_e32 v7, 4, v7
	s_delay_alu instid0(VALU_DEP_1) | instskip(SKIP_1) | instid1(VALU_DEP_2)
	v_sub_nc_u32_e32 v5, v7, v5
	v_ashrrev_i32_e32 v7, 8, v9
	v_add_nc_u32_e32 v5, 0x3c000000, v5
	s_delay_alu instid0(VALU_DEP_1) | instskip(NEXT) | instid1(VALU_DEP_1)
	v_and_or_b32 v5, 0x7f800000, v7, v5
	v_cndmask_b32_e32 v3, 0, v5, vcc_lo
	s_delay_alu instid0(VALU_DEP_1) | instskip(NEXT) | instid1(VALU_DEP_1)
	v_and_or_b32 v1, 0x80000000, v1, v3
	v_cvt_u32_f32_e32 v14, v1
.LBB332_1786:
	s_mov_b32 s15, 0
.LBB332_1787:
	s_delay_alu instid0(SALU_CYCLE_1)
	s_and_not1_b32 vcc_lo, exec_lo, s15
	s_cbranch_vccnz .LBB332_1789
; %bb.1788:
	global_load_u8 v1, v[24:25], off
	s_wait_loadcnt 0x0
	v_lshlrev_b32_e32 v3, 25, v1
	v_lshlrev_b16 v1, 8, v1
	s_delay_alu instid0(VALU_DEP_1) | instskip(SKIP_1) | instid1(VALU_DEP_2)
	v_and_or_b32 v7, 0x7f00, v1, 0.5
	v_bfe_i32 v1, v1, 0, 16
	v_add_f32_e32 v7, -0.5, v7
	v_lshrrev_b32_e32 v5, 4, v3
	v_cmp_gt_u32_e32 vcc_lo, 0x8000000, v3
	s_delay_alu instid0(VALU_DEP_2) | instskip(NEXT) | instid1(VALU_DEP_1)
	v_or_b32_e32 v5, 0x70000000, v5
	v_mul_f32_e32 v5, 0x7800000, v5
	s_delay_alu instid0(VALU_DEP_1) | instskip(NEXT) | instid1(VALU_DEP_1)
	v_cndmask_b32_e32 v3, v5, v7, vcc_lo
	v_and_or_b32 v1, 0x80000000, v1, v3
	s_delay_alu instid0(VALU_DEP_1)
	v_cvt_u32_f32_e32 v14, v1
.LBB332_1789:
	s_mov_b32 s15, 0
	s_mov_b32 s16, -1
.LBB332_1790:
	s_and_not1_b32 vcc_lo, exec_lo, s15
	s_mov_b32 s15, 0
	s_cbranch_vccnz .LBB332_1801
; %bb.1791:
	s_cmp_gt_i32 s13, 14
	s_cbranch_scc0 .LBB332_1794
; %bb.1792:
	s_cmp_eq_u32 s13, 15
	s_cbranch_scc0 .LBB332_1797
; %bb.1793:
	global_load_u16 v1, v[24:25], off
	s_mov_b32 s14, 0
	s_mov_b32 s16, -1
	s_wait_loadcnt 0x0
	v_lshlrev_b32_e32 v1, 16, v1
	s_delay_alu instid0(VALU_DEP_1)
	v_cvt_u32_f32_e32 v14, v1
	s_branch .LBB332_1799
.LBB332_1794:
	s_mov_b32 s15, -1
	s_branch .LBB332_1798
.LBB332_1795:
	s_and_not1_saveexec_b32 s15, s15
	s_cbranch_execz .LBB332_1776
.LBB332_1796:
	v_cmp_ne_u16_e32 vcc_lo, 0, v1
	s_and_not1_b32 s16, s16, exec_lo
	s_and_b32 s17, vcc_lo, exec_lo
	s_delay_alu instid0(SALU_CYCLE_1)
	s_or_b32 s16, s16, s17
	s_or_b32 exec_lo, exec_lo, s15
	v_mov_b32_e32 v14, 0
	s_and_saveexec_b32 s15, s16
	s_cbranch_execnz .LBB332_1777
	s_branch .LBB332_1778
.LBB332_1797:
	s_mov_b32 s14, -1
.LBB332_1798:
                                        ; implicit-def: $vgpr14
.LBB332_1799:
	s_and_b32 vcc_lo, exec_lo, s15
	s_mov_b32 s15, 0
	s_cbranch_vccz .LBB332_1801
; %bb.1800:
	s_cmp_lg_u32 s13, 11
	s_mov_b32 s15, -1
	s_cselect_b32 s14, -1, 0
.LBB332_1801:
	s_delay_alu instid0(SALU_CYCLE_1)
	s_and_b32 vcc_lo, exec_lo, s14
	s_cbranch_vccnz .LBB332_1864
; %bb.1802:
	s_and_not1_b32 vcc_lo, exec_lo, s15
	s_cbranch_vccnz .LBB332_1804
.LBB332_1803:
	global_load_u8 v1, v[24:25], off
	s_mov_b32 s16, -1
	s_wait_loadcnt 0x0
	v_cmp_ne_u16_e32 vcc_lo, 0, v1
	v_cndmask_b32_e64 v14, 0, 1, vcc_lo
.LBB332_1804:
	s_branch .LBB332_1734
.LBB332_1805:
	s_and_b32 s13, 0xffff, s12
	s_delay_alu instid0(SALU_CYCLE_1)
	s_cmp_lt_i32 s13, 5
	s_cbranch_scc1 .LBB332_1810
; %bb.1806:
	s_cmp_lt_i32 s13, 8
	s_cbranch_scc1 .LBB332_1811
; %bb.1807:
	;; [unrolled: 3-line block ×3, first 2 shown]
	s_cmp_gt_i32 s13, 9
	s_cbranch_scc0 .LBB332_1813
; %bb.1809:
	s_wait_loadcnt 0x0
	global_load_b64 v[14:15], v[24:25], off
	s_mov_b32 s14, 0
	s_wait_loadcnt 0x0
	v_cvt_u32_f64_e32 v14, v[14:15]
	s_branch .LBB332_1814
.LBB332_1810:
                                        ; implicit-def: $vgpr14
	s_branch .LBB332_1832
.LBB332_1811:
	s_mov_b32 s14, -1
                                        ; implicit-def: $vgpr14
	s_branch .LBB332_1820
.LBB332_1812:
	s_mov_b32 s14, -1
                                        ; implicit-def: $vgpr14
	s_branch .LBB332_1817
.LBB332_1813:
	s_mov_b32 s14, -1
                                        ; implicit-def: $vgpr14
.LBB332_1814:
	s_delay_alu instid0(SALU_CYCLE_1)
	s_and_not1_b32 vcc_lo, exec_lo, s14
	s_cbranch_vccnz .LBB332_1816
; %bb.1815:
	global_load_b32 v1, v[24:25], off
	s_wait_loadcnt 0x0
	v_cvt_u32_f32_e32 v14, v1
.LBB332_1816:
	s_mov_b32 s14, 0
.LBB332_1817:
	s_delay_alu instid0(SALU_CYCLE_1)
	s_and_not1_b32 vcc_lo, exec_lo, s14
	s_cbranch_vccnz .LBB332_1819
; %bb.1818:
	global_load_b32 v1, v[24:25], off
	s_wait_loadcnt 0x0
	v_cvt_u16_f16_e32 v14, v1
.LBB332_1819:
	s_mov_b32 s14, 0
.LBB332_1820:
	s_delay_alu instid0(SALU_CYCLE_1)
	s_and_not1_b32 vcc_lo, exec_lo, s14
	s_cbranch_vccnz .LBB332_1831
; %bb.1821:
	s_cmp_lt_i32 s13, 6
	s_cbranch_scc1 .LBB332_1824
; %bb.1822:
	s_cmp_gt_i32 s13, 6
	s_cbranch_scc0 .LBB332_1825
; %bb.1823:
	s_wait_loadcnt 0x0
	global_load_b64 v[14:15], v[24:25], off
	s_mov_b32 s14, 0
	s_wait_loadcnt 0x0
	v_cvt_u32_f64_e32 v14, v[14:15]
	s_branch .LBB332_1826
.LBB332_1824:
	s_mov_b32 s14, -1
                                        ; implicit-def: $vgpr14
	s_branch .LBB332_1829
.LBB332_1825:
	s_mov_b32 s14, -1
                                        ; implicit-def: $vgpr14
.LBB332_1826:
	s_delay_alu instid0(SALU_CYCLE_1)
	s_and_not1_b32 vcc_lo, exec_lo, s14
	s_cbranch_vccnz .LBB332_1828
; %bb.1827:
	global_load_b32 v1, v[24:25], off
	s_wait_loadcnt 0x0
	v_cvt_u32_f32_e32 v14, v1
.LBB332_1828:
	s_mov_b32 s14, 0
.LBB332_1829:
	s_delay_alu instid0(SALU_CYCLE_1)
	s_and_not1_b32 vcc_lo, exec_lo, s14
	s_cbranch_vccnz .LBB332_1831
; %bb.1830:
	global_load_u16 v1, v[24:25], off
	s_wait_loadcnt 0x0
	v_cvt_u16_f16_e32 v14, v1
.LBB332_1831:
	s_cbranch_execnz .LBB332_1851
.LBB332_1832:
	s_cmp_lt_i32 s13, 2
	s_cbranch_scc1 .LBB332_1836
; %bb.1833:
	s_cmp_lt_i32 s13, 3
	s_cbranch_scc1 .LBB332_1837
; %bb.1834:
	s_cmp_gt_i32 s13, 3
	s_cbranch_scc0 .LBB332_1838
; %bb.1835:
	s_wait_loadcnt 0x0
	global_load_b64 v[14:15], v[24:25], off
	s_mov_b32 s14, 0
	s_branch .LBB332_1839
.LBB332_1836:
	s_mov_b32 s14, -1
                                        ; implicit-def: $vgpr14
	s_branch .LBB332_1845
.LBB332_1837:
	s_mov_b32 s14, -1
                                        ; implicit-def: $vgpr14
	s_branch .LBB332_1842
.LBB332_1838:
	s_mov_b32 s14, -1
                                        ; implicit-def: $vgpr14
.LBB332_1839:
	s_delay_alu instid0(SALU_CYCLE_1)
	s_and_not1_b32 vcc_lo, exec_lo, s14
	s_cbranch_vccnz .LBB332_1841
; %bb.1840:
	s_wait_loadcnt 0x0
	global_load_b32 v14, v[24:25], off
.LBB332_1841:
	s_mov_b32 s14, 0
.LBB332_1842:
	s_delay_alu instid0(SALU_CYCLE_1)
	s_and_not1_b32 vcc_lo, exec_lo, s14
	s_cbranch_vccnz .LBB332_1844
; %bb.1843:
	s_wait_loadcnt 0x0
	global_load_u16 v14, v[24:25], off
.LBB332_1844:
	s_mov_b32 s14, 0
.LBB332_1845:
	s_delay_alu instid0(SALU_CYCLE_1)
	s_and_not1_b32 vcc_lo, exec_lo, s14
	s_cbranch_vccnz .LBB332_1851
; %bb.1846:
	s_cmp_gt_i32 s13, 0
	s_mov_b32 s13, 0
	s_cbranch_scc0 .LBB332_1848
; %bb.1847:
	s_wait_loadcnt 0x0
	global_load_i8 v14, v[24:25], off
	s_branch .LBB332_1849
.LBB332_1848:
	s_mov_b32 s13, -1
                                        ; implicit-def: $vgpr14
.LBB332_1849:
	s_delay_alu instid0(SALU_CYCLE_1)
	s_and_not1_b32 vcc_lo, exec_lo, s13
	s_cbranch_vccnz .LBB332_1851
; %bb.1850:
	s_wait_loadcnt 0x0
	global_load_u8 v14, v[24:25], off
.LBB332_1851:
.LBB332_1852:
	v_mov_b32_e32 v13, 0
	s_and_b32 s11, 0xffff, s11
	s_delay_alu instid0(SALU_CYCLE_1) | instskip(SKIP_1) | instid1(VALU_DEP_1)
	s_cmp_lt_i32 s11, 11
	s_wait_xcnt 0x0
	v_add_nc_u64_e32 v[24:25], s[6:7], v[12:13]
	s_cbranch_scc1 .LBB332_1859
; %bb.1853:
	s_cmp_gt_i32 s11, 25
	s_mov_b32 s14, 0
	s_cbranch_scc0 .LBB332_1861
; %bb.1854:
	s_cmp_gt_i32 s11, 28
	s_cbranch_scc0 .LBB332_1862
; %bb.1855:
	s_cmp_gt_i32 s11, 43
	;; [unrolled: 3-line block ×3, first 2 shown]
	s_cbranch_scc0 .LBB332_1865
; %bb.1857:
	s_cmp_eq_u32 s11, 46
	s_mov_b32 s16, 0
	s_cbranch_scc0 .LBB332_1866
; %bb.1858:
	global_load_b32 v1, v[24:25], off
	s_mov_b32 s13, 0
	s_mov_b32 s15, -1
	s_wait_loadcnt 0x0
	v_lshlrev_b32_e32 v1, 16, v1
	s_delay_alu instid0(VALU_DEP_1)
	v_cvt_u32_f32_e32 v12, v1
	s_branch .LBB332_1868
.LBB332_1859:
	s_mov_b32 s15, 0
                                        ; implicit-def: $vgpr12
	s_cbranch_execnz .LBB332_1930
.LBB332_1860:
	s_and_not1_b32 vcc_lo, exec_lo, s15
	s_cbranch_vccnz .LBB332_3047
	s_branch .LBB332_1978
.LBB332_1861:
	s_mov_b32 s16, -1
	s_mov_b32 s15, 0
	s_mov_b32 s13, 0
                                        ; implicit-def: $vgpr12
	s_branch .LBB332_1895
.LBB332_1862:
	s_mov_b32 s16, -1
	s_mov_b32 s15, 0
	s_mov_b32 s13, 0
                                        ; implicit-def: $vgpr12
	s_branch .LBB332_1878
.LBB332_1863:
	s_mov_b32 s16, -1
	s_mov_b32 s15, 0
	s_mov_b32 s13, 0
                                        ; implicit-def: $vgpr12
	s_branch .LBB332_1873
.LBB332_1864:
	s_or_b32 s10, s10, exec_lo
	s_trap 2
	s_cbranch_execz .LBB332_1803
	s_branch .LBB332_1804
.LBB332_1865:
	s_mov_b32 s16, -1
	s_mov_b32 s15, 0
	s_mov_b32 s13, 0
	s_branch .LBB332_1867
.LBB332_1866:
	s_mov_b32 s13, -1
	s_mov_b32 s15, 0
.LBB332_1867:
                                        ; implicit-def: $vgpr12
.LBB332_1868:
	s_and_b32 vcc_lo, exec_lo, s16
	s_cbranch_vccz .LBB332_1872
; %bb.1869:
	s_cmp_eq_u32 s11, 44
	s_cbranch_scc0 .LBB332_1871
; %bb.1870:
	global_load_u8 v1, v[24:25], off
	s_mov_b32 s13, 0
	s_mov_b32 s15, -1
	s_wait_loadcnt 0x0
	v_lshlrev_b32_e32 v3, 23, v1
	v_cmp_ne_u32_e32 vcc_lo, 0, v1
	s_delay_alu instid0(VALU_DEP_2) | instskip(NEXT) | instid1(VALU_DEP_1)
	v_cvt_u32_f32_e32 v3, v3
	v_cndmask_b32_e32 v12, 0, v3, vcc_lo
	s_branch .LBB332_1872
.LBB332_1871:
	s_mov_b32 s13, -1
                                        ; implicit-def: $vgpr12
.LBB332_1872:
	s_mov_b32 s16, 0
.LBB332_1873:
	s_delay_alu instid0(SALU_CYCLE_1)
	s_and_b32 vcc_lo, exec_lo, s16
	s_cbranch_vccz .LBB332_1877
; %bb.1874:
	s_cmp_eq_u32 s11, 29
	s_cbranch_scc0 .LBB332_1876
; %bb.1875:
	global_load_b64 v[12:13], v[24:25], off
	s_mov_b32 s13, 0
	s_mov_b32 s15, -1
	s_branch .LBB332_1877
.LBB332_1876:
	s_mov_b32 s13, -1
                                        ; implicit-def: $vgpr12
.LBB332_1877:
	s_mov_b32 s16, 0
.LBB332_1878:
	s_delay_alu instid0(SALU_CYCLE_1)
	s_and_b32 vcc_lo, exec_lo, s16
	s_cbranch_vccz .LBB332_1894
; %bb.1879:
	s_cmp_lt_i32 s11, 27
	s_cbranch_scc1 .LBB332_1882
; %bb.1880:
	s_cmp_gt_i32 s11, 27
	s_cbranch_scc0 .LBB332_1883
; %bb.1881:
	s_wait_loadcnt 0x0
	global_load_b32 v12, v[24:25], off
	s_mov_b32 s15, 0
	s_branch .LBB332_1884
.LBB332_1882:
	s_mov_b32 s15, -1
                                        ; implicit-def: $vgpr12
	s_branch .LBB332_1887
.LBB332_1883:
	s_mov_b32 s15, -1
                                        ; implicit-def: $vgpr12
.LBB332_1884:
	s_delay_alu instid0(SALU_CYCLE_1)
	s_and_not1_b32 vcc_lo, exec_lo, s15
	s_cbranch_vccnz .LBB332_1886
; %bb.1885:
	s_wait_loadcnt 0x0
	global_load_u16 v12, v[24:25], off
.LBB332_1886:
	s_mov_b32 s15, 0
.LBB332_1887:
	s_delay_alu instid0(SALU_CYCLE_1)
	s_and_not1_b32 vcc_lo, exec_lo, s15
	s_cbranch_vccnz .LBB332_1893
; %bb.1888:
	global_load_u8 v1, v[24:25], off
	s_mov_b32 s16, 0
	s_mov_b32 s15, exec_lo
	s_wait_loadcnt 0x0
	v_cmpx_lt_i16_e32 0x7f, v1
	s_xor_b32 s15, exec_lo, s15
	s_cbranch_execz .LBB332_1905
; %bb.1889:
	v_cmp_ne_u16_e32 vcc_lo, 0x80, v1
	s_and_b32 s16, vcc_lo, exec_lo
	s_and_not1_saveexec_b32 s15, s15
	s_cbranch_execnz .LBB332_1906
.LBB332_1890:
	s_or_b32 exec_lo, exec_lo, s15
	v_mov_b32_e32 v12, 0
	s_and_saveexec_b32 s15, s16
	s_cbranch_execz .LBB332_1892
.LBB332_1891:
	v_and_b32_e32 v3, 0xffff, v1
	s_delay_alu instid0(VALU_DEP_1) | instskip(SKIP_1) | instid1(VALU_DEP_2)
	v_dual_lshlrev_b32 v1, 24, v1 :: v_dual_bitop2_b32 v5, 7, v3 bitop3:0x40
	v_bfe_u32 v11, v3, 3, 4
	v_and_b32_e32 v1, 0x80000000, v1
	s_delay_alu instid0(VALU_DEP_3) | instskip(NEXT) | instid1(VALU_DEP_3)
	v_clz_i32_u32_e32 v7, v5
	v_cmp_eq_u32_e32 vcc_lo, 0, v11
	s_delay_alu instid0(VALU_DEP_2) | instskip(NEXT) | instid1(VALU_DEP_1)
	v_min_u32_e32 v7, 32, v7
	v_subrev_nc_u32_e32 v9, 28, v7
	v_sub_nc_u32_e32 v7, 29, v7
	s_delay_alu instid0(VALU_DEP_2) | instskip(NEXT) | instid1(VALU_DEP_2)
	v_lshlrev_b32_e32 v3, v9, v3
	v_cndmask_b32_e32 v7, v11, v7, vcc_lo
	s_delay_alu instid0(VALU_DEP_2) | instskip(NEXT) | instid1(VALU_DEP_1)
	v_and_b32_e32 v3, 7, v3
	v_cndmask_b32_e32 v3, v5, v3, vcc_lo
	s_delay_alu instid0(VALU_DEP_3) | instskip(NEXT) | instid1(VALU_DEP_2)
	v_lshl_add_u32 v5, v7, 23, 0x3b800000
	v_lshlrev_b32_e32 v3, 20, v3
	s_delay_alu instid0(VALU_DEP_1) | instskip(NEXT) | instid1(VALU_DEP_1)
	v_or3_b32 v1, v1, v5, v3
	v_cvt_u32_f32_e32 v12, v1
.LBB332_1892:
	s_or_b32 exec_lo, exec_lo, s15
.LBB332_1893:
	s_mov_b32 s15, -1
.LBB332_1894:
	s_mov_b32 s16, 0
.LBB332_1895:
	s_delay_alu instid0(SALU_CYCLE_1)
	s_and_b32 vcc_lo, exec_lo, s16
	s_cbranch_vccz .LBB332_1926
; %bb.1896:
	s_cmp_gt_i32 s11, 22
	s_cbranch_scc0 .LBB332_1904
; %bb.1897:
	s_cmp_lt_i32 s11, 24
	s_cbranch_scc1 .LBB332_1907
; %bb.1898:
	s_cmp_gt_i32 s11, 24
	s_cbranch_scc0 .LBB332_1908
; %bb.1899:
	global_load_u8 v1, v[24:25], off
	s_mov_b32 s15, 0
	s_mov_b32 s14, exec_lo
	s_wait_loadcnt 0x0
	v_cmpx_lt_i16_e32 0x7f, v1
	s_xor_b32 s14, exec_lo, s14
	s_cbranch_execz .LBB332_1920
; %bb.1900:
	v_cmp_ne_u16_e32 vcc_lo, 0x80, v1
	s_and_b32 s15, vcc_lo, exec_lo
	s_and_not1_saveexec_b32 s14, s14
	s_cbranch_execnz .LBB332_1921
.LBB332_1901:
	s_or_b32 exec_lo, exec_lo, s14
	v_mov_b32_e32 v12, 0
	s_and_saveexec_b32 s14, s15
	s_cbranch_execz .LBB332_1903
.LBB332_1902:
	v_and_b32_e32 v3, 0xffff, v1
	s_delay_alu instid0(VALU_DEP_1) | instskip(SKIP_1) | instid1(VALU_DEP_2)
	v_dual_lshlrev_b32 v1, 24, v1 :: v_dual_bitop2_b32 v5, 3, v3 bitop3:0x40
	v_bfe_u32 v11, v3, 2, 5
	v_and_b32_e32 v1, 0x80000000, v1
	s_delay_alu instid0(VALU_DEP_3) | instskip(NEXT) | instid1(VALU_DEP_3)
	v_clz_i32_u32_e32 v7, v5
	v_cmp_eq_u32_e32 vcc_lo, 0, v11
	s_delay_alu instid0(VALU_DEP_2) | instskip(NEXT) | instid1(VALU_DEP_1)
	v_min_u32_e32 v7, 32, v7
	v_subrev_nc_u32_e32 v9, 29, v7
	v_sub_nc_u32_e32 v7, 30, v7
	s_delay_alu instid0(VALU_DEP_2) | instskip(NEXT) | instid1(VALU_DEP_2)
	v_lshlrev_b32_e32 v3, v9, v3
	v_cndmask_b32_e32 v7, v11, v7, vcc_lo
	s_delay_alu instid0(VALU_DEP_2) | instskip(NEXT) | instid1(VALU_DEP_1)
	v_and_b32_e32 v3, 3, v3
	v_cndmask_b32_e32 v3, v5, v3, vcc_lo
	s_delay_alu instid0(VALU_DEP_3) | instskip(NEXT) | instid1(VALU_DEP_2)
	v_lshl_add_u32 v5, v7, 23, 0x37800000
	v_lshlrev_b32_e32 v3, 21, v3
	s_delay_alu instid0(VALU_DEP_1) | instskip(NEXT) | instid1(VALU_DEP_1)
	v_or3_b32 v1, v1, v5, v3
	v_cvt_u32_f32_e32 v12, v1
.LBB332_1903:
	s_or_b32 exec_lo, exec_lo, s14
	s_mov_b32 s14, 0
	s_branch .LBB332_1909
.LBB332_1904:
	s_mov_b32 s14, -1
                                        ; implicit-def: $vgpr12
	s_branch .LBB332_1915
.LBB332_1905:
	s_and_not1_saveexec_b32 s15, s15
	s_cbranch_execz .LBB332_1890
.LBB332_1906:
	v_cmp_ne_u16_e32 vcc_lo, 0, v1
	s_and_not1_b32 s16, s16, exec_lo
	s_and_b32 s17, vcc_lo, exec_lo
	s_delay_alu instid0(SALU_CYCLE_1)
	s_or_b32 s16, s16, s17
	s_or_b32 exec_lo, exec_lo, s15
	v_mov_b32_e32 v12, 0
	s_and_saveexec_b32 s15, s16
	s_cbranch_execnz .LBB332_1891
	s_branch .LBB332_1892
.LBB332_1907:
	s_mov_b32 s14, -1
                                        ; implicit-def: $vgpr12
	s_branch .LBB332_1912
.LBB332_1908:
	s_mov_b32 s14, -1
                                        ; implicit-def: $vgpr12
.LBB332_1909:
	s_delay_alu instid0(SALU_CYCLE_1)
	s_and_b32 vcc_lo, exec_lo, s14
	s_cbranch_vccz .LBB332_1911
; %bb.1910:
	global_load_u8 v1, v[24:25], off
	s_wait_loadcnt 0x0
	v_lshlrev_b32_e32 v1, 24, v1
	s_delay_alu instid0(VALU_DEP_1) | instskip(NEXT) | instid1(VALU_DEP_1)
	v_and_b32_e32 v3, 0x7f000000, v1
	v_clz_i32_u32_e32 v5, v3
	v_add_nc_u32_e32 v9, 0x1000000, v3
	v_cmp_ne_u32_e32 vcc_lo, 0, v3
	s_delay_alu instid0(VALU_DEP_3) | instskip(NEXT) | instid1(VALU_DEP_1)
	v_min_u32_e32 v5, 32, v5
	v_sub_nc_u32_e64 v5, v5, 4 clamp
	s_delay_alu instid0(VALU_DEP_1) | instskip(NEXT) | instid1(VALU_DEP_1)
	v_dual_lshlrev_b32 v7, v5, v3 :: v_dual_lshlrev_b32 v5, 23, v5
	v_lshrrev_b32_e32 v7, 4, v7
	s_delay_alu instid0(VALU_DEP_1) | instskip(SKIP_1) | instid1(VALU_DEP_2)
	v_sub_nc_u32_e32 v5, v7, v5
	v_ashrrev_i32_e32 v7, 8, v9
	v_add_nc_u32_e32 v5, 0x3c000000, v5
	s_delay_alu instid0(VALU_DEP_1) | instskip(NEXT) | instid1(VALU_DEP_1)
	v_and_or_b32 v5, 0x7f800000, v7, v5
	v_cndmask_b32_e32 v3, 0, v5, vcc_lo
	s_delay_alu instid0(VALU_DEP_1) | instskip(NEXT) | instid1(VALU_DEP_1)
	v_and_or_b32 v1, 0x80000000, v1, v3
	v_cvt_u32_f32_e32 v12, v1
.LBB332_1911:
	s_mov_b32 s14, 0
.LBB332_1912:
	s_delay_alu instid0(SALU_CYCLE_1)
	s_and_not1_b32 vcc_lo, exec_lo, s14
	s_cbranch_vccnz .LBB332_1914
; %bb.1913:
	global_load_u8 v1, v[24:25], off
	s_wait_loadcnt 0x0
	v_lshlrev_b32_e32 v3, 25, v1
	v_lshlrev_b16 v1, 8, v1
	s_delay_alu instid0(VALU_DEP_1) | instskip(SKIP_1) | instid1(VALU_DEP_2)
	v_and_or_b32 v7, 0x7f00, v1, 0.5
	v_bfe_i32 v1, v1, 0, 16
	v_add_f32_e32 v7, -0.5, v7
	v_lshrrev_b32_e32 v5, 4, v3
	v_cmp_gt_u32_e32 vcc_lo, 0x8000000, v3
	s_delay_alu instid0(VALU_DEP_2) | instskip(NEXT) | instid1(VALU_DEP_1)
	v_or_b32_e32 v5, 0x70000000, v5
	v_mul_f32_e32 v5, 0x7800000, v5
	s_delay_alu instid0(VALU_DEP_1) | instskip(NEXT) | instid1(VALU_DEP_1)
	v_cndmask_b32_e32 v3, v5, v7, vcc_lo
	v_and_or_b32 v1, 0x80000000, v1, v3
	s_delay_alu instid0(VALU_DEP_1)
	v_cvt_u32_f32_e32 v12, v1
.LBB332_1914:
	s_mov_b32 s14, 0
	s_mov_b32 s15, -1
.LBB332_1915:
	s_and_not1_b32 vcc_lo, exec_lo, s14
	s_mov_b32 s14, 0
	s_cbranch_vccnz .LBB332_1926
; %bb.1916:
	s_cmp_gt_i32 s11, 14
	s_cbranch_scc0 .LBB332_1919
; %bb.1917:
	s_cmp_eq_u32 s11, 15
	s_cbranch_scc0 .LBB332_1922
; %bb.1918:
	global_load_u16 v1, v[24:25], off
	s_mov_b32 s13, 0
	s_mov_b32 s15, -1
	s_wait_loadcnt 0x0
	v_lshlrev_b32_e32 v1, 16, v1
	s_delay_alu instid0(VALU_DEP_1)
	v_cvt_u32_f32_e32 v12, v1
	s_branch .LBB332_1924
.LBB332_1919:
	s_mov_b32 s14, -1
	s_branch .LBB332_1923
.LBB332_1920:
	s_and_not1_saveexec_b32 s14, s14
	s_cbranch_execz .LBB332_1901
.LBB332_1921:
	v_cmp_ne_u16_e32 vcc_lo, 0, v1
	s_and_not1_b32 s15, s15, exec_lo
	s_and_b32 s16, vcc_lo, exec_lo
	s_delay_alu instid0(SALU_CYCLE_1)
	s_or_b32 s15, s15, s16
	s_or_b32 exec_lo, exec_lo, s14
	v_mov_b32_e32 v12, 0
	s_and_saveexec_b32 s14, s15
	s_cbranch_execnz .LBB332_1902
	s_branch .LBB332_1903
.LBB332_1922:
	s_mov_b32 s13, -1
.LBB332_1923:
                                        ; implicit-def: $vgpr12
.LBB332_1924:
	s_and_b32 vcc_lo, exec_lo, s14
	s_mov_b32 s14, 0
	s_cbranch_vccz .LBB332_1926
; %bb.1925:
	s_cmp_lg_u32 s11, 11
	s_mov_b32 s14, -1
	s_cselect_b32 s13, -1, 0
.LBB332_1926:
	s_delay_alu instid0(SALU_CYCLE_1)
	s_and_b32 vcc_lo, exec_lo, s13
	s_cbranch_vccnz .LBB332_1989
; %bb.1927:
	s_and_not1_b32 vcc_lo, exec_lo, s14
	s_cbranch_vccnz .LBB332_1929
.LBB332_1928:
	global_load_u8 v1, v[24:25], off
	s_mov_b32 s15, -1
	s_wait_loadcnt 0x0
	v_cmp_ne_u16_e32 vcc_lo, 0, v1
	v_cndmask_b32_e64 v12, 0, 1, vcc_lo
.LBB332_1929:
	s_branch .LBB332_1860
.LBB332_1930:
	s_cmp_lt_i32 s11, 5
	s_cbranch_scc1 .LBB332_1935
; %bb.1931:
	s_cmp_lt_i32 s11, 8
	s_cbranch_scc1 .LBB332_1936
; %bb.1932:
	;; [unrolled: 3-line block ×3, first 2 shown]
	s_cmp_gt_i32 s11, 9
	s_cbranch_scc0 .LBB332_1938
; %bb.1934:
	s_wait_loadcnt 0x0
	global_load_b64 v[12:13], v[24:25], off
	s_mov_b32 s13, 0
	s_wait_loadcnt 0x0
	v_cvt_u32_f64_e32 v12, v[12:13]
	s_branch .LBB332_1939
.LBB332_1935:
	s_mov_b32 s13, -1
                                        ; implicit-def: $vgpr12
	s_branch .LBB332_1957
.LBB332_1936:
	s_mov_b32 s13, -1
                                        ; implicit-def: $vgpr12
	s_branch .LBB332_1945
.LBB332_1937:
	s_mov_b32 s13, -1
                                        ; implicit-def: $vgpr12
	s_branch .LBB332_1942
.LBB332_1938:
	s_mov_b32 s13, -1
                                        ; implicit-def: $vgpr12
.LBB332_1939:
	s_delay_alu instid0(SALU_CYCLE_1)
	s_and_not1_b32 vcc_lo, exec_lo, s13
	s_cbranch_vccnz .LBB332_1941
; %bb.1940:
	global_load_b32 v1, v[24:25], off
	s_wait_loadcnt 0x0
	v_cvt_u32_f32_e32 v12, v1
.LBB332_1941:
	s_mov_b32 s13, 0
.LBB332_1942:
	s_delay_alu instid0(SALU_CYCLE_1)
	s_and_not1_b32 vcc_lo, exec_lo, s13
	s_cbranch_vccnz .LBB332_1944
; %bb.1943:
	global_load_b32 v1, v[24:25], off
	s_wait_loadcnt 0x0
	v_cvt_u16_f16_e32 v12, v1
.LBB332_1944:
	s_mov_b32 s13, 0
.LBB332_1945:
	s_delay_alu instid0(SALU_CYCLE_1)
	s_and_not1_b32 vcc_lo, exec_lo, s13
	s_cbranch_vccnz .LBB332_1956
; %bb.1946:
	s_cmp_lt_i32 s11, 6
	s_cbranch_scc1 .LBB332_1949
; %bb.1947:
	s_cmp_gt_i32 s11, 6
	s_cbranch_scc0 .LBB332_1950
; %bb.1948:
	s_wait_loadcnt 0x0
	global_load_b64 v[12:13], v[24:25], off
	s_mov_b32 s13, 0
	s_wait_loadcnt 0x0
	v_cvt_u32_f64_e32 v12, v[12:13]
	s_branch .LBB332_1951
.LBB332_1949:
	s_mov_b32 s13, -1
                                        ; implicit-def: $vgpr12
	s_branch .LBB332_1954
.LBB332_1950:
	s_mov_b32 s13, -1
                                        ; implicit-def: $vgpr12
.LBB332_1951:
	s_delay_alu instid0(SALU_CYCLE_1)
	s_and_not1_b32 vcc_lo, exec_lo, s13
	s_cbranch_vccnz .LBB332_1953
; %bb.1952:
	global_load_b32 v1, v[24:25], off
	s_wait_loadcnt 0x0
	v_cvt_u32_f32_e32 v12, v1
.LBB332_1953:
	s_mov_b32 s13, 0
.LBB332_1954:
	s_delay_alu instid0(SALU_CYCLE_1)
	s_and_not1_b32 vcc_lo, exec_lo, s13
	s_cbranch_vccnz .LBB332_1956
; %bb.1955:
	global_load_u16 v1, v[24:25], off
	s_wait_loadcnt 0x0
	v_cvt_u16_f16_e32 v12, v1
.LBB332_1956:
	s_mov_b32 s13, 0
.LBB332_1957:
	s_delay_alu instid0(SALU_CYCLE_1)
	s_and_not1_b32 vcc_lo, exec_lo, s13
	s_cbranch_vccnz .LBB332_1977
; %bb.1958:
	s_cmp_lt_i32 s11, 2
	s_cbranch_scc1 .LBB332_1962
; %bb.1959:
	s_cmp_lt_i32 s11, 3
	s_cbranch_scc1 .LBB332_1963
; %bb.1960:
	s_cmp_gt_i32 s11, 3
	s_cbranch_scc0 .LBB332_1964
; %bb.1961:
	s_wait_loadcnt 0x0
	global_load_b64 v[12:13], v[24:25], off
	s_mov_b32 s13, 0
	s_branch .LBB332_1965
.LBB332_1962:
	s_mov_b32 s13, -1
                                        ; implicit-def: $vgpr12
	s_branch .LBB332_1971
.LBB332_1963:
	s_mov_b32 s13, -1
                                        ; implicit-def: $vgpr12
	s_branch .LBB332_1968
.LBB332_1964:
	s_mov_b32 s13, -1
                                        ; implicit-def: $vgpr12
.LBB332_1965:
	s_delay_alu instid0(SALU_CYCLE_1)
	s_and_not1_b32 vcc_lo, exec_lo, s13
	s_cbranch_vccnz .LBB332_1967
; %bb.1966:
	s_wait_loadcnt 0x0
	global_load_b32 v12, v[24:25], off
.LBB332_1967:
	s_mov_b32 s13, 0
.LBB332_1968:
	s_delay_alu instid0(SALU_CYCLE_1)
	s_and_not1_b32 vcc_lo, exec_lo, s13
	s_cbranch_vccnz .LBB332_1970
; %bb.1969:
	s_wait_loadcnt 0x0
	global_load_u16 v12, v[24:25], off
.LBB332_1970:
	s_mov_b32 s13, 0
.LBB332_1971:
	s_delay_alu instid0(SALU_CYCLE_1)
	s_and_not1_b32 vcc_lo, exec_lo, s13
	s_cbranch_vccnz .LBB332_1977
; %bb.1972:
	s_cmp_gt_i32 s11, 0
	s_mov_b32 s13, 0
	s_cbranch_scc0 .LBB332_1974
; %bb.1973:
	s_wait_loadcnt 0x0
	global_load_i8 v12, v[24:25], off
	s_branch .LBB332_1975
.LBB332_1974:
	s_mov_b32 s13, -1
                                        ; implicit-def: $vgpr12
.LBB332_1975:
	s_delay_alu instid0(SALU_CYCLE_1)
	s_and_not1_b32 vcc_lo, exec_lo, s13
	s_cbranch_vccnz .LBB332_1977
; %bb.1976:
	s_wait_loadcnt 0x0
	global_load_u8 v12, v[24:25], off
.LBB332_1977:
.LBB332_1978:
	v_mov_b32_e32 v21, 0
	s_and_b32 s12, 0xffff, s12
	s_delay_alu instid0(SALU_CYCLE_1) | instskip(SKIP_1) | instid1(VALU_DEP_1)
	s_cmp_lt_i32 s12, 11
	s_wait_xcnt 0x0
	v_add_nc_u64_e32 v[24:25], s[0:1], v[20:21]
	s_cbranch_scc1 .LBB332_1985
; %bb.1979:
	s_cmp_gt_i32 s12, 25
	s_mov_b32 s14, 0
	s_cbranch_scc0 .LBB332_1986
; %bb.1980:
	s_cmp_gt_i32 s12, 28
	s_cbranch_scc0 .LBB332_1987
; %bb.1981:
	s_cmp_gt_i32 s12, 43
	;; [unrolled: 3-line block ×3, first 2 shown]
	s_cbranch_scc0 .LBB332_1990
; %bb.1983:
	s_cmp_eq_u32 s12, 46
	s_mov_b32 s16, 0
	s_cbranch_scc0 .LBB332_1991
; %bb.1984:
	global_load_b32 v1, v[24:25], off
	s_mov_b32 s13, 0
	s_mov_b32 s15, -1
	s_wait_loadcnt 0x0
	v_lshlrev_b32_e32 v1, 16, v1
	s_delay_alu instid0(VALU_DEP_1)
	v_cvt_u32_f32_e32 v20, v1
	s_branch .LBB332_1993
.LBB332_1985:
	s_mov_b32 s13, -1
	s_mov_b32 s15, 0
                                        ; implicit-def: $vgpr20
	s_branch .LBB332_2055
.LBB332_1986:
	s_mov_b32 s16, -1
	s_mov_b32 s15, 0
	s_mov_b32 s13, 0
                                        ; implicit-def: $vgpr20
	s_branch .LBB332_2020
.LBB332_1987:
	s_mov_b32 s16, -1
	s_mov_b32 s15, 0
	s_mov_b32 s13, 0
                                        ; implicit-def: $vgpr20
	s_branch .LBB332_2003
.LBB332_1988:
	s_mov_b32 s16, -1
	s_mov_b32 s15, 0
	s_mov_b32 s13, 0
                                        ; implicit-def: $vgpr20
	s_branch .LBB332_1998
.LBB332_1989:
	s_or_b32 s10, s10, exec_lo
	s_trap 2
	s_cbranch_execz .LBB332_1928
	s_branch .LBB332_1929
.LBB332_1990:
	s_mov_b32 s16, -1
	s_mov_b32 s15, 0
	s_mov_b32 s13, 0
	s_branch .LBB332_1992
.LBB332_1991:
	s_mov_b32 s13, -1
	s_mov_b32 s15, 0
.LBB332_1992:
                                        ; implicit-def: $vgpr20
.LBB332_1993:
	s_and_b32 vcc_lo, exec_lo, s16
	s_cbranch_vccz .LBB332_1997
; %bb.1994:
	s_cmp_eq_u32 s12, 44
	s_cbranch_scc0 .LBB332_1996
; %bb.1995:
	global_load_u8 v1, v[24:25], off
	s_mov_b32 s13, 0
	s_mov_b32 s15, -1
	s_wait_loadcnt 0x0
	v_lshlrev_b32_e32 v3, 23, v1
	v_cmp_ne_u32_e32 vcc_lo, 0, v1
	s_delay_alu instid0(VALU_DEP_2) | instskip(NEXT) | instid1(VALU_DEP_1)
	v_cvt_u32_f32_e32 v3, v3
	v_cndmask_b32_e32 v20, 0, v3, vcc_lo
	s_branch .LBB332_1997
.LBB332_1996:
	s_mov_b32 s13, -1
                                        ; implicit-def: $vgpr20
.LBB332_1997:
	s_mov_b32 s16, 0
.LBB332_1998:
	s_delay_alu instid0(SALU_CYCLE_1)
	s_and_b32 vcc_lo, exec_lo, s16
	s_cbranch_vccz .LBB332_2002
; %bb.1999:
	s_cmp_eq_u32 s12, 29
	s_cbranch_scc0 .LBB332_2001
; %bb.2000:
	global_load_b64 v[20:21], v[24:25], off
	s_mov_b32 s13, 0
	s_mov_b32 s15, -1
	s_branch .LBB332_2002
.LBB332_2001:
	s_mov_b32 s13, -1
                                        ; implicit-def: $vgpr20
.LBB332_2002:
	s_mov_b32 s16, 0
.LBB332_2003:
	s_delay_alu instid0(SALU_CYCLE_1)
	s_and_b32 vcc_lo, exec_lo, s16
	s_cbranch_vccz .LBB332_2019
; %bb.2004:
	s_cmp_lt_i32 s12, 27
	s_cbranch_scc1 .LBB332_2007
; %bb.2005:
	s_cmp_gt_i32 s12, 27
	s_cbranch_scc0 .LBB332_2008
; %bb.2006:
	s_wait_loadcnt 0x0
	global_load_b32 v20, v[24:25], off
	s_mov_b32 s15, 0
	s_branch .LBB332_2009
.LBB332_2007:
	s_mov_b32 s15, -1
                                        ; implicit-def: $vgpr20
	s_branch .LBB332_2012
.LBB332_2008:
	s_mov_b32 s15, -1
                                        ; implicit-def: $vgpr20
.LBB332_2009:
	s_delay_alu instid0(SALU_CYCLE_1)
	s_and_not1_b32 vcc_lo, exec_lo, s15
	s_cbranch_vccnz .LBB332_2011
; %bb.2010:
	s_wait_loadcnt 0x0
	global_load_u16 v20, v[24:25], off
.LBB332_2011:
	s_mov_b32 s15, 0
.LBB332_2012:
	s_delay_alu instid0(SALU_CYCLE_1)
	s_and_not1_b32 vcc_lo, exec_lo, s15
	s_cbranch_vccnz .LBB332_2018
; %bb.2013:
	global_load_u8 v1, v[24:25], off
	s_mov_b32 s16, 0
	s_mov_b32 s15, exec_lo
	s_wait_loadcnt 0x0
	v_cmpx_lt_i16_e32 0x7f, v1
	s_xor_b32 s15, exec_lo, s15
	s_cbranch_execz .LBB332_2030
; %bb.2014:
	v_cmp_ne_u16_e32 vcc_lo, 0x80, v1
	s_and_b32 s16, vcc_lo, exec_lo
	s_and_not1_saveexec_b32 s15, s15
	s_cbranch_execnz .LBB332_2031
.LBB332_2015:
	s_or_b32 exec_lo, exec_lo, s15
	v_mov_b32_e32 v20, 0
	s_and_saveexec_b32 s15, s16
	s_cbranch_execz .LBB332_2017
.LBB332_2016:
	v_and_b32_e32 v3, 0xffff, v1
	s_delay_alu instid0(VALU_DEP_1) | instskip(SKIP_1) | instid1(VALU_DEP_2)
	v_dual_lshlrev_b32 v1, 24, v1 :: v_dual_bitop2_b32 v5, 7, v3 bitop3:0x40
	v_bfe_u32 v11, v3, 3, 4
	v_and_b32_e32 v1, 0x80000000, v1
	s_delay_alu instid0(VALU_DEP_3) | instskip(NEXT) | instid1(VALU_DEP_3)
	v_clz_i32_u32_e32 v7, v5
	v_cmp_eq_u32_e32 vcc_lo, 0, v11
	s_delay_alu instid0(VALU_DEP_2) | instskip(NEXT) | instid1(VALU_DEP_1)
	v_min_u32_e32 v7, 32, v7
	v_subrev_nc_u32_e32 v9, 28, v7
	v_sub_nc_u32_e32 v7, 29, v7
	s_delay_alu instid0(VALU_DEP_2) | instskip(NEXT) | instid1(VALU_DEP_2)
	v_lshlrev_b32_e32 v3, v9, v3
	v_cndmask_b32_e32 v7, v11, v7, vcc_lo
	s_delay_alu instid0(VALU_DEP_2) | instskip(NEXT) | instid1(VALU_DEP_1)
	v_and_b32_e32 v3, 7, v3
	v_cndmask_b32_e32 v3, v5, v3, vcc_lo
	s_delay_alu instid0(VALU_DEP_3) | instskip(NEXT) | instid1(VALU_DEP_2)
	v_lshl_add_u32 v5, v7, 23, 0x3b800000
	v_lshlrev_b32_e32 v3, 20, v3
	s_delay_alu instid0(VALU_DEP_1) | instskip(NEXT) | instid1(VALU_DEP_1)
	v_or3_b32 v1, v1, v5, v3
	v_cvt_u32_f32_e32 v20, v1
.LBB332_2017:
	s_or_b32 exec_lo, exec_lo, s15
.LBB332_2018:
	s_mov_b32 s15, -1
.LBB332_2019:
	s_mov_b32 s16, 0
.LBB332_2020:
	s_delay_alu instid0(SALU_CYCLE_1)
	s_and_b32 vcc_lo, exec_lo, s16
	s_cbranch_vccz .LBB332_2051
; %bb.2021:
	s_cmp_gt_i32 s12, 22
	s_cbranch_scc0 .LBB332_2029
; %bb.2022:
	s_cmp_lt_i32 s12, 24
	s_cbranch_scc1 .LBB332_2032
; %bb.2023:
	s_cmp_gt_i32 s12, 24
	s_cbranch_scc0 .LBB332_2033
; %bb.2024:
	global_load_u8 v1, v[24:25], off
	s_mov_b32 s15, 0
	s_mov_b32 s14, exec_lo
	s_wait_loadcnt 0x0
	v_cmpx_lt_i16_e32 0x7f, v1
	s_xor_b32 s14, exec_lo, s14
	s_cbranch_execz .LBB332_2045
; %bb.2025:
	v_cmp_ne_u16_e32 vcc_lo, 0x80, v1
	s_and_b32 s15, vcc_lo, exec_lo
	s_and_not1_saveexec_b32 s14, s14
	s_cbranch_execnz .LBB332_2046
.LBB332_2026:
	s_or_b32 exec_lo, exec_lo, s14
	v_mov_b32_e32 v20, 0
	s_and_saveexec_b32 s14, s15
	s_cbranch_execz .LBB332_2028
.LBB332_2027:
	v_and_b32_e32 v3, 0xffff, v1
	s_delay_alu instid0(VALU_DEP_1) | instskip(SKIP_1) | instid1(VALU_DEP_2)
	v_dual_lshlrev_b32 v1, 24, v1 :: v_dual_bitop2_b32 v5, 3, v3 bitop3:0x40
	v_bfe_u32 v11, v3, 2, 5
	v_and_b32_e32 v1, 0x80000000, v1
	s_delay_alu instid0(VALU_DEP_3) | instskip(NEXT) | instid1(VALU_DEP_3)
	v_clz_i32_u32_e32 v7, v5
	v_cmp_eq_u32_e32 vcc_lo, 0, v11
	s_delay_alu instid0(VALU_DEP_2) | instskip(NEXT) | instid1(VALU_DEP_1)
	v_min_u32_e32 v7, 32, v7
	v_subrev_nc_u32_e32 v9, 29, v7
	v_sub_nc_u32_e32 v7, 30, v7
	s_delay_alu instid0(VALU_DEP_2) | instskip(NEXT) | instid1(VALU_DEP_2)
	v_lshlrev_b32_e32 v3, v9, v3
	v_cndmask_b32_e32 v7, v11, v7, vcc_lo
	s_delay_alu instid0(VALU_DEP_2) | instskip(NEXT) | instid1(VALU_DEP_1)
	v_and_b32_e32 v3, 3, v3
	v_cndmask_b32_e32 v3, v5, v3, vcc_lo
	s_delay_alu instid0(VALU_DEP_3) | instskip(NEXT) | instid1(VALU_DEP_2)
	v_lshl_add_u32 v5, v7, 23, 0x37800000
	v_lshlrev_b32_e32 v3, 21, v3
	s_delay_alu instid0(VALU_DEP_1) | instskip(NEXT) | instid1(VALU_DEP_1)
	v_or3_b32 v1, v1, v5, v3
	v_cvt_u32_f32_e32 v20, v1
.LBB332_2028:
	s_or_b32 exec_lo, exec_lo, s14
	s_mov_b32 s14, 0
	s_branch .LBB332_2034
.LBB332_2029:
	s_mov_b32 s14, -1
                                        ; implicit-def: $vgpr20
	s_branch .LBB332_2040
.LBB332_2030:
	s_and_not1_saveexec_b32 s15, s15
	s_cbranch_execz .LBB332_2015
.LBB332_2031:
	v_cmp_ne_u16_e32 vcc_lo, 0, v1
	s_and_not1_b32 s16, s16, exec_lo
	s_and_b32 s17, vcc_lo, exec_lo
	s_delay_alu instid0(SALU_CYCLE_1)
	s_or_b32 s16, s16, s17
	s_or_b32 exec_lo, exec_lo, s15
	v_mov_b32_e32 v20, 0
	s_and_saveexec_b32 s15, s16
	s_cbranch_execnz .LBB332_2016
	s_branch .LBB332_2017
.LBB332_2032:
	s_mov_b32 s14, -1
                                        ; implicit-def: $vgpr20
	s_branch .LBB332_2037
.LBB332_2033:
	s_mov_b32 s14, -1
                                        ; implicit-def: $vgpr20
.LBB332_2034:
	s_delay_alu instid0(SALU_CYCLE_1)
	s_and_b32 vcc_lo, exec_lo, s14
	s_cbranch_vccz .LBB332_2036
; %bb.2035:
	global_load_u8 v1, v[24:25], off
	s_wait_loadcnt 0x0
	v_lshlrev_b32_e32 v1, 24, v1
	s_delay_alu instid0(VALU_DEP_1) | instskip(NEXT) | instid1(VALU_DEP_1)
	v_and_b32_e32 v3, 0x7f000000, v1
	v_clz_i32_u32_e32 v5, v3
	v_add_nc_u32_e32 v9, 0x1000000, v3
	v_cmp_ne_u32_e32 vcc_lo, 0, v3
	s_delay_alu instid0(VALU_DEP_3) | instskip(NEXT) | instid1(VALU_DEP_1)
	v_min_u32_e32 v5, 32, v5
	v_sub_nc_u32_e64 v5, v5, 4 clamp
	s_delay_alu instid0(VALU_DEP_1) | instskip(NEXT) | instid1(VALU_DEP_1)
	v_dual_lshlrev_b32 v7, v5, v3 :: v_dual_lshlrev_b32 v5, 23, v5
	v_lshrrev_b32_e32 v7, 4, v7
	s_delay_alu instid0(VALU_DEP_1) | instskip(SKIP_1) | instid1(VALU_DEP_2)
	v_sub_nc_u32_e32 v5, v7, v5
	v_ashrrev_i32_e32 v7, 8, v9
	v_add_nc_u32_e32 v5, 0x3c000000, v5
	s_delay_alu instid0(VALU_DEP_1) | instskip(NEXT) | instid1(VALU_DEP_1)
	v_and_or_b32 v5, 0x7f800000, v7, v5
	v_cndmask_b32_e32 v3, 0, v5, vcc_lo
	s_delay_alu instid0(VALU_DEP_1) | instskip(NEXT) | instid1(VALU_DEP_1)
	v_and_or_b32 v1, 0x80000000, v1, v3
	v_cvt_u32_f32_e32 v20, v1
.LBB332_2036:
	s_mov_b32 s14, 0
.LBB332_2037:
	s_delay_alu instid0(SALU_CYCLE_1)
	s_and_not1_b32 vcc_lo, exec_lo, s14
	s_cbranch_vccnz .LBB332_2039
; %bb.2038:
	global_load_u8 v1, v[24:25], off
	s_wait_loadcnt 0x0
	v_lshlrev_b32_e32 v3, 25, v1
	v_lshlrev_b16 v1, 8, v1
	s_delay_alu instid0(VALU_DEP_1) | instskip(SKIP_1) | instid1(VALU_DEP_2)
	v_and_or_b32 v7, 0x7f00, v1, 0.5
	v_bfe_i32 v1, v1, 0, 16
	v_add_f32_e32 v7, -0.5, v7
	v_lshrrev_b32_e32 v5, 4, v3
	v_cmp_gt_u32_e32 vcc_lo, 0x8000000, v3
	s_delay_alu instid0(VALU_DEP_2) | instskip(NEXT) | instid1(VALU_DEP_1)
	v_or_b32_e32 v5, 0x70000000, v5
	v_mul_f32_e32 v5, 0x7800000, v5
	s_delay_alu instid0(VALU_DEP_1) | instskip(NEXT) | instid1(VALU_DEP_1)
	v_cndmask_b32_e32 v3, v5, v7, vcc_lo
	v_and_or_b32 v1, 0x80000000, v1, v3
	s_delay_alu instid0(VALU_DEP_1)
	v_cvt_u32_f32_e32 v20, v1
.LBB332_2039:
	s_mov_b32 s14, 0
	s_mov_b32 s15, -1
.LBB332_2040:
	s_and_not1_b32 vcc_lo, exec_lo, s14
	s_mov_b32 s14, 0
	s_cbranch_vccnz .LBB332_2051
; %bb.2041:
	s_cmp_gt_i32 s12, 14
	s_cbranch_scc0 .LBB332_2044
; %bb.2042:
	s_cmp_eq_u32 s12, 15
	s_cbranch_scc0 .LBB332_2047
; %bb.2043:
	global_load_u16 v1, v[24:25], off
	s_mov_b32 s13, 0
	s_mov_b32 s15, -1
	s_wait_loadcnt 0x0
	v_lshlrev_b32_e32 v1, 16, v1
	s_delay_alu instid0(VALU_DEP_1)
	v_cvt_u32_f32_e32 v20, v1
	s_branch .LBB332_2049
.LBB332_2044:
	s_mov_b32 s14, -1
	s_branch .LBB332_2048
.LBB332_2045:
	s_and_not1_saveexec_b32 s14, s14
	s_cbranch_execz .LBB332_2026
.LBB332_2046:
	v_cmp_ne_u16_e32 vcc_lo, 0, v1
	s_and_not1_b32 s15, s15, exec_lo
	s_and_b32 s16, vcc_lo, exec_lo
	s_delay_alu instid0(SALU_CYCLE_1)
	s_or_b32 s15, s15, s16
	s_or_b32 exec_lo, exec_lo, s14
	v_mov_b32_e32 v20, 0
	s_and_saveexec_b32 s14, s15
	s_cbranch_execnz .LBB332_2027
	s_branch .LBB332_2028
.LBB332_2047:
	s_mov_b32 s13, -1
.LBB332_2048:
                                        ; implicit-def: $vgpr20
.LBB332_2049:
	s_and_b32 vcc_lo, exec_lo, s14
	s_mov_b32 s14, 0
	s_cbranch_vccz .LBB332_2051
; %bb.2050:
	s_cmp_lg_u32 s12, 11
	s_mov_b32 s14, -1
	s_cselect_b32 s13, -1, 0
.LBB332_2051:
	s_delay_alu instid0(SALU_CYCLE_1)
	s_and_b32 vcc_lo, exec_lo, s13
	s_cbranch_vccnz .LBB332_2116
; %bb.2052:
	s_and_not1_b32 vcc_lo, exec_lo, s14
	s_cbranch_vccnz .LBB332_2054
.LBB332_2053:
	global_load_u8 v1, v[24:25], off
	s_mov_b32 s15, -1
	s_wait_loadcnt 0x0
	v_cmp_ne_u16_e32 vcc_lo, 0, v1
	v_cndmask_b32_e64 v20, 0, 1, vcc_lo
.LBB332_2054:
	s_mov_b32 s13, 0
.LBB332_2055:
	s_delay_alu instid0(SALU_CYCLE_1)
	s_and_b32 vcc_lo, exec_lo, s13
	s_cbranch_vccz .LBB332_2104
; %bb.2056:
	s_cmp_lt_i32 s12, 5
	s_cbranch_scc1 .LBB332_2061
; %bb.2057:
	s_cmp_lt_i32 s12, 8
	s_cbranch_scc1 .LBB332_2062
	;; [unrolled: 3-line block ×3, first 2 shown]
; %bb.2059:
	s_cmp_gt_i32 s12, 9
	s_cbranch_scc0 .LBB332_2064
; %bb.2060:
	s_wait_loadcnt 0x0
	global_load_b64 v[20:21], v[24:25], off
	s_mov_b32 s13, 0
	s_wait_loadcnt 0x0
	v_cvt_u32_f64_e32 v20, v[20:21]
	s_branch .LBB332_2065
.LBB332_2061:
	s_mov_b32 s13, -1
                                        ; implicit-def: $vgpr20
	s_branch .LBB332_2083
.LBB332_2062:
	s_mov_b32 s13, -1
                                        ; implicit-def: $vgpr20
	s_branch .LBB332_2071
.LBB332_2063:
	s_mov_b32 s13, -1
                                        ; implicit-def: $vgpr20
	s_branch .LBB332_2068
.LBB332_2064:
	s_mov_b32 s13, -1
                                        ; implicit-def: $vgpr20
.LBB332_2065:
	s_delay_alu instid0(SALU_CYCLE_1)
	s_and_not1_b32 vcc_lo, exec_lo, s13
	s_cbranch_vccnz .LBB332_2067
; %bb.2066:
	global_load_b32 v1, v[24:25], off
	s_wait_loadcnt 0x0
	v_cvt_u32_f32_e32 v20, v1
.LBB332_2067:
	s_mov_b32 s13, 0
.LBB332_2068:
	s_delay_alu instid0(SALU_CYCLE_1)
	s_and_not1_b32 vcc_lo, exec_lo, s13
	s_cbranch_vccnz .LBB332_2070
; %bb.2069:
	global_load_b32 v1, v[24:25], off
	s_wait_loadcnt 0x0
	v_cvt_u16_f16_e32 v20, v1
.LBB332_2070:
	s_mov_b32 s13, 0
.LBB332_2071:
	s_delay_alu instid0(SALU_CYCLE_1)
	s_and_not1_b32 vcc_lo, exec_lo, s13
	s_cbranch_vccnz .LBB332_2082
; %bb.2072:
	s_cmp_lt_i32 s12, 6
	s_cbranch_scc1 .LBB332_2075
; %bb.2073:
	s_cmp_gt_i32 s12, 6
	s_cbranch_scc0 .LBB332_2076
; %bb.2074:
	s_wait_loadcnt 0x0
	global_load_b64 v[20:21], v[24:25], off
	s_mov_b32 s13, 0
	s_wait_loadcnt 0x0
	v_cvt_u32_f64_e32 v20, v[20:21]
	s_branch .LBB332_2077
.LBB332_2075:
	s_mov_b32 s13, -1
                                        ; implicit-def: $vgpr20
	s_branch .LBB332_2080
.LBB332_2076:
	s_mov_b32 s13, -1
                                        ; implicit-def: $vgpr20
.LBB332_2077:
	s_delay_alu instid0(SALU_CYCLE_1)
	s_and_not1_b32 vcc_lo, exec_lo, s13
	s_cbranch_vccnz .LBB332_2079
; %bb.2078:
	global_load_b32 v1, v[24:25], off
	s_wait_loadcnt 0x0
	v_cvt_u32_f32_e32 v20, v1
.LBB332_2079:
	s_mov_b32 s13, 0
.LBB332_2080:
	s_delay_alu instid0(SALU_CYCLE_1)
	s_and_not1_b32 vcc_lo, exec_lo, s13
	s_cbranch_vccnz .LBB332_2082
; %bb.2081:
	global_load_u16 v1, v[24:25], off
	s_wait_loadcnt 0x0
	v_cvt_u16_f16_e32 v20, v1
.LBB332_2082:
	s_mov_b32 s13, 0
.LBB332_2083:
	s_delay_alu instid0(SALU_CYCLE_1)
	s_and_not1_b32 vcc_lo, exec_lo, s13
	s_cbranch_vccnz .LBB332_2103
; %bb.2084:
	s_cmp_lt_i32 s12, 2
	s_cbranch_scc1 .LBB332_2088
; %bb.2085:
	s_cmp_lt_i32 s12, 3
	s_cbranch_scc1 .LBB332_2089
; %bb.2086:
	s_cmp_gt_i32 s12, 3
	s_cbranch_scc0 .LBB332_2090
; %bb.2087:
	s_wait_loadcnt 0x0
	global_load_b64 v[20:21], v[24:25], off
	s_mov_b32 s13, 0
	s_branch .LBB332_2091
.LBB332_2088:
	s_mov_b32 s13, -1
                                        ; implicit-def: $vgpr20
	s_branch .LBB332_2097
.LBB332_2089:
	s_mov_b32 s13, -1
                                        ; implicit-def: $vgpr20
	s_branch .LBB332_2094
.LBB332_2090:
	s_mov_b32 s13, -1
                                        ; implicit-def: $vgpr20
.LBB332_2091:
	s_delay_alu instid0(SALU_CYCLE_1)
	s_and_not1_b32 vcc_lo, exec_lo, s13
	s_cbranch_vccnz .LBB332_2093
; %bb.2092:
	s_wait_loadcnt 0x0
	global_load_b32 v20, v[24:25], off
.LBB332_2093:
	s_mov_b32 s13, 0
.LBB332_2094:
	s_delay_alu instid0(SALU_CYCLE_1)
	s_and_not1_b32 vcc_lo, exec_lo, s13
	s_cbranch_vccnz .LBB332_2096
; %bb.2095:
	s_wait_loadcnt 0x0
	global_load_u16 v20, v[24:25], off
.LBB332_2096:
	s_mov_b32 s13, 0
.LBB332_2097:
	s_delay_alu instid0(SALU_CYCLE_1)
	s_and_not1_b32 vcc_lo, exec_lo, s13
	s_cbranch_vccnz .LBB332_2103
; %bb.2098:
	s_cmp_gt_i32 s12, 0
	s_mov_b32 s13, 0
	s_cbranch_scc0 .LBB332_2100
; %bb.2099:
	s_wait_loadcnt 0x0
	global_load_i8 v20, v[24:25], off
	s_branch .LBB332_2101
.LBB332_2100:
	s_mov_b32 s13, -1
                                        ; implicit-def: $vgpr20
.LBB332_2101:
	s_delay_alu instid0(SALU_CYCLE_1)
	s_and_not1_b32 vcc_lo, exec_lo, s13
	s_cbranch_vccnz .LBB332_2103
; %bb.2102:
	s_wait_loadcnt 0x0
	global_load_u8 v20, v[24:25], off
.LBB332_2103:
	s_mov_b32 s15, -1
.LBB332_2104:
	s_delay_alu instid0(SALU_CYCLE_1)
	s_and_not1_b32 vcc_lo, exec_lo, s15
	s_cbranch_vccnz .LBB332_3047
; %bb.2105:
	v_mov_b32_e32 v19, 0
	s_cmp_lt_i32 s11, 11
	s_wait_xcnt 0x0
	s_delay_alu instid0(VALU_DEP_1)
	v_add_nc_u64_e32 v[24:25], s[6:7], v[18:19]
	s_cbranch_scc1 .LBB332_2112
; %bb.2106:
	s_cmp_gt_i32 s11, 25
	s_mov_b32 s14, 0
	s_cbranch_scc0 .LBB332_2113
; %bb.2107:
	s_cmp_gt_i32 s11, 28
	s_cbranch_scc0 .LBB332_2114
; %bb.2108:
	s_cmp_gt_i32 s11, 43
	;; [unrolled: 3-line block ×3, first 2 shown]
	s_cbranch_scc0 .LBB332_2117
; %bb.2110:
	s_cmp_eq_u32 s11, 46
	s_mov_b32 s16, 0
	s_cbranch_scc0 .LBB332_2118
; %bb.2111:
	global_load_b32 v1, v[24:25], off
	s_mov_b32 s13, 0
	s_mov_b32 s15, -1
	s_wait_loadcnt 0x0
	v_lshlrev_b32_e32 v1, 16, v1
	s_delay_alu instid0(VALU_DEP_1)
	v_cvt_u32_f32_e32 v18, v1
	s_branch .LBB332_2120
.LBB332_2112:
	s_mov_b32 s13, -1
	s_mov_b32 s15, 0
                                        ; implicit-def: $vgpr18
	s_branch .LBB332_2182
.LBB332_2113:
	s_mov_b32 s16, -1
	s_mov_b32 s15, 0
	s_mov_b32 s13, 0
                                        ; implicit-def: $vgpr18
	s_branch .LBB332_2147
.LBB332_2114:
	s_mov_b32 s16, -1
	s_mov_b32 s15, 0
	s_mov_b32 s13, 0
                                        ; implicit-def: $vgpr18
	s_branch .LBB332_2130
.LBB332_2115:
	s_mov_b32 s16, -1
	s_mov_b32 s15, 0
	s_mov_b32 s13, 0
                                        ; implicit-def: $vgpr18
	s_branch .LBB332_2125
.LBB332_2116:
	s_or_b32 s10, s10, exec_lo
	s_trap 2
	s_cbranch_execz .LBB332_2053
	s_branch .LBB332_2054
.LBB332_2117:
	s_mov_b32 s16, -1
	s_mov_b32 s15, 0
	s_mov_b32 s13, 0
	s_branch .LBB332_2119
.LBB332_2118:
	s_mov_b32 s13, -1
	s_mov_b32 s15, 0
.LBB332_2119:
                                        ; implicit-def: $vgpr18
.LBB332_2120:
	s_and_b32 vcc_lo, exec_lo, s16
	s_cbranch_vccz .LBB332_2124
; %bb.2121:
	s_cmp_eq_u32 s11, 44
	s_cbranch_scc0 .LBB332_2123
; %bb.2122:
	global_load_u8 v1, v[24:25], off
	s_mov_b32 s13, 0
	s_mov_b32 s15, -1
	s_wait_loadcnt 0x0
	v_lshlrev_b32_e32 v3, 23, v1
	v_cmp_ne_u32_e32 vcc_lo, 0, v1
	s_delay_alu instid0(VALU_DEP_2) | instskip(NEXT) | instid1(VALU_DEP_1)
	v_cvt_u32_f32_e32 v3, v3
	v_cndmask_b32_e32 v18, 0, v3, vcc_lo
	s_branch .LBB332_2124
.LBB332_2123:
	s_mov_b32 s13, -1
                                        ; implicit-def: $vgpr18
.LBB332_2124:
	s_mov_b32 s16, 0
.LBB332_2125:
	s_delay_alu instid0(SALU_CYCLE_1)
	s_and_b32 vcc_lo, exec_lo, s16
	s_cbranch_vccz .LBB332_2129
; %bb.2126:
	s_cmp_eq_u32 s11, 29
	s_cbranch_scc0 .LBB332_2128
; %bb.2127:
	global_load_b64 v[18:19], v[24:25], off
	s_mov_b32 s13, 0
	s_mov_b32 s15, -1
	s_branch .LBB332_2129
.LBB332_2128:
	s_mov_b32 s13, -1
                                        ; implicit-def: $vgpr18
.LBB332_2129:
	s_mov_b32 s16, 0
.LBB332_2130:
	s_delay_alu instid0(SALU_CYCLE_1)
	s_and_b32 vcc_lo, exec_lo, s16
	s_cbranch_vccz .LBB332_2146
; %bb.2131:
	s_cmp_lt_i32 s11, 27
	s_cbranch_scc1 .LBB332_2134
; %bb.2132:
	s_cmp_gt_i32 s11, 27
	s_cbranch_scc0 .LBB332_2135
; %bb.2133:
	s_wait_loadcnt 0x0
	global_load_b32 v18, v[24:25], off
	s_mov_b32 s15, 0
	s_branch .LBB332_2136
.LBB332_2134:
	s_mov_b32 s15, -1
                                        ; implicit-def: $vgpr18
	s_branch .LBB332_2139
.LBB332_2135:
	s_mov_b32 s15, -1
                                        ; implicit-def: $vgpr18
.LBB332_2136:
	s_delay_alu instid0(SALU_CYCLE_1)
	s_and_not1_b32 vcc_lo, exec_lo, s15
	s_cbranch_vccnz .LBB332_2138
; %bb.2137:
	s_wait_loadcnt 0x0
	global_load_u16 v18, v[24:25], off
.LBB332_2138:
	s_mov_b32 s15, 0
.LBB332_2139:
	s_delay_alu instid0(SALU_CYCLE_1)
	s_and_not1_b32 vcc_lo, exec_lo, s15
	s_cbranch_vccnz .LBB332_2145
; %bb.2140:
	global_load_u8 v1, v[24:25], off
	s_mov_b32 s16, 0
	s_mov_b32 s15, exec_lo
	s_wait_loadcnt 0x0
	v_cmpx_lt_i16_e32 0x7f, v1
	s_xor_b32 s15, exec_lo, s15
	s_cbranch_execz .LBB332_2157
; %bb.2141:
	v_cmp_ne_u16_e32 vcc_lo, 0x80, v1
	s_and_b32 s16, vcc_lo, exec_lo
	s_and_not1_saveexec_b32 s15, s15
	s_cbranch_execnz .LBB332_2158
.LBB332_2142:
	s_or_b32 exec_lo, exec_lo, s15
	v_mov_b32_e32 v18, 0
	s_and_saveexec_b32 s15, s16
	s_cbranch_execz .LBB332_2144
.LBB332_2143:
	v_and_b32_e32 v3, 0xffff, v1
	s_delay_alu instid0(VALU_DEP_1) | instskip(SKIP_1) | instid1(VALU_DEP_2)
	v_dual_lshlrev_b32 v1, 24, v1 :: v_dual_bitop2_b32 v5, 7, v3 bitop3:0x40
	v_bfe_u32 v11, v3, 3, 4
	v_and_b32_e32 v1, 0x80000000, v1
	s_delay_alu instid0(VALU_DEP_3) | instskip(NEXT) | instid1(VALU_DEP_3)
	v_clz_i32_u32_e32 v7, v5
	v_cmp_eq_u32_e32 vcc_lo, 0, v11
	s_delay_alu instid0(VALU_DEP_2) | instskip(NEXT) | instid1(VALU_DEP_1)
	v_min_u32_e32 v7, 32, v7
	v_subrev_nc_u32_e32 v9, 28, v7
	v_sub_nc_u32_e32 v7, 29, v7
	s_delay_alu instid0(VALU_DEP_2) | instskip(NEXT) | instid1(VALU_DEP_2)
	v_lshlrev_b32_e32 v3, v9, v3
	v_cndmask_b32_e32 v7, v11, v7, vcc_lo
	s_delay_alu instid0(VALU_DEP_2) | instskip(NEXT) | instid1(VALU_DEP_1)
	v_and_b32_e32 v3, 7, v3
	v_cndmask_b32_e32 v3, v5, v3, vcc_lo
	s_delay_alu instid0(VALU_DEP_3) | instskip(NEXT) | instid1(VALU_DEP_2)
	v_lshl_add_u32 v5, v7, 23, 0x3b800000
	v_lshlrev_b32_e32 v3, 20, v3
	s_delay_alu instid0(VALU_DEP_1) | instskip(NEXT) | instid1(VALU_DEP_1)
	v_or3_b32 v1, v1, v5, v3
	v_cvt_u32_f32_e32 v18, v1
.LBB332_2144:
	s_or_b32 exec_lo, exec_lo, s15
.LBB332_2145:
	s_mov_b32 s15, -1
.LBB332_2146:
	s_mov_b32 s16, 0
.LBB332_2147:
	s_delay_alu instid0(SALU_CYCLE_1)
	s_and_b32 vcc_lo, exec_lo, s16
	s_cbranch_vccz .LBB332_2178
; %bb.2148:
	s_cmp_gt_i32 s11, 22
	s_cbranch_scc0 .LBB332_2156
; %bb.2149:
	s_cmp_lt_i32 s11, 24
	s_cbranch_scc1 .LBB332_2159
; %bb.2150:
	s_cmp_gt_i32 s11, 24
	s_cbranch_scc0 .LBB332_2160
; %bb.2151:
	global_load_u8 v1, v[24:25], off
	s_mov_b32 s15, 0
	s_mov_b32 s14, exec_lo
	s_wait_loadcnt 0x0
	v_cmpx_lt_i16_e32 0x7f, v1
	s_xor_b32 s14, exec_lo, s14
	s_cbranch_execz .LBB332_2172
; %bb.2152:
	v_cmp_ne_u16_e32 vcc_lo, 0x80, v1
	s_and_b32 s15, vcc_lo, exec_lo
	s_and_not1_saveexec_b32 s14, s14
	s_cbranch_execnz .LBB332_2173
.LBB332_2153:
	s_or_b32 exec_lo, exec_lo, s14
	v_mov_b32_e32 v18, 0
	s_and_saveexec_b32 s14, s15
	s_cbranch_execz .LBB332_2155
.LBB332_2154:
	v_and_b32_e32 v3, 0xffff, v1
	s_delay_alu instid0(VALU_DEP_1) | instskip(SKIP_1) | instid1(VALU_DEP_2)
	v_dual_lshlrev_b32 v1, 24, v1 :: v_dual_bitop2_b32 v5, 3, v3 bitop3:0x40
	v_bfe_u32 v11, v3, 2, 5
	v_and_b32_e32 v1, 0x80000000, v1
	s_delay_alu instid0(VALU_DEP_3) | instskip(NEXT) | instid1(VALU_DEP_3)
	v_clz_i32_u32_e32 v7, v5
	v_cmp_eq_u32_e32 vcc_lo, 0, v11
	s_delay_alu instid0(VALU_DEP_2) | instskip(NEXT) | instid1(VALU_DEP_1)
	v_min_u32_e32 v7, 32, v7
	v_subrev_nc_u32_e32 v9, 29, v7
	v_sub_nc_u32_e32 v7, 30, v7
	s_delay_alu instid0(VALU_DEP_2) | instskip(NEXT) | instid1(VALU_DEP_2)
	v_lshlrev_b32_e32 v3, v9, v3
	v_cndmask_b32_e32 v7, v11, v7, vcc_lo
	s_delay_alu instid0(VALU_DEP_2) | instskip(NEXT) | instid1(VALU_DEP_1)
	v_and_b32_e32 v3, 3, v3
	v_cndmask_b32_e32 v3, v5, v3, vcc_lo
	s_delay_alu instid0(VALU_DEP_3) | instskip(NEXT) | instid1(VALU_DEP_2)
	v_lshl_add_u32 v5, v7, 23, 0x37800000
	v_lshlrev_b32_e32 v3, 21, v3
	s_delay_alu instid0(VALU_DEP_1) | instskip(NEXT) | instid1(VALU_DEP_1)
	v_or3_b32 v1, v1, v5, v3
	v_cvt_u32_f32_e32 v18, v1
.LBB332_2155:
	s_or_b32 exec_lo, exec_lo, s14
	s_mov_b32 s14, 0
	s_branch .LBB332_2161
.LBB332_2156:
	s_mov_b32 s14, -1
                                        ; implicit-def: $vgpr18
	s_branch .LBB332_2167
.LBB332_2157:
	s_and_not1_saveexec_b32 s15, s15
	s_cbranch_execz .LBB332_2142
.LBB332_2158:
	v_cmp_ne_u16_e32 vcc_lo, 0, v1
	s_and_not1_b32 s16, s16, exec_lo
	s_and_b32 s17, vcc_lo, exec_lo
	s_delay_alu instid0(SALU_CYCLE_1)
	s_or_b32 s16, s16, s17
	s_or_b32 exec_lo, exec_lo, s15
	v_mov_b32_e32 v18, 0
	s_and_saveexec_b32 s15, s16
	s_cbranch_execnz .LBB332_2143
	s_branch .LBB332_2144
.LBB332_2159:
	s_mov_b32 s14, -1
                                        ; implicit-def: $vgpr18
	s_branch .LBB332_2164
.LBB332_2160:
	s_mov_b32 s14, -1
                                        ; implicit-def: $vgpr18
.LBB332_2161:
	s_delay_alu instid0(SALU_CYCLE_1)
	s_and_b32 vcc_lo, exec_lo, s14
	s_cbranch_vccz .LBB332_2163
; %bb.2162:
	global_load_u8 v1, v[24:25], off
	s_wait_loadcnt 0x0
	v_lshlrev_b32_e32 v1, 24, v1
	s_delay_alu instid0(VALU_DEP_1) | instskip(NEXT) | instid1(VALU_DEP_1)
	v_and_b32_e32 v3, 0x7f000000, v1
	v_clz_i32_u32_e32 v5, v3
	v_add_nc_u32_e32 v9, 0x1000000, v3
	v_cmp_ne_u32_e32 vcc_lo, 0, v3
	s_delay_alu instid0(VALU_DEP_3) | instskip(NEXT) | instid1(VALU_DEP_1)
	v_min_u32_e32 v5, 32, v5
	v_sub_nc_u32_e64 v5, v5, 4 clamp
	s_delay_alu instid0(VALU_DEP_1) | instskip(NEXT) | instid1(VALU_DEP_1)
	v_dual_lshlrev_b32 v7, v5, v3 :: v_dual_lshlrev_b32 v5, 23, v5
	v_lshrrev_b32_e32 v7, 4, v7
	s_delay_alu instid0(VALU_DEP_1) | instskip(SKIP_1) | instid1(VALU_DEP_2)
	v_sub_nc_u32_e32 v5, v7, v5
	v_ashrrev_i32_e32 v7, 8, v9
	v_add_nc_u32_e32 v5, 0x3c000000, v5
	s_delay_alu instid0(VALU_DEP_1) | instskip(NEXT) | instid1(VALU_DEP_1)
	v_and_or_b32 v5, 0x7f800000, v7, v5
	v_cndmask_b32_e32 v3, 0, v5, vcc_lo
	s_delay_alu instid0(VALU_DEP_1) | instskip(NEXT) | instid1(VALU_DEP_1)
	v_and_or_b32 v1, 0x80000000, v1, v3
	v_cvt_u32_f32_e32 v18, v1
.LBB332_2163:
	s_mov_b32 s14, 0
.LBB332_2164:
	s_delay_alu instid0(SALU_CYCLE_1)
	s_and_not1_b32 vcc_lo, exec_lo, s14
	s_cbranch_vccnz .LBB332_2166
; %bb.2165:
	global_load_u8 v1, v[24:25], off
	s_wait_loadcnt 0x0
	v_lshlrev_b32_e32 v3, 25, v1
	v_lshlrev_b16 v1, 8, v1
	s_delay_alu instid0(VALU_DEP_1) | instskip(SKIP_1) | instid1(VALU_DEP_2)
	v_and_or_b32 v7, 0x7f00, v1, 0.5
	v_bfe_i32 v1, v1, 0, 16
	v_add_f32_e32 v7, -0.5, v7
	v_lshrrev_b32_e32 v5, 4, v3
	v_cmp_gt_u32_e32 vcc_lo, 0x8000000, v3
	s_delay_alu instid0(VALU_DEP_2) | instskip(NEXT) | instid1(VALU_DEP_1)
	v_or_b32_e32 v5, 0x70000000, v5
	v_mul_f32_e32 v5, 0x7800000, v5
	s_delay_alu instid0(VALU_DEP_1) | instskip(NEXT) | instid1(VALU_DEP_1)
	v_cndmask_b32_e32 v3, v5, v7, vcc_lo
	v_and_or_b32 v1, 0x80000000, v1, v3
	s_delay_alu instid0(VALU_DEP_1)
	v_cvt_u32_f32_e32 v18, v1
.LBB332_2166:
	s_mov_b32 s14, 0
	s_mov_b32 s15, -1
.LBB332_2167:
	s_and_not1_b32 vcc_lo, exec_lo, s14
	s_mov_b32 s14, 0
	s_cbranch_vccnz .LBB332_2178
; %bb.2168:
	s_cmp_gt_i32 s11, 14
	s_cbranch_scc0 .LBB332_2171
; %bb.2169:
	s_cmp_eq_u32 s11, 15
	s_cbranch_scc0 .LBB332_2174
; %bb.2170:
	global_load_u16 v1, v[24:25], off
	s_mov_b32 s13, 0
	s_mov_b32 s15, -1
	s_wait_loadcnt 0x0
	v_lshlrev_b32_e32 v1, 16, v1
	s_delay_alu instid0(VALU_DEP_1)
	v_cvt_u32_f32_e32 v18, v1
	s_branch .LBB332_2176
.LBB332_2171:
	s_mov_b32 s14, -1
	s_branch .LBB332_2175
.LBB332_2172:
	s_and_not1_saveexec_b32 s14, s14
	s_cbranch_execz .LBB332_2153
.LBB332_2173:
	v_cmp_ne_u16_e32 vcc_lo, 0, v1
	s_and_not1_b32 s15, s15, exec_lo
	s_and_b32 s16, vcc_lo, exec_lo
	s_delay_alu instid0(SALU_CYCLE_1)
	s_or_b32 s15, s15, s16
	s_or_b32 exec_lo, exec_lo, s14
	v_mov_b32_e32 v18, 0
	s_and_saveexec_b32 s14, s15
	s_cbranch_execnz .LBB332_2154
	s_branch .LBB332_2155
.LBB332_2174:
	s_mov_b32 s13, -1
.LBB332_2175:
                                        ; implicit-def: $vgpr18
.LBB332_2176:
	s_and_b32 vcc_lo, exec_lo, s14
	s_mov_b32 s14, 0
	s_cbranch_vccz .LBB332_2178
; %bb.2177:
	s_cmp_lg_u32 s11, 11
	s_mov_b32 s14, -1
	s_cselect_b32 s13, -1, 0
.LBB332_2178:
	s_delay_alu instid0(SALU_CYCLE_1)
	s_and_b32 vcc_lo, exec_lo, s13
	s_cbranch_vccnz .LBB332_2243
; %bb.2179:
	s_and_not1_b32 vcc_lo, exec_lo, s14
	s_cbranch_vccnz .LBB332_2181
.LBB332_2180:
	global_load_u8 v1, v[24:25], off
	s_mov_b32 s15, -1
	s_wait_loadcnt 0x0
	v_cmp_ne_u16_e32 vcc_lo, 0, v1
	v_cndmask_b32_e64 v18, 0, 1, vcc_lo
.LBB332_2181:
	s_mov_b32 s13, 0
.LBB332_2182:
	s_delay_alu instid0(SALU_CYCLE_1)
	s_and_b32 vcc_lo, exec_lo, s13
	s_cbranch_vccz .LBB332_2231
; %bb.2183:
	s_cmp_lt_i32 s11, 5
	s_cbranch_scc1 .LBB332_2188
; %bb.2184:
	s_cmp_lt_i32 s11, 8
	s_cbranch_scc1 .LBB332_2189
	;; [unrolled: 3-line block ×3, first 2 shown]
; %bb.2186:
	s_cmp_gt_i32 s11, 9
	s_cbranch_scc0 .LBB332_2191
; %bb.2187:
	s_wait_loadcnt 0x0
	global_load_b64 v[18:19], v[24:25], off
	s_mov_b32 s13, 0
	s_wait_loadcnt 0x0
	v_cvt_u32_f64_e32 v18, v[18:19]
	s_branch .LBB332_2192
.LBB332_2188:
	s_mov_b32 s13, -1
                                        ; implicit-def: $vgpr18
	s_branch .LBB332_2210
.LBB332_2189:
	s_mov_b32 s13, -1
                                        ; implicit-def: $vgpr18
	s_branch .LBB332_2198
.LBB332_2190:
	s_mov_b32 s13, -1
                                        ; implicit-def: $vgpr18
	s_branch .LBB332_2195
.LBB332_2191:
	s_mov_b32 s13, -1
                                        ; implicit-def: $vgpr18
.LBB332_2192:
	s_delay_alu instid0(SALU_CYCLE_1)
	s_and_not1_b32 vcc_lo, exec_lo, s13
	s_cbranch_vccnz .LBB332_2194
; %bb.2193:
	global_load_b32 v1, v[24:25], off
	s_wait_loadcnt 0x0
	v_cvt_u32_f32_e32 v18, v1
.LBB332_2194:
	s_mov_b32 s13, 0
.LBB332_2195:
	s_delay_alu instid0(SALU_CYCLE_1)
	s_and_not1_b32 vcc_lo, exec_lo, s13
	s_cbranch_vccnz .LBB332_2197
; %bb.2196:
	global_load_b32 v1, v[24:25], off
	s_wait_loadcnt 0x0
	v_cvt_u16_f16_e32 v18, v1
.LBB332_2197:
	s_mov_b32 s13, 0
.LBB332_2198:
	s_delay_alu instid0(SALU_CYCLE_1)
	s_and_not1_b32 vcc_lo, exec_lo, s13
	s_cbranch_vccnz .LBB332_2209
; %bb.2199:
	s_cmp_lt_i32 s11, 6
	s_cbranch_scc1 .LBB332_2202
; %bb.2200:
	s_cmp_gt_i32 s11, 6
	s_cbranch_scc0 .LBB332_2203
; %bb.2201:
	s_wait_loadcnt 0x0
	global_load_b64 v[18:19], v[24:25], off
	s_mov_b32 s13, 0
	s_wait_loadcnt 0x0
	v_cvt_u32_f64_e32 v18, v[18:19]
	s_branch .LBB332_2204
.LBB332_2202:
	s_mov_b32 s13, -1
                                        ; implicit-def: $vgpr18
	s_branch .LBB332_2207
.LBB332_2203:
	s_mov_b32 s13, -1
                                        ; implicit-def: $vgpr18
.LBB332_2204:
	s_delay_alu instid0(SALU_CYCLE_1)
	s_and_not1_b32 vcc_lo, exec_lo, s13
	s_cbranch_vccnz .LBB332_2206
; %bb.2205:
	global_load_b32 v1, v[24:25], off
	s_wait_loadcnt 0x0
	v_cvt_u32_f32_e32 v18, v1
.LBB332_2206:
	s_mov_b32 s13, 0
.LBB332_2207:
	s_delay_alu instid0(SALU_CYCLE_1)
	s_and_not1_b32 vcc_lo, exec_lo, s13
	s_cbranch_vccnz .LBB332_2209
; %bb.2208:
	global_load_u16 v1, v[24:25], off
	s_wait_loadcnt 0x0
	v_cvt_u16_f16_e32 v18, v1
.LBB332_2209:
	s_mov_b32 s13, 0
.LBB332_2210:
	s_delay_alu instid0(SALU_CYCLE_1)
	s_and_not1_b32 vcc_lo, exec_lo, s13
	s_cbranch_vccnz .LBB332_2230
; %bb.2211:
	s_cmp_lt_i32 s11, 2
	s_cbranch_scc1 .LBB332_2215
; %bb.2212:
	s_cmp_lt_i32 s11, 3
	s_cbranch_scc1 .LBB332_2216
; %bb.2213:
	s_cmp_gt_i32 s11, 3
	s_cbranch_scc0 .LBB332_2217
; %bb.2214:
	s_wait_loadcnt 0x0
	global_load_b64 v[18:19], v[24:25], off
	s_mov_b32 s13, 0
	s_branch .LBB332_2218
.LBB332_2215:
	s_mov_b32 s13, -1
                                        ; implicit-def: $vgpr18
	s_branch .LBB332_2224
.LBB332_2216:
	s_mov_b32 s13, -1
                                        ; implicit-def: $vgpr18
	s_branch .LBB332_2221
.LBB332_2217:
	s_mov_b32 s13, -1
                                        ; implicit-def: $vgpr18
.LBB332_2218:
	s_delay_alu instid0(SALU_CYCLE_1)
	s_and_not1_b32 vcc_lo, exec_lo, s13
	s_cbranch_vccnz .LBB332_2220
; %bb.2219:
	s_wait_loadcnt 0x0
	global_load_b32 v18, v[24:25], off
.LBB332_2220:
	s_mov_b32 s13, 0
.LBB332_2221:
	s_delay_alu instid0(SALU_CYCLE_1)
	s_and_not1_b32 vcc_lo, exec_lo, s13
	s_cbranch_vccnz .LBB332_2223
; %bb.2222:
	s_wait_loadcnt 0x0
	global_load_u16 v18, v[24:25], off
.LBB332_2223:
	s_mov_b32 s13, 0
.LBB332_2224:
	s_delay_alu instid0(SALU_CYCLE_1)
	s_and_not1_b32 vcc_lo, exec_lo, s13
	s_cbranch_vccnz .LBB332_2230
; %bb.2225:
	s_cmp_gt_i32 s11, 0
	s_mov_b32 s13, 0
	s_cbranch_scc0 .LBB332_2227
; %bb.2226:
	s_wait_loadcnt 0x0
	global_load_i8 v18, v[24:25], off
	s_branch .LBB332_2228
.LBB332_2227:
	s_mov_b32 s13, -1
                                        ; implicit-def: $vgpr18
.LBB332_2228:
	s_delay_alu instid0(SALU_CYCLE_1)
	s_and_not1_b32 vcc_lo, exec_lo, s13
	s_cbranch_vccnz .LBB332_2230
; %bb.2229:
	s_wait_loadcnt 0x0
	global_load_u8 v18, v[24:25], off
.LBB332_2230:
	s_mov_b32 s15, -1
.LBB332_2231:
	s_delay_alu instid0(SALU_CYCLE_1)
	s_and_not1_b32 vcc_lo, exec_lo, s15
	s_cbranch_vccnz .LBB332_3047
; %bb.2232:
	v_mov_b32_e32 v23, 0
	s_cmp_lt_i32 s12, 11
	s_wait_xcnt 0x0
	s_delay_alu instid0(VALU_DEP_1)
	v_add_nc_u64_e32 v[24:25], s[0:1], v[22:23]
	s_cbranch_scc1 .LBB332_2239
; %bb.2233:
	s_cmp_gt_i32 s12, 25
	s_mov_b32 s14, 0
	s_cbranch_scc0 .LBB332_2240
; %bb.2234:
	s_cmp_gt_i32 s12, 28
	s_cbranch_scc0 .LBB332_2241
; %bb.2235:
	s_cmp_gt_i32 s12, 43
	;; [unrolled: 3-line block ×3, first 2 shown]
	s_cbranch_scc0 .LBB332_2244
; %bb.2237:
	s_cmp_eq_u32 s12, 46
	s_mov_b32 s16, 0
	s_cbranch_scc0 .LBB332_2247
; %bb.2238:
	global_load_b32 v1, v[24:25], off
	s_mov_b32 s13, 0
	s_mov_b32 s15, -1
	s_wait_loadcnt 0x0
	v_lshlrev_b32_e32 v1, 16, v1
	s_delay_alu instid0(VALU_DEP_1)
	v_cvt_u32_f32_e32 v22, v1
	s_branch .LBB332_2249
.LBB332_2239:
	s_mov_b32 s13, -1
	s_mov_b32 s15, 0
                                        ; implicit-def: $vgpr22
	s_branch .LBB332_2311
.LBB332_2240:
	s_mov_b32 s16, -1
	s_mov_b32 s15, 0
	s_mov_b32 s13, 0
                                        ; implicit-def: $vgpr22
	s_branch .LBB332_2276
.LBB332_2241:
	s_mov_b32 s16, -1
	s_mov_b32 s15, 0
	s_mov_b32 s13, 0
                                        ; implicit-def: $vgpr22
	s_branch .LBB332_2259
.LBB332_2242:
	s_mov_b32 s16, -1
	s_mov_b32 s15, 0
	s_mov_b32 s13, 0
                                        ; implicit-def: $vgpr22
	s_branch .LBB332_2254
.LBB332_2243:
	s_or_b32 s10, s10, exec_lo
	s_trap 2
	s_cbranch_execz .LBB332_2180
	s_branch .LBB332_2181
.LBB332_2244:
	s_mov_b32 s16, -1
	s_mov_b32 s15, 0
	s_mov_b32 s13, 0
	s_branch .LBB332_2248
.LBB332_2245:
	s_and_not1_saveexec_b32 s53, s53
	s_cbranch_execz .LBB332_1097
.LBB332_2246:
	v_add_f32_e32 v1, 0x42800000, v4
	s_and_not1_b32 s52, s52, exec_lo
	s_delay_alu instid0(VALU_DEP_1) | instskip(NEXT) | instid1(VALU_DEP_1)
	v_and_b32_e32 v1, 0xff, v1
	v_cmp_ne_u32_e32 vcc_lo, 0, v1
	s_and_b32 s54, vcc_lo, exec_lo
	s_delay_alu instid0(SALU_CYCLE_1)
	s_or_b32 s52, s52, s54
	s_or_b32 exec_lo, exec_lo, s53
	v_mov_b32_e32 v5, 0
	s_and_saveexec_b32 s53, s52
	s_cbranch_execnz .LBB332_1098
	s_branch .LBB332_1099
.LBB332_2247:
	s_mov_b32 s13, -1
	s_mov_b32 s15, 0
.LBB332_2248:
                                        ; implicit-def: $vgpr22
.LBB332_2249:
	s_and_b32 vcc_lo, exec_lo, s16
	s_cbranch_vccz .LBB332_2253
; %bb.2250:
	s_cmp_eq_u32 s12, 44
	s_cbranch_scc0 .LBB332_2252
; %bb.2251:
	global_load_u8 v1, v[24:25], off
	s_mov_b32 s13, 0
	s_mov_b32 s15, -1
	s_wait_loadcnt 0x0
	v_lshlrev_b32_e32 v3, 23, v1
	v_cmp_ne_u32_e32 vcc_lo, 0, v1
	s_delay_alu instid0(VALU_DEP_2) | instskip(NEXT) | instid1(VALU_DEP_1)
	v_cvt_u32_f32_e32 v3, v3
	v_cndmask_b32_e32 v22, 0, v3, vcc_lo
	s_branch .LBB332_2253
.LBB332_2252:
	s_mov_b32 s13, -1
                                        ; implicit-def: $vgpr22
.LBB332_2253:
	s_mov_b32 s16, 0
.LBB332_2254:
	s_delay_alu instid0(SALU_CYCLE_1)
	s_and_b32 vcc_lo, exec_lo, s16
	s_cbranch_vccz .LBB332_2258
; %bb.2255:
	s_cmp_eq_u32 s12, 29
	s_cbranch_scc0 .LBB332_2257
; %bb.2256:
	global_load_b64 v[22:23], v[24:25], off
	s_mov_b32 s13, 0
	s_mov_b32 s15, -1
	s_branch .LBB332_2258
.LBB332_2257:
	s_mov_b32 s13, -1
                                        ; implicit-def: $vgpr22
.LBB332_2258:
	s_mov_b32 s16, 0
.LBB332_2259:
	s_delay_alu instid0(SALU_CYCLE_1)
	s_and_b32 vcc_lo, exec_lo, s16
	s_cbranch_vccz .LBB332_2275
; %bb.2260:
	s_cmp_lt_i32 s12, 27
	s_cbranch_scc1 .LBB332_2263
; %bb.2261:
	s_cmp_gt_i32 s12, 27
	s_cbranch_scc0 .LBB332_2264
; %bb.2262:
	s_wait_loadcnt 0x0
	global_load_b32 v22, v[24:25], off
	s_mov_b32 s15, 0
	s_branch .LBB332_2265
.LBB332_2263:
	s_mov_b32 s15, -1
                                        ; implicit-def: $vgpr22
	s_branch .LBB332_2268
.LBB332_2264:
	s_mov_b32 s15, -1
                                        ; implicit-def: $vgpr22
.LBB332_2265:
	s_delay_alu instid0(SALU_CYCLE_1)
	s_and_not1_b32 vcc_lo, exec_lo, s15
	s_cbranch_vccnz .LBB332_2267
; %bb.2266:
	s_wait_loadcnt 0x0
	global_load_u16 v22, v[24:25], off
.LBB332_2267:
	s_mov_b32 s15, 0
.LBB332_2268:
	s_delay_alu instid0(SALU_CYCLE_1)
	s_and_not1_b32 vcc_lo, exec_lo, s15
	s_cbranch_vccnz .LBB332_2274
; %bb.2269:
	global_load_u8 v1, v[24:25], off
	s_mov_b32 s16, 0
	s_mov_b32 s15, exec_lo
	s_wait_loadcnt 0x0
	v_cmpx_lt_i16_e32 0x7f, v1
	s_xor_b32 s15, exec_lo, s15
	s_cbranch_execz .LBB332_2286
; %bb.2270:
	v_cmp_ne_u16_e32 vcc_lo, 0x80, v1
	s_and_b32 s16, vcc_lo, exec_lo
	s_and_not1_saveexec_b32 s15, s15
	s_cbranch_execnz .LBB332_2287
.LBB332_2271:
	s_or_b32 exec_lo, exec_lo, s15
	v_mov_b32_e32 v22, 0
	s_and_saveexec_b32 s15, s16
	s_cbranch_execz .LBB332_2273
.LBB332_2272:
	v_and_b32_e32 v3, 0xffff, v1
	s_delay_alu instid0(VALU_DEP_1) | instskip(SKIP_1) | instid1(VALU_DEP_2)
	v_dual_lshlrev_b32 v1, 24, v1 :: v_dual_bitop2_b32 v5, 7, v3 bitop3:0x40
	v_bfe_u32 v11, v3, 3, 4
	v_and_b32_e32 v1, 0x80000000, v1
	s_delay_alu instid0(VALU_DEP_3) | instskip(NEXT) | instid1(VALU_DEP_3)
	v_clz_i32_u32_e32 v7, v5
	v_cmp_eq_u32_e32 vcc_lo, 0, v11
	s_delay_alu instid0(VALU_DEP_2) | instskip(NEXT) | instid1(VALU_DEP_1)
	v_min_u32_e32 v7, 32, v7
	v_subrev_nc_u32_e32 v9, 28, v7
	v_sub_nc_u32_e32 v7, 29, v7
	s_delay_alu instid0(VALU_DEP_2) | instskip(NEXT) | instid1(VALU_DEP_2)
	v_lshlrev_b32_e32 v3, v9, v3
	v_cndmask_b32_e32 v7, v11, v7, vcc_lo
	s_delay_alu instid0(VALU_DEP_2) | instskip(NEXT) | instid1(VALU_DEP_1)
	v_and_b32_e32 v3, 7, v3
	v_cndmask_b32_e32 v3, v5, v3, vcc_lo
	s_delay_alu instid0(VALU_DEP_3) | instskip(NEXT) | instid1(VALU_DEP_2)
	v_lshl_add_u32 v5, v7, 23, 0x3b800000
	v_lshlrev_b32_e32 v3, 20, v3
	s_delay_alu instid0(VALU_DEP_1) | instskip(NEXT) | instid1(VALU_DEP_1)
	v_or3_b32 v1, v1, v5, v3
	v_cvt_u32_f32_e32 v22, v1
.LBB332_2273:
	s_or_b32 exec_lo, exec_lo, s15
.LBB332_2274:
	s_mov_b32 s15, -1
.LBB332_2275:
	s_mov_b32 s16, 0
.LBB332_2276:
	s_delay_alu instid0(SALU_CYCLE_1)
	s_and_b32 vcc_lo, exec_lo, s16
	s_cbranch_vccz .LBB332_2307
; %bb.2277:
	s_cmp_gt_i32 s12, 22
	s_cbranch_scc0 .LBB332_2285
; %bb.2278:
	s_cmp_lt_i32 s12, 24
	s_cbranch_scc1 .LBB332_2288
; %bb.2279:
	s_cmp_gt_i32 s12, 24
	s_cbranch_scc0 .LBB332_2289
; %bb.2280:
	global_load_u8 v1, v[24:25], off
	s_mov_b32 s15, 0
	s_mov_b32 s14, exec_lo
	s_wait_loadcnt 0x0
	v_cmpx_lt_i16_e32 0x7f, v1
	s_xor_b32 s14, exec_lo, s14
	s_cbranch_execz .LBB332_2301
; %bb.2281:
	v_cmp_ne_u16_e32 vcc_lo, 0x80, v1
	s_and_b32 s15, vcc_lo, exec_lo
	s_and_not1_saveexec_b32 s14, s14
	s_cbranch_execnz .LBB332_2302
.LBB332_2282:
	s_or_b32 exec_lo, exec_lo, s14
	v_mov_b32_e32 v22, 0
	s_and_saveexec_b32 s14, s15
	s_cbranch_execz .LBB332_2284
.LBB332_2283:
	v_and_b32_e32 v3, 0xffff, v1
	s_delay_alu instid0(VALU_DEP_1) | instskip(SKIP_1) | instid1(VALU_DEP_2)
	v_dual_lshlrev_b32 v1, 24, v1 :: v_dual_bitop2_b32 v5, 3, v3 bitop3:0x40
	v_bfe_u32 v11, v3, 2, 5
	v_and_b32_e32 v1, 0x80000000, v1
	s_delay_alu instid0(VALU_DEP_3) | instskip(NEXT) | instid1(VALU_DEP_3)
	v_clz_i32_u32_e32 v7, v5
	v_cmp_eq_u32_e32 vcc_lo, 0, v11
	s_delay_alu instid0(VALU_DEP_2) | instskip(NEXT) | instid1(VALU_DEP_1)
	v_min_u32_e32 v7, 32, v7
	v_subrev_nc_u32_e32 v9, 29, v7
	v_sub_nc_u32_e32 v7, 30, v7
	s_delay_alu instid0(VALU_DEP_2) | instskip(NEXT) | instid1(VALU_DEP_2)
	v_lshlrev_b32_e32 v3, v9, v3
	v_cndmask_b32_e32 v7, v11, v7, vcc_lo
	s_delay_alu instid0(VALU_DEP_2) | instskip(NEXT) | instid1(VALU_DEP_1)
	v_and_b32_e32 v3, 3, v3
	v_cndmask_b32_e32 v3, v5, v3, vcc_lo
	s_delay_alu instid0(VALU_DEP_3) | instskip(NEXT) | instid1(VALU_DEP_2)
	v_lshl_add_u32 v5, v7, 23, 0x37800000
	v_lshlrev_b32_e32 v3, 21, v3
	s_delay_alu instid0(VALU_DEP_1) | instskip(NEXT) | instid1(VALU_DEP_1)
	v_or3_b32 v1, v1, v5, v3
	v_cvt_u32_f32_e32 v22, v1
.LBB332_2284:
	s_or_b32 exec_lo, exec_lo, s14
	s_mov_b32 s14, 0
	s_branch .LBB332_2290
.LBB332_2285:
	s_mov_b32 s14, -1
                                        ; implicit-def: $vgpr22
	s_branch .LBB332_2296
.LBB332_2286:
	s_and_not1_saveexec_b32 s15, s15
	s_cbranch_execz .LBB332_2271
.LBB332_2287:
	v_cmp_ne_u16_e32 vcc_lo, 0, v1
	s_and_not1_b32 s16, s16, exec_lo
	s_and_b32 s17, vcc_lo, exec_lo
	s_delay_alu instid0(SALU_CYCLE_1)
	s_or_b32 s16, s16, s17
	s_or_b32 exec_lo, exec_lo, s15
	v_mov_b32_e32 v22, 0
	s_and_saveexec_b32 s15, s16
	s_cbranch_execnz .LBB332_2272
	s_branch .LBB332_2273
.LBB332_2288:
	s_mov_b32 s14, -1
                                        ; implicit-def: $vgpr22
	s_branch .LBB332_2293
.LBB332_2289:
	s_mov_b32 s14, -1
                                        ; implicit-def: $vgpr22
.LBB332_2290:
	s_delay_alu instid0(SALU_CYCLE_1)
	s_and_b32 vcc_lo, exec_lo, s14
	s_cbranch_vccz .LBB332_2292
; %bb.2291:
	global_load_u8 v1, v[24:25], off
	s_wait_loadcnt 0x0
	v_lshlrev_b32_e32 v1, 24, v1
	s_delay_alu instid0(VALU_DEP_1) | instskip(NEXT) | instid1(VALU_DEP_1)
	v_and_b32_e32 v3, 0x7f000000, v1
	v_clz_i32_u32_e32 v5, v3
	v_add_nc_u32_e32 v9, 0x1000000, v3
	v_cmp_ne_u32_e32 vcc_lo, 0, v3
	s_delay_alu instid0(VALU_DEP_3) | instskip(NEXT) | instid1(VALU_DEP_1)
	v_min_u32_e32 v5, 32, v5
	v_sub_nc_u32_e64 v5, v5, 4 clamp
	s_delay_alu instid0(VALU_DEP_1) | instskip(NEXT) | instid1(VALU_DEP_1)
	v_dual_lshlrev_b32 v7, v5, v3 :: v_dual_lshlrev_b32 v5, 23, v5
	v_lshrrev_b32_e32 v7, 4, v7
	s_delay_alu instid0(VALU_DEP_1) | instskip(SKIP_1) | instid1(VALU_DEP_2)
	v_sub_nc_u32_e32 v5, v7, v5
	v_ashrrev_i32_e32 v7, 8, v9
	v_add_nc_u32_e32 v5, 0x3c000000, v5
	s_delay_alu instid0(VALU_DEP_1) | instskip(NEXT) | instid1(VALU_DEP_1)
	v_and_or_b32 v5, 0x7f800000, v7, v5
	v_cndmask_b32_e32 v3, 0, v5, vcc_lo
	s_delay_alu instid0(VALU_DEP_1) | instskip(NEXT) | instid1(VALU_DEP_1)
	v_and_or_b32 v1, 0x80000000, v1, v3
	v_cvt_u32_f32_e32 v22, v1
.LBB332_2292:
	s_mov_b32 s14, 0
.LBB332_2293:
	s_delay_alu instid0(SALU_CYCLE_1)
	s_and_not1_b32 vcc_lo, exec_lo, s14
	s_cbranch_vccnz .LBB332_2295
; %bb.2294:
	global_load_u8 v1, v[24:25], off
	s_wait_loadcnt 0x0
	v_lshlrev_b32_e32 v3, 25, v1
	v_lshlrev_b16 v1, 8, v1
	s_delay_alu instid0(VALU_DEP_1) | instskip(SKIP_1) | instid1(VALU_DEP_2)
	v_and_or_b32 v7, 0x7f00, v1, 0.5
	v_bfe_i32 v1, v1, 0, 16
	v_add_f32_e32 v7, -0.5, v7
	v_lshrrev_b32_e32 v5, 4, v3
	v_cmp_gt_u32_e32 vcc_lo, 0x8000000, v3
	s_delay_alu instid0(VALU_DEP_2) | instskip(NEXT) | instid1(VALU_DEP_1)
	v_or_b32_e32 v5, 0x70000000, v5
	v_mul_f32_e32 v5, 0x7800000, v5
	s_delay_alu instid0(VALU_DEP_1) | instskip(NEXT) | instid1(VALU_DEP_1)
	v_cndmask_b32_e32 v3, v5, v7, vcc_lo
	v_and_or_b32 v1, 0x80000000, v1, v3
	s_delay_alu instid0(VALU_DEP_1)
	v_cvt_u32_f32_e32 v22, v1
.LBB332_2295:
	s_mov_b32 s14, 0
	s_mov_b32 s15, -1
.LBB332_2296:
	s_and_not1_b32 vcc_lo, exec_lo, s14
	s_mov_b32 s14, 0
	s_cbranch_vccnz .LBB332_2307
; %bb.2297:
	s_cmp_gt_i32 s12, 14
	s_cbranch_scc0 .LBB332_2300
; %bb.2298:
	s_cmp_eq_u32 s12, 15
	s_cbranch_scc0 .LBB332_2303
; %bb.2299:
	global_load_u16 v1, v[24:25], off
	s_mov_b32 s13, 0
	s_mov_b32 s15, -1
	s_wait_loadcnt 0x0
	v_lshlrev_b32_e32 v1, 16, v1
	s_delay_alu instid0(VALU_DEP_1)
	v_cvt_u32_f32_e32 v22, v1
	s_branch .LBB332_2305
.LBB332_2300:
	s_mov_b32 s14, -1
	s_branch .LBB332_2304
.LBB332_2301:
	s_and_not1_saveexec_b32 s14, s14
	s_cbranch_execz .LBB332_2282
.LBB332_2302:
	v_cmp_ne_u16_e32 vcc_lo, 0, v1
	s_and_not1_b32 s15, s15, exec_lo
	s_and_b32 s16, vcc_lo, exec_lo
	s_delay_alu instid0(SALU_CYCLE_1)
	s_or_b32 s15, s15, s16
	s_or_b32 exec_lo, exec_lo, s14
	v_mov_b32_e32 v22, 0
	s_and_saveexec_b32 s14, s15
	s_cbranch_execnz .LBB332_2283
	s_branch .LBB332_2284
.LBB332_2303:
	s_mov_b32 s13, -1
.LBB332_2304:
                                        ; implicit-def: $vgpr22
.LBB332_2305:
	s_and_b32 vcc_lo, exec_lo, s14
	s_mov_b32 s14, 0
	s_cbranch_vccz .LBB332_2307
; %bb.2306:
	s_cmp_lg_u32 s12, 11
	s_mov_b32 s14, -1
	s_cselect_b32 s13, -1, 0
.LBB332_2307:
	s_delay_alu instid0(SALU_CYCLE_1)
	s_and_b32 vcc_lo, exec_lo, s13
	s_cbranch_vccnz .LBB332_2372
; %bb.2308:
	s_and_not1_b32 vcc_lo, exec_lo, s14
	s_cbranch_vccnz .LBB332_2310
.LBB332_2309:
	global_load_u8 v1, v[24:25], off
	s_mov_b32 s15, -1
	s_wait_loadcnt 0x0
	v_cmp_ne_u16_e32 vcc_lo, 0, v1
	v_cndmask_b32_e64 v22, 0, 1, vcc_lo
.LBB332_2310:
	s_mov_b32 s13, 0
.LBB332_2311:
	s_delay_alu instid0(SALU_CYCLE_1)
	s_and_b32 vcc_lo, exec_lo, s13
	s_cbranch_vccz .LBB332_2360
; %bb.2312:
	s_cmp_lt_i32 s12, 5
	s_cbranch_scc1 .LBB332_2317
; %bb.2313:
	s_cmp_lt_i32 s12, 8
	s_cbranch_scc1 .LBB332_2318
	;; [unrolled: 3-line block ×3, first 2 shown]
; %bb.2315:
	s_cmp_gt_i32 s12, 9
	s_cbranch_scc0 .LBB332_2320
; %bb.2316:
	s_wait_loadcnt 0x0
	global_load_b64 v[22:23], v[24:25], off
	s_mov_b32 s13, 0
	s_wait_loadcnt 0x0
	v_cvt_u32_f64_e32 v22, v[22:23]
	s_branch .LBB332_2321
.LBB332_2317:
	s_mov_b32 s13, -1
                                        ; implicit-def: $vgpr22
	s_branch .LBB332_2339
.LBB332_2318:
	s_mov_b32 s13, -1
                                        ; implicit-def: $vgpr22
	s_branch .LBB332_2327
.LBB332_2319:
	s_mov_b32 s13, -1
                                        ; implicit-def: $vgpr22
	s_branch .LBB332_2324
.LBB332_2320:
	s_mov_b32 s13, -1
                                        ; implicit-def: $vgpr22
.LBB332_2321:
	s_delay_alu instid0(SALU_CYCLE_1)
	s_and_not1_b32 vcc_lo, exec_lo, s13
	s_cbranch_vccnz .LBB332_2323
; %bb.2322:
	global_load_b32 v1, v[24:25], off
	s_wait_loadcnt 0x0
	v_cvt_u32_f32_e32 v22, v1
.LBB332_2323:
	s_mov_b32 s13, 0
.LBB332_2324:
	s_delay_alu instid0(SALU_CYCLE_1)
	s_and_not1_b32 vcc_lo, exec_lo, s13
	s_cbranch_vccnz .LBB332_2326
; %bb.2325:
	global_load_b32 v1, v[24:25], off
	s_wait_loadcnt 0x0
	v_cvt_u16_f16_e32 v22, v1
.LBB332_2326:
	s_mov_b32 s13, 0
.LBB332_2327:
	s_delay_alu instid0(SALU_CYCLE_1)
	s_and_not1_b32 vcc_lo, exec_lo, s13
	s_cbranch_vccnz .LBB332_2338
; %bb.2328:
	s_cmp_lt_i32 s12, 6
	s_cbranch_scc1 .LBB332_2331
; %bb.2329:
	s_cmp_gt_i32 s12, 6
	s_cbranch_scc0 .LBB332_2332
; %bb.2330:
	s_wait_loadcnt 0x0
	global_load_b64 v[22:23], v[24:25], off
	s_mov_b32 s13, 0
	s_wait_loadcnt 0x0
	v_cvt_u32_f64_e32 v22, v[22:23]
	s_branch .LBB332_2333
.LBB332_2331:
	s_mov_b32 s13, -1
                                        ; implicit-def: $vgpr22
	s_branch .LBB332_2336
.LBB332_2332:
	s_mov_b32 s13, -1
                                        ; implicit-def: $vgpr22
.LBB332_2333:
	s_delay_alu instid0(SALU_CYCLE_1)
	s_and_not1_b32 vcc_lo, exec_lo, s13
	s_cbranch_vccnz .LBB332_2335
; %bb.2334:
	global_load_b32 v1, v[24:25], off
	s_wait_loadcnt 0x0
	v_cvt_u32_f32_e32 v22, v1
.LBB332_2335:
	s_mov_b32 s13, 0
.LBB332_2336:
	s_delay_alu instid0(SALU_CYCLE_1)
	s_and_not1_b32 vcc_lo, exec_lo, s13
	s_cbranch_vccnz .LBB332_2338
; %bb.2337:
	global_load_u16 v1, v[24:25], off
	s_wait_loadcnt 0x0
	v_cvt_u16_f16_e32 v22, v1
.LBB332_2338:
	s_mov_b32 s13, 0
.LBB332_2339:
	s_delay_alu instid0(SALU_CYCLE_1)
	s_and_not1_b32 vcc_lo, exec_lo, s13
	s_cbranch_vccnz .LBB332_2359
; %bb.2340:
	s_cmp_lt_i32 s12, 2
	s_cbranch_scc1 .LBB332_2344
; %bb.2341:
	s_cmp_lt_i32 s12, 3
	s_cbranch_scc1 .LBB332_2345
; %bb.2342:
	s_cmp_gt_i32 s12, 3
	s_cbranch_scc0 .LBB332_2346
; %bb.2343:
	s_wait_loadcnt 0x0
	global_load_b64 v[22:23], v[24:25], off
	s_mov_b32 s13, 0
	s_branch .LBB332_2347
.LBB332_2344:
	s_mov_b32 s13, -1
                                        ; implicit-def: $vgpr22
	s_branch .LBB332_2353
.LBB332_2345:
	s_mov_b32 s13, -1
                                        ; implicit-def: $vgpr22
	s_branch .LBB332_2350
.LBB332_2346:
	s_mov_b32 s13, -1
                                        ; implicit-def: $vgpr22
.LBB332_2347:
	s_delay_alu instid0(SALU_CYCLE_1)
	s_and_not1_b32 vcc_lo, exec_lo, s13
	s_cbranch_vccnz .LBB332_2349
; %bb.2348:
	s_wait_loadcnt 0x0
	global_load_b32 v22, v[24:25], off
.LBB332_2349:
	s_mov_b32 s13, 0
.LBB332_2350:
	s_delay_alu instid0(SALU_CYCLE_1)
	s_and_not1_b32 vcc_lo, exec_lo, s13
	s_cbranch_vccnz .LBB332_2352
; %bb.2351:
	s_wait_loadcnt 0x0
	global_load_u16 v22, v[24:25], off
.LBB332_2352:
	s_mov_b32 s13, 0
.LBB332_2353:
	s_delay_alu instid0(SALU_CYCLE_1)
	s_and_not1_b32 vcc_lo, exec_lo, s13
	s_cbranch_vccnz .LBB332_2359
; %bb.2354:
	s_cmp_gt_i32 s12, 0
	s_mov_b32 s13, 0
	s_cbranch_scc0 .LBB332_2356
; %bb.2355:
	s_wait_loadcnt 0x0
	global_load_i8 v22, v[24:25], off
	s_branch .LBB332_2357
.LBB332_2356:
	s_mov_b32 s13, -1
                                        ; implicit-def: $vgpr22
.LBB332_2357:
	s_delay_alu instid0(SALU_CYCLE_1)
	s_and_not1_b32 vcc_lo, exec_lo, s13
	s_cbranch_vccnz .LBB332_2359
; %bb.2358:
	s_wait_loadcnt 0x0
	global_load_u8 v22, v[24:25], off
.LBB332_2359:
	s_mov_b32 s15, -1
.LBB332_2360:
	s_delay_alu instid0(SALU_CYCLE_1)
	s_and_not1_b32 vcc_lo, exec_lo, s15
	s_cbranch_vccnz .LBB332_3047
; %bb.2361:
	v_mov_b32_e32 v17, 0
	s_cmp_lt_i32 s11, 11
	s_wait_xcnt 0x0
	s_delay_alu instid0(VALU_DEP_1)
	v_add_nc_u64_e32 v[24:25], s[6:7], v[16:17]
	s_cbranch_scc1 .LBB332_2368
; %bb.2362:
	s_cmp_gt_i32 s11, 25
	s_mov_b32 s7, 0
	s_cbranch_scc0 .LBB332_2369
; %bb.2363:
	s_cmp_gt_i32 s11, 28
	s_cbranch_scc0 .LBB332_2370
; %bb.2364:
	s_cmp_gt_i32 s11, 43
	;; [unrolled: 3-line block ×3, first 2 shown]
	s_cbranch_scc0 .LBB332_2373
; %bb.2366:
	s_cmp_eq_u32 s11, 46
	s_mov_b32 s14, 0
	s_cbranch_scc0 .LBB332_2374
; %bb.2367:
	global_load_b32 v1, v[24:25], off
	s_mov_b32 s6, 0
	s_mov_b32 s13, -1
	s_wait_loadcnt 0x0
	v_lshlrev_b32_e32 v1, 16, v1
	s_delay_alu instid0(VALU_DEP_1)
	v_cvt_u32_f32_e32 v16, v1
	s_branch .LBB332_2376
.LBB332_2368:
	s_mov_b32 s6, -1
	s_mov_b32 s13, 0
                                        ; implicit-def: $vgpr16
	s_branch .LBB332_2438
.LBB332_2369:
	s_mov_b32 s14, -1
	s_mov_b32 s13, 0
	s_mov_b32 s6, 0
                                        ; implicit-def: $vgpr16
	s_branch .LBB332_2403
.LBB332_2370:
	s_mov_b32 s14, -1
	s_mov_b32 s13, 0
	s_mov_b32 s6, 0
                                        ; implicit-def: $vgpr16
	s_branch .LBB332_2386
.LBB332_2371:
	s_mov_b32 s14, -1
	s_mov_b32 s13, 0
	s_mov_b32 s6, 0
                                        ; implicit-def: $vgpr16
	s_branch .LBB332_2381
.LBB332_2372:
	s_or_b32 s10, s10, exec_lo
	s_trap 2
	s_cbranch_execz .LBB332_2309
	s_branch .LBB332_2310
.LBB332_2373:
	s_mov_b32 s14, -1
	s_mov_b32 s13, 0
	s_mov_b32 s6, 0
	s_branch .LBB332_2375
.LBB332_2374:
	s_mov_b32 s6, -1
	s_mov_b32 s13, 0
.LBB332_2375:
                                        ; implicit-def: $vgpr16
.LBB332_2376:
	s_and_b32 vcc_lo, exec_lo, s14
	s_cbranch_vccz .LBB332_2380
; %bb.2377:
	s_cmp_eq_u32 s11, 44
	s_cbranch_scc0 .LBB332_2379
; %bb.2378:
	global_load_u8 v1, v[24:25], off
	s_mov_b32 s6, 0
	s_mov_b32 s13, -1
	s_wait_loadcnt 0x0
	v_lshlrev_b32_e32 v3, 23, v1
	v_cmp_ne_u32_e32 vcc_lo, 0, v1
	s_delay_alu instid0(VALU_DEP_2) | instskip(NEXT) | instid1(VALU_DEP_1)
	v_cvt_u32_f32_e32 v3, v3
	v_cndmask_b32_e32 v16, 0, v3, vcc_lo
	s_branch .LBB332_2380
.LBB332_2379:
	s_mov_b32 s6, -1
                                        ; implicit-def: $vgpr16
.LBB332_2380:
	s_mov_b32 s14, 0
.LBB332_2381:
	s_delay_alu instid0(SALU_CYCLE_1)
	s_and_b32 vcc_lo, exec_lo, s14
	s_cbranch_vccz .LBB332_2385
; %bb.2382:
	s_cmp_eq_u32 s11, 29
	s_cbranch_scc0 .LBB332_2384
; %bb.2383:
	global_load_b64 v[16:17], v[24:25], off
	s_mov_b32 s6, 0
	s_mov_b32 s13, -1
	s_branch .LBB332_2385
.LBB332_2384:
	s_mov_b32 s6, -1
                                        ; implicit-def: $vgpr16
.LBB332_2385:
	s_mov_b32 s14, 0
.LBB332_2386:
	s_delay_alu instid0(SALU_CYCLE_1)
	s_and_b32 vcc_lo, exec_lo, s14
	s_cbranch_vccz .LBB332_2402
; %bb.2387:
	s_cmp_lt_i32 s11, 27
	s_cbranch_scc1 .LBB332_2390
; %bb.2388:
	s_cmp_gt_i32 s11, 27
	s_cbranch_scc0 .LBB332_2391
; %bb.2389:
	s_wait_loadcnt 0x0
	global_load_b32 v16, v[24:25], off
	s_mov_b32 s13, 0
	s_branch .LBB332_2392
.LBB332_2390:
	s_mov_b32 s13, -1
                                        ; implicit-def: $vgpr16
	s_branch .LBB332_2395
.LBB332_2391:
	s_mov_b32 s13, -1
                                        ; implicit-def: $vgpr16
.LBB332_2392:
	s_delay_alu instid0(SALU_CYCLE_1)
	s_and_not1_b32 vcc_lo, exec_lo, s13
	s_cbranch_vccnz .LBB332_2394
; %bb.2393:
	s_wait_loadcnt 0x0
	global_load_u16 v16, v[24:25], off
.LBB332_2394:
	s_mov_b32 s13, 0
.LBB332_2395:
	s_delay_alu instid0(SALU_CYCLE_1)
	s_and_not1_b32 vcc_lo, exec_lo, s13
	s_cbranch_vccnz .LBB332_2401
; %bb.2396:
	global_load_u8 v1, v[24:25], off
	s_mov_b32 s14, 0
	s_mov_b32 s13, exec_lo
	s_wait_loadcnt 0x0
	v_cmpx_lt_i16_e32 0x7f, v1
	s_xor_b32 s13, exec_lo, s13
	s_cbranch_execz .LBB332_2413
; %bb.2397:
	v_cmp_ne_u16_e32 vcc_lo, 0x80, v1
	s_and_b32 s14, vcc_lo, exec_lo
	s_and_not1_saveexec_b32 s13, s13
	s_cbranch_execnz .LBB332_2414
.LBB332_2398:
	s_or_b32 exec_lo, exec_lo, s13
	v_mov_b32_e32 v16, 0
	s_and_saveexec_b32 s13, s14
	s_cbranch_execz .LBB332_2400
.LBB332_2399:
	v_and_b32_e32 v3, 0xffff, v1
	s_delay_alu instid0(VALU_DEP_1) | instskip(SKIP_1) | instid1(VALU_DEP_2)
	v_dual_lshlrev_b32 v1, 24, v1 :: v_dual_bitop2_b32 v5, 7, v3 bitop3:0x40
	v_bfe_u32 v11, v3, 3, 4
	v_and_b32_e32 v1, 0x80000000, v1
	s_delay_alu instid0(VALU_DEP_3) | instskip(NEXT) | instid1(VALU_DEP_3)
	v_clz_i32_u32_e32 v7, v5
	v_cmp_eq_u32_e32 vcc_lo, 0, v11
	s_delay_alu instid0(VALU_DEP_2) | instskip(NEXT) | instid1(VALU_DEP_1)
	v_min_u32_e32 v7, 32, v7
	v_subrev_nc_u32_e32 v9, 28, v7
	v_sub_nc_u32_e32 v7, 29, v7
	s_delay_alu instid0(VALU_DEP_2) | instskip(NEXT) | instid1(VALU_DEP_2)
	v_lshlrev_b32_e32 v3, v9, v3
	v_cndmask_b32_e32 v7, v11, v7, vcc_lo
	s_delay_alu instid0(VALU_DEP_2) | instskip(NEXT) | instid1(VALU_DEP_1)
	v_and_b32_e32 v3, 7, v3
	v_cndmask_b32_e32 v3, v5, v3, vcc_lo
	s_delay_alu instid0(VALU_DEP_3) | instskip(NEXT) | instid1(VALU_DEP_2)
	v_lshl_add_u32 v5, v7, 23, 0x3b800000
	v_lshlrev_b32_e32 v3, 20, v3
	s_delay_alu instid0(VALU_DEP_1) | instskip(NEXT) | instid1(VALU_DEP_1)
	v_or3_b32 v1, v1, v5, v3
	v_cvt_u32_f32_e32 v16, v1
.LBB332_2400:
	s_or_b32 exec_lo, exec_lo, s13
.LBB332_2401:
	s_mov_b32 s13, -1
.LBB332_2402:
	s_mov_b32 s14, 0
.LBB332_2403:
	s_delay_alu instid0(SALU_CYCLE_1)
	s_and_b32 vcc_lo, exec_lo, s14
	s_cbranch_vccz .LBB332_2434
; %bb.2404:
	s_cmp_gt_i32 s11, 22
	s_cbranch_scc0 .LBB332_2412
; %bb.2405:
	s_cmp_lt_i32 s11, 24
	s_cbranch_scc1 .LBB332_2415
; %bb.2406:
	s_cmp_gt_i32 s11, 24
	s_cbranch_scc0 .LBB332_2416
; %bb.2407:
	global_load_u8 v1, v[24:25], off
	s_mov_b32 s13, 0
	s_mov_b32 s7, exec_lo
	s_wait_loadcnt 0x0
	v_cmpx_lt_i16_e32 0x7f, v1
	s_xor_b32 s7, exec_lo, s7
	s_cbranch_execz .LBB332_2428
; %bb.2408:
	v_cmp_ne_u16_e32 vcc_lo, 0x80, v1
	s_and_b32 s13, vcc_lo, exec_lo
	s_and_not1_saveexec_b32 s7, s7
	s_cbranch_execnz .LBB332_2429
.LBB332_2409:
	s_or_b32 exec_lo, exec_lo, s7
	v_mov_b32_e32 v16, 0
	s_and_saveexec_b32 s7, s13
	s_cbranch_execz .LBB332_2411
.LBB332_2410:
	v_and_b32_e32 v3, 0xffff, v1
	s_delay_alu instid0(VALU_DEP_1) | instskip(SKIP_1) | instid1(VALU_DEP_2)
	v_dual_lshlrev_b32 v1, 24, v1 :: v_dual_bitop2_b32 v5, 3, v3 bitop3:0x40
	v_bfe_u32 v11, v3, 2, 5
	v_and_b32_e32 v1, 0x80000000, v1
	s_delay_alu instid0(VALU_DEP_3) | instskip(NEXT) | instid1(VALU_DEP_3)
	v_clz_i32_u32_e32 v7, v5
	v_cmp_eq_u32_e32 vcc_lo, 0, v11
	s_delay_alu instid0(VALU_DEP_2) | instskip(NEXT) | instid1(VALU_DEP_1)
	v_min_u32_e32 v7, 32, v7
	v_subrev_nc_u32_e32 v9, 29, v7
	v_sub_nc_u32_e32 v7, 30, v7
	s_delay_alu instid0(VALU_DEP_2) | instskip(NEXT) | instid1(VALU_DEP_2)
	v_lshlrev_b32_e32 v3, v9, v3
	v_cndmask_b32_e32 v7, v11, v7, vcc_lo
	s_delay_alu instid0(VALU_DEP_2) | instskip(NEXT) | instid1(VALU_DEP_1)
	v_and_b32_e32 v3, 3, v3
	v_cndmask_b32_e32 v3, v5, v3, vcc_lo
	s_delay_alu instid0(VALU_DEP_3) | instskip(NEXT) | instid1(VALU_DEP_2)
	v_lshl_add_u32 v5, v7, 23, 0x37800000
	v_lshlrev_b32_e32 v3, 21, v3
	s_delay_alu instid0(VALU_DEP_1) | instskip(NEXT) | instid1(VALU_DEP_1)
	v_or3_b32 v1, v1, v5, v3
	v_cvt_u32_f32_e32 v16, v1
.LBB332_2411:
	s_or_b32 exec_lo, exec_lo, s7
	s_mov_b32 s7, 0
	s_branch .LBB332_2417
.LBB332_2412:
	s_mov_b32 s7, -1
                                        ; implicit-def: $vgpr16
	s_branch .LBB332_2423
.LBB332_2413:
	s_and_not1_saveexec_b32 s13, s13
	s_cbranch_execz .LBB332_2398
.LBB332_2414:
	v_cmp_ne_u16_e32 vcc_lo, 0, v1
	s_and_not1_b32 s14, s14, exec_lo
	s_and_b32 s15, vcc_lo, exec_lo
	s_delay_alu instid0(SALU_CYCLE_1)
	s_or_b32 s14, s14, s15
	s_or_b32 exec_lo, exec_lo, s13
	v_mov_b32_e32 v16, 0
	s_and_saveexec_b32 s13, s14
	s_cbranch_execnz .LBB332_2399
	s_branch .LBB332_2400
.LBB332_2415:
	s_mov_b32 s7, -1
                                        ; implicit-def: $vgpr16
	s_branch .LBB332_2420
.LBB332_2416:
	s_mov_b32 s7, -1
                                        ; implicit-def: $vgpr16
.LBB332_2417:
	s_delay_alu instid0(SALU_CYCLE_1)
	s_and_b32 vcc_lo, exec_lo, s7
	s_cbranch_vccz .LBB332_2419
; %bb.2418:
	global_load_u8 v1, v[24:25], off
	s_wait_loadcnt 0x0
	v_lshlrev_b32_e32 v1, 24, v1
	s_delay_alu instid0(VALU_DEP_1) | instskip(NEXT) | instid1(VALU_DEP_1)
	v_and_b32_e32 v3, 0x7f000000, v1
	v_clz_i32_u32_e32 v5, v3
	v_add_nc_u32_e32 v9, 0x1000000, v3
	v_cmp_ne_u32_e32 vcc_lo, 0, v3
	s_delay_alu instid0(VALU_DEP_3) | instskip(NEXT) | instid1(VALU_DEP_1)
	v_min_u32_e32 v5, 32, v5
	v_sub_nc_u32_e64 v5, v5, 4 clamp
	s_delay_alu instid0(VALU_DEP_1) | instskip(NEXT) | instid1(VALU_DEP_1)
	v_dual_lshlrev_b32 v7, v5, v3 :: v_dual_lshlrev_b32 v5, 23, v5
	v_lshrrev_b32_e32 v7, 4, v7
	s_delay_alu instid0(VALU_DEP_1) | instskip(SKIP_1) | instid1(VALU_DEP_2)
	v_sub_nc_u32_e32 v5, v7, v5
	v_ashrrev_i32_e32 v7, 8, v9
	v_add_nc_u32_e32 v5, 0x3c000000, v5
	s_delay_alu instid0(VALU_DEP_1) | instskip(NEXT) | instid1(VALU_DEP_1)
	v_and_or_b32 v5, 0x7f800000, v7, v5
	v_cndmask_b32_e32 v3, 0, v5, vcc_lo
	s_delay_alu instid0(VALU_DEP_1) | instskip(NEXT) | instid1(VALU_DEP_1)
	v_and_or_b32 v1, 0x80000000, v1, v3
	v_cvt_u32_f32_e32 v16, v1
.LBB332_2419:
	s_mov_b32 s7, 0
.LBB332_2420:
	s_delay_alu instid0(SALU_CYCLE_1)
	s_and_not1_b32 vcc_lo, exec_lo, s7
	s_cbranch_vccnz .LBB332_2422
; %bb.2421:
	global_load_u8 v1, v[24:25], off
	s_wait_loadcnt 0x0
	v_lshlrev_b32_e32 v3, 25, v1
	v_lshlrev_b16 v1, 8, v1
	s_delay_alu instid0(VALU_DEP_1) | instskip(SKIP_1) | instid1(VALU_DEP_2)
	v_and_or_b32 v7, 0x7f00, v1, 0.5
	v_bfe_i32 v1, v1, 0, 16
	v_add_f32_e32 v7, -0.5, v7
	v_lshrrev_b32_e32 v5, 4, v3
	v_cmp_gt_u32_e32 vcc_lo, 0x8000000, v3
	s_delay_alu instid0(VALU_DEP_2) | instskip(NEXT) | instid1(VALU_DEP_1)
	v_or_b32_e32 v5, 0x70000000, v5
	v_mul_f32_e32 v5, 0x7800000, v5
	s_delay_alu instid0(VALU_DEP_1) | instskip(NEXT) | instid1(VALU_DEP_1)
	v_cndmask_b32_e32 v3, v5, v7, vcc_lo
	v_and_or_b32 v1, 0x80000000, v1, v3
	s_delay_alu instid0(VALU_DEP_1)
	v_cvt_u32_f32_e32 v16, v1
.LBB332_2422:
	s_mov_b32 s7, 0
	s_mov_b32 s13, -1
.LBB332_2423:
	s_and_not1_b32 vcc_lo, exec_lo, s7
	s_mov_b32 s7, 0
	s_cbranch_vccnz .LBB332_2434
; %bb.2424:
	s_cmp_gt_i32 s11, 14
	s_cbranch_scc0 .LBB332_2427
; %bb.2425:
	s_cmp_eq_u32 s11, 15
	s_cbranch_scc0 .LBB332_2430
; %bb.2426:
	global_load_u16 v1, v[24:25], off
	s_mov_b32 s6, 0
	s_mov_b32 s13, -1
	s_wait_loadcnt 0x0
	v_lshlrev_b32_e32 v1, 16, v1
	s_delay_alu instid0(VALU_DEP_1)
	v_cvt_u32_f32_e32 v16, v1
	s_branch .LBB332_2432
.LBB332_2427:
	s_mov_b32 s7, -1
	s_branch .LBB332_2431
.LBB332_2428:
	s_and_not1_saveexec_b32 s7, s7
	s_cbranch_execz .LBB332_2409
.LBB332_2429:
	v_cmp_ne_u16_e32 vcc_lo, 0, v1
	s_and_not1_b32 s13, s13, exec_lo
	s_and_b32 s14, vcc_lo, exec_lo
	s_delay_alu instid0(SALU_CYCLE_1)
	s_or_b32 s13, s13, s14
	s_or_b32 exec_lo, exec_lo, s7
	v_mov_b32_e32 v16, 0
	s_and_saveexec_b32 s7, s13
	s_cbranch_execnz .LBB332_2410
	s_branch .LBB332_2411
.LBB332_2430:
	s_mov_b32 s6, -1
.LBB332_2431:
                                        ; implicit-def: $vgpr16
.LBB332_2432:
	s_and_b32 vcc_lo, exec_lo, s7
	s_mov_b32 s7, 0
	s_cbranch_vccz .LBB332_2434
; %bb.2433:
	s_cmp_lg_u32 s11, 11
	s_mov_b32 s7, -1
	s_cselect_b32 s6, -1, 0
.LBB332_2434:
	s_delay_alu instid0(SALU_CYCLE_1)
	s_and_b32 vcc_lo, exec_lo, s6
	s_cbranch_vccnz .LBB332_2499
; %bb.2435:
	s_and_not1_b32 vcc_lo, exec_lo, s7
	s_cbranch_vccnz .LBB332_2437
.LBB332_2436:
	global_load_u8 v1, v[24:25], off
	s_mov_b32 s13, -1
	s_wait_loadcnt 0x0
	v_cmp_ne_u16_e32 vcc_lo, 0, v1
	v_cndmask_b32_e64 v16, 0, 1, vcc_lo
.LBB332_2437:
	s_mov_b32 s6, 0
.LBB332_2438:
	s_delay_alu instid0(SALU_CYCLE_1)
	s_and_b32 vcc_lo, exec_lo, s6
	s_cbranch_vccz .LBB332_2487
; %bb.2439:
	s_cmp_lt_i32 s11, 5
	s_cbranch_scc1 .LBB332_2444
; %bb.2440:
	s_cmp_lt_i32 s11, 8
	s_cbranch_scc1 .LBB332_2445
	;; [unrolled: 3-line block ×3, first 2 shown]
; %bb.2442:
	s_cmp_gt_i32 s11, 9
	s_cbranch_scc0 .LBB332_2447
; %bb.2443:
	s_wait_loadcnt 0x0
	global_load_b64 v[16:17], v[24:25], off
	s_mov_b32 s6, 0
	s_wait_loadcnt 0x0
	v_cvt_u32_f64_e32 v16, v[16:17]
	s_branch .LBB332_2448
.LBB332_2444:
	s_mov_b32 s6, -1
                                        ; implicit-def: $vgpr16
	s_branch .LBB332_2466
.LBB332_2445:
	s_mov_b32 s6, -1
                                        ; implicit-def: $vgpr16
	s_branch .LBB332_2454
.LBB332_2446:
	s_mov_b32 s6, -1
                                        ; implicit-def: $vgpr16
	s_branch .LBB332_2451
.LBB332_2447:
	s_mov_b32 s6, -1
                                        ; implicit-def: $vgpr16
.LBB332_2448:
	s_delay_alu instid0(SALU_CYCLE_1)
	s_and_not1_b32 vcc_lo, exec_lo, s6
	s_cbranch_vccnz .LBB332_2450
; %bb.2449:
	global_load_b32 v1, v[24:25], off
	s_wait_loadcnt 0x0
	v_cvt_u32_f32_e32 v16, v1
.LBB332_2450:
	s_mov_b32 s6, 0
.LBB332_2451:
	s_delay_alu instid0(SALU_CYCLE_1)
	s_and_not1_b32 vcc_lo, exec_lo, s6
	s_cbranch_vccnz .LBB332_2453
; %bb.2452:
	global_load_b32 v1, v[24:25], off
	s_wait_loadcnt 0x0
	v_cvt_u16_f16_e32 v16, v1
.LBB332_2453:
	s_mov_b32 s6, 0
.LBB332_2454:
	s_delay_alu instid0(SALU_CYCLE_1)
	s_and_not1_b32 vcc_lo, exec_lo, s6
	s_cbranch_vccnz .LBB332_2465
; %bb.2455:
	s_cmp_lt_i32 s11, 6
	s_cbranch_scc1 .LBB332_2458
; %bb.2456:
	s_cmp_gt_i32 s11, 6
	s_cbranch_scc0 .LBB332_2459
; %bb.2457:
	s_wait_loadcnt 0x0
	global_load_b64 v[16:17], v[24:25], off
	s_mov_b32 s6, 0
	s_wait_loadcnt 0x0
	v_cvt_u32_f64_e32 v16, v[16:17]
	s_branch .LBB332_2460
.LBB332_2458:
	s_mov_b32 s6, -1
                                        ; implicit-def: $vgpr16
	s_branch .LBB332_2463
.LBB332_2459:
	s_mov_b32 s6, -1
                                        ; implicit-def: $vgpr16
.LBB332_2460:
	s_delay_alu instid0(SALU_CYCLE_1)
	s_and_not1_b32 vcc_lo, exec_lo, s6
	s_cbranch_vccnz .LBB332_2462
; %bb.2461:
	global_load_b32 v1, v[24:25], off
	s_wait_loadcnt 0x0
	v_cvt_u32_f32_e32 v16, v1
.LBB332_2462:
	s_mov_b32 s6, 0
.LBB332_2463:
	s_delay_alu instid0(SALU_CYCLE_1)
	s_and_not1_b32 vcc_lo, exec_lo, s6
	s_cbranch_vccnz .LBB332_2465
; %bb.2464:
	global_load_u16 v1, v[24:25], off
	s_wait_loadcnt 0x0
	v_cvt_u16_f16_e32 v16, v1
.LBB332_2465:
	s_mov_b32 s6, 0
.LBB332_2466:
	s_delay_alu instid0(SALU_CYCLE_1)
	s_and_not1_b32 vcc_lo, exec_lo, s6
	s_cbranch_vccnz .LBB332_2486
; %bb.2467:
	s_cmp_lt_i32 s11, 2
	s_cbranch_scc1 .LBB332_2471
; %bb.2468:
	s_cmp_lt_i32 s11, 3
	s_cbranch_scc1 .LBB332_2472
; %bb.2469:
	s_cmp_gt_i32 s11, 3
	s_cbranch_scc0 .LBB332_2473
; %bb.2470:
	s_wait_loadcnt 0x0
	global_load_b64 v[16:17], v[24:25], off
	s_mov_b32 s6, 0
	s_branch .LBB332_2474
.LBB332_2471:
	s_mov_b32 s6, -1
                                        ; implicit-def: $vgpr16
	s_branch .LBB332_2480
.LBB332_2472:
	s_mov_b32 s6, -1
                                        ; implicit-def: $vgpr16
	s_branch .LBB332_2477
.LBB332_2473:
	s_mov_b32 s6, -1
                                        ; implicit-def: $vgpr16
.LBB332_2474:
	s_delay_alu instid0(SALU_CYCLE_1)
	s_and_not1_b32 vcc_lo, exec_lo, s6
	s_cbranch_vccnz .LBB332_2476
; %bb.2475:
	s_wait_loadcnt 0x0
	global_load_b32 v16, v[24:25], off
.LBB332_2476:
	s_mov_b32 s6, 0
.LBB332_2477:
	s_delay_alu instid0(SALU_CYCLE_1)
	s_and_not1_b32 vcc_lo, exec_lo, s6
	s_cbranch_vccnz .LBB332_2479
; %bb.2478:
	s_wait_loadcnt 0x0
	global_load_u16 v16, v[24:25], off
.LBB332_2479:
	s_mov_b32 s6, 0
.LBB332_2480:
	s_delay_alu instid0(SALU_CYCLE_1)
	s_and_not1_b32 vcc_lo, exec_lo, s6
	s_cbranch_vccnz .LBB332_2486
; %bb.2481:
	s_cmp_gt_i32 s11, 0
	s_mov_b32 s6, 0
	s_cbranch_scc0 .LBB332_2483
; %bb.2482:
	s_wait_loadcnt 0x0
	global_load_i8 v16, v[24:25], off
	s_branch .LBB332_2484
.LBB332_2483:
	s_mov_b32 s6, -1
                                        ; implicit-def: $vgpr16
.LBB332_2484:
	s_delay_alu instid0(SALU_CYCLE_1)
	s_and_not1_b32 vcc_lo, exec_lo, s6
	s_cbranch_vccnz .LBB332_2486
; %bb.2485:
	s_wait_loadcnt 0x0
	global_load_u8 v16, v[24:25], off
.LBB332_2486:
	s_mov_b32 s13, -1
.LBB332_2487:
	s_delay_alu instid0(SALU_CYCLE_1)
	s_and_not1_b32 vcc_lo, exec_lo, s13
	s_cbranch_vccnz .LBB332_3047
; %bb.2488:
	v_mov_b32_e32 v11, 0
	s_cmp_lt_i32 s12, 11
	s_wait_xcnt 0x0
	s_delay_alu instid0(VALU_DEP_1)
	v_add_nc_u64_e32 v[24:25], s[0:1], v[10:11]
	s_cbranch_scc1 .LBB332_2495
; %bb.2489:
	s_cmp_gt_i32 s12, 25
	s_mov_b32 s1, 0
	s_cbranch_scc0 .LBB332_2496
; %bb.2490:
	s_cmp_gt_i32 s12, 28
	s_cbranch_scc0 .LBB332_2497
; %bb.2491:
	s_cmp_gt_i32 s12, 43
	;; [unrolled: 3-line block ×3, first 2 shown]
	s_cbranch_scc0 .LBB332_2500
; %bb.2493:
	s_cmp_eq_u32 s12, 46
	s_mov_b32 s7, 0
	s_cbranch_scc0 .LBB332_2501
; %bb.2494:
	global_load_b32 v1, v[24:25], off
	s_mov_b32 s0, 0
	s_mov_b32 s6, -1
	s_wait_loadcnt 0x0
	v_lshlrev_b32_e32 v1, 16, v1
	s_delay_alu instid0(VALU_DEP_1)
	v_cvt_u32_f32_e32 v10, v1
	s_branch .LBB332_2503
.LBB332_2495:
	s_mov_b32 s0, -1
	s_mov_b32 s6, 0
                                        ; implicit-def: $vgpr10
	s_branch .LBB332_2565
.LBB332_2496:
	s_mov_b32 s7, -1
	s_mov_b32 s6, 0
	s_mov_b32 s0, 0
                                        ; implicit-def: $vgpr10
	s_branch .LBB332_2530
.LBB332_2497:
	s_mov_b32 s7, -1
	s_mov_b32 s6, 0
	s_mov_b32 s0, 0
                                        ; implicit-def: $vgpr10
	s_branch .LBB332_2513
.LBB332_2498:
	s_mov_b32 s7, -1
	s_mov_b32 s6, 0
	s_mov_b32 s0, 0
                                        ; implicit-def: $vgpr10
	s_branch .LBB332_2508
.LBB332_2499:
	s_or_b32 s10, s10, exec_lo
	s_trap 2
	s_cbranch_execz .LBB332_2436
	s_branch .LBB332_2437
.LBB332_2500:
	s_mov_b32 s7, -1
	s_mov_b32 s6, 0
	s_mov_b32 s0, 0
	s_branch .LBB332_2502
.LBB332_2501:
	s_mov_b32 s0, -1
	s_mov_b32 s6, 0
.LBB332_2502:
                                        ; implicit-def: $vgpr10
.LBB332_2503:
	s_and_b32 vcc_lo, exec_lo, s7
	s_cbranch_vccz .LBB332_2507
; %bb.2504:
	s_cmp_eq_u32 s12, 44
	s_cbranch_scc0 .LBB332_2506
; %bb.2505:
	global_load_u8 v1, v[24:25], off
	s_mov_b32 s0, 0
	s_mov_b32 s6, -1
	s_wait_loadcnt 0x0
	v_lshlrev_b32_e32 v3, 23, v1
	v_cmp_ne_u32_e32 vcc_lo, 0, v1
	s_delay_alu instid0(VALU_DEP_2) | instskip(NEXT) | instid1(VALU_DEP_1)
	v_cvt_u32_f32_e32 v3, v3
	v_cndmask_b32_e32 v10, 0, v3, vcc_lo
	s_branch .LBB332_2507
.LBB332_2506:
	s_mov_b32 s0, -1
                                        ; implicit-def: $vgpr10
.LBB332_2507:
	s_mov_b32 s7, 0
.LBB332_2508:
	s_delay_alu instid0(SALU_CYCLE_1)
	s_and_b32 vcc_lo, exec_lo, s7
	s_cbranch_vccz .LBB332_2512
; %bb.2509:
	s_cmp_eq_u32 s12, 29
	s_cbranch_scc0 .LBB332_2511
; %bb.2510:
	global_load_b64 v[10:11], v[24:25], off
	s_mov_b32 s0, 0
	s_mov_b32 s6, -1
	s_branch .LBB332_2512
.LBB332_2511:
	s_mov_b32 s0, -1
                                        ; implicit-def: $vgpr10
.LBB332_2512:
	s_mov_b32 s7, 0
.LBB332_2513:
	s_delay_alu instid0(SALU_CYCLE_1)
	s_and_b32 vcc_lo, exec_lo, s7
	s_cbranch_vccz .LBB332_2529
; %bb.2514:
	s_cmp_lt_i32 s12, 27
	s_cbranch_scc1 .LBB332_2517
; %bb.2515:
	s_cmp_gt_i32 s12, 27
	s_cbranch_scc0 .LBB332_2518
; %bb.2516:
	s_wait_loadcnt 0x0
	global_load_b32 v10, v[24:25], off
	s_mov_b32 s6, 0
	s_branch .LBB332_2519
.LBB332_2517:
	s_mov_b32 s6, -1
                                        ; implicit-def: $vgpr10
	s_branch .LBB332_2522
.LBB332_2518:
	s_mov_b32 s6, -1
                                        ; implicit-def: $vgpr10
.LBB332_2519:
	s_delay_alu instid0(SALU_CYCLE_1)
	s_and_not1_b32 vcc_lo, exec_lo, s6
	s_cbranch_vccnz .LBB332_2521
; %bb.2520:
	s_wait_loadcnt 0x0
	global_load_u16 v10, v[24:25], off
.LBB332_2521:
	s_mov_b32 s6, 0
.LBB332_2522:
	s_delay_alu instid0(SALU_CYCLE_1)
	s_and_not1_b32 vcc_lo, exec_lo, s6
	s_cbranch_vccnz .LBB332_2528
; %bb.2523:
	global_load_u8 v1, v[24:25], off
	s_mov_b32 s7, 0
	s_mov_b32 s6, exec_lo
	s_wait_loadcnt 0x0
	v_cmpx_lt_i16_e32 0x7f, v1
	s_xor_b32 s6, exec_lo, s6
	s_cbranch_execz .LBB332_2540
; %bb.2524:
	v_cmp_ne_u16_e32 vcc_lo, 0x80, v1
	s_and_b32 s7, vcc_lo, exec_lo
	s_and_not1_saveexec_b32 s6, s6
	s_cbranch_execnz .LBB332_2541
.LBB332_2525:
	s_or_b32 exec_lo, exec_lo, s6
	v_mov_b32_e32 v10, 0
	s_and_saveexec_b32 s6, s7
	s_cbranch_execz .LBB332_2527
.LBB332_2526:
	v_and_b32_e32 v3, 0xffff, v1
	s_delay_alu instid0(VALU_DEP_1) | instskip(SKIP_1) | instid1(VALU_DEP_2)
	v_dual_lshlrev_b32 v1, 24, v1 :: v_dual_bitop2_b32 v5, 7, v3 bitop3:0x40
	v_bfe_u32 v10, v3, 3, 4
	v_and_b32_e32 v1, 0x80000000, v1
	s_delay_alu instid0(VALU_DEP_3) | instskip(NEXT) | instid1(VALU_DEP_3)
	v_clz_i32_u32_e32 v7, v5
	v_cmp_eq_u32_e32 vcc_lo, 0, v10
	s_delay_alu instid0(VALU_DEP_2) | instskip(NEXT) | instid1(VALU_DEP_1)
	v_min_u32_e32 v7, 32, v7
	v_subrev_nc_u32_e32 v9, 28, v7
	v_sub_nc_u32_e32 v7, 29, v7
	s_delay_alu instid0(VALU_DEP_2) | instskip(NEXT) | instid1(VALU_DEP_2)
	v_lshlrev_b32_e32 v3, v9, v3
	v_cndmask_b32_e32 v7, v10, v7, vcc_lo
	s_delay_alu instid0(VALU_DEP_2) | instskip(NEXT) | instid1(VALU_DEP_1)
	v_and_b32_e32 v3, 7, v3
	v_cndmask_b32_e32 v3, v5, v3, vcc_lo
	s_delay_alu instid0(VALU_DEP_3) | instskip(NEXT) | instid1(VALU_DEP_2)
	v_lshl_add_u32 v5, v7, 23, 0x3b800000
	v_lshlrev_b32_e32 v3, 20, v3
	s_delay_alu instid0(VALU_DEP_1) | instskip(NEXT) | instid1(VALU_DEP_1)
	v_or3_b32 v1, v1, v5, v3
	v_cvt_u32_f32_e32 v10, v1
.LBB332_2527:
	s_or_b32 exec_lo, exec_lo, s6
.LBB332_2528:
	s_mov_b32 s6, -1
.LBB332_2529:
	s_mov_b32 s7, 0
.LBB332_2530:
	s_delay_alu instid0(SALU_CYCLE_1)
	s_and_b32 vcc_lo, exec_lo, s7
	s_cbranch_vccz .LBB332_2561
; %bb.2531:
	s_cmp_gt_i32 s12, 22
	s_cbranch_scc0 .LBB332_2539
; %bb.2532:
	s_cmp_lt_i32 s12, 24
	s_cbranch_scc1 .LBB332_2542
; %bb.2533:
	s_cmp_gt_i32 s12, 24
	s_cbranch_scc0 .LBB332_2543
; %bb.2534:
	global_load_u8 v1, v[24:25], off
	s_mov_b32 s6, 0
	s_mov_b32 s1, exec_lo
	s_wait_loadcnt 0x0
	v_cmpx_lt_i16_e32 0x7f, v1
	s_xor_b32 s1, exec_lo, s1
	s_cbranch_execz .LBB332_2555
; %bb.2535:
	v_cmp_ne_u16_e32 vcc_lo, 0x80, v1
	s_and_b32 s6, vcc_lo, exec_lo
	s_and_not1_saveexec_b32 s1, s1
	s_cbranch_execnz .LBB332_2556
.LBB332_2536:
	s_or_b32 exec_lo, exec_lo, s1
	v_mov_b32_e32 v10, 0
	s_and_saveexec_b32 s1, s6
	s_cbranch_execz .LBB332_2538
.LBB332_2537:
	v_and_b32_e32 v3, 0xffff, v1
	s_delay_alu instid0(VALU_DEP_1) | instskip(SKIP_1) | instid1(VALU_DEP_2)
	v_dual_lshlrev_b32 v1, 24, v1 :: v_dual_bitop2_b32 v5, 3, v3 bitop3:0x40
	v_bfe_u32 v10, v3, 2, 5
	v_and_b32_e32 v1, 0x80000000, v1
	s_delay_alu instid0(VALU_DEP_3) | instskip(NEXT) | instid1(VALU_DEP_3)
	v_clz_i32_u32_e32 v7, v5
	v_cmp_eq_u32_e32 vcc_lo, 0, v10
	s_delay_alu instid0(VALU_DEP_2) | instskip(NEXT) | instid1(VALU_DEP_1)
	v_min_u32_e32 v7, 32, v7
	v_subrev_nc_u32_e32 v9, 29, v7
	v_sub_nc_u32_e32 v7, 30, v7
	s_delay_alu instid0(VALU_DEP_2) | instskip(NEXT) | instid1(VALU_DEP_2)
	v_lshlrev_b32_e32 v3, v9, v3
	v_cndmask_b32_e32 v7, v10, v7, vcc_lo
	s_delay_alu instid0(VALU_DEP_2) | instskip(NEXT) | instid1(VALU_DEP_1)
	v_and_b32_e32 v3, 3, v3
	v_cndmask_b32_e32 v3, v5, v3, vcc_lo
	s_delay_alu instid0(VALU_DEP_3) | instskip(NEXT) | instid1(VALU_DEP_2)
	v_lshl_add_u32 v5, v7, 23, 0x37800000
	v_lshlrev_b32_e32 v3, 21, v3
	s_delay_alu instid0(VALU_DEP_1) | instskip(NEXT) | instid1(VALU_DEP_1)
	v_or3_b32 v1, v1, v5, v3
	v_cvt_u32_f32_e32 v10, v1
.LBB332_2538:
	s_or_b32 exec_lo, exec_lo, s1
	s_mov_b32 s1, 0
	s_branch .LBB332_2544
.LBB332_2539:
	s_mov_b32 s1, -1
                                        ; implicit-def: $vgpr10
	s_branch .LBB332_2550
.LBB332_2540:
	s_and_not1_saveexec_b32 s6, s6
	s_cbranch_execz .LBB332_2525
.LBB332_2541:
	v_cmp_ne_u16_e32 vcc_lo, 0, v1
	s_and_not1_b32 s7, s7, exec_lo
	s_and_b32 s11, vcc_lo, exec_lo
	s_delay_alu instid0(SALU_CYCLE_1)
	s_or_b32 s7, s7, s11
	s_or_b32 exec_lo, exec_lo, s6
	v_mov_b32_e32 v10, 0
	s_and_saveexec_b32 s6, s7
	s_cbranch_execnz .LBB332_2526
	s_branch .LBB332_2527
.LBB332_2542:
	s_mov_b32 s1, -1
                                        ; implicit-def: $vgpr10
	s_branch .LBB332_2547
.LBB332_2543:
	s_mov_b32 s1, -1
                                        ; implicit-def: $vgpr10
.LBB332_2544:
	s_delay_alu instid0(SALU_CYCLE_1)
	s_and_b32 vcc_lo, exec_lo, s1
	s_cbranch_vccz .LBB332_2546
; %bb.2545:
	global_load_u8 v1, v[24:25], off
	s_wait_loadcnt 0x0
	v_lshlrev_b32_e32 v1, 24, v1
	s_delay_alu instid0(VALU_DEP_1) | instskip(NEXT) | instid1(VALU_DEP_1)
	v_and_b32_e32 v3, 0x7f000000, v1
	v_clz_i32_u32_e32 v5, v3
	v_add_nc_u32_e32 v9, 0x1000000, v3
	v_cmp_ne_u32_e32 vcc_lo, 0, v3
	s_delay_alu instid0(VALU_DEP_3) | instskip(NEXT) | instid1(VALU_DEP_1)
	v_min_u32_e32 v5, 32, v5
	v_sub_nc_u32_e64 v5, v5, 4 clamp
	s_delay_alu instid0(VALU_DEP_1) | instskip(NEXT) | instid1(VALU_DEP_1)
	v_dual_lshlrev_b32 v7, v5, v3 :: v_dual_lshlrev_b32 v5, 23, v5
	v_lshrrev_b32_e32 v7, 4, v7
	s_delay_alu instid0(VALU_DEP_1) | instskip(SKIP_1) | instid1(VALU_DEP_2)
	v_sub_nc_u32_e32 v5, v7, v5
	v_ashrrev_i32_e32 v7, 8, v9
	v_add_nc_u32_e32 v5, 0x3c000000, v5
	s_delay_alu instid0(VALU_DEP_1) | instskip(NEXT) | instid1(VALU_DEP_1)
	v_and_or_b32 v5, 0x7f800000, v7, v5
	v_cndmask_b32_e32 v3, 0, v5, vcc_lo
	s_delay_alu instid0(VALU_DEP_1) | instskip(NEXT) | instid1(VALU_DEP_1)
	v_and_or_b32 v1, 0x80000000, v1, v3
	v_cvt_u32_f32_e32 v10, v1
.LBB332_2546:
	s_mov_b32 s1, 0
.LBB332_2547:
	s_delay_alu instid0(SALU_CYCLE_1)
	s_and_not1_b32 vcc_lo, exec_lo, s1
	s_cbranch_vccnz .LBB332_2549
; %bb.2548:
	global_load_u8 v1, v[24:25], off
	s_wait_loadcnt 0x0
	v_lshlrev_b32_e32 v3, 25, v1
	v_lshlrev_b16 v1, 8, v1
	s_delay_alu instid0(VALU_DEP_1) | instskip(SKIP_1) | instid1(VALU_DEP_2)
	v_and_or_b32 v7, 0x7f00, v1, 0.5
	v_bfe_i32 v1, v1, 0, 16
	v_add_f32_e32 v7, -0.5, v7
	v_lshrrev_b32_e32 v5, 4, v3
	v_cmp_gt_u32_e32 vcc_lo, 0x8000000, v3
	s_delay_alu instid0(VALU_DEP_2) | instskip(NEXT) | instid1(VALU_DEP_1)
	v_or_b32_e32 v5, 0x70000000, v5
	v_mul_f32_e32 v5, 0x7800000, v5
	s_delay_alu instid0(VALU_DEP_1) | instskip(NEXT) | instid1(VALU_DEP_1)
	v_cndmask_b32_e32 v3, v5, v7, vcc_lo
	v_and_or_b32 v1, 0x80000000, v1, v3
	s_delay_alu instid0(VALU_DEP_1)
	v_cvt_u32_f32_e32 v10, v1
.LBB332_2549:
	s_mov_b32 s1, 0
	s_mov_b32 s6, -1
.LBB332_2550:
	s_and_not1_b32 vcc_lo, exec_lo, s1
	s_mov_b32 s1, 0
	s_cbranch_vccnz .LBB332_2561
; %bb.2551:
	s_cmp_gt_i32 s12, 14
	s_cbranch_scc0 .LBB332_2554
; %bb.2552:
	s_cmp_eq_u32 s12, 15
	s_cbranch_scc0 .LBB332_2557
; %bb.2553:
	global_load_u16 v1, v[24:25], off
	s_mov_b32 s0, 0
	s_mov_b32 s6, -1
	s_wait_loadcnt 0x0
	v_lshlrev_b32_e32 v1, 16, v1
	s_delay_alu instid0(VALU_DEP_1)
	v_cvt_u32_f32_e32 v10, v1
	s_branch .LBB332_2559
.LBB332_2554:
	s_mov_b32 s1, -1
	s_branch .LBB332_2558
.LBB332_2555:
	s_and_not1_saveexec_b32 s1, s1
	s_cbranch_execz .LBB332_2536
.LBB332_2556:
	v_cmp_ne_u16_e32 vcc_lo, 0, v1
	s_and_not1_b32 s6, s6, exec_lo
	s_and_b32 s7, vcc_lo, exec_lo
	s_delay_alu instid0(SALU_CYCLE_1)
	s_or_b32 s6, s6, s7
	s_or_b32 exec_lo, exec_lo, s1
	v_mov_b32_e32 v10, 0
	s_and_saveexec_b32 s1, s6
	s_cbranch_execnz .LBB332_2537
	s_branch .LBB332_2538
.LBB332_2557:
	s_mov_b32 s0, -1
.LBB332_2558:
                                        ; implicit-def: $vgpr10
.LBB332_2559:
	s_and_b32 vcc_lo, exec_lo, s1
	s_mov_b32 s1, 0
	s_cbranch_vccz .LBB332_2561
; %bb.2560:
	s_cmp_lg_u32 s12, 11
	s_mov_b32 s1, -1
	s_cselect_b32 s0, -1, 0
.LBB332_2561:
	s_delay_alu instid0(SALU_CYCLE_1)
	s_and_b32 vcc_lo, exec_lo, s0
	s_cbranch_vccnz .LBB332_3093
; %bb.2562:
	s_and_not1_b32 vcc_lo, exec_lo, s1
	s_cbranch_vccnz .LBB332_2564
.LBB332_2563:
	global_load_u8 v1, v[24:25], off
	s_mov_b32 s6, -1
	s_wait_loadcnt 0x0
	v_cmp_ne_u16_e32 vcc_lo, 0, v1
	v_cndmask_b32_e64 v10, 0, 1, vcc_lo
.LBB332_2564:
	s_mov_b32 s0, 0
.LBB332_2565:
	s_delay_alu instid0(SALU_CYCLE_1)
	s_and_b32 vcc_lo, exec_lo, s0
	s_cbranch_vccz .LBB332_2614
; %bb.2566:
	s_cmp_lt_i32 s12, 5
	s_cbranch_scc1 .LBB332_2571
; %bb.2567:
	s_cmp_lt_i32 s12, 8
	s_cbranch_scc1 .LBB332_2572
	;; [unrolled: 3-line block ×3, first 2 shown]
; %bb.2569:
	s_cmp_gt_i32 s12, 9
	s_cbranch_scc0 .LBB332_2574
; %bb.2570:
	s_wait_loadcnt 0x0
	global_load_b64 v[10:11], v[24:25], off
	s_mov_b32 s0, 0
	s_wait_loadcnt 0x0
	v_cvt_u32_f64_e32 v10, v[10:11]
	s_branch .LBB332_2575
.LBB332_2571:
	s_mov_b32 s0, -1
                                        ; implicit-def: $vgpr10
	s_branch .LBB332_2593
.LBB332_2572:
	s_mov_b32 s0, -1
                                        ; implicit-def: $vgpr10
	s_branch .LBB332_2581
.LBB332_2573:
	s_mov_b32 s0, -1
                                        ; implicit-def: $vgpr10
	s_branch .LBB332_2578
.LBB332_2574:
	s_mov_b32 s0, -1
                                        ; implicit-def: $vgpr10
.LBB332_2575:
	s_delay_alu instid0(SALU_CYCLE_1)
	s_and_not1_b32 vcc_lo, exec_lo, s0
	s_cbranch_vccnz .LBB332_2577
; %bb.2576:
	global_load_b32 v1, v[24:25], off
	s_wait_loadcnt 0x0
	v_cvt_u32_f32_e32 v10, v1
.LBB332_2577:
	s_mov_b32 s0, 0
.LBB332_2578:
	s_delay_alu instid0(SALU_CYCLE_1)
	s_and_not1_b32 vcc_lo, exec_lo, s0
	s_cbranch_vccnz .LBB332_2580
; %bb.2579:
	global_load_b32 v1, v[24:25], off
	s_wait_loadcnt 0x0
	v_cvt_u16_f16_e32 v10, v1
.LBB332_2580:
	s_mov_b32 s0, 0
.LBB332_2581:
	s_delay_alu instid0(SALU_CYCLE_1)
	s_and_not1_b32 vcc_lo, exec_lo, s0
	s_cbranch_vccnz .LBB332_2592
; %bb.2582:
	s_cmp_lt_i32 s12, 6
	s_cbranch_scc1 .LBB332_2585
; %bb.2583:
	s_cmp_gt_i32 s12, 6
	s_cbranch_scc0 .LBB332_2586
; %bb.2584:
	s_wait_loadcnt 0x0
	global_load_b64 v[10:11], v[24:25], off
	s_mov_b32 s0, 0
	s_wait_loadcnt 0x0
	v_cvt_u32_f64_e32 v10, v[10:11]
	s_branch .LBB332_2587
.LBB332_2585:
	s_mov_b32 s0, -1
                                        ; implicit-def: $vgpr10
	s_branch .LBB332_2590
.LBB332_2586:
	s_mov_b32 s0, -1
                                        ; implicit-def: $vgpr10
.LBB332_2587:
	s_delay_alu instid0(SALU_CYCLE_1)
	s_and_not1_b32 vcc_lo, exec_lo, s0
	s_cbranch_vccnz .LBB332_2589
; %bb.2588:
	global_load_b32 v1, v[24:25], off
	s_wait_loadcnt 0x0
	v_cvt_u32_f32_e32 v10, v1
.LBB332_2589:
	s_mov_b32 s0, 0
.LBB332_2590:
	s_delay_alu instid0(SALU_CYCLE_1)
	s_and_not1_b32 vcc_lo, exec_lo, s0
	s_cbranch_vccnz .LBB332_2592
; %bb.2591:
	global_load_u16 v1, v[24:25], off
	s_wait_loadcnt 0x0
	v_cvt_u16_f16_e32 v10, v1
.LBB332_2592:
	s_mov_b32 s0, 0
.LBB332_2593:
	s_delay_alu instid0(SALU_CYCLE_1)
	s_and_not1_b32 vcc_lo, exec_lo, s0
	s_cbranch_vccnz .LBB332_2613
; %bb.2594:
	s_cmp_lt_i32 s12, 2
	s_cbranch_scc1 .LBB332_2598
; %bb.2595:
	s_cmp_lt_i32 s12, 3
	s_cbranch_scc1 .LBB332_2599
; %bb.2596:
	s_cmp_gt_i32 s12, 3
	s_cbranch_scc0 .LBB332_2600
; %bb.2597:
	s_wait_loadcnt 0x0
	global_load_b64 v[10:11], v[24:25], off
	s_mov_b32 s0, 0
	s_branch .LBB332_2601
.LBB332_2598:
	s_mov_b32 s0, -1
                                        ; implicit-def: $vgpr10
	s_branch .LBB332_2607
.LBB332_2599:
	s_mov_b32 s0, -1
                                        ; implicit-def: $vgpr10
	s_branch .LBB332_2604
.LBB332_2600:
	s_mov_b32 s0, -1
                                        ; implicit-def: $vgpr10
.LBB332_2601:
	s_delay_alu instid0(SALU_CYCLE_1)
	s_and_not1_b32 vcc_lo, exec_lo, s0
	s_cbranch_vccnz .LBB332_2603
; %bb.2602:
	s_wait_loadcnt 0x0
	global_load_b32 v10, v[24:25], off
.LBB332_2603:
	s_mov_b32 s0, 0
.LBB332_2604:
	s_delay_alu instid0(SALU_CYCLE_1)
	s_and_not1_b32 vcc_lo, exec_lo, s0
	s_cbranch_vccnz .LBB332_2606
; %bb.2605:
	s_wait_loadcnt 0x0
	global_load_u16 v10, v[24:25], off
.LBB332_2606:
	s_mov_b32 s0, 0
.LBB332_2607:
	s_delay_alu instid0(SALU_CYCLE_1)
	s_and_not1_b32 vcc_lo, exec_lo, s0
	s_cbranch_vccnz .LBB332_2613
; %bb.2608:
	s_cmp_gt_i32 s12, 0
	s_mov_b32 s0, 0
	s_cbranch_scc0 .LBB332_2610
; %bb.2609:
	s_wait_loadcnt 0x0
	global_load_i8 v10, v[24:25], off
	s_branch .LBB332_2611
.LBB332_2610:
	s_mov_b32 s0, -1
                                        ; implicit-def: $vgpr10
.LBB332_2611:
	s_delay_alu instid0(SALU_CYCLE_1)
	s_and_not1_b32 vcc_lo, exec_lo, s0
	s_cbranch_vccnz .LBB332_2613
; %bb.2612:
	s_wait_loadcnt 0x0
	global_load_u8 v10, v[24:25], off
.LBB332_2613:
	s_mov_b32 s6, -1
.LBB332_2614:
	s_delay_alu instid0(SALU_CYCLE_1)
	s_and_not1_b32 vcc_lo, exec_lo, s6
	s_cbranch_vccnz .LBB332_3047
; %bb.2615:
	s_load_b64 s[0:1], s[2:3], 0x1a0
	v_mov_b32_e32 v7, 0
	s_wait_loadcnt 0x0
	v_cmp_ne_u16_e32 vcc_lo, v8, v14
	s_mov_b32 s11, 0
	s_delay_alu instid0(VALU_DEP_2)
	v_add_nc_u64_e32 v[6:7], s[4:5], v[6:7]
	s_wait_kmcnt 0x0
	s_cmp_eq_u32 s0, 0
	s_mov_b32 s0, -1
	s_cselect_b32 s2, -1, 0
	s_and_b32 s1, s1, 0xff
	s_xor_b32 s3, s2, vcc_lo
	s_cmp_lt_i32 s1, 11
	s_cbranch_scc1 .LBB332_2694
; %bb.2616:
	s_and_b32 s6, 0xffff, s1
	s_mov_b32 s12, -1
	s_mov_b32 s7, 0
	s_cmp_gt_i32 s6, 25
	s_mov_b32 s0, 0
	s_cbranch_scc0 .LBB332_2649
; %bb.2617:
	s_cmp_gt_i32 s6, 28
	s_cbranch_scc0 .LBB332_2632
; %bb.2618:
	s_cmp_gt_i32 s6, 43
	;; [unrolled: 3-line block ×3, first 2 shown]
	s_cbranch_scc0 .LBB332_2622
; %bb.2620:
	s_mov_b32 s0, -1
	s_mov_b32 s12, 0
	s_cmp_eq_u32 s6, 46
	s_cbranch_scc0 .LBB332_2622
; %bb.2621:
	v_cndmask_b32_e64 v1, 0, 1.0, s3
	s_mov_b32 s0, 0
	s_mov_b32 s11, -1
	s_delay_alu instid0(VALU_DEP_1) | instskip(NEXT) | instid1(VALU_DEP_1)
	v_bfe_u32 v3, v1, 16, 1
	v_add3_u32 v1, v1, v3, 0x7fff
	s_delay_alu instid0(VALU_DEP_1)
	v_lshrrev_b32_e32 v1, 16, v1
	global_store_b32 v[6:7], v1, off
.LBB332_2622:
	s_and_b32 vcc_lo, exec_lo, s12
	s_cbranch_vccz .LBB332_2627
; %bb.2623:
	s_cmp_eq_u32 s6, 44
	s_mov_b32 s0, -1
	s_cbranch_scc0 .LBB332_2627
; %bb.2624:
	v_cndmask_b32_e64 v5, 0, 1.0, s3
	v_mov_b32_e32 v3, 0xff
	s_mov_b32 s11, exec_lo
	s_wait_xcnt 0x0
	s_delay_alu instid0(VALU_DEP_2) | instskip(NEXT) | instid1(VALU_DEP_1)
	v_lshrrev_b32_e32 v1, 23, v5
	v_cmpx_ne_u32_e32 0xff, v1
; %bb.2625:
	v_and_b32_e32 v3, 0x400000, v5
	v_and_or_b32 v5, 0x3fffff, v5, v1
	s_delay_alu instid0(VALU_DEP_2) | instskip(NEXT) | instid1(VALU_DEP_2)
	v_cmp_ne_u32_e32 vcc_lo, 0, v3
	v_cmp_ne_u32_e64 s0, 0, v5
	s_and_b32 s0, vcc_lo, s0
	s_delay_alu instid0(SALU_CYCLE_1) | instskip(NEXT) | instid1(VALU_DEP_1)
	v_cndmask_b32_e64 v3, 0, 1, s0
	v_add_nc_u32_e32 v3, v1, v3
; %bb.2626:
	s_or_b32 exec_lo, exec_lo, s11
	s_mov_b32 s0, 0
	s_mov_b32 s11, -1
	global_store_b8 v[6:7], v3, off
.LBB332_2627:
	s_mov_b32 s12, 0
.LBB332_2628:
	s_delay_alu instid0(SALU_CYCLE_1)
	s_and_b32 vcc_lo, exec_lo, s12
	s_cbranch_vccz .LBB332_2631
; %bb.2629:
	s_cmp_eq_u32 s6, 29
	s_mov_b32 s0, -1
	s_cbranch_scc0 .LBB332_2631
; %bb.2630:
	s_mov_b32 s0, 0
	v_cndmask_b32_e64 v8, 0, 1, s3
	v_mov_b32_e32 v9, s0
	s_mov_b32 s11, -1
	global_store_b64 v[6:7], v[8:9], off
.LBB332_2631:
	s_mov_b32 s12, 0
.LBB332_2632:
	s_delay_alu instid0(SALU_CYCLE_1)
	s_and_b32 vcc_lo, exec_lo, s12
	s_cbranch_vccz .LBB332_2648
; %bb.2633:
	s_cmp_lt_i32 s6, 27
	s_mov_b32 s11, -1
	s_cbranch_scc1 .LBB332_2639
; %bb.2634:
	s_cmp_gt_i32 s6, 27
	s_cbranch_scc0 .LBB332_2636
; %bb.2635:
	s_wait_xcnt 0x0
	v_cndmask_b32_e64 v1, 0, 1, s3
	s_mov_b32 s11, 0
	global_store_b32 v[6:7], v1, off
.LBB332_2636:
	s_and_not1_b32 vcc_lo, exec_lo, s11
	s_cbranch_vccnz .LBB332_2638
; %bb.2637:
	s_wait_xcnt 0x0
	v_cndmask_b32_e64 v1, 0, 1, s3
	global_store_b16 v[6:7], v1, off
.LBB332_2638:
	s_mov_b32 s11, 0
.LBB332_2639:
	s_delay_alu instid0(SALU_CYCLE_1)
	s_and_not1_b32 vcc_lo, exec_lo, s11
	s_cbranch_vccnz .LBB332_2647
; %bb.2640:
	s_wait_xcnt 0x0
	v_cndmask_b32_e64 v3, 0, 1.0, s3
	v_mov_b32_e32 v5, 0x80
	s_mov_b32 s11, exec_lo
	s_delay_alu instid0(VALU_DEP_2)
	v_cmpx_gt_u32_e32 0x43800000, v3
	s_cbranch_execz .LBB332_2646
; %bb.2641:
	s_mov_b32 s12, 0
	s_mov_b32 s13, exec_lo
                                        ; implicit-def: $vgpr1
	v_cmpx_lt_u32_e32 0x3bffffff, v3
	s_xor_b32 s13, exec_lo, s13
	s_cbranch_execz .LBB332_3094
; %bb.2642:
	v_bfe_u32 v1, v3, 20, 1
	s_mov_b32 s12, exec_lo
	s_delay_alu instid0(VALU_DEP_1) | instskip(NEXT) | instid1(VALU_DEP_1)
	v_add3_u32 v1, v3, v1, 0x487ffff
                                        ; implicit-def: $vgpr3
	v_lshrrev_b32_e32 v1, 20, v1
	s_and_not1_saveexec_b32 s13, s13
	s_cbranch_execnz .LBB332_3095
.LBB332_2643:
	s_or_b32 exec_lo, exec_lo, s13
	v_mov_b32_e32 v5, 0
	s_and_saveexec_b32 s13, s12
.LBB332_2644:
	v_mov_b32_e32 v5, v1
.LBB332_2645:
	s_or_b32 exec_lo, exec_lo, s13
.LBB332_2646:
	s_delay_alu instid0(SALU_CYCLE_1)
	s_or_b32 exec_lo, exec_lo, s11
	global_store_b8 v[6:7], v5, off
.LBB332_2647:
	s_mov_b32 s11, -1
.LBB332_2648:
	s_mov_b32 s12, 0
.LBB332_2649:
	s_delay_alu instid0(SALU_CYCLE_1)
	s_and_b32 vcc_lo, exec_lo, s12
	s_cbranch_vccz .LBB332_2689
; %bb.2650:
	s_cmp_gt_i32 s6, 22
	s_mov_b32 s7, -1
	s_cbranch_scc0 .LBB332_2682
; %bb.2651:
	s_cmp_lt_i32 s6, 24
	s_cbranch_scc1 .LBB332_2671
; %bb.2652:
	s_cmp_gt_i32 s6, 24
	s_cbranch_scc0 .LBB332_2660
; %bb.2653:
	s_wait_xcnt 0x0
	v_cndmask_b32_e64 v3, 0, 1.0, s3
	v_mov_b32_e32 v5, 0x80
	s_mov_b32 s7, exec_lo
	s_delay_alu instid0(VALU_DEP_2)
	v_cmpx_gt_u32_e32 0x47800000, v3
	s_cbranch_execz .LBB332_2659
; %bb.2654:
	s_mov_b32 s11, 0
	s_mov_b32 s12, exec_lo
                                        ; implicit-def: $vgpr1
	v_cmpx_lt_u32_e32 0x37ffffff, v3
	s_xor_b32 s12, exec_lo, s12
	s_cbranch_execz .LBB332_3097
; %bb.2655:
	v_bfe_u32 v1, v3, 21, 1
	s_mov_b32 s11, exec_lo
	s_delay_alu instid0(VALU_DEP_1) | instskip(NEXT) | instid1(VALU_DEP_1)
	v_add3_u32 v1, v3, v1, 0x88fffff
                                        ; implicit-def: $vgpr3
	v_lshrrev_b32_e32 v1, 21, v1
	s_and_not1_saveexec_b32 s12, s12
	s_cbranch_execnz .LBB332_3098
.LBB332_2656:
	s_or_b32 exec_lo, exec_lo, s12
	v_mov_b32_e32 v5, 0
	s_and_saveexec_b32 s12, s11
.LBB332_2657:
	v_mov_b32_e32 v5, v1
.LBB332_2658:
	s_or_b32 exec_lo, exec_lo, s12
.LBB332_2659:
	s_delay_alu instid0(SALU_CYCLE_1)
	s_or_b32 exec_lo, exec_lo, s7
	s_mov_b32 s7, 0
	global_store_b8 v[6:7], v5, off
.LBB332_2660:
	s_and_b32 vcc_lo, exec_lo, s7
	s_cbranch_vccz .LBB332_2670
; %bb.2661:
	s_wait_xcnt 0x0
	v_cndmask_b32_e64 v3, 0, 1.0, s3
	s_mov_b32 s7, exec_lo
                                        ; implicit-def: $vgpr1
	s_delay_alu instid0(VALU_DEP_1)
	v_cmpx_gt_u32_e32 0x43f00000, v3
	s_xor_b32 s7, exec_lo, s7
	s_cbranch_execz .LBB332_2667
; %bb.2662:
	s_mov_b32 s11, exec_lo
                                        ; implicit-def: $vgpr1
	v_cmpx_lt_u32_e32 0x3c7fffff, v3
	s_xor_b32 s11, exec_lo, s11
; %bb.2663:
	v_bfe_u32 v1, v3, 20, 1
	s_delay_alu instid0(VALU_DEP_1) | instskip(NEXT) | instid1(VALU_DEP_1)
	v_add3_u32 v1, v3, v1, 0x407ffff
	v_and_b32_e32 v3, 0xff00000, v1
	v_lshrrev_b32_e32 v1, 20, v1
	s_delay_alu instid0(VALU_DEP_2) | instskip(NEXT) | instid1(VALU_DEP_2)
	v_cmp_ne_u32_e32 vcc_lo, 0x7f00000, v3
                                        ; implicit-def: $vgpr3
	v_cndmask_b32_e32 v1, 0x7e, v1, vcc_lo
; %bb.2664:
	s_and_not1_saveexec_b32 s11, s11
; %bb.2665:
	v_add_f32_e32 v1, 0x46800000, v3
; %bb.2666:
	s_or_b32 exec_lo, exec_lo, s11
                                        ; implicit-def: $vgpr3
.LBB332_2667:
	s_and_not1_saveexec_b32 s7, s7
; %bb.2668:
	v_mov_b32_e32 v1, 0x7f
	v_cmp_lt_u32_e32 vcc_lo, 0x7f800000, v3
	s_delay_alu instid0(VALU_DEP_2)
	v_cndmask_b32_e32 v1, 0x7e, v1, vcc_lo
; %bb.2669:
	s_or_b32 exec_lo, exec_lo, s7
	global_store_b8 v[6:7], v1, off
.LBB332_2670:
	s_mov_b32 s7, 0
.LBB332_2671:
	s_delay_alu instid0(SALU_CYCLE_1)
	s_and_not1_b32 vcc_lo, exec_lo, s7
	s_cbranch_vccnz .LBB332_2681
; %bb.2672:
	s_wait_xcnt 0x0
	v_cndmask_b32_e64 v3, 0, 1.0, s3
	s_mov_b32 s7, exec_lo
                                        ; implicit-def: $vgpr1
	s_delay_alu instid0(VALU_DEP_1)
	v_cmpx_gt_u32_e32 0x47800000, v3
	s_xor_b32 s7, exec_lo, s7
	s_cbranch_execz .LBB332_2678
; %bb.2673:
	s_mov_b32 s11, exec_lo
                                        ; implicit-def: $vgpr1
	v_cmpx_lt_u32_e32 0x387fffff, v3
	s_xor_b32 s11, exec_lo, s11
; %bb.2674:
	v_bfe_u32 v1, v3, 21, 1
	s_delay_alu instid0(VALU_DEP_1) | instskip(NEXT) | instid1(VALU_DEP_1)
	v_add3_u32 v1, v3, v1, 0x80fffff
                                        ; implicit-def: $vgpr3
	v_lshrrev_b32_e32 v1, 21, v1
; %bb.2675:
	s_and_not1_saveexec_b32 s11, s11
; %bb.2676:
	v_add_f32_e32 v1, 0x43000000, v3
; %bb.2677:
	s_or_b32 exec_lo, exec_lo, s11
                                        ; implicit-def: $vgpr3
.LBB332_2678:
	s_and_not1_saveexec_b32 s7, s7
; %bb.2679:
	v_mov_b32_e32 v1, 0x7f
	v_cmp_lt_u32_e32 vcc_lo, 0x7f800000, v3
	s_delay_alu instid0(VALU_DEP_2)
	v_cndmask_b32_e32 v1, 0x7c, v1, vcc_lo
; %bb.2680:
	s_or_b32 exec_lo, exec_lo, s7
	global_store_b8 v[6:7], v1, off
.LBB332_2681:
	s_mov_b32 s7, 0
	s_mov_b32 s11, -1
.LBB332_2682:
	s_and_not1_b32 vcc_lo, exec_lo, s7
	s_mov_b32 s7, 0
	s_cbranch_vccnz .LBB332_2689
; %bb.2683:
	s_cmp_gt_i32 s6, 14
	s_mov_b32 s7, -1
	s_cbranch_scc0 .LBB332_2687
; %bb.2684:
	s_cmp_eq_u32 s6, 15
	s_mov_b32 s0, -1
	s_cbranch_scc0 .LBB332_2686
; %bb.2685:
	s_wait_xcnt 0x0
	v_cndmask_b32_e64 v1, 0, 1.0, s3
	s_mov_b32 s0, 0
	s_mov_b32 s11, -1
	s_delay_alu instid0(VALU_DEP_1) | instskip(NEXT) | instid1(VALU_DEP_1)
	v_bfe_u32 v3, v1, 16, 1
	v_add3_u32 v1, v1, v3, 0x7fff
	global_store_d16_hi_b16 v[6:7], v1, off
.LBB332_2686:
	s_mov_b32 s7, 0
.LBB332_2687:
	s_delay_alu instid0(SALU_CYCLE_1)
	s_and_b32 vcc_lo, exec_lo, s7
	s_mov_b32 s7, 0
	s_cbranch_vccz .LBB332_2689
; %bb.2688:
	s_cmp_lg_u32 s6, 11
	s_mov_b32 s7, -1
	s_cselect_b32 s0, -1, 0
.LBB332_2689:
	s_delay_alu instid0(SALU_CYCLE_1)
	s_and_b32 vcc_lo, exec_lo, s0
	s_cbranch_vccnz .LBB332_3096
; %bb.2690:
	s_and_not1_b32 vcc_lo, exec_lo, s7
	s_cbranch_vccnz .LBB332_2692
.LBB332_2691:
	s_wait_xcnt 0x0
	v_cndmask_b32_e64 v1, 0, 1, s3
	s_mov_b32 s11, -1
	global_store_b8 v[6:7], v1, off
.LBB332_2692:
.LBB332_2693:
	s_and_not1_b32 vcc_lo, exec_lo, s11
	s_cbranch_vccnz .LBB332_3047
	s_branch .LBB332_2733
.LBB332_2694:
	s_and_b32 vcc_lo, exec_lo, s0
	s_cbranch_vccz .LBB332_2693
; %bb.2695:
	s_and_b32 s0, 0xffff, s1
	s_mov_b32 s6, -1
	s_cmp_lt_i32 s0, 5
	s_cbranch_scc1 .LBB332_2716
; %bb.2696:
	s_cmp_lt_i32 s0, 8
	s_cbranch_scc1 .LBB332_2706
; %bb.2697:
	;; [unrolled: 3-line block ×3, first 2 shown]
	s_cmp_gt_i32 s0, 9
	s_cbranch_scc0 .LBB332_2700
; %bb.2699:
	s_wait_xcnt 0x0
	v_cndmask_b32_e64 v1, 0, 1, s3
	v_mov_b32_e32 v26, 0
	s_mov_b32 s6, 0
	s_delay_alu instid0(VALU_DEP_2) | instskip(NEXT) | instid1(VALU_DEP_2)
	v_cvt_f64_u32_e32 v[24:25], v1
	v_mov_b32_e32 v27, v26
	global_store_b128 v[6:7], v[24:27], off
.LBB332_2700:
	s_and_not1_b32 vcc_lo, exec_lo, s6
	s_cbranch_vccnz .LBB332_2702
; %bb.2701:
	s_wait_xcnt 0x0
	v_cndmask_b32_e64 v8, 0, 1.0, s3
	v_mov_b32_e32 v9, 0
	global_store_b64 v[6:7], v[8:9], off
.LBB332_2702:
	s_mov_b32 s6, 0
.LBB332_2703:
	s_delay_alu instid0(SALU_CYCLE_1)
	s_and_not1_b32 vcc_lo, exec_lo, s6
	s_cbranch_vccnz .LBB332_2705
; %bb.2704:
	s_wait_xcnt 0x0
	v_cndmask_b32_e64 v1, 0, 1.0, s3
	s_delay_alu instid0(VALU_DEP_1) | instskip(NEXT) | instid1(VALU_DEP_1)
	v_cvt_f16_f32_e32 v1, v1
	v_and_b32_e32 v1, 0xffff, v1
	global_store_b32 v[6:7], v1, off
.LBB332_2705:
	s_mov_b32 s6, 0
.LBB332_2706:
	s_delay_alu instid0(SALU_CYCLE_1)
	s_and_not1_b32 vcc_lo, exec_lo, s6
	s_cbranch_vccnz .LBB332_2715
; %bb.2707:
	s_cmp_lt_i32 s0, 6
	s_mov_b32 s6, -1
	s_cbranch_scc1 .LBB332_2713
; %bb.2708:
	s_cmp_gt_i32 s0, 6
	s_cbranch_scc0 .LBB332_2710
; %bb.2709:
	s_wait_xcnt 0x0
	v_cndmask_b32_e64 v1, 0, 1, s3
	s_mov_b32 s6, 0
	s_delay_alu instid0(VALU_DEP_1)
	v_cvt_f64_u32_e32 v[8:9], v1
	global_store_b64 v[6:7], v[8:9], off
.LBB332_2710:
	s_and_not1_b32 vcc_lo, exec_lo, s6
	s_cbranch_vccnz .LBB332_2712
; %bb.2711:
	s_wait_xcnt 0x0
	v_cndmask_b32_e64 v1, 0, 1.0, s3
	global_store_b32 v[6:7], v1, off
.LBB332_2712:
	s_mov_b32 s6, 0
.LBB332_2713:
	s_delay_alu instid0(SALU_CYCLE_1)
	s_and_not1_b32 vcc_lo, exec_lo, s6
	s_cbranch_vccnz .LBB332_2715
; %bb.2714:
	s_wait_xcnt 0x0
	v_cndmask_b32_e64 v1, 0, 1.0, s3
	s_delay_alu instid0(VALU_DEP_1)
	v_cvt_f16_f32_e32 v1, v1
	global_store_b16 v[6:7], v1, off
.LBB332_2715:
	s_mov_b32 s6, 0
.LBB332_2716:
	s_delay_alu instid0(SALU_CYCLE_1)
	s_and_not1_b32 vcc_lo, exec_lo, s6
	s_cbranch_vccnz .LBB332_2732
; %bb.2717:
	s_cmp_lt_i32 s0, 2
	s_mov_b32 s6, -1
	s_cbranch_scc1 .LBB332_2727
; %bb.2718:
	s_cmp_lt_i32 s0, 3
	s_cbranch_scc1 .LBB332_2724
; %bb.2719:
	s_cmp_gt_i32 s0, 3
	s_cbranch_scc0 .LBB332_2721
; %bb.2720:
	s_mov_b32 s6, 0
	s_wait_xcnt 0x0
	v_cndmask_b32_e64 v8, 0, 1, s3
	v_mov_b32_e32 v9, s6
	global_store_b64 v[6:7], v[8:9], off
.LBB332_2721:
	s_and_not1_b32 vcc_lo, exec_lo, s6
	s_cbranch_vccnz .LBB332_2723
; %bb.2722:
	s_wait_xcnt 0x0
	v_cndmask_b32_e64 v1, 0, 1, s3
	global_store_b32 v[6:7], v1, off
.LBB332_2723:
	s_mov_b32 s6, 0
.LBB332_2724:
	s_delay_alu instid0(SALU_CYCLE_1)
	s_and_not1_b32 vcc_lo, exec_lo, s6
	s_cbranch_vccnz .LBB332_2726
; %bb.2725:
	s_wait_xcnt 0x0
	v_cndmask_b32_e64 v1, 0, 1, s3
	global_store_b16 v[6:7], v1, off
.LBB332_2726:
	s_mov_b32 s6, 0
.LBB332_2727:
	s_delay_alu instid0(SALU_CYCLE_1)
	s_and_not1_b32 vcc_lo, exec_lo, s6
	s_cbranch_vccnz .LBB332_2732
; %bb.2728:
	s_wait_xcnt 0x0
	v_cndmask_b32_e64 v1, 0, 1, s3
	s_cmp_gt_i32 s0, 0
	s_mov_b32 s0, -1
	s_cbranch_scc0 .LBB332_2730
; %bb.2729:
	s_mov_b32 s0, 0
	global_store_b8 v[6:7], v1, off
.LBB332_2730:
	s_and_not1_b32 vcc_lo, exec_lo, s0
	s_cbranch_vccnz .LBB332_2732
; %bb.2731:
	global_store_b8 v[6:7], v1, off
.LBB332_2732:
.LBB332_2733:
	s_wait_xcnt 0x0
	v_mov_b32_e32 v5, 0
	v_cmp_ne_u16_e32 vcc_lo, v12, v20
	s_and_b32 s3, 0xffff, s1
	s_delay_alu instid0(VALU_DEP_2)
	v_add_nc_u64_e32 v[4:5], s[4:5], v[4:5]
	s_xor_b32 s6, s2, vcc_lo
	s_cmp_lt_i32 s3, 11
	s_cbranch_scc1 .LBB332_2811
; %bb.2734:
	s_mov_b32 s12, -1
	s_mov_b32 s7, 0
	s_cmp_gt_i32 s3, 25
	s_mov_b32 s11, 0
	s_mov_b32 s0, 0
	s_cbranch_scc0 .LBB332_2767
; %bb.2735:
	s_cmp_gt_i32 s3, 28
	s_cbranch_scc0 .LBB332_2750
; %bb.2736:
	s_cmp_gt_i32 s3, 43
	;; [unrolled: 3-line block ×3, first 2 shown]
	s_cbranch_scc0 .LBB332_2740
; %bb.2738:
	s_mov_b32 s0, -1
	s_mov_b32 s12, 0
	s_cmp_eq_u32 s3, 46
	s_cbranch_scc0 .LBB332_2740
; %bb.2739:
	v_cndmask_b32_e64 v1, 0, 1.0, s6
	s_mov_b32 s0, 0
	s_mov_b32 s11, -1
	s_delay_alu instid0(VALU_DEP_1) | instskip(NEXT) | instid1(VALU_DEP_1)
	v_bfe_u32 v3, v1, 16, 1
	v_add3_u32 v1, v1, v3, 0x7fff
	s_delay_alu instid0(VALU_DEP_1)
	v_lshrrev_b32_e32 v1, 16, v1
	global_store_b32 v[4:5], v1, off
.LBB332_2740:
	s_and_b32 vcc_lo, exec_lo, s12
	s_cbranch_vccz .LBB332_2745
; %bb.2741:
	s_cmp_eq_u32 s3, 44
	s_mov_b32 s0, -1
	s_cbranch_scc0 .LBB332_2745
; %bb.2742:
	v_cndmask_b32_e64 v6, 0, 1.0, s6
	v_mov_b32_e32 v3, 0xff
	s_mov_b32 s11, exec_lo
	s_wait_xcnt 0x0
	s_delay_alu instid0(VALU_DEP_2) | instskip(NEXT) | instid1(VALU_DEP_1)
	v_lshrrev_b32_e32 v1, 23, v6
	v_cmpx_ne_u32_e32 0xff, v1
; %bb.2743:
	v_and_b32_e32 v3, 0x400000, v6
	v_and_or_b32 v6, 0x3fffff, v6, v1
	s_delay_alu instid0(VALU_DEP_2) | instskip(NEXT) | instid1(VALU_DEP_2)
	v_cmp_ne_u32_e32 vcc_lo, 0, v3
	v_cmp_ne_u32_e64 s0, 0, v6
	s_and_b32 s0, vcc_lo, s0
	s_delay_alu instid0(SALU_CYCLE_1) | instskip(NEXT) | instid1(VALU_DEP_1)
	v_cndmask_b32_e64 v3, 0, 1, s0
	v_add_nc_u32_e32 v3, v1, v3
; %bb.2744:
	s_or_b32 exec_lo, exec_lo, s11
	s_mov_b32 s0, 0
	s_mov_b32 s11, -1
	global_store_b8 v[4:5], v3, off
.LBB332_2745:
	s_mov_b32 s12, 0
.LBB332_2746:
	s_delay_alu instid0(SALU_CYCLE_1)
	s_and_b32 vcc_lo, exec_lo, s12
	s_cbranch_vccz .LBB332_2749
; %bb.2747:
	s_cmp_eq_u32 s3, 29
	s_mov_b32 s0, -1
	s_cbranch_scc0 .LBB332_2749
; %bb.2748:
	s_mov_b32 s0, 0
	v_cndmask_b32_e64 v6, 0, 1, s6
	v_mov_b32_e32 v7, s0
	s_mov_b32 s11, -1
	global_store_b64 v[4:5], v[6:7], off
.LBB332_2749:
	s_mov_b32 s12, 0
.LBB332_2750:
	s_delay_alu instid0(SALU_CYCLE_1)
	s_and_b32 vcc_lo, exec_lo, s12
	s_cbranch_vccz .LBB332_2766
; %bb.2751:
	s_cmp_lt_i32 s3, 27
	s_mov_b32 s11, -1
	s_cbranch_scc1 .LBB332_2757
; %bb.2752:
	s_cmp_gt_i32 s3, 27
	s_cbranch_scc0 .LBB332_2754
; %bb.2753:
	s_wait_xcnt 0x0
	v_cndmask_b32_e64 v1, 0, 1, s6
	s_mov_b32 s11, 0
	global_store_b32 v[4:5], v1, off
.LBB332_2754:
	s_and_not1_b32 vcc_lo, exec_lo, s11
	s_cbranch_vccnz .LBB332_2756
; %bb.2755:
	s_wait_xcnt 0x0
	v_cndmask_b32_e64 v1, 0, 1, s6
	global_store_b16 v[4:5], v1, off
.LBB332_2756:
	s_mov_b32 s11, 0
.LBB332_2757:
	s_delay_alu instid0(SALU_CYCLE_1)
	s_and_not1_b32 vcc_lo, exec_lo, s11
	s_cbranch_vccnz .LBB332_2765
; %bb.2758:
	s_wait_xcnt 0x0
	v_cndmask_b32_e64 v3, 0, 1.0, s6
	v_mov_b32_e32 v6, 0x80
	s_mov_b32 s11, exec_lo
	s_delay_alu instid0(VALU_DEP_2)
	v_cmpx_gt_u32_e32 0x43800000, v3
	s_cbranch_execz .LBB332_2764
; %bb.2759:
	s_mov_b32 s12, 0
	s_mov_b32 s13, exec_lo
                                        ; implicit-def: $vgpr1
	v_cmpx_lt_u32_e32 0x3bffffff, v3
	s_xor_b32 s13, exec_lo, s13
	s_cbranch_execz .LBB332_3099
; %bb.2760:
	v_bfe_u32 v1, v3, 20, 1
	s_mov_b32 s12, exec_lo
	s_delay_alu instid0(VALU_DEP_1) | instskip(NEXT) | instid1(VALU_DEP_1)
	v_add3_u32 v1, v3, v1, 0x487ffff
                                        ; implicit-def: $vgpr3
	v_lshrrev_b32_e32 v1, 20, v1
	s_and_not1_saveexec_b32 s13, s13
	s_cbranch_execnz .LBB332_3100
.LBB332_2761:
	s_or_b32 exec_lo, exec_lo, s13
	v_mov_b32_e32 v6, 0
	s_and_saveexec_b32 s13, s12
.LBB332_2762:
	v_mov_b32_e32 v6, v1
.LBB332_2763:
	s_or_b32 exec_lo, exec_lo, s13
.LBB332_2764:
	s_delay_alu instid0(SALU_CYCLE_1)
	s_or_b32 exec_lo, exec_lo, s11
	global_store_b8 v[4:5], v6, off
.LBB332_2765:
	s_mov_b32 s11, -1
.LBB332_2766:
	s_mov_b32 s12, 0
.LBB332_2767:
	s_delay_alu instid0(SALU_CYCLE_1)
	s_and_b32 vcc_lo, exec_lo, s12
	s_cbranch_vccz .LBB332_2807
; %bb.2768:
	s_cmp_gt_i32 s3, 22
	s_mov_b32 s7, -1
	s_cbranch_scc0 .LBB332_2800
; %bb.2769:
	s_cmp_lt_i32 s3, 24
	s_cbranch_scc1 .LBB332_2789
; %bb.2770:
	s_cmp_gt_i32 s3, 24
	s_cbranch_scc0 .LBB332_2778
; %bb.2771:
	s_wait_xcnt 0x0
	v_cndmask_b32_e64 v3, 0, 1.0, s6
	v_mov_b32_e32 v6, 0x80
	s_mov_b32 s7, exec_lo
	s_delay_alu instid0(VALU_DEP_2)
	v_cmpx_gt_u32_e32 0x47800000, v3
	s_cbranch_execz .LBB332_2777
; %bb.2772:
	s_mov_b32 s11, 0
	s_mov_b32 s12, exec_lo
                                        ; implicit-def: $vgpr1
	v_cmpx_lt_u32_e32 0x37ffffff, v3
	s_xor_b32 s12, exec_lo, s12
	s_cbranch_execz .LBB332_3102
; %bb.2773:
	v_bfe_u32 v1, v3, 21, 1
	s_mov_b32 s11, exec_lo
	s_delay_alu instid0(VALU_DEP_1) | instskip(NEXT) | instid1(VALU_DEP_1)
	v_add3_u32 v1, v3, v1, 0x88fffff
                                        ; implicit-def: $vgpr3
	v_lshrrev_b32_e32 v1, 21, v1
	s_and_not1_saveexec_b32 s12, s12
	s_cbranch_execnz .LBB332_3103
.LBB332_2774:
	s_or_b32 exec_lo, exec_lo, s12
	v_mov_b32_e32 v6, 0
	s_and_saveexec_b32 s12, s11
.LBB332_2775:
	v_mov_b32_e32 v6, v1
.LBB332_2776:
	s_or_b32 exec_lo, exec_lo, s12
.LBB332_2777:
	s_delay_alu instid0(SALU_CYCLE_1)
	s_or_b32 exec_lo, exec_lo, s7
	s_mov_b32 s7, 0
	global_store_b8 v[4:5], v6, off
.LBB332_2778:
	s_and_b32 vcc_lo, exec_lo, s7
	s_cbranch_vccz .LBB332_2788
; %bb.2779:
	s_wait_xcnt 0x0
	v_cndmask_b32_e64 v3, 0, 1.0, s6
	s_mov_b32 s7, exec_lo
                                        ; implicit-def: $vgpr1
	s_delay_alu instid0(VALU_DEP_1)
	v_cmpx_gt_u32_e32 0x43f00000, v3
	s_xor_b32 s7, exec_lo, s7
	s_cbranch_execz .LBB332_2785
; %bb.2780:
	s_mov_b32 s11, exec_lo
                                        ; implicit-def: $vgpr1
	v_cmpx_lt_u32_e32 0x3c7fffff, v3
	s_xor_b32 s11, exec_lo, s11
; %bb.2781:
	v_bfe_u32 v1, v3, 20, 1
	s_delay_alu instid0(VALU_DEP_1) | instskip(NEXT) | instid1(VALU_DEP_1)
	v_add3_u32 v1, v3, v1, 0x407ffff
	v_and_b32_e32 v3, 0xff00000, v1
	v_lshrrev_b32_e32 v1, 20, v1
	s_delay_alu instid0(VALU_DEP_2) | instskip(NEXT) | instid1(VALU_DEP_2)
	v_cmp_ne_u32_e32 vcc_lo, 0x7f00000, v3
                                        ; implicit-def: $vgpr3
	v_cndmask_b32_e32 v1, 0x7e, v1, vcc_lo
; %bb.2782:
	s_and_not1_saveexec_b32 s11, s11
; %bb.2783:
	v_add_f32_e32 v1, 0x46800000, v3
; %bb.2784:
	s_or_b32 exec_lo, exec_lo, s11
                                        ; implicit-def: $vgpr3
.LBB332_2785:
	s_and_not1_saveexec_b32 s7, s7
; %bb.2786:
	v_mov_b32_e32 v1, 0x7f
	v_cmp_lt_u32_e32 vcc_lo, 0x7f800000, v3
	s_delay_alu instid0(VALU_DEP_2)
	v_cndmask_b32_e32 v1, 0x7e, v1, vcc_lo
; %bb.2787:
	s_or_b32 exec_lo, exec_lo, s7
	global_store_b8 v[4:5], v1, off
.LBB332_2788:
	s_mov_b32 s7, 0
.LBB332_2789:
	s_delay_alu instid0(SALU_CYCLE_1)
	s_and_not1_b32 vcc_lo, exec_lo, s7
	s_cbranch_vccnz .LBB332_2799
; %bb.2790:
	s_wait_xcnt 0x0
	v_cndmask_b32_e64 v3, 0, 1.0, s6
	s_mov_b32 s7, exec_lo
                                        ; implicit-def: $vgpr1
	s_delay_alu instid0(VALU_DEP_1)
	v_cmpx_gt_u32_e32 0x47800000, v3
	s_xor_b32 s7, exec_lo, s7
	s_cbranch_execz .LBB332_2796
; %bb.2791:
	s_mov_b32 s11, exec_lo
                                        ; implicit-def: $vgpr1
	v_cmpx_lt_u32_e32 0x387fffff, v3
	s_xor_b32 s11, exec_lo, s11
; %bb.2792:
	v_bfe_u32 v1, v3, 21, 1
	s_delay_alu instid0(VALU_DEP_1) | instskip(NEXT) | instid1(VALU_DEP_1)
	v_add3_u32 v1, v3, v1, 0x80fffff
                                        ; implicit-def: $vgpr3
	v_lshrrev_b32_e32 v1, 21, v1
; %bb.2793:
	s_and_not1_saveexec_b32 s11, s11
; %bb.2794:
	v_add_f32_e32 v1, 0x43000000, v3
; %bb.2795:
	s_or_b32 exec_lo, exec_lo, s11
                                        ; implicit-def: $vgpr3
.LBB332_2796:
	s_and_not1_saveexec_b32 s7, s7
; %bb.2797:
	v_mov_b32_e32 v1, 0x7f
	v_cmp_lt_u32_e32 vcc_lo, 0x7f800000, v3
	s_delay_alu instid0(VALU_DEP_2)
	v_cndmask_b32_e32 v1, 0x7c, v1, vcc_lo
; %bb.2798:
	s_or_b32 exec_lo, exec_lo, s7
	global_store_b8 v[4:5], v1, off
.LBB332_2799:
	s_mov_b32 s7, 0
	s_mov_b32 s11, -1
.LBB332_2800:
	s_and_not1_b32 vcc_lo, exec_lo, s7
	s_mov_b32 s7, 0
	s_cbranch_vccnz .LBB332_2807
; %bb.2801:
	s_cmp_gt_i32 s3, 14
	s_mov_b32 s7, -1
	s_cbranch_scc0 .LBB332_2805
; %bb.2802:
	s_cmp_eq_u32 s3, 15
	s_mov_b32 s0, -1
	s_cbranch_scc0 .LBB332_2804
; %bb.2803:
	s_wait_xcnt 0x0
	v_cndmask_b32_e64 v1, 0, 1.0, s6
	s_mov_b32 s0, 0
	s_mov_b32 s11, -1
	s_delay_alu instid0(VALU_DEP_1) | instskip(NEXT) | instid1(VALU_DEP_1)
	v_bfe_u32 v3, v1, 16, 1
	v_add3_u32 v1, v1, v3, 0x7fff
	global_store_d16_hi_b16 v[4:5], v1, off
.LBB332_2804:
	s_mov_b32 s7, 0
.LBB332_2805:
	s_delay_alu instid0(SALU_CYCLE_1)
	s_and_b32 vcc_lo, exec_lo, s7
	s_mov_b32 s7, 0
	s_cbranch_vccz .LBB332_2807
; %bb.2806:
	s_cmp_lg_u32 s3, 11
	s_mov_b32 s7, -1
	s_cselect_b32 s0, -1, 0
.LBB332_2807:
	s_delay_alu instid0(SALU_CYCLE_1)
	s_and_b32 vcc_lo, exec_lo, s0
	s_cbranch_vccnz .LBB332_3101
; %bb.2808:
	s_and_not1_b32 vcc_lo, exec_lo, s7
	s_cbranch_vccnz .LBB332_2810
.LBB332_2809:
	s_wait_xcnt 0x0
	v_cndmask_b32_e64 v1, 0, 1, s6
	s_mov_b32 s11, -1
	global_store_b8 v[4:5], v1, off
.LBB332_2810:
	s_mov_b32 s0, 0
	s_branch .LBB332_2812
.LBB332_2811:
	s_mov_b32 s0, -1
	s_mov_b32 s11, 0
.LBB332_2812:
	s_and_b32 vcc_lo, exec_lo, s0
	s_cbranch_vccz .LBB332_2851
; %bb.2813:
	s_cmp_lt_i32 s3, 5
	s_mov_b32 s0, -1
	s_cbranch_scc1 .LBB332_2834
; %bb.2814:
	s_cmp_lt_i32 s3, 8
	s_cbranch_scc1 .LBB332_2824
; %bb.2815:
	s_cmp_lt_i32 s3, 9
	s_cbranch_scc1 .LBB332_2821
; %bb.2816:
	s_cmp_gt_i32 s3, 9
	s_cbranch_scc0 .LBB332_2818
; %bb.2817:
	s_wait_xcnt 0x0
	v_cndmask_b32_e64 v1, 0, 1, s6
	v_mov_b32_e32 v8, 0
	s_mov_b32 s0, 0
	s_delay_alu instid0(VALU_DEP_2) | instskip(NEXT) | instid1(VALU_DEP_2)
	v_cvt_f64_u32_e32 v[6:7], v1
	v_mov_b32_e32 v9, v8
	global_store_b128 v[4:5], v[6:9], off
.LBB332_2818:
	s_and_not1_b32 vcc_lo, exec_lo, s0
	s_cbranch_vccnz .LBB332_2820
; %bb.2819:
	s_wait_xcnt 0x0
	v_cndmask_b32_e64 v6, 0, 1.0, s6
	v_mov_b32_e32 v7, 0
	global_store_b64 v[4:5], v[6:7], off
.LBB332_2820:
	s_mov_b32 s0, 0
.LBB332_2821:
	s_delay_alu instid0(SALU_CYCLE_1)
	s_and_not1_b32 vcc_lo, exec_lo, s0
	s_cbranch_vccnz .LBB332_2823
; %bb.2822:
	s_wait_xcnt 0x0
	v_cndmask_b32_e64 v1, 0, 1.0, s6
	s_delay_alu instid0(VALU_DEP_1) | instskip(NEXT) | instid1(VALU_DEP_1)
	v_cvt_f16_f32_e32 v1, v1
	v_and_b32_e32 v1, 0xffff, v1
	global_store_b32 v[4:5], v1, off
.LBB332_2823:
	s_mov_b32 s0, 0
.LBB332_2824:
	s_delay_alu instid0(SALU_CYCLE_1)
	s_and_not1_b32 vcc_lo, exec_lo, s0
	s_cbranch_vccnz .LBB332_2833
; %bb.2825:
	s_cmp_lt_i32 s3, 6
	s_mov_b32 s0, -1
	s_cbranch_scc1 .LBB332_2831
; %bb.2826:
	s_cmp_gt_i32 s3, 6
	s_cbranch_scc0 .LBB332_2828
; %bb.2827:
	s_wait_xcnt 0x0
	v_cndmask_b32_e64 v1, 0, 1, s6
	s_mov_b32 s0, 0
	s_delay_alu instid0(VALU_DEP_1)
	v_cvt_f64_u32_e32 v[6:7], v1
	global_store_b64 v[4:5], v[6:7], off
.LBB332_2828:
	s_and_not1_b32 vcc_lo, exec_lo, s0
	s_cbranch_vccnz .LBB332_2830
; %bb.2829:
	s_wait_xcnt 0x0
	v_cndmask_b32_e64 v1, 0, 1.0, s6
	global_store_b32 v[4:5], v1, off
.LBB332_2830:
	s_mov_b32 s0, 0
.LBB332_2831:
	s_delay_alu instid0(SALU_CYCLE_1)
	s_and_not1_b32 vcc_lo, exec_lo, s0
	s_cbranch_vccnz .LBB332_2833
; %bb.2832:
	s_wait_xcnt 0x0
	v_cndmask_b32_e64 v1, 0, 1.0, s6
	s_delay_alu instid0(VALU_DEP_1)
	v_cvt_f16_f32_e32 v1, v1
	global_store_b16 v[4:5], v1, off
.LBB332_2833:
	s_mov_b32 s0, 0
.LBB332_2834:
	s_delay_alu instid0(SALU_CYCLE_1)
	s_and_not1_b32 vcc_lo, exec_lo, s0
	s_cbranch_vccnz .LBB332_2850
; %bb.2835:
	s_cmp_lt_i32 s3, 2
	s_mov_b32 s0, -1
	s_cbranch_scc1 .LBB332_2845
; %bb.2836:
	s_cmp_lt_i32 s3, 3
	s_cbranch_scc1 .LBB332_2842
; %bb.2837:
	s_cmp_gt_i32 s3, 3
	s_cbranch_scc0 .LBB332_2839
; %bb.2838:
	s_mov_b32 s0, 0
	s_wait_xcnt 0x0
	v_cndmask_b32_e64 v6, 0, 1, s6
	v_mov_b32_e32 v7, s0
	global_store_b64 v[4:5], v[6:7], off
.LBB332_2839:
	s_and_not1_b32 vcc_lo, exec_lo, s0
	s_cbranch_vccnz .LBB332_2841
; %bb.2840:
	s_wait_xcnt 0x0
	v_cndmask_b32_e64 v1, 0, 1, s6
	global_store_b32 v[4:5], v1, off
.LBB332_2841:
	s_mov_b32 s0, 0
.LBB332_2842:
	s_delay_alu instid0(SALU_CYCLE_1)
	s_and_not1_b32 vcc_lo, exec_lo, s0
	s_cbranch_vccnz .LBB332_2844
; %bb.2843:
	s_wait_xcnt 0x0
	v_cndmask_b32_e64 v1, 0, 1, s6
	global_store_b16 v[4:5], v1, off
.LBB332_2844:
	s_mov_b32 s0, 0
.LBB332_2845:
	s_delay_alu instid0(SALU_CYCLE_1)
	s_and_not1_b32 vcc_lo, exec_lo, s0
	s_cbranch_vccnz .LBB332_2850
; %bb.2846:
	s_wait_xcnt 0x0
	v_cndmask_b32_e64 v1, 0, 1, s6
	s_cmp_gt_i32 s3, 0
	s_mov_b32 s0, -1
	s_cbranch_scc0 .LBB332_2848
; %bb.2847:
	s_mov_b32 s0, 0
	global_store_b8 v[4:5], v1, off
.LBB332_2848:
	s_and_not1_b32 vcc_lo, exec_lo, s0
	s_cbranch_vccnz .LBB332_2850
; %bb.2849:
	global_store_b8 v[4:5], v1, off
.LBB332_2850:
	s_mov_b32 s11, -1
.LBB332_2851:
	s_delay_alu instid0(SALU_CYCLE_1)
	s_and_not1_b32 vcc_lo, exec_lo, s11
	s_cbranch_vccnz .LBB332_3047
; %bb.2852:
	s_wait_xcnt 0x0
	v_mov_b32_e32 v3, 0
	v_cmp_ne_u16_e32 vcc_lo, v18, v22
	s_delay_alu instid0(VALU_DEP_2)
	v_add_nc_u64_e32 v[2:3], s[4:5], v[2:3]
	s_xor_b32 s6, s2, vcc_lo
	s_cmp_lt_i32 s3, 11
	s_cbranch_scc1 .LBB332_2930
; %bb.2853:
	s_mov_b32 s12, -1
	s_mov_b32 s7, 0
	s_cmp_gt_i32 s3, 25
	s_mov_b32 s11, 0
	s_mov_b32 s0, 0
	s_cbranch_scc0 .LBB332_2886
; %bb.2854:
	s_cmp_gt_i32 s3, 28
	s_cbranch_scc0 .LBB332_2869
; %bb.2855:
	s_cmp_gt_i32 s3, 43
	;; [unrolled: 3-line block ×3, first 2 shown]
	s_cbranch_scc0 .LBB332_2859
; %bb.2857:
	s_mov_b32 s0, -1
	s_mov_b32 s12, 0
	s_cmp_eq_u32 s3, 46
	s_cbranch_scc0 .LBB332_2859
; %bb.2858:
	v_cndmask_b32_e64 v1, 0, 1.0, s6
	s_mov_b32 s0, 0
	s_mov_b32 s11, -1
	s_delay_alu instid0(VALU_DEP_1) | instskip(NEXT) | instid1(VALU_DEP_1)
	v_bfe_u32 v4, v1, 16, 1
	v_add3_u32 v1, v1, v4, 0x7fff
	s_delay_alu instid0(VALU_DEP_1)
	v_lshrrev_b32_e32 v1, 16, v1
	global_store_b32 v[2:3], v1, off
.LBB332_2859:
	s_and_b32 vcc_lo, exec_lo, s12
	s_cbranch_vccz .LBB332_2864
; %bb.2860:
	s_cmp_eq_u32 s3, 44
	s_mov_b32 s0, -1
	s_cbranch_scc0 .LBB332_2864
; %bb.2861:
	v_cndmask_b32_e64 v5, 0, 1.0, s6
	s_mov_b32 s11, exec_lo
	s_wait_xcnt 0x0
	s_delay_alu instid0(VALU_DEP_1) | instskip(NEXT) | instid1(VALU_DEP_1)
	v_dual_mov_b32 v4, 0xff :: v_dual_lshrrev_b32 v1, 23, v5
	v_cmpx_ne_u32_e32 0xff, v1
; %bb.2862:
	v_and_b32_e32 v4, 0x400000, v5
	v_and_or_b32 v5, 0x3fffff, v5, v1
	s_delay_alu instid0(VALU_DEP_2) | instskip(NEXT) | instid1(VALU_DEP_2)
	v_cmp_ne_u32_e32 vcc_lo, 0, v4
	v_cmp_ne_u32_e64 s0, 0, v5
	s_and_b32 s0, vcc_lo, s0
	s_delay_alu instid0(SALU_CYCLE_1) | instskip(NEXT) | instid1(VALU_DEP_1)
	v_cndmask_b32_e64 v4, 0, 1, s0
	v_add_nc_u32_e32 v4, v1, v4
; %bb.2863:
	s_or_b32 exec_lo, exec_lo, s11
	s_mov_b32 s0, 0
	s_mov_b32 s11, -1
	global_store_b8 v[2:3], v4, off
.LBB332_2864:
	s_mov_b32 s12, 0
.LBB332_2865:
	s_delay_alu instid0(SALU_CYCLE_1)
	s_and_b32 vcc_lo, exec_lo, s12
	s_cbranch_vccz .LBB332_2868
; %bb.2866:
	s_cmp_eq_u32 s3, 29
	s_mov_b32 s0, -1
	s_cbranch_scc0 .LBB332_2868
; %bb.2867:
	s_mov_b32 s0, 0
	s_wait_xcnt 0x0
	v_cndmask_b32_e64 v4, 0, 1, s6
	v_mov_b32_e32 v5, s0
	s_mov_b32 s11, -1
	global_store_b64 v[2:3], v[4:5], off
.LBB332_2868:
	s_mov_b32 s12, 0
.LBB332_2869:
	s_delay_alu instid0(SALU_CYCLE_1)
	s_and_b32 vcc_lo, exec_lo, s12
	s_cbranch_vccz .LBB332_2885
; %bb.2870:
	s_cmp_lt_i32 s3, 27
	s_mov_b32 s11, -1
	s_cbranch_scc1 .LBB332_2876
; %bb.2871:
	s_cmp_gt_i32 s3, 27
	s_cbranch_scc0 .LBB332_2873
; %bb.2872:
	s_wait_xcnt 0x0
	v_cndmask_b32_e64 v1, 0, 1, s6
	s_mov_b32 s11, 0
	global_store_b32 v[2:3], v1, off
.LBB332_2873:
	s_and_not1_b32 vcc_lo, exec_lo, s11
	s_cbranch_vccnz .LBB332_2875
; %bb.2874:
	s_wait_xcnt 0x0
	v_cndmask_b32_e64 v1, 0, 1, s6
	global_store_b16 v[2:3], v1, off
.LBB332_2875:
	s_mov_b32 s11, 0
.LBB332_2876:
	s_delay_alu instid0(SALU_CYCLE_1)
	s_and_not1_b32 vcc_lo, exec_lo, s11
	s_cbranch_vccnz .LBB332_2884
; %bb.2877:
	s_wait_xcnt 0x0
	v_cndmask_b32_e64 v4, 0, 1.0, s6
	v_mov_b32_e32 v5, 0x80
	s_mov_b32 s11, exec_lo
	s_delay_alu instid0(VALU_DEP_2)
	v_cmpx_gt_u32_e32 0x43800000, v4
	s_cbranch_execz .LBB332_2883
; %bb.2878:
	s_mov_b32 s12, 0
	s_mov_b32 s13, exec_lo
                                        ; implicit-def: $vgpr1
	v_cmpx_lt_u32_e32 0x3bffffff, v4
	s_xor_b32 s13, exec_lo, s13
	s_cbranch_execz .LBB332_3104
; %bb.2879:
	v_bfe_u32 v1, v4, 20, 1
	s_mov_b32 s12, exec_lo
	s_delay_alu instid0(VALU_DEP_1) | instskip(NEXT) | instid1(VALU_DEP_1)
	v_add3_u32 v1, v4, v1, 0x487ffff
                                        ; implicit-def: $vgpr4
	v_lshrrev_b32_e32 v1, 20, v1
	s_and_not1_saveexec_b32 s13, s13
	s_cbranch_execnz .LBB332_3105
.LBB332_2880:
	s_or_b32 exec_lo, exec_lo, s13
	v_mov_b32_e32 v5, 0
	s_and_saveexec_b32 s13, s12
.LBB332_2881:
	v_mov_b32_e32 v5, v1
.LBB332_2882:
	s_or_b32 exec_lo, exec_lo, s13
.LBB332_2883:
	s_delay_alu instid0(SALU_CYCLE_1)
	s_or_b32 exec_lo, exec_lo, s11
	global_store_b8 v[2:3], v5, off
.LBB332_2884:
	s_mov_b32 s11, -1
.LBB332_2885:
	s_mov_b32 s12, 0
.LBB332_2886:
	s_delay_alu instid0(SALU_CYCLE_1)
	s_and_b32 vcc_lo, exec_lo, s12
	s_cbranch_vccz .LBB332_2926
; %bb.2887:
	s_cmp_gt_i32 s3, 22
	s_mov_b32 s7, -1
	s_cbranch_scc0 .LBB332_2919
; %bb.2888:
	s_cmp_lt_i32 s3, 24
	s_cbranch_scc1 .LBB332_2908
; %bb.2889:
	s_cmp_gt_i32 s3, 24
	s_cbranch_scc0 .LBB332_2897
; %bb.2890:
	s_wait_xcnt 0x0
	v_cndmask_b32_e64 v4, 0, 1.0, s6
	v_mov_b32_e32 v5, 0x80
	s_mov_b32 s7, exec_lo
	s_delay_alu instid0(VALU_DEP_2)
	v_cmpx_gt_u32_e32 0x47800000, v4
	s_cbranch_execz .LBB332_2896
; %bb.2891:
	s_mov_b32 s11, 0
	s_mov_b32 s12, exec_lo
                                        ; implicit-def: $vgpr1
	v_cmpx_lt_u32_e32 0x37ffffff, v4
	s_xor_b32 s12, exec_lo, s12
	s_cbranch_execz .LBB332_3107
; %bb.2892:
	v_bfe_u32 v1, v4, 21, 1
	s_mov_b32 s11, exec_lo
	s_delay_alu instid0(VALU_DEP_1) | instskip(NEXT) | instid1(VALU_DEP_1)
	v_add3_u32 v1, v4, v1, 0x88fffff
                                        ; implicit-def: $vgpr4
	v_lshrrev_b32_e32 v1, 21, v1
	s_and_not1_saveexec_b32 s12, s12
	s_cbranch_execnz .LBB332_3108
.LBB332_2893:
	s_or_b32 exec_lo, exec_lo, s12
	v_mov_b32_e32 v5, 0
	s_and_saveexec_b32 s12, s11
.LBB332_2894:
	v_mov_b32_e32 v5, v1
.LBB332_2895:
	s_or_b32 exec_lo, exec_lo, s12
.LBB332_2896:
	s_delay_alu instid0(SALU_CYCLE_1)
	s_or_b32 exec_lo, exec_lo, s7
	s_mov_b32 s7, 0
	global_store_b8 v[2:3], v5, off
.LBB332_2897:
	s_and_b32 vcc_lo, exec_lo, s7
	s_cbranch_vccz .LBB332_2907
; %bb.2898:
	s_wait_xcnt 0x0
	v_cndmask_b32_e64 v4, 0, 1.0, s6
	s_mov_b32 s7, exec_lo
                                        ; implicit-def: $vgpr1
	s_delay_alu instid0(VALU_DEP_1)
	v_cmpx_gt_u32_e32 0x43f00000, v4
	s_xor_b32 s7, exec_lo, s7
	s_cbranch_execz .LBB332_2904
; %bb.2899:
	s_mov_b32 s11, exec_lo
                                        ; implicit-def: $vgpr1
	v_cmpx_lt_u32_e32 0x3c7fffff, v4
	s_xor_b32 s11, exec_lo, s11
; %bb.2900:
	v_bfe_u32 v1, v4, 20, 1
	s_delay_alu instid0(VALU_DEP_1) | instskip(NEXT) | instid1(VALU_DEP_1)
	v_add3_u32 v1, v4, v1, 0x407ffff
	v_and_b32_e32 v4, 0xff00000, v1
	v_lshrrev_b32_e32 v1, 20, v1
	s_delay_alu instid0(VALU_DEP_2) | instskip(NEXT) | instid1(VALU_DEP_2)
	v_cmp_ne_u32_e32 vcc_lo, 0x7f00000, v4
                                        ; implicit-def: $vgpr4
	v_cndmask_b32_e32 v1, 0x7e, v1, vcc_lo
; %bb.2901:
	s_and_not1_saveexec_b32 s11, s11
; %bb.2902:
	v_add_f32_e32 v1, 0x46800000, v4
; %bb.2903:
	s_or_b32 exec_lo, exec_lo, s11
                                        ; implicit-def: $vgpr4
.LBB332_2904:
	s_and_not1_saveexec_b32 s7, s7
; %bb.2905:
	v_mov_b32_e32 v1, 0x7f
	v_cmp_lt_u32_e32 vcc_lo, 0x7f800000, v4
	s_delay_alu instid0(VALU_DEP_2)
	v_cndmask_b32_e32 v1, 0x7e, v1, vcc_lo
; %bb.2906:
	s_or_b32 exec_lo, exec_lo, s7
	global_store_b8 v[2:3], v1, off
.LBB332_2907:
	s_mov_b32 s7, 0
.LBB332_2908:
	s_delay_alu instid0(SALU_CYCLE_1)
	s_and_not1_b32 vcc_lo, exec_lo, s7
	s_cbranch_vccnz .LBB332_2918
; %bb.2909:
	s_wait_xcnt 0x0
	v_cndmask_b32_e64 v4, 0, 1.0, s6
	s_mov_b32 s7, exec_lo
                                        ; implicit-def: $vgpr1
	s_delay_alu instid0(VALU_DEP_1)
	v_cmpx_gt_u32_e32 0x47800000, v4
	s_xor_b32 s7, exec_lo, s7
	s_cbranch_execz .LBB332_2915
; %bb.2910:
	s_mov_b32 s11, exec_lo
                                        ; implicit-def: $vgpr1
	v_cmpx_lt_u32_e32 0x387fffff, v4
	s_xor_b32 s11, exec_lo, s11
; %bb.2911:
	v_bfe_u32 v1, v4, 21, 1
	s_delay_alu instid0(VALU_DEP_1) | instskip(NEXT) | instid1(VALU_DEP_1)
	v_add3_u32 v1, v4, v1, 0x80fffff
                                        ; implicit-def: $vgpr4
	v_lshrrev_b32_e32 v1, 21, v1
; %bb.2912:
	s_and_not1_saveexec_b32 s11, s11
; %bb.2913:
	v_add_f32_e32 v1, 0x43000000, v4
; %bb.2914:
	s_or_b32 exec_lo, exec_lo, s11
                                        ; implicit-def: $vgpr4
.LBB332_2915:
	s_and_not1_saveexec_b32 s7, s7
; %bb.2916:
	v_mov_b32_e32 v1, 0x7f
	v_cmp_lt_u32_e32 vcc_lo, 0x7f800000, v4
	s_delay_alu instid0(VALU_DEP_2)
	v_cndmask_b32_e32 v1, 0x7c, v1, vcc_lo
; %bb.2917:
	s_or_b32 exec_lo, exec_lo, s7
	global_store_b8 v[2:3], v1, off
.LBB332_2918:
	s_mov_b32 s7, 0
	s_mov_b32 s11, -1
.LBB332_2919:
	s_and_not1_b32 vcc_lo, exec_lo, s7
	s_mov_b32 s7, 0
	s_cbranch_vccnz .LBB332_2926
; %bb.2920:
	s_cmp_gt_i32 s3, 14
	s_mov_b32 s7, -1
	s_cbranch_scc0 .LBB332_2924
; %bb.2921:
	s_cmp_eq_u32 s3, 15
	s_mov_b32 s0, -1
	s_cbranch_scc0 .LBB332_2923
; %bb.2922:
	s_wait_xcnt 0x0
	v_cndmask_b32_e64 v1, 0, 1.0, s6
	s_mov_b32 s0, 0
	s_mov_b32 s11, -1
	s_delay_alu instid0(VALU_DEP_1) | instskip(NEXT) | instid1(VALU_DEP_1)
	v_bfe_u32 v4, v1, 16, 1
	v_add3_u32 v1, v1, v4, 0x7fff
	global_store_d16_hi_b16 v[2:3], v1, off
.LBB332_2923:
	s_mov_b32 s7, 0
.LBB332_2924:
	s_delay_alu instid0(SALU_CYCLE_1)
	s_and_b32 vcc_lo, exec_lo, s7
	s_mov_b32 s7, 0
	s_cbranch_vccz .LBB332_2926
; %bb.2925:
	s_cmp_lg_u32 s3, 11
	s_mov_b32 s7, -1
	s_cselect_b32 s0, -1, 0
.LBB332_2926:
	s_delay_alu instid0(SALU_CYCLE_1)
	s_and_b32 vcc_lo, exec_lo, s0
	s_cbranch_vccnz .LBB332_3106
; %bb.2927:
	s_and_not1_b32 vcc_lo, exec_lo, s7
	s_cbranch_vccnz .LBB332_2929
.LBB332_2928:
	s_wait_xcnt 0x0
	v_cndmask_b32_e64 v1, 0, 1, s6
	s_mov_b32 s11, -1
	global_store_b8 v[2:3], v1, off
.LBB332_2929:
	s_mov_b32 s0, 0
	s_branch .LBB332_2931
.LBB332_2930:
	s_mov_b32 s0, -1
	s_mov_b32 s11, 0
.LBB332_2931:
	s_and_b32 vcc_lo, exec_lo, s0
	s_cbranch_vccz .LBB332_2970
; %bb.2932:
	s_cmp_lt_i32 s3, 5
	s_mov_b32 s0, -1
	s_cbranch_scc1 .LBB332_2953
; %bb.2933:
	s_cmp_lt_i32 s3, 8
	s_cbranch_scc1 .LBB332_2943
; %bb.2934:
	s_cmp_lt_i32 s3, 9
	s_cbranch_scc1 .LBB332_2940
; %bb.2935:
	s_cmp_gt_i32 s3, 9
	s_cbranch_scc0 .LBB332_2937
; %bb.2936:
	s_wait_xcnt 0x0
	v_cndmask_b32_e64 v1, 0, 1, s6
	v_mov_b32_e32 v6, 0
	s_mov_b32 s0, 0
	s_delay_alu instid0(VALU_DEP_2) | instskip(NEXT) | instid1(VALU_DEP_2)
	v_cvt_f64_u32_e32 v[4:5], v1
	v_mov_b32_e32 v7, v6
	global_store_b128 v[2:3], v[4:7], off
.LBB332_2937:
	s_and_not1_b32 vcc_lo, exec_lo, s0
	s_cbranch_vccnz .LBB332_2939
; %bb.2938:
	s_wait_xcnt 0x0
	v_cndmask_b32_e64 v4, 0, 1.0, s6
	v_mov_b32_e32 v5, 0
	global_store_b64 v[2:3], v[4:5], off
.LBB332_2939:
	s_mov_b32 s0, 0
.LBB332_2940:
	s_delay_alu instid0(SALU_CYCLE_1)
	s_and_not1_b32 vcc_lo, exec_lo, s0
	s_cbranch_vccnz .LBB332_2942
; %bb.2941:
	s_wait_xcnt 0x0
	v_cndmask_b32_e64 v1, 0, 1.0, s6
	s_delay_alu instid0(VALU_DEP_1) | instskip(NEXT) | instid1(VALU_DEP_1)
	v_cvt_f16_f32_e32 v1, v1
	v_and_b32_e32 v1, 0xffff, v1
	global_store_b32 v[2:3], v1, off
.LBB332_2942:
	s_mov_b32 s0, 0
.LBB332_2943:
	s_delay_alu instid0(SALU_CYCLE_1)
	s_and_not1_b32 vcc_lo, exec_lo, s0
	s_cbranch_vccnz .LBB332_2952
; %bb.2944:
	s_cmp_lt_i32 s3, 6
	s_mov_b32 s0, -1
	s_cbranch_scc1 .LBB332_2950
; %bb.2945:
	s_cmp_gt_i32 s3, 6
	s_cbranch_scc0 .LBB332_2947
; %bb.2946:
	s_wait_xcnt 0x0
	v_cndmask_b32_e64 v1, 0, 1, s6
	s_mov_b32 s0, 0
	s_delay_alu instid0(VALU_DEP_1)
	v_cvt_f64_u32_e32 v[4:5], v1
	global_store_b64 v[2:3], v[4:5], off
.LBB332_2947:
	s_and_not1_b32 vcc_lo, exec_lo, s0
	s_cbranch_vccnz .LBB332_2949
; %bb.2948:
	s_wait_xcnt 0x0
	v_cndmask_b32_e64 v1, 0, 1.0, s6
	global_store_b32 v[2:3], v1, off
.LBB332_2949:
	s_mov_b32 s0, 0
.LBB332_2950:
	s_delay_alu instid0(SALU_CYCLE_1)
	s_and_not1_b32 vcc_lo, exec_lo, s0
	s_cbranch_vccnz .LBB332_2952
; %bb.2951:
	s_wait_xcnt 0x0
	v_cndmask_b32_e64 v1, 0, 1.0, s6
	s_delay_alu instid0(VALU_DEP_1)
	v_cvt_f16_f32_e32 v1, v1
	global_store_b16 v[2:3], v1, off
.LBB332_2952:
	s_mov_b32 s0, 0
.LBB332_2953:
	s_delay_alu instid0(SALU_CYCLE_1)
	s_and_not1_b32 vcc_lo, exec_lo, s0
	s_cbranch_vccnz .LBB332_2969
; %bb.2954:
	s_cmp_lt_i32 s3, 2
	s_mov_b32 s0, -1
	s_cbranch_scc1 .LBB332_2964
; %bb.2955:
	s_cmp_lt_i32 s3, 3
	s_cbranch_scc1 .LBB332_2961
; %bb.2956:
	s_cmp_gt_i32 s3, 3
	s_cbranch_scc0 .LBB332_2958
; %bb.2957:
	s_mov_b32 s0, 0
	s_wait_xcnt 0x0
	v_cndmask_b32_e64 v4, 0, 1, s6
	v_mov_b32_e32 v5, s0
	global_store_b64 v[2:3], v[4:5], off
.LBB332_2958:
	s_and_not1_b32 vcc_lo, exec_lo, s0
	s_cbranch_vccnz .LBB332_2960
; %bb.2959:
	s_wait_xcnt 0x0
	v_cndmask_b32_e64 v1, 0, 1, s6
	global_store_b32 v[2:3], v1, off
.LBB332_2960:
	s_mov_b32 s0, 0
.LBB332_2961:
	s_delay_alu instid0(SALU_CYCLE_1)
	s_and_not1_b32 vcc_lo, exec_lo, s0
	s_cbranch_vccnz .LBB332_2963
; %bb.2962:
	s_wait_xcnt 0x0
	v_cndmask_b32_e64 v1, 0, 1, s6
	global_store_b16 v[2:3], v1, off
.LBB332_2963:
	s_mov_b32 s0, 0
.LBB332_2964:
	s_delay_alu instid0(SALU_CYCLE_1)
	s_and_not1_b32 vcc_lo, exec_lo, s0
	s_cbranch_vccnz .LBB332_2969
; %bb.2965:
	s_cmp_gt_i32 s3, 0
	s_mov_b32 s0, -1
	s_cbranch_scc0 .LBB332_2967
; %bb.2966:
	s_wait_xcnt 0x0
	v_cndmask_b32_e64 v1, 0, 1, s6
	s_mov_b32 s0, 0
	global_store_b8 v[2:3], v1, off
.LBB332_2967:
	s_and_not1_b32 vcc_lo, exec_lo, s0
	s_cbranch_vccnz .LBB332_2969
; %bb.2968:
	s_wait_xcnt 0x0
	v_cndmask_b32_e64 v1, 0, 1, s6
	global_store_b8 v[2:3], v1, off
.LBB332_2969:
	s_mov_b32 s11, -1
.LBB332_2970:
	s_delay_alu instid0(SALU_CYCLE_1)
	s_and_not1_b32 vcc_lo, exec_lo, s11
	s_cbranch_vccnz .LBB332_3047
; %bb.2971:
	s_wait_xcnt 0x0
	v_mov_b32_e32 v1, 0
	v_cmp_ne_u16_e32 vcc_lo, v16, v10
	s_delay_alu instid0(VALU_DEP_2)
	v_add_nc_u64_e32 v[2:3], s[4:5], v[0:1]
	s_xor_b32 s4, s2, vcc_lo
	s_cmp_lt_i32 s3, 11
	s_cbranch_scc1 .LBB332_3092
; %bb.2972:
	s_mov_b32 s5, -1
	s_mov_b32 s2, 0
	s_cmp_gt_i32 s3, 25
	s_mov_b32 s0, 0
	s_cbranch_scc0 .LBB332_3005
; %bb.2973:
	s_cmp_gt_i32 s3, 28
	s_cbranch_scc0 .LBB332_2989
; %bb.2974:
	s_cmp_gt_i32 s3, 43
	;; [unrolled: 3-line block ×3, first 2 shown]
	s_cbranch_scc0 .LBB332_2979
; %bb.2976:
	s_cmp_eq_u32 s3, 46
	s_mov_b32 s0, -1
	s_cbranch_scc0 .LBB332_2978
; %bb.2977:
	v_cndmask_b32_e64 v0, 0, 1.0, s4
	s_mov_b32 s0, 0
	s_delay_alu instid0(VALU_DEP_1) | instskip(NEXT) | instid1(VALU_DEP_1)
	v_bfe_u32 v1, v0, 16, 1
	v_add3_u32 v0, v0, v1, 0x7fff
	s_delay_alu instid0(VALU_DEP_1)
	v_lshrrev_b32_e32 v0, 16, v0
	global_store_b32 v[2:3], v0, off
.LBB332_2978:
	s_mov_b32 s5, 0
.LBB332_2979:
	s_delay_alu instid0(SALU_CYCLE_1)
	s_and_b32 vcc_lo, exec_lo, s5
	s_cbranch_vccz .LBB332_2984
; %bb.2980:
	s_cmp_eq_u32 s3, 44
	s_mov_b32 s0, -1
	s_cbranch_scc0 .LBB332_2984
; %bb.2981:
	v_cndmask_b32_e64 v4, 0, 1.0, s4
	s_mov_b32 s5, exec_lo
	s_wait_xcnt 0x0
	s_delay_alu instid0(VALU_DEP_1) | instskip(NEXT) | instid1(VALU_DEP_1)
	v_dual_mov_b32 v1, 0xff :: v_dual_lshrrev_b32 v0, 23, v4
	v_cmpx_ne_u32_e32 0xff, v0
; %bb.2982:
	v_and_b32_e32 v1, 0x400000, v4
	v_and_or_b32 v4, 0x3fffff, v4, v0
	s_delay_alu instid0(VALU_DEP_2) | instskip(NEXT) | instid1(VALU_DEP_2)
	v_cmp_ne_u32_e32 vcc_lo, 0, v1
	v_cmp_ne_u32_e64 s0, 0, v4
	s_and_b32 s0, vcc_lo, s0
	s_delay_alu instid0(SALU_CYCLE_1) | instskip(NEXT) | instid1(VALU_DEP_1)
	v_cndmask_b32_e64 v1, 0, 1, s0
	v_add_nc_u32_e32 v1, v0, v1
; %bb.2983:
	s_or_b32 exec_lo, exec_lo, s5
	s_mov_b32 s0, 0
	global_store_b8 v[2:3], v1, off
.LBB332_2984:
	s_mov_b32 s5, 0
.LBB332_2985:
	s_delay_alu instid0(SALU_CYCLE_1)
	s_and_b32 vcc_lo, exec_lo, s5
	s_cbranch_vccz .LBB332_2988
; %bb.2986:
	s_cmp_eq_u32 s3, 29
	s_mov_b32 s0, -1
	s_cbranch_scc0 .LBB332_2988
; %bb.2987:
	s_mov_b32 s0, 0
	s_wait_xcnt 0x0
	v_cndmask_b32_e64 v0, 0, 1, s4
	v_mov_b32_e32 v1, s0
	global_store_b64 v[2:3], v[0:1], off
.LBB332_2988:
	s_mov_b32 s5, 0
.LBB332_2989:
	s_delay_alu instid0(SALU_CYCLE_1)
	s_and_b32 vcc_lo, exec_lo, s5
	s_cbranch_vccz .LBB332_3004
; %bb.2990:
	s_cmp_lt_i32 s3, 27
	s_mov_b32 s5, -1
	s_cbranch_scc1 .LBB332_2996
; %bb.2991:
	s_wait_xcnt 0x0
	v_cndmask_b32_e64 v0, 0, 1, s4
	s_cmp_gt_i32 s3, 27
	s_cbranch_scc0 .LBB332_2993
; %bb.2992:
	s_mov_b32 s5, 0
	global_store_b32 v[2:3], v0, off
.LBB332_2993:
	s_and_not1_b32 vcc_lo, exec_lo, s5
	s_cbranch_vccnz .LBB332_2995
; %bb.2994:
	global_store_b16 v[2:3], v0, off
.LBB332_2995:
	s_mov_b32 s5, 0
.LBB332_2996:
	s_delay_alu instid0(SALU_CYCLE_1)
	s_and_not1_b32 vcc_lo, exec_lo, s5
	s_cbranch_vccnz .LBB332_3004
; %bb.2997:
	s_wait_xcnt 0x0
	v_cndmask_b32_e64 v1, 0, 1.0, s4
	v_mov_b32_e32 v4, 0x80
	s_mov_b32 s5, exec_lo
	s_delay_alu instid0(VALU_DEP_2)
	v_cmpx_gt_u32_e32 0x43800000, v1
	s_cbranch_execz .LBB332_3003
; %bb.2998:
	s_mov_b32 s6, 0
	s_mov_b32 s7, exec_lo
                                        ; implicit-def: $vgpr0
	v_cmpx_lt_u32_e32 0x3bffffff, v1
	s_xor_b32 s7, exec_lo, s7
	s_cbranch_execz .LBB332_3109
; %bb.2999:
	v_bfe_u32 v0, v1, 20, 1
	s_mov_b32 s6, exec_lo
	s_delay_alu instid0(VALU_DEP_1) | instskip(NEXT) | instid1(VALU_DEP_1)
	v_add3_u32 v0, v1, v0, 0x487ffff
                                        ; implicit-def: $vgpr1
	v_lshrrev_b32_e32 v0, 20, v0
	s_and_not1_saveexec_b32 s7, s7
	s_cbranch_execnz .LBB332_3110
.LBB332_3000:
	s_or_b32 exec_lo, exec_lo, s7
	v_mov_b32_e32 v4, 0
	s_and_saveexec_b32 s7, s6
.LBB332_3001:
	v_mov_b32_e32 v4, v0
.LBB332_3002:
	s_or_b32 exec_lo, exec_lo, s7
.LBB332_3003:
	s_delay_alu instid0(SALU_CYCLE_1)
	s_or_b32 exec_lo, exec_lo, s5
	global_store_b8 v[2:3], v4, off
.LBB332_3004:
	s_mov_b32 s5, 0
.LBB332_3005:
	s_delay_alu instid0(SALU_CYCLE_1)
	s_and_b32 vcc_lo, exec_lo, s5
	s_cbranch_vccz .LBB332_3045
; %bb.3006:
	s_cmp_gt_i32 s3, 22
	s_mov_b32 s2, -1
	s_cbranch_scc0 .LBB332_3038
; %bb.3007:
	s_cmp_lt_i32 s3, 24
	s_cbranch_scc1 .LBB332_3027
; %bb.3008:
	s_cmp_gt_i32 s3, 24
	s_cbranch_scc0 .LBB332_3016
; %bb.3009:
	s_wait_xcnt 0x0
	v_cndmask_b32_e64 v1, 0, 1.0, s4
	v_mov_b32_e32 v4, 0x80
	s_mov_b32 s2, exec_lo
	s_delay_alu instid0(VALU_DEP_2)
	v_cmpx_gt_u32_e32 0x47800000, v1
	s_cbranch_execz .LBB332_3015
; %bb.3010:
	s_mov_b32 s5, 0
	s_mov_b32 s6, exec_lo
                                        ; implicit-def: $vgpr0
	v_cmpx_lt_u32_e32 0x37ffffff, v1
	s_xor_b32 s6, exec_lo, s6
	s_cbranch_execz .LBB332_3112
; %bb.3011:
	v_bfe_u32 v0, v1, 21, 1
	s_mov_b32 s5, exec_lo
	s_delay_alu instid0(VALU_DEP_1) | instskip(NEXT) | instid1(VALU_DEP_1)
	v_add3_u32 v0, v1, v0, 0x88fffff
                                        ; implicit-def: $vgpr1
	v_lshrrev_b32_e32 v0, 21, v0
	s_and_not1_saveexec_b32 s6, s6
	s_cbranch_execnz .LBB332_3113
.LBB332_3012:
	s_or_b32 exec_lo, exec_lo, s6
	v_mov_b32_e32 v4, 0
	s_and_saveexec_b32 s6, s5
.LBB332_3013:
	v_mov_b32_e32 v4, v0
.LBB332_3014:
	s_or_b32 exec_lo, exec_lo, s6
.LBB332_3015:
	s_delay_alu instid0(SALU_CYCLE_1)
	s_or_b32 exec_lo, exec_lo, s2
	s_mov_b32 s2, 0
	global_store_b8 v[2:3], v4, off
.LBB332_3016:
	s_and_b32 vcc_lo, exec_lo, s2
	s_cbranch_vccz .LBB332_3026
; %bb.3017:
	s_wait_xcnt 0x0
	v_cndmask_b32_e64 v1, 0, 1.0, s4
	s_mov_b32 s2, exec_lo
                                        ; implicit-def: $vgpr0
	s_delay_alu instid0(VALU_DEP_1)
	v_cmpx_gt_u32_e32 0x43f00000, v1
	s_xor_b32 s2, exec_lo, s2
	s_cbranch_execz .LBB332_3023
; %bb.3018:
	s_mov_b32 s5, exec_lo
                                        ; implicit-def: $vgpr0
	v_cmpx_lt_u32_e32 0x3c7fffff, v1
	s_xor_b32 s5, exec_lo, s5
; %bb.3019:
	v_bfe_u32 v0, v1, 20, 1
	s_delay_alu instid0(VALU_DEP_1) | instskip(NEXT) | instid1(VALU_DEP_1)
	v_add3_u32 v0, v1, v0, 0x407ffff
	v_and_b32_e32 v1, 0xff00000, v0
	v_lshrrev_b32_e32 v0, 20, v0
	s_delay_alu instid0(VALU_DEP_2) | instskip(NEXT) | instid1(VALU_DEP_2)
	v_cmp_ne_u32_e32 vcc_lo, 0x7f00000, v1
                                        ; implicit-def: $vgpr1
	v_cndmask_b32_e32 v0, 0x7e, v0, vcc_lo
; %bb.3020:
	s_and_not1_saveexec_b32 s5, s5
; %bb.3021:
	v_add_f32_e32 v0, 0x46800000, v1
; %bb.3022:
	s_or_b32 exec_lo, exec_lo, s5
                                        ; implicit-def: $vgpr1
.LBB332_3023:
	s_and_not1_saveexec_b32 s2, s2
; %bb.3024:
	v_mov_b32_e32 v0, 0x7f
	v_cmp_lt_u32_e32 vcc_lo, 0x7f800000, v1
	s_delay_alu instid0(VALU_DEP_2)
	v_cndmask_b32_e32 v0, 0x7e, v0, vcc_lo
; %bb.3025:
	s_or_b32 exec_lo, exec_lo, s2
	global_store_b8 v[2:3], v0, off
.LBB332_3026:
	s_mov_b32 s2, 0
.LBB332_3027:
	s_delay_alu instid0(SALU_CYCLE_1)
	s_and_not1_b32 vcc_lo, exec_lo, s2
	s_cbranch_vccnz .LBB332_3037
; %bb.3028:
	s_wait_xcnt 0x0
	v_cndmask_b32_e64 v1, 0, 1.0, s4
	s_mov_b32 s2, exec_lo
                                        ; implicit-def: $vgpr0
	s_delay_alu instid0(VALU_DEP_1)
	v_cmpx_gt_u32_e32 0x47800000, v1
	s_xor_b32 s2, exec_lo, s2
	s_cbranch_execz .LBB332_3034
; %bb.3029:
	s_mov_b32 s5, exec_lo
                                        ; implicit-def: $vgpr0
	v_cmpx_lt_u32_e32 0x387fffff, v1
	s_xor_b32 s5, exec_lo, s5
; %bb.3030:
	v_bfe_u32 v0, v1, 21, 1
	s_delay_alu instid0(VALU_DEP_1) | instskip(NEXT) | instid1(VALU_DEP_1)
	v_add3_u32 v0, v1, v0, 0x80fffff
                                        ; implicit-def: $vgpr1
	v_lshrrev_b32_e32 v0, 21, v0
; %bb.3031:
	s_and_not1_saveexec_b32 s5, s5
; %bb.3032:
	v_add_f32_e32 v0, 0x43000000, v1
; %bb.3033:
	s_or_b32 exec_lo, exec_lo, s5
                                        ; implicit-def: $vgpr1
.LBB332_3034:
	s_and_not1_saveexec_b32 s2, s2
; %bb.3035:
	v_mov_b32_e32 v0, 0x7f
	v_cmp_lt_u32_e32 vcc_lo, 0x7f800000, v1
	s_delay_alu instid0(VALU_DEP_2)
	v_cndmask_b32_e32 v0, 0x7c, v0, vcc_lo
; %bb.3036:
	s_or_b32 exec_lo, exec_lo, s2
	global_store_b8 v[2:3], v0, off
.LBB332_3037:
	s_mov_b32 s2, 0
.LBB332_3038:
	s_delay_alu instid0(SALU_CYCLE_1)
	s_and_not1_b32 vcc_lo, exec_lo, s2
	s_mov_b32 s2, 0
	s_cbranch_vccnz .LBB332_3045
; %bb.3039:
	s_cmp_gt_i32 s3, 14
	s_mov_b32 s2, -1
	s_cbranch_scc0 .LBB332_3043
; %bb.3040:
	s_cmp_eq_u32 s3, 15
	s_mov_b32 s0, -1
	s_cbranch_scc0 .LBB332_3042
; %bb.3041:
	s_wait_xcnt 0x0
	v_cndmask_b32_e64 v0, 0, 1.0, s4
	s_mov_b32 s0, 0
	s_delay_alu instid0(VALU_DEP_1) | instskip(NEXT) | instid1(VALU_DEP_1)
	v_bfe_u32 v1, v0, 16, 1
	v_add3_u32 v0, v0, v1, 0x7fff
	global_store_d16_hi_b16 v[2:3], v0, off
.LBB332_3042:
	s_mov_b32 s2, 0
.LBB332_3043:
	s_delay_alu instid0(SALU_CYCLE_1)
	s_and_b32 vcc_lo, exec_lo, s2
	s_mov_b32 s2, 0
	s_cbranch_vccz .LBB332_3045
; %bb.3044:
	s_cmp_lg_u32 s3, 11
	s_mov_b32 s2, -1
	s_cselect_b32 s0, -1, 0
.LBB332_3045:
	s_delay_alu instid0(SALU_CYCLE_1)
	s_and_b32 vcc_lo, exec_lo, s0
	s_cbranch_vccnz .LBB332_3111
.LBB332_3046:
	s_mov_b32 s0, 0
	s_branch .LBB332_3048
.LBB332_3047:
	s_mov_b32 s0, 0
	s_wait_xcnt 0x0
	s_mov_b32 s2, 0
                                        ; implicit-def: $sgpr4
                                        ; implicit-def: $vgpr2_vgpr3
                                        ; implicit-def: $sgpr1
.LBB332_3048:
	s_and_not1_b32 s3, s8, exec_lo
	s_and_b32 s5, s10, exec_lo
	s_and_b32 s0, s0, exec_lo
	;; [unrolled: 1-line block ×3, first 2 shown]
	s_or_b32 s8, s3, s5
.LBB332_3049:
	s_wait_xcnt 0x0
	s_or_b32 exec_lo, exec_lo, s9
	s_and_saveexec_b32 s2, s8
	s_cbranch_execz .LBB332_3052
; %bb.3050:
	; divergent unreachable
	s_or_b32 exec_lo, exec_lo, s2
	s_and_saveexec_b32 s2, s30
	s_delay_alu instid0(SALU_CYCLE_1)
	s_xor_b32 s2, exec_lo, s2
	s_cbranch_execnz .LBB332_3053
.LBB332_3051:
	s_or_b32 exec_lo, exec_lo, s2
	s_and_saveexec_b32 s2, s0
	s_cbranch_execnz .LBB332_3054
	s_branch .LBB332_3091
.LBB332_3052:
	s_or_b32 exec_lo, exec_lo, s2
	s_and_saveexec_b32 s2, s30
	s_delay_alu instid0(SALU_CYCLE_1)
	s_xor_b32 s2, exec_lo, s2
	s_cbranch_execz .LBB332_3051
.LBB332_3053:
	v_cndmask_b32_e64 v0, 0, 1, s4
	global_store_b8 v[2:3], v0, off
	s_wait_xcnt 0x0
	s_or_b32 exec_lo, exec_lo, s2
	s_and_saveexec_b32 s2, s0
	s_cbranch_execz .LBB332_3091
.LBB332_3054:
	s_sext_i32_i16 s2, s1
	s_mov_b32 s0, -1
	s_cmp_lt_i32 s2, 5
	s_cbranch_scc1 .LBB332_3075
; %bb.3055:
	s_cmp_lt_i32 s2, 8
	s_cbranch_scc1 .LBB332_3065
; %bb.3056:
	;; [unrolled: 3-line block ×3, first 2 shown]
	s_cmp_gt_i32 s2, 9
	s_cbranch_scc0 .LBB332_3059
; %bb.3058:
	v_cndmask_b32_e64 v0, 0, 1, s4
	v_mov_b32_e32 v6, 0
	s_mov_b32 s0, 0
	s_wait_loadcnt 0x0
	s_delay_alu instid0(VALU_DEP_2) | instskip(NEXT) | instid1(VALU_DEP_2)
	v_cvt_f64_u32_e32 v[4:5], v0
	v_mov_b32_e32 v7, v6
	global_store_b128 v[2:3], v[4:7], off
.LBB332_3059:
	s_and_not1_b32 vcc_lo, exec_lo, s0
	s_cbranch_vccnz .LBB332_3061
; %bb.3060:
	v_cndmask_b32_e64 v0, 0, 1.0, s4
	v_mov_b32_e32 v1, 0
	global_store_b64 v[2:3], v[0:1], off
.LBB332_3061:
	s_mov_b32 s0, 0
.LBB332_3062:
	s_delay_alu instid0(SALU_CYCLE_1)
	s_and_not1_b32 vcc_lo, exec_lo, s0
	s_cbranch_vccnz .LBB332_3064
; %bb.3063:
	s_wait_xcnt 0x0
	v_cndmask_b32_e64 v0, 0, 1.0, s4
	s_delay_alu instid0(VALU_DEP_1) | instskip(NEXT) | instid1(VALU_DEP_1)
	v_cvt_f16_f32_e32 v0, v0
	v_and_b32_e32 v0, 0xffff, v0
	global_store_b32 v[2:3], v0, off
.LBB332_3064:
	s_mov_b32 s0, 0
.LBB332_3065:
	s_delay_alu instid0(SALU_CYCLE_1)
	s_and_not1_b32 vcc_lo, exec_lo, s0
	s_cbranch_vccnz .LBB332_3074
; %bb.3066:
	s_sext_i32_i16 s2, s1
	s_mov_b32 s0, -1
	s_cmp_lt_i32 s2, 6
	s_cbranch_scc1 .LBB332_3072
; %bb.3067:
	s_cmp_gt_i32 s2, 6
	s_cbranch_scc0 .LBB332_3069
; %bb.3068:
	s_wait_xcnt 0x0
	v_cndmask_b32_e64 v0, 0, 1, s4
	s_mov_b32 s0, 0
	s_delay_alu instid0(VALU_DEP_1)
	v_cvt_f64_u32_e32 v[0:1], v0
	global_store_b64 v[2:3], v[0:1], off
.LBB332_3069:
	s_and_not1_b32 vcc_lo, exec_lo, s0
	s_cbranch_vccnz .LBB332_3071
; %bb.3070:
	s_wait_xcnt 0x0
	v_cndmask_b32_e64 v0, 0, 1.0, s4
	global_store_b32 v[2:3], v0, off
.LBB332_3071:
	s_mov_b32 s0, 0
.LBB332_3072:
	s_delay_alu instid0(SALU_CYCLE_1)
	s_and_not1_b32 vcc_lo, exec_lo, s0
	s_cbranch_vccnz .LBB332_3074
; %bb.3073:
	s_wait_xcnt 0x0
	v_cndmask_b32_e64 v0, 0, 1.0, s4
	s_delay_alu instid0(VALU_DEP_1)
	v_cvt_f16_f32_e32 v0, v0
	global_store_b16 v[2:3], v0, off
.LBB332_3074:
	s_mov_b32 s0, 0
.LBB332_3075:
	s_delay_alu instid0(SALU_CYCLE_1)
	s_and_not1_b32 vcc_lo, exec_lo, s0
	s_cbranch_vccnz .LBB332_3091
; %bb.3076:
	s_sext_i32_i16 s2, s1
	s_mov_b32 s0, -1
	s_cmp_lt_i32 s2, 2
	s_cbranch_scc1 .LBB332_3086
; %bb.3077:
	s_cmp_lt_i32 s2, 3
	s_cbranch_scc1 .LBB332_3083
; %bb.3078:
	s_cmp_gt_i32 s2, 3
	s_cbranch_scc0 .LBB332_3080
; %bb.3079:
	s_mov_b32 s0, 0
	s_wait_xcnt 0x0
	v_cndmask_b32_e64 v0, 0, 1, s4
	v_mov_b32_e32 v1, s0
	global_store_b64 v[2:3], v[0:1], off
.LBB332_3080:
	s_and_not1_b32 vcc_lo, exec_lo, s0
	s_cbranch_vccnz .LBB332_3082
; %bb.3081:
	s_wait_xcnt 0x0
	v_cndmask_b32_e64 v0, 0, 1, s4
	global_store_b32 v[2:3], v0, off
.LBB332_3082:
	s_mov_b32 s0, 0
.LBB332_3083:
	s_delay_alu instid0(SALU_CYCLE_1)
	s_and_not1_b32 vcc_lo, exec_lo, s0
	s_cbranch_vccnz .LBB332_3085
; %bb.3084:
	s_wait_xcnt 0x0
	v_cndmask_b32_e64 v0, 0, 1, s4
	global_store_b16 v[2:3], v0, off
.LBB332_3085:
	s_mov_b32 s0, 0
.LBB332_3086:
	s_delay_alu instid0(SALU_CYCLE_1)
	s_and_not1_b32 vcc_lo, exec_lo, s0
	s_cbranch_vccnz .LBB332_3091
; %bb.3087:
	s_sext_i32_i16 s0, s1
	s_delay_alu instid0(SALU_CYCLE_1)
	s_cmp_gt_i32 s0, 0
	s_mov_b32 s0, -1
	s_cbranch_scc0 .LBB332_3089
; %bb.3088:
	s_wait_xcnt 0x0
	v_cndmask_b32_e64 v0, 0, 1, s4
	s_mov_b32 s0, 0
	global_store_b8 v[2:3], v0, off
.LBB332_3089:
	s_and_not1_b32 vcc_lo, exec_lo, s0
	s_cbranch_vccnz .LBB332_3091
; %bb.3090:
	s_wait_xcnt 0x0
	v_cndmask_b32_e64 v0, 0, 1, s4
	global_store_b8 v[2:3], v0, off
	s_endpgm
.LBB332_3091:
	s_endpgm
.LBB332_3092:
	s_mov_b32 s2, 0
	s_mov_b32 s0, -1
	s_branch .LBB332_3048
.LBB332_3093:
	s_or_b32 s10, s10, exec_lo
	s_trap 2
	s_cbranch_execz .LBB332_2563
	s_branch .LBB332_2564
.LBB332_3094:
	s_and_not1_saveexec_b32 s13, s13
	s_cbranch_execz .LBB332_2643
.LBB332_3095:
	v_add_f32_e32 v1, 0x46000000, v3
	s_and_not1_b32 s12, s12, exec_lo
	s_delay_alu instid0(VALU_DEP_1) | instskip(NEXT) | instid1(VALU_DEP_1)
	v_and_b32_e32 v1, 0xff, v1
	v_cmp_ne_u32_e32 vcc_lo, 0, v1
	s_and_b32 s14, vcc_lo, exec_lo
	s_delay_alu instid0(SALU_CYCLE_1)
	s_or_b32 s12, s12, s14
	s_or_b32 exec_lo, exec_lo, s13
	v_mov_b32_e32 v5, 0
	s_and_saveexec_b32 s13, s12
	s_cbranch_execnz .LBB332_2644
	s_branch .LBB332_2645
.LBB332_3096:
	s_or_b32 s10, s10, exec_lo
	s_trap 2
	s_cbranch_execz .LBB332_2691
	s_branch .LBB332_2692
.LBB332_3097:
	s_and_not1_saveexec_b32 s12, s12
	s_cbranch_execz .LBB332_2656
.LBB332_3098:
	v_add_f32_e32 v1, 0x42800000, v3
	s_and_not1_b32 s11, s11, exec_lo
	s_delay_alu instid0(VALU_DEP_1) | instskip(NEXT) | instid1(VALU_DEP_1)
	v_and_b32_e32 v1, 0xff, v1
	v_cmp_ne_u32_e32 vcc_lo, 0, v1
	s_and_b32 s13, vcc_lo, exec_lo
	s_delay_alu instid0(SALU_CYCLE_1)
	s_or_b32 s11, s11, s13
	s_or_b32 exec_lo, exec_lo, s12
	v_mov_b32_e32 v5, 0
	s_and_saveexec_b32 s12, s11
	s_cbranch_execnz .LBB332_2657
	s_branch .LBB332_2658
.LBB332_3099:
	s_and_not1_saveexec_b32 s13, s13
	s_cbranch_execz .LBB332_2761
.LBB332_3100:
	v_add_f32_e32 v1, 0x46000000, v3
	s_and_not1_b32 s12, s12, exec_lo
	s_delay_alu instid0(VALU_DEP_1) | instskip(NEXT) | instid1(VALU_DEP_1)
	v_and_b32_e32 v1, 0xff, v1
	v_cmp_ne_u32_e32 vcc_lo, 0, v1
	s_and_b32 s14, vcc_lo, exec_lo
	s_delay_alu instid0(SALU_CYCLE_1)
	s_or_b32 s12, s12, s14
	s_or_b32 exec_lo, exec_lo, s13
	v_mov_b32_e32 v6, 0
	s_and_saveexec_b32 s13, s12
	s_cbranch_execnz .LBB332_2762
	s_branch .LBB332_2763
.LBB332_3101:
	s_or_b32 s10, s10, exec_lo
	s_trap 2
	s_cbranch_execz .LBB332_2809
	s_branch .LBB332_2810
.LBB332_3102:
	s_and_not1_saveexec_b32 s12, s12
	s_cbranch_execz .LBB332_2774
.LBB332_3103:
	v_add_f32_e32 v1, 0x42800000, v3
	s_and_not1_b32 s11, s11, exec_lo
	s_delay_alu instid0(VALU_DEP_1) | instskip(NEXT) | instid1(VALU_DEP_1)
	v_and_b32_e32 v1, 0xff, v1
	v_cmp_ne_u32_e32 vcc_lo, 0, v1
	s_and_b32 s13, vcc_lo, exec_lo
	s_delay_alu instid0(SALU_CYCLE_1)
	s_or_b32 s11, s11, s13
	s_or_b32 exec_lo, exec_lo, s12
	v_mov_b32_e32 v6, 0
	s_and_saveexec_b32 s12, s11
	s_cbranch_execnz .LBB332_2775
	s_branch .LBB332_2776
.LBB332_3104:
	s_and_not1_saveexec_b32 s13, s13
	s_cbranch_execz .LBB332_2880
.LBB332_3105:
	v_add_f32_e32 v1, 0x46000000, v4
	s_and_not1_b32 s12, s12, exec_lo
	s_delay_alu instid0(VALU_DEP_1) | instskip(NEXT) | instid1(VALU_DEP_1)
	v_and_b32_e32 v1, 0xff, v1
	v_cmp_ne_u32_e32 vcc_lo, 0, v1
	s_and_b32 s14, vcc_lo, exec_lo
	s_delay_alu instid0(SALU_CYCLE_1)
	s_or_b32 s12, s12, s14
	s_or_b32 exec_lo, exec_lo, s13
	v_mov_b32_e32 v5, 0
	s_and_saveexec_b32 s13, s12
	s_cbranch_execnz .LBB332_2881
	s_branch .LBB332_2882
.LBB332_3106:
	s_or_b32 s10, s10, exec_lo
	s_trap 2
	s_cbranch_execz .LBB332_2928
	s_branch .LBB332_2929
.LBB332_3107:
	s_and_not1_saveexec_b32 s12, s12
	s_cbranch_execz .LBB332_2893
.LBB332_3108:
	v_add_f32_e32 v1, 0x42800000, v4
	s_and_not1_b32 s11, s11, exec_lo
	s_delay_alu instid0(VALU_DEP_1) | instskip(NEXT) | instid1(VALU_DEP_1)
	v_and_b32_e32 v1, 0xff, v1
	v_cmp_ne_u32_e32 vcc_lo, 0, v1
	s_and_b32 s13, vcc_lo, exec_lo
	s_delay_alu instid0(SALU_CYCLE_1)
	s_or_b32 s11, s11, s13
	s_or_b32 exec_lo, exec_lo, s12
	v_mov_b32_e32 v5, 0
	s_and_saveexec_b32 s12, s11
	s_cbranch_execnz .LBB332_2894
	s_branch .LBB332_2895
.LBB332_3109:
	s_and_not1_saveexec_b32 s7, s7
	s_cbranch_execz .LBB332_3000
.LBB332_3110:
	v_add_f32_e32 v0, 0x46000000, v1
	s_and_not1_b32 s6, s6, exec_lo
	s_delay_alu instid0(VALU_DEP_1) | instskip(NEXT) | instid1(VALU_DEP_1)
	v_and_b32_e32 v0, 0xff, v0
	v_cmp_ne_u32_e32 vcc_lo, 0, v0
	s_and_b32 s11, vcc_lo, exec_lo
	s_delay_alu instid0(SALU_CYCLE_1)
	s_or_b32 s6, s6, s11
	s_or_b32 exec_lo, exec_lo, s7
	v_mov_b32_e32 v4, 0
	s_and_saveexec_b32 s7, s6
	s_cbranch_execnz .LBB332_3001
	s_branch .LBB332_3002
.LBB332_3111:
	s_mov_b32 s2, 0
	s_or_b32 s10, s10, exec_lo
	s_trap 2
	s_branch .LBB332_3046
.LBB332_3112:
	s_and_not1_saveexec_b32 s6, s6
	s_cbranch_execz .LBB332_3012
.LBB332_3113:
	v_add_f32_e32 v0, 0x42800000, v1
	s_and_not1_b32 s5, s5, exec_lo
	s_delay_alu instid0(VALU_DEP_1) | instskip(NEXT) | instid1(VALU_DEP_1)
	v_and_b32_e32 v0, 0xff, v0
	v_cmp_ne_u32_e32 vcc_lo, 0, v0
	s_and_b32 s7, vcc_lo, exec_lo
	s_delay_alu instid0(SALU_CYCLE_1)
	s_or_b32 s5, s5, s7
	s_or_b32 exec_lo, exec_lo, s6
	v_mov_b32_e32 v4, 0
	s_and_saveexec_b32 s6, s5
	s_cbranch_execnz .LBB332_3013
	s_branch .LBB332_3014
	.section	.rodata,"a",@progbits
	.p2align	6, 0x0
	.amdhsa_kernel _ZN2at6native32elementwise_kernel_manual_unrollILi128ELi4EZNS0_15gpu_kernel_implINS0_13BinaryFunctorIttbNS0_12_GLOBAL__N_116CompareEqFunctorItEEEEEEvRNS_18TensorIteratorBaseERKT_EUlibE0_EEviT1_
		.amdhsa_group_segment_fixed_size 0
		.amdhsa_private_segment_fixed_size 0
		.amdhsa_kernarg_size 432
		.amdhsa_user_sgpr_count 2
		.amdhsa_user_sgpr_dispatch_ptr 0
		.amdhsa_user_sgpr_queue_ptr 0
		.amdhsa_user_sgpr_kernarg_segment_ptr 1
		.amdhsa_user_sgpr_dispatch_id 0
		.amdhsa_user_sgpr_kernarg_preload_length 0
		.amdhsa_user_sgpr_kernarg_preload_offset 0
		.amdhsa_user_sgpr_private_segment_size 0
		.amdhsa_wavefront_size32 1
		.amdhsa_uses_dynamic_stack 0
		.amdhsa_enable_private_segment 0
		.amdhsa_system_sgpr_workgroup_id_x 1
		.amdhsa_system_sgpr_workgroup_id_y 0
		.amdhsa_system_sgpr_workgroup_id_z 0
		.amdhsa_system_sgpr_workgroup_info 0
		.amdhsa_system_vgpr_workitem_id 0
		.amdhsa_next_free_vgpr 28
		.amdhsa_next_free_sgpr 62
		.amdhsa_named_barrier_count 0
		.amdhsa_reserve_vcc 1
		.amdhsa_float_round_mode_32 0
		.amdhsa_float_round_mode_16_64 0
		.amdhsa_float_denorm_mode_32 3
		.amdhsa_float_denorm_mode_16_64 3
		.amdhsa_fp16_overflow 0
		.amdhsa_memory_ordered 1
		.amdhsa_forward_progress 1
		.amdhsa_inst_pref_size 255
		.amdhsa_round_robin_scheduling 0
		.amdhsa_exception_fp_ieee_invalid_op 0
		.amdhsa_exception_fp_denorm_src 0
		.amdhsa_exception_fp_ieee_div_zero 0
		.amdhsa_exception_fp_ieee_overflow 0
		.amdhsa_exception_fp_ieee_underflow 0
		.amdhsa_exception_fp_ieee_inexact 0
		.amdhsa_exception_int_div_zero 0
	.end_amdhsa_kernel
	.section	.text._ZN2at6native32elementwise_kernel_manual_unrollILi128ELi4EZNS0_15gpu_kernel_implINS0_13BinaryFunctorIttbNS0_12_GLOBAL__N_116CompareEqFunctorItEEEEEEvRNS_18TensorIteratorBaseERKT_EUlibE0_EEviT1_,"axG",@progbits,_ZN2at6native32elementwise_kernel_manual_unrollILi128ELi4EZNS0_15gpu_kernel_implINS0_13BinaryFunctorIttbNS0_12_GLOBAL__N_116CompareEqFunctorItEEEEEEvRNS_18TensorIteratorBaseERKT_EUlibE0_EEviT1_,comdat
.Lfunc_end332:
	.size	_ZN2at6native32elementwise_kernel_manual_unrollILi128ELi4EZNS0_15gpu_kernel_implINS0_13BinaryFunctorIttbNS0_12_GLOBAL__N_116CompareEqFunctorItEEEEEEvRNS_18TensorIteratorBaseERKT_EUlibE0_EEviT1_, .Lfunc_end332-_ZN2at6native32elementwise_kernel_manual_unrollILi128ELi4EZNS0_15gpu_kernel_implINS0_13BinaryFunctorIttbNS0_12_GLOBAL__N_116CompareEqFunctorItEEEEEEvRNS_18TensorIteratorBaseERKT_EUlibE0_EEviT1_
                                        ; -- End function
	.set _ZN2at6native32elementwise_kernel_manual_unrollILi128ELi4EZNS0_15gpu_kernel_implINS0_13BinaryFunctorIttbNS0_12_GLOBAL__N_116CompareEqFunctorItEEEEEEvRNS_18TensorIteratorBaseERKT_EUlibE0_EEviT1_.num_vgpr, 28
	.set _ZN2at6native32elementwise_kernel_manual_unrollILi128ELi4EZNS0_15gpu_kernel_implINS0_13BinaryFunctorIttbNS0_12_GLOBAL__N_116CompareEqFunctorItEEEEEEvRNS_18TensorIteratorBaseERKT_EUlibE0_EEviT1_.num_agpr, 0
	.set _ZN2at6native32elementwise_kernel_manual_unrollILi128ELi4EZNS0_15gpu_kernel_implINS0_13BinaryFunctorIttbNS0_12_GLOBAL__N_116CompareEqFunctorItEEEEEEvRNS_18TensorIteratorBaseERKT_EUlibE0_EEviT1_.numbered_sgpr, 62
	.set _ZN2at6native32elementwise_kernel_manual_unrollILi128ELi4EZNS0_15gpu_kernel_implINS0_13BinaryFunctorIttbNS0_12_GLOBAL__N_116CompareEqFunctorItEEEEEEvRNS_18TensorIteratorBaseERKT_EUlibE0_EEviT1_.num_named_barrier, 0
	.set _ZN2at6native32elementwise_kernel_manual_unrollILi128ELi4EZNS0_15gpu_kernel_implINS0_13BinaryFunctorIttbNS0_12_GLOBAL__N_116CompareEqFunctorItEEEEEEvRNS_18TensorIteratorBaseERKT_EUlibE0_EEviT1_.private_seg_size, 0
	.set _ZN2at6native32elementwise_kernel_manual_unrollILi128ELi4EZNS0_15gpu_kernel_implINS0_13BinaryFunctorIttbNS0_12_GLOBAL__N_116CompareEqFunctorItEEEEEEvRNS_18TensorIteratorBaseERKT_EUlibE0_EEviT1_.uses_vcc, 1
	.set _ZN2at6native32elementwise_kernel_manual_unrollILi128ELi4EZNS0_15gpu_kernel_implINS0_13BinaryFunctorIttbNS0_12_GLOBAL__N_116CompareEqFunctorItEEEEEEvRNS_18TensorIteratorBaseERKT_EUlibE0_EEviT1_.uses_flat_scratch, 0
	.set _ZN2at6native32elementwise_kernel_manual_unrollILi128ELi4EZNS0_15gpu_kernel_implINS0_13BinaryFunctorIttbNS0_12_GLOBAL__N_116CompareEqFunctorItEEEEEEvRNS_18TensorIteratorBaseERKT_EUlibE0_EEviT1_.has_dyn_sized_stack, 0
	.set _ZN2at6native32elementwise_kernel_manual_unrollILi128ELi4EZNS0_15gpu_kernel_implINS0_13BinaryFunctorIttbNS0_12_GLOBAL__N_116CompareEqFunctorItEEEEEEvRNS_18TensorIteratorBaseERKT_EUlibE0_EEviT1_.has_recursion, 0
	.set _ZN2at6native32elementwise_kernel_manual_unrollILi128ELi4EZNS0_15gpu_kernel_implINS0_13BinaryFunctorIttbNS0_12_GLOBAL__N_116CompareEqFunctorItEEEEEEvRNS_18TensorIteratorBaseERKT_EUlibE0_EEviT1_.has_indirect_call, 0
	.section	.AMDGPU.csdata,"",@progbits
; Kernel info:
; codeLenInByte = 55508
; TotalNumSgprs: 64
; NumVgprs: 28
; ScratchSize: 0
; MemoryBound: 1
; FloatMode: 240
; IeeeMode: 1
; LDSByteSize: 0 bytes/workgroup (compile time only)
; SGPRBlocks: 0
; VGPRBlocks: 1
; NumSGPRsForWavesPerEU: 64
; NumVGPRsForWavesPerEU: 28
; NamedBarCnt: 0
; Occupancy: 16
; WaveLimiterHint : 1
; COMPUTE_PGM_RSRC2:SCRATCH_EN: 0
; COMPUTE_PGM_RSRC2:USER_SGPR: 2
; COMPUTE_PGM_RSRC2:TRAP_HANDLER: 0
; COMPUTE_PGM_RSRC2:TGID_X_EN: 1
; COMPUTE_PGM_RSRC2:TGID_Y_EN: 0
; COMPUTE_PGM_RSRC2:TGID_Z_EN: 0
; COMPUTE_PGM_RSRC2:TIDIG_COMP_CNT: 0
	.section	.text._ZN2at6native29vectorized_elementwise_kernelILi16ENS0_13AUnaryFunctorIttbNS0_12_GLOBAL__N_116CompareEqFunctorItEEEESt5arrayIPcLm2EEEEviT0_T1_,"axG",@progbits,_ZN2at6native29vectorized_elementwise_kernelILi16ENS0_13AUnaryFunctorIttbNS0_12_GLOBAL__N_116CompareEqFunctorItEEEESt5arrayIPcLm2EEEEviT0_T1_,comdat
	.globl	_ZN2at6native29vectorized_elementwise_kernelILi16ENS0_13AUnaryFunctorIttbNS0_12_GLOBAL__N_116CompareEqFunctorItEEEESt5arrayIPcLm2EEEEviT0_T1_ ; -- Begin function _ZN2at6native29vectorized_elementwise_kernelILi16ENS0_13AUnaryFunctorIttbNS0_12_GLOBAL__N_116CompareEqFunctorItEEEESt5arrayIPcLm2EEEEviT0_T1_
	.p2align	8
	.type	_ZN2at6native29vectorized_elementwise_kernelILi16ENS0_13AUnaryFunctorIttbNS0_12_GLOBAL__N_116CompareEqFunctorItEEEESt5arrayIPcLm2EEEEviT0_T1_,@function
_ZN2at6native29vectorized_elementwise_kernelILi16ENS0_13AUnaryFunctorIttbNS0_12_GLOBAL__N_116CompareEqFunctorItEEEESt5arrayIPcLm2EEEEviT0_T1_: ; @_ZN2at6native29vectorized_elementwise_kernelILi16ENS0_13AUnaryFunctorIttbNS0_12_GLOBAL__N_116CompareEqFunctorItEEEESt5arrayIPcLm2EEEEviT0_T1_
; %bb.0:
	s_clause 0x1
	s_load_b96 s[20:22], s[0:1], 0x0
	s_load_b128 s[16:19], s[0:1], 0x10
	s_wait_xcnt 0x0
	s_bfe_u32 s0, ttmp6, 0x4000c
	s_and_b32 s1, ttmp6, 15
	s_add_co_i32 s0, s0, 1
	s_getreg_b32 s2, hwreg(HW_REG_IB_STS2, 6, 4)
	s_mul_i32 s0, ttmp9, s0
	s_delay_alu instid0(SALU_CYCLE_1) | instskip(SKIP_2) | instid1(SALU_CYCLE_1)
	s_add_co_i32 s1, s1, s0
	s_cmp_eq_u32 s2, 0
	s_cselect_b32 s0, ttmp9, s1
	s_lshl_b32 s24, s0, 12
	s_mov_b32 s0, -1
	s_wait_kmcnt 0x0
	s_sub_co_i32 s15, s20, s24
	s_delay_alu instid0(SALU_CYCLE_1)
	s_cmp_gt_i32 s15, 0xfff
	s_cbranch_scc0 .LBB333_2
; %bb.1:
	s_ashr_i32 s25, s24, 31
	v_lshlrev_b32_e32 v1, 5, v0
	s_lshl_b64 s[0:1], s[24:25], 1
	s_cmp_eq_u32 s21, 0
	s_add_nc_u64 s[0:1], s[18:19], s[0:1]
	s_cselect_b32 s20, -1, 0
	s_clause 0x1
	global_load_b128 v[2:5], v1, s[0:1] offset:16
	global_load_b128 v[6:9], v1, s[0:1]
	s_wait_loadcnt 0x1
	s_wait_xcnt 0x0
	v_cmp_ne_u16_e64 s0, s22, v5
	v_lshrrev_b32_e32 v1, 16, v4
	v_cmp_ne_u16_e32 vcc_lo, s22, v4
	v_dual_lshrrev_b32 v4, 16, v5 :: v_dual_lshrrev_b32 v5, 16, v2
	v_cmp_ne_u16_e64 s1, s22, v2
	v_lshrrev_b32_e32 v2, 16, v3
	v_cmp_ne_u16_e64 s2, s22, v3
	s_wait_loadcnt 0x0
	v_lshrrev_b32_e32 v3, 16, v8
	s_xor_b32 s0, s20, s0
	v_cmp_ne_u16_e64 s3, s22, v8
	v_cmp_ne_u16_e64 s10, s22, v2
	v_cndmask_b32_e64 v2, 0, 1, s0
	s_xor_b32 s0, s20, s1
	v_cmp_ne_u16_e64 s4, s22, v9
	s_xor_b32 s23, s20, vcc_lo
	v_cmp_ne_u16_e64 s11, s22, v3
	v_cndmask_b32_e64 v3, 0, 1, s0
	s_xor_b32 s0, s20, s2
	v_dual_lshrrev_b32 v8, 16, v9 :: v_dual_lshrrev_b32 v9, 16, v6
	v_cmp_ne_u16_e64 s5, s22, v6
	v_cmp_ne_u16_e64 s7, s22, v1
	v_cndmask_b32_e64 v1, 0, 1, s23
	v_lshrrev_b32_e32 v6, 16, v7
	v_cmp_ne_u16_e64 s8, s22, v4
	v_cndmask_b32_e64 v4, 0, 1, s0
	s_xor_b32 s0, s20, s3
	v_cmp_ne_u16_e64 s6, s22, v7
	v_cmp_ne_u16_e64 s9, s22, v5
	v_cndmask_b32_e64 v5, 0, 1, s0
	s_xor_b32 s0, s20, s4
	v_cmp_ne_u16_e64 s14, s22, v6
	v_cndmask_b32_e64 v6, 0, 1, s0
	s_xor_b32 s0, s20, s5
	;; [unrolled: 3-line block ×4, first 2 shown]
	s_add_nc_u64 s[2:3], s[16:17], s[24:25]
	v_cndmask_b32_e64 v9, 0, 1, s0
	s_xor_b32 s0, s20, s8
	s_delay_alu instid0(SALU_CYCLE_1) | instskip(SKIP_1) | instid1(VALU_DEP_2)
	v_cndmask_b32_e64 v10, 0, 1, s0
	s_xor_b32 s0, s20, s9
	v_lshlrev_b16 v9, 8, v9
	v_cndmask_b32_e64 v11, 0, 1, s0
	s_xor_b32 s0, s20, s10
	v_lshlrev_b16 v10, 8, v10
	;; [unrolled: 3-line block ×6, first 2 shown]
	v_cndmask_b32_e64 v16, 0, 1, s0
	v_or_b32_e32 v1, v1, v9
	v_lshlrev_b16 v15, 8, v15
	s_mov_b32 s0, 0
	v_or_b32_e32 v6, v6, v14
	v_lshlrev_b16 v16, 8, v16
	v_or_b32_e32 v4, v4, v12
	v_or_b32_e32 v7, v7, v15
	v_and_b32_e32 v1, 0xffff, v1
	v_lshlrev_b32_e32 v6, 16, v6
	s_delay_alu instid0(VALU_DEP_4) | instskip(SKIP_2) | instid1(VALU_DEP_3)
	v_dual_lshlrev_b32 v4, 16, v4 :: v_dual_bitop2_b32 v2, v2, v10 bitop3:0x54
	v_or_b32_e32 v3, v3, v11
	v_or_b32_e32 v8, v8, v16
	v_dual_lshlrev_b32 v2, 16, v2 :: v_dual_bitop2_b32 v5, v5, v13 bitop3:0x54
	v_and_b32_e32 v7, 0xffff, v7
	s_delay_alu instid0(VALU_DEP_4) | instskip(NEXT) | instid1(VALU_DEP_4)
	v_and_b32_e32 v3, 0xffff, v3
	v_lshlrev_b32_e32 v8, 16, v8
	s_delay_alu instid0(VALU_DEP_4) | instskip(SKIP_1) | instid1(VALU_DEP_4)
	v_and_b32_e32 v9, 0xffff, v5
	v_or_b32_e32 v5, v1, v2
	v_or_b32_e32 v4, v3, v4
	s_delay_alu instid0(VALU_DEP_4) | instskip(NEXT) | instid1(VALU_DEP_4)
	v_or_b32_e32 v2, v7, v8
	v_or_b32_e32 v3, v9, v6
	global_store_b128 v0, v[2:5], s[2:3] scale_offset
.LBB333_2:
	s_and_not1_b32 vcc_lo, exec_lo, s0
	s_cbranch_vccnz .LBB333_52
; %bb.3:
	v_cmp_gt_i32_e32 vcc_lo, s15, v0
	v_dual_mov_b32 v6, 0 :: v_dual_bitop2_b32 v1, s24, v0 bitop3:0x54
	s_wait_xcnt 0x0
	v_or_b32_e32 v2, 0x100, v0
	v_dual_mov_b32 v7, 0 :: v_dual_mov_b32 v9, v0
	s_and_saveexec_b32 s0, vcc_lo
	s_cbranch_execz .LBB333_5
; %bb.4:
	global_load_u16 v7, v1, s[18:19] scale_offset
	v_or_b32_e32 v9, 0x100, v0
.LBB333_5:
	s_wait_xcnt 0x0
	s_or_b32 exec_lo, exec_lo, s0
	s_delay_alu instid0(SALU_CYCLE_1) | instskip(NEXT) | instid1(VALU_DEP_1)
	s_mov_b32 s1, exec_lo
	v_cmpx_gt_i32_e64 s15, v9
	s_cbranch_execz .LBB333_7
; %bb.6:
	v_add_nc_u32_e32 v3, s24, v9
	v_add_nc_u32_e32 v9, 0x100, v9
	global_load_u16 v6, v3, s[18:19] scale_offset
.LBB333_7:
	s_wait_xcnt 0x0
	s_or_b32 exec_lo, exec_lo, s1
	v_dual_mov_b32 v4, 0 :: v_dual_mov_b32 v5, 0
	s_mov_b32 s1, exec_lo
	v_cmpx_gt_i32_e64 s15, v9
	s_cbranch_execz .LBB333_9
; %bb.8:
	v_add_nc_u32_e32 v3, s24, v9
	v_add_nc_u32_e32 v9, 0x100, v9
	global_load_u16 v5, v3, s[18:19] scale_offset
.LBB333_9:
	s_wait_xcnt 0x0
	s_or_b32 exec_lo, exec_lo, s1
	s_delay_alu instid0(SALU_CYCLE_1)
	s_mov_b32 s1, exec_lo
	v_cmpx_gt_i32_e64 s15, v9
	s_cbranch_execz .LBB333_11
; %bb.10:
	v_add_nc_u32_e32 v3, s24, v9
	v_add_nc_u32_e32 v9, 0x100, v9
	global_load_u16 v4, v3, s[18:19] scale_offset
.LBB333_11:
	s_wait_xcnt 0x0
	s_or_b32 exec_lo, exec_lo, s1
	v_dual_mov_b32 v12, 0 :: v_dual_mov_b32 v14, 0
	s_mov_b32 s1, exec_lo
	v_cmpx_gt_i32_e64 s15, v9
	s_cbranch_execz .LBB333_13
; %bb.12:
	v_add_nc_u32_e32 v3, s24, v9
	v_add_nc_u32_e32 v9, 0x100, v9
	global_load_u16 v14, v3, s[18:19] scale_offset
.LBB333_13:
	s_wait_xcnt 0x0
	s_or_b32 exec_lo, exec_lo, s1
	s_delay_alu instid0(SALU_CYCLE_1)
	;; [unrolled: 22-line block ×7, first 2 shown]
	s_mov_b32 s1, exec_lo
	v_cmpx_gt_i32_e64 s15, v9
	s_cbranch_execz .LBB333_35
; %bb.34:
	v_add_nc_u32_e32 v9, s24, v9
	global_load_u16 v16, v9, s[18:19] scale_offset
.LBB333_35:
	s_wait_xcnt 0x0
	s_or_b32 exec_lo, exec_lo, s1
	s_wait_loadcnt 0x0
	v_cmp_ne_u16_e64 s0, s22, v7
	s_cmp_eq_u32 s21, 0
	v_cmp_ne_u16_e64 s1, s22, v6
	s_cselect_b32 s4, -1, 0
	v_cmp_ne_u16_e64 s2, s22, v14
	s_xor_b32 s0, s4, s0
	v_cmp_ne_u16_e64 s3, s22, v10
	v_cndmask_b32_e64 v6, 0, 1, s0
	s_xor_b32 s0, s4, s1
	v_cmp_gt_i32_e64 s1, s15, v2
	v_cndmask_b32_e64 v7, 0, 1, s0
	s_xor_b32 s0, s4, s2
	v_or_b32_e32 v10, 0xc00, v0
	v_cndmask_b32_e64 v9, 0, 1, s0
	v_cmp_ne_u16_e64 s0, s22, v12
	v_or_b32_e32 v12, 0x400, v0
	v_lshlrev_b16 v7, 8, v7
	s_delay_alu instid0(VALU_DEP_4) | instskip(SKIP_1) | instid1(SALU_CYCLE_1)
	v_bitop3_b16 v9, v9, 0, 0xff00 bitop3:0xf8
	s_xor_b32 s0, s4, s0
	v_cndmask_b32_e64 v14, 0, 1, s0
	v_cmp_gt_i32_e64 s0, s15, v12
	s_delay_alu instid0(VALU_DEP_3) | instskip(SKIP_1) | instid1(VALU_DEP_4)
	v_and_b32_e32 v9, 0xffff, v9
	v_cndmask_b32_e32 v6, 0, v6, vcc_lo
	v_lshlrev_b16 v12, 8, v14
	v_or_b32_e32 v14, 0x200, v0
	s_delay_alu instid0(VALU_DEP_3) | instskip(SKIP_1) | instid1(VALU_DEP_3)
	v_dual_cndmask_b32 v9, 0, v9, s0 :: v_dual_bitop2_b32 v7, v6, v7 bitop3:0x54
	v_cmp_ne_u16_e64 s0, s22, v5
	v_cmp_gt_i32_e64 s2, s15, v14
	s_delay_alu instid0(VALU_DEP_3) | instskip(SKIP_1) | instid1(VALU_DEP_1)
	v_and_b32_e32 v7, 0xffff, v7
	s_xor_b32 s0, s4, s0
	v_cndmask_b32_e64 v5, v6, v7, s1
	v_bitop3_b16 v6, v9, v12, 0xff bitop3:0xec
	v_or_b32_e32 v12, 0x500, v0
	v_cndmask_b32_e64 v7, 0, 1, s0
	v_cmp_ne_u16_e64 s0, s22, v4
	s_delay_alu instid0(VALU_DEP_4) | instskip(NEXT) | instid1(VALU_DEP_4)
	v_and_b32_e32 v6, 0xffff, v6
	v_cmp_gt_i32_e64 s1, s15, v12
	s_delay_alu instid0(VALU_DEP_4)
	v_lshl_or_b32 v7, v7, 16, v5
	s_xor_b32 s0, s4, s0
	v_cndmask_b32_e64 v4, v9, v6, s1
	v_cmp_ne_u16_e64 s1, s22, v13
	v_cndmask_b32_e64 v6, 0, 1, s0
	v_cndmask_b32_e64 v5, v5, v7, s2
	v_cmp_ne_u16_e64 s2, s22, v17
	v_lshrrev_b32_e32 v7, 16, v4
	s_xor_b32 s0, s4, s1
	v_cmp_ne_u16_e64 s1, s22, v18
	v_cndmask_b32_e64 v9, 0, 1, s0
	v_cmp_ne_u16_e64 s0, s22, v15
	v_lshlrev_b16 v6, 8, v6
	s_xor_b32 s1, s4, s1
	v_bitop3_b16 v7, v9, v7, 0xff00 bitop3:0xf8
	s_xor_b32 s0, s4, s0
	v_cndmask_b32_e64 v13, 0, 1, s1
	s_xor_b32 s1, s4, s2
	v_cndmask_b32_e64 v15, 0, 1, s0
	v_lshlrev_b32_e32 v7, 16, v7
	v_cmp_gt_i32_e64 s0, s15, v10
	v_lshrrev_b32_e32 v12, 16, v5
	v_or_b32_e32 v9, 0x600, v0
	v_cndmask_b32_e64 v14, 0, 1, s1
	v_and_or_b32 v7, 0xffff, v4, v7
	v_cndmask_b32_e64 v10, 0, v13, s0
	s_xor_b32 s0, s4, s3
	v_bitop3_b16 v6, v12, v6, 0xff bitop3:0xec
	v_or_b32_e32 v12, 0x800, v0
	v_lshlrev_b16 v13, 8, v14
	v_cndmask_b32_e64 v14, 0, 1, s0
	v_cmp_gt_i32_e64 s0, s15, v9
	v_cmp_ne_u16_e64 s1, s22, v11
	s_delay_alu instid0(VALU_DEP_2)
	v_dual_lshlrev_b32 v6, 16, v6 :: v_dual_cndmask_b32 v4, v4, v7, s0
	v_cmp_gt_i32_e64 s0, s15, v12
	v_bitop3_b16 v7, v10, v13, 0xff bitop3:0xec
	v_lshlrev_b16 v12, 8, v14
	v_or_b32_e32 v13, 0x900, v0
	s_xor_b32 s1, s4, s1
	v_cndmask_b32_e64 v9, 0, v15, s0
	v_cmp_ne_u16_e64 s0, s22, v3
	v_or_b32_e32 v3, 0xd00, v0
	v_and_b32_e32 v7, 0xffff, v7
	v_and_or_b32 v6, 0xffff, v5, v6
	s_xor_b32 s0, s4, s0
	s_delay_alu instid0(VALU_DEP_3) | instskip(NEXT) | instid1(VALU_DEP_1)
	v_cmp_gt_i32_e64 s2, s15, v3
	v_dual_cndmask_b32 v3, v10, v7, s2 :: v_dual_bitop2_b32 v12, v9, v12 bitop3:0x54
	v_cmp_ne_u16_e64 s2, s22, v19
	v_cndmask_b32_e64 v10, 0, 1, s1
	s_delay_alu instid0(VALU_DEP_3) | instskip(NEXT) | instid1(VALU_DEP_4)
	v_and_b32_e32 v7, 0xffff, v12
	v_lshrrev_b32_e32 v11, 16, v3
	s_xor_b32 s1, s4, s2
	s_delay_alu instid0(SALU_CYCLE_1) | instskip(SKIP_2) | instid1(VALU_DEP_3)
	v_cndmask_b32_e64 v12, 0, 1, s1
	v_cmp_gt_i32_e64 s1, s15, v13
	v_or_b32_e32 v13, 0xa00, v0
	v_bitop3_b16 v11, v12, v11, 0xff00 bitop3:0xf8
	s_delay_alu instid0(VALU_DEP_3)
	v_dual_lshrrev_b32 v12, 16, v4 :: v_dual_cndmask_b32 v7, v9, v7, s1
	v_lshlrev_b32_e32 v9, 16, v10
	v_cndmask_b32_e64 v10, 0, 1, s0
	v_cmp_ne_u16_e64 s0, s22, v8
	v_cmp_gt_i32_e64 s1, s15, v13
	v_or_b32_e32 v8, 0xe00, v0
	v_and_or_b32 v9, 0x1ff, v7, v9
	v_lshlrev_b32_e32 v11, 16, v11
	s_xor_b32 s0, s4, s0
	v_lshlrev_b16 v10, 8, v10
	v_or_b32_e32 v13, 0x300, v0
	v_cndmask_b32_e64 v7, v7, v9, s1
	v_and_or_b32 v9, 0xffff, v3, v11
	v_cmp_ne_u16_e64 s1, s22, v16
	v_cndmask_b32_e64 v11, 0, 1, s0
	v_cmp_gt_i32_e64 s0, s15, v8
	s_delay_alu instid0(VALU_DEP_2) | instskip(NEXT) | instid1(VALU_DEP_2)
	v_lshlrev_b16 v11, 8, v11
	v_cndmask_b32_e64 v3, v3, v9, s0
	s_xor_b32 s0, s4, s1
	v_bitop3_b16 v9, v12, v10, 0xff bitop3:0xec
	v_cndmask_b32_e64 v8, 0, 1, s0
	v_lshrrev_b32_e32 v10, 16, v7
	v_cmp_gt_i32_e64 s0, s15, v13
	s_delay_alu instid0(VALU_DEP_4) | instskip(NEXT) | instid1(VALU_DEP_4)
	v_dual_lshrrev_b32 v12, 16, v3 :: v_dual_lshlrev_b32 v9, 16, v9
	v_lshlrev_b16 v8, 8, v8
	s_delay_alu instid0(VALU_DEP_4) | instskip(NEXT) | instid1(VALU_DEP_4)
	v_bitop3_b16 v10, v10, v11, 0xff bitop3:0xec
	v_cndmask_b32_e64 v6, v5, v6, s0
	v_or_b32_e32 v11, 0xb00, v0
	v_and_or_b32 v9, 0xffff, v4, v9
	v_bitop3_b16 v8, v12, v8, 0xff bitop3:0xec
	v_lshlrev_b32_e32 v5, 16, v10
	v_or_b32_e32 v10, 0x700, v0
	v_or_b32_e32 v13, 0xf00, v0
	s_delay_alu instid0(VALU_DEP_4) | instskip(NEXT) | instid1(VALU_DEP_4)
	v_lshlrev_b32_e32 v8, 16, v8
	v_and_or_b32 v12, 0xffff, v7, v5
	s_delay_alu instid0(VALU_DEP_4) | instskip(NEXT) | instid1(VALU_DEP_3)
	v_cmp_gt_i32_e64 s0, s15, v10
	v_and_or_b32 v8, 0xffff, v3, v8
	s_delay_alu instid0(VALU_DEP_2) | instskip(SKIP_1) | instid1(VALU_DEP_1)
	v_cndmask_b32_e64 v5, v4, v9, s0
	v_cmp_gt_i32_e64 s0, s15, v11
	v_cndmask_b32_e64 v4, v7, v12, s0
	v_cmp_gt_i32_e64 s0, s15, v13
	s_delay_alu instid0(VALU_DEP_1)
	v_cndmask_b32_e64 v3, v3, v8, s0
	s_and_saveexec_b32 s0, vcc_lo
	s_cbranch_execnz .LBB333_53
; %bb.36:
	s_or_b32 exec_lo, exec_lo, s0
	s_delay_alu instid0(SALU_CYCLE_1)
	s_mov_b32 s0, exec_lo
	v_cmpx_gt_i32_e64 s15, v0
	s_cbranch_execnz .LBB333_54
.LBB333_37:
	s_or_b32 exec_lo, exec_lo, s0
	s_delay_alu instid0(SALU_CYCLE_1)
	s_mov_b32 s0, exec_lo
	v_cmpx_gt_i32_e64 s15, v0
	s_cbranch_execnz .LBB333_55
.LBB333_38:
	s_or_b32 exec_lo, exec_lo, s0
	s_delay_alu instid0(SALU_CYCLE_1)
	s_mov_b32 s0, exec_lo
	v_cmpx_gt_i32_e64 s15, v0
	s_cbranch_execnz .LBB333_56
.LBB333_39:
	s_or_b32 exec_lo, exec_lo, s0
	s_delay_alu instid0(SALU_CYCLE_1)
	s_mov_b32 s0, exec_lo
	v_cmpx_gt_i32_e64 s15, v0
	s_cbranch_execnz .LBB333_57
.LBB333_40:
	s_or_b32 exec_lo, exec_lo, s0
	s_delay_alu instid0(SALU_CYCLE_1)
	s_mov_b32 s0, exec_lo
	v_cmpx_gt_i32_e64 s15, v0
	s_cbranch_execnz .LBB333_58
.LBB333_41:
	s_or_b32 exec_lo, exec_lo, s0
	s_delay_alu instid0(SALU_CYCLE_1)
	s_mov_b32 s0, exec_lo
	v_cmpx_gt_i32_e64 s15, v0
	s_cbranch_execnz .LBB333_59
.LBB333_42:
	s_or_b32 exec_lo, exec_lo, s0
	s_delay_alu instid0(SALU_CYCLE_1)
	s_mov_b32 s0, exec_lo
	v_cmpx_gt_i32_e64 s15, v0
	s_cbranch_execnz .LBB333_60
.LBB333_43:
	s_or_b32 exec_lo, exec_lo, s0
	s_delay_alu instid0(SALU_CYCLE_1)
	s_mov_b32 s0, exec_lo
	v_cmpx_gt_i32_e64 s15, v0
	s_cbranch_execnz .LBB333_61
.LBB333_44:
	s_or_b32 exec_lo, exec_lo, s0
	s_delay_alu instid0(SALU_CYCLE_1)
	s_mov_b32 s0, exec_lo
	v_cmpx_gt_i32_e64 s15, v0
	s_cbranch_execnz .LBB333_62
.LBB333_45:
	s_or_b32 exec_lo, exec_lo, s0
	s_delay_alu instid0(SALU_CYCLE_1)
	s_mov_b32 s0, exec_lo
	v_cmpx_gt_i32_e64 s15, v0
	s_cbranch_execnz .LBB333_63
.LBB333_46:
	s_or_b32 exec_lo, exec_lo, s0
	s_delay_alu instid0(SALU_CYCLE_1)
	s_mov_b32 s0, exec_lo
	v_cmpx_gt_i32_e64 s15, v0
	s_cbranch_execnz .LBB333_64
.LBB333_47:
	s_or_b32 exec_lo, exec_lo, s0
	s_delay_alu instid0(SALU_CYCLE_1)
	s_mov_b32 s0, exec_lo
	v_cmpx_gt_i32_e64 s15, v0
	s_cbranch_execnz .LBB333_65
.LBB333_48:
	s_or_b32 exec_lo, exec_lo, s0
	s_delay_alu instid0(SALU_CYCLE_1)
	s_mov_b32 s0, exec_lo
	v_cmpx_gt_i32_e64 s15, v0
	s_cbranch_execnz .LBB333_66
.LBB333_49:
	s_or_b32 exec_lo, exec_lo, s0
	s_delay_alu instid0(SALU_CYCLE_1)
	s_mov_b32 s0, exec_lo
	v_cmpx_gt_i32_e64 s15, v0
	s_cbranch_execnz .LBB333_67
.LBB333_50:
	s_or_b32 exec_lo, exec_lo, s0
	s_delay_alu instid0(SALU_CYCLE_1)
	s_mov_b32 s0, exec_lo
	v_cmpx_gt_i32_e64 s15, v0
	s_cbranch_execz .LBB333_52
.LBB333_51:
	v_dual_lshrrev_b32 v1, 24, v3 :: v_dual_add_nc_u32 v0, s24, v0
	global_store_b8 v0, v1, s[16:17]
.LBB333_52:
	s_endpgm
.LBB333_53:
	v_mov_b32_e32 v0, v2
	global_store_b8 v1, v6, s[16:17]
	s_wait_xcnt 0x0
	s_or_b32 exec_lo, exec_lo, s0
	s_delay_alu instid0(SALU_CYCLE_1)
	s_mov_b32 s0, exec_lo
	v_cmpx_gt_i32_e64 s15, v0
	s_cbranch_execz .LBB333_37
.LBB333_54:
	v_dual_lshrrev_b32 v1, 8, v6 :: v_dual_add_nc_u32 v2, s24, v0
	v_add_nc_u32_e32 v0, 0x100, v0
	global_store_b8 v2, v1, s[16:17]
	s_wait_xcnt 0x0
	s_or_b32 exec_lo, exec_lo, s0
	s_delay_alu instid0(SALU_CYCLE_1)
	s_mov_b32 s0, exec_lo
	v_cmpx_gt_i32_e64 s15, v0
	s_cbranch_execz .LBB333_38
.LBB333_55:
	v_add_nc_u32_e32 v1, s24, v0
	v_add_nc_u32_e32 v0, 0x100, v0
	global_store_d16_hi_b8 v1, v6, s[16:17]
	s_wait_xcnt 0x0
	s_or_b32 exec_lo, exec_lo, s0
	s_delay_alu instid0(SALU_CYCLE_1)
	s_mov_b32 s0, exec_lo
	v_cmpx_gt_i32_e64 s15, v0
	s_cbranch_execz .LBB333_39
.LBB333_56:
	v_dual_lshrrev_b32 v1, 24, v6 :: v_dual_add_nc_u32 v2, s24, v0
	v_add_nc_u32_e32 v0, 0x100, v0
	global_store_b8 v2, v1, s[16:17]
	s_wait_xcnt 0x0
	s_or_b32 exec_lo, exec_lo, s0
	s_delay_alu instid0(SALU_CYCLE_1)
	s_mov_b32 s0, exec_lo
	v_cmpx_gt_i32_e64 s15, v0
	s_cbranch_execz .LBB333_40
.LBB333_57:
	v_add_nc_u32_e32 v1, s24, v0
	v_add_nc_u32_e32 v0, 0x100, v0
	global_store_b8 v1, v5, s[16:17]
	s_wait_xcnt 0x0
	s_or_b32 exec_lo, exec_lo, s0
	s_delay_alu instid0(SALU_CYCLE_1)
	s_mov_b32 s0, exec_lo
	v_cmpx_gt_i32_e64 s15, v0
	s_cbranch_execz .LBB333_41
.LBB333_58:
	v_dual_lshrrev_b32 v1, 8, v5 :: v_dual_add_nc_u32 v2, s24, v0
	v_add_nc_u32_e32 v0, 0x100, v0
	global_store_b8 v2, v1, s[16:17]
	s_wait_xcnt 0x0
	s_or_b32 exec_lo, exec_lo, s0
	s_delay_alu instid0(SALU_CYCLE_1)
	s_mov_b32 s0, exec_lo
	v_cmpx_gt_i32_e64 s15, v0
	s_cbranch_execz .LBB333_42
.LBB333_59:
	v_add_nc_u32_e32 v1, s24, v0
	v_add_nc_u32_e32 v0, 0x100, v0
	global_store_d16_hi_b8 v1, v5, s[16:17]
	s_wait_xcnt 0x0
	s_or_b32 exec_lo, exec_lo, s0
	s_delay_alu instid0(SALU_CYCLE_1)
	s_mov_b32 s0, exec_lo
	v_cmpx_gt_i32_e64 s15, v0
	s_cbranch_execz .LBB333_43
.LBB333_60:
	v_dual_lshrrev_b32 v1, 24, v5 :: v_dual_add_nc_u32 v2, s24, v0
	v_add_nc_u32_e32 v0, 0x100, v0
	global_store_b8 v2, v1, s[16:17]
	s_wait_xcnt 0x0
	s_or_b32 exec_lo, exec_lo, s0
	s_delay_alu instid0(SALU_CYCLE_1)
	s_mov_b32 s0, exec_lo
	v_cmpx_gt_i32_e64 s15, v0
	s_cbranch_execz .LBB333_44
.LBB333_61:
	v_add_nc_u32_e32 v1, s24, v0
	v_add_nc_u32_e32 v0, 0x100, v0
	global_store_b8 v1, v4, s[16:17]
	s_wait_xcnt 0x0
	s_or_b32 exec_lo, exec_lo, s0
	s_delay_alu instid0(SALU_CYCLE_1)
	s_mov_b32 s0, exec_lo
	v_cmpx_gt_i32_e64 s15, v0
	s_cbranch_execz .LBB333_45
.LBB333_62:
	v_lshrrev_b32_e32 v1, 8, v4
	v_add_nc_u32_e32 v2, s24, v0
	v_add_nc_u32_e32 v0, 0x100, v0
	global_store_b8 v2, v1, s[16:17]
	s_wait_xcnt 0x0
	s_or_b32 exec_lo, exec_lo, s0
	s_delay_alu instid0(SALU_CYCLE_1)
	s_mov_b32 s0, exec_lo
	v_cmpx_gt_i32_e64 s15, v0
	s_cbranch_execz .LBB333_46
.LBB333_63:
	v_add_nc_u32_e32 v1, s24, v0
	v_add_nc_u32_e32 v0, 0x100, v0
	global_store_d16_hi_b8 v1, v4, s[16:17]
	s_wait_xcnt 0x0
	s_or_b32 exec_lo, exec_lo, s0
	s_delay_alu instid0(SALU_CYCLE_1)
	s_mov_b32 s0, exec_lo
	v_cmpx_gt_i32_e64 s15, v0
	s_cbranch_execz .LBB333_47
.LBB333_64:
	v_lshrrev_b32_e32 v1, 24, v4
	v_add_nc_u32_e32 v2, s24, v0
	v_add_nc_u32_e32 v0, 0x100, v0
	global_store_b8 v2, v1, s[16:17]
	s_wait_xcnt 0x0
	s_or_b32 exec_lo, exec_lo, s0
	s_delay_alu instid0(SALU_CYCLE_1)
	s_mov_b32 s0, exec_lo
	v_cmpx_gt_i32_e64 s15, v0
	s_cbranch_execz .LBB333_48
.LBB333_65:
	v_add_nc_u32_e32 v1, s24, v0
	v_add_nc_u32_e32 v0, 0x100, v0
	global_store_b8 v1, v3, s[16:17]
	s_wait_xcnt 0x0
	s_or_b32 exec_lo, exec_lo, s0
	s_delay_alu instid0(SALU_CYCLE_1)
	s_mov_b32 s0, exec_lo
	v_cmpx_gt_i32_e64 s15, v0
	s_cbranch_execz .LBB333_49
.LBB333_66:
	v_dual_lshrrev_b32 v1, 8, v3 :: v_dual_add_nc_u32 v2, s24, v0
	v_add_nc_u32_e32 v0, 0x100, v0
	global_store_b8 v2, v1, s[16:17]
	s_wait_xcnt 0x0
	s_or_b32 exec_lo, exec_lo, s0
	s_delay_alu instid0(SALU_CYCLE_1)
	s_mov_b32 s0, exec_lo
	v_cmpx_gt_i32_e64 s15, v0
	s_cbranch_execz .LBB333_50
.LBB333_67:
	v_add_nc_u32_e32 v1, s24, v0
	v_add_nc_u32_e32 v0, 0x100, v0
	global_store_d16_hi_b8 v1, v3, s[16:17]
	s_wait_xcnt 0x0
	s_or_b32 exec_lo, exec_lo, s0
	s_delay_alu instid0(SALU_CYCLE_1)
	s_mov_b32 s0, exec_lo
	v_cmpx_gt_i32_e64 s15, v0
	s_cbranch_execnz .LBB333_51
	s_branch .LBB333_52
	.section	.rodata,"a",@progbits
	.p2align	6, 0x0
	.amdhsa_kernel _ZN2at6native29vectorized_elementwise_kernelILi16ENS0_13AUnaryFunctorIttbNS0_12_GLOBAL__N_116CompareEqFunctorItEEEESt5arrayIPcLm2EEEEviT0_T1_
		.amdhsa_group_segment_fixed_size 0
		.amdhsa_private_segment_fixed_size 0
		.amdhsa_kernarg_size 32
		.amdhsa_user_sgpr_count 2
		.amdhsa_user_sgpr_dispatch_ptr 0
		.amdhsa_user_sgpr_queue_ptr 0
		.amdhsa_user_sgpr_kernarg_segment_ptr 1
		.amdhsa_user_sgpr_dispatch_id 0
		.amdhsa_user_sgpr_kernarg_preload_length 0
		.amdhsa_user_sgpr_kernarg_preload_offset 0
		.amdhsa_user_sgpr_private_segment_size 0
		.amdhsa_wavefront_size32 1
		.amdhsa_uses_dynamic_stack 0
		.amdhsa_enable_private_segment 0
		.amdhsa_system_sgpr_workgroup_id_x 1
		.amdhsa_system_sgpr_workgroup_id_y 0
		.amdhsa_system_sgpr_workgroup_id_z 0
		.amdhsa_system_sgpr_workgroup_info 0
		.amdhsa_system_vgpr_workitem_id 0
		.amdhsa_next_free_vgpr 20
		.amdhsa_next_free_sgpr 26
		.amdhsa_named_barrier_count 0
		.amdhsa_reserve_vcc 1
		.amdhsa_float_round_mode_32 0
		.amdhsa_float_round_mode_16_64 0
		.amdhsa_float_denorm_mode_32 3
		.amdhsa_float_denorm_mode_16_64 3
		.amdhsa_fp16_overflow 0
		.amdhsa_memory_ordered 1
		.amdhsa_forward_progress 1
		.amdhsa_inst_pref_size 31
		.amdhsa_round_robin_scheduling 0
		.amdhsa_exception_fp_ieee_invalid_op 0
		.amdhsa_exception_fp_denorm_src 0
		.amdhsa_exception_fp_ieee_div_zero 0
		.amdhsa_exception_fp_ieee_overflow 0
		.amdhsa_exception_fp_ieee_underflow 0
		.amdhsa_exception_fp_ieee_inexact 0
		.amdhsa_exception_int_div_zero 0
	.end_amdhsa_kernel
	.section	.text._ZN2at6native29vectorized_elementwise_kernelILi16ENS0_13AUnaryFunctorIttbNS0_12_GLOBAL__N_116CompareEqFunctorItEEEESt5arrayIPcLm2EEEEviT0_T1_,"axG",@progbits,_ZN2at6native29vectorized_elementwise_kernelILi16ENS0_13AUnaryFunctorIttbNS0_12_GLOBAL__N_116CompareEqFunctorItEEEESt5arrayIPcLm2EEEEviT0_T1_,comdat
.Lfunc_end333:
	.size	_ZN2at6native29vectorized_elementwise_kernelILi16ENS0_13AUnaryFunctorIttbNS0_12_GLOBAL__N_116CompareEqFunctorItEEEESt5arrayIPcLm2EEEEviT0_T1_, .Lfunc_end333-_ZN2at6native29vectorized_elementwise_kernelILi16ENS0_13AUnaryFunctorIttbNS0_12_GLOBAL__N_116CompareEqFunctorItEEEESt5arrayIPcLm2EEEEviT0_T1_
                                        ; -- End function
	.set _ZN2at6native29vectorized_elementwise_kernelILi16ENS0_13AUnaryFunctorIttbNS0_12_GLOBAL__N_116CompareEqFunctorItEEEESt5arrayIPcLm2EEEEviT0_T1_.num_vgpr, 20
	.set _ZN2at6native29vectorized_elementwise_kernelILi16ENS0_13AUnaryFunctorIttbNS0_12_GLOBAL__N_116CompareEqFunctorItEEEESt5arrayIPcLm2EEEEviT0_T1_.num_agpr, 0
	.set _ZN2at6native29vectorized_elementwise_kernelILi16ENS0_13AUnaryFunctorIttbNS0_12_GLOBAL__N_116CompareEqFunctorItEEEESt5arrayIPcLm2EEEEviT0_T1_.numbered_sgpr, 26
	.set _ZN2at6native29vectorized_elementwise_kernelILi16ENS0_13AUnaryFunctorIttbNS0_12_GLOBAL__N_116CompareEqFunctorItEEEESt5arrayIPcLm2EEEEviT0_T1_.num_named_barrier, 0
	.set _ZN2at6native29vectorized_elementwise_kernelILi16ENS0_13AUnaryFunctorIttbNS0_12_GLOBAL__N_116CompareEqFunctorItEEEESt5arrayIPcLm2EEEEviT0_T1_.private_seg_size, 0
	.set _ZN2at6native29vectorized_elementwise_kernelILi16ENS0_13AUnaryFunctorIttbNS0_12_GLOBAL__N_116CompareEqFunctorItEEEESt5arrayIPcLm2EEEEviT0_T1_.uses_vcc, 1
	.set _ZN2at6native29vectorized_elementwise_kernelILi16ENS0_13AUnaryFunctorIttbNS0_12_GLOBAL__N_116CompareEqFunctorItEEEESt5arrayIPcLm2EEEEviT0_T1_.uses_flat_scratch, 0
	.set _ZN2at6native29vectorized_elementwise_kernelILi16ENS0_13AUnaryFunctorIttbNS0_12_GLOBAL__N_116CompareEqFunctorItEEEESt5arrayIPcLm2EEEEviT0_T1_.has_dyn_sized_stack, 0
	.set _ZN2at6native29vectorized_elementwise_kernelILi16ENS0_13AUnaryFunctorIttbNS0_12_GLOBAL__N_116CompareEqFunctorItEEEESt5arrayIPcLm2EEEEviT0_T1_.has_recursion, 0
	.set _ZN2at6native29vectorized_elementwise_kernelILi16ENS0_13AUnaryFunctorIttbNS0_12_GLOBAL__N_116CompareEqFunctorItEEEESt5arrayIPcLm2EEEEviT0_T1_.has_indirect_call, 0
	.section	.AMDGPU.csdata,"",@progbits
; Kernel info:
; codeLenInByte = 3964
; TotalNumSgprs: 28
; NumVgprs: 20
; ScratchSize: 0
; MemoryBound: 0
; FloatMode: 240
; IeeeMode: 1
; LDSByteSize: 0 bytes/workgroup (compile time only)
; SGPRBlocks: 0
; VGPRBlocks: 1
; NumSGPRsForWavesPerEU: 28
; NumVGPRsForWavesPerEU: 20
; NamedBarCnt: 0
; Occupancy: 16
; WaveLimiterHint : 0
; COMPUTE_PGM_RSRC2:SCRATCH_EN: 0
; COMPUTE_PGM_RSRC2:USER_SGPR: 2
; COMPUTE_PGM_RSRC2:TRAP_HANDLER: 0
; COMPUTE_PGM_RSRC2:TGID_X_EN: 1
; COMPUTE_PGM_RSRC2:TGID_Y_EN: 0
; COMPUTE_PGM_RSRC2:TGID_Z_EN: 0
; COMPUTE_PGM_RSRC2:TIDIG_COMP_CNT: 0
	.section	.text._ZN2at6native29vectorized_elementwise_kernelILi8ENS0_13AUnaryFunctorIttbNS0_12_GLOBAL__N_116CompareEqFunctorItEEEESt5arrayIPcLm2EEEEviT0_T1_,"axG",@progbits,_ZN2at6native29vectorized_elementwise_kernelILi8ENS0_13AUnaryFunctorIttbNS0_12_GLOBAL__N_116CompareEqFunctorItEEEESt5arrayIPcLm2EEEEviT0_T1_,comdat
	.globl	_ZN2at6native29vectorized_elementwise_kernelILi8ENS0_13AUnaryFunctorIttbNS0_12_GLOBAL__N_116CompareEqFunctorItEEEESt5arrayIPcLm2EEEEviT0_T1_ ; -- Begin function _ZN2at6native29vectorized_elementwise_kernelILi8ENS0_13AUnaryFunctorIttbNS0_12_GLOBAL__N_116CompareEqFunctorItEEEESt5arrayIPcLm2EEEEviT0_T1_
	.p2align	8
	.type	_ZN2at6native29vectorized_elementwise_kernelILi8ENS0_13AUnaryFunctorIttbNS0_12_GLOBAL__N_116CompareEqFunctorItEEEESt5arrayIPcLm2EEEEviT0_T1_,@function
_ZN2at6native29vectorized_elementwise_kernelILi8ENS0_13AUnaryFunctorIttbNS0_12_GLOBAL__N_116CompareEqFunctorItEEEESt5arrayIPcLm2EEEEviT0_T1_: ; @_ZN2at6native29vectorized_elementwise_kernelILi8ENS0_13AUnaryFunctorIttbNS0_12_GLOBAL__N_116CompareEqFunctorItEEEESt5arrayIPcLm2EEEEviT0_T1_
; %bb.0:
	s_clause 0x1
	s_load_b96 s[12:14], s[0:1], 0x0
	s_load_b128 s[8:11], s[0:1], 0x10
	s_wait_xcnt 0x0
	s_bfe_u32 s0, ttmp6, 0x4000c
	s_and_b32 s1, ttmp6, 15
	s_add_co_i32 s0, s0, 1
	s_getreg_b32 s2, hwreg(HW_REG_IB_STS2, 6, 4)
	s_mul_i32 s0, ttmp9, s0
	s_delay_alu instid0(SALU_CYCLE_1) | instskip(SKIP_2) | instid1(SALU_CYCLE_1)
	s_add_co_i32 s1, s1, s0
	s_cmp_eq_u32 s2, 0
	s_cselect_b32 s0, ttmp9, s1
	s_lshl_b32 s16, s0, 12
	s_mov_b32 s0, -1
	s_wait_kmcnt 0x0
	s_sub_co_i32 s7, s12, s16
	s_delay_alu instid0(SALU_CYCLE_1)
	s_cmp_gt_i32 s7, 0xfff
	s_cbranch_scc0 .LBB334_2
; %bb.1:
	s_ashr_i32 s17, s16, 31
	s_delay_alu instid0(SALU_CYCLE_1)
	s_lshl_b64 s[0:1], s[16:17], 1
	s_cmp_eq_u32 s13, 0
	s_add_nc_u64 s[0:1], s[10:11], s[0:1]
	s_cselect_b32 s12, -1, 0
	s_clause 0x1
	global_load_b128 v[2:5], v0, s[0:1] scale_offset
	global_load_b128 v[6:9], v0, s[0:1] offset:4096 scale_offset
	s_wait_loadcnt 0x1
	s_wait_xcnt 0x0
	v_cmp_ne_u16_e64 s0, s14, v3
	v_dual_lshrrev_b32 v1, 16, v2 :: v_dual_lshrrev_b32 v10, 16, v3
	v_cmp_ne_u16_e32 vcc_lo, s14, v2
	v_cmp_ne_u16_e64 s1, s14, v4
	v_dual_lshrrev_b32 v11, 16, v4 :: v_dual_lshrrev_b32 v12, 16, v5
	s_wait_loadcnt 0x0
	v_cmp_ne_u16_e64 s3, s14, v6
	s_xor_b32 s0, s12, s0
	v_dual_lshrrev_b32 v13, 16, v6 :: v_dual_lshrrev_b32 v14, 16, v7
	v_cmp_ne_u16_e64 s5, s14, v8
	s_xor_b32 s15, s12, vcc_lo
	v_cmp_ne_u16_e32 vcc_lo, s14, v1
	v_cndmask_b32_e64 v1, 0, 1, s0
	v_cmp_ne_u16_e64 s0, s14, v10
	s_xor_b32 s1, s12, s1
	v_dual_lshrrev_b32 v15, 16, v8 :: v_dual_lshrrev_b32 v16, 16, v9
	v_cmp_ne_u16_e64 s6, s14, v9
	v_cndmask_b32_e64 v3, 0, 1, s1
	v_cmp_ne_u16_e64 s1, s14, v11
	s_xor_b32 s3, s12, s3
	v_cmp_ne_u16_e64 s4, s14, v7
	v_cmp_ne_u16_e64 s2, s14, v5
	v_cndmask_b32_e64 v5, 0, 1, s3
	v_cmp_ne_u16_e64 s3, s14, v13
	s_xor_b32 s5, s12, s5
	s_xor_b32 s0, s12, s0
	v_cndmask_b32_e64 v7, 0, 1, s5
	v_cmp_ne_u16_e64 s5, s14, v15
	s_xor_b32 s6, s12, s6
	v_cndmask_b32_e64 v10, 0, 1, s0
	s_xor_b32 s0, s12, s1
	s_xor_b32 s4, s12, s4
	v_cndmask_b32_e64 v8, 0, 1, s6
	v_cmp_ne_u16_e64 s6, s14, v16
	s_xor_b32 s2, s12, s2
	v_cndmask_b32_e64 v11, 0, 1, s0
	s_xor_b32 s0, s12, s3
	v_cndmask_b32_e64 v6, 0, 1, s4
	v_cmp_ne_u16_e64 s4, s14, v14
	v_cndmask_b32_e64 v4, 0, 1, s2
	v_cmp_ne_u16_e64 s2, s14, v12
	v_cndmask_b32_e64 v12, 0, 1, s0
	s_xor_b32 s0, s12, s5
	v_cndmask_b32_e64 v2, 0, 1, s15
	v_cndmask_b32_e64 v13, 0, 1, s0
	s_xor_b32 s0, s12, s6
	s_xor_b32 s15, s12, vcc_lo
	v_cndmask_b32_e64 v14, 0, 1, s0
	s_xor_b32 s0, s12, s4
	v_cndmask_b32_e64 v9, 0, 1, s15
	v_cndmask_b32_e64 v15, 0, 1, s0
	s_xor_b32 s0, s12, s2
	v_lshlrev_b16 v12, 8, v12
	v_cndmask_b32_e64 v16, 0, 1, s0
	v_lshlrev_b16 v11, 8, v11
	v_lshlrev_b16 v15, 8, v15
	v_lshlrev_b16 v9, 8, v9
	v_lshlrev_b16 v10, 8, v10
	v_lshlrev_b16 v16, 8, v16
	v_lshlrev_b16 v13, 8, v13
	v_lshlrev_b16 v14, 8, v14
	v_or_b32_e32 v6, v6, v15
	v_or_b32_e32 v3, v3, v11
	;; [unrolled: 1-line block ×6, first 2 shown]
	s_delay_alu instid0(VALU_DEP_4)
	v_dual_lshlrev_b32 v4, 16, v4 :: v_dual_bitop2_b32 v8, v8, v14 bitop3:0x54
	v_or_b32_e32 v7, v7, v13
	v_and_b32_e32 v2, 0xffff, v2
	v_lshlrev_b32_e32 v1, 16, v1
	v_and_b32_e32 v9, 0xffff, v5
	v_lshlrev_b32_e32 v6, 16, v6
	;; [unrolled: 2-line block ×3, first 2 shown]
	v_and_b32_e32 v7, 0xffff, v7
	s_add_nc_u64 s[2:3], s[8:9], s[16:17]
	s_mov_b32 s0, 0
	v_or_b32_e32 v5, v5, v4
	v_or_b32_e32 v4, v2, v1
	;; [unrolled: 1-line block ×4, first 2 shown]
	s_clause 0x1
	global_store_b64 v0, v[4:5], s[2:3] scale_offset
	global_store_b64 v0, v[2:3], s[2:3] offset:2048 scale_offset
.LBB334_2:
	s_and_not1_b32 vcc_lo, exec_lo, s0
	s_cbranch_vccnz .LBB334_52
; %bb.3:
	v_cmp_gt_i32_e32 vcc_lo, s7, v0
	v_dual_mov_b32 v6, 0 :: v_dual_bitop2_b32 v1, s16, v0 bitop3:0x54
	s_wait_xcnt 0x0
	v_or_b32_e32 v2, 0x100, v0
	v_dual_mov_b32 v7, 0 :: v_dual_mov_b32 v9, v0
	s_and_saveexec_b32 s0, vcc_lo
	s_cbranch_execz .LBB334_5
; %bb.4:
	global_load_u16 v7, v1, s[10:11] scale_offset
	v_or_b32_e32 v9, 0x100, v0
.LBB334_5:
	s_wait_xcnt 0x0
	s_or_b32 exec_lo, exec_lo, s0
	s_delay_alu instid0(SALU_CYCLE_1) | instskip(NEXT) | instid1(VALU_DEP_1)
	s_mov_b32 s1, exec_lo
	v_cmpx_gt_i32_e64 s7, v9
	s_cbranch_execz .LBB334_7
; %bb.6:
	v_add_nc_u32_e32 v3, s16, v9
	v_add_nc_u32_e32 v9, 0x100, v9
	global_load_u16 v6, v3, s[10:11] scale_offset
.LBB334_7:
	s_wait_xcnt 0x0
	s_or_b32 exec_lo, exec_lo, s1
	v_dual_mov_b32 v4, 0 :: v_dual_mov_b32 v5, 0
	s_mov_b32 s1, exec_lo
	v_cmpx_gt_i32_e64 s7, v9
	s_cbranch_execz .LBB334_9
; %bb.8:
	v_add_nc_u32_e32 v3, s16, v9
	v_add_nc_u32_e32 v9, 0x100, v9
	global_load_u16 v5, v3, s[10:11] scale_offset
.LBB334_9:
	s_wait_xcnt 0x0
	s_or_b32 exec_lo, exec_lo, s1
	s_delay_alu instid0(SALU_CYCLE_1)
	s_mov_b32 s1, exec_lo
	v_cmpx_gt_i32_e64 s7, v9
	s_cbranch_execz .LBB334_11
; %bb.10:
	v_add_nc_u32_e32 v3, s16, v9
	v_add_nc_u32_e32 v9, 0x100, v9
	global_load_u16 v4, v3, s[10:11] scale_offset
.LBB334_11:
	s_wait_xcnt 0x0
	s_or_b32 exec_lo, exec_lo, s1
	v_dual_mov_b32 v12, 0 :: v_dual_mov_b32 v14, 0
	s_mov_b32 s1, exec_lo
	v_cmpx_gt_i32_e64 s7, v9
	s_cbranch_execz .LBB334_13
; %bb.12:
	v_add_nc_u32_e32 v3, s16, v9
	v_add_nc_u32_e32 v9, 0x100, v9
	global_load_u16 v14, v3, s[10:11] scale_offset
.LBB334_13:
	s_wait_xcnt 0x0
	s_or_b32 exec_lo, exec_lo, s1
	s_delay_alu instid0(SALU_CYCLE_1)
	s_mov_b32 s1, exec_lo
	v_cmpx_gt_i32_e64 s7, v9
	s_cbranch_execz .LBB334_15
; %bb.14:
	v_add_nc_u32_e32 v3, s16, v9
	v_add_nc_u32_e32 v9, 0x100, v9
	global_load_u16 v12, v3, s[10:11] scale_offset
.LBB334_15:
	s_wait_xcnt 0x0
	s_or_b32 exec_lo, exec_lo, s1
	v_dual_mov_b32 v3, 0 :: v_dual_mov_b32 v13, 0
	s_mov_b32 s1, exec_lo
	v_cmpx_gt_i32_e64 s7, v9
	s_cbranch_execz .LBB334_17
; %bb.16:
	v_add_nc_u32_e32 v8, s16, v9
	v_add_nc_u32_e32 v9, 0x100, v9
	global_load_u16 v13, v8, s[10:11] scale_offset
.LBB334_17:
	s_wait_xcnt 0x0
	s_or_b32 exec_lo, exec_lo, s1
	s_delay_alu instid0(SALU_CYCLE_1)
	s_mov_b32 s1, exec_lo
	v_cmpx_gt_i32_e64 s7, v9
	s_cbranch_execz .LBB334_19
; %bb.18:
	v_add_nc_u32_e32 v3, s16, v9
	v_add_nc_u32_e32 v9, 0x100, v9
	global_load_u16 v3, v3, s[10:11] scale_offset
.LBB334_19:
	s_wait_xcnt 0x0
	s_or_b32 exec_lo, exec_lo, s1
	v_dual_mov_b32 v10, 0 :: v_dual_mov_b32 v15, 0
	s_mov_b32 s1, exec_lo
	v_cmpx_gt_i32_e64 s7, v9
	s_cbranch_execz .LBB334_21
; %bb.20:
	v_add_nc_u32_e32 v8, s16, v9
	v_add_nc_u32_e32 v9, 0x100, v9
	global_load_u16 v15, v8, s[10:11] scale_offset
.LBB334_21:
	s_wait_xcnt 0x0
	s_or_b32 exec_lo, exec_lo, s1
	s_delay_alu instid0(SALU_CYCLE_1)
	s_mov_b32 s1, exec_lo
	v_cmpx_gt_i32_e64 s7, v9
	s_cbranch_execz .LBB334_23
; %bb.22:
	v_add_nc_u32_e32 v8, s16, v9
	v_add_nc_u32_e32 v9, 0x100, v9
	global_load_u16 v10, v8, s[10:11] scale_offset
.LBB334_23:
	s_wait_xcnt 0x0
	s_or_b32 exec_lo, exec_lo, s1
	v_dual_mov_b32 v8, 0 :: v_dual_mov_b32 v11, 0
	s_mov_b32 s1, exec_lo
	v_cmpx_gt_i32_e64 s7, v9
	s_cbranch_execz .LBB334_25
; %bb.24:
	v_add_nc_u32_e32 v11, s16, v9
	v_add_nc_u32_e32 v9, 0x100, v9
	global_load_u16 v11, v11, s[10:11] scale_offset
.LBB334_25:
	s_wait_xcnt 0x0
	s_or_b32 exec_lo, exec_lo, s1
	s_delay_alu instid0(SALU_CYCLE_1)
	s_mov_b32 s1, exec_lo
	v_cmpx_gt_i32_e64 s7, v9
	s_cbranch_execz .LBB334_27
; %bb.26:
	v_add_nc_u32_e32 v8, s16, v9
	v_add_nc_u32_e32 v9, 0x100, v9
	global_load_u16 v8, v8, s[10:11] scale_offset
.LBB334_27:
	s_wait_xcnt 0x0
	s_or_b32 exec_lo, exec_lo, s1
	v_dual_mov_b32 v17, 0 :: v_dual_mov_b32 v18, 0
	s_mov_b32 s1, exec_lo
	v_cmpx_gt_i32_e64 s7, v9
	s_cbranch_execz .LBB334_29
; %bb.28:
	v_add_nc_u32_e32 v16, s16, v9
	v_add_nc_u32_e32 v9, 0x100, v9
	global_load_u16 v18, v16, s[10:11] scale_offset
.LBB334_29:
	s_wait_xcnt 0x0
	s_or_b32 exec_lo, exec_lo, s1
	s_delay_alu instid0(SALU_CYCLE_1)
	s_mov_b32 s1, exec_lo
	v_cmpx_gt_i32_e64 s7, v9
	s_cbranch_execz .LBB334_31
; %bb.30:
	v_add_nc_u32_e32 v16, s16, v9
	v_add_nc_u32_e32 v9, 0x100, v9
	global_load_u16 v17, v16, s[10:11] scale_offset
.LBB334_31:
	s_wait_xcnt 0x0
	s_or_b32 exec_lo, exec_lo, s1
	v_dual_mov_b32 v16, 0 :: v_dual_mov_b32 v19, 0
	s_mov_b32 s1, exec_lo
	v_cmpx_gt_i32_e64 s7, v9
	s_cbranch_execz .LBB334_33
; %bb.32:
	v_add_nc_u32_e32 v19, s16, v9
	v_add_nc_u32_e32 v9, 0x100, v9
	global_load_u16 v19, v19, s[10:11] scale_offset
.LBB334_33:
	s_wait_xcnt 0x0
	s_or_b32 exec_lo, exec_lo, s1
	s_delay_alu instid0(SALU_CYCLE_1)
	s_mov_b32 s1, exec_lo
	v_cmpx_gt_i32_e64 s7, v9
	s_cbranch_execz .LBB334_35
; %bb.34:
	v_add_nc_u32_e32 v9, s16, v9
	global_load_u16 v16, v9, s[10:11] scale_offset
.LBB334_35:
	s_wait_xcnt 0x0
	s_or_b32 exec_lo, exec_lo, s1
	s_wait_loadcnt 0x0
	v_cmp_ne_u16_e64 s0, s14, v7
	s_cmp_eq_u32 s13, 0
	v_cmp_ne_u16_e64 s1, s14, v6
	s_cselect_b32 s4, -1, 0
	v_cmp_ne_u16_e64 s2, s14, v14
	s_xor_b32 s0, s4, s0
	v_cmp_ne_u16_e64 s3, s14, v10
	v_cndmask_b32_e64 v6, 0, 1, s0
	s_xor_b32 s0, s4, s1
	v_cmp_gt_i32_e64 s1, s7, v2
	v_cndmask_b32_e64 v7, 0, 1, s0
	s_xor_b32 s0, s4, s2
	v_or_b32_e32 v10, 0xc00, v0
	v_cndmask_b32_e64 v9, 0, 1, s0
	v_cmp_ne_u16_e64 s0, s14, v12
	v_or_b32_e32 v12, 0x400, v0
	v_lshlrev_b16 v7, 8, v7
	s_delay_alu instid0(VALU_DEP_4) | instskip(SKIP_1) | instid1(SALU_CYCLE_1)
	v_bitop3_b16 v9, v9, 0, 0xff00 bitop3:0xf8
	s_xor_b32 s0, s4, s0
	v_cndmask_b32_e64 v14, 0, 1, s0
	v_cmp_gt_i32_e64 s0, s7, v12
	s_delay_alu instid0(VALU_DEP_3) | instskip(SKIP_1) | instid1(VALU_DEP_4)
	v_and_b32_e32 v9, 0xffff, v9
	v_cndmask_b32_e32 v6, 0, v6, vcc_lo
	v_lshlrev_b16 v12, 8, v14
	v_or_b32_e32 v14, 0x200, v0
	s_delay_alu instid0(VALU_DEP_3) | instskip(SKIP_1) | instid1(VALU_DEP_3)
	v_dual_cndmask_b32 v9, 0, v9, s0 :: v_dual_bitop2_b32 v7, v6, v7 bitop3:0x54
	v_cmp_ne_u16_e64 s0, s14, v5
	v_cmp_gt_i32_e64 s2, s7, v14
	s_delay_alu instid0(VALU_DEP_3) | instskip(SKIP_1) | instid1(VALU_DEP_1)
	v_and_b32_e32 v7, 0xffff, v7
	s_xor_b32 s0, s4, s0
	v_cndmask_b32_e64 v5, v6, v7, s1
	v_bitop3_b16 v6, v9, v12, 0xff bitop3:0xec
	v_or_b32_e32 v12, 0x500, v0
	v_cndmask_b32_e64 v7, 0, 1, s0
	v_cmp_ne_u16_e64 s0, s14, v4
	s_delay_alu instid0(VALU_DEP_4) | instskip(NEXT) | instid1(VALU_DEP_4)
	v_and_b32_e32 v6, 0xffff, v6
	v_cmp_gt_i32_e64 s1, s7, v12
	s_delay_alu instid0(VALU_DEP_4)
	v_lshl_or_b32 v7, v7, 16, v5
	s_xor_b32 s0, s4, s0
	v_cndmask_b32_e64 v4, v9, v6, s1
	v_cmp_ne_u16_e64 s1, s14, v13
	v_cndmask_b32_e64 v6, 0, 1, s0
	v_cndmask_b32_e64 v5, v5, v7, s2
	v_cmp_ne_u16_e64 s2, s14, v17
	v_lshrrev_b32_e32 v7, 16, v4
	s_xor_b32 s0, s4, s1
	v_cmp_ne_u16_e64 s1, s14, v18
	v_cndmask_b32_e64 v9, 0, 1, s0
	v_cmp_ne_u16_e64 s0, s14, v15
	v_lshlrev_b16 v6, 8, v6
	s_xor_b32 s1, s4, s1
	v_bitop3_b16 v7, v9, v7, 0xff00 bitop3:0xf8
	s_xor_b32 s0, s4, s0
	v_cndmask_b32_e64 v13, 0, 1, s1
	s_xor_b32 s1, s4, s2
	v_cndmask_b32_e64 v15, 0, 1, s0
	v_lshlrev_b32_e32 v7, 16, v7
	v_cmp_gt_i32_e64 s0, s7, v10
	v_lshrrev_b32_e32 v12, 16, v5
	v_or_b32_e32 v9, 0x600, v0
	v_cndmask_b32_e64 v14, 0, 1, s1
	v_and_or_b32 v7, 0xffff, v4, v7
	v_cndmask_b32_e64 v10, 0, v13, s0
	s_xor_b32 s0, s4, s3
	v_bitop3_b16 v6, v12, v6, 0xff bitop3:0xec
	v_or_b32_e32 v12, 0x800, v0
	v_lshlrev_b16 v13, 8, v14
	v_cndmask_b32_e64 v14, 0, 1, s0
	v_cmp_gt_i32_e64 s0, s7, v9
	v_cmp_ne_u16_e64 s1, s14, v11
	s_delay_alu instid0(VALU_DEP_2)
	v_dual_lshlrev_b32 v6, 16, v6 :: v_dual_cndmask_b32 v4, v4, v7, s0
	v_cmp_gt_i32_e64 s0, s7, v12
	v_bitop3_b16 v7, v10, v13, 0xff bitop3:0xec
	v_lshlrev_b16 v12, 8, v14
	v_or_b32_e32 v13, 0x900, v0
	s_xor_b32 s1, s4, s1
	v_cndmask_b32_e64 v9, 0, v15, s0
	v_cmp_ne_u16_e64 s0, s14, v3
	v_or_b32_e32 v3, 0xd00, v0
	v_and_b32_e32 v7, 0xffff, v7
	v_and_or_b32 v6, 0xffff, v5, v6
	s_xor_b32 s0, s4, s0
	s_delay_alu instid0(VALU_DEP_3) | instskip(NEXT) | instid1(VALU_DEP_1)
	v_cmp_gt_i32_e64 s2, s7, v3
	v_dual_cndmask_b32 v3, v10, v7, s2 :: v_dual_bitop2_b32 v12, v9, v12 bitop3:0x54
	v_cmp_ne_u16_e64 s2, s14, v19
	v_cndmask_b32_e64 v10, 0, 1, s1
	s_delay_alu instid0(VALU_DEP_3) | instskip(NEXT) | instid1(VALU_DEP_4)
	v_and_b32_e32 v7, 0xffff, v12
	v_lshrrev_b32_e32 v11, 16, v3
	s_xor_b32 s1, s4, s2
	s_delay_alu instid0(SALU_CYCLE_1) | instskip(SKIP_2) | instid1(VALU_DEP_3)
	v_cndmask_b32_e64 v12, 0, 1, s1
	v_cmp_gt_i32_e64 s1, s7, v13
	v_or_b32_e32 v13, 0xa00, v0
	v_bitop3_b16 v11, v12, v11, 0xff00 bitop3:0xf8
	s_delay_alu instid0(VALU_DEP_3)
	v_dual_lshrrev_b32 v12, 16, v4 :: v_dual_cndmask_b32 v7, v9, v7, s1
	v_lshlrev_b32_e32 v9, 16, v10
	v_cndmask_b32_e64 v10, 0, 1, s0
	v_cmp_ne_u16_e64 s0, s14, v8
	v_cmp_gt_i32_e64 s1, s7, v13
	v_or_b32_e32 v8, 0xe00, v0
	v_and_or_b32 v9, 0x1ff, v7, v9
	v_lshlrev_b32_e32 v11, 16, v11
	s_xor_b32 s0, s4, s0
	v_lshlrev_b16 v10, 8, v10
	v_or_b32_e32 v13, 0x300, v0
	v_cndmask_b32_e64 v7, v7, v9, s1
	v_and_or_b32 v9, 0xffff, v3, v11
	v_cmp_ne_u16_e64 s1, s14, v16
	v_cndmask_b32_e64 v11, 0, 1, s0
	v_cmp_gt_i32_e64 s0, s7, v8
	s_delay_alu instid0(VALU_DEP_2) | instskip(NEXT) | instid1(VALU_DEP_2)
	v_lshlrev_b16 v11, 8, v11
	v_cndmask_b32_e64 v3, v3, v9, s0
	s_xor_b32 s0, s4, s1
	v_bitop3_b16 v9, v12, v10, 0xff bitop3:0xec
	v_cndmask_b32_e64 v8, 0, 1, s0
	v_lshrrev_b32_e32 v10, 16, v7
	v_cmp_gt_i32_e64 s0, s7, v13
	s_delay_alu instid0(VALU_DEP_4) | instskip(NEXT) | instid1(VALU_DEP_4)
	v_dual_lshrrev_b32 v12, 16, v3 :: v_dual_lshlrev_b32 v9, 16, v9
	v_lshlrev_b16 v8, 8, v8
	s_delay_alu instid0(VALU_DEP_4) | instskip(NEXT) | instid1(VALU_DEP_4)
	v_bitop3_b16 v10, v10, v11, 0xff bitop3:0xec
	v_cndmask_b32_e64 v6, v5, v6, s0
	v_or_b32_e32 v11, 0xb00, v0
	v_and_or_b32 v9, 0xffff, v4, v9
	v_bitop3_b16 v8, v12, v8, 0xff bitop3:0xec
	v_lshlrev_b32_e32 v5, 16, v10
	v_or_b32_e32 v10, 0x700, v0
	v_or_b32_e32 v13, 0xf00, v0
	s_delay_alu instid0(VALU_DEP_4) | instskip(NEXT) | instid1(VALU_DEP_4)
	v_lshlrev_b32_e32 v8, 16, v8
	v_and_or_b32 v12, 0xffff, v7, v5
	s_delay_alu instid0(VALU_DEP_4) | instskip(NEXT) | instid1(VALU_DEP_3)
	v_cmp_gt_i32_e64 s0, s7, v10
	v_and_or_b32 v8, 0xffff, v3, v8
	s_delay_alu instid0(VALU_DEP_2) | instskip(SKIP_1) | instid1(VALU_DEP_1)
	v_cndmask_b32_e64 v5, v4, v9, s0
	v_cmp_gt_i32_e64 s0, s7, v11
	v_cndmask_b32_e64 v4, v7, v12, s0
	v_cmp_gt_i32_e64 s0, s7, v13
	s_delay_alu instid0(VALU_DEP_1)
	v_cndmask_b32_e64 v3, v3, v8, s0
	s_and_saveexec_b32 s0, vcc_lo
	s_cbranch_execnz .LBB334_53
; %bb.36:
	s_or_b32 exec_lo, exec_lo, s0
	s_delay_alu instid0(SALU_CYCLE_1)
	s_mov_b32 s0, exec_lo
	v_cmpx_gt_i32_e64 s7, v0
	s_cbranch_execnz .LBB334_54
.LBB334_37:
	s_or_b32 exec_lo, exec_lo, s0
	s_delay_alu instid0(SALU_CYCLE_1)
	s_mov_b32 s0, exec_lo
	v_cmpx_gt_i32_e64 s7, v0
	s_cbranch_execnz .LBB334_55
.LBB334_38:
	s_or_b32 exec_lo, exec_lo, s0
	s_delay_alu instid0(SALU_CYCLE_1)
	s_mov_b32 s0, exec_lo
	v_cmpx_gt_i32_e64 s7, v0
	s_cbranch_execnz .LBB334_56
.LBB334_39:
	s_or_b32 exec_lo, exec_lo, s0
	s_delay_alu instid0(SALU_CYCLE_1)
	s_mov_b32 s0, exec_lo
	v_cmpx_gt_i32_e64 s7, v0
	s_cbranch_execnz .LBB334_57
.LBB334_40:
	s_or_b32 exec_lo, exec_lo, s0
	s_delay_alu instid0(SALU_CYCLE_1)
	s_mov_b32 s0, exec_lo
	v_cmpx_gt_i32_e64 s7, v0
	s_cbranch_execnz .LBB334_58
.LBB334_41:
	s_or_b32 exec_lo, exec_lo, s0
	s_delay_alu instid0(SALU_CYCLE_1)
	s_mov_b32 s0, exec_lo
	v_cmpx_gt_i32_e64 s7, v0
	s_cbranch_execnz .LBB334_59
.LBB334_42:
	s_or_b32 exec_lo, exec_lo, s0
	s_delay_alu instid0(SALU_CYCLE_1)
	s_mov_b32 s0, exec_lo
	v_cmpx_gt_i32_e64 s7, v0
	s_cbranch_execnz .LBB334_60
.LBB334_43:
	s_or_b32 exec_lo, exec_lo, s0
	s_delay_alu instid0(SALU_CYCLE_1)
	s_mov_b32 s0, exec_lo
	v_cmpx_gt_i32_e64 s7, v0
	s_cbranch_execnz .LBB334_61
.LBB334_44:
	s_or_b32 exec_lo, exec_lo, s0
	s_delay_alu instid0(SALU_CYCLE_1)
	s_mov_b32 s0, exec_lo
	v_cmpx_gt_i32_e64 s7, v0
	s_cbranch_execnz .LBB334_62
.LBB334_45:
	s_or_b32 exec_lo, exec_lo, s0
	s_delay_alu instid0(SALU_CYCLE_1)
	s_mov_b32 s0, exec_lo
	v_cmpx_gt_i32_e64 s7, v0
	s_cbranch_execnz .LBB334_63
.LBB334_46:
	s_or_b32 exec_lo, exec_lo, s0
	s_delay_alu instid0(SALU_CYCLE_1)
	s_mov_b32 s0, exec_lo
	v_cmpx_gt_i32_e64 s7, v0
	s_cbranch_execnz .LBB334_64
.LBB334_47:
	s_or_b32 exec_lo, exec_lo, s0
	s_delay_alu instid0(SALU_CYCLE_1)
	s_mov_b32 s0, exec_lo
	v_cmpx_gt_i32_e64 s7, v0
	s_cbranch_execnz .LBB334_65
.LBB334_48:
	s_or_b32 exec_lo, exec_lo, s0
	s_delay_alu instid0(SALU_CYCLE_1)
	s_mov_b32 s0, exec_lo
	v_cmpx_gt_i32_e64 s7, v0
	s_cbranch_execnz .LBB334_66
.LBB334_49:
	s_or_b32 exec_lo, exec_lo, s0
	s_delay_alu instid0(SALU_CYCLE_1)
	s_mov_b32 s0, exec_lo
	v_cmpx_gt_i32_e64 s7, v0
	s_cbranch_execnz .LBB334_67
.LBB334_50:
	s_or_b32 exec_lo, exec_lo, s0
	s_delay_alu instid0(SALU_CYCLE_1)
	s_mov_b32 s0, exec_lo
	v_cmpx_gt_i32_e64 s7, v0
	s_cbranch_execz .LBB334_52
.LBB334_51:
	v_dual_lshrrev_b32 v1, 24, v3 :: v_dual_add_nc_u32 v0, s16, v0
	global_store_b8 v0, v1, s[8:9]
.LBB334_52:
	s_endpgm
.LBB334_53:
	v_mov_b32_e32 v0, v2
	global_store_b8 v1, v6, s[8:9]
	s_wait_xcnt 0x0
	s_or_b32 exec_lo, exec_lo, s0
	s_delay_alu instid0(SALU_CYCLE_1)
	s_mov_b32 s0, exec_lo
	v_cmpx_gt_i32_e64 s7, v0
	s_cbranch_execz .LBB334_37
.LBB334_54:
	v_dual_lshrrev_b32 v1, 8, v6 :: v_dual_add_nc_u32 v2, s16, v0
	v_add_nc_u32_e32 v0, 0x100, v0
	global_store_b8 v2, v1, s[8:9]
	s_wait_xcnt 0x0
	s_or_b32 exec_lo, exec_lo, s0
	s_delay_alu instid0(SALU_CYCLE_1)
	s_mov_b32 s0, exec_lo
	v_cmpx_gt_i32_e64 s7, v0
	s_cbranch_execz .LBB334_38
.LBB334_55:
	v_add_nc_u32_e32 v1, s16, v0
	v_add_nc_u32_e32 v0, 0x100, v0
	global_store_d16_hi_b8 v1, v6, s[8:9]
	s_wait_xcnt 0x0
	s_or_b32 exec_lo, exec_lo, s0
	s_delay_alu instid0(SALU_CYCLE_1)
	s_mov_b32 s0, exec_lo
	v_cmpx_gt_i32_e64 s7, v0
	s_cbranch_execz .LBB334_39
.LBB334_56:
	v_dual_lshrrev_b32 v1, 24, v6 :: v_dual_add_nc_u32 v2, s16, v0
	v_add_nc_u32_e32 v0, 0x100, v0
	global_store_b8 v2, v1, s[8:9]
	s_wait_xcnt 0x0
	s_or_b32 exec_lo, exec_lo, s0
	s_delay_alu instid0(SALU_CYCLE_1)
	s_mov_b32 s0, exec_lo
	v_cmpx_gt_i32_e64 s7, v0
	s_cbranch_execz .LBB334_40
.LBB334_57:
	v_add_nc_u32_e32 v1, s16, v0
	v_add_nc_u32_e32 v0, 0x100, v0
	global_store_b8 v1, v5, s[8:9]
	s_wait_xcnt 0x0
	s_or_b32 exec_lo, exec_lo, s0
	s_delay_alu instid0(SALU_CYCLE_1)
	s_mov_b32 s0, exec_lo
	v_cmpx_gt_i32_e64 s7, v0
	s_cbranch_execz .LBB334_41
.LBB334_58:
	v_dual_lshrrev_b32 v1, 8, v5 :: v_dual_add_nc_u32 v2, s16, v0
	v_add_nc_u32_e32 v0, 0x100, v0
	global_store_b8 v2, v1, s[8:9]
	s_wait_xcnt 0x0
	s_or_b32 exec_lo, exec_lo, s0
	s_delay_alu instid0(SALU_CYCLE_1)
	s_mov_b32 s0, exec_lo
	v_cmpx_gt_i32_e64 s7, v0
	s_cbranch_execz .LBB334_42
.LBB334_59:
	v_add_nc_u32_e32 v1, s16, v0
	v_add_nc_u32_e32 v0, 0x100, v0
	global_store_d16_hi_b8 v1, v5, s[8:9]
	s_wait_xcnt 0x0
	s_or_b32 exec_lo, exec_lo, s0
	s_delay_alu instid0(SALU_CYCLE_1)
	s_mov_b32 s0, exec_lo
	v_cmpx_gt_i32_e64 s7, v0
	s_cbranch_execz .LBB334_43
.LBB334_60:
	v_dual_lshrrev_b32 v1, 24, v5 :: v_dual_add_nc_u32 v2, s16, v0
	v_add_nc_u32_e32 v0, 0x100, v0
	global_store_b8 v2, v1, s[8:9]
	s_wait_xcnt 0x0
	s_or_b32 exec_lo, exec_lo, s0
	s_delay_alu instid0(SALU_CYCLE_1)
	s_mov_b32 s0, exec_lo
	v_cmpx_gt_i32_e64 s7, v0
	s_cbranch_execz .LBB334_44
.LBB334_61:
	v_add_nc_u32_e32 v1, s16, v0
	v_add_nc_u32_e32 v0, 0x100, v0
	global_store_b8 v1, v4, s[8:9]
	s_wait_xcnt 0x0
	s_or_b32 exec_lo, exec_lo, s0
	s_delay_alu instid0(SALU_CYCLE_1)
	s_mov_b32 s0, exec_lo
	v_cmpx_gt_i32_e64 s7, v0
	s_cbranch_execz .LBB334_45
.LBB334_62:
	v_lshrrev_b32_e32 v1, 8, v4
	v_add_nc_u32_e32 v2, s16, v0
	v_add_nc_u32_e32 v0, 0x100, v0
	global_store_b8 v2, v1, s[8:9]
	s_wait_xcnt 0x0
	s_or_b32 exec_lo, exec_lo, s0
	s_delay_alu instid0(SALU_CYCLE_1)
	s_mov_b32 s0, exec_lo
	v_cmpx_gt_i32_e64 s7, v0
	s_cbranch_execz .LBB334_46
.LBB334_63:
	v_add_nc_u32_e32 v1, s16, v0
	v_add_nc_u32_e32 v0, 0x100, v0
	global_store_d16_hi_b8 v1, v4, s[8:9]
	s_wait_xcnt 0x0
	s_or_b32 exec_lo, exec_lo, s0
	s_delay_alu instid0(SALU_CYCLE_1)
	s_mov_b32 s0, exec_lo
	v_cmpx_gt_i32_e64 s7, v0
	s_cbranch_execz .LBB334_47
.LBB334_64:
	v_lshrrev_b32_e32 v1, 24, v4
	v_add_nc_u32_e32 v2, s16, v0
	v_add_nc_u32_e32 v0, 0x100, v0
	global_store_b8 v2, v1, s[8:9]
	s_wait_xcnt 0x0
	s_or_b32 exec_lo, exec_lo, s0
	s_delay_alu instid0(SALU_CYCLE_1)
	s_mov_b32 s0, exec_lo
	v_cmpx_gt_i32_e64 s7, v0
	s_cbranch_execz .LBB334_48
.LBB334_65:
	v_add_nc_u32_e32 v1, s16, v0
	v_add_nc_u32_e32 v0, 0x100, v0
	global_store_b8 v1, v3, s[8:9]
	s_wait_xcnt 0x0
	s_or_b32 exec_lo, exec_lo, s0
	s_delay_alu instid0(SALU_CYCLE_1)
	s_mov_b32 s0, exec_lo
	v_cmpx_gt_i32_e64 s7, v0
	s_cbranch_execz .LBB334_49
.LBB334_66:
	v_dual_lshrrev_b32 v1, 8, v3 :: v_dual_add_nc_u32 v2, s16, v0
	v_add_nc_u32_e32 v0, 0x100, v0
	global_store_b8 v2, v1, s[8:9]
	s_wait_xcnt 0x0
	s_or_b32 exec_lo, exec_lo, s0
	s_delay_alu instid0(SALU_CYCLE_1)
	s_mov_b32 s0, exec_lo
	v_cmpx_gt_i32_e64 s7, v0
	s_cbranch_execz .LBB334_50
.LBB334_67:
	v_add_nc_u32_e32 v1, s16, v0
	v_add_nc_u32_e32 v0, 0x100, v0
	global_store_d16_hi_b8 v1, v3, s[8:9]
	s_wait_xcnt 0x0
	s_or_b32 exec_lo, exec_lo, s0
	s_delay_alu instid0(SALU_CYCLE_1)
	s_mov_b32 s0, exec_lo
	v_cmpx_gt_i32_e64 s7, v0
	s_cbranch_execnz .LBB334_51
	s_branch .LBB334_52
	.section	.rodata,"a",@progbits
	.p2align	6, 0x0
	.amdhsa_kernel _ZN2at6native29vectorized_elementwise_kernelILi8ENS0_13AUnaryFunctorIttbNS0_12_GLOBAL__N_116CompareEqFunctorItEEEESt5arrayIPcLm2EEEEviT0_T1_
		.amdhsa_group_segment_fixed_size 0
		.amdhsa_private_segment_fixed_size 0
		.amdhsa_kernarg_size 32
		.amdhsa_user_sgpr_count 2
		.amdhsa_user_sgpr_dispatch_ptr 0
		.amdhsa_user_sgpr_queue_ptr 0
		.amdhsa_user_sgpr_kernarg_segment_ptr 1
		.amdhsa_user_sgpr_dispatch_id 0
		.amdhsa_user_sgpr_kernarg_preload_length 0
		.amdhsa_user_sgpr_kernarg_preload_offset 0
		.amdhsa_user_sgpr_private_segment_size 0
		.amdhsa_wavefront_size32 1
		.amdhsa_uses_dynamic_stack 0
		.amdhsa_enable_private_segment 0
		.amdhsa_system_sgpr_workgroup_id_x 1
		.amdhsa_system_sgpr_workgroup_id_y 0
		.amdhsa_system_sgpr_workgroup_id_z 0
		.amdhsa_system_sgpr_workgroup_info 0
		.amdhsa_system_vgpr_workitem_id 0
		.amdhsa_next_free_vgpr 20
		.amdhsa_next_free_sgpr 18
		.amdhsa_named_barrier_count 0
		.amdhsa_reserve_vcc 1
		.amdhsa_float_round_mode_32 0
		.amdhsa_float_round_mode_16_64 0
		.amdhsa_float_denorm_mode_32 3
		.amdhsa_float_denorm_mode_16_64 3
		.amdhsa_fp16_overflow 0
		.amdhsa_memory_ordered 1
		.amdhsa_forward_progress 1
		.amdhsa_inst_pref_size 31
		.amdhsa_round_robin_scheduling 0
		.amdhsa_exception_fp_ieee_invalid_op 0
		.amdhsa_exception_fp_denorm_src 0
		.amdhsa_exception_fp_ieee_div_zero 0
		.amdhsa_exception_fp_ieee_overflow 0
		.amdhsa_exception_fp_ieee_underflow 0
		.amdhsa_exception_fp_ieee_inexact 0
		.amdhsa_exception_int_div_zero 0
	.end_amdhsa_kernel
	.section	.text._ZN2at6native29vectorized_elementwise_kernelILi8ENS0_13AUnaryFunctorIttbNS0_12_GLOBAL__N_116CompareEqFunctorItEEEESt5arrayIPcLm2EEEEviT0_T1_,"axG",@progbits,_ZN2at6native29vectorized_elementwise_kernelILi8ENS0_13AUnaryFunctorIttbNS0_12_GLOBAL__N_116CompareEqFunctorItEEEESt5arrayIPcLm2EEEEviT0_T1_,comdat
.Lfunc_end334:
	.size	_ZN2at6native29vectorized_elementwise_kernelILi8ENS0_13AUnaryFunctorIttbNS0_12_GLOBAL__N_116CompareEqFunctorItEEEESt5arrayIPcLm2EEEEviT0_T1_, .Lfunc_end334-_ZN2at6native29vectorized_elementwise_kernelILi8ENS0_13AUnaryFunctorIttbNS0_12_GLOBAL__N_116CompareEqFunctorItEEEESt5arrayIPcLm2EEEEviT0_T1_
                                        ; -- End function
	.set _ZN2at6native29vectorized_elementwise_kernelILi8ENS0_13AUnaryFunctorIttbNS0_12_GLOBAL__N_116CompareEqFunctorItEEEESt5arrayIPcLm2EEEEviT0_T1_.num_vgpr, 20
	.set _ZN2at6native29vectorized_elementwise_kernelILi8ENS0_13AUnaryFunctorIttbNS0_12_GLOBAL__N_116CompareEqFunctorItEEEESt5arrayIPcLm2EEEEviT0_T1_.num_agpr, 0
	.set _ZN2at6native29vectorized_elementwise_kernelILi8ENS0_13AUnaryFunctorIttbNS0_12_GLOBAL__N_116CompareEqFunctorItEEEESt5arrayIPcLm2EEEEviT0_T1_.numbered_sgpr, 18
	.set _ZN2at6native29vectorized_elementwise_kernelILi8ENS0_13AUnaryFunctorIttbNS0_12_GLOBAL__N_116CompareEqFunctorItEEEESt5arrayIPcLm2EEEEviT0_T1_.num_named_barrier, 0
	.set _ZN2at6native29vectorized_elementwise_kernelILi8ENS0_13AUnaryFunctorIttbNS0_12_GLOBAL__N_116CompareEqFunctorItEEEESt5arrayIPcLm2EEEEviT0_T1_.private_seg_size, 0
	.set _ZN2at6native29vectorized_elementwise_kernelILi8ENS0_13AUnaryFunctorIttbNS0_12_GLOBAL__N_116CompareEqFunctorItEEEESt5arrayIPcLm2EEEEviT0_T1_.uses_vcc, 1
	.set _ZN2at6native29vectorized_elementwise_kernelILi8ENS0_13AUnaryFunctorIttbNS0_12_GLOBAL__N_116CompareEqFunctorItEEEESt5arrayIPcLm2EEEEviT0_T1_.uses_flat_scratch, 0
	.set _ZN2at6native29vectorized_elementwise_kernelILi8ENS0_13AUnaryFunctorIttbNS0_12_GLOBAL__N_116CompareEqFunctorItEEEESt5arrayIPcLm2EEEEviT0_T1_.has_dyn_sized_stack, 0
	.set _ZN2at6native29vectorized_elementwise_kernelILi8ENS0_13AUnaryFunctorIttbNS0_12_GLOBAL__N_116CompareEqFunctorItEEEESt5arrayIPcLm2EEEEviT0_T1_.has_recursion, 0
	.set _ZN2at6native29vectorized_elementwise_kernelILi8ENS0_13AUnaryFunctorIttbNS0_12_GLOBAL__N_116CompareEqFunctorItEEEESt5arrayIPcLm2EEEEviT0_T1_.has_indirect_call, 0
	.section	.AMDGPU.csdata,"",@progbits
; Kernel info:
; codeLenInByte = 3964
; TotalNumSgprs: 20
; NumVgprs: 20
; ScratchSize: 0
; MemoryBound: 0
; FloatMode: 240
; IeeeMode: 1
; LDSByteSize: 0 bytes/workgroup (compile time only)
; SGPRBlocks: 0
; VGPRBlocks: 1
; NumSGPRsForWavesPerEU: 20
; NumVGPRsForWavesPerEU: 20
; NamedBarCnt: 0
; Occupancy: 16
; WaveLimiterHint : 1
; COMPUTE_PGM_RSRC2:SCRATCH_EN: 0
; COMPUTE_PGM_RSRC2:USER_SGPR: 2
; COMPUTE_PGM_RSRC2:TRAP_HANDLER: 0
; COMPUTE_PGM_RSRC2:TGID_X_EN: 1
; COMPUTE_PGM_RSRC2:TGID_Y_EN: 0
; COMPUTE_PGM_RSRC2:TGID_Z_EN: 0
; COMPUTE_PGM_RSRC2:TIDIG_COMP_CNT: 0
	.section	.text._ZN2at6native29vectorized_elementwise_kernelILi4ENS0_13AUnaryFunctorIttbNS0_12_GLOBAL__N_116CompareEqFunctorItEEEESt5arrayIPcLm2EEEEviT0_T1_,"axG",@progbits,_ZN2at6native29vectorized_elementwise_kernelILi4ENS0_13AUnaryFunctorIttbNS0_12_GLOBAL__N_116CompareEqFunctorItEEEESt5arrayIPcLm2EEEEviT0_T1_,comdat
	.globl	_ZN2at6native29vectorized_elementwise_kernelILi4ENS0_13AUnaryFunctorIttbNS0_12_GLOBAL__N_116CompareEqFunctorItEEEESt5arrayIPcLm2EEEEviT0_T1_ ; -- Begin function _ZN2at6native29vectorized_elementwise_kernelILi4ENS0_13AUnaryFunctorIttbNS0_12_GLOBAL__N_116CompareEqFunctorItEEEESt5arrayIPcLm2EEEEviT0_T1_
	.p2align	8
	.type	_ZN2at6native29vectorized_elementwise_kernelILi4ENS0_13AUnaryFunctorIttbNS0_12_GLOBAL__N_116CompareEqFunctorItEEEESt5arrayIPcLm2EEEEviT0_T1_,@function
_ZN2at6native29vectorized_elementwise_kernelILi4ENS0_13AUnaryFunctorIttbNS0_12_GLOBAL__N_116CompareEqFunctorItEEEESt5arrayIPcLm2EEEEviT0_T1_: ; @_ZN2at6native29vectorized_elementwise_kernelILi4ENS0_13AUnaryFunctorIttbNS0_12_GLOBAL__N_116CompareEqFunctorItEEEESt5arrayIPcLm2EEEEviT0_T1_
; %bb.0:
	s_clause 0x1
	s_load_b96 s[12:14], s[0:1], 0x0
	s_load_b128 s[8:11], s[0:1], 0x10
	s_wait_xcnt 0x0
	s_bfe_u32 s0, ttmp6, 0x4000c
	s_and_b32 s1, ttmp6, 15
	s_add_co_i32 s0, s0, 1
	s_getreg_b32 s2, hwreg(HW_REG_IB_STS2, 6, 4)
	s_mul_i32 s0, ttmp9, s0
	s_delay_alu instid0(SALU_CYCLE_1) | instskip(SKIP_2) | instid1(SALU_CYCLE_1)
	s_add_co_i32 s1, s1, s0
	s_cmp_eq_u32 s2, 0
	s_cselect_b32 s0, ttmp9, s1
	s_lshl_b32 s16, s0, 12
	s_mov_b32 s0, -1
	s_wait_kmcnt 0x0
	s_sub_co_i32 s7, s12, s16
	s_delay_alu instid0(SALU_CYCLE_1)
	s_cmp_gt_i32 s7, 0xfff
	s_cbranch_scc0 .LBB335_2
; %bb.1:
	s_ashr_i32 s17, s16, 31
	s_delay_alu instid0(SALU_CYCLE_1)
	s_lshl_b64 s[0:1], s[16:17], 1
	s_cmp_eq_u32 s13, 0
	s_add_nc_u64 s[0:1], s[10:11], s[0:1]
	s_cselect_b32 s12, -1, 0
	s_clause 0x3
	global_load_b64 v[2:3], v0, s[0:1] scale_offset
	global_load_b64 v[4:5], v0, s[0:1] offset:2048 scale_offset
	global_load_b64 v[6:7], v0, s[0:1] offset:4096 scale_offset
	;; [unrolled: 1-line block ×3, first 2 shown]
	s_wait_loadcnt 0x3
	s_wait_xcnt 0x0
	v_cmp_ne_u16_e64 s0, s14, v3
	v_cmp_ne_u16_e32 vcc_lo, s14, v2
	v_dual_lshrrev_b32 v1, 16, v2 :: v_dual_lshrrev_b32 v2, 16, v3
	s_wait_loadcnt 0x2
	v_cmp_ne_u16_e64 s1, s14, v4
	v_dual_lshrrev_b32 v3, 16, v4 :: v_dual_lshrrev_b32 v4, 16, v5
	v_cmp_ne_u16_e64 s2, s14, v5
	s_wait_loadcnt 0x1
	v_cmp_ne_u16_e64 s3, s14, v6
	s_xor_b32 s0, s12, s0
	v_dual_lshrrev_b32 v5, 16, v6 :: v_dual_lshrrev_b32 v6, 16, v7
	v_cmp_ne_u16_e64 s4, s14, v7
	s_wait_loadcnt 0x0
	v_cmp_ne_u16_e64 s5, s14, v8
	s_xor_b32 s15, s12, vcc_lo
	v_cmp_ne_u16_e32 vcc_lo, s14, v1
	v_cndmask_b32_e64 v1, 0, 1, s0
	v_cmp_ne_u16_e64 s0, s14, v2
	s_xor_b32 s1, s12, s1
	v_dual_lshrrev_b32 v7, 16, v8 :: v_dual_lshrrev_b32 v8, 16, v9
	v_cmp_ne_u16_e64 s6, s14, v9
	v_cndmask_b32_e64 v2, 0, 1, s1
	v_cmp_ne_u16_e64 s1, s14, v3
	s_xor_b32 s2, s12, s2
	s_xor_b32 s3, s12, s3
	v_cndmask_b32_e64 v3, 0, 1, s2
	v_cmp_ne_u16_e64 s2, s14, v4
	v_cndmask_b32_e64 v4, 0, 1, s3
	v_cmp_ne_u16_e64 s3, s14, v5
	s_xor_b32 s4, s12, s4
	s_xor_b32 s5, s12, s5
	;; [unrolled: 1-line block ×3, first 2 shown]
	v_cndmask_b32_e64 v5, 0, 1, s4
	v_cmp_ne_u16_e64 s4, s14, v6
	v_cndmask_b32_e64 v6, 0, 1, s5
	v_cmp_ne_u16_e64 s5, s14, v7
	s_xor_b32 s6, s12, s6
	v_cndmask_b32_e64 v10, 0, 1, s0
	s_xor_b32 s0, s12, s1
	v_cndmask_b32_e64 v7, 0, 1, s6
	v_cmp_ne_u16_e64 s6, s14, v8
	v_cndmask_b32_e64 v11, 0, 1, s0
	s_xor_b32 s0, s12, s3
	v_cndmask_b32_e64 v9, 0, 1, s15
	v_cndmask_b32_e64 v12, 0, 1, s0
	s_xor_b32 s0, s12, s5
	s_xor_b32 s15, s12, vcc_lo
	v_cndmask_b32_e64 v13, 0, 1, s0
	s_xor_b32 s0, s12, s6
	v_cndmask_b32_e64 v8, 0, 1, s15
	v_cndmask_b32_e64 v14, 0, 1, s0
	s_xor_b32 s0, s12, s4
	v_lshlrev_b16 v10, 8, v10
	v_cndmask_b32_e64 v15, 0, 1, s0
	s_xor_b32 s0, s12, s2
	v_lshlrev_b16 v14, 8, v14
	v_cndmask_b32_e64 v16, 0, 1, s0
	v_lshlrev_b16 v8, 8, v8
	v_lshlrev_b16 v11, 8, v11
	v_or_b32_e32 v1, v1, v10
	v_lshlrev_b16 v12, 8, v12
	v_lshlrev_b16 v16, 8, v16
	;; [unrolled: 1-line block ×4, first 2 shown]
	v_dual_lshlrev_b32 v1, 16, v1 :: v_dual_bitop2_b32 v7, v7, v14 bitop3:0x54
	v_or_b32_e32 v8, v9, v8
	v_or_b32_e32 v2, v2, v11
	s_delay_alu instid0(VALU_DEP_3) | instskip(SKIP_2) | instid1(VALU_DEP_3)
	v_dual_lshlrev_b32 v7, 16, v7 :: v_dual_bitop2_b32 v3, v3, v16 bitop3:0x54
	v_or_b32_e32 v5, v5, v15
	v_or_b32_e32 v4, v4, v12
	v_dual_lshlrev_b32 v3, 16, v3 :: v_dual_bitop2_b32 v6, v6, v13 bitop3:0x54
	v_and_b32_e32 v8, 0xffff, v8
	v_and_b32_e32 v2, 0xffff, v2
	v_lshlrev_b32_e32 v5, 16, v5
	v_and_b32_e32 v4, 0xffff, v4
	v_and_b32_e32 v6, 0xffff, v6
	v_or_b32_e32 v1, v8, v1
	v_or_b32_e32 v2, v2, v3
	s_add_nc_u64 s[2:3], s[8:9], s[16:17]
	v_or_b32_e32 v3, v4, v5
	v_or_b32_e32 v4, v6, v7
	s_mov_b32 s0, 0
	s_clause 0x3
	global_store_b32 v0, v1, s[2:3] scale_offset
	global_store_b32 v0, v2, s[2:3] offset:1024 scale_offset
	global_store_b32 v0, v3, s[2:3] offset:2048 scale_offset
	;; [unrolled: 1-line block ×3, first 2 shown]
.LBB335_2:
	s_and_not1_b32 vcc_lo, exec_lo, s0
	s_cbranch_vccnz .LBB335_52
; %bb.3:
	v_cmp_gt_i32_e32 vcc_lo, s7, v0
	s_wait_xcnt 0x3
	v_dual_mov_b32 v6, 0 :: v_dual_bitop2_b32 v1, s16, v0 bitop3:0x54
	s_wait_xcnt 0x2
	v_or_b32_e32 v2, 0x100, v0
	v_dual_mov_b32 v7, 0 :: v_dual_mov_b32 v9, v0
	s_wait_xcnt 0x0
	s_and_saveexec_b32 s0, vcc_lo
	s_cbranch_execz .LBB335_5
; %bb.4:
	global_load_u16 v7, v1, s[10:11] scale_offset
	v_or_b32_e32 v9, 0x100, v0
.LBB335_5:
	s_wait_xcnt 0x0
	s_or_b32 exec_lo, exec_lo, s0
	s_delay_alu instid0(SALU_CYCLE_1) | instskip(NEXT) | instid1(VALU_DEP_1)
	s_mov_b32 s1, exec_lo
	v_cmpx_gt_i32_e64 s7, v9
	s_cbranch_execz .LBB335_7
; %bb.6:
	v_add_nc_u32_e32 v3, s16, v9
	v_add_nc_u32_e32 v9, 0x100, v9
	global_load_u16 v6, v3, s[10:11] scale_offset
.LBB335_7:
	s_wait_xcnt 0x0
	s_or_b32 exec_lo, exec_lo, s1
	v_dual_mov_b32 v4, 0 :: v_dual_mov_b32 v5, 0
	s_mov_b32 s1, exec_lo
	v_cmpx_gt_i32_e64 s7, v9
	s_cbranch_execz .LBB335_9
; %bb.8:
	v_add_nc_u32_e32 v3, s16, v9
	v_add_nc_u32_e32 v9, 0x100, v9
	global_load_u16 v5, v3, s[10:11] scale_offset
.LBB335_9:
	s_wait_xcnt 0x0
	s_or_b32 exec_lo, exec_lo, s1
	s_delay_alu instid0(SALU_CYCLE_1)
	s_mov_b32 s1, exec_lo
	v_cmpx_gt_i32_e64 s7, v9
	s_cbranch_execz .LBB335_11
; %bb.10:
	v_add_nc_u32_e32 v3, s16, v9
	v_add_nc_u32_e32 v9, 0x100, v9
	global_load_u16 v4, v3, s[10:11] scale_offset
.LBB335_11:
	s_wait_xcnt 0x0
	s_or_b32 exec_lo, exec_lo, s1
	v_dual_mov_b32 v12, 0 :: v_dual_mov_b32 v14, 0
	s_mov_b32 s1, exec_lo
	v_cmpx_gt_i32_e64 s7, v9
	s_cbranch_execz .LBB335_13
; %bb.12:
	v_add_nc_u32_e32 v3, s16, v9
	v_add_nc_u32_e32 v9, 0x100, v9
	global_load_u16 v14, v3, s[10:11] scale_offset
.LBB335_13:
	s_wait_xcnt 0x0
	s_or_b32 exec_lo, exec_lo, s1
	s_delay_alu instid0(SALU_CYCLE_1)
	;; [unrolled: 22-line block ×7, first 2 shown]
	s_mov_b32 s1, exec_lo
	v_cmpx_gt_i32_e64 s7, v9
	s_cbranch_execz .LBB335_35
; %bb.34:
	v_add_nc_u32_e32 v9, s16, v9
	global_load_u16 v16, v9, s[10:11] scale_offset
.LBB335_35:
	s_wait_xcnt 0x0
	s_or_b32 exec_lo, exec_lo, s1
	s_wait_loadcnt 0x0
	v_cmp_ne_u16_e64 s0, s14, v7
	s_cmp_eq_u32 s13, 0
	v_cmp_ne_u16_e64 s1, s14, v6
	s_cselect_b32 s4, -1, 0
	v_cmp_ne_u16_e64 s2, s14, v14
	s_xor_b32 s0, s4, s0
	v_cmp_ne_u16_e64 s3, s14, v10
	v_cndmask_b32_e64 v6, 0, 1, s0
	s_xor_b32 s0, s4, s1
	v_cmp_gt_i32_e64 s1, s7, v2
	v_cndmask_b32_e64 v7, 0, 1, s0
	s_xor_b32 s0, s4, s2
	v_or_b32_e32 v10, 0xc00, v0
	v_cndmask_b32_e64 v9, 0, 1, s0
	v_cmp_ne_u16_e64 s0, s14, v12
	v_or_b32_e32 v12, 0x400, v0
	v_lshlrev_b16 v7, 8, v7
	s_delay_alu instid0(VALU_DEP_4) | instskip(SKIP_1) | instid1(SALU_CYCLE_1)
	v_bitop3_b16 v9, v9, 0, 0xff00 bitop3:0xf8
	s_xor_b32 s0, s4, s0
	v_cndmask_b32_e64 v14, 0, 1, s0
	v_cmp_gt_i32_e64 s0, s7, v12
	s_delay_alu instid0(VALU_DEP_3) | instskip(SKIP_1) | instid1(VALU_DEP_4)
	v_and_b32_e32 v9, 0xffff, v9
	v_cndmask_b32_e32 v6, 0, v6, vcc_lo
	v_lshlrev_b16 v12, 8, v14
	v_or_b32_e32 v14, 0x200, v0
	s_delay_alu instid0(VALU_DEP_3) | instskip(SKIP_1) | instid1(VALU_DEP_3)
	v_dual_cndmask_b32 v9, 0, v9, s0 :: v_dual_bitop2_b32 v7, v6, v7 bitop3:0x54
	v_cmp_ne_u16_e64 s0, s14, v5
	v_cmp_gt_i32_e64 s2, s7, v14
	s_delay_alu instid0(VALU_DEP_3) | instskip(SKIP_1) | instid1(VALU_DEP_1)
	v_and_b32_e32 v7, 0xffff, v7
	s_xor_b32 s0, s4, s0
	v_cndmask_b32_e64 v5, v6, v7, s1
	v_bitop3_b16 v6, v9, v12, 0xff bitop3:0xec
	v_or_b32_e32 v12, 0x500, v0
	v_cndmask_b32_e64 v7, 0, 1, s0
	v_cmp_ne_u16_e64 s0, s14, v4
	s_delay_alu instid0(VALU_DEP_4) | instskip(NEXT) | instid1(VALU_DEP_4)
	v_and_b32_e32 v6, 0xffff, v6
	v_cmp_gt_i32_e64 s1, s7, v12
	s_delay_alu instid0(VALU_DEP_4)
	v_lshl_or_b32 v7, v7, 16, v5
	s_xor_b32 s0, s4, s0
	v_cndmask_b32_e64 v4, v9, v6, s1
	v_cmp_ne_u16_e64 s1, s14, v13
	v_cndmask_b32_e64 v6, 0, 1, s0
	v_cndmask_b32_e64 v5, v5, v7, s2
	v_cmp_ne_u16_e64 s2, s14, v17
	v_lshrrev_b32_e32 v7, 16, v4
	s_xor_b32 s0, s4, s1
	v_cmp_ne_u16_e64 s1, s14, v18
	v_cndmask_b32_e64 v9, 0, 1, s0
	v_cmp_ne_u16_e64 s0, s14, v15
	v_lshlrev_b16 v6, 8, v6
	s_xor_b32 s1, s4, s1
	v_bitop3_b16 v7, v9, v7, 0xff00 bitop3:0xf8
	s_xor_b32 s0, s4, s0
	v_cndmask_b32_e64 v13, 0, 1, s1
	s_xor_b32 s1, s4, s2
	v_cndmask_b32_e64 v15, 0, 1, s0
	v_lshlrev_b32_e32 v7, 16, v7
	v_cmp_gt_i32_e64 s0, s7, v10
	v_lshrrev_b32_e32 v12, 16, v5
	v_or_b32_e32 v9, 0x600, v0
	v_cndmask_b32_e64 v14, 0, 1, s1
	v_and_or_b32 v7, 0xffff, v4, v7
	v_cndmask_b32_e64 v10, 0, v13, s0
	s_xor_b32 s0, s4, s3
	v_bitop3_b16 v6, v12, v6, 0xff bitop3:0xec
	v_or_b32_e32 v12, 0x800, v0
	v_lshlrev_b16 v13, 8, v14
	v_cndmask_b32_e64 v14, 0, 1, s0
	v_cmp_gt_i32_e64 s0, s7, v9
	v_cmp_ne_u16_e64 s1, s14, v11
	s_delay_alu instid0(VALU_DEP_2)
	v_dual_lshlrev_b32 v6, 16, v6 :: v_dual_cndmask_b32 v4, v4, v7, s0
	v_cmp_gt_i32_e64 s0, s7, v12
	v_bitop3_b16 v7, v10, v13, 0xff bitop3:0xec
	v_lshlrev_b16 v12, 8, v14
	v_or_b32_e32 v13, 0x900, v0
	s_xor_b32 s1, s4, s1
	v_cndmask_b32_e64 v9, 0, v15, s0
	v_cmp_ne_u16_e64 s0, s14, v3
	v_or_b32_e32 v3, 0xd00, v0
	v_and_b32_e32 v7, 0xffff, v7
	v_and_or_b32 v6, 0xffff, v5, v6
	s_xor_b32 s0, s4, s0
	s_delay_alu instid0(VALU_DEP_3) | instskip(NEXT) | instid1(VALU_DEP_1)
	v_cmp_gt_i32_e64 s2, s7, v3
	v_dual_cndmask_b32 v3, v10, v7, s2 :: v_dual_bitop2_b32 v12, v9, v12 bitop3:0x54
	v_cmp_ne_u16_e64 s2, s14, v19
	v_cndmask_b32_e64 v10, 0, 1, s1
	s_delay_alu instid0(VALU_DEP_3) | instskip(NEXT) | instid1(VALU_DEP_4)
	v_and_b32_e32 v7, 0xffff, v12
	v_lshrrev_b32_e32 v11, 16, v3
	s_xor_b32 s1, s4, s2
	s_delay_alu instid0(SALU_CYCLE_1) | instskip(SKIP_2) | instid1(VALU_DEP_3)
	v_cndmask_b32_e64 v12, 0, 1, s1
	v_cmp_gt_i32_e64 s1, s7, v13
	v_or_b32_e32 v13, 0xa00, v0
	v_bitop3_b16 v11, v12, v11, 0xff00 bitop3:0xf8
	s_delay_alu instid0(VALU_DEP_3)
	v_dual_lshrrev_b32 v12, 16, v4 :: v_dual_cndmask_b32 v7, v9, v7, s1
	v_lshlrev_b32_e32 v9, 16, v10
	v_cndmask_b32_e64 v10, 0, 1, s0
	v_cmp_ne_u16_e64 s0, s14, v8
	v_cmp_gt_i32_e64 s1, s7, v13
	v_or_b32_e32 v8, 0xe00, v0
	v_and_or_b32 v9, 0x1ff, v7, v9
	v_lshlrev_b32_e32 v11, 16, v11
	s_xor_b32 s0, s4, s0
	v_lshlrev_b16 v10, 8, v10
	v_or_b32_e32 v13, 0x300, v0
	v_cndmask_b32_e64 v7, v7, v9, s1
	v_and_or_b32 v9, 0xffff, v3, v11
	v_cmp_ne_u16_e64 s1, s14, v16
	v_cndmask_b32_e64 v11, 0, 1, s0
	v_cmp_gt_i32_e64 s0, s7, v8
	s_delay_alu instid0(VALU_DEP_2) | instskip(NEXT) | instid1(VALU_DEP_2)
	v_lshlrev_b16 v11, 8, v11
	v_cndmask_b32_e64 v3, v3, v9, s0
	s_xor_b32 s0, s4, s1
	v_bitop3_b16 v9, v12, v10, 0xff bitop3:0xec
	v_cndmask_b32_e64 v8, 0, 1, s0
	v_lshrrev_b32_e32 v10, 16, v7
	v_cmp_gt_i32_e64 s0, s7, v13
	s_delay_alu instid0(VALU_DEP_4) | instskip(NEXT) | instid1(VALU_DEP_4)
	v_dual_lshrrev_b32 v12, 16, v3 :: v_dual_lshlrev_b32 v9, 16, v9
	v_lshlrev_b16 v8, 8, v8
	s_delay_alu instid0(VALU_DEP_4) | instskip(NEXT) | instid1(VALU_DEP_4)
	v_bitop3_b16 v10, v10, v11, 0xff bitop3:0xec
	v_cndmask_b32_e64 v6, v5, v6, s0
	v_or_b32_e32 v11, 0xb00, v0
	v_and_or_b32 v9, 0xffff, v4, v9
	v_bitop3_b16 v8, v12, v8, 0xff bitop3:0xec
	v_lshlrev_b32_e32 v5, 16, v10
	v_or_b32_e32 v10, 0x700, v0
	v_or_b32_e32 v13, 0xf00, v0
	s_delay_alu instid0(VALU_DEP_4) | instskip(NEXT) | instid1(VALU_DEP_4)
	v_lshlrev_b32_e32 v8, 16, v8
	v_and_or_b32 v12, 0xffff, v7, v5
	s_delay_alu instid0(VALU_DEP_4) | instskip(NEXT) | instid1(VALU_DEP_3)
	v_cmp_gt_i32_e64 s0, s7, v10
	v_and_or_b32 v8, 0xffff, v3, v8
	s_delay_alu instid0(VALU_DEP_2) | instskip(SKIP_1) | instid1(VALU_DEP_1)
	v_cndmask_b32_e64 v5, v4, v9, s0
	v_cmp_gt_i32_e64 s0, s7, v11
	v_cndmask_b32_e64 v4, v7, v12, s0
	v_cmp_gt_i32_e64 s0, s7, v13
	s_delay_alu instid0(VALU_DEP_1)
	v_cndmask_b32_e64 v3, v3, v8, s0
	s_and_saveexec_b32 s0, vcc_lo
	s_cbranch_execnz .LBB335_53
; %bb.36:
	s_or_b32 exec_lo, exec_lo, s0
	s_delay_alu instid0(SALU_CYCLE_1)
	s_mov_b32 s0, exec_lo
	v_cmpx_gt_i32_e64 s7, v0
	s_cbranch_execnz .LBB335_54
.LBB335_37:
	s_or_b32 exec_lo, exec_lo, s0
	s_delay_alu instid0(SALU_CYCLE_1)
	s_mov_b32 s0, exec_lo
	v_cmpx_gt_i32_e64 s7, v0
	s_cbranch_execnz .LBB335_55
.LBB335_38:
	s_or_b32 exec_lo, exec_lo, s0
	s_delay_alu instid0(SALU_CYCLE_1)
	s_mov_b32 s0, exec_lo
	v_cmpx_gt_i32_e64 s7, v0
	s_cbranch_execnz .LBB335_56
.LBB335_39:
	s_or_b32 exec_lo, exec_lo, s0
	s_delay_alu instid0(SALU_CYCLE_1)
	s_mov_b32 s0, exec_lo
	v_cmpx_gt_i32_e64 s7, v0
	s_cbranch_execnz .LBB335_57
.LBB335_40:
	s_or_b32 exec_lo, exec_lo, s0
	s_delay_alu instid0(SALU_CYCLE_1)
	s_mov_b32 s0, exec_lo
	v_cmpx_gt_i32_e64 s7, v0
	s_cbranch_execnz .LBB335_58
.LBB335_41:
	s_or_b32 exec_lo, exec_lo, s0
	s_delay_alu instid0(SALU_CYCLE_1)
	s_mov_b32 s0, exec_lo
	v_cmpx_gt_i32_e64 s7, v0
	s_cbranch_execnz .LBB335_59
.LBB335_42:
	s_or_b32 exec_lo, exec_lo, s0
	s_delay_alu instid0(SALU_CYCLE_1)
	s_mov_b32 s0, exec_lo
	v_cmpx_gt_i32_e64 s7, v0
	s_cbranch_execnz .LBB335_60
.LBB335_43:
	s_or_b32 exec_lo, exec_lo, s0
	s_delay_alu instid0(SALU_CYCLE_1)
	s_mov_b32 s0, exec_lo
	v_cmpx_gt_i32_e64 s7, v0
	s_cbranch_execnz .LBB335_61
.LBB335_44:
	s_or_b32 exec_lo, exec_lo, s0
	s_delay_alu instid0(SALU_CYCLE_1)
	s_mov_b32 s0, exec_lo
	v_cmpx_gt_i32_e64 s7, v0
	s_cbranch_execnz .LBB335_62
.LBB335_45:
	s_or_b32 exec_lo, exec_lo, s0
	s_delay_alu instid0(SALU_CYCLE_1)
	s_mov_b32 s0, exec_lo
	v_cmpx_gt_i32_e64 s7, v0
	s_cbranch_execnz .LBB335_63
.LBB335_46:
	s_or_b32 exec_lo, exec_lo, s0
	s_delay_alu instid0(SALU_CYCLE_1)
	s_mov_b32 s0, exec_lo
	v_cmpx_gt_i32_e64 s7, v0
	s_cbranch_execnz .LBB335_64
.LBB335_47:
	s_or_b32 exec_lo, exec_lo, s0
	s_delay_alu instid0(SALU_CYCLE_1)
	s_mov_b32 s0, exec_lo
	v_cmpx_gt_i32_e64 s7, v0
	s_cbranch_execnz .LBB335_65
.LBB335_48:
	s_or_b32 exec_lo, exec_lo, s0
	s_delay_alu instid0(SALU_CYCLE_1)
	s_mov_b32 s0, exec_lo
	v_cmpx_gt_i32_e64 s7, v0
	s_cbranch_execnz .LBB335_66
.LBB335_49:
	s_or_b32 exec_lo, exec_lo, s0
	s_delay_alu instid0(SALU_CYCLE_1)
	s_mov_b32 s0, exec_lo
	v_cmpx_gt_i32_e64 s7, v0
	s_cbranch_execnz .LBB335_67
.LBB335_50:
	s_or_b32 exec_lo, exec_lo, s0
	s_delay_alu instid0(SALU_CYCLE_1)
	s_mov_b32 s0, exec_lo
	v_cmpx_gt_i32_e64 s7, v0
	s_cbranch_execz .LBB335_52
.LBB335_51:
	v_dual_lshrrev_b32 v1, 24, v3 :: v_dual_add_nc_u32 v0, s16, v0
	global_store_b8 v0, v1, s[8:9]
.LBB335_52:
	s_endpgm
.LBB335_53:
	v_mov_b32_e32 v0, v2
	global_store_b8 v1, v6, s[8:9]
	s_wait_xcnt 0x0
	s_or_b32 exec_lo, exec_lo, s0
	s_delay_alu instid0(SALU_CYCLE_1)
	s_mov_b32 s0, exec_lo
	v_cmpx_gt_i32_e64 s7, v0
	s_cbranch_execz .LBB335_37
.LBB335_54:
	v_dual_lshrrev_b32 v1, 8, v6 :: v_dual_add_nc_u32 v2, s16, v0
	v_add_nc_u32_e32 v0, 0x100, v0
	global_store_b8 v2, v1, s[8:9]
	s_wait_xcnt 0x0
	s_or_b32 exec_lo, exec_lo, s0
	s_delay_alu instid0(SALU_CYCLE_1)
	s_mov_b32 s0, exec_lo
	v_cmpx_gt_i32_e64 s7, v0
	s_cbranch_execz .LBB335_38
.LBB335_55:
	v_add_nc_u32_e32 v1, s16, v0
	v_add_nc_u32_e32 v0, 0x100, v0
	global_store_d16_hi_b8 v1, v6, s[8:9]
	s_wait_xcnt 0x0
	s_or_b32 exec_lo, exec_lo, s0
	s_delay_alu instid0(SALU_CYCLE_1)
	s_mov_b32 s0, exec_lo
	v_cmpx_gt_i32_e64 s7, v0
	s_cbranch_execz .LBB335_39
.LBB335_56:
	v_dual_lshrrev_b32 v1, 24, v6 :: v_dual_add_nc_u32 v2, s16, v0
	v_add_nc_u32_e32 v0, 0x100, v0
	global_store_b8 v2, v1, s[8:9]
	s_wait_xcnt 0x0
	s_or_b32 exec_lo, exec_lo, s0
	s_delay_alu instid0(SALU_CYCLE_1)
	s_mov_b32 s0, exec_lo
	v_cmpx_gt_i32_e64 s7, v0
	s_cbranch_execz .LBB335_40
.LBB335_57:
	v_add_nc_u32_e32 v1, s16, v0
	v_add_nc_u32_e32 v0, 0x100, v0
	global_store_b8 v1, v5, s[8:9]
	s_wait_xcnt 0x0
	s_or_b32 exec_lo, exec_lo, s0
	s_delay_alu instid0(SALU_CYCLE_1)
	s_mov_b32 s0, exec_lo
	v_cmpx_gt_i32_e64 s7, v0
	s_cbranch_execz .LBB335_41
.LBB335_58:
	v_dual_lshrrev_b32 v1, 8, v5 :: v_dual_add_nc_u32 v2, s16, v0
	v_add_nc_u32_e32 v0, 0x100, v0
	global_store_b8 v2, v1, s[8:9]
	s_wait_xcnt 0x0
	s_or_b32 exec_lo, exec_lo, s0
	s_delay_alu instid0(SALU_CYCLE_1)
	s_mov_b32 s0, exec_lo
	v_cmpx_gt_i32_e64 s7, v0
	s_cbranch_execz .LBB335_42
.LBB335_59:
	v_add_nc_u32_e32 v1, s16, v0
	v_add_nc_u32_e32 v0, 0x100, v0
	global_store_d16_hi_b8 v1, v5, s[8:9]
	s_wait_xcnt 0x0
	s_or_b32 exec_lo, exec_lo, s0
	s_delay_alu instid0(SALU_CYCLE_1)
	s_mov_b32 s0, exec_lo
	v_cmpx_gt_i32_e64 s7, v0
	s_cbranch_execz .LBB335_43
.LBB335_60:
	v_dual_lshrrev_b32 v1, 24, v5 :: v_dual_add_nc_u32 v2, s16, v0
	v_add_nc_u32_e32 v0, 0x100, v0
	global_store_b8 v2, v1, s[8:9]
	s_wait_xcnt 0x0
	s_or_b32 exec_lo, exec_lo, s0
	s_delay_alu instid0(SALU_CYCLE_1)
	s_mov_b32 s0, exec_lo
	v_cmpx_gt_i32_e64 s7, v0
	s_cbranch_execz .LBB335_44
.LBB335_61:
	v_add_nc_u32_e32 v1, s16, v0
	v_add_nc_u32_e32 v0, 0x100, v0
	global_store_b8 v1, v4, s[8:9]
	s_wait_xcnt 0x0
	s_or_b32 exec_lo, exec_lo, s0
	s_delay_alu instid0(SALU_CYCLE_1)
	s_mov_b32 s0, exec_lo
	v_cmpx_gt_i32_e64 s7, v0
	s_cbranch_execz .LBB335_45
.LBB335_62:
	v_lshrrev_b32_e32 v1, 8, v4
	v_add_nc_u32_e32 v2, s16, v0
	v_add_nc_u32_e32 v0, 0x100, v0
	global_store_b8 v2, v1, s[8:9]
	s_wait_xcnt 0x0
	s_or_b32 exec_lo, exec_lo, s0
	s_delay_alu instid0(SALU_CYCLE_1)
	s_mov_b32 s0, exec_lo
	v_cmpx_gt_i32_e64 s7, v0
	s_cbranch_execz .LBB335_46
.LBB335_63:
	v_add_nc_u32_e32 v1, s16, v0
	v_add_nc_u32_e32 v0, 0x100, v0
	global_store_d16_hi_b8 v1, v4, s[8:9]
	s_wait_xcnt 0x0
	s_or_b32 exec_lo, exec_lo, s0
	s_delay_alu instid0(SALU_CYCLE_1)
	s_mov_b32 s0, exec_lo
	v_cmpx_gt_i32_e64 s7, v0
	s_cbranch_execz .LBB335_47
.LBB335_64:
	v_lshrrev_b32_e32 v1, 24, v4
	v_add_nc_u32_e32 v2, s16, v0
	v_add_nc_u32_e32 v0, 0x100, v0
	global_store_b8 v2, v1, s[8:9]
	s_wait_xcnt 0x0
	s_or_b32 exec_lo, exec_lo, s0
	s_delay_alu instid0(SALU_CYCLE_1)
	s_mov_b32 s0, exec_lo
	v_cmpx_gt_i32_e64 s7, v0
	s_cbranch_execz .LBB335_48
.LBB335_65:
	v_add_nc_u32_e32 v1, s16, v0
	v_add_nc_u32_e32 v0, 0x100, v0
	global_store_b8 v1, v3, s[8:9]
	s_wait_xcnt 0x0
	s_or_b32 exec_lo, exec_lo, s0
	s_delay_alu instid0(SALU_CYCLE_1)
	s_mov_b32 s0, exec_lo
	v_cmpx_gt_i32_e64 s7, v0
	s_cbranch_execz .LBB335_49
.LBB335_66:
	v_dual_lshrrev_b32 v1, 8, v3 :: v_dual_add_nc_u32 v2, s16, v0
	v_add_nc_u32_e32 v0, 0x100, v0
	global_store_b8 v2, v1, s[8:9]
	s_wait_xcnt 0x0
	s_or_b32 exec_lo, exec_lo, s0
	s_delay_alu instid0(SALU_CYCLE_1)
	s_mov_b32 s0, exec_lo
	v_cmpx_gt_i32_e64 s7, v0
	s_cbranch_execz .LBB335_50
.LBB335_67:
	v_add_nc_u32_e32 v1, s16, v0
	v_add_nc_u32_e32 v0, 0x100, v0
	global_store_d16_hi_b8 v1, v3, s[8:9]
	s_wait_xcnt 0x0
	s_or_b32 exec_lo, exec_lo, s0
	s_delay_alu instid0(SALU_CYCLE_1)
	s_mov_b32 s0, exec_lo
	v_cmpx_gt_i32_e64 s7, v0
	s_cbranch_execnz .LBB335_51
	s_branch .LBB335_52
	.section	.rodata,"a",@progbits
	.p2align	6, 0x0
	.amdhsa_kernel _ZN2at6native29vectorized_elementwise_kernelILi4ENS0_13AUnaryFunctorIttbNS0_12_GLOBAL__N_116CompareEqFunctorItEEEESt5arrayIPcLm2EEEEviT0_T1_
		.amdhsa_group_segment_fixed_size 0
		.amdhsa_private_segment_fixed_size 0
		.amdhsa_kernarg_size 32
		.amdhsa_user_sgpr_count 2
		.amdhsa_user_sgpr_dispatch_ptr 0
		.amdhsa_user_sgpr_queue_ptr 0
		.amdhsa_user_sgpr_kernarg_segment_ptr 1
		.amdhsa_user_sgpr_dispatch_id 0
		.amdhsa_user_sgpr_kernarg_preload_length 0
		.amdhsa_user_sgpr_kernarg_preload_offset 0
		.amdhsa_user_sgpr_private_segment_size 0
		.amdhsa_wavefront_size32 1
		.amdhsa_uses_dynamic_stack 0
		.amdhsa_enable_private_segment 0
		.amdhsa_system_sgpr_workgroup_id_x 1
		.amdhsa_system_sgpr_workgroup_id_y 0
		.amdhsa_system_sgpr_workgroup_id_z 0
		.amdhsa_system_sgpr_workgroup_info 0
		.amdhsa_system_vgpr_workitem_id 0
		.amdhsa_next_free_vgpr 20
		.amdhsa_next_free_sgpr 18
		.amdhsa_named_barrier_count 0
		.amdhsa_reserve_vcc 1
		.amdhsa_float_round_mode_32 0
		.amdhsa_float_round_mode_16_64 0
		.amdhsa_float_denorm_mode_32 3
		.amdhsa_float_denorm_mode_16_64 3
		.amdhsa_fp16_overflow 0
		.amdhsa_memory_ordered 1
		.amdhsa_forward_progress 1
		.amdhsa_inst_pref_size 32
		.amdhsa_round_robin_scheduling 0
		.amdhsa_exception_fp_ieee_invalid_op 0
		.amdhsa_exception_fp_denorm_src 0
		.amdhsa_exception_fp_ieee_div_zero 0
		.amdhsa_exception_fp_ieee_overflow 0
		.amdhsa_exception_fp_ieee_underflow 0
		.amdhsa_exception_fp_ieee_inexact 0
		.amdhsa_exception_int_div_zero 0
	.end_amdhsa_kernel
	.section	.text._ZN2at6native29vectorized_elementwise_kernelILi4ENS0_13AUnaryFunctorIttbNS0_12_GLOBAL__N_116CompareEqFunctorItEEEESt5arrayIPcLm2EEEEviT0_T1_,"axG",@progbits,_ZN2at6native29vectorized_elementwise_kernelILi4ENS0_13AUnaryFunctorIttbNS0_12_GLOBAL__N_116CompareEqFunctorItEEEESt5arrayIPcLm2EEEEviT0_T1_,comdat
.Lfunc_end335:
	.size	_ZN2at6native29vectorized_elementwise_kernelILi4ENS0_13AUnaryFunctorIttbNS0_12_GLOBAL__N_116CompareEqFunctorItEEEESt5arrayIPcLm2EEEEviT0_T1_, .Lfunc_end335-_ZN2at6native29vectorized_elementwise_kernelILi4ENS0_13AUnaryFunctorIttbNS0_12_GLOBAL__N_116CompareEqFunctorItEEEESt5arrayIPcLm2EEEEviT0_T1_
                                        ; -- End function
	.set _ZN2at6native29vectorized_elementwise_kernelILi4ENS0_13AUnaryFunctorIttbNS0_12_GLOBAL__N_116CompareEqFunctorItEEEESt5arrayIPcLm2EEEEviT0_T1_.num_vgpr, 20
	.set _ZN2at6native29vectorized_elementwise_kernelILi4ENS0_13AUnaryFunctorIttbNS0_12_GLOBAL__N_116CompareEqFunctorItEEEESt5arrayIPcLm2EEEEviT0_T1_.num_agpr, 0
	.set _ZN2at6native29vectorized_elementwise_kernelILi4ENS0_13AUnaryFunctorIttbNS0_12_GLOBAL__N_116CompareEqFunctorItEEEESt5arrayIPcLm2EEEEviT0_T1_.numbered_sgpr, 18
	.set _ZN2at6native29vectorized_elementwise_kernelILi4ENS0_13AUnaryFunctorIttbNS0_12_GLOBAL__N_116CompareEqFunctorItEEEESt5arrayIPcLm2EEEEviT0_T1_.num_named_barrier, 0
	.set _ZN2at6native29vectorized_elementwise_kernelILi4ENS0_13AUnaryFunctorIttbNS0_12_GLOBAL__N_116CompareEqFunctorItEEEESt5arrayIPcLm2EEEEviT0_T1_.private_seg_size, 0
	.set _ZN2at6native29vectorized_elementwise_kernelILi4ENS0_13AUnaryFunctorIttbNS0_12_GLOBAL__N_116CompareEqFunctorItEEEESt5arrayIPcLm2EEEEviT0_T1_.uses_vcc, 1
	.set _ZN2at6native29vectorized_elementwise_kernelILi4ENS0_13AUnaryFunctorIttbNS0_12_GLOBAL__N_116CompareEqFunctorItEEEESt5arrayIPcLm2EEEEviT0_T1_.uses_flat_scratch, 0
	.set _ZN2at6native29vectorized_elementwise_kernelILi4ENS0_13AUnaryFunctorIttbNS0_12_GLOBAL__N_116CompareEqFunctorItEEEESt5arrayIPcLm2EEEEviT0_T1_.has_dyn_sized_stack, 0
	.set _ZN2at6native29vectorized_elementwise_kernelILi4ENS0_13AUnaryFunctorIttbNS0_12_GLOBAL__N_116CompareEqFunctorItEEEESt5arrayIPcLm2EEEEviT0_T1_.has_recursion, 0
	.set _ZN2at6native29vectorized_elementwise_kernelILi4ENS0_13AUnaryFunctorIttbNS0_12_GLOBAL__N_116CompareEqFunctorItEEEESt5arrayIPcLm2EEEEviT0_T1_.has_indirect_call, 0
	.section	.AMDGPU.csdata,"",@progbits
; Kernel info:
; codeLenInByte = 4036
; TotalNumSgprs: 20
; NumVgprs: 20
; ScratchSize: 0
; MemoryBound: 0
; FloatMode: 240
; IeeeMode: 1
; LDSByteSize: 0 bytes/workgroup (compile time only)
; SGPRBlocks: 0
; VGPRBlocks: 1
; NumSGPRsForWavesPerEU: 20
; NumVGPRsForWavesPerEU: 20
; NamedBarCnt: 0
; Occupancy: 16
; WaveLimiterHint : 1
; COMPUTE_PGM_RSRC2:SCRATCH_EN: 0
; COMPUTE_PGM_RSRC2:USER_SGPR: 2
; COMPUTE_PGM_RSRC2:TRAP_HANDLER: 0
; COMPUTE_PGM_RSRC2:TGID_X_EN: 1
; COMPUTE_PGM_RSRC2:TGID_Y_EN: 0
; COMPUTE_PGM_RSRC2:TGID_Z_EN: 0
; COMPUTE_PGM_RSRC2:TIDIG_COMP_CNT: 0
	.section	.text._ZN2at6native29vectorized_elementwise_kernelILi2ENS0_13AUnaryFunctorIttbNS0_12_GLOBAL__N_116CompareEqFunctorItEEEESt5arrayIPcLm2EEEEviT0_T1_,"axG",@progbits,_ZN2at6native29vectorized_elementwise_kernelILi2ENS0_13AUnaryFunctorIttbNS0_12_GLOBAL__N_116CompareEqFunctorItEEEESt5arrayIPcLm2EEEEviT0_T1_,comdat
	.globl	_ZN2at6native29vectorized_elementwise_kernelILi2ENS0_13AUnaryFunctorIttbNS0_12_GLOBAL__N_116CompareEqFunctorItEEEESt5arrayIPcLm2EEEEviT0_T1_ ; -- Begin function _ZN2at6native29vectorized_elementwise_kernelILi2ENS0_13AUnaryFunctorIttbNS0_12_GLOBAL__N_116CompareEqFunctorItEEEESt5arrayIPcLm2EEEEviT0_T1_
	.p2align	8
	.type	_ZN2at6native29vectorized_elementwise_kernelILi2ENS0_13AUnaryFunctorIttbNS0_12_GLOBAL__N_116CompareEqFunctorItEEEESt5arrayIPcLm2EEEEviT0_T1_,@function
_ZN2at6native29vectorized_elementwise_kernelILi2ENS0_13AUnaryFunctorIttbNS0_12_GLOBAL__N_116CompareEqFunctorItEEEESt5arrayIPcLm2EEEEviT0_T1_: ; @_ZN2at6native29vectorized_elementwise_kernelILi2ENS0_13AUnaryFunctorIttbNS0_12_GLOBAL__N_116CompareEqFunctorItEEEESt5arrayIPcLm2EEEEviT0_T1_
; %bb.0:
	s_clause 0x1
	s_load_b96 s[12:14], s[0:1], 0x0
	s_load_b128 s[8:11], s[0:1], 0x10
	s_wait_xcnt 0x0
	s_bfe_u32 s0, ttmp6, 0x4000c
	s_and_b32 s1, ttmp6, 15
	s_add_co_i32 s0, s0, 1
	s_getreg_b32 s2, hwreg(HW_REG_IB_STS2, 6, 4)
	s_mul_i32 s0, ttmp9, s0
	s_delay_alu instid0(SALU_CYCLE_1) | instskip(SKIP_2) | instid1(SALU_CYCLE_1)
	s_add_co_i32 s1, s1, s0
	s_cmp_eq_u32 s2, 0
	s_cselect_b32 s0, ttmp9, s1
	s_lshl_b32 s16, s0, 12
	s_wait_kmcnt 0x0
	s_sub_co_i32 s7, s12, s16
	s_mov_b32 s12, -1
	s_cmp_gt_i32 s7, 0xfff
	s_cbranch_scc0 .LBB336_2
; %bb.1:
	s_ashr_i32 s17, s16, 31
	s_mov_b32 s12, 0
	s_lshl_b64 s[0:1], s[16:17], 1
	s_cmp_eq_u32 s13, 0
	s_add_nc_u64 s[0:1], s[10:11], s[0:1]
	s_cselect_b32 s15, -1, 0
	s_clause 0x7
	global_load_b32 v1, v0, s[0:1] scale_offset
	global_load_b32 v2, v0, s[0:1] offset:1024 scale_offset
	global_load_b32 v3, v0, s[0:1] offset:2048 scale_offset
	global_load_b32 v4, v0, s[0:1] offset:3072 scale_offset
	global_load_b32 v5, v0, s[0:1] offset:4096 scale_offset
	global_load_b32 v6, v0, s[0:1] offset:5120 scale_offset
	global_load_b32 v7, v0, s[0:1] offset:6144 scale_offset
	global_load_b32 v8, v0, s[0:1] offset:7168 scale_offset
	s_add_nc_u64 s[18:19], s[8:9], s[16:17]
	s_wait_loadcnt 0x7
	v_cmp_ne_u16_e32 vcc_lo, s14, v1
	s_wait_loadcnt 0x6
	s_wait_xcnt 0x0
	v_cmp_ne_u16_e64 s0, s14, v2
	v_dual_lshrrev_b32 v1, 16, v1 :: v_dual_lshrrev_b32 v2, 16, v2
	s_wait_loadcnt 0x5
	v_cmp_ne_u16_e64 s1, s14, v3
	v_lshrrev_b32_e32 v3, 16, v3
	s_wait_loadcnt 0x4
	v_cmp_ne_u16_e64 s2, s14, v4
	s_wait_loadcnt 0x3
	v_cmp_ne_u16_e64 s3, s14, v5
	s_xor_b32 s0, s15, s0
	v_dual_lshrrev_b32 v4, 16, v4 :: v_dual_lshrrev_b32 v5, 16, v5
	s_wait_loadcnt 0x2
	v_cmp_ne_u16_e64 s4, s14, v6
	s_wait_loadcnt 0x1
	v_cmp_ne_u16_e64 s5, s14, v7
	s_xor_b32 s17, s15, vcc_lo
	v_cmp_ne_u16_e32 vcc_lo, s14, v1
	v_cndmask_b32_e64 v1, 0, 1, s0
	v_cmp_ne_u16_e64 s0, s14, v2
	s_xor_b32 s1, s15, s1
	v_dual_lshrrev_b32 v6, 16, v6 :: v_dual_lshrrev_b32 v7, 16, v7
	s_wait_loadcnt 0x0
	v_cmp_ne_u16_e64 s6, s14, v8
	v_cndmask_b32_e64 v2, 0, 1, s1
	v_cmp_ne_u16_e64 s1, s14, v3
	s_xor_b32 s2, s15, s2
	s_xor_b32 s3, s15, s3
	v_lshrrev_b32_e32 v8, 16, v8
	v_cndmask_b32_e64 v3, 0, 1, s2
	v_cmp_ne_u16_e64 s2, s14, v4
	v_cndmask_b32_e64 v4, 0, 1, s3
	v_cmp_ne_u16_e64 s3, s14, v5
	s_xor_b32 s4, s15, s4
	s_xor_b32 s5, s15, s5
	;; [unrolled: 1-line block ×3, first 2 shown]
	v_cndmask_b32_e64 v5, 0, 1, s4
	v_cmp_ne_u16_e64 s4, s14, v6
	v_cndmask_b32_e64 v6, 0, 1, s5
	v_cmp_ne_u16_e64 s5, s14, v7
	s_xor_b32 s6, s15, s6
	v_cndmask_b32_e64 v10, 0, 1, s0
	s_xor_b32 s0, s15, s1
	v_cndmask_b32_e64 v7, 0, 1, s6
	v_cmp_ne_u16_e64 s6, s14, v8
	v_cndmask_b32_e64 v11, 0, 1, s0
	s_xor_b32 s0, s15, s3
	v_cndmask_b32_e64 v9, 0, 1, s17
	v_cndmask_b32_e64 v12, 0, 1, s0
	s_xor_b32 s0, s15, s5
	s_xor_b32 s17, s15, vcc_lo
	v_cndmask_b32_e64 v13, 0, 1, s0
	s_xor_b32 s0, s15, s6
	v_cndmask_b32_e64 v8, 0, 1, s17
	v_cndmask_b32_e64 v14, 0, 1, s0
	s_xor_b32 s0, s15, s4
	v_lshlrev_b16 v10, 8, v10
	v_cndmask_b32_e64 v15, 0, 1, s0
	s_xor_b32 s0, s15, s2
	v_lshlrev_b16 v8, 8, v8
	v_cndmask_b32_e64 v16, 0, 1, s0
	v_lshlrev_b16 v11, 8, v11
	v_lshlrev_b16 v12, 8, v12
	;; [unrolled: 1-line block ×6, first 2 shown]
	v_or_b32_e32 v8, v9, v8
	v_or_b32_e32 v1, v1, v10
	;; [unrolled: 1-line block ×8, first 2 shown]
	s_clause 0x7
	global_store_b16 v0, v8, s[18:19] scale_offset
	global_store_b16 v0, v1, s[18:19] offset:512 scale_offset
	global_store_b16 v0, v2, s[18:19] offset:1024 scale_offset
	;; [unrolled: 1-line block ×7, first 2 shown]
.LBB336_2:
	s_and_not1_b32 vcc_lo, exec_lo, s12
	s_cbranch_vccnz .LBB336_52
; %bb.3:
	v_cmp_gt_i32_e32 vcc_lo, s7, v0
	s_wait_xcnt 0x1
	v_dual_mov_b32 v6, 0 :: v_dual_bitop2_b32 v1, s16, v0 bitop3:0x54
	v_or_b32_e32 v2, 0x100, v0
	s_wait_xcnt 0x0
	v_dual_mov_b32 v7, 0 :: v_dual_mov_b32 v9, v0
	s_and_saveexec_b32 s0, vcc_lo
	s_cbranch_execz .LBB336_5
; %bb.4:
	global_load_u16 v7, v1, s[10:11] scale_offset
	v_or_b32_e32 v9, 0x100, v0
.LBB336_5:
	s_wait_xcnt 0x0
	s_or_b32 exec_lo, exec_lo, s0
	s_delay_alu instid0(SALU_CYCLE_1) | instskip(NEXT) | instid1(VALU_DEP_1)
	s_mov_b32 s1, exec_lo
	v_cmpx_gt_i32_e64 s7, v9
	s_cbranch_execz .LBB336_7
; %bb.6:
	v_add_nc_u32_e32 v3, s16, v9
	v_add_nc_u32_e32 v9, 0x100, v9
	global_load_u16 v6, v3, s[10:11] scale_offset
.LBB336_7:
	s_wait_xcnt 0x0
	s_or_b32 exec_lo, exec_lo, s1
	v_dual_mov_b32 v4, 0 :: v_dual_mov_b32 v5, 0
	s_mov_b32 s1, exec_lo
	v_cmpx_gt_i32_e64 s7, v9
	s_cbranch_execz .LBB336_9
; %bb.8:
	v_add_nc_u32_e32 v3, s16, v9
	v_add_nc_u32_e32 v9, 0x100, v9
	global_load_u16 v5, v3, s[10:11] scale_offset
.LBB336_9:
	s_wait_xcnt 0x0
	s_or_b32 exec_lo, exec_lo, s1
	s_delay_alu instid0(SALU_CYCLE_1)
	s_mov_b32 s1, exec_lo
	v_cmpx_gt_i32_e64 s7, v9
	s_cbranch_execz .LBB336_11
; %bb.10:
	v_add_nc_u32_e32 v3, s16, v9
	v_add_nc_u32_e32 v9, 0x100, v9
	global_load_u16 v4, v3, s[10:11] scale_offset
.LBB336_11:
	s_wait_xcnt 0x0
	s_or_b32 exec_lo, exec_lo, s1
	v_dual_mov_b32 v12, 0 :: v_dual_mov_b32 v14, 0
	s_mov_b32 s1, exec_lo
	v_cmpx_gt_i32_e64 s7, v9
	s_cbranch_execz .LBB336_13
; %bb.12:
	v_add_nc_u32_e32 v3, s16, v9
	v_add_nc_u32_e32 v9, 0x100, v9
	global_load_u16 v14, v3, s[10:11] scale_offset
.LBB336_13:
	s_wait_xcnt 0x0
	s_or_b32 exec_lo, exec_lo, s1
	s_delay_alu instid0(SALU_CYCLE_1)
	;; [unrolled: 22-line block ×7, first 2 shown]
	s_mov_b32 s1, exec_lo
	v_cmpx_gt_i32_e64 s7, v9
	s_cbranch_execz .LBB336_35
; %bb.34:
	v_add_nc_u32_e32 v9, s16, v9
	global_load_u16 v16, v9, s[10:11] scale_offset
.LBB336_35:
	s_wait_xcnt 0x0
	s_or_b32 exec_lo, exec_lo, s1
	s_wait_loadcnt 0x0
	v_cmp_ne_u16_e64 s0, s14, v7
	s_cmp_eq_u32 s13, 0
	v_cmp_ne_u16_e64 s1, s14, v6
	s_cselect_b32 s4, -1, 0
	v_cmp_ne_u16_e64 s2, s14, v14
	s_xor_b32 s0, s4, s0
	v_cmp_ne_u16_e64 s3, s14, v10
	v_cndmask_b32_e64 v6, 0, 1, s0
	s_xor_b32 s0, s4, s1
	v_cmp_gt_i32_e64 s1, s7, v2
	v_cndmask_b32_e64 v7, 0, 1, s0
	s_xor_b32 s0, s4, s2
	v_or_b32_e32 v10, 0xc00, v0
	v_cndmask_b32_e64 v9, 0, 1, s0
	v_cmp_ne_u16_e64 s0, s14, v12
	v_or_b32_e32 v12, 0x400, v0
	v_lshlrev_b16 v7, 8, v7
	s_delay_alu instid0(VALU_DEP_4) | instskip(SKIP_1) | instid1(SALU_CYCLE_1)
	v_bitop3_b16 v9, v9, 0, 0xff00 bitop3:0xf8
	s_xor_b32 s0, s4, s0
	v_cndmask_b32_e64 v14, 0, 1, s0
	v_cmp_gt_i32_e64 s0, s7, v12
	s_delay_alu instid0(VALU_DEP_3) | instskip(SKIP_1) | instid1(VALU_DEP_4)
	v_and_b32_e32 v9, 0xffff, v9
	v_cndmask_b32_e32 v6, 0, v6, vcc_lo
	v_lshlrev_b16 v12, 8, v14
	v_or_b32_e32 v14, 0x200, v0
	s_delay_alu instid0(VALU_DEP_3) | instskip(SKIP_1) | instid1(VALU_DEP_3)
	v_dual_cndmask_b32 v9, 0, v9, s0 :: v_dual_bitop2_b32 v7, v6, v7 bitop3:0x54
	v_cmp_ne_u16_e64 s0, s14, v5
	v_cmp_gt_i32_e64 s2, s7, v14
	s_delay_alu instid0(VALU_DEP_3) | instskip(SKIP_1) | instid1(VALU_DEP_1)
	v_and_b32_e32 v7, 0xffff, v7
	s_xor_b32 s0, s4, s0
	v_cndmask_b32_e64 v5, v6, v7, s1
	v_bitop3_b16 v6, v9, v12, 0xff bitop3:0xec
	v_or_b32_e32 v12, 0x500, v0
	v_cndmask_b32_e64 v7, 0, 1, s0
	v_cmp_ne_u16_e64 s0, s14, v4
	s_delay_alu instid0(VALU_DEP_4) | instskip(NEXT) | instid1(VALU_DEP_4)
	v_and_b32_e32 v6, 0xffff, v6
	v_cmp_gt_i32_e64 s1, s7, v12
	s_delay_alu instid0(VALU_DEP_4)
	v_lshl_or_b32 v7, v7, 16, v5
	s_xor_b32 s0, s4, s0
	v_cndmask_b32_e64 v4, v9, v6, s1
	v_cmp_ne_u16_e64 s1, s14, v13
	v_cndmask_b32_e64 v6, 0, 1, s0
	v_cndmask_b32_e64 v5, v5, v7, s2
	v_cmp_ne_u16_e64 s2, s14, v17
	v_lshrrev_b32_e32 v7, 16, v4
	s_xor_b32 s0, s4, s1
	v_cmp_ne_u16_e64 s1, s14, v18
	v_cndmask_b32_e64 v9, 0, 1, s0
	v_cmp_ne_u16_e64 s0, s14, v15
	v_lshlrev_b16 v6, 8, v6
	s_xor_b32 s1, s4, s1
	v_bitop3_b16 v7, v9, v7, 0xff00 bitop3:0xf8
	s_xor_b32 s0, s4, s0
	v_cndmask_b32_e64 v13, 0, 1, s1
	s_xor_b32 s1, s4, s2
	v_cndmask_b32_e64 v15, 0, 1, s0
	v_lshlrev_b32_e32 v7, 16, v7
	v_cmp_gt_i32_e64 s0, s7, v10
	v_lshrrev_b32_e32 v12, 16, v5
	v_or_b32_e32 v9, 0x600, v0
	v_cndmask_b32_e64 v14, 0, 1, s1
	v_and_or_b32 v7, 0xffff, v4, v7
	v_cndmask_b32_e64 v10, 0, v13, s0
	s_xor_b32 s0, s4, s3
	v_bitop3_b16 v6, v12, v6, 0xff bitop3:0xec
	v_or_b32_e32 v12, 0x800, v0
	v_lshlrev_b16 v13, 8, v14
	v_cndmask_b32_e64 v14, 0, 1, s0
	v_cmp_gt_i32_e64 s0, s7, v9
	v_cmp_ne_u16_e64 s1, s14, v11
	s_delay_alu instid0(VALU_DEP_2)
	v_dual_lshlrev_b32 v6, 16, v6 :: v_dual_cndmask_b32 v4, v4, v7, s0
	v_cmp_gt_i32_e64 s0, s7, v12
	v_bitop3_b16 v7, v10, v13, 0xff bitop3:0xec
	v_lshlrev_b16 v12, 8, v14
	v_or_b32_e32 v13, 0x900, v0
	s_xor_b32 s1, s4, s1
	v_cndmask_b32_e64 v9, 0, v15, s0
	v_cmp_ne_u16_e64 s0, s14, v3
	v_or_b32_e32 v3, 0xd00, v0
	v_and_b32_e32 v7, 0xffff, v7
	v_and_or_b32 v6, 0xffff, v5, v6
	s_xor_b32 s0, s4, s0
	s_delay_alu instid0(VALU_DEP_3) | instskip(NEXT) | instid1(VALU_DEP_1)
	v_cmp_gt_i32_e64 s2, s7, v3
	v_dual_cndmask_b32 v3, v10, v7, s2 :: v_dual_bitop2_b32 v12, v9, v12 bitop3:0x54
	v_cmp_ne_u16_e64 s2, s14, v19
	v_cndmask_b32_e64 v10, 0, 1, s1
	s_delay_alu instid0(VALU_DEP_3) | instskip(NEXT) | instid1(VALU_DEP_4)
	v_and_b32_e32 v7, 0xffff, v12
	v_lshrrev_b32_e32 v11, 16, v3
	s_xor_b32 s1, s4, s2
	s_delay_alu instid0(SALU_CYCLE_1) | instskip(SKIP_2) | instid1(VALU_DEP_3)
	v_cndmask_b32_e64 v12, 0, 1, s1
	v_cmp_gt_i32_e64 s1, s7, v13
	v_or_b32_e32 v13, 0xa00, v0
	v_bitop3_b16 v11, v12, v11, 0xff00 bitop3:0xf8
	s_delay_alu instid0(VALU_DEP_3)
	v_dual_lshrrev_b32 v12, 16, v4 :: v_dual_cndmask_b32 v7, v9, v7, s1
	v_lshlrev_b32_e32 v9, 16, v10
	v_cndmask_b32_e64 v10, 0, 1, s0
	v_cmp_ne_u16_e64 s0, s14, v8
	v_cmp_gt_i32_e64 s1, s7, v13
	v_or_b32_e32 v8, 0xe00, v0
	v_and_or_b32 v9, 0x1ff, v7, v9
	v_lshlrev_b32_e32 v11, 16, v11
	s_xor_b32 s0, s4, s0
	v_lshlrev_b16 v10, 8, v10
	v_or_b32_e32 v13, 0x300, v0
	v_cndmask_b32_e64 v7, v7, v9, s1
	v_and_or_b32 v9, 0xffff, v3, v11
	v_cmp_ne_u16_e64 s1, s14, v16
	v_cndmask_b32_e64 v11, 0, 1, s0
	v_cmp_gt_i32_e64 s0, s7, v8
	s_delay_alu instid0(VALU_DEP_2) | instskip(NEXT) | instid1(VALU_DEP_2)
	v_lshlrev_b16 v11, 8, v11
	v_cndmask_b32_e64 v3, v3, v9, s0
	s_xor_b32 s0, s4, s1
	v_bitop3_b16 v9, v12, v10, 0xff bitop3:0xec
	v_cndmask_b32_e64 v8, 0, 1, s0
	v_lshrrev_b32_e32 v10, 16, v7
	v_cmp_gt_i32_e64 s0, s7, v13
	s_delay_alu instid0(VALU_DEP_4) | instskip(NEXT) | instid1(VALU_DEP_4)
	v_dual_lshrrev_b32 v12, 16, v3 :: v_dual_lshlrev_b32 v9, 16, v9
	v_lshlrev_b16 v8, 8, v8
	s_delay_alu instid0(VALU_DEP_4) | instskip(NEXT) | instid1(VALU_DEP_4)
	v_bitop3_b16 v10, v10, v11, 0xff bitop3:0xec
	v_cndmask_b32_e64 v6, v5, v6, s0
	v_or_b32_e32 v11, 0xb00, v0
	v_and_or_b32 v9, 0xffff, v4, v9
	v_bitop3_b16 v8, v12, v8, 0xff bitop3:0xec
	v_lshlrev_b32_e32 v5, 16, v10
	v_or_b32_e32 v10, 0x700, v0
	v_or_b32_e32 v13, 0xf00, v0
	s_delay_alu instid0(VALU_DEP_4) | instskip(NEXT) | instid1(VALU_DEP_4)
	v_lshlrev_b32_e32 v8, 16, v8
	v_and_or_b32 v12, 0xffff, v7, v5
	s_delay_alu instid0(VALU_DEP_4) | instskip(NEXT) | instid1(VALU_DEP_3)
	v_cmp_gt_i32_e64 s0, s7, v10
	v_and_or_b32 v8, 0xffff, v3, v8
	s_delay_alu instid0(VALU_DEP_2) | instskip(SKIP_1) | instid1(VALU_DEP_1)
	v_cndmask_b32_e64 v5, v4, v9, s0
	v_cmp_gt_i32_e64 s0, s7, v11
	v_cndmask_b32_e64 v4, v7, v12, s0
	v_cmp_gt_i32_e64 s0, s7, v13
	s_delay_alu instid0(VALU_DEP_1)
	v_cndmask_b32_e64 v3, v3, v8, s0
	s_and_saveexec_b32 s0, vcc_lo
	s_cbranch_execnz .LBB336_53
; %bb.36:
	s_or_b32 exec_lo, exec_lo, s0
	s_delay_alu instid0(SALU_CYCLE_1)
	s_mov_b32 s0, exec_lo
	v_cmpx_gt_i32_e64 s7, v0
	s_cbranch_execnz .LBB336_54
.LBB336_37:
	s_or_b32 exec_lo, exec_lo, s0
	s_delay_alu instid0(SALU_CYCLE_1)
	s_mov_b32 s0, exec_lo
	v_cmpx_gt_i32_e64 s7, v0
	s_cbranch_execnz .LBB336_55
.LBB336_38:
	s_or_b32 exec_lo, exec_lo, s0
	s_delay_alu instid0(SALU_CYCLE_1)
	s_mov_b32 s0, exec_lo
	v_cmpx_gt_i32_e64 s7, v0
	s_cbranch_execnz .LBB336_56
.LBB336_39:
	s_or_b32 exec_lo, exec_lo, s0
	s_delay_alu instid0(SALU_CYCLE_1)
	s_mov_b32 s0, exec_lo
	v_cmpx_gt_i32_e64 s7, v0
	s_cbranch_execnz .LBB336_57
.LBB336_40:
	s_or_b32 exec_lo, exec_lo, s0
	s_delay_alu instid0(SALU_CYCLE_1)
	s_mov_b32 s0, exec_lo
	v_cmpx_gt_i32_e64 s7, v0
	s_cbranch_execnz .LBB336_58
.LBB336_41:
	s_or_b32 exec_lo, exec_lo, s0
	s_delay_alu instid0(SALU_CYCLE_1)
	s_mov_b32 s0, exec_lo
	v_cmpx_gt_i32_e64 s7, v0
	s_cbranch_execnz .LBB336_59
.LBB336_42:
	s_or_b32 exec_lo, exec_lo, s0
	s_delay_alu instid0(SALU_CYCLE_1)
	s_mov_b32 s0, exec_lo
	v_cmpx_gt_i32_e64 s7, v0
	s_cbranch_execnz .LBB336_60
.LBB336_43:
	s_or_b32 exec_lo, exec_lo, s0
	s_delay_alu instid0(SALU_CYCLE_1)
	s_mov_b32 s0, exec_lo
	v_cmpx_gt_i32_e64 s7, v0
	s_cbranch_execnz .LBB336_61
.LBB336_44:
	s_or_b32 exec_lo, exec_lo, s0
	s_delay_alu instid0(SALU_CYCLE_1)
	s_mov_b32 s0, exec_lo
	v_cmpx_gt_i32_e64 s7, v0
	s_cbranch_execnz .LBB336_62
.LBB336_45:
	s_or_b32 exec_lo, exec_lo, s0
	s_delay_alu instid0(SALU_CYCLE_1)
	s_mov_b32 s0, exec_lo
	v_cmpx_gt_i32_e64 s7, v0
	s_cbranch_execnz .LBB336_63
.LBB336_46:
	s_or_b32 exec_lo, exec_lo, s0
	s_delay_alu instid0(SALU_CYCLE_1)
	s_mov_b32 s0, exec_lo
	v_cmpx_gt_i32_e64 s7, v0
	s_cbranch_execnz .LBB336_64
.LBB336_47:
	s_or_b32 exec_lo, exec_lo, s0
	s_delay_alu instid0(SALU_CYCLE_1)
	s_mov_b32 s0, exec_lo
	v_cmpx_gt_i32_e64 s7, v0
	s_cbranch_execnz .LBB336_65
.LBB336_48:
	s_or_b32 exec_lo, exec_lo, s0
	s_delay_alu instid0(SALU_CYCLE_1)
	s_mov_b32 s0, exec_lo
	v_cmpx_gt_i32_e64 s7, v0
	s_cbranch_execnz .LBB336_66
.LBB336_49:
	s_or_b32 exec_lo, exec_lo, s0
	s_delay_alu instid0(SALU_CYCLE_1)
	s_mov_b32 s0, exec_lo
	v_cmpx_gt_i32_e64 s7, v0
	s_cbranch_execnz .LBB336_67
.LBB336_50:
	s_or_b32 exec_lo, exec_lo, s0
	s_delay_alu instid0(SALU_CYCLE_1)
	s_mov_b32 s0, exec_lo
	v_cmpx_gt_i32_e64 s7, v0
	s_cbranch_execz .LBB336_52
.LBB336_51:
	v_dual_lshrrev_b32 v1, 24, v3 :: v_dual_add_nc_u32 v0, s16, v0
	global_store_b8 v0, v1, s[8:9]
.LBB336_52:
	s_endpgm
.LBB336_53:
	v_mov_b32_e32 v0, v2
	global_store_b8 v1, v6, s[8:9]
	s_wait_xcnt 0x0
	s_or_b32 exec_lo, exec_lo, s0
	s_delay_alu instid0(SALU_CYCLE_1)
	s_mov_b32 s0, exec_lo
	v_cmpx_gt_i32_e64 s7, v0
	s_cbranch_execz .LBB336_37
.LBB336_54:
	v_dual_lshrrev_b32 v1, 8, v6 :: v_dual_add_nc_u32 v2, s16, v0
	v_add_nc_u32_e32 v0, 0x100, v0
	global_store_b8 v2, v1, s[8:9]
	s_wait_xcnt 0x0
	s_or_b32 exec_lo, exec_lo, s0
	s_delay_alu instid0(SALU_CYCLE_1)
	s_mov_b32 s0, exec_lo
	v_cmpx_gt_i32_e64 s7, v0
	s_cbranch_execz .LBB336_38
.LBB336_55:
	v_add_nc_u32_e32 v1, s16, v0
	v_add_nc_u32_e32 v0, 0x100, v0
	global_store_d16_hi_b8 v1, v6, s[8:9]
	s_wait_xcnt 0x0
	s_or_b32 exec_lo, exec_lo, s0
	s_delay_alu instid0(SALU_CYCLE_1)
	s_mov_b32 s0, exec_lo
	v_cmpx_gt_i32_e64 s7, v0
	s_cbranch_execz .LBB336_39
.LBB336_56:
	v_dual_lshrrev_b32 v1, 24, v6 :: v_dual_add_nc_u32 v2, s16, v0
	v_add_nc_u32_e32 v0, 0x100, v0
	global_store_b8 v2, v1, s[8:9]
	s_wait_xcnt 0x0
	s_or_b32 exec_lo, exec_lo, s0
	s_delay_alu instid0(SALU_CYCLE_1)
	s_mov_b32 s0, exec_lo
	v_cmpx_gt_i32_e64 s7, v0
	s_cbranch_execz .LBB336_40
.LBB336_57:
	v_add_nc_u32_e32 v1, s16, v0
	v_add_nc_u32_e32 v0, 0x100, v0
	global_store_b8 v1, v5, s[8:9]
	s_wait_xcnt 0x0
	s_or_b32 exec_lo, exec_lo, s0
	s_delay_alu instid0(SALU_CYCLE_1)
	s_mov_b32 s0, exec_lo
	v_cmpx_gt_i32_e64 s7, v0
	s_cbranch_execz .LBB336_41
.LBB336_58:
	v_dual_lshrrev_b32 v1, 8, v5 :: v_dual_add_nc_u32 v2, s16, v0
	v_add_nc_u32_e32 v0, 0x100, v0
	global_store_b8 v2, v1, s[8:9]
	s_wait_xcnt 0x0
	s_or_b32 exec_lo, exec_lo, s0
	s_delay_alu instid0(SALU_CYCLE_1)
	s_mov_b32 s0, exec_lo
	v_cmpx_gt_i32_e64 s7, v0
	s_cbranch_execz .LBB336_42
.LBB336_59:
	v_add_nc_u32_e32 v1, s16, v0
	v_add_nc_u32_e32 v0, 0x100, v0
	global_store_d16_hi_b8 v1, v5, s[8:9]
	s_wait_xcnt 0x0
	s_or_b32 exec_lo, exec_lo, s0
	s_delay_alu instid0(SALU_CYCLE_1)
	s_mov_b32 s0, exec_lo
	v_cmpx_gt_i32_e64 s7, v0
	s_cbranch_execz .LBB336_43
.LBB336_60:
	v_dual_lshrrev_b32 v1, 24, v5 :: v_dual_add_nc_u32 v2, s16, v0
	v_add_nc_u32_e32 v0, 0x100, v0
	global_store_b8 v2, v1, s[8:9]
	s_wait_xcnt 0x0
	s_or_b32 exec_lo, exec_lo, s0
	s_delay_alu instid0(SALU_CYCLE_1)
	s_mov_b32 s0, exec_lo
	v_cmpx_gt_i32_e64 s7, v0
	s_cbranch_execz .LBB336_44
.LBB336_61:
	v_add_nc_u32_e32 v1, s16, v0
	v_add_nc_u32_e32 v0, 0x100, v0
	global_store_b8 v1, v4, s[8:9]
	s_wait_xcnt 0x0
	s_or_b32 exec_lo, exec_lo, s0
	s_delay_alu instid0(SALU_CYCLE_1)
	s_mov_b32 s0, exec_lo
	v_cmpx_gt_i32_e64 s7, v0
	s_cbranch_execz .LBB336_45
.LBB336_62:
	v_lshrrev_b32_e32 v1, 8, v4
	v_add_nc_u32_e32 v2, s16, v0
	v_add_nc_u32_e32 v0, 0x100, v0
	global_store_b8 v2, v1, s[8:9]
	s_wait_xcnt 0x0
	s_or_b32 exec_lo, exec_lo, s0
	s_delay_alu instid0(SALU_CYCLE_1)
	s_mov_b32 s0, exec_lo
	v_cmpx_gt_i32_e64 s7, v0
	s_cbranch_execz .LBB336_46
.LBB336_63:
	v_add_nc_u32_e32 v1, s16, v0
	v_add_nc_u32_e32 v0, 0x100, v0
	global_store_d16_hi_b8 v1, v4, s[8:9]
	s_wait_xcnt 0x0
	s_or_b32 exec_lo, exec_lo, s0
	s_delay_alu instid0(SALU_CYCLE_1)
	s_mov_b32 s0, exec_lo
	v_cmpx_gt_i32_e64 s7, v0
	s_cbranch_execz .LBB336_47
.LBB336_64:
	v_lshrrev_b32_e32 v1, 24, v4
	v_add_nc_u32_e32 v2, s16, v0
	v_add_nc_u32_e32 v0, 0x100, v0
	global_store_b8 v2, v1, s[8:9]
	s_wait_xcnt 0x0
	s_or_b32 exec_lo, exec_lo, s0
	s_delay_alu instid0(SALU_CYCLE_1)
	s_mov_b32 s0, exec_lo
	v_cmpx_gt_i32_e64 s7, v0
	s_cbranch_execz .LBB336_48
.LBB336_65:
	v_add_nc_u32_e32 v1, s16, v0
	v_add_nc_u32_e32 v0, 0x100, v0
	global_store_b8 v1, v3, s[8:9]
	s_wait_xcnt 0x0
	s_or_b32 exec_lo, exec_lo, s0
	s_delay_alu instid0(SALU_CYCLE_1)
	s_mov_b32 s0, exec_lo
	v_cmpx_gt_i32_e64 s7, v0
	s_cbranch_execz .LBB336_49
.LBB336_66:
	v_dual_lshrrev_b32 v1, 8, v3 :: v_dual_add_nc_u32 v2, s16, v0
	v_add_nc_u32_e32 v0, 0x100, v0
	global_store_b8 v2, v1, s[8:9]
	s_wait_xcnt 0x0
	s_or_b32 exec_lo, exec_lo, s0
	s_delay_alu instid0(SALU_CYCLE_1)
	s_mov_b32 s0, exec_lo
	v_cmpx_gt_i32_e64 s7, v0
	s_cbranch_execz .LBB336_50
.LBB336_67:
	v_add_nc_u32_e32 v1, s16, v0
	v_add_nc_u32_e32 v0, 0x100, v0
	global_store_d16_hi_b8 v1, v3, s[8:9]
	s_wait_xcnt 0x0
	s_or_b32 exec_lo, exec_lo, s0
	s_delay_alu instid0(SALU_CYCLE_1)
	s_mov_b32 s0, exec_lo
	v_cmpx_gt_i32_e64 s7, v0
	s_cbranch_execnz .LBB336_51
	s_branch .LBB336_52
	.section	.rodata,"a",@progbits
	.p2align	6, 0x0
	.amdhsa_kernel _ZN2at6native29vectorized_elementwise_kernelILi2ENS0_13AUnaryFunctorIttbNS0_12_GLOBAL__N_116CompareEqFunctorItEEEESt5arrayIPcLm2EEEEviT0_T1_
		.amdhsa_group_segment_fixed_size 0
		.amdhsa_private_segment_fixed_size 0
		.amdhsa_kernarg_size 32
		.amdhsa_user_sgpr_count 2
		.amdhsa_user_sgpr_dispatch_ptr 0
		.amdhsa_user_sgpr_queue_ptr 0
		.amdhsa_user_sgpr_kernarg_segment_ptr 1
		.amdhsa_user_sgpr_dispatch_id 0
		.amdhsa_user_sgpr_kernarg_preload_length 0
		.amdhsa_user_sgpr_kernarg_preload_offset 0
		.amdhsa_user_sgpr_private_segment_size 0
		.amdhsa_wavefront_size32 1
		.amdhsa_uses_dynamic_stack 0
		.amdhsa_enable_private_segment 0
		.amdhsa_system_sgpr_workgroup_id_x 1
		.amdhsa_system_sgpr_workgroup_id_y 0
		.amdhsa_system_sgpr_workgroup_id_z 0
		.amdhsa_system_sgpr_workgroup_info 0
		.amdhsa_system_vgpr_workitem_id 0
		.amdhsa_next_free_vgpr 20
		.amdhsa_next_free_sgpr 20
		.amdhsa_named_barrier_count 0
		.amdhsa_reserve_vcc 1
		.amdhsa_float_round_mode_32 0
		.amdhsa_float_round_mode_16_64 0
		.amdhsa_float_denorm_mode_32 3
		.amdhsa_float_denorm_mode_16_64 3
		.amdhsa_fp16_overflow 0
		.amdhsa_memory_ordered 1
		.amdhsa_forward_progress 1
		.amdhsa_inst_pref_size 32
		.amdhsa_round_robin_scheduling 0
		.amdhsa_exception_fp_ieee_invalid_op 0
		.amdhsa_exception_fp_denorm_src 0
		.amdhsa_exception_fp_ieee_div_zero 0
		.amdhsa_exception_fp_ieee_overflow 0
		.amdhsa_exception_fp_ieee_underflow 0
		.amdhsa_exception_fp_ieee_inexact 0
		.amdhsa_exception_int_div_zero 0
	.end_amdhsa_kernel
	.section	.text._ZN2at6native29vectorized_elementwise_kernelILi2ENS0_13AUnaryFunctorIttbNS0_12_GLOBAL__N_116CompareEqFunctorItEEEESt5arrayIPcLm2EEEEviT0_T1_,"axG",@progbits,_ZN2at6native29vectorized_elementwise_kernelILi2ENS0_13AUnaryFunctorIttbNS0_12_GLOBAL__N_116CompareEqFunctorItEEEESt5arrayIPcLm2EEEEviT0_T1_,comdat
.Lfunc_end336:
	.size	_ZN2at6native29vectorized_elementwise_kernelILi2ENS0_13AUnaryFunctorIttbNS0_12_GLOBAL__N_116CompareEqFunctorItEEEESt5arrayIPcLm2EEEEviT0_T1_, .Lfunc_end336-_ZN2at6native29vectorized_elementwise_kernelILi2ENS0_13AUnaryFunctorIttbNS0_12_GLOBAL__N_116CompareEqFunctorItEEEESt5arrayIPcLm2EEEEviT0_T1_
                                        ; -- End function
	.set _ZN2at6native29vectorized_elementwise_kernelILi2ENS0_13AUnaryFunctorIttbNS0_12_GLOBAL__N_116CompareEqFunctorItEEEESt5arrayIPcLm2EEEEviT0_T1_.num_vgpr, 20
	.set _ZN2at6native29vectorized_elementwise_kernelILi2ENS0_13AUnaryFunctorIttbNS0_12_GLOBAL__N_116CompareEqFunctorItEEEESt5arrayIPcLm2EEEEviT0_T1_.num_agpr, 0
	.set _ZN2at6native29vectorized_elementwise_kernelILi2ENS0_13AUnaryFunctorIttbNS0_12_GLOBAL__N_116CompareEqFunctorItEEEESt5arrayIPcLm2EEEEviT0_T1_.numbered_sgpr, 20
	.set _ZN2at6native29vectorized_elementwise_kernelILi2ENS0_13AUnaryFunctorIttbNS0_12_GLOBAL__N_116CompareEqFunctorItEEEESt5arrayIPcLm2EEEEviT0_T1_.num_named_barrier, 0
	.set _ZN2at6native29vectorized_elementwise_kernelILi2ENS0_13AUnaryFunctorIttbNS0_12_GLOBAL__N_116CompareEqFunctorItEEEESt5arrayIPcLm2EEEEviT0_T1_.private_seg_size, 0
	.set _ZN2at6native29vectorized_elementwise_kernelILi2ENS0_13AUnaryFunctorIttbNS0_12_GLOBAL__N_116CompareEqFunctorItEEEESt5arrayIPcLm2EEEEviT0_T1_.uses_vcc, 1
	.set _ZN2at6native29vectorized_elementwise_kernelILi2ENS0_13AUnaryFunctorIttbNS0_12_GLOBAL__N_116CompareEqFunctorItEEEESt5arrayIPcLm2EEEEviT0_T1_.uses_flat_scratch, 0
	.set _ZN2at6native29vectorized_elementwise_kernelILi2ENS0_13AUnaryFunctorIttbNS0_12_GLOBAL__N_116CompareEqFunctorItEEEESt5arrayIPcLm2EEEEviT0_T1_.has_dyn_sized_stack, 0
	.set _ZN2at6native29vectorized_elementwise_kernelILi2ENS0_13AUnaryFunctorIttbNS0_12_GLOBAL__N_116CompareEqFunctorItEEEESt5arrayIPcLm2EEEEviT0_T1_.has_recursion, 0
	.set _ZN2at6native29vectorized_elementwise_kernelILi2ENS0_13AUnaryFunctorIttbNS0_12_GLOBAL__N_116CompareEqFunctorItEEEESt5arrayIPcLm2EEEEviT0_T1_.has_indirect_call, 0
	.section	.AMDGPU.csdata,"",@progbits
; Kernel info:
; codeLenInByte = 4052
; TotalNumSgprs: 22
; NumVgprs: 20
; ScratchSize: 0
; MemoryBound: 0
; FloatMode: 240
; IeeeMode: 1
; LDSByteSize: 0 bytes/workgroup (compile time only)
; SGPRBlocks: 0
; VGPRBlocks: 1
; NumSGPRsForWavesPerEU: 22
; NumVGPRsForWavesPerEU: 20
; NamedBarCnt: 0
; Occupancy: 16
; WaveLimiterHint : 1
; COMPUTE_PGM_RSRC2:SCRATCH_EN: 0
; COMPUTE_PGM_RSRC2:USER_SGPR: 2
; COMPUTE_PGM_RSRC2:TRAP_HANDLER: 0
; COMPUTE_PGM_RSRC2:TGID_X_EN: 1
; COMPUTE_PGM_RSRC2:TGID_Y_EN: 0
; COMPUTE_PGM_RSRC2:TGID_Z_EN: 0
; COMPUTE_PGM_RSRC2:TIDIG_COMP_CNT: 0
	.section	.text._ZN2at6native27unrolled_elementwise_kernelINS0_13AUnaryFunctorIttbNS0_12_GLOBAL__N_116CompareEqFunctorItEEEESt5arrayIPcLm2EELi4E23TrivialOffsetCalculatorILi1EjESB_NS0_6memory15LoadWithoutCastENSC_16StoreWithoutCastEEEviT_T0_T2_T3_T4_T5_,"axG",@progbits,_ZN2at6native27unrolled_elementwise_kernelINS0_13AUnaryFunctorIttbNS0_12_GLOBAL__N_116CompareEqFunctorItEEEESt5arrayIPcLm2EELi4E23TrivialOffsetCalculatorILi1EjESB_NS0_6memory15LoadWithoutCastENSC_16StoreWithoutCastEEEviT_T0_T2_T3_T4_T5_,comdat
	.globl	_ZN2at6native27unrolled_elementwise_kernelINS0_13AUnaryFunctorIttbNS0_12_GLOBAL__N_116CompareEqFunctorItEEEESt5arrayIPcLm2EELi4E23TrivialOffsetCalculatorILi1EjESB_NS0_6memory15LoadWithoutCastENSC_16StoreWithoutCastEEEviT_T0_T2_T3_T4_T5_ ; -- Begin function _ZN2at6native27unrolled_elementwise_kernelINS0_13AUnaryFunctorIttbNS0_12_GLOBAL__N_116CompareEqFunctorItEEEESt5arrayIPcLm2EELi4E23TrivialOffsetCalculatorILi1EjESB_NS0_6memory15LoadWithoutCastENSC_16StoreWithoutCastEEEviT_T0_T2_T3_T4_T5_
	.p2align	8
	.type	_ZN2at6native27unrolled_elementwise_kernelINS0_13AUnaryFunctorIttbNS0_12_GLOBAL__N_116CompareEqFunctorItEEEESt5arrayIPcLm2EELi4E23TrivialOffsetCalculatorILi1EjESB_NS0_6memory15LoadWithoutCastENSC_16StoreWithoutCastEEEviT_T0_T2_T3_T4_T5_,@function
_ZN2at6native27unrolled_elementwise_kernelINS0_13AUnaryFunctorIttbNS0_12_GLOBAL__N_116CompareEqFunctorItEEEESt5arrayIPcLm2EELi4E23TrivialOffsetCalculatorILi1EjESB_NS0_6memory15LoadWithoutCastENSC_16StoreWithoutCastEEEviT_T0_T2_T3_T4_T5_: ; @_ZN2at6native27unrolled_elementwise_kernelINS0_13AUnaryFunctorIttbNS0_12_GLOBAL__N_116CompareEqFunctorItEEEESt5arrayIPcLm2EELi4E23TrivialOffsetCalculatorILi1EjESB_NS0_6memory15LoadWithoutCastENSC_16StoreWithoutCastEEEviT_T0_T2_T3_T4_T5_
; %bb.0:
	s_clause 0x1
	s_load_b96 s[8:10], s[0:1], 0x0
	s_load_b128 s[4:7], s[0:1], 0x10
	s_bfe_u32 s2, ttmp6, 0x4000c
	s_wait_xcnt 0x0
	s_and_b32 s0, ttmp6, 15
	s_add_co_i32 s2, s2, 1
	v_dual_mov_b32 v3, 0 :: v_dual_mov_b32 v4, 0
	s_mul_i32 s1, ttmp9, s2
	s_getreg_b32 s2, hwreg(HW_REG_IB_STS2, 6, 4)
	s_add_co_i32 s0, s0, s1
	s_cmp_eq_u32 s2, 0
	v_or_b32_e32 v1, 0x100, v0
	s_cselect_b32 s0, ttmp9, s0
	v_mov_b32_e32 v6, v0
	s_lshl_b32 s2, s0, 10
	s_delay_alu instid0(SALU_CYCLE_1) | instskip(SKIP_2) | instid1(SALU_CYCLE_1)
	v_or_b32_e32 v2, s2, v0
	s_wait_kmcnt 0x0
	s_sub_co_i32 s3, s8, s2
	v_cmp_gt_i32_e32 vcc_lo, s3, v0
	s_and_saveexec_b32 s0, vcc_lo
	s_cbranch_execz .LBB337_2
; %bb.1:
	global_load_u16 v4, v2, s[6:7] scale_offset
	v_or_b32_e32 v6, 0x100, v0
.LBB337_2:
	s_wait_xcnt 0x0
	s_or_b32 exec_lo, exec_lo, s0
	s_delay_alu instid0(SALU_CYCLE_1) | instskip(NEXT) | instid1(VALU_DEP_1)
	s_mov_b32 s1, exec_lo
	v_cmpx_gt_i32_e64 s3, v6
	s_cbranch_execz .LBB337_4
; %bb.3:
	v_add_nc_u32_e32 v3, s2, v6
	v_add_nc_u32_e32 v6, 0x100, v6
	global_load_u16 v3, v3, s[6:7] scale_offset
.LBB337_4:
	s_wait_xcnt 0x0
	s_or_b32 exec_lo, exec_lo, s1
	v_dual_mov_b32 v5, 0 :: v_dual_mov_b32 v7, 0
	s_mov_b32 s1, exec_lo
	v_cmpx_gt_i32_e64 s3, v6
	s_cbranch_execz .LBB337_6
; %bb.5:
	v_add_nc_u32_e32 v7, s2, v6
	v_add_nc_u32_e32 v6, 0x100, v6
	global_load_u16 v7, v7, s[6:7] scale_offset
.LBB337_6:
	s_wait_xcnt 0x0
	s_or_b32 exec_lo, exec_lo, s1
	s_delay_alu instid0(SALU_CYCLE_1)
	s_mov_b32 s1, exec_lo
	v_cmpx_gt_i32_e64 s3, v6
	s_cbranch_execz .LBB337_8
; %bb.7:
	v_add_nc_u32_e32 v5, s2, v6
	global_load_u16 v5, v5, s[6:7] scale_offset
.LBB337_8:
	s_wait_xcnt 0x0
	s_or_b32 exec_lo, exec_lo, s1
	s_wait_loadcnt 0x0
	v_cmp_ne_u16_e64 s0, s10, v4
	s_cmp_eq_u32 s9, 0
	v_cmp_ne_u16_e64 s1, s10, v3
	s_cselect_b32 s6, -1, 0
	s_delay_alu instid0(SALU_CYCLE_1) | instskip(NEXT) | instid1(SALU_CYCLE_1)
	s_xor_b32 s0, s6, s0
	v_cndmask_b32_e64 v3, 0, 1, s0
	s_xor_b32 s0, s6, s1
	s_delay_alu instid0(SALU_CYCLE_1) | instskip(SKIP_1) | instid1(VALU_DEP_2)
	v_cndmask_b32_e64 v4, 0, 1, s0
	v_cmp_ne_u16_e64 s0, s10, v7
	v_lshlrev_b16 v4, 8, v4
	s_xor_b32 s0, s6, s0
	s_delay_alu instid0(SALU_CYCLE_1) | instskip(SKIP_2) | instid1(VALU_DEP_2)
	v_cndmask_b32_e64 v6, 0, 1, s0
	v_cndmask_b32_e32 v3, 0, v3, vcc_lo
	v_cmp_gt_i32_e64 s0, s3, v1
	v_dual_lshlrev_b32 v6, 16, v6 :: v_dual_bitop2_b32 v4, v3, v4 bitop3:0x54
	s_delay_alu instid0(VALU_DEP_1) | instskip(NEXT) | instid1(VALU_DEP_1)
	v_and_b32_e32 v4, 0xffff, v4
	v_cndmask_b32_e64 v3, v3, v4, s0
	v_or_b32_e32 v4, 0x200, v0
	v_cmp_ne_u16_e64 s0, s10, v5
	s_delay_alu instid0(VALU_DEP_3) | instskip(NEXT) | instid1(VALU_DEP_3)
	v_or_b32_e32 v6, v3, v6
	v_cmp_gt_i32_e64 s1, s3, v4
	s_xor_b32 s0, s6, s0
	s_delay_alu instid0(SALU_CYCLE_1) | instskip(SKIP_1) | instid1(VALU_DEP_2)
	v_cndmask_b32_e64 v4, 0, 1, s0
	v_cndmask_b32_e64 v3, v3, v6, s1
	v_lshlrev_b16 v4, 8, v4
	s_delay_alu instid0(VALU_DEP_2) | instskip(NEXT) | instid1(VALU_DEP_1)
	v_lshrrev_b32_e32 v5, 16, v3
	v_bitop3_b16 v4, v5, v4, 0xff bitop3:0xec
	v_or_b32_e32 v5, 0x300, v0
	s_delay_alu instid0(VALU_DEP_2) | instskip(NEXT) | instid1(VALU_DEP_2)
	v_lshlrev_b32_e32 v4, 16, v4
	v_cmp_gt_i32_e64 s0, s3, v5
	s_delay_alu instid0(VALU_DEP_2) | instskip(NEXT) | instid1(VALU_DEP_1)
	v_and_or_b32 v4, 0xffff, v3, v4
	v_cndmask_b32_e64 v3, v3, v4, s0
	s_and_saveexec_b32 s0, vcc_lo
	s_cbranch_execnz .LBB337_13
; %bb.9:
	s_or_b32 exec_lo, exec_lo, s0
	s_delay_alu instid0(SALU_CYCLE_1)
	s_mov_b32 s0, exec_lo
	v_cmpx_gt_i32_e64 s3, v0
	s_cbranch_execnz .LBB337_14
.LBB337_10:
	s_or_b32 exec_lo, exec_lo, s0
	s_delay_alu instid0(SALU_CYCLE_1)
	s_mov_b32 s0, exec_lo
	v_cmpx_gt_i32_e64 s3, v0
	s_cbranch_execnz .LBB337_15
.LBB337_11:
	s_or_b32 exec_lo, exec_lo, s0
	s_delay_alu instid0(SALU_CYCLE_1)
	s_mov_b32 s0, exec_lo
	v_cmpx_gt_i32_e64 s3, v0
	s_cbranch_execnz .LBB337_16
.LBB337_12:
	s_endpgm
.LBB337_13:
	v_mov_b32_e32 v0, v1
	global_store_b8 v2, v3, s[4:5]
	s_wait_xcnt 0x0
	s_or_b32 exec_lo, exec_lo, s0
	s_delay_alu instid0(SALU_CYCLE_1)
	s_mov_b32 s0, exec_lo
	v_cmpx_gt_i32_e64 s3, v0
	s_cbranch_execz .LBB337_10
.LBB337_14:
	v_add_nc_u32_e32 v1, 0x100, v0
	v_dual_add_nc_u32 v2, s2, v0 :: v_dual_lshrrev_b32 v4, 8, v3
	s_delay_alu instid0(VALU_DEP_2) | instskip(SKIP_3) | instid1(SALU_CYCLE_1)
	v_mov_b32_e32 v0, v1
	global_store_b8 v2, v4, s[4:5]
	s_wait_xcnt 0x0
	s_or_b32 exec_lo, exec_lo, s0
	s_mov_b32 s0, exec_lo
	v_cmpx_gt_i32_e64 s3, v0
	s_cbranch_execz .LBB337_11
.LBB337_15:
	v_add_nc_u32_e32 v1, 0x100, v0
	s_delay_alu instid0(VALU_DEP_1) | instskip(SKIP_3) | instid1(SALU_CYCLE_1)
	v_dual_add_nc_u32 v2, s2, v0 :: v_dual_mov_b32 v0, v1
	global_store_d16_hi_b8 v2, v3, s[4:5]
	s_wait_xcnt 0x0
	s_or_b32 exec_lo, exec_lo, s0
	s_mov_b32 s0, exec_lo
	v_cmpx_gt_i32_e64 s3, v0
	s_cbranch_execz .LBB337_12
.LBB337_16:
	v_dual_add_nc_u32 v0, s2, v0 :: v_dual_lshrrev_b32 v1, 24, v3
	global_store_b8 v0, v1, s[4:5]
	s_endpgm
	.section	.rodata,"a",@progbits
	.p2align	6, 0x0
	.amdhsa_kernel _ZN2at6native27unrolled_elementwise_kernelINS0_13AUnaryFunctorIttbNS0_12_GLOBAL__N_116CompareEqFunctorItEEEESt5arrayIPcLm2EELi4E23TrivialOffsetCalculatorILi1EjESB_NS0_6memory15LoadWithoutCastENSC_16StoreWithoutCastEEEviT_T0_T2_T3_T4_T5_
		.amdhsa_group_segment_fixed_size 0
		.amdhsa_private_segment_fixed_size 0
		.amdhsa_kernarg_size 36
		.amdhsa_user_sgpr_count 2
		.amdhsa_user_sgpr_dispatch_ptr 0
		.amdhsa_user_sgpr_queue_ptr 0
		.amdhsa_user_sgpr_kernarg_segment_ptr 1
		.amdhsa_user_sgpr_dispatch_id 0
		.amdhsa_user_sgpr_kernarg_preload_length 0
		.amdhsa_user_sgpr_kernarg_preload_offset 0
		.amdhsa_user_sgpr_private_segment_size 0
		.amdhsa_wavefront_size32 1
		.amdhsa_uses_dynamic_stack 0
		.amdhsa_enable_private_segment 0
		.amdhsa_system_sgpr_workgroup_id_x 1
		.amdhsa_system_sgpr_workgroup_id_y 0
		.amdhsa_system_sgpr_workgroup_id_z 0
		.amdhsa_system_sgpr_workgroup_info 0
		.amdhsa_system_vgpr_workitem_id 0
		.amdhsa_next_free_vgpr 8
		.amdhsa_next_free_sgpr 11
		.amdhsa_named_barrier_count 0
		.amdhsa_reserve_vcc 1
		.amdhsa_float_round_mode_32 0
		.amdhsa_float_round_mode_16_64 0
		.amdhsa_float_denorm_mode_32 3
		.amdhsa_float_denorm_mode_16_64 3
		.amdhsa_fp16_overflow 0
		.amdhsa_memory_ordered 1
		.amdhsa_forward_progress 1
		.amdhsa_inst_pref_size 7
		.amdhsa_round_robin_scheduling 0
		.amdhsa_exception_fp_ieee_invalid_op 0
		.amdhsa_exception_fp_denorm_src 0
		.amdhsa_exception_fp_ieee_div_zero 0
		.amdhsa_exception_fp_ieee_overflow 0
		.amdhsa_exception_fp_ieee_underflow 0
		.amdhsa_exception_fp_ieee_inexact 0
		.amdhsa_exception_int_div_zero 0
	.end_amdhsa_kernel
	.section	.text._ZN2at6native27unrolled_elementwise_kernelINS0_13AUnaryFunctorIttbNS0_12_GLOBAL__N_116CompareEqFunctorItEEEESt5arrayIPcLm2EELi4E23TrivialOffsetCalculatorILi1EjESB_NS0_6memory15LoadWithoutCastENSC_16StoreWithoutCastEEEviT_T0_T2_T3_T4_T5_,"axG",@progbits,_ZN2at6native27unrolled_elementwise_kernelINS0_13AUnaryFunctorIttbNS0_12_GLOBAL__N_116CompareEqFunctorItEEEESt5arrayIPcLm2EELi4E23TrivialOffsetCalculatorILi1EjESB_NS0_6memory15LoadWithoutCastENSC_16StoreWithoutCastEEEviT_T0_T2_T3_T4_T5_,comdat
.Lfunc_end337:
	.size	_ZN2at6native27unrolled_elementwise_kernelINS0_13AUnaryFunctorIttbNS0_12_GLOBAL__N_116CompareEqFunctorItEEEESt5arrayIPcLm2EELi4E23TrivialOffsetCalculatorILi1EjESB_NS0_6memory15LoadWithoutCastENSC_16StoreWithoutCastEEEviT_T0_T2_T3_T4_T5_, .Lfunc_end337-_ZN2at6native27unrolled_elementwise_kernelINS0_13AUnaryFunctorIttbNS0_12_GLOBAL__N_116CompareEqFunctorItEEEESt5arrayIPcLm2EELi4E23TrivialOffsetCalculatorILi1EjESB_NS0_6memory15LoadWithoutCastENSC_16StoreWithoutCastEEEviT_T0_T2_T3_T4_T5_
                                        ; -- End function
	.set _ZN2at6native27unrolled_elementwise_kernelINS0_13AUnaryFunctorIttbNS0_12_GLOBAL__N_116CompareEqFunctorItEEEESt5arrayIPcLm2EELi4E23TrivialOffsetCalculatorILi1EjESB_NS0_6memory15LoadWithoutCastENSC_16StoreWithoutCastEEEviT_T0_T2_T3_T4_T5_.num_vgpr, 8
	.set _ZN2at6native27unrolled_elementwise_kernelINS0_13AUnaryFunctorIttbNS0_12_GLOBAL__N_116CompareEqFunctorItEEEESt5arrayIPcLm2EELi4E23TrivialOffsetCalculatorILi1EjESB_NS0_6memory15LoadWithoutCastENSC_16StoreWithoutCastEEEviT_T0_T2_T3_T4_T5_.num_agpr, 0
	.set _ZN2at6native27unrolled_elementwise_kernelINS0_13AUnaryFunctorIttbNS0_12_GLOBAL__N_116CompareEqFunctorItEEEESt5arrayIPcLm2EELi4E23TrivialOffsetCalculatorILi1EjESB_NS0_6memory15LoadWithoutCastENSC_16StoreWithoutCastEEEviT_T0_T2_T3_T4_T5_.numbered_sgpr, 11
	.set _ZN2at6native27unrolled_elementwise_kernelINS0_13AUnaryFunctorIttbNS0_12_GLOBAL__N_116CompareEqFunctorItEEEESt5arrayIPcLm2EELi4E23TrivialOffsetCalculatorILi1EjESB_NS0_6memory15LoadWithoutCastENSC_16StoreWithoutCastEEEviT_T0_T2_T3_T4_T5_.num_named_barrier, 0
	.set _ZN2at6native27unrolled_elementwise_kernelINS0_13AUnaryFunctorIttbNS0_12_GLOBAL__N_116CompareEqFunctorItEEEESt5arrayIPcLm2EELi4E23TrivialOffsetCalculatorILi1EjESB_NS0_6memory15LoadWithoutCastENSC_16StoreWithoutCastEEEviT_T0_T2_T3_T4_T5_.private_seg_size, 0
	.set _ZN2at6native27unrolled_elementwise_kernelINS0_13AUnaryFunctorIttbNS0_12_GLOBAL__N_116CompareEqFunctorItEEEESt5arrayIPcLm2EELi4E23TrivialOffsetCalculatorILi1EjESB_NS0_6memory15LoadWithoutCastENSC_16StoreWithoutCastEEEviT_T0_T2_T3_T4_T5_.uses_vcc, 1
	.set _ZN2at6native27unrolled_elementwise_kernelINS0_13AUnaryFunctorIttbNS0_12_GLOBAL__N_116CompareEqFunctorItEEEESt5arrayIPcLm2EELi4E23TrivialOffsetCalculatorILi1EjESB_NS0_6memory15LoadWithoutCastENSC_16StoreWithoutCastEEEviT_T0_T2_T3_T4_T5_.uses_flat_scratch, 0
	.set _ZN2at6native27unrolled_elementwise_kernelINS0_13AUnaryFunctorIttbNS0_12_GLOBAL__N_116CompareEqFunctorItEEEESt5arrayIPcLm2EELi4E23TrivialOffsetCalculatorILi1EjESB_NS0_6memory15LoadWithoutCastENSC_16StoreWithoutCastEEEviT_T0_T2_T3_T4_T5_.has_dyn_sized_stack, 0
	.set _ZN2at6native27unrolled_elementwise_kernelINS0_13AUnaryFunctorIttbNS0_12_GLOBAL__N_116CompareEqFunctorItEEEESt5arrayIPcLm2EELi4E23TrivialOffsetCalculatorILi1EjESB_NS0_6memory15LoadWithoutCastENSC_16StoreWithoutCastEEEviT_T0_T2_T3_T4_T5_.has_recursion, 0
	.set _ZN2at6native27unrolled_elementwise_kernelINS0_13AUnaryFunctorIttbNS0_12_GLOBAL__N_116CompareEqFunctorItEEEESt5arrayIPcLm2EELi4E23TrivialOffsetCalculatorILi1EjESB_NS0_6memory15LoadWithoutCastENSC_16StoreWithoutCastEEEviT_T0_T2_T3_T4_T5_.has_indirect_call, 0
	.section	.AMDGPU.csdata,"",@progbits
; Kernel info:
; codeLenInByte = 844
; TotalNumSgprs: 13
; NumVgprs: 8
; ScratchSize: 0
; MemoryBound: 0
; FloatMode: 240
; IeeeMode: 1
; LDSByteSize: 0 bytes/workgroup (compile time only)
; SGPRBlocks: 0
; VGPRBlocks: 0
; NumSGPRsForWavesPerEU: 13
; NumVGPRsForWavesPerEU: 8
; NamedBarCnt: 0
; Occupancy: 16
; WaveLimiterHint : 0
; COMPUTE_PGM_RSRC2:SCRATCH_EN: 0
; COMPUTE_PGM_RSRC2:USER_SGPR: 2
; COMPUTE_PGM_RSRC2:TRAP_HANDLER: 0
; COMPUTE_PGM_RSRC2:TGID_X_EN: 1
; COMPUTE_PGM_RSRC2:TGID_Y_EN: 0
; COMPUTE_PGM_RSRC2:TGID_Z_EN: 0
; COMPUTE_PGM_RSRC2:TIDIG_COMP_CNT: 0
	.section	.text._ZN2at6native32elementwise_kernel_manual_unrollILi128ELi8EZNS0_22gpu_kernel_impl_nocastINS0_13AUnaryFunctorIttbNS0_12_GLOBAL__N_116CompareEqFunctorItEEEEEEvRNS_18TensorIteratorBaseERKT_EUlibE_EEviT1_,"axG",@progbits,_ZN2at6native32elementwise_kernel_manual_unrollILi128ELi8EZNS0_22gpu_kernel_impl_nocastINS0_13AUnaryFunctorIttbNS0_12_GLOBAL__N_116CompareEqFunctorItEEEEEEvRNS_18TensorIteratorBaseERKT_EUlibE_EEviT1_,comdat
	.globl	_ZN2at6native32elementwise_kernel_manual_unrollILi128ELi8EZNS0_22gpu_kernel_impl_nocastINS0_13AUnaryFunctorIttbNS0_12_GLOBAL__N_116CompareEqFunctorItEEEEEEvRNS_18TensorIteratorBaseERKT_EUlibE_EEviT1_ ; -- Begin function _ZN2at6native32elementwise_kernel_manual_unrollILi128ELi8EZNS0_22gpu_kernel_impl_nocastINS0_13AUnaryFunctorIttbNS0_12_GLOBAL__N_116CompareEqFunctorItEEEEEEvRNS_18TensorIteratorBaseERKT_EUlibE_EEviT1_
	.p2align	8
	.type	_ZN2at6native32elementwise_kernel_manual_unrollILi128ELi8EZNS0_22gpu_kernel_impl_nocastINS0_13AUnaryFunctorIttbNS0_12_GLOBAL__N_116CompareEqFunctorItEEEEEEvRNS_18TensorIteratorBaseERKT_EUlibE_EEviT1_,@function
_ZN2at6native32elementwise_kernel_manual_unrollILi128ELi8EZNS0_22gpu_kernel_impl_nocastINS0_13AUnaryFunctorIttbNS0_12_GLOBAL__N_116CompareEqFunctorItEEEEEEvRNS_18TensorIteratorBaseERKT_EUlibE_EEviT1_: ; @_ZN2at6native32elementwise_kernel_manual_unrollILi128ELi8EZNS0_22gpu_kernel_impl_nocastINS0_13AUnaryFunctorIttbNS0_12_GLOBAL__N_116CompareEqFunctorItEEEEEEvRNS_18TensorIteratorBaseERKT_EUlibE_EEviT1_
; %bb.0:
	s_clause 0x1
	s_load_b32 s30, s[0:1], 0x8
	s_load_b32 s36, s[0:1], 0x0
	s_bfe_u32 s2, ttmp6, 0x4000c
	s_and_b32 s3, ttmp6, 15
	s_add_co_i32 s2, s2, 1
	s_getreg_b32 s4, hwreg(HW_REG_IB_STS2, 6, 4)
	s_mul_i32 s2, ttmp9, s2
	s_add_nc_u64 s[12:13], s[0:1], 8
	s_add_co_i32 s3, s3, s2
	s_cmp_eq_u32 s4, 0
	s_mov_b32 s19, 0
	s_cselect_b32 s2, ttmp9, s3
	s_wait_xcnt 0x0
	s_mov_b32 s0, exec_lo
	v_lshl_or_b32 v0, s2, 10, v0
	s_delay_alu instid0(VALU_DEP_1) | instskip(SKIP_2) | instid1(SALU_CYCLE_1)
	v_or_b32_e32 v16, 0x380, v0
	s_wait_kmcnt 0x0
	s_add_co_i32 s31, s30, -1
	s_cmp_gt_u32 s31, 1
	s_cselect_b32 s33, -1, 0
	v_cmpx_le_i32_e64 s36, v16
	s_xor_b32 s34, exec_lo, s0
	s_cbranch_execz .LBB338_7
; %bb.1:
	s_clause 0x4
	s_load_b128 s[4:7], s[12:13], 0x4
	s_load_b64 s[16:17], s[12:13], 0x14
	s_load_b64 s[14:15], s[12:13], 0x158
	s_load_b128 s[8:11], s[12:13], 0xc4
	s_load_b128 s[0:3], s[12:13], 0x148
	s_cmp_lg_u32 s30, 0
	s_add_nc_u64 s[22:23], s[12:13], 0xc4
	s_cselect_b32 s38, -1, 0
	s_min_u32 s37, s31, 15
	s_cmp_gt_u32 s30, 1
	s_mov_b32 s21, s19
	s_cselect_b32 s35, -1, 0
	s_wait_kmcnt 0x0
	s_mov_b32 s18, s5
	s_mov_b32 s20, s16
	s_cmp_eq_u32 s14, 0
	s_mov_b32 s14, exec_lo
	s_cselect_b32 s5, -1, 0
	v_cmpx_gt_i32_e64 s36, v0
	s_cbranch_execz .LBB338_14
; %bb.2:
	s_and_not1_b32 vcc_lo, exec_lo, s33
	s_cbranch_vccnz .LBB338_21
; %bb.3:
	s_and_not1_b32 vcc_lo, exec_lo, s38
	s_cbranch_vccnz .LBB338_129
; %bb.4:
	s_add_co_i32 s16, s37, 1
	s_cmp_eq_u32 s31, 2
	s_cbranch_scc1 .LBB338_131
; %bb.5:
	v_dual_mov_b32 v2, 0 :: v_dual_mov_b32 v3, 0
	v_mov_b32_e32 v1, v0
	s_and_b32 s24, s16, 28
	s_mov_b32 s25, 0
	s_mov_b64 s[26:27], s[12:13]
	s_mov_b64 s[28:29], s[22:23]
.LBB338_6:                              ; =>This Inner Loop Header: Depth=1
	s_clause 0x1
	s_load_b256 s[40:47], s[26:27], 0x4
	s_load_b128 s[56:59], s[26:27], 0x24
	s_load_b256 s[48:55], s[28:29], 0x0
	s_add_co_i32 s25, s25, 4
	s_wait_xcnt 0x0
	s_add_nc_u64 s[26:27], s[26:27], 48
	s_cmp_lg_u32 s24, s25
	s_add_nc_u64 s[28:29], s[28:29], 32
	s_wait_kmcnt 0x0
	v_mul_hi_u32 v4, s41, v1
	s_delay_alu instid0(VALU_DEP_1) | instskip(NEXT) | instid1(VALU_DEP_1)
	v_add_nc_u32_e32 v4, v1, v4
	v_lshrrev_b32_e32 v4, s42, v4
	s_delay_alu instid0(VALU_DEP_1) | instskip(NEXT) | instid1(VALU_DEP_1)
	v_mul_hi_u32 v5, s44, v4
	v_add_nc_u32_e32 v5, v4, v5
	s_delay_alu instid0(VALU_DEP_1) | instskip(NEXT) | instid1(VALU_DEP_1)
	v_lshrrev_b32_e32 v5, s45, v5
	v_mul_hi_u32 v6, s47, v5
	s_delay_alu instid0(VALU_DEP_1) | instskip(SKIP_1) | instid1(VALU_DEP_1)
	v_add_nc_u32_e32 v6, v5, v6
	v_mul_lo_u32 v7, v4, s40
	v_sub_nc_u32_e32 v1, v1, v7
	v_mul_lo_u32 v7, v5, s43
	s_delay_alu instid0(VALU_DEP_4) | instskip(NEXT) | instid1(VALU_DEP_3)
	v_lshrrev_b32_e32 v6, s56, v6
	v_mad_u32 v3, v1, s49, v3
	v_mad_u32 v1, v1, s48, v2
	s_delay_alu instid0(VALU_DEP_4) | instskip(NEXT) | instid1(VALU_DEP_4)
	v_sub_nc_u32_e32 v2, v4, v7
	v_mul_hi_u32 v8, s58, v6
	v_mul_lo_u32 v4, v6, s46
	s_delay_alu instid0(VALU_DEP_3) | instskip(SKIP_1) | instid1(VALU_DEP_4)
	v_mad_u32 v3, v2, s51, v3
	v_mad_u32 v2, v2, s50, v1
	v_add_nc_u32_e32 v7, v6, v8
	s_delay_alu instid0(VALU_DEP_1) | instskip(NEXT) | instid1(VALU_DEP_1)
	v_dual_sub_nc_u32 v4, v5, v4 :: v_dual_lshrrev_b32 v1, s59, v7
	v_mad_u32 v3, v4, s53, v3
	s_delay_alu instid0(VALU_DEP_4) | instskip(NEXT) | instid1(VALU_DEP_3)
	v_mad_u32 v2, v4, s52, v2
	v_mul_lo_u32 v5, v1, s57
	s_delay_alu instid0(VALU_DEP_1) | instskip(NEXT) | instid1(VALU_DEP_1)
	v_sub_nc_u32_e32 v4, v6, v5
	v_mad_u32 v3, v4, s55, v3
	s_delay_alu instid0(VALU_DEP_4)
	v_mad_u32 v2, v4, s54, v2
	s_cbranch_scc1 .LBB338_6
	s_branch .LBB338_132
.LBB338_7:
	s_and_not1_saveexec_b32 s0, s34
	s_cbranch_execz .LBB338_221
.LBB338_8:
	v_cndmask_b32_e64 v14, 0, 1, s33
	s_and_not1_b32 vcc_lo, exec_lo, s33
	s_cbranch_vccnz .LBB338_20
; %bb.9:
	s_cmp_lg_u32 s30, 0
	s_mov_b32 s6, 0
	s_cbranch_scc0 .LBB338_23
; %bb.10:
	s_min_u32 s1, s31, 15
	s_delay_alu instid0(SALU_CYCLE_1)
	s_add_co_i32 s1, s1, 1
	s_cmp_eq_u32 s31, 2
	s_cbranch_scc1 .LBB338_24
; %bb.11:
	v_dual_mov_b32 v2, 0 :: v_dual_mov_b32 v3, 0
	v_mov_b32_e32 v1, v0
	s_and_b32 s0, s1, 28
	s_add_nc_u64 s[2:3], s[12:13], 0xc4
	s_mov_b32 s7, 0
	s_mov_b64 s[4:5], s[12:13]
.LBB338_12:                             ; =>This Inner Loop Header: Depth=1
	s_clause 0x1
	s_load_b256 s[16:23], s[4:5], 0x4
	s_load_b128 s[8:11], s[4:5], 0x24
	s_load_b256 s[36:43], s[2:3], 0x0
	s_add_co_i32 s7, s7, 4
	s_wait_xcnt 0x0
	s_add_nc_u64 s[4:5], s[4:5], 48
	s_cmp_lg_u32 s0, s7
	s_add_nc_u64 s[2:3], s[2:3], 32
	s_wait_kmcnt 0x0
	v_mul_hi_u32 v4, s17, v1
	s_delay_alu instid0(VALU_DEP_1) | instskip(NEXT) | instid1(VALU_DEP_1)
	v_add_nc_u32_e32 v4, v1, v4
	v_lshrrev_b32_e32 v4, s18, v4
	s_delay_alu instid0(VALU_DEP_1) | instskip(NEXT) | instid1(VALU_DEP_1)
	v_mul_hi_u32 v5, s20, v4
	v_add_nc_u32_e32 v5, v4, v5
	s_delay_alu instid0(VALU_DEP_1) | instskip(NEXT) | instid1(VALU_DEP_1)
	v_lshrrev_b32_e32 v5, s21, v5
	v_mul_hi_u32 v6, s23, v5
	s_delay_alu instid0(VALU_DEP_1) | instskip(SKIP_1) | instid1(VALU_DEP_1)
	v_add_nc_u32_e32 v6, v5, v6
	v_mul_lo_u32 v7, v4, s16
	v_sub_nc_u32_e32 v1, v1, v7
	v_mul_lo_u32 v7, v5, s19
	s_delay_alu instid0(VALU_DEP_4) | instskip(NEXT) | instid1(VALU_DEP_3)
	v_lshrrev_b32_e32 v6, s8, v6
	v_mad_u32 v3, v1, s37, v3
	v_mad_u32 v1, v1, s36, v2
	s_delay_alu instid0(VALU_DEP_4) | instskip(NEXT) | instid1(VALU_DEP_4)
	v_sub_nc_u32_e32 v2, v4, v7
	v_mul_hi_u32 v8, s10, v6
	v_mul_lo_u32 v4, v6, s22
	s_delay_alu instid0(VALU_DEP_3) | instskip(SKIP_1) | instid1(VALU_DEP_4)
	v_mad_u32 v3, v2, s39, v3
	v_mad_u32 v2, v2, s38, v1
	v_add_nc_u32_e32 v7, v6, v8
	s_delay_alu instid0(VALU_DEP_1) | instskip(NEXT) | instid1(VALU_DEP_1)
	v_dual_sub_nc_u32 v4, v5, v4 :: v_dual_lshrrev_b32 v1, s11, v7
	v_mad_u32 v3, v4, s41, v3
	s_delay_alu instid0(VALU_DEP_4) | instskip(NEXT) | instid1(VALU_DEP_3)
	v_mad_u32 v2, v4, s40, v2
	v_mul_lo_u32 v5, v1, s9
	s_delay_alu instid0(VALU_DEP_1) | instskip(NEXT) | instid1(VALU_DEP_1)
	v_sub_nc_u32_e32 v4, v6, v5
	v_mad_u32 v3, v4, s43, v3
	s_delay_alu instid0(VALU_DEP_4)
	v_mad_u32 v2, v4, s42, v2
	s_cbranch_scc1 .LBB338_12
; %bb.13:
	s_and_b32 s4, s1, 3
	s_mov_b32 s1, 0
	s_cmp_eq_u32 s4, 0
	s_cbranch_scc0 .LBB338_25
	s_branch .LBB338_27
.LBB338_14:
	s_or_b32 exec_lo, exec_lo, s14
	s_delay_alu instid0(SALU_CYCLE_1)
	s_mov_b32 s14, exec_lo
	v_cmpx_gt_i32_e64 s36, v0
	s_cbranch_execz .LBB338_139
.LBB338_15:
	s_and_not1_b32 vcc_lo, exec_lo, s33
	s_cbranch_vccnz .LBB338_22
; %bb.16:
	s_and_not1_b32 vcc_lo, exec_lo, s38
	s_cbranch_vccnz .LBB338_130
; %bb.17:
	s_add_co_i32 s16, s37, 1
	s_cmp_eq_u32 s31, 2
	s_cbranch_scc1 .LBB338_147
; %bb.18:
	v_dual_mov_b32 v2, 0 :: v_dual_mov_b32 v3, 0
	v_mov_b32_e32 v1, v0
	s_and_b32 s24, s16, 28
	s_mov_b32 s25, 0
	s_mov_b64 s[26:27], s[12:13]
	s_mov_b64 s[28:29], s[22:23]
.LBB338_19:                             ; =>This Inner Loop Header: Depth=1
	s_clause 0x1
	s_load_b256 s[40:47], s[26:27], 0x4
	s_load_b128 s[56:59], s[26:27], 0x24
	s_load_b256 s[48:55], s[28:29], 0x0
	s_add_co_i32 s25, s25, 4
	s_wait_xcnt 0x0
	s_add_nc_u64 s[26:27], s[26:27], 48
	s_cmp_eq_u32 s24, s25
	s_add_nc_u64 s[28:29], s[28:29], 32
	s_wait_kmcnt 0x0
	v_mul_hi_u32 v4, s41, v1
	s_delay_alu instid0(VALU_DEP_1) | instskip(NEXT) | instid1(VALU_DEP_1)
	v_add_nc_u32_e32 v4, v1, v4
	v_lshrrev_b32_e32 v4, s42, v4
	s_delay_alu instid0(VALU_DEP_1) | instskip(NEXT) | instid1(VALU_DEP_1)
	v_mul_hi_u32 v5, s44, v4
	v_add_nc_u32_e32 v5, v4, v5
	s_delay_alu instid0(VALU_DEP_1) | instskip(NEXT) | instid1(VALU_DEP_1)
	v_lshrrev_b32_e32 v5, s45, v5
	v_mul_hi_u32 v6, s47, v5
	s_delay_alu instid0(VALU_DEP_1) | instskip(SKIP_1) | instid1(VALU_DEP_1)
	v_add_nc_u32_e32 v6, v5, v6
	v_mul_lo_u32 v7, v4, s40
	v_sub_nc_u32_e32 v1, v1, v7
	v_mul_lo_u32 v7, v5, s43
	s_delay_alu instid0(VALU_DEP_4) | instskip(NEXT) | instid1(VALU_DEP_3)
	v_lshrrev_b32_e32 v6, s56, v6
	v_mad_u32 v3, v1, s49, v3
	v_mad_u32 v1, v1, s48, v2
	s_delay_alu instid0(VALU_DEP_4) | instskip(NEXT) | instid1(VALU_DEP_4)
	v_sub_nc_u32_e32 v2, v4, v7
	v_mul_hi_u32 v8, s58, v6
	v_mul_lo_u32 v4, v6, s46
	s_delay_alu instid0(VALU_DEP_3) | instskip(SKIP_1) | instid1(VALU_DEP_4)
	v_mad_u32 v3, v2, s51, v3
	v_mad_u32 v2, v2, s50, v1
	v_add_nc_u32_e32 v7, v6, v8
	s_delay_alu instid0(VALU_DEP_1) | instskip(NEXT) | instid1(VALU_DEP_1)
	v_dual_sub_nc_u32 v4, v5, v4 :: v_dual_lshrrev_b32 v1, s59, v7
	v_mad_u32 v3, v4, s53, v3
	s_delay_alu instid0(VALU_DEP_4) | instskip(NEXT) | instid1(VALU_DEP_3)
	v_mad_u32 v2, v4, s52, v2
	v_mul_lo_u32 v5, v1, s57
	s_delay_alu instid0(VALU_DEP_1) | instskip(NEXT) | instid1(VALU_DEP_1)
	v_sub_nc_u32_e32 v4, v6, v5
	v_mad_u32 v3, v4, s55, v3
	s_delay_alu instid0(VALU_DEP_4)
	v_mad_u32 v2, v4, s54, v2
	s_cbranch_scc0 .LBB338_19
	s_branch .LBB338_148
.LBB338_20:
	s_mov_b32 s6, -1
                                        ; implicit-def: $vgpr3
	s_branch .LBB338_27
.LBB338_21:
                                        ; implicit-def: $vgpr3
	s_branch .LBB338_136
.LBB338_22:
                                        ; implicit-def: $vgpr3
	s_branch .LBB338_152
.LBB338_23:
	v_dual_mov_b32 v3, 0 :: v_dual_mov_b32 v2, 0
	s_branch .LBB338_27
.LBB338_24:
	v_mov_b64_e32 v[2:3], 0
	v_mov_b32_e32 v1, v0
	s_mov_b32 s0, 0
	s_and_b32 s4, s1, 3
	s_mov_b32 s1, 0
	s_cmp_eq_u32 s4, 0
	s_cbranch_scc1 .LBB338_27
.LBB338_25:
	s_lshl_b32 s2, s0, 3
	s_mov_b32 s3, s1
	s_mul_u64 s[8:9], s[0:1], 12
	s_add_nc_u64 s[2:3], s[12:13], s[2:3]
	s_delay_alu instid0(SALU_CYCLE_1)
	s_add_nc_u64 s[0:1], s[2:3], 0xc4
	s_add_nc_u64 s[2:3], s[12:13], s[8:9]
.LBB338_26:                             ; =>This Inner Loop Header: Depth=1
	s_load_b96 s[8:10], s[2:3], 0x4
	s_add_co_i32 s4, s4, -1
	s_wait_xcnt 0x0
	s_add_nc_u64 s[2:3], s[2:3], 12
	s_cmp_lg_u32 s4, 0
	s_wait_kmcnt 0x0
	v_mul_hi_u32 v4, s9, v1
	s_delay_alu instid0(VALU_DEP_1) | instskip(NEXT) | instid1(VALU_DEP_1)
	v_add_nc_u32_e32 v4, v1, v4
	v_lshrrev_b32_e32 v4, s10, v4
	s_load_b64 s[10:11], s[0:1], 0x0
	s_wait_xcnt 0x0
	s_add_nc_u64 s[0:1], s[0:1], 8
	s_delay_alu instid0(VALU_DEP_1) | instskip(NEXT) | instid1(VALU_DEP_1)
	v_mul_lo_u32 v5, v4, s8
	v_sub_nc_u32_e32 v1, v1, v5
	s_wait_kmcnt 0x0
	s_delay_alu instid0(VALU_DEP_1)
	v_mad_u32 v3, v1, s11, v3
	v_mad_u32 v2, v1, s10, v2
	v_mov_b32_e32 v1, v4
	s_cbranch_scc1 .LBB338_26
.LBB338_27:
	s_and_not1_b32 vcc_lo, exec_lo, s6
	s_cbranch_vccnz .LBB338_30
; %bb.28:
	s_clause 0x1
	s_load_b96 s[0:2], s[12:13], 0x4
	s_load_b64 s[4:5], s[12:13], 0xc4
	s_cmp_lt_u32 s30, 2
	s_wait_kmcnt 0x0
	v_mul_hi_u32 v1, s1, v0
	s_delay_alu instid0(VALU_DEP_1) | instskip(NEXT) | instid1(VALU_DEP_1)
	v_add_nc_u32_e32 v1, v0, v1
	v_lshrrev_b32_e32 v1, s2, v1
	s_delay_alu instid0(VALU_DEP_1) | instskip(NEXT) | instid1(VALU_DEP_1)
	v_mul_lo_u32 v2, v1, s0
	v_sub_nc_u32_e32 v2, v0, v2
	s_delay_alu instid0(VALU_DEP_1)
	v_mul_lo_u32 v3, v2, s5
	v_mul_lo_u32 v2, v2, s4
	s_cbranch_scc1 .LBB338_30
; %bb.29:
	s_clause 0x1
	s_load_b96 s[0:2], s[12:13], 0x10
	s_load_b64 s[4:5], s[12:13], 0xcc
	s_wait_kmcnt 0x0
	v_mul_hi_u32 v4, s1, v1
	s_delay_alu instid0(VALU_DEP_1) | instskip(NEXT) | instid1(VALU_DEP_1)
	v_add_nc_u32_e32 v4, v1, v4
	v_lshrrev_b32_e32 v4, s2, v4
	s_delay_alu instid0(VALU_DEP_1) | instskip(NEXT) | instid1(VALU_DEP_1)
	v_mul_lo_u32 v4, v4, s0
	v_sub_nc_u32_e32 v1, v1, v4
	s_delay_alu instid0(VALU_DEP_1)
	v_mad_u32 v2, v1, s4, v2
	v_mad_u32 v3, v1, s5, v3
.LBB338_30:
	v_cmp_ne_u32_e32 vcc_lo, 1, v14
	v_add_nc_u32_e32 v1, 0x80, v0
	s_cbranch_vccnz .LBB338_36
; %bb.31:
	s_cmp_lg_u32 s30, 0
	s_mov_b32 s6, 0
	s_cbranch_scc0 .LBB338_37
; %bb.32:
	s_min_u32 s1, s31, 15
	s_delay_alu instid0(SALU_CYCLE_1)
	s_add_co_i32 s1, s1, 1
	s_cmp_eq_u32 s31, 2
	s_cbranch_scc1 .LBB338_38
; %bb.33:
	v_dual_mov_b32 v4, 0 :: v_dual_mov_b32 v5, 0
	v_mov_b32_e32 v6, v1
	s_and_b32 s0, s1, 28
	s_add_nc_u64 s[2:3], s[12:13], 0xc4
	s_mov_b32 s7, 0
	s_mov_b64 s[4:5], s[12:13]
.LBB338_34:                             ; =>This Inner Loop Header: Depth=1
	s_clause 0x1
	s_load_b256 s[16:23], s[4:5], 0x4
	s_load_b128 s[8:11], s[4:5], 0x24
	s_load_b256 s[36:43], s[2:3], 0x0
	s_add_co_i32 s7, s7, 4
	s_wait_xcnt 0x0
	s_add_nc_u64 s[4:5], s[4:5], 48
	s_cmp_lg_u32 s0, s7
	s_add_nc_u64 s[2:3], s[2:3], 32
	s_wait_kmcnt 0x0
	v_mul_hi_u32 v7, s17, v6
	s_delay_alu instid0(VALU_DEP_1) | instskip(NEXT) | instid1(VALU_DEP_1)
	v_add_nc_u32_e32 v7, v6, v7
	v_lshrrev_b32_e32 v7, s18, v7
	s_delay_alu instid0(VALU_DEP_1) | instskip(NEXT) | instid1(VALU_DEP_1)
	v_mul_hi_u32 v8, s20, v7
	v_add_nc_u32_e32 v8, v7, v8
	s_delay_alu instid0(VALU_DEP_1) | instskip(NEXT) | instid1(VALU_DEP_1)
	v_lshrrev_b32_e32 v8, s21, v8
	v_mul_hi_u32 v9, s23, v8
	s_delay_alu instid0(VALU_DEP_1) | instskip(SKIP_1) | instid1(VALU_DEP_1)
	v_add_nc_u32_e32 v9, v8, v9
	v_mul_lo_u32 v10, v7, s16
	v_sub_nc_u32_e32 v6, v6, v10
	v_mul_lo_u32 v10, v8, s19
	s_delay_alu instid0(VALU_DEP_4) | instskip(NEXT) | instid1(VALU_DEP_3)
	v_lshrrev_b32_e32 v9, s8, v9
	v_mad_u32 v5, v6, s37, v5
	v_mad_u32 v4, v6, s36, v4
	s_delay_alu instid0(VALU_DEP_4) | instskip(NEXT) | instid1(VALU_DEP_4)
	v_sub_nc_u32_e32 v6, v7, v10
	v_mul_hi_u32 v11, s10, v9
	v_mul_lo_u32 v7, v9, s22
	s_delay_alu instid0(VALU_DEP_3) | instskip(SKIP_1) | instid1(VALU_DEP_4)
	v_mad_u32 v5, v6, s39, v5
	v_mad_u32 v4, v6, s38, v4
	v_add_nc_u32_e32 v10, v9, v11
	s_delay_alu instid0(VALU_DEP_1) | instskip(NEXT) | instid1(VALU_DEP_1)
	v_dual_sub_nc_u32 v7, v8, v7 :: v_dual_lshrrev_b32 v6, s11, v10
	v_mad_u32 v5, v7, s41, v5
	s_delay_alu instid0(VALU_DEP_4) | instskip(NEXT) | instid1(VALU_DEP_3)
	v_mad_u32 v4, v7, s40, v4
	v_mul_lo_u32 v8, v6, s9
	s_delay_alu instid0(VALU_DEP_1) | instskip(NEXT) | instid1(VALU_DEP_1)
	v_sub_nc_u32_e32 v7, v9, v8
	v_mad_u32 v5, v7, s43, v5
	s_delay_alu instid0(VALU_DEP_4)
	v_mad_u32 v4, v7, s42, v4
	s_cbranch_scc1 .LBB338_34
; %bb.35:
	s_and_b32 s4, s1, 3
	s_mov_b32 s1, 0
	s_cmp_eq_u32 s4, 0
	s_cbranch_scc0 .LBB338_39
	s_branch .LBB338_41
.LBB338_36:
	s_mov_b32 s6, -1
                                        ; implicit-def: $vgpr5
	s_branch .LBB338_41
.LBB338_37:
	v_dual_mov_b32 v5, 0 :: v_dual_mov_b32 v4, 0
	s_branch .LBB338_41
.LBB338_38:
	v_mov_b64_e32 v[4:5], 0
	v_mov_b32_e32 v6, v1
	s_mov_b32 s0, 0
	s_and_b32 s4, s1, 3
	s_mov_b32 s1, 0
	s_cmp_eq_u32 s4, 0
	s_cbranch_scc1 .LBB338_41
.LBB338_39:
	s_lshl_b32 s2, s0, 3
	s_mov_b32 s3, s1
	s_mul_u64 s[8:9], s[0:1], 12
	s_add_nc_u64 s[2:3], s[12:13], s[2:3]
	s_delay_alu instid0(SALU_CYCLE_1)
	s_add_nc_u64 s[0:1], s[2:3], 0xc4
	s_add_nc_u64 s[2:3], s[12:13], s[8:9]
.LBB338_40:                             ; =>This Inner Loop Header: Depth=1
	s_load_b96 s[8:10], s[2:3], 0x4
	s_add_co_i32 s4, s4, -1
	s_wait_xcnt 0x0
	s_add_nc_u64 s[2:3], s[2:3], 12
	s_cmp_lg_u32 s4, 0
	s_wait_kmcnt 0x0
	v_mul_hi_u32 v7, s9, v6
	s_delay_alu instid0(VALU_DEP_1) | instskip(NEXT) | instid1(VALU_DEP_1)
	v_add_nc_u32_e32 v7, v6, v7
	v_lshrrev_b32_e32 v7, s10, v7
	s_load_b64 s[10:11], s[0:1], 0x0
	s_wait_xcnt 0x0
	s_add_nc_u64 s[0:1], s[0:1], 8
	s_delay_alu instid0(VALU_DEP_1) | instskip(NEXT) | instid1(VALU_DEP_1)
	v_mul_lo_u32 v8, v7, s8
	v_sub_nc_u32_e32 v6, v6, v8
	s_wait_kmcnt 0x0
	s_delay_alu instid0(VALU_DEP_1)
	v_mad_u32 v5, v6, s11, v5
	v_mad_u32 v4, v6, s10, v4
	v_mov_b32_e32 v6, v7
	s_cbranch_scc1 .LBB338_40
.LBB338_41:
	s_and_not1_b32 vcc_lo, exec_lo, s6
	s_cbranch_vccnz .LBB338_44
; %bb.42:
	s_clause 0x1
	s_load_b96 s[0:2], s[12:13], 0x4
	s_load_b64 s[4:5], s[12:13], 0xc4
	s_cmp_lt_u32 s30, 2
	s_wait_kmcnt 0x0
	v_mul_hi_u32 v4, s1, v1
	s_delay_alu instid0(VALU_DEP_1) | instskip(NEXT) | instid1(VALU_DEP_1)
	v_add_nc_u32_e32 v4, v1, v4
	v_lshrrev_b32_e32 v6, s2, v4
	s_delay_alu instid0(VALU_DEP_1) | instskip(NEXT) | instid1(VALU_DEP_1)
	v_mul_lo_u32 v4, v6, s0
	v_sub_nc_u32_e32 v1, v1, v4
	s_delay_alu instid0(VALU_DEP_1)
	v_mul_lo_u32 v5, v1, s5
	v_mul_lo_u32 v4, v1, s4
	s_cbranch_scc1 .LBB338_44
; %bb.43:
	s_clause 0x1
	s_load_b96 s[0:2], s[12:13], 0x10
	s_load_b64 s[4:5], s[12:13], 0xcc
	s_wait_kmcnt 0x0
	v_mul_hi_u32 v1, s1, v6
	s_delay_alu instid0(VALU_DEP_1) | instskip(NEXT) | instid1(VALU_DEP_1)
	v_add_nc_u32_e32 v1, v6, v1
	v_lshrrev_b32_e32 v1, s2, v1
	s_delay_alu instid0(VALU_DEP_1) | instskip(NEXT) | instid1(VALU_DEP_1)
	v_mul_lo_u32 v1, v1, s0
	v_sub_nc_u32_e32 v1, v6, v1
	s_delay_alu instid0(VALU_DEP_1)
	v_mad_u32 v4, v1, s4, v4
	v_mad_u32 v5, v1, s5, v5
.LBB338_44:
	v_cmp_ne_u32_e32 vcc_lo, 1, v14
	v_add_nc_u32_e32 v1, 0x100, v0
	s_cbranch_vccnz .LBB338_50
; %bb.45:
	s_cmp_lg_u32 s30, 0
	s_mov_b32 s6, 0
	s_cbranch_scc0 .LBB338_51
; %bb.46:
	s_min_u32 s1, s31, 15
	s_delay_alu instid0(SALU_CYCLE_1)
	s_add_co_i32 s1, s1, 1
	s_cmp_eq_u32 s31, 2
	s_cbranch_scc1 .LBB338_52
; %bb.47:
	v_dual_mov_b32 v6, 0 :: v_dual_mov_b32 v7, 0
	v_mov_b32_e32 v8, v1
	s_and_b32 s0, s1, 28
	s_add_nc_u64 s[2:3], s[12:13], 0xc4
	s_mov_b32 s7, 0
	s_mov_b64 s[4:5], s[12:13]
.LBB338_48:                             ; =>This Inner Loop Header: Depth=1
	s_clause 0x1
	s_load_b256 s[16:23], s[4:5], 0x4
	s_load_b128 s[8:11], s[4:5], 0x24
	s_load_b256 s[36:43], s[2:3], 0x0
	s_add_co_i32 s7, s7, 4
	s_wait_xcnt 0x0
	s_add_nc_u64 s[4:5], s[4:5], 48
	s_cmp_lg_u32 s0, s7
	s_add_nc_u64 s[2:3], s[2:3], 32
	s_wait_kmcnt 0x0
	v_mul_hi_u32 v9, s17, v8
	s_delay_alu instid0(VALU_DEP_1) | instskip(NEXT) | instid1(VALU_DEP_1)
	v_add_nc_u32_e32 v9, v8, v9
	v_lshrrev_b32_e32 v9, s18, v9
	s_delay_alu instid0(VALU_DEP_1) | instskip(NEXT) | instid1(VALU_DEP_1)
	v_mul_hi_u32 v10, s20, v9
	v_add_nc_u32_e32 v10, v9, v10
	s_delay_alu instid0(VALU_DEP_1) | instskip(NEXT) | instid1(VALU_DEP_1)
	v_lshrrev_b32_e32 v10, s21, v10
	v_mul_hi_u32 v11, s23, v10
	s_delay_alu instid0(VALU_DEP_1) | instskip(SKIP_1) | instid1(VALU_DEP_1)
	v_add_nc_u32_e32 v11, v10, v11
	v_mul_lo_u32 v12, v9, s16
	v_sub_nc_u32_e32 v8, v8, v12
	v_mul_lo_u32 v12, v10, s19
	s_delay_alu instid0(VALU_DEP_4) | instskip(NEXT) | instid1(VALU_DEP_3)
	v_lshrrev_b32_e32 v11, s8, v11
	v_mad_u32 v7, v8, s37, v7
	v_mad_u32 v6, v8, s36, v6
	s_delay_alu instid0(VALU_DEP_4) | instskip(NEXT) | instid1(VALU_DEP_4)
	v_sub_nc_u32_e32 v8, v9, v12
	v_mul_hi_u32 v13, s10, v11
	v_mul_lo_u32 v9, v11, s22
	s_delay_alu instid0(VALU_DEP_3) | instskip(SKIP_1) | instid1(VALU_DEP_4)
	v_mad_u32 v7, v8, s39, v7
	v_mad_u32 v6, v8, s38, v6
	v_add_nc_u32_e32 v12, v11, v13
	s_delay_alu instid0(VALU_DEP_1) | instskip(NEXT) | instid1(VALU_DEP_1)
	v_dual_sub_nc_u32 v9, v10, v9 :: v_dual_lshrrev_b32 v8, s11, v12
	v_mad_u32 v7, v9, s41, v7
	s_delay_alu instid0(VALU_DEP_4) | instskip(NEXT) | instid1(VALU_DEP_3)
	v_mad_u32 v6, v9, s40, v6
	v_mul_lo_u32 v10, v8, s9
	s_delay_alu instid0(VALU_DEP_1) | instskip(NEXT) | instid1(VALU_DEP_1)
	v_sub_nc_u32_e32 v9, v11, v10
	v_mad_u32 v7, v9, s43, v7
	s_delay_alu instid0(VALU_DEP_4)
	v_mad_u32 v6, v9, s42, v6
	s_cbranch_scc1 .LBB338_48
; %bb.49:
	s_and_b32 s4, s1, 3
	s_mov_b32 s1, 0
	s_cmp_eq_u32 s4, 0
	s_cbranch_scc0 .LBB338_53
	s_branch .LBB338_55
.LBB338_50:
	s_mov_b32 s6, -1
                                        ; implicit-def: $vgpr7
	s_branch .LBB338_55
.LBB338_51:
	v_dual_mov_b32 v7, 0 :: v_dual_mov_b32 v6, 0
	s_branch .LBB338_55
.LBB338_52:
	v_mov_b64_e32 v[6:7], 0
	v_mov_b32_e32 v8, v1
	s_mov_b32 s0, 0
	s_and_b32 s4, s1, 3
	s_mov_b32 s1, 0
	s_cmp_eq_u32 s4, 0
	s_cbranch_scc1 .LBB338_55
.LBB338_53:
	s_lshl_b32 s2, s0, 3
	s_mov_b32 s3, s1
	s_mul_u64 s[8:9], s[0:1], 12
	s_add_nc_u64 s[2:3], s[12:13], s[2:3]
	s_delay_alu instid0(SALU_CYCLE_1)
	s_add_nc_u64 s[0:1], s[2:3], 0xc4
	s_add_nc_u64 s[2:3], s[12:13], s[8:9]
.LBB338_54:                             ; =>This Inner Loop Header: Depth=1
	s_load_b96 s[8:10], s[2:3], 0x4
	s_add_co_i32 s4, s4, -1
	s_wait_xcnt 0x0
	s_add_nc_u64 s[2:3], s[2:3], 12
	s_cmp_lg_u32 s4, 0
	s_wait_kmcnt 0x0
	v_mul_hi_u32 v9, s9, v8
	s_delay_alu instid0(VALU_DEP_1) | instskip(NEXT) | instid1(VALU_DEP_1)
	v_add_nc_u32_e32 v9, v8, v9
	v_lshrrev_b32_e32 v9, s10, v9
	s_load_b64 s[10:11], s[0:1], 0x0
	s_wait_xcnt 0x0
	s_add_nc_u64 s[0:1], s[0:1], 8
	s_delay_alu instid0(VALU_DEP_1) | instskip(NEXT) | instid1(VALU_DEP_1)
	v_mul_lo_u32 v10, v9, s8
	v_sub_nc_u32_e32 v8, v8, v10
	s_wait_kmcnt 0x0
	s_delay_alu instid0(VALU_DEP_1)
	v_mad_u32 v7, v8, s11, v7
	v_mad_u32 v6, v8, s10, v6
	v_mov_b32_e32 v8, v9
	s_cbranch_scc1 .LBB338_54
.LBB338_55:
	s_and_not1_b32 vcc_lo, exec_lo, s6
	s_cbranch_vccnz .LBB338_58
; %bb.56:
	s_clause 0x1
	s_load_b96 s[0:2], s[12:13], 0x4
	s_load_b64 s[4:5], s[12:13], 0xc4
	s_cmp_lt_u32 s30, 2
	s_wait_kmcnt 0x0
	v_mul_hi_u32 v6, s1, v1
	s_delay_alu instid0(VALU_DEP_1) | instskip(NEXT) | instid1(VALU_DEP_1)
	v_add_nc_u32_e32 v6, v1, v6
	v_lshrrev_b32_e32 v8, s2, v6
	s_delay_alu instid0(VALU_DEP_1) | instskip(NEXT) | instid1(VALU_DEP_1)
	v_mul_lo_u32 v6, v8, s0
	v_sub_nc_u32_e32 v1, v1, v6
	s_delay_alu instid0(VALU_DEP_1)
	v_mul_lo_u32 v7, v1, s5
	v_mul_lo_u32 v6, v1, s4
	s_cbranch_scc1 .LBB338_58
; %bb.57:
	s_clause 0x1
	s_load_b96 s[0:2], s[12:13], 0x10
	s_load_b64 s[4:5], s[12:13], 0xcc
	s_wait_kmcnt 0x0
	v_mul_hi_u32 v1, s1, v8
	s_delay_alu instid0(VALU_DEP_1) | instskip(NEXT) | instid1(VALU_DEP_1)
	v_add_nc_u32_e32 v1, v8, v1
	v_lshrrev_b32_e32 v1, s2, v1
	s_delay_alu instid0(VALU_DEP_1) | instskip(NEXT) | instid1(VALU_DEP_1)
	v_mul_lo_u32 v1, v1, s0
	v_sub_nc_u32_e32 v1, v8, v1
	s_delay_alu instid0(VALU_DEP_1)
	v_mad_u32 v6, v1, s4, v6
	v_mad_u32 v7, v1, s5, v7
.LBB338_58:
	v_cmp_ne_u32_e32 vcc_lo, 1, v14
	v_add_nc_u32_e32 v1, 0x180, v0
	s_cbranch_vccnz .LBB338_64
; %bb.59:
	s_cmp_lg_u32 s30, 0
	s_mov_b32 s6, 0
	s_cbranch_scc0 .LBB338_65
; %bb.60:
	s_min_u32 s1, s31, 15
	s_delay_alu instid0(SALU_CYCLE_1)
	s_add_co_i32 s1, s1, 1
	s_cmp_eq_u32 s31, 2
	s_cbranch_scc1 .LBB338_66
; %bb.61:
	v_dual_mov_b32 v8, 0 :: v_dual_mov_b32 v9, 0
	v_mov_b32_e32 v10, v1
	s_and_b32 s0, s1, 28
	s_add_nc_u64 s[2:3], s[12:13], 0xc4
	s_mov_b32 s7, 0
	s_mov_b64 s[4:5], s[12:13]
.LBB338_62:                             ; =>This Inner Loop Header: Depth=1
	s_clause 0x1
	s_load_b256 s[16:23], s[4:5], 0x4
	s_load_b128 s[8:11], s[4:5], 0x24
	s_load_b256 s[36:43], s[2:3], 0x0
	s_add_co_i32 s7, s7, 4
	s_wait_xcnt 0x0
	s_add_nc_u64 s[4:5], s[4:5], 48
	s_cmp_lg_u32 s0, s7
	s_add_nc_u64 s[2:3], s[2:3], 32
	s_wait_kmcnt 0x0
	v_mul_hi_u32 v11, s17, v10
	s_delay_alu instid0(VALU_DEP_1) | instskip(NEXT) | instid1(VALU_DEP_1)
	v_add_nc_u32_e32 v11, v10, v11
	v_lshrrev_b32_e32 v11, s18, v11
	s_delay_alu instid0(VALU_DEP_1) | instskip(NEXT) | instid1(VALU_DEP_1)
	v_mul_hi_u32 v12, s20, v11
	v_add_nc_u32_e32 v12, v11, v12
	s_delay_alu instid0(VALU_DEP_1) | instskip(NEXT) | instid1(VALU_DEP_1)
	v_lshrrev_b32_e32 v12, s21, v12
	v_mul_hi_u32 v13, s23, v12
	s_delay_alu instid0(VALU_DEP_1) | instskip(SKIP_1) | instid1(VALU_DEP_1)
	v_add_nc_u32_e32 v13, v12, v13
	v_mul_lo_u32 v15, v11, s16
	v_sub_nc_u32_e32 v10, v10, v15
	v_mul_lo_u32 v15, v12, s19
	s_delay_alu instid0(VALU_DEP_4) | instskip(NEXT) | instid1(VALU_DEP_3)
	v_lshrrev_b32_e32 v13, s8, v13
	v_mad_u32 v9, v10, s37, v9
	v_mad_u32 v8, v10, s36, v8
	s_delay_alu instid0(VALU_DEP_4) | instskip(NEXT) | instid1(VALU_DEP_4)
	v_sub_nc_u32_e32 v10, v11, v15
	v_mul_hi_u32 v17, s10, v13
	v_mul_lo_u32 v11, v13, s22
	s_delay_alu instid0(VALU_DEP_3) | instskip(SKIP_1) | instid1(VALU_DEP_3)
	v_mad_u32 v9, v10, s39, v9
	v_mad_u32 v8, v10, s38, v8
	v_dual_add_nc_u32 v15, v13, v17 :: v_dual_sub_nc_u32 v11, v12, v11
	s_delay_alu instid0(VALU_DEP_1) | instskip(NEXT) | instid1(VALU_DEP_2)
	v_lshrrev_b32_e32 v10, s11, v15
	v_mad_u32 v9, v11, s41, v9
	s_delay_alu instid0(VALU_DEP_4) | instskip(NEXT) | instid1(VALU_DEP_3)
	v_mad_u32 v8, v11, s40, v8
	v_mul_lo_u32 v12, v10, s9
	s_delay_alu instid0(VALU_DEP_1) | instskip(NEXT) | instid1(VALU_DEP_1)
	v_sub_nc_u32_e32 v11, v13, v12
	v_mad_u32 v9, v11, s43, v9
	s_delay_alu instid0(VALU_DEP_4)
	v_mad_u32 v8, v11, s42, v8
	s_cbranch_scc1 .LBB338_62
; %bb.63:
	s_and_b32 s4, s1, 3
	s_mov_b32 s1, 0
	s_cmp_eq_u32 s4, 0
	s_cbranch_scc0 .LBB338_67
	s_branch .LBB338_69
.LBB338_64:
	s_mov_b32 s6, -1
                                        ; implicit-def: $vgpr9
	s_branch .LBB338_69
.LBB338_65:
	v_dual_mov_b32 v9, 0 :: v_dual_mov_b32 v8, 0
	s_branch .LBB338_69
.LBB338_66:
	v_mov_b64_e32 v[8:9], 0
	v_mov_b32_e32 v10, v1
	s_mov_b32 s0, 0
	s_and_b32 s4, s1, 3
	s_mov_b32 s1, 0
	s_cmp_eq_u32 s4, 0
	s_cbranch_scc1 .LBB338_69
.LBB338_67:
	s_lshl_b32 s2, s0, 3
	s_mov_b32 s3, s1
	s_mul_u64 s[8:9], s[0:1], 12
	s_add_nc_u64 s[2:3], s[12:13], s[2:3]
	s_delay_alu instid0(SALU_CYCLE_1)
	s_add_nc_u64 s[0:1], s[2:3], 0xc4
	s_add_nc_u64 s[2:3], s[12:13], s[8:9]
.LBB338_68:                             ; =>This Inner Loop Header: Depth=1
	s_load_b96 s[8:10], s[2:3], 0x4
	s_add_co_i32 s4, s4, -1
	s_wait_xcnt 0x0
	s_add_nc_u64 s[2:3], s[2:3], 12
	s_cmp_lg_u32 s4, 0
	s_wait_kmcnt 0x0
	v_mul_hi_u32 v11, s9, v10
	s_delay_alu instid0(VALU_DEP_1) | instskip(NEXT) | instid1(VALU_DEP_1)
	v_add_nc_u32_e32 v11, v10, v11
	v_lshrrev_b32_e32 v11, s10, v11
	s_load_b64 s[10:11], s[0:1], 0x0
	s_wait_xcnt 0x0
	s_add_nc_u64 s[0:1], s[0:1], 8
	s_delay_alu instid0(VALU_DEP_1) | instskip(NEXT) | instid1(VALU_DEP_1)
	v_mul_lo_u32 v12, v11, s8
	v_sub_nc_u32_e32 v10, v10, v12
	s_wait_kmcnt 0x0
	s_delay_alu instid0(VALU_DEP_1)
	v_mad_u32 v9, v10, s11, v9
	v_mad_u32 v8, v10, s10, v8
	v_mov_b32_e32 v10, v11
	s_cbranch_scc1 .LBB338_68
.LBB338_69:
	s_and_not1_b32 vcc_lo, exec_lo, s6
	s_cbranch_vccnz .LBB338_72
; %bb.70:
	s_clause 0x1
	s_load_b96 s[0:2], s[12:13], 0x4
	s_load_b64 s[4:5], s[12:13], 0xc4
	s_cmp_lt_u32 s30, 2
	s_wait_kmcnt 0x0
	v_mul_hi_u32 v8, s1, v1
	s_delay_alu instid0(VALU_DEP_1) | instskip(NEXT) | instid1(VALU_DEP_1)
	v_add_nc_u32_e32 v8, v1, v8
	v_lshrrev_b32_e32 v10, s2, v8
	s_delay_alu instid0(VALU_DEP_1) | instskip(NEXT) | instid1(VALU_DEP_1)
	v_mul_lo_u32 v8, v10, s0
	v_sub_nc_u32_e32 v1, v1, v8
	s_delay_alu instid0(VALU_DEP_1)
	v_mul_lo_u32 v9, v1, s5
	v_mul_lo_u32 v8, v1, s4
	s_cbranch_scc1 .LBB338_72
; %bb.71:
	s_clause 0x1
	s_load_b96 s[0:2], s[12:13], 0x10
	s_load_b64 s[4:5], s[12:13], 0xcc
	s_wait_kmcnt 0x0
	v_mul_hi_u32 v1, s1, v10
	s_delay_alu instid0(VALU_DEP_1) | instskip(NEXT) | instid1(VALU_DEP_1)
	v_add_nc_u32_e32 v1, v10, v1
	v_lshrrev_b32_e32 v1, s2, v1
	s_delay_alu instid0(VALU_DEP_1) | instskip(NEXT) | instid1(VALU_DEP_1)
	v_mul_lo_u32 v1, v1, s0
	v_sub_nc_u32_e32 v1, v10, v1
	s_delay_alu instid0(VALU_DEP_1)
	v_mad_u32 v8, v1, s4, v8
	v_mad_u32 v9, v1, s5, v9
.LBB338_72:
	v_cmp_ne_u32_e32 vcc_lo, 1, v14
	v_add_nc_u32_e32 v1, 0x200, v0
	s_cbranch_vccnz .LBB338_78
; %bb.73:
	s_cmp_lg_u32 s30, 0
	s_mov_b32 s6, 0
	s_cbranch_scc0 .LBB338_79
; %bb.74:
	s_min_u32 s1, s31, 15
	s_delay_alu instid0(SALU_CYCLE_1)
	s_add_co_i32 s1, s1, 1
	s_cmp_eq_u32 s31, 2
	s_cbranch_scc1 .LBB338_80
; %bb.75:
	v_dual_mov_b32 v10, 0 :: v_dual_mov_b32 v11, 0
	v_mov_b32_e32 v12, v1
	s_and_b32 s0, s1, 28
	s_add_nc_u64 s[2:3], s[12:13], 0xc4
	s_mov_b32 s7, 0
	s_mov_b64 s[4:5], s[12:13]
.LBB338_76:                             ; =>This Inner Loop Header: Depth=1
	s_clause 0x1
	s_load_b256 s[16:23], s[4:5], 0x4
	s_load_b128 s[8:11], s[4:5], 0x24
	s_load_b256 s[36:43], s[2:3], 0x0
	s_add_co_i32 s7, s7, 4
	s_wait_xcnt 0x0
	s_add_nc_u64 s[4:5], s[4:5], 48
	s_cmp_lg_u32 s0, s7
	s_add_nc_u64 s[2:3], s[2:3], 32
	s_wait_kmcnt 0x0
	v_mul_hi_u32 v13, s17, v12
	s_delay_alu instid0(VALU_DEP_1) | instskip(NEXT) | instid1(VALU_DEP_1)
	v_add_nc_u32_e32 v13, v12, v13
	v_lshrrev_b32_e32 v13, s18, v13
	s_delay_alu instid0(VALU_DEP_1) | instskip(NEXT) | instid1(VALU_DEP_1)
	v_mul_lo_u32 v18, v13, s16
	v_sub_nc_u32_e32 v12, v12, v18
	v_mul_hi_u32 v15, s20, v13
	s_delay_alu instid0(VALU_DEP_2) | instskip(SKIP_1) | instid1(VALU_DEP_3)
	v_mad_u32 v11, v12, s37, v11
	v_mad_u32 v10, v12, s36, v10
	v_add_nc_u32_e32 v15, v13, v15
	s_delay_alu instid0(VALU_DEP_1) | instskip(NEXT) | instid1(VALU_DEP_1)
	v_lshrrev_b32_e32 v15, s21, v15
	v_mul_hi_u32 v17, s23, v15
	v_mul_lo_u32 v18, v15, s19
	s_delay_alu instid0(VALU_DEP_1) | instskip(NEXT) | instid1(VALU_DEP_1)
	v_dual_add_nc_u32 v17, v15, v17 :: v_dual_sub_nc_u32 v12, v13, v18
	v_lshrrev_b32_e32 v17, s8, v17
	s_delay_alu instid0(VALU_DEP_2) | instskip(SKIP_1) | instid1(VALU_DEP_3)
	v_mad_u32 v11, v12, s39, v11
	v_mad_u32 v10, v12, s38, v10
	v_mul_hi_u32 v19, s10, v17
	v_mul_lo_u32 v13, v17, s22
	s_delay_alu instid0(VALU_DEP_1) | instskip(NEXT) | instid1(VALU_DEP_1)
	v_dual_add_nc_u32 v18, v17, v19 :: v_dual_sub_nc_u32 v13, v15, v13
	v_lshrrev_b32_e32 v12, s11, v18
	s_delay_alu instid0(VALU_DEP_2) | instskip(SKIP_1) | instid1(VALU_DEP_3)
	v_mad_u32 v11, v13, s41, v11
	v_mad_u32 v10, v13, s40, v10
	v_mul_lo_u32 v15, v12, s9
	s_delay_alu instid0(VALU_DEP_1) | instskip(NEXT) | instid1(VALU_DEP_1)
	v_sub_nc_u32_e32 v13, v17, v15
	v_mad_u32 v11, v13, s43, v11
	s_delay_alu instid0(VALU_DEP_4)
	v_mad_u32 v10, v13, s42, v10
	s_cbranch_scc1 .LBB338_76
; %bb.77:
	s_and_b32 s4, s1, 3
	s_mov_b32 s1, 0
	s_cmp_eq_u32 s4, 0
	s_cbranch_scc0 .LBB338_81
	s_branch .LBB338_83
.LBB338_78:
	s_mov_b32 s6, -1
                                        ; implicit-def: $vgpr11
	s_branch .LBB338_83
.LBB338_79:
	v_dual_mov_b32 v11, 0 :: v_dual_mov_b32 v10, 0
	s_branch .LBB338_83
.LBB338_80:
	v_mov_b64_e32 v[10:11], 0
	v_mov_b32_e32 v12, v1
	s_mov_b32 s0, 0
	s_and_b32 s4, s1, 3
	s_mov_b32 s1, 0
	s_cmp_eq_u32 s4, 0
	s_cbranch_scc1 .LBB338_83
.LBB338_81:
	s_lshl_b32 s2, s0, 3
	s_mov_b32 s3, s1
	s_mul_u64 s[8:9], s[0:1], 12
	s_add_nc_u64 s[2:3], s[12:13], s[2:3]
	s_delay_alu instid0(SALU_CYCLE_1)
	s_add_nc_u64 s[0:1], s[2:3], 0xc4
	s_add_nc_u64 s[2:3], s[12:13], s[8:9]
.LBB338_82:                             ; =>This Inner Loop Header: Depth=1
	s_load_b96 s[8:10], s[2:3], 0x4
	s_add_co_i32 s4, s4, -1
	s_wait_xcnt 0x0
	s_add_nc_u64 s[2:3], s[2:3], 12
	s_cmp_lg_u32 s4, 0
	s_wait_kmcnt 0x0
	v_mul_hi_u32 v13, s9, v12
	s_delay_alu instid0(VALU_DEP_1) | instskip(NEXT) | instid1(VALU_DEP_1)
	v_add_nc_u32_e32 v13, v12, v13
	v_lshrrev_b32_e32 v13, s10, v13
	s_load_b64 s[10:11], s[0:1], 0x0
	s_wait_xcnt 0x0
	s_add_nc_u64 s[0:1], s[0:1], 8
	s_delay_alu instid0(VALU_DEP_1) | instskip(NEXT) | instid1(VALU_DEP_1)
	v_mul_lo_u32 v15, v13, s8
	v_sub_nc_u32_e32 v12, v12, v15
	s_wait_kmcnt 0x0
	s_delay_alu instid0(VALU_DEP_1)
	v_mad_u32 v11, v12, s11, v11
	v_mad_u32 v10, v12, s10, v10
	v_mov_b32_e32 v12, v13
	s_cbranch_scc1 .LBB338_82
.LBB338_83:
	s_and_not1_b32 vcc_lo, exec_lo, s6
	s_cbranch_vccnz .LBB338_86
; %bb.84:
	s_clause 0x1
	s_load_b96 s[0:2], s[12:13], 0x4
	s_load_b64 s[4:5], s[12:13], 0xc4
	s_cmp_lt_u32 s30, 2
	s_wait_kmcnt 0x0
	v_mul_hi_u32 v10, s1, v1
	s_delay_alu instid0(VALU_DEP_1) | instskip(NEXT) | instid1(VALU_DEP_1)
	v_add_nc_u32_e32 v10, v1, v10
	v_lshrrev_b32_e32 v12, s2, v10
	s_delay_alu instid0(VALU_DEP_1) | instskip(NEXT) | instid1(VALU_DEP_1)
	v_mul_lo_u32 v10, v12, s0
	v_sub_nc_u32_e32 v1, v1, v10
	s_delay_alu instid0(VALU_DEP_1)
	v_mul_lo_u32 v11, v1, s5
	v_mul_lo_u32 v10, v1, s4
	s_cbranch_scc1 .LBB338_86
; %bb.85:
	s_clause 0x1
	s_load_b96 s[0:2], s[12:13], 0x10
	s_load_b64 s[4:5], s[12:13], 0xcc
	s_wait_kmcnt 0x0
	v_mul_hi_u32 v1, s1, v12
	s_delay_alu instid0(VALU_DEP_1) | instskip(NEXT) | instid1(VALU_DEP_1)
	v_add_nc_u32_e32 v1, v12, v1
	v_lshrrev_b32_e32 v1, s2, v1
	s_delay_alu instid0(VALU_DEP_1) | instskip(NEXT) | instid1(VALU_DEP_1)
	v_mul_lo_u32 v1, v1, s0
	v_sub_nc_u32_e32 v1, v12, v1
	s_delay_alu instid0(VALU_DEP_1)
	v_mad_u32 v10, v1, s4, v10
	v_mad_u32 v11, v1, s5, v11
.LBB338_86:
	v_cmp_ne_u32_e32 vcc_lo, 1, v14
	v_add_nc_u32_e32 v1, 0x280, v0
	s_cbranch_vccnz .LBB338_92
; %bb.87:
	s_cmp_lg_u32 s30, 0
	s_mov_b32 s6, 0
	s_cbranch_scc0 .LBB338_93
; %bb.88:
	s_min_u32 s1, s31, 15
	s_delay_alu instid0(SALU_CYCLE_1)
	s_add_co_i32 s1, s1, 1
	s_cmp_eq_u32 s31, 2
	s_cbranch_scc1 .LBB338_94
; %bb.89:
	v_dual_mov_b32 v12, 0 :: v_dual_mov_b32 v13, 0
	v_mov_b32_e32 v15, v1
	s_and_b32 s0, s1, 28
	s_add_nc_u64 s[2:3], s[12:13], 0xc4
	s_mov_b32 s7, 0
	s_mov_b64 s[4:5], s[12:13]
.LBB338_90:                             ; =>This Inner Loop Header: Depth=1
	s_clause 0x1
	s_load_b256 s[16:23], s[4:5], 0x4
	s_load_b128 s[8:11], s[4:5], 0x24
	s_load_b256 s[36:43], s[2:3], 0x0
	s_add_co_i32 s7, s7, 4
	s_wait_xcnt 0x0
	s_add_nc_u64 s[4:5], s[4:5], 48
	s_cmp_lg_u32 s0, s7
	s_add_nc_u64 s[2:3], s[2:3], 32
	s_wait_kmcnt 0x0
	v_mul_hi_u32 v17, s17, v15
	s_delay_alu instid0(VALU_DEP_1) | instskip(NEXT) | instid1(VALU_DEP_1)
	v_add_nc_u32_e32 v17, v15, v17
	v_lshrrev_b32_e32 v17, s18, v17
	s_delay_alu instid0(VALU_DEP_1) | instskip(NEXT) | instid1(VALU_DEP_1)
	v_mul_hi_u32 v18, s20, v17
	v_add_nc_u32_e32 v18, v17, v18
	s_delay_alu instid0(VALU_DEP_1) | instskip(NEXT) | instid1(VALU_DEP_1)
	v_lshrrev_b32_e32 v18, s21, v18
	v_mul_hi_u32 v19, s23, v18
	s_delay_alu instid0(VALU_DEP_1) | instskip(SKIP_1) | instid1(VALU_DEP_1)
	v_add_nc_u32_e32 v19, v18, v19
	v_mul_lo_u32 v20, v17, s16
	v_sub_nc_u32_e32 v15, v15, v20
	v_mul_lo_u32 v20, v18, s19
	s_delay_alu instid0(VALU_DEP_4) | instskip(NEXT) | instid1(VALU_DEP_3)
	v_lshrrev_b32_e32 v19, s8, v19
	v_mad_u32 v13, v15, s37, v13
	v_mad_u32 v12, v15, s36, v12
	s_delay_alu instid0(VALU_DEP_4) | instskip(NEXT) | instid1(VALU_DEP_4)
	v_sub_nc_u32_e32 v15, v17, v20
	v_mul_hi_u32 v21, s10, v19
	v_mul_lo_u32 v17, v19, s22
	s_delay_alu instid0(VALU_DEP_3) | instskip(SKIP_1) | instid1(VALU_DEP_4)
	v_mad_u32 v13, v15, s39, v13
	v_mad_u32 v12, v15, s38, v12
	v_add_nc_u32_e32 v20, v19, v21
	s_delay_alu instid0(VALU_DEP_1) | instskip(NEXT) | instid1(VALU_DEP_1)
	v_dual_sub_nc_u32 v17, v18, v17 :: v_dual_lshrrev_b32 v15, s11, v20
	v_mad_u32 v13, v17, s41, v13
	s_delay_alu instid0(VALU_DEP_4) | instskip(NEXT) | instid1(VALU_DEP_3)
	v_mad_u32 v12, v17, s40, v12
	v_mul_lo_u32 v18, v15, s9
	s_delay_alu instid0(VALU_DEP_1) | instskip(NEXT) | instid1(VALU_DEP_1)
	v_sub_nc_u32_e32 v17, v19, v18
	v_mad_u32 v13, v17, s43, v13
	s_delay_alu instid0(VALU_DEP_4)
	v_mad_u32 v12, v17, s42, v12
	s_cbranch_scc1 .LBB338_90
; %bb.91:
	s_and_b32 s4, s1, 3
	s_mov_b32 s1, 0
	s_cmp_eq_u32 s4, 0
	s_cbranch_scc0 .LBB338_95
	s_branch .LBB338_97
.LBB338_92:
	s_mov_b32 s6, -1
                                        ; implicit-def: $vgpr13
	s_branch .LBB338_97
.LBB338_93:
	v_dual_mov_b32 v13, 0 :: v_dual_mov_b32 v12, 0
	s_branch .LBB338_97
.LBB338_94:
	v_mov_b64_e32 v[12:13], 0
	v_mov_b32_e32 v15, v1
	s_mov_b32 s0, 0
	s_and_b32 s4, s1, 3
	s_mov_b32 s1, 0
	s_cmp_eq_u32 s4, 0
	s_cbranch_scc1 .LBB338_97
.LBB338_95:
	s_lshl_b32 s2, s0, 3
	s_mov_b32 s3, s1
	s_mul_u64 s[8:9], s[0:1], 12
	s_add_nc_u64 s[2:3], s[12:13], s[2:3]
	s_delay_alu instid0(SALU_CYCLE_1)
	s_add_nc_u64 s[0:1], s[2:3], 0xc4
	s_add_nc_u64 s[2:3], s[12:13], s[8:9]
.LBB338_96:                             ; =>This Inner Loop Header: Depth=1
	s_load_b96 s[8:10], s[2:3], 0x4
	s_add_co_i32 s4, s4, -1
	s_wait_xcnt 0x0
	s_add_nc_u64 s[2:3], s[2:3], 12
	s_cmp_lg_u32 s4, 0
	s_wait_kmcnt 0x0
	v_mul_hi_u32 v17, s9, v15
	s_delay_alu instid0(VALU_DEP_1) | instskip(NEXT) | instid1(VALU_DEP_1)
	v_add_nc_u32_e32 v17, v15, v17
	v_lshrrev_b32_e32 v17, s10, v17
	s_load_b64 s[10:11], s[0:1], 0x0
	s_wait_xcnt 0x0
	s_add_nc_u64 s[0:1], s[0:1], 8
	s_delay_alu instid0(VALU_DEP_1) | instskip(NEXT) | instid1(VALU_DEP_1)
	v_mul_lo_u32 v18, v17, s8
	v_sub_nc_u32_e32 v15, v15, v18
	s_wait_kmcnt 0x0
	s_delay_alu instid0(VALU_DEP_1)
	v_mad_u32 v13, v15, s11, v13
	v_mad_u32 v12, v15, s10, v12
	v_mov_b32_e32 v15, v17
	s_cbranch_scc1 .LBB338_96
.LBB338_97:
	s_and_not1_b32 vcc_lo, exec_lo, s6
	s_cbranch_vccnz .LBB338_100
; %bb.98:
	s_clause 0x1
	s_load_b96 s[0:2], s[12:13], 0x4
	s_load_b64 s[4:5], s[12:13], 0xc4
	s_cmp_lt_u32 s30, 2
	s_wait_kmcnt 0x0
	v_mul_hi_u32 v12, s1, v1
	s_delay_alu instid0(VALU_DEP_1) | instskip(NEXT) | instid1(VALU_DEP_1)
	v_add_nc_u32_e32 v12, v1, v12
	v_lshrrev_b32_e32 v15, s2, v12
	s_delay_alu instid0(VALU_DEP_1) | instskip(NEXT) | instid1(VALU_DEP_1)
	v_mul_lo_u32 v12, v15, s0
	v_sub_nc_u32_e32 v1, v1, v12
	s_delay_alu instid0(VALU_DEP_1)
	v_mul_lo_u32 v13, v1, s5
	v_mul_lo_u32 v12, v1, s4
	s_cbranch_scc1 .LBB338_100
; %bb.99:
	s_clause 0x1
	s_load_b96 s[0:2], s[12:13], 0x10
	s_load_b64 s[4:5], s[12:13], 0xcc
	s_wait_kmcnt 0x0
	v_mul_hi_u32 v1, s1, v15
	s_delay_alu instid0(VALU_DEP_1) | instskip(NEXT) | instid1(VALU_DEP_1)
	v_add_nc_u32_e32 v1, v15, v1
	v_lshrrev_b32_e32 v1, s2, v1
	s_delay_alu instid0(VALU_DEP_1) | instskip(NEXT) | instid1(VALU_DEP_1)
	v_mul_lo_u32 v1, v1, s0
	v_sub_nc_u32_e32 v1, v15, v1
	s_delay_alu instid0(VALU_DEP_1)
	v_mad_u32 v12, v1, s4, v12
	v_mad_u32 v13, v1, s5, v13
.LBB338_100:
	v_cmp_ne_u32_e32 vcc_lo, 1, v14
	v_add_nc_u32_e32 v15, 0x300, v0
	s_cbranch_vccnz .LBB338_106
; %bb.101:
	s_cmp_lg_u32 s30, 0
	s_mov_b32 s6, 0
	s_cbranch_scc0 .LBB338_107
; %bb.102:
	s_min_u32 s1, s31, 15
	s_delay_alu instid0(SALU_CYCLE_1)
	s_add_co_i32 s1, s1, 1
	s_cmp_eq_u32 s31, 2
	s_cbranch_scc1 .LBB338_108
; %bb.103:
	v_dual_mov_b32 v0, 0 :: v_dual_mov_b32 v1, 0
	v_mov_b32_e32 v17, v15
	s_and_b32 s0, s1, 28
	s_add_nc_u64 s[2:3], s[12:13], 0xc4
	s_mov_b32 s7, 0
	s_mov_b64 s[4:5], s[12:13]
.LBB338_104:                            ; =>This Inner Loop Header: Depth=1
	s_clause 0x1
	s_load_b256 s[16:23], s[4:5], 0x4
	s_load_b128 s[8:11], s[4:5], 0x24
	s_load_b256 s[36:43], s[2:3], 0x0
	s_add_co_i32 s7, s7, 4
	s_wait_xcnt 0x0
	s_add_nc_u64 s[4:5], s[4:5], 48
	s_cmp_lg_u32 s0, s7
	s_add_nc_u64 s[2:3], s[2:3], 32
	s_wait_kmcnt 0x0
	v_mul_hi_u32 v18, s17, v17
	s_delay_alu instid0(VALU_DEP_1) | instskip(NEXT) | instid1(VALU_DEP_1)
	v_add_nc_u32_e32 v18, v17, v18
	v_lshrrev_b32_e32 v18, s18, v18
	s_delay_alu instid0(VALU_DEP_1) | instskip(NEXT) | instid1(VALU_DEP_1)
	v_mul_hi_u32 v19, s20, v18
	v_add_nc_u32_e32 v19, v18, v19
	s_delay_alu instid0(VALU_DEP_1) | instskip(NEXT) | instid1(VALU_DEP_1)
	v_lshrrev_b32_e32 v19, s21, v19
	v_mul_hi_u32 v20, s23, v19
	s_delay_alu instid0(VALU_DEP_1) | instskip(SKIP_1) | instid1(VALU_DEP_1)
	v_add_nc_u32_e32 v20, v19, v20
	v_mul_lo_u32 v21, v18, s16
	v_sub_nc_u32_e32 v17, v17, v21
	v_mul_lo_u32 v21, v19, s19
	s_delay_alu instid0(VALU_DEP_4) | instskip(NEXT) | instid1(VALU_DEP_3)
	v_lshrrev_b32_e32 v20, s8, v20
	v_mad_u32 v1, v17, s37, v1
	v_mad_u32 v0, v17, s36, v0
	s_delay_alu instid0(VALU_DEP_4) | instskip(NEXT) | instid1(VALU_DEP_4)
	v_sub_nc_u32_e32 v17, v18, v21
	v_mul_hi_u32 v22, s10, v20
	v_mul_lo_u32 v18, v20, s22
	s_delay_alu instid0(VALU_DEP_3) | instskip(SKIP_1) | instid1(VALU_DEP_4)
	v_mad_u32 v1, v17, s39, v1
	v_mad_u32 v0, v17, s38, v0
	v_add_nc_u32_e32 v21, v20, v22
	s_delay_alu instid0(VALU_DEP_1) | instskip(NEXT) | instid1(VALU_DEP_1)
	v_dual_sub_nc_u32 v18, v19, v18 :: v_dual_lshrrev_b32 v17, s11, v21
	v_mad_u32 v1, v18, s41, v1
	s_delay_alu instid0(VALU_DEP_4) | instskip(NEXT) | instid1(VALU_DEP_3)
	v_mad_u32 v0, v18, s40, v0
	v_mul_lo_u32 v19, v17, s9
	s_delay_alu instid0(VALU_DEP_1) | instskip(NEXT) | instid1(VALU_DEP_1)
	v_sub_nc_u32_e32 v18, v20, v19
	v_mad_u32 v1, v18, s43, v1
	s_delay_alu instid0(VALU_DEP_4)
	v_mad_u32 v0, v18, s42, v0
	s_cbranch_scc1 .LBB338_104
; %bb.105:
	s_and_b32 s4, s1, 3
	s_mov_b32 s1, 0
	s_cmp_eq_u32 s4, 0
	s_cbranch_scc0 .LBB338_109
	s_branch .LBB338_111
.LBB338_106:
	s_mov_b32 s6, -1
                                        ; implicit-def: $vgpr1
	s_branch .LBB338_111
.LBB338_107:
	v_dual_mov_b32 v1, 0 :: v_dual_mov_b32 v0, 0
	s_branch .LBB338_111
.LBB338_108:
	v_mov_b64_e32 v[0:1], 0
	v_mov_b32_e32 v17, v15
	s_mov_b32 s0, 0
	s_and_b32 s4, s1, 3
	s_mov_b32 s1, 0
	s_cmp_eq_u32 s4, 0
	s_cbranch_scc1 .LBB338_111
.LBB338_109:
	s_lshl_b32 s2, s0, 3
	s_mov_b32 s3, s1
	s_mul_u64 s[8:9], s[0:1], 12
	s_add_nc_u64 s[2:3], s[12:13], s[2:3]
	s_delay_alu instid0(SALU_CYCLE_1)
	s_add_nc_u64 s[0:1], s[2:3], 0xc4
	s_add_nc_u64 s[2:3], s[12:13], s[8:9]
.LBB338_110:                            ; =>This Inner Loop Header: Depth=1
	s_load_b96 s[8:10], s[2:3], 0x4
	s_add_co_i32 s4, s4, -1
	s_wait_xcnt 0x0
	s_add_nc_u64 s[2:3], s[2:3], 12
	s_cmp_lg_u32 s4, 0
	s_wait_kmcnt 0x0
	v_mul_hi_u32 v18, s9, v17
	s_delay_alu instid0(VALU_DEP_1) | instskip(NEXT) | instid1(VALU_DEP_1)
	v_add_nc_u32_e32 v18, v17, v18
	v_lshrrev_b32_e32 v18, s10, v18
	s_load_b64 s[10:11], s[0:1], 0x0
	s_wait_xcnt 0x0
	s_add_nc_u64 s[0:1], s[0:1], 8
	s_delay_alu instid0(VALU_DEP_1) | instskip(NEXT) | instid1(VALU_DEP_1)
	v_mul_lo_u32 v19, v18, s8
	v_sub_nc_u32_e32 v17, v17, v19
	s_wait_kmcnt 0x0
	s_delay_alu instid0(VALU_DEP_1)
	v_mad_u32 v1, v17, s11, v1
	v_mad_u32 v0, v17, s10, v0
	v_mov_b32_e32 v17, v18
	s_cbranch_scc1 .LBB338_110
.LBB338_111:
	s_and_not1_b32 vcc_lo, exec_lo, s6
	s_cbranch_vccnz .LBB338_114
; %bb.112:
	s_clause 0x1
	s_load_b96 s[0:2], s[12:13], 0x4
	s_load_b64 s[4:5], s[12:13], 0xc4
	s_cmp_lt_u32 s30, 2
	s_wait_kmcnt 0x0
	v_mul_hi_u32 v0, s1, v15
	s_delay_alu instid0(VALU_DEP_1) | instskip(NEXT) | instid1(VALU_DEP_1)
	v_add_nc_u32_e32 v0, v15, v0
	v_lshrrev_b32_e32 v17, s2, v0
	s_delay_alu instid0(VALU_DEP_1) | instskip(NEXT) | instid1(VALU_DEP_1)
	v_mul_lo_u32 v0, v17, s0
	v_sub_nc_u32_e32 v0, v15, v0
	s_delay_alu instid0(VALU_DEP_1)
	v_mul_lo_u32 v1, v0, s5
	v_mul_lo_u32 v0, v0, s4
	s_cbranch_scc1 .LBB338_114
; %bb.113:
	s_clause 0x1
	s_load_b96 s[0:2], s[12:13], 0x10
	s_load_b64 s[4:5], s[12:13], 0xcc
	s_wait_kmcnt 0x0
	v_mul_hi_u32 v15, s1, v17
	s_delay_alu instid0(VALU_DEP_1) | instskip(NEXT) | instid1(VALU_DEP_1)
	v_add_nc_u32_e32 v15, v17, v15
	v_lshrrev_b32_e32 v15, s2, v15
	s_delay_alu instid0(VALU_DEP_1) | instskip(NEXT) | instid1(VALU_DEP_1)
	v_mul_lo_u32 v15, v15, s0
	v_sub_nc_u32_e32 v15, v17, v15
	s_delay_alu instid0(VALU_DEP_1)
	v_mad_u32 v0, v15, s4, v0
	v_mad_u32 v1, v15, s5, v1
.LBB338_114:
	v_cmp_ne_u32_e32 vcc_lo, 1, v14
	s_cbranch_vccnz .LBB338_120
; %bb.115:
	s_cmp_lg_u32 s30, 0
	s_mov_b32 s6, 0
	s_cbranch_scc0 .LBB338_121
; %bb.116:
	s_min_u32 s1, s31, 15
	s_delay_alu instid0(SALU_CYCLE_1)
	s_add_co_i32 s1, s1, 1
	s_cmp_eq_u32 s31, 2
	s_cbranch_scc1 .LBB338_122
; %bb.117:
	v_dual_mov_b32 v14, 0 :: v_dual_mov_b32 v15, 0
	v_mov_b32_e32 v17, v16
	s_and_b32 s0, s1, 28
	s_add_nc_u64 s[2:3], s[12:13], 0xc4
	s_mov_b32 s7, 0
	s_mov_b64 s[4:5], s[12:13]
.LBB338_118:                            ; =>This Inner Loop Header: Depth=1
	s_clause 0x1
	s_load_b256 s[16:23], s[4:5], 0x4
	s_load_b128 s[8:11], s[4:5], 0x24
	s_load_b256 s[36:43], s[2:3], 0x0
	s_add_co_i32 s7, s7, 4
	s_wait_xcnt 0x0
	s_add_nc_u64 s[4:5], s[4:5], 48
	s_cmp_lg_u32 s0, s7
	s_add_nc_u64 s[2:3], s[2:3], 32
	s_wait_kmcnt 0x0
	v_mul_hi_u32 v18, s17, v17
	s_delay_alu instid0(VALU_DEP_1) | instskip(NEXT) | instid1(VALU_DEP_1)
	v_add_nc_u32_e32 v18, v17, v18
	v_lshrrev_b32_e32 v18, s18, v18
	s_delay_alu instid0(VALU_DEP_1) | instskip(NEXT) | instid1(VALU_DEP_1)
	v_mul_hi_u32 v19, s20, v18
	v_add_nc_u32_e32 v19, v18, v19
	s_delay_alu instid0(VALU_DEP_1) | instskip(NEXT) | instid1(VALU_DEP_1)
	v_lshrrev_b32_e32 v19, s21, v19
	v_mul_hi_u32 v20, s23, v19
	s_delay_alu instid0(VALU_DEP_1) | instskip(SKIP_1) | instid1(VALU_DEP_1)
	v_add_nc_u32_e32 v20, v19, v20
	v_mul_lo_u32 v21, v18, s16
	v_sub_nc_u32_e32 v17, v17, v21
	v_mul_lo_u32 v21, v19, s19
	s_delay_alu instid0(VALU_DEP_4) | instskip(NEXT) | instid1(VALU_DEP_3)
	v_lshrrev_b32_e32 v20, s8, v20
	v_mad_u32 v15, v17, s37, v15
	v_mad_u32 v14, v17, s36, v14
	s_delay_alu instid0(VALU_DEP_4) | instskip(NEXT) | instid1(VALU_DEP_4)
	v_sub_nc_u32_e32 v17, v18, v21
	v_mul_hi_u32 v22, s10, v20
	v_mul_lo_u32 v18, v20, s22
	s_delay_alu instid0(VALU_DEP_3) | instskip(SKIP_1) | instid1(VALU_DEP_4)
	v_mad_u32 v15, v17, s39, v15
	v_mad_u32 v14, v17, s38, v14
	v_add_nc_u32_e32 v21, v20, v22
	s_delay_alu instid0(VALU_DEP_1) | instskip(NEXT) | instid1(VALU_DEP_1)
	v_dual_sub_nc_u32 v18, v19, v18 :: v_dual_lshrrev_b32 v17, s11, v21
	v_mad_u32 v15, v18, s41, v15
	s_delay_alu instid0(VALU_DEP_4) | instskip(NEXT) | instid1(VALU_DEP_3)
	v_mad_u32 v14, v18, s40, v14
	v_mul_lo_u32 v19, v17, s9
	s_delay_alu instid0(VALU_DEP_1) | instskip(NEXT) | instid1(VALU_DEP_1)
	v_sub_nc_u32_e32 v18, v20, v19
	v_mad_u32 v15, v18, s43, v15
	s_delay_alu instid0(VALU_DEP_4)
	v_mad_u32 v14, v18, s42, v14
	s_cbranch_scc1 .LBB338_118
; %bb.119:
	s_and_b32 s4, s1, 3
	s_mov_b32 s1, 0
	s_cmp_eq_u32 s4, 0
	s_cbranch_scc0 .LBB338_123
	s_branch .LBB338_125
.LBB338_120:
	s_mov_b32 s6, -1
                                        ; implicit-def: $vgpr15
	s_branch .LBB338_125
.LBB338_121:
	v_dual_mov_b32 v15, 0 :: v_dual_mov_b32 v14, 0
	s_branch .LBB338_125
.LBB338_122:
	v_mov_b64_e32 v[14:15], 0
	v_mov_b32_e32 v17, v16
	s_mov_b32 s0, 0
	s_and_b32 s4, s1, 3
	s_mov_b32 s1, 0
	s_cmp_eq_u32 s4, 0
	s_cbranch_scc1 .LBB338_125
.LBB338_123:
	s_lshl_b32 s2, s0, 3
	s_mov_b32 s3, s1
	s_mul_u64 s[8:9], s[0:1], 12
	s_add_nc_u64 s[2:3], s[12:13], s[2:3]
	s_delay_alu instid0(SALU_CYCLE_1)
	s_add_nc_u64 s[0:1], s[2:3], 0xc4
	s_add_nc_u64 s[2:3], s[12:13], s[8:9]
.LBB338_124:                            ; =>This Inner Loop Header: Depth=1
	s_load_b96 s[8:10], s[2:3], 0x4
	s_add_co_i32 s4, s4, -1
	s_wait_xcnt 0x0
	s_add_nc_u64 s[2:3], s[2:3], 12
	s_cmp_lg_u32 s4, 0
	s_wait_kmcnt 0x0
	v_mul_hi_u32 v18, s9, v17
	s_delay_alu instid0(VALU_DEP_1) | instskip(NEXT) | instid1(VALU_DEP_1)
	v_add_nc_u32_e32 v18, v17, v18
	v_lshrrev_b32_e32 v18, s10, v18
	s_load_b64 s[10:11], s[0:1], 0x0
	s_wait_xcnt 0x0
	s_add_nc_u64 s[0:1], s[0:1], 8
	s_delay_alu instid0(VALU_DEP_1) | instskip(NEXT) | instid1(VALU_DEP_1)
	v_mul_lo_u32 v19, v18, s8
	v_sub_nc_u32_e32 v17, v17, v19
	s_wait_kmcnt 0x0
	s_delay_alu instid0(VALU_DEP_1)
	v_mad_u32 v15, v17, s11, v15
	v_mad_u32 v14, v17, s10, v14
	v_mov_b32_e32 v17, v18
	s_cbranch_scc1 .LBB338_124
.LBB338_125:
	s_and_not1_b32 vcc_lo, exec_lo, s6
	s_cbranch_vccnz .LBB338_128
; %bb.126:
	s_clause 0x1
	s_load_b96 s[0:2], s[12:13], 0x4
	s_load_b64 s[4:5], s[12:13], 0xc4
	s_cmp_lt_u32 s30, 2
	s_wait_kmcnt 0x0
	v_mul_hi_u32 v14, s1, v16
	s_delay_alu instid0(VALU_DEP_1) | instskip(NEXT) | instid1(VALU_DEP_1)
	v_add_nc_u32_e32 v14, v16, v14
	v_lshrrev_b32_e32 v17, s2, v14
	s_delay_alu instid0(VALU_DEP_1) | instskip(NEXT) | instid1(VALU_DEP_1)
	v_mul_lo_u32 v14, v17, s0
	v_sub_nc_u32_e32 v14, v16, v14
	s_delay_alu instid0(VALU_DEP_1)
	v_mul_lo_u32 v15, v14, s5
	v_mul_lo_u32 v14, v14, s4
	s_cbranch_scc1 .LBB338_128
; %bb.127:
	s_clause 0x1
	s_load_b96 s[0:2], s[12:13], 0x10
	s_load_b64 s[4:5], s[12:13], 0xcc
	s_wait_kmcnt 0x0
	v_mul_hi_u32 v16, s1, v17
	s_delay_alu instid0(VALU_DEP_1) | instskip(NEXT) | instid1(VALU_DEP_1)
	v_add_nc_u32_e32 v16, v17, v16
	v_lshrrev_b32_e32 v16, s2, v16
	s_delay_alu instid0(VALU_DEP_1) | instskip(NEXT) | instid1(VALU_DEP_1)
	v_mul_lo_u32 v16, v16, s0
	v_sub_nc_u32_e32 v16, v17, v16
	s_delay_alu instid0(VALU_DEP_1)
	v_mad_u32 v14, v16, s4, v14
	v_mad_u32 v15, v16, s5, v15
.LBB338_128:
	s_clause 0x1
	s_load_b128 s[8:11], s[12:13], 0x148
	s_load_b64 s[6:7], s[12:13], 0x158
	s_wait_kmcnt 0x0
	s_clause 0x7
	global_load_u16 v16, v3, s[10:11]
	global_load_u16 v17, v5, s[10:11]
	;; [unrolled: 1-line block ×8, first 2 shown]
	s_cmp_eq_u32 s6, 0
	s_wait_xcnt 0x0
	s_cselect_b32 s10, -1, 0
	s_wait_loadcnt 0x7
	v_cmp_ne_u16_e32 vcc_lo, s7, v16
	s_wait_loadcnt 0x6
	v_cmp_ne_u16_e64 s0, s7, v17
	s_wait_loadcnt 0x5
	v_cmp_ne_u16_e64 s1, s7, v18
	;; [unrolled: 2-line block ×5, first 2 shown]
	s_xor_b32 s0, s10, s0
	s_wait_loadcnt 0x1
	v_cmp_ne_u16_e64 s5, s7, v22
	v_cndmask_b32_e64 v3, 0, 1, s0
	s_xor_b32 s0, s10, s1
	s_wait_loadcnt 0x0
	v_cmp_ne_u16_e64 s6, s7, v23
	v_cndmask_b32_e64 v5, 0, 1, s0
	s_xor_b32 s0, s10, s2
	s_xor_b32 s7, s10, vcc_lo
	v_cndmask_b32_e64 v7, 0, 1, s0
	s_xor_b32 s0, s10, s3
	v_cndmask_b32_e64 v1, 0, 1, s7
	v_cndmask_b32_e64 v9, 0, 1, s0
	s_xor_b32 s0, s10, s4
	s_delay_alu instid0(SALU_CYCLE_1) | instskip(SKIP_1) | instid1(SALU_CYCLE_1)
	v_cndmask_b32_e64 v11, 0, 1, s0
	s_xor_b32 s0, s10, s5
	v_cndmask_b32_e64 v13, 0, 1, s0
	s_xor_b32 s0, s10, s6
	s_delay_alu instid0(SALU_CYCLE_1)
	v_cndmask_b32_e64 v15, 0, 1, s0
	s_clause 0x7
	global_store_b8 v2, v1, s[8:9]
	global_store_b8 v4, v3, s[8:9]
	;; [unrolled: 1-line block ×8, first 2 shown]
	s_endpgm
.LBB338_129:
	v_dual_mov_b32 v3, 0 :: v_dual_mov_b32 v2, 0
	s_branch .LBB338_135
.LBB338_130:
	v_dual_mov_b32 v3, 0 :: v_dual_mov_b32 v2, 0
	s_branch .LBB338_151
.LBB338_131:
	v_mov_b64_e32 v[2:3], 0
	v_mov_b32_e32 v1, v0
	s_mov_b32 s24, 0
.LBB338_132:
	s_and_b32 s16, s16, 3
	s_mov_b32 s25, 0
	s_cmp_eq_u32 s16, 0
	s_cbranch_scc1 .LBB338_135
; %bb.133:
	s_lshl_b32 s26, s24, 3
	s_mov_b32 s27, s25
	s_mul_u64 s[28:29], s[24:25], 12
	s_add_nc_u64 s[26:27], s[12:13], s[26:27]
	s_delay_alu instid0(SALU_CYCLE_1)
	s_add_nc_u64 s[24:25], s[26:27], 0xc4
	s_add_nc_u64 s[26:27], s[12:13], s[28:29]
.LBB338_134:                            ; =>This Inner Loop Header: Depth=1
	s_load_b96 s[40:42], s[26:27], 0x4
	s_load_b64 s[28:29], s[24:25], 0x0
	s_add_co_i32 s16, s16, -1
	s_wait_xcnt 0x0
	s_add_nc_u64 s[26:27], s[26:27], 12
	s_cmp_lg_u32 s16, 0
	s_add_nc_u64 s[24:25], s[24:25], 8
	s_wait_kmcnt 0x0
	v_mul_hi_u32 v4, s41, v1
	s_delay_alu instid0(VALU_DEP_1) | instskip(NEXT) | instid1(VALU_DEP_1)
	v_add_nc_u32_e32 v4, v1, v4
	v_lshrrev_b32_e32 v4, s42, v4
	s_delay_alu instid0(VALU_DEP_1) | instskip(NEXT) | instid1(VALU_DEP_1)
	v_mul_lo_u32 v5, v4, s40
	v_sub_nc_u32_e32 v1, v1, v5
	s_delay_alu instid0(VALU_DEP_1)
	v_mad_u32 v3, v1, s29, v3
	v_mad_u32 v2, v1, s28, v2
	v_mov_b32_e32 v1, v4
	s_cbranch_scc1 .LBB338_134
.LBB338_135:
	s_cbranch_execnz .LBB338_138
.LBB338_136:
	v_mov_b32_e32 v1, 0
	s_and_not1_b32 vcc_lo, exec_lo, s35
	s_delay_alu instid0(VALU_DEP_1) | instskip(NEXT) | instid1(VALU_DEP_1)
	v_mul_u64_e32 v[2:3], s[18:19], v[0:1]
	v_add_nc_u32_e32 v2, v0, v3
	s_delay_alu instid0(VALU_DEP_1) | instskip(NEXT) | instid1(VALU_DEP_1)
	v_lshrrev_b32_e32 v4, s6, v2
	v_mul_lo_u32 v2, v4, s4
	s_delay_alu instid0(VALU_DEP_1) | instskip(NEXT) | instid1(VALU_DEP_1)
	v_sub_nc_u32_e32 v2, v0, v2
	v_mul_lo_u32 v3, v2, s9
	v_mul_lo_u32 v2, v2, s8
	s_cbranch_vccnz .LBB338_138
; %bb.137:
	v_mov_b32_e32 v5, v1
	s_delay_alu instid0(VALU_DEP_1) | instskip(NEXT) | instid1(VALU_DEP_1)
	v_mul_u64_e32 v[6:7], s[20:21], v[4:5]
	v_add_nc_u32_e32 v1, v4, v7
	s_delay_alu instid0(VALU_DEP_1) | instskip(NEXT) | instid1(VALU_DEP_1)
	v_lshrrev_b32_e32 v1, s17, v1
	v_mul_lo_u32 v1, v1, s7
	s_delay_alu instid0(VALU_DEP_1) | instskip(NEXT) | instid1(VALU_DEP_1)
	v_sub_nc_u32_e32 v1, v4, v1
	v_mad_u32 v2, v1, s10, v2
	v_mad_u32 v3, v1, s11, v3
.LBB338_138:
	global_load_u16 v1, v3, s[2:3]
	v_add_nc_u32_e32 v0, 0x80, v0
	s_wait_loadcnt 0x0
	v_cmp_ne_u16_e32 vcc_lo, s15, v1
	s_xor_b32 s16, s5, vcc_lo
	s_delay_alu instid0(SALU_CYCLE_1) | instskip(SKIP_3) | instid1(SALU_CYCLE_1)
	v_cndmask_b32_e64 v1, 0, 1, s16
	global_store_b8 v2, v1, s[0:1]
	s_wait_xcnt 0x0
	s_or_b32 exec_lo, exec_lo, s14
	s_mov_b32 s14, exec_lo
	v_cmpx_gt_i32_e64 s36, v0
	s_cbranch_execnz .LBB338_15
.LBB338_139:
	s_or_b32 exec_lo, exec_lo, s14
	s_delay_alu instid0(SALU_CYCLE_1)
	s_mov_b32 s14, exec_lo
	v_cmpx_gt_i32_e64 s36, v0
	s_cbranch_execz .LBB338_155
.LBB338_140:
	s_and_not1_b32 vcc_lo, exec_lo, s33
	s_cbranch_vccnz .LBB338_145
; %bb.141:
	s_and_not1_b32 vcc_lo, exec_lo, s38
	s_cbranch_vccnz .LBB338_146
; %bb.142:
	s_add_co_i32 s16, s37, 1
	s_cmp_eq_u32 s31, 2
	s_cbranch_scc1 .LBB338_163
; %bb.143:
	v_dual_mov_b32 v2, 0 :: v_dual_mov_b32 v3, 0
	v_mov_b32_e32 v1, v0
	s_and_b32 s24, s16, 28
	s_mov_b32 s25, 0
	s_mov_b64 s[26:27], s[12:13]
	s_mov_b64 s[28:29], s[22:23]
.LBB338_144:                            ; =>This Inner Loop Header: Depth=1
	s_clause 0x1
	s_load_b256 s[40:47], s[26:27], 0x4
	s_load_b128 s[56:59], s[26:27], 0x24
	s_load_b256 s[48:55], s[28:29], 0x0
	s_add_co_i32 s25, s25, 4
	s_wait_xcnt 0x0
	s_add_nc_u64 s[26:27], s[26:27], 48
	s_cmp_eq_u32 s24, s25
	s_add_nc_u64 s[28:29], s[28:29], 32
	s_wait_kmcnt 0x0
	v_mul_hi_u32 v4, s41, v1
	s_delay_alu instid0(VALU_DEP_1) | instskip(NEXT) | instid1(VALU_DEP_1)
	v_add_nc_u32_e32 v4, v1, v4
	v_lshrrev_b32_e32 v4, s42, v4
	s_delay_alu instid0(VALU_DEP_1) | instskip(NEXT) | instid1(VALU_DEP_1)
	v_mul_hi_u32 v5, s44, v4
	v_add_nc_u32_e32 v5, v4, v5
	s_delay_alu instid0(VALU_DEP_1) | instskip(NEXT) | instid1(VALU_DEP_1)
	v_lshrrev_b32_e32 v5, s45, v5
	v_mul_hi_u32 v6, s47, v5
	s_delay_alu instid0(VALU_DEP_1) | instskip(SKIP_1) | instid1(VALU_DEP_1)
	v_add_nc_u32_e32 v6, v5, v6
	v_mul_lo_u32 v7, v4, s40
	v_sub_nc_u32_e32 v1, v1, v7
	v_mul_lo_u32 v7, v5, s43
	s_delay_alu instid0(VALU_DEP_4) | instskip(NEXT) | instid1(VALU_DEP_3)
	v_lshrrev_b32_e32 v6, s56, v6
	v_mad_u32 v3, v1, s49, v3
	v_mad_u32 v1, v1, s48, v2
	s_delay_alu instid0(VALU_DEP_4) | instskip(NEXT) | instid1(VALU_DEP_4)
	v_sub_nc_u32_e32 v2, v4, v7
	v_mul_hi_u32 v8, s58, v6
	v_mul_lo_u32 v4, v6, s46
	s_delay_alu instid0(VALU_DEP_3) | instskip(SKIP_1) | instid1(VALU_DEP_4)
	v_mad_u32 v3, v2, s51, v3
	v_mad_u32 v2, v2, s50, v1
	v_add_nc_u32_e32 v7, v6, v8
	s_delay_alu instid0(VALU_DEP_1) | instskip(NEXT) | instid1(VALU_DEP_1)
	v_dual_sub_nc_u32 v4, v5, v4 :: v_dual_lshrrev_b32 v1, s59, v7
	v_mad_u32 v3, v4, s53, v3
	s_delay_alu instid0(VALU_DEP_4) | instskip(NEXT) | instid1(VALU_DEP_3)
	v_mad_u32 v2, v4, s52, v2
	v_mul_lo_u32 v5, v1, s57
	s_delay_alu instid0(VALU_DEP_1) | instskip(NEXT) | instid1(VALU_DEP_1)
	v_sub_nc_u32_e32 v4, v6, v5
	v_mad_u32 v3, v4, s55, v3
	s_delay_alu instid0(VALU_DEP_4)
	v_mad_u32 v2, v4, s54, v2
	s_cbranch_scc0 .LBB338_144
	s_branch .LBB338_164
.LBB338_145:
                                        ; implicit-def: $vgpr3
	s_branch .LBB338_168
.LBB338_146:
	v_dual_mov_b32 v3, 0 :: v_dual_mov_b32 v2, 0
	s_branch .LBB338_167
.LBB338_147:
	v_mov_b64_e32 v[2:3], 0
	v_mov_b32_e32 v1, v0
	s_mov_b32 s24, 0
.LBB338_148:
	s_and_b32 s16, s16, 3
	s_mov_b32 s25, 0
	s_cmp_eq_u32 s16, 0
	s_cbranch_scc1 .LBB338_151
; %bb.149:
	s_lshl_b32 s26, s24, 3
	s_mov_b32 s27, s25
	s_mul_u64 s[28:29], s[24:25], 12
	s_add_nc_u64 s[26:27], s[12:13], s[26:27]
	s_delay_alu instid0(SALU_CYCLE_1)
	s_add_nc_u64 s[24:25], s[26:27], 0xc4
	s_add_nc_u64 s[26:27], s[12:13], s[28:29]
.LBB338_150:                            ; =>This Inner Loop Header: Depth=1
	s_load_b96 s[40:42], s[26:27], 0x4
	s_load_b64 s[28:29], s[24:25], 0x0
	s_add_co_i32 s16, s16, -1
	s_wait_xcnt 0x0
	s_add_nc_u64 s[26:27], s[26:27], 12
	s_cmp_lg_u32 s16, 0
	s_add_nc_u64 s[24:25], s[24:25], 8
	s_wait_kmcnt 0x0
	v_mul_hi_u32 v4, s41, v1
	s_delay_alu instid0(VALU_DEP_1) | instskip(NEXT) | instid1(VALU_DEP_1)
	v_add_nc_u32_e32 v4, v1, v4
	v_lshrrev_b32_e32 v4, s42, v4
	s_delay_alu instid0(VALU_DEP_1) | instskip(NEXT) | instid1(VALU_DEP_1)
	v_mul_lo_u32 v5, v4, s40
	v_sub_nc_u32_e32 v1, v1, v5
	s_delay_alu instid0(VALU_DEP_1)
	v_mad_u32 v3, v1, s29, v3
	v_mad_u32 v2, v1, s28, v2
	v_mov_b32_e32 v1, v4
	s_cbranch_scc1 .LBB338_150
.LBB338_151:
	s_cbranch_execnz .LBB338_154
.LBB338_152:
	v_mov_b32_e32 v1, 0
	s_and_not1_b32 vcc_lo, exec_lo, s35
	s_delay_alu instid0(VALU_DEP_1) | instskip(NEXT) | instid1(VALU_DEP_1)
	v_mul_u64_e32 v[2:3], s[18:19], v[0:1]
	v_add_nc_u32_e32 v2, v0, v3
	s_delay_alu instid0(VALU_DEP_1) | instskip(NEXT) | instid1(VALU_DEP_1)
	v_lshrrev_b32_e32 v4, s6, v2
	v_mul_lo_u32 v2, v4, s4
	s_delay_alu instid0(VALU_DEP_1) | instskip(NEXT) | instid1(VALU_DEP_1)
	v_sub_nc_u32_e32 v2, v0, v2
	v_mul_lo_u32 v3, v2, s9
	v_mul_lo_u32 v2, v2, s8
	s_cbranch_vccnz .LBB338_154
; %bb.153:
	v_mov_b32_e32 v5, v1
	s_delay_alu instid0(VALU_DEP_1) | instskip(NEXT) | instid1(VALU_DEP_1)
	v_mul_u64_e32 v[6:7], s[20:21], v[4:5]
	v_add_nc_u32_e32 v1, v4, v7
	s_delay_alu instid0(VALU_DEP_1) | instskip(NEXT) | instid1(VALU_DEP_1)
	v_lshrrev_b32_e32 v1, s17, v1
	v_mul_lo_u32 v1, v1, s7
	s_delay_alu instid0(VALU_DEP_1) | instskip(NEXT) | instid1(VALU_DEP_1)
	v_sub_nc_u32_e32 v1, v4, v1
	v_mad_u32 v2, v1, s10, v2
	v_mad_u32 v3, v1, s11, v3
.LBB338_154:
	global_load_u16 v1, v3, s[2:3]
	v_add_nc_u32_e32 v0, 0x80, v0
	s_wait_loadcnt 0x0
	v_cmp_ne_u16_e32 vcc_lo, s15, v1
	s_xor_b32 s16, s5, vcc_lo
	s_delay_alu instid0(SALU_CYCLE_1) | instskip(SKIP_3) | instid1(SALU_CYCLE_1)
	v_cndmask_b32_e64 v1, 0, 1, s16
	global_store_b8 v2, v1, s[0:1]
	s_wait_xcnt 0x0
	s_or_b32 exec_lo, exec_lo, s14
	s_mov_b32 s14, exec_lo
	v_cmpx_gt_i32_e64 s36, v0
	s_cbranch_execnz .LBB338_140
.LBB338_155:
	s_or_b32 exec_lo, exec_lo, s14
	s_delay_alu instid0(SALU_CYCLE_1)
	s_mov_b32 s14, exec_lo
	v_cmpx_gt_i32_e64 s36, v0
	s_cbranch_execz .LBB338_171
.LBB338_156:
	s_and_not1_b32 vcc_lo, exec_lo, s33
	s_cbranch_vccnz .LBB338_161
; %bb.157:
	s_and_not1_b32 vcc_lo, exec_lo, s38
	s_cbranch_vccnz .LBB338_162
; %bb.158:
	s_add_co_i32 s16, s37, 1
	s_cmp_eq_u32 s31, 2
	s_cbranch_scc1 .LBB338_179
; %bb.159:
	v_dual_mov_b32 v2, 0 :: v_dual_mov_b32 v3, 0
	v_mov_b32_e32 v1, v0
	s_and_b32 s24, s16, 28
	s_mov_b32 s25, 0
	s_mov_b64 s[26:27], s[12:13]
	s_mov_b64 s[28:29], s[22:23]
.LBB338_160:                            ; =>This Inner Loop Header: Depth=1
	s_clause 0x1
	s_load_b256 s[40:47], s[26:27], 0x4
	s_load_b128 s[56:59], s[26:27], 0x24
	s_load_b256 s[48:55], s[28:29], 0x0
	s_add_co_i32 s25, s25, 4
	s_wait_xcnt 0x0
	s_add_nc_u64 s[26:27], s[26:27], 48
	s_cmp_eq_u32 s24, s25
	s_add_nc_u64 s[28:29], s[28:29], 32
	s_wait_kmcnt 0x0
	v_mul_hi_u32 v4, s41, v1
	s_delay_alu instid0(VALU_DEP_1) | instskip(NEXT) | instid1(VALU_DEP_1)
	v_add_nc_u32_e32 v4, v1, v4
	v_lshrrev_b32_e32 v4, s42, v4
	s_delay_alu instid0(VALU_DEP_1) | instskip(NEXT) | instid1(VALU_DEP_1)
	v_mul_hi_u32 v5, s44, v4
	v_add_nc_u32_e32 v5, v4, v5
	s_delay_alu instid0(VALU_DEP_1) | instskip(NEXT) | instid1(VALU_DEP_1)
	v_lshrrev_b32_e32 v5, s45, v5
	v_mul_hi_u32 v6, s47, v5
	s_delay_alu instid0(VALU_DEP_1) | instskip(SKIP_1) | instid1(VALU_DEP_1)
	v_add_nc_u32_e32 v6, v5, v6
	v_mul_lo_u32 v7, v4, s40
	v_sub_nc_u32_e32 v1, v1, v7
	v_mul_lo_u32 v7, v5, s43
	s_delay_alu instid0(VALU_DEP_4) | instskip(NEXT) | instid1(VALU_DEP_3)
	v_lshrrev_b32_e32 v6, s56, v6
	v_mad_u32 v3, v1, s49, v3
	v_mad_u32 v1, v1, s48, v2
	s_delay_alu instid0(VALU_DEP_4) | instskip(NEXT) | instid1(VALU_DEP_4)
	v_sub_nc_u32_e32 v2, v4, v7
	v_mul_hi_u32 v8, s58, v6
	v_mul_lo_u32 v4, v6, s46
	s_delay_alu instid0(VALU_DEP_3) | instskip(SKIP_1) | instid1(VALU_DEP_4)
	v_mad_u32 v3, v2, s51, v3
	v_mad_u32 v2, v2, s50, v1
	v_add_nc_u32_e32 v7, v6, v8
	s_delay_alu instid0(VALU_DEP_1) | instskip(NEXT) | instid1(VALU_DEP_1)
	v_dual_sub_nc_u32 v4, v5, v4 :: v_dual_lshrrev_b32 v1, s59, v7
	v_mad_u32 v3, v4, s53, v3
	s_delay_alu instid0(VALU_DEP_4) | instskip(NEXT) | instid1(VALU_DEP_3)
	v_mad_u32 v2, v4, s52, v2
	v_mul_lo_u32 v5, v1, s57
	s_delay_alu instid0(VALU_DEP_1) | instskip(NEXT) | instid1(VALU_DEP_1)
	v_sub_nc_u32_e32 v4, v6, v5
	v_mad_u32 v3, v4, s55, v3
	s_delay_alu instid0(VALU_DEP_4)
	v_mad_u32 v2, v4, s54, v2
	s_cbranch_scc0 .LBB338_160
	s_branch .LBB338_180
.LBB338_161:
                                        ; implicit-def: $vgpr3
	s_branch .LBB338_184
.LBB338_162:
	v_dual_mov_b32 v3, 0 :: v_dual_mov_b32 v2, 0
	s_branch .LBB338_183
.LBB338_163:
	v_mov_b64_e32 v[2:3], 0
	v_mov_b32_e32 v1, v0
	s_mov_b32 s24, 0
.LBB338_164:
	s_and_b32 s16, s16, 3
	s_mov_b32 s25, 0
	s_cmp_eq_u32 s16, 0
	s_cbranch_scc1 .LBB338_167
; %bb.165:
	s_lshl_b32 s26, s24, 3
	s_mov_b32 s27, s25
	s_mul_u64 s[28:29], s[24:25], 12
	s_add_nc_u64 s[26:27], s[12:13], s[26:27]
	s_delay_alu instid0(SALU_CYCLE_1)
	s_add_nc_u64 s[24:25], s[26:27], 0xc4
	s_add_nc_u64 s[26:27], s[12:13], s[28:29]
.LBB338_166:                            ; =>This Inner Loop Header: Depth=1
	s_load_b96 s[40:42], s[26:27], 0x4
	s_load_b64 s[28:29], s[24:25], 0x0
	s_add_co_i32 s16, s16, -1
	s_wait_xcnt 0x0
	s_add_nc_u64 s[26:27], s[26:27], 12
	s_cmp_lg_u32 s16, 0
	s_add_nc_u64 s[24:25], s[24:25], 8
	s_wait_kmcnt 0x0
	v_mul_hi_u32 v4, s41, v1
	s_delay_alu instid0(VALU_DEP_1) | instskip(NEXT) | instid1(VALU_DEP_1)
	v_add_nc_u32_e32 v4, v1, v4
	v_lshrrev_b32_e32 v4, s42, v4
	s_delay_alu instid0(VALU_DEP_1) | instskip(NEXT) | instid1(VALU_DEP_1)
	v_mul_lo_u32 v5, v4, s40
	v_sub_nc_u32_e32 v1, v1, v5
	s_delay_alu instid0(VALU_DEP_1)
	v_mad_u32 v3, v1, s29, v3
	v_mad_u32 v2, v1, s28, v2
	v_mov_b32_e32 v1, v4
	s_cbranch_scc1 .LBB338_166
.LBB338_167:
	s_cbranch_execnz .LBB338_170
.LBB338_168:
	v_mov_b32_e32 v1, 0
	s_and_not1_b32 vcc_lo, exec_lo, s35
	s_delay_alu instid0(VALU_DEP_1) | instskip(NEXT) | instid1(VALU_DEP_1)
	v_mul_u64_e32 v[2:3], s[18:19], v[0:1]
	v_add_nc_u32_e32 v2, v0, v3
	s_delay_alu instid0(VALU_DEP_1) | instskip(NEXT) | instid1(VALU_DEP_1)
	v_lshrrev_b32_e32 v4, s6, v2
	v_mul_lo_u32 v2, v4, s4
	s_delay_alu instid0(VALU_DEP_1) | instskip(NEXT) | instid1(VALU_DEP_1)
	v_sub_nc_u32_e32 v2, v0, v2
	v_mul_lo_u32 v3, v2, s9
	v_mul_lo_u32 v2, v2, s8
	s_cbranch_vccnz .LBB338_170
; %bb.169:
	v_mov_b32_e32 v5, v1
	s_delay_alu instid0(VALU_DEP_1) | instskip(NEXT) | instid1(VALU_DEP_1)
	v_mul_u64_e32 v[6:7], s[20:21], v[4:5]
	v_add_nc_u32_e32 v1, v4, v7
	s_delay_alu instid0(VALU_DEP_1) | instskip(NEXT) | instid1(VALU_DEP_1)
	v_lshrrev_b32_e32 v1, s17, v1
	v_mul_lo_u32 v1, v1, s7
	s_delay_alu instid0(VALU_DEP_1) | instskip(NEXT) | instid1(VALU_DEP_1)
	v_sub_nc_u32_e32 v1, v4, v1
	v_mad_u32 v2, v1, s10, v2
	v_mad_u32 v3, v1, s11, v3
.LBB338_170:
	global_load_u16 v1, v3, s[2:3]
	v_add_nc_u32_e32 v0, 0x80, v0
	s_wait_loadcnt 0x0
	v_cmp_ne_u16_e32 vcc_lo, s15, v1
	s_xor_b32 s16, s5, vcc_lo
	s_delay_alu instid0(SALU_CYCLE_1) | instskip(SKIP_3) | instid1(SALU_CYCLE_1)
	v_cndmask_b32_e64 v1, 0, 1, s16
	global_store_b8 v2, v1, s[0:1]
	s_wait_xcnt 0x0
	s_or_b32 exec_lo, exec_lo, s14
	s_mov_b32 s14, exec_lo
	v_cmpx_gt_i32_e64 s36, v0
	s_cbranch_execnz .LBB338_156
.LBB338_171:
	s_or_b32 exec_lo, exec_lo, s14
	s_delay_alu instid0(SALU_CYCLE_1)
	s_mov_b32 s14, exec_lo
	v_cmpx_gt_i32_e64 s36, v0
	s_cbranch_execz .LBB338_187
.LBB338_172:
	s_and_not1_b32 vcc_lo, exec_lo, s33
	s_cbranch_vccnz .LBB338_177
; %bb.173:
	s_and_not1_b32 vcc_lo, exec_lo, s38
	s_cbranch_vccnz .LBB338_178
; %bb.174:
	s_add_co_i32 s16, s37, 1
	s_cmp_eq_u32 s31, 2
	s_cbranch_scc1 .LBB338_195
; %bb.175:
	v_dual_mov_b32 v2, 0 :: v_dual_mov_b32 v3, 0
	v_mov_b32_e32 v1, v0
	s_and_b32 s24, s16, 28
	s_mov_b32 s25, 0
	s_mov_b64 s[26:27], s[12:13]
	s_mov_b64 s[28:29], s[22:23]
.LBB338_176:                            ; =>This Inner Loop Header: Depth=1
	s_clause 0x1
	s_load_b256 s[40:47], s[26:27], 0x4
	s_load_b128 s[56:59], s[26:27], 0x24
	s_load_b256 s[48:55], s[28:29], 0x0
	s_add_co_i32 s25, s25, 4
	s_wait_xcnt 0x0
	s_add_nc_u64 s[26:27], s[26:27], 48
	s_cmp_eq_u32 s24, s25
	s_add_nc_u64 s[28:29], s[28:29], 32
	s_wait_kmcnt 0x0
	v_mul_hi_u32 v4, s41, v1
	s_delay_alu instid0(VALU_DEP_1) | instskip(NEXT) | instid1(VALU_DEP_1)
	v_add_nc_u32_e32 v4, v1, v4
	v_lshrrev_b32_e32 v4, s42, v4
	s_delay_alu instid0(VALU_DEP_1) | instskip(NEXT) | instid1(VALU_DEP_1)
	v_mul_hi_u32 v5, s44, v4
	v_add_nc_u32_e32 v5, v4, v5
	s_delay_alu instid0(VALU_DEP_1) | instskip(NEXT) | instid1(VALU_DEP_1)
	v_lshrrev_b32_e32 v5, s45, v5
	v_mul_hi_u32 v6, s47, v5
	s_delay_alu instid0(VALU_DEP_1) | instskip(SKIP_1) | instid1(VALU_DEP_1)
	v_add_nc_u32_e32 v6, v5, v6
	v_mul_lo_u32 v7, v4, s40
	v_sub_nc_u32_e32 v1, v1, v7
	v_mul_lo_u32 v7, v5, s43
	s_delay_alu instid0(VALU_DEP_4) | instskip(NEXT) | instid1(VALU_DEP_3)
	v_lshrrev_b32_e32 v6, s56, v6
	v_mad_u32 v3, v1, s49, v3
	v_mad_u32 v1, v1, s48, v2
	s_delay_alu instid0(VALU_DEP_4) | instskip(NEXT) | instid1(VALU_DEP_4)
	v_sub_nc_u32_e32 v2, v4, v7
	v_mul_hi_u32 v8, s58, v6
	v_mul_lo_u32 v4, v6, s46
	s_delay_alu instid0(VALU_DEP_3) | instskip(SKIP_1) | instid1(VALU_DEP_4)
	v_mad_u32 v3, v2, s51, v3
	v_mad_u32 v2, v2, s50, v1
	v_add_nc_u32_e32 v7, v6, v8
	s_delay_alu instid0(VALU_DEP_1) | instskip(NEXT) | instid1(VALU_DEP_1)
	v_dual_sub_nc_u32 v4, v5, v4 :: v_dual_lshrrev_b32 v1, s59, v7
	v_mad_u32 v3, v4, s53, v3
	s_delay_alu instid0(VALU_DEP_4) | instskip(NEXT) | instid1(VALU_DEP_3)
	v_mad_u32 v2, v4, s52, v2
	v_mul_lo_u32 v5, v1, s57
	s_delay_alu instid0(VALU_DEP_1) | instskip(NEXT) | instid1(VALU_DEP_1)
	v_sub_nc_u32_e32 v4, v6, v5
	v_mad_u32 v3, v4, s55, v3
	s_delay_alu instid0(VALU_DEP_4)
	v_mad_u32 v2, v4, s54, v2
	s_cbranch_scc0 .LBB338_176
	s_branch .LBB338_196
.LBB338_177:
                                        ; implicit-def: $vgpr3
	s_branch .LBB338_200
.LBB338_178:
	v_dual_mov_b32 v3, 0 :: v_dual_mov_b32 v2, 0
	s_branch .LBB338_199
.LBB338_179:
	v_mov_b64_e32 v[2:3], 0
	v_mov_b32_e32 v1, v0
	s_mov_b32 s24, 0
.LBB338_180:
	s_and_b32 s16, s16, 3
	s_mov_b32 s25, 0
	s_cmp_eq_u32 s16, 0
	s_cbranch_scc1 .LBB338_183
; %bb.181:
	s_lshl_b32 s26, s24, 3
	s_mov_b32 s27, s25
	s_mul_u64 s[28:29], s[24:25], 12
	s_add_nc_u64 s[26:27], s[12:13], s[26:27]
	s_delay_alu instid0(SALU_CYCLE_1)
	s_add_nc_u64 s[24:25], s[26:27], 0xc4
	s_add_nc_u64 s[26:27], s[12:13], s[28:29]
.LBB338_182:                            ; =>This Inner Loop Header: Depth=1
	s_load_b96 s[40:42], s[26:27], 0x4
	s_load_b64 s[28:29], s[24:25], 0x0
	s_add_co_i32 s16, s16, -1
	s_wait_xcnt 0x0
	s_add_nc_u64 s[26:27], s[26:27], 12
	s_cmp_lg_u32 s16, 0
	s_add_nc_u64 s[24:25], s[24:25], 8
	s_wait_kmcnt 0x0
	v_mul_hi_u32 v4, s41, v1
	s_delay_alu instid0(VALU_DEP_1) | instskip(NEXT) | instid1(VALU_DEP_1)
	v_add_nc_u32_e32 v4, v1, v4
	v_lshrrev_b32_e32 v4, s42, v4
	s_delay_alu instid0(VALU_DEP_1) | instskip(NEXT) | instid1(VALU_DEP_1)
	v_mul_lo_u32 v5, v4, s40
	v_sub_nc_u32_e32 v1, v1, v5
	s_delay_alu instid0(VALU_DEP_1)
	v_mad_u32 v3, v1, s29, v3
	v_mad_u32 v2, v1, s28, v2
	v_mov_b32_e32 v1, v4
	s_cbranch_scc1 .LBB338_182
.LBB338_183:
	s_cbranch_execnz .LBB338_186
.LBB338_184:
	v_mov_b32_e32 v1, 0
	s_and_not1_b32 vcc_lo, exec_lo, s35
	s_delay_alu instid0(VALU_DEP_1) | instskip(NEXT) | instid1(VALU_DEP_1)
	v_mul_u64_e32 v[2:3], s[18:19], v[0:1]
	v_add_nc_u32_e32 v2, v0, v3
	s_delay_alu instid0(VALU_DEP_1) | instskip(NEXT) | instid1(VALU_DEP_1)
	v_lshrrev_b32_e32 v4, s6, v2
	v_mul_lo_u32 v2, v4, s4
	s_delay_alu instid0(VALU_DEP_1) | instskip(NEXT) | instid1(VALU_DEP_1)
	v_sub_nc_u32_e32 v2, v0, v2
	v_mul_lo_u32 v3, v2, s9
	v_mul_lo_u32 v2, v2, s8
	s_cbranch_vccnz .LBB338_186
; %bb.185:
	v_mov_b32_e32 v5, v1
	s_delay_alu instid0(VALU_DEP_1) | instskip(NEXT) | instid1(VALU_DEP_1)
	v_mul_u64_e32 v[6:7], s[20:21], v[4:5]
	v_add_nc_u32_e32 v1, v4, v7
	s_delay_alu instid0(VALU_DEP_1) | instskip(NEXT) | instid1(VALU_DEP_1)
	v_lshrrev_b32_e32 v1, s17, v1
	v_mul_lo_u32 v1, v1, s7
	s_delay_alu instid0(VALU_DEP_1) | instskip(NEXT) | instid1(VALU_DEP_1)
	v_sub_nc_u32_e32 v1, v4, v1
	v_mad_u32 v2, v1, s10, v2
	v_mad_u32 v3, v1, s11, v3
.LBB338_186:
	global_load_u16 v1, v3, s[2:3]
	v_add_nc_u32_e32 v0, 0x80, v0
	s_wait_loadcnt 0x0
	v_cmp_ne_u16_e32 vcc_lo, s15, v1
	s_xor_b32 s16, s5, vcc_lo
	s_delay_alu instid0(SALU_CYCLE_1) | instskip(SKIP_3) | instid1(SALU_CYCLE_1)
	v_cndmask_b32_e64 v1, 0, 1, s16
	global_store_b8 v2, v1, s[0:1]
	s_wait_xcnt 0x0
	s_or_b32 exec_lo, exec_lo, s14
	s_mov_b32 s14, exec_lo
	v_cmpx_gt_i32_e64 s36, v0
	s_cbranch_execnz .LBB338_172
.LBB338_187:
	s_or_b32 exec_lo, exec_lo, s14
	s_delay_alu instid0(SALU_CYCLE_1)
	s_mov_b32 s14, exec_lo
	v_cmpx_gt_i32_e64 s36, v0
	s_cbranch_execz .LBB338_203
.LBB338_188:
	s_and_not1_b32 vcc_lo, exec_lo, s33
	s_cbranch_vccnz .LBB338_193
; %bb.189:
	s_and_not1_b32 vcc_lo, exec_lo, s38
	s_cbranch_vccnz .LBB338_194
; %bb.190:
	s_add_co_i32 s16, s37, 1
	s_cmp_eq_u32 s31, 2
	s_cbranch_scc1 .LBB338_211
; %bb.191:
	v_dual_mov_b32 v2, 0 :: v_dual_mov_b32 v3, 0
	v_mov_b32_e32 v1, v0
	s_and_b32 s24, s16, 28
	s_mov_b32 s25, 0
	s_mov_b64 s[26:27], s[12:13]
	s_mov_b64 s[28:29], s[22:23]
.LBB338_192:                            ; =>This Inner Loop Header: Depth=1
	s_clause 0x1
	s_load_b256 s[40:47], s[26:27], 0x4
	s_load_b128 s[56:59], s[26:27], 0x24
	s_load_b256 s[48:55], s[28:29], 0x0
	s_add_co_i32 s25, s25, 4
	s_wait_xcnt 0x0
	s_add_nc_u64 s[26:27], s[26:27], 48
	s_cmp_eq_u32 s24, s25
	s_add_nc_u64 s[28:29], s[28:29], 32
	s_wait_kmcnt 0x0
	v_mul_hi_u32 v4, s41, v1
	s_delay_alu instid0(VALU_DEP_1) | instskip(NEXT) | instid1(VALU_DEP_1)
	v_add_nc_u32_e32 v4, v1, v4
	v_lshrrev_b32_e32 v4, s42, v4
	s_delay_alu instid0(VALU_DEP_1) | instskip(NEXT) | instid1(VALU_DEP_1)
	v_mul_hi_u32 v5, s44, v4
	v_add_nc_u32_e32 v5, v4, v5
	s_delay_alu instid0(VALU_DEP_1) | instskip(NEXT) | instid1(VALU_DEP_1)
	v_lshrrev_b32_e32 v5, s45, v5
	v_mul_hi_u32 v6, s47, v5
	s_delay_alu instid0(VALU_DEP_1) | instskip(SKIP_1) | instid1(VALU_DEP_1)
	v_add_nc_u32_e32 v6, v5, v6
	v_mul_lo_u32 v7, v4, s40
	v_sub_nc_u32_e32 v1, v1, v7
	v_mul_lo_u32 v7, v5, s43
	s_delay_alu instid0(VALU_DEP_4) | instskip(NEXT) | instid1(VALU_DEP_3)
	v_lshrrev_b32_e32 v6, s56, v6
	v_mad_u32 v3, v1, s49, v3
	v_mad_u32 v1, v1, s48, v2
	s_delay_alu instid0(VALU_DEP_4) | instskip(NEXT) | instid1(VALU_DEP_4)
	v_sub_nc_u32_e32 v2, v4, v7
	v_mul_hi_u32 v8, s58, v6
	v_mul_lo_u32 v4, v6, s46
	s_delay_alu instid0(VALU_DEP_3) | instskip(SKIP_1) | instid1(VALU_DEP_4)
	v_mad_u32 v3, v2, s51, v3
	v_mad_u32 v2, v2, s50, v1
	v_add_nc_u32_e32 v7, v6, v8
	s_delay_alu instid0(VALU_DEP_1) | instskip(NEXT) | instid1(VALU_DEP_1)
	v_dual_sub_nc_u32 v4, v5, v4 :: v_dual_lshrrev_b32 v1, s59, v7
	v_mad_u32 v3, v4, s53, v3
	s_delay_alu instid0(VALU_DEP_4) | instskip(NEXT) | instid1(VALU_DEP_3)
	v_mad_u32 v2, v4, s52, v2
	v_mul_lo_u32 v5, v1, s57
	s_delay_alu instid0(VALU_DEP_1) | instskip(NEXT) | instid1(VALU_DEP_1)
	v_sub_nc_u32_e32 v4, v6, v5
	v_mad_u32 v3, v4, s55, v3
	s_delay_alu instid0(VALU_DEP_4)
	v_mad_u32 v2, v4, s54, v2
	s_cbranch_scc0 .LBB338_192
	s_branch .LBB338_212
.LBB338_193:
                                        ; implicit-def: $vgpr3
	s_branch .LBB338_216
.LBB338_194:
	v_dual_mov_b32 v3, 0 :: v_dual_mov_b32 v2, 0
	s_branch .LBB338_215
.LBB338_195:
	v_mov_b64_e32 v[2:3], 0
	v_mov_b32_e32 v1, v0
	s_mov_b32 s24, 0
.LBB338_196:
	s_and_b32 s16, s16, 3
	s_mov_b32 s25, 0
	s_cmp_eq_u32 s16, 0
	s_cbranch_scc1 .LBB338_199
; %bb.197:
	s_lshl_b32 s26, s24, 3
	s_mov_b32 s27, s25
	s_mul_u64 s[28:29], s[24:25], 12
	s_add_nc_u64 s[26:27], s[12:13], s[26:27]
	s_delay_alu instid0(SALU_CYCLE_1)
	s_add_nc_u64 s[24:25], s[26:27], 0xc4
	s_add_nc_u64 s[26:27], s[12:13], s[28:29]
.LBB338_198:                            ; =>This Inner Loop Header: Depth=1
	s_load_b96 s[40:42], s[26:27], 0x4
	s_load_b64 s[28:29], s[24:25], 0x0
	s_add_co_i32 s16, s16, -1
	s_wait_xcnt 0x0
	s_add_nc_u64 s[26:27], s[26:27], 12
	s_cmp_lg_u32 s16, 0
	s_add_nc_u64 s[24:25], s[24:25], 8
	s_wait_kmcnt 0x0
	v_mul_hi_u32 v4, s41, v1
	s_delay_alu instid0(VALU_DEP_1) | instskip(NEXT) | instid1(VALU_DEP_1)
	v_add_nc_u32_e32 v4, v1, v4
	v_lshrrev_b32_e32 v4, s42, v4
	s_delay_alu instid0(VALU_DEP_1) | instskip(NEXT) | instid1(VALU_DEP_1)
	v_mul_lo_u32 v5, v4, s40
	v_sub_nc_u32_e32 v1, v1, v5
	s_delay_alu instid0(VALU_DEP_1)
	v_mad_u32 v3, v1, s29, v3
	v_mad_u32 v2, v1, s28, v2
	v_mov_b32_e32 v1, v4
	s_cbranch_scc1 .LBB338_198
.LBB338_199:
	s_cbranch_execnz .LBB338_202
.LBB338_200:
	v_mov_b32_e32 v1, 0
	s_and_not1_b32 vcc_lo, exec_lo, s35
	s_delay_alu instid0(VALU_DEP_1) | instskip(NEXT) | instid1(VALU_DEP_1)
	v_mul_u64_e32 v[2:3], s[18:19], v[0:1]
	v_add_nc_u32_e32 v2, v0, v3
	s_delay_alu instid0(VALU_DEP_1) | instskip(NEXT) | instid1(VALU_DEP_1)
	v_lshrrev_b32_e32 v4, s6, v2
	v_mul_lo_u32 v2, v4, s4
	s_delay_alu instid0(VALU_DEP_1) | instskip(NEXT) | instid1(VALU_DEP_1)
	v_sub_nc_u32_e32 v2, v0, v2
	v_mul_lo_u32 v3, v2, s9
	v_mul_lo_u32 v2, v2, s8
	s_cbranch_vccnz .LBB338_202
; %bb.201:
	v_mov_b32_e32 v5, v1
	s_delay_alu instid0(VALU_DEP_1) | instskip(NEXT) | instid1(VALU_DEP_1)
	v_mul_u64_e32 v[6:7], s[20:21], v[4:5]
	v_add_nc_u32_e32 v1, v4, v7
	s_delay_alu instid0(VALU_DEP_1) | instskip(NEXT) | instid1(VALU_DEP_1)
	v_lshrrev_b32_e32 v1, s17, v1
	v_mul_lo_u32 v1, v1, s7
	s_delay_alu instid0(VALU_DEP_1) | instskip(NEXT) | instid1(VALU_DEP_1)
	v_sub_nc_u32_e32 v1, v4, v1
	v_mad_u32 v2, v1, s10, v2
	v_mad_u32 v3, v1, s11, v3
.LBB338_202:
	global_load_u16 v1, v3, s[2:3]
	v_add_nc_u32_e32 v0, 0x80, v0
	s_wait_loadcnt 0x0
	v_cmp_ne_u16_e32 vcc_lo, s15, v1
	s_xor_b32 s16, s5, vcc_lo
	s_delay_alu instid0(SALU_CYCLE_1) | instskip(SKIP_3) | instid1(SALU_CYCLE_1)
	v_cndmask_b32_e64 v1, 0, 1, s16
	global_store_b8 v2, v1, s[0:1]
	s_wait_xcnt 0x0
	s_or_b32 exec_lo, exec_lo, s14
	s_mov_b32 s14, exec_lo
	v_cmpx_gt_i32_e64 s36, v0
	s_cbranch_execnz .LBB338_188
.LBB338_203:
	s_or_b32 exec_lo, exec_lo, s14
	s_delay_alu instid0(SALU_CYCLE_1)
	s_mov_b32 s14, exec_lo
	v_cmpx_gt_i32_e64 s36, v0
	s_cbranch_execz .LBB338_219
.LBB338_204:
	s_and_not1_b32 vcc_lo, exec_lo, s33
	s_cbranch_vccnz .LBB338_209
; %bb.205:
	s_and_not1_b32 vcc_lo, exec_lo, s38
	s_cbranch_vccnz .LBB338_210
; %bb.206:
	s_add_co_i32 s16, s37, 1
	s_cmp_eq_u32 s31, 2
	s_cbranch_scc1 .LBB338_222
; %bb.207:
	v_dual_mov_b32 v2, 0 :: v_dual_mov_b32 v3, 0
	v_mov_b32_e32 v1, v0
	s_and_b32 s24, s16, 28
	s_mov_b32 s25, 0
	s_mov_b64 s[26:27], s[12:13]
	s_mov_b64 s[28:29], s[22:23]
.LBB338_208:                            ; =>This Inner Loop Header: Depth=1
	s_clause 0x1
	s_load_b256 s[40:47], s[26:27], 0x4
	s_load_b128 s[56:59], s[26:27], 0x24
	s_load_b256 s[48:55], s[28:29], 0x0
	s_add_co_i32 s25, s25, 4
	s_wait_xcnt 0x0
	s_add_nc_u64 s[26:27], s[26:27], 48
	s_cmp_eq_u32 s24, s25
	s_add_nc_u64 s[28:29], s[28:29], 32
	s_wait_kmcnt 0x0
	v_mul_hi_u32 v4, s41, v1
	s_delay_alu instid0(VALU_DEP_1) | instskip(NEXT) | instid1(VALU_DEP_1)
	v_add_nc_u32_e32 v4, v1, v4
	v_lshrrev_b32_e32 v4, s42, v4
	s_delay_alu instid0(VALU_DEP_1) | instskip(NEXT) | instid1(VALU_DEP_1)
	v_mul_hi_u32 v5, s44, v4
	v_add_nc_u32_e32 v5, v4, v5
	s_delay_alu instid0(VALU_DEP_1) | instskip(NEXT) | instid1(VALU_DEP_1)
	v_lshrrev_b32_e32 v5, s45, v5
	v_mul_hi_u32 v6, s47, v5
	s_delay_alu instid0(VALU_DEP_1) | instskip(SKIP_1) | instid1(VALU_DEP_1)
	v_add_nc_u32_e32 v6, v5, v6
	v_mul_lo_u32 v7, v4, s40
	v_sub_nc_u32_e32 v1, v1, v7
	v_mul_lo_u32 v7, v5, s43
	s_delay_alu instid0(VALU_DEP_4) | instskip(NEXT) | instid1(VALU_DEP_3)
	v_lshrrev_b32_e32 v6, s56, v6
	v_mad_u32 v3, v1, s49, v3
	v_mad_u32 v1, v1, s48, v2
	s_delay_alu instid0(VALU_DEP_4) | instskip(NEXT) | instid1(VALU_DEP_4)
	v_sub_nc_u32_e32 v2, v4, v7
	v_mul_hi_u32 v8, s58, v6
	v_mul_lo_u32 v4, v6, s46
	s_delay_alu instid0(VALU_DEP_3) | instskip(SKIP_1) | instid1(VALU_DEP_4)
	v_mad_u32 v3, v2, s51, v3
	v_mad_u32 v2, v2, s50, v1
	v_add_nc_u32_e32 v7, v6, v8
	s_delay_alu instid0(VALU_DEP_1) | instskip(NEXT) | instid1(VALU_DEP_1)
	v_dual_sub_nc_u32 v4, v5, v4 :: v_dual_lshrrev_b32 v1, s59, v7
	v_mad_u32 v3, v4, s53, v3
	s_delay_alu instid0(VALU_DEP_4) | instskip(NEXT) | instid1(VALU_DEP_3)
	v_mad_u32 v2, v4, s52, v2
	v_mul_lo_u32 v5, v1, s57
	s_delay_alu instid0(VALU_DEP_1) | instskip(NEXT) | instid1(VALU_DEP_1)
	v_sub_nc_u32_e32 v4, v6, v5
	v_mad_u32 v3, v4, s55, v3
	s_delay_alu instid0(VALU_DEP_4)
	v_mad_u32 v2, v4, s54, v2
	s_cbranch_scc0 .LBB338_208
	s_branch .LBB338_223
.LBB338_209:
                                        ; implicit-def: $vgpr3
	s_branch .LBB338_227
.LBB338_210:
	v_dual_mov_b32 v3, 0 :: v_dual_mov_b32 v2, 0
	s_branch .LBB338_226
.LBB338_211:
	v_mov_b64_e32 v[2:3], 0
	v_mov_b32_e32 v1, v0
	s_mov_b32 s24, 0
.LBB338_212:
	s_and_b32 s16, s16, 3
	s_mov_b32 s25, 0
	s_cmp_eq_u32 s16, 0
	s_cbranch_scc1 .LBB338_215
; %bb.213:
	s_lshl_b32 s26, s24, 3
	s_mov_b32 s27, s25
	s_mul_u64 s[28:29], s[24:25], 12
	s_add_nc_u64 s[26:27], s[12:13], s[26:27]
	s_delay_alu instid0(SALU_CYCLE_1)
	s_add_nc_u64 s[24:25], s[26:27], 0xc4
	s_add_nc_u64 s[26:27], s[12:13], s[28:29]
.LBB338_214:                            ; =>This Inner Loop Header: Depth=1
	s_load_b96 s[40:42], s[26:27], 0x4
	s_load_b64 s[28:29], s[24:25], 0x0
	s_add_co_i32 s16, s16, -1
	s_wait_xcnt 0x0
	s_add_nc_u64 s[26:27], s[26:27], 12
	s_cmp_lg_u32 s16, 0
	s_add_nc_u64 s[24:25], s[24:25], 8
	s_wait_kmcnt 0x0
	v_mul_hi_u32 v4, s41, v1
	s_delay_alu instid0(VALU_DEP_1) | instskip(NEXT) | instid1(VALU_DEP_1)
	v_add_nc_u32_e32 v4, v1, v4
	v_lshrrev_b32_e32 v4, s42, v4
	s_delay_alu instid0(VALU_DEP_1) | instskip(NEXT) | instid1(VALU_DEP_1)
	v_mul_lo_u32 v5, v4, s40
	v_sub_nc_u32_e32 v1, v1, v5
	s_delay_alu instid0(VALU_DEP_1)
	v_mad_u32 v3, v1, s29, v3
	v_mad_u32 v2, v1, s28, v2
	v_mov_b32_e32 v1, v4
	s_cbranch_scc1 .LBB338_214
.LBB338_215:
	s_cbranch_execnz .LBB338_218
.LBB338_216:
	v_mov_b32_e32 v1, 0
	s_and_not1_b32 vcc_lo, exec_lo, s35
	s_delay_alu instid0(VALU_DEP_1) | instskip(NEXT) | instid1(VALU_DEP_1)
	v_mul_u64_e32 v[2:3], s[18:19], v[0:1]
	v_add_nc_u32_e32 v2, v0, v3
	s_delay_alu instid0(VALU_DEP_1) | instskip(NEXT) | instid1(VALU_DEP_1)
	v_lshrrev_b32_e32 v4, s6, v2
	v_mul_lo_u32 v2, v4, s4
	s_delay_alu instid0(VALU_DEP_1) | instskip(NEXT) | instid1(VALU_DEP_1)
	v_sub_nc_u32_e32 v2, v0, v2
	v_mul_lo_u32 v3, v2, s9
	v_mul_lo_u32 v2, v2, s8
	s_cbranch_vccnz .LBB338_218
; %bb.217:
	v_mov_b32_e32 v5, v1
	s_delay_alu instid0(VALU_DEP_1) | instskip(NEXT) | instid1(VALU_DEP_1)
	v_mul_u64_e32 v[6:7], s[20:21], v[4:5]
	v_add_nc_u32_e32 v1, v4, v7
	s_delay_alu instid0(VALU_DEP_1) | instskip(NEXT) | instid1(VALU_DEP_1)
	v_lshrrev_b32_e32 v1, s17, v1
	v_mul_lo_u32 v1, v1, s7
	s_delay_alu instid0(VALU_DEP_1) | instskip(NEXT) | instid1(VALU_DEP_1)
	v_sub_nc_u32_e32 v1, v4, v1
	v_mad_u32 v2, v1, s10, v2
	v_mad_u32 v3, v1, s11, v3
.LBB338_218:
	global_load_u16 v1, v3, s[2:3]
	v_add_nc_u32_e32 v0, 0x80, v0
	s_wait_loadcnt 0x0
	v_cmp_ne_u16_e32 vcc_lo, s15, v1
	s_xor_b32 s16, s5, vcc_lo
	s_delay_alu instid0(SALU_CYCLE_1) | instskip(SKIP_3) | instid1(SALU_CYCLE_1)
	v_cndmask_b32_e64 v1, 0, 1, s16
	global_store_b8 v2, v1, s[0:1]
	s_wait_xcnt 0x0
	s_or_b32 exec_lo, exec_lo, s14
	s_mov_b32 s14, exec_lo
	v_cmpx_gt_i32_e64 s36, v0
	s_cbranch_execnz .LBB338_204
.LBB338_219:
	s_or_b32 exec_lo, exec_lo, s14
	s_delay_alu instid0(SALU_CYCLE_1)
	s_mov_b32 s14, exec_lo
	v_cmpx_gt_i32_e64 s36, v0
	s_cbranch_execnz .LBB338_230
.LBB338_220:
	s_or_b32 exec_lo, exec_lo, s14
                                        ; implicit-def: $vgpr16
                                        ; implicit-def: $vgpr0
	s_and_not1_saveexec_b32 s0, s34
	s_cbranch_execnz .LBB338_8
.LBB338_221:
	s_endpgm
.LBB338_222:
	v_mov_b64_e32 v[2:3], 0
	v_mov_b32_e32 v1, v0
	s_mov_b32 s24, 0
.LBB338_223:
	s_and_b32 s16, s16, 3
	s_mov_b32 s25, 0
	s_cmp_eq_u32 s16, 0
	s_cbranch_scc1 .LBB338_226
; %bb.224:
	s_lshl_b32 s26, s24, 3
	s_mov_b32 s27, s25
	s_mul_u64 s[28:29], s[24:25], 12
	s_add_nc_u64 s[26:27], s[12:13], s[26:27]
	s_delay_alu instid0(SALU_CYCLE_1)
	s_add_nc_u64 s[24:25], s[26:27], 0xc4
	s_add_nc_u64 s[26:27], s[12:13], s[28:29]
.LBB338_225:                            ; =>This Inner Loop Header: Depth=1
	s_load_b96 s[40:42], s[26:27], 0x4
	s_load_b64 s[28:29], s[24:25], 0x0
	s_add_co_i32 s16, s16, -1
	s_wait_xcnt 0x0
	s_add_nc_u64 s[26:27], s[26:27], 12
	s_cmp_lg_u32 s16, 0
	s_add_nc_u64 s[24:25], s[24:25], 8
	s_wait_kmcnt 0x0
	v_mul_hi_u32 v4, s41, v1
	s_delay_alu instid0(VALU_DEP_1) | instskip(NEXT) | instid1(VALU_DEP_1)
	v_add_nc_u32_e32 v4, v1, v4
	v_lshrrev_b32_e32 v4, s42, v4
	s_delay_alu instid0(VALU_DEP_1) | instskip(NEXT) | instid1(VALU_DEP_1)
	v_mul_lo_u32 v5, v4, s40
	v_sub_nc_u32_e32 v1, v1, v5
	s_delay_alu instid0(VALU_DEP_1)
	v_mad_u32 v3, v1, s29, v3
	v_mad_u32 v2, v1, s28, v2
	v_mov_b32_e32 v1, v4
	s_cbranch_scc1 .LBB338_225
.LBB338_226:
	s_cbranch_execnz .LBB338_229
.LBB338_227:
	v_mov_b32_e32 v1, 0
	s_and_not1_b32 vcc_lo, exec_lo, s35
	s_delay_alu instid0(VALU_DEP_1) | instskip(NEXT) | instid1(VALU_DEP_1)
	v_mul_u64_e32 v[2:3], s[18:19], v[0:1]
	v_add_nc_u32_e32 v2, v0, v3
	s_delay_alu instid0(VALU_DEP_1) | instskip(NEXT) | instid1(VALU_DEP_1)
	v_lshrrev_b32_e32 v4, s6, v2
	v_mul_lo_u32 v2, v4, s4
	s_delay_alu instid0(VALU_DEP_1) | instskip(NEXT) | instid1(VALU_DEP_1)
	v_sub_nc_u32_e32 v2, v0, v2
	v_mul_lo_u32 v3, v2, s9
	v_mul_lo_u32 v2, v2, s8
	s_cbranch_vccnz .LBB338_229
; %bb.228:
	v_mov_b32_e32 v5, v1
	s_delay_alu instid0(VALU_DEP_1) | instskip(NEXT) | instid1(VALU_DEP_1)
	v_mul_u64_e32 v[6:7], s[20:21], v[4:5]
	v_add_nc_u32_e32 v1, v4, v7
	s_delay_alu instid0(VALU_DEP_1) | instskip(NEXT) | instid1(VALU_DEP_1)
	v_lshrrev_b32_e32 v1, s17, v1
	v_mul_lo_u32 v1, v1, s7
	s_delay_alu instid0(VALU_DEP_1) | instskip(NEXT) | instid1(VALU_DEP_1)
	v_sub_nc_u32_e32 v1, v4, v1
	v_mad_u32 v2, v1, s10, v2
	v_mad_u32 v3, v1, s11, v3
.LBB338_229:
	global_load_u16 v1, v3, s[2:3]
	v_add_nc_u32_e32 v0, 0x80, v0
	s_wait_loadcnt 0x0
	v_cmp_ne_u16_e32 vcc_lo, s15, v1
	s_xor_b32 s16, s5, vcc_lo
	s_delay_alu instid0(SALU_CYCLE_1) | instskip(SKIP_3) | instid1(SALU_CYCLE_1)
	v_cndmask_b32_e64 v1, 0, 1, s16
	global_store_b8 v2, v1, s[0:1]
	s_wait_xcnt 0x0
	s_or_b32 exec_lo, exec_lo, s14
	s_mov_b32 s14, exec_lo
	v_cmpx_gt_i32_e64 s36, v0
	s_cbranch_execz .LBB338_220
.LBB338_230:
	s_and_not1_b32 vcc_lo, exec_lo, s33
	s_cbranch_vccnz .LBB338_235
; %bb.231:
	s_and_not1_b32 vcc_lo, exec_lo, s38
	s_cbranch_vccnz .LBB338_236
; %bb.232:
	s_add_co_i32 s37, s37, 1
	s_cmp_eq_u32 s31, 2
	s_cbranch_scc1 .LBB338_237
; %bb.233:
	v_dual_mov_b32 v2, 0 :: v_dual_mov_b32 v3, 0
	v_mov_b32_e32 v1, v0
	s_and_b32 s24, s37, 28
	s_mov_b32 s16, 0
	s_mov_b64 s[26:27], s[12:13]
.LBB338_234:                            ; =>This Inner Loop Header: Depth=1
	s_clause 0x1
	s_load_b256 s[40:47], s[26:27], 0x4
	s_load_b128 s[56:59], s[26:27], 0x24
	s_load_b256 s[48:55], s[22:23], 0x0
	s_add_co_i32 s16, s16, 4
	s_wait_xcnt 0x0
	s_add_nc_u64 s[26:27], s[26:27], 48
	s_cmp_eq_u32 s24, s16
	s_add_nc_u64 s[22:23], s[22:23], 32
	s_wait_kmcnt 0x0
	v_mul_hi_u32 v4, s41, v1
	s_delay_alu instid0(VALU_DEP_1) | instskip(NEXT) | instid1(VALU_DEP_1)
	v_add_nc_u32_e32 v4, v1, v4
	v_lshrrev_b32_e32 v4, s42, v4
	s_delay_alu instid0(VALU_DEP_1) | instskip(NEXT) | instid1(VALU_DEP_1)
	v_mul_hi_u32 v5, s44, v4
	v_add_nc_u32_e32 v5, v4, v5
	s_delay_alu instid0(VALU_DEP_1) | instskip(NEXT) | instid1(VALU_DEP_1)
	v_lshrrev_b32_e32 v5, s45, v5
	v_mul_hi_u32 v6, s47, v5
	s_delay_alu instid0(VALU_DEP_1) | instskip(SKIP_1) | instid1(VALU_DEP_1)
	v_add_nc_u32_e32 v6, v5, v6
	v_mul_lo_u32 v7, v4, s40
	v_sub_nc_u32_e32 v1, v1, v7
	v_mul_lo_u32 v7, v5, s43
	s_delay_alu instid0(VALU_DEP_4) | instskip(NEXT) | instid1(VALU_DEP_3)
	v_lshrrev_b32_e32 v6, s56, v6
	v_mad_u32 v3, v1, s49, v3
	v_mad_u32 v1, v1, s48, v2
	s_delay_alu instid0(VALU_DEP_4) | instskip(NEXT) | instid1(VALU_DEP_4)
	v_sub_nc_u32_e32 v2, v4, v7
	v_mul_hi_u32 v8, s58, v6
	v_mul_lo_u32 v4, v6, s46
	s_delay_alu instid0(VALU_DEP_3) | instskip(SKIP_1) | instid1(VALU_DEP_4)
	v_mad_u32 v3, v2, s51, v3
	v_mad_u32 v2, v2, s50, v1
	v_add_nc_u32_e32 v7, v6, v8
	s_delay_alu instid0(VALU_DEP_1) | instskip(NEXT) | instid1(VALU_DEP_1)
	v_dual_sub_nc_u32 v4, v5, v4 :: v_dual_lshrrev_b32 v1, s59, v7
	v_mad_u32 v3, v4, s53, v3
	s_delay_alu instid0(VALU_DEP_4) | instskip(NEXT) | instid1(VALU_DEP_3)
	v_mad_u32 v2, v4, s52, v2
	v_mul_lo_u32 v5, v1, s57
	s_delay_alu instid0(VALU_DEP_1) | instskip(NEXT) | instid1(VALU_DEP_1)
	v_sub_nc_u32_e32 v4, v6, v5
	v_mad_u32 v3, v4, s55, v3
	s_delay_alu instid0(VALU_DEP_4)
	v_mad_u32 v2, v4, s54, v2
	s_cbranch_scc0 .LBB338_234
	s_branch .LBB338_238
.LBB338_235:
                                        ; implicit-def: $vgpr3
	s_branch .LBB338_242
.LBB338_236:
	v_dual_mov_b32 v3, 0 :: v_dual_mov_b32 v2, 0
	s_branch .LBB338_241
.LBB338_237:
	v_mov_b64_e32 v[2:3], 0
	v_mov_b32_e32 v1, v0
	s_mov_b32 s24, 0
.LBB338_238:
	s_and_b32 s16, s37, 3
	s_mov_b32 s25, 0
	s_cmp_eq_u32 s16, 0
	s_cbranch_scc1 .LBB338_241
; %bb.239:
	s_lshl_b32 s22, s24, 3
	s_mov_b32 s23, s25
	s_mul_u64 s[24:25], s[24:25], 12
	s_add_nc_u64 s[22:23], s[12:13], s[22:23]
	s_add_nc_u64 s[24:25], s[12:13], s[24:25]
	;; [unrolled: 1-line block ×3, first 2 shown]
.LBB338_240:                            ; =>This Inner Loop Header: Depth=1
	s_load_b96 s[36:38], s[24:25], 0x4
	s_load_b64 s[26:27], s[22:23], 0x0
	s_add_co_i32 s16, s16, -1
	s_wait_xcnt 0x0
	s_add_nc_u64 s[24:25], s[24:25], 12
	s_cmp_lg_u32 s16, 0
	s_add_nc_u64 s[22:23], s[22:23], 8
	s_wait_kmcnt 0x0
	v_mul_hi_u32 v4, s37, v1
	s_delay_alu instid0(VALU_DEP_1) | instskip(NEXT) | instid1(VALU_DEP_1)
	v_add_nc_u32_e32 v4, v1, v4
	v_lshrrev_b32_e32 v4, s38, v4
	s_delay_alu instid0(VALU_DEP_1) | instskip(NEXT) | instid1(VALU_DEP_1)
	v_mul_lo_u32 v5, v4, s36
	v_sub_nc_u32_e32 v1, v1, v5
	s_delay_alu instid0(VALU_DEP_1)
	v_mad_u32 v3, v1, s27, v3
	v_mad_u32 v2, v1, s26, v2
	v_mov_b32_e32 v1, v4
	s_cbranch_scc1 .LBB338_240
.LBB338_241:
	s_cbranch_execnz .LBB338_244
.LBB338_242:
	v_mov_b32_e32 v1, 0
	s_and_not1_b32 vcc_lo, exec_lo, s35
	s_delay_alu instid0(VALU_DEP_1) | instskip(NEXT) | instid1(VALU_DEP_1)
	v_mul_u64_e32 v[2:3], s[18:19], v[0:1]
	v_add_nc_u32_e32 v2, v0, v3
	s_delay_alu instid0(VALU_DEP_1) | instskip(NEXT) | instid1(VALU_DEP_1)
	v_lshrrev_b32_e32 v4, s6, v2
	v_mul_lo_u32 v2, v4, s4
	s_delay_alu instid0(VALU_DEP_1) | instskip(NEXT) | instid1(VALU_DEP_1)
	v_sub_nc_u32_e32 v0, v0, v2
	v_mul_lo_u32 v3, v0, s9
	v_mul_lo_u32 v2, v0, s8
	s_cbranch_vccnz .LBB338_244
; %bb.243:
	v_mov_b32_e32 v5, v1
	s_delay_alu instid0(VALU_DEP_1) | instskip(NEXT) | instid1(VALU_DEP_1)
	v_mul_u64_e32 v[0:1], s[20:21], v[4:5]
	v_add_nc_u32_e32 v0, v4, v1
	s_delay_alu instid0(VALU_DEP_1) | instskip(NEXT) | instid1(VALU_DEP_1)
	v_lshrrev_b32_e32 v0, s17, v0
	v_mul_lo_u32 v0, v0, s7
	s_delay_alu instid0(VALU_DEP_1) | instskip(NEXT) | instid1(VALU_DEP_1)
	v_sub_nc_u32_e32 v0, v4, v0
	v_mad_u32 v2, v0, s10, v2
	v_mad_u32 v3, v0, s11, v3
.LBB338_244:
	global_load_u16 v0, v3, s[2:3]
	s_wait_loadcnt 0x0
	v_cmp_ne_u16_e32 vcc_lo, s15, v0
	s_wait_xcnt 0x0
	s_xor_b32 s2, s5, vcc_lo
	s_delay_alu instid0(SALU_CYCLE_1)
	v_cndmask_b32_e64 v0, 0, 1, s2
	global_store_b8 v2, v0, s[0:1]
	s_wait_xcnt 0x0
	s_or_b32 exec_lo, exec_lo, s14
                                        ; implicit-def: $vgpr16
                                        ; implicit-def: $vgpr0
	s_and_not1_saveexec_b32 s0, s34
	s_cbranch_execz .LBB338_221
	s_branch .LBB338_8
	.section	.rodata,"a",@progbits
	.p2align	6, 0x0
	.amdhsa_kernel _ZN2at6native32elementwise_kernel_manual_unrollILi128ELi8EZNS0_22gpu_kernel_impl_nocastINS0_13AUnaryFunctorIttbNS0_12_GLOBAL__N_116CompareEqFunctorItEEEEEEvRNS_18TensorIteratorBaseERKT_EUlibE_EEviT1_
		.amdhsa_group_segment_fixed_size 0
		.amdhsa_private_segment_fixed_size 0
		.amdhsa_kernarg_size 360
		.amdhsa_user_sgpr_count 2
		.amdhsa_user_sgpr_dispatch_ptr 0
		.amdhsa_user_sgpr_queue_ptr 0
		.amdhsa_user_sgpr_kernarg_segment_ptr 1
		.amdhsa_user_sgpr_dispatch_id 0
		.amdhsa_user_sgpr_kernarg_preload_length 0
		.amdhsa_user_sgpr_kernarg_preload_offset 0
		.amdhsa_user_sgpr_private_segment_size 0
		.amdhsa_wavefront_size32 1
		.amdhsa_uses_dynamic_stack 0
		.amdhsa_enable_private_segment 0
		.amdhsa_system_sgpr_workgroup_id_x 1
		.amdhsa_system_sgpr_workgroup_id_y 0
		.amdhsa_system_sgpr_workgroup_id_z 0
		.amdhsa_system_sgpr_workgroup_info 0
		.amdhsa_system_vgpr_workitem_id 0
		.amdhsa_next_free_vgpr 24
		.amdhsa_next_free_sgpr 60
		.amdhsa_named_barrier_count 0
		.amdhsa_reserve_vcc 1
		.amdhsa_float_round_mode_32 0
		.amdhsa_float_round_mode_16_64 0
		.amdhsa_float_denorm_mode_32 3
		.amdhsa_float_denorm_mode_16_64 3
		.amdhsa_fp16_overflow 0
		.amdhsa_memory_ordered 1
		.amdhsa_forward_progress 1
		.amdhsa_inst_pref_size 99
		.amdhsa_round_robin_scheduling 0
		.amdhsa_exception_fp_ieee_invalid_op 0
		.amdhsa_exception_fp_denorm_src 0
		.amdhsa_exception_fp_ieee_div_zero 0
		.amdhsa_exception_fp_ieee_overflow 0
		.amdhsa_exception_fp_ieee_underflow 0
		.amdhsa_exception_fp_ieee_inexact 0
		.amdhsa_exception_int_div_zero 0
	.end_amdhsa_kernel
	.section	.text._ZN2at6native32elementwise_kernel_manual_unrollILi128ELi8EZNS0_22gpu_kernel_impl_nocastINS0_13AUnaryFunctorIttbNS0_12_GLOBAL__N_116CompareEqFunctorItEEEEEEvRNS_18TensorIteratorBaseERKT_EUlibE_EEviT1_,"axG",@progbits,_ZN2at6native32elementwise_kernel_manual_unrollILi128ELi8EZNS0_22gpu_kernel_impl_nocastINS0_13AUnaryFunctorIttbNS0_12_GLOBAL__N_116CompareEqFunctorItEEEEEEvRNS_18TensorIteratorBaseERKT_EUlibE_EEviT1_,comdat
.Lfunc_end338:
	.size	_ZN2at6native32elementwise_kernel_manual_unrollILi128ELi8EZNS0_22gpu_kernel_impl_nocastINS0_13AUnaryFunctorIttbNS0_12_GLOBAL__N_116CompareEqFunctorItEEEEEEvRNS_18TensorIteratorBaseERKT_EUlibE_EEviT1_, .Lfunc_end338-_ZN2at6native32elementwise_kernel_manual_unrollILi128ELi8EZNS0_22gpu_kernel_impl_nocastINS0_13AUnaryFunctorIttbNS0_12_GLOBAL__N_116CompareEqFunctorItEEEEEEvRNS_18TensorIteratorBaseERKT_EUlibE_EEviT1_
                                        ; -- End function
	.set _ZN2at6native32elementwise_kernel_manual_unrollILi128ELi8EZNS0_22gpu_kernel_impl_nocastINS0_13AUnaryFunctorIttbNS0_12_GLOBAL__N_116CompareEqFunctorItEEEEEEvRNS_18TensorIteratorBaseERKT_EUlibE_EEviT1_.num_vgpr, 24
	.set _ZN2at6native32elementwise_kernel_manual_unrollILi128ELi8EZNS0_22gpu_kernel_impl_nocastINS0_13AUnaryFunctorIttbNS0_12_GLOBAL__N_116CompareEqFunctorItEEEEEEvRNS_18TensorIteratorBaseERKT_EUlibE_EEviT1_.num_agpr, 0
	.set _ZN2at6native32elementwise_kernel_manual_unrollILi128ELi8EZNS0_22gpu_kernel_impl_nocastINS0_13AUnaryFunctorIttbNS0_12_GLOBAL__N_116CompareEqFunctorItEEEEEEvRNS_18TensorIteratorBaseERKT_EUlibE_EEviT1_.numbered_sgpr, 60
	.set _ZN2at6native32elementwise_kernel_manual_unrollILi128ELi8EZNS0_22gpu_kernel_impl_nocastINS0_13AUnaryFunctorIttbNS0_12_GLOBAL__N_116CompareEqFunctorItEEEEEEvRNS_18TensorIteratorBaseERKT_EUlibE_EEviT1_.num_named_barrier, 0
	.set _ZN2at6native32elementwise_kernel_manual_unrollILi128ELi8EZNS0_22gpu_kernel_impl_nocastINS0_13AUnaryFunctorIttbNS0_12_GLOBAL__N_116CompareEqFunctorItEEEEEEvRNS_18TensorIteratorBaseERKT_EUlibE_EEviT1_.private_seg_size, 0
	.set _ZN2at6native32elementwise_kernel_manual_unrollILi128ELi8EZNS0_22gpu_kernel_impl_nocastINS0_13AUnaryFunctorIttbNS0_12_GLOBAL__N_116CompareEqFunctorItEEEEEEvRNS_18TensorIteratorBaseERKT_EUlibE_EEviT1_.uses_vcc, 1
	.set _ZN2at6native32elementwise_kernel_manual_unrollILi128ELi8EZNS0_22gpu_kernel_impl_nocastINS0_13AUnaryFunctorIttbNS0_12_GLOBAL__N_116CompareEqFunctorItEEEEEEvRNS_18TensorIteratorBaseERKT_EUlibE_EEviT1_.uses_flat_scratch, 0
	.set _ZN2at6native32elementwise_kernel_manual_unrollILi128ELi8EZNS0_22gpu_kernel_impl_nocastINS0_13AUnaryFunctorIttbNS0_12_GLOBAL__N_116CompareEqFunctorItEEEEEEvRNS_18TensorIteratorBaseERKT_EUlibE_EEviT1_.has_dyn_sized_stack, 0
	.set _ZN2at6native32elementwise_kernel_manual_unrollILi128ELi8EZNS0_22gpu_kernel_impl_nocastINS0_13AUnaryFunctorIttbNS0_12_GLOBAL__N_116CompareEqFunctorItEEEEEEvRNS_18TensorIteratorBaseERKT_EUlibE_EEviT1_.has_recursion, 0
	.set _ZN2at6native32elementwise_kernel_manual_unrollILi128ELi8EZNS0_22gpu_kernel_impl_nocastINS0_13AUnaryFunctorIttbNS0_12_GLOBAL__N_116CompareEqFunctorItEEEEEEvRNS_18TensorIteratorBaseERKT_EUlibE_EEviT1_.has_indirect_call, 0
	.section	.AMDGPU.csdata,"",@progbits
; Kernel info:
; codeLenInByte = 12616
; TotalNumSgprs: 62
; NumVgprs: 24
; ScratchSize: 0
; MemoryBound: 0
; FloatMode: 240
; IeeeMode: 1
; LDSByteSize: 0 bytes/workgroup (compile time only)
; SGPRBlocks: 0
; VGPRBlocks: 1
; NumSGPRsForWavesPerEU: 62
; NumVGPRsForWavesPerEU: 24
; NamedBarCnt: 0
; Occupancy: 16
; WaveLimiterHint : 1
; COMPUTE_PGM_RSRC2:SCRATCH_EN: 0
; COMPUTE_PGM_RSRC2:USER_SGPR: 2
; COMPUTE_PGM_RSRC2:TRAP_HANDLER: 0
; COMPUTE_PGM_RSRC2:TGID_X_EN: 1
; COMPUTE_PGM_RSRC2:TGID_Y_EN: 0
; COMPUTE_PGM_RSRC2:TGID_Z_EN: 0
; COMPUTE_PGM_RSRC2:TIDIG_COMP_CNT: 0
	.section	.text._ZN2at6native32elementwise_kernel_manual_unrollILi128ELi4EZNS0_15gpu_kernel_implINS0_13AUnaryFunctorIttbNS0_12_GLOBAL__N_116CompareEqFunctorItEEEEEEvRNS_18TensorIteratorBaseERKT_EUlibE_EEviT1_,"axG",@progbits,_ZN2at6native32elementwise_kernel_manual_unrollILi128ELi4EZNS0_15gpu_kernel_implINS0_13AUnaryFunctorIttbNS0_12_GLOBAL__N_116CompareEqFunctorItEEEEEEvRNS_18TensorIteratorBaseERKT_EUlibE_EEviT1_,comdat
	.globl	_ZN2at6native32elementwise_kernel_manual_unrollILi128ELi4EZNS0_15gpu_kernel_implINS0_13AUnaryFunctorIttbNS0_12_GLOBAL__N_116CompareEqFunctorItEEEEEEvRNS_18TensorIteratorBaseERKT_EUlibE_EEviT1_ ; -- Begin function _ZN2at6native32elementwise_kernel_manual_unrollILi128ELi4EZNS0_15gpu_kernel_implINS0_13AUnaryFunctorIttbNS0_12_GLOBAL__N_116CompareEqFunctorItEEEEEEvRNS_18TensorIteratorBaseERKT_EUlibE_EEviT1_
	.p2align	8
	.type	_ZN2at6native32elementwise_kernel_manual_unrollILi128ELi4EZNS0_15gpu_kernel_implINS0_13AUnaryFunctorIttbNS0_12_GLOBAL__N_116CompareEqFunctorItEEEEEEvRNS_18TensorIteratorBaseERKT_EUlibE_EEviT1_,@function
_ZN2at6native32elementwise_kernel_manual_unrollILi128ELi4EZNS0_15gpu_kernel_implINS0_13AUnaryFunctorIttbNS0_12_GLOBAL__N_116CompareEqFunctorItEEEEEEvRNS_18TensorIteratorBaseERKT_EUlibE_EEviT1_: ; @_ZN2at6native32elementwise_kernel_manual_unrollILi128ELi4EZNS0_15gpu_kernel_implINS0_13AUnaryFunctorIttbNS0_12_GLOBAL__N_116CompareEqFunctorItEEEEEEvRNS_18TensorIteratorBaseERKT_EUlibE_EEviT1_
; %bb.0:
	s_load_b32 s2, s[0:1], 0x28
	s_bfe_u32 s3, ttmp6, 0x4000c
	s_clause 0x1
	s_load_b32 s14, s[0:1], 0x0
	s_load_b256 s[4:11], s[0:1], 0x8
	s_add_co_i32 s3, s3, 1
	s_and_b32 s12, ttmp6, 15
	s_wait_xcnt 0x0
	s_mul_i32 s0, ttmp9, s3
	s_getreg_b32 s13, hwreg(HW_REG_IB_STS2, 6, 4)
	s_add_co_i32 s12, s12, s0
	s_mov_b32 s1, 0
	s_wait_kmcnt 0x0
	s_bfe_u32 s3, s2, 0x80008
	s_cmp_eq_u32 s13, 0
	s_mov_b32 s13, 0
	s_cselect_b32 s0, ttmp9, s12
	s_delay_alu instid0(SALU_CYCLE_1) | instskip(SKIP_1) | instid1(VALU_DEP_1)
	v_lshl_or_b32 v10, s0, 9, v0
	s_mov_b32 s0, exec_lo
	v_or_b32_e32 v0, 0x180, v10
	s_delay_alu instid0(VALU_DEP_1)
	v_cmpx_le_i32_e64 s14, v0
	s_xor_b32 s12, exec_lo, s0
	s_cbranch_execz .LBB339_1015
; %bb.1:
	s_cmp_eq_u32 s10, 0
	s_mov_b32 s18, 0
	s_cselect_b32 s13, -1, 0
	s_mov_b32 s20, -1
	s_mov_b32 s16, 0
	s_mov_b32 s15, 0
	s_mov_b32 s17, exec_lo
	v_cmpx_gt_i32_e64 s14, v10
	s_cbranch_execz .LBB339_248
; %bb.2:
	v_mul_lo_u32 v0, v10, s9
	s_and_b32 s0, 0xffff, s3
	s_delay_alu instid0(SALU_CYCLE_1) | instskip(NEXT) | instid1(VALU_DEP_1)
	s_cmp_lt_i32 s0, 11
	v_ashrrev_i32_e32 v1, 31, v0
	s_delay_alu instid0(VALU_DEP_1)
	v_add_nc_u64_e32 v[0:1], s[6:7], v[0:1]
	s_cbranch_scc1 .LBB339_9
; %bb.3:
	s_cmp_gt_i32 s0, 25
	s_cbranch_scc0 .LBB339_18
; %bb.4:
	s_cmp_gt_i32 s0, 28
	s_cbranch_scc0 .LBB339_21
; %bb.5:
	s_cmp_gt_i32 s0, 43
	s_cbranch_scc0 .LBB339_23
; %bb.6:
	s_cmp_gt_i32 s0, 45
	s_cbranch_scc0 .LBB339_25
; %bb.7:
	s_cmp_eq_u32 s0, 46
	s_mov_b32 s19, 0
	s_cbranch_scc0 .LBB339_27
; %bb.8:
	global_load_b32 v2, v[0:1], off
	s_mov_b32 s15, -1
	s_wait_loadcnt 0x0
	v_lshlrev_b32_e32 v2, 16, v2
	s_delay_alu instid0(VALU_DEP_1)
	v_cvt_u32_f32_e32 v2, v2
	s_branch .LBB339_29
.LBB339_9:
                                        ; implicit-def: $vgpr2
	s_cbranch_execnz .LBB339_198
.LBB339_10:
	s_and_not1_b32 vcc_lo, exec_lo, s15
	s_cbranch_vccnz .LBB339_245
.LBB339_11:
	s_wait_xcnt 0x0
	v_mul_lo_u32 v0, v10, s8
	s_wait_loadcnt 0x0
	s_delay_alu instid0(VALU_DEP_2) | instskip(SKIP_3) | instid1(VALU_DEP_2)
	v_cmp_ne_u16_e32 vcc_lo, s11, v2
	s_and_b32 s19, s2, 0xff
	s_xor_b32 s15, s13, vcc_lo
	s_cmp_lt_i32 s19, 11
	v_ashrrev_i32_e32 v1, 31, v0
	s_delay_alu instid0(VALU_DEP_1)
	v_add_nc_u64_e32 v[0:1], s[4:5], v[0:1]
	s_cbranch_scc1 .LBB339_19
; %bb.12:
	s_and_b32 s20, 0xffff, s19
	s_delay_alu instid0(SALU_CYCLE_1)
	s_cmp_gt_i32 s20, 25
	s_cbranch_scc0 .LBB339_22
; %bb.13:
	s_cmp_gt_i32 s20, 28
	s_cbranch_scc0 .LBB339_24
; %bb.14:
	s_cmp_gt_i32 s20, 43
	s_cbranch_scc0 .LBB339_26
; %bb.15:
	s_cmp_gt_i32 s20, 45
	s_cbranch_scc0 .LBB339_32
; %bb.16:
	s_mov_b32 s22, 0
	s_mov_b32 s0, -1
	s_cmp_eq_u32 s20, 46
	s_mov_b32 s21, 0
	s_cbranch_scc0 .LBB339_33
; %bb.17:
	v_cndmask_b32_e64 v2, 0, 1.0, s15
	s_mov_b32 s21, -1
	s_mov_b32 s0, 0
	s_delay_alu instid0(VALU_DEP_1) | instskip(NEXT) | instid1(VALU_DEP_1)
	v_bfe_u32 v3, v2, 16, 1
	v_add3_u32 v2, v2, v3, 0x7fff
	s_delay_alu instid0(VALU_DEP_1)
	v_lshrrev_b32_e32 v2, 16, v2
	global_store_b32 v[0:1], v2, off
	s_branch .LBB339_33
.LBB339_18:
                                        ; implicit-def: $vgpr2
	s_cbranch_execnz .LBB339_165
	s_branch .LBB339_197
.LBB339_19:
	s_mov_b32 s0, 0
	s_mov_b32 s21, 0
	s_cbranch_execnz .LBB339_102
.LBB339_20:
	s_and_not1_b32 vcc_lo, exec_lo, s21
	s_cbranch_vccnz .LBB339_246
	s_branch .LBB339_140
.LBB339_21:
	s_mov_b32 s19, -1
                                        ; implicit-def: $vgpr2
	s_branch .LBB339_148
.LBB339_22:
	s_mov_b32 s22, -1
	s_mov_b32 s0, 0
	s_mov_b32 s21, 0
	s_branch .LBB339_60
.LBB339_23:
	s_mov_b32 s19, -1
                                        ; implicit-def: $vgpr2
	s_branch .LBB339_143
.LBB339_24:
	s_mov_b32 s22, -1
	s_mov_b32 s0, 0
	s_mov_b32 s21, 0
	s_branch .LBB339_43
.LBB339_25:
	s_mov_b32 s19, -1
	s_branch .LBB339_28
.LBB339_26:
	s_mov_b32 s22, -1
	s_mov_b32 s0, 0
	s_mov_b32 s21, 0
	s_branch .LBB339_39
.LBB339_27:
	s_mov_b32 s16, -1
.LBB339_28:
                                        ; implicit-def: $vgpr2
.LBB339_29:
	s_and_b32 vcc_lo, exec_lo, s19
	s_cbranch_vccz .LBB339_142
; %bb.30:
	s_cmp_eq_u32 s0, 44
	s_cbranch_scc0 .LBB339_141
; %bb.31:
	global_load_u8 v2, v[0:1], off
	s_mov_b32 s16, 0
	s_mov_b32 s15, -1
	s_wait_loadcnt 0x0
	v_lshlrev_b32_e32 v3, 23, v2
	v_cmp_ne_u32_e32 vcc_lo, 0, v2
	s_delay_alu instid0(VALU_DEP_2) | instskip(NEXT) | instid1(VALU_DEP_1)
	v_cvt_u32_f32_e32 v3, v3
	v_cndmask_b32_e32 v2, 0, v3, vcc_lo
	s_branch .LBB339_142
.LBB339_32:
	s_mov_b32 s22, -1
	s_mov_b32 s0, 0
	s_mov_b32 s21, 0
.LBB339_33:
	s_and_b32 vcc_lo, exec_lo, s22
	s_cbranch_vccz .LBB339_38
; %bb.34:
	s_cmp_eq_u32 s20, 44
	s_mov_b32 s0, -1
	s_cbranch_scc0 .LBB339_38
; %bb.35:
	v_cndmask_b32_e64 v4, 0, 1.0, s15
	s_mov_b32 s21, exec_lo
	s_wait_xcnt 0x0
	s_delay_alu instid0(VALU_DEP_1) | instskip(NEXT) | instid1(VALU_DEP_1)
	v_dual_mov_b32 v3, 0xff :: v_dual_lshrrev_b32 v2, 23, v4
	v_cmpx_ne_u32_e32 0xff, v2
; %bb.36:
	v_and_b32_e32 v3, 0x400000, v4
	v_and_or_b32 v4, 0x3fffff, v4, v2
	s_delay_alu instid0(VALU_DEP_2) | instskip(NEXT) | instid1(VALU_DEP_2)
	v_cmp_ne_u32_e32 vcc_lo, 0, v3
	v_cmp_ne_u32_e64 s0, 0, v4
	s_and_b32 s0, vcc_lo, s0
	s_delay_alu instid0(SALU_CYCLE_1) | instskip(NEXT) | instid1(VALU_DEP_1)
	v_cndmask_b32_e64 v3, 0, 1, s0
	v_add_nc_u32_e32 v3, v2, v3
; %bb.37:
	s_or_b32 exec_lo, exec_lo, s21
	s_mov_b32 s21, -1
	s_mov_b32 s0, 0
	global_store_b8 v[0:1], v3, off
.LBB339_38:
	s_mov_b32 s22, 0
.LBB339_39:
	s_delay_alu instid0(SALU_CYCLE_1)
	s_and_b32 vcc_lo, exec_lo, s22
	s_cbranch_vccz .LBB339_42
; %bb.40:
	s_cmp_eq_u32 s20, 29
	s_mov_b32 s0, -1
	s_cbranch_scc0 .LBB339_42
; %bb.41:
	s_mov_b32 s0, 0
	s_wait_xcnt 0x0
	v_cndmask_b32_e64 v2, 0, 1, s15
	v_mov_b32_e32 v3, s0
	s_mov_b32 s21, -1
	s_mov_b32 s22, 0
	global_store_b64 v[0:1], v[2:3], off
	s_branch .LBB339_43
.LBB339_42:
	s_mov_b32 s22, 0
.LBB339_43:
	s_delay_alu instid0(SALU_CYCLE_1)
	s_and_b32 vcc_lo, exec_lo, s22
	s_cbranch_vccz .LBB339_59
; %bb.44:
	s_cmp_lt_i32 s20, 27
	s_mov_b32 s21, -1
	s_cbranch_scc1 .LBB339_50
; %bb.45:
	s_cmp_gt_i32 s20, 27
	s_cbranch_scc0 .LBB339_47
; %bb.46:
	s_wait_xcnt 0x0
	v_cndmask_b32_e64 v2, 0, 1, s15
	s_mov_b32 s21, 0
	global_store_b32 v[0:1], v2, off
.LBB339_47:
	s_and_not1_b32 vcc_lo, exec_lo, s21
	s_cbranch_vccnz .LBB339_49
; %bb.48:
	s_wait_xcnt 0x0
	v_cndmask_b32_e64 v2, 0, 1, s15
	global_store_b16 v[0:1], v2, off
.LBB339_49:
	s_mov_b32 s21, 0
.LBB339_50:
	s_delay_alu instid0(SALU_CYCLE_1)
	s_and_not1_b32 vcc_lo, exec_lo, s21
	s_cbranch_vccnz .LBB339_58
; %bb.51:
	s_wait_xcnt 0x0
	v_cndmask_b32_e64 v3, 0, 1.0, s15
	v_mov_b32_e32 v4, 0x80
	s_mov_b32 s21, exec_lo
	s_delay_alu instid0(VALU_DEP_2)
	v_cmpx_gt_u32_e32 0x43800000, v3
	s_cbranch_execz .LBB339_57
; %bb.52:
	s_mov_b32 s22, 0
	s_mov_b32 s23, exec_lo
                                        ; implicit-def: $vgpr2
	v_cmpx_lt_u32_e32 0x3bffffff, v3
	s_xor_b32 s23, exec_lo, s23
	s_cbranch_execz .LBB339_275
; %bb.53:
	v_bfe_u32 v2, v3, 20, 1
	s_mov_b32 s22, exec_lo
	s_delay_alu instid0(VALU_DEP_1) | instskip(NEXT) | instid1(VALU_DEP_1)
	v_add3_u32 v2, v3, v2, 0x487ffff
                                        ; implicit-def: $vgpr3
	v_lshrrev_b32_e32 v2, 20, v2
	s_and_not1_saveexec_b32 s23, s23
	s_cbranch_execnz .LBB339_276
.LBB339_54:
	s_or_b32 exec_lo, exec_lo, s23
	v_mov_b32_e32 v4, 0
	s_and_saveexec_b32 s23, s22
.LBB339_55:
	v_mov_b32_e32 v4, v2
.LBB339_56:
	s_or_b32 exec_lo, exec_lo, s23
.LBB339_57:
	s_delay_alu instid0(SALU_CYCLE_1)
	s_or_b32 exec_lo, exec_lo, s21
	global_store_b8 v[0:1], v4, off
.LBB339_58:
	s_mov_b32 s21, -1
.LBB339_59:
	s_mov_b32 s22, 0
.LBB339_60:
	s_delay_alu instid0(SALU_CYCLE_1)
	s_and_b32 vcc_lo, exec_lo, s22
	s_cbranch_vccz .LBB339_101
; %bb.61:
	s_cmp_gt_i32 s20, 22
	s_mov_b32 s22, -1
	s_cbranch_scc0 .LBB339_93
; %bb.62:
	s_cmp_lt_i32 s20, 24
	s_mov_b32 s21, -1
	s_cbranch_scc1 .LBB339_82
; %bb.63:
	s_cmp_gt_i32 s20, 24
	s_cbranch_scc0 .LBB339_71
; %bb.64:
	s_wait_xcnt 0x0
	v_cndmask_b32_e64 v3, 0, 1.0, s15
	v_mov_b32_e32 v4, 0x80
	s_mov_b32 s21, exec_lo
	s_delay_alu instid0(VALU_DEP_2)
	v_cmpx_gt_u32_e32 0x47800000, v3
	s_cbranch_execz .LBB339_70
; %bb.65:
	s_mov_b32 s22, 0
	s_mov_b32 s23, exec_lo
                                        ; implicit-def: $vgpr2
	v_cmpx_lt_u32_e32 0x37ffffff, v3
	s_xor_b32 s23, exec_lo, s23
	s_cbranch_execz .LBB339_279
; %bb.66:
	v_bfe_u32 v2, v3, 21, 1
	s_mov_b32 s22, exec_lo
	s_delay_alu instid0(VALU_DEP_1) | instskip(NEXT) | instid1(VALU_DEP_1)
	v_add3_u32 v2, v3, v2, 0x88fffff
                                        ; implicit-def: $vgpr3
	v_lshrrev_b32_e32 v2, 21, v2
	s_and_not1_saveexec_b32 s23, s23
	s_cbranch_execnz .LBB339_280
.LBB339_67:
	s_or_b32 exec_lo, exec_lo, s23
	v_mov_b32_e32 v4, 0
	s_and_saveexec_b32 s23, s22
.LBB339_68:
	v_mov_b32_e32 v4, v2
.LBB339_69:
	s_or_b32 exec_lo, exec_lo, s23
.LBB339_70:
	s_delay_alu instid0(SALU_CYCLE_1)
	s_or_b32 exec_lo, exec_lo, s21
	s_mov_b32 s21, 0
	global_store_b8 v[0:1], v4, off
.LBB339_71:
	s_and_b32 vcc_lo, exec_lo, s21
	s_cbranch_vccz .LBB339_81
; %bb.72:
	s_wait_xcnt 0x0
	v_cndmask_b32_e64 v3, 0, 1.0, s15
	s_mov_b32 s21, exec_lo
                                        ; implicit-def: $vgpr2
	s_delay_alu instid0(VALU_DEP_1)
	v_cmpx_gt_u32_e32 0x43f00000, v3
	s_xor_b32 s21, exec_lo, s21
	s_cbranch_execz .LBB339_78
; %bb.73:
	s_mov_b32 s22, exec_lo
                                        ; implicit-def: $vgpr2
	v_cmpx_lt_u32_e32 0x3c7fffff, v3
	s_xor_b32 s22, exec_lo, s22
; %bb.74:
	v_bfe_u32 v2, v3, 20, 1
	s_delay_alu instid0(VALU_DEP_1) | instskip(NEXT) | instid1(VALU_DEP_1)
	v_add3_u32 v2, v3, v2, 0x407ffff
	v_and_b32_e32 v3, 0xff00000, v2
	v_lshrrev_b32_e32 v2, 20, v2
	s_delay_alu instid0(VALU_DEP_2) | instskip(NEXT) | instid1(VALU_DEP_2)
	v_cmp_ne_u32_e32 vcc_lo, 0x7f00000, v3
                                        ; implicit-def: $vgpr3
	v_cndmask_b32_e32 v2, 0x7e, v2, vcc_lo
; %bb.75:
	s_and_not1_saveexec_b32 s22, s22
; %bb.76:
	v_add_f32_e32 v2, 0x46800000, v3
; %bb.77:
	s_or_b32 exec_lo, exec_lo, s22
                                        ; implicit-def: $vgpr3
.LBB339_78:
	s_and_not1_saveexec_b32 s21, s21
; %bb.79:
	v_mov_b32_e32 v2, 0x7f
	v_cmp_lt_u32_e32 vcc_lo, 0x7f800000, v3
	s_delay_alu instid0(VALU_DEP_2)
	v_cndmask_b32_e32 v2, 0x7e, v2, vcc_lo
; %bb.80:
	s_or_b32 exec_lo, exec_lo, s21
	global_store_b8 v[0:1], v2, off
.LBB339_81:
	s_mov_b32 s21, 0
.LBB339_82:
	s_delay_alu instid0(SALU_CYCLE_1)
	s_and_not1_b32 vcc_lo, exec_lo, s21
	s_cbranch_vccnz .LBB339_92
; %bb.83:
	s_wait_xcnt 0x0
	v_cndmask_b32_e64 v3, 0, 1.0, s15
	s_mov_b32 s21, exec_lo
                                        ; implicit-def: $vgpr2
	s_delay_alu instid0(VALU_DEP_1)
	v_cmpx_gt_u32_e32 0x47800000, v3
	s_xor_b32 s21, exec_lo, s21
	s_cbranch_execz .LBB339_89
; %bb.84:
	s_mov_b32 s22, exec_lo
                                        ; implicit-def: $vgpr2
	v_cmpx_lt_u32_e32 0x387fffff, v3
	s_xor_b32 s22, exec_lo, s22
; %bb.85:
	v_bfe_u32 v2, v3, 21, 1
	s_delay_alu instid0(VALU_DEP_1) | instskip(NEXT) | instid1(VALU_DEP_1)
	v_add3_u32 v2, v3, v2, 0x80fffff
                                        ; implicit-def: $vgpr3
	v_lshrrev_b32_e32 v2, 21, v2
; %bb.86:
	s_and_not1_saveexec_b32 s22, s22
; %bb.87:
	v_add_f32_e32 v2, 0x43000000, v3
; %bb.88:
	s_or_b32 exec_lo, exec_lo, s22
                                        ; implicit-def: $vgpr3
.LBB339_89:
	s_and_not1_saveexec_b32 s21, s21
; %bb.90:
	v_mov_b32_e32 v2, 0x7f
	v_cmp_lt_u32_e32 vcc_lo, 0x7f800000, v3
	s_delay_alu instid0(VALU_DEP_2)
	v_cndmask_b32_e32 v2, 0x7c, v2, vcc_lo
; %bb.91:
	s_or_b32 exec_lo, exec_lo, s21
	global_store_b8 v[0:1], v2, off
.LBB339_92:
	s_mov_b32 s22, 0
	s_mov_b32 s21, -1
.LBB339_93:
	s_and_not1_b32 vcc_lo, exec_lo, s22
	s_cbranch_vccnz .LBB339_101
; %bb.94:
	s_cmp_gt_i32 s20, 14
	s_mov_b32 s22, -1
	s_cbranch_scc0 .LBB339_98
; %bb.95:
	s_cmp_eq_u32 s20, 15
	s_mov_b32 s0, -1
	s_cbranch_scc0 .LBB339_97
; %bb.96:
	s_wait_xcnt 0x0
	v_cndmask_b32_e64 v2, 0, 1.0, s15
	s_mov_b32 s21, -1
	s_mov_b32 s0, 0
	s_delay_alu instid0(VALU_DEP_1) | instskip(NEXT) | instid1(VALU_DEP_1)
	v_bfe_u32 v3, v2, 16, 1
	v_add3_u32 v2, v2, v3, 0x7fff
	global_store_d16_hi_b16 v[0:1], v2, off
.LBB339_97:
	s_mov_b32 s22, 0
.LBB339_98:
	s_delay_alu instid0(SALU_CYCLE_1)
	s_and_b32 vcc_lo, exec_lo, s22
	s_cbranch_vccz .LBB339_101
; %bb.99:
	s_cmp_eq_u32 s20, 11
	s_mov_b32 s0, -1
	s_cbranch_scc0 .LBB339_101
; %bb.100:
	s_wait_xcnt 0x0
	v_cndmask_b32_e64 v2, 0, 1, s15
	s_mov_b32 s21, -1
	s_mov_b32 s0, 0
	global_store_b8 v[0:1], v2, off
.LBB339_101:
	s_branch .LBB339_20
.LBB339_102:
	s_and_b32 s19, 0xffff, s19
	s_mov_b32 s20, -1
	s_cmp_lt_i32 s19, 5
	s_cbranch_scc1 .LBB339_123
; %bb.103:
	s_cmp_lt_i32 s19, 8
	s_cbranch_scc1 .LBB339_113
; %bb.104:
	;; [unrolled: 3-line block ×3, first 2 shown]
	s_cmp_gt_i32 s19, 9
	s_cbranch_scc0 .LBB339_107
; %bb.106:
	s_wait_xcnt 0x0
	v_cndmask_b32_e64 v2, 0, 1, s15
	v_mov_b32_e32 v4, 0
	s_mov_b32 s20, 0
	s_delay_alu instid0(VALU_DEP_2) | instskip(NEXT) | instid1(VALU_DEP_2)
	v_cvt_f64_u32_e32 v[2:3], v2
	v_mov_b32_e32 v5, v4
	global_store_b128 v[0:1], v[2:5], off
.LBB339_107:
	s_and_not1_b32 vcc_lo, exec_lo, s20
	s_cbranch_vccnz .LBB339_109
; %bb.108:
	s_wait_xcnt 0x0
	v_cndmask_b32_e64 v2, 0, 1.0, s15
	v_mov_b32_e32 v3, 0
	global_store_b64 v[0:1], v[2:3], off
.LBB339_109:
	s_mov_b32 s20, 0
.LBB339_110:
	s_delay_alu instid0(SALU_CYCLE_1)
	s_and_not1_b32 vcc_lo, exec_lo, s20
	s_cbranch_vccnz .LBB339_112
; %bb.111:
	s_wait_xcnt 0x0
	v_cndmask_b32_e64 v2, 0, 1.0, s15
	s_delay_alu instid0(VALU_DEP_1) | instskip(NEXT) | instid1(VALU_DEP_1)
	v_cvt_f16_f32_e32 v2, v2
	v_and_b32_e32 v2, 0xffff, v2
	global_store_b32 v[0:1], v2, off
.LBB339_112:
	s_mov_b32 s20, 0
.LBB339_113:
	s_delay_alu instid0(SALU_CYCLE_1)
	s_and_not1_b32 vcc_lo, exec_lo, s20
	s_cbranch_vccnz .LBB339_122
; %bb.114:
	s_cmp_lt_i32 s19, 6
	s_mov_b32 s20, -1
	s_cbranch_scc1 .LBB339_120
; %bb.115:
	s_cmp_gt_i32 s19, 6
	s_cbranch_scc0 .LBB339_117
; %bb.116:
	s_wait_xcnt 0x0
	v_cndmask_b32_e64 v2, 0, 1, s15
	s_mov_b32 s20, 0
	s_delay_alu instid0(VALU_DEP_1)
	v_cvt_f64_u32_e32 v[2:3], v2
	global_store_b64 v[0:1], v[2:3], off
.LBB339_117:
	s_and_not1_b32 vcc_lo, exec_lo, s20
	s_cbranch_vccnz .LBB339_119
; %bb.118:
	s_wait_xcnt 0x0
	v_cndmask_b32_e64 v2, 0, 1.0, s15
	global_store_b32 v[0:1], v2, off
.LBB339_119:
	s_mov_b32 s20, 0
.LBB339_120:
	s_delay_alu instid0(SALU_CYCLE_1)
	s_and_not1_b32 vcc_lo, exec_lo, s20
	s_cbranch_vccnz .LBB339_122
; %bb.121:
	s_wait_xcnt 0x0
	v_cndmask_b32_e64 v2, 0, 1.0, s15
	s_delay_alu instid0(VALU_DEP_1)
	v_cvt_f16_f32_e32 v2, v2
	global_store_b16 v[0:1], v2, off
.LBB339_122:
	s_mov_b32 s20, 0
.LBB339_123:
	s_delay_alu instid0(SALU_CYCLE_1)
	s_and_not1_b32 vcc_lo, exec_lo, s20
	s_cbranch_vccnz .LBB339_139
; %bb.124:
	s_cmp_lt_i32 s19, 2
	s_mov_b32 s20, -1
	s_cbranch_scc1 .LBB339_134
; %bb.125:
	s_cmp_lt_i32 s19, 3
	s_cbranch_scc1 .LBB339_131
; %bb.126:
	s_cmp_gt_i32 s19, 3
	s_cbranch_scc0 .LBB339_128
; %bb.127:
	s_mov_b32 s20, 0
	s_wait_xcnt 0x0
	v_cndmask_b32_e64 v2, 0, 1, s15
	v_mov_b32_e32 v3, s20
	global_store_b64 v[0:1], v[2:3], off
.LBB339_128:
	s_and_not1_b32 vcc_lo, exec_lo, s20
	s_cbranch_vccnz .LBB339_130
; %bb.129:
	s_wait_xcnt 0x0
	v_cndmask_b32_e64 v2, 0, 1, s15
	global_store_b32 v[0:1], v2, off
.LBB339_130:
	s_mov_b32 s20, 0
.LBB339_131:
	s_delay_alu instid0(SALU_CYCLE_1)
	s_and_not1_b32 vcc_lo, exec_lo, s20
	s_cbranch_vccnz .LBB339_133
; %bb.132:
	s_wait_xcnt 0x0
	v_cndmask_b32_e64 v2, 0, 1, s15
	global_store_b16 v[0:1], v2, off
.LBB339_133:
	s_mov_b32 s20, 0
.LBB339_134:
	s_delay_alu instid0(SALU_CYCLE_1)
	s_and_not1_b32 vcc_lo, exec_lo, s20
	s_cbranch_vccnz .LBB339_139
; %bb.135:
	s_wait_xcnt 0x0
	v_cndmask_b32_e64 v2, 0, 1, s15
	s_cmp_gt_i32 s19, 0
	s_mov_b32 s15, -1
	s_cbranch_scc0 .LBB339_137
; %bb.136:
	s_mov_b32 s15, 0
	global_store_b8 v[0:1], v2, off
.LBB339_137:
	s_and_not1_b32 vcc_lo, exec_lo, s15
	s_cbranch_vccnz .LBB339_139
; %bb.138:
	global_store_b8 v[0:1], v2, off
.LBB339_139:
.LBB339_140:
	v_add_nc_u32_e32 v10, 0x80, v10
	s_mov_b32 s19, -1
	s_branch .LBB339_247
.LBB339_141:
	s_mov_b32 s16, -1
                                        ; implicit-def: $vgpr2
.LBB339_142:
	s_mov_b32 s19, 0
.LBB339_143:
	s_delay_alu instid0(SALU_CYCLE_1)
	s_and_b32 vcc_lo, exec_lo, s19
	s_cbranch_vccz .LBB339_147
; %bb.144:
	s_cmp_eq_u32 s0, 29
	s_cbranch_scc0 .LBB339_146
; %bb.145:
	global_load_b64 v[2:3], v[0:1], off
	s_mov_b32 s15, -1
	s_mov_b32 s16, 0
	s_branch .LBB339_147
.LBB339_146:
	s_mov_b32 s16, -1
                                        ; implicit-def: $vgpr2
.LBB339_147:
	s_mov_b32 s19, 0
.LBB339_148:
	s_delay_alu instid0(SALU_CYCLE_1)
	s_and_b32 vcc_lo, exec_lo, s19
	s_cbranch_vccz .LBB339_164
; %bb.149:
	s_cmp_lt_i32 s0, 27
	s_cbranch_scc1 .LBB339_152
; %bb.150:
	s_cmp_gt_i32 s0, 27
	s_cbranch_scc0 .LBB339_153
; %bb.151:
	s_wait_loadcnt 0x0
	global_load_b32 v2, v[0:1], off
	s_mov_b32 s15, 0
	s_branch .LBB339_154
.LBB339_152:
	s_mov_b32 s15, -1
                                        ; implicit-def: $vgpr2
	s_branch .LBB339_157
.LBB339_153:
	s_mov_b32 s15, -1
                                        ; implicit-def: $vgpr2
.LBB339_154:
	s_delay_alu instid0(SALU_CYCLE_1)
	s_and_not1_b32 vcc_lo, exec_lo, s15
	s_cbranch_vccnz .LBB339_156
; %bb.155:
	s_wait_loadcnt 0x0
	global_load_u16 v2, v[0:1], off
.LBB339_156:
	s_mov_b32 s15, 0
.LBB339_157:
	s_delay_alu instid0(SALU_CYCLE_1)
	s_and_not1_b32 vcc_lo, exec_lo, s15
	s_cbranch_vccnz .LBB339_163
; %bb.158:
	s_wait_loadcnt 0x0
	global_load_u8 v3, v[0:1], off
	s_mov_b32 s19, 0
	s_mov_b32 s15, exec_lo
	s_wait_loadcnt 0x0
	v_cmpx_lt_i16_e32 0x7f, v3
	s_xor_b32 s15, exec_lo, s15
	s_cbranch_execz .LBB339_174
; %bb.159:
	v_cmp_ne_u16_e32 vcc_lo, 0x80, v3
	s_and_b32 s19, vcc_lo, exec_lo
	s_and_not1_saveexec_b32 s15, s15
	s_cbranch_execnz .LBB339_175
.LBB339_160:
	s_or_b32 exec_lo, exec_lo, s15
	v_mov_b32_e32 v2, 0
	s_and_saveexec_b32 s15, s19
	s_cbranch_execz .LBB339_162
.LBB339_161:
	v_and_b32_e32 v2, 0xffff, v3
	s_delay_alu instid0(VALU_DEP_1) | instskip(SKIP_1) | instid1(VALU_DEP_2)
	v_and_b32_e32 v4, 7, v2
	v_bfe_u32 v7, v2, 3, 4
	v_clz_i32_u32_e32 v5, v4
	s_delay_alu instid0(VALU_DEP_2) | instskip(NEXT) | instid1(VALU_DEP_2)
	v_cmp_eq_u32_e32 vcc_lo, 0, v7
	v_min_u32_e32 v5, 32, v5
	s_delay_alu instid0(VALU_DEP_1) | instskip(NEXT) | instid1(VALU_DEP_1)
	v_subrev_nc_u32_e32 v6, 28, v5
	v_dual_lshlrev_b32 v2, v6, v2 :: v_dual_sub_nc_u32 v5, 29, v5
	s_delay_alu instid0(VALU_DEP_1) | instskip(NEXT) | instid1(VALU_DEP_1)
	v_dual_lshlrev_b32 v3, 24, v3 :: v_dual_bitop2_b32 v2, 7, v2 bitop3:0x40
	v_dual_cndmask_b32 v5, v7, v5 :: v_dual_cndmask_b32 v2, v4, v2
	s_delay_alu instid0(VALU_DEP_2) | instskip(NEXT) | instid1(VALU_DEP_2)
	v_and_b32_e32 v3, 0x80000000, v3
	v_lshl_add_u32 v4, v5, 23, 0x3b800000
	s_delay_alu instid0(VALU_DEP_3) | instskip(NEXT) | instid1(VALU_DEP_1)
	v_lshlrev_b32_e32 v2, 20, v2
	v_or3_b32 v2, v3, v4, v2
	s_delay_alu instid0(VALU_DEP_1)
	v_cvt_u32_f32_e32 v2, v2
.LBB339_162:
	s_or_b32 exec_lo, exec_lo, s15
.LBB339_163:
	s_mov_b32 s15, -1
.LBB339_164:
	s_branch .LBB339_197
.LBB339_165:
	s_cmp_gt_i32 s0, 22
	s_cbranch_scc0 .LBB339_173
; %bb.166:
	s_cmp_lt_i32 s0, 24
	s_cbranch_scc1 .LBB339_176
; %bb.167:
	s_cmp_gt_i32 s0, 24
	s_cbranch_scc0 .LBB339_177
; %bb.168:
	s_wait_loadcnt 0x0
	global_load_u8 v3, v[0:1], off
	s_mov_b32 s19, 0
	s_mov_b32 s15, exec_lo
	s_wait_loadcnt 0x0
	v_cmpx_lt_i16_e32 0x7f, v3
	s_xor_b32 s15, exec_lo, s15
	s_cbranch_execz .LBB339_189
; %bb.169:
	v_cmp_ne_u16_e32 vcc_lo, 0x80, v3
	s_and_b32 s19, vcc_lo, exec_lo
	s_and_not1_saveexec_b32 s15, s15
	s_cbranch_execnz .LBB339_190
.LBB339_170:
	s_or_b32 exec_lo, exec_lo, s15
	v_mov_b32_e32 v2, 0
	s_and_saveexec_b32 s15, s19
	s_cbranch_execz .LBB339_172
.LBB339_171:
	v_and_b32_e32 v2, 0xffff, v3
	s_delay_alu instid0(VALU_DEP_1) | instskip(SKIP_1) | instid1(VALU_DEP_2)
	v_and_b32_e32 v4, 3, v2
	v_bfe_u32 v7, v2, 2, 5
	v_clz_i32_u32_e32 v5, v4
	s_delay_alu instid0(VALU_DEP_2) | instskip(NEXT) | instid1(VALU_DEP_2)
	v_cmp_eq_u32_e32 vcc_lo, 0, v7
	v_min_u32_e32 v5, 32, v5
	s_delay_alu instid0(VALU_DEP_1) | instskip(NEXT) | instid1(VALU_DEP_1)
	v_subrev_nc_u32_e32 v6, 29, v5
	v_dual_lshlrev_b32 v2, v6, v2 :: v_dual_sub_nc_u32 v5, 30, v5
	s_delay_alu instid0(VALU_DEP_1) | instskip(NEXT) | instid1(VALU_DEP_1)
	v_dual_lshlrev_b32 v3, 24, v3 :: v_dual_bitop2_b32 v2, 3, v2 bitop3:0x40
	v_dual_cndmask_b32 v5, v7, v5 :: v_dual_cndmask_b32 v2, v4, v2
	s_delay_alu instid0(VALU_DEP_2) | instskip(NEXT) | instid1(VALU_DEP_2)
	v_and_b32_e32 v3, 0x80000000, v3
	v_lshl_add_u32 v4, v5, 23, 0x37800000
	s_delay_alu instid0(VALU_DEP_3) | instskip(NEXT) | instid1(VALU_DEP_1)
	v_lshlrev_b32_e32 v2, 21, v2
	v_or3_b32 v2, v3, v4, v2
	s_delay_alu instid0(VALU_DEP_1)
	v_cvt_u32_f32_e32 v2, v2
.LBB339_172:
	s_or_b32 exec_lo, exec_lo, s15
	s_mov_b32 s15, 0
	s_branch .LBB339_178
.LBB339_173:
	s_mov_b32 s19, -1
                                        ; implicit-def: $vgpr2
	s_branch .LBB339_184
.LBB339_174:
	s_and_not1_saveexec_b32 s15, s15
	s_cbranch_execz .LBB339_160
.LBB339_175:
	v_cmp_ne_u16_e32 vcc_lo, 0, v3
	s_and_not1_b32 s19, s19, exec_lo
	s_and_b32 s20, vcc_lo, exec_lo
	s_delay_alu instid0(SALU_CYCLE_1)
	s_or_b32 s19, s19, s20
	s_or_b32 exec_lo, exec_lo, s15
	v_mov_b32_e32 v2, 0
	s_and_saveexec_b32 s15, s19
	s_cbranch_execnz .LBB339_161
	s_branch .LBB339_162
.LBB339_176:
	s_mov_b32 s15, -1
                                        ; implicit-def: $vgpr2
	s_branch .LBB339_181
.LBB339_177:
	s_mov_b32 s15, -1
                                        ; implicit-def: $vgpr2
.LBB339_178:
	s_delay_alu instid0(SALU_CYCLE_1)
	s_and_b32 vcc_lo, exec_lo, s15
	s_cbranch_vccz .LBB339_180
; %bb.179:
	s_wait_loadcnt 0x0
	global_load_u8 v2, v[0:1], off
	s_wait_loadcnt 0x0
	v_lshlrev_b32_e32 v2, 24, v2
	s_delay_alu instid0(VALU_DEP_1) | instskip(NEXT) | instid1(VALU_DEP_1)
	v_and_b32_e32 v3, 0x7f000000, v2
	v_clz_i32_u32_e32 v4, v3
	v_cmp_ne_u32_e32 vcc_lo, 0, v3
	v_add_nc_u32_e32 v6, 0x1000000, v3
	s_delay_alu instid0(VALU_DEP_3) | instskip(NEXT) | instid1(VALU_DEP_1)
	v_min_u32_e32 v4, 32, v4
	v_sub_nc_u32_e64 v4, v4, 4 clamp
	s_delay_alu instid0(VALU_DEP_1) | instskip(NEXT) | instid1(VALU_DEP_1)
	v_dual_lshlrev_b32 v5, v4, v3 :: v_dual_lshlrev_b32 v4, 23, v4
	v_lshrrev_b32_e32 v5, 4, v5
	s_delay_alu instid0(VALU_DEP_1) | instskip(NEXT) | instid1(VALU_DEP_1)
	v_dual_sub_nc_u32 v4, v5, v4 :: v_dual_ashrrev_i32 v5, 8, v6
	v_add_nc_u32_e32 v4, 0x3c000000, v4
	s_delay_alu instid0(VALU_DEP_1) | instskip(NEXT) | instid1(VALU_DEP_1)
	v_and_or_b32 v4, 0x7f800000, v5, v4
	v_cndmask_b32_e32 v3, 0, v4, vcc_lo
	s_delay_alu instid0(VALU_DEP_1) | instskip(NEXT) | instid1(VALU_DEP_1)
	v_and_or_b32 v2, 0x80000000, v2, v3
	v_cvt_u32_f32_e32 v2, v2
.LBB339_180:
	s_mov_b32 s15, 0
.LBB339_181:
	s_delay_alu instid0(SALU_CYCLE_1)
	s_and_not1_b32 vcc_lo, exec_lo, s15
	s_cbranch_vccnz .LBB339_183
; %bb.182:
	s_wait_loadcnt 0x0
	global_load_u8 v2, v[0:1], off
	s_wait_loadcnt 0x0
	v_lshlrev_b32_e32 v3, 25, v2
	v_lshlrev_b16 v2, 8, v2
	s_delay_alu instid0(VALU_DEP_1) | instskip(SKIP_1) | instid1(VALU_DEP_2)
	v_and_or_b32 v5, 0x7f00, v2, 0.5
	v_bfe_i32 v2, v2, 0, 16
	v_dual_add_f32 v5, -0.5, v5 :: v_dual_lshrrev_b32 v4, 4, v3
	v_cmp_gt_u32_e32 vcc_lo, 0x8000000, v3
	s_delay_alu instid0(VALU_DEP_2) | instskip(NEXT) | instid1(VALU_DEP_1)
	v_or_b32_e32 v4, 0x70000000, v4
	v_mul_f32_e32 v4, 0x7800000, v4
	s_delay_alu instid0(VALU_DEP_1) | instskip(NEXT) | instid1(VALU_DEP_1)
	v_cndmask_b32_e32 v3, v4, v5, vcc_lo
	v_and_or_b32 v2, 0x80000000, v2, v3
	s_delay_alu instid0(VALU_DEP_1)
	v_cvt_u32_f32_e32 v2, v2
.LBB339_183:
	s_mov_b32 s19, 0
	s_mov_b32 s15, -1
.LBB339_184:
	s_and_not1_b32 vcc_lo, exec_lo, s19
	s_cbranch_vccnz .LBB339_197
; %bb.185:
	s_cmp_gt_i32 s0, 14
	s_cbranch_scc0 .LBB339_188
; %bb.186:
	s_cmp_eq_u32 s0, 15
	s_cbranch_scc0 .LBB339_191
; %bb.187:
	s_wait_loadcnt 0x0
	global_load_u16 v2, v[0:1], off
	s_mov_b32 s15, -1
	s_mov_b32 s16, 0
	s_wait_loadcnt 0x0
	v_lshlrev_b32_e32 v2, 16, v2
	s_delay_alu instid0(VALU_DEP_1)
	v_cvt_u32_f32_e32 v2, v2
	s_branch .LBB339_192
.LBB339_188:
	s_mov_b32 s19, -1
                                        ; implicit-def: $vgpr2
	s_branch .LBB339_193
.LBB339_189:
	s_and_not1_saveexec_b32 s15, s15
	s_cbranch_execz .LBB339_170
.LBB339_190:
	v_cmp_ne_u16_e32 vcc_lo, 0, v3
	s_and_not1_b32 s19, s19, exec_lo
	s_and_b32 s20, vcc_lo, exec_lo
	s_delay_alu instid0(SALU_CYCLE_1)
	s_or_b32 s19, s19, s20
	s_or_b32 exec_lo, exec_lo, s15
	v_mov_b32_e32 v2, 0
	s_and_saveexec_b32 s15, s19
	s_cbranch_execnz .LBB339_171
	s_branch .LBB339_172
.LBB339_191:
	s_mov_b32 s16, -1
                                        ; implicit-def: $vgpr2
.LBB339_192:
	s_mov_b32 s19, 0
.LBB339_193:
	s_delay_alu instid0(SALU_CYCLE_1)
	s_and_b32 vcc_lo, exec_lo, s19
	s_cbranch_vccz .LBB339_197
; %bb.194:
	s_cmp_eq_u32 s0, 11
	s_cbranch_scc0 .LBB339_196
; %bb.195:
	s_wait_loadcnt 0x0
	global_load_u8 v2, v[0:1], off
	s_mov_b32 s16, 0
	s_mov_b32 s15, -1
	s_wait_loadcnt 0x0
	v_cmp_ne_u16_e32 vcc_lo, 0, v2
	v_cndmask_b32_e64 v2, 0, 1, vcc_lo
	s_branch .LBB339_197
.LBB339_196:
	s_mov_b32 s16, -1
                                        ; implicit-def: $vgpr2
.LBB339_197:
	s_branch .LBB339_10
.LBB339_198:
	s_cmp_lt_i32 s0, 5
	s_cbranch_scc1 .LBB339_203
; %bb.199:
	s_cmp_lt_i32 s0, 8
	s_cbranch_scc1 .LBB339_204
; %bb.200:
	;; [unrolled: 3-line block ×3, first 2 shown]
	s_cmp_gt_i32 s0, 9
	s_cbranch_scc0 .LBB339_206
; %bb.202:
	s_wait_loadcnt 0x0
	global_load_b64 v[2:3], v[0:1], off
	s_mov_b32 s15, 0
	s_wait_loadcnt 0x0
	v_cvt_u32_f64_e32 v2, v[2:3]
	s_branch .LBB339_207
.LBB339_203:
                                        ; implicit-def: $vgpr2
	s_branch .LBB339_225
.LBB339_204:
	s_mov_b32 s15, -1
                                        ; implicit-def: $vgpr2
	s_branch .LBB339_213
.LBB339_205:
	s_mov_b32 s15, -1
                                        ; implicit-def: $vgpr2
	s_branch .LBB339_210
.LBB339_206:
	s_mov_b32 s15, -1
                                        ; implicit-def: $vgpr2
.LBB339_207:
	s_delay_alu instid0(SALU_CYCLE_1)
	s_and_not1_b32 vcc_lo, exec_lo, s15
	s_cbranch_vccnz .LBB339_209
; %bb.208:
	s_wait_loadcnt 0x0
	global_load_b32 v2, v[0:1], off
	s_wait_loadcnt 0x0
	v_cvt_u32_f32_e32 v2, v2
.LBB339_209:
	s_mov_b32 s15, 0
.LBB339_210:
	s_delay_alu instid0(SALU_CYCLE_1)
	s_and_not1_b32 vcc_lo, exec_lo, s15
	s_cbranch_vccnz .LBB339_212
; %bb.211:
	s_wait_loadcnt 0x0
	global_load_b32 v2, v[0:1], off
	s_wait_loadcnt 0x0
	v_cvt_u16_f16_e32 v2, v2
.LBB339_212:
	s_mov_b32 s15, 0
.LBB339_213:
	s_delay_alu instid0(SALU_CYCLE_1)
	s_and_not1_b32 vcc_lo, exec_lo, s15
	s_cbranch_vccnz .LBB339_224
; %bb.214:
	s_cmp_lt_i32 s0, 6
	s_cbranch_scc1 .LBB339_217
; %bb.215:
	s_cmp_gt_i32 s0, 6
	s_cbranch_scc0 .LBB339_218
; %bb.216:
	s_wait_loadcnt 0x0
	global_load_b64 v[2:3], v[0:1], off
	s_mov_b32 s15, 0
	s_wait_loadcnt 0x0
	v_cvt_u32_f64_e32 v2, v[2:3]
	s_branch .LBB339_219
.LBB339_217:
	s_mov_b32 s15, -1
                                        ; implicit-def: $vgpr2
	s_branch .LBB339_222
.LBB339_218:
	s_mov_b32 s15, -1
                                        ; implicit-def: $vgpr2
.LBB339_219:
	s_delay_alu instid0(SALU_CYCLE_1)
	s_and_not1_b32 vcc_lo, exec_lo, s15
	s_cbranch_vccnz .LBB339_221
; %bb.220:
	s_wait_loadcnt 0x0
	global_load_b32 v2, v[0:1], off
	s_wait_loadcnt 0x0
	v_cvt_u32_f32_e32 v2, v2
.LBB339_221:
	s_mov_b32 s15, 0
.LBB339_222:
	s_delay_alu instid0(SALU_CYCLE_1)
	s_and_not1_b32 vcc_lo, exec_lo, s15
	s_cbranch_vccnz .LBB339_224
; %bb.223:
	s_wait_loadcnt 0x0
	global_load_u16 v2, v[0:1], off
	s_wait_loadcnt 0x0
	v_cvt_u16_f16_e32 v2, v2
.LBB339_224:
	s_cbranch_execnz .LBB339_244
.LBB339_225:
	s_cmp_lt_i32 s0, 2
	s_cbranch_scc1 .LBB339_229
; %bb.226:
	s_cmp_lt_i32 s0, 3
	s_cbranch_scc1 .LBB339_230
; %bb.227:
	s_cmp_gt_i32 s0, 3
	s_cbranch_scc0 .LBB339_231
; %bb.228:
	s_wait_loadcnt 0x0
	global_load_b64 v[2:3], v[0:1], off
	s_mov_b32 s15, 0
	s_branch .LBB339_232
.LBB339_229:
	s_mov_b32 s15, -1
                                        ; implicit-def: $vgpr2
	s_branch .LBB339_238
.LBB339_230:
	s_mov_b32 s15, -1
                                        ; implicit-def: $vgpr2
	s_branch .LBB339_235
.LBB339_231:
	s_mov_b32 s15, -1
                                        ; implicit-def: $vgpr2
.LBB339_232:
	s_delay_alu instid0(SALU_CYCLE_1)
	s_and_not1_b32 vcc_lo, exec_lo, s15
	s_cbranch_vccnz .LBB339_234
; %bb.233:
	s_wait_loadcnt 0x0
	global_load_b32 v2, v[0:1], off
.LBB339_234:
	s_mov_b32 s15, 0
.LBB339_235:
	s_delay_alu instid0(SALU_CYCLE_1)
	s_and_not1_b32 vcc_lo, exec_lo, s15
	s_cbranch_vccnz .LBB339_237
; %bb.236:
	s_wait_loadcnt 0x0
	global_load_u16 v2, v[0:1], off
.LBB339_237:
	s_mov_b32 s15, 0
.LBB339_238:
	s_delay_alu instid0(SALU_CYCLE_1)
	s_and_not1_b32 vcc_lo, exec_lo, s15
	s_cbranch_vccnz .LBB339_244
; %bb.239:
	s_cmp_gt_i32 s0, 0
	s_mov_b32 s0, 0
	s_cbranch_scc0 .LBB339_241
; %bb.240:
	s_wait_loadcnt 0x0
	global_load_i8 v2, v[0:1], off
	s_branch .LBB339_242
.LBB339_241:
	s_mov_b32 s0, -1
                                        ; implicit-def: $vgpr2
.LBB339_242:
	s_delay_alu instid0(SALU_CYCLE_1)
	s_and_not1_b32 vcc_lo, exec_lo, s0
	s_cbranch_vccnz .LBB339_244
; %bb.243:
	s_wait_loadcnt 0x0
	global_load_u8 v2, v[0:1], off
.LBB339_244:
	s_branch .LBB339_11
.LBB339_245:
	s_mov_b32 s0, 0
.LBB339_246:
	s_mov_b32 s19, 0
                                        ; implicit-def: $vgpr10
.LBB339_247:
	s_and_b32 s15, s0, exec_lo
	s_and_b32 s16, s16, exec_lo
	s_or_not1_b32 s20, s19, exec_lo
.LBB339_248:
	s_wait_xcnt 0x0
	s_or_b32 exec_lo, exec_lo, s17
	s_mov_b32 s19, 0
	s_mov_b32 s0, 0
                                        ; implicit-def: $vgpr0_vgpr1
                                        ; implicit-def: $vgpr2
	s_and_saveexec_b32 s17, s20
	s_cbranch_execz .LBB339_257
; %bb.249:
	s_mov_b32 s0, -1
	s_mov_b32 s18, s16
	s_mov_b32 s19, s15
	s_mov_b32 s20, exec_lo
	v_cmpx_gt_i32_e64 s14, v10
	s_cbranch_execz .LBB339_507
; %bb.250:
	v_mul_lo_u32 v0, v10, s9
	s_and_b32 s0, 0xffff, s3
	s_delay_alu instid0(SALU_CYCLE_1) | instskip(NEXT) | instid1(VALU_DEP_1)
	s_cmp_lt_i32 s0, 11
	v_ashrrev_i32_e32 v1, 31, v0
	s_delay_alu instid0(VALU_DEP_1)
	v_add_nc_u64_e32 v[0:1], s[6:7], v[0:1]
	s_cbranch_scc1 .LBB339_260
; %bb.251:
	s_cmp_gt_i32 s0, 25
	s_cbranch_scc0 .LBB339_269
; %bb.252:
	s_cmp_gt_i32 s0, 28
	s_cbranch_scc0 .LBB339_271
	;; [unrolled: 3-line block ×4, first 2 shown]
; %bb.255:
	s_cmp_eq_u32 s0, 46
	s_mov_b32 s21, 0
	s_cbranch_scc0 .LBB339_281
; %bb.256:
	s_wait_loadcnt 0x0
	global_load_b32 v2, v[0:1], off
	s_mov_b32 s19, -1
	s_mov_b32 s18, 0
	s_wait_loadcnt 0x0
	v_lshlrev_b32_e32 v2, 16, v2
	s_delay_alu instid0(VALU_DEP_1)
	v_cvt_u32_f32_e32 v2, v2
	s_branch .LBB339_283
.LBB339_257:
	s_or_b32 exec_lo, exec_lo, s17
	s_mov_b32 s14, 0
	s_and_saveexec_b32 s17, s16
	s_cbranch_execnz .LBB339_847
.LBB339_258:
	s_or_b32 exec_lo, exec_lo, s17
	s_and_saveexec_b32 s16, s18
	s_delay_alu instid0(SALU_CYCLE_1)
	s_xor_b32 s16, exec_lo, s16
	s_cbranch_execz .LBB339_848
.LBB339_259:
	s_wait_loadcnt 0x0
	global_load_u8 v2, v[0:1], off
	s_or_b32 s0, s0, exec_lo
	s_wait_loadcnt 0x0
	v_cmp_ne_u16_e32 vcc_lo, 0, v2
	v_cndmask_b32_e64 v2, 0, 1, vcc_lo
	s_wait_xcnt 0x0
	s_or_b32 exec_lo, exec_lo, s16
	s_and_saveexec_b32 s16, s19
	s_cbranch_execz .LBB339_894
	s_branch .LBB339_849
.LBB339_260:
	s_mov_b32 s19, 0
	s_mov_b32 s18, s16
                                        ; implicit-def: $vgpr2
	s_cbranch_execnz .LBB339_456
.LBB339_261:
	s_and_not1_b32 vcc_lo, exec_lo, s19
	s_cbranch_vccnz .LBB339_504
.LBB339_262:
	s_wait_xcnt 0x0
	v_mul_lo_u32 v0, v10, s8
	s_wait_loadcnt 0x0
	s_delay_alu instid0(VALU_DEP_2) | instskip(SKIP_3) | instid1(VALU_DEP_2)
	v_cmp_ne_u16_e32 vcc_lo, s11, v2
	s_and_b32 s21, s2, 0xff
	s_xor_b32 s19, s13, vcc_lo
	s_cmp_lt_i32 s21, 11
	v_ashrrev_i32_e32 v1, 31, v0
	s_delay_alu instid0(VALU_DEP_1)
	v_add_nc_u64_e32 v[0:1], s[4:5], v[0:1]
	s_cbranch_scc1 .LBB339_270
; %bb.263:
	s_and_b32 s22, 0xffff, s21
	s_delay_alu instid0(SALU_CYCLE_1)
	s_cmp_gt_i32 s22, 25
	s_cbranch_scc0 .LBB339_272
; %bb.264:
	s_cmp_gt_i32 s22, 28
	s_cbranch_scc0 .LBB339_274
; %bb.265:
	;; [unrolled: 3-line block ×4, first 2 shown]
	s_mov_b32 s24, 0
	s_mov_b32 s0, -1
	s_cmp_eq_u32 s22, 46
	s_mov_b32 s23, 0
	s_cbranch_scc0 .LBB339_287
; %bb.268:
	v_cndmask_b32_e64 v2, 0, 1.0, s19
	s_mov_b32 s23, -1
	s_mov_b32 s0, 0
	s_delay_alu instid0(VALU_DEP_1) | instskip(NEXT) | instid1(VALU_DEP_1)
	v_bfe_u32 v3, v2, 16, 1
	v_add3_u32 v2, v2, v3, 0x7fff
	s_delay_alu instid0(VALU_DEP_1)
	v_lshrrev_b32_e32 v2, 16, v2
	global_store_b32 v[0:1], v2, off
	s_branch .LBB339_287
.LBB339_269:
	s_mov_b32 s21, -1
	s_mov_b32 s19, 0
	s_mov_b32 s18, s16
                                        ; implicit-def: $vgpr2
	s_branch .LBB339_422
.LBB339_270:
	s_mov_b32 s22, -1
	s_mov_b32 s23, 0
	s_mov_b32 s0, s15
	s_branch .LBB339_356
.LBB339_271:
	s_mov_b32 s21, -1
	s_mov_b32 s19, 0
	s_mov_b32 s18, s16
                                        ; implicit-def: $vgpr2
	s_branch .LBB339_405
.LBB339_272:
	s_mov_b32 s24, -1
	s_mov_b32 s23, 0
	s_mov_b32 s0, s15
	s_branch .LBB339_314
.LBB339_273:
	s_mov_b32 s21, -1
	s_mov_b32 s19, 0
	s_mov_b32 s18, s16
                                        ; implicit-def: $vgpr2
	s_branch .LBB339_400
.LBB339_274:
	s_mov_b32 s24, -1
	s_mov_b32 s23, 0
	s_mov_b32 s0, s15
	s_branch .LBB339_297
.LBB339_275:
	s_and_not1_saveexec_b32 s23, s23
	s_cbranch_execz .LBB339_54
.LBB339_276:
	v_add_f32_e32 v2, 0x46000000, v3
	s_and_not1_b32 s22, s22, exec_lo
	s_delay_alu instid0(VALU_DEP_1) | instskip(NEXT) | instid1(VALU_DEP_1)
	v_and_b32_e32 v2, 0xff, v2
	v_cmp_ne_u32_e32 vcc_lo, 0, v2
	s_and_b32 s24, vcc_lo, exec_lo
	s_delay_alu instid0(SALU_CYCLE_1)
	s_or_b32 s22, s22, s24
	s_or_b32 exec_lo, exec_lo, s23
	v_mov_b32_e32 v4, 0
	s_and_saveexec_b32 s23, s22
	s_cbranch_execnz .LBB339_55
	s_branch .LBB339_56
.LBB339_277:
	s_mov_b32 s21, -1
	s_mov_b32 s19, 0
	s_mov_b32 s18, s16
	s_branch .LBB339_282
.LBB339_278:
	s_mov_b32 s24, -1
	s_mov_b32 s23, 0
	s_mov_b32 s0, s15
	s_branch .LBB339_293
.LBB339_279:
	s_and_not1_saveexec_b32 s23, s23
	s_cbranch_execz .LBB339_67
.LBB339_280:
	v_add_f32_e32 v2, 0x42800000, v3
	s_and_not1_b32 s22, s22, exec_lo
	s_delay_alu instid0(VALU_DEP_1) | instskip(NEXT) | instid1(VALU_DEP_1)
	v_and_b32_e32 v2, 0xff, v2
	v_cmp_ne_u32_e32 vcc_lo, 0, v2
	s_and_b32 s24, vcc_lo, exec_lo
	s_delay_alu instid0(SALU_CYCLE_1)
	s_or_b32 s22, s22, s24
	s_or_b32 exec_lo, exec_lo, s23
	v_mov_b32_e32 v4, 0
	s_and_saveexec_b32 s23, s22
	s_cbranch_execnz .LBB339_68
	s_branch .LBB339_69
.LBB339_281:
	s_mov_b32 s18, -1
	s_mov_b32 s19, 0
.LBB339_282:
                                        ; implicit-def: $vgpr2
.LBB339_283:
	s_and_b32 vcc_lo, exec_lo, s21
	s_cbranch_vccz .LBB339_399
; %bb.284:
	s_cmp_eq_u32 s0, 44
	s_cbranch_scc0 .LBB339_398
; %bb.285:
	s_wait_loadcnt 0x0
	global_load_u8 v2, v[0:1], off
	s_mov_b32 s18, 0
	s_mov_b32 s19, -1
	s_wait_loadcnt 0x0
	v_lshlrev_b32_e32 v3, 23, v2
	v_cmp_ne_u32_e32 vcc_lo, 0, v2
	s_delay_alu instid0(VALU_DEP_2) | instskip(NEXT) | instid1(VALU_DEP_1)
	v_cvt_u32_f32_e32 v3, v3
	v_cndmask_b32_e32 v2, 0, v3, vcc_lo
	s_branch .LBB339_399
.LBB339_286:
	s_mov_b32 s24, -1
	s_mov_b32 s23, 0
	s_mov_b32 s0, s15
.LBB339_287:
	s_and_b32 vcc_lo, exec_lo, s24
	s_cbranch_vccz .LBB339_292
; %bb.288:
	s_cmp_eq_u32 s22, 44
	s_mov_b32 s0, -1
	s_cbranch_scc0 .LBB339_292
; %bb.289:
	v_cndmask_b32_e64 v4, 0, 1.0, s19
	s_mov_b32 s23, exec_lo
	s_wait_xcnt 0x0
	s_delay_alu instid0(VALU_DEP_1) | instskip(NEXT) | instid1(VALU_DEP_1)
	v_dual_mov_b32 v3, 0xff :: v_dual_lshrrev_b32 v2, 23, v4
	v_cmpx_ne_u32_e32 0xff, v2
; %bb.290:
	v_and_b32_e32 v3, 0x400000, v4
	v_and_or_b32 v4, 0x3fffff, v4, v2
	s_delay_alu instid0(VALU_DEP_2) | instskip(NEXT) | instid1(VALU_DEP_2)
	v_cmp_ne_u32_e32 vcc_lo, 0, v3
	v_cmp_ne_u32_e64 s0, 0, v4
	s_and_b32 s0, vcc_lo, s0
	s_delay_alu instid0(SALU_CYCLE_1) | instskip(NEXT) | instid1(VALU_DEP_1)
	v_cndmask_b32_e64 v3, 0, 1, s0
	v_add_nc_u32_e32 v3, v2, v3
; %bb.291:
	s_or_b32 exec_lo, exec_lo, s23
	s_mov_b32 s23, -1
	s_mov_b32 s0, 0
	global_store_b8 v[0:1], v3, off
.LBB339_292:
	s_mov_b32 s24, 0
.LBB339_293:
	s_delay_alu instid0(SALU_CYCLE_1)
	s_and_b32 vcc_lo, exec_lo, s24
	s_cbranch_vccz .LBB339_296
; %bb.294:
	s_cmp_eq_u32 s22, 29
	s_mov_b32 s0, -1
	s_cbranch_scc0 .LBB339_296
; %bb.295:
	s_mov_b32 s0, 0
	s_wait_xcnt 0x0
	v_cndmask_b32_e64 v2, 0, 1, s19
	v_mov_b32_e32 v3, s0
	s_mov_b32 s23, -1
	s_mov_b32 s24, 0
	global_store_b64 v[0:1], v[2:3], off
	s_branch .LBB339_297
.LBB339_296:
	s_mov_b32 s24, 0
.LBB339_297:
	s_delay_alu instid0(SALU_CYCLE_1)
	s_and_b32 vcc_lo, exec_lo, s24
	s_cbranch_vccz .LBB339_313
; %bb.298:
	s_cmp_lt_i32 s22, 27
	s_mov_b32 s23, -1
	s_cbranch_scc1 .LBB339_304
; %bb.299:
	s_cmp_gt_i32 s22, 27
	s_cbranch_scc0 .LBB339_301
; %bb.300:
	s_wait_xcnt 0x0
	v_cndmask_b32_e64 v2, 0, 1, s19
	s_mov_b32 s23, 0
	global_store_b32 v[0:1], v2, off
.LBB339_301:
	s_and_not1_b32 vcc_lo, exec_lo, s23
	s_cbranch_vccnz .LBB339_303
; %bb.302:
	s_wait_xcnt 0x0
	v_cndmask_b32_e64 v2, 0, 1, s19
	global_store_b16 v[0:1], v2, off
.LBB339_303:
	s_mov_b32 s23, 0
.LBB339_304:
	s_delay_alu instid0(SALU_CYCLE_1)
	s_and_not1_b32 vcc_lo, exec_lo, s23
	s_cbranch_vccnz .LBB339_312
; %bb.305:
	s_wait_xcnt 0x0
	v_cndmask_b32_e64 v3, 0, 1.0, s19
	v_mov_b32_e32 v4, 0x80
	s_mov_b32 s23, exec_lo
	s_delay_alu instid0(VALU_DEP_2)
	v_cmpx_gt_u32_e32 0x43800000, v3
	s_cbranch_execz .LBB339_311
; %bb.306:
	s_mov_b32 s24, 0
	s_mov_b32 s25, exec_lo
                                        ; implicit-def: $vgpr2
	v_cmpx_lt_u32_e32 0x3bffffff, v3
	s_xor_b32 s25, exec_lo, s25
	s_cbranch_execz .LBB339_520
; %bb.307:
	v_bfe_u32 v2, v3, 20, 1
	s_mov_b32 s24, exec_lo
	s_delay_alu instid0(VALU_DEP_1) | instskip(NEXT) | instid1(VALU_DEP_1)
	v_add3_u32 v2, v3, v2, 0x487ffff
                                        ; implicit-def: $vgpr3
	v_lshrrev_b32_e32 v2, 20, v2
	s_and_not1_saveexec_b32 s25, s25
	s_cbranch_execnz .LBB339_521
.LBB339_308:
	s_or_b32 exec_lo, exec_lo, s25
	v_mov_b32_e32 v4, 0
	s_and_saveexec_b32 s25, s24
.LBB339_309:
	v_mov_b32_e32 v4, v2
.LBB339_310:
	s_or_b32 exec_lo, exec_lo, s25
.LBB339_311:
	s_delay_alu instid0(SALU_CYCLE_1)
	s_or_b32 exec_lo, exec_lo, s23
	global_store_b8 v[0:1], v4, off
.LBB339_312:
	s_mov_b32 s23, -1
.LBB339_313:
	s_mov_b32 s24, 0
.LBB339_314:
	s_delay_alu instid0(SALU_CYCLE_1)
	s_and_b32 vcc_lo, exec_lo, s24
	s_cbranch_vccz .LBB339_355
; %bb.315:
	s_cmp_gt_i32 s22, 22
	s_mov_b32 s24, -1
	s_cbranch_scc0 .LBB339_347
; %bb.316:
	s_cmp_lt_i32 s22, 24
	s_mov_b32 s23, -1
	s_cbranch_scc1 .LBB339_336
; %bb.317:
	s_cmp_gt_i32 s22, 24
	s_cbranch_scc0 .LBB339_325
; %bb.318:
	s_wait_xcnt 0x0
	v_cndmask_b32_e64 v3, 0, 1.0, s19
	v_mov_b32_e32 v4, 0x80
	s_mov_b32 s23, exec_lo
	s_delay_alu instid0(VALU_DEP_2)
	v_cmpx_gt_u32_e32 0x47800000, v3
	s_cbranch_execz .LBB339_324
; %bb.319:
	s_mov_b32 s24, 0
	s_mov_b32 s25, exec_lo
                                        ; implicit-def: $vgpr2
	v_cmpx_lt_u32_e32 0x37ffffff, v3
	s_xor_b32 s25, exec_lo, s25
	s_cbranch_execz .LBB339_523
; %bb.320:
	v_bfe_u32 v2, v3, 21, 1
	s_mov_b32 s24, exec_lo
	s_delay_alu instid0(VALU_DEP_1) | instskip(NEXT) | instid1(VALU_DEP_1)
	v_add3_u32 v2, v3, v2, 0x88fffff
                                        ; implicit-def: $vgpr3
	v_lshrrev_b32_e32 v2, 21, v2
	s_and_not1_saveexec_b32 s25, s25
	s_cbranch_execnz .LBB339_524
.LBB339_321:
	s_or_b32 exec_lo, exec_lo, s25
	v_mov_b32_e32 v4, 0
	s_and_saveexec_b32 s25, s24
.LBB339_322:
	v_mov_b32_e32 v4, v2
.LBB339_323:
	s_or_b32 exec_lo, exec_lo, s25
.LBB339_324:
	s_delay_alu instid0(SALU_CYCLE_1)
	s_or_b32 exec_lo, exec_lo, s23
	s_mov_b32 s23, 0
	global_store_b8 v[0:1], v4, off
.LBB339_325:
	s_and_b32 vcc_lo, exec_lo, s23
	s_cbranch_vccz .LBB339_335
; %bb.326:
	s_wait_xcnt 0x0
	v_cndmask_b32_e64 v3, 0, 1.0, s19
	s_mov_b32 s23, exec_lo
                                        ; implicit-def: $vgpr2
	s_delay_alu instid0(VALU_DEP_1)
	v_cmpx_gt_u32_e32 0x43f00000, v3
	s_xor_b32 s23, exec_lo, s23
	s_cbranch_execz .LBB339_332
; %bb.327:
	s_mov_b32 s24, exec_lo
                                        ; implicit-def: $vgpr2
	v_cmpx_lt_u32_e32 0x3c7fffff, v3
	s_xor_b32 s24, exec_lo, s24
; %bb.328:
	v_bfe_u32 v2, v3, 20, 1
	s_delay_alu instid0(VALU_DEP_1) | instskip(NEXT) | instid1(VALU_DEP_1)
	v_add3_u32 v2, v3, v2, 0x407ffff
	v_and_b32_e32 v3, 0xff00000, v2
	v_lshrrev_b32_e32 v2, 20, v2
	s_delay_alu instid0(VALU_DEP_2) | instskip(NEXT) | instid1(VALU_DEP_2)
	v_cmp_ne_u32_e32 vcc_lo, 0x7f00000, v3
                                        ; implicit-def: $vgpr3
	v_cndmask_b32_e32 v2, 0x7e, v2, vcc_lo
; %bb.329:
	s_and_not1_saveexec_b32 s24, s24
; %bb.330:
	v_add_f32_e32 v2, 0x46800000, v3
; %bb.331:
	s_or_b32 exec_lo, exec_lo, s24
                                        ; implicit-def: $vgpr3
.LBB339_332:
	s_and_not1_saveexec_b32 s23, s23
; %bb.333:
	v_mov_b32_e32 v2, 0x7f
	v_cmp_lt_u32_e32 vcc_lo, 0x7f800000, v3
	s_delay_alu instid0(VALU_DEP_2)
	v_cndmask_b32_e32 v2, 0x7e, v2, vcc_lo
; %bb.334:
	s_or_b32 exec_lo, exec_lo, s23
	global_store_b8 v[0:1], v2, off
.LBB339_335:
	s_mov_b32 s23, 0
.LBB339_336:
	s_delay_alu instid0(SALU_CYCLE_1)
	s_and_not1_b32 vcc_lo, exec_lo, s23
	s_cbranch_vccnz .LBB339_346
; %bb.337:
	s_wait_xcnt 0x0
	v_cndmask_b32_e64 v3, 0, 1.0, s19
	s_mov_b32 s23, exec_lo
                                        ; implicit-def: $vgpr2
	s_delay_alu instid0(VALU_DEP_1)
	v_cmpx_gt_u32_e32 0x47800000, v3
	s_xor_b32 s23, exec_lo, s23
	s_cbranch_execz .LBB339_343
; %bb.338:
	s_mov_b32 s24, exec_lo
                                        ; implicit-def: $vgpr2
	v_cmpx_lt_u32_e32 0x387fffff, v3
	s_xor_b32 s24, exec_lo, s24
; %bb.339:
	v_bfe_u32 v2, v3, 21, 1
	s_delay_alu instid0(VALU_DEP_1) | instskip(NEXT) | instid1(VALU_DEP_1)
	v_add3_u32 v2, v3, v2, 0x80fffff
                                        ; implicit-def: $vgpr3
	v_lshrrev_b32_e32 v2, 21, v2
; %bb.340:
	s_and_not1_saveexec_b32 s24, s24
; %bb.341:
	v_add_f32_e32 v2, 0x43000000, v3
; %bb.342:
	s_or_b32 exec_lo, exec_lo, s24
                                        ; implicit-def: $vgpr3
.LBB339_343:
	s_and_not1_saveexec_b32 s23, s23
; %bb.344:
	v_mov_b32_e32 v2, 0x7f
	v_cmp_lt_u32_e32 vcc_lo, 0x7f800000, v3
	s_delay_alu instid0(VALU_DEP_2)
	v_cndmask_b32_e32 v2, 0x7c, v2, vcc_lo
; %bb.345:
	s_or_b32 exec_lo, exec_lo, s23
	global_store_b8 v[0:1], v2, off
.LBB339_346:
	s_mov_b32 s24, 0
	s_mov_b32 s23, -1
.LBB339_347:
	s_and_not1_b32 vcc_lo, exec_lo, s24
	s_cbranch_vccnz .LBB339_355
; %bb.348:
	s_cmp_gt_i32 s22, 14
	s_mov_b32 s24, -1
	s_cbranch_scc0 .LBB339_352
; %bb.349:
	s_cmp_eq_u32 s22, 15
	s_mov_b32 s0, -1
	s_cbranch_scc0 .LBB339_351
; %bb.350:
	s_wait_xcnt 0x0
	v_cndmask_b32_e64 v2, 0, 1.0, s19
	s_mov_b32 s23, -1
	s_mov_b32 s0, 0
	s_delay_alu instid0(VALU_DEP_1) | instskip(NEXT) | instid1(VALU_DEP_1)
	v_bfe_u32 v3, v2, 16, 1
	v_add3_u32 v2, v2, v3, 0x7fff
	global_store_d16_hi_b16 v[0:1], v2, off
.LBB339_351:
	s_mov_b32 s24, 0
.LBB339_352:
	s_delay_alu instid0(SALU_CYCLE_1)
	s_and_b32 vcc_lo, exec_lo, s24
	s_cbranch_vccz .LBB339_355
; %bb.353:
	s_cmp_eq_u32 s22, 11
	s_mov_b32 s0, -1
	s_cbranch_scc0 .LBB339_355
; %bb.354:
	s_wait_xcnt 0x0
	v_cndmask_b32_e64 v2, 0, 1, s19
	s_mov_b32 s23, -1
	s_mov_b32 s0, 0
	global_store_b8 v[0:1], v2, off
.LBB339_355:
	s_mov_b32 s22, 0
.LBB339_356:
	s_delay_alu instid0(SALU_CYCLE_1)
	s_and_b32 vcc_lo, exec_lo, s22
	s_cbranch_vccz .LBB339_395
; %bb.357:
	s_and_b32 s21, 0xffff, s21
	s_mov_b32 s22, -1
	s_cmp_lt_i32 s21, 5
	s_cbranch_scc1 .LBB339_378
; %bb.358:
	s_cmp_lt_i32 s21, 8
	s_cbranch_scc1 .LBB339_368
; %bb.359:
	;; [unrolled: 3-line block ×3, first 2 shown]
	s_cmp_gt_i32 s21, 9
	s_cbranch_scc0 .LBB339_362
; %bb.361:
	s_wait_xcnt 0x0
	v_cndmask_b32_e64 v2, 0, 1, s19
	v_mov_b32_e32 v4, 0
	s_mov_b32 s22, 0
	s_delay_alu instid0(VALU_DEP_2) | instskip(NEXT) | instid1(VALU_DEP_2)
	v_cvt_f64_u32_e32 v[2:3], v2
	v_mov_b32_e32 v5, v4
	global_store_b128 v[0:1], v[2:5], off
.LBB339_362:
	s_and_not1_b32 vcc_lo, exec_lo, s22
	s_cbranch_vccnz .LBB339_364
; %bb.363:
	s_wait_xcnt 0x0
	v_cndmask_b32_e64 v2, 0, 1.0, s19
	v_mov_b32_e32 v3, 0
	global_store_b64 v[0:1], v[2:3], off
.LBB339_364:
	s_mov_b32 s22, 0
.LBB339_365:
	s_delay_alu instid0(SALU_CYCLE_1)
	s_and_not1_b32 vcc_lo, exec_lo, s22
	s_cbranch_vccnz .LBB339_367
; %bb.366:
	s_wait_xcnt 0x0
	v_cndmask_b32_e64 v2, 0, 1.0, s19
	s_delay_alu instid0(VALU_DEP_1) | instskip(NEXT) | instid1(VALU_DEP_1)
	v_cvt_f16_f32_e32 v2, v2
	v_and_b32_e32 v2, 0xffff, v2
	global_store_b32 v[0:1], v2, off
.LBB339_367:
	s_mov_b32 s22, 0
.LBB339_368:
	s_delay_alu instid0(SALU_CYCLE_1)
	s_and_not1_b32 vcc_lo, exec_lo, s22
	s_cbranch_vccnz .LBB339_377
; %bb.369:
	s_cmp_lt_i32 s21, 6
	s_mov_b32 s22, -1
	s_cbranch_scc1 .LBB339_375
; %bb.370:
	s_cmp_gt_i32 s21, 6
	s_cbranch_scc0 .LBB339_372
; %bb.371:
	s_wait_xcnt 0x0
	v_cndmask_b32_e64 v2, 0, 1, s19
	s_mov_b32 s22, 0
	s_delay_alu instid0(VALU_DEP_1)
	v_cvt_f64_u32_e32 v[2:3], v2
	global_store_b64 v[0:1], v[2:3], off
.LBB339_372:
	s_and_not1_b32 vcc_lo, exec_lo, s22
	s_cbranch_vccnz .LBB339_374
; %bb.373:
	s_wait_xcnt 0x0
	v_cndmask_b32_e64 v2, 0, 1.0, s19
	global_store_b32 v[0:1], v2, off
.LBB339_374:
	s_mov_b32 s22, 0
.LBB339_375:
	s_delay_alu instid0(SALU_CYCLE_1)
	s_and_not1_b32 vcc_lo, exec_lo, s22
	s_cbranch_vccnz .LBB339_377
; %bb.376:
	s_wait_xcnt 0x0
	v_cndmask_b32_e64 v2, 0, 1.0, s19
	s_delay_alu instid0(VALU_DEP_1)
	v_cvt_f16_f32_e32 v2, v2
	global_store_b16 v[0:1], v2, off
.LBB339_377:
	s_mov_b32 s22, 0
.LBB339_378:
	s_delay_alu instid0(SALU_CYCLE_1)
	s_and_not1_b32 vcc_lo, exec_lo, s22
	s_cbranch_vccnz .LBB339_394
; %bb.379:
	s_cmp_lt_i32 s21, 2
	s_mov_b32 s22, -1
	s_cbranch_scc1 .LBB339_389
; %bb.380:
	s_cmp_lt_i32 s21, 3
	s_cbranch_scc1 .LBB339_386
; %bb.381:
	s_cmp_gt_i32 s21, 3
	s_cbranch_scc0 .LBB339_383
; %bb.382:
	s_mov_b32 s22, 0
	s_wait_xcnt 0x0
	v_cndmask_b32_e64 v2, 0, 1, s19
	v_mov_b32_e32 v3, s22
	global_store_b64 v[0:1], v[2:3], off
.LBB339_383:
	s_and_not1_b32 vcc_lo, exec_lo, s22
	s_cbranch_vccnz .LBB339_385
; %bb.384:
	s_wait_xcnt 0x0
	v_cndmask_b32_e64 v2, 0, 1, s19
	global_store_b32 v[0:1], v2, off
.LBB339_385:
	s_mov_b32 s22, 0
.LBB339_386:
	s_delay_alu instid0(SALU_CYCLE_1)
	s_and_not1_b32 vcc_lo, exec_lo, s22
	s_cbranch_vccnz .LBB339_388
; %bb.387:
	s_wait_xcnt 0x0
	v_cndmask_b32_e64 v2, 0, 1, s19
	global_store_b16 v[0:1], v2, off
.LBB339_388:
	s_mov_b32 s22, 0
.LBB339_389:
	s_delay_alu instid0(SALU_CYCLE_1)
	s_and_not1_b32 vcc_lo, exec_lo, s22
	s_cbranch_vccnz .LBB339_394
; %bb.390:
	s_wait_xcnt 0x0
	v_cndmask_b32_e64 v2, 0, 1, s19
	s_cmp_gt_i32 s21, 0
	s_mov_b32 s19, -1
	s_cbranch_scc0 .LBB339_392
; %bb.391:
	s_mov_b32 s19, 0
	global_store_b8 v[0:1], v2, off
.LBB339_392:
	s_and_not1_b32 vcc_lo, exec_lo, s19
	s_cbranch_vccnz .LBB339_394
; %bb.393:
	global_store_b8 v[0:1], v2, off
.LBB339_394:
	s_mov_b32 s23, -1
.LBB339_395:
	s_delay_alu instid0(SALU_CYCLE_1)
	s_and_not1_b32 vcc_lo, exec_lo, s23
	s_cbranch_vccnz .LBB339_397
; %bb.396:
	v_add_nc_u32_e32 v10, 0x80, v10
	s_mov_b32 s21, -1
	s_branch .LBB339_506
.LBB339_397:
	s_mov_b32 s21, 0
	s_branch .LBB339_505
.LBB339_398:
	s_mov_b32 s18, -1
                                        ; implicit-def: $vgpr2
.LBB339_399:
	s_mov_b32 s21, 0
.LBB339_400:
	s_delay_alu instid0(SALU_CYCLE_1)
	s_and_b32 vcc_lo, exec_lo, s21
	s_cbranch_vccz .LBB339_404
; %bb.401:
	s_cmp_eq_u32 s0, 29
	s_cbranch_scc0 .LBB339_403
; %bb.402:
	s_wait_loadcnt 0x0
	global_load_b64 v[2:3], v[0:1], off
	s_mov_b32 s19, -1
	s_mov_b32 s18, 0
	s_branch .LBB339_404
.LBB339_403:
	s_mov_b32 s18, -1
                                        ; implicit-def: $vgpr2
.LBB339_404:
	s_mov_b32 s21, 0
.LBB339_405:
	s_delay_alu instid0(SALU_CYCLE_1)
	s_and_b32 vcc_lo, exec_lo, s21
	s_cbranch_vccz .LBB339_421
; %bb.406:
	s_cmp_lt_i32 s0, 27
	s_cbranch_scc1 .LBB339_409
; %bb.407:
	s_cmp_gt_i32 s0, 27
	s_cbranch_scc0 .LBB339_410
; %bb.408:
	s_wait_loadcnt 0x0
	global_load_b32 v2, v[0:1], off
	s_mov_b32 s19, 0
	s_branch .LBB339_411
.LBB339_409:
	s_mov_b32 s19, -1
                                        ; implicit-def: $vgpr2
	s_branch .LBB339_414
.LBB339_410:
	s_mov_b32 s19, -1
                                        ; implicit-def: $vgpr2
.LBB339_411:
	s_delay_alu instid0(SALU_CYCLE_1)
	s_and_not1_b32 vcc_lo, exec_lo, s19
	s_cbranch_vccnz .LBB339_413
; %bb.412:
	s_wait_loadcnt 0x0
	global_load_u16 v2, v[0:1], off
.LBB339_413:
	s_mov_b32 s19, 0
.LBB339_414:
	s_delay_alu instid0(SALU_CYCLE_1)
	s_and_not1_b32 vcc_lo, exec_lo, s19
	s_cbranch_vccnz .LBB339_420
; %bb.415:
	s_wait_loadcnt 0x0
	global_load_u8 v3, v[0:1], off
	s_mov_b32 s21, 0
	s_mov_b32 s19, exec_lo
	s_wait_loadcnt 0x0
	v_cmpx_lt_i16_e32 0x7f, v3
	s_xor_b32 s19, exec_lo, s19
	s_cbranch_execz .LBB339_432
; %bb.416:
	v_cmp_ne_u16_e32 vcc_lo, 0x80, v3
	s_and_b32 s21, vcc_lo, exec_lo
	s_and_not1_saveexec_b32 s19, s19
	s_cbranch_execnz .LBB339_433
.LBB339_417:
	s_or_b32 exec_lo, exec_lo, s19
	v_mov_b32_e32 v2, 0
	s_and_saveexec_b32 s19, s21
	s_cbranch_execz .LBB339_419
.LBB339_418:
	v_and_b32_e32 v2, 0xffff, v3
	s_delay_alu instid0(VALU_DEP_1) | instskip(SKIP_1) | instid1(VALU_DEP_2)
	v_and_b32_e32 v4, 7, v2
	v_bfe_u32 v7, v2, 3, 4
	v_clz_i32_u32_e32 v5, v4
	s_delay_alu instid0(VALU_DEP_2) | instskip(NEXT) | instid1(VALU_DEP_2)
	v_cmp_eq_u32_e32 vcc_lo, 0, v7
	v_min_u32_e32 v5, 32, v5
	s_delay_alu instid0(VALU_DEP_1) | instskip(NEXT) | instid1(VALU_DEP_1)
	v_subrev_nc_u32_e32 v6, 28, v5
	v_dual_lshlrev_b32 v2, v6, v2 :: v_dual_sub_nc_u32 v5, 29, v5
	s_delay_alu instid0(VALU_DEP_1) | instskip(NEXT) | instid1(VALU_DEP_1)
	v_dual_lshlrev_b32 v3, 24, v3 :: v_dual_bitop2_b32 v2, 7, v2 bitop3:0x40
	v_dual_cndmask_b32 v5, v7, v5 :: v_dual_cndmask_b32 v2, v4, v2
	s_delay_alu instid0(VALU_DEP_2) | instskip(NEXT) | instid1(VALU_DEP_2)
	v_and_b32_e32 v3, 0x80000000, v3
	v_lshl_add_u32 v4, v5, 23, 0x3b800000
	s_delay_alu instid0(VALU_DEP_3) | instskip(NEXT) | instid1(VALU_DEP_1)
	v_lshlrev_b32_e32 v2, 20, v2
	v_or3_b32 v2, v3, v4, v2
	s_delay_alu instid0(VALU_DEP_1)
	v_cvt_u32_f32_e32 v2, v2
.LBB339_419:
	s_or_b32 exec_lo, exec_lo, s19
.LBB339_420:
	s_mov_b32 s19, -1
.LBB339_421:
	s_mov_b32 s21, 0
.LBB339_422:
	s_delay_alu instid0(SALU_CYCLE_1)
	s_and_b32 vcc_lo, exec_lo, s21
	s_cbranch_vccz .LBB339_455
; %bb.423:
	s_cmp_gt_i32 s0, 22
	s_cbranch_scc0 .LBB339_431
; %bb.424:
	s_cmp_lt_i32 s0, 24
	s_cbranch_scc1 .LBB339_434
; %bb.425:
	s_cmp_gt_i32 s0, 24
	s_cbranch_scc0 .LBB339_435
; %bb.426:
	s_wait_loadcnt 0x0
	global_load_u8 v3, v[0:1], off
	s_mov_b32 s21, 0
	s_mov_b32 s19, exec_lo
	s_wait_loadcnt 0x0
	v_cmpx_lt_i16_e32 0x7f, v3
	s_xor_b32 s19, exec_lo, s19
	s_cbranch_execz .LBB339_447
; %bb.427:
	v_cmp_ne_u16_e32 vcc_lo, 0x80, v3
	s_and_b32 s21, vcc_lo, exec_lo
	s_and_not1_saveexec_b32 s19, s19
	s_cbranch_execnz .LBB339_448
.LBB339_428:
	s_or_b32 exec_lo, exec_lo, s19
	v_mov_b32_e32 v2, 0
	s_and_saveexec_b32 s19, s21
	s_cbranch_execz .LBB339_430
.LBB339_429:
	v_and_b32_e32 v2, 0xffff, v3
	s_delay_alu instid0(VALU_DEP_1) | instskip(SKIP_1) | instid1(VALU_DEP_2)
	v_and_b32_e32 v4, 3, v2
	v_bfe_u32 v7, v2, 2, 5
	v_clz_i32_u32_e32 v5, v4
	s_delay_alu instid0(VALU_DEP_2) | instskip(NEXT) | instid1(VALU_DEP_2)
	v_cmp_eq_u32_e32 vcc_lo, 0, v7
	v_min_u32_e32 v5, 32, v5
	s_delay_alu instid0(VALU_DEP_1) | instskip(NEXT) | instid1(VALU_DEP_1)
	v_subrev_nc_u32_e32 v6, 29, v5
	v_dual_lshlrev_b32 v2, v6, v2 :: v_dual_sub_nc_u32 v5, 30, v5
	s_delay_alu instid0(VALU_DEP_1) | instskip(NEXT) | instid1(VALU_DEP_1)
	v_dual_lshlrev_b32 v3, 24, v3 :: v_dual_bitop2_b32 v2, 3, v2 bitop3:0x40
	v_dual_cndmask_b32 v5, v7, v5 :: v_dual_cndmask_b32 v2, v4, v2
	s_delay_alu instid0(VALU_DEP_2) | instskip(NEXT) | instid1(VALU_DEP_2)
	v_and_b32_e32 v3, 0x80000000, v3
	v_lshl_add_u32 v4, v5, 23, 0x37800000
	s_delay_alu instid0(VALU_DEP_3) | instskip(NEXT) | instid1(VALU_DEP_1)
	v_lshlrev_b32_e32 v2, 21, v2
	v_or3_b32 v2, v3, v4, v2
	s_delay_alu instid0(VALU_DEP_1)
	v_cvt_u32_f32_e32 v2, v2
.LBB339_430:
	s_or_b32 exec_lo, exec_lo, s19
	s_mov_b32 s19, 0
	s_branch .LBB339_436
.LBB339_431:
	s_mov_b32 s21, -1
                                        ; implicit-def: $vgpr2
	s_branch .LBB339_442
.LBB339_432:
	s_and_not1_saveexec_b32 s19, s19
	s_cbranch_execz .LBB339_417
.LBB339_433:
	v_cmp_ne_u16_e32 vcc_lo, 0, v3
	s_and_not1_b32 s21, s21, exec_lo
	s_and_b32 s22, vcc_lo, exec_lo
	s_delay_alu instid0(SALU_CYCLE_1)
	s_or_b32 s21, s21, s22
	s_or_b32 exec_lo, exec_lo, s19
	v_mov_b32_e32 v2, 0
	s_and_saveexec_b32 s19, s21
	s_cbranch_execnz .LBB339_418
	s_branch .LBB339_419
.LBB339_434:
	s_mov_b32 s19, -1
                                        ; implicit-def: $vgpr2
	s_branch .LBB339_439
.LBB339_435:
	s_mov_b32 s19, -1
                                        ; implicit-def: $vgpr2
.LBB339_436:
	s_delay_alu instid0(SALU_CYCLE_1)
	s_and_b32 vcc_lo, exec_lo, s19
	s_cbranch_vccz .LBB339_438
; %bb.437:
	s_wait_loadcnt 0x0
	global_load_u8 v2, v[0:1], off
	s_wait_loadcnt 0x0
	v_lshlrev_b32_e32 v2, 24, v2
	s_delay_alu instid0(VALU_DEP_1) | instskip(NEXT) | instid1(VALU_DEP_1)
	v_and_b32_e32 v3, 0x7f000000, v2
	v_clz_i32_u32_e32 v4, v3
	v_cmp_ne_u32_e32 vcc_lo, 0, v3
	v_add_nc_u32_e32 v6, 0x1000000, v3
	s_delay_alu instid0(VALU_DEP_3) | instskip(NEXT) | instid1(VALU_DEP_1)
	v_min_u32_e32 v4, 32, v4
	v_sub_nc_u32_e64 v4, v4, 4 clamp
	s_delay_alu instid0(VALU_DEP_1) | instskip(NEXT) | instid1(VALU_DEP_1)
	v_dual_lshlrev_b32 v5, v4, v3 :: v_dual_lshlrev_b32 v4, 23, v4
	v_lshrrev_b32_e32 v5, 4, v5
	s_delay_alu instid0(VALU_DEP_1) | instskip(NEXT) | instid1(VALU_DEP_1)
	v_dual_sub_nc_u32 v4, v5, v4 :: v_dual_ashrrev_i32 v5, 8, v6
	v_add_nc_u32_e32 v4, 0x3c000000, v4
	s_delay_alu instid0(VALU_DEP_1) | instskip(NEXT) | instid1(VALU_DEP_1)
	v_and_or_b32 v4, 0x7f800000, v5, v4
	v_cndmask_b32_e32 v3, 0, v4, vcc_lo
	s_delay_alu instid0(VALU_DEP_1) | instskip(NEXT) | instid1(VALU_DEP_1)
	v_and_or_b32 v2, 0x80000000, v2, v3
	v_cvt_u32_f32_e32 v2, v2
.LBB339_438:
	s_mov_b32 s19, 0
.LBB339_439:
	s_delay_alu instid0(SALU_CYCLE_1)
	s_and_not1_b32 vcc_lo, exec_lo, s19
	s_cbranch_vccnz .LBB339_441
; %bb.440:
	s_wait_loadcnt 0x0
	global_load_u8 v2, v[0:1], off
	s_wait_loadcnt 0x0
	v_lshlrev_b32_e32 v3, 25, v2
	v_lshlrev_b16 v2, 8, v2
	s_delay_alu instid0(VALU_DEP_1) | instskip(SKIP_1) | instid1(VALU_DEP_2)
	v_and_or_b32 v5, 0x7f00, v2, 0.5
	v_bfe_i32 v2, v2, 0, 16
	v_dual_add_f32 v5, -0.5, v5 :: v_dual_lshrrev_b32 v4, 4, v3
	v_cmp_gt_u32_e32 vcc_lo, 0x8000000, v3
	s_delay_alu instid0(VALU_DEP_2) | instskip(NEXT) | instid1(VALU_DEP_1)
	v_or_b32_e32 v4, 0x70000000, v4
	v_mul_f32_e32 v4, 0x7800000, v4
	s_delay_alu instid0(VALU_DEP_1) | instskip(NEXT) | instid1(VALU_DEP_1)
	v_cndmask_b32_e32 v3, v4, v5, vcc_lo
	v_and_or_b32 v2, 0x80000000, v2, v3
	s_delay_alu instid0(VALU_DEP_1)
	v_cvt_u32_f32_e32 v2, v2
.LBB339_441:
	s_mov_b32 s21, 0
	s_mov_b32 s19, -1
.LBB339_442:
	s_and_not1_b32 vcc_lo, exec_lo, s21
	s_cbranch_vccnz .LBB339_455
; %bb.443:
	s_cmp_gt_i32 s0, 14
	s_cbranch_scc0 .LBB339_446
; %bb.444:
	s_cmp_eq_u32 s0, 15
	s_cbranch_scc0 .LBB339_449
; %bb.445:
	s_wait_loadcnt 0x0
	global_load_u16 v2, v[0:1], off
	s_mov_b32 s19, -1
	s_mov_b32 s18, 0
	s_wait_loadcnt 0x0
	v_lshlrev_b32_e32 v2, 16, v2
	s_delay_alu instid0(VALU_DEP_1)
	v_cvt_u32_f32_e32 v2, v2
	s_branch .LBB339_450
.LBB339_446:
	s_mov_b32 s21, -1
                                        ; implicit-def: $vgpr2
	s_branch .LBB339_451
.LBB339_447:
	s_and_not1_saveexec_b32 s19, s19
	s_cbranch_execz .LBB339_428
.LBB339_448:
	v_cmp_ne_u16_e32 vcc_lo, 0, v3
	s_and_not1_b32 s21, s21, exec_lo
	s_and_b32 s22, vcc_lo, exec_lo
	s_delay_alu instid0(SALU_CYCLE_1)
	s_or_b32 s21, s21, s22
	s_or_b32 exec_lo, exec_lo, s19
	v_mov_b32_e32 v2, 0
	s_and_saveexec_b32 s19, s21
	s_cbranch_execnz .LBB339_429
	s_branch .LBB339_430
.LBB339_449:
	s_mov_b32 s18, -1
                                        ; implicit-def: $vgpr2
.LBB339_450:
	s_mov_b32 s21, 0
.LBB339_451:
	s_delay_alu instid0(SALU_CYCLE_1)
	s_and_b32 vcc_lo, exec_lo, s21
	s_cbranch_vccz .LBB339_455
; %bb.452:
	s_cmp_eq_u32 s0, 11
	s_cbranch_scc0 .LBB339_454
; %bb.453:
	s_wait_loadcnt 0x0
	global_load_u8 v2, v[0:1], off
	s_mov_b32 s18, 0
	s_mov_b32 s19, -1
	s_wait_loadcnt 0x0
	v_cmp_ne_u16_e32 vcc_lo, 0, v2
	v_cndmask_b32_e64 v2, 0, 1, vcc_lo
	s_branch .LBB339_455
.LBB339_454:
	s_mov_b32 s18, -1
                                        ; implicit-def: $vgpr2
.LBB339_455:
	s_branch .LBB339_261
.LBB339_456:
	s_cmp_lt_i32 s0, 5
	s_cbranch_scc1 .LBB339_461
; %bb.457:
	s_cmp_lt_i32 s0, 8
	s_cbranch_scc1 .LBB339_462
; %bb.458:
	;; [unrolled: 3-line block ×3, first 2 shown]
	s_cmp_gt_i32 s0, 9
	s_cbranch_scc0 .LBB339_464
; %bb.460:
	s_wait_loadcnt 0x0
	global_load_b64 v[2:3], v[0:1], off
	s_mov_b32 s19, 0
	s_wait_loadcnt 0x0
	v_cvt_u32_f64_e32 v2, v[2:3]
	s_branch .LBB339_465
.LBB339_461:
	s_mov_b32 s19, -1
                                        ; implicit-def: $vgpr2
	s_branch .LBB339_483
.LBB339_462:
	s_mov_b32 s19, -1
                                        ; implicit-def: $vgpr2
	s_branch .LBB339_471
.LBB339_463:
	s_mov_b32 s19, -1
                                        ; implicit-def: $vgpr2
	s_branch .LBB339_468
.LBB339_464:
	s_mov_b32 s19, -1
                                        ; implicit-def: $vgpr2
.LBB339_465:
	s_delay_alu instid0(SALU_CYCLE_1)
	s_and_not1_b32 vcc_lo, exec_lo, s19
	s_cbranch_vccnz .LBB339_467
; %bb.466:
	s_wait_loadcnt 0x0
	global_load_b32 v2, v[0:1], off
	s_wait_loadcnt 0x0
	v_cvt_u32_f32_e32 v2, v2
.LBB339_467:
	s_mov_b32 s19, 0
.LBB339_468:
	s_delay_alu instid0(SALU_CYCLE_1)
	s_and_not1_b32 vcc_lo, exec_lo, s19
	s_cbranch_vccnz .LBB339_470
; %bb.469:
	s_wait_loadcnt 0x0
	global_load_b32 v2, v[0:1], off
	s_wait_loadcnt 0x0
	v_cvt_u16_f16_e32 v2, v2
.LBB339_470:
	s_mov_b32 s19, 0
.LBB339_471:
	s_delay_alu instid0(SALU_CYCLE_1)
	s_and_not1_b32 vcc_lo, exec_lo, s19
	s_cbranch_vccnz .LBB339_482
; %bb.472:
	s_cmp_lt_i32 s0, 6
	s_cbranch_scc1 .LBB339_475
; %bb.473:
	s_cmp_gt_i32 s0, 6
	s_cbranch_scc0 .LBB339_476
; %bb.474:
	s_wait_loadcnt 0x0
	global_load_b64 v[2:3], v[0:1], off
	s_mov_b32 s19, 0
	s_wait_loadcnt 0x0
	v_cvt_u32_f64_e32 v2, v[2:3]
	s_branch .LBB339_477
.LBB339_475:
	s_mov_b32 s19, -1
                                        ; implicit-def: $vgpr2
	s_branch .LBB339_480
.LBB339_476:
	s_mov_b32 s19, -1
                                        ; implicit-def: $vgpr2
.LBB339_477:
	s_delay_alu instid0(SALU_CYCLE_1)
	s_and_not1_b32 vcc_lo, exec_lo, s19
	s_cbranch_vccnz .LBB339_479
; %bb.478:
	s_wait_loadcnt 0x0
	global_load_b32 v2, v[0:1], off
	s_wait_loadcnt 0x0
	v_cvt_u32_f32_e32 v2, v2
.LBB339_479:
	s_mov_b32 s19, 0
.LBB339_480:
	s_delay_alu instid0(SALU_CYCLE_1)
	s_and_not1_b32 vcc_lo, exec_lo, s19
	s_cbranch_vccnz .LBB339_482
; %bb.481:
	s_wait_loadcnt 0x0
	global_load_u16 v2, v[0:1], off
	s_wait_loadcnt 0x0
	v_cvt_u16_f16_e32 v2, v2
.LBB339_482:
	s_mov_b32 s19, 0
.LBB339_483:
	s_delay_alu instid0(SALU_CYCLE_1)
	s_and_not1_b32 vcc_lo, exec_lo, s19
	s_cbranch_vccnz .LBB339_503
; %bb.484:
	s_cmp_lt_i32 s0, 2
	s_cbranch_scc1 .LBB339_488
; %bb.485:
	s_cmp_lt_i32 s0, 3
	s_cbranch_scc1 .LBB339_489
; %bb.486:
	s_cmp_gt_i32 s0, 3
	s_cbranch_scc0 .LBB339_490
; %bb.487:
	s_wait_loadcnt 0x0
	global_load_b64 v[2:3], v[0:1], off
	s_mov_b32 s19, 0
	s_branch .LBB339_491
.LBB339_488:
	s_mov_b32 s19, -1
                                        ; implicit-def: $vgpr2
	s_branch .LBB339_497
.LBB339_489:
	s_mov_b32 s19, -1
                                        ; implicit-def: $vgpr2
	s_branch .LBB339_494
.LBB339_490:
	s_mov_b32 s19, -1
                                        ; implicit-def: $vgpr2
.LBB339_491:
	s_delay_alu instid0(SALU_CYCLE_1)
	s_and_not1_b32 vcc_lo, exec_lo, s19
	s_cbranch_vccnz .LBB339_493
; %bb.492:
	s_wait_loadcnt 0x0
	global_load_b32 v2, v[0:1], off
.LBB339_493:
	s_mov_b32 s19, 0
.LBB339_494:
	s_delay_alu instid0(SALU_CYCLE_1)
	s_and_not1_b32 vcc_lo, exec_lo, s19
	s_cbranch_vccnz .LBB339_496
; %bb.495:
	s_wait_loadcnt 0x0
	global_load_u16 v2, v[0:1], off
.LBB339_496:
	s_mov_b32 s19, 0
.LBB339_497:
	s_delay_alu instid0(SALU_CYCLE_1)
	s_and_not1_b32 vcc_lo, exec_lo, s19
	s_cbranch_vccnz .LBB339_503
; %bb.498:
	s_cmp_gt_i32 s0, 0
	s_mov_b32 s0, 0
	s_cbranch_scc0 .LBB339_500
; %bb.499:
	s_wait_loadcnt 0x0
	global_load_i8 v2, v[0:1], off
	s_branch .LBB339_501
.LBB339_500:
	s_mov_b32 s0, -1
                                        ; implicit-def: $vgpr2
.LBB339_501:
	s_delay_alu instid0(SALU_CYCLE_1)
	s_and_not1_b32 vcc_lo, exec_lo, s0
	s_cbranch_vccnz .LBB339_503
; %bb.502:
	s_wait_loadcnt 0x0
	global_load_u8 v2, v[0:1], off
.LBB339_503:
	s_branch .LBB339_262
.LBB339_504:
	s_mov_b32 s21, 0
	s_mov_b32 s0, s15
.LBB339_505:
                                        ; implicit-def: $vgpr10
.LBB339_506:
	s_and_not1_b32 s19, s15, exec_lo
	s_and_b32 s0, s0, exec_lo
	s_and_not1_b32 s22, s16, exec_lo
	s_and_b32 s18, s18, exec_lo
	s_or_b32 s19, s19, s0
	s_or_b32 s18, s22, s18
	s_or_not1_b32 s0, s21, exec_lo
.LBB339_507:
	s_wait_xcnt 0x0
	s_or_b32 exec_lo, exec_lo, s20
	s_mov_b32 s21, 0
	s_mov_b32 s22, 0
	;; [unrolled: 1-line block ×3, first 2 shown]
                                        ; implicit-def: $vgpr0_vgpr1
                                        ; implicit-def: $vgpr2
	s_and_saveexec_b32 s20, s0
	s_cbranch_execz .LBB339_846
; %bb.508:
	s_mov_b32 s23, -1
	s_mov_b32 s0, s18
	s_mov_b32 s22, s19
	s_mov_b32 s21, exec_lo
	v_cmpx_gt_i32_e64 s14, v10
	s_cbranch_execz .LBB339_764
; %bb.509:
	v_mul_lo_u32 v0, v10, s9
	s_and_b32 s0, 0xffff, s3
	s_delay_alu instid0(SALU_CYCLE_1) | instskip(NEXT) | instid1(VALU_DEP_1)
	s_cmp_lt_i32 s0, 11
	v_ashrrev_i32_e32 v1, 31, v0
	s_delay_alu instid0(VALU_DEP_1)
	v_add_nc_u64_e32 v[0:1], s[6:7], v[0:1]
	s_cbranch_scc1 .LBB339_516
; %bb.510:
	s_cmp_gt_i32 s0, 25
	s_cbranch_scc0 .LBB339_517
; %bb.511:
	s_cmp_gt_i32 s0, 28
	s_cbranch_scc0 .LBB339_518
	;; [unrolled: 3-line block ×4, first 2 shown]
; %bb.514:
	s_cmp_eq_u32 s0, 46
	s_mov_b32 s24, 0
	s_cbranch_scc0 .LBB339_525
; %bb.515:
	s_wait_loadcnt 0x0
	global_load_b32 v2, v[0:1], off
	s_mov_b32 s22, 0
	s_wait_loadcnt 0x0
	v_lshlrev_b32_e32 v2, 16, v2
	s_delay_alu instid0(VALU_DEP_1)
	v_cvt_u32_f32_e32 v2, v2
	s_branch .LBB339_527
.LBB339_516:
	s_mov_b32 s24, -1
	s_mov_b32 s23, 0
	s_mov_b32 s22, s18
                                        ; implicit-def: $vgpr2
	s_branch .LBB339_588
.LBB339_517:
	s_mov_b32 s24, -1
	s_mov_b32 s23, 0
	s_mov_b32 s22, s18
                                        ; implicit-def: $vgpr2
	s_branch .LBB339_554
.LBB339_518:
	s_mov_b32 s24, -1
	s_mov_b32 s23, 0
	s_mov_b32 s22, s18
                                        ; implicit-def: $vgpr2
	s_branch .LBB339_537
.LBB339_519:
	s_mov_b32 s24, -1
	s_mov_b32 s23, 0
	s_mov_b32 s22, s18
                                        ; implicit-def: $vgpr2
	s_branch .LBB339_532
.LBB339_520:
	s_and_not1_saveexec_b32 s25, s25
	s_cbranch_execz .LBB339_308
.LBB339_521:
	v_add_f32_e32 v2, 0x46000000, v3
	s_and_not1_b32 s24, s24, exec_lo
	s_delay_alu instid0(VALU_DEP_1) | instskip(NEXT) | instid1(VALU_DEP_1)
	v_and_b32_e32 v2, 0xff, v2
	v_cmp_ne_u32_e32 vcc_lo, 0, v2
	s_and_b32 s26, vcc_lo, exec_lo
	s_delay_alu instid0(SALU_CYCLE_1)
	s_or_b32 s24, s24, s26
	s_or_b32 exec_lo, exec_lo, s25
	v_mov_b32_e32 v4, 0
	s_and_saveexec_b32 s25, s24
	s_cbranch_execnz .LBB339_309
	s_branch .LBB339_310
.LBB339_522:
	s_mov_b32 s24, -1
	s_mov_b32 s23, 0
	s_mov_b32 s22, s18
	s_branch .LBB339_526
.LBB339_523:
	s_and_not1_saveexec_b32 s25, s25
	s_cbranch_execz .LBB339_321
.LBB339_524:
	v_add_f32_e32 v2, 0x42800000, v3
	s_and_not1_b32 s24, s24, exec_lo
	s_delay_alu instid0(VALU_DEP_1) | instskip(NEXT) | instid1(VALU_DEP_1)
	v_and_b32_e32 v2, 0xff, v2
	v_cmp_ne_u32_e32 vcc_lo, 0, v2
	s_and_b32 s26, vcc_lo, exec_lo
	s_delay_alu instid0(SALU_CYCLE_1)
	s_or_b32 s24, s24, s26
	s_or_b32 exec_lo, exec_lo, s25
	v_mov_b32_e32 v4, 0
	s_and_saveexec_b32 s25, s24
	s_cbranch_execnz .LBB339_322
	s_branch .LBB339_323
.LBB339_525:
	s_mov_b32 s22, -1
	s_mov_b32 s23, 0
.LBB339_526:
                                        ; implicit-def: $vgpr2
.LBB339_527:
	s_and_b32 vcc_lo, exec_lo, s24
	s_cbranch_vccz .LBB339_531
; %bb.528:
	s_cmp_eq_u32 s0, 44
	s_cbranch_scc0 .LBB339_530
; %bb.529:
	s_wait_loadcnt 0x0
	global_load_u8 v2, v[0:1], off
	s_mov_b32 s22, 0
	s_mov_b32 s23, -1
	s_wait_loadcnt 0x0
	v_lshlrev_b32_e32 v3, 23, v2
	v_cmp_ne_u32_e32 vcc_lo, 0, v2
	s_delay_alu instid0(VALU_DEP_2) | instskip(NEXT) | instid1(VALU_DEP_1)
	v_cvt_u32_f32_e32 v3, v3
	v_cndmask_b32_e32 v2, 0, v3, vcc_lo
	s_branch .LBB339_531
.LBB339_530:
	s_mov_b32 s22, -1
                                        ; implicit-def: $vgpr2
.LBB339_531:
	s_mov_b32 s24, 0
.LBB339_532:
	s_delay_alu instid0(SALU_CYCLE_1)
	s_and_b32 vcc_lo, exec_lo, s24
	s_cbranch_vccz .LBB339_536
; %bb.533:
	s_cmp_eq_u32 s0, 29
	s_cbranch_scc0 .LBB339_535
; %bb.534:
	s_wait_loadcnt 0x0
	global_load_b64 v[2:3], v[0:1], off
	s_mov_b32 s23, -1
	s_mov_b32 s22, 0
	s_branch .LBB339_536
.LBB339_535:
	s_mov_b32 s22, -1
                                        ; implicit-def: $vgpr2
.LBB339_536:
	s_mov_b32 s24, 0
.LBB339_537:
	s_delay_alu instid0(SALU_CYCLE_1)
	s_and_b32 vcc_lo, exec_lo, s24
	s_cbranch_vccz .LBB339_553
; %bb.538:
	s_cmp_lt_i32 s0, 27
	s_cbranch_scc1 .LBB339_541
; %bb.539:
	s_cmp_gt_i32 s0, 27
	s_cbranch_scc0 .LBB339_542
; %bb.540:
	s_wait_loadcnt 0x0
	global_load_b32 v2, v[0:1], off
	s_mov_b32 s23, 0
	s_branch .LBB339_543
.LBB339_541:
	s_mov_b32 s23, -1
                                        ; implicit-def: $vgpr2
	s_branch .LBB339_546
.LBB339_542:
	s_mov_b32 s23, -1
                                        ; implicit-def: $vgpr2
.LBB339_543:
	s_delay_alu instid0(SALU_CYCLE_1)
	s_and_not1_b32 vcc_lo, exec_lo, s23
	s_cbranch_vccnz .LBB339_545
; %bb.544:
	s_wait_loadcnt 0x0
	global_load_u16 v2, v[0:1], off
.LBB339_545:
	s_mov_b32 s23, 0
.LBB339_546:
	s_delay_alu instid0(SALU_CYCLE_1)
	s_and_not1_b32 vcc_lo, exec_lo, s23
	s_cbranch_vccnz .LBB339_552
; %bb.547:
	s_wait_loadcnt 0x0
	global_load_u8 v3, v[0:1], off
	s_mov_b32 s24, 0
	s_mov_b32 s23, exec_lo
	s_wait_loadcnt 0x0
	v_cmpx_lt_i16_e32 0x7f, v3
	s_xor_b32 s23, exec_lo, s23
	s_cbranch_execz .LBB339_564
; %bb.548:
	v_cmp_ne_u16_e32 vcc_lo, 0x80, v3
	s_and_b32 s24, vcc_lo, exec_lo
	s_and_not1_saveexec_b32 s23, s23
	s_cbranch_execnz .LBB339_565
.LBB339_549:
	s_or_b32 exec_lo, exec_lo, s23
	v_mov_b32_e32 v2, 0
	s_and_saveexec_b32 s23, s24
	s_cbranch_execz .LBB339_551
.LBB339_550:
	v_and_b32_e32 v2, 0xffff, v3
	s_delay_alu instid0(VALU_DEP_1) | instskip(SKIP_1) | instid1(VALU_DEP_2)
	v_and_b32_e32 v4, 7, v2
	v_bfe_u32 v7, v2, 3, 4
	v_clz_i32_u32_e32 v5, v4
	s_delay_alu instid0(VALU_DEP_2) | instskip(NEXT) | instid1(VALU_DEP_2)
	v_cmp_eq_u32_e32 vcc_lo, 0, v7
	v_min_u32_e32 v5, 32, v5
	s_delay_alu instid0(VALU_DEP_1) | instskip(NEXT) | instid1(VALU_DEP_1)
	v_subrev_nc_u32_e32 v6, 28, v5
	v_dual_lshlrev_b32 v2, v6, v2 :: v_dual_sub_nc_u32 v5, 29, v5
	s_delay_alu instid0(VALU_DEP_1) | instskip(NEXT) | instid1(VALU_DEP_1)
	v_dual_lshlrev_b32 v3, 24, v3 :: v_dual_bitop2_b32 v2, 7, v2 bitop3:0x40
	v_dual_cndmask_b32 v5, v7, v5 :: v_dual_cndmask_b32 v2, v4, v2
	s_delay_alu instid0(VALU_DEP_2) | instskip(NEXT) | instid1(VALU_DEP_2)
	v_and_b32_e32 v3, 0x80000000, v3
	v_lshl_add_u32 v4, v5, 23, 0x3b800000
	s_delay_alu instid0(VALU_DEP_3) | instskip(NEXT) | instid1(VALU_DEP_1)
	v_lshlrev_b32_e32 v2, 20, v2
	v_or3_b32 v2, v3, v4, v2
	s_delay_alu instid0(VALU_DEP_1)
	v_cvt_u32_f32_e32 v2, v2
.LBB339_551:
	s_or_b32 exec_lo, exec_lo, s23
.LBB339_552:
	s_mov_b32 s23, -1
.LBB339_553:
	s_mov_b32 s24, 0
.LBB339_554:
	s_delay_alu instid0(SALU_CYCLE_1)
	s_and_b32 vcc_lo, exec_lo, s24
	s_cbranch_vccz .LBB339_587
; %bb.555:
	s_cmp_gt_i32 s0, 22
	s_cbranch_scc0 .LBB339_563
; %bb.556:
	s_cmp_lt_i32 s0, 24
	s_cbranch_scc1 .LBB339_566
; %bb.557:
	s_cmp_gt_i32 s0, 24
	s_cbranch_scc0 .LBB339_567
; %bb.558:
	s_wait_loadcnt 0x0
	global_load_u8 v3, v[0:1], off
	s_mov_b32 s24, 0
	s_mov_b32 s23, exec_lo
	s_wait_loadcnt 0x0
	v_cmpx_lt_i16_e32 0x7f, v3
	s_xor_b32 s23, exec_lo, s23
	s_cbranch_execz .LBB339_579
; %bb.559:
	v_cmp_ne_u16_e32 vcc_lo, 0x80, v3
	s_and_b32 s24, vcc_lo, exec_lo
	s_and_not1_saveexec_b32 s23, s23
	s_cbranch_execnz .LBB339_580
.LBB339_560:
	s_or_b32 exec_lo, exec_lo, s23
	v_mov_b32_e32 v2, 0
	s_and_saveexec_b32 s23, s24
	s_cbranch_execz .LBB339_562
.LBB339_561:
	v_and_b32_e32 v2, 0xffff, v3
	s_delay_alu instid0(VALU_DEP_1) | instskip(SKIP_1) | instid1(VALU_DEP_2)
	v_and_b32_e32 v4, 3, v2
	v_bfe_u32 v7, v2, 2, 5
	v_clz_i32_u32_e32 v5, v4
	s_delay_alu instid0(VALU_DEP_2) | instskip(NEXT) | instid1(VALU_DEP_2)
	v_cmp_eq_u32_e32 vcc_lo, 0, v7
	v_min_u32_e32 v5, 32, v5
	s_delay_alu instid0(VALU_DEP_1) | instskip(NEXT) | instid1(VALU_DEP_1)
	v_subrev_nc_u32_e32 v6, 29, v5
	v_dual_lshlrev_b32 v2, v6, v2 :: v_dual_sub_nc_u32 v5, 30, v5
	s_delay_alu instid0(VALU_DEP_1) | instskip(NEXT) | instid1(VALU_DEP_1)
	v_dual_lshlrev_b32 v3, 24, v3 :: v_dual_bitop2_b32 v2, 3, v2 bitop3:0x40
	v_dual_cndmask_b32 v5, v7, v5 :: v_dual_cndmask_b32 v2, v4, v2
	s_delay_alu instid0(VALU_DEP_2) | instskip(NEXT) | instid1(VALU_DEP_2)
	v_and_b32_e32 v3, 0x80000000, v3
	v_lshl_add_u32 v4, v5, 23, 0x37800000
	s_delay_alu instid0(VALU_DEP_3) | instskip(NEXT) | instid1(VALU_DEP_1)
	v_lshlrev_b32_e32 v2, 21, v2
	v_or3_b32 v2, v3, v4, v2
	s_delay_alu instid0(VALU_DEP_1)
	v_cvt_u32_f32_e32 v2, v2
.LBB339_562:
	s_or_b32 exec_lo, exec_lo, s23
	s_mov_b32 s23, 0
	s_branch .LBB339_568
.LBB339_563:
	s_mov_b32 s24, -1
                                        ; implicit-def: $vgpr2
	s_branch .LBB339_574
.LBB339_564:
	s_and_not1_saveexec_b32 s23, s23
	s_cbranch_execz .LBB339_549
.LBB339_565:
	v_cmp_ne_u16_e32 vcc_lo, 0, v3
	s_and_not1_b32 s24, s24, exec_lo
	s_and_b32 s25, vcc_lo, exec_lo
	s_delay_alu instid0(SALU_CYCLE_1)
	s_or_b32 s24, s24, s25
	s_or_b32 exec_lo, exec_lo, s23
	v_mov_b32_e32 v2, 0
	s_and_saveexec_b32 s23, s24
	s_cbranch_execnz .LBB339_550
	s_branch .LBB339_551
.LBB339_566:
	s_mov_b32 s23, -1
                                        ; implicit-def: $vgpr2
	s_branch .LBB339_571
.LBB339_567:
	s_mov_b32 s23, -1
                                        ; implicit-def: $vgpr2
.LBB339_568:
	s_delay_alu instid0(SALU_CYCLE_1)
	s_and_b32 vcc_lo, exec_lo, s23
	s_cbranch_vccz .LBB339_570
; %bb.569:
	s_wait_loadcnt 0x0
	global_load_u8 v2, v[0:1], off
	s_wait_loadcnt 0x0
	v_lshlrev_b32_e32 v2, 24, v2
	s_delay_alu instid0(VALU_DEP_1) | instskip(NEXT) | instid1(VALU_DEP_1)
	v_and_b32_e32 v3, 0x7f000000, v2
	v_clz_i32_u32_e32 v4, v3
	v_cmp_ne_u32_e32 vcc_lo, 0, v3
	v_add_nc_u32_e32 v6, 0x1000000, v3
	s_delay_alu instid0(VALU_DEP_3) | instskip(NEXT) | instid1(VALU_DEP_1)
	v_min_u32_e32 v4, 32, v4
	v_sub_nc_u32_e64 v4, v4, 4 clamp
	s_delay_alu instid0(VALU_DEP_1) | instskip(NEXT) | instid1(VALU_DEP_1)
	v_dual_lshlrev_b32 v5, v4, v3 :: v_dual_lshlrev_b32 v4, 23, v4
	v_lshrrev_b32_e32 v5, 4, v5
	s_delay_alu instid0(VALU_DEP_1) | instskip(NEXT) | instid1(VALU_DEP_1)
	v_dual_sub_nc_u32 v4, v5, v4 :: v_dual_ashrrev_i32 v5, 8, v6
	v_add_nc_u32_e32 v4, 0x3c000000, v4
	s_delay_alu instid0(VALU_DEP_1) | instskip(NEXT) | instid1(VALU_DEP_1)
	v_and_or_b32 v4, 0x7f800000, v5, v4
	v_cndmask_b32_e32 v3, 0, v4, vcc_lo
	s_delay_alu instid0(VALU_DEP_1) | instskip(NEXT) | instid1(VALU_DEP_1)
	v_and_or_b32 v2, 0x80000000, v2, v3
	v_cvt_u32_f32_e32 v2, v2
.LBB339_570:
	s_mov_b32 s23, 0
.LBB339_571:
	s_delay_alu instid0(SALU_CYCLE_1)
	s_and_not1_b32 vcc_lo, exec_lo, s23
	s_cbranch_vccnz .LBB339_573
; %bb.572:
	s_wait_loadcnt 0x0
	global_load_u8 v2, v[0:1], off
	s_wait_loadcnt 0x0
	v_lshlrev_b32_e32 v3, 25, v2
	v_lshlrev_b16 v2, 8, v2
	s_delay_alu instid0(VALU_DEP_1) | instskip(SKIP_1) | instid1(VALU_DEP_2)
	v_and_or_b32 v5, 0x7f00, v2, 0.5
	v_bfe_i32 v2, v2, 0, 16
	v_dual_add_f32 v5, -0.5, v5 :: v_dual_lshrrev_b32 v4, 4, v3
	v_cmp_gt_u32_e32 vcc_lo, 0x8000000, v3
	s_delay_alu instid0(VALU_DEP_2) | instskip(NEXT) | instid1(VALU_DEP_1)
	v_or_b32_e32 v4, 0x70000000, v4
	v_mul_f32_e32 v4, 0x7800000, v4
	s_delay_alu instid0(VALU_DEP_1) | instskip(NEXT) | instid1(VALU_DEP_1)
	v_cndmask_b32_e32 v3, v4, v5, vcc_lo
	v_and_or_b32 v2, 0x80000000, v2, v3
	s_delay_alu instid0(VALU_DEP_1)
	v_cvt_u32_f32_e32 v2, v2
.LBB339_573:
	s_mov_b32 s24, 0
	s_mov_b32 s23, -1
.LBB339_574:
	s_and_not1_b32 vcc_lo, exec_lo, s24
	s_cbranch_vccnz .LBB339_587
; %bb.575:
	s_cmp_gt_i32 s0, 14
	s_cbranch_scc0 .LBB339_578
; %bb.576:
	s_cmp_eq_u32 s0, 15
	s_cbranch_scc0 .LBB339_581
; %bb.577:
	s_wait_loadcnt 0x0
	global_load_u16 v2, v[0:1], off
	s_mov_b32 s23, -1
	s_mov_b32 s22, 0
	s_wait_loadcnt 0x0
	v_lshlrev_b32_e32 v2, 16, v2
	s_delay_alu instid0(VALU_DEP_1)
	v_cvt_u32_f32_e32 v2, v2
	s_branch .LBB339_582
.LBB339_578:
	s_mov_b32 s24, -1
                                        ; implicit-def: $vgpr2
	s_branch .LBB339_583
.LBB339_579:
	s_and_not1_saveexec_b32 s23, s23
	s_cbranch_execz .LBB339_560
.LBB339_580:
	v_cmp_ne_u16_e32 vcc_lo, 0, v3
	s_and_not1_b32 s24, s24, exec_lo
	s_and_b32 s25, vcc_lo, exec_lo
	s_delay_alu instid0(SALU_CYCLE_1)
	s_or_b32 s24, s24, s25
	s_or_b32 exec_lo, exec_lo, s23
	v_mov_b32_e32 v2, 0
	s_and_saveexec_b32 s23, s24
	s_cbranch_execnz .LBB339_561
	s_branch .LBB339_562
.LBB339_581:
	s_mov_b32 s22, -1
                                        ; implicit-def: $vgpr2
.LBB339_582:
	s_mov_b32 s24, 0
.LBB339_583:
	s_delay_alu instid0(SALU_CYCLE_1)
	s_and_b32 vcc_lo, exec_lo, s24
	s_cbranch_vccz .LBB339_587
; %bb.584:
	s_cmp_eq_u32 s0, 11
	s_cbranch_scc0 .LBB339_586
; %bb.585:
	s_wait_loadcnt 0x0
	global_load_u8 v2, v[0:1], off
	s_mov_b32 s22, 0
	s_mov_b32 s23, -1
	s_wait_loadcnt 0x0
	v_cmp_ne_u16_e32 vcc_lo, 0, v2
	v_cndmask_b32_e64 v2, 0, 1, vcc_lo
	s_branch .LBB339_587
.LBB339_586:
	s_mov_b32 s22, -1
                                        ; implicit-def: $vgpr2
.LBB339_587:
	s_mov_b32 s24, 0
.LBB339_588:
	s_delay_alu instid0(SALU_CYCLE_1)
	s_and_b32 vcc_lo, exec_lo, s24
	s_cbranch_vccz .LBB339_637
; %bb.589:
	s_cmp_lt_i32 s0, 5
	s_cbranch_scc1 .LBB339_594
; %bb.590:
	s_cmp_lt_i32 s0, 8
	s_cbranch_scc1 .LBB339_595
	;; [unrolled: 3-line block ×3, first 2 shown]
; %bb.592:
	s_cmp_gt_i32 s0, 9
	s_cbranch_scc0 .LBB339_597
; %bb.593:
	s_wait_loadcnt 0x0
	global_load_b64 v[2:3], v[0:1], off
	s_mov_b32 s23, 0
	s_wait_loadcnt 0x0
	v_cvt_u32_f64_e32 v2, v[2:3]
	s_branch .LBB339_598
.LBB339_594:
	s_mov_b32 s23, -1
                                        ; implicit-def: $vgpr2
	s_branch .LBB339_616
.LBB339_595:
	s_mov_b32 s23, -1
                                        ; implicit-def: $vgpr2
	s_branch .LBB339_604
.LBB339_596:
	s_mov_b32 s23, -1
                                        ; implicit-def: $vgpr2
	s_branch .LBB339_601
.LBB339_597:
	s_mov_b32 s23, -1
                                        ; implicit-def: $vgpr2
.LBB339_598:
	s_delay_alu instid0(SALU_CYCLE_1)
	s_and_not1_b32 vcc_lo, exec_lo, s23
	s_cbranch_vccnz .LBB339_600
; %bb.599:
	s_wait_loadcnt 0x0
	global_load_b32 v2, v[0:1], off
	s_wait_loadcnt 0x0
	v_cvt_u32_f32_e32 v2, v2
.LBB339_600:
	s_mov_b32 s23, 0
.LBB339_601:
	s_delay_alu instid0(SALU_CYCLE_1)
	s_and_not1_b32 vcc_lo, exec_lo, s23
	s_cbranch_vccnz .LBB339_603
; %bb.602:
	s_wait_loadcnt 0x0
	global_load_b32 v2, v[0:1], off
	s_wait_loadcnt 0x0
	v_cvt_u16_f16_e32 v2, v2
.LBB339_603:
	s_mov_b32 s23, 0
.LBB339_604:
	s_delay_alu instid0(SALU_CYCLE_1)
	s_and_not1_b32 vcc_lo, exec_lo, s23
	s_cbranch_vccnz .LBB339_615
; %bb.605:
	s_cmp_lt_i32 s0, 6
	s_cbranch_scc1 .LBB339_608
; %bb.606:
	s_cmp_gt_i32 s0, 6
	s_cbranch_scc0 .LBB339_609
; %bb.607:
	s_wait_loadcnt 0x0
	global_load_b64 v[2:3], v[0:1], off
	s_mov_b32 s23, 0
	s_wait_loadcnt 0x0
	v_cvt_u32_f64_e32 v2, v[2:3]
	s_branch .LBB339_610
.LBB339_608:
	s_mov_b32 s23, -1
                                        ; implicit-def: $vgpr2
	s_branch .LBB339_613
.LBB339_609:
	s_mov_b32 s23, -1
                                        ; implicit-def: $vgpr2
.LBB339_610:
	s_delay_alu instid0(SALU_CYCLE_1)
	s_and_not1_b32 vcc_lo, exec_lo, s23
	s_cbranch_vccnz .LBB339_612
; %bb.611:
	s_wait_loadcnt 0x0
	global_load_b32 v2, v[0:1], off
	s_wait_loadcnt 0x0
	v_cvt_u32_f32_e32 v2, v2
.LBB339_612:
	s_mov_b32 s23, 0
.LBB339_613:
	s_delay_alu instid0(SALU_CYCLE_1)
	s_and_not1_b32 vcc_lo, exec_lo, s23
	s_cbranch_vccnz .LBB339_615
; %bb.614:
	s_wait_loadcnt 0x0
	global_load_u16 v2, v[0:1], off
	s_wait_loadcnt 0x0
	v_cvt_u16_f16_e32 v2, v2
.LBB339_615:
	s_mov_b32 s23, 0
.LBB339_616:
	s_delay_alu instid0(SALU_CYCLE_1)
	s_and_not1_b32 vcc_lo, exec_lo, s23
	s_cbranch_vccnz .LBB339_636
; %bb.617:
	s_cmp_lt_i32 s0, 2
	s_cbranch_scc1 .LBB339_621
; %bb.618:
	s_cmp_lt_i32 s0, 3
	s_cbranch_scc1 .LBB339_622
; %bb.619:
	s_cmp_gt_i32 s0, 3
	s_cbranch_scc0 .LBB339_623
; %bb.620:
	s_wait_loadcnt 0x0
	global_load_b64 v[2:3], v[0:1], off
	s_mov_b32 s23, 0
	s_branch .LBB339_624
.LBB339_621:
	s_mov_b32 s23, -1
                                        ; implicit-def: $vgpr2
	s_branch .LBB339_630
.LBB339_622:
	s_mov_b32 s23, -1
                                        ; implicit-def: $vgpr2
	s_branch .LBB339_627
.LBB339_623:
	s_mov_b32 s23, -1
                                        ; implicit-def: $vgpr2
.LBB339_624:
	s_delay_alu instid0(SALU_CYCLE_1)
	s_and_not1_b32 vcc_lo, exec_lo, s23
	s_cbranch_vccnz .LBB339_626
; %bb.625:
	s_wait_loadcnt 0x0
	global_load_b32 v2, v[0:1], off
.LBB339_626:
	s_mov_b32 s23, 0
.LBB339_627:
	s_delay_alu instid0(SALU_CYCLE_1)
	s_and_not1_b32 vcc_lo, exec_lo, s23
	s_cbranch_vccnz .LBB339_629
; %bb.628:
	s_wait_loadcnt 0x0
	global_load_u16 v2, v[0:1], off
.LBB339_629:
	s_mov_b32 s23, 0
.LBB339_630:
	s_delay_alu instid0(SALU_CYCLE_1)
	s_and_not1_b32 vcc_lo, exec_lo, s23
	s_cbranch_vccnz .LBB339_636
; %bb.631:
	s_cmp_gt_i32 s0, 0
	s_mov_b32 s0, 0
	s_cbranch_scc0 .LBB339_633
; %bb.632:
	s_wait_loadcnt 0x0
	global_load_i8 v2, v[0:1], off
	s_branch .LBB339_634
.LBB339_633:
	s_mov_b32 s0, -1
                                        ; implicit-def: $vgpr2
.LBB339_634:
	s_delay_alu instid0(SALU_CYCLE_1)
	s_and_not1_b32 vcc_lo, exec_lo, s0
	s_cbranch_vccnz .LBB339_636
; %bb.635:
	s_wait_loadcnt 0x0
	global_load_u8 v2, v[0:1], off
.LBB339_636:
	s_mov_b32 s23, -1
.LBB339_637:
	s_delay_alu instid0(SALU_CYCLE_1)
	s_and_not1_b32 vcc_lo, exec_lo, s23
	s_cbranch_vccnz .LBB339_645
; %bb.638:
	s_wait_xcnt 0x0
	v_mul_lo_u32 v0, v10, s8
	s_wait_loadcnt 0x0
	s_delay_alu instid0(VALU_DEP_2) | instskip(SKIP_3) | instid1(VALU_DEP_2)
	v_cmp_ne_u16_e32 vcc_lo, s11, v2
	s_and_b32 s24, s2, 0xff
	s_xor_b32 s23, s13, vcc_lo
	s_cmp_lt_i32 s24, 11
	v_ashrrev_i32_e32 v1, 31, v0
	s_delay_alu instid0(VALU_DEP_1)
	v_add_nc_u64_e32 v[0:1], s[4:5], v[0:1]
	s_cbranch_scc1 .LBB339_646
; %bb.639:
	s_and_b32 s25, 0xffff, s24
	s_delay_alu instid0(SALU_CYCLE_1)
	s_cmp_gt_i32 s25, 25
	s_cbranch_scc0 .LBB339_647
; %bb.640:
	s_cmp_gt_i32 s25, 28
	s_cbranch_scc0 .LBB339_648
; %bb.641:
	;; [unrolled: 3-line block ×4, first 2 shown]
	s_mov_b32 s27, 0
	s_mov_b32 s0, -1
	s_cmp_eq_u32 s25, 46
	s_mov_b32 s26, 0
	s_cbranch_scc0 .LBB339_651
; %bb.644:
	v_cndmask_b32_e64 v2, 0, 1.0, s23
	s_mov_b32 s26, -1
	s_mov_b32 s0, 0
	s_delay_alu instid0(VALU_DEP_1) | instskip(NEXT) | instid1(VALU_DEP_1)
	v_bfe_u32 v3, v2, 16, 1
	v_add3_u32 v2, v2, v3, 0x7fff
	s_delay_alu instid0(VALU_DEP_1)
	v_lshrrev_b32_e32 v2, 16, v2
	global_store_b32 v[0:1], v2, off
	s_branch .LBB339_651
.LBB339_645:
	s_mov_b32 s23, 0
	s_mov_b32 s0, s19
	s_branch .LBB339_762
.LBB339_646:
	s_mov_b32 s25, -1
	s_mov_b32 s26, 0
	s_mov_b32 s0, s19
	s_branch .LBB339_720
.LBB339_647:
	s_mov_b32 s27, -1
	s_mov_b32 s26, 0
	s_mov_b32 s0, s19
	s_branch .LBB339_678
.LBB339_648:
	s_mov_b32 s27, -1
	s_mov_b32 s26, 0
	s_mov_b32 s0, s19
	s_branch .LBB339_661
.LBB339_649:
	s_mov_b32 s27, -1
	s_mov_b32 s26, 0
	s_mov_b32 s0, s19
	s_branch .LBB339_657
.LBB339_650:
	s_mov_b32 s27, -1
	s_mov_b32 s26, 0
	s_mov_b32 s0, s19
.LBB339_651:
	s_and_b32 vcc_lo, exec_lo, s27
	s_cbranch_vccz .LBB339_656
; %bb.652:
	s_cmp_eq_u32 s25, 44
	s_mov_b32 s0, -1
	s_cbranch_scc0 .LBB339_656
; %bb.653:
	v_cndmask_b32_e64 v4, 0, 1.0, s23
	s_mov_b32 s26, exec_lo
	s_wait_xcnt 0x0
	s_delay_alu instid0(VALU_DEP_1) | instskip(NEXT) | instid1(VALU_DEP_1)
	v_dual_mov_b32 v3, 0xff :: v_dual_lshrrev_b32 v2, 23, v4
	v_cmpx_ne_u32_e32 0xff, v2
; %bb.654:
	v_and_b32_e32 v3, 0x400000, v4
	v_and_or_b32 v4, 0x3fffff, v4, v2
	s_delay_alu instid0(VALU_DEP_2) | instskip(NEXT) | instid1(VALU_DEP_2)
	v_cmp_ne_u32_e32 vcc_lo, 0, v3
	v_cmp_ne_u32_e64 s0, 0, v4
	s_and_b32 s0, vcc_lo, s0
	s_delay_alu instid0(SALU_CYCLE_1) | instskip(NEXT) | instid1(VALU_DEP_1)
	v_cndmask_b32_e64 v3, 0, 1, s0
	v_add_nc_u32_e32 v3, v2, v3
; %bb.655:
	s_or_b32 exec_lo, exec_lo, s26
	s_mov_b32 s26, -1
	s_mov_b32 s0, 0
	global_store_b8 v[0:1], v3, off
.LBB339_656:
	s_mov_b32 s27, 0
.LBB339_657:
	s_delay_alu instid0(SALU_CYCLE_1)
	s_and_b32 vcc_lo, exec_lo, s27
	s_cbranch_vccz .LBB339_660
; %bb.658:
	s_cmp_eq_u32 s25, 29
	s_mov_b32 s0, -1
	s_cbranch_scc0 .LBB339_660
; %bb.659:
	s_mov_b32 s0, 0
	s_wait_xcnt 0x0
	v_cndmask_b32_e64 v2, 0, 1, s23
	v_mov_b32_e32 v3, s0
	s_mov_b32 s26, -1
	s_mov_b32 s27, 0
	global_store_b64 v[0:1], v[2:3], off
	s_branch .LBB339_661
.LBB339_660:
	s_mov_b32 s27, 0
.LBB339_661:
	s_delay_alu instid0(SALU_CYCLE_1)
	s_and_b32 vcc_lo, exec_lo, s27
	s_cbranch_vccz .LBB339_677
; %bb.662:
	s_cmp_lt_i32 s25, 27
	s_mov_b32 s26, -1
	s_cbranch_scc1 .LBB339_668
; %bb.663:
	s_cmp_gt_i32 s25, 27
	s_cbranch_scc0 .LBB339_665
; %bb.664:
	s_wait_xcnt 0x0
	v_cndmask_b32_e64 v2, 0, 1, s23
	s_mov_b32 s26, 0
	global_store_b32 v[0:1], v2, off
.LBB339_665:
	s_and_not1_b32 vcc_lo, exec_lo, s26
	s_cbranch_vccnz .LBB339_667
; %bb.666:
	s_wait_xcnt 0x0
	v_cndmask_b32_e64 v2, 0, 1, s23
	global_store_b16 v[0:1], v2, off
.LBB339_667:
	s_mov_b32 s26, 0
.LBB339_668:
	s_delay_alu instid0(SALU_CYCLE_1)
	s_and_not1_b32 vcc_lo, exec_lo, s26
	s_cbranch_vccnz .LBB339_676
; %bb.669:
	s_wait_xcnt 0x0
	v_cndmask_b32_e64 v3, 0, 1.0, s23
	v_mov_b32_e32 v4, 0x80
	s_mov_b32 s26, exec_lo
	s_delay_alu instid0(VALU_DEP_2)
	v_cmpx_gt_u32_e32 0x43800000, v3
	s_cbranch_execz .LBB339_675
; %bb.670:
	s_mov_b32 s27, 0
	s_mov_b32 s28, exec_lo
                                        ; implicit-def: $vgpr2
	v_cmpx_lt_u32_e32 0x3bffffff, v3
	s_xor_b32 s28, exec_lo, s28
	s_cbranch_execz .LBB339_777
; %bb.671:
	v_bfe_u32 v2, v3, 20, 1
	s_mov_b32 s27, exec_lo
	s_delay_alu instid0(VALU_DEP_1) | instskip(NEXT) | instid1(VALU_DEP_1)
	v_add3_u32 v2, v3, v2, 0x487ffff
                                        ; implicit-def: $vgpr3
	v_lshrrev_b32_e32 v2, 20, v2
	s_and_not1_saveexec_b32 s28, s28
	s_cbranch_execnz .LBB339_778
.LBB339_672:
	s_or_b32 exec_lo, exec_lo, s28
	v_mov_b32_e32 v4, 0
	s_and_saveexec_b32 s28, s27
.LBB339_673:
	v_mov_b32_e32 v4, v2
.LBB339_674:
	s_or_b32 exec_lo, exec_lo, s28
.LBB339_675:
	s_delay_alu instid0(SALU_CYCLE_1)
	s_or_b32 exec_lo, exec_lo, s26
	global_store_b8 v[0:1], v4, off
.LBB339_676:
	s_mov_b32 s26, -1
.LBB339_677:
	s_mov_b32 s27, 0
.LBB339_678:
	s_delay_alu instid0(SALU_CYCLE_1)
	s_and_b32 vcc_lo, exec_lo, s27
	s_cbranch_vccz .LBB339_719
; %bb.679:
	s_cmp_gt_i32 s25, 22
	s_mov_b32 s27, -1
	s_cbranch_scc0 .LBB339_711
; %bb.680:
	s_cmp_lt_i32 s25, 24
	s_mov_b32 s26, -1
	s_cbranch_scc1 .LBB339_700
; %bb.681:
	s_cmp_gt_i32 s25, 24
	s_cbranch_scc0 .LBB339_689
; %bb.682:
	s_wait_xcnt 0x0
	v_cndmask_b32_e64 v3, 0, 1.0, s23
	v_mov_b32_e32 v4, 0x80
	s_mov_b32 s26, exec_lo
	s_delay_alu instid0(VALU_DEP_2)
	v_cmpx_gt_u32_e32 0x47800000, v3
	s_cbranch_execz .LBB339_688
; %bb.683:
	s_mov_b32 s27, 0
	s_mov_b32 s28, exec_lo
                                        ; implicit-def: $vgpr2
	v_cmpx_lt_u32_e32 0x37ffffff, v3
	s_xor_b32 s28, exec_lo, s28
	s_cbranch_execz .LBB339_780
; %bb.684:
	v_bfe_u32 v2, v3, 21, 1
	s_mov_b32 s27, exec_lo
	s_delay_alu instid0(VALU_DEP_1) | instskip(NEXT) | instid1(VALU_DEP_1)
	v_add3_u32 v2, v3, v2, 0x88fffff
                                        ; implicit-def: $vgpr3
	v_lshrrev_b32_e32 v2, 21, v2
	s_and_not1_saveexec_b32 s28, s28
	s_cbranch_execnz .LBB339_781
.LBB339_685:
	s_or_b32 exec_lo, exec_lo, s28
	v_mov_b32_e32 v4, 0
	s_and_saveexec_b32 s28, s27
.LBB339_686:
	v_mov_b32_e32 v4, v2
.LBB339_687:
	s_or_b32 exec_lo, exec_lo, s28
.LBB339_688:
	s_delay_alu instid0(SALU_CYCLE_1)
	s_or_b32 exec_lo, exec_lo, s26
	s_mov_b32 s26, 0
	global_store_b8 v[0:1], v4, off
.LBB339_689:
	s_and_b32 vcc_lo, exec_lo, s26
	s_cbranch_vccz .LBB339_699
; %bb.690:
	s_wait_xcnt 0x0
	v_cndmask_b32_e64 v3, 0, 1.0, s23
	s_mov_b32 s26, exec_lo
                                        ; implicit-def: $vgpr2
	s_delay_alu instid0(VALU_DEP_1)
	v_cmpx_gt_u32_e32 0x43f00000, v3
	s_xor_b32 s26, exec_lo, s26
	s_cbranch_execz .LBB339_696
; %bb.691:
	s_mov_b32 s27, exec_lo
                                        ; implicit-def: $vgpr2
	v_cmpx_lt_u32_e32 0x3c7fffff, v3
	s_xor_b32 s27, exec_lo, s27
; %bb.692:
	v_bfe_u32 v2, v3, 20, 1
	s_delay_alu instid0(VALU_DEP_1) | instskip(NEXT) | instid1(VALU_DEP_1)
	v_add3_u32 v2, v3, v2, 0x407ffff
	v_and_b32_e32 v3, 0xff00000, v2
	v_lshrrev_b32_e32 v2, 20, v2
	s_delay_alu instid0(VALU_DEP_2) | instskip(NEXT) | instid1(VALU_DEP_2)
	v_cmp_ne_u32_e32 vcc_lo, 0x7f00000, v3
                                        ; implicit-def: $vgpr3
	v_cndmask_b32_e32 v2, 0x7e, v2, vcc_lo
; %bb.693:
	s_and_not1_saveexec_b32 s27, s27
; %bb.694:
	v_add_f32_e32 v2, 0x46800000, v3
; %bb.695:
	s_or_b32 exec_lo, exec_lo, s27
                                        ; implicit-def: $vgpr3
.LBB339_696:
	s_and_not1_saveexec_b32 s26, s26
; %bb.697:
	v_mov_b32_e32 v2, 0x7f
	v_cmp_lt_u32_e32 vcc_lo, 0x7f800000, v3
	s_delay_alu instid0(VALU_DEP_2)
	v_cndmask_b32_e32 v2, 0x7e, v2, vcc_lo
; %bb.698:
	s_or_b32 exec_lo, exec_lo, s26
	global_store_b8 v[0:1], v2, off
.LBB339_699:
	s_mov_b32 s26, 0
.LBB339_700:
	s_delay_alu instid0(SALU_CYCLE_1)
	s_and_not1_b32 vcc_lo, exec_lo, s26
	s_cbranch_vccnz .LBB339_710
; %bb.701:
	s_wait_xcnt 0x0
	v_cndmask_b32_e64 v3, 0, 1.0, s23
	s_mov_b32 s26, exec_lo
                                        ; implicit-def: $vgpr2
	s_delay_alu instid0(VALU_DEP_1)
	v_cmpx_gt_u32_e32 0x47800000, v3
	s_xor_b32 s26, exec_lo, s26
	s_cbranch_execz .LBB339_707
; %bb.702:
	s_mov_b32 s27, exec_lo
                                        ; implicit-def: $vgpr2
	v_cmpx_lt_u32_e32 0x387fffff, v3
	s_xor_b32 s27, exec_lo, s27
; %bb.703:
	v_bfe_u32 v2, v3, 21, 1
	s_delay_alu instid0(VALU_DEP_1) | instskip(NEXT) | instid1(VALU_DEP_1)
	v_add3_u32 v2, v3, v2, 0x80fffff
                                        ; implicit-def: $vgpr3
	v_lshrrev_b32_e32 v2, 21, v2
; %bb.704:
	s_and_not1_saveexec_b32 s27, s27
; %bb.705:
	v_add_f32_e32 v2, 0x43000000, v3
; %bb.706:
	s_or_b32 exec_lo, exec_lo, s27
                                        ; implicit-def: $vgpr3
.LBB339_707:
	s_and_not1_saveexec_b32 s26, s26
; %bb.708:
	v_mov_b32_e32 v2, 0x7f
	v_cmp_lt_u32_e32 vcc_lo, 0x7f800000, v3
	s_delay_alu instid0(VALU_DEP_2)
	v_cndmask_b32_e32 v2, 0x7c, v2, vcc_lo
; %bb.709:
	s_or_b32 exec_lo, exec_lo, s26
	global_store_b8 v[0:1], v2, off
.LBB339_710:
	s_mov_b32 s27, 0
	s_mov_b32 s26, -1
.LBB339_711:
	s_and_not1_b32 vcc_lo, exec_lo, s27
	s_cbranch_vccnz .LBB339_719
; %bb.712:
	s_cmp_gt_i32 s25, 14
	s_mov_b32 s27, -1
	s_cbranch_scc0 .LBB339_716
; %bb.713:
	s_cmp_eq_u32 s25, 15
	s_mov_b32 s0, -1
	s_cbranch_scc0 .LBB339_715
; %bb.714:
	s_wait_xcnt 0x0
	v_cndmask_b32_e64 v2, 0, 1.0, s23
	s_mov_b32 s26, -1
	s_mov_b32 s0, 0
	s_delay_alu instid0(VALU_DEP_1) | instskip(NEXT) | instid1(VALU_DEP_1)
	v_bfe_u32 v3, v2, 16, 1
	v_add3_u32 v2, v2, v3, 0x7fff
	global_store_d16_hi_b16 v[0:1], v2, off
.LBB339_715:
	s_mov_b32 s27, 0
.LBB339_716:
	s_delay_alu instid0(SALU_CYCLE_1)
	s_and_b32 vcc_lo, exec_lo, s27
	s_cbranch_vccz .LBB339_719
; %bb.717:
	s_cmp_eq_u32 s25, 11
	s_mov_b32 s0, -1
	s_cbranch_scc0 .LBB339_719
; %bb.718:
	s_wait_xcnt 0x0
	v_cndmask_b32_e64 v2, 0, 1, s23
	s_mov_b32 s26, -1
	s_mov_b32 s0, 0
	global_store_b8 v[0:1], v2, off
.LBB339_719:
	s_mov_b32 s25, 0
.LBB339_720:
	s_delay_alu instid0(SALU_CYCLE_1)
	s_and_b32 vcc_lo, exec_lo, s25
	s_cbranch_vccz .LBB339_759
; %bb.721:
	s_and_b32 s24, 0xffff, s24
	s_mov_b32 s25, -1
	s_cmp_lt_i32 s24, 5
	s_cbranch_scc1 .LBB339_742
; %bb.722:
	s_cmp_lt_i32 s24, 8
	s_cbranch_scc1 .LBB339_732
; %bb.723:
	;; [unrolled: 3-line block ×3, first 2 shown]
	s_cmp_gt_i32 s24, 9
	s_cbranch_scc0 .LBB339_726
; %bb.725:
	s_wait_xcnt 0x0
	v_cndmask_b32_e64 v2, 0, 1, s23
	v_mov_b32_e32 v4, 0
	s_mov_b32 s25, 0
	s_delay_alu instid0(VALU_DEP_2) | instskip(NEXT) | instid1(VALU_DEP_2)
	v_cvt_f64_u32_e32 v[2:3], v2
	v_mov_b32_e32 v5, v4
	global_store_b128 v[0:1], v[2:5], off
.LBB339_726:
	s_and_not1_b32 vcc_lo, exec_lo, s25
	s_cbranch_vccnz .LBB339_728
; %bb.727:
	s_wait_xcnt 0x0
	v_cndmask_b32_e64 v2, 0, 1.0, s23
	v_mov_b32_e32 v3, 0
	global_store_b64 v[0:1], v[2:3], off
.LBB339_728:
	s_mov_b32 s25, 0
.LBB339_729:
	s_delay_alu instid0(SALU_CYCLE_1)
	s_and_not1_b32 vcc_lo, exec_lo, s25
	s_cbranch_vccnz .LBB339_731
; %bb.730:
	s_wait_xcnt 0x0
	v_cndmask_b32_e64 v2, 0, 1.0, s23
	s_delay_alu instid0(VALU_DEP_1) | instskip(NEXT) | instid1(VALU_DEP_1)
	v_cvt_f16_f32_e32 v2, v2
	v_and_b32_e32 v2, 0xffff, v2
	global_store_b32 v[0:1], v2, off
.LBB339_731:
	s_mov_b32 s25, 0
.LBB339_732:
	s_delay_alu instid0(SALU_CYCLE_1)
	s_and_not1_b32 vcc_lo, exec_lo, s25
	s_cbranch_vccnz .LBB339_741
; %bb.733:
	s_cmp_lt_i32 s24, 6
	s_mov_b32 s25, -1
	s_cbranch_scc1 .LBB339_739
; %bb.734:
	s_cmp_gt_i32 s24, 6
	s_cbranch_scc0 .LBB339_736
; %bb.735:
	s_wait_xcnt 0x0
	v_cndmask_b32_e64 v2, 0, 1, s23
	s_mov_b32 s25, 0
	s_delay_alu instid0(VALU_DEP_1)
	v_cvt_f64_u32_e32 v[2:3], v2
	global_store_b64 v[0:1], v[2:3], off
.LBB339_736:
	s_and_not1_b32 vcc_lo, exec_lo, s25
	s_cbranch_vccnz .LBB339_738
; %bb.737:
	s_wait_xcnt 0x0
	v_cndmask_b32_e64 v2, 0, 1.0, s23
	global_store_b32 v[0:1], v2, off
.LBB339_738:
	s_mov_b32 s25, 0
.LBB339_739:
	s_delay_alu instid0(SALU_CYCLE_1)
	s_and_not1_b32 vcc_lo, exec_lo, s25
	s_cbranch_vccnz .LBB339_741
; %bb.740:
	s_wait_xcnt 0x0
	v_cndmask_b32_e64 v2, 0, 1.0, s23
	s_delay_alu instid0(VALU_DEP_1)
	v_cvt_f16_f32_e32 v2, v2
	global_store_b16 v[0:1], v2, off
.LBB339_741:
	s_mov_b32 s25, 0
.LBB339_742:
	s_delay_alu instid0(SALU_CYCLE_1)
	s_and_not1_b32 vcc_lo, exec_lo, s25
	s_cbranch_vccnz .LBB339_758
; %bb.743:
	s_cmp_lt_i32 s24, 2
	s_mov_b32 s25, -1
	s_cbranch_scc1 .LBB339_753
; %bb.744:
	s_cmp_lt_i32 s24, 3
	s_cbranch_scc1 .LBB339_750
; %bb.745:
	s_cmp_gt_i32 s24, 3
	s_cbranch_scc0 .LBB339_747
; %bb.746:
	s_mov_b32 s25, 0
	s_wait_xcnt 0x0
	v_cndmask_b32_e64 v2, 0, 1, s23
	v_mov_b32_e32 v3, s25
	global_store_b64 v[0:1], v[2:3], off
.LBB339_747:
	s_and_not1_b32 vcc_lo, exec_lo, s25
	s_cbranch_vccnz .LBB339_749
; %bb.748:
	s_wait_xcnt 0x0
	v_cndmask_b32_e64 v2, 0, 1, s23
	global_store_b32 v[0:1], v2, off
.LBB339_749:
	s_mov_b32 s25, 0
.LBB339_750:
	s_delay_alu instid0(SALU_CYCLE_1)
	s_and_not1_b32 vcc_lo, exec_lo, s25
	s_cbranch_vccnz .LBB339_752
; %bb.751:
	s_wait_xcnt 0x0
	v_cndmask_b32_e64 v2, 0, 1, s23
	global_store_b16 v[0:1], v2, off
.LBB339_752:
	s_mov_b32 s25, 0
.LBB339_753:
	s_delay_alu instid0(SALU_CYCLE_1)
	s_and_not1_b32 vcc_lo, exec_lo, s25
	s_cbranch_vccnz .LBB339_758
; %bb.754:
	s_wait_xcnt 0x0
	v_cndmask_b32_e64 v2, 0, 1, s23
	s_cmp_gt_i32 s24, 0
	s_mov_b32 s23, -1
	s_cbranch_scc0 .LBB339_756
; %bb.755:
	s_mov_b32 s23, 0
	global_store_b8 v[0:1], v2, off
.LBB339_756:
	s_and_not1_b32 vcc_lo, exec_lo, s23
	s_cbranch_vccnz .LBB339_758
; %bb.757:
	global_store_b8 v[0:1], v2, off
.LBB339_758:
	s_mov_b32 s26, -1
.LBB339_759:
	s_delay_alu instid0(SALU_CYCLE_1)
	s_and_not1_b32 vcc_lo, exec_lo, s26
	s_cbranch_vccnz .LBB339_761
; %bb.760:
	v_add_nc_u32_e32 v10, 0x80, v10
	s_mov_b32 s23, -1
	s_branch .LBB339_763
.LBB339_761:
	s_mov_b32 s23, 0
.LBB339_762:
                                        ; implicit-def: $vgpr10
.LBB339_763:
	s_and_not1_b32 s24, s19, exec_lo
	s_and_b32 s0, s0, exec_lo
	s_and_not1_b32 s25, s18, exec_lo
	s_and_b32 s26, s22, exec_lo
	s_or_b32 s22, s24, s0
	s_or_b32 s0, s25, s26
	s_or_not1_b32 s23, s23, exec_lo
.LBB339_764:
	s_wait_xcnt 0x0
	s_or_b32 exec_lo, exec_lo, s21
	s_mov_b32 s24, 0
	s_mov_b32 s25, 0
	;; [unrolled: 1-line block ×3, first 2 shown]
                                        ; implicit-def: $vgpr0_vgpr1
                                        ; implicit-def: $vgpr2
	s_and_saveexec_b32 s21, s23
	s_cbranch_execz .LBB339_845
; %bb.765:
	v_cmp_gt_i32_e32 vcc_lo, s14, v10
	s_mov_b32 s23, 0
	s_mov_b32 s24, s0
	;; [unrolled: 1-line block ×3, first 2 shown]
                                        ; implicit-def: $vgpr0_vgpr1
                                        ; implicit-def: $vgpr2
	s_and_saveexec_b32 s14, vcc_lo
	s_cbranch_execz .LBB339_844
; %bb.766:
	v_mul_lo_u32 v0, v10, s9
	s_and_b32 s23, 0xffff, s3
	s_delay_alu instid0(SALU_CYCLE_1) | instskip(NEXT) | instid1(VALU_DEP_1)
	s_cmp_lt_i32 s23, 11
	v_ashrrev_i32_e32 v1, 31, v0
	s_delay_alu instid0(VALU_DEP_1)
	v_add_nc_u64_e32 v[0:1], s[6:7], v[0:1]
	s_cbranch_scc1 .LBB339_773
; %bb.767:
	s_cmp_gt_i32 s23, 25
	s_cbranch_scc0 .LBB339_774
; %bb.768:
	s_cmp_gt_i32 s23, 28
	s_cbranch_scc0 .LBB339_775
	;; [unrolled: 3-line block ×4, first 2 shown]
; %bb.771:
	s_cmp_eq_u32 s23, 46
	s_cbranch_scc0 .LBB339_782
; %bb.772:
	s_wait_loadcnt 0x0
	global_load_b32 v2, v[0:1], off
	s_mov_b32 s24, 0
	s_mov_b32 s26, -1
	s_wait_loadcnt 0x0
	v_lshlrev_b32_e32 v2, 16, v2
	s_delay_alu instid0(VALU_DEP_1)
	v_cvt_u32_f32_e32 v2, v2
	s_branch .LBB339_784
.LBB339_773:
	s_mov_b32 s23, -1
	s_mov_b32 s24, s0
                                        ; implicit-def: $vgpr2
	s_branch .LBB339_843
.LBB339_774:
	s_mov_b32 s27, -1
	s_mov_b32 s24, s0
                                        ; implicit-def: $vgpr2
	s_branch .LBB339_811
.LBB339_775:
	s_mov_b32 s27, -1
	s_mov_b32 s24, s0
                                        ; implicit-def: $vgpr2
	s_branch .LBB339_794
.LBB339_776:
	s_mov_b32 s27, -1
	s_mov_b32 s24, s0
                                        ; implicit-def: $vgpr2
	s_branch .LBB339_789
.LBB339_777:
	s_and_not1_saveexec_b32 s28, s28
	s_cbranch_execz .LBB339_672
.LBB339_778:
	v_add_f32_e32 v2, 0x46000000, v3
	s_and_not1_b32 s27, s27, exec_lo
	s_delay_alu instid0(VALU_DEP_1) | instskip(NEXT) | instid1(VALU_DEP_1)
	v_and_b32_e32 v2, 0xff, v2
	v_cmp_ne_u32_e32 vcc_lo, 0, v2
	s_and_b32 s29, vcc_lo, exec_lo
	s_delay_alu instid0(SALU_CYCLE_1)
	s_or_b32 s27, s27, s29
	s_or_b32 exec_lo, exec_lo, s28
	v_mov_b32_e32 v4, 0
	s_and_saveexec_b32 s28, s27
	s_cbranch_execnz .LBB339_673
	s_branch .LBB339_674
.LBB339_779:
	s_mov_b32 s27, -1
	s_mov_b32 s24, s0
	s_branch .LBB339_783
.LBB339_780:
	s_and_not1_saveexec_b32 s28, s28
	s_cbranch_execz .LBB339_685
.LBB339_781:
	v_add_f32_e32 v2, 0x42800000, v3
	s_and_not1_b32 s27, s27, exec_lo
	s_delay_alu instid0(VALU_DEP_1) | instskip(NEXT) | instid1(VALU_DEP_1)
	v_and_b32_e32 v2, 0xff, v2
	v_cmp_ne_u32_e32 vcc_lo, 0, v2
	s_and_b32 s29, vcc_lo, exec_lo
	s_delay_alu instid0(SALU_CYCLE_1)
	s_or_b32 s27, s27, s29
	s_or_b32 exec_lo, exec_lo, s28
	v_mov_b32_e32 v4, 0
	s_and_saveexec_b32 s28, s27
	s_cbranch_execnz .LBB339_686
	s_branch .LBB339_687
.LBB339_782:
	s_mov_b32 s24, -1
.LBB339_783:
                                        ; implicit-def: $vgpr2
.LBB339_784:
	s_and_b32 vcc_lo, exec_lo, s27
	s_cbranch_vccz .LBB339_788
; %bb.785:
	s_cmp_eq_u32 s23, 44
	s_cbranch_scc0 .LBB339_787
; %bb.786:
	s_wait_loadcnt 0x0
	global_load_u8 v2, v[0:1], off
	s_mov_b32 s24, 0
	s_mov_b32 s26, -1
	s_wait_loadcnt 0x0
	v_lshlrev_b32_e32 v3, 23, v2
	v_cmp_ne_u32_e32 vcc_lo, 0, v2
	s_delay_alu instid0(VALU_DEP_2) | instskip(NEXT) | instid1(VALU_DEP_1)
	v_cvt_u32_f32_e32 v3, v3
	v_cndmask_b32_e32 v2, 0, v3, vcc_lo
	s_branch .LBB339_788
.LBB339_787:
	s_mov_b32 s24, -1
                                        ; implicit-def: $vgpr2
.LBB339_788:
	s_mov_b32 s27, 0
.LBB339_789:
	s_delay_alu instid0(SALU_CYCLE_1)
	s_and_b32 vcc_lo, exec_lo, s27
	s_cbranch_vccz .LBB339_793
; %bb.790:
	s_cmp_eq_u32 s23, 29
	s_cbranch_scc0 .LBB339_792
; %bb.791:
	s_wait_loadcnt 0x0
	global_load_b64 v[2:3], v[0:1], off
	s_mov_b32 s24, 0
	s_mov_b32 s26, -1
	s_branch .LBB339_793
.LBB339_792:
	s_mov_b32 s24, -1
                                        ; implicit-def: $vgpr2
.LBB339_793:
	s_mov_b32 s27, 0
.LBB339_794:
	s_delay_alu instid0(SALU_CYCLE_1)
	s_and_b32 vcc_lo, exec_lo, s27
	s_cbranch_vccz .LBB339_810
; %bb.795:
	s_cmp_lt_i32 s23, 27
	s_cbranch_scc1 .LBB339_798
; %bb.796:
	s_cmp_gt_i32 s23, 27
	s_cbranch_scc0 .LBB339_799
; %bb.797:
	s_wait_loadcnt 0x0
	global_load_b32 v2, v[0:1], off
	s_mov_b32 s26, 0
	s_branch .LBB339_800
.LBB339_798:
	s_mov_b32 s26, -1
                                        ; implicit-def: $vgpr2
	s_branch .LBB339_803
.LBB339_799:
	s_mov_b32 s26, -1
                                        ; implicit-def: $vgpr2
.LBB339_800:
	s_delay_alu instid0(SALU_CYCLE_1)
	s_and_not1_b32 vcc_lo, exec_lo, s26
	s_cbranch_vccnz .LBB339_802
; %bb.801:
	s_wait_loadcnt 0x0
	global_load_u16 v2, v[0:1], off
.LBB339_802:
	s_mov_b32 s26, 0
.LBB339_803:
	s_delay_alu instid0(SALU_CYCLE_1)
	s_and_not1_b32 vcc_lo, exec_lo, s26
	s_cbranch_vccnz .LBB339_809
; %bb.804:
	s_wait_loadcnt 0x0
	global_load_u8 v3, v[0:1], off
	s_mov_b32 s27, 0
	s_mov_b32 s26, exec_lo
	s_wait_loadcnt 0x0
	v_cmpx_lt_i16_e32 0x7f, v3
	s_xor_b32 s26, exec_lo, s26
	s_cbranch_execz .LBB339_821
; %bb.805:
	v_cmp_ne_u16_e32 vcc_lo, 0x80, v3
	s_and_b32 s27, vcc_lo, exec_lo
	s_and_not1_saveexec_b32 s26, s26
	s_cbranch_execnz .LBB339_822
.LBB339_806:
	s_or_b32 exec_lo, exec_lo, s26
	v_mov_b32_e32 v2, 0
	s_and_saveexec_b32 s26, s27
	s_cbranch_execz .LBB339_808
.LBB339_807:
	v_and_b32_e32 v2, 0xffff, v3
	s_delay_alu instid0(VALU_DEP_1) | instskip(SKIP_1) | instid1(VALU_DEP_2)
	v_and_b32_e32 v4, 7, v2
	v_bfe_u32 v7, v2, 3, 4
	v_clz_i32_u32_e32 v5, v4
	s_delay_alu instid0(VALU_DEP_2) | instskip(NEXT) | instid1(VALU_DEP_2)
	v_cmp_eq_u32_e32 vcc_lo, 0, v7
	v_min_u32_e32 v5, 32, v5
	s_delay_alu instid0(VALU_DEP_1) | instskip(NEXT) | instid1(VALU_DEP_1)
	v_subrev_nc_u32_e32 v6, 28, v5
	v_dual_lshlrev_b32 v2, v6, v2 :: v_dual_sub_nc_u32 v5, 29, v5
	s_delay_alu instid0(VALU_DEP_1) | instskip(NEXT) | instid1(VALU_DEP_1)
	v_dual_lshlrev_b32 v3, 24, v3 :: v_dual_bitop2_b32 v2, 7, v2 bitop3:0x40
	v_dual_cndmask_b32 v5, v7, v5 :: v_dual_cndmask_b32 v2, v4, v2
	s_delay_alu instid0(VALU_DEP_2) | instskip(NEXT) | instid1(VALU_DEP_2)
	v_and_b32_e32 v3, 0x80000000, v3
	v_lshl_add_u32 v4, v5, 23, 0x3b800000
	s_delay_alu instid0(VALU_DEP_3) | instskip(NEXT) | instid1(VALU_DEP_1)
	v_lshlrev_b32_e32 v2, 20, v2
	v_or3_b32 v2, v3, v4, v2
	s_delay_alu instid0(VALU_DEP_1)
	v_cvt_u32_f32_e32 v2, v2
.LBB339_808:
	s_or_b32 exec_lo, exec_lo, s26
.LBB339_809:
	s_mov_b32 s26, -1
.LBB339_810:
	s_mov_b32 s27, 0
.LBB339_811:
	s_delay_alu instid0(SALU_CYCLE_1)
	s_and_b32 vcc_lo, exec_lo, s27
	s_cbranch_vccz .LBB339_842
; %bb.812:
	s_cmp_gt_i32 s23, 22
	s_cbranch_scc0 .LBB339_820
; %bb.813:
	s_cmp_lt_i32 s23, 24
	s_cbranch_scc1 .LBB339_823
; %bb.814:
	s_cmp_gt_i32 s23, 24
	s_cbranch_scc0 .LBB339_824
; %bb.815:
	s_wait_loadcnt 0x0
	global_load_u8 v3, v[0:1], off
	s_mov_b32 s26, 0
	s_mov_b32 s25, exec_lo
	s_wait_loadcnt 0x0
	v_cmpx_lt_i16_e32 0x7f, v3
	s_xor_b32 s25, exec_lo, s25
	s_cbranch_execz .LBB339_836
; %bb.816:
	v_cmp_ne_u16_e32 vcc_lo, 0x80, v3
	s_and_b32 s26, vcc_lo, exec_lo
	s_and_not1_saveexec_b32 s25, s25
	s_cbranch_execnz .LBB339_837
.LBB339_817:
	s_or_b32 exec_lo, exec_lo, s25
	v_mov_b32_e32 v2, 0
	s_and_saveexec_b32 s25, s26
	s_cbranch_execz .LBB339_819
.LBB339_818:
	v_and_b32_e32 v2, 0xffff, v3
	s_delay_alu instid0(VALU_DEP_1) | instskip(SKIP_1) | instid1(VALU_DEP_2)
	v_and_b32_e32 v4, 3, v2
	v_bfe_u32 v7, v2, 2, 5
	v_clz_i32_u32_e32 v5, v4
	s_delay_alu instid0(VALU_DEP_2) | instskip(NEXT) | instid1(VALU_DEP_2)
	v_cmp_eq_u32_e32 vcc_lo, 0, v7
	v_min_u32_e32 v5, 32, v5
	s_delay_alu instid0(VALU_DEP_1) | instskip(NEXT) | instid1(VALU_DEP_1)
	v_subrev_nc_u32_e32 v6, 29, v5
	v_dual_lshlrev_b32 v2, v6, v2 :: v_dual_sub_nc_u32 v5, 30, v5
	s_delay_alu instid0(VALU_DEP_1) | instskip(NEXT) | instid1(VALU_DEP_1)
	v_dual_lshlrev_b32 v3, 24, v3 :: v_dual_bitop2_b32 v2, 3, v2 bitop3:0x40
	v_dual_cndmask_b32 v5, v7, v5 :: v_dual_cndmask_b32 v2, v4, v2
	s_delay_alu instid0(VALU_DEP_2) | instskip(NEXT) | instid1(VALU_DEP_2)
	v_and_b32_e32 v3, 0x80000000, v3
	v_lshl_add_u32 v4, v5, 23, 0x37800000
	s_delay_alu instid0(VALU_DEP_3) | instskip(NEXT) | instid1(VALU_DEP_1)
	v_lshlrev_b32_e32 v2, 21, v2
	v_or3_b32 v2, v3, v4, v2
	s_delay_alu instid0(VALU_DEP_1)
	v_cvt_u32_f32_e32 v2, v2
.LBB339_819:
	s_or_b32 exec_lo, exec_lo, s25
	s_mov_b32 s25, 0
	s_branch .LBB339_825
.LBB339_820:
	s_mov_b32 s25, -1
                                        ; implicit-def: $vgpr2
	s_branch .LBB339_831
.LBB339_821:
	s_and_not1_saveexec_b32 s26, s26
	s_cbranch_execz .LBB339_806
.LBB339_822:
	v_cmp_ne_u16_e32 vcc_lo, 0, v3
	s_and_not1_b32 s27, s27, exec_lo
	s_and_b32 s28, vcc_lo, exec_lo
	s_delay_alu instid0(SALU_CYCLE_1)
	s_or_b32 s27, s27, s28
	s_or_b32 exec_lo, exec_lo, s26
	v_mov_b32_e32 v2, 0
	s_and_saveexec_b32 s26, s27
	s_cbranch_execnz .LBB339_807
	s_branch .LBB339_808
.LBB339_823:
	s_mov_b32 s25, -1
                                        ; implicit-def: $vgpr2
	s_branch .LBB339_828
.LBB339_824:
	s_mov_b32 s25, -1
                                        ; implicit-def: $vgpr2
.LBB339_825:
	s_delay_alu instid0(SALU_CYCLE_1)
	s_and_b32 vcc_lo, exec_lo, s25
	s_cbranch_vccz .LBB339_827
; %bb.826:
	s_wait_loadcnt 0x0
	global_load_u8 v2, v[0:1], off
	s_wait_loadcnt 0x0
	v_lshlrev_b32_e32 v2, 24, v2
	s_delay_alu instid0(VALU_DEP_1) | instskip(NEXT) | instid1(VALU_DEP_1)
	v_and_b32_e32 v3, 0x7f000000, v2
	v_clz_i32_u32_e32 v4, v3
	v_cmp_ne_u32_e32 vcc_lo, 0, v3
	v_add_nc_u32_e32 v6, 0x1000000, v3
	s_delay_alu instid0(VALU_DEP_3) | instskip(NEXT) | instid1(VALU_DEP_1)
	v_min_u32_e32 v4, 32, v4
	v_sub_nc_u32_e64 v4, v4, 4 clamp
	s_delay_alu instid0(VALU_DEP_1) | instskip(NEXT) | instid1(VALU_DEP_1)
	v_dual_lshlrev_b32 v5, v4, v3 :: v_dual_lshlrev_b32 v4, 23, v4
	v_lshrrev_b32_e32 v5, 4, v5
	s_delay_alu instid0(VALU_DEP_1) | instskip(NEXT) | instid1(VALU_DEP_1)
	v_dual_sub_nc_u32 v4, v5, v4 :: v_dual_ashrrev_i32 v5, 8, v6
	v_add_nc_u32_e32 v4, 0x3c000000, v4
	s_delay_alu instid0(VALU_DEP_1) | instskip(NEXT) | instid1(VALU_DEP_1)
	v_and_or_b32 v4, 0x7f800000, v5, v4
	v_cndmask_b32_e32 v3, 0, v4, vcc_lo
	s_delay_alu instid0(VALU_DEP_1) | instskip(NEXT) | instid1(VALU_DEP_1)
	v_and_or_b32 v2, 0x80000000, v2, v3
	v_cvt_u32_f32_e32 v2, v2
.LBB339_827:
	s_mov_b32 s25, 0
.LBB339_828:
	s_delay_alu instid0(SALU_CYCLE_1)
	s_and_not1_b32 vcc_lo, exec_lo, s25
	s_cbranch_vccnz .LBB339_830
; %bb.829:
	s_wait_loadcnt 0x0
	global_load_u8 v2, v[0:1], off
	s_wait_loadcnt 0x0
	v_lshlrev_b32_e32 v3, 25, v2
	v_lshlrev_b16 v2, 8, v2
	s_delay_alu instid0(VALU_DEP_1) | instskip(SKIP_1) | instid1(VALU_DEP_2)
	v_and_or_b32 v5, 0x7f00, v2, 0.5
	v_bfe_i32 v2, v2, 0, 16
	v_dual_add_f32 v5, -0.5, v5 :: v_dual_lshrrev_b32 v4, 4, v3
	v_cmp_gt_u32_e32 vcc_lo, 0x8000000, v3
	s_delay_alu instid0(VALU_DEP_2) | instskip(NEXT) | instid1(VALU_DEP_1)
	v_or_b32_e32 v4, 0x70000000, v4
	v_mul_f32_e32 v4, 0x7800000, v4
	s_delay_alu instid0(VALU_DEP_1) | instskip(NEXT) | instid1(VALU_DEP_1)
	v_cndmask_b32_e32 v3, v4, v5, vcc_lo
	v_and_or_b32 v2, 0x80000000, v2, v3
	s_delay_alu instid0(VALU_DEP_1)
	v_cvt_u32_f32_e32 v2, v2
.LBB339_830:
	s_mov_b32 s25, 0
	s_mov_b32 s26, -1
.LBB339_831:
	s_and_not1_b32 vcc_lo, exec_lo, s25
	s_mov_b32 s25, 0
	s_cbranch_vccnz .LBB339_842
; %bb.832:
	s_cmp_gt_i32 s23, 14
	s_cbranch_scc0 .LBB339_835
; %bb.833:
	s_cmp_eq_u32 s23, 15
	s_cbranch_scc0 .LBB339_838
; %bb.834:
	s_wait_loadcnt 0x0
	global_load_u16 v2, v[0:1], off
	s_mov_b32 s24, 0
	s_mov_b32 s26, -1
	s_wait_loadcnt 0x0
	v_lshlrev_b32_e32 v2, 16, v2
	s_delay_alu instid0(VALU_DEP_1)
	v_cvt_u32_f32_e32 v2, v2
	s_branch .LBB339_840
.LBB339_835:
	s_mov_b32 s25, -1
	s_branch .LBB339_839
.LBB339_836:
	s_and_not1_saveexec_b32 s25, s25
	s_cbranch_execz .LBB339_817
.LBB339_837:
	v_cmp_ne_u16_e32 vcc_lo, 0, v3
	s_and_not1_b32 s26, s26, exec_lo
	s_and_b32 s27, vcc_lo, exec_lo
	s_delay_alu instid0(SALU_CYCLE_1)
	s_or_b32 s26, s26, s27
	s_or_b32 exec_lo, exec_lo, s25
	v_mov_b32_e32 v2, 0
	s_and_saveexec_b32 s25, s26
	s_cbranch_execnz .LBB339_818
	s_branch .LBB339_819
.LBB339_838:
	s_mov_b32 s24, -1
.LBB339_839:
                                        ; implicit-def: $vgpr2
.LBB339_840:
	s_and_b32 vcc_lo, exec_lo, s25
	s_mov_b32 s25, 0
	s_cbranch_vccz .LBB339_842
; %bb.841:
	s_cmp_lg_u32 s23, 11
	s_mov_b32 s25, -1
	s_cselect_b32 s23, -1, 0
	s_and_not1_b32 s24, s24, exec_lo
	s_and_b32 s23, s23, exec_lo
	s_delay_alu instid0(SALU_CYCLE_1)
	s_or_b32 s24, s24, s23
.LBB339_842:
	s_mov_b32 s23, 0
.LBB339_843:
	s_and_not1_b32 s28, s0, exec_lo
	s_and_b32 s24, s24, exec_lo
	s_and_b32 s26, s26, exec_lo
	;; [unrolled: 1-line block ×4, first 2 shown]
	s_or_b32 s24, s28, s24
.LBB339_844:
	s_wait_xcnt 0x0
	s_or_b32 exec_lo, exec_lo, s14
	s_delay_alu instid0(SALU_CYCLE_1)
	s_and_not1_b32 s0, s0, exec_lo
	s_and_b32 s14, s24, exec_lo
	s_and_b32 s26, s26, exec_lo
	;; [unrolled: 1-line block ×4, first 2 shown]
	s_or_b32 s0, s0, s14
.LBB339_845:
	s_or_b32 exec_lo, exec_lo, s21
	s_delay_alu instid0(SALU_CYCLE_1)
	s_and_not1_b32 s14, s19, exec_lo
	s_and_b32 s19, s22, exec_lo
	s_and_b32 s0, s0, exec_lo
	s_or_b32 s19, s14, s19
	s_and_not1_b32 s14, s18, exec_lo
	s_and_b32 s23, s26, exec_lo
	s_and_b32 s22, s25, exec_lo
	s_and_b32 s21, s24, exec_lo
	s_or_b32 s18, s14, s0
.LBB339_846:
	s_or_b32 exec_lo, exec_lo, s20
	s_delay_alu instid0(SALU_CYCLE_1)
	s_and_not1_b32 s0, s15, exec_lo
	s_and_b32 s14, s19, exec_lo
	s_and_b32 s19, s22, exec_lo
	s_or_b32 s15, s0, s14
	s_and_not1_b32 s14, s16, exec_lo
	s_and_b32 s16, s18, exec_lo
	s_and_b32 s0, s23, exec_lo
	s_and_b32 s18, s21, exec_lo
	s_or_b32 s16, s14, s16
	s_or_b32 exec_lo, exec_lo, s17
	s_mov_b32 s14, 0
	s_and_saveexec_b32 s17, s16
	s_cbranch_execz .LBB339_258
.LBB339_847:
	s_mov_b32 s14, exec_lo
	s_and_not1_b32 s18, s18, exec_lo
	s_trap 2
	s_or_b32 exec_lo, exec_lo, s17
	s_and_saveexec_b32 s16, s18
	s_delay_alu instid0(SALU_CYCLE_1)
	s_xor_b32 s16, exec_lo, s16
	s_cbranch_execnz .LBB339_259
.LBB339_848:
	s_or_b32 exec_lo, exec_lo, s16
	s_and_saveexec_b32 s16, s19
	s_cbranch_execz .LBB339_894
.LBB339_849:
	s_sext_i32_i16 s17, s3
	s_delay_alu instid0(SALU_CYCLE_1)
	s_cmp_lt_i32 s17, 5
	s_cbranch_scc1 .LBB339_854
; %bb.850:
	s_cmp_lt_i32 s17, 8
	s_cbranch_scc1 .LBB339_855
; %bb.851:
	s_cmp_lt_i32 s17, 9
	s_cbranch_scc1 .LBB339_856
; %bb.852:
	s_cmp_gt_i32 s17, 9
	s_cbranch_scc0 .LBB339_857
; %bb.853:
	s_wait_loadcnt 0x0
	global_load_b64 v[2:3], v[0:1], off
	s_mov_b32 s17, 0
	s_wait_loadcnt 0x0
	v_cvt_u32_f64_e32 v2, v[2:3]
	s_branch .LBB339_858
.LBB339_854:
                                        ; implicit-def: $vgpr2
	s_branch .LBB339_875
.LBB339_855:
                                        ; implicit-def: $vgpr2
	s_branch .LBB339_864
.LBB339_856:
	s_mov_b32 s17, -1
                                        ; implicit-def: $vgpr2
	s_branch .LBB339_861
.LBB339_857:
	s_mov_b32 s17, -1
                                        ; implicit-def: $vgpr2
.LBB339_858:
	s_delay_alu instid0(SALU_CYCLE_1)
	s_and_not1_b32 vcc_lo, exec_lo, s17
	s_cbranch_vccnz .LBB339_860
; %bb.859:
	s_wait_loadcnt 0x0
	global_load_b32 v2, v[0:1], off
	s_wait_loadcnt 0x0
	v_cvt_u32_f32_e32 v2, v2
.LBB339_860:
	s_mov_b32 s17, 0
.LBB339_861:
	s_delay_alu instid0(SALU_CYCLE_1)
	s_and_not1_b32 vcc_lo, exec_lo, s17
	s_cbranch_vccnz .LBB339_863
; %bb.862:
	s_wait_loadcnt 0x0
	global_load_b32 v2, v[0:1], off
	s_wait_loadcnt 0x0
	v_cvt_u16_f16_e32 v2, v2
.LBB339_863:
	s_cbranch_execnz .LBB339_874
.LBB339_864:
	s_sext_i32_i16 s17, s3
	s_delay_alu instid0(SALU_CYCLE_1)
	s_cmp_lt_i32 s17, 6
	s_cbranch_scc1 .LBB339_867
; %bb.865:
	s_cmp_gt_i32 s17, 6
	s_cbranch_scc0 .LBB339_868
; %bb.866:
	s_wait_loadcnt 0x0
	global_load_b64 v[2:3], v[0:1], off
	s_mov_b32 s17, 0
	s_wait_loadcnt 0x0
	v_cvt_u32_f64_e32 v2, v[2:3]
	s_branch .LBB339_869
.LBB339_867:
	s_mov_b32 s17, -1
                                        ; implicit-def: $vgpr2
	s_branch .LBB339_872
.LBB339_868:
	s_mov_b32 s17, -1
                                        ; implicit-def: $vgpr2
.LBB339_869:
	s_delay_alu instid0(SALU_CYCLE_1)
	s_and_not1_b32 vcc_lo, exec_lo, s17
	s_cbranch_vccnz .LBB339_871
; %bb.870:
	s_wait_loadcnt 0x0
	global_load_b32 v2, v[0:1], off
	s_wait_loadcnt 0x0
	v_cvt_u32_f32_e32 v2, v2
.LBB339_871:
	s_mov_b32 s17, 0
.LBB339_872:
	s_delay_alu instid0(SALU_CYCLE_1)
	s_and_not1_b32 vcc_lo, exec_lo, s17
	s_cbranch_vccnz .LBB339_874
; %bb.873:
	s_wait_loadcnt 0x0
	global_load_u16 v2, v[0:1], off
	s_wait_loadcnt 0x0
	v_cvt_u16_f16_e32 v2, v2
.LBB339_874:
	s_cbranch_execnz .LBB339_893
.LBB339_875:
	s_sext_i32_i16 s17, s3
	s_delay_alu instid0(SALU_CYCLE_1)
	s_cmp_lt_i32 s17, 2
	s_cbranch_scc1 .LBB339_879
; %bb.876:
	s_cmp_lt_i32 s17, 3
	s_cbranch_scc1 .LBB339_880
; %bb.877:
	s_cmp_gt_i32 s17, 3
	s_cbranch_scc0 .LBB339_881
; %bb.878:
	s_wait_loadcnt 0x0
	global_load_b64 v[2:3], v[0:1], off
	s_mov_b32 s17, 0
	s_branch .LBB339_882
.LBB339_879:
                                        ; implicit-def: $vgpr2
	s_branch .LBB339_888
.LBB339_880:
	s_mov_b32 s17, -1
                                        ; implicit-def: $vgpr2
	s_branch .LBB339_885
.LBB339_881:
	s_mov_b32 s17, -1
                                        ; implicit-def: $vgpr2
.LBB339_882:
	s_delay_alu instid0(SALU_CYCLE_1)
	s_and_not1_b32 vcc_lo, exec_lo, s17
	s_cbranch_vccnz .LBB339_884
; %bb.883:
	s_wait_loadcnt 0x0
	global_load_b32 v2, v[0:1], off
.LBB339_884:
	s_mov_b32 s17, 0
.LBB339_885:
	s_delay_alu instid0(SALU_CYCLE_1)
	s_and_not1_b32 vcc_lo, exec_lo, s17
	s_cbranch_vccnz .LBB339_887
; %bb.886:
	s_wait_loadcnt 0x0
	global_load_u16 v2, v[0:1], off
.LBB339_887:
	s_cbranch_execnz .LBB339_893
.LBB339_888:
	s_sext_i32_i16 s17, s3
	s_delay_alu instid0(SALU_CYCLE_1)
	s_cmp_gt_i32 s17, 0
	s_mov_b32 s17, 0
	s_cbranch_scc0 .LBB339_890
; %bb.889:
	s_wait_loadcnt 0x0
	global_load_i8 v2, v[0:1], off
	s_branch .LBB339_891
.LBB339_890:
	s_mov_b32 s17, -1
                                        ; implicit-def: $vgpr2
.LBB339_891:
	s_delay_alu instid0(SALU_CYCLE_1)
	s_and_not1_b32 vcc_lo, exec_lo, s17
	s_cbranch_vccnz .LBB339_893
; %bb.892:
	s_wait_loadcnt 0x0
	global_load_u8 v2, v[0:1], off
.LBB339_893:
	s_or_b32 s0, s0, exec_lo
.LBB339_894:
	s_wait_xcnt 0x0
	s_or_b32 exec_lo, exec_lo, s16
	s_mov_b32 s20, 0
	s_mov_b32 s19, 0
                                        ; implicit-def: $sgpr16
                                        ; implicit-def: $sgpr17
                                        ; implicit-def: $vgpr0_vgpr1
	s_and_saveexec_b32 s18, s0
	s_cbranch_execz .LBB339_902
; %bb.895:
	v_mul_lo_u32 v0, v10, s8
	s_wait_loadcnt 0x0
	s_delay_alu instid0(VALU_DEP_2) | instskip(SKIP_3) | instid1(VALU_DEP_2)
	v_cmp_ne_u16_e32 vcc_lo, s11, v2
	s_and_b32 s17, s2, 0xff
	s_xor_b32 s16, s13, vcc_lo
	s_cmp_lt_i32 s17, 11
	v_ashrrev_i32_e32 v1, 31, v0
	s_delay_alu instid0(VALU_DEP_1)
	v_add_nc_u64_e32 v[0:1], s[4:5], v[0:1]
	s_cbranch_scc1 .LBB339_905
; %bb.896:
	s_and_b32 s13, 0xffff, s17
	s_mov_b32 s19, -1
	s_cmp_gt_i32 s13, 25
	s_mov_b32 s0, s15
	s_cbranch_scc0 .LBB339_933
; %bb.897:
	s_cmp_gt_i32 s13, 28
	s_mov_b32 s0, s15
	s_cbranch_scc0 .LBB339_917
; %bb.898:
	s_cmp_gt_i32 s13, 43
	s_mov_b32 s0, s15
	s_cbranch_scc0 .LBB339_913
; %bb.899:
	s_cmp_gt_i32 s13, 45
	s_mov_b32 s0, s15
	s_cbranch_scc0 .LBB339_907
; %bb.900:
	s_cmp_eq_u32 s13, 46
	s_mov_b32 s0, -1
	s_cbranch_scc0 .LBB339_906
; %bb.901:
	v_cndmask_b32_e64 v2, 0, 1.0, s16
	s_mov_b32 s0, 0
	s_mov_b32 s19, 0
	s_delay_alu instid0(VALU_DEP_1) | instskip(NEXT) | instid1(VALU_DEP_1)
	v_bfe_u32 v3, v2, 16, 1
	v_add3_u32 v2, v2, v3, 0x7fff
	s_delay_alu instid0(VALU_DEP_1)
	v_lshrrev_b32_e32 v2, 16, v2
	global_store_b32 v[0:1], v2, off
	s_branch .LBB339_907
.LBB339_902:
	s_or_b32 exec_lo, exec_lo, s18
	s_and_saveexec_b32 s0, s15
	s_cbranch_execnz .LBB339_975
.LBB339_903:
	s_or_b32 exec_lo, exec_lo, s0
	s_and_saveexec_b32 s0, s20
	s_delay_alu instid0(SALU_CYCLE_1)
	s_xor_b32 s0, exec_lo, s0
	s_cbranch_execz .LBB339_976
.LBB339_904:
	s_wait_loadcnt 0x0
	v_cndmask_b32_e64 v2, 0, 1, s16
	global_store_b8 v[0:1], v2, off
	s_wait_xcnt 0x0
	s_or_b32 exec_lo, exec_lo, s0
	s_and_saveexec_b32 s0, s19
	s_delay_alu instid0(SALU_CYCLE_1)
	s_xor_b32 s0, exec_lo, s0
	s_cbranch_execz .LBB339_1014
	s_branch .LBB339_977
.LBB339_905:
	s_mov_b32 s19, -1
	s_mov_b32 s0, s15
	s_branch .LBB339_974
.LBB339_906:
	s_mov_b32 s19, 0
.LBB339_907:
	s_delay_alu instid0(SALU_CYCLE_1)
	s_and_b32 vcc_lo, exec_lo, s19
	s_cbranch_vccz .LBB339_912
; %bb.908:
	s_cmp_eq_u32 s13, 44
	s_mov_b32 s0, -1
	s_cbranch_scc0 .LBB339_912
; %bb.909:
	v_cndmask_b32_e64 v4, 0, 1.0, s16
	s_mov_b32 s19, exec_lo
	s_wait_xcnt 0x0
	s_delay_alu instid0(VALU_DEP_1) | instskip(NEXT) | instid1(VALU_DEP_1)
	v_dual_mov_b32 v3, 0xff :: v_dual_lshrrev_b32 v2, 23, v4
	v_cmpx_ne_u32_e32 0xff, v2
; %bb.910:
	v_and_b32_e32 v3, 0x400000, v4
	v_and_or_b32 v4, 0x3fffff, v4, v2
	s_delay_alu instid0(VALU_DEP_2) | instskip(NEXT) | instid1(VALU_DEP_2)
	v_cmp_ne_u32_e32 vcc_lo, 0, v3
	v_cmp_ne_u32_e64 s0, 0, v4
	s_and_b32 s0, vcc_lo, s0
	s_delay_alu instid0(SALU_CYCLE_1) | instskip(NEXT) | instid1(VALU_DEP_1)
	v_cndmask_b32_e64 v3, 0, 1, s0
	v_add_nc_u32_e32 v3, v2, v3
; %bb.911:
	s_or_b32 exec_lo, exec_lo, s19
	s_mov_b32 s0, 0
	global_store_b8 v[0:1], v3, off
.LBB339_912:
	s_mov_b32 s19, 0
.LBB339_913:
	s_delay_alu instid0(SALU_CYCLE_1)
	s_and_b32 vcc_lo, exec_lo, s19
	s_cbranch_vccz .LBB339_916
; %bb.914:
	s_cmp_eq_u32 s13, 29
	s_mov_b32 s0, -1
	s_cbranch_scc0 .LBB339_916
; %bb.915:
	s_mov_b32 s0, 0
	s_wait_xcnt 0x0
	v_cndmask_b32_e64 v2, 0, 1, s16
	v_mov_b32_e32 v3, s0
	s_mov_b32 s19, 0
	global_store_b64 v[0:1], v[2:3], off
	s_branch .LBB339_917
.LBB339_916:
	s_mov_b32 s19, 0
.LBB339_917:
	s_delay_alu instid0(SALU_CYCLE_1)
	s_and_b32 vcc_lo, exec_lo, s19
	s_cbranch_vccz .LBB339_932
; %bb.918:
	s_cmp_lt_i32 s13, 27
	s_mov_b32 s19, -1
	s_cbranch_scc1 .LBB339_924
; %bb.919:
	s_wait_xcnt 0x0
	v_cndmask_b32_e64 v2, 0, 1, s16
	s_cmp_gt_i32 s13, 27
	s_cbranch_scc0 .LBB339_921
; %bb.920:
	s_mov_b32 s19, 0
	global_store_b32 v[0:1], v2, off
.LBB339_921:
	s_and_not1_b32 vcc_lo, exec_lo, s19
	s_cbranch_vccnz .LBB339_923
; %bb.922:
	global_store_b16 v[0:1], v2, off
.LBB339_923:
	s_mov_b32 s19, 0
.LBB339_924:
	s_delay_alu instid0(SALU_CYCLE_1)
	s_and_not1_b32 vcc_lo, exec_lo, s19
	s_cbranch_vccnz .LBB339_932
; %bb.925:
	s_wait_xcnt 0x0
	v_cndmask_b32_e64 v3, 0, 1.0, s16
	v_mov_b32_e32 v4, 0x80
	s_mov_b32 s19, exec_lo
	s_delay_alu instid0(VALU_DEP_2)
	v_cmpx_gt_u32_e32 0x43800000, v3
	s_cbranch_execz .LBB339_931
; %bb.926:
	s_mov_b32 s21, exec_lo
                                        ; implicit-def: $vgpr2
	v_cmpx_lt_u32_e32 0x3bffffff, v3
	s_xor_b32 s21, exec_lo, s21
	s_cbranch_execz .LBB339_1029
; %bb.927:
	v_bfe_u32 v2, v3, 20, 1
	s_mov_b32 s20, exec_lo
	s_delay_alu instid0(VALU_DEP_1) | instskip(NEXT) | instid1(VALU_DEP_1)
	v_add3_u32 v2, v3, v2, 0x487ffff
                                        ; implicit-def: $vgpr3
	v_lshrrev_b32_e32 v2, 20, v2
	s_and_not1_saveexec_b32 s21, s21
	s_cbranch_execnz .LBB339_1030
.LBB339_928:
	s_or_b32 exec_lo, exec_lo, s21
	v_mov_b32_e32 v4, 0
	s_and_saveexec_b32 s21, s20
.LBB339_929:
	v_mov_b32_e32 v4, v2
.LBB339_930:
	s_or_b32 exec_lo, exec_lo, s21
.LBB339_931:
	s_delay_alu instid0(SALU_CYCLE_1)
	s_or_b32 exec_lo, exec_lo, s19
	global_store_b8 v[0:1], v4, off
.LBB339_932:
	s_mov_b32 s19, 0
.LBB339_933:
	s_delay_alu instid0(SALU_CYCLE_1)
	s_and_b32 vcc_lo, exec_lo, s19
	s_mov_b32 s19, 0
	s_cbranch_vccz .LBB339_973
; %bb.934:
	s_cmp_gt_i32 s13, 22
	s_mov_b32 s20, -1
	s_cbranch_scc0 .LBB339_966
; %bb.935:
	s_cmp_lt_i32 s13, 24
	s_cbranch_scc1 .LBB339_955
; %bb.936:
	s_cmp_gt_i32 s13, 24
	s_cbranch_scc0 .LBB339_944
; %bb.937:
	s_wait_xcnt 0x0
	v_cndmask_b32_e64 v3, 0, 1.0, s16
	v_mov_b32_e32 v4, 0x80
	s_mov_b32 s20, exec_lo
	s_delay_alu instid0(VALU_DEP_2)
	v_cmpx_gt_u32_e32 0x47800000, v3
	s_cbranch_execz .LBB339_943
; %bb.938:
	s_mov_b32 s21, 0
	s_mov_b32 s22, exec_lo
                                        ; implicit-def: $vgpr2
	v_cmpx_lt_u32_e32 0x37ffffff, v3
	s_xor_b32 s22, exec_lo, s22
	s_cbranch_execz .LBB339_1150
; %bb.939:
	v_bfe_u32 v2, v3, 21, 1
	s_mov_b32 s21, exec_lo
	s_delay_alu instid0(VALU_DEP_1) | instskip(NEXT) | instid1(VALU_DEP_1)
	v_add3_u32 v2, v3, v2, 0x88fffff
                                        ; implicit-def: $vgpr3
	v_lshrrev_b32_e32 v2, 21, v2
	s_and_not1_saveexec_b32 s22, s22
	s_cbranch_execnz .LBB339_1151
.LBB339_940:
	s_or_b32 exec_lo, exec_lo, s22
	v_mov_b32_e32 v4, 0
	s_and_saveexec_b32 s22, s21
.LBB339_941:
	v_mov_b32_e32 v4, v2
.LBB339_942:
	s_or_b32 exec_lo, exec_lo, s22
.LBB339_943:
	s_delay_alu instid0(SALU_CYCLE_1)
	s_or_b32 exec_lo, exec_lo, s20
	s_mov_b32 s20, 0
	global_store_b8 v[0:1], v4, off
.LBB339_944:
	s_and_b32 vcc_lo, exec_lo, s20
	s_cbranch_vccz .LBB339_954
; %bb.945:
	s_wait_xcnt 0x0
	v_cndmask_b32_e64 v3, 0, 1.0, s16
	s_mov_b32 s20, exec_lo
                                        ; implicit-def: $vgpr2
	s_delay_alu instid0(VALU_DEP_1)
	v_cmpx_gt_u32_e32 0x43f00000, v3
	s_xor_b32 s20, exec_lo, s20
	s_cbranch_execz .LBB339_951
; %bb.946:
	s_mov_b32 s21, exec_lo
                                        ; implicit-def: $vgpr2
	v_cmpx_lt_u32_e32 0x3c7fffff, v3
	s_xor_b32 s21, exec_lo, s21
; %bb.947:
	v_bfe_u32 v2, v3, 20, 1
	s_delay_alu instid0(VALU_DEP_1) | instskip(NEXT) | instid1(VALU_DEP_1)
	v_add3_u32 v2, v3, v2, 0x407ffff
	v_and_b32_e32 v3, 0xff00000, v2
	v_lshrrev_b32_e32 v2, 20, v2
	s_delay_alu instid0(VALU_DEP_2) | instskip(NEXT) | instid1(VALU_DEP_2)
	v_cmp_ne_u32_e32 vcc_lo, 0x7f00000, v3
                                        ; implicit-def: $vgpr3
	v_cndmask_b32_e32 v2, 0x7e, v2, vcc_lo
; %bb.948:
	s_and_not1_saveexec_b32 s21, s21
; %bb.949:
	v_add_f32_e32 v2, 0x46800000, v3
; %bb.950:
	s_or_b32 exec_lo, exec_lo, s21
                                        ; implicit-def: $vgpr3
.LBB339_951:
	s_and_not1_saveexec_b32 s20, s20
; %bb.952:
	v_mov_b32_e32 v2, 0x7f
	v_cmp_lt_u32_e32 vcc_lo, 0x7f800000, v3
	s_delay_alu instid0(VALU_DEP_2)
	v_cndmask_b32_e32 v2, 0x7e, v2, vcc_lo
; %bb.953:
	s_or_b32 exec_lo, exec_lo, s20
	global_store_b8 v[0:1], v2, off
.LBB339_954:
	s_mov_b32 s20, 0
.LBB339_955:
	s_delay_alu instid0(SALU_CYCLE_1)
	s_and_not1_b32 vcc_lo, exec_lo, s20
	s_cbranch_vccnz .LBB339_965
; %bb.956:
	s_wait_xcnt 0x0
	v_cndmask_b32_e64 v3, 0, 1.0, s16
	s_mov_b32 s20, exec_lo
                                        ; implicit-def: $vgpr2
	s_delay_alu instid0(VALU_DEP_1)
	v_cmpx_gt_u32_e32 0x47800000, v3
	s_xor_b32 s20, exec_lo, s20
	s_cbranch_execz .LBB339_962
; %bb.957:
	s_mov_b32 s21, exec_lo
                                        ; implicit-def: $vgpr2
	v_cmpx_lt_u32_e32 0x387fffff, v3
	s_xor_b32 s21, exec_lo, s21
; %bb.958:
	v_bfe_u32 v2, v3, 21, 1
	s_delay_alu instid0(VALU_DEP_1) | instskip(NEXT) | instid1(VALU_DEP_1)
	v_add3_u32 v2, v3, v2, 0x80fffff
                                        ; implicit-def: $vgpr3
	v_lshrrev_b32_e32 v2, 21, v2
; %bb.959:
	s_and_not1_saveexec_b32 s21, s21
; %bb.960:
	v_add_f32_e32 v2, 0x43000000, v3
; %bb.961:
	s_or_b32 exec_lo, exec_lo, s21
                                        ; implicit-def: $vgpr3
.LBB339_962:
	s_and_not1_saveexec_b32 s20, s20
; %bb.963:
	v_mov_b32_e32 v2, 0x7f
	v_cmp_lt_u32_e32 vcc_lo, 0x7f800000, v3
	s_delay_alu instid0(VALU_DEP_2)
	v_cndmask_b32_e32 v2, 0x7c, v2, vcc_lo
; %bb.964:
	s_or_b32 exec_lo, exec_lo, s20
	global_store_b8 v[0:1], v2, off
.LBB339_965:
	s_mov_b32 s20, 0
.LBB339_966:
	s_delay_alu instid0(SALU_CYCLE_1)
	s_and_not1_b32 vcc_lo, exec_lo, s20
	s_mov_b32 s20, 0
	s_cbranch_vccnz .LBB339_974
; %bb.967:
	s_cmp_gt_i32 s13, 14
	s_mov_b32 s20, -1
	s_cbranch_scc0 .LBB339_971
; %bb.968:
	s_cmp_eq_u32 s13, 15
	s_mov_b32 s0, -1
	s_cbranch_scc0 .LBB339_970
; %bb.969:
	s_wait_xcnt 0x0
	v_cndmask_b32_e64 v2, 0, 1.0, s16
	s_mov_b32 s0, 0
	s_delay_alu instid0(VALU_DEP_1) | instskip(NEXT) | instid1(VALU_DEP_1)
	v_bfe_u32 v3, v2, 16, 1
	v_add3_u32 v2, v2, v3, 0x7fff
	global_store_d16_hi_b16 v[0:1], v2, off
.LBB339_970:
	s_mov_b32 s20, 0
.LBB339_971:
	s_delay_alu instid0(SALU_CYCLE_1)
	s_and_b32 vcc_lo, exec_lo, s20
	s_mov_b32 s20, 0
	s_cbranch_vccz .LBB339_974
; %bb.972:
	s_cmp_lg_u32 s13, 11
	s_mov_b32 s20, -1
	s_cselect_b32 s13, -1, 0
	s_and_not1_b32 s0, s0, exec_lo
	s_and_b32 s13, s13, exec_lo
	s_delay_alu instid0(SALU_CYCLE_1)
	s_or_b32 s0, s0, s13
	s_branch .LBB339_974
.LBB339_973:
	s_mov_b32 s20, 0
.LBB339_974:
	s_and_not1_b32 s13, s15, exec_lo
	s_and_b32 s0, s0, exec_lo
	s_and_b32 s19, s19, exec_lo
	;; [unrolled: 1-line block ×3, first 2 shown]
	s_or_b32 s15, s13, s0
	s_wait_xcnt 0x0
	s_or_b32 exec_lo, exec_lo, s18
	s_and_saveexec_b32 s0, s15
	s_cbranch_execz .LBB339_903
.LBB339_975:
	s_or_b32 s14, s14, exec_lo
	s_and_not1_b32 s20, s20, exec_lo
	s_trap 2
	s_or_b32 exec_lo, exec_lo, s0
	s_and_saveexec_b32 s0, s20
	s_delay_alu instid0(SALU_CYCLE_1)
	s_xor_b32 s0, exec_lo, s0
	s_cbranch_execnz .LBB339_904
.LBB339_976:
	s_or_b32 exec_lo, exec_lo, s0
	s_and_saveexec_b32 s0, s19
	s_delay_alu instid0(SALU_CYCLE_1)
	s_xor_b32 s0, exec_lo, s0
	s_cbranch_execz .LBB339_1014
.LBB339_977:
	s_sext_i32_i16 s15, s17
	s_mov_b32 s13, -1
	s_cmp_lt_i32 s15, 5
	s_cbranch_scc1 .LBB339_998
; %bb.978:
	s_cmp_lt_i32 s15, 8
	s_cbranch_scc1 .LBB339_988
; %bb.979:
	;; [unrolled: 3-line block ×3, first 2 shown]
	s_cmp_gt_i32 s15, 9
	s_cbranch_scc0 .LBB339_982
; %bb.981:
	s_wait_loadcnt 0x0
	v_cndmask_b32_e64 v2, 0, 1, s16
	v_mov_b32_e32 v4, 0
	s_mov_b32 s13, 0
	s_delay_alu instid0(VALU_DEP_2) | instskip(NEXT) | instid1(VALU_DEP_2)
	v_cvt_f64_u32_e32 v[2:3], v2
	v_mov_b32_e32 v5, v4
	global_store_b128 v[0:1], v[2:5], off
.LBB339_982:
	s_and_not1_b32 vcc_lo, exec_lo, s13
	s_cbranch_vccnz .LBB339_984
; %bb.983:
	s_wait_loadcnt 0x0
	v_cndmask_b32_e64 v2, 0, 1.0, s16
	v_mov_b32_e32 v3, 0
	global_store_b64 v[0:1], v[2:3], off
.LBB339_984:
	s_mov_b32 s13, 0
.LBB339_985:
	s_delay_alu instid0(SALU_CYCLE_1)
	s_and_not1_b32 vcc_lo, exec_lo, s13
	s_cbranch_vccnz .LBB339_987
; %bb.986:
	s_wait_loadcnt 0x0
	v_cndmask_b32_e64 v2, 0, 1.0, s16
	s_delay_alu instid0(VALU_DEP_1) | instskip(NEXT) | instid1(VALU_DEP_1)
	v_cvt_f16_f32_e32 v2, v2
	v_and_b32_e32 v2, 0xffff, v2
	global_store_b32 v[0:1], v2, off
.LBB339_987:
	s_mov_b32 s13, 0
.LBB339_988:
	s_delay_alu instid0(SALU_CYCLE_1)
	s_and_not1_b32 vcc_lo, exec_lo, s13
	s_cbranch_vccnz .LBB339_997
; %bb.989:
	s_sext_i32_i16 s15, s17
	s_mov_b32 s13, -1
	s_cmp_lt_i32 s15, 6
	s_cbranch_scc1 .LBB339_995
; %bb.990:
	s_cmp_gt_i32 s15, 6
	s_cbranch_scc0 .LBB339_992
; %bb.991:
	s_wait_loadcnt 0x0
	v_cndmask_b32_e64 v2, 0, 1, s16
	s_mov_b32 s13, 0
	s_delay_alu instid0(VALU_DEP_1)
	v_cvt_f64_u32_e32 v[2:3], v2
	global_store_b64 v[0:1], v[2:3], off
.LBB339_992:
	s_and_not1_b32 vcc_lo, exec_lo, s13
	s_cbranch_vccnz .LBB339_994
; %bb.993:
	s_wait_loadcnt 0x0
	v_cndmask_b32_e64 v2, 0, 1.0, s16
	global_store_b32 v[0:1], v2, off
.LBB339_994:
	s_mov_b32 s13, 0
.LBB339_995:
	s_delay_alu instid0(SALU_CYCLE_1)
	s_and_not1_b32 vcc_lo, exec_lo, s13
	s_cbranch_vccnz .LBB339_997
; %bb.996:
	s_wait_loadcnt 0x0
	v_cndmask_b32_e64 v2, 0, 1.0, s16
	s_delay_alu instid0(VALU_DEP_1)
	v_cvt_f16_f32_e32 v2, v2
	global_store_b16 v[0:1], v2, off
.LBB339_997:
	s_mov_b32 s13, 0
.LBB339_998:
	s_delay_alu instid0(SALU_CYCLE_1)
	s_and_not1_b32 vcc_lo, exec_lo, s13
	s_cbranch_vccnz .LBB339_1014
; %bb.999:
	s_sext_i32_i16 s15, s17
	s_mov_b32 s13, -1
	s_cmp_lt_i32 s15, 2
	s_cbranch_scc1 .LBB339_1009
; %bb.1000:
	s_cmp_lt_i32 s15, 3
	s_cbranch_scc1 .LBB339_1006
; %bb.1001:
	s_cmp_gt_i32 s15, 3
	s_cbranch_scc0 .LBB339_1003
; %bb.1002:
	s_mov_b32 s13, 0
	s_wait_loadcnt 0x0
	v_cndmask_b32_e64 v2, 0, 1, s16
	v_mov_b32_e32 v3, s13
	global_store_b64 v[0:1], v[2:3], off
.LBB339_1003:
	s_and_not1_b32 vcc_lo, exec_lo, s13
	s_cbranch_vccnz .LBB339_1005
; %bb.1004:
	s_wait_loadcnt 0x0
	v_cndmask_b32_e64 v2, 0, 1, s16
	global_store_b32 v[0:1], v2, off
.LBB339_1005:
	s_mov_b32 s13, 0
.LBB339_1006:
	s_delay_alu instid0(SALU_CYCLE_1)
	s_and_not1_b32 vcc_lo, exec_lo, s13
	s_cbranch_vccnz .LBB339_1008
; %bb.1007:
	s_wait_loadcnt 0x0
	v_cndmask_b32_e64 v2, 0, 1, s16
	global_store_b16 v[0:1], v2, off
.LBB339_1008:
	s_mov_b32 s13, 0
.LBB339_1009:
	s_delay_alu instid0(SALU_CYCLE_1)
	s_and_not1_b32 vcc_lo, exec_lo, s13
	s_cbranch_vccnz .LBB339_1014
; %bb.1010:
	s_wait_loadcnt 0x0
	v_cndmask_b32_e64 v2, 0, 1, s16
	s_sext_i32_i16 s13, s17
	s_delay_alu instid0(SALU_CYCLE_1)
	s_cmp_gt_i32 s13, 0
	s_mov_b32 s13, -1
	s_cbranch_scc0 .LBB339_1012
; %bb.1011:
	s_mov_b32 s13, 0
	global_store_b8 v[0:1], v2, off
.LBB339_1012:
	s_and_not1_b32 vcc_lo, exec_lo, s13
	s_cbranch_vccnz .LBB339_1014
; %bb.1013:
	global_store_b8 v[0:1], v2, off
.LBB339_1014:
	s_wait_xcnt 0x0
	s_or_b32 exec_lo, exec_lo, s0
	s_delay_alu instid0(SALU_CYCLE_1)
	s_and_b32 s13, s14, exec_lo
                                        ; implicit-def: $vgpr10
.LBB339_1015:
	s_or_saveexec_b32 s12, s12
	s_mov_b32 s0, 0
                                        ; implicit-def: $sgpr15
                                        ; implicit-def: $sgpr14
                                        ; implicit-def: $vgpr0_vgpr1
	s_xor_b32 exec_lo, exec_lo, s12
	s_cbranch_execz .LBB339_1949
; %bb.1016:
	v_mul_lo_u32 v0, s9, v10
	s_and_b32 s0, 0xffff, s3
	s_delay_alu instid0(SALU_CYCLE_1) | instskip(NEXT) | instid1(VALU_DEP_1)
	s_cmp_lt_i32 s0, 11
	v_ashrrev_i32_e32 v1, 31, v0
	s_wait_loadcnt 0x0
	s_delay_alu instid0(VALU_DEP_1)
	v_add_nc_u64_e32 v[2:3], s[6:7], v[0:1]
	s_cbranch_scc1 .LBB339_1023
; %bb.1017:
	s_cmp_gt_i32 s0, 25
	s_mov_b32 s3, 0
	s_cbranch_scc0 .LBB339_1025
; %bb.1018:
	s_cmp_gt_i32 s0, 28
	s_cbranch_scc0 .LBB339_1026
; %bb.1019:
	s_cmp_gt_i32 s0, 43
	;; [unrolled: 3-line block ×3, first 2 shown]
	s_cbranch_scc0 .LBB339_1028
; %bb.1021:
	s_cmp_eq_u32 s0, 46
	s_mov_b32 s15, 0
	s_cbranch_scc0 .LBB339_1031
; %bb.1022:
	global_load_b32 v1, v[2:3], off
	s_mov_b32 s14, -1
	s_wait_loadcnt 0x0
	v_lshlrev_b32_e32 v1, 16, v1
	s_delay_alu instid0(VALU_DEP_1)
	v_cvt_u32_f32_e32 v6, v1
	s_branch .LBB339_1033
.LBB339_1023:
	s_mov_b32 s14, 0
	s_mov_b32 s1, s13
                                        ; implicit-def: $vgpr6
	s_cbranch_execnz .LBB339_1091
.LBB339_1024:
	s_and_not1_b32 vcc_lo, exec_lo, s14
	s_cbranch_vccz .LBB339_1136
	s_branch .LBB339_1947
.LBB339_1025:
	s_mov_b32 s14, 0
                                        ; implicit-def: $vgpr6
	s_cbranch_execnz .LBB339_1058
	s_branch .LBB339_1087
.LBB339_1026:
	s_mov_b32 s14, 0
                                        ; implicit-def: $vgpr6
	s_cbranch_execz .LBB339_1057
	s_branch .LBB339_1042
.LBB339_1027:
	s_mov_b32 s14, 0
                                        ; implicit-def: $vgpr6
	s_cbranch_execnz .LBB339_1038
	s_branch .LBB339_1041
.LBB339_1028:
	s_mov_b32 s15, -1
	s_branch .LBB339_1032
.LBB339_1029:
	s_and_not1_saveexec_b32 s21, s21
	s_cbranch_execz .LBB339_928
.LBB339_1030:
	v_add_f32_e32 v2, 0x46000000, v3
	s_and_not1_b32 s20, s20, exec_lo
	s_delay_alu instid0(VALU_DEP_1) | instskip(NEXT) | instid1(VALU_DEP_1)
	v_and_b32_e32 v2, 0xff, v2
	v_cmp_ne_u32_e32 vcc_lo, 0, v2
	s_and_b32 s22, vcc_lo, exec_lo
	s_delay_alu instid0(SALU_CYCLE_1)
	s_or_b32 s20, s20, s22
	s_or_b32 exec_lo, exec_lo, s21
	v_mov_b32_e32 v4, 0
	s_and_saveexec_b32 s21, s20
	s_cbranch_execnz .LBB339_929
	s_branch .LBB339_930
.LBB339_1031:
	s_mov_b32 s1, -1
.LBB339_1032:
	s_mov_b32 s14, 0
                                        ; implicit-def: $vgpr6
.LBB339_1033:
	s_and_b32 vcc_lo, exec_lo, s15
	s_cbranch_vccz .LBB339_1036
; %bb.1034:
	s_cmp_eq_u32 s0, 44
	s_cbranch_scc0 .LBB339_1037
; %bb.1035:
	global_load_u8 v1, v[2:3], off
	s_mov_b32 s1, 0
	s_mov_b32 s14, -1
	s_wait_loadcnt 0x0
	v_lshlrev_b32_e32 v4, 23, v1
	v_cmp_ne_u32_e32 vcc_lo, 0, v1
	s_delay_alu instid0(VALU_DEP_2) | instskip(NEXT) | instid1(VALU_DEP_1)
	v_cvt_u32_f32_e32 v4, v4
	v_cndmask_b32_e32 v6, 0, v4, vcc_lo
.LBB339_1036:
	s_branch .LBB339_1041
.LBB339_1037:
	s_mov_b32 s1, -1
                                        ; implicit-def: $vgpr6
	s_branch .LBB339_1041
.LBB339_1038:
	s_cmp_eq_u32 s0, 29
	s_cbranch_scc0 .LBB339_1040
; %bb.1039:
	global_load_b64 v[6:7], v[2:3], off
	s_mov_b32 s1, 0
	s_mov_b32 s14, -1
	s_branch .LBB339_1041
.LBB339_1040:
	s_mov_b32 s1, -1
                                        ; implicit-def: $vgpr6
.LBB339_1041:
	s_branch .LBB339_1057
.LBB339_1042:
	s_cmp_lt_i32 s0, 27
	s_cbranch_scc1 .LBB339_1045
; %bb.1043:
	s_cmp_gt_i32 s0, 27
	s_cbranch_scc0 .LBB339_1046
; %bb.1044:
	s_wait_loadcnt 0x0
	global_load_b32 v6, v[2:3], off
	s_mov_b32 s14, 0
	s_branch .LBB339_1047
.LBB339_1045:
	s_mov_b32 s14, -1
                                        ; implicit-def: $vgpr6
	s_branch .LBB339_1050
.LBB339_1046:
	s_mov_b32 s14, -1
                                        ; implicit-def: $vgpr6
.LBB339_1047:
	s_delay_alu instid0(SALU_CYCLE_1)
	s_and_not1_b32 vcc_lo, exec_lo, s14
	s_cbranch_vccnz .LBB339_1049
; %bb.1048:
	s_wait_loadcnt 0x0
	global_load_u16 v6, v[2:3], off
.LBB339_1049:
	s_mov_b32 s14, 0
.LBB339_1050:
	s_delay_alu instid0(SALU_CYCLE_1)
	s_and_not1_b32 vcc_lo, exec_lo, s14
	s_cbranch_vccnz .LBB339_1056
; %bb.1051:
	global_load_u8 v1, v[2:3], off
	s_mov_b32 s15, 0
	s_mov_b32 s14, exec_lo
	s_wait_loadcnt 0x0
	v_cmpx_lt_i16_e32 0x7f, v1
	s_xor_b32 s14, exec_lo, s14
	s_cbranch_execz .LBB339_1067
; %bb.1052:
	v_cmp_ne_u16_e32 vcc_lo, 0x80, v1
	s_and_b32 s15, vcc_lo, exec_lo
	s_and_not1_saveexec_b32 s14, s14
	s_cbranch_execnz .LBB339_1068
.LBB339_1053:
	s_or_b32 exec_lo, exec_lo, s14
	v_mov_b32_e32 v6, 0
	s_and_saveexec_b32 s14, s15
	s_cbranch_execz .LBB339_1055
.LBB339_1054:
	v_and_b32_e32 v4, 0xffff, v1
	s_delay_alu instid0(VALU_DEP_1) | instskip(SKIP_1) | instid1(VALU_DEP_2)
	v_and_b32_e32 v5, 7, v4
	v_bfe_u32 v8, v4, 3, 4
	v_clz_i32_u32_e32 v6, v5
	s_delay_alu instid0(VALU_DEP_2) | instskip(NEXT) | instid1(VALU_DEP_2)
	v_cmp_eq_u32_e32 vcc_lo, 0, v8
	v_min_u32_e32 v6, 32, v6
	s_delay_alu instid0(VALU_DEP_1) | instskip(NEXT) | instid1(VALU_DEP_1)
	v_subrev_nc_u32_e32 v7, 28, v6
	v_dual_lshlrev_b32 v4, v7, v4 :: v_dual_sub_nc_u32 v6, 29, v6
	s_delay_alu instid0(VALU_DEP_1) | instskip(NEXT) | instid1(VALU_DEP_1)
	v_dual_lshlrev_b32 v1, 24, v1 :: v_dual_bitop2_b32 v4, 7, v4 bitop3:0x40
	v_dual_cndmask_b32 v6, v8, v6, vcc_lo :: v_dual_cndmask_b32 v4, v5, v4, vcc_lo
	s_delay_alu instid0(VALU_DEP_2) | instskip(NEXT) | instid1(VALU_DEP_2)
	v_and_b32_e32 v1, 0x80000000, v1
	v_lshl_add_u32 v5, v6, 23, 0x3b800000
	s_delay_alu instid0(VALU_DEP_3) | instskip(NEXT) | instid1(VALU_DEP_1)
	v_lshlrev_b32_e32 v4, 20, v4
	v_or3_b32 v1, v1, v5, v4
	s_delay_alu instid0(VALU_DEP_1)
	v_cvt_u32_f32_e32 v6, v1
.LBB339_1055:
	s_or_b32 exec_lo, exec_lo, s14
.LBB339_1056:
	s_mov_b32 s14, -1
.LBB339_1057:
	s_branch .LBB339_1087
.LBB339_1058:
	s_cmp_gt_i32 s0, 22
	s_cbranch_scc0 .LBB339_1066
; %bb.1059:
	s_cmp_lt_i32 s0, 24
	s_cbranch_scc1 .LBB339_1069
; %bb.1060:
	s_cmp_gt_i32 s0, 24
	s_cbranch_scc0 .LBB339_1070
; %bb.1061:
	global_load_u8 v1, v[2:3], off
	s_mov_b32 s14, 0
	s_mov_b32 s3, exec_lo
	s_wait_loadcnt 0x0
	v_cmpx_lt_i16_e32 0x7f, v1
	s_xor_b32 s3, exec_lo, s3
	s_cbranch_execz .LBB339_1081
; %bb.1062:
	v_cmp_ne_u16_e32 vcc_lo, 0x80, v1
	s_and_b32 s14, vcc_lo, exec_lo
	s_and_not1_saveexec_b32 s3, s3
	s_cbranch_execnz .LBB339_1082
.LBB339_1063:
	s_or_b32 exec_lo, exec_lo, s3
	v_mov_b32_e32 v6, 0
	s_and_saveexec_b32 s3, s14
	s_cbranch_execz .LBB339_1065
.LBB339_1064:
	v_and_b32_e32 v4, 0xffff, v1
	s_delay_alu instid0(VALU_DEP_1) | instskip(SKIP_1) | instid1(VALU_DEP_2)
	v_and_b32_e32 v5, 3, v4
	v_bfe_u32 v8, v4, 2, 5
	v_clz_i32_u32_e32 v6, v5
	s_delay_alu instid0(VALU_DEP_2) | instskip(NEXT) | instid1(VALU_DEP_2)
	v_cmp_eq_u32_e32 vcc_lo, 0, v8
	v_min_u32_e32 v6, 32, v6
	s_delay_alu instid0(VALU_DEP_1) | instskip(NEXT) | instid1(VALU_DEP_1)
	v_subrev_nc_u32_e32 v7, 29, v6
	v_dual_lshlrev_b32 v4, v7, v4 :: v_dual_sub_nc_u32 v6, 30, v6
	s_delay_alu instid0(VALU_DEP_1) | instskip(NEXT) | instid1(VALU_DEP_1)
	v_dual_lshlrev_b32 v1, 24, v1 :: v_dual_bitop2_b32 v4, 3, v4 bitop3:0x40
	v_dual_cndmask_b32 v6, v8, v6, vcc_lo :: v_dual_cndmask_b32 v4, v5, v4, vcc_lo
	s_delay_alu instid0(VALU_DEP_2) | instskip(NEXT) | instid1(VALU_DEP_2)
	v_and_b32_e32 v1, 0x80000000, v1
	v_lshl_add_u32 v5, v6, 23, 0x37800000
	s_delay_alu instid0(VALU_DEP_3) | instskip(NEXT) | instid1(VALU_DEP_1)
	v_lshlrev_b32_e32 v4, 21, v4
	v_or3_b32 v1, v1, v5, v4
	s_delay_alu instid0(VALU_DEP_1)
	v_cvt_u32_f32_e32 v6, v1
.LBB339_1065:
	s_or_b32 exec_lo, exec_lo, s3
	s_mov_b32 s3, 0
	s_branch .LBB339_1071
.LBB339_1066:
                                        ; implicit-def: $vgpr6
	s_mov_b32 s3, 0
	s_branch .LBB339_1077
.LBB339_1067:
	s_and_not1_saveexec_b32 s14, s14
	s_cbranch_execz .LBB339_1053
.LBB339_1068:
	v_cmp_ne_u16_e32 vcc_lo, 0, v1
	s_and_not1_b32 s15, s15, exec_lo
	s_and_b32 s16, vcc_lo, exec_lo
	s_delay_alu instid0(SALU_CYCLE_1)
	s_or_b32 s15, s15, s16
	s_or_b32 exec_lo, exec_lo, s14
	v_mov_b32_e32 v6, 0
	s_and_saveexec_b32 s14, s15
	s_cbranch_execnz .LBB339_1054
	s_branch .LBB339_1055
.LBB339_1069:
	s_mov_b32 s3, -1
                                        ; implicit-def: $vgpr6
	s_branch .LBB339_1074
.LBB339_1070:
	s_mov_b32 s3, -1
                                        ; implicit-def: $vgpr6
.LBB339_1071:
	s_delay_alu instid0(SALU_CYCLE_1)
	s_and_b32 vcc_lo, exec_lo, s3
	s_cbranch_vccz .LBB339_1073
; %bb.1072:
	global_load_u8 v1, v[2:3], off
	s_wait_loadcnt 0x0
	v_lshlrev_b32_e32 v1, 24, v1
	s_delay_alu instid0(VALU_DEP_1) | instskip(NEXT) | instid1(VALU_DEP_1)
	v_and_b32_e32 v4, 0x7f000000, v1
	v_clz_i32_u32_e32 v5, v4
	v_cmp_ne_u32_e32 vcc_lo, 0, v4
	v_add_nc_u32_e32 v7, 0x1000000, v4
	s_delay_alu instid0(VALU_DEP_3) | instskip(NEXT) | instid1(VALU_DEP_1)
	v_min_u32_e32 v5, 32, v5
	v_sub_nc_u32_e64 v5, v5, 4 clamp
	s_delay_alu instid0(VALU_DEP_1) | instskip(NEXT) | instid1(VALU_DEP_1)
	v_dual_lshlrev_b32 v6, v5, v4 :: v_dual_lshlrev_b32 v5, 23, v5
	v_lshrrev_b32_e32 v6, 4, v6
	s_delay_alu instid0(VALU_DEP_1) | instskip(NEXT) | instid1(VALU_DEP_1)
	v_dual_sub_nc_u32 v5, v6, v5 :: v_dual_ashrrev_i32 v6, 8, v7
	v_add_nc_u32_e32 v5, 0x3c000000, v5
	s_delay_alu instid0(VALU_DEP_1) | instskip(NEXT) | instid1(VALU_DEP_1)
	v_and_or_b32 v5, 0x7f800000, v6, v5
	v_cndmask_b32_e32 v4, 0, v5, vcc_lo
	s_delay_alu instid0(VALU_DEP_1) | instskip(NEXT) | instid1(VALU_DEP_1)
	v_and_or_b32 v1, 0x80000000, v1, v4
	v_cvt_u32_f32_e32 v6, v1
.LBB339_1073:
	s_mov_b32 s3, 0
.LBB339_1074:
	s_delay_alu instid0(SALU_CYCLE_1)
	s_and_not1_b32 vcc_lo, exec_lo, s3
	s_cbranch_vccnz .LBB339_1076
; %bb.1075:
	global_load_u8 v1, v[2:3], off
	s_wait_loadcnt 0x0
	v_lshlrev_b32_e32 v4, 25, v1
	v_lshlrev_b16 v1, 8, v1
	s_delay_alu instid0(VALU_DEP_1) | instskip(SKIP_1) | instid1(VALU_DEP_2)
	v_and_or_b32 v6, 0x7f00, v1, 0.5
	v_bfe_i32 v1, v1, 0, 16
	v_dual_add_f32 v6, -0.5, v6 :: v_dual_lshrrev_b32 v5, 4, v4
	v_cmp_gt_u32_e32 vcc_lo, 0x8000000, v4
	s_delay_alu instid0(VALU_DEP_2) | instskip(NEXT) | instid1(VALU_DEP_1)
	v_or_b32_e32 v5, 0x70000000, v5
	v_mul_f32_e32 v5, 0x7800000, v5
	s_delay_alu instid0(VALU_DEP_1) | instskip(NEXT) | instid1(VALU_DEP_1)
	v_cndmask_b32_e32 v4, v5, v6, vcc_lo
	v_and_or_b32 v1, 0x80000000, v1, v4
	s_delay_alu instid0(VALU_DEP_1)
	v_cvt_u32_f32_e32 v6, v1
.LBB339_1076:
	s_mov_b32 s14, -1
	s_mov_b32 s3, 0
	s_cbranch_execnz .LBB339_1087
.LBB339_1077:
	s_cmp_gt_i32 s0, 14
	s_cbranch_scc0 .LBB339_1080
; %bb.1078:
	s_cmp_eq_u32 s0, 15
	s_cbranch_scc0 .LBB339_1083
; %bb.1079:
	global_load_u16 v1, v[2:3], off
	s_mov_b32 s1, 0
	s_mov_b32 s14, -1
	s_wait_loadcnt 0x0
	v_lshlrev_b32_e32 v1, 16, v1
	s_delay_alu instid0(VALU_DEP_1)
	v_cvt_u32_f32_e32 v6, v1
	s_branch .LBB339_1085
.LBB339_1080:
	s_mov_b32 s3, -1
	s_branch .LBB339_1084
.LBB339_1081:
	s_and_not1_saveexec_b32 s3, s3
	s_cbranch_execz .LBB339_1063
.LBB339_1082:
	v_cmp_ne_u16_e32 vcc_lo, 0, v1
	s_and_not1_b32 s14, s14, exec_lo
	s_and_b32 s15, vcc_lo, exec_lo
	s_delay_alu instid0(SALU_CYCLE_1)
	s_or_b32 s14, s14, s15
	s_or_b32 exec_lo, exec_lo, s3
	v_mov_b32_e32 v6, 0
	s_and_saveexec_b32 s3, s14
	s_cbranch_execnz .LBB339_1064
	s_branch .LBB339_1065
.LBB339_1083:
	s_mov_b32 s1, -1
.LBB339_1084:
                                        ; implicit-def: $vgpr6
.LBB339_1085:
	s_and_b32 vcc_lo, exec_lo, s3
	s_mov_b32 s3, 0
	s_cbranch_vccz .LBB339_1087
; %bb.1086:
	s_cmp_lg_u32 s0, 11
	s_mov_b32 s3, -1
	s_cselect_b32 s1, -1, 0
.LBB339_1087:
	s_delay_alu instid0(SALU_CYCLE_1)
	s_and_b32 vcc_lo, exec_lo, s1
	s_mov_b32 s1, s13
	s_cbranch_vccnz .LBB339_1148
; %bb.1088:
	s_and_not1_b32 vcc_lo, exec_lo, s3
	s_cbranch_vccnz .LBB339_1090
.LBB339_1089:
	global_load_u8 v1, v[2:3], off
	s_mov_b32 s14, -1
	s_wait_loadcnt 0x0
	v_cmp_ne_u16_e32 vcc_lo, 0, v1
	v_cndmask_b32_e64 v6, 0, 1, vcc_lo
.LBB339_1090:
	s_branch .LBB339_1024
.LBB339_1091:
	s_cmp_lt_i32 s0, 5
	s_cbranch_scc1 .LBB339_1096
; %bb.1092:
	s_cmp_lt_i32 s0, 8
	s_cbranch_scc1 .LBB339_1097
; %bb.1093:
	;; [unrolled: 3-line block ×3, first 2 shown]
	s_cmp_gt_i32 s0, 9
	s_cbranch_scc0 .LBB339_1099
; %bb.1095:
	global_load_b64 v[4:5], v[2:3], off
	s_mov_b32 s3, 0
	s_wait_loadcnt 0x0
	v_cvt_u32_f64_e32 v6, v[4:5]
	s_branch .LBB339_1100
.LBB339_1096:
                                        ; implicit-def: $vgpr6
	s_branch .LBB339_1117
.LBB339_1097:
                                        ; implicit-def: $vgpr6
	s_branch .LBB339_1106
.LBB339_1098:
	s_mov_b32 s3, -1
                                        ; implicit-def: $vgpr6
	s_branch .LBB339_1103
.LBB339_1099:
	s_mov_b32 s3, -1
                                        ; implicit-def: $vgpr6
.LBB339_1100:
	s_delay_alu instid0(SALU_CYCLE_1)
	s_and_not1_b32 vcc_lo, exec_lo, s3
	s_cbranch_vccnz .LBB339_1102
; %bb.1101:
	global_load_b32 v1, v[2:3], off
	s_wait_loadcnt 0x0
	v_cvt_u32_f32_e32 v6, v1
.LBB339_1102:
	s_mov_b32 s3, 0
.LBB339_1103:
	s_delay_alu instid0(SALU_CYCLE_1)
	s_and_not1_b32 vcc_lo, exec_lo, s3
	s_cbranch_vccnz .LBB339_1105
; %bb.1104:
	global_load_b32 v1, v[2:3], off
	s_wait_loadcnt 0x0
	v_cvt_u16_f16_e32 v6, v1
.LBB339_1105:
	s_cbranch_execnz .LBB339_1116
.LBB339_1106:
	s_cmp_lt_i32 s0, 6
	s_cbranch_scc1 .LBB339_1109
; %bb.1107:
	s_cmp_gt_i32 s0, 6
	s_cbranch_scc0 .LBB339_1110
; %bb.1108:
	global_load_b64 v[4:5], v[2:3], off
	s_mov_b32 s3, 0
	s_wait_loadcnt 0x0
	v_cvt_u32_f64_e32 v6, v[4:5]
	s_branch .LBB339_1111
.LBB339_1109:
	s_mov_b32 s3, -1
                                        ; implicit-def: $vgpr6
	s_branch .LBB339_1114
.LBB339_1110:
	s_mov_b32 s3, -1
                                        ; implicit-def: $vgpr6
.LBB339_1111:
	s_delay_alu instid0(SALU_CYCLE_1)
	s_and_not1_b32 vcc_lo, exec_lo, s3
	s_cbranch_vccnz .LBB339_1113
; %bb.1112:
	global_load_b32 v1, v[2:3], off
	s_wait_loadcnt 0x0
	v_cvt_u32_f32_e32 v6, v1
.LBB339_1113:
	s_mov_b32 s3, 0
.LBB339_1114:
	s_delay_alu instid0(SALU_CYCLE_1)
	s_and_not1_b32 vcc_lo, exec_lo, s3
	s_cbranch_vccnz .LBB339_1116
; %bb.1115:
	global_load_u16 v1, v[2:3], off
	s_wait_loadcnt 0x0
	v_cvt_u16_f16_e32 v6, v1
.LBB339_1116:
	s_cbranch_execnz .LBB339_1135
.LBB339_1117:
	s_cmp_lt_i32 s0, 2
	s_cbranch_scc1 .LBB339_1121
; %bb.1118:
	s_cmp_lt_i32 s0, 3
	s_cbranch_scc1 .LBB339_1122
; %bb.1119:
	s_cmp_gt_i32 s0, 3
	s_cbranch_scc0 .LBB339_1123
; %bb.1120:
	s_wait_loadcnt 0x0
	global_load_b64 v[6:7], v[2:3], off
	s_mov_b32 s3, 0
	s_branch .LBB339_1124
.LBB339_1121:
                                        ; implicit-def: $vgpr6
	s_branch .LBB339_1130
.LBB339_1122:
	s_mov_b32 s3, -1
                                        ; implicit-def: $vgpr6
	s_branch .LBB339_1127
.LBB339_1123:
	s_mov_b32 s3, -1
                                        ; implicit-def: $vgpr6
.LBB339_1124:
	s_delay_alu instid0(SALU_CYCLE_1)
	s_and_not1_b32 vcc_lo, exec_lo, s3
	s_cbranch_vccnz .LBB339_1126
; %bb.1125:
	s_wait_loadcnt 0x0
	global_load_b32 v6, v[2:3], off
.LBB339_1126:
	s_mov_b32 s3, 0
.LBB339_1127:
	s_delay_alu instid0(SALU_CYCLE_1)
	s_and_not1_b32 vcc_lo, exec_lo, s3
	s_cbranch_vccnz .LBB339_1129
; %bb.1128:
	s_wait_loadcnt 0x0
	global_load_u16 v6, v[2:3], off
.LBB339_1129:
	s_cbranch_execnz .LBB339_1135
.LBB339_1130:
	s_cmp_gt_i32 s0, 0
	s_mov_b32 s3, 0
	s_cbranch_scc0 .LBB339_1132
; %bb.1131:
	s_wait_loadcnt 0x0
	global_load_i8 v6, v[2:3], off
	s_branch .LBB339_1133
.LBB339_1132:
	s_mov_b32 s3, -1
                                        ; implicit-def: $vgpr6
.LBB339_1133:
	s_delay_alu instid0(SALU_CYCLE_1)
	s_and_not1_b32 vcc_lo, exec_lo, s3
	s_cbranch_vccnz .LBB339_1135
; %bb.1134:
	s_wait_loadcnt 0x0
	global_load_u8 v6, v[2:3], off
.LBB339_1135:
.LBB339_1136:
	s_lshl_b32 s3, s9, 7
	s_cmp_lt_i32 s0, 11
	v_add_nc_u32_e32 v0, s3, v0
	s_delay_alu instid0(VALU_DEP_1) | instskip(SKIP_1) | instid1(VALU_DEP_1)
	v_ashrrev_i32_e32 v1, 31, v0
	s_wait_xcnt 0x0
	v_add_nc_u64_e32 v[2:3], s[6:7], v[0:1]
	s_cbranch_scc1 .LBB339_1143
; %bb.1137:
	s_cmp_gt_i32 s0, 25
	s_mov_b32 s14, 0
	s_cbranch_scc0 .LBB339_1145
; %bb.1138:
	s_cmp_gt_i32 s0, 28
	s_cbranch_scc0 .LBB339_1146
; %bb.1139:
	s_cmp_gt_i32 s0, 43
	;; [unrolled: 3-line block ×3, first 2 shown]
	s_cbranch_scc0 .LBB339_1149
; %bb.1141:
	s_cmp_eq_u32 s0, 46
	s_mov_b32 s16, 0
	s_cbranch_scc0 .LBB339_1152
; %bb.1142:
	global_load_b32 v1, v[2:3], off
	s_mov_b32 s9, 0
	s_mov_b32 s15, -1
	s_wait_loadcnt 0x0
	v_lshlrev_b32_e32 v1, 16, v1
	s_delay_alu instid0(VALU_DEP_1)
	v_cvt_u32_f32_e32 v4, v1
	s_branch .LBB339_1154
.LBB339_1143:
	s_mov_b32 s15, 0
                                        ; implicit-def: $vgpr4
	s_cbranch_execnz .LBB339_1215
.LBB339_1144:
	s_and_not1_b32 vcc_lo, exec_lo, s15
	s_cbranch_vccnz .LBB339_1947
	s_branch .LBB339_1262
.LBB339_1145:
	s_mov_b32 s15, 0
	s_mov_b32 s9, 0
                                        ; implicit-def: $vgpr4
	s_cbranch_execnz .LBB339_1181
	s_branch .LBB339_1211
.LBB339_1146:
	s_mov_b32 s16, -1
	s_mov_b32 s15, 0
	s_mov_b32 s9, 0
                                        ; implicit-def: $vgpr4
	s_branch .LBB339_1164
.LBB339_1147:
	s_mov_b32 s16, -1
	s_mov_b32 s15, 0
	s_mov_b32 s9, 0
                                        ; implicit-def: $vgpr4
	s_branch .LBB339_1159
.LBB339_1148:
	s_or_b32 s1, s13, exec_lo
	s_trap 2
	s_cbranch_execz .LBB339_1089
	s_branch .LBB339_1090
.LBB339_1149:
	s_mov_b32 s16, -1
	s_mov_b32 s15, 0
	s_mov_b32 s9, 0
	s_branch .LBB339_1153
.LBB339_1150:
	s_and_not1_saveexec_b32 s22, s22
	s_cbranch_execz .LBB339_940
.LBB339_1151:
	v_add_f32_e32 v2, 0x42800000, v3
	s_and_not1_b32 s21, s21, exec_lo
	s_delay_alu instid0(VALU_DEP_1) | instskip(NEXT) | instid1(VALU_DEP_1)
	v_and_b32_e32 v2, 0xff, v2
	v_cmp_ne_u32_e32 vcc_lo, 0, v2
	s_and_b32 s23, vcc_lo, exec_lo
	s_delay_alu instid0(SALU_CYCLE_1)
	s_or_b32 s21, s21, s23
	s_or_b32 exec_lo, exec_lo, s22
	v_mov_b32_e32 v4, 0
	s_and_saveexec_b32 s22, s21
	s_cbranch_execnz .LBB339_941
	s_branch .LBB339_942
.LBB339_1152:
	s_mov_b32 s9, -1
	s_mov_b32 s15, 0
.LBB339_1153:
                                        ; implicit-def: $vgpr4
.LBB339_1154:
	s_and_b32 vcc_lo, exec_lo, s16
	s_cbranch_vccz .LBB339_1158
; %bb.1155:
	s_cmp_eq_u32 s0, 44
	s_cbranch_scc0 .LBB339_1157
; %bb.1156:
	global_load_u8 v1, v[2:3], off
	s_mov_b32 s9, 0
	s_mov_b32 s15, -1
	s_wait_loadcnt 0x0
	v_lshlrev_b32_e32 v4, 23, v1
	v_cmp_ne_u32_e32 vcc_lo, 0, v1
	s_delay_alu instid0(VALU_DEP_2) | instskip(NEXT) | instid1(VALU_DEP_1)
	v_cvt_u32_f32_e32 v4, v4
	v_cndmask_b32_e32 v4, 0, v4, vcc_lo
	s_branch .LBB339_1158
.LBB339_1157:
	s_mov_b32 s9, -1
                                        ; implicit-def: $vgpr4
.LBB339_1158:
	s_mov_b32 s16, 0
.LBB339_1159:
	s_delay_alu instid0(SALU_CYCLE_1)
	s_and_b32 vcc_lo, exec_lo, s16
	s_cbranch_vccz .LBB339_1163
; %bb.1160:
	s_cmp_eq_u32 s0, 29
	s_cbranch_scc0 .LBB339_1162
; %bb.1161:
	global_load_b64 v[4:5], v[2:3], off
	s_mov_b32 s9, 0
	s_mov_b32 s15, -1
	s_branch .LBB339_1163
.LBB339_1162:
	s_mov_b32 s9, -1
                                        ; implicit-def: $vgpr4
.LBB339_1163:
	s_mov_b32 s16, 0
.LBB339_1164:
	s_delay_alu instid0(SALU_CYCLE_1)
	s_and_b32 vcc_lo, exec_lo, s16
	s_cbranch_vccz .LBB339_1180
; %bb.1165:
	s_cmp_lt_i32 s0, 27
	s_cbranch_scc1 .LBB339_1168
; %bb.1166:
	s_cmp_gt_i32 s0, 27
	s_cbranch_scc0 .LBB339_1169
; %bb.1167:
	s_wait_loadcnt 0x0
	global_load_b32 v4, v[2:3], off
	s_mov_b32 s15, 0
	s_branch .LBB339_1170
.LBB339_1168:
	s_mov_b32 s15, -1
                                        ; implicit-def: $vgpr4
	s_branch .LBB339_1173
.LBB339_1169:
	s_mov_b32 s15, -1
                                        ; implicit-def: $vgpr4
.LBB339_1170:
	s_delay_alu instid0(SALU_CYCLE_1)
	s_and_not1_b32 vcc_lo, exec_lo, s15
	s_cbranch_vccnz .LBB339_1172
; %bb.1171:
	s_wait_loadcnt 0x0
	global_load_u16 v4, v[2:3], off
.LBB339_1172:
	s_mov_b32 s15, 0
.LBB339_1173:
	s_delay_alu instid0(SALU_CYCLE_1)
	s_and_not1_b32 vcc_lo, exec_lo, s15
	s_cbranch_vccnz .LBB339_1179
; %bb.1174:
	global_load_u8 v1, v[2:3], off
	s_mov_b32 s16, 0
	s_mov_b32 s15, exec_lo
	s_wait_loadcnt 0x0
	v_cmpx_lt_i16_e32 0x7f, v1
	s_xor_b32 s15, exec_lo, s15
	s_cbranch_execz .LBB339_1190
; %bb.1175:
	v_cmp_ne_u16_e32 vcc_lo, 0x80, v1
	s_and_b32 s16, vcc_lo, exec_lo
	s_and_not1_saveexec_b32 s15, s15
	s_cbranch_execnz .LBB339_1191
.LBB339_1176:
	s_or_b32 exec_lo, exec_lo, s15
	v_mov_b32_e32 v4, 0
	s_and_saveexec_b32 s15, s16
	s_cbranch_execz .LBB339_1178
.LBB339_1177:
	v_and_b32_e32 v4, 0xffff, v1
	s_delay_alu instid0(VALU_DEP_1) | instskip(SKIP_1) | instid1(VALU_DEP_2)
	v_and_b32_e32 v5, 7, v4
	v_bfe_u32 v9, v4, 3, 4
	v_clz_i32_u32_e32 v7, v5
	s_delay_alu instid0(VALU_DEP_2) | instskip(NEXT) | instid1(VALU_DEP_2)
	v_cmp_eq_u32_e32 vcc_lo, 0, v9
	v_min_u32_e32 v7, 32, v7
	s_delay_alu instid0(VALU_DEP_1) | instskip(NEXT) | instid1(VALU_DEP_1)
	v_subrev_nc_u32_e32 v8, 28, v7
	v_dual_lshlrev_b32 v4, v8, v4 :: v_dual_sub_nc_u32 v7, 29, v7
	s_delay_alu instid0(VALU_DEP_1) | instskip(NEXT) | instid1(VALU_DEP_2)
	v_dual_lshlrev_b32 v1, 24, v1 :: v_dual_bitop2_b32 v4, 7, v4 bitop3:0x40
	v_cndmask_b32_e32 v7, v9, v7, vcc_lo
	s_delay_alu instid0(VALU_DEP_2) | instskip(NEXT) | instid1(VALU_DEP_3)
	v_cndmask_b32_e32 v4, v5, v4, vcc_lo
	v_and_b32_e32 v1, 0x80000000, v1
	s_delay_alu instid0(VALU_DEP_3) | instskip(NEXT) | instid1(VALU_DEP_3)
	v_lshl_add_u32 v5, v7, 23, 0x3b800000
	v_lshlrev_b32_e32 v4, 20, v4
	s_delay_alu instid0(VALU_DEP_1) | instskip(NEXT) | instid1(VALU_DEP_1)
	v_or3_b32 v1, v1, v5, v4
	v_cvt_u32_f32_e32 v4, v1
.LBB339_1178:
	s_or_b32 exec_lo, exec_lo, s15
.LBB339_1179:
	s_mov_b32 s15, -1
.LBB339_1180:
	s_branch .LBB339_1211
.LBB339_1181:
	s_cmp_gt_i32 s0, 22
	s_cbranch_scc0 .LBB339_1189
; %bb.1182:
	s_cmp_lt_i32 s0, 24
	s_cbranch_scc1 .LBB339_1192
; %bb.1183:
	s_cmp_gt_i32 s0, 24
	s_cbranch_scc0 .LBB339_1193
; %bb.1184:
	global_load_u8 v1, v[2:3], off
	s_mov_b32 s15, 0
	s_mov_b32 s14, exec_lo
	s_wait_loadcnt 0x0
	v_cmpx_lt_i16_e32 0x7f, v1
	s_xor_b32 s14, exec_lo, s14
	s_cbranch_execz .LBB339_1205
; %bb.1185:
	v_cmp_ne_u16_e32 vcc_lo, 0x80, v1
	s_and_b32 s15, vcc_lo, exec_lo
	s_and_not1_saveexec_b32 s14, s14
	s_cbranch_execnz .LBB339_1206
.LBB339_1186:
	s_or_b32 exec_lo, exec_lo, s14
	v_mov_b32_e32 v4, 0
	s_and_saveexec_b32 s14, s15
	s_cbranch_execz .LBB339_1188
.LBB339_1187:
	v_and_b32_e32 v4, 0xffff, v1
	s_delay_alu instid0(VALU_DEP_1) | instskip(SKIP_1) | instid1(VALU_DEP_2)
	v_and_b32_e32 v5, 3, v4
	v_bfe_u32 v9, v4, 2, 5
	v_clz_i32_u32_e32 v7, v5
	s_delay_alu instid0(VALU_DEP_2) | instskip(NEXT) | instid1(VALU_DEP_2)
	v_cmp_eq_u32_e32 vcc_lo, 0, v9
	v_min_u32_e32 v7, 32, v7
	s_delay_alu instid0(VALU_DEP_1) | instskip(NEXT) | instid1(VALU_DEP_1)
	v_subrev_nc_u32_e32 v8, 29, v7
	v_dual_lshlrev_b32 v4, v8, v4 :: v_dual_sub_nc_u32 v7, 30, v7
	s_delay_alu instid0(VALU_DEP_1) | instskip(NEXT) | instid1(VALU_DEP_2)
	v_dual_lshlrev_b32 v1, 24, v1 :: v_dual_bitop2_b32 v4, 3, v4 bitop3:0x40
	v_cndmask_b32_e32 v7, v9, v7, vcc_lo
	s_delay_alu instid0(VALU_DEP_2) | instskip(NEXT) | instid1(VALU_DEP_3)
	v_cndmask_b32_e32 v4, v5, v4, vcc_lo
	v_and_b32_e32 v1, 0x80000000, v1
	s_delay_alu instid0(VALU_DEP_3) | instskip(NEXT) | instid1(VALU_DEP_3)
	v_lshl_add_u32 v5, v7, 23, 0x37800000
	v_lshlrev_b32_e32 v4, 21, v4
	s_delay_alu instid0(VALU_DEP_1) | instskip(NEXT) | instid1(VALU_DEP_1)
	v_or3_b32 v1, v1, v5, v4
	v_cvt_u32_f32_e32 v4, v1
.LBB339_1188:
	s_or_b32 exec_lo, exec_lo, s14
	s_mov_b32 s14, 0
	s_branch .LBB339_1194
.LBB339_1189:
	s_mov_b32 s14, -1
                                        ; implicit-def: $vgpr4
	s_branch .LBB339_1200
.LBB339_1190:
	s_and_not1_saveexec_b32 s15, s15
	s_cbranch_execz .LBB339_1176
.LBB339_1191:
	v_cmp_ne_u16_e32 vcc_lo, 0, v1
	s_and_not1_b32 s16, s16, exec_lo
	s_and_b32 s17, vcc_lo, exec_lo
	s_delay_alu instid0(SALU_CYCLE_1)
	s_or_b32 s16, s16, s17
	s_or_b32 exec_lo, exec_lo, s15
	v_mov_b32_e32 v4, 0
	s_and_saveexec_b32 s15, s16
	s_cbranch_execnz .LBB339_1177
	s_branch .LBB339_1178
.LBB339_1192:
	s_mov_b32 s14, -1
                                        ; implicit-def: $vgpr4
	s_branch .LBB339_1197
.LBB339_1193:
	s_mov_b32 s14, -1
                                        ; implicit-def: $vgpr4
.LBB339_1194:
	s_delay_alu instid0(SALU_CYCLE_1)
	s_and_b32 vcc_lo, exec_lo, s14
	s_cbranch_vccz .LBB339_1196
; %bb.1195:
	global_load_u8 v1, v[2:3], off
	s_wait_loadcnt 0x0
	v_lshlrev_b32_e32 v1, 24, v1
	s_delay_alu instid0(VALU_DEP_1) | instskip(NEXT) | instid1(VALU_DEP_1)
	v_and_b32_e32 v4, 0x7f000000, v1
	v_clz_i32_u32_e32 v5, v4
	v_add_nc_u32_e32 v8, 0x1000000, v4
	v_cmp_ne_u32_e32 vcc_lo, 0, v4
	s_delay_alu instid0(VALU_DEP_3) | instskip(NEXT) | instid1(VALU_DEP_1)
	v_min_u32_e32 v5, 32, v5
	v_sub_nc_u32_e64 v5, v5, 4 clamp
	s_delay_alu instid0(VALU_DEP_1) | instskip(NEXT) | instid1(VALU_DEP_1)
	v_dual_lshlrev_b32 v7, v5, v4 :: v_dual_lshlrev_b32 v5, 23, v5
	v_lshrrev_b32_e32 v7, 4, v7
	s_delay_alu instid0(VALU_DEP_1) | instskip(NEXT) | instid1(VALU_DEP_1)
	v_dual_sub_nc_u32 v5, v7, v5 :: v_dual_ashrrev_i32 v7, 8, v8
	v_add_nc_u32_e32 v5, 0x3c000000, v5
	s_delay_alu instid0(VALU_DEP_1) | instskip(NEXT) | instid1(VALU_DEP_1)
	v_and_or_b32 v5, 0x7f800000, v7, v5
	v_cndmask_b32_e32 v4, 0, v5, vcc_lo
	s_delay_alu instid0(VALU_DEP_1) | instskip(NEXT) | instid1(VALU_DEP_1)
	v_and_or_b32 v1, 0x80000000, v1, v4
	v_cvt_u32_f32_e32 v4, v1
.LBB339_1196:
	s_mov_b32 s14, 0
.LBB339_1197:
	s_delay_alu instid0(SALU_CYCLE_1)
	s_and_not1_b32 vcc_lo, exec_lo, s14
	s_cbranch_vccnz .LBB339_1199
; %bb.1198:
	global_load_u8 v1, v[2:3], off
	s_wait_loadcnt 0x0
	v_lshlrev_b32_e32 v4, 25, v1
	v_lshlrev_b16 v1, 8, v1
	s_delay_alu instid0(VALU_DEP_1) | instskip(SKIP_1) | instid1(VALU_DEP_2)
	v_and_or_b32 v7, 0x7f00, v1, 0.5
	v_bfe_i32 v1, v1, 0, 16
	v_dual_add_f32 v7, -0.5, v7 :: v_dual_lshrrev_b32 v5, 4, v4
	v_cmp_gt_u32_e32 vcc_lo, 0x8000000, v4
	s_delay_alu instid0(VALU_DEP_2) | instskip(NEXT) | instid1(VALU_DEP_1)
	v_or_b32_e32 v5, 0x70000000, v5
	v_mul_f32_e32 v5, 0x7800000, v5
	s_delay_alu instid0(VALU_DEP_1) | instskip(NEXT) | instid1(VALU_DEP_1)
	v_cndmask_b32_e32 v4, v5, v7, vcc_lo
	v_and_or_b32 v1, 0x80000000, v1, v4
	s_delay_alu instid0(VALU_DEP_1)
	v_cvt_u32_f32_e32 v4, v1
.LBB339_1199:
	s_mov_b32 s14, 0
	s_mov_b32 s15, -1
.LBB339_1200:
	s_and_not1_b32 vcc_lo, exec_lo, s14
	s_mov_b32 s14, 0
	s_cbranch_vccnz .LBB339_1211
; %bb.1201:
	s_cmp_gt_i32 s0, 14
	s_cbranch_scc0 .LBB339_1204
; %bb.1202:
	s_cmp_eq_u32 s0, 15
	s_cbranch_scc0 .LBB339_1207
; %bb.1203:
	global_load_u16 v1, v[2:3], off
	s_mov_b32 s9, 0
	s_mov_b32 s15, -1
	s_wait_loadcnt 0x0
	v_lshlrev_b32_e32 v1, 16, v1
	s_delay_alu instid0(VALU_DEP_1)
	v_cvt_u32_f32_e32 v4, v1
	s_branch .LBB339_1209
.LBB339_1204:
	s_mov_b32 s14, -1
	s_branch .LBB339_1208
.LBB339_1205:
	s_and_not1_saveexec_b32 s14, s14
	s_cbranch_execz .LBB339_1186
.LBB339_1206:
	v_cmp_ne_u16_e32 vcc_lo, 0, v1
	s_and_not1_b32 s15, s15, exec_lo
	s_and_b32 s16, vcc_lo, exec_lo
	s_delay_alu instid0(SALU_CYCLE_1)
	s_or_b32 s15, s15, s16
	s_or_b32 exec_lo, exec_lo, s14
	v_mov_b32_e32 v4, 0
	s_and_saveexec_b32 s14, s15
	s_cbranch_execnz .LBB339_1187
	s_branch .LBB339_1188
.LBB339_1207:
	s_mov_b32 s9, -1
.LBB339_1208:
                                        ; implicit-def: $vgpr4
.LBB339_1209:
	s_and_b32 vcc_lo, exec_lo, s14
	s_mov_b32 s14, 0
	s_cbranch_vccz .LBB339_1211
; %bb.1210:
	s_cmp_lg_u32 s0, 11
	s_mov_b32 s14, -1
	s_cselect_b32 s9, -1, 0
.LBB339_1211:
	s_delay_alu instid0(SALU_CYCLE_1)
	s_and_b32 vcc_lo, exec_lo, s9
	s_cbranch_vccnz .LBB339_1274
; %bb.1212:
	s_and_not1_b32 vcc_lo, exec_lo, s14
	s_cbranch_vccnz .LBB339_1214
.LBB339_1213:
	global_load_u8 v1, v[2:3], off
	s_mov_b32 s15, -1
	s_wait_loadcnt 0x0
	v_cmp_ne_u16_e32 vcc_lo, 0, v1
	v_cndmask_b32_e64 v4, 0, 1, vcc_lo
.LBB339_1214:
	s_branch .LBB339_1144
.LBB339_1215:
	s_cmp_lt_i32 s0, 5
	s_cbranch_scc1 .LBB339_1220
; %bb.1216:
	s_cmp_lt_i32 s0, 8
	s_cbranch_scc1 .LBB339_1221
; %bb.1217:
	;; [unrolled: 3-line block ×3, first 2 shown]
	s_cmp_gt_i32 s0, 9
	s_cbranch_scc0 .LBB339_1223
; %bb.1219:
	s_wait_loadcnt 0x0
	global_load_b64 v[4:5], v[2:3], off
	s_mov_b32 s9, 0
	s_wait_loadcnt 0x0
	v_cvt_u32_f64_e32 v4, v[4:5]
	s_branch .LBB339_1224
.LBB339_1220:
                                        ; implicit-def: $vgpr4
	s_branch .LBB339_1242
.LBB339_1221:
	s_mov_b32 s9, -1
                                        ; implicit-def: $vgpr4
	s_branch .LBB339_1230
.LBB339_1222:
	s_mov_b32 s9, -1
                                        ; implicit-def: $vgpr4
	s_branch .LBB339_1227
.LBB339_1223:
	s_mov_b32 s9, -1
                                        ; implicit-def: $vgpr4
.LBB339_1224:
	s_delay_alu instid0(SALU_CYCLE_1)
	s_and_not1_b32 vcc_lo, exec_lo, s9
	s_cbranch_vccnz .LBB339_1226
; %bb.1225:
	global_load_b32 v1, v[2:3], off
	s_wait_loadcnt 0x0
	v_cvt_u32_f32_e32 v4, v1
.LBB339_1226:
	s_mov_b32 s9, 0
.LBB339_1227:
	s_delay_alu instid0(SALU_CYCLE_1)
	s_and_not1_b32 vcc_lo, exec_lo, s9
	s_cbranch_vccnz .LBB339_1229
; %bb.1228:
	global_load_b32 v1, v[2:3], off
	s_wait_loadcnt 0x0
	v_cvt_u16_f16_e32 v4, v1
.LBB339_1229:
	s_mov_b32 s9, 0
.LBB339_1230:
	s_delay_alu instid0(SALU_CYCLE_1)
	s_and_not1_b32 vcc_lo, exec_lo, s9
	s_cbranch_vccnz .LBB339_1241
; %bb.1231:
	s_cmp_lt_i32 s0, 6
	s_cbranch_scc1 .LBB339_1234
; %bb.1232:
	s_cmp_gt_i32 s0, 6
	s_cbranch_scc0 .LBB339_1235
; %bb.1233:
	s_wait_loadcnt 0x0
	global_load_b64 v[4:5], v[2:3], off
	s_mov_b32 s9, 0
	s_wait_loadcnt 0x0
	v_cvt_u32_f64_e32 v4, v[4:5]
	s_branch .LBB339_1236
.LBB339_1234:
	s_mov_b32 s9, -1
                                        ; implicit-def: $vgpr4
	s_branch .LBB339_1239
.LBB339_1235:
	s_mov_b32 s9, -1
                                        ; implicit-def: $vgpr4
.LBB339_1236:
	s_delay_alu instid0(SALU_CYCLE_1)
	s_and_not1_b32 vcc_lo, exec_lo, s9
	s_cbranch_vccnz .LBB339_1238
; %bb.1237:
	global_load_b32 v1, v[2:3], off
	s_wait_loadcnt 0x0
	v_cvt_u32_f32_e32 v4, v1
.LBB339_1238:
	s_mov_b32 s9, 0
.LBB339_1239:
	s_delay_alu instid0(SALU_CYCLE_1)
	s_and_not1_b32 vcc_lo, exec_lo, s9
	s_cbranch_vccnz .LBB339_1241
; %bb.1240:
	global_load_u16 v1, v[2:3], off
	s_wait_loadcnt 0x0
	v_cvt_u16_f16_e32 v4, v1
.LBB339_1241:
	s_cbranch_execnz .LBB339_1261
.LBB339_1242:
	s_cmp_lt_i32 s0, 2
	s_cbranch_scc1 .LBB339_1246
; %bb.1243:
	s_cmp_lt_i32 s0, 3
	s_cbranch_scc1 .LBB339_1247
; %bb.1244:
	s_cmp_gt_i32 s0, 3
	s_cbranch_scc0 .LBB339_1248
; %bb.1245:
	s_wait_loadcnt 0x0
	global_load_b64 v[4:5], v[2:3], off
	s_mov_b32 s9, 0
	s_branch .LBB339_1249
.LBB339_1246:
	s_mov_b32 s9, -1
                                        ; implicit-def: $vgpr4
	s_branch .LBB339_1255
.LBB339_1247:
	s_mov_b32 s9, -1
                                        ; implicit-def: $vgpr4
	s_branch .LBB339_1252
.LBB339_1248:
	s_mov_b32 s9, -1
                                        ; implicit-def: $vgpr4
.LBB339_1249:
	s_delay_alu instid0(SALU_CYCLE_1)
	s_and_not1_b32 vcc_lo, exec_lo, s9
	s_cbranch_vccnz .LBB339_1251
; %bb.1250:
	s_wait_loadcnt 0x0
	global_load_b32 v4, v[2:3], off
.LBB339_1251:
	s_mov_b32 s9, 0
.LBB339_1252:
	s_delay_alu instid0(SALU_CYCLE_1)
	s_and_not1_b32 vcc_lo, exec_lo, s9
	s_cbranch_vccnz .LBB339_1254
; %bb.1253:
	s_wait_loadcnt 0x0
	global_load_u16 v4, v[2:3], off
.LBB339_1254:
	s_mov_b32 s9, 0
.LBB339_1255:
	s_delay_alu instid0(SALU_CYCLE_1)
	s_and_not1_b32 vcc_lo, exec_lo, s9
	s_cbranch_vccnz .LBB339_1261
; %bb.1256:
	s_cmp_gt_i32 s0, 0
	s_mov_b32 s9, 0
	s_cbranch_scc0 .LBB339_1258
; %bb.1257:
	s_wait_loadcnt 0x0
	global_load_i8 v4, v[2:3], off
	s_branch .LBB339_1259
.LBB339_1258:
	s_mov_b32 s9, -1
                                        ; implicit-def: $vgpr4
.LBB339_1259:
	s_delay_alu instid0(SALU_CYCLE_1)
	s_and_not1_b32 vcc_lo, exec_lo, s9
	s_cbranch_vccnz .LBB339_1261
; %bb.1260:
	s_wait_loadcnt 0x0
	global_load_u8 v4, v[2:3], off
.LBB339_1261:
.LBB339_1262:
	v_add_nc_u32_e32 v0, s3, v0
	s_cmp_lt_i32 s0, 11
	s_delay_alu instid0(VALU_DEP_1) | instskip(NEXT) | instid1(VALU_DEP_1)
	v_ashrrev_i32_e32 v1, 31, v0
	v_add_nc_u64_e32 v[8:9], s[6:7], v[0:1]
	s_cbranch_scc1 .LBB339_1269
; %bb.1263:
	s_cmp_gt_i32 s0, 25
	s_mov_b32 s14, 0
	s_cbranch_scc0 .LBB339_1271
; %bb.1264:
	s_cmp_gt_i32 s0, 28
	s_cbranch_scc0 .LBB339_1272
; %bb.1265:
	s_cmp_gt_i32 s0, 43
	;; [unrolled: 3-line block ×3, first 2 shown]
	s_cbranch_scc0 .LBB339_1275
; %bb.1267:
	s_cmp_eq_u32 s0, 46
	s_mov_b32 s16, 0
	s_cbranch_scc0 .LBB339_1276
; %bb.1268:
	global_load_b32 v1, v[8:9], off
	s_mov_b32 s9, 0
	s_mov_b32 s15, -1
	s_wait_loadcnt 0x0
	v_lshlrev_b32_e32 v1, 16, v1
	s_wait_xcnt 0x1
	s_delay_alu instid0(VALU_DEP_1)
	v_cvt_u32_f32_e32 v2, v1
	s_branch .LBB339_1278
.LBB339_1269:
	s_mov_b32 s15, 0
                                        ; implicit-def: $vgpr2
	s_cbranch_execnz .LBB339_1340
.LBB339_1270:
	s_and_not1_b32 vcc_lo, exec_lo, s15
	s_cbranch_vccnz .LBB339_1947
	s_branch .LBB339_1388
.LBB339_1271:
	s_mov_b32 s16, -1
	s_mov_b32 s15, 0
	s_mov_b32 s9, 0
                                        ; implicit-def: $vgpr2
	s_branch .LBB339_1305
.LBB339_1272:
	s_mov_b32 s16, -1
	s_mov_b32 s15, 0
	s_mov_b32 s9, 0
                                        ; implicit-def: $vgpr2
	s_branch .LBB339_1288
.LBB339_1273:
	s_mov_b32 s16, -1
	s_mov_b32 s15, 0
	s_mov_b32 s9, 0
                                        ; implicit-def: $vgpr2
	s_branch .LBB339_1283
.LBB339_1274:
	s_or_b32 s1, s1, exec_lo
	s_trap 2
	s_cbranch_execz .LBB339_1213
	s_branch .LBB339_1214
.LBB339_1275:
	s_mov_b32 s16, -1
	s_mov_b32 s15, 0
	s_mov_b32 s9, 0
	s_branch .LBB339_1277
.LBB339_1276:
	s_mov_b32 s9, -1
	s_mov_b32 s15, 0
.LBB339_1277:
                                        ; implicit-def: $vgpr2
.LBB339_1278:
	s_and_b32 vcc_lo, exec_lo, s16
	s_cbranch_vccz .LBB339_1282
; %bb.1279:
	s_cmp_eq_u32 s0, 44
	s_cbranch_scc0 .LBB339_1281
; %bb.1280:
	global_load_u8 v1, v[8:9], off
	s_mov_b32 s9, 0
	s_mov_b32 s15, -1
	s_wait_loadcnt 0x0
	s_wait_xcnt 0x1
	v_lshlrev_b32_e32 v2, 23, v1
	v_cmp_ne_u32_e32 vcc_lo, 0, v1
	s_delay_alu instid0(VALU_DEP_2) | instskip(NEXT) | instid1(VALU_DEP_1)
	v_cvt_u32_f32_e32 v2, v2
	v_cndmask_b32_e32 v2, 0, v2, vcc_lo
	s_branch .LBB339_1282
.LBB339_1281:
	s_mov_b32 s9, -1
                                        ; implicit-def: $vgpr2
.LBB339_1282:
	s_mov_b32 s16, 0
.LBB339_1283:
	s_delay_alu instid0(SALU_CYCLE_1)
	s_and_b32 vcc_lo, exec_lo, s16
	s_cbranch_vccz .LBB339_1287
; %bb.1284:
	s_cmp_eq_u32 s0, 29
	s_cbranch_scc0 .LBB339_1286
; %bb.1285:
	global_load_b64 v[2:3], v[8:9], off
	s_mov_b32 s9, 0
	s_mov_b32 s15, -1
	s_branch .LBB339_1287
.LBB339_1286:
	s_mov_b32 s9, -1
                                        ; implicit-def: $vgpr2
.LBB339_1287:
	s_mov_b32 s16, 0
.LBB339_1288:
	s_delay_alu instid0(SALU_CYCLE_1)
	s_and_b32 vcc_lo, exec_lo, s16
	s_cbranch_vccz .LBB339_1304
; %bb.1289:
	s_cmp_lt_i32 s0, 27
	s_cbranch_scc1 .LBB339_1292
; %bb.1290:
	s_cmp_gt_i32 s0, 27
	s_cbranch_scc0 .LBB339_1293
; %bb.1291:
	s_wait_loadcnt 0x0
	global_load_b32 v2, v[8:9], off
	s_mov_b32 s15, 0
	s_branch .LBB339_1294
.LBB339_1292:
	s_mov_b32 s15, -1
                                        ; implicit-def: $vgpr2
	s_branch .LBB339_1297
.LBB339_1293:
	s_mov_b32 s15, -1
                                        ; implicit-def: $vgpr2
.LBB339_1294:
	s_delay_alu instid0(SALU_CYCLE_1)
	s_and_not1_b32 vcc_lo, exec_lo, s15
	s_cbranch_vccnz .LBB339_1296
; %bb.1295:
	s_wait_loadcnt 0x0
	global_load_u16 v2, v[8:9], off
.LBB339_1296:
	s_mov_b32 s15, 0
.LBB339_1297:
	s_delay_alu instid0(SALU_CYCLE_1)
	s_and_not1_b32 vcc_lo, exec_lo, s15
	s_cbranch_vccnz .LBB339_1303
; %bb.1298:
	global_load_u8 v1, v[8:9], off
	s_mov_b32 s16, 0
	s_mov_b32 s15, exec_lo
	s_wait_loadcnt 0x0
	v_cmpx_lt_i16_e32 0x7f, v1
	s_xor_b32 s15, exec_lo, s15
	s_cbranch_execz .LBB339_1315
; %bb.1299:
	v_cmp_ne_u16_e32 vcc_lo, 0x80, v1
	s_and_b32 s16, vcc_lo, exec_lo
	s_and_not1_saveexec_b32 s15, s15
	s_cbranch_execnz .LBB339_1316
.LBB339_1300:
	s_or_b32 exec_lo, exec_lo, s15
	v_mov_b32_e32 v2, 0
	s_and_saveexec_b32 s15, s16
	s_cbranch_execz .LBB339_1302
.LBB339_1301:
	v_and_b32_e32 v2, 0xffff, v1
	s_delay_alu instid0(VALU_DEP_1) | instskip(SKIP_1) | instid1(VALU_DEP_2)
	v_and_b32_e32 v3, 7, v2
	v_bfe_u32 v11, v2, 3, 4
	v_clz_i32_u32_e32 v5, v3
	s_delay_alu instid0(VALU_DEP_2) | instskip(NEXT) | instid1(VALU_DEP_2)
	v_cmp_eq_u32_e32 vcc_lo, 0, v11
	v_min_u32_e32 v5, 32, v5
	s_delay_alu instid0(VALU_DEP_1) | instskip(NEXT) | instid1(VALU_DEP_1)
	v_subrev_nc_u32_e32 v7, 28, v5
	v_dual_lshlrev_b32 v2, v7, v2 :: v_dual_sub_nc_u32 v5, 29, v5
	s_delay_alu instid0(VALU_DEP_1) | instskip(NEXT) | instid1(VALU_DEP_1)
	v_dual_lshlrev_b32 v1, 24, v1 :: v_dual_bitop2_b32 v2, 7, v2 bitop3:0x40
	v_cndmask_b32_e32 v2, v3, v2, vcc_lo
	s_delay_alu instid0(VALU_DEP_3) | instskip(NEXT) | instid1(VALU_DEP_3)
	v_cndmask_b32_e32 v5, v11, v5, vcc_lo
	v_and_b32_e32 v1, 0x80000000, v1
	s_delay_alu instid0(VALU_DEP_3) | instskip(NEXT) | instid1(VALU_DEP_3)
	v_lshlrev_b32_e32 v2, 20, v2
	v_lshl_add_u32 v3, v5, 23, 0x3b800000
	s_delay_alu instid0(VALU_DEP_1) | instskip(NEXT) | instid1(VALU_DEP_1)
	v_or3_b32 v1, v1, v3, v2
	v_cvt_u32_f32_e32 v2, v1
.LBB339_1302:
	s_or_b32 exec_lo, exec_lo, s15
.LBB339_1303:
	s_mov_b32 s15, -1
.LBB339_1304:
	s_mov_b32 s16, 0
.LBB339_1305:
	s_delay_alu instid0(SALU_CYCLE_1)
	s_and_b32 vcc_lo, exec_lo, s16
	s_cbranch_vccz .LBB339_1336
; %bb.1306:
	s_cmp_gt_i32 s0, 22
	s_cbranch_scc0 .LBB339_1314
; %bb.1307:
	s_cmp_lt_i32 s0, 24
	s_cbranch_scc1 .LBB339_1317
; %bb.1308:
	s_cmp_gt_i32 s0, 24
	s_cbranch_scc0 .LBB339_1318
; %bb.1309:
	global_load_u8 v1, v[8:9], off
	s_mov_b32 s15, 0
	s_mov_b32 s14, exec_lo
	s_wait_loadcnt 0x0
	v_cmpx_lt_i16_e32 0x7f, v1
	s_xor_b32 s14, exec_lo, s14
	s_cbranch_execz .LBB339_1330
; %bb.1310:
	v_cmp_ne_u16_e32 vcc_lo, 0x80, v1
	s_and_b32 s15, vcc_lo, exec_lo
	s_and_not1_saveexec_b32 s14, s14
	s_cbranch_execnz .LBB339_1331
.LBB339_1311:
	s_or_b32 exec_lo, exec_lo, s14
	v_mov_b32_e32 v2, 0
	s_and_saveexec_b32 s14, s15
	s_cbranch_execz .LBB339_1313
.LBB339_1312:
	v_and_b32_e32 v2, 0xffff, v1
	s_delay_alu instid0(VALU_DEP_1) | instskip(SKIP_1) | instid1(VALU_DEP_2)
	v_and_b32_e32 v3, 3, v2
	v_bfe_u32 v11, v2, 2, 5
	v_clz_i32_u32_e32 v5, v3
	s_delay_alu instid0(VALU_DEP_2) | instskip(NEXT) | instid1(VALU_DEP_2)
	v_cmp_eq_u32_e32 vcc_lo, 0, v11
	v_min_u32_e32 v5, 32, v5
	s_delay_alu instid0(VALU_DEP_1) | instskip(NEXT) | instid1(VALU_DEP_1)
	v_subrev_nc_u32_e32 v7, 29, v5
	v_dual_lshlrev_b32 v2, v7, v2 :: v_dual_sub_nc_u32 v5, 30, v5
	s_delay_alu instid0(VALU_DEP_1) | instskip(NEXT) | instid1(VALU_DEP_1)
	v_dual_lshlrev_b32 v1, 24, v1 :: v_dual_bitop2_b32 v2, 3, v2 bitop3:0x40
	v_cndmask_b32_e32 v2, v3, v2, vcc_lo
	s_delay_alu instid0(VALU_DEP_3) | instskip(NEXT) | instid1(VALU_DEP_3)
	v_cndmask_b32_e32 v5, v11, v5, vcc_lo
	v_and_b32_e32 v1, 0x80000000, v1
	s_delay_alu instid0(VALU_DEP_3) | instskip(NEXT) | instid1(VALU_DEP_3)
	v_lshlrev_b32_e32 v2, 21, v2
	v_lshl_add_u32 v3, v5, 23, 0x37800000
	s_delay_alu instid0(VALU_DEP_1) | instskip(NEXT) | instid1(VALU_DEP_1)
	v_or3_b32 v1, v1, v3, v2
	v_cvt_u32_f32_e32 v2, v1
.LBB339_1313:
	s_or_b32 exec_lo, exec_lo, s14
	s_mov_b32 s14, 0
	s_branch .LBB339_1319
.LBB339_1314:
	s_mov_b32 s14, -1
                                        ; implicit-def: $vgpr2
	s_branch .LBB339_1325
.LBB339_1315:
	s_and_not1_saveexec_b32 s15, s15
	s_cbranch_execz .LBB339_1300
.LBB339_1316:
	v_cmp_ne_u16_e32 vcc_lo, 0, v1
	s_and_not1_b32 s16, s16, exec_lo
	s_and_b32 s17, vcc_lo, exec_lo
	s_delay_alu instid0(SALU_CYCLE_1)
	s_or_b32 s16, s16, s17
	s_or_b32 exec_lo, exec_lo, s15
	v_mov_b32_e32 v2, 0
	s_and_saveexec_b32 s15, s16
	s_cbranch_execnz .LBB339_1301
	s_branch .LBB339_1302
.LBB339_1317:
	s_mov_b32 s14, -1
                                        ; implicit-def: $vgpr2
	s_branch .LBB339_1322
.LBB339_1318:
	s_mov_b32 s14, -1
                                        ; implicit-def: $vgpr2
.LBB339_1319:
	s_delay_alu instid0(SALU_CYCLE_1)
	s_and_b32 vcc_lo, exec_lo, s14
	s_cbranch_vccz .LBB339_1321
; %bb.1320:
	global_load_u8 v1, v[8:9], off
	s_wait_loadcnt 0x0
	v_lshlrev_b32_e32 v1, 24, v1
	s_wait_xcnt 0x1
	s_delay_alu instid0(VALU_DEP_1) | instskip(NEXT) | instid1(VALU_DEP_1)
	v_and_b32_e32 v2, 0x7f000000, v1
	v_clz_i32_u32_e32 v3, v2
	v_cmp_ne_u32_e32 vcc_lo, 0, v2
	v_add_nc_u32_e32 v7, 0x1000000, v2
	s_delay_alu instid0(VALU_DEP_3) | instskip(NEXT) | instid1(VALU_DEP_1)
	v_min_u32_e32 v3, 32, v3
	v_sub_nc_u32_e64 v3, v3, 4 clamp
	s_delay_alu instid0(VALU_DEP_1) | instskip(NEXT) | instid1(VALU_DEP_1)
	v_dual_lshlrev_b32 v5, v3, v2 :: v_dual_lshlrev_b32 v3, 23, v3
	v_lshrrev_b32_e32 v5, 4, v5
	s_delay_alu instid0(VALU_DEP_1) | instskip(SKIP_1) | instid1(VALU_DEP_2)
	v_sub_nc_u32_e32 v3, v5, v3
	v_ashrrev_i32_e32 v5, 8, v7
	v_add_nc_u32_e32 v3, 0x3c000000, v3
	s_delay_alu instid0(VALU_DEP_1) | instskip(NEXT) | instid1(VALU_DEP_1)
	v_and_or_b32 v3, 0x7f800000, v5, v3
	v_cndmask_b32_e32 v2, 0, v3, vcc_lo
	s_delay_alu instid0(VALU_DEP_1) | instskip(NEXT) | instid1(VALU_DEP_1)
	v_and_or_b32 v1, 0x80000000, v1, v2
	v_cvt_u32_f32_e32 v2, v1
.LBB339_1321:
	s_mov_b32 s14, 0
.LBB339_1322:
	s_delay_alu instid0(SALU_CYCLE_1)
	s_and_not1_b32 vcc_lo, exec_lo, s14
	s_cbranch_vccnz .LBB339_1324
; %bb.1323:
	global_load_u8 v1, v[8:9], off
	s_wait_loadcnt 0x0
	s_wait_xcnt 0x1
	v_lshlrev_b32_e32 v2, 25, v1
	v_lshlrev_b16 v1, 8, v1
	s_delay_alu instid0(VALU_DEP_1) | instskip(NEXT) | instid1(VALU_DEP_3)
	v_and_or_b32 v5, 0x7f00, v1, 0.5
	v_lshrrev_b32_e32 v3, 4, v2
	v_bfe_i32 v1, v1, 0, 16
	s_delay_alu instid0(VALU_DEP_3) | instskip(NEXT) | instid1(VALU_DEP_3)
	v_add_f32_e32 v5, -0.5, v5
	v_or_b32_e32 v3, 0x70000000, v3
	s_delay_alu instid0(VALU_DEP_1) | instskip(SKIP_1) | instid1(VALU_DEP_2)
	v_mul_f32_e32 v3, 0x7800000, v3
	v_cmp_gt_u32_e32 vcc_lo, 0x8000000, v2
	v_cndmask_b32_e32 v2, v3, v5, vcc_lo
	s_delay_alu instid0(VALU_DEP_1) | instskip(NEXT) | instid1(VALU_DEP_1)
	v_and_or_b32 v1, 0x80000000, v1, v2
	v_cvt_u32_f32_e32 v2, v1
.LBB339_1324:
	s_mov_b32 s14, 0
	s_mov_b32 s15, -1
.LBB339_1325:
	s_and_not1_b32 vcc_lo, exec_lo, s14
	s_mov_b32 s14, 0
	s_cbranch_vccnz .LBB339_1336
; %bb.1326:
	s_cmp_gt_i32 s0, 14
	s_cbranch_scc0 .LBB339_1329
; %bb.1327:
	s_cmp_eq_u32 s0, 15
	s_cbranch_scc0 .LBB339_1332
; %bb.1328:
	global_load_u16 v1, v[8:9], off
	s_mov_b32 s9, 0
	s_mov_b32 s15, -1
	s_wait_loadcnt 0x0
	v_lshlrev_b32_e32 v1, 16, v1
	s_wait_xcnt 0x1
	s_delay_alu instid0(VALU_DEP_1)
	v_cvt_u32_f32_e32 v2, v1
	s_branch .LBB339_1334
.LBB339_1329:
	s_mov_b32 s14, -1
	s_branch .LBB339_1333
.LBB339_1330:
	s_and_not1_saveexec_b32 s14, s14
	s_cbranch_execz .LBB339_1311
.LBB339_1331:
	v_cmp_ne_u16_e32 vcc_lo, 0, v1
	s_and_not1_b32 s15, s15, exec_lo
	s_and_b32 s16, vcc_lo, exec_lo
	s_delay_alu instid0(SALU_CYCLE_1)
	s_or_b32 s15, s15, s16
	s_or_b32 exec_lo, exec_lo, s14
	v_mov_b32_e32 v2, 0
	s_and_saveexec_b32 s14, s15
	s_cbranch_execnz .LBB339_1312
	s_branch .LBB339_1313
.LBB339_1332:
	s_mov_b32 s9, -1
.LBB339_1333:
                                        ; implicit-def: $vgpr2
.LBB339_1334:
	s_and_b32 vcc_lo, exec_lo, s14
	s_mov_b32 s14, 0
	s_cbranch_vccz .LBB339_1336
; %bb.1335:
	s_cmp_lg_u32 s0, 11
	s_mov_b32 s14, -1
	s_cselect_b32 s9, -1, 0
.LBB339_1336:
	s_delay_alu instid0(SALU_CYCLE_1)
	s_and_b32 vcc_lo, exec_lo, s9
	s_cbranch_vccnz .LBB339_1399
; %bb.1337:
	s_and_not1_b32 vcc_lo, exec_lo, s14
	s_cbranch_vccnz .LBB339_1339
.LBB339_1338:
	global_load_u8 v1, v[8:9], off
	s_mov_b32 s15, -1
	s_wait_loadcnt 0x0
	v_cmp_ne_u16_e32 vcc_lo, 0, v1
	s_wait_xcnt 0x1
	v_cndmask_b32_e64 v2, 0, 1, vcc_lo
.LBB339_1339:
	s_branch .LBB339_1270
.LBB339_1340:
	s_cmp_lt_i32 s0, 5
	s_cbranch_scc1 .LBB339_1345
; %bb.1341:
	s_cmp_lt_i32 s0, 8
	s_cbranch_scc1 .LBB339_1346
; %bb.1342:
	;; [unrolled: 3-line block ×3, first 2 shown]
	s_cmp_gt_i32 s0, 9
	s_cbranch_scc0 .LBB339_1348
; %bb.1344:
	s_wait_loadcnt 0x0
	global_load_b64 v[2:3], v[8:9], off
	s_mov_b32 s9, 0
	s_wait_loadcnt 0x0
	v_cvt_u32_f64_e32 v2, v[2:3]
	s_branch .LBB339_1349
.LBB339_1345:
	s_mov_b32 s9, -1
                                        ; implicit-def: $vgpr2
	s_branch .LBB339_1367
.LBB339_1346:
	s_mov_b32 s9, -1
                                        ; implicit-def: $vgpr2
	s_branch .LBB339_1355
.LBB339_1347:
	s_mov_b32 s9, -1
                                        ; implicit-def: $vgpr2
	s_branch .LBB339_1352
.LBB339_1348:
	s_mov_b32 s9, -1
                                        ; implicit-def: $vgpr2
.LBB339_1349:
	s_delay_alu instid0(SALU_CYCLE_1)
	s_and_not1_b32 vcc_lo, exec_lo, s9
	s_cbranch_vccnz .LBB339_1351
; %bb.1350:
	global_load_b32 v1, v[8:9], off
	s_wait_loadcnt 0x0
	s_wait_xcnt 0x1
	v_cvt_u32_f32_e32 v2, v1
.LBB339_1351:
	s_mov_b32 s9, 0
.LBB339_1352:
	s_delay_alu instid0(SALU_CYCLE_1)
	s_and_not1_b32 vcc_lo, exec_lo, s9
	s_cbranch_vccnz .LBB339_1354
; %bb.1353:
	global_load_b32 v1, v[8:9], off
	s_wait_loadcnt 0x0
	s_wait_xcnt 0x1
	v_cvt_u16_f16_e32 v2, v1
.LBB339_1354:
	s_mov_b32 s9, 0
.LBB339_1355:
	s_delay_alu instid0(SALU_CYCLE_1)
	s_and_not1_b32 vcc_lo, exec_lo, s9
	s_cbranch_vccnz .LBB339_1366
; %bb.1356:
	s_cmp_lt_i32 s0, 6
	s_cbranch_scc1 .LBB339_1359
; %bb.1357:
	s_cmp_gt_i32 s0, 6
	s_cbranch_scc0 .LBB339_1360
; %bb.1358:
	s_wait_loadcnt 0x0
	global_load_b64 v[2:3], v[8:9], off
	s_mov_b32 s9, 0
	s_wait_loadcnt 0x0
	v_cvt_u32_f64_e32 v2, v[2:3]
	s_branch .LBB339_1361
.LBB339_1359:
	s_mov_b32 s9, -1
                                        ; implicit-def: $vgpr2
	s_branch .LBB339_1364
.LBB339_1360:
	s_mov_b32 s9, -1
                                        ; implicit-def: $vgpr2
.LBB339_1361:
	s_delay_alu instid0(SALU_CYCLE_1)
	s_and_not1_b32 vcc_lo, exec_lo, s9
	s_cbranch_vccnz .LBB339_1363
; %bb.1362:
	global_load_b32 v1, v[8:9], off
	s_wait_loadcnt 0x0
	s_wait_xcnt 0x1
	v_cvt_u32_f32_e32 v2, v1
.LBB339_1363:
	s_mov_b32 s9, 0
.LBB339_1364:
	s_delay_alu instid0(SALU_CYCLE_1)
	s_and_not1_b32 vcc_lo, exec_lo, s9
	s_cbranch_vccnz .LBB339_1366
; %bb.1365:
	global_load_u16 v1, v[8:9], off
	s_wait_loadcnt 0x0
	s_wait_xcnt 0x1
	v_cvt_u16_f16_e32 v2, v1
.LBB339_1366:
	s_mov_b32 s9, 0
.LBB339_1367:
	s_delay_alu instid0(SALU_CYCLE_1)
	s_and_not1_b32 vcc_lo, exec_lo, s9
	s_cbranch_vccnz .LBB339_1387
; %bb.1368:
	s_cmp_lt_i32 s0, 2
	s_cbranch_scc1 .LBB339_1372
; %bb.1369:
	s_cmp_lt_i32 s0, 3
	s_cbranch_scc1 .LBB339_1373
; %bb.1370:
	s_cmp_gt_i32 s0, 3
	s_cbranch_scc0 .LBB339_1374
; %bb.1371:
	s_wait_loadcnt 0x0
	global_load_b64 v[2:3], v[8:9], off
	s_mov_b32 s9, 0
	s_branch .LBB339_1375
.LBB339_1372:
	s_mov_b32 s9, -1
                                        ; implicit-def: $vgpr2
	s_branch .LBB339_1381
.LBB339_1373:
	s_mov_b32 s9, -1
                                        ; implicit-def: $vgpr2
	s_branch .LBB339_1378
.LBB339_1374:
	s_mov_b32 s9, -1
                                        ; implicit-def: $vgpr2
.LBB339_1375:
	s_delay_alu instid0(SALU_CYCLE_1)
	s_and_not1_b32 vcc_lo, exec_lo, s9
	s_cbranch_vccnz .LBB339_1377
; %bb.1376:
	s_wait_loadcnt 0x0
	global_load_b32 v2, v[8:9], off
.LBB339_1377:
	s_mov_b32 s9, 0
.LBB339_1378:
	s_delay_alu instid0(SALU_CYCLE_1)
	s_and_not1_b32 vcc_lo, exec_lo, s9
	s_cbranch_vccnz .LBB339_1380
; %bb.1379:
	s_wait_loadcnt 0x0
	global_load_u16 v2, v[8:9], off
.LBB339_1380:
	s_mov_b32 s9, 0
.LBB339_1381:
	s_delay_alu instid0(SALU_CYCLE_1)
	s_and_not1_b32 vcc_lo, exec_lo, s9
	s_cbranch_vccnz .LBB339_1387
; %bb.1382:
	s_cmp_gt_i32 s0, 0
	s_mov_b32 s9, 0
	s_cbranch_scc0 .LBB339_1384
; %bb.1383:
	s_wait_loadcnt 0x0
	global_load_i8 v2, v[8:9], off
	s_branch .LBB339_1385
.LBB339_1384:
	s_mov_b32 s9, -1
                                        ; implicit-def: $vgpr2
.LBB339_1385:
	s_delay_alu instid0(SALU_CYCLE_1)
	s_and_not1_b32 vcc_lo, exec_lo, s9
	s_cbranch_vccnz .LBB339_1387
; %bb.1386:
	s_wait_loadcnt 0x0
	global_load_u8 v2, v[8:9], off
.LBB339_1387:
.LBB339_1388:
	v_add_nc_u32_e32 v0, s3, v0
	s_cmp_lt_i32 s0, 11
	s_delay_alu instid0(VALU_DEP_1) | instskip(SKIP_1) | instid1(VALU_DEP_1)
	v_ashrrev_i32_e32 v1, 31, v0
	s_wait_xcnt 0x0
	v_add_nc_u64_e32 v[8:9], s[6:7], v[0:1]
	s_cbranch_scc1 .LBB339_1395
; %bb.1389:
	s_cmp_gt_i32 s0, 25
	s_mov_b32 s6, 0
	s_cbranch_scc0 .LBB339_1396
; %bb.1390:
	s_cmp_gt_i32 s0, 28
	s_cbranch_scc0 .LBB339_1397
; %bb.1391:
	s_cmp_gt_i32 s0, 43
	;; [unrolled: 3-line block ×3, first 2 shown]
	s_cbranch_scc0 .LBB339_1400
; %bb.1393:
	s_cmp_eq_u32 s0, 46
	s_mov_b32 s9, 0
	s_cbranch_scc0 .LBB339_1401
; %bb.1394:
	global_load_b32 v0, v[8:9], off
	s_mov_b32 s3, 0
	s_mov_b32 s7, -1
	s_wait_loadcnt 0x0
	v_lshlrev_b32_e32 v0, 16, v0
	s_delay_alu instid0(VALU_DEP_1)
	v_cvt_u32_f32_e32 v0, v0
	s_branch .LBB339_1403
.LBB339_1395:
	s_mov_b32 s3, -1
	s_mov_b32 s7, 0
                                        ; implicit-def: $vgpr0
	s_branch .LBB339_1465
.LBB339_1396:
	s_mov_b32 s9, -1
	s_mov_b32 s7, 0
	s_mov_b32 s3, 0
                                        ; implicit-def: $vgpr0
	s_branch .LBB339_1430
.LBB339_1397:
	s_mov_b32 s9, -1
	s_mov_b32 s7, 0
	s_mov_b32 s3, 0
                                        ; implicit-def: $vgpr0
	s_branch .LBB339_1413
.LBB339_1398:
	s_mov_b32 s9, -1
	s_mov_b32 s7, 0
	s_mov_b32 s3, 0
                                        ; implicit-def: $vgpr0
	s_branch .LBB339_1408
.LBB339_1399:
	s_or_b32 s1, s1, exec_lo
	s_trap 2
	s_cbranch_execz .LBB339_1338
	s_branch .LBB339_1339
.LBB339_1400:
	s_mov_b32 s9, -1
	s_mov_b32 s7, 0
	s_mov_b32 s3, 0
	s_branch .LBB339_1402
.LBB339_1401:
	s_mov_b32 s3, -1
	s_mov_b32 s7, 0
.LBB339_1402:
                                        ; implicit-def: $vgpr0
.LBB339_1403:
	s_and_b32 vcc_lo, exec_lo, s9
	s_cbranch_vccz .LBB339_1407
; %bb.1404:
	s_cmp_eq_u32 s0, 44
	s_cbranch_scc0 .LBB339_1406
; %bb.1405:
	global_load_u8 v0, v[8:9], off
	s_mov_b32 s3, 0
	s_mov_b32 s7, -1
	s_wait_loadcnt 0x0
	v_lshlrev_b32_e32 v1, 23, v0
	v_cmp_ne_u32_e32 vcc_lo, 0, v0
	s_delay_alu instid0(VALU_DEP_2) | instskip(NEXT) | instid1(VALU_DEP_1)
	v_cvt_u32_f32_e32 v1, v1
	v_cndmask_b32_e32 v0, 0, v1, vcc_lo
	s_branch .LBB339_1407
.LBB339_1406:
	s_mov_b32 s3, -1
                                        ; implicit-def: $vgpr0
.LBB339_1407:
	s_mov_b32 s9, 0
.LBB339_1408:
	s_delay_alu instid0(SALU_CYCLE_1)
	s_and_b32 vcc_lo, exec_lo, s9
	s_cbranch_vccz .LBB339_1412
; %bb.1409:
	s_cmp_eq_u32 s0, 29
	s_cbranch_scc0 .LBB339_1411
; %bb.1410:
	global_load_b64 v[0:1], v[8:9], off
	s_mov_b32 s3, 0
	s_mov_b32 s7, -1
	s_branch .LBB339_1412
.LBB339_1411:
	s_mov_b32 s3, -1
                                        ; implicit-def: $vgpr0
.LBB339_1412:
	s_mov_b32 s9, 0
.LBB339_1413:
	s_delay_alu instid0(SALU_CYCLE_1)
	s_and_b32 vcc_lo, exec_lo, s9
	s_cbranch_vccz .LBB339_1429
; %bb.1414:
	s_cmp_lt_i32 s0, 27
	s_cbranch_scc1 .LBB339_1417
; %bb.1415:
	s_cmp_gt_i32 s0, 27
	s_cbranch_scc0 .LBB339_1418
; %bb.1416:
	s_wait_loadcnt 0x0
	global_load_b32 v0, v[8:9], off
	s_mov_b32 s7, 0
	s_branch .LBB339_1419
.LBB339_1417:
	s_mov_b32 s7, -1
                                        ; implicit-def: $vgpr0
	s_branch .LBB339_1422
.LBB339_1418:
	s_mov_b32 s7, -1
                                        ; implicit-def: $vgpr0
.LBB339_1419:
	s_delay_alu instid0(SALU_CYCLE_1)
	s_and_not1_b32 vcc_lo, exec_lo, s7
	s_cbranch_vccnz .LBB339_1421
; %bb.1420:
	s_wait_loadcnt 0x0
	global_load_u16 v0, v[8:9], off
.LBB339_1421:
	s_mov_b32 s7, 0
.LBB339_1422:
	s_delay_alu instid0(SALU_CYCLE_1)
	s_and_not1_b32 vcc_lo, exec_lo, s7
	s_cbranch_vccnz .LBB339_1428
; %bb.1423:
	s_wait_loadcnt 0x0
	global_load_u8 v1, v[8:9], off
	s_mov_b32 s9, 0
	s_mov_b32 s7, exec_lo
	s_wait_loadcnt 0x0
	v_cmpx_lt_i16_e32 0x7f, v1
	s_xor_b32 s7, exec_lo, s7
	s_cbranch_execz .LBB339_1440
; %bb.1424:
	v_cmp_ne_u16_e32 vcc_lo, 0x80, v1
	s_and_b32 s9, vcc_lo, exec_lo
	s_and_not1_saveexec_b32 s7, s7
	s_cbranch_execnz .LBB339_1441
.LBB339_1425:
	s_or_b32 exec_lo, exec_lo, s7
	v_mov_b32_e32 v0, 0
	s_and_saveexec_b32 s7, s9
	s_cbranch_execz .LBB339_1427
.LBB339_1426:
	v_and_b32_e32 v0, 0xffff, v1
	s_delay_alu instid0(VALU_DEP_1) | instskip(SKIP_1) | instid1(VALU_DEP_2)
	v_and_b32_e32 v3, 7, v0
	v_bfe_u32 v11, v0, 3, 4
	v_clz_i32_u32_e32 v5, v3
	s_delay_alu instid0(VALU_DEP_2) | instskip(NEXT) | instid1(VALU_DEP_2)
	v_cmp_eq_u32_e32 vcc_lo, 0, v11
	v_min_u32_e32 v5, 32, v5
	s_delay_alu instid0(VALU_DEP_1) | instskip(NEXT) | instid1(VALU_DEP_1)
	v_subrev_nc_u32_e32 v7, 28, v5
	v_dual_lshlrev_b32 v0, v7, v0 :: v_dual_sub_nc_u32 v5, 29, v5
	s_delay_alu instid0(VALU_DEP_1) | instskip(NEXT) | instid1(VALU_DEP_1)
	v_dual_lshlrev_b32 v1, 24, v1 :: v_dual_bitop2_b32 v0, 7, v0 bitop3:0x40
	v_cndmask_b32_e32 v0, v3, v0, vcc_lo
	s_delay_alu instid0(VALU_DEP_3) | instskip(NEXT) | instid1(VALU_DEP_3)
	v_cndmask_b32_e32 v5, v11, v5, vcc_lo
	v_and_b32_e32 v1, 0x80000000, v1
	s_delay_alu instid0(VALU_DEP_3) | instskip(NEXT) | instid1(VALU_DEP_3)
	v_lshlrev_b32_e32 v0, 20, v0
	v_lshl_add_u32 v3, v5, 23, 0x3b800000
	s_delay_alu instid0(VALU_DEP_1) | instskip(NEXT) | instid1(VALU_DEP_1)
	v_or3_b32 v0, v1, v3, v0
	v_cvt_u32_f32_e32 v0, v0
.LBB339_1427:
	s_or_b32 exec_lo, exec_lo, s7
.LBB339_1428:
	s_mov_b32 s7, -1
.LBB339_1429:
	s_mov_b32 s9, 0
.LBB339_1430:
	s_delay_alu instid0(SALU_CYCLE_1)
	s_and_b32 vcc_lo, exec_lo, s9
	s_cbranch_vccz .LBB339_1461
; %bb.1431:
	s_cmp_gt_i32 s0, 22
	s_cbranch_scc0 .LBB339_1439
; %bb.1432:
	s_cmp_lt_i32 s0, 24
	s_cbranch_scc1 .LBB339_1442
; %bb.1433:
	s_cmp_gt_i32 s0, 24
	s_cbranch_scc0 .LBB339_1443
; %bb.1434:
	s_wait_loadcnt 0x0
	global_load_u8 v1, v[8:9], off
	s_mov_b32 s7, 0
	s_mov_b32 s6, exec_lo
	s_wait_loadcnt 0x0
	v_cmpx_lt_i16_e32 0x7f, v1
	s_xor_b32 s6, exec_lo, s6
	s_cbranch_execz .LBB339_1455
; %bb.1435:
	v_cmp_ne_u16_e32 vcc_lo, 0x80, v1
	s_and_b32 s7, vcc_lo, exec_lo
	s_and_not1_saveexec_b32 s6, s6
	s_cbranch_execnz .LBB339_1456
.LBB339_1436:
	s_or_b32 exec_lo, exec_lo, s6
	v_mov_b32_e32 v0, 0
	s_and_saveexec_b32 s6, s7
	s_cbranch_execz .LBB339_1438
.LBB339_1437:
	v_and_b32_e32 v0, 0xffff, v1
	s_delay_alu instid0(VALU_DEP_1) | instskip(SKIP_1) | instid1(VALU_DEP_2)
	v_and_b32_e32 v3, 3, v0
	v_bfe_u32 v11, v0, 2, 5
	v_clz_i32_u32_e32 v5, v3
	s_delay_alu instid0(VALU_DEP_2) | instskip(NEXT) | instid1(VALU_DEP_2)
	v_cmp_eq_u32_e32 vcc_lo, 0, v11
	v_min_u32_e32 v5, 32, v5
	s_delay_alu instid0(VALU_DEP_1) | instskip(NEXT) | instid1(VALU_DEP_1)
	v_subrev_nc_u32_e32 v7, 29, v5
	v_dual_lshlrev_b32 v0, v7, v0 :: v_dual_sub_nc_u32 v5, 30, v5
	s_delay_alu instid0(VALU_DEP_1) | instskip(NEXT) | instid1(VALU_DEP_1)
	v_dual_lshlrev_b32 v1, 24, v1 :: v_dual_bitop2_b32 v0, 3, v0 bitop3:0x40
	v_cndmask_b32_e32 v0, v3, v0, vcc_lo
	s_delay_alu instid0(VALU_DEP_3) | instskip(NEXT) | instid1(VALU_DEP_3)
	v_cndmask_b32_e32 v5, v11, v5, vcc_lo
	v_and_b32_e32 v1, 0x80000000, v1
	s_delay_alu instid0(VALU_DEP_3) | instskip(NEXT) | instid1(VALU_DEP_3)
	v_lshlrev_b32_e32 v0, 21, v0
	v_lshl_add_u32 v3, v5, 23, 0x37800000
	s_delay_alu instid0(VALU_DEP_1) | instskip(NEXT) | instid1(VALU_DEP_1)
	v_or3_b32 v0, v1, v3, v0
	v_cvt_u32_f32_e32 v0, v0
.LBB339_1438:
	s_or_b32 exec_lo, exec_lo, s6
	s_mov_b32 s6, 0
	s_branch .LBB339_1444
.LBB339_1439:
	s_mov_b32 s6, -1
                                        ; implicit-def: $vgpr0
	s_branch .LBB339_1450
.LBB339_1440:
	s_and_not1_saveexec_b32 s7, s7
	s_cbranch_execz .LBB339_1425
.LBB339_1441:
	v_cmp_ne_u16_e32 vcc_lo, 0, v1
	s_and_not1_b32 s9, s9, exec_lo
	s_and_b32 s14, vcc_lo, exec_lo
	s_delay_alu instid0(SALU_CYCLE_1)
	s_or_b32 s9, s9, s14
	s_or_b32 exec_lo, exec_lo, s7
	v_mov_b32_e32 v0, 0
	s_and_saveexec_b32 s7, s9
	s_cbranch_execnz .LBB339_1426
	s_branch .LBB339_1427
.LBB339_1442:
	s_mov_b32 s6, -1
                                        ; implicit-def: $vgpr0
	s_branch .LBB339_1447
.LBB339_1443:
	s_mov_b32 s6, -1
                                        ; implicit-def: $vgpr0
.LBB339_1444:
	s_delay_alu instid0(SALU_CYCLE_1)
	s_and_b32 vcc_lo, exec_lo, s6
	s_cbranch_vccz .LBB339_1446
; %bb.1445:
	s_wait_loadcnt 0x0
	global_load_u8 v0, v[8:9], off
	s_wait_loadcnt 0x0
	v_lshlrev_b32_e32 v0, 24, v0
	s_delay_alu instid0(VALU_DEP_1) | instskip(NEXT) | instid1(VALU_DEP_1)
	v_and_b32_e32 v1, 0x7f000000, v0
	v_clz_i32_u32_e32 v3, v1
	v_add_nc_u32_e32 v7, 0x1000000, v1
	v_cmp_ne_u32_e32 vcc_lo, 0, v1
	s_delay_alu instid0(VALU_DEP_3) | instskip(NEXT) | instid1(VALU_DEP_1)
	v_min_u32_e32 v3, 32, v3
	v_sub_nc_u32_e64 v3, v3, 4 clamp
	s_delay_alu instid0(VALU_DEP_1) | instskip(NEXT) | instid1(VALU_DEP_1)
	v_dual_lshlrev_b32 v5, v3, v1 :: v_dual_lshlrev_b32 v3, 23, v3
	v_lshrrev_b32_e32 v5, 4, v5
	s_delay_alu instid0(VALU_DEP_1) | instskip(SKIP_1) | instid1(VALU_DEP_2)
	v_sub_nc_u32_e32 v3, v5, v3
	v_ashrrev_i32_e32 v5, 8, v7
	v_add_nc_u32_e32 v3, 0x3c000000, v3
	s_delay_alu instid0(VALU_DEP_1) | instskip(NEXT) | instid1(VALU_DEP_1)
	v_and_or_b32 v3, 0x7f800000, v5, v3
	v_cndmask_b32_e32 v1, 0, v3, vcc_lo
	s_delay_alu instid0(VALU_DEP_1) | instskip(NEXT) | instid1(VALU_DEP_1)
	v_and_or_b32 v0, 0x80000000, v0, v1
	v_cvt_u32_f32_e32 v0, v0
.LBB339_1446:
	s_mov_b32 s6, 0
.LBB339_1447:
	s_delay_alu instid0(SALU_CYCLE_1)
	s_and_not1_b32 vcc_lo, exec_lo, s6
	s_cbranch_vccnz .LBB339_1449
; %bb.1448:
	s_wait_loadcnt 0x0
	global_load_u8 v0, v[8:9], off
	s_wait_loadcnt 0x0
	v_lshlrev_b32_e32 v1, 25, v0
	v_lshlrev_b16 v0, 8, v0
	s_delay_alu instid0(VALU_DEP_1) | instskip(SKIP_1) | instid1(VALU_DEP_2)
	v_and_or_b32 v5, 0x7f00, v0, 0.5
	v_bfe_i32 v0, v0, 0, 16
	v_add_f32_e32 v5, -0.5, v5
	v_lshrrev_b32_e32 v3, 4, v1
	v_cmp_gt_u32_e32 vcc_lo, 0x8000000, v1
	s_delay_alu instid0(VALU_DEP_2) | instskip(NEXT) | instid1(VALU_DEP_1)
	v_or_b32_e32 v3, 0x70000000, v3
	v_mul_f32_e32 v3, 0x7800000, v3
	s_delay_alu instid0(VALU_DEP_1) | instskip(NEXT) | instid1(VALU_DEP_1)
	v_cndmask_b32_e32 v1, v3, v5, vcc_lo
	v_and_or_b32 v0, 0x80000000, v0, v1
	s_delay_alu instid0(VALU_DEP_1)
	v_cvt_u32_f32_e32 v0, v0
.LBB339_1449:
	s_mov_b32 s6, 0
	s_mov_b32 s7, -1
.LBB339_1450:
	s_and_not1_b32 vcc_lo, exec_lo, s6
	s_mov_b32 s6, 0
	s_cbranch_vccnz .LBB339_1461
; %bb.1451:
	s_cmp_gt_i32 s0, 14
	s_cbranch_scc0 .LBB339_1454
; %bb.1452:
	s_cmp_eq_u32 s0, 15
	s_cbranch_scc0 .LBB339_1457
; %bb.1453:
	s_wait_loadcnt 0x0
	global_load_u16 v0, v[8:9], off
	s_mov_b32 s3, 0
	s_mov_b32 s7, -1
	s_wait_loadcnt 0x0
	v_lshlrev_b32_e32 v0, 16, v0
	s_delay_alu instid0(VALU_DEP_1)
	v_cvt_u32_f32_e32 v0, v0
	s_branch .LBB339_1459
.LBB339_1454:
	s_mov_b32 s6, -1
	s_branch .LBB339_1458
.LBB339_1455:
	s_and_not1_saveexec_b32 s6, s6
	s_cbranch_execz .LBB339_1436
.LBB339_1456:
	v_cmp_ne_u16_e32 vcc_lo, 0, v1
	s_and_not1_b32 s7, s7, exec_lo
	s_and_b32 s9, vcc_lo, exec_lo
	s_delay_alu instid0(SALU_CYCLE_1)
	s_or_b32 s7, s7, s9
	s_or_b32 exec_lo, exec_lo, s6
	v_mov_b32_e32 v0, 0
	s_and_saveexec_b32 s6, s7
	s_cbranch_execnz .LBB339_1437
	s_branch .LBB339_1438
.LBB339_1457:
	s_mov_b32 s3, -1
.LBB339_1458:
                                        ; implicit-def: $vgpr0
.LBB339_1459:
	s_and_b32 vcc_lo, exec_lo, s6
	s_mov_b32 s6, 0
	s_cbranch_vccz .LBB339_1461
; %bb.1460:
	s_cmp_lg_u32 s0, 11
	s_mov_b32 s6, -1
	s_cselect_b32 s3, -1, 0
.LBB339_1461:
	s_delay_alu instid0(SALU_CYCLE_1)
	s_and_b32 vcc_lo, exec_lo, s3
	s_cbranch_vccnz .LBB339_1993
; %bb.1462:
	s_and_not1_b32 vcc_lo, exec_lo, s6
	s_cbranch_vccnz .LBB339_1464
.LBB339_1463:
	s_wait_loadcnt 0x0
	global_load_u8 v0, v[8:9], off
	s_mov_b32 s7, -1
	s_wait_loadcnt 0x0
	v_cmp_ne_u16_e32 vcc_lo, 0, v0
	v_cndmask_b32_e64 v0, 0, 1, vcc_lo
.LBB339_1464:
	s_mov_b32 s3, 0
.LBB339_1465:
	s_delay_alu instid0(SALU_CYCLE_1)
	s_and_b32 vcc_lo, exec_lo, s3
	s_cbranch_vccz .LBB339_1514
; %bb.1466:
	s_cmp_lt_i32 s0, 5
	s_cbranch_scc1 .LBB339_1471
; %bb.1467:
	s_cmp_lt_i32 s0, 8
	s_cbranch_scc1 .LBB339_1472
	;; [unrolled: 3-line block ×3, first 2 shown]
; %bb.1469:
	s_cmp_gt_i32 s0, 9
	s_cbranch_scc0 .LBB339_1474
; %bb.1470:
	s_wait_loadcnt 0x0
	global_load_b64 v[0:1], v[8:9], off
	s_mov_b32 s3, 0
	s_wait_loadcnt 0x0
	v_cvt_u32_f64_e32 v0, v[0:1]
	s_branch .LBB339_1475
.LBB339_1471:
	s_mov_b32 s3, -1
                                        ; implicit-def: $vgpr0
	s_branch .LBB339_1493
.LBB339_1472:
	s_mov_b32 s3, -1
                                        ; implicit-def: $vgpr0
	s_branch .LBB339_1481
.LBB339_1473:
	s_mov_b32 s3, -1
                                        ; implicit-def: $vgpr0
	s_branch .LBB339_1478
.LBB339_1474:
	s_mov_b32 s3, -1
                                        ; implicit-def: $vgpr0
.LBB339_1475:
	s_delay_alu instid0(SALU_CYCLE_1)
	s_and_not1_b32 vcc_lo, exec_lo, s3
	s_cbranch_vccnz .LBB339_1477
; %bb.1476:
	s_wait_loadcnt 0x0
	global_load_b32 v0, v[8:9], off
	s_wait_loadcnt 0x0
	v_cvt_u32_f32_e32 v0, v0
.LBB339_1477:
	s_mov_b32 s3, 0
.LBB339_1478:
	s_delay_alu instid0(SALU_CYCLE_1)
	s_and_not1_b32 vcc_lo, exec_lo, s3
	s_cbranch_vccnz .LBB339_1480
; %bb.1479:
	s_wait_loadcnt 0x0
	global_load_b32 v0, v[8:9], off
	s_wait_loadcnt 0x0
	v_cvt_u16_f16_e32 v0, v0
.LBB339_1480:
	s_mov_b32 s3, 0
.LBB339_1481:
	s_delay_alu instid0(SALU_CYCLE_1)
	s_and_not1_b32 vcc_lo, exec_lo, s3
	s_cbranch_vccnz .LBB339_1492
; %bb.1482:
	s_cmp_lt_i32 s0, 6
	s_cbranch_scc1 .LBB339_1485
; %bb.1483:
	s_cmp_gt_i32 s0, 6
	s_cbranch_scc0 .LBB339_1486
; %bb.1484:
	s_wait_loadcnt 0x0
	global_load_b64 v[0:1], v[8:9], off
	s_mov_b32 s3, 0
	s_wait_loadcnt 0x0
	v_cvt_u32_f64_e32 v0, v[0:1]
	s_branch .LBB339_1487
.LBB339_1485:
	s_mov_b32 s3, -1
                                        ; implicit-def: $vgpr0
	s_branch .LBB339_1490
.LBB339_1486:
	s_mov_b32 s3, -1
                                        ; implicit-def: $vgpr0
.LBB339_1487:
	s_delay_alu instid0(SALU_CYCLE_1)
	s_and_not1_b32 vcc_lo, exec_lo, s3
	s_cbranch_vccnz .LBB339_1489
; %bb.1488:
	s_wait_loadcnt 0x0
	global_load_b32 v0, v[8:9], off
	s_wait_loadcnt 0x0
	v_cvt_u32_f32_e32 v0, v0
.LBB339_1489:
	s_mov_b32 s3, 0
.LBB339_1490:
	s_delay_alu instid0(SALU_CYCLE_1)
	s_and_not1_b32 vcc_lo, exec_lo, s3
	s_cbranch_vccnz .LBB339_1492
; %bb.1491:
	s_wait_loadcnt 0x0
	global_load_u16 v0, v[8:9], off
	s_wait_loadcnt 0x0
	v_cvt_u16_f16_e32 v0, v0
.LBB339_1492:
	s_mov_b32 s3, 0
.LBB339_1493:
	s_delay_alu instid0(SALU_CYCLE_1)
	s_and_not1_b32 vcc_lo, exec_lo, s3
	s_cbranch_vccnz .LBB339_1513
; %bb.1494:
	s_cmp_lt_i32 s0, 2
	s_cbranch_scc1 .LBB339_1498
; %bb.1495:
	s_cmp_lt_i32 s0, 3
	s_cbranch_scc1 .LBB339_1499
; %bb.1496:
	s_cmp_gt_i32 s0, 3
	s_cbranch_scc0 .LBB339_1500
; %bb.1497:
	s_wait_loadcnt 0x0
	global_load_b64 v[0:1], v[8:9], off
	s_mov_b32 s3, 0
	s_branch .LBB339_1501
.LBB339_1498:
	s_mov_b32 s3, -1
                                        ; implicit-def: $vgpr0
	s_branch .LBB339_1507
.LBB339_1499:
	s_mov_b32 s3, -1
                                        ; implicit-def: $vgpr0
	s_branch .LBB339_1504
.LBB339_1500:
	s_mov_b32 s3, -1
                                        ; implicit-def: $vgpr0
.LBB339_1501:
	s_delay_alu instid0(SALU_CYCLE_1)
	s_and_not1_b32 vcc_lo, exec_lo, s3
	s_cbranch_vccnz .LBB339_1503
; %bb.1502:
	s_wait_loadcnt 0x0
	global_load_b32 v0, v[8:9], off
.LBB339_1503:
	s_mov_b32 s3, 0
.LBB339_1504:
	s_delay_alu instid0(SALU_CYCLE_1)
	s_and_not1_b32 vcc_lo, exec_lo, s3
	s_cbranch_vccnz .LBB339_1506
; %bb.1505:
	s_wait_loadcnt 0x0
	global_load_u16 v0, v[8:9], off
.LBB339_1506:
	s_mov_b32 s3, 0
.LBB339_1507:
	s_delay_alu instid0(SALU_CYCLE_1)
	s_and_not1_b32 vcc_lo, exec_lo, s3
	s_cbranch_vccnz .LBB339_1513
; %bb.1508:
	s_cmp_gt_i32 s0, 0
	s_mov_b32 s0, 0
	s_cbranch_scc0 .LBB339_1510
; %bb.1509:
	s_wait_loadcnt 0x0
	global_load_i8 v0, v[8:9], off
	s_branch .LBB339_1511
.LBB339_1510:
	s_mov_b32 s0, -1
                                        ; implicit-def: $vgpr0
.LBB339_1511:
	s_delay_alu instid0(SALU_CYCLE_1)
	s_and_not1_b32 vcc_lo, exec_lo, s0
	s_cbranch_vccnz .LBB339_1513
; %bb.1512:
	s_wait_loadcnt 0x0
	global_load_u8 v0, v[8:9], off
.LBB339_1513:
	s_mov_b32 s7, -1
.LBB339_1514:
	s_delay_alu instid0(SALU_CYCLE_1)
	s_and_not1_b32 vcc_lo, exec_lo, s7
	s_cbranch_vccnz .LBB339_1947
; %bb.1515:
	s_wait_xcnt 0x0
	v_mul_lo_u32 v8, s8, v10
	s_wait_loadcnt 0x0
	v_cmp_ne_u16_e32 vcc_lo, s11, v6
	s_cmp_eq_u32 s10, 0
	s_mov_b32 s9, 0
	s_cselect_b32 s3, -1, 0
	s_and_b32 s14, s2, 0xff
	s_xor_b32 s2, s3, vcc_lo
	s_cmp_lt_i32 s14, 11
	s_mov_b32 s0, -1
	s_delay_alu instid0(VALU_DEP_2) | instskip(NEXT) | instid1(VALU_DEP_1)
	v_ashrrev_i32_e32 v9, 31, v8
	v_add_nc_u64_e32 v[6:7], s[4:5], v[8:9]
	s_cbranch_scc1 .LBB339_1594
; %bb.1516:
	s_and_b32 s6, 0xffff, s14
	s_mov_b32 s10, -1
	s_mov_b32 s7, 0
	s_cmp_gt_i32 s6, 25
	s_mov_b32 s0, 0
	s_cbranch_scc0 .LBB339_1549
; %bb.1517:
	s_cmp_gt_i32 s6, 28
	s_cbranch_scc0 .LBB339_1532
; %bb.1518:
	s_cmp_gt_i32 s6, 43
	;; [unrolled: 3-line block ×3, first 2 shown]
	s_cbranch_scc0 .LBB339_1522
; %bb.1520:
	s_mov_b32 s0, -1
	s_mov_b32 s10, 0
	s_cmp_eq_u32 s6, 46
	s_cbranch_scc0 .LBB339_1522
; %bb.1521:
	v_cndmask_b32_e64 v1, 0, 1.0, s2
	s_mov_b32 s0, 0
	s_mov_b32 s9, -1
	s_delay_alu instid0(VALU_DEP_1) | instskip(NEXT) | instid1(VALU_DEP_1)
	v_bfe_u32 v3, v1, 16, 1
	v_add3_u32 v1, v1, v3, 0x7fff
	s_delay_alu instid0(VALU_DEP_1)
	v_lshrrev_b32_e32 v1, 16, v1
	global_store_b32 v[6:7], v1, off
.LBB339_1522:
	s_and_b32 vcc_lo, exec_lo, s10
	s_cbranch_vccz .LBB339_1527
; %bb.1523:
	s_cmp_eq_u32 s6, 44
	s_mov_b32 s0, -1
	s_cbranch_scc0 .LBB339_1527
; %bb.1524:
	v_cndmask_b32_e64 v5, 0, 1.0, s2
	v_mov_b32_e32 v3, 0xff
	s_mov_b32 s9, exec_lo
	s_wait_xcnt 0x0
	s_delay_alu instid0(VALU_DEP_2) | instskip(NEXT) | instid1(VALU_DEP_1)
	v_lshrrev_b32_e32 v1, 23, v5
	v_cmpx_ne_u32_e32 0xff, v1
; %bb.1525:
	v_and_b32_e32 v3, 0x400000, v5
	v_and_or_b32 v5, 0x3fffff, v5, v1
	s_delay_alu instid0(VALU_DEP_2) | instskip(NEXT) | instid1(VALU_DEP_2)
	v_cmp_ne_u32_e32 vcc_lo, 0, v3
	v_cmp_ne_u32_e64 s0, 0, v5
	s_and_b32 s0, vcc_lo, s0
	s_delay_alu instid0(SALU_CYCLE_1) | instskip(NEXT) | instid1(VALU_DEP_1)
	v_cndmask_b32_e64 v3, 0, 1, s0
	v_add_nc_u32_e32 v3, v1, v3
; %bb.1526:
	s_or_b32 exec_lo, exec_lo, s9
	s_mov_b32 s0, 0
	s_mov_b32 s9, -1
	global_store_b8 v[6:7], v3, off
.LBB339_1527:
	s_mov_b32 s10, 0
.LBB339_1528:
	s_delay_alu instid0(SALU_CYCLE_1)
	s_and_b32 vcc_lo, exec_lo, s10
	s_cbranch_vccz .LBB339_1531
; %bb.1529:
	s_cmp_eq_u32 s6, 29
	s_mov_b32 s0, -1
	s_cbranch_scc0 .LBB339_1531
; %bb.1530:
	s_mov_b32 s0, 0
	v_cndmask_b32_e64 v10, 0, 1, s2
	v_mov_b32_e32 v11, s0
	s_mov_b32 s9, -1
	global_store_b64 v[6:7], v[10:11], off
.LBB339_1531:
	s_mov_b32 s10, 0
.LBB339_1532:
	s_delay_alu instid0(SALU_CYCLE_1)
	s_and_b32 vcc_lo, exec_lo, s10
	s_cbranch_vccz .LBB339_1548
; %bb.1533:
	s_cmp_lt_i32 s6, 27
	s_mov_b32 s9, -1
	s_cbranch_scc1 .LBB339_1539
; %bb.1534:
	s_cmp_gt_i32 s6, 27
	s_cbranch_scc0 .LBB339_1536
; %bb.1535:
	s_wait_xcnt 0x0
	v_cndmask_b32_e64 v1, 0, 1, s2
	s_mov_b32 s9, 0
	global_store_b32 v[6:7], v1, off
.LBB339_1536:
	s_and_not1_b32 vcc_lo, exec_lo, s9
	s_cbranch_vccnz .LBB339_1538
; %bb.1537:
	s_wait_xcnt 0x0
	v_cndmask_b32_e64 v1, 0, 1, s2
	global_store_b16 v[6:7], v1, off
.LBB339_1538:
	s_mov_b32 s9, 0
.LBB339_1539:
	s_delay_alu instid0(SALU_CYCLE_1)
	s_and_not1_b32 vcc_lo, exec_lo, s9
	s_cbranch_vccnz .LBB339_1547
; %bb.1540:
	s_wait_xcnt 0x0
	v_cndmask_b32_e64 v3, 0, 1.0, s2
	v_mov_b32_e32 v5, 0x80
	s_mov_b32 s9, exec_lo
	s_delay_alu instid0(VALU_DEP_2)
	v_cmpx_gt_u32_e32 0x43800000, v3
	s_cbranch_execz .LBB339_1546
; %bb.1541:
	s_mov_b32 s10, 0
	s_mov_b32 s15, exec_lo
                                        ; implicit-def: $vgpr1
	v_cmpx_lt_u32_e32 0x3bffffff, v3
	s_xor_b32 s15, exec_lo, s15
	s_cbranch_execz .LBB339_1994
; %bb.1542:
	v_bfe_u32 v1, v3, 20, 1
	s_mov_b32 s10, exec_lo
	s_delay_alu instid0(VALU_DEP_1) | instskip(NEXT) | instid1(VALU_DEP_1)
	v_add3_u32 v1, v3, v1, 0x487ffff
                                        ; implicit-def: $vgpr3
	v_lshrrev_b32_e32 v1, 20, v1
	s_and_not1_saveexec_b32 s15, s15
	s_cbranch_execnz .LBB339_1995
.LBB339_1543:
	s_or_b32 exec_lo, exec_lo, s15
	v_mov_b32_e32 v5, 0
	s_and_saveexec_b32 s15, s10
.LBB339_1544:
	v_mov_b32_e32 v5, v1
.LBB339_1545:
	s_or_b32 exec_lo, exec_lo, s15
.LBB339_1546:
	s_delay_alu instid0(SALU_CYCLE_1)
	s_or_b32 exec_lo, exec_lo, s9
	global_store_b8 v[6:7], v5, off
.LBB339_1547:
	s_mov_b32 s9, -1
.LBB339_1548:
	s_mov_b32 s10, 0
.LBB339_1549:
	s_delay_alu instid0(SALU_CYCLE_1)
	s_and_b32 vcc_lo, exec_lo, s10
	s_cbranch_vccz .LBB339_1589
; %bb.1550:
	s_cmp_gt_i32 s6, 22
	s_mov_b32 s7, -1
	s_cbranch_scc0 .LBB339_1582
; %bb.1551:
	s_cmp_lt_i32 s6, 24
	s_cbranch_scc1 .LBB339_1571
; %bb.1552:
	s_cmp_gt_i32 s6, 24
	s_cbranch_scc0 .LBB339_1560
; %bb.1553:
	s_wait_xcnt 0x0
	v_cndmask_b32_e64 v3, 0, 1.0, s2
	v_mov_b32_e32 v5, 0x80
	s_mov_b32 s7, exec_lo
	s_delay_alu instid0(VALU_DEP_2)
	v_cmpx_gt_u32_e32 0x47800000, v3
	s_cbranch_execz .LBB339_1559
; %bb.1554:
	s_mov_b32 s9, 0
	s_mov_b32 s10, exec_lo
                                        ; implicit-def: $vgpr1
	v_cmpx_lt_u32_e32 0x37ffffff, v3
	s_xor_b32 s10, exec_lo, s10
	s_cbranch_execz .LBB339_1997
; %bb.1555:
	v_bfe_u32 v1, v3, 21, 1
	s_mov_b32 s9, exec_lo
	s_delay_alu instid0(VALU_DEP_1) | instskip(NEXT) | instid1(VALU_DEP_1)
	v_add3_u32 v1, v3, v1, 0x88fffff
                                        ; implicit-def: $vgpr3
	v_lshrrev_b32_e32 v1, 21, v1
	s_and_not1_saveexec_b32 s10, s10
	s_cbranch_execnz .LBB339_1998
.LBB339_1556:
	s_or_b32 exec_lo, exec_lo, s10
	v_mov_b32_e32 v5, 0
	s_and_saveexec_b32 s10, s9
.LBB339_1557:
	v_mov_b32_e32 v5, v1
.LBB339_1558:
	s_or_b32 exec_lo, exec_lo, s10
.LBB339_1559:
	s_delay_alu instid0(SALU_CYCLE_1)
	s_or_b32 exec_lo, exec_lo, s7
	s_mov_b32 s7, 0
	global_store_b8 v[6:7], v5, off
.LBB339_1560:
	s_and_b32 vcc_lo, exec_lo, s7
	s_cbranch_vccz .LBB339_1570
; %bb.1561:
	s_wait_xcnt 0x0
	v_cndmask_b32_e64 v3, 0, 1.0, s2
	s_mov_b32 s7, exec_lo
                                        ; implicit-def: $vgpr1
	s_delay_alu instid0(VALU_DEP_1)
	v_cmpx_gt_u32_e32 0x43f00000, v3
	s_xor_b32 s7, exec_lo, s7
	s_cbranch_execz .LBB339_1567
; %bb.1562:
	s_mov_b32 s9, exec_lo
                                        ; implicit-def: $vgpr1
	v_cmpx_lt_u32_e32 0x3c7fffff, v3
	s_xor_b32 s9, exec_lo, s9
; %bb.1563:
	v_bfe_u32 v1, v3, 20, 1
	s_delay_alu instid0(VALU_DEP_1) | instskip(NEXT) | instid1(VALU_DEP_1)
	v_add3_u32 v1, v3, v1, 0x407ffff
	v_and_b32_e32 v3, 0xff00000, v1
	v_lshrrev_b32_e32 v1, 20, v1
	s_delay_alu instid0(VALU_DEP_2) | instskip(NEXT) | instid1(VALU_DEP_2)
	v_cmp_ne_u32_e32 vcc_lo, 0x7f00000, v3
                                        ; implicit-def: $vgpr3
	v_cndmask_b32_e32 v1, 0x7e, v1, vcc_lo
; %bb.1564:
	s_and_not1_saveexec_b32 s9, s9
; %bb.1565:
	v_add_f32_e32 v1, 0x46800000, v3
; %bb.1566:
	s_or_b32 exec_lo, exec_lo, s9
                                        ; implicit-def: $vgpr3
.LBB339_1567:
	s_and_not1_saveexec_b32 s7, s7
; %bb.1568:
	v_mov_b32_e32 v1, 0x7f
	v_cmp_lt_u32_e32 vcc_lo, 0x7f800000, v3
	s_delay_alu instid0(VALU_DEP_2)
	v_cndmask_b32_e32 v1, 0x7e, v1, vcc_lo
; %bb.1569:
	s_or_b32 exec_lo, exec_lo, s7
	global_store_b8 v[6:7], v1, off
.LBB339_1570:
	s_mov_b32 s7, 0
.LBB339_1571:
	s_delay_alu instid0(SALU_CYCLE_1)
	s_and_not1_b32 vcc_lo, exec_lo, s7
	s_cbranch_vccnz .LBB339_1581
; %bb.1572:
	s_wait_xcnt 0x0
	v_cndmask_b32_e64 v3, 0, 1.0, s2
	s_mov_b32 s7, exec_lo
                                        ; implicit-def: $vgpr1
	s_delay_alu instid0(VALU_DEP_1)
	v_cmpx_gt_u32_e32 0x47800000, v3
	s_xor_b32 s7, exec_lo, s7
	s_cbranch_execz .LBB339_1578
; %bb.1573:
	s_mov_b32 s9, exec_lo
                                        ; implicit-def: $vgpr1
	v_cmpx_lt_u32_e32 0x387fffff, v3
	s_xor_b32 s9, exec_lo, s9
; %bb.1574:
	v_bfe_u32 v1, v3, 21, 1
	s_delay_alu instid0(VALU_DEP_1) | instskip(NEXT) | instid1(VALU_DEP_1)
	v_add3_u32 v1, v3, v1, 0x80fffff
                                        ; implicit-def: $vgpr3
	v_lshrrev_b32_e32 v1, 21, v1
; %bb.1575:
	s_and_not1_saveexec_b32 s9, s9
; %bb.1576:
	v_add_f32_e32 v1, 0x43000000, v3
; %bb.1577:
	s_or_b32 exec_lo, exec_lo, s9
                                        ; implicit-def: $vgpr3
.LBB339_1578:
	s_and_not1_saveexec_b32 s7, s7
; %bb.1579:
	v_mov_b32_e32 v1, 0x7f
	v_cmp_lt_u32_e32 vcc_lo, 0x7f800000, v3
	s_delay_alu instid0(VALU_DEP_2)
	v_cndmask_b32_e32 v1, 0x7c, v1, vcc_lo
; %bb.1580:
	s_or_b32 exec_lo, exec_lo, s7
	global_store_b8 v[6:7], v1, off
.LBB339_1581:
	s_mov_b32 s7, 0
	s_mov_b32 s9, -1
.LBB339_1582:
	s_and_not1_b32 vcc_lo, exec_lo, s7
	s_mov_b32 s7, 0
	s_cbranch_vccnz .LBB339_1589
; %bb.1583:
	s_cmp_gt_i32 s6, 14
	s_mov_b32 s7, -1
	s_cbranch_scc0 .LBB339_1587
; %bb.1584:
	s_cmp_eq_u32 s6, 15
	s_mov_b32 s0, -1
	s_cbranch_scc0 .LBB339_1586
; %bb.1585:
	s_wait_xcnt 0x0
	v_cndmask_b32_e64 v1, 0, 1.0, s2
	s_mov_b32 s0, 0
	s_mov_b32 s9, -1
	s_delay_alu instid0(VALU_DEP_1) | instskip(NEXT) | instid1(VALU_DEP_1)
	v_bfe_u32 v3, v1, 16, 1
	v_add3_u32 v1, v1, v3, 0x7fff
	global_store_d16_hi_b16 v[6:7], v1, off
.LBB339_1586:
	s_mov_b32 s7, 0
.LBB339_1587:
	s_delay_alu instid0(SALU_CYCLE_1)
	s_and_b32 vcc_lo, exec_lo, s7
	s_mov_b32 s7, 0
	s_cbranch_vccz .LBB339_1589
; %bb.1588:
	s_cmp_lg_u32 s6, 11
	s_mov_b32 s7, -1
	s_cselect_b32 s0, -1, 0
.LBB339_1589:
	s_delay_alu instid0(SALU_CYCLE_1)
	s_and_b32 vcc_lo, exec_lo, s0
	s_cbranch_vccnz .LBB339_1996
; %bb.1590:
	s_and_not1_b32 vcc_lo, exec_lo, s7
	s_cbranch_vccnz .LBB339_1592
.LBB339_1591:
	s_wait_xcnt 0x0
	v_cndmask_b32_e64 v1, 0, 1, s2
	s_mov_b32 s9, -1
	global_store_b8 v[6:7], v1, off
.LBB339_1592:
.LBB339_1593:
	s_and_not1_b32 vcc_lo, exec_lo, s9
	s_cbranch_vccnz .LBB339_1947
	s_branch .LBB339_1633
.LBB339_1594:
	s_and_b32 vcc_lo, exec_lo, s0
	s_cbranch_vccz .LBB339_1593
; %bb.1595:
	s_and_b32 s0, 0xffff, s14
	s_mov_b32 s6, -1
	s_cmp_lt_i32 s0, 5
	s_cbranch_scc1 .LBB339_1616
; %bb.1596:
	s_cmp_lt_i32 s0, 8
	s_cbranch_scc1 .LBB339_1606
; %bb.1597:
	;; [unrolled: 3-line block ×3, first 2 shown]
	s_cmp_gt_i32 s0, 9
	s_cbranch_scc0 .LBB339_1600
; %bb.1599:
	s_wait_xcnt 0x0
	v_cndmask_b32_e64 v1, 0, 1, s2
	v_mov_b32_e32 v12, 0
	s_mov_b32 s6, 0
	s_delay_alu instid0(VALU_DEP_2) | instskip(NEXT) | instid1(VALU_DEP_2)
	v_cvt_f64_u32_e32 v[10:11], v1
	v_mov_b32_e32 v13, v12
	global_store_b128 v[6:7], v[10:13], off
.LBB339_1600:
	s_and_not1_b32 vcc_lo, exec_lo, s6
	s_cbranch_vccnz .LBB339_1602
; %bb.1601:
	s_wait_xcnt 0x0
	v_cndmask_b32_e64 v10, 0, 1.0, s2
	v_mov_b32_e32 v11, 0
	global_store_b64 v[6:7], v[10:11], off
.LBB339_1602:
	s_mov_b32 s6, 0
.LBB339_1603:
	s_delay_alu instid0(SALU_CYCLE_1)
	s_and_not1_b32 vcc_lo, exec_lo, s6
	s_cbranch_vccnz .LBB339_1605
; %bb.1604:
	s_wait_xcnt 0x0
	v_cndmask_b32_e64 v1, 0, 1.0, s2
	s_delay_alu instid0(VALU_DEP_1) | instskip(NEXT) | instid1(VALU_DEP_1)
	v_cvt_f16_f32_e32 v1, v1
	v_and_b32_e32 v1, 0xffff, v1
	global_store_b32 v[6:7], v1, off
.LBB339_1605:
	s_mov_b32 s6, 0
.LBB339_1606:
	s_delay_alu instid0(SALU_CYCLE_1)
	s_and_not1_b32 vcc_lo, exec_lo, s6
	s_cbranch_vccnz .LBB339_1615
; %bb.1607:
	s_cmp_lt_i32 s0, 6
	s_mov_b32 s6, -1
	s_cbranch_scc1 .LBB339_1613
; %bb.1608:
	s_cmp_gt_i32 s0, 6
	s_cbranch_scc0 .LBB339_1610
; %bb.1609:
	s_wait_xcnt 0x0
	v_cndmask_b32_e64 v1, 0, 1, s2
	s_mov_b32 s6, 0
	s_delay_alu instid0(VALU_DEP_1)
	v_cvt_f64_u32_e32 v[10:11], v1
	global_store_b64 v[6:7], v[10:11], off
.LBB339_1610:
	s_and_not1_b32 vcc_lo, exec_lo, s6
	s_cbranch_vccnz .LBB339_1612
; %bb.1611:
	s_wait_xcnt 0x0
	v_cndmask_b32_e64 v1, 0, 1.0, s2
	global_store_b32 v[6:7], v1, off
.LBB339_1612:
	s_mov_b32 s6, 0
.LBB339_1613:
	s_delay_alu instid0(SALU_CYCLE_1)
	s_and_not1_b32 vcc_lo, exec_lo, s6
	s_cbranch_vccnz .LBB339_1615
; %bb.1614:
	s_wait_xcnt 0x0
	v_cndmask_b32_e64 v1, 0, 1.0, s2
	s_delay_alu instid0(VALU_DEP_1)
	v_cvt_f16_f32_e32 v1, v1
	global_store_b16 v[6:7], v1, off
.LBB339_1615:
	s_mov_b32 s6, 0
.LBB339_1616:
	s_delay_alu instid0(SALU_CYCLE_1)
	s_and_not1_b32 vcc_lo, exec_lo, s6
	s_cbranch_vccnz .LBB339_1632
; %bb.1617:
	s_cmp_lt_i32 s0, 2
	s_mov_b32 s6, -1
	s_cbranch_scc1 .LBB339_1627
; %bb.1618:
	s_cmp_lt_i32 s0, 3
	s_cbranch_scc1 .LBB339_1624
; %bb.1619:
	s_cmp_gt_i32 s0, 3
	s_cbranch_scc0 .LBB339_1621
; %bb.1620:
	s_mov_b32 s6, 0
	s_wait_xcnt 0x0
	v_cndmask_b32_e64 v10, 0, 1, s2
	v_mov_b32_e32 v11, s6
	global_store_b64 v[6:7], v[10:11], off
.LBB339_1621:
	s_and_not1_b32 vcc_lo, exec_lo, s6
	s_cbranch_vccnz .LBB339_1623
; %bb.1622:
	s_wait_xcnt 0x0
	v_cndmask_b32_e64 v1, 0, 1, s2
	global_store_b32 v[6:7], v1, off
.LBB339_1623:
	s_mov_b32 s6, 0
.LBB339_1624:
	s_delay_alu instid0(SALU_CYCLE_1)
	s_and_not1_b32 vcc_lo, exec_lo, s6
	s_cbranch_vccnz .LBB339_1626
; %bb.1625:
	s_wait_xcnt 0x0
	v_cndmask_b32_e64 v1, 0, 1, s2
	global_store_b16 v[6:7], v1, off
.LBB339_1626:
	s_mov_b32 s6, 0
.LBB339_1627:
	s_delay_alu instid0(SALU_CYCLE_1)
	s_and_not1_b32 vcc_lo, exec_lo, s6
	s_cbranch_vccnz .LBB339_1632
; %bb.1628:
	s_wait_xcnt 0x0
	v_cndmask_b32_e64 v1, 0, 1, s2
	s_cmp_gt_i32 s0, 0
	s_mov_b32 s0, -1
	s_cbranch_scc0 .LBB339_1630
; %bb.1629:
	s_mov_b32 s0, 0
	global_store_b8 v[6:7], v1, off
.LBB339_1630:
	s_and_not1_b32 vcc_lo, exec_lo, s0
	s_cbranch_vccnz .LBB339_1632
; %bb.1631:
	global_store_b8 v[6:7], v1, off
.LBB339_1632:
.LBB339_1633:
	s_lshl_b32 s2, s8, 7
	v_cmp_ne_u16_e32 vcc_lo, s11, v4
	s_wait_xcnt 0x0
	v_add_nc_u32_e32 v6, s2, v8
	s_xor_b32 s6, s3, vcc_lo
	s_delay_alu instid0(VALU_DEP_1) | instskip(SKIP_1) | instid1(VALU_DEP_1)
	v_ashrrev_i32_e32 v7, 31, v6
	s_cmp_lt_i32 s14, 11
	v_add_nc_u64_e32 v[4:5], s[4:5], v[6:7]
	s_cbranch_scc1 .LBB339_1711
; %bb.1634:
	s_and_b32 s7, 0xffff, s14
	s_mov_b32 s10, -1
	s_mov_b32 s8, 0
	s_cmp_gt_i32 s7, 25
	s_mov_b32 s9, 0
	s_mov_b32 s0, 0
	s_cbranch_scc0 .LBB339_1667
; %bb.1635:
	s_cmp_gt_i32 s7, 28
	s_cbranch_scc0 .LBB339_1650
; %bb.1636:
	s_cmp_gt_i32 s7, 43
	s_cbranch_scc0 .LBB339_1646
; %bb.1637:
	s_cmp_gt_i32 s7, 45
	s_cbranch_scc0 .LBB339_1640
; %bb.1638:
	s_mov_b32 s0, -1
	s_mov_b32 s10, 0
	s_cmp_eq_u32 s7, 46
	s_cbranch_scc0 .LBB339_1640
; %bb.1639:
	v_cndmask_b32_e64 v1, 0, 1.0, s6
	s_mov_b32 s0, 0
	s_mov_b32 s9, -1
	s_delay_alu instid0(VALU_DEP_1) | instskip(NEXT) | instid1(VALU_DEP_1)
	v_bfe_u32 v3, v1, 16, 1
	v_add3_u32 v1, v1, v3, 0x7fff
	s_delay_alu instid0(VALU_DEP_1)
	v_lshrrev_b32_e32 v1, 16, v1
	global_store_b32 v[4:5], v1, off
.LBB339_1640:
	s_and_b32 vcc_lo, exec_lo, s10
	s_cbranch_vccz .LBB339_1645
; %bb.1641:
	s_cmp_eq_u32 s7, 44
	s_mov_b32 s0, -1
	s_cbranch_scc0 .LBB339_1645
; %bb.1642:
	v_cndmask_b32_e64 v7, 0, 1.0, s6
	v_mov_b32_e32 v3, 0xff
	s_mov_b32 s9, exec_lo
	s_wait_xcnt 0x0
	s_delay_alu instid0(VALU_DEP_2) | instskip(NEXT) | instid1(VALU_DEP_1)
	v_lshrrev_b32_e32 v1, 23, v7
	v_cmpx_ne_u32_e32 0xff, v1
; %bb.1643:
	v_and_b32_e32 v3, 0x400000, v7
	v_and_or_b32 v7, 0x3fffff, v7, v1
	s_delay_alu instid0(VALU_DEP_2) | instskip(NEXT) | instid1(VALU_DEP_2)
	v_cmp_ne_u32_e32 vcc_lo, 0, v3
	v_cmp_ne_u32_e64 s0, 0, v7
	s_and_b32 s0, vcc_lo, s0
	s_delay_alu instid0(SALU_CYCLE_1) | instskip(NEXT) | instid1(VALU_DEP_1)
	v_cndmask_b32_e64 v3, 0, 1, s0
	v_add_nc_u32_e32 v3, v1, v3
; %bb.1644:
	s_or_b32 exec_lo, exec_lo, s9
	s_mov_b32 s0, 0
	s_mov_b32 s9, -1
	global_store_b8 v[4:5], v3, off
.LBB339_1645:
	s_mov_b32 s10, 0
.LBB339_1646:
	s_delay_alu instid0(SALU_CYCLE_1)
	s_and_b32 vcc_lo, exec_lo, s10
	s_cbranch_vccz .LBB339_1649
; %bb.1647:
	s_cmp_eq_u32 s7, 29
	s_mov_b32 s0, -1
	s_cbranch_scc0 .LBB339_1649
; %bb.1648:
	s_mov_b32 s0, 0
	v_cndmask_b32_e64 v8, 0, 1, s6
	v_mov_b32_e32 v9, s0
	s_mov_b32 s9, -1
	global_store_b64 v[4:5], v[8:9], off
.LBB339_1649:
	s_mov_b32 s10, 0
.LBB339_1650:
	s_delay_alu instid0(SALU_CYCLE_1)
	s_and_b32 vcc_lo, exec_lo, s10
	s_cbranch_vccz .LBB339_1666
; %bb.1651:
	s_cmp_lt_i32 s7, 27
	s_mov_b32 s9, -1
	s_cbranch_scc1 .LBB339_1657
; %bb.1652:
	s_cmp_gt_i32 s7, 27
	s_cbranch_scc0 .LBB339_1654
; %bb.1653:
	s_wait_xcnt 0x0
	v_cndmask_b32_e64 v1, 0, 1, s6
	s_mov_b32 s9, 0
	global_store_b32 v[4:5], v1, off
.LBB339_1654:
	s_and_not1_b32 vcc_lo, exec_lo, s9
	s_cbranch_vccnz .LBB339_1656
; %bb.1655:
	s_wait_xcnt 0x0
	v_cndmask_b32_e64 v1, 0, 1, s6
	global_store_b16 v[4:5], v1, off
.LBB339_1656:
	s_mov_b32 s9, 0
.LBB339_1657:
	s_delay_alu instid0(SALU_CYCLE_1)
	s_and_not1_b32 vcc_lo, exec_lo, s9
	s_cbranch_vccnz .LBB339_1665
; %bb.1658:
	s_wait_xcnt 0x0
	v_cndmask_b32_e64 v3, 0, 1.0, s6
	v_mov_b32_e32 v7, 0x80
	s_mov_b32 s9, exec_lo
	s_delay_alu instid0(VALU_DEP_2)
	v_cmpx_gt_u32_e32 0x43800000, v3
	s_cbranch_execz .LBB339_1664
; %bb.1659:
	s_mov_b32 s10, 0
	s_mov_b32 s15, exec_lo
                                        ; implicit-def: $vgpr1
	v_cmpx_lt_u32_e32 0x3bffffff, v3
	s_xor_b32 s15, exec_lo, s15
	s_cbranch_execz .LBB339_1999
; %bb.1660:
	v_bfe_u32 v1, v3, 20, 1
	s_mov_b32 s10, exec_lo
	s_delay_alu instid0(VALU_DEP_1) | instskip(NEXT) | instid1(VALU_DEP_1)
	v_add3_u32 v1, v3, v1, 0x487ffff
                                        ; implicit-def: $vgpr3
	v_lshrrev_b32_e32 v1, 20, v1
	s_and_not1_saveexec_b32 s15, s15
	s_cbranch_execnz .LBB339_2000
.LBB339_1661:
	s_or_b32 exec_lo, exec_lo, s15
	v_mov_b32_e32 v7, 0
	s_and_saveexec_b32 s15, s10
.LBB339_1662:
	v_mov_b32_e32 v7, v1
.LBB339_1663:
	s_or_b32 exec_lo, exec_lo, s15
.LBB339_1664:
	s_delay_alu instid0(SALU_CYCLE_1)
	s_or_b32 exec_lo, exec_lo, s9
	global_store_b8 v[4:5], v7, off
.LBB339_1665:
	s_mov_b32 s9, -1
.LBB339_1666:
	s_mov_b32 s10, 0
.LBB339_1667:
	s_delay_alu instid0(SALU_CYCLE_1)
	s_and_b32 vcc_lo, exec_lo, s10
	s_cbranch_vccz .LBB339_1707
; %bb.1668:
	s_cmp_gt_i32 s7, 22
	s_mov_b32 s8, -1
	s_cbranch_scc0 .LBB339_1700
; %bb.1669:
	s_cmp_lt_i32 s7, 24
	s_cbranch_scc1 .LBB339_1689
; %bb.1670:
	s_cmp_gt_i32 s7, 24
	s_cbranch_scc0 .LBB339_1678
; %bb.1671:
	s_wait_xcnt 0x0
	v_cndmask_b32_e64 v3, 0, 1.0, s6
	v_mov_b32_e32 v7, 0x80
	s_mov_b32 s8, exec_lo
	s_delay_alu instid0(VALU_DEP_2)
	v_cmpx_gt_u32_e32 0x47800000, v3
	s_cbranch_execz .LBB339_1677
; %bb.1672:
	s_mov_b32 s9, 0
	s_mov_b32 s10, exec_lo
                                        ; implicit-def: $vgpr1
	v_cmpx_lt_u32_e32 0x37ffffff, v3
	s_xor_b32 s10, exec_lo, s10
	s_cbranch_execz .LBB339_2002
; %bb.1673:
	v_bfe_u32 v1, v3, 21, 1
	s_mov_b32 s9, exec_lo
	s_delay_alu instid0(VALU_DEP_1) | instskip(NEXT) | instid1(VALU_DEP_1)
	v_add3_u32 v1, v3, v1, 0x88fffff
                                        ; implicit-def: $vgpr3
	v_lshrrev_b32_e32 v1, 21, v1
	s_and_not1_saveexec_b32 s10, s10
	s_cbranch_execnz .LBB339_2003
.LBB339_1674:
	s_or_b32 exec_lo, exec_lo, s10
	v_mov_b32_e32 v7, 0
	s_and_saveexec_b32 s10, s9
.LBB339_1675:
	v_mov_b32_e32 v7, v1
.LBB339_1676:
	s_or_b32 exec_lo, exec_lo, s10
.LBB339_1677:
	s_delay_alu instid0(SALU_CYCLE_1)
	s_or_b32 exec_lo, exec_lo, s8
	s_mov_b32 s8, 0
	global_store_b8 v[4:5], v7, off
.LBB339_1678:
	s_and_b32 vcc_lo, exec_lo, s8
	s_cbranch_vccz .LBB339_1688
; %bb.1679:
	s_wait_xcnt 0x0
	v_cndmask_b32_e64 v3, 0, 1.0, s6
	s_mov_b32 s8, exec_lo
                                        ; implicit-def: $vgpr1
	s_delay_alu instid0(VALU_DEP_1)
	v_cmpx_gt_u32_e32 0x43f00000, v3
	s_xor_b32 s8, exec_lo, s8
	s_cbranch_execz .LBB339_1685
; %bb.1680:
	s_mov_b32 s9, exec_lo
                                        ; implicit-def: $vgpr1
	v_cmpx_lt_u32_e32 0x3c7fffff, v3
	s_xor_b32 s9, exec_lo, s9
; %bb.1681:
	v_bfe_u32 v1, v3, 20, 1
	s_delay_alu instid0(VALU_DEP_1) | instskip(NEXT) | instid1(VALU_DEP_1)
	v_add3_u32 v1, v3, v1, 0x407ffff
	v_and_b32_e32 v3, 0xff00000, v1
	v_lshrrev_b32_e32 v1, 20, v1
	s_delay_alu instid0(VALU_DEP_2) | instskip(NEXT) | instid1(VALU_DEP_2)
	v_cmp_ne_u32_e32 vcc_lo, 0x7f00000, v3
                                        ; implicit-def: $vgpr3
	v_cndmask_b32_e32 v1, 0x7e, v1, vcc_lo
; %bb.1682:
	s_and_not1_saveexec_b32 s9, s9
; %bb.1683:
	v_add_f32_e32 v1, 0x46800000, v3
; %bb.1684:
	s_or_b32 exec_lo, exec_lo, s9
                                        ; implicit-def: $vgpr3
.LBB339_1685:
	s_and_not1_saveexec_b32 s8, s8
; %bb.1686:
	v_mov_b32_e32 v1, 0x7f
	v_cmp_lt_u32_e32 vcc_lo, 0x7f800000, v3
	s_delay_alu instid0(VALU_DEP_2)
	v_cndmask_b32_e32 v1, 0x7e, v1, vcc_lo
; %bb.1687:
	s_or_b32 exec_lo, exec_lo, s8
	global_store_b8 v[4:5], v1, off
.LBB339_1688:
	s_mov_b32 s8, 0
.LBB339_1689:
	s_delay_alu instid0(SALU_CYCLE_1)
	s_and_not1_b32 vcc_lo, exec_lo, s8
	s_cbranch_vccnz .LBB339_1699
; %bb.1690:
	s_wait_xcnt 0x0
	v_cndmask_b32_e64 v3, 0, 1.0, s6
	s_mov_b32 s8, exec_lo
                                        ; implicit-def: $vgpr1
	s_delay_alu instid0(VALU_DEP_1)
	v_cmpx_gt_u32_e32 0x47800000, v3
	s_xor_b32 s8, exec_lo, s8
	s_cbranch_execz .LBB339_1696
; %bb.1691:
	s_mov_b32 s9, exec_lo
                                        ; implicit-def: $vgpr1
	v_cmpx_lt_u32_e32 0x387fffff, v3
	s_xor_b32 s9, exec_lo, s9
; %bb.1692:
	v_bfe_u32 v1, v3, 21, 1
	s_delay_alu instid0(VALU_DEP_1) | instskip(NEXT) | instid1(VALU_DEP_1)
	v_add3_u32 v1, v3, v1, 0x80fffff
                                        ; implicit-def: $vgpr3
	v_lshrrev_b32_e32 v1, 21, v1
; %bb.1693:
	s_and_not1_saveexec_b32 s9, s9
; %bb.1694:
	v_add_f32_e32 v1, 0x43000000, v3
; %bb.1695:
	s_or_b32 exec_lo, exec_lo, s9
                                        ; implicit-def: $vgpr3
.LBB339_1696:
	s_and_not1_saveexec_b32 s8, s8
; %bb.1697:
	v_mov_b32_e32 v1, 0x7f
	v_cmp_lt_u32_e32 vcc_lo, 0x7f800000, v3
	s_delay_alu instid0(VALU_DEP_2)
	v_cndmask_b32_e32 v1, 0x7c, v1, vcc_lo
; %bb.1698:
	s_or_b32 exec_lo, exec_lo, s8
	global_store_b8 v[4:5], v1, off
.LBB339_1699:
	s_mov_b32 s8, 0
	s_mov_b32 s9, -1
.LBB339_1700:
	s_and_not1_b32 vcc_lo, exec_lo, s8
	s_mov_b32 s8, 0
	s_cbranch_vccnz .LBB339_1707
; %bb.1701:
	s_cmp_gt_i32 s7, 14
	s_mov_b32 s8, -1
	s_cbranch_scc0 .LBB339_1705
; %bb.1702:
	s_cmp_eq_u32 s7, 15
	s_mov_b32 s0, -1
	s_cbranch_scc0 .LBB339_1704
; %bb.1703:
	s_wait_xcnt 0x0
	v_cndmask_b32_e64 v1, 0, 1.0, s6
	s_mov_b32 s0, 0
	s_mov_b32 s9, -1
	s_delay_alu instid0(VALU_DEP_1) | instskip(NEXT) | instid1(VALU_DEP_1)
	v_bfe_u32 v3, v1, 16, 1
	v_add3_u32 v1, v1, v3, 0x7fff
	global_store_d16_hi_b16 v[4:5], v1, off
.LBB339_1704:
	s_mov_b32 s8, 0
.LBB339_1705:
	s_delay_alu instid0(SALU_CYCLE_1)
	s_and_b32 vcc_lo, exec_lo, s8
	s_mov_b32 s8, 0
	s_cbranch_vccz .LBB339_1707
; %bb.1706:
	s_cmp_lg_u32 s7, 11
	s_mov_b32 s8, -1
	s_cselect_b32 s0, -1, 0
.LBB339_1707:
	s_delay_alu instid0(SALU_CYCLE_1)
	s_and_b32 vcc_lo, exec_lo, s0
	s_cbranch_vccnz .LBB339_2001
; %bb.1708:
	s_and_not1_b32 vcc_lo, exec_lo, s8
	s_cbranch_vccnz .LBB339_1710
.LBB339_1709:
	s_wait_xcnt 0x0
	v_cndmask_b32_e64 v1, 0, 1, s6
	s_mov_b32 s9, -1
	global_store_b8 v[4:5], v1, off
.LBB339_1710:
	s_mov_b32 s0, 0
	s_branch .LBB339_1712
.LBB339_1711:
	s_mov_b32 s0, -1
	s_mov_b32 s9, 0
.LBB339_1712:
	s_and_b32 vcc_lo, exec_lo, s0
	s_cbranch_vccz .LBB339_1751
; %bb.1713:
	s_and_b32 s0, 0xffff, s14
	s_mov_b32 s7, -1
	s_cmp_lt_i32 s0, 5
	s_cbranch_scc1 .LBB339_1734
; %bb.1714:
	s_cmp_lt_i32 s0, 8
	s_cbranch_scc1 .LBB339_1724
; %bb.1715:
	;; [unrolled: 3-line block ×3, first 2 shown]
	s_cmp_gt_i32 s0, 9
	s_cbranch_scc0 .LBB339_1718
; %bb.1717:
	s_wait_xcnt 0x0
	v_cndmask_b32_e64 v1, 0, 1, s6
	v_mov_b32_e32 v10, 0
	s_mov_b32 s7, 0
	s_delay_alu instid0(VALU_DEP_2) | instskip(NEXT) | instid1(VALU_DEP_2)
	v_cvt_f64_u32_e32 v[8:9], v1
	v_mov_b32_e32 v11, v10
	global_store_b128 v[4:5], v[8:11], off
.LBB339_1718:
	s_and_not1_b32 vcc_lo, exec_lo, s7
	s_cbranch_vccnz .LBB339_1720
; %bb.1719:
	s_wait_xcnt 0x0
	v_cndmask_b32_e64 v8, 0, 1.0, s6
	v_mov_b32_e32 v9, 0
	global_store_b64 v[4:5], v[8:9], off
.LBB339_1720:
	s_mov_b32 s7, 0
.LBB339_1721:
	s_delay_alu instid0(SALU_CYCLE_1)
	s_and_not1_b32 vcc_lo, exec_lo, s7
	s_cbranch_vccnz .LBB339_1723
; %bb.1722:
	s_wait_xcnt 0x0
	v_cndmask_b32_e64 v1, 0, 1.0, s6
	s_delay_alu instid0(VALU_DEP_1) | instskip(NEXT) | instid1(VALU_DEP_1)
	v_cvt_f16_f32_e32 v1, v1
	v_and_b32_e32 v1, 0xffff, v1
	global_store_b32 v[4:5], v1, off
.LBB339_1723:
	s_mov_b32 s7, 0
.LBB339_1724:
	s_delay_alu instid0(SALU_CYCLE_1)
	s_and_not1_b32 vcc_lo, exec_lo, s7
	s_cbranch_vccnz .LBB339_1733
; %bb.1725:
	s_cmp_lt_i32 s0, 6
	s_mov_b32 s7, -1
	s_cbranch_scc1 .LBB339_1731
; %bb.1726:
	s_cmp_gt_i32 s0, 6
	s_cbranch_scc0 .LBB339_1728
; %bb.1727:
	s_wait_xcnt 0x0
	v_cndmask_b32_e64 v1, 0, 1, s6
	s_mov_b32 s7, 0
	s_delay_alu instid0(VALU_DEP_1)
	v_cvt_f64_u32_e32 v[8:9], v1
	global_store_b64 v[4:5], v[8:9], off
.LBB339_1728:
	s_and_not1_b32 vcc_lo, exec_lo, s7
	s_cbranch_vccnz .LBB339_1730
; %bb.1729:
	s_wait_xcnt 0x0
	v_cndmask_b32_e64 v1, 0, 1.0, s6
	global_store_b32 v[4:5], v1, off
.LBB339_1730:
	s_mov_b32 s7, 0
.LBB339_1731:
	s_delay_alu instid0(SALU_CYCLE_1)
	s_and_not1_b32 vcc_lo, exec_lo, s7
	s_cbranch_vccnz .LBB339_1733
; %bb.1732:
	s_wait_xcnt 0x0
	v_cndmask_b32_e64 v1, 0, 1.0, s6
	s_delay_alu instid0(VALU_DEP_1)
	v_cvt_f16_f32_e32 v1, v1
	global_store_b16 v[4:5], v1, off
.LBB339_1733:
	s_mov_b32 s7, 0
.LBB339_1734:
	s_delay_alu instid0(SALU_CYCLE_1)
	s_and_not1_b32 vcc_lo, exec_lo, s7
	s_cbranch_vccnz .LBB339_1750
; %bb.1735:
	s_cmp_lt_i32 s0, 2
	s_mov_b32 s7, -1
	s_cbranch_scc1 .LBB339_1745
; %bb.1736:
	s_cmp_lt_i32 s0, 3
	s_cbranch_scc1 .LBB339_1742
; %bb.1737:
	s_cmp_gt_i32 s0, 3
	s_cbranch_scc0 .LBB339_1739
; %bb.1738:
	s_mov_b32 s7, 0
	s_wait_xcnt 0x0
	v_cndmask_b32_e64 v8, 0, 1, s6
	v_mov_b32_e32 v9, s7
	global_store_b64 v[4:5], v[8:9], off
.LBB339_1739:
	s_and_not1_b32 vcc_lo, exec_lo, s7
	s_cbranch_vccnz .LBB339_1741
; %bb.1740:
	s_wait_xcnt 0x0
	v_cndmask_b32_e64 v1, 0, 1, s6
	global_store_b32 v[4:5], v1, off
.LBB339_1741:
	s_mov_b32 s7, 0
.LBB339_1742:
	s_delay_alu instid0(SALU_CYCLE_1)
	s_and_not1_b32 vcc_lo, exec_lo, s7
	s_cbranch_vccnz .LBB339_1744
; %bb.1743:
	s_wait_xcnt 0x0
	v_cndmask_b32_e64 v1, 0, 1, s6
	global_store_b16 v[4:5], v1, off
.LBB339_1744:
	s_mov_b32 s7, 0
.LBB339_1745:
	s_delay_alu instid0(SALU_CYCLE_1)
	s_and_not1_b32 vcc_lo, exec_lo, s7
	s_cbranch_vccnz .LBB339_1750
; %bb.1746:
	s_wait_xcnt 0x0
	v_cndmask_b32_e64 v1, 0, 1, s6
	s_cmp_gt_i32 s0, 0
	s_mov_b32 s0, -1
	s_cbranch_scc0 .LBB339_1748
; %bb.1747:
	s_mov_b32 s0, 0
	global_store_b8 v[4:5], v1, off
.LBB339_1748:
	s_and_not1_b32 vcc_lo, exec_lo, s0
	s_cbranch_vccnz .LBB339_1750
; %bb.1749:
	global_store_b8 v[4:5], v1, off
.LBB339_1750:
	s_mov_b32 s9, -1
.LBB339_1751:
	s_delay_alu instid0(SALU_CYCLE_1)
	s_and_not1_b32 vcc_lo, exec_lo, s9
	s_cbranch_vccnz .LBB339_1947
; %bb.1752:
	s_wait_xcnt 0x0
	v_add_nc_u32_e32 v4, s2, v6
	v_cmp_ne_u16_e32 vcc_lo, s11, v2
	s_delay_alu instid0(VALU_DEP_2) | instskip(SKIP_2) | instid1(VALU_DEP_1)
	v_ashrrev_i32_e32 v5, 31, v4
	s_xor_b32 s6, s3, vcc_lo
	s_cmp_lt_i32 s14, 11
	v_add_nc_u64_e32 v[2:3], s[4:5], v[4:5]
	s_cbranch_scc1 .LBB339_1830
; %bb.1753:
	s_and_b32 s7, 0xffff, s14
	s_mov_b32 s10, -1
	s_mov_b32 s8, 0
	s_cmp_gt_i32 s7, 25
	s_mov_b32 s9, 0
	s_mov_b32 s0, 0
	s_cbranch_scc0 .LBB339_1786
; %bb.1754:
	s_cmp_gt_i32 s7, 28
	s_cbranch_scc0 .LBB339_1769
; %bb.1755:
	s_cmp_gt_i32 s7, 43
	;; [unrolled: 3-line block ×3, first 2 shown]
	s_cbranch_scc0 .LBB339_1759
; %bb.1757:
	s_mov_b32 s0, -1
	s_mov_b32 s10, 0
	s_cmp_eq_u32 s7, 46
	s_cbranch_scc0 .LBB339_1759
; %bb.1758:
	v_cndmask_b32_e64 v1, 0, 1.0, s6
	s_mov_b32 s0, 0
	s_mov_b32 s9, -1
	s_delay_alu instid0(VALU_DEP_1) | instskip(NEXT) | instid1(VALU_DEP_1)
	v_bfe_u32 v5, v1, 16, 1
	v_add3_u32 v1, v1, v5, 0x7fff
	s_delay_alu instid0(VALU_DEP_1)
	v_lshrrev_b32_e32 v1, 16, v1
	global_store_b32 v[2:3], v1, off
.LBB339_1759:
	s_and_b32 vcc_lo, exec_lo, s10
	s_cbranch_vccz .LBB339_1764
; %bb.1760:
	s_cmp_eq_u32 s7, 44
	s_mov_b32 s0, -1
	s_cbranch_scc0 .LBB339_1764
; %bb.1761:
	v_cndmask_b32_e64 v6, 0, 1.0, s6
	v_mov_b32_e32 v5, 0xff
	s_mov_b32 s9, exec_lo
	s_wait_xcnt 0x0
	s_delay_alu instid0(VALU_DEP_2) | instskip(NEXT) | instid1(VALU_DEP_1)
	v_lshrrev_b32_e32 v1, 23, v6
	v_cmpx_ne_u32_e32 0xff, v1
; %bb.1762:
	v_and_b32_e32 v5, 0x400000, v6
	v_and_or_b32 v6, 0x3fffff, v6, v1
	s_delay_alu instid0(VALU_DEP_2) | instskip(NEXT) | instid1(VALU_DEP_2)
	v_cmp_ne_u32_e32 vcc_lo, 0, v5
	v_cmp_ne_u32_e64 s0, 0, v6
	s_and_b32 s0, vcc_lo, s0
	s_delay_alu instid0(SALU_CYCLE_1) | instskip(NEXT) | instid1(VALU_DEP_1)
	v_cndmask_b32_e64 v5, 0, 1, s0
	v_add_nc_u32_e32 v5, v1, v5
; %bb.1763:
	s_or_b32 exec_lo, exec_lo, s9
	s_mov_b32 s0, 0
	s_mov_b32 s9, -1
	global_store_b8 v[2:3], v5, off
.LBB339_1764:
	s_mov_b32 s10, 0
.LBB339_1765:
	s_delay_alu instid0(SALU_CYCLE_1)
	s_and_b32 vcc_lo, exec_lo, s10
	s_cbranch_vccz .LBB339_1768
; %bb.1766:
	s_cmp_eq_u32 s7, 29
	s_mov_b32 s0, -1
	s_cbranch_scc0 .LBB339_1768
; %bb.1767:
	s_mov_b32 s0, 0
	v_cndmask_b32_e64 v6, 0, 1, s6
	v_mov_b32_e32 v7, s0
	s_mov_b32 s9, -1
	global_store_b64 v[2:3], v[6:7], off
.LBB339_1768:
	s_mov_b32 s10, 0
.LBB339_1769:
	s_delay_alu instid0(SALU_CYCLE_1)
	s_and_b32 vcc_lo, exec_lo, s10
	s_cbranch_vccz .LBB339_1785
; %bb.1770:
	s_cmp_lt_i32 s7, 27
	s_mov_b32 s9, -1
	s_cbranch_scc1 .LBB339_1776
; %bb.1771:
	s_cmp_gt_i32 s7, 27
	s_cbranch_scc0 .LBB339_1773
; %bb.1772:
	s_wait_xcnt 0x0
	v_cndmask_b32_e64 v1, 0, 1, s6
	s_mov_b32 s9, 0
	global_store_b32 v[2:3], v1, off
.LBB339_1773:
	s_and_not1_b32 vcc_lo, exec_lo, s9
	s_cbranch_vccnz .LBB339_1775
; %bb.1774:
	s_wait_xcnt 0x0
	v_cndmask_b32_e64 v1, 0, 1, s6
	global_store_b16 v[2:3], v1, off
.LBB339_1775:
	s_mov_b32 s9, 0
.LBB339_1776:
	s_delay_alu instid0(SALU_CYCLE_1)
	s_and_not1_b32 vcc_lo, exec_lo, s9
	s_cbranch_vccnz .LBB339_1784
; %bb.1777:
	s_wait_xcnt 0x0
	v_cndmask_b32_e64 v5, 0, 1.0, s6
	v_mov_b32_e32 v6, 0x80
	s_mov_b32 s9, exec_lo
	s_delay_alu instid0(VALU_DEP_2)
	v_cmpx_gt_u32_e32 0x43800000, v5
	s_cbranch_execz .LBB339_1783
; %bb.1778:
	s_mov_b32 s10, 0
	s_mov_b32 s15, exec_lo
                                        ; implicit-def: $vgpr1
	v_cmpx_lt_u32_e32 0x3bffffff, v5
	s_xor_b32 s15, exec_lo, s15
	s_cbranch_execz .LBB339_2004
; %bb.1779:
	v_bfe_u32 v1, v5, 20, 1
	s_mov_b32 s10, exec_lo
	s_delay_alu instid0(VALU_DEP_1) | instskip(NEXT) | instid1(VALU_DEP_1)
	v_add3_u32 v1, v5, v1, 0x487ffff
                                        ; implicit-def: $vgpr5
	v_lshrrev_b32_e32 v1, 20, v1
	s_and_not1_saveexec_b32 s15, s15
	s_cbranch_execnz .LBB339_2005
.LBB339_1780:
	s_or_b32 exec_lo, exec_lo, s15
	v_mov_b32_e32 v6, 0
	s_and_saveexec_b32 s15, s10
.LBB339_1781:
	v_mov_b32_e32 v6, v1
.LBB339_1782:
	s_or_b32 exec_lo, exec_lo, s15
.LBB339_1783:
	s_delay_alu instid0(SALU_CYCLE_1)
	s_or_b32 exec_lo, exec_lo, s9
	global_store_b8 v[2:3], v6, off
.LBB339_1784:
	s_mov_b32 s9, -1
.LBB339_1785:
	s_mov_b32 s10, 0
.LBB339_1786:
	s_delay_alu instid0(SALU_CYCLE_1)
	s_and_b32 vcc_lo, exec_lo, s10
	s_cbranch_vccz .LBB339_1826
; %bb.1787:
	s_cmp_gt_i32 s7, 22
	s_mov_b32 s8, -1
	s_cbranch_scc0 .LBB339_1819
; %bb.1788:
	s_cmp_lt_i32 s7, 24
	s_cbranch_scc1 .LBB339_1808
; %bb.1789:
	s_cmp_gt_i32 s7, 24
	s_cbranch_scc0 .LBB339_1797
; %bb.1790:
	s_wait_xcnt 0x0
	v_cndmask_b32_e64 v5, 0, 1.0, s6
	v_mov_b32_e32 v6, 0x80
	s_mov_b32 s8, exec_lo
	s_delay_alu instid0(VALU_DEP_2)
	v_cmpx_gt_u32_e32 0x47800000, v5
	s_cbranch_execz .LBB339_1796
; %bb.1791:
	s_mov_b32 s9, 0
	s_mov_b32 s10, exec_lo
                                        ; implicit-def: $vgpr1
	v_cmpx_lt_u32_e32 0x37ffffff, v5
	s_xor_b32 s10, exec_lo, s10
	s_cbranch_execz .LBB339_2007
; %bb.1792:
	v_bfe_u32 v1, v5, 21, 1
	s_mov_b32 s9, exec_lo
	s_delay_alu instid0(VALU_DEP_1) | instskip(NEXT) | instid1(VALU_DEP_1)
	v_add3_u32 v1, v5, v1, 0x88fffff
                                        ; implicit-def: $vgpr5
	v_lshrrev_b32_e32 v1, 21, v1
	s_and_not1_saveexec_b32 s10, s10
	s_cbranch_execnz .LBB339_2008
.LBB339_1793:
	s_or_b32 exec_lo, exec_lo, s10
	v_mov_b32_e32 v6, 0
	s_and_saveexec_b32 s10, s9
.LBB339_1794:
	v_mov_b32_e32 v6, v1
.LBB339_1795:
	s_or_b32 exec_lo, exec_lo, s10
.LBB339_1796:
	s_delay_alu instid0(SALU_CYCLE_1)
	s_or_b32 exec_lo, exec_lo, s8
	s_mov_b32 s8, 0
	global_store_b8 v[2:3], v6, off
.LBB339_1797:
	s_and_b32 vcc_lo, exec_lo, s8
	s_cbranch_vccz .LBB339_1807
; %bb.1798:
	s_wait_xcnt 0x0
	v_cndmask_b32_e64 v5, 0, 1.0, s6
	s_mov_b32 s8, exec_lo
                                        ; implicit-def: $vgpr1
	s_delay_alu instid0(VALU_DEP_1)
	v_cmpx_gt_u32_e32 0x43f00000, v5
	s_xor_b32 s8, exec_lo, s8
	s_cbranch_execz .LBB339_1804
; %bb.1799:
	s_mov_b32 s9, exec_lo
                                        ; implicit-def: $vgpr1
	v_cmpx_lt_u32_e32 0x3c7fffff, v5
	s_xor_b32 s9, exec_lo, s9
; %bb.1800:
	v_bfe_u32 v1, v5, 20, 1
	s_delay_alu instid0(VALU_DEP_1) | instskip(NEXT) | instid1(VALU_DEP_1)
	v_add3_u32 v1, v5, v1, 0x407ffff
	v_and_b32_e32 v5, 0xff00000, v1
	v_lshrrev_b32_e32 v1, 20, v1
	s_delay_alu instid0(VALU_DEP_2) | instskip(NEXT) | instid1(VALU_DEP_2)
	v_cmp_ne_u32_e32 vcc_lo, 0x7f00000, v5
                                        ; implicit-def: $vgpr5
	v_cndmask_b32_e32 v1, 0x7e, v1, vcc_lo
; %bb.1801:
	s_and_not1_saveexec_b32 s9, s9
; %bb.1802:
	v_add_f32_e32 v1, 0x46800000, v5
; %bb.1803:
	s_or_b32 exec_lo, exec_lo, s9
                                        ; implicit-def: $vgpr5
.LBB339_1804:
	s_and_not1_saveexec_b32 s8, s8
; %bb.1805:
	v_mov_b32_e32 v1, 0x7f
	v_cmp_lt_u32_e32 vcc_lo, 0x7f800000, v5
	s_delay_alu instid0(VALU_DEP_2)
	v_cndmask_b32_e32 v1, 0x7e, v1, vcc_lo
; %bb.1806:
	s_or_b32 exec_lo, exec_lo, s8
	global_store_b8 v[2:3], v1, off
.LBB339_1807:
	s_mov_b32 s8, 0
.LBB339_1808:
	s_delay_alu instid0(SALU_CYCLE_1)
	s_and_not1_b32 vcc_lo, exec_lo, s8
	s_cbranch_vccnz .LBB339_1818
; %bb.1809:
	s_wait_xcnt 0x0
	v_cndmask_b32_e64 v5, 0, 1.0, s6
	s_mov_b32 s8, exec_lo
                                        ; implicit-def: $vgpr1
	s_delay_alu instid0(VALU_DEP_1)
	v_cmpx_gt_u32_e32 0x47800000, v5
	s_xor_b32 s8, exec_lo, s8
	s_cbranch_execz .LBB339_1815
; %bb.1810:
	s_mov_b32 s9, exec_lo
                                        ; implicit-def: $vgpr1
	v_cmpx_lt_u32_e32 0x387fffff, v5
	s_xor_b32 s9, exec_lo, s9
; %bb.1811:
	v_bfe_u32 v1, v5, 21, 1
	s_delay_alu instid0(VALU_DEP_1) | instskip(NEXT) | instid1(VALU_DEP_1)
	v_add3_u32 v1, v5, v1, 0x80fffff
                                        ; implicit-def: $vgpr5
	v_lshrrev_b32_e32 v1, 21, v1
; %bb.1812:
	s_and_not1_saveexec_b32 s9, s9
; %bb.1813:
	v_add_f32_e32 v1, 0x43000000, v5
; %bb.1814:
	s_or_b32 exec_lo, exec_lo, s9
                                        ; implicit-def: $vgpr5
.LBB339_1815:
	s_and_not1_saveexec_b32 s8, s8
; %bb.1816:
	v_mov_b32_e32 v1, 0x7f
	v_cmp_lt_u32_e32 vcc_lo, 0x7f800000, v5
	s_delay_alu instid0(VALU_DEP_2)
	v_cndmask_b32_e32 v1, 0x7c, v1, vcc_lo
; %bb.1817:
	s_or_b32 exec_lo, exec_lo, s8
	global_store_b8 v[2:3], v1, off
.LBB339_1818:
	s_mov_b32 s8, 0
	s_mov_b32 s9, -1
.LBB339_1819:
	s_and_not1_b32 vcc_lo, exec_lo, s8
	s_mov_b32 s8, 0
	s_cbranch_vccnz .LBB339_1826
; %bb.1820:
	s_cmp_gt_i32 s7, 14
	s_mov_b32 s8, -1
	s_cbranch_scc0 .LBB339_1824
; %bb.1821:
	s_cmp_eq_u32 s7, 15
	s_mov_b32 s0, -1
	s_cbranch_scc0 .LBB339_1823
; %bb.1822:
	s_wait_xcnt 0x0
	v_cndmask_b32_e64 v1, 0, 1.0, s6
	s_mov_b32 s0, 0
	s_mov_b32 s9, -1
	s_delay_alu instid0(VALU_DEP_1) | instskip(NEXT) | instid1(VALU_DEP_1)
	v_bfe_u32 v5, v1, 16, 1
	v_add3_u32 v1, v1, v5, 0x7fff
	global_store_d16_hi_b16 v[2:3], v1, off
.LBB339_1823:
	s_mov_b32 s8, 0
.LBB339_1824:
	s_delay_alu instid0(SALU_CYCLE_1)
	s_and_b32 vcc_lo, exec_lo, s8
	s_mov_b32 s8, 0
	s_cbranch_vccz .LBB339_1826
; %bb.1825:
	s_cmp_lg_u32 s7, 11
	s_mov_b32 s8, -1
	s_cselect_b32 s0, -1, 0
.LBB339_1826:
	s_delay_alu instid0(SALU_CYCLE_1)
	s_and_b32 vcc_lo, exec_lo, s0
	s_cbranch_vccnz .LBB339_2006
; %bb.1827:
	s_and_not1_b32 vcc_lo, exec_lo, s8
	s_cbranch_vccnz .LBB339_1829
.LBB339_1828:
	s_wait_xcnt 0x0
	v_cndmask_b32_e64 v1, 0, 1, s6
	s_mov_b32 s9, -1
	global_store_b8 v[2:3], v1, off
.LBB339_1829:
	s_mov_b32 s0, 0
	s_branch .LBB339_1831
.LBB339_1830:
	s_mov_b32 s0, -1
	s_mov_b32 s9, 0
.LBB339_1831:
	s_and_b32 vcc_lo, exec_lo, s0
	s_cbranch_vccz .LBB339_1870
; %bb.1832:
	s_and_b32 s0, 0xffff, s14
	s_mov_b32 s7, -1
	s_cmp_lt_i32 s0, 5
	s_cbranch_scc1 .LBB339_1853
; %bb.1833:
	s_cmp_lt_i32 s0, 8
	s_cbranch_scc1 .LBB339_1843
; %bb.1834:
	;; [unrolled: 3-line block ×3, first 2 shown]
	s_cmp_gt_i32 s0, 9
	s_cbranch_scc0 .LBB339_1837
; %bb.1836:
	s_wait_xcnt 0x0
	v_cndmask_b32_e64 v1, 0, 1, s6
	v_mov_b32_e32 v8, 0
	s_mov_b32 s7, 0
	s_delay_alu instid0(VALU_DEP_2) | instskip(NEXT) | instid1(VALU_DEP_2)
	v_cvt_f64_u32_e32 v[6:7], v1
	v_mov_b32_e32 v9, v8
	global_store_b128 v[2:3], v[6:9], off
.LBB339_1837:
	s_and_not1_b32 vcc_lo, exec_lo, s7
	s_cbranch_vccnz .LBB339_1839
; %bb.1838:
	s_wait_xcnt 0x0
	v_cndmask_b32_e64 v6, 0, 1.0, s6
	v_mov_b32_e32 v7, 0
	global_store_b64 v[2:3], v[6:7], off
.LBB339_1839:
	s_mov_b32 s7, 0
.LBB339_1840:
	s_delay_alu instid0(SALU_CYCLE_1)
	s_and_not1_b32 vcc_lo, exec_lo, s7
	s_cbranch_vccnz .LBB339_1842
; %bb.1841:
	s_wait_xcnt 0x0
	v_cndmask_b32_e64 v1, 0, 1.0, s6
	s_delay_alu instid0(VALU_DEP_1) | instskip(NEXT) | instid1(VALU_DEP_1)
	v_cvt_f16_f32_e32 v1, v1
	v_and_b32_e32 v1, 0xffff, v1
	global_store_b32 v[2:3], v1, off
.LBB339_1842:
	s_mov_b32 s7, 0
.LBB339_1843:
	s_delay_alu instid0(SALU_CYCLE_1)
	s_and_not1_b32 vcc_lo, exec_lo, s7
	s_cbranch_vccnz .LBB339_1852
; %bb.1844:
	s_cmp_lt_i32 s0, 6
	s_mov_b32 s7, -1
	s_cbranch_scc1 .LBB339_1850
; %bb.1845:
	s_cmp_gt_i32 s0, 6
	s_cbranch_scc0 .LBB339_1847
; %bb.1846:
	s_wait_xcnt 0x0
	v_cndmask_b32_e64 v1, 0, 1, s6
	s_mov_b32 s7, 0
	s_delay_alu instid0(VALU_DEP_1)
	v_cvt_f64_u32_e32 v[6:7], v1
	global_store_b64 v[2:3], v[6:7], off
.LBB339_1847:
	s_and_not1_b32 vcc_lo, exec_lo, s7
	s_cbranch_vccnz .LBB339_1849
; %bb.1848:
	s_wait_xcnt 0x0
	v_cndmask_b32_e64 v1, 0, 1.0, s6
	global_store_b32 v[2:3], v1, off
.LBB339_1849:
	s_mov_b32 s7, 0
.LBB339_1850:
	s_delay_alu instid0(SALU_CYCLE_1)
	s_and_not1_b32 vcc_lo, exec_lo, s7
	s_cbranch_vccnz .LBB339_1852
; %bb.1851:
	s_wait_xcnt 0x0
	v_cndmask_b32_e64 v1, 0, 1.0, s6
	s_delay_alu instid0(VALU_DEP_1)
	v_cvt_f16_f32_e32 v1, v1
	global_store_b16 v[2:3], v1, off
.LBB339_1852:
	s_mov_b32 s7, 0
.LBB339_1853:
	s_delay_alu instid0(SALU_CYCLE_1)
	s_and_not1_b32 vcc_lo, exec_lo, s7
	s_cbranch_vccnz .LBB339_1869
; %bb.1854:
	s_cmp_lt_i32 s0, 2
	s_mov_b32 s7, -1
	s_cbranch_scc1 .LBB339_1864
; %bb.1855:
	s_cmp_lt_i32 s0, 3
	s_cbranch_scc1 .LBB339_1861
; %bb.1856:
	s_cmp_gt_i32 s0, 3
	s_cbranch_scc0 .LBB339_1858
; %bb.1857:
	s_mov_b32 s7, 0
	s_wait_xcnt 0x0
	v_cndmask_b32_e64 v6, 0, 1, s6
	v_mov_b32_e32 v7, s7
	global_store_b64 v[2:3], v[6:7], off
.LBB339_1858:
	s_and_not1_b32 vcc_lo, exec_lo, s7
	s_cbranch_vccnz .LBB339_1860
; %bb.1859:
	s_wait_xcnt 0x0
	v_cndmask_b32_e64 v1, 0, 1, s6
	global_store_b32 v[2:3], v1, off
.LBB339_1860:
	s_mov_b32 s7, 0
.LBB339_1861:
	s_delay_alu instid0(SALU_CYCLE_1)
	s_and_not1_b32 vcc_lo, exec_lo, s7
	s_cbranch_vccnz .LBB339_1863
; %bb.1862:
	s_wait_xcnt 0x0
	v_cndmask_b32_e64 v1, 0, 1, s6
	global_store_b16 v[2:3], v1, off
.LBB339_1863:
	s_mov_b32 s7, 0
.LBB339_1864:
	s_delay_alu instid0(SALU_CYCLE_1)
	s_and_not1_b32 vcc_lo, exec_lo, s7
	s_cbranch_vccnz .LBB339_1869
; %bb.1865:
	s_wait_xcnt 0x0
	v_cndmask_b32_e64 v1, 0, 1, s6
	s_cmp_gt_i32 s0, 0
	s_mov_b32 s0, -1
	s_cbranch_scc0 .LBB339_1867
; %bb.1866:
	s_mov_b32 s0, 0
	global_store_b8 v[2:3], v1, off
.LBB339_1867:
	s_and_not1_b32 vcc_lo, exec_lo, s0
	s_cbranch_vccnz .LBB339_1869
; %bb.1868:
	global_store_b8 v[2:3], v1, off
.LBB339_1869:
	s_mov_b32 s9, -1
.LBB339_1870:
	s_delay_alu instid0(SALU_CYCLE_1)
	s_and_not1_b32 vcc_lo, exec_lo, s9
	s_cbranch_vccnz .LBB339_1947
; %bb.1871:
	s_wait_xcnt 0x0
	v_add_nc_u32_e32 v2, s2, v4
	v_cmp_ne_u16_e32 vcc_lo, s11, v0
	s_delay_alu instid0(VALU_DEP_2) | instskip(SKIP_2) | instid1(VALU_DEP_1)
	v_ashrrev_i32_e32 v3, 31, v2
	s_xor_b32 s15, s3, vcc_lo
	s_cmp_lt_i32 s14, 11
	v_add_nc_u64_e32 v[0:1], s[4:5], v[2:3]
	s_cbranch_scc1 .LBB339_1992
; %bb.1872:
	s_and_b32 s2, 0xffff, s14
	s_mov_b32 s4, -1
	s_mov_b32 s3, 0
	s_cmp_gt_i32 s2, 25
	s_mov_b32 s0, 0
	s_cbranch_scc0 .LBB339_1905
; %bb.1873:
	s_cmp_gt_i32 s2, 28
	s_cbranch_scc0 .LBB339_1889
; %bb.1874:
	s_cmp_gt_i32 s2, 43
	;; [unrolled: 3-line block ×3, first 2 shown]
	s_cbranch_scc0 .LBB339_1879
; %bb.1876:
	s_cmp_eq_u32 s2, 46
	s_mov_b32 s0, -1
	s_cbranch_scc0 .LBB339_1878
; %bb.1877:
	v_cndmask_b32_e64 v2, 0, 1.0, s15
	s_mov_b32 s0, 0
	s_delay_alu instid0(VALU_DEP_1) | instskip(NEXT) | instid1(VALU_DEP_1)
	v_bfe_u32 v3, v2, 16, 1
	v_add3_u32 v2, v2, v3, 0x7fff
	s_delay_alu instid0(VALU_DEP_1)
	v_lshrrev_b32_e32 v2, 16, v2
	global_store_b32 v[0:1], v2, off
.LBB339_1878:
	s_mov_b32 s4, 0
.LBB339_1879:
	s_delay_alu instid0(SALU_CYCLE_1)
	s_and_b32 vcc_lo, exec_lo, s4
	s_cbranch_vccz .LBB339_1884
; %bb.1880:
	s_cmp_eq_u32 s2, 44
	s_mov_b32 s0, -1
	s_cbranch_scc0 .LBB339_1884
; %bb.1881:
	v_cndmask_b32_e64 v4, 0, 1.0, s15
	s_mov_b32 s4, exec_lo
	s_wait_xcnt 0x0
	s_delay_alu instid0(VALU_DEP_1) | instskip(NEXT) | instid1(VALU_DEP_1)
	v_dual_mov_b32 v3, 0xff :: v_dual_lshrrev_b32 v2, 23, v4
	v_cmpx_ne_u32_e32 0xff, v2
; %bb.1882:
	v_and_b32_e32 v3, 0x400000, v4
	v_and_or_b32 v4, 0x3fffff, v4, v2
	s_delay_alu instid0(VALU_DEP_2) | instskip(NEXT) | instid1(VALU_DEP_2)
	v_cmp_ne_u32_e32 vcc_lo, 0, v3
	v_cmp_ne_u32_e64 s0, 0, v4
	s_and_b32 s0, vcc_lo, s0
	s_delay_alu instid0(SALU_CYCLE_1) | instskip(NEXT) | instid1(VALU_DEP_1)
	v_cndmask_b32_e64 v3, 0, 1, s0
	v_add_nc_u32_e32 v3, v2, v3
; %bb.1883:
	s_or_b32 exec_lo, exec_lo, s4
	s_mov_b32 s0, 0
	global_store_b8 v[0:1], v3, off
.LBB339_1884:
	s_mov_b32 s4, 0
.LBB339_1885:
	s_delay_alu instid0(SALU_CYCLE_1)
	s_and_b32 vcc_lo, exec_lo, s4
	s_cbranch_vccz .LBB339_1888
; %bb.1886:
	s_cmp_eq_u32 s2, 29
	s_mov_b32 s0, -1
	s_cbranch_scc0 .LBB339_1888
; %bb.1887:
	s_mov_b32 s0, 0
	s_wait_xcnt 0x0
	v_cndmask_b32_e64 v2, 0, 1, s15
	v_mov_b32_e32 v3, s0
	global_store_b64 v[0:1], v[2:3], off
.LBB339_1888:
	s_mov_b32 s4, 0
.LBB339_1889:
	s_delay_alu instid0(SALU_CYCLE_1)
	s_and_b32 vcc_lo, exec_lo, s4
	s_cbranch_vccz .LBB339_1904
; %bb.1890:
	s_cmp_lt_i32 s2, 27
	s_mov_b32 s4, -1
	s_cbranch_scc1 .LBB339_1896
; %bb.1891:
	s_wait_xcnt 0x0
	v_cndmask_b32_e64 v2, 0, 1, s15
	s_cmp_gt_i32 s2, 27
	s_cbranch_scc0 .LBB339_1893
; %bb.1892:
	s_mov_b32 s4, 0
	global_store_b32 v[0:1], v2, off
.LBB339_1893:
	s_and_not1_b32 vcc_lo, exec_lo, s4
	s_cbranch_vccnz .LBB339_1895
; %bb.1894:
	global_store_b16 v[0:1], v2, off
.LBB339_1895:
	s_mov_b32 s4, 0
.LBB339_1896:
	s_delay_alu instid0(SALU_CYCLE_1)
	s_and_not1_b32 vcc_lo, exec_lo, s4
	s_cbranch_vccnz .LBB339_1904
; %bb.1897:
	s_wait_xcnt 0x0
	v_cndmask_b32_e64 v3, 0, 1.0, s15
	v_mov_b32_e32 v4, 0x80
	s_mov_b32 s4, exec_lo
	s_delay_alu instid0(VALU_DEP_2)
	v_cmpx_gt_u32_e32 0x43800000, v3
	s_cbranch_execz .LBB339_1903
; %bb.1898:
	s_mov_b32 s5, 0
	s_mov_b32 s6, exec_lo
                                        ; implicit-def: $vgpr2
	v_cmpx_lt_u32_e32 0x3bffffff, v3
	s_xor_b32 s6, exec_lo, s6
	s_cbranch_execz .LBB339_2009
; %bb.1899:
	v_bfe_u32 v2, v3, 20, 1
	s_mov_b32 s5, exec_lo
	s_delay_alu instid0(VALU_DEP_1) | instskip(NEXT) | instid1(VALU_DEP_1)
	v_add3_u32 v2, v3, v2, 0x487ffff
                                        ; implicit-def: $vgpr3
	v_lshrrev_b32_e32 v2, 20, v2
	s_and_not1_saveexec_b32 s6, s6
	s_cbranch_execnz .LBB339_2010
.LBB339_1900:
	s_or_b32 exec_lo, exec_lo, s6
	v_mov_b32_e32 v4, 0
	s_and_saveexec_b32 s6, s5
.LBB339_1901:
	v_mov_b32_e32 v4, v2
.LBB339_1902:
	s_or_b32 exec_lo, exec_lo, s6
.LBB339_1903:
	s_delay_alu instid0(SALU_CYCLE_1)
	s_or_b32 exec_lo, exec_lo, s4
	global_store_b8 v[0:1], v4, off
.LBB339_1904:
	s_mov_b32 s4, 0
.LBB339_1905:
	s_delay_alu instid0(SALU_CYCLE_1)
	s_and_b32 vcc_lo, exec_lo, s4
	s_cbranch_vccz .LBB339_1945
; %bb.1906:
	s_cmp_gt_i32 s2, 22
	s_mov_b32 s3, -1
	s_cbranch_scc0 .LBB339_1938
; %bb.1907:
	s_cmp_lt_i32 s2, 24
	s_cbranch_scc1 .LBB339_1927
; %bb.1908:
	s_cmp_gt_i32 s2, 24
	s_cbranch_scc0 .LBB339_1916
; %bb.1909:
	s_wait_xcnt 0x0
	v_cndmask_b32_e64 v3, 0, 1.0, s15
	v_mov_b32_e32 v4, 0x80
	s_mov_b32 s3, exec_lo
	s_delay_alu instid0(VALU_DEP_2)
	v_cmpx_gt_u32_e32 0x47800000, v3
	s_cbranch_execz .LBB339_1915
; %bb.1910:
	s_mov_b32 s4, 0
	s_mov_b32 s5, exec_lo
                                        ; implicit-def: $vgpr2
	v_cmpx_lt_u32_e32 0x37ffffff, v3
	s_xor_b32 s5, exec_lo, s5
	s_cbranch_execz .LBB339_2012
; %bb.1911:
	v_bfe_u32 v2, v3, 21, 1
	s_mov_b32 s4, exec_lo
	s_delay_alu instid0(VALU_DEP_1) | instskip(NEXT) | instid1(VALU_DEP_1)
	v_add3_u32 v2, v3, v2, 0x88fffff
                                        ; implicit-def: $vgpr3
	v_lshrrev_b32_e32 v2, 21, v2
	s_and_not1_saveexec_b32 s5, s5
	s_cbranch_execnz .LBB339_2013
.LBB339_1912:
	s_or_b32 exec_lo, exec_lo, s5
	v_mov_b32_e32 v4, 0
	s_and_saveexec_b32 s5, s4
.LBB339_1913:
	v_mov_b32_e32 v4, v2
.LBB339_1914:
	s_or_b32 exec_lo, exec_lo, s5
.LBB339_1915:
	s_delay_alu instid0(SALU_CYCLE_1)
	s_or_b32 exec_lo, exec_lo, s3
	s_mov_b32 s3, 0
	global_store_b8 v[0:1], v4, off
.LBB339_1916:
	s_and_b32 vcc_lo, exec_lo, s3
	s_cbranch_vccz .LBB339_1926
; %bb.1917:
	s_wait_xcnt 0x0
	v_cndmask_b32_e64 v3, 0, 1.0, s15
	s_mov_b32 s3, exec_lo
                                        ; implicit-def: $vgpr2
	s_delay_alu instid0(VALU_DEP_1)
	v_cmpx_gt_u32_e32 0x43f00000, v3
	s_xor_b32 s3, exec_lo, s3
	s_cbranch_execz .LBB339_1923
; %bb.1918:
	s_mov_b32 s4, exec_lo
                                        ; implicit-def: $vgpr2
	v_cmpx_lt_u32_e32 0x3c7fffff, v3
	s_xor_b32 s4, exec_lo, s4
; %bb.1919:
	v_bfe_u32 v2, v3, 20, 1
	s_delay_alu instid0(VALU_DEP_1) | instskip(NEXT) | instid1(VALU_DEP_1)
	v_add3_u32 v2, v3, v2, 0x407ffff
	v_and_b32_e32 v3, 0xff00000, v2
	v_lshrrev_b32_e32 v2, 20, v2
	s_delay_alu instid0(VALU_DEP_2) | instskip(NEXT) | instid1(VALU_DEP_2)
	v_cmp_ne_u32_e32 vcc_lo, 0x7f00000, v3
                                        ; implicit-def: $vgpr3
	v_cndmask_b32_e32 v2, 0x7e, v2, vcc_lo
; %bb.1920:
	s_and_not1_saveexec_b32 s4, s4
; %bb.1921:
	v_add_f32_e32 v2, 0x46800000, v3
; %bb.1922:
	s_or_b32 exec_lo, exec_lo, s4
                                        ; implicit-def: $vgpr3
.LBB339_1923:
	s_and_not1_saveexec_b32 s3, s3
; %bb.1924:
	v_mov_b32_e32 v2, 0x7f
	v_cmp_lt_u32_e32 vcc_lo, 0x7f800000, v3
	s_delay_alu instid0(VALU_DEP_2)
	v_cndmask_b32_e32 v2, 0x7e, v2, vcc_lo
; %bb.1925:
	s_or_b32 exec_lo, exec_lo, s3
	global_store_b8 v[0:1], v2, off
.LBB339_1926:
	s_mov_b32 s3, 0
.LBB339_1927:
	s_delay_alu instid0(SALU_CYCLE_1)
	s_and_not1_b32 vcc_lo, exec_lo, s3
	s_cbranch_vccnz .LBB339_1937
; %bb.1928:
	s_wait_xcnt 0x0
	v_cndmask_b32_e64 v3, 0, 1.0, s15
	s_mov_b32 s3, exec_lo
                                        ; implicit-def: $vgpr2
	s_delay_alu instid0(VALU_DEP_1)
	v_cmpx_gt_u32_e32 0x47800000, v3
	s_xor_b32 s3, exec_lo, s3
	s_cbranch_execz .LBB339_1934
; %bb.1929:
	s_mov_b32 s4, exec_lo
                                        ; implicit-def: $vgpr2
	v_cmpx_lt_u32_e32 0x387fffff, v3
	s_xor_b32 s4, exec_lo, s4
; %bb.1930:
	v_bfe_u32 v2, v3, 21, 1
	s_delay_alu instid0(VALU_DEP_1) | instskip(NEXT) | instid1(VALU_DEP_1)
	v_add3_u32 v2, v3, v2, 0x80fffff
                                        ; implicit-def: $vgpr3
	v_lshrrev_b32_e32 v2, 21, v2
; %bb.1931:
	s_and_not1_saveexec_b32 s4, s4
; %bb.1932:
	v_add_f32_e32 v2, 0x43000000, v3
; %bb.1933:
	s_or_b32 exec_lo, exec_lo, s4
                                        ; implicit-def: $vgpr3
.LBB339_1934:
	s_and_not1_saveexec_b32 s3, s3
; %bb.1935:
	v_mov_b32_e32 v2, 0x7f
	v_cmp_lt_u32_e32 vcc_lo, 0x7f800000, v3
	s_delay_alu instid0(VALU_DEP_2)
	v_cndmask_b32_e32 v2, 0x7c, v2, vcc_lo
; %bb.1936:
	s_or_b32 exec_lo, exec_lo, s3
	global_store_b8 v[0:1], v2, off
.LBB339_1937:
	s_mov_b32 s3, 0
.LBB339_1938:
	s_delay_alu instid0(SALU_CYCLE_1)
	s_and_not1_b32 vcc_lo, exec_lo, s3
	s_mov_b32 s3, 0
	s_cbranch_vccnz .LBB339_1945
; %bb.1939:
	s_cmp_gt_i32 s2, 14
	s_mov_b32 s3, -1
	s_cbranch_scc0 .LBB339_1943
; %bb.1940:
	s_cmp_eq_u32 s2, 15
	s_mov_b32 s0, -1
	s_cbranch_scc0 .LBB339_1942
; %bb.1941:
	s_wait_xcnt 0x0
	v_cndmask_b32_e64 v2, 0, 1.0, s15
	s_mov_b32 s0, 0
	s_delay_alu instid0(VALU_DEP_1) | instskip(NEXT) | instid1(VALU_DEP_1)
	v_bfe_u32 v3, v2, 16, 1
	v_add3_u32 v2, v2, v3, 0x7fff
	global_store_d16_hi_b16 v[0:1], v2, off
.LBB339_1942:
	s_mov_b32 s3, 0
.LBB339_1943:
	s_delay_alu instid0(SALU_CYCLE_1)
	s_and_b32 vcc_lo, exec_lo, s3
	s_mov_b32 s3, 0
	s_cbranch_vccz .LBB339_1945
; %bb.1944:
	s_cmp_lg_u32 s2, 11
	s_mov_b32 s3, -1
	s_cselect_b32 s0, -1, 0
.LBB339_1945:
	s_delay_alu instid0(SALU_CYCLE_1)
	s_and_b32 vcc_lo, exec_lo, s0
	s_cbranch_vccnz .LBB339_2011
.LBB339_1946:
	s_mov_b32 s0, 0
	s_branch .LBB339_1948
.LBB339_1947:
	s_mov_b32 s0, 0
	s_mov_b32 s3, 0
                                        ; implicit-def: $sgpr15
                                        ; implicit-def: $sgpr14
                                        ; implicit-def: $vgpr0_vgpr1
.LBB339_1948:
	s_and_not1_b32 s2, s13, exec_lo
	s_and_b32 s4, s1, exec_lo
	s_and_b32 s0, s0, exec_lo
	;; [unrolled: 1-line block ×3, first 2 shown]
	s_or_b32 s13, s2, s4
.LBB339_1949:
	s_wait_xcnt 0x0
	s_or_b32 exec_lo, exec_lo, s12
	s_and_saveexec_b32 s2, s13
	s_cbranch_execz .LBB339_1952
; %bb.1950:
	; divergent unreachable
	s_or_b32 exec_lo, exec_lo, s2
	s_and_saveexec_b32 s2, s1
	s_delay_alu instid0(SALU_CYCLE_1)
	s_xor_b32 s1, exec_lo, s2
	s_cbranch_execnz .LBB339_1953
.LBB339_1951:
	s_or_b32 exec_lo, exec_lo, s1
	s_and_saveexec_b32 s1, s0
	s_cbranch_execnz .LBB339_1954
	s_branch .LBB339_1991
.LBB339_1952:
	s_or_b32 exec_lo, exec_lo, s2
	s_and_saveexec_b32 s2, s1
	s_delay_alu instid0(SALU_CYCLE_1)
	s_xor_b32 s1, exec_lo, s2
	s_cbranch_execz .LBB339_1951
.LBB339_1953:
	s_wait_loadcnt 0x0
	v_cndmask_b32_e64 v2, 0, 1, s15
	global_store_b8 v[0:1], v2, off
	s_wait_xcnt 0x0
	s_or_b32 exec_lo, exec_lo, s1
	s_and_saveexec_b32 s1, s0
	s_cbranch_execz .LBB339_1991
.LBB339_1954:
	s_sext_i32_i16 s1, s14
	s_mov_b32 s0, -1
	s_cmp_lt_i32 s1, 5
	s_cbranch_scc1 .LBB339_1975
; %bb.1955:
	s_cmp_lt_i32 s1, 8
	s_cbranch_scc1 .LBB339_1965
; %bb.1956:
	;; [unrolled: 3-line block ×3, first 2 shown]
	s_cmp_gt_i32 s1, 9
	s_cbranch_scc0 .LBB339_1959
; %bb.1958:
	s_wait_loadcnt 0x0
	v_cndmask_b32_e64 v2, 0, 1, s15
	v_mov_b32_e32 v4, 0
	s_mov_b32 s0, 0
	s_delay_alu instid0(VALU_DEP_2) | instskip(NEXT) | instid1(VALU_DEP_2)
	v_cvt_f64_u32_e32 v[2:3], v2
	v_mov_b32_e32 v5, v4
	global_store_b128 v[0:1], v[2:5], off
.LBB339_1959:
	s_and_not1_b32 vcc_lo, exec_lo, s0
	s_cbranch_vccnz .LBB339_1961
; %bb.1960:
	s_wait_loadcnt 0x0
	v_cndmask_b32_e64 v2, 0, 1.0, s15
	v_mov_b32_e32 v3, 0
	global_store_b64 v[0:1], v[2:3], off
.LBB339_1961:
	s_mov_b32 s0, 0
.LBB339_1962:
	s_delay_alu instid0(SALU_CYCLE_1)
	s_and_not1_b32 vcc_lo, exec_lo, s0
	s_cbranch_vccnz .LBB339_1964
; %bb.1963:
	s_wait_loadcnt 0x0
	v_cndmask_b32_e64 v2, 0, 1.0, s15
	s_delay_alu instid0(VALU_DEP_1) | instskip(NEXT) | instid1(VALU_DEP_1)
	v_cvt_f16_f32_e32 v2, v2
	v_and_b32_e32 v2, 0xffff, v2
	global_store_b32 v[0:1], v2, off
.LBB339_1964:
	s_mov_b32 s0, 0
.LBB339_1965:
	s_delay_alu instid0(SALU_CYCLE_1)
	s_and_not1_b32 vcc_lo, exec_lo, s0
	s_cbranch_vccnz .LBB339_1974
; %bb.1966:
	s_sext_i32_i16 s1, s14
	s_mov_b32 s0, -1
	s_cmp_lt_i32 s1, 6
	s_cbranch_scc1 .LBB339_1972
; %bb.1967:
	s_cmp_gt_i32 s1, 6
	s_cbranch_scc0 .LBB339_1969
; %bb.1968:
	s_wait_loadcnt 0x0
	v_cndmask_b32_e64 v2, 0, 1, s15
	s_mov_b32 s0, 0
	s_delay_alu instid0(VALU_DEP_1)
	v_cvt_f64_u32_e32 v[2:3], v2
	global_store_b64 v[0:1], v[2:3], off
.LBB339_1969:
	s_and_not1_b32 vcc_lo, exec_lo, s0
	s_cbranch_vccnz .LBB339_1971
; %bb.1970:
	s_wait_loadcnt 0x0
	v_cndmask_b32_e64 v2, 0, 1.0, s15
	global_store_b32 v[0:1], v2, off
.LBB339_1971:
	s_mov_b32 s0, 0
.LBB339_1972:
	s_delay_alu instid0(SALU_CYCLE_1)
	s_and_not1_b32 vcc_lo, exec_lo, s0
	s_cbranch_vccnz .LBB339_1974
; %bb.1973:
	s_wait_loadcnt 0x0
	v_cndmask_b32_e64 v2, 0, 1.0, s15
	s_delay_alu instid0(VALU_DEP_1)
	v_cvt_f16_f32_e32 v2, v2
	global_store_b16 v[0:1], v2, off
.LBB339_1974:
	s_mov_b32 s0, 0
.LBB339_1975:
	s_delay_alu instid0(SALU_CYCLE_1)
	s_and_not1_b32 vcc_lo, exec_lo, s0
	s_cbranch_vccnz .LBB339_1991
; %bb.1976:
	s_sext_i32_i16 s1, s14
	s_mov_b32 s0, -1
	s_cmp_lt_i32 s1, 2
	s_cbranch_scc1 .LBB339_1986
; %bb.1977:
	s_cmp_lt_i32 s1, 3
	s_cbranch_scc1 .LBB339_1983
; %bb.1978:
	s_cmp_gt_i32 s1, 3
	s_cbranch_scc0 .LBB339_1980
; %bb.1979:
	s_mov_b32 s0, 0
	s_wait_loadcnt 0x0
	v_cndmask_b32_e64 v2, 0, 1, s15
	v_mov_b32_e32 v3, s0
	global_store_b64 v[0:1], v[2:3], off
.LBB339_1980:
	s_and_not1_b32 vcc_lo, exec_lo, s0
	s_cbranch_vccnz .LBB339_1982
; %bb.1981:
	s_wait_loadcnt 0x0
	v_cndmask_b32_e64 v2, 0, 1, s15
	global_store_b32 v[0:1], v2, off
.LBB339_1982:
	s_mov_b32 s0, 0
.LBB339_1983:
	s_delay_alu instid0(SALU_CYCLE_1)
	s_and_not1_b32 vcc_lo, exec_lo, s0
	s_cbranch_vccnz .LBB339_1985
; %bb.1984:
	s_wait_loadcnt 0x0
	v_cndmask_b32_e64 v2, 0, 1, s15
	global_store_b16 v[0:1], v2, off
.LBB339_1985:
	s_mov_b32 s0, 0
.LBB339_1986:
	s_delay_alu instid0(SALU_CYCLE_1)
	s_and_not1_b32 vcc_lo, exec_lo, s0
	s_cbranch_vccnz .LBB339_1991
; %bb.1987:
	s_wait_loadcnt 0x0
	v_cndmask_b32_e64 v2, 0, 1, s15
	s_sext_i32_i16 s0, s14
	s_delay_alu instid0(SALU_CYCLE_1)
	s_cmp_gt_i32 s0, 0
	s_mov_b32 s0, -1
	s_cbranch_scc0 .LBB339_1989
; %bb.1988:
	s_mov_b32 s0, 0
	global_store_b8 v[0:1], v2, off
.LBB339_1989:
	s_and_not1_b32 vcc_lo, exec_lo, s0
	s_cbranch_vccnz .LBB339_1991
; %bb.1990:
	global_store_b8 v[0:1], v2, off
	s_endpgm
.LBB339_1991:
	s_endpgm
.LBB339_1992:
	s_mov_b32 s3, 0
	s_mov_b32 s0, -1
	s_branch .LBB339_1948
.LBB339_1993:
	s_or_b32 s1, s1, exec_lo
	s_trap 2
	s_cbranch_execz .LBB339_1463
	s_branch .LBB339_1464
.LBB339_1994:
	s_and_not1_saveexec_b32 s15, s15
	s_cbranch_execz .LBB339_1543
.LBB339_1995:
	v_add_f32_e32 v1, 0x46000000, v3
	s_and_not1_b32 s10, s10, exec_lo
	s_delay_alu instid0(VALU_DEP_1) | instskip(NEXT) | instid1(VALU_DEP_1)
	v_and_b32_e32 v1, 0xff, v1
	v_cmp_ne_u32_e32 vcc_lo, 0, v1
	s_and_b32 s16, vcc_lo, exec_lo
	s_delay_alu instid0(SALU_CYCLE_1)
	s_or_b32 s10, s10, s16
	s_or_b32 exec_lo, exec_lo, s15
	v_mov_b32_e32 v5, 0
	s_and_saveexec_b32 s15, s10
	s_cbranch_execnz .LBB339_1544
	s_branch .LBB339_1545
.LBB339_1996:
	s_or_b32 s1, s1, exec_lo
	s_trap 2
	s_cbranch_execz .LBB339_1591
	s_branch .LBB339_1592
.LBB339_1997:
	s_and_not1_saveexec_b32 s10, s10
	s_cbranch_execz .LBB339_1556
.LBB339_1998:
	v_add_f32_e32 v1, 0x42800000, v3
	s_and_not1_b32 s9, s9, exec_lo
	s_delay_alu instid0(VALU_DEP_1) | instskip(NEXT) | instid1(VALU_DEP_1)
	v_and_b32_e32 v1, 0xff, v1
	v_cmp_ne_u32_e32 vcc_lo, 0, v1
	s_and_b32 s15, vcc_lo, exec_lo
	s_delay_alu instid0(SALU_CYCLE_1)
	s_or_b32 s9, s9, s15
	s_or_b32 exec_lo, exec_lo, s10
	v_mov_b32_e32 v5, 0
	s_and_saveexec_b32 s10, s9
	s_cbranch_execnz .LBB339_1557
	s_branch .LBB339_1558
.LBB339_1999:
	s_and_not1_saveexec_b32 s15, s15
	s_cbranch_execz .LBB339_1661
.LBB339_2000:
	v_add_f32_e32 v1, 0x46000000, v3
	s_and_not1_b32 s10, s10, exec_lo
	s_delay_alu instid0(VALU_DEP_1) | instskip(NEXT) | instid1(VALU_DEP_1)
	v_and_b32_e32 v1, 0xff, v1
	v_cmp_ne_u32_e32 vcc_lo, 0, v1
	s_and_b32 s16, vcc_lo, exec_lo
	s_delay_alu instid0(SALU_CYCLE_1)
	s_or_b32 s10, s10, s16
	s_or_b32 exec_lo, exec_lo, s15
	v_mov_b32_e32 v7, 0
	s_and_saveexec_b32 s15, s10
	s_cbranch_execnz .LBB339_1662
	s_branch .LBB339_1663
.LBB339_2001:
	s_or_b32 s1, s1, exec_lo
	s_trap 2
	s_cbranch_execz .LBB339_1709
	s_branch .LBB339_1710
.LBB339_2002:
	s_and_not1_saveexec_b32 s10, s10
	s_cbranch_execz .LBB339_1674
.LBB339_2003:
	v_add_f32_e32 v1, 0x42800000, v3
	s_and_not1_b32 s9, s9, exec_lo
	s_delay_alu instid0(VALU_DEP_1) | instskip(NEXT) | instid1(VALU_DEP_1)
	v_and_b32_e32 v1, 0xff, v1
	v_cmp_ne_u32_e32 vcc_lo, 0, v1
	s_and_b32 s15, vcc_lo, exec_lo
	s_delay_alu instid0(SALU_CYCLE_1)
	s_or_b32 s9, s9, s15
	s_or_b32 exec_lo, exec_lo, s10
	v_mov_b32_e32 v7, 0
	s_and_saveexec_b32 s10, s9
	s_cbranch_execnz .LBB339_1675
	s_branch .LBB339_1676
.LBB339_2004:
	s_and_not1_saveexec_b32 s15, s15
	s_cbranch_execz .LBB339_1780
.LBB339_2005:
	v_add_f32_e32 v1, 0x46000000, v5
	s_and_not1_b32 s10, s10, exec_lo
	s_delay_alu instid0(VALU_DEP_1) | instskip(NEXT) | instid1(VALU_DEP_1)
	v_and_b32_e32 v1, 0xff, v1
	v_cmp_ne_u32_e32 vcc_lo, 0, v1
	s_and_b32 s16, vcc_lo, exec_lo
	s_delay_alu instid0(SALU_CYCLE_1)
	s_or_b32 s10, s10, s16
	s_or_b32 exec_lo, exec_lo, s15
	v_mov_b32_e32 v6, 0
	s_and_saveexec_b32 s15, s10
	s_cbranch_execnz .LBB339_1781
	s_branch .LBB339_1782
.LBB339_2006:
	s_or_b32 s1, s1, exec_lo
	s_trap 2
	s_cbranch_execz .LBB339_1828
	s_branch .LBB339_1829
.LBB339_2007:
	s_and_not1_saveexec_b32 s10, s10
	s_cbranch_execz .LBB339_1793
.LBB339_2008:
	v_add_f32_e32 v1, 0x42800000, v5
	s_and_not1_b32 s9, s9, exec_lo
	s_delay_alu instid0(VALU_DEP_1) | instskip(NEXT) | instid1(VALU_DEP_1)
	v_and_b32_e32 v1, 0xff, v1
	v_cmp_ne_u32_e32 vcc_lo, 0, v1
	s_and_b32 s15, vcc_lo, exec_lo
	s_delay_alu instid0(SALU_CYCLE_1)
	s_or_b32 s9, s9, s15
	s_or_b32 exec_lo, exec_lo, s10
	v_mov_b32_e32 v6, 0
	s_and_saveexec_b32 s10, s9
	s_cbranch_execnz .LBB339_1794
	s_branch .LBB339_1795
.LBB339_2009:
	s_and_not1_saveexec_b32 s6, s6
	s_cbranch_execz .LBB339_1900
.LBB339_2010:
	v_add_f32_e32 v2, 0x46000000, v3
	s_and_not1_b32 s5, s5, exec_lo
	s_delay_alu instid0(VALU_DEP_1) | instskip(NEXT) | instid1(VALU_DEP_1)
	v_and_b32_e32 v2, 0xff, v2
	v_cmp_ne_u32_e32 vcc_lo, 0, v2
	s_and_b32 s7, vcc_lo, exec_lo
	s_delay_alu instid0(SALU_CYCLE_1)
	s_or_b32 s5, s5, s7
	s_or_b32 exec_lo, exec_lo, s6
	v_mov_b32_e32 v4, 0
	s_and_saveexec_b32 s6, s5
	s_cbranch_execnz .LBB339_1901
	s_branch .LBB339_1902
.LBB339_2011:
	s_mov_b32 s3, 0
	s_or_b32 s1, s1, exec_lo
	s_trap 2
	s_branch .LBB339_1946
.LBB339_2012:
	s_and_not1_saveexec_b32 s5, s5
	s_cbranch_execz .LBB339_1912
.LBB339_2013:
	v_add_f32_e32 v2, 0x42800000, v3
	s_and_not1_b32 s4, s4, exec_lo
	s_delay_alu instid0(VALU_DEP_1) | instskip(NEXT) | instid1(VALU_DEP_1)
	v_and_b32_e32 v2, 0xff, v2
	v_cmp_ne_u32_e32 vcc_lo, 0, v2
	s_and_b32 s6, vcc_lo, exec_lo
	s_delay_alu instid0(SALU_CYCLE_1)
	s_or_b32 s4, s4, s6
	s_or_b32 exec_lo, exec_lo, s5
	v_mov_b32_e32 v4, 0
	s_and_saveexec_b32 s5, s4
	s_cbranch_execnz .LBB339_1913
	s_branch .LBB339_1914
	.section	.rodata,"a",@progbits
	.p2align	6, 0x0
	.amdhsa_kernel _ZN2at6native32elementwise_kernel_manual_unrollILi128ELi4EZNS0_15gpu_kernel_implINS0_13AUnaryFunctorIttbNS0_12_GLOBAL__N_116CompareEqFunctorItEEEEEEvRNS_18TensorIteratorBaseERKT_EUlibE_EEviT1_
		.amdhsa_group_segment_fixed_size 0
		.amdhsa_private_segment_fixed_size 0
		.amdhsa_kernarg_size 48
		.amdhsa_user_sgpr_count 2
		.amdhsa_user_sgpr_dispatch_ptr 0
		.amdhsa_user_sgpr_queue_ptr 0
		.amdhsa_user_sgpr_kernarg_segment_ptr 1
		.amdhsa_user_sgpr_dispatch_id 0
		.amdhsa_user_sgpr_kernarg_preload_length 0
		.amdhsa_user_sgpr_kernarg_preload_offset 0
		.amdhsa_user_sgpr_private_segment_size 0
		.amdhsa_wavefront_size32 1
		.amdhsa_uses_dynamic_stack 0
		.amdhsa_enable_private_segment 0
		.amdhsa_system_sgpr_workgroup_id_x 1
		.amdhsa_system_sgpr_workgroup_id_y 0
		.amdhsa_system_sgpr_workgroup_id_z 0
		.amdhsa_system_sgpr_workgroup_info 0
		.amdhsa_system_vgpr_workitem_id 0
		.amdhsa_next_free_vgpr 14
		.amdhsa_next_free_sgpr 30
		.amdhsa_named_barrier_count 0
		.amdhsa_reserve_vcc 1
		.amdhsa_float_round_mode_32 0
		.amdhsa_float_round_mode_16_64 0
		.amdhsa_float_denorm_mode_32 3
		.amdhsa_float_denorm_mode_16_64 3
		.amdhsa_fp16_overflow 0
		.amdhsa_memory_ordered 1
		.amdhsa_forward_progress 1
		.amdhsa_inst_pref_size 255
		.amdhsa_round_robin_scheduling 0
		.amdhsa_exception_fp_ieee_invalid_op 0
		.amdhsa_exception_fp_denorm_src 0
		.amdhsa_exception_fp_ieee_div_zero 0
		.amdhsa_exception_fp_ieee_overflow 0
		.amdhsa_exception_fp_ieee_underflow 0
		.amdhsa_exception_fp_ieee_inexact 0
		.amdhsa_exception_int_div_zero 0
	.end_amdhsa_kernel
	.section	.text._ZN2at6native32elementwise_kernel_manual_unrollILi128ELi4EZNS0_15gpu_kernel_implINS0_13AUnaryFunctorIttbNS0_12_GLOBAL__N_116CompareEqFunctorItEEEEEEvRNS_18TensorIteratorBaseERKT_EUlibE_EEviT1_,"axG",@progbits,_ZN2at6native32elementwise_kernel_manual_unrollILi128ELi4EZNS0_15gpu_kernel_implINS0_13AUnaryFunctorIttbNS0_12_GLOBAL__N_116CompareEqFunctorItEEEEEEvRNS_18TensorIteratorBaseERKT_EUlibE_EEviT1_,comdat
.Lfunc_end339:
	.size	_ZN2at6native32elementwise_kernel_manual_unrollILi128ELi4EZNS0_15gpu_kernel_implINS0_13AUnaryFunctorIttbNS0_12_GLOBAL__N_116CompareEqFunctorItEEEEEEvRNS_18TensorIteratorBaseERKT_EUlibE_EEviT1_, .Lfunc_end339-_ZN2at6native32elementwise_kernel_manual_unrollILi128ELi4EZNS0_15gpu_kernel_implINS0_13AUnaryFunctorIttbNS0_12_GLOBAL__N_116CompareEqFunctorItEEEEEEvRNS_18TensorIteratorBaseERKT_EUlibE_EEviT1_
                                        ; -- End function
	.set _ZN2at6native32elementwise_kernel_manual_unrollILi128ELi4EZNS0_15gpu_kernel_implINS0_13AUnaryFunctorIttbNS0_12_GLOBAL__N_116CompareEqFunctorItEEEEEEvRNS_18TensorIteratorBaseERKT_EUlibE_EEviT1_.num_vgpr, 14
	.set _ZN2at6native32elementwise_kernel_manual_unrollILi128ELi4EZNS0_15gpu_kernel_implINS0_13AUnaryFunctorIttbNS0_12_GLOBAL__N_116CompareEqFunctorItEEEEEEvRNS_18TensorIteratorBaseERKT_EUlibE_EEviT1_.num_agpr, 0
	.set _ZN2at6native32elementwise_kernel_manual_unrollILi128ELi4EZNS0_15gpu_kernel_implINS0_13AUnaryFunctorIttbNS0_12_GLOBAL__N_116CompareEqFunctorItEEEEEEvRNS_18TensorIteratorBaseERKT_EUlibE_EEviT1_.numbered_sgpr, 30
	.set _ZN2at6native32elementwise_kernel_manual_unrollILi128ELi4EZNS0_15gpu_kernel_implINS0_13AUnaryFunctorIttbNS0_12_GLOBAL__N_116CompareEqFunctorItEEEEEEvRNS_18TensorIteratorBaseERKT_EUlibE_EEviT1_.num_named_barrier, 0
	.set _ZN2at6native32elementwise_kernel_manual_unrollILi128ELi4EZNS0_15gpu_kernel_implINS0_13AUnaryFunctorIttbNS0_12_GLOBAL__N_116CompareEqFunctorItEEEEEEvRNS_18TensorIteratorBaseERKT_EUlibE_EEviT1_.private_seg_size, 0
	.set _ZN2at6native32elementwise_kernel_manual_unrollILi128ELi4EZNS0_15gpu_kernel_implINS0_13AUnaryFunctorIttbNS0_12_GLOBAL__N_116CompareEqFunctorItEEEEEEvRNS_18TensorIteratorBaseERKT_EUlibE_EEviT1_.uses_vcc, 1
	.set _ZN2at6native32elementwise_kernel_manual_unrollILi128ELi4EZNS0_15gpu_kernel_implINS0_13AUnaryFunctorIttbNS0_12_GLOBAL__N_116CompareEqFunctorItEEEEEEvRNS_18TensorIteratorBaseERKT_EUlibE_EEviT1_.uses_flat_scratch, 0
	.set _ZN2at6native32elementwise_kernel_manual_unrollILi128ELi4EZNS0_15gpu_kernel_implINS0_13AUnaryFunctorIttbNS0_12_GLOBAL__N_116CompareEqFunctorItEEEEEEvRNS_18TensorIteratorBaseERKT_EUlibE_EEviT1_.has_dyn_sized_stack, 0
	.set _ZN2at6native32elementwise_kernel_manual_unrollILi128ELi4EZNS0_15gpu_kernel_implINS0_13AUnaryFunctorIttbNS0_12_GLOBAL__N_116CompareEqFunctorItEEEEEEvRNS_18TensorIteratorBaseERKT_EUlibE_EEviT1_.has_recursion, 0
	.set _ZN2at6native32elementwise_kernel_manual_unrollILi128ELi4EZNS0_15gpu_kernel_implINS0_13AUnaryFunctorIttbNS0_12_GLOBAL__N_116CompareEqFunctorItEEEEEEvRNS_18TensorIteratorBaseERKT_EUlibE_EEviT1_.has_indirect_call, 0
	.section	.AMDGPU.csdata,"",@progbits
; Kernel info:
; codeLenInByte = 34184
; TotalNumSgprs: 32
; NumVgprs: 14
; ScratchSize: 0
; MemoryBound: 1
; FloatMode: 240
; IeeeMode: 1
; LDSByteSize: 0 bytes/workgroup (compile time only)
; SGPRBlocks: 0
; VGPRBlocks: 0
; NumSGPRsForWavesPerEU: 32
; NumVGPRsForWavesPerEU: 14
; NamedBarCnt: 0
; Occupancy: 16
; WaveLimiterHint : 0
; COMPUTE_PGM_RSRC2:SCRATCH_EN: 0
; COMPUTE_PGM_RSRC2:USER_SGPR: 2
; COMPUTE_PGM_RSRC2:TRAP_HANDLER: 0
; COMPUTE_PGM_RSRC2:TGID_X_EN: 1
; COMPUTE_PGM_RSRC2:TGID_Y_EN: 0
; COMPUTE_PGM_RSRC2:TGID_Z_EN: 0
; COMPUTE_PGM_RSRC2:TIDIG_COMP_CNT: 0
	.section	.text._ZN2at6native32elementwise_kernel_manual_unrollILi128ELi4EZNS0_15gpu_kernel_implINS0_13AUnaryFunctorIttbNS0_12_GLOBAL__N_116CompareEqFunctorItEEEEEEvRNS_18TensorIteratorBaseERKT_EUlibE0_EEviT1_,"axG",@progbits,_ZN2at6native32elementwise_kernel_manual_unrollILi128ELi4EZNS0_15gpu_kernel_implINS0_13AUnaryFunctorIttbNS0_12_GLOBAL__N_116CompareEqFunctorItEEEEEEvRNS_18TensorIteratorBaseERKT_EUlibE0_EEviT1_,comdat
	.globl	_ZN2at6native32elementwise_kernel_manual_unrollILi128ELi4EZNS0_15gpu_kernel_implINS0_13AUnaryFunctorIttbNS0_12_GLOBAL__N_116CompareEqFunctorItEEEEEEvRNS_18TensorIteratorBaseERKT_EUlibE0_EEviT1_ ; -- Begin function _ZN2at6native32elementwise_kernel_manual_unrollILi128ELi4EZNS0_15gpu_kernel_implINS0_13AUnaryFunctorIttbNS0_12_GLOBAL__N_116CompareEqFunctorItEEEEEEvRNS_18TensorIteratorBaseERKT_EUlibE0_EEviT1_
	.p2align	8
	.type	_ZN2at6native32elementwise_kernel_manual_unrollILi128ELi4EZNS0_15gpu_kernel_implINS0_13AUnaryFunctorIttbNS0_12_GLOBAL__N_116CompareEqFunctorItEEEEEEvRNS_18TensorIteratorBaseERKT_EUlibE0_EEviT1_,@function
_ZN2at6native32elementwise_kernel_manual_unrollILi128ELi4EZNS0_15gpu_kernel_implINS0_13AUnaryFunctorIttbNS0_12_GLOBAL__N_116CompareEqFunctorItEEEEEEvRNS_18TensorIteratorBaseERKT_EUlibE0_EEviT1_: ; @_ZN2at6native32elementwise_kernel_manual_unrollILi128ELi4EZNS0_15gpu_kernel_implINS0_13AUnaryFunctorIttbNS0_12_GLOBAL__N_116CompareEqFunctorItEEEEEEvRNS_18TensorIteratorBaseERKT_EUlibE0_EEviT1_
; %bb.0:
	s_clause 0x1
	s_load_b32 s33, s[0:1], 0x8
	s_load_b32 s39, s[0:1], 0x0
	s_bfe_u32 s2, ttmp6, 0x4000c
	s_and_b32 s3, ttmp6, 15
	s_add_co_i32 s2, s2, 1
	s_getreg_b32 s4, hwreg(HW_REG_IB_STS2, 6, 4)
	s_mul_i32 s2, ttmp9, s2
	s_mov_b32 s26, -1
	s_add_co_i32 s3, s3, s2
	s_cmp_eq_u32 s4, 0
	s_add_nc_u64 s[16:17], s[0:1], 8
	s_cselect_b32 s2, ttmp9, s3
	s_mov_b32 s3, 0
	v_lshl_or_b32 v0, s2, 9, v0
	s_mov_b32 s8, 0
	s_wait_xcnt 0x0
	s_mov_b32 s0, exec_lo
	s_delay_alu instid0(VALU_DEP_1) | instskip(SKIP_2) | instid1(SALU_CYCLE_1)
	v_or_b32_e32 v9, 0x180, v0
	s_wait_kmcnt 0x0
	s_add_co_i32 s34, s33, -1
	s_cmp_gt_u32 s34, 1
	s_cselect_b32 s35, -1, 0
	v_cmpx_le_i32_e64 s39, v9
	s_xor_b32 s36, exec_lo, s0
	s_cbranch_execz .LBB340_1080
; %bb.1:
	s_clause 0x4
	s_load_b128 s[8:11], s[16:17], 0x4
	s_load_b96 s[0:2], s[16:17], 0x158
	s_load_b64 s[20:21], s[16:17], 0x14
	s_load_b128 s[12:15], s[16:17], 0xc4
	s_load_b128 s[4:7], s[16:17], 0x148
	s_cmp_lg_u32 s33, 0
	s_mov_b32 s19, 0
	s_cselect_b32 s41, -1, 0
	s_min_u32 s40, s34, 15
	s_cmp_gt_u32 s33, 1
	s_add_nc_u64 s[24:25], s[16:17], 0xc4
	s_cselect_b32 s38, -1, 0
	s_mov_b32 s23, s19
	s_mov_b32 s42, s19
	s_mov_b32 s43, exec_lo
	s_wait_kmcnt 0x0
	s_mov_b32 s18, s9
	s_bfe_u32 s37, s2, 0x80008
	s_cmp_eq_u32 s0, 0
	s_mov_b32 s22, s20
	s_cselect_b32 s9, -1, 0
	s_mov_b32 s20, s19
	v_cmpx_gt_i32_e64 s39, v0
	s_cbranch_execz .LBB340_263
; %bb.2:
	s_and_not1_b32 vcc_lo, exec_lo, s35
	s_cbranch_vccnz .LBB340_8
; %bb.3:
	s_and_not1_b32 vcc_lo, exec_lo, s41
	s_cbranch_vccnz .LBB340_9
; %bb.4:
	s_add_co_i32 s0, s40, 1
	s_cmp_eq_u32 s34, 2
	s_cbranch_scc1 .LBB340_10
; %bb.5:
	v_dual_mov_b32 v2, 0 :: v_dual_mov_b32 v4, 0
	v_mov_b32_e32 v1, v0
	s_and_b32 s26, s0, 28
	s_mov_b32 s20, 0
	s_mov_b64 s[28:29], s[16:17]
	s_mov_b64 s[30:31], s[24:25]
.LBB340_6:                              ; =>This Inner Loop Header: Depth=1
	s_clause 0x1
	s_load_b256 s[44:51], s[28:29], 0x4
	s_load_b128 s[60:63], s[28:29], 0x24
	s_load_b256 s[52:59], s[30:31], 0x0
	s_add_co_i32 s20, s20, 4
	s_wait_xcnt 0x0
	s_add_nc_u64 s[28:29], s[28:29], 48
	s_cmp_lg_u32 s26, s20
	s_add_nc_u64 s[30:31], s[30:31], 32
	s_wait_kmcnt 0x0
	v_mul_hi_u32 v3, s45, v1
	s_delay_alu instid0(VALU_DEP_1) | instskip(NEXT) | instid1(VALU_DEP_1)
	v_add_nc_u32_e32 v3, v1, v3
	v_lshrrev_b32_e32 v3, s46, v3
	s_delay_alu instid0(VALU_DEP_1) | instskip(NEXT) | instid1(VALU_DEP_1)
	v_mul_hi_u32 v5, s48, v3
	v_add_nc_u32_e32 v5, v3, v5
	s_delay_alu instid0(VALU_DEP_1) | instskip(NEXT) | instid1(VALU_DEP_1)
	v_lshrrev_b32_e32 v5, s49, v5
	v_mul_hi_u32 v6, s51, v5
	s_delay_alu instid0(VALU_DEP_1) | instskip(SKIP_1) | instid1(VALU_DEP_1)
	v_add_nc_u32_e32 v6, v5, v6
	v_mul_lo_u32 v7, v3, s44
	v_sub_nc_u32_e32 v1, v1, v7
	v_mul_lo_u32 v7, v5, s47
	s_delay_alu instid0(VALU_DEP_4) | instskip(NEXT) | instid1(VALU_DEP_3)
	v_lshrrev_b32_e32 v6, s60, v6
	v_mad_u32 v4, v1, s53, v4
	v_mad_u32 v1, v1, s52, v2
	s_delay_alu instid0(VALU_DEP_4) | instskip(NEXT) | instid1(VALU_DEP_4)
	v_sub_nc_u32_e32 v2, v3, v7
	v_mul_hi_u32 v8, s62, v6
	v_mul_lo_u32 v3, v6, s50
	s_delay_alu instid0(VALU_DEP_3) | instskip(SKIP_1) | instid1(VALU_DEP_3)
	v_mad_u32 v4, v2, s55, v4
	v_mad_u32 v2, v2, s54, v1
	v_dual_add_nc_u32 v7, v6, v8 :: v_dual_sub_nc_u32 v3, v5, v3
	s_delay_alu instid0(VALU_DEP_1) | instskip(NEXT) | instid1(VALU_DEP_2)
	v_lshrrev_b32_e32 v1, s63, v7
	v_mad_u32 v4, v3, s57, v4
	s_delay_alu instid0(VALU_DEP_4) | instskip(NEXT) | instid1(VALU_DEP_3)
	v_mad_u32 v2, v3, s56, v2
	v_mul_lo_u32 v5, v1, s61
	s_delay_alu instid0(VALU_DEP_1) | instskip(NEXT) | instid1(VALU_DEP_1)
	v_sub_nc_u32_e32 v3, v6, v5
	v_mad_u32 v4, v3, s59, v4
	s_delay_alu instid0(VALU_DEP_4)
	v_mad_u32 v2, v3, s58, v2
	s_cbranch_scc1 .LBB340_6
; %bb.7:
	s_delay_alu instid0(VALU_DEP_2)
	v_mov_b32_e32 v3, v4
	s_and_b32 s0, s0, 3
	s_mov_b32 s27, 0
	s_cmp_eq_u32 s0, 0
	s_cbranch_scc0 .LBB340_11
	s_branch .LBB340_14
.LBB340_8:
                                        ; implicit-def: $vgpr4
                                        ; implicit-def: $vgpr2
	s_branch .LBB340_15
.LBB340_9:
	v_dual_mov_b32 v4, 0 :: v_dual_mov_b32 v2, 0
	s_branch .LBB340_14
.LBB340_10:
	v_mov_b64_e32 v[2:3], 0
	v_mov_b32_e32 v1, v0
	s_mov_b32 s26, 0
                                        ; implicit-def: $vgpr4
	s_and_b32 s0, s0, 3
	s_mov_b32 s27, 0
	s_cmp_eq_u32 s0, 0
	s_cbranch_scc1 .LBB340_14
.LBB340_11:
	s_lshl_b32 s28, s26, 3
	s_mov_b32 s29, s27
	s_mul_u64 s[30:31], s[26:27], 12
	s_add_nc_u64 s[28:29], s[16:17], s[28:29]
	s_delay_alu instid0(SALU_CYCLE_1)
	s_add_nc_u64 s[26:27], s[28:29], 0xc4
	s_add_nc_u64 s[28:29], s[16:17], s[30:31]
.LBB340_12:                             ; =>This Inner Loop Header: Depth=1
	s_load_b96 s[44:46], s[28:29], 0x4
	s_load_b64 s[30:31], s[26:27], 0x0
	s_add_co_i32 s0, s0, -1
	s_wait_xcnt 0x0
	s_add_nc_u64 s[28:29], s[28:29], 12
	s_cmp_lg_u32 s0, 0
	s_add_nc_u64 s[26:27], s[26:27], 8
	s_wait_kmcnt 0x0
	v_mul_hi_u32 v4, s45, v1
	s_delay_alu instid0(VALU_DEP_1) | instskip(NEXT) | instid1(VALU_DEP_1)
	v_add_nc_u32_e32 v4, v1, v4
	v_lshrrev_b32_e32 v4, s46, v4
	s_delay_alu instid0(VALU_DEP_1) | instskip(NEXT) | instid1(VALU_DEP_1)
	v_mul_lo_u32 v5, v4, s44
	v_sub_nc_u32_e32 v1, v1, v5
	s_delay_alu instid0(VALU_DEP_1)
	v_mad_u32 v3, v1, s31, v3
	v_mad_u32 v2, v1, s30, v2
	v_mov_b32_e32 v1, v4
	s_cbranch_scc1 .LBB340_12
; %bb.13:
	s_delay_alu instid0(VALU_DEP_3)
	v_mov_b32_e32 v4, v3
.LBB340_14:
	s_cbranch_execnz .LBB340_17
.LBB340_15:
	v_mov_b32_e32 v1, 0
	s_and_not1_b32 vcc_lo, exec_lo, s38
	s_delay_alu instid0(VALU_DEP_1) | instskip(NEXT) | instid1(VALU_DEP_1)
	v_mul_u64_e32 v[2:3], s[18:19], v[0:1]
	v_add_nc_u32_e32 v2, v0, v3
	s_delay_alu instid0(VALU_DEP_1) | instskip(NEXT) | instid1(VALU_DEP_1)
	v_lshrrev_b32_e32 v6, s10, v2
	v_mul_lo_u32 v2, v6, s8
	s_delay_alu instid0(VALU_DEP_1) | instskip(NEXT) | instid1(VALU_DEP_1)
	v_sub_nc_u32_e32 v2, v0, v2
	v_mul_lo_u32 v4, v2, s13
	v_mul_lo_u32 v2, v2, s12
	s_cbranch_vccnz .LBB340_17
; %bb.16:
	v_mov_b32_e32 v7, v1
	s_delay_alu instid0(VALU_DEP_1) | instskip(NEXT) | instid1(VALU_DEP_1)
	v_mul_u64_e32 v[8:9], s[22:23], v[6:7]
	v_add_nc_u32_e32 v1, v6, v9
	s_delay_alu instid0(VALU_DEP_1) | instskip(NEXT) | instid1(VALU_DEP_1)
	v_lshrrev_b32_e32 v1, s21, v1
	v_mul_lo_u32 v1, v1, s11
	s_delay_alu instid0(VALU_DEP_1) | instskip(NEXT) | instid1(VALU_DEP_1)
	v_sub_nc_u32_e32 v1, v6, v1
	v_mad_u32 v2, v1, s14, v2
	v_mad_u32 v4, v1, s15, v4
.LBB340_17:
	v_mov_b32_e32 v5, 0
	s_and_b32 s0, 0xffff, s37
	s_delay_alu instid0(SALU_CYCLE_1) | instskip(NEXT) | instid1(VALU_DEP_1)
	s_cmp_lt_i32 s0, 11
	v_add_nc_u64_e32 v[4:5], s[6:7], v[4:5]
	s_cbranch_scc1 .LBB340_24
; %bb.18:
	s_cmp_gt_i32 s0, 25
	s_cbranch_scc0 .LBB340_33
; %bb.19:
	s_cmp_gt_i32 s0, 28
	s_cbranch_scc0 .LBB340_36
	;; [unrolled: 3-line block ×4, first 2 shown]
; %bb.22:
	s_cmp_eq_u32 s0, 46
	s_mov_b32 s27, 0
	s_cbranch_scc0 .LBB340_42
; %bb.23:
	global_load_b32 v1, v[4:5], off
	s_mov_b32 s20, -1
	s_mov_b32 s26, 0
	s_wait_loadcnt 0x0
	v_lshlrev_b32_e32 v1, 16, v1
	s_delay_alu instid0(VALU_DEP_1)
	v_cvt_u32_f32_e32 v6, v1
	s_branch .LBB340_44
.LBB340_24:
	s_mov_b32 s26, 0
	s_mov_b32 s20, 0
                                        ; implicit-def: $vgpr6
	s_cbranch_execnz .LBB340_213
.LBB340_25:
	s_and_not1_b32 vcc_lo, exec_lo, s20
	s_cbranch_vccnz .LBB340_260
.LBB340_26:
	v_mov_b32_e32 v3, 0
	s_wait_loadcnt 0x0
	s_delay_alu instid0(VALU_DEP_2) | instskip(SKIP_1) | instid1(VALU_DEP_2)
	v_cmp_ne_u16_e32 vcc_lo, s1, v6
	s_and_b32 s27, s2, 0xff
	v_add_nc_u64_e32 v[2:3], s[4:5], v[2:3]
	s_xor_b32 s20, s9, vcc_lo
	s_cmp_lt_i32 s27, 11
	s_cbranch_scc1 .LBB340_34
; %bb.27:
	s_and_b32 s28, 0xffff, s27
	s_delay_alu instid0(SALU_CYCLE_1)
	s_cmp_gt_i32 s28, 25
	s_cbranch_scc0 .LBB340_37
; %bb.28:
	s_cmp_gt_i32 s28, 28
	s_cbranch_scc0 .LBB340_39
; %bb.29:
	;; [unrolled: 3-line block ×4, first 2 shown]
	s_mov_b32 s30, 0
	s_mov_b32 s0, -1
	s_cmp_eq_u32 s28, 46
	s_mov_b32 s29, 0
	s_cbranch_scc0 .LBB340_48
; %bb.32:
	v_cndmask_b32_e64 v1, 0, 1.0, s20
	s_mov_b32 s29, -1
	s_mov_b32 s0, 0
	s_delay_alu instid0(VALU_DEP_1) | instskip(NEXT) | instid1(VALU_DEP_1)
	v_bfe_u32 v4, v1, 16, 1
	v_add3_u32 v1, v1, v4, 0x7fff
	s_delay_alu instid0(VALU_DEP_1)
	v_lshrrev_b32_e32 v1, 16, v1
	global_store_b32 v[2:3], v1, off
	s_branch .LBB340_48
.LBB340_33:
	s_mov_b32 s26, 0
	s_mov_b32 s20, 0
                                        ; implicit-def: $vgpr6
	s_cbranch_execnz .LBB340_180
	s_branch .LBB340_212
.LBB340_34:
	s_mov_b32 s0, 0
	s_mov_b32 s29, 0
	s_cbranch_execnz .LBB340_117
.LBB340_35:
	s_and_not1_b32 vcc_lo, exec_lo, s29
	s_cbranch_vccz .LBB340_155
	s_branch .LBB340_261
.LBB340_36:
	s_mov_b32 s27, -1
	s_mov_b32 s26, 0
	s_mov_b32 s20, 0
                                        ; implicit-def: $vgpr6
	s_branch .LBB340_163
.LBB340_37:
	s_mov_b32 s30, -1
	s_mov_b32 s0, 0
	s_mov_b32 s29, 0
	s_branch .LBB340_75
.LBB340_38:
	s_mov_b32 s27, -1
	s_mov_b32 s26, 0
	s_mov_b32 s20, 0
                                        ; implicit-def: $vgpr6
	s_branch .LBB340_158
.LBB340_39:
	s_mov_b32 s30, -1
	s_mov_b32 s0, 0
	s_mov_b32 s29, 0
	s_branch .LBB340_58
.LBB340_40:
	s_mov_b32 s27, -1
	s_mov_b32 s26, 0
	s_branch .LBB340_43
.LBB340_41:
	s_mov_b32 s30, -1
	s_mov_b32 s0, 0
	s_mov_b32 s29, 0
	s_branch .LBB340_54
.LBB340_42:
	s_mov_b32 s26, -1
.LBB340_43:
	s_mov_b32 s20, 0
                                        ; implicit-def: $vgpr6
.LBB340_44:
	s_and_b32 vcc_lo, exec_lo, s27
	s_cbranch_vccz .LBB340_157
; %bb.45:
	s_cmp_eq_u32 s0, 44
	s_cbranch_scc0 .LBB340_156
; %bb.46:
	global_load_u8 v1, v[4:5], off
	s_mov_b32 s26, 0
	s_mov_b32 s20, -1
	s_wait_loadcnt 0x0
	v_lshlrev_b32_e32 v3, 23, v1
	v_cmp_ne_u32_e32 vcc_lo, 0, v1
	s_delay_alu instid0(VALU_DEP_2) | instskip(NEXT) | instid1(VALU_DEP_1)
	v_cvt_u32_f32_e32 v3, v3
	v_cndmask_b32_e32 v6, 0, v3, vcc_lo
	s_branch .LBB340_157
.LBB340_47:
	s_mov_b32 s30, -1
	s_mov_b32 s0, 0
	s_mov_b32 s29, 0
.LBB340_48:
	s_and_b32 vcc_lo, exec_lo, s30
	s_cbranch_vccz .LBB340_53
; %bb.49:
	s_cmp_eq_u32 s28, 44
	s_mov_b32 s0, -1
	s_cbranch_scc0 .LBB340_53
; %bb.50:
	v_cndmask_b32_e64 v5, 0, 1.0, s20
	s_mov_b32 s29, exec_lo
	s_wait_xcnt 0x0
	s_delay_alu instid0(VALU_DEP_1) | instskip(NEXT) | instid1(VALU_DEP_1)
	v_dual_mov_b32 v4, 0xff :: v_dual_lshrrev_b32 v1, 23, v5
	v_cmpx_ne_u32_e32 0xff, v1
; %bb.51:
	v_and_b32_e32 v4, 0x400000, v5
	v_and_or_b32 v5, 0x3fffff, v5, v1
	s_delay_alu instid0(VALU_DEP_2) | instskip(NEXT) | instid1(VALU_DEP_2)
	v_cmp_ne_u32_e32 vcc_lo, 0, v4
	v_cmp_ne_u32_e64 s0, 0, v5
	s_and_b32 s0, vcc_lo, s0
	s_delay_alu instid0(SALU_CYCLE_1) | instskip(NEXT) | instid1(VALU_DEP_1)
	v_cndmask_b32_e64 v4, 0, 1, s0
	v_add_nc_u32_e32 v4, v1, v4
; %bb.52:
	s_or_b32 exec_lo, exec_lo, s29
	s_mov_b32 s29, -1
	s_mov_b32 s0, 0
	global_store_b8 v[2:3], v4, off
.LBB340_53:
	s_mov_b32 s30, 0
.LBB340_54:
	s_delay_alu instid0(SALU_CYCLE_1)
	s_and_b32 vcc_lo, exec_lo, s30
	s_cbranch_vccz .LBB340_57
; %bb.55:
	s_cmp_eq_u32 s28, 29
	s_mov_b32 s0, -1
	s_cbranch_scc0 .LBB340_57
; %bb.56:
	s_mov_b32 s0, 0
	s_wait_xcnt 0x0
	v_cndmask_b32_e64 v4, 0, 1, s20
	v_mov_b32_e32 v5, s0
	s_mov_b32 s29, -1
	s_mov_b32 s30, 0
	global_store_b64 v[2:3], v[4:5], off
	s_branch .LBB340_58
.LBB340_57:
	s_mov_b32 s30, 0
.LBB340_58:
	s_delay_alu instid0(SALU_CYCLE_1)
	s_and_b32 vcc_lo, exec_lo, s30
	s_cbranch_vccz .LBB340_74
; %bb.59:
	s_cmp_lt_i32 s28, 27
	s_mov_b32 s29, -1
	s_cbranch_scc1 .LBB340_65
; %bb.60:
	s_cmp_gt_i32 s28, 27
	s_cbranch_scc0 .LBB340_62
; %bb.61:
	s_wait_xcnt 0x0
	v_cndmask_b32_e64 v1, 0, 1, s20
	s_mov_b32 s29, 0
	global_store_b32 v[2:3], v1, off
.LBB340_62:
	s_and_not1_b32 vcc_lo, exec_lo, s29
	s_cbranch_vccnz .LBB340_64
; %bb.63:
	s_wait_xcnt 0x0
	v_cndmask_b32_e64 v1, 0, 1, s20
	global_store_b16 v[2:3], v1, off
.LBB340_64:
	s_mov_b32 s29, 0
.LBB340_65:
	s_delay_alu instid0(SALU_CYCLE_1)
	s_and_not1_b32 vcc_lo, exec_lo, s29
	s_cbranch_vccnz .LBB340_73
; %bb.66:
	s_wait_xcnt 0x0
	v_cndmask_b32_e64 v4, 0, 1.0, s20
	v_mov_b32_e32 v5, 0x80
	s_mov_b32 s29, exec_lo
	s_delay_alu instid0(VALU_DEP_2)
	v_cmpx_gt_u32_e32 0x43800000, v4
	s_cbranch_execz .LBB340_72
; %bb.67:
	s_mov_b32 s30, 0
	s_mov_b32 s31, exec_lo
                                        ; implicit-def: $vgpr1
	v_cmpx_lt_u32_e32 0x3bffffff, v4
	s_xor_b32 s31, exec_lo, s31
	s_cbranch_execz .LBB340_306
; %bb.68:
	v_bfe_u32 v1, v4, 20, 1
	s_mov_b32 s30, exec_lo
	s_delay_alu instid0(VALU_DEP_1) | instskip(NEXT) | instid1(VALU_DEP_1)
	v_add3_u32 v1, v4, v1, 0x487ffff
                                        ; implicit-def: $vgpr4
	v_lshrrev_b32_e32 v1, 20, v1
	s_and_not1_saveexec_b32 s31, s31
	s_cbranch_execnz .LBB340_307
.LBB340_69:
	s_or_b32 exec_lo, exec_lo, s31
	v_mov_b32_e32 v5, 0
	s_and_saveexec_b32 s31, s30
.LBB340_70:
	v_mov_b32_e32 v5, v1
.LBB340_71:
	s_or_b32 exec_lo, exec_lo, s31
.LBB340_72:
	s_delay_alu instid0(SALU_CYCLE_1)
	s_or_b32 exec_lo, exec_lo, s29
	global_store_b8 v[2:3], v5, off
.LBB340_73:
	s_mov_b32 s29, -1
.LBB340_74:
	s_mov_b32 s30, 0
.LBB340_75:
	s_delay_alu instid0(SALU_CYCLE_1)
	s_and_b32 vcc_lo, exec_lo, s30
	s_cbranch_vccz .LBB340_116
; %bb.76:
	s_cmp_gt_i32 s28, 22
	s_mov_b32 s30, -1
	s_cbranch_scc0 .LBB340_108
; %bb.77:
	s_cmp_lt_i32 s28, 24
	s_mov_b32 s29, -1
	s_cbranch_scc1 .LBB340_97
; %bb.78:
	s_cmp_gt_i32 s28, 24
	s_cbranch_scc0 .LBB340_86
; %bb.79:
	s_wait_xcnt 0x0
	v_cndmask_b32_e64 v4, 0, 1.0, s20
	v_mov_b32_e32 v5, 0x80
	s_mov_b32 s29, exec_lo
	s_delay_alu instid0(VALU_DEP_2)
	v_cmpx_gt_u32_e32 0x47800000, v4
	s_cbranch_execz .LBB340_85
; %bb.80:
	s_mov_b32 s30, 0
	s_mov_b32 s31, exec_lo
                                        ; implicit-def: $vgpr1
	v_cmpx_lt_u32_e32 0x37ffffff, v4
	s_xor_b32 s31, exec_lo, s31
	s_cbranch_execz .LBB340_310
; %bb.81:
	v_bfe_u32 v1, v4, 21, 1
	s_mov_b32 s30, exec_lo
	s_delay_alu instid0(VALU_DEP_1) | instskip(NEXT) | instid1(VALU_DEP_1)
	v_add3_u32 v1, v4, v1, 0x88fffff
                                        ; implicit-def: $vgpr4
	v_lshrrev_b32_e32 v1, 21, v1
	s_and_not1_saveexec_b32 s31, s31
	s_cbranch_execnz .LBB340_311
.LBB340_82:
	s_or_b32 exec_lo, exec_lo, s31
	v_mov_b32_e32 v5, 0
	s_and_saveexec_b32 s31, s30
.LBB340_83:
	v_mov_b32_e32 v5, v1
.LBB340_84:
	s_or_b32 exec_lo, exec_lo, s31
.LBB340_85:
	s_delay_alu instid0(SALU_CYCLE_1)
	s_or_b32 exec_lo, exec_lo, s29
	s_mov_b32 s29, 0
	global_store_b8 v[2:3], v5, off
.LBB340_86:
	s_and_b32 vcc_lo, exec_lo, s29
	s_cbranch_vccz .LBB340_96
; %bb.87:
	s_wait_xcnt 0x0
	v_cndmask_b32_e64 v4, 0, 1.0, s20
	s_mov_b32 s29, exec_lo
                                        ; implicit-def: $vgpr1
	s_delay_alu instid0(VALU_DEP_1)
	v_cmpx_gt_u32_e32 0x43f00000, v4
	s_xor_b32 s29, exec_lo, s29
	s_cbranch_execz .LBB340_93
; %bb.88:
	s_mov_b32 s30, exec_lo
                                        ; implicit-def: $vgpr1
	v_cmpx_lt_u32_e32 0x3c7fffff, v4
	s_xor_b32 s30, exec_lo, s30
; %bb.89:
	v_bfe_u32 v1, v4, 20, 1
	s_delay_alu instid0(VALU_DEP_1) | instskip(NEXT) | instid1(VALU_DEP_1)
	v_add3_u32 v1, v4, v1, 0x407ffff
	v_and_b32_e32 v4, 0xff00000, v1
	v_lshrrev_b32_e32 v1, 20, v1
	s_delay_alu instid0(VALU_DEP_2) | instskip(NEXT) | instid1(VALU_DEP_2)
	v_cmp_ne_u32_e32 vcc_lo, 0x7f00000, v4
                                        ; implicit-def: $vgpr4
	v_cndmask_b32_e32 v1, 0x7e, v1, vcc_lo
; %bb.90:
	s_and_not1_saveexec_b32 s30, s30
; %bb.91:
	v_add_f32_e32 v1, 0x46800000, v4
; %bb.92:
	s_or_b32 exec_lo, exec_lo, s30
                                        ; implicit-def: $vgpr4
.LBB340_93:
	s_and_not1_saveexec_b32 s29, s29
; %bb.94:
	v_mov_b32_e32 v1, 0x7f
	v_cmp_lt_u32_e32 vcc_lo, 0x7f800000, v4
	s_delay_alu instid0(VALU_DEP_2)
	v_cndmask_b32_e32 v1, 0x7e, v1, vcc_lo
; %bb.95:
	s_or_b32 exec_lo, exec_lo, s29
	global_store_b8 v[2:3], v1, off
.LBB340_96:
	s_mov_b32 s29, 0
.LBB340_97:
	s_delay_alu instid0(SALU_CYCLE_1)
	s_and_not1_b32 vcc_lo, exec_lo, s29
	s_cbranch_vccnz .LBB340_107
; %bb.98:
	s_wait_xcnt 0x0
	v_cndmask_b32_e64 v4, 0, 1.0, s20
	s_mov_b32 s29, exec_lo
                                        ; implicit-def: $vgpr1
	s_delay_alu instid0(VALU_DEP_1)
	v_cmpx_gt_u32_e32 0x47800000, v4
	s_xor_b32 s29, exec_lo, s29
	s_cbranch_execz .LBB340_104
; %bb.99:
	s_mov_b32 s30, exec_lo
                                        ; implicit-def: $vgpr1
	v_cmpx_lt_u32_e32 0x387fffff, v4
	s_xor_b32 s30, exec_lo, s30
; %bb.100:
	v_bfe_u32 v1, v4, 21, 1
	s_delay_alu instid0(VALU_DEP_1) | instskip(NEXT) | instid1(VALU_DEP_1)
	v_add3_u32 v1, v4, v1, 0x80fffff
                                        ; implicit-def: $vgpr4
	v_lshrrev_b32_e32 v1, 21, v1
; %bb.101:
	s_and_not1_saveexec_b32 s30, s30
; %bb.102:
	v_add_f32_e32 v1, 0x43000000, v4
; %bb.103:
	s_or_b32 exec_lo, exec_lo, s30
                                        ; implicit-def: $vgpr4
.LBB340_104:
	s_and_not1_saveexec_b32 s29, s29
; %bb.105:
	v_mov_b32_e32 v1, 0x7f
	v_cmp_lt_u32_e32 vcc_lo, 0x7f800000, v4
	s_delay_alu instid0(VALU_DEP_2)
	v_cndmask_b32_e32 v1, 0x7c, v1, vcc_lo
; %bb.106:
	s_or_b32 exec_lo, exec_lo, s29
	global_store_b8 v[2:3], v1, off
.LBB340_107:
	s_mov_b32 s30, 0
	s_mov_b32 s29, -1
.LBB340_108:
	s_and_not1_b32 vcc_lo, exec_lo, s30
	s_cbranch_vccnz .LBB340_116
; %bb.109:
	s_cmp_gt_i32 s28, 14
	s_mov_b32 s30, -1
	s_cbranch_scc0 .LBB340_113
; %bb.110:
	s_cmp_eq_u32 s28, 15
	s_mov_b32 s0, -1
	s_cbranch_scc0 .LBB340_112
; %bb.111:
	s_wait_xcnt 0x0
	v_cndmask_b32_e64 v1, 0, 1.0, s20
	s_mov_b32 s29, -1
	s_mov_b32 s0, 0
	s_delay_alu instid0(VALU_DEP_1) | instskip(NEXT) | instid1(VALU_DEP_1)
	v_bfe_u32 v4, v1, 16, 1
	v_add3_u32 v1, v1, v4, 0x7fff
	global_store_d16_hi_b16 v[2:3], v1, off
.LBB340_112:
	s_mov_b32 s30, 0
.LBB340_113:
	s_delay_alu instid0(SALU_CYCLE_1)
	s_and_b32 vcc_lo, exec_lo, s30
	s_cbranch_vccz .LBB340_116
; %bb.114:
	s_cmp_eq_u32 s28, 11
	s_mov_b32 s0, -1
	s_cbranch_scc0 .LBB340_116
; %bb.115:
	s_wait_xcnt 0x0
	v_cndmask_b32_e64 v1, 0, 1, s20
	s_mov_b32 s29, -1
	s_mov_b32 s0, 0
	global_store_b8 v[2:3], v1, off
.LBB340_116:
	s_branch .LBB340_35
.LBB340_117:
	s_and_b32 s27, 0xffff, s27
	s_mov_b32 s28, -1
	s_cmp_lt_i32 s27, 5
	s_cbranch_scc1 .LBB340_138
; %bb.118:
	s_cmp_lt_i32 s27, 8
	s_cbranch_scc1 .LBB340_128
; %bb.119:
	;; [unrolled: 3-line block ×3, first 2 shown]
	s_cmp_gt_i32 s27, 9
	s_cbranch_scc0 .LBB340_122
; %bb.121:
	s_wait_xcnt 0x0
	v_cndmask_b32_e64 v1, 0, 1, s20
	v_mov_b32_e32 v6, 0
	s_mov_b32 s28, 0
	s_delay_alu instid0(VALU_DEP_2) | instskip(NEXT) | instid1(VALU_DEP_2)
	v_cvt_f64_u32_e32 v[4:5], v1
	v_mov_b32_e32 v7, v6
	global_store_b128 v[2:3], v[4:7], off
.LBB340_122:
	s_and_not1_b32 vcc_lo, exec_lo, s28
	s_cbranch_vccnz .LBB340_124
; %bb.123:
	s_wait_xcnt 0x0
	v_cndmask_b32_e64 v4, 0, 1.0, s20
	v_mov_b32_e32 v5, 0
	global_store_b64 v[2:3], v[4:5], off
.LBB340_124:
	s_mov_b32 s28, 0
.LBB340_125:
	s_delay_alu instid0(SALU_CYCLE_1)
	s_and_not1_b32 vcc_lo, exec_lo, s28
	s_cbranch_vccnz .LBB340_127
; %bb.126:
	s_wait_xcnt 0x0
	v_cndmask_b32_e64 v1, 0, 1.0, s20
	s_delay_alu instid0(VALU_DEP_1) | instskip(NEXT) | instid1(VALU_DEP_1)
	v_cvt_f16_f32_e32 v1, v1
	v_and_b32_e32 v1, 0xffff, v1
	global_store_b32 v[2:3], v1, off
.LBB340_127:
	s_mov_b32 s28, 0
.LBB340_128:
	s_delay_alu instid0(SALU_CYCLE_1)
	s_and_not1_b32 vcc_lo, exec_lo, s28
	s_cbranch_vccnz .LBB340_137
; %bb.129:
	s_cmp_lt_i32 s27, 6
	s_mov_b32 s28, -1
	s_cbranch_scc1 .LBB340_135
; %bb.130:
	s_cmp_gt_i32 s27, 6
	s_cbranch_scc0 .LBB340_132
; %bb.131:
	s_wait_xcnt 0x0
	v_cndmask_b32_e64 v1, 0, 1, s20
	s_mov_b32 s28, 0
	s_delay_alu instid0(VALU_DEP_1)
	v_cvt_f64_u32_e32 v[4:5], v1
	global_store_b64 v[2:3], v[4:5], off
.LBB340_132:
	s_and_not1_b32 vcc_lo, exec_lo, s28
	s_cbranch_vccnz .LBB340_134
; %bb.133:
	s_wait_xcnt 0x0
	v_cndmask_b32_e64 v1, 0, 1.0, s20
	global_store_b32 v[2:3], v1, off
.LBB340_134:
	s_mov_b32 s28, 0
.LBB340_135:
	s_delay_alu instid0(SALU_CYCLE_1)
	s_and_not1_b32 vcc_lo, exec_lo, s28
	s_cbranch_vccnz .LBB340_137
; %bb.136:
	s_wait_xcnt 0x0
	v_cndmask_b32_e64 v1, 0, 1.0, s20
	s_delay_alu instid0(VALU_DEP_1)
	v_cvt_f16_f32_e32 v1, v1
	global_store_b16 v[2:3], v1, off
.LBB340_137:
	s_mov_b32 s28, 0
.LBB340_138:
	s_delay_alu instid0(SALU_CYCLE_1)
	s_and_not1_b32 vcc_lo, exec_lo, s28
	s_cbranch_vccnz .LBB340_154
; %bb.139:
	s_cmp_lt_i32 s27, 2
	s_mov_b32 s28, -1
	s_cbranch_scc1 .LBB340_149
; %bb.140:
	s_cmp_lt_i32 s27, 3
	s_cbranch_scc1 .LBB340_146
; %bb.141:
	s_cmp_gt_i32 s27, 3
	s_cbranch_scc0 .LBB340_143
; %bb.142:
	s_mov_b32 s28, 0
	s_wait_xcnt 0x0
	v_cndmask_b32_e64 v4, 0, 1, s20
	v_mov_b32_e32 v5, s28
	global_store_b64 v[2:3], v[4:5], off
.LBB340_143:
	s_and_not1_b32 vcc_lo, exec_lo, s28
	s_cbranch_vccnz .LBB340_145
; %bb.144:
	s_wait_xcnt 0x0
	v_cndmask_b32_e64 v1, 0, 1, s20
	global_store_b32 v[2:3], v1, off
.LBB340_145:
	s_mov_b32 s28, 0
.LBB340_146:
	s_delay_alu instid0(SALU_CYCLE_1)
	s_and_not1_b32 vcc_lo, exec_lo, s28
	s_cbranch_vccnz .LBB340_148
; %bb.147:
	s_wait_xcnt 0x0
	v_cndmask_b32_e64 v1, 0, 1, s20
	global_store_b16 v[2:3], v1, off
.LBB340_148:
	s_mov_b32 s28, 0
.LBB340_149:
	s_delay_alu instid0(SALU_CYCLE_1)
	s_and_not1_b32 vcc_lo, exec_lo, s28
	s_cbranch_vccnz .LBB340_154
; %bb.150:
	s_cmp_gt_i32 s27, 0
	s_mov_b32 s27, -1
	s_cbranch_scc0 .LBB340_152
; %bb.151:
	s_wait_xcnt 0x0
	v_cndmask_b32_e64 v1, 0, 1, s20
	s_mov_b32 s27, 0
	global_store_b8 v[2:3], v1, off
.LBB340_152:
	s_and_not1_b32 vcc_lo, exec_lo, s27
	s_cbranch_vccnz .LBB340_154
; %bb.153:
	s_wait_xcnt 0x0
	v_cndmask_b32_e64 v1, 0, 1, s20
	global_store_b8 v[2:3], v1, off
.LBB340_154:
.LBB340_155:
	v_add_nc_u32_e32 v0, 0x80, v0
	s_mov_b32 s27, -1
	s_branch .LBB340_262
.LBB340_156:
	s_mov_b32 s26, -1
                                        ; implicit-def: $vgpr6
.LBB340_157:
	s_mov_b32 s27, 0
.LBB340_158:
	s_delay_alu instid0(SALU_CYCLE_1)
	s_and_b32 vcc_lo, exec_lo, s27
	s_cbranch_vccz .LBB340_162
; %bb.159:
	s_cmp_eq_u32 s0, 29
	s_cbranch_scc0 .LBB340_161
; %bb.160:
	global_load_b64 v[6:7], v[4:5], off
	s_mov_b32 s20, -1
	s_mov_b32 s26, 0
	s_branch .LBB340_162
.LBB340_161:
	s_mov_b32 s26, -1
                                        ; implicit-def: $vgpr6
.LBB340_162:
	s_mov_b32 s27, 0
.LBB340_163:
	s_delay_alu instid0(SALU_CYCLE_1)
	s_and_b32 vcc_lo, exec_lo, s27
	s_cbranch_vccz .LBB340_179
; %bb.164:
	s_cmp_lt_i32 s0, 27
	s_cbranch_scc1 .LBB340_167
; %bb.165:
	s_cmp_gt_i32 s0, 27
	s_cbranch_scc0 .LBB340_168
; %bb.166:
	s_wait_loadcnt 0x0
	global_load_b32 v6, v[4:5], off
	s_mov_b32 s20, 0
	s_branch .LBB340_169
.LBB340_167:
	s_mov_b32 s20, -1
                                        ; implicit-def: $vgpr6
	s_branch .LBB340_172
.LBB340_168:
	s_mov_b32 s20, -1
                                        ; implicit-def: $vgpr6
.LBB340_169:
	s_delay_alu instid0(SALU_CYCLE_1)
	s_and_not1_b32 vcc_lo, exec_lo, s20
	s_cbranch_vccnz .LBB340_171
; %bb.170:
	s_wait_loadcnt 0x0
	global_load_u16 v6, v[4:5], off
.LBB340_171:
	s_mov_b32 s20, 0
.LBB340_172:
	s_delay_alu instid0(SALU_CYCLE_1)
	s_and_not1_b32 vcc_lo, exec_lo, s20
	s_cbranch_vccnz .LBB340_178
; %bb.173:
	global_load_u8 v1, v[4:5], off
	s_mov_b32 s27, 0
	s_mov_b32 s20, exec_lo
	s_wait_loadcnt 0x0
	v_cmpx_lt_i16_e32 0x7f, v1
	s_xor_b32 s20, exec_lo, s20
	s_cbranch_execz .LBB340_189
; %bb.174:
	v_cmp_ne_u16_e32 vcc_lo, 0x80, v1
	s_and_b32 s27, vcc_lo, exec_lo
	s_and_not1_saveexec_b32 s20, s20
	s_cbranch_execnz .LBB340_190
.LBB340_175:
	s_or_b32 exec_lo, exec_lo, s20
	v_mov_b32_e32 v6, 0
	s_and_saveexec_b32 s20, s27
	s_cbranch_execz .LBB340_177
.LBB340_176:
	v_and_b32_e32 v3, 0xffff, v1
	s_delay_alu instid0(VALU_DEP_1) | instskip(SKIP_1) | instid1(VALU_DEP_2)
	v_dual_lshlrev_b32 v1, 24, v1 :: v_dual_bitop2_b32 v6, 7, v3 bitop3:0x40
	v_bfe_u32 v9, v3, 3, 4
	v_and_b32_e32 v1, 0x80000000, v1
	s_delay_alu instid0(VALU_DEP_3) | instskip(NEXT) | instid1(VALU_DEP_3)
	v_clz_i32_u32_e32 v7, v6
	v_cmp_eq_u32_e32 vcc_lo, 0, v9
	s_delay_alu instid0(VALU_DEP_2) | instskip(NEXT) | instid1(VALU_DEP_1)
	v_min_u32_e32 v7, 32, v7
	v_subrev_nc_u32_e32 v8, 28, v7
	v_sub_nc_u32_e32 v7, 29, v7
	s_delay_alu instid0(VALU_DEP_2) | instskip(NEXT) | instid1(VALU_DEP_2)
	v_lshlrev_b32_e32 v3, v8, v3
	v_cndmask_b32_e32 v7, v9, v7, vcc_lo
	s_delay_alu instid0(VALU_DEP_2) | instskip(NEXT) | instid1(VALU_DEP_1)
	v_and_b32_e32 v3, 7, v3
	v_cndmask_b32_e32 v3, v6, v3, vcc_lo
	s_delay_alu instid0(VALU_DEP_3) | instskip(NEXT) | instid1(VALU_DEP_2)
	v_lshl_add_u32 v6, v7, 23, 0x3b800000
	v_lshlrev_b32_e32 v3, 20, v3
	s_delay_alu instid0(VALU_DEP_1) | instskip(NEXT) | instid1(VALU_DEP_1)
	v_or3_b32 v1, v1, v6, v3
	v_cvt_u32_f32_e32 v6, v1
.LBB340_177:
	s_or_b32 exec_lo, exec_lo, s20
.LBB340_178:
	s_mov_b32 s20, -1
.LBB340_179:
	s_branch .LBB340_212
.LBB340_180:
	s_cmp_gt_i32 s0, 22
	s_cbranch_scc0 .LBB340_188
; %bb.181:
	s_cmp_lt_i32 s0, 24
	s_cbranch_scc1 .LBB340_191
; %bb.182:
	s_cmp_gt_i32 s0, 24
	s_cbranch_scc0 .LBB340_192
; %bb.183:
	global_load_u8 v1, v[4:5], off
	s_mov_b32 s27, 0
	s_mov_b32 s20, exec_lo
	s_wait_loadcnt 0x0
	v_cmpx_lt_i16_e32 0x7f, v1
	s_xor_b32 s20, exec_lo, s20
	s_cbranch_execz .LBB340_204
; %bb.184:
	v_cmp_ne_u16_e32 vcc_lo, 0x80, v1
	s_and_b32 s27, vcc_lo, exec_lo
	s_and_not1_saveexec_b32 s20, s20
	s_cbranch_execnz .LBB340_205
.LBB340_185:
	s_or_b32 exec_lo, exec_lo, s20
	v_mov_b32_e32 v6, 0
	s_and_saveexec_b32 s20, s27
	s_cbranch_execz .LBB340_187
.LBB340_186:
	v_and_b32_e32 v3, 0xffff, v1
	s_delay_alu instid0(VALU_DEP_1) | instskip(SKIP_1) | instid1(VALU_DEP_2)
	v_dual_lshlrev_b32 v1, 24, v1 :: v_dual_bitop2_b32 v6, 3, v3 bitop3:0x40
	v_bfe_u32 v9, v3, 2, 5
	v_and_b32_e32 v1, 0x80000000, v1
	s_delay_alu instid0(VALU_DEP_3) | instskip(NEXT) | instid1(VALU_DEP_3)
	v_clz_i32_u32_e32 v7, v6
	v_cmp_eq_u32_e32 vcc_lo, 0, v9
	s_delay_alu instid0(VALU_DEP_2) | instskip(NEXT) | instid1(VALU_DEP_1)
	v_min_u32_e32 v7, 32, v7
	v_subrev_nc_u32_e32 v8, 29, v7
	v_sub_nc_u32_e32 v7, 30, v7
	s_delay_alu instid0(VALU_DEP_2) | instskip(NEXT) | instid1(VALU_DEP_2)
	v_lshlrev_b32_e32 v3, v8, v3
	v_cndmask_b32_e32 v7, v9, v7, vcc_lo
	s_delay_alu instid0(VALU_DEP_2) | instskip(NEXT) | instid1(VALU_DEP_1)
	v_and_b32_e32 v3, 3, v3
	v_cndmask_b32_e32 v3, v6, v3, vcc_lo
	s_delay_alu instid0(VALU_DEP_3) | instskip(NEXT) | instid1(VALU_DEP_2)
	v_lshl_add_u32 v6, v7, 23, 0x37800000
	v_lshlrev_b32_e32 v3, 21, v3
	s_delay_alu instid0(VALU_DEP_1) | instskip(NEXT) | instid1(VALU_DEP_1)
	v_or3_b32 v1, v1, v6, v3
	v_cvt_u32_f32_e32 v6, v1
.LBB340_187:
	s_or_b32 exec_lo, exec_lo, s20
	s_mov_b32 s20, 0
	s_branch .LBB340_193
.LBB340_188:
	s_mov_b32 s27, -1
                                        ; implicit-def: $vgpr6
	s_branch .LBB340_199
.LBB340_189:
	s_and_not1_saveexec_b32 s20, s20
	s_cbranch_execz .LBB340_175
.LBB340_190:
	v_cmp_ne_u16_e32 vcc_lo, 0, v1
	s_and_not1_b32 s27, s27, exec_lo
	s_and_b32 s28, vcc_lo, exec_lo
	s_delay_alu instid0(SALU_CYCLE_1)
	s_or_b32 s27, s27, s28
	s_or_b32 exec_lo, exec_lo, s20
	v_mov_b32_e32 v6, 0
	s_and_saveexec_b32 s20, s27
	s_cbranch_execnz .LBB340_176
	s_branch .LBB340_177
.LBB340_191:
	s_mov_b32 s20, -1
                                        ; implicit-def: $vgpr6
	s_branch .LBB340_196
.LBB340_192:
	s_mov_b32 s20, -1
                                        ; implicit-def: $vgpr6
.LBB340_193:
	s_delay_alu instid0(SALU_CYCLE_1)
	s_and_b32 vcc_lo, exec_lo, s20
	s_cbranch_vccz .LBB340_195
; %bb.194:
	global_load_u8 v1, v[4:5], off
	s_wait_loadcnt 0x0
	v_lshlrev_b32_e32 v1, 24, v1
	s_delay_alu instid0(VALU_DEP_1) | instskip(NEXT) | instid1(VALU_DEP_1)
	v_and_b32_e32 v3, 0x7f000000, v1
	v_clz_i32_u32_e32 v6, v3
	v_cmp_ne_u32_e32 vcc_lo, 0, v3
	v_add_nc_u32_e32 v8, 0x1000000, v3
	s_delay_alu instid0(VALU_DEP_3) | instskip(NEXT) | instid1(VALU_DEP_1)
	v_min_u32_e32 v6, 32, v6
	v_sub_nc_u32_e64 v6, v6, 4 clamp
	s_delay_alu instid0(VALU_DEP_1) | instskip(NEXT) | instid1(VALU_DEP_1)
	v_dual_lshlrev_b32 v7, v6, v3 :: v_dual_lshlrev_b32 v6, 23, v6
	v_lshrrev_b32_e32 v7, 4, v7
	s_delay_alu instid0(VALU_DEP_1) | instskip(NEXT) | instid1(VALU_DEP_1)
	v_dual_sub_nc_u32 v6, v7, v6 :: v_dual_ashrrev_i32 v7, 8, v8
	v_add_nc_u32_e32 v6, 0x3c000000, v6
	s_delay_alu instid0(VALU_DEP_1) | instskip(NEXT) | instid1(VALU_DEP_1)
	v_and_or_b32 v6, 0x7f800000, v7, v6
	v_cndmask_b32_e32 v3, 0, v6, vcc_lo
	s_delay_alu instid0(VALU_DEP_1) | instskip(NEXT) | instid1(VALU_DEP_1)
	v_and_or_b32 v1, 0x80000000, v1, v3
	v_cvt_u32_f32_e32 v6, v1
.LBB340_195:
	s_mov_b32 s20, 0
.LBB340_196:
	s_delay_alu instid0(SALU_CYCLE_1)
	s_and_not1_b32 vcc_lo, exec_lo, s20
	s_cbranch_vccnz .LBB340_198
; %bb.197:
	global_load_u8 v1, v[4:5], off
	s_wait_loadcnt 0x0
	v_lshlrev_b32_e32 v3, 25, v1
	v_lshlrev_b16 v1, 8, v1
	s_delay_alu instid0(VALU_DEP_1) | instskip(SKIP_1) | instid1(VALU_DEP_2)
	v_and_or_b32 v7, 0x7f00, v1, 0.5
	v_bfe_i32 v1, v1, 0, 16
	v_add_f32_e32 v7, -0.5, v7
	v_lshrrev_b32_e32 v6, 4, v3
	v_cmp_gt_u32_e32 vcc_lo, 0x8000000, v3
	s_delay_alu instid0(VALU_DEP_2) | instskip(NEXT) | instid1(VALU_DEP_1)
	v_or_b32_e32 v6, 0x70000000, v6
	v_mul_f32_e32 v6, 0x7800000, v6
	s_delay_alu instid0(VALU_DEP_1) | instskip(NEXT) | instid1(VALU_DEP_1)
	v_cndmask_b32_e32 v3, v6, v7, vcc_lo
	v_and_or_b32 v1, 0x80000000, v1, v3
	s_delay_alu instid0(VALU_DEP_1)
	v_cvt_u32_f32_e32 v6, v1
.LBB340_198:
	s_mov_b32 s27, 0
	s_mov_b32 s20, -1
.LBB340_199:
	s_and_not1_b32 vcc_lo, exec_lo, s27
	s_cbranch_vccnz .LBB340_212
; %bb.200:
	s_cmp_gt_i32 s0, 14
	s_cbranch_scc0 .LBB340_203
; %bb.201:
	s_cmp_eq_u32 s0, 15
	s_cbranch_scc0 .LBB340_206
; %bb.202:
	global_load_u16 v1, v[4:5], off
	s_mov_b32 s20, -1
	s_mov_b32 s26, 0
	s_wait_loadcnt 0x0
	v_lshlrev_b32_e32 v1, 16, v1
	s_delay_alu instid0(VALU_DEP_1)
	v_cvt_u32_f32_e32 v6, v1
	s_branch .LBB340_207
.LBB340_203:
	s_mov_b32 s27, -1
                                        ; implicit-def: $vgpr6
	s_branch .LBB340_208
.LBB340_204:
	s_and_not1_saveexec_b32 s20, s20
	s_cbranch_execz .LBB340_185
.LBB340_205:
	v_cmp_ne_u16_e32 vcc_lo, 0, v1
	s_and_not1_b32 s27, s27, exec_lo
	s_and_b32 s28, vcc_lo, exec_lo
	s_delay_alu instid0(SALU_CYCLE_1)
	s_or_b32 s27, s27, s28
	s_or_b32 exec_lo, exec_lo, s20
	v_mov_b32_e32 v6, 0
	s_and_saveexec_b32 s20, s27
	s_cbranch_execnz .LBB340_186
	s_branch .LBB340_187
.LBB340_206:
	s_mov_b32 s26, -1
                                        ; implicit-def: $vgpr6
.LBB340_207:
	s_mov_b32 s27, 0
.LBB340_208:
	s_delay_alu instid0(SALU_CYCLE_1)
	s_and_b32 vcc_lo, exec_lo, s27
	s_cbranch_vccz .LBB340_212
; %bb.209:
	s_cmp_eq_u32 s0, 11
	s_cbranch_scc0 .LBB340_211
; %bb.210:
	global_load_u8 v1, v[4:5], off
	s_mov_b32 s26, 0
	s_mov_b32 s20, -1
	s_wait_loadcnt 0x0
	v_cmp_ne_u16_e32 vcc_lo, 0, v1
	v_cndmask_b32_e64 v6, 0, 1, vcc_lo
	s_branch .LBB340_212
.LBB340_211:
	s_mov_b32 s26, -1
                                        ; implicit-def: $vgpr6
.LBB340_212:
	s_branch .LBB340_25
.LBB340_213:
	s_cmp_lt_i32 s0, 5
	s_cbranch_scc1 .LBB340_218
; %bb.214:
	s_cmp_lt_i32 s0, 8
	s_cbranch_scc1 .LBB340_219
; %bb.215:
	;; [unrolled: 3-line block ×3, first 2 shown]
	s_cmp_gt_i32 s0, 9
	s_cbranch_scc0 .LBB340_221
; %bb.217:
	s_wait_loadcnt 0x0
	global_load_b64 v[6:7], v[4:5], off
	s_mov_b32 s20, 0
	s_wait_loadcnt 0x0
	v_cvt_u32_f64_e32 v6, v[6:7]
	s_branch .LBB340_222
.LBB340_218:
                                        ; implicit-def: $vgpr6
	s_branch .LBB340_240
.LBB340_219:
	s_mov_b32 s20, -1
                                        ; implicit-def: $vgpr6
	s_branch .LBB340_228
.LBB340_220:
	s_mov_b32 s20, -1
                                        ; implicit-def: $vgpr6
	s_branch .LBB340_225
.LBB340_221:
	s_mov_b32 s20, -1
                                        ; implicit-def: $vgpr6
.LBB340_222:
	s_delay_alu instid0(SALU_CYCLE_1)
	s_and_not1_b32 vcc_lo, exec_lo, s20
	s_cbranch_vccnz .LBB340_224
; %bb.223:
	global_load_b32 v1, v[4:5], off
	s_wait_loadcnt 0x0
	v_cvt_u32_f32_e32 v6, v1
.LBB340_224:
	s_mov_b32 s20, 0
.LBB340_225:
	s_delay_alu instid0(SALU_CYCLE_1)
	s_and_not1_b32 vcc_lo, exec_lo, s20
	s_cbranch_vccnz .LBB340_227
; %bb.226:
	global_load_b32 v1, v[4:5], off
	s_wait_loadcnt 0x0
	v_cvt_u16_f16_e32 v6, v1
.LBB340_227:
	s_mov_b32 s20, 0
.LBB340_228:
	s_delay_alu instid0(SALU_CYCLE_1)
	s_and_not1_b32 vcc_lo, exec_lo, s20
	s_cbranch_vccnz .LBB340_239
; %bb.229:
	s_cmp_lt_i32 s0, 6
	s_cbranch_scc1 .LBB340_232
; %bb.230:
	s_cmp_gt_i32 s0, 6
	s_cbranch_scc0 .LBB340_233
; %bb.231:
	s_wait_loadcnt 0x0
	global_load_b64 v[6:7], v[4:5], off
	s_mov_b32 s20, 0
	s_wait_loadcnt 0x0
	v_cvt_u32_f64_e32 v6, v[6:7]
	s_branch .LBB340_234
.LBB340_232:
	s_mov_b32 s20, -1
                                        ; implicit-def: $vgpr6
	s_branch .LBB340_237
.LBB340_233:
	s_mov_b32 s20, -1
                                        ; implicit-def: $vgpr6
.LBB340_234:
	s_delay_alu instid0(SALU_CYCLE_1)
	s_and_not1_b32 vcc_lo, exec_lo, s20
	s_cbranch_vccnz .LBB340_236
; %bb.235:
	global_load_b32 v1, v[4:5], off
	s_wait_loadcnt 0x0
	v_cvt_u32_f32_e32 v6, v1
.LBB340_236:
	s_mov_b32 s20, 0
.LBB340_237:
	s_delay_alu instid0(SALU_CYCLE_1)
	s_and_not1_b32 vcc_lo, exec_lo, s20
	s_cbranch_vccnz .LBB340_239
; %bb.238:
	global_load_u16 v1, v[4:5], off
	s_wait_loadcnt 0x0
	v_cvt_u16_f16_e32 v6, v1
.LBB340_239:
	s_cbranch_execnz .LBB340_259
.LBB340_240:
	s_cmp_lt_i32 s0, 2
	s_cbranch_scc1 .LBB340_244
; %bb.241:
	s_cmp_lt_i32 s0, 3
	s_cbranch_scc1 .LBB340_245
; %bb.242:
	s_cmp_gt_i32 s0, 3
	s_cbranch_scc0 .LBB340_246
; %bb.243:
	s_wait_loadcnt 0x0
	global_load_b64 v[6:7], v[4:5], off
	s_mov_b32 s20, 0
	s_branch .LBB340_247
.LBB340_244:
	s_mov_b32 s20, -1
                                        ; implicit-def: $vgpr6
	s_branch .LBB340_253
.LBB340_245:
	s_mov_b32 s20, -1
                                        ; implicit-def: $vgpr6
	s_branch .LBB340_250
.LBB340_246:
	s_mov_b32 s20, -1
                                        ; implicit-def: $vgpr6
.LBB340_247:
	s_delay_alu instid0(SALU_CYCLE_1)
	s_and_not1_b32 vcc_lo, exec_lo, s20
	s_cbranch_vccnz .LBB340_249
; %bb.248:
	s_wait_loadcnt 0x0
	global_load_b32 v6, v[4:5], off
.LBB340_249:
	s_mov_b32 s20, 0
.LBB340_250:
	s_delay_alu instid0(SALU_CYCLE_1)
	s_and_not1_b32 vcc_lo, exec_lo, s20
	s_cbranch_vccnz .LBB340_252
; %bb.251:
	s_wait_loadcnt 0x0
	global_load_u16 v6, v[4:5], off
.LBB340_252:
	s_mov_b32 s20, 0
.LBB340_253:
	s_delay_alu instid0(SALU_CYCLE_1)
	s_and_not1_b32 vcc_lo, exec_lo, s20
	s_cbranch_vccnz .LBB340_259
; %bb.254:
	s_cmp_gt_i32 s0, 0
	s_mov_b32 s0, 0
	s_cbranch_scc0 .LBB340_256
; %bb.255:
	s_wait_loadcnt 0x0
	global_load_i8 v6, v[4:5], off
	s_branch .LBB340_257
.LBB340_256:
	s_mov_b32 s0, -1
                                        ; implicit-def: $vgpr6
.LBB340_257:
	s_delay_alu instid0(SALU_CYCLE_1)
	s_and_not1_b32 vcc_lo, exec_lo, s0
	s_cbranch_vccnz .LBB340_259
; %bb.258:
	s_wait_loadcnt 0x0
	global_load_u8 v6, v[4:5], off
.LBB340_259:
	s_branch .LBB340_26
.LBB340_260:
	s_mov_b32 s0, 0
.LBB340_261:
	s_mov_b32 s27, 0
                                        ; implicit-def: $vgpr0
.LBB340_262:
	s_and_b32 s20, s0, exec_lo
	s_and_b32 s42, s26, exec_lo
	s_or_not1_b32 s26, s27, exec_lo
.LBB340_263:
	s_wait_xcnt 0x0
	s_or_b32 exec_lo, exec_lo, s43
	s_mov_b32 s27, 0
	s_mov_b32 s0, 0
                                        ; implicit-def: $vgpr4_vgpr5
                                        ; implicit-def: $vgpr2
                                        ; implicit-def: $vgpr6
	s_and_saveexec_b32 s43, s26
	s_cbranch_execz .LBB340_271
; %bb.264:
	s_mov_b32 s0, -1
	s_mov_b32 s44, s42
	s_mov_b32 s45, s20
	s_mov_b32 s46, exec_lo
	v_cmpx_gt_i32_e64 s39, v0
	s_cbranch_execz .LBB340_538
; %bb.265:
	s_and_not1_b32 vcc_lo, exec_lo, s35
	s_cbranch_vccnz .LBB340_274
; %bb.266:
	s_and_not1_b32 vcc_lo, exec_lo, s41
	s_cbranch_vccnz .LBB340_275
; %bb.267:
	s_add_co_i32 s0, s40, 1
	s_cmp_eq_u32 s34, 2
	s_cbranch_scc1 .LBB340_276
; %bb.268:
	v_dual_mov_b32 v2, 0 :: v_dual_mov_b32 v4, 0
	v_mov_b32_e32 v1, v0
	s_and_b32 s26, s0, 28
	s_mov_b64 s[28:29], s[16:17]
	s_mov_b64 s[30:31], s[24:25]
.LBB340_269:                            ; =>This Inner Loop Header: Depth=1
	s_clause 0x1
	s_load_b256 s[48:55], s[28:29], 0x4
	s_load_b128 s[64:67], s[28:29], 0x24
	s_load_b256 s[56:63], s[30:31], 0x0
	s_add_co_i32 s27, s27, 4
	s_wait_xcnt 0x0
	s_add_nc_u64 s[28:29], s[28:29], 48
	s_cmp_eq_u32 s26, s27
	s_add_nc_u64 s[30:31], s[30:31], 32
	s_wait_kmcnt 0x0
	v_mul_hi_u32 v3, s49, v1
	s_delay_alu instid0(VALU_DEP_1) | instskip(NEXT) | instid1(VALU_DEP_1)
	v_add_nc_u32_e32 v3, v1, v3
	v_lshrrev_b32_e32 v3, s50, v3
	s_delay_alu instid0(VALU_DEP_1) | instskip(NEXT) | instid1(VALU_DEP_1)
	v_mul_hi_u32 v5, s52, v3
	v_add_nc_u32_e32 v5, v3, v5
	s_delay_alu instid0(VALU_DEP_1) | instskip(SKIP_1) | instid1(VALU_DEP_1)
	v_lshrrev_b32_e32 v5, s53, v5
	s_wait_loadcnt 0x0
	v_mul_hi_u32 v6, s55, v5
	s_delay_alu instid0(VALU_DEP_1) | instskip(SKIP_1) | instid1(VALU_DEP_1)
	v_add_nc_u32_e32 v6, v5, v6
	v_mul_lo_u32 v7, v3, s48
	v_sub_nc_u32_e32 v1, v1, v7
	v_mul_lo_u32 v7, v5, s51
	s_delay_alu instid0(VALU_DEP_4) | instskip(NEXT) | instid1(VALU_DEP_3)
	v_lshrrev_b32_e32 v6, s64, v6
	v_mad_u32 v4, v1, s57, v4
	v_mad_u32 v1, v1, s56, v2
	s_delay_alu instid0(VALU_DEP_4) | instskip(NEXT) | instid1(VALU_DEP_4)
	v_sub_nc_u32_e32 v2, v3, v7
	v_mul_hi_u32 v8, s66, v6
	v_mul_lo_u32 v3, v6, s54
	s_delay_alu instid0(VALU_DEP_3) | instskip(SKIP_1) | instid1(VALU_DEP_3)
	v_mad_u32 v4, v2, s59, v4
	v_mad_u32 v2, v2, s58, v1
	v_dual_add_nc_u32 v7, v6, v8 :: v_dual_sub_nc_u32 v3, v5, v3
	s_delay_alu instid0(VALU_DEP_1) | instskip(NEXT) | instid1(VALU_DEP_2)
	v_lshrrev_b32_e32 v1, s67, v7
	v_mad_u32 v4, v3, s61, v4
	s_delay_alu instid0(VALU_DEP_4) | instskip(NEXT) | instid1(VALU_DEP_3)
	v_mad_u32 v2, v3, s60, v2
	v_mul_lo_u32 v5, v1, s65
	s_delay_alu instid0(VALU_DEP_1) | instskip(NEXT) | instid1(VALU_DEP_1)
	v_sub_nc_u32_e32 v3, v6, v5
	v_mad_u32 v4, v3, s63, v4
	s_delay_alu instid0(VALU_DEP_4)
	v_mad_u32 v2, v3, s62, v2
	s_cbranch_scc0 .LBB340_269
; %bb.270:
	s_delay_alu instid0(VALU_DEP_2)
	v_mov_b32_e32 v3, v4
	s_branch .LBB340_277
.LBB340_271:
	s_or_b32 exec_lo, exec_lo, s43
	s_mov_b32 s6, 0
	s_and_saveexec_b32 s7, s42
	s_cbranch_execnz .LBB340_912
.LBB340_272:
	s_or_b32 exec_lo, exec_lo, s7
	s_and_saveexec_b32 s7, s19
	s_delay_alu instid0(SALU_CYCLE_1)
	s_xor_b32 s7, exec_lo, s7
	s_cbranch_execz .LBB340_913
.LBB340_273:
	global_load_u8 v0, v[4:5], off
	s_or_b32 s0, s0, exec_lo
	s_wait_loadcnt 0x0
	v_cmp_ne_u16_e32 vcc_lo, 0, v0
	v_cndmask_b32_e64 v6, 0, 1, vcc_lo
	s_wait_xcnt 0x0
	s_or_b32 exec_lo, exec_lo, s7
	s_and_saveexec_b32 s7, s27
	s_cbranch_execz .LBB340_959
	s_branch .LBB340_914
.LBB340_274:
                                        ; implicit-def: $vgpr4
                                        ; implicit-def: $vgpr2
	s_and_not1_b32 vcc_lo, exec_lo, s0
	s_cbranch_vccnz .LBB340_284
	s_branch .LBB340_282
.LBB340_275:
	v_dual_mov_b32 v4, 0 :: v_dual_mov_b32 v2, 0
	s_branch .LBB340_281
.LBB340_276:
	v_mov_b64_e32 v[2:3], 0
	v_mov_b32_e32 v1, v0
	s_mov_b32 s26, 0
                                        ; implicit-def: $vgpr4
.LBB340_277:
	s_and_b32 s0, s0, 3
	s_mov_b32 s27, 0
	s_cmp_eq_u32 s0, 0
	s_cbranch_scc1 .LBB340_281
; %bb.278:
	s_lshl_b32 s28, s26, 3
	s_mov_b32 s29, s27
	s_mul_u64 s[30:31], s[26:27], 12
	s_add_nc_u64 s[28:29], s[16:17], s[28:29]
	s_delay_alu instid0(SALU_CYCLE_1)
	s_add_nc_u64 s[26:27], s[28:29], 0xc4
	s_add_nc_u64 s[28:29], s[16:17], s[30:31]
.LBB340_279:                            ; =>This Inner Loop Header: Depth=1
	s_load_b96 s[48:50], s[28:29], 0x4
	s_load_b64 s[30:31], s[26:27], 0x0
	s_add_co_i32 s0, s0, -1
	s_wait_xcnt 0x0
	s_add_nc_u64 s[28:29], s[28:29], 12
	s_cmp_lg_u32 s0, 0
	s_add_nc_u64 s[26:27], s[26:27], 8
	s_wait_kmcnt 0x0
	v_mul_hi_u32 v4, s49, v1
	s_delay_alu instid0(VALU_DEP_1) | instskip(NEXT) | instid1(VALU_DEP_1)
	v_add_nc_u32_e32 v4, v1, v4
	v_lshrrev_b32_e32 v4, s50, v4
	s_delay_alu instid0(VALU_DEP_1) | instskip(NEXT) | instid1(VALU_DEP_1)
	v_mul_lo_u32 v5, v4, s48
	v_sub_nc_u32_e32 v1, v1, v5
	s_delay_alu instid0(VALU_DEP_1)
	v_mad_u32 v3, v1, s31, v3
	v_mad_u32 v2, v1, s30, v2
	v_mov_b32_e32 v1, v4
	s_cbranch_scc1 .LBB340_279
; %bb.280:
	s_delay_alu instid0(VALU_DEP_3)
	v_mov_b32_e32 v4, v3
.LBB340_281:
	s_cbranch_execnz .LBB340_284
.LBB340_282:
	v_mov_b32_e32 v1, 0
	s_and_not1_b32 vcc_lo, exec_lo, s38
	s_delay_alu instid0(VALU_DEP_1) | instskip(NEXT) | instid1(VALU_DEP_1)
	v_mul_u64_e32 v[2:3], s[18:19], v[0:1]
	v_add_nc_u32_e32 v2, v0, v3
	s_wait_loadcnt 0x0
	s_delay_alu instid0(VALU_DEP_1) | instskip(NEXT) | instid1(VALU_DEP_1)
	v_lshrrev_b32_e32 v6, s10, v2
	v_mul_lo_u32 v2, v6, s8
	s_delay_alu instid0(VALU_DEP_1) | instskip(NEXT) | instid1(VALU_DEP_1)
	v_sub_nc_u32_e32 v2, v0, v2
	v_mul_lo_u32 v4, v2, s13
	v_mul_lo_u32 v2, v2, s12
	s_cbranch_vccnz .LBB340_284
; %bb.283:
	v_mov_b32_e32 v7, v1
	s_delay_alu instid0(VALU_DEP_1) | instskip(NEXT) | instid1(VALU_DEP_1)
	v_mul_u64_e32 v[8:9], s[22:23], v[6:7]
	v_add_nc_u32_e32 v1, v6, v9
	s_delay_alu instid0(VALU_DEP_1) | instskip(NEXT) | instid1(VALU_DEP_1)
	v_lshrrev_b32_e32 v1, s21, v1
	v_mul_lo_u32 v1, v1, s11
	s_delay_alu instid0(VALU_DEP_1) | instskip(NEXT) | instid1(VALU_DEP_1)
	v_sub_nc_u32_e32 v1, v6, v1
	v_mad_u32 v2, v1, s14, v2
	v_mad_u32 v4, v1, s15, v4
.LBB340_284:
	v_mov_b32_e32 v5, 0
	s_and_b32 s0, 0xffff, s37
	s_delay_alu instid0(SALU_CYCLE_1) | instskip(NEXT) | instid1(VALU_DEP_1)
	s_cmp_lt_i32 s0, 11
	v_add_nc_u64_e32 v[4:5], s[6:7], v[4:5]
	s_cbranch_scc1 .LBB340_291
; %bb.285:
	s_cmp_gt_i32 s0, 25
	s_cbranch_scc0 .LBB340_300
; %bb.286:
	s_cmp_gt_i32 s0, 28
	s_cbranch_scc0 .LBB340_302
	;; [unrolled: 3-line block ×4, first 2 shown]
; %bb.289:
	s_cmp_eq_u32 s0, 46
	s_mov_b32 s28, 0
	s_cbranch_scc0 .LBB340_312
; %bb.290:
	global_load_b32 v1, v[4:5], off
	s_mov_b32 s27, -1
	s_mov_b32 s26, 0
	s_wait_loadcnt 0x0
	v_lshlrev_b32_e32 v1, 16, v1
	s_delay_alu instid0(VALU_DEP_1)
	v_cvt_u32_f32_e32 v6, v1
	s_branch .LBB340_314
.LBB340_291:
	s_mov_b32 s27, 0
	s_mov_b32 s26, s42
                                        ; implicit-def: $vgpr6
	s_cbranch_execnz .LBB340_487
.LBB340_292:
	s_and_not1_b32 vcc_lo, exec_lo, s27
	s_cbranch_vccnz .LBB340_535
.LBB340_293:
	v_mov_b32_e32 v3, 0
	s_wait_loadcnt 0x0
	s_delay_alu instid0(VALU_DEP_2) | instskip(SKIP_1) | instid1(VALU_DEP_2)
	v_cmp_ne_u16_e32 vcc_lo, s1, v6
	s_and_b32 s28, s2, 0xff
	v_add_nc_u64_e32 v[2:3], s[4:5], v[2:3]
	s_xor_b32 s27, s9, vcc_lo
	s_cmp_lt_i32 s28, 11
	s_cbranch_scc1 .LBB340_301
; %bb.294:
	s_and_b32 s29, 0xffff, s28
	s_delay_alu instid0(SALU_CYCLE_1)
	s_cmp_gt_i32 s29, 25
	s_cbranch_scc0 .LBB340_303
; %bb.295:
	s_cmp_gt_i32 s29, 28
	s_cbranch_scc0 .LBB340_305
; %bb.296:
	;; [unrolled: 3-line block ×4, first 2 shown]
	s_mov_b32 s31, 0
	s_mov_b32 s0, -1
	s_cmp_eq_u32 s29, 46
	s_mov_b32 s30, 0
	s_cbranch_scc0 .LBB340_318
; %bb.299:
	v_cndmask_b32_e64 v1, 0, 1.0, s27
	s_mov_b32 s30, -1
	s_mov_b32 s0, 0
	s_wait_xcnt 0x0
	s_delay_alu instid0(VALU_DEP_1) | instskip(NEXT) | instid1(VALU_DEP_1)
	v_bfe_u32 v4, v1, 16, 1
	v_add3_u32 v1, v1, v4, 0x7fff
	s_delay_alu instid0(VALU_DEP_1)
	v_lshrrev_b32_e32 v1, 16, v1
	global_store_b32 v[2:3], v1, off
	s_branch .LBB340_318
.LBB340_300:
	s_mov_b32 s28, -1
	s_mov_b32 s27, 0
	s_mov_b32 s26, s42
                                        ; implicit-def: $vgpr6
	s_branch .LBB340_453
.LBB340_301:
	s_mov_b32 s29, -1
	s_mov_b32 s30, 0
	s_mov_b32 s0, s20
	s_branch .LBB340_387
.LBB340_302:
	s_mov_b32 s28, -1
	s_mov_b32 s27, 0
	s_mov_b32 s26, s42
                                        ; implicit-def: $vgpr6
	s_branch .LBB340_436
.LBB340_303:
	s_mov_b32 s31, -1
	s_mov_b32 s30, 0
	s_mov_b32 s0, s20
	s_branch .LBB340_345
.LBB340_304:
	s_mov_b32 s28, -1
	s_mov_b32 s27, 0
	s_mov_b32 s26, s42
                                        ; implicit-def: $vgpr6
	s_branch .LBB340_431
.LBB340_305:
	s_mov_b32 s31, -1
	s_mov_b32 s30, 0
	s_mov_b32 s0, s20
	s_branch .LBB340_328
.LBB340_306:
	s_and_not1_saveexec_b32 s31, s31
	s_cbranch_execz .LBB340_69
.LBB340_307:
	v_add_f32_e32 v1, 0x46000000, v4
	s_and_not1_b32 s30, s30, exec_lo
	s_delay_alu instid0(VALU_DEP_1) | instskip(NEXT) | instid1(VALU_DEP_1)
	v_and_b32_e32 v1, 0xff, v1
	v_cmp_ne_u32_e32 vcc_lo, 0, v1
	s_and_b32 s42, vcc_lo, exec_lo
	s_delay_alu instid0(SALU_CYCLE_1)
	s_or_b32 s30, s30, s42
	s_or_b32 exec_lo, exec_lo, s31
	v_mov_b32_e32 v5, 0
	s_and_saveexec_b32 s31, s30
	s_cbranch_execnz .LBB340_70
	s_branch .LBB340_71
.LBB340_308:
	s_mov_b32 s28, -1
	s_mov_b32 s27, 0
	s_mov_b32 s26, s42
	s_branch .LBB340_313
.LBB340_309:
	s_mov_b32 s31, -1
	s_mov_b32 s30, 0
	s_mov_b32 s0, s20
	s_branch .LBB340_324
.LBB340_310:
	s_and_not1_saveexec_b32 s31, s31
	s_cbranch_execz .LBB340_82
.LBB340_311:
	v_add_f32_e32 v1, 0x42800000, v4
	s_and_not1_b32 s30, s30, exec_lo
	s_delay_alu instid0(VALU_DEP_1) | instskip(NEXT) | instid1(VALU_DEP_1)
	v_and_b32_e32 v1, 0xff, v1
	v_cmp_ne_u32_e32 vcc_lo, 0, v1
	s_and_b32 s42, vcc_lo, exec_lo
	s_delay_alu instid0(SALU_CYCLE_1)
	s_or_b32 s30, s30, s42
	s_or_b32 exec_lo, exec_lo, s31
	v_mov_b32_e32 v5, 0
	s_and_saveexec_b32 s31, s30
	s_cbranch_execnz .LBB340_83
	s_branch .LBB340_84
.LBB340_312:
	s_mov_b32 s26, -1
	s_mov_b32 s27, 0
.LBB340_313:
                                        ; implicit-def: $vgpr6
.LBB340_314:
	s_and_b32 vcc_lo, exec_lo, s28
	s_cbranch_vccz .LBB340_430
; %bb.315:
	s_cmp_eq_u32 s0, 44
	s_cbranch_scc0 .LBB340_429
; %bb.316:
	global_load_u8 v1, v[4:5], off
	s_mov_b32 s26, 0
	s_mov_b32 s27, -1
	s_wait_loadcnt 0x0
	v_lshlrev_b32_e32 v3, 23, v1
	v_cmp_ne_u32_e32 vcc_lo, 0, v1
	s_delay_alu instid0(VALU_DEP_2) | instskip(NEXT) | instid1(VALU_DEP_1)
	v_cvt_u32_f32_e32 v3, v3
	v_cndmask_b32_e32 v6, 0, v3, vcc_lo
	s_branch .LBB340_430
.LBB340_317:
	s_mov_b32 s31, -1
	s_mov_b32 s30, 0
	s_mov_b32 s0, s20
.LBB340_318:
	s_and_b32 vcc_lo, exec_lo, s31
	s_cbranch_vccz .LBB340_323
; %bb.319:
	s_cmp_eq_u32 s29, 44
	s_mov_b32 s0, -1
	s_cbranch_scc0 .LBB340_323
; %bb.320:
	s_wait_xcnt 0x0
	v_cndmask_b32_e64 v5, 0, 1.0, s27
	s_mov_b32 s30, exec_lo
	s_delay_alu instid0(VALU_DEP_1) | instskip(NEXT) | instid1(VALU_DEP_1)
	v_dual_mov_b32 v4, 0xff :: v_dual_lshrrev_b32 v1, 23, v5
	v_cmpx_ne_u32_e32 0xff, v1
; %bb.321:
	v_and_b32_e32 v4, 0x400000, v5
	v_and_or_b32 v5, 0x3fffff, v5, v1
	s_delay_alu instid0(VALU_DEP_2) | instskip(NEXT) | instid1(VALU_DEP_2)
	v_cmp_ne_u32_e32 vcc_lo, 0, v4
	v_cmp_ne_u32_e64 s0, 0, v5
	s_and_b32 s0, vcc_lo, s0
	s_delay_alu instid0(SALU_CYCLE_1) | instskip(NEXT) | instid1(VALU_DEP_1)
	v_cndmask_b32_e64 v4, 0, 1, s0
	v_add_nc_u32_e32 v4, v1, v4
; %bb.322:
	s_or_b32 exec_lo, exec_lo, s30
	s_mov_b32 s30, -1
	s_mov_b32 s0, 0
	global_store_b8 v[2:3], v4, off
.LBB340_323:
	s_mov_b32 s31, 0
.LBB340_324:
	s_delay_alu instid0(SALU_CYCLE_1)
	s_and_b32 vcc_lo, exec_lo, s31
	s_cbranch_vccz .LBB340_327
; %bb.325:
	s_cmp_eq_u32 s29, 29
	s_mov_b32 s0, -1
	s_cbranch_scc0 .LBB340_327
; %bb.326:
	s_mov_b32 s0, 0
	s_wait_xcnt 0x0
	v_cndmask_b32_e64 v4, 0, 1, s27
	v_mov_b32_e32 v5, s0
	s_mov_b32 s30, -1
	s_mov_b32 s31, 0
	global_store_b64 v[2:3], v[4:5], off
	s_branch .LBB340_328
.LBB340_327:
	s_mov_b32 s31, 0
.LBB340_328:
	s_delay_alu instid0(SALU_CYCLE_1)
	s_and_b32 vcc_lo, exec_lo, s31
	s_cbranch_vccz .LBB340_344
; %bb.329:
	s_cmp_lt_i32 s29, 27
	s_mov_b32 s30, -1
	s_cbranch_scc1 .LBB340_335
; %bb.330:
	s_cmp_gt_i32 s29, 27
	s_cbranch_scc0 .LBB340_332
; %bb.331:
	s_wait_xcnt 0x0
	v_cndmask_b32_e64 v1, 0, 1, s27
	s_mov_b32 s30, 0
	global_store_b32 v[2:3], v1, off
.LBB340_332:
	s_and_not1_b32 vcc_lo, exec_lo, s30
	s_cbranch_vccnz .LBB340_334
; %bb.333:
	s_wait_xcnt 0x0
	v_cndmask_b32_e64 v1, 0, 1, s27
	global_store_b16 v[2:3], v1, off
.LBB340_334:
	s_mov_b32 s30, 0
.LBB340_335:
	s_delay_alu instid0(SALU_CYCLE_1)
	s_and_not1_b32 vcc_lo, exec_lo, s30
	s_cbranch_vccnz .LBB340_343
; %bb.336:
	s_wait_xcnt 0x0
	v_cndmask_b32_e64 v4, 0, 1.0, s27
	v_mov_b32_e32 v5, 0x80
	s_mov_b32 s30, exec_lo
	s_delay_alu instid0(VALU_DEP_2)
	v_cmpx_gt_u32_e32 0x43800000, v4
	s_cbranch_execz .LBB340_342
; %bb.337:
	s_mov_b32 s31, 0
	s_mov_b32 s44, exec_lo
                                        ; implicit-def: $vgpr1
	v_cmpx_lt_u32_e32 0x3bffffff, v4
	s_xor_b32 s44, exec_lo, s44
	s_cbranch_execz .LBB340_568
; %bb.338:
	v_bfe_u32 v1, v4, 20, 1
	s_mov_b32 s31, exec_lo
	s_delay_alu instid0(VALU_DEP_1) | instskip(NEXT) | instid1(VALU_DEP_1)
	v_add3_u32 v1, v4, v1, 0x487ffff
                                        ; implicit-def: $vgpr4
	v_lshrrev_b32_e32 v1, 20, v1
	s_and_not1_saveexec_b32 s44, s44
	s_cbranch_execnz .LBB340_569
.LBB340_339:
	s_or_b32 exec_lo, exec_lo, s44
	v_mov_b32_e32 v5, 0
	s_and_saveexec_b32 s44, s31
.LBB340_340:
	v_mov_b32_e32 v5, v1
.LBB340_341:
	s_or_b32 exec_lo, exec_lo, s44
.LBB340_342:
	s_delay_alu instid0(SALU_CYCLE_1)
	s_or_b32 exec_lo, exec_lo, s30
	global_store_b8 v[2:3], v5, off
.LBB340_343:
	s_mov_b32 s30, -1
.LBB340_344:
	s_mov_b32 s31, 0
.LBB340_345:
	s_delay_alu instid0(SALU_CYCLE_1)
	s_and_b32 vcc_lo, exec_lo, s31
	s_cbranch_vccz .LBB340_386
; %bb.346:
	s_cmp_gt_i32 s29, 22
	s_mov_b32 s31, -1
	s_cbranch_scc0 .LBB340_378
; %bb.347:
	s_cmp_lt_i32 s29, 24
	s_mov_b32 s30, -1
	s_cbranch_scc1 .LBB340_367
; %bb.348:
	s_cmp_gt_i32 s29, 24
	s_cbranch_scc0 .LBB340_356
; %bb.349:
	s_wait_xcnt 0x0
	v_cndmask_b32_e64 v4, 0, 1.0, s27
	v_mov_b32_e32 v5, 0x80
	s_mov_b32 s30, exec_lo
	s_delay_alu instid0(VALU_DEP_2)
	v_cmpx_gt_u32_e32 0x47800000, v4
	s_cbranch_execz .LBB340_355
; %bb.350:
	s_mov_b32 s31, 0
	s_mov_b32 s44, exec_lo
                                        ; implicit-def: $vgpr1
	v_cmpx_lt_u32_e32 0x37ffffff, v4
	s_xor_b32 s44, exec_lo, s44
	s_cbranch_execz .LBB340_571
; %bb.351:
	v_bfe_u32 v1, v4, 21, 1
	s_mov_b32 s31, exec_lo
	s_delay_alu instid0(VALU_DEP_1) | instskip(NEXT) | instid1(VALU_DEP_1)
	v_add3_u32 v1, v4, v1, 0x88fffff
                                        ; implicit-def: $vgpr4
	v_lshrrev_b32_e32 v1, 21, v1
	s_and_not1_saveexec_b32 s44, s44
	s_cbranch_execnz .LBB340_572
.LBB340_352:
	s_or_b32 exec_lo, exec_lo, s44
	v_mov_b32_e32 v5, 0
	s_and_saveexec_b32 s44, s31
.LBB340_353:
	v_mov_b32_e32 v5, v1
.LBB340_354:
	s_or_b32 exec_lo, exec_lo, s44
.LBB340_355:
	s_delay_alu instid0(SALU_CYCLE_1)
	s_or_b32 exec_lo, exec_lo, s30
	s_mov_b32 s30, 0
	global_store_b8 v[2:3], v5, off
.LBB340_356:
	s_and_b32 vcc_lo, exec_lo, s30
	s_cbranch_vccz .LBB340_366
; %bb.357:
	s_wait_xcnt 0x0
	v_cndmask_b32_e64 v4, 0, 1.0, s27
	s_mov_b32 s30, exec_lo
                                        ; implicit-def: $vgpr1
	s_delay_alu instid0(VALU_DEP_1)
	v_cmpx_gt_u32_e32 0x43f00000, v4
	s_xor_b32 s30, exec_lo, s30
	s_cbranch_execz .LBB340_363
; %bb.358:
	s_mov_b32 s31, exec_lo
                                        ; implicit-def: $vgpr1
	v_cmpx_lt_u32_e32 0x3c7fffff, v4
	s_xor_b32 s31, exec_lo, s31
; %bb.359:
	v_bfe_u32 v1, v4, 20, 1
	s_delay_alu instid0(VALU_DEP_1) | instskip(NEXT) | instid1(VALU_DEP_1)
	v_add3_u32 v1, v4, v1, 0x407ffff
	v_and_b32_e32 v4, 0xff00000, v1
	v_lshrrev_b32_e32 v1, 20, v1
	s_delay_alu instid0(VALU_DEP_2) | instskip(NEXT) | instid1(VALU_DEP_2)
	v_cmp_ne_u32_e32 vcc_lo, 0x7f00000, v4
                                        ; implicit-def: $vgpr4
	v_cndmask_b32_e32 v1, 0x7e, v1, vcc_lo
; %bb.360:
	s_and_not1_saveexec_b32 s31, s31
; %bb.361:
	v_add_f32_e32 v1, 0x46800000, v4
; %bb.362:
	s_or_b32 exec_lo, exec_lo, s31
                                        ; implicit-def: $vgpr4
.LBB340_363:
	s_and_not1_saveexec_b32 s30, s30
; %bb.364:
	v_mov_b32_e32 v1, 0x7f
	v_cmp_lt_u32_e32 vcc_lo, 0x7f800000, v4
	s_delay_alu instid0(VALU_DEP_2)
	v_cndmask_b32_e32 v1, 0x7e, v1, vcc_lo
; %bb.365:
	s_or_b32 exec_lo, exec_lo, s30
	global_store_b8 v[2:3], v1, off
.LBB340_366:
	s_mov_b32 s30, 0
.LBB340_367:
	s_delay_alu instid0(SALU_CYCLE_1)
	s_and_not1_b32 vcc_lo, exec_lo, s30
	s_cbranch_vccnz .LBB340_377
; %bb.368:
	s_wait_xcnt 0x0
	v_cndmask_b32_e64 v4, 0, 1.0, s27
	s_mov_b32 s30, exec_lo
                                        ; implicit-def: $vgpr1
	s_delay_alu instid0(VALU_DEP_1)
	v_cmpx_gt_u32_e32 0x47800000, v4
	s_xor_b32 s30, exec_lo, s30
	s_cbranch_execz .LBB340_374
; %bb.369:
	s_mov_b32 s31, exec_lo
                                        ; implicit-def: $vgpr1
	v_cmpx_lt_u32_e32 0x387fffff, v4
	s_xor_b32 s31, exec_lo, s31
; %bb.370:
	v_bfe_u32 v1, v4, 21, 1
	s_delay_alu instid0(VALU_DEP_1) | instskip(NEXT) | instid1(VALU_DEP_1)
	v_add3_u32 v1, v4, v1, 0x80fffff
                                        ; implicit-def: $vgpr4
	v_lshrrev_b32_e32 v1, 21, v1
; %bb.371:
	s_and_not1_saveexec_b32 s31, s31
; %bb.372:
	v_add_f32_e32 v1, 0x43000000, v4
; %bb.373:
	s_or_b32 exec_lo, exec_lo, s31
                                        ; implicit-def: $vgpr4
.LBB340_374:
	s_and_not1_saveexec_b32 s30, s30
; %bb.375:
	v_mov_b32_e32 v1, 0x7f
	v_cmp_lt_u32_e32 vcc_lo, 0x7f800000, v4
	s_delay_alu instid0(VALU_DEP_2)
	v_cndmask_b32_e32 v1, 0x7c, v1, vcc_lo
; %bb.376:
	s_or_b32 exec_lo, exec_lo, s30
	global_store_b8 v[2:3], v1, off
.LBB340_377:
	s_mov_b32 s31, 0
	s_mov_b32 s30, -1
.LBB340_378:
	s_and_not1_b32 vcc_lo, exec_lo, s31
	s_cbranch_vccnz .LBB340_386
; %bb.379:
	s_cmp_gt_i32 s29, 14
	s_mov_b32 s31, -1
	s_cbranch_scc0 .LBB340_383
; %bb.380:
	s_cmp_eq_u32 s29, 15
	s_mov_b32 s0, -1
	s_cbranch_scc0 .LBB340_382
; %bb.381:
	s_wait_xcnt 0x0
	v_cndmask_b32_e64 v1, 0, 1.0, s27
	s_mov_b32 s30, -1
	s_mov_b32 s0, 0
	s_delay_alu instid0(VALU_DEP_1) | instskip(NEXT) | instid1(VALU_DEP_1)
	v_bfe_u32 v4, v1, 16, 1
	v_add3_u32 v1, v1, v4, 0x7fff
	global_store_d16_hi_b16 v[2:3], v1, off
.LBB340_382:
	s_mov_b32 s31, 0
.LBB340_383:
	s_delay_alu instid0(SALU_CYCLE_1)
	s_and_b32 vcc_lo, exec_lo, s31
	s_cbranch_vccz .LBB340_386
; %bb.384:
	s_cmp_eq_u32 s29, 11
	s_mov_b32 s0, -1
	s_cbranch_scc0 .LBB340_386
; %bb.385:
	s_wait_xcnt 0x0
	v_cndmask_b32_e64 v1, 0, 1, s27
	s_mov_b32 s30, -1
	s_mov_b32 s0, 0
	global_store_b8 v[2:3], v1, off
.LBB340_386:
	s_mov_b32 s29, 0
.LBB340_387:
	s_delay_alu instid0(SALU_CYCLE_1)
	s_and_b32 vcc_lo, exec_lo, s29
	s_cbranch_vccz .LBB340_426
; %bb.388:
	s_and_b32 s28, 0xffff, s28
	s_mov_b32 s29, -1
	s_cmp_lt_i32 s28, 5
	s_cbranch_scc1 .LBB340_409
; %bb.389:
	s_cmp_lt_i32 s28, 8
	s_cbranch_scc1 .LBB340_399
; %bb.390:
	;; [unrolled: 3-line block ×3, first 2 shown]
	s_cmp_gt_i32 s28, 9
	s_cbranch_scc0 .LBB340_393
; %bb.392:
	s_wait_xcnt 0x0
	v_cndmask_b32_e64 v1, 0, 1, s27
	v_mov_b32_e32 v6, 0
	s_mov_b32 s29, 0
	s_delay_alu instid0(VALU_DEP_2) | instskip(NEXT) | instid1(VALU_DEP_2)
	v_cvt_f64_u32_e32 v[4:5], v1
	v_mov_b32_e32 v7, v6
	global_store_b128 v[2:3], v[4:7], off
.LBB340_393:
	s_and_not1_b32 vcc_lo, exec_lo, s29
	s_cbranch_vccnz .LBB340_395
; %bb.394:
	s_wait_xcnt 0x0
	v_cndmask_b32_e64 v4, 0, 1.0, s27
	v_mov_b32_e32 v5, 0
	global_store_b64 v[2:3], v[4:5], off
.LBB340_395:
	s_mov_b32 s29, 0
.LBB340_396:
	s_delay_alu instid0(SALU_CYCLE_1)
	s_and_not1_b32 vcc_lo, exec_lo, s29
	s_cbranch_vccnz .LBB340_398
; %bb.397:
	s_wait_xcnt 0x0
	v_cndmask_b32_e64 v1, 0, 1.0, s27
	s_delay_alu instid0(VALU_DEP_1) | instskip(NEXT) | instid1(VALU_DEP_1)
	v_cvt_f16_f32_e32 v1, v1
	v_and_b32_e32 v1, 0xffff, v1
	global_store_b32 v[2:3], v1, off
.LBB340_398:
	s_mov_b32 s29, 0
.LBB340_399:
	s_delay_alu instid0(SALU_CYCLE_1)
	s_and_not1_b32 vcc_lo, exec_lo, s29
	s_cbranch_vccnz .LBB340_408
; %bb.400:
	s_cmp_lt_i32 s28, 6
	s_mov_b32 s29, -1
	s_cbranch_scc1 .LBB340_406
; %bb.401:
	s_cmp_gt_i32 s28, 6
	s_cbranch_scc0 .LBB340_403
; %bb.402:
	s_wait_xcnt 0x0
	v_cndmask_b32_e64 v1, 0, 1, s27
	s_mov_b32 s29, 0
	s_delay_alu instid0(VALU_DEP_1)
	v_cvt_f64_u32_e32 v[4:5], v1
	global_store_b64 v[2:3], v[4:5], off
.LBB340_403:
	s_and_not1_b32 vcc_lo, exec_lo, s29
	s_cbranch_vccnz .LBB340_405
; %bb.404:
	s_wait_xcnt 0x0
	v_cndmask_b32_e64 v1, 0, 1.0, s27
	global_store_b32 v[2:3], v1, off
.LBB340_405:
	s_mov_b32 s29, 0
.LBB340_406:
	s_delay_alu instid0(SALU_CYCLE_1)
	s_and_not1_b32 vcc_lo, exec_lo, s29
	s_cbranch_vccnz .LBB340_408
; %bb.407:
	s_wait_xcnt 0x0
	v_cndmask_b32_e64 v1, 0, 1.0, s27
	s_delay_alu instid0(VALU_DEP_1)
	v_cvt_f16_f32_e32 v1, v1
	global_store_b16 v[2:3], v1, off
.LBB340_408:
	s_mov_b32 s29, 0
.LBB340_409:
	s_delay_alu instid0(SALU_CYCLE_1)
	s_and_not1_b32 vcc_lo, exec_lo, s29
	s_cbranch_vccnz .LBB340_425
; %bb.410:
	s_cmp_lt_i32 s28, 2
	s_mov_b32 s29, -1
	s_cbranch_scc1 .LBB340_420
; %bb.411:
	s_cmp_lt_i32 s28, 3
	s_cbranch_scc1 .LBB340_417
; %bb.412:
	s_cmp_gt_i32 s28, 3
	s_cbranch_scc0 .LBB340_414
; %bb.413:
	s_mov_b32 s29, 0
	s_wait_xcnt 0x0
	v_cndmask_b32_e64 v4, 0, 1, s27
	v_mov_b32_e32 v5, s29
	global_store_b64 v[2:3], v[4:5], off
.LBB340_414:
	s_and_not1_b32 vcc_lo, exec_lo, s29
	s_cbranch_vccnz .LBB340_416
; %bb.415:
	s_wait_xcnt 0x0
	v_cndmask_b32_e64 v1, 0, 1, s27
	global_store_b32 v[2:3], v1, off
.LBB340_416:
	s_mov_b32 s29, 0
.LBB340_417:
	s_delay_alu instid0(SALU_CYCLE_1)
	s_and_not1_b32 vcc_lo, exec_lo, s29
	s_cbranch_vccnz .LBB340_419
; %bb.418:
	s_wait_xcnt 0x0
	v_cndmask_b32_e64 v1, 0, 1, s27
	global_store_b16 v[2:3], v1, off
.LBB340_419:
	s_mov_b32 s29, 0
.LBB340_420:
	s_delay_alu instid0(SALU_CYCLE_1)
	s_and_not1_b32 vcc_lo, exec_lo, s29
	s_cbranch_vccnz .LBB340_425
; %bb.421:
	s_wait_xcnt 0x0
	v_cndmask_b32_e64 v1, 0, 1, s27
	s_cmp_gt_i32 s28, 0
	s_mov_b32 s27, -1
	s_cbranch_scc0 .LBB340_423
; %bb.422:
	s_mov_b32 s27, 0
	global_store_b8 v[2:3], v1, off
.LBB340_423:
	s_and_not1_b32 vcc_lo, exec_lo, s27
	s_cbranch_vccnz .LBB340_425
; %bb.424:
	global_store_b8 v[2:3], v1, off
.LBB340_425:
	s_mov_b32 s30, -1
.LBB340_426:
	s_delay_alu instid0(SALU_CYCLE_1)
	s_and_not1_b32 vcc_lo, exec_lo, s30
	s_cbranch_vccnz .LBB340_428
; %bb.427:
	v_add_nc_u32_e32 v0, 0x80, v0
	s_mov_b32 s27, -1
	s_branch .LBB340_537
.LBB340_428:
	s_mov_b32 s27, 0
	s_branch .LBB340_536
.LBB340_429:
	s_mov_b32 s26, -1
                                        ; implicit-def: $vgpr6
.LBB340_430:
	s_mov_b32 s28, 0
.LBB340_431:
	s_delay_alu instid0(SALU_CYCLE_1)
	s_and_b32 vcc_lo, exec_lo, s28
	s_cbranch_vccz .LBB340_435
; %bb.432:
	s_cmp_eq_u32 s0, 29
	s_cbranch_scc0 .LBB340_434
; %bb.433:
	s_wait_loadcnt 0x0
	global_load_b64 v[6:7], v[4:5], off
	s_mov_b32 s27, -1
	s_mov_b32 s26, 0
	s_branch .LBB340_435
.LBB340_434:
	s_mov_b32 s26, -1
                                        ; implicit-def: $vgpr6
.LBB340_435:
	s_mov_b32 s28, 0
.LBB340_436:
	s_delay_alu instid0(SALU_CYCLE_1)
	s_and_b32 vcc_lo, exec_lo, s28
	s_cbranch_vccz .LBB340_452
; %bb.437:
	s_cmp_lt_i32 s0, 27
	s_cbranch_scc1 .LBB340_440
; %bb.438:
	s_cmp_gt_i32 s0, 27
	s_cbranch_scc0 .LBB340_441
; %bb.439:
	s_wait_loadcnt 0x0
	global_load_b32 v6, v[4:5], off
	s_mov_b32 s27, 0
	s_branch .LBB340_442
.LBB340_440:
	s_mov_b32 s27, -1
                                        ; implicit-def: $vgpr6
	s_branch .LBB340_445
.LBB340_441:
	s_mov_b32 s27, -1
                                        ; implicit-def: $vgpr6
.LBB340_442:
	s_delay_alu instid0(SALU_CYCLE_1)
	s_and_not1_b32 vcc_lo, exec_lo, s27
	s_cbranch_vccnz .LBB340_444
; %bb.443:
	s_wait_loadcnt 0x0
	global_load_u16 v6, v[4:5], off
.LBB340_444:
	s_mov_b32 s27, 0
.LBB340_445:
	s_delay_alu instid0(SALU_CYCLE_1)
	s_and_not1_b32 vcc_lo, exec_lo, s27
	s_cbranch_vccnz .LBB340_451
; %bb.446:
	global_load_u8 v1, v[4:5], off
	s_mov_b32 s28, 0
	s_mov_b32 s27, exec_lo
	s_wait_loadcnt 0x0
	v_cmpx_lt_i16_e32 0x7f, v1
	s_xor_b32 s27, exec_lo, s27
	s_cbranch_execz .LBB340_463
; %bb.447:
	v_cmp_ne_u16_e32 vcc_lo, 0x80, v1
	s_and_b32 s28, vcc_lo, exec_lo
	s_and_not1_saveexec_b32 s27, s27
	s_cbranch_execnz .LBB340_464
.LBB340_448:
	s_or_b32 exec_lo, exec_lo, s27
	v_mov_b32_e32 v6, 0
	s_and_saveexec_b32 s27, s28
	s_cbranch_execz .LBB340_450
.LBB340_449:
	v_and_b32_e32 v3, 0xffff, v1
	s_delay_alu instid0(VALU_DEP_1) | instskip(SKIP_1) | instid1(VALU_DEP_2)
	v_dual_lshlrev_b32 v1, 24, v1 :: v_dual_bitop2_b32 v6, 7, v3 bitop3:0x40
	v_bfe_u32 v9, v3, 3, 4
	v_and_b32_e32 v1, 0x80000000, v1
	s_delay_alu instid0(VALU_DEP_3) | instskip(NEXT) | instid1(VALU_DEP_3)
	v_clz_i32_u32_e32 v7, v6
	v_cmp_eq_u32_e32 vcc_lo, 0, v9
	s_delay_alu instid0(VALU_DEP_2) | instskip(NEXT) | instid1(VALU_DEP_1)
	v_min_u32_e32 v7, 32, v7
	v_subrev_nc_u32_e32 v8, 28, v7
	v_sub_nc_u32_e32 v7, 29, v7
	s_delay_alu instid0(VALU_DEP_2) | instskip(NEXT) | instid1(VALU_DEP_2)
	v_lshlrev_b32_e32 v3, v8, v3
	v_cndmask_b32_e32 v7, v9, v7, vcc_lo
	s_delay_alu instid0(VALU_DEP_2) | instskip(NEXT) | instid1(VALU_DEP_1)
	v_and_b32_e32 v3, 7, v3
	v_cndmask_b32_e32 v3, v6, v3, vcc_lo
	s_delay_alu instid0(VALU_DEP_3) | instskip(NEXT) | instid1(VALU_DEP_2)
	v_lshl_add_u32 v6, v7, 23, 0x3b800000
	v_lshlrev_b32_e32 v3, 20, v3
	s_delay_alu instid0(VALU_DEP_1) | instskip(NEXT) | instid1(VALU_DEP_1)
	v_or3_b32 v1, v1, v6, v3
	v_cvt_u32_f32_e32 v6, v1
.LBB340_450:
	s_or_b32 exec_lo, exec_lo, s27
.LBB340_451:
	s_mov_b32 s27, -1
.LBB340_452:
	s_mov_b32 s28, 0
.LBB340_453:
	s_delay_alu instid0(SALU_CYCLE_1)
	s_and_b32 vcc_lo, exec_lo, s28
	s_cbranch_vccz .LBB340_486
; %bb.454:
	s_cmp_gt_i32 s0, 22
	s_cbranch_scc0 .LBB340_462
; %bb.455:
	s_cmp_lt_i32 s0, 24
	s_cbranch_scc1 .LBB340_465
; %bb.456:
	s_cmp_gt_i32 s0, 24
	s_cbranch_scc0 .LBB340_466
; %bb.457:
	global_load_u8 v1, v[4:5], off
	s_mov_b32 s28, 0
	s_mov_b32 s27, exec_lo
	s_wait_loadcnt 0x0
	v_cmpx_lt_i16_e32 0x7f, v1
	s_xor_b32 s27, exec_lo, s27
	s_cbranch_execz .LBB340_478
; %bb.458:
	v_cmp_ne_u16_e32 vcc_lo, 0x80, v1
	s_and_b32 s28, vcc_lo, exec_lo
	s_and_not1_saveexec_b32 s27, s27
	s_cbranch_execnz .LBB340_479
.LBB340_459:
	s_or_b32 exec_lo, exec_lo, s27
	v_mov_b32_e32 v6, 0
	s_and_saveexec_b32 s27, s28
	s_cbranch_execz .LBB340_461
.LBB340_460:
	v_and_b32_e32 v3, 0xffff, v1
	s_delay_alu instid0(VALU_DEP_1) | instskip(SKIP_1) | instid1(VALU_DEP_2)
	v_dual_lshlrev_b32 v1, 24, v1 :: v_dual_bitop2_b32 v6, 3, v3 bitop3:0x40
	v_bfe_u32 v9, v3, 2, 5
	v_and_b32_e32 v1, 0x80000000, v1
	s_delay_alu instid0(VALU_DEP_3) | instskip(NEXT) | instid1(VALU_DEP_3)
	v_clz_i32_u32_e32 v7, v6
	v_cmp_eq_u32_e32 vcc_lo, 0, v9
	s_delay_alu instid0(VALU_DEP_2) | instskip(NEXT) | instid1(VALU_DEP_1)
	v_min_u32_e32 v7, 32, v7
	v_subrev_nc_u32_e32 v8, 29, v7
	v_sub_nc_u32_e32 v7, 30, v7
	s_delay_alu instid0(VALU_DEP_2) | instskip(NEXT) | instid1(VALU_DEP_2)
	v_lshlrev_b32_e32 v3, v8, v3
	v_cndmask_b32_e32 v7, v9, v7, vcc_lo
	s_delay_alu instid0(VALU_DEP_2) | instskip(NEXT) | instid1(VALU_DEP_1)
	v_and_b32_e32 v3, 3, v3
	v_cndmask_b32_e32 v3, v6, v3, vcc_lo
	s_delay_alu instid0(VALU_DEP_3) | instskip(NEXT) | instid1(VALU_DEP_2)
	v_lshl_add_u32 v6, v7, 23, 0x37800000
	v_lshlrev_b32_e32 v3, 21, v3
	s_delay_alu instid0(VALU_DEP_1) | instskip(NEXT) | instid1(VALU_DEP_1)
	v_or3_b32 v1, v1, v6, v3
	v_cvt_u32_f32_e32 v6, v1
.LBB340_461:
	s_or_b32 exec_lo, exec_lo, s27
	s_mov_b32 s27, 0
	s_branch .LBB340_467
.LBB340_462:
	s_mov_b32 s28, -1
                                        ; implicit-def: $vgpr6
	s_branch .LBB340_473
.LBB340_463:
	s_and_not1_saveexec_b32 s27, s27
	s_cbranch_execz .LBB340_448
.LBB340_464:
	v_cmp_ne_u16_e32 vcc_lo, 0, v1
	s_and_not1_b32 s28, s28, exec_lo
	s_and_b32 s29, vcc_lo, exec_lo
	s_delay_alu instid0(SALU_CYCLE_1)
	s_or_b32 s28, s28, s29
	s_or_b32 exec_lo, exec_lo, s27
	v_mov_b32_e32 v6, 0
	s_and_saveexec_b32 s27, s28
	s_cbranch_execnz .LBB340_449
	s_branch .LBB340_450
.LBB340_465:
	s_mov_b32 s27, -1
                                        ; implicit-def: $vgpr6
	s_branch .LBB340_470
.LBB340_466:
	s_mov_b32 s27, -1
                                        ; implicit-def: $vgpr6
.LBB340_467:
	s_delay_alu instid0(SALU_CYCLE_1)
	s_and_b32 vcc_lo, exec_lo, s27
	s_cbranch_vccz .LBB340_469
; %bb.468:
	global_load_u8 v1, v[4:5], off
	s_wait_loadcnt 0x0
	v_lshlrev_b32_e32 v1, 24, v1
	s_delay_alu instid0(VALU_DEP_1) | instskip(NEXT) | instid1(VALU_DEP_1)
	v_and_b32_e32 v3, 0x7f000000, v1
	v_clz_i32_u32_e32 v6, v3
	v_cmp_ne_u32_e32 vcc_lo, 0, v3
	v_add_nc_u32_e32 v8, 0x1000000, v3
	s_delay_alu instid0(VALU_DEP_3) | instskip(NEXT) | instid1(VALU_DEP_1)
	v_min_u32_e32 v6, 32, v6
	v_sub_nc_u32_e64 v6, v6, 4 clamp
	s_delay_alu instid0(VALU_DEP_1) | instskip(NEXT) | instid1(VALU_DEP_1)
	v_dual_lshlrev_b32 v7, v6, v3 :: v_dual_lshlrev_b32 v6, 23, v6
	v_lshrrev_b32_e32 v7, 4, v7
	s_delay_alu instid0(VALU_DEP_1) | instskip(NEXT) | instid1(VALU_DEP_1)
	v_dual_sub_nc_u32 v6, v7, v6 :: v_dual_ashrrev_i32 v7, 8, v8
	v_add_nc_u32_e32 v6, 0x3c000000, v6
	s_delay_alu instid0(VALU_DEP_1) | instskip(NEXT) | instid1(VALU_DEP_1)
	v_and_or_b32 v6, 0x7f800000, v7, v6
	v_cndmask_b32_e32 v3, 0, v6, vcc_lo
	s_delay_alu instid0(VALU_DEP_1) | instskip(NEXT) | instid1(VALU_DEP_1)
	v_and_or_b32 v1, 0x80000000, v1, v3
	v_cvt_u32_f32_e32 v6, v1
.LBB340_469:
	s_mov_b32 s27, 0
.LBB340_470:
	s_delay_alu instid0(SALU_CYCLE_1)
	s_and_not1_b32 vcc_lo, exec_lo, s27
	s_cbranch_vccnz .LBB340_472
; %bb.471:
	global_load_u8 v1, v[4:5], off
	s_wait_loadcnt 0x0
	v_lshlrev_b32_e32 v3, 25, v1
	v_lshlrev_b16 v1, 8, v1
	s_delay_alu instid0(VALU_DEP_1) | instskip(SKIP_1) | instid1(VALU_DEP_2)
	v_and_or_b32 v7, 0x7f00, v1, 0.5
	v_bfe_i32 v1, v1, 0, 16
	v_add_f32_e32 v7, -0.5, v7
	v_lshrrev_b32_e32 v6, 4, v3
	v_cmp_gt_u32_e32 vcc_lo, 0x8000000, v3
	s_delay_alu instid0(VALU_DEP_2) | instskip(NEXT) | instid1(VALU_DEP_1)
	v_or_b32_e32 v6, 0x70000000, v6
	v_mul_f32_e32 v6, 0x7800000, v6
	s_delay_alu instid0(VALU_DEP_1) | instskip(NEXT) | instid1(VALU_DEP_1)
	v_cndmask_b32_e32 v3, v6, v7, vcc_lo
	v_and_or_b32 v1, 0x80000000, v1, v3
	s_delay_alu instid0(VALU_DEP_1)
	v_cvt_u32_f32_e32 v6, v1
.LBB340_472:
	s_mov_b32 s28, 0
	s_mov_b32 s27, -1
.LBB340_473:
	s_and_not1_b32 vcc_lo, exec_lo, s28
	s_cbranch_vccnz .LBB340_486
; %bb.474:
	s_cmp_gt_i32 s0, 14
	s_cbranch_scc0 .LBB340_477
; %bb.475:
	s_cmp_eq_u32 s0, 15
	s_cbranch_scc0 .LBB340_480
; %bb.476:
	global_load_u16 v1, v[4:5], off
	s_mov_b32 s27, -1
	s_mov_b32 s26, 0
	s_wait_loadcnt 0x0
	v_lshlrev_b32_e32 v1, 16, v1
	s_delay_alu instid0(VALU_DEP_1)
	v_cvt_u32_f32_e32 v6, v1
	s_branch .LBB340_481
.LBB340_477:
	s_mov_b32 s28, -1
                                        ; implicit-def: $vgpr6
	s_branch .LBB340_482
.LBB340_478:
	s_and_not1_saveexec_b32 s27, s27
	s_cbranch_execz .LBB340_459
.LBB340_479:
	v_cmp_ne_u16_e32 vcc_lo, 0, v1
	s_and_not1_b32 s28, s28, exec_lo
	s_and_b32 s29, vcc_lo, exec_lo
	s_delay_alu instid0(SALU_CYCLE_1)
	s_or_b32 s28, s28, s29
	s_or_b32 exec_lo, exec_lo, s27
	v_mov_b32_e32 v6, 0
	s_and_saveexec_b32 s27, s28
	s_cbranch_execnz .LBB340_460
	s_branch .LBB340_461
.LBB340_480:
	s_mov_b32 s26, -1
                                        ; implicit-def: $vgpr6
.LBB340_481:
	s_mov_b32 s28, 0
.LBB340_482:
	s_delay_alu instid0(SALU_CYCLE_1)
	s_and_b32 vcc_lo, exec_lo, s28
	s_cbranch_vccz .LBB340_486
; %bb.483:
	s_cmp_eq_u32 s0, 11
	s_cbranch_scc0 .LBB340_485
; %bb.484:
	global_load_u8 v1, v[4:5], off
	s_mov_b32 s26, 0
	s_mov_b32 s27, -1
	s_wait_loadcnt 0x0
	v_cmp_ne_u16_e32 vcc_lo, 0, v1
	v_cndmask_b32_e64 v6, 0, 1, vcc_lo
	s_branch .LBB340_486
.LBB340_485:
	s_mov_b32 s26, -1
                                        ; implicit-def: $vgpr6
.LBB340_486:
	s_branch .LBB340_292
.LBB340_487:
	s_cmp_lt_i32 s0, 5
	s_cbranch_scc1 .LBB340_492
; %bb.488:
	s_cmp_lt_i32 s0, 8
	s_cbranch_scc1 .LBB340_493
; %bb.489:
	;; [unrolled: 3-line block ×3, first 2 shown]
	s_cmp_gt_i32 s0, 9
	s_cbranch_scc0 .LBB340_495
; %bb.491:
	s_wait_loadcnt 0x0
	global_load_b64 v[6:7], v[4:5], off
	s_mov_b32 s27, 0
	s_wait_loadcnt 0x0
	v_cvt_u32_f64_e32 v6, v[6:7]
	s_branch .LBB340_496
.LBB340_492:
	s_mov_b32 s27, -1
                                        ; implicit-def: $vgpr6
	s_branch .LBB340_514
.LBB340_493:
	s_mov_b32 s27, -1
                                        ; implicit-def: $vgpr6
	s_branch .LBB340_502
.LBB340_494:
	s_mov_b32 s27, -1
                                        ; implicit-def: $vgpr6
	s_branch .LBB340_499
.LBB340_495:
	s_mov_b32 s27, -1
                                        ; implicit-def: $vgpr6
.LBB340_496:
	s_delay_alu instid0(SALU_CYCLE_1)
	s_and_not1_b32 vcc_lo, exec_lo, s27
	s_cbranch_vccnz .LBB340_498
; %bb.497:
	global_load_b32 v1, v[4:5], off
	s_wait_loadcnt 0x0
	v_cvt_u32_f32_e32 v6, v1
.LBB340_498:
	s_mov_b32 s27, 0
.LBB340_499:
	s_delay_alu instid0(SALU_CYCLE_1)
	s_and_not1_b32 vcc_lo, exec_lo, s27
	s_cbranch_vccnz .LBB340_501
; %bb.500:
	global_load_b32 v1, v[4:5], off
	s_wait_loadcnt 0x0
	v_cvt_u16_f16_e32 v6, v1
.LBB340_501:
	s_mov_b32 s27, 0
.LBB340_502:
	s_delay_alu instid0(SALU_CYCLE_1)
	s_and_not1_b32 vcc_lo, exec_lo, s27
	s_cbranch_vccnz .LBB340_513
; %bb.503:
	s_cmp_lt_i32 s0, 6
	s_cbranch_scc1 .LBB340_506
; %bb.504:
	s_cmp_gt_i32 s0, 6
	s_cbranch_scc0 .LBB340_507
; %bb.505:
	s_wait_loadcnt 0x0
	global_load_b64 v[6:7], v[4:5], off
	s_mov_b32 s27, 0
	s_wait_loadcnt 0x0
	v_cvt_u32_f64_e32 v6, v[6:7]
	s_branch .LBB340_508
.LBB340_506:
	s_mov_b32 s27, -1
                                        ; implicit-def: $vgpr6
	s_branch .LBB340_511
.LBB340_507:
	s_mov_b32 s27, -1
                                        ; implicit-def: $vgpr6
.LBB340_508:
	s_delay_alu instid0(SALU_CYCLE_1)
	s_and_not1_b32 vcc_lo, exec_lo, s27
	s_cbranch_vccnz .LBB340_510
; %bb.509:
	global_load_b32 v1, v[4:5], off
	s_wait_loadcnt 0x0
	v_cvt_u32_f32_e32 v6, v1
.LBB340_510:
	s_mov_b32 s27, 0
.LBB340_511:
	s_delay_alu instid0(SALU_CYCLE_1)
	s_and_not1_b32 vcc_lo, exec_lo, s27
	s_cbranch_vccnz .LBB340_513
; %bb.512:
	global_load_u16 v1, v[4:5], off
	s_wait_loadcnt 0x0
	v_cvt_u16_f16_e32 v6, v1
.LBB340_513:
	s_mov_b32 s27, 0
.LBB340_514:
	s_delay_alu instid0(SALU_CYCLE_1)
	s_and_not1_b32 vcc_lo, exec_lo, s27
	s_cbranch_vccnz .LBB340_534
; %bb.515:
	s_cmp_lt_i32 s0, 2
	s_cbranch_scc1 .LBB340_519
; %bb.516:
	s_cmp_lt_i32 s0, 3
	s_cbranch_scc1 .LBB340_520
; %bb.517:
	s_cmp_gt_i32 s0, 3
	s_cbranch_scc0 .LBB340_521
; %bb.518:
	s_wait_loadcnt 0x0
	global_load_b64 v[6:7], v[4:5], off
	s_mov_b32 s27, 0
	s_branch .LBB340_522
.LBB340_519:
	s_mov_b32 s27, -1
                                        ; implicit-def: $vgpr6
	s_branch .LBB340_528
.LBB340_520:
	s_mov_b32 s27, -1
                                        ; implicit-def: $vgpr6
	s_branch .LBB340_525
.LBB340_521:
	s_mov_b32 s27, -1
                                        ; implicit-def: $vgpr6
.LBB340_522:
	s_delay_alu instid0(SALU_CYCLE_1)
	s_and_not1_b32 vcc_lo, exec_lo, s27
	s_cbranch_vccnz .LBB340_524
; %bb.523:
	s_wait_loadcnt 0x0
	global_load_b32 v6, v[4:5], off
.LBB340_524:
	s_mov_b32 s27, 0
.LBB340_525:
	s_delay_alu instid0(SALU_CYCLE_1)
	s_and_not1_b32 vcc_lo, exec_lo, s27
	s_cbranch_vccnz .LBB340_527
; %bb.526:
	s_wait_loadcnt 0x0
	global_load_u16 v6, v[4:5], off
.LBB340_527:
	s_mov_b32 s27, 0
.LBB340_528:
	s_delay_alu instid0(SALU_CYCLE_1)
	s_and_not1_b32 vcc_lo, exec_lo, s27
	s_cbranch_vccnz .LBB340_534
; %bb.529:
	s_cmp_gt_i32 s0, 0
	s_mov_b32 s0, 0
	s_cbranch_scc0 .LBB340_531
; %bb.530:
	s_wait_loadcnt 0x0
	global_load_i8 v6, v[4:5], off
	s_branch .LBB340_532
.LBB340_531:
	s_mov_b32 s0, -1
                                        ; implicit-def: $vgpr6
.LBB340_532:
	s_delay_alu instid0(SALU_CYCLE_1)
	s_and_not1_b32 vcc_lo, exec_lo, s0
	s_cbranch_vccnz .LBB340_534
; %bb.533:
	s_wait_loadcnt 0x0
	global_load_u8 v6, v[4:5], off
.LBB340_534:
	s_branch .LBB340_293
.LBB340_535:
	s_mov_b32 s27, 0
	s_mov_b32 s0, s20
.LBB340_536:
                                        ; implicit-def: $vgpr0
.LBB340_537:
	s_and_not1_b32 s28, s20, exec_lo
	s_and_b32 s0, s0, exec_lo
	s_and_not1_b32 s29, s42, exec_lo
	s_and_b32 s26, s26, exec_lo
	s_or_b32 s45, s28, s0
	s_or_b32 s44, s29, s26
	s_or_not1_b32 s0, s27, exec_lo
.LBB340_538:
	s_wait_xcnt 0x0
	s_or_b32 exec_lo, exec_lo, s46
	s_mov_b32 s26, 0
	s_mov_b32 s27, 0
	;; [unrolled: 1-line block ×3, first 2 shown]
                                        ; implicit-def: $vgpr4_vgpr5
                                        ; implicit-def: $vgpr2
                                        ; implicit-def: $vgpr6
	s_and_saveexec_b32 s46, s0
	s_cbranch_execz .LBB340_911
; %bb.539:
	s_mov_b32 s29, -1
	s_mov_b32 s0, s44
	s_mov_b32 s30, s45
	s_mov_b32 s47, exec_lo
	v_cmpx_gt_i32_e64 s39, v0
	s_cbranch_execz .LBB340_812
; %bb.540:
	s_and_not1_b32 vcc_lo, exec_lo, s35
	s_cbranch_vccnz .LBB340_546
; %bb.541:
	s_and_not1_b32 vcc_lo, exec_lo, s41
	s_cbranch_vccnz .LBB340_547
; %bb.542:
	s_add_co_i32 s0, s40, 1
	s_cmp_eq_u32 s34, 2
	s_cbranch_scc1 .LBB340_548
; %bb.543:
	v_dual_mov_b32 v2, 0 :: v_dual_mov_b32 v4, 0
	v_mov_b32_e32 v1, v0
	s_and_b32 s26, s0, 28
	s_mov_b64 s[28:29], s[16:17]
	s_mov_b64 s[30:31], s[24:25]
.LBB340_544:                            ; =>This Inner Loop Header: Depth=1
	s_clause 0x1
	s_load_b256 s[48:55], s[28:29], 0x4
	s_load_b128 s[64:67], s[28:29], 0x24
	s_load_b256 s[56:63], s[30:31], 0x0
	s_add_co_i32 s27, s27, 4
	s_wait_xcnt 0x0
	s_add_nc_u64 s[28:29], s[28:29], 48
	s_cmp_eq_u32 s26, s27
	s_add_nc_u64 s[30:31], s[30:31], 32
	s_wait_kmcnt 0x0
	v_mul_hi_u32 v3, s49, v1
	s_delay_alu instid0(VALU_DEP_1) | instskip(NEXT) | instid1(VALU_DEP_1)
	v_add_nc_u32_e32 v3, v1, v3
	v_lshrrev_b32_e32 v3, s50, v3
	s_delay_alu instid0(VALU_DEP_1) | instskip(NEXT) | instid1(VALU_DEP_1)
	v_mul_hi_u32 v5, s52, v3
	v_add_nc_u32_e32 v5, v3, v5
	s_delay_alu instid0(VALU_DEP_1) | instskip(SKIP_1) | instid1(VALU_DEP_1)
	v_lshrrev_b32_e32 v5, s53, v5
	s_wait_loadcnt 0x0
	v_mul_hi_u32 v6, s55, v5
	s_delay_alu instid0(VALU_DEP_1) | instskip(SKIP_1) | instid1(VALU_DEP_1)
	v_add_nc_u32_e32 v6, v5, v6
	v_mul_lo_u32 v7, v3, s48
	v_sub_nc_u32_e32 v1, v1, v7
	v_mul_lo_u32 v7, v5, s51
	s_delay_alu instid0(VALU_DEP_4) | instskip(NEXT) | instid1(VALU_DEP_3)
	v_lshrrev_b32_e32 v6, s64, v6
	v_mad_u32 v4, v1, s57, v4
	v_mad_u32 v1, v1, s56, v2
	s_delay_alu instid0(VALU_DEP_4) | instskip(NEXT) | instid1(VALU_DEP_4)
	v_sub_nc_u32_e32 v2, v3, v7
	v_mul_hi_u32 v8, s66, v6
	v_mul_lo_u32 v3, v6, s54
	s_delay_alu instid0(VALU_DEP_3) | instskip(SKIP_1) | instid1(VALU_DEP_3)
	v_mad_u32 v4, v2, s59, v4
	v_mad_u32 v2, v2, s58, v1
	v_dual_add_nc_u32 v7, v6, v8 :: v_dual_sub_nc_u32 v3, v5, v3
	s_delay_alu instid0(VALU_DEP_1) | instskip(NEXT) | instid1(VALU_DEP_2)
	v_lshrrev_b32_e32 v1, s67, v7
	v_mad_u32 v4, v3, s61, v4
	s_delay_alu instid0(VALU_DEP_4) | instskip(NEXT) | instid1(VALU_DEP_3)
	v_mad_u32 v2, v3, s60, v2
	v_mul_lo_u32 v5, v1, s65
	s_delay_alu instid0(VALU_DEP_1) | instskip(NEXT) | instid1(VALU_DEP_1)
	v_sub_nc_u32_e32 v3, v6, v5
	v_mad_u32 v4, v3, s63, v4
	s_delay_alu instid0(VALU_DEP_4)
	v_mad_u32 v2, v3, s62, v2
	s_cbranch_scc0 .LBB340_544
; %bb.545:
	s_delay_alu instid0(VALU_DEP_2)
	v_mov_b32_e32 v3, v4
	s_branch .LBB340_549
.LBB340_546:
	s_mov_b32 s0, -1
                                        ; implicit-def: $vgpr4
                                        ; implicit-def: $vgpr2
	s_branch .LBB340_554
.LBB340_547:
	v_dual_mov_b32 v4, 0 :: v_dual_mov_b32 v2, 0
	s_branch .LBB340_553
.LBB340_548:
	v_mov_b64_e32 v[2:3], 0
	v_mov_b32_e32 v1, v0
                                        ; implicit-def: $vgpr4
.LBB340_549:
	s_and_b32 s0, s0, 3
	s_mov_b32 s27, 0
	s_cmp_eq_u32 s0, 0
	s_cbranch_scc1 .LBB340_553
; %bb.550:
	s_lshl_b32 s28, s26, 3
	s_mov_b32 s29, s27
	s_mul_u64 s[30:31], s[26:27], 12
	s_add_nc_u64 s[28:29], s[16:17], s[28:29]
	s_delay_alu instid0(SALU_CYCLE_1)
	s_add_nc_u64 s[26:27], s[28:29], 0xc4
	s_add_nc_u64 s[28:29], s[16:17], s[30:31]
.LBB340_551:                            ; =>This Inner Loop Header: Depth=1
	s_load_b96 s[48:50], s[28:29], 0x4
	s_load_b64 s[30:31], s[26:27], 0x0
	s_add_co_i32 s0, s0, -1
	s_wait_xcnt 0x0
	s_add_nc_u64 s[28:29], s[28:29], 12
	s_cmp_lg_u32 s0, 0
	s_add_nc_u64 s[26:27], s[26:27], 8
	s_wait_kmcnt 0x0
	v_mul_hi_u32 v4, s49, v1
	s_delay_alu instid0(VALU_DEP_1) | instskip(NEXT) | instid1(VALU_DEP_1)
	v_add_nc_u32_e32 v4, v1, v4
	v_lshrrev_b32_e32 v4, s50, v4
	s_delay_alu instid0(VALU_DEP_1) | instskip(NEXT) | instid1(VALU_DEP_1)
	v_mul_lo_u32 v5, v4, s48
	v_sub_nc_u32_e32 v1, v1, v5
	s_delay_alu instid0(VALU_DEP_1)
	v_mad_u32 v3, v1, s31, v3
	v_mad_u32 v2, v1, s30, v2
	v_mov_b32_e32 v1, v4
	s_cbranch_scc1 .LBB340_551
; %bb.552:
	s_delay_alu instid0(VALU_DEP_3)
	v_mov_b32_e32 v4, v3
.LBB340_553:
	s_mov_b32 s0, 0
.LBB340_554:
	s_delay_alu instid0(SALU_CYCLE_1)
	s_and_not1_b32 vcc_lo, exec_lo, s0
	s_cbranch_vccnz .LBB340_557
; %bb.555:
	v_mov_b32_e32 v1, 0
	s_and_not1_b32 vcc_lo, exec_lo, s38
	s_delay_alu instid0(VALU_DEP_1) | instskip(NEXT) | instid1(VALU_DEP_1)
	v_mul_u64_e32 v[2:3], s[18:19], v[0:1]
	v_add_nc_u32_e32 v2, v0, v3
	s_wait_loadcnt 0x0
	s_delay_alu instid0(VALU_DEP_1) | instskip(NEXT) | instid1(VALU_DEP_1)
	v_lshrrev_b32_e32 v6, s10, v2
	v_mul_lo_u32 v2, v6, s8
	s_delay_alu instid0(VALU_DEP_1) | instskip(NEXT) | instid1(VALU_DEP_1)
	v_sub_nc_u32_e32 v2, v0, v2
	v_mul_lo_u32 v4, v2, s13
	v_mul_lo_u32 v2, v2, s12
	s_cbranch_vccnz .LBB340_557
; %bb.556:
	v_mov_b32_e32 v7, v1
	s_delay_alu instid0(VALU_DEP_1) | instskip(NEXT) | instid1(VALU_DEP_1)
	v_mul_u64_e32 v[8:9], s[22:23], v[6:7]
	v_add_nc_u32_e32 v1, v6, v9
	s_delay_alu instid0(VALU_DEP_1) | instskip(NEXT) | instid1(VALU_DEP_1)
	v_lshrrev_b32_e32 v1, s21, v1
	v_mul_lo_u32 v1, v1, s11
	s_delay_alu instid0(VALU_DEP_1) | instskip(NEXT) | instid1(VALU_DEP_1)
	v_sub_nc_u32_e32 v1, v6, v1
	v_mad_u32 v2, v1, s14, v2
	v_mad_u32 v4, v1, s15, v4
.LBB340_557:
	v_mov_b32_e32 v5, 0
	s_and_b32 s0, 0xffff, s37
	s_delay_alu instid0(SALU_CYCLE_1) | instskip(NEXT) | instid1(VALU_DEP_1)
	s_cmp_lt_i32 s0, 11
	v_add_nc_u64_e32 v[4:5], s[6:7], v[4:5]
	s_cbranch_scc1 .LBB340_564
; %bb.558:
	s_cmp_gt_i32 s0, 25
	s_cbranch_scc0 .LBB340_565
; %bb.559:
	s_cmp_gt_i32 s0, 28
	s_cbranch_scc0 .LBB340_566
	;; [unrolled: 3-line block ×4, first 2 shown]
; %bb.562:
	s_cmp_eq_u32 s0, 46
	s_mov_b32 s28, 0
	s_cbranch_scc0 .LBB340_573
; %bb.563:
	global_load_b32 v1, v[4:5], off
	s_mov_b32 s27, -1
	s_mov_b32 s26, 0
	s_wait_loadcnt 0x0
	v_lshlrev_b32_e32 v1, 16, v1
	s_delay_alu instid0(VALU_DEP_1)
	v_cvt_u32_f32_e32 v6, v1
	s_branch .LBB340_575
.LBB340_564:
	s_mov_b32 s28, -1
	s_mov_b32 s27, 0
	s_mov_b32 s26, s44
                                        ; implicit-def: $vgpr6
	s_branch .LBB340_636
.LBB340_565:
	s_mov_b32 s28, -1
	s_mov_b32 s27, 0
	s_mov_b32 s26, s44
                                        ; implicit-def: $vgpr6
	s_branch .LBB340_602
.LBB340_566:
	s_mov_b32 s28, -1
	s_mov_b32 s27, 0
	s_mov_b32 s26, s44
                                        ; implicit-def: $vgpr6
	s_branch .LBB340_585
.LBB340_567:
	s_mov_b32 s28, -1
	s_mov_b32 s27, 0
	s_mov_b32 s26, s44
                                        ; implicit-def: $vgpr6
	s_branch .LBB340_580
.LBB340_568:
	s_and_not1_saveexec_b32 s44, s44
	s_cbranch_execz .LBB340_339
.LBB340_569:
	v_add_f32_e32 v1, 0x46000000, v4
	s_and_not1_b32 s31, s31, exec_lo
	s_delay_alu instid0(VALU_DEP_1) | instskip(NEXT) | instid1(VALU_DEP_1)
	v_and_b32_e32 v1, 0xff, v1
	v_cmp_ne_u32_e32 vcc_lo, 0, v1
	s_and_b32 s45, vcc_lo, exec_lo
	s_delay_alu instid0(SALU_CYCLE_1)
	s_or_b32 s31, s31, s45
	s_or_b32 exec_lo, exec_lo, s44
	v_mov_b32_e32 v5, 0
	s_and_saveexec_b32 s44, s31
	s_cbranch_execnz .LBB340_340
	s_branch .LBB340_341
.LBB340_570:
	s_mov_b32 s28, -1
	s_mov_b32 s27, 0
	s_mov_b32 s26, s44
	s_branch .LBB340_574
.LBB340_571:
	s_and_not1_saveexec_b32 s44, s44
	s_cbranch_execz .LBB340_352
.LBB340_572:
	v_add_f32_e32 v1, 0x42800000, v4
	s_and_not1_b32 s31, s31, exec_lo
	s_delay_alu instid0(VALU_DEP_1) | instskip(NEXT) | instid1(VALU_DEP_1)
	v_and_b32_e32 v1, 0xff, v1
	v_cmp_ne_u32_e32 vcc_lo, 0, v1
	s_and_b32 s45, vcc_lo, exec_lo
	s_delay_alu instid0(SALU_CYCLE_1)
	s_or_b32 s31, s31, s45
	s_or_b32 exec_lo, exec_lo, s44
	v_mov_b32_e32 v5, 0
	s_and_saveexec_b32 s44, s31
	s_cbranch_execnz .LBB340_353
	s_branch .LBB340_354
.LBB340_573:
	s_mov_b32 s26, -1
	s_mov_b32 s27, 0
.LBB340_574:
                                        ; implicit-def: $vgpr6
.LBB340_575:
	s_and_b32 vcc_lo, exec_lo, s28
	s_cbranch_vccz .LBB340_579
; %bb.576:
	s_cmp_eq_u32 s0, 44
	s_cbranch_scc0 .LBB340_578
; %bb.577:
	global_load_u8 v1, v[4:5], off
	s_mov_b32 s26, 0
	s_mov_b32 s27, -1
	s_wait_loadcnt 0x0
	v_lshlrev_b32_e32 v3, 23, v1
	v_cmp_ne_u32_e32 vcc_lo, 0, v1
	s_delay_alu instid0(VALU_DEP_2) | instskip(NEXT) | instid1(VALU_DEP_1)
	v_cvt_u32_f32_e32 v3, v3
	v_cndmask_b32_e32 v6, 0, v3, vcc_lo
	s_branch .LBB340_579
.LBB340_578:
	s_mov_b32 s26, -1
                                        ; implicit-def: $vgpr6
.LBB340_579:
	s_mov_b32 s28, 0
.LBB340_580:
	s_delay_alu instid0(SALU_CYCLE_1)
	s_and_b32 vcc_lo, exec_lo, s28
	s_cbranch_vccz .LBB340_584
; %bb.581:
	s_cmp_eq_u32 s0, 29
	s_cbranch_scc0 .LBB340_583
; %bb.582:
	s_wait_loadcnt 0x0
	global_load_b64 v[6:7], v[4:5], off
	s_mov_b32 s27, -1
	s_mov_b32 s26, 0
	s_branch .LBB340_584
.LBB340_583:
	s_mov_b32 s26, -1
                                        ; implicit-def: $vgpr6
.LBB340_584:
	s_mov_b32 s28, 0
.LBB340_585:
	s_delay_alu instid0(SALU_CYCLE_1)
	s_and_b32 vcc_lo, exec_lo, s28
	s_cbranch_vccz .LBB340_601
; %bb.586:
	s_cmp_lt_i32 s0, 27
	s_cbranch_scc1 .LBB340_589
; %bb.587:
	s_cmp_gt_i32 s0, 27
	s_cbranch_scc0 .LBB340_590
; %bb.588:
	s_wait_loadcnt 0x0
	global_load_b32 v6, v[4:5], off
	s_mov_b32 s27, 0
	s_branch .LBB340_591
.LBB340_589:
	s_mov_b32 s27, -1
                                        ; implicit-def: $vgpr6
	s_branch .LBB340_594
.LBB340_590:
	s_mov_b32 s27, -1
                                        ; implicit-def: $vgpr6
.LBB340_591:
	s_delay_alu instid0(SALU_CYCLE_1)
	s_and_not1_b32 vcc_lo, exec_lo, s27
	s_cbranch_vccnz .LBB340_593
; %bb.592:
	s_wait_loadcnt 0x0
	global_load_u16 v6, v[4:5], off
.LBB340_593:
	s_mov_b32 s27, 0
.LBB340_594:
	s_delay_alu instid0(SALU_CYCLE_1)
	s_and_not1_b32 vcc_lo, exec_lo, s27
	s_cbranch_vccnz .LBB340_600
; %bb.595:
	global_load_u8 v1, v[4:5], off
	s_mov_b32 s28, 0
	s_mov_b32 s27, exec_lo
	s_wait_loadcnt 0x0
	v_cmpx_lt_i16_e32 0x7f, v1
	s_xor_b32 s27, exec_lo, s27
	s_cbranch_execz .LBB340_612
; %bb.596:
	v_cmp_ne_u16_e32 vcc_lo, 0x80, v1
	s_and_b32 s28, vcc_lo, exec_lo
	s_and_not1_saveexec_b32 s27, s27
	s_cbranch_execnz .LBB340_613
.LBB340_597:
	s_or_b32 exec_lo, exec_lo, s27
	v_mov_b32_e32 v6, 0
	s_and_saveexec_b32 s27, s28
	s_cbranch_execz .LBB340_599
.LBB340_598:
	v_and_b32_e32 v3, 0xffff, v1
	s_delay_alu instid0(VALU_DEP_1) | instskip(SKIP_1) | instid1(VALU_DEP_2)
	v_dual_lshlrev_b32 v1, 24, v1 :: v_dual_bitop2_b32 v6, 7, v3 bitop3:0x40
	v_bfe_u32 v9, v3, 3, 4
	v_and_b32_e32 v1, 0x80000000, v1
	s_delay_alu instid0(VALU_DEP_3) | instskip(NEXT) | instid1(VALU_DEP_3)
	v_clz_i32_u32_e32 v7, v6
	v_cmp_eq_u32_e32 vcc_lo, 0, v9
	s_delay_alu instid0(VALU_DEP_2) | instskip(NEXT) | instid1(VALU_DEP_1)
	v_min_u32_e32 v7, 32, v7
	v_subrev_nc_u32_e32 v8, 28, v7
	v_sub_nc_u32_e32 v7, 29, v7
	s_delay_alu instid0(VALU_DEP_2) | instskip(NEXT) | instid1(VALU_DEP_2)
	v_lshlrev_b32_e32 v3, v8, v3
	v_cndmask_b32_e32 v7, v9, v7, vcc_lo
	s_delay_alu instid0(VALU_DEP_2) | instskip(NEXT) | instid1(VALU_DEP_1)
	v_and_b32_e32 v3, 7, v3
	v_cndmask_b32_e32 v3, v6, v3, vcc_lo
	s_delay_alu instid0(VALU_DEP_3) | instskip(NEXT) | instid1(VALU_DEP_2)
	v_lshl_add_u32 v6, v7, 23, 0x3b800000
	v_lshlrev_b32_e32 v3, 20, v3
	s_delay_alu instid0(VALU_DEP_1) | instskip(NEXT) | instid1(VALU_DEP_1)
	v_or3_b32 v1, v1, v6, v3
	v_cvt_u32_f32_e32 v6, v1
.LBB340_599:
	s_or_b32 exec_lo, exec_lo, s27
.LBB340_600:
	s_mov_b32 s27, -1
.LBB340_601:
	s_mov_b32 s28, 0
.LBB340_602:
	s_delay_alu instid0(SALU_CYCLE_1)
	s_and_b32 vcc_lo, exec_lo, s28
	s_cbranch_vccz .LBB340_635
; %bb.603:
	s_cmp_gt_i32 s0, 22
	s_cbranch_scc0 .LBB340_611
; %bb.604:
	s_cmp_lt_i32 s0, 24
	s_cbranch_scc1 .LBB340_614
; %bb.605:
	s_cmp_gt_i32 s0, 24
	s_cbranch_scc0 .LBB340_615
; %bb.606:
	global_load_u8 v1, v[4:5], off
	s_mov_b32 s28, 0
	s_mov_b32 s27, exec_lo
	s_wait_loadcnt 0x0
	v_cmpx_lt_i16_e32 0x7f, v1
	s_xor_b32 s27, exec_lo, s27
	s_cbranch_execz .LBB340_627
; %bb.607:
	v_cmp_ne_u16_e32 vcc_lo, 0x80, v1
	s_and_b32 s28, vcc_lo, exec_lo
	s_and_not1_saveexec_b32 s27, s27
	s_cbranch_execnz .LBB340_628
.LBB340_608:
	s_or_b32 exec_lo, exec_lo, s27
	v_mov_b32_e32 v6, 0
	s_and_saveexec_b32 s27, s28
	s_cbranch_execz .LBB340_610
.LBB340_609:
	v_and_b32_e32 v3, 0xffff, v1
	s_delay_alu instid0(VALU_DEP_1) | instskip(SKIP_1) | instid1(VALU_DEP_2)
	v_dual_lshlrev_b32 v1, 24, v1 :: v_dual_bitop2_b32 v6, 3, v3 bitop3:0x40
	v_bfe_u32 v9, v3, 2, 5
	v_and_b32_e32 v1, 0x80000000, v1
	s_delay_alu instid0(VALU_DEP_3) | instskip(NEXT) | instid1(VALU_DEP_3)
	v_clz_i32_u32_e32 v7, v6
	v_cmp_eq_u32_e32 vcc_lo, 0, v9
	s_delay_alu instid0(VALU_DEP_2) | instskip(NEXT) | instid1(VALU_DEP_1)
	v_min_u32_e32 v7, 32, v7
	v_subrev_nc_u32_e32 v8, 29, v7
	v_sub_nc_u32_e32 v7, 30, v7
	s_delay_alu instid0(VALU_DEP_2) | instskip(NEXT) | instid1(VALU_DEP_2)
	v_lshlrev_b32_e32 v3, v8, v3
	v_cndmask_b32_e32 v7, v9, v7, vcc_lo
	s_delay_alu instid0(VALU_DEP_2) | instskip(NEXT) | instid1(VALU_DEP_1)
	v_and_b32_e32 v3, 3, v3
	v_cndmask_b32_e32 v3, v6, v3, vcc_lo
	s_delay_alu instid0(VALU_DEP_3) | instskip(NEXT) | instid1(VALU_DEP_2)
	v_lshl_add_u32 v6, v7, 23, 0x37800000
	v_lshlrev_b32_e32 v3, 21, v3
	s_delay_alu instid0(VALU_DEP_1) | instskip(NEXT) | instid1(VALU_DEP_1)
	v_or3_b32 v1, v1, v6, v3
	v_cvt_u32_f32_e32 v6, v1
.LBB340_610:
	s_or_b32 exec_lo, exec_lo, s27
	s_mov_b32 s27, 0
	s_branch .LBB340_616
.LBB340_611:
	s_mov_b32 s28, -1
                                        ; implicit-def: $vgpr6
	s_branch .LBB340_622
.LBB340_612:
	s_and_not1_saveexec_b32 s27, s27
	s_cbranch_execz .LBB340_597
.LBB340_613:
	v_cmp_ne_u16_e32 vcc_lo, 0, v1
	s_and_not1_b32 s28, s28, exec_lo
	s_and_b32 s29, vcc_lo, exec_lo
	s_delay_alu instid0(SALU_CYCLE_1)
	s_or_b32 s28, s28, s29
	s_or_b32 exec_lo, exec_lo, s27
	v_mov_b32_e32 v6, 0
	s_and_saveexec_b32 s27, s28
	s_cbranch_execnz .LBB340_598
	s_branch .LBB340_599
.LBB340_614:
	s_mov_b32 s27, -1
                                        ; implicit-def: $vgpr6
	s_branch .LBB340_619
.LBB340_615:
	s_mov_b32 s27, -1
                                        ; implicit-def: $vgpr6
.LBB340_616:
	s_delay_alu instid0(SALU_CYCLE_1)
	s_and_b32 vcc_lo, exec_lo, s27
	s_cbranch_vccz .LBB340_618
; %bb.617:
	global_load_u8 v1, v[4:5], off
	s_wait_loadcnt 0x0
	v_lshlrev_b32_e32 v1, 24, v1
	s_delay_alu instid0(VALU_DEP_1) | instskip(NEXT) | instid1(VALU_DEP_1)
	v_and_b32_e32 v3, 0x7f000000, v1
	v_clz_i32_u32_e32 v6, v3
	v_cmp_ne_u32_e32 vcc_lo, 0, v3
	v_add_nc_u32_e32 v8, 0x1000000, v3
	s_delay_alu instid0(VALU_DEP_3) | instskip(NEXT) | instid1(VALU_DEP_1)
	v_min_u32_e32 v6, 32, v6
	v_sub_nc_u32_e64 v6, v6, 4 clamp
	s_delay_alu instid0(VALU_DEP_1) | instskip(NEXT) | instid1(VALU_DEP_1)
	v_dual_lshlrev_b32 v7, v6, v3 :: v_dual_lshlrev_b32 v6, 23, v6
	v_lshrrev_b32_e32 v7, 4, v7
	s_delay_alu instid0(VALU_DEP_1) | instskip(NEXT) | instid1(VALU_DEP_1)
	v_dual_sub_nc_u32 v6, v7, v6 :: v_dual_ashrrev_i32 v7, 8, v8
	v_add_nc_u32_e32 v6, 0x3c000000, v6
	s_delay_alu instid0(VALU_DEP_1) | instskip(NEXT) | instid1(VALU_DEP_1)
	v_and_or_b32 v6, 0x7f800000, v7, v6
	v_cndmask_b32_e32 v3, 0, v6, vcc_lo
	s_delay_alu instid0(VALU_DEP_1) | instskip(NEXT) | instid1(VALU_DEP_1)
	v_and_or_b32 v1, 0x80000000, v1, v3
	v_cvt_u32_f32_e32 v6, v1
.LBB340_618:
	s_mov_b32 s27, 0
.LBB340_619:
	s_delay_alu instid0(SALU_CYCLE_1)
	s_and_not1_b32 vcc_lo, exec_lo, s27
	s_cbranch_vccnz .LBB340_621
; %bb.620:
	global_load_u8 v1, v[4:5], off
	s_wait_loadcnt 0x0
	v_lshlrev_b32_e32 v3, 25, v1
	v_lshlrev_b16 v1, 8, v1
	s_delay_alu instid0(VALU_DEP_1) | instskip(SKIP_1) | instid1(VALU_DEP_2)
	v_and_or_b32 v7, 0x7f00, v1, 0.5
	v_bfe_i32 v1, v1, 0, 16
	v_add_f32_e32 v7, -0.5, v7
	v_lshrrev_b32_e32 v6, 4, v3
	v_cmp_gt_u32_e32 vcc_lo, 0x8000000, v3
	s_delay_alu instid0(VALU_DEP_2) | instskip(NEXT) | instid1(VALU_DEP_1)
	v_or_b32_e32 v6, 0x70000000, v6
	v_mul_f32_e32 v6, 0x7800000, v6
	s_delay_alu instid0(VALU_DEP_1) | instskip(NEXT) | instid1(VALU_DEP_1)
	v_cndmask_b32_e32 v3, v6, v7, vcc_lo
	v_and_or_b32 v1, 0x80000000, v1, v3
	s_delay_alu instid0(VALU_DEP_1)
	v_cvt_u32_f32_e32 v6, v1
.LBB340_621:
	s_mov_b32 s28, 0
	s_mov_b32 s27, -1
.LBB340_622:
	s_and_not1_b32 vcc_lo, exec_lo, s28
	s_cbranch_vccnz .LBB340_635
; %bb.623:
	s_cmp_gt_i32 s0, 14
	s_cbranch_scc0 .LBB340_626
; %bb.624:
	s_cmp_eq_u32 s0, 15
	s_cbranch_scc0 .LBB340_629
; %bb.625:
	global_load_u16 v1, v[4:5], off
	s_mov_b32 s27, -1
	s_mov_b32 s26, 0
	s_wait_loadcnt 0x0
	v_lshlrev_b32_e32 v1, 16, v1
	s_delay_alu instid0(VALU_DEP_1)
	v_cvt_u32_f32_e32 v6, v1
	s_branch .LBB340_630
.LBB340_626:
	s_mov_b32 s28, -1
                                        ; implicit-def: $vgpr6
	s_branch .LBB340_631
.LBB340_627:
	s_and_not1_saveexec_b32 s27, s27
	s_cbranch_execz .LBB340_608
.LBB340_628:
	v_cmp_ne_u16_e32 vcc_lo, 0, v1
	s_and_not1_b32 s28, s28, exec_lo
	s_and_b32 s29, vcc_lo, exec_lo
	s_delay_alu instid0(SALU_CYCLE_1)
	s_or_b32 s28, s28, s29
	s_or_b32 exec_lo, exec_lo, s27
	v_mov_b32_e32 v6, 0
	s_and_saveexec_b32 s27, s28
	s_cbranch_execnz .LBB340_609
	s_branch .LBB340_610
.LBB340_629:
	s_mov_b32 s26, -1
                                        ; implicit-def: $vgpr6
.LBB340_630:
	s_mov_b32 s28, 0
.LBB340_631:
	s_delay_alu instid0(SALU_CYCLE_1)
	s_and_b32 vcc_lo, exec_lo, s28
	s_cbranch_vccz .LBB340_635
; %bb.632:
	s_cmp_eq_u32 s0, 11
	s_cbranch_scc0 .LBB340_634
; %bb.633:
	global_load_u8 v1, v[4:5], off
	s_mov_b32 s26, 0
	s_mov_b32 s27, -1
	s_wait_loadcnt 0x0
	v_cmp_ne_u16_e32 vcc_lo, 0, v1
	v_cndmask_b32_e64 v6, 0, 1, vcc_lo
	s_branch .LBB340_635
.LBB340_634:
	s_mov_b32 s26, -1
                                        ; implicit-def: $vgpr6
.LBB340_635:
	s_mov_b32 s28, 0
.LBB340_636:
	s_delay_alu instid0(SALU_CYCLE_1)
	s_and_b32 vcc_lo, exec_lo, s28
	s_cbranch_vccz .LBB340_685
; %bb.637:
	s_cmp_lt_i32 s0, 5
	s_cbranch_scc1 .LBB340_642
; %bb.638:
	s_cmp_lt_i32 s0, 8
	s_cbranch_scc1 .LBB340_643
	;; [unrolled: 3-line block ×3, first 2 shown]
; %bb.640:
	s_cmp_gt_i32 s0, 9
	s_cbranch_scc0 .LBB340_645
; %bb.641:
	s_wait_loadcnt 0x0
	global_load_b64 v[6:7], v[4:5], off
	s_mov_b32 s27, 0
	s_wait_loadcnt 0x0
	v_cvt_u32_f64_e32 v6, v[6:7]
	s_branch .LBB340_646
.LBB340_642:
	s_mov_b32 s27, -1
                                        ; implicit-def: $vgpr6
	s_branch .LBB340_664
.LBB340_643:
	s_mov_b32 s27, -1
                                        ; implicit-def: $vgpr6
	s_branch .LBB340_652
.LBB340_644:
	s_mov_b32 s27, -1
                                        ; implicit-def: $vgpr6
	s_branch .LBB340_649
.LBB340_645:
	s_mov_b32 s27, -1
                                        ; implicit-def: $vgpr6
.LBB340_646:
	s_delay_alu instid0(SALU_CYCLE_1)
	s_and_not1_b32 vcc_lo, exec_lo, s27
	s_cbranch_vccnz .LBB340_648
; %bb.647:
	global_load_b32 v1, v[4:5], off
	s_wait_loadcnt 0x0
	v_cvt_u32_f32_e32 v6, v1
.LBB340_648:
	s_mov_b32 s27, 0
.LBB340_649:
	s_delay_alu instid0(SALU_CYCLE_1)
	s_and_not1_b32 vcc_lo, exec_lo, s27
	s_cbranch_vccnz .LBB340_651
; %bb.650:
	global_load_b32 v1, v[4:5], off
	s_wait_loadcnt 0x0
	v_cvt_u16_f16_e32 v6, v1
.LBB340_651:
	s_mov_b32 s27, 0
.LBB340_652:
	s_delay_alu instid0(SALU_CYCLE_1)
	s_and_not1_b32 vcc_lo, exec_lo, s27
	s_cbranch_vccnz .LBB340_663
; %bb.653:
	s_cmp_lt_i32 s0, 6
	s_cbranch_scc1 .LBB340_656
; %bb.654:
	s_cmp_gt_i32 s0, 6
	s_cbranch_scc0 .LBB340_657
; %bb.655:
	s_wait_loadcnt 0x0
	global_load_b64 v[6:7], v[4:5], off
	s_mov_b32 s27, 0
	s_wait_loadcnt 0x0
	v_cvt_u32_f64_e32 v6, v[6:7]
	s_branch .LBB340_658
.LBB340_656:
	s_mov_b32 s27, -1
                                        ; implicit-def: $vgpr6
	s_branch .LBB340_661
.LBB340_657:
	s_mov_b32 s27, -1
                                        ; implicit-def: $vgpr6
.LBB340_658:
	s_delay_alu instid0(SALU_CYCLE_1)
	s_and_not1_b32 vcc_lo, exec_lo, s27
	s_cbranch_vccnz .LBB340_660
; %bb.659:
	global_load_b32 v1, v[4:5], off
	s_wait_loadcnt 0x0
	v_cvt_u32_f32_e32 v6, v1
.LBB340_660:
	s_mov_b32 s27, 0
.LBB340_661:
	s_delay_alu instid0(SALU_CYCLE_1)
	s_and_not1_b32 vcc_lo, exec_lo, s27
	s_cbranch_vccnz .LBB340_663
; %bb.662:
	global_load_u16 v1, v[4:5], off
	s_wait_loadcnt 0x0
	v_cvt_u16_f16_e32 v6, v1
.LBB340_663:
	s_mov_b32 s27, 0
.LBB340_664:
	s_delay_alu instid0(SALU_CYCLE_1)
	s_and_not1_b32 vcc_lo, exec_lo, s27
	s_cbranch_vccnz .LBB340_684
; %bb.665:
	s_cmp_lt_i32 s0, 2
	s_cbranch_scc1 .LBB340_669
; %bb.666:
	s_cmp_lt_i32 s0, 3
	s_cbranch_scc1 .LBB340_670
; %bb.667:
	s_cmp_gt_i32 s0, 3
	s_cbranch_scc0 .LBB340_671
; %bb.668:
	s_wait_loadcnt 0x0
	global_load_b64 v[6:7], v[4:5], off
	s_mov_b32 s27, 0
	s_branch .LBB340_672
.LBB340_669:
	s_mov_b32 s27, -1
                                        ; implicit-def: $vgpr6
	s_branch .LBB340_678
.LBB340_670:
	s_mov_b32 s27, -1
                                        ; implicit-def: $vgpr6
	s_branch .LBB340_675
.LBB340_671:
	s_mov_b32 s27, -1
                                        ; implicit-def: $vgpr6
.LBB340_672:
	s_delay_alu instid0(SALU_CYCLE_1)
	s_and_not1_b32 vcc_lo, exec_lo, s27
	s_cbranch_vccnz .LBB340_674
; %bb.673:
	s_wait_loadcnt 0x0
	global_load_b32 v6, v[4:5], off
.LBB340_674:
	s_mov_b32 s27, 0
.LBB340_675:
	s_delay_alu instid0(SALU_CYCLE_1)
	s_and_not1_b32 vcc_lo, exec_lo, s27
	s_cbranch_vccnz .LBB340_677
; %bb.676:
	s_wait_loadcnt 0x0
	global_load_u16 v6, v[4:5], off
.LBB340_677:
	s_mov_b32 s27, 0
.LBB340_678:
	s_delay_alu instid0(SALU_CYCLE_1)
	s_and_not1_b32 vcc_lo, exec_lo, s27
	s_cbranch_vccnz .LBB340_684
; %bb.679:
	s_cmp_gt_i32 s0, 0
	s_mov_b32 s0, 0
	s_cbranch_scc0 .LBB340_681
; %bb.680:
	s_wait_loadcnt 0x0
	global_load_i8 v6, v[4:5], off
	s_branch .LBB340_682
.LBB340_681:
	s_mov_b32 s0, -1
                                        ; implicit-def: $vgpr6
.LBB340_682:
	s_delay_alu instid0(SALU_CYCLE_1)
	s_and_not1_b32 vcc_lo, exec_lo, s0
	s_cbranch_vccnz .LBB340_684
; %bb.683:
	s_wait_loadcnt 0x0
	global_load_u8 v6, v[4:5], off
.LBB340_684:
	s_mov_b32 s27, -1
.LBB340_685:
	s_delay_alu instid0(SALU_CYCLE_1)
	s_and_not1_b32 vcc_lo, exec_lo, s27
	s_cbranch_vccnz .LBB340_693
; %bb.686:
	v_mov_b32_e32 v3, 0
	s_wait_loadcnt 0x0
	s_delay_alu instid0(VALU_DEP_2) | instskip(SKIP_1) | instid1(VALU_DEP_2)
	v_cmp_ne_u16_e32 vcc_lo, s1, v6
	s_and_b32 s28, s2, 0xff
	v_add_nc_u64_e32 v[2:3], s[4:5], v[2:3]
	s_xor_b32 s27, s9, vcc_lo
	s_cmp_lt_i32 s28, 11
	s_cbranch_scc1 .LBB340_694
; %bb.687:
	s_and_b32 s29, 0xffff, s28
	s_delay_alu instid0(SALU_CYCLE_1)
	s_cmp_gt_i32 s29, 25
	s_cbranch_scc0 .LBB340_695
; %bb.688:
	s_cmp_gt_i32 s29, 28
	s_cbranch_scc0 .LBB340_696
; %bb.689:
	;; [unrolled: 3-line block ×4, first 2 shown]
	s_mov_b32 s31, 0
	s_mov_b32 s0, -1
	s_cmp_eq_u32 s29, 46
	s_mov_b32 s30, 0
	s_cbranch_scc0 .LBB340_699
; %bb.692:
	v_cndmask_b32_e64 v1, 0, 1.0, s27
	s_mov_b32 s30, -1
	s_mov_b32 s0, 0
	s_wait_xcnt 0x0
	s_delay_alu instid0(VALU_DEP_1) | instskip(NEXT) | instid1(VALU_DEP_1)
	v_bfe_u32 v4, v1, 16, 1
	v_add3_u32 v1, v1, v4, 0x7fff
	s_delay_alu instid0(VALU_DEP_1)
	v_lshrrev_b32_e32 v1, 16, v1
	global_store_b32 v[2:3], v1, off
	s_branch .LBB340_699
.LBB340_693:
	s_mov_b32 s27, 0
	s_mov_b32 s0, s45
	s_branch .LBB340_810
.LBB340_694:
	s_mov_b32 s29, -1
	s_mov_b32 s30, 0
	s_mov_b32 s0, s45
	s_branch .LBB340_768
.LBB340_695:
	s_mov_b32 s31, -1
	s_mov_b32 s30, 0
	s_mov_b32 s0, s45
	s_branch .LBB340_726
.LBB340_696:
	s_mov_b32 s31, -1
	s_mov_b32 s30, 0
	s_mov_b32 s0, s45
	s_branch .LBB340_709
.LBB340_697:
	s_mov_b32 s31, -1
	s_mov_b32 s30, 0
	s_mov_b32 s0, s45
	s_branch .LBB340_705
.LBB340_698:
	s_mov_b32 s31, -1
	s_mov_b32 s30, 0
	s_mov_b32 s0, s45
.LBB340_699:
	s_and_b32 vcc_lo, exec_lo, s31
	s_cbranch_vccz .LBB340_704
; %bb.700:
	s_cmp_eq_u32 s29, 44
	s_mov_b32 s0, -1
	s_cbranch_scc0 .LBB340_704
; %bb.701:
	s_wait_xcnt 0x0
	v_cndmask_b32_e64 v5, 0, 1.0, s27
	s_mov_b32 s30, exec_lo
	s_delay_alu instid0(VALU_DEP_1) | instskip(NEXT) | instid1(VALU_DEP_1)
	v_dual_mov_b32 v4, 0xff :: v_dual_lshrrev_b32 v1, 23, v5
	v_cmpx_ne_u32_e32 0xff, v1
; %bb.702:
	v_and_b32_e32 v4, 0x400000, v5
	v_and_or_b32 v5, 0x3fffff, v5, v1
	s_delay_alu instid0(VALU_DEP_2) | instskip(NEXT) | instid1(VALU_DEP_2)
	v_cmp_ne_u32_e32 vcc_lo, 0, v4
	v_cmp_ne_u32_e64 s0, 0, v5
	s_and_b32 s0, vcc_lo, s0
	s_delay_alu instid0(SALU_CYCLE_1) | instskip(NEXT) | instid1(VALU_DEP_1)
	v_cndmask_b32_e64 v4, 0, 1, s0
	v_add_nc_u32_e32 v4, v1, v4
; %bb.703:
	s_or_b32 exec_lo, exec_lo, s30
	s_mov_b32 s30, -1
	s_mov_b32 s0, 0
	global_store_b8 v[2:3], v4, off
.LBB340_704:
	s_mov_b32 s31, 0
.LBB340_705:
	s_delay_alu instid0(SALU_CYCLE_1)
	s_and_b32 vcc_lo, exec_lo, s31
	s_cbranch_vccz .LBB340_708
; %bb.706:
	s_cmp_eq_u32 s29, 29
	s_mov_b32 s0, -1
	s_cbranch_scc0 .LBB340_708
; %bb.707:
	s_mov_b32 s0, 0
	s_wait_xcnt 0x0
	v_cndmask_b32_e64 v4, 0, 1, s27
	v_mov_b32_e32 v5, s0
	s_mov_b32 s30, -1
	s_mov_b32 s31, 0
	global_store_b64 v[2:3], v[4:5], off
	s_branch .LBB340_709
.LBB340_708:
	s_mov_b32 s31, 0
.LBB340_709:
	s_delay_alu instid0(SALU_CYCLE_1)
	s_and_b32 vcc_lo, exec_lo, s31
	s_cbranch_vccz .LBB340_725
; %bb.710:
	s_cmp_lt_i32 s29, 27
	s_mov_b32 s30, -1
	s_cbranch_scc1 .LBB340_716
; %bb.711:
	s_cmp_gt_i32 s29, 27
	s_cbranch_scc0 .LBB340_713
; %bb.712:
	s_wait_xcnt 0x0
	v_cndmask_b32_e64 v1, 0, 1, s27
	s_mov_b32 s30, 0
	global_store_b32 v[2:3], v1, off
.LBB340_713:
	s_and_not1_b32 vcc_lo, exec_lo, s30
	s_cbranch_vccnz .LBB340_715
; %bb.714:
	s_wait_xcnt 0x0
	v_cndmask_b32_e64 v1, 0, 1, s27
	global_store_b16 v[2:3], v1, off
.LBB340_715:
	s_mov_b32 s30, 0
.LBB340_716:
	s_delay_alu instid0(SALU_CYCLE_1)
	s_and_not1_b32 vcc_lo, exec_lo, s30
	s_cbranch_vccnz .LBB340_724
; %bb.717:
	s_wait_xcnt 0x0
	v_cndmask_b32_e64 v4, 0, 1.0, s27
	v_mov_b32_e32 v5, 0x80
	s_mov_b32 s30, exec_lo
	s_delay_alu instid0(VALU_DEP_2)
	v_cmpx_gt_u32_e32 0x43800000, v4
	s_cbranch_execz .LBB340_723
; %bb.718:
	s_mov_b32 s31, 0
	s_mov_b32 s48, exec_lo
                                        ; implicit-def: $vgpr1
	v_cmpx_lt_u32_e32 0x3bffffff, v4
	s_xor_b32 s48, exec_lo, s48
	s_cbranch_execz .LBB340_842
; %bb.719:
	v_bfe_u32 v1, v4, 20, 1
	s_mov_b32 s31, exec_lo
	s_delay_alu instid0(VALU_DEP_1) | instskip(NEXT) | instid1(VALU_DEP_1)
	v_add3_u32 v1, v4, v1, 0x487ffff
                                        ; implicit-def: $vgpr4
	v_lshrrev_b32_e32 v1, 20, v1
	s_and_not1_saveexec_b32 s48, s48
	s_cbranch_execnz .LBB340_843
.LBB340_720:
	s_or_b32 exec_lo, exec_lo, s48
	v_mov_b32_e32 v5, 0
	s_and_saveexec_b32 s48, s31
.LBB340_721:
	v_mov_b32_e32 v5, v1
.LBB340_722:
	s_or_b32 exec_lo, exec_lo, s48
.LBB340_723:
	s_delay_alu instid0(SALU_CYCLE_1)
	s_or_b32 exec_lo, exec_lo, s30
	global_store_b8 v[2:3], v5, off
.LBB340_724:
	s_mov_b32 s30, -1
.LBB340_725:
	s_mov_b32 s31, 0
.LBB340_726:
	s_delay_alu instid0(SALU_CYCLE_1)
	s_and_b32 vcc_lo, exec_lo, s31
	s_cbranch_vccz .LBB340_767
; %bb.727:
	s_cmp_gt_i32 s29, 22
	s_mov_b32 s31, -1
	s_cbranch_scc0 .LBB340_759
; %bb.728:
	s_cmp_lt_i32 s29, 24
	s_mov_b32 s30, -1
	s_cbranch_scc1 .LBB340_748
; %bb.729:
	s_cmp_gt_i32 s29, 24
	s_cbranch_scc0 .LBB340_737
; %bb.730:
	s_wait_xcnt 0x0
	v_cndmask_b32_e64 v4, 0, 1.0, s27
	v_mov_b32_e32 v5, 0x80
	s_mov_b32 s30, exec_lo
	s_delay_alu instid0(VALU_DEP_2)
	v_cmpx_gt_u32_e32 0x47800000, v4
	s_cbranch_execz .LBB340_736
; %bb.731:
	s_mov_b32 s31, 0
	s_mov_b32 s48, exec_lo
                                        ; implicit-def: $vgpr1
	v_cmpx_lt_u32_e32 0x37ffffff, v4
	s_xor_b32 s48, exec_lo, s48
	s_cbranch_execz .LBB340_845
; %bb.732:
	v_bfe_u32 v1, v4, 21, 1
	s_mov_b32 s31, exec_lo
	s_delay_alu instid0(VALU_DEP_1) | instskip(NEXT) | instid1(VALU_DEP_1)
	v_add3_u32 v1, v4, v1, 0x88fffff
                                        ; implicit-def: $vgpr4
	v_lshrrev_b32_e32 v1, 21, v1
	s_and_not1_saveexec_b32 s48, s48
	s_cbranch_execnz .LBB340_846
.LBB340_733:
	s_or_b32 exec_lo, exec_lo, s48
	v_mov_b32_e32 v5, 0
	s_and_saveexec_b32 s48, s31
.LBB340_734:
	v_mov_b32_e32 v5, v1
.LBB340_735:
	s_or_b32 exec_lo, exec_lo, s48
.LBB340_736:
	s_delay_alu instid0(SALU_CYCLE_1)
	s_or_b32 exec_lo, exec_lo, s30
	s_mov_b32 s30, 0
	global_store_b8 v[2:3], v5, off
.LBB340_737:
	s_and_b32 vcc_lo, exec_lo, s30
	s_cbranch_vccz .LBB340_747
; %bb.738:
	s_wait_xcnt 0x0
	v_cndmask_b32_e64 v4, 0, 1.0, s27
	s_mov_b32 s30, exec_lo
                                        ; implicit-def: $vgpr1
	s_delay_alu instid0(VALU_DEP_1)
	v_cmpx_gt_u32_e32 0x43f00000, v4
	s_xor_b32 s30, exec_lo, s30
	s_cbranch_execz .LBB340_744
; %bb.739:
	s_mov_b32 s31, exec_lo
                                        ; implicit-def: $vgpr1
	v_cmpx_lt_u32_e32 0x3c7fffff, v4
	s_xor_b32 s31, exec_lo, s31
; %bb.740:
	v_bfe_u32 v1, v4, 20, 1
	s_delay_alu instid0(VALU_DEP_1) | instskip(NEXT) | instid1(VALU_DEP_1)
	v_add3_u32 v1, v4, v1, 0x407ffff
	v_and_b32_e32 v4, 0xff00000, v1
	v_lshrrev_b32_e32 v1, 20, v1
	s_delay_alu instid0(VALU_DEP_2) | instskip(NEXT) | instid1(VALU_DEP_2)
	v_cmp_ne_u32_e32 vcc_lo, 0x7f00000, v4
                                        ; implicit-def: $vgpr4
	v_cndmask_b32_e32 v1, 0x7e, v1, vcc_lo
; %bb.741:
	s_and_not1_saveexec_b32 s31, s31
; %bb.742:
	v_add_f32_e32 v1, 0x46800000, v4
; %bb.743:
	s_or_b32 exec_lo, exec_lo, s31
                                        ; implicit-def: $vgpr4
.LBB340_744:
	s_and_not1_saveexec_b32 s30, s30
; %bb.745:
	v_mov_b32_e32 v1, 0x7f
	v_cmp_lt_u32_e32 vcc_lo, 0x7f800000, v4
	s_delay_alu instid0(VALU_DEP_2)
	v_cndmask_b32_e32 v1, 0x7e, v1, vcc_lo
; %bb.746:
	s_or_b32 exec_lo, exec_lo, s30
	global_store_b8 v[2:3], v1, off
.LBB340_747:
	s_mov_b32 s30, 0
.LBB340_748:
	s_delay_alu instid0(SALU_CYCLE_1)
	s_and_not1_b32 vcc_lo, exec_lo, s30
	s_cbranch_vccnz .LBB340_758
; %bb.749:
	s_wait_xcnt 0x0
	v_cndmask_b32_e64 v4, 0, 1.0, s27
	s_mov_b32 s30, exec_lo
                                        ; implicit-def: $vgpr1
	s_delay_alu instid0(VALU_DEP_1)
	v_cmpx_gt_u32_e32 0x47800000, v4
	s_xor_b32 s30, exec_lo, s30
	s_cbranch_execz .LBB340_755
; %bb.750:
	s_mov_b32 s31, exec_lo
                                        ; implicit-def: $vgpr1
	v_cmpx_lt_u32_e32 0x387fffff, v4
	s_xor_b32 s31, exec_lo, s31
; %bb.751:
	v_bfe_u32 v1, v4, 21, 1
	s_delay_alu instid0(VALU_DEP_1) | instskip(NEXT) | instid1(VALU_DEP_1)
	v_add3_u32 v1, v4, v1, 0x80fffff
                                        ; implicit-def: $vgpr4
	v_lshrrev_b32_e32 v1, 21, v1
; %bb.752:
	s_and_not1_saveexec_b32 s31, s31
; %bb.753:
	v_add_f32_e32 v1, 0x43000000, v4
; %bb.754:
	s_or_b32 exec_lo, exec_lo, s31
                                        ; implicit-def: $vgpr4
.LBB340_755:
	s_and_not1_saveexec_b32 s30, s30
; %bb.756:
	v_mov_b32_e32 v1, 0x7f
	v_cmp_lt_u32_e32 vcc_lo, 0x7f800000, v4
	s_delay_alu instid0(VALU_DEP_2)
	v_cndmask_b32_e32 v1, 0x7c, v1, vcc_lo
; %bb.757:
	s_or_b32 exec_lo, exec_lo, s30
	global_store_b8 v[2:3], v1, off
.LBB340_758:
	s_mov_b32 s31, 0
	s_mov_b32 s30, -1
.LBB340_759:
	s_and_not1_b32 vcc_lo, exec_lo, s31
	s_cbranch_vccnz .LBB340_767
; %bb.760:
	s_cmp_gt_i32 s29, 14
	s_mov_b32 s31, -1
	s_cbranch_scc0 .LBB340_764
; %bb.761:
	s_cmp_eq_u32 s29, 15
	s_mov_b32 s0, -1
	s_cbranch_scc0 .LBB340_763
; %bb.762:
	s_wait_xcnt 0x0
	v_cndmask_b32_e64 v1, 0, 1.0, s27
	s_mov_b32 s30, -1
	s_mov_b32 s0, 0
	s_delay_alu instid0(VALU_DEP_1) | instskip(NEXT) | instid1(VALU_DEP_1)
	v_bfe_u32 v4, v1, 16, 1
	v_add3_u32 v1, v1, v4, 0x7fff
	global_store_d16_hi_b16 v[2:3], v1, off
.LBB340_763:
	s_mov_b32 s31, 0
.LBB340_764:
	s_delay_alu instid0(SALU_CYCLE_1)
	s_and_b32 vcc_lo, exec_lo, s31
	s_cbranch_vccz .LBB340_767
; %bb.765:
	s_cmp_eq_u32 s29, 11
	s_mov_b32 s0, -1
	s_cbranch_scc0 .LBB340_767
; %bb.766:
	s_wait_xcnt 0x0
	v_cndmask_b32_e64 v1, 0, 1, s27
	s_mov_b32 s30, -1
	s_mov_b32 s0, 0
	global_store_b8 v[2:3], v1, off
.LBB340_767:
	s_mov_b32 s29, 0
.LBB340_768:
	s_delay_alu instid0(SALU_CYCLE_1)
	s_and_b32 vcc_lo, exec_lo, s29
	s_cbranch_vccz .LBB340_807
; %bb.769:
	s_and_b32 s28, 0xffff, s28
	s_mov_b32 s29, -1
	s_cmp_lt_i32 s28, 5
	s_cbranch_scc1 .LBB340_790
; %bb.770:
	s_cmp_lt_i32 s28, 8
	s_cbranch_scc1 .LBB340_780
; %bb.771:
	s_cmp_lt_i32 s28, 9
	s_cbranch_scc1 .LBB340_777
; %bb.772:
	s_cmp_gt_i32 s28, 9
	s_cbranch_scc0 .LBB340_774
; %bb.773:
	s_wait_xcnt 0x0
	v_cndmask_b32_e64 v1, 0, 1, s27
	v_mov_b32_e32 v6, 0
	s_mov_b32 s29, 0
	s_delay_alu instid0(VALU_DEP_2) | instskip(NEXT) | instid1(VALU_DEP_2)
	v_cvt_f64_u32_e32 v[4:5], v1
	v_mov_b32_e32 v7, v6
	global_store_b128 v[2:3], v[4:7], off
.LBB340_774:
	s_and_not1_b32 vcc_lo, exec_lo, s29
	s_cbranch_vccnz .LBB340_776
; %bb.775:
	s_wait_xcnt 0x0
	v_cndmask_b32_e64 v4, 0, 1.0, s27
	v_mov_b32_e32 v5, 0
	global_store_b64 v[2:3], v[4:5], off
.LBB340_776:
	s_mov_b32 s29, 0
.LBB340_777:
	s_delay_alu instid0(SALU_CYCLE_1)
	s_and_not1_b32 vcc_lo, exec_lo, s29
	s_cbranch_vccnz .LBB340_779
; %bb.778:
	s_wait_xcnt 0x0
	v_cndmask_b32_e64 v1, 0, 1.0, s27
	s_delay_alu instid0(VALU_DEP_1) | instskip(NEXT) | instid1(VALU_DEP_1)
	v_cvt_f16_f32_e32 v1, v1
	v_and_b32_e32 v1, 0xffff, v1
	global_store_b32 v[2:3], v1, off
.LBB340_779:
	s_mov_b32 s29, 0
.LBB340_780:
	s_delay_alu instid0(SALU_CYCLE_1)
	s_and_not1_b32 vcc_lo, exec_lo, s29
	s_cbranch_vccnz .LBB340_789
; %bb.781:
	s_cmp_lt_i32 s28, 6
	s_mov_b32 s29, -1
	s_cbranch_scc1 .LBB340_787
; %bb.782:
	s_cmp_gt_i32 s28, 6
	s_cbranch_scc0 .LBB340_784
; %bb.783:
	s_wait_xcnt 0x0
	v_cndmask_b32_e64 v1, 0, 1, s27
	s_mov_b32 s29, 0
	s_delay_alu instid0(VALU_DEP_1)
	v_cvt_f64_u32_e32 v[4:5], v1
	global_store_b64 v[2:3], v[4:5], off
.LBB340_784:
	s_and_not1_b32 vcc_lo, exec_lo, s29
	s_cbranch_vccnz .LBB340_786
; %bb.785:
	s_wait_xcnt 0x0
	v_cndmask_b32_e64 v1, 0, 1.0, s27
	global_store_b32 v[2:3], v1, off
.LBB340_786:
	s_mov_b32 s29, 0
.LBB340_787:
	s_delay_alu instid0(SALU_CYCLE_1)
	s_and_not1_b32 vcc_lo, exec_lo, s29
	s_cbranch_vccnz .LBB340_789
; %bb.788:
	s_wait_xcnt 0x0
	v_cndmask_b32_e64 v1, 0, 1.0, s27
	s_delay_alu instid0(VALU_DEP_1)
	v_cvt_f16_f32_e32 v1, v1
	global_store_b16 v[2:3], v1, off
.LBB340_789:
	s_mov_b32 s29, 0
.LBB340_790:
	s_delay_alu instid0(SALU_CYCLE_1)
	s_and_not1_b32 vcc_lo, exec_lo, s29
	s_cbranch_vccnz .LBB340_806
; %bb.791:
	s_cmp_lt_i32 s28, 2
	s_mov_b32 s29, -1
	s_cbranch_scc1 .LBB340_801
; %bb.792:
	s_cmp_lt_i32 s28, 3
	s_cbranch_scc1 .LBB340_798
; %bb.793:
	s_cmp_gt_i32 s28, 3
	s_cbranch_scc0 .LBB340_795
; %bb.794:
	s_mov_b32 s29, 0
	s_wait_xcnt 0x0
	v_cndmask_b32_e64 v4, 0, 1, s27
	v_mov_b32_e32 v5, s29
	global_store_b64 v[2:3], v[4:5], off
.LBB340_795:
	s_and_not1_b32 vcc_lo, exec_lo, s29
	s_cbranch_vccnz .LBB340_797
; %bb.796:
	s_wait_xcnt 0x0
	v_cndmask_b32_e64 v1, 0, 1, s27
	global_store_b32 v[2:3], v1, off
.LBB340_797:
	s_mov_b32 s29, 0
.LBB340_798:
	s_delay_alu instid0(SALU_CYCLE_1)
	s_and_not1_b32 vcc_lo, exec_lo, s29
	s_cbranch_vccnz .LBB340_800
; %bb.799:
	s_wait_xcnt 0x0
	v_cndmask_b32_e64 v1, 0, 1, s27
	global_store_b16 v[2:3], v1, off
.LBB340_800:
	s_mov_b32 s29, 0
.LBB340_801:
	s_delay_alu instid0(SALU_CYCLE_1)
	s_and_not1_b32 vcc_lo, exec_lo, s29
	s_cbranch_vccnz .LBB340_806
; %bb.802:
	s_wait_xcnt 0x0
	v_cndmask_b32_e64 v1, 0, 1, s27
	s_cmp_gt_i32 s28, 0
	s_mov_b32 s27, -1
	s_cbranch_scc0 .LBB340_804
; %bb.803:
	s_mov_b32 s27, 0
	global_store_b8 v[2:3], v1, off
.LBB340_804:
	s_and_not1_b32 vcc_lo, exec_lo, s27
	s_cbranch_vccnz .LBB340_806
; %bb.805:
	global_store_b8 v[2:3], v1, off
.LBB340_806:
	s_mov_b32 s30, -1
.LBB340_807:
	s_delay_alu instid0(SALU_CYCLE_1)
	s_and_not1_b32 vcc_lo, exec_lo, s30
	s_cbranch_vccnz .LBB340_809
; %bb.808:
	v_add_nc_u32_e32 v0, 0x80, v0
	s_mov_b32 s27, -1
	s_branch .LBB340_811
.LBB340_809:
	s_mov_b32 s27, 0
.LBB340_810:
                                        ; implicit-def: $vgpr0
.LBB340_811:
	s_and_not1_b32 s28, s45, exec_lo
	s_and_b32 s0, s0, exec_lo
	s_and_not1_b32 s29, s44, exec_lo
	s_and_b32 s26, s26, exec_lo
	s_or_b32 s30, s28, s0
	s_or_b32 s0, s29, s26
	s_or_not1_b32 s29, s27, exec_lo
.LBB340_812:
	s_wait_xcnt 0x0
	s_or_b32 exec_lo, exec_lo, s47
	s_mov_b32 s26, 0
	s_mov_b32 s27, 0
	s_mov_b32 s28, 0
                                        ; implicit-def: $vgpr4_vgpr5
                                        ; implicit-def: $vgpr2
                                        ; implicit-def: $vgpr6
	s_and_saveexec_b32 s31, s29
	s_cbranch_execz .LBB340_910
; %bb.813:
	v_cmp_gt_i32_e32 vcc_lo, s39, v0
	s_mov_b32 s29, s0
                                        ; implicit-def: $vgpr4_vgpr5
                                        ; implicit-def: $vgpr2
                                        ; implicit-def: $vgpr6
	s_and_saveexec_b32 s39, vcc_lo
	s_cbranch_execz .LBB340_909
; %bb.814:
	s_and_not1_b32 vcc_lo, exec_lo, s35
	s_cbranch_vccnz .LBB340_820
; %bb.815:
	s_and_not1_b32 vcc_lo, exec_lo, s41
	s_cbranch_vccnz .LBB340_821
; %bb.816:
	s_add_co_i32 s40, s40, 1
	s_cmp_eq_u32 s34, 2
	s_cbranch_scc1 .LBB340_822
; %bb.817:
	v_dual_mov_b32 v2, 0 :: v_dual_mov_b32 v4, 0
	v_mov_b32_e32 v1, v0
	s_and_b32 s26, s40, 28
	s_mov_b64 s[28:29], s[16:17]
.LBB340_818:                            ; =>This Inner Loop Header: Depth=1
	s_clause 0x1
	s_load_b256 s[48:55], s[28:29], 0x4
	s_load_b128 s[64:67], s[28:29], 0x24
	s_load_b256 s[56:63], s[24:25], 0x0
	s_add_co_i32 s27, s27, 4
	s_wait_xcnt 0x0
	s_add_nc_u64 s[28:29], s[28:29], 48
	s_cmp_eq_u32 s26, s27
	s_add_nc_u64 s[24:25], s[24:25], 32
	s_wait_kmcnt 0x0
	v_mul_hi_u32 v3, s49, v1
	s_delay_alu instid0(VALU_DEP_1) | instskip(NEXT) | instid1(VALU_DEP_1)
	v_add_nc_u32_e32 v3, v1, v3
	v_lshrrev_b32_e32 v3, s50, v3
	s_delay_alu instid0(VALU_DEP_1) | instskip(NEXT) | instid1(VALU_DEP_1)
	v_mul_hi_u32 v5, s52, v3
	v_add_nc_u32_e32 v5, v3, v5
	s_delay_alu instid0(VALU_DEP_1) | instskip(SKIP_1) | instid1(VALU_DEP_1)
	v_lshrrev_b32_e32 v5, s53, v5
	s_wait_loadcnt 0x0
	v_mul_hi_u32 v6, s55, v5
	s_delay_alu instid0(VALU_DEP_1) | instskip(SKIP_1) | instid1(VALU_DEP_1)
	v_add_nc_u32_e32 v6, v5, v6
	v_mul_lo_u32 v7, v3, s48
	v_sub_nc_u32_e32 v1, v1, v7
	v_mul_lo_u32 v7, v5, s51
	s_delay_alu instid0(VALU_DEP_4) | instskip(NEXT) | instid1(VALU_DEP_3)
	v_lshrrev_b32_e32 v6, s64, v6
	v_mad_u32 v4, v1, s57, v4
	v_mad_u32 v1, v1, s56, v2
	s_delay_alu instid0(VALU_DEP_4) | instskip(NEXT) | instid1(VALU_DEP_4)
	v_sub_nc_u32_e32 v2, v3, v7
	v_mul_hi_u32 v8, s66, v6
	v_mul_lo_u32 v3, v6, s54
	s_delay_alu instid0(VALU_DEP_3) | instskip(SKIP_1) | instid1(VALU_DEP_3)
	v_mad_u32 v4, v2, s59, v4
	v_mad_u32 v2, v2, s58, v1
	v_dual_add_nc_u32 v7, v6, v8 :: v_dual_sub_nc_u32 v3, v5, v3
	s_delay_alu instid0(VALU_DEP_1) | instskip(NEXT) | instid1(VALU_DEP_2)
	v_lshrrev_b32_e32 v1, s67, v7
	v_mad_u32 v4, v3, s61, v4
	s_delay_alu instid0(VALU_DEP_4) | instskip(NEXT) | instid1(VALU_DEP_3)
	v_mad_u32 v2, v3, s60, v2
	v_mul_lo_u32 v5, v1, s65
	s_delay_alu instid0(VALU_DEP_1) | instskip(NEXT) | instid1(VALU_DEP_1)
	v_sub_nc_u32_e32 v3, v6, v5
	v_mad_u32 v4, v3, s63, v4
	s_delay_alu instid0(VALU_DEP_4)
	v_mad_u32 v2, v3, s62, v2
	s_cbranch_scc0 .LBB340_818
; %bb.819:
	s_delay_alu instid0(VALU_DEP_2)
	v_mov_b32_e32 v3, v4
	s_branch .LBB340_823
.LBB340_820:
	s_mov_b32 s24, -1
                                        ; implicit-def: $vgpr4
                                        ; implicit-def: $vgpr2
	s_branch .LBB340_828
.LBB340_821:
	v_dual_mov_b32 v4, 0 :: v_dual_mov_b32 v2, 0
	s_branch .LBB340_827
.LBB340_822:
	v_mov_b64_e32 v[2:3], 0
	v_mov_b32_e32 v1, v0
                                        ; implicit-def: $vgpr4
.LBB340_823:
	s_and_b32 s28, s40, 3
	s_mov_b32 s27, 0
	s_cmp_eq_u32 s28, 0
	s_cbranch_scc1 .LBB340_827
; %bb.824:
	s_lshl_b32 s24, s26, 3
	s_mov_b32 s25, s27
	s_mul_u64 s[26:27], s[26:27], 12
	s_add_nc_u64 s[24:25], s[16:17], s[24:25]
	s_add_nc_u64 s[26:27], s[16:17], s[26:27]
	;; [unrolled: 1-line block ×3, first 2 shown]
.LBB340_825:                            ; =>This Inner Loop Header: Depth=1
	s_load_b96 s[48:50], s[26:27], 0x4
	s_load_b64 s[40:41], s[24:25], 0x0
	s_add_co_i32 s28, s28, -1
	s_wait_xcnt 0x0
	s_add_nc_u64 s[26:27], s[26:27], 12
	s_cmp_lg_u32 s28, 0
	s_add_nc_u64 s[24:25], s[24:25], 8
	s_wait_kmcnt 0x0
	v_mul_hi_u32 v4, s49, v1
	s_delay_alu instid0(VALU_DEP_1) | instskip(NEXT) | instid1(VALU_DEP_1)
	v_add_nc_u32_e32 v4, v1, v4
	v_lshrrev_b32_e32 v4, s50, v4
	s_delay_alu instid0(VALU_DEP_1) | instskip(NEXT) | instid1(VALU_DEP_1)
	v_mul_lo_u32 v5, v4, s48
	v_sub_nc_u32_e32 v1, v1, v5
	s_delay_alu instid0(VALU_DEP_1)
	v_mad_u32 v3, v1, s41, v3
	v_mad_u32 v2, v1, s40, v2
	v_mov_b32_e32 v1, v4
	s_cbranch_scc1 .LBB340_825
; %bb.826:
	s_delay_alu instid0(VALU_DEP_3)
	v_mov_b32_e32 v4, v3
.LBB340_827:
	s_mov_b32 s24, 0
.LBB340_828:
	s_delay_alu instid0(SALU_CYCLE_1)
	s_and_not1_b32 vcc_lo, exec_lo, s24
	s_cbranch_vccnz .LBB340_831
; %bb.829:
	v_mov_b32_e32 v1, 0
	s_and_not1_b32 vcc_lo, exec_lo, s38
	s_delay_alu instid0(VALU_DEP_1) | instskip(NEXT) | instid1(VALU_DEP_1)
	v_mul_u64_e32 v[2:3], s[18:19], v[0:1]
	v_add_nc_u32_e32 v2, v0, v3
	s_wait_loadcnt 0x0
	s_delay_alu instid0(VALU_DEP_1) | instskip(NEXT) | instid1(VALU_DEP_1)
	v_lshrrev_b32_e32 v6, s10, v2
	v_mul_lo_u32 v2, v6, s8
	s_delay_alu instid0(VALU_DEP_1) | instskip(NEXT) | instid1(VALU_DEP_1)
	v_sub_nc_u32_e32 v0, v0, v2
	v_mul_lo_u32 v4, v0, s13
	v_mul_lo_u32 v2, v0, s12
	s_cbranch_vccnz .LBB340_831
; %bb.830:
	v_mov_b32_e32 v7, v1
	s_delay_alu instid0(VALU_DEP_1) | instskip(NEXT) | instid1(VALU_DEP_1)
	v_mul_u64_e32 v[0:1], s[22:23], v[6:7]
	v_add_nc_u32_e32 v0, v6, v1
	s_delay_alu instid0(VALU_DEP_1) | instskip(NEXT) | instid1(VALU_DEP_1)
	v_lshrrev_b32_e32 v0, s21, v0
	v_mul_lo_u32 v0, v0, s11
	s_delay_alu instid0(VALU_DEP_1) | instskip(NEXT) | instid1(VALU_DEP_1)
	v_sub_nc_u32_e32 v0, v6, v0
	v_mad_u32 v2, v0, s14, v2
	v_mad_u32 v4, v0, s15, v4
.LBB340_831:
	v_mov_b32_e32 v5, 0
	s_delay_alu instid0(VALU_DEP_1) | instskip(SKIP_1) | instid1(SALU_CYCLE_1)
	v_add_nc_u64_e32 v[4:5], s[6:7], v[4:5]
	s_and_b32 s6, 0xffff, s37
	s_cmp_lt_i32 s6, 11
	s_cbranch_scc1 .LBB340_838
; %bb.832:
	s_cmp_gt_i32 s6, 25
	s_mov_b32 s8, 0
	s_cbranch_scc0 .LBB340_839
; %bb.833:
	s_cmp_gt_i32 s6, 28
	s_cbranch_scc0 .LBB340_840
; %bb.834:
	s_cmp_gt_i32 s6, 43
	;; [unrolled: 3-line block ×3, first 2 shown]
	s_cbranch_scc0 .LBB340_844
; %bb.836:
	s_cmp_eq_u32 s6, 46
	s_mov_b32 s11, 0
	s_cbranch_scc0 .LBB340_847
; %bb.837:
	global_load_b32 v0, v[4:5], off
	s_mov_b32 s7, 0
	s_mov_b32 s10, -1
	s_wait_loadcnt 0x0
	v_lshlrev_b32_e32 v0, 16, v0
	s_delay_alu instid0(VALU_DEP_1)
	v_cvt_u32_f32_e32 v6, v0
	s_branch .LBB340_849
.LBB340_838:
	s_mov_b32 s6, -1
	s_mov_b32 s10, 0
	s_mov_b32 s8, 0
	;; [unrolled: 1-line block ×3, first 2 shown]
                                        ; implicit-def: $vgpr6
	s_branch .LBB340_908
.LBB340_839:
	s_mov_b32 s11, -1
	s_mov_b32 s10, 0
	s_mov_b32 s7, s0
                                        ; implicit-def: $vgpr6
	s_branch .LBB340_876
.LBB340_840:
	s_mov_b32 s11, -1
	s_mov_b32 s10, 0
	s_mov_b32 s7, s0
                                        ; implicit-def: $vgpr6
	s_branch .LBB340_859
.LBB340_841:
	s_mov_b32 s11, -1
	s_mov_b32 s10, 0
	s_mov_b32 s7, s0
                                        ; implicit-def: $vgpr6
	s_branch .LBB340_854
.LBB340_842:
	s_and_not1_saveexec_b32 s48, s48
	s_cbranch_execz .LBB340_720
.LBB340_843:
	v_add_f32_e32 v1, 0x46000000, v4
	s_and_not1_b32 s31, s31, exec_lo
	s_delay_alu instid0(VALU_DEP_1) | instskip(NEXT) | instid1(VALU_DEP_1)
	v_and_b32_e32 v1, 0xff, v1
	v_cmp_ne_u32_e32 vcc_lo, 0, v1
	s_and_b32 s49, vcc_lo, exec_lo
	s_delay_alu instid0(SALU_CYCLE_1)
	s_or_b32 s31, s31, s49
	s_or_b32 exec_lo, exec_lo, s48
	v_mov_b32_e32 v5, 0
	s_and_saveexec_b32 s48, s31
	s_cbranch_execnz .LBB340_721
	s_branch .LBB340_722
.LBB340_844:
	s_mov_b32 s11, -1
	s_mov_b32 s10, 0
	s_mov_b32 s7, s0
	s_branch .LBB340_848
.LBB340_845:
	s_and_not1_saveexec_b32 s48, s48
	s_cbranch_execz .LBB340_733
.LBB340_846:
	v_add_f32_e32 v1, 0x42800000, v4
	s_and_not1_b32 s31, s31, exec_lo
	s_delay_alu instid0(VALU_DEP_1) | instskip(NEXT) | instid1(VALU_DEP_1)
	v_and_b32_e32 v1, 0xff, v1
	v_cmp_ne_u32_e32 vcc_lo, 0, v1
	s_and_b32 s49, vcc_lo, exec_lo
	s_delay_alu instid0(SALU_CYCLE_1)
	s_or_b32 s31, s31, s49
	s_or_b32 exec_lo, exec_lo, s48
	v_mov_b32_e32 v5, 0
	s_and_saveexec_b32 s48, s31
	s_cbranch_execnz .LBB340_734
	s_branch .LBB340_735
.LBB340_847:
	s_mov_b32 s7, -1
	s_mov_b32 s10, 0
.LBB340_848:
                                        ; implicit-def: $vgpr6
.LBB340_849:
	s_and_b32 vcc_lo, exec_lo, s11
	s_cbranch_vccz .LBB340_853
; %bb.850:
	s_cmp_eq_u32 s6, 44
	s_cbranch_scc0 .LBB340_852
; %bb.851:
	global_load_u8 v0, v[4:5], off
	s_mov_b32 s7, 0
	s_mov_b32 s10, -1
	s_wait_loadcnt 0x0
	v_lshlrev_b32_e32 v1, 23, v0
	v_cmp_ne_u32_e32 vcc_lo, 0, v0
	s_delay_alu instid0(VALU_DEP_2) | instskip(NEXT) | instid1(VALU_DEP_1)
	v_cvt_u32_f32_e32 v1, v1
	v_cndmask_b32_e32 v6, 0, v1, vcc_lo
	s_branch .LBB340_853
.LBB340_852:
	s_mov_b32 s7, -1
                                        ; implicit-def: $vgpr6
.LBB340_853:
	s_mov_b32 s11, 0
.LBB340_854:
	s_delay_alu instid0(SALU_CYCLE_1)
	s_and_b32 vcc_lo, exec_lo, s11
	s_cbranch_vccz .LBB340_858
; %bb.855:
	s_cmp_eq_u32 s6, 29
	s_cbranch_scc0 .LBB340_857
; %bb.856:
	s_wait_loadcnt 0x0
	global_load_b64 v[6:7], v[4:5], off
	s_mov_b32 s7, 0
	s_mov_b32 s10, -1
	s_branch .LBB340_858
.LBB340_857:
	s_mov_b32 s7, -1
                                        ; implicit-def: $vgpr6
.LBB340_858:
	s_mov_b32 s11, 0
.LBB340_859:
	s_delay_alu instid0(SALU_CYCLE_1)
	s_and_b32 vcc_lo, exec_lo, s11
	s_cbranch_vccz .LBB340_875
; %bb.860:
	s_cmp_lt_i32 s6, 27
	s_cbranch_scc1 .LBB340_863
; %bb.861:
	s_cmp_gt_i32 s6, 27
	s_cbranch_scc0 .LBB340_864
; %bb.862:
	s_wait_loadcnt 0x0
	global_load_b32 v6, v[4:5], off
	s_mov_b32 s10, 0
	s_branch .LBB340_865
.LBB340_863:
	s_mov_b32 s10, -1
                                        ; implicit-def: $vgpr6
	s_branch .LBB340_868
.LBB340_864:
	s_mov_b32 s10, -1
                                        ; implicit-def: $vgpr6
.LBB340_865:
	s_delay_alu instid0(SALU_CYCLE_1)
	s_and_not1_b32 vcc_lo, exec_lo, s10
	s_cbranch_vccnz .LBB340_867
; %bb.866:
	s_wait_loadcnt 0x0
	global_load_u16 v6, v[4:5], off
.LBB340_867:
	s_mov_b32 s10, 0
.LBB340_868:
	s_delay_alu instid0(SALU_CYCLE_1)
	s_and_not1_b32 vcc_lo, exec_lo, s10
	s_cbranch_vccnz .LBB340_874
; %bb.869:
	global_load_u8 v0, v[4:5], off
	s_mov_b32 s11, 0
	s_mov_b32 s10, exec_lo
	s_wait_loadcnt 0x0
	v_cmpx_lt_i16_e32 0x7f, v0
	s_xor_b32 s10, exec_lo, s10
	s_cbranch_execz .LBB340_886
; %bb.870:
	v_cmp_ne_u16_e32 vcc_lo, 0x80, v0
	s_and_b32 s11, vcc_lo, exec_lo
	s_and_not1_saveexec_b32 s10, s10
	s_cbranch_execnz .LBB340_887
.LBB340_871:
	s_or_b32 exec_lo, exec_lo, s10
	v_mov_b32_e32 v6, 0
	s_and_saveexec_b32 s10, s11
	s_cbranch_execz .LBB340_873
.LBB340_872:
	v_and_b32_e32 v1, 0xffff, v0
	s_delay_alu instid0(VALU_DEP_1) | instskip(SKIP_1) | instid1(VALU_DEP_2)
	v_and_b32_e32 v3, 7, v1
	v_bfe_u32 v8, v1, 3, 4
	v_clz_i32_u32_e32 v6, v3
	s_delay_alu instid0(VALU_DEP_2) | instskip(NEXT) | instid1(VALU_DEP_2)
	v_cmp_eq_u32_e32 vcc_lo, 0, v8
	v_min_u32_e32 v6, 32, v6
	s_delay_alu instid0(VALU_DEP_1) | instskip(NEXT) | instid1(VALU_DEP_1)
	v_subrev_nc_u32_e32 v7, 28, v6
	v_dual_lshlrev_b32 v1, v7, v1 :: v_dual_sub_nc_u32 v6, 29, v6
	s_delay_alu instid0(VALU_DEP_1) | instskip(NEXT) | instid1(VALU_DEP_1)
	v_dual_lshlrev_b32 v0, 24, v0 :: v_dual_bitop2_b32 v1, 7, v1 bitop3:0x40
	v_dual_cndmask_b32 v6, v8, v6 :: v_dual_cndmask_b32 v1, v3, v1
	s_delay_alu instid0(VALU_DEP_2) | instskip(NEXT) | instid1(VALU_DEP_2)
	v_and_b32_e32 v0, 0x80000000, v0
	v_lshl_add_u32 v3, v6, 23, 0x3b800000
	s_delay_alu instid0(VALU_DEP_3) | instskip(NEXT) | instid1(VALU_DEP_1)
	v_lshlrev_b32_e32 v1, 20, v1
	v_or3_b32 v0, v0, v3, v1
	s_delay_alu instid0(VALU_DEP_1)
	v_cvt_u32_f32_e32 v6, v0
.LBB340_873:
	s_or_b32 exec_lo, exec_lo, s10
.LBB340_874:
	s_mov_b32 s10, -1
.LBB340_875:
	s_mov_b32 s11, 0
.LBB340_876:
	s_delay_alu instid0(SALU_CYCLE_1)
	s_and_b32 vcc_lo, exec_lo, s11
	s_cbranch_vccz .LBB340_907
; %bb.877:
	s_cmp_gt_i32 s6, 22
	s_cbranch_scc0 .LBB340_885
; %bb.878:
	s_cmp_lt_i32 s6, 24
	s_cbranch_scc1 .LBB340_888
; %bb.879:
	s_cmp_gt_i32 s6, 24
	s_cbranch_scc0 .LBB340_889
; %bb.880:
	global_load_u8 v0, v[4:5], off
	s_mov_b32 s10, 0
	s_mov_b32 s8, exec_lo
	s_wait_loadcnt 0x0
	v_cmpx_lt_i16_e32 0x7f, v0
	s_xor_b32 s8, exec_lo, s8
	s_cbranch_execz .LBB340_901
; %bb.881:
	v_cmp_ne_u16_e32 vcc_lo, 0x80, v0
	s_and_b32 s10, vcc_lo, exec_lo
	s_and_not1_saveexec_b32 s8, s8
	s_cbranch_execnz .LBB340_902
.LBB340_882:
	s_or_b32 exec_lo, exec_lo, s8
	v_mov_b32_e32 v6, 0
	s_and_saveexec_b32 s8, s10
	s_cbranch_execz .LBB340_884
.LBB340_883:
	v_and_b32_e32 v1, 0xffff, v0
	s_delay_alu instid0(VALU_DEP_1) | instskip(SKIP_1) | instid1(VALU_DEP_2)
	v_and_b32_e32 v3, 3, v1
	v_bfe_u32 v8, v1, 2, 5
	v_clz_i32_u32_e32 v6, v3
	s_delay_alu instid0(VALU_DEP_2) | instskip(NEXT) | instid1(VALU_DEP_2)
	v_cmp_eq_u32_e32 vcc_lo, 0, v8
	v_min_u32_e32 v6, 32, v6
	s_delay_alu instid0(VALU_DEP_1) | instskip(NEXT) | instid1(VALU_DEP_1)
	v_subrev_nc_u32_e32 v7, 29, v6
	v_dual_lshlrev_b32 v1, v7, v1 :: v_dual_sub_nc_u32 v6, 30, v6
	s_delay_alu instid0(VALU_DEP_1) | instskip(NEXT) | instid1(VALU_DEP_1)
	v_dual_lshlrev_b32 v0, 24, v0 :: v_dual_bitop2_b32 v1, 3, v1 bitop3:0x40
	v_dual_cndmask_b32 v6, v8, v6 :: v_dual_cndmask_b32 v1, v3, v1
	s_delay_alu instid0(VALU_DEP_2) | instskip(NEXT) | instid1(VALU_DEP_2)
	v_and_b32_e32 v0, 0x80000000, v0
	v_lshl_add_u32 v3, v6, 23, 0x37800000
	s_delay_alu instid0(VALU_DEP_3) | instskip(NEXT) | instid1(VALU_DEP_1)
	v_lshlrev_b32_e32 v1, 21, v1
	v_or3_b32 v0, v0, v3, v1
	s_delay_alu instid0(VALU_DEP_1)
	v_cvt_u32_f32_e32 v6, v0
.LBB340_884:
	s_or_b32 exec_lo, exec_lo, s8
	s_mov_b32 s8, 0
	s_branch .LBB340_890
.LBB340_885:
	s_mov_b32 s8, -1
                                        ; implicit-def: $vgpr6
	s_branch .LBB340_896
.LBB340_886:
	s_and_not1_saveexec_b32 s10, s10
	s_cbranch_execz .LBB340_871
.LBB340_887:
	v_cmp_ne_u16_e32 vcc_lo, 0, v0
	s_and_not1_b32 s11, s11, exec_lo
	s_and_b32 s12, vcc_lo, exec_lo
	s_delay_alu instid0(SALU_CYCLE_1)
	s_or_b32 s11, s11, s12
	s_or_b32 exec_lo, exec_lo, s10
	v_mov_b32_e32 v6, 0
	s_and_saveexec_b32 s10, s11
	s_cbranch_execnz .LBB340_872
	s_branch .LBB340_873
.LBB340_888:
	s_mov_b32 s8, -1
                                        ; implicit-def: $vgpr6
	s_branch .LBB340_893
.LBB340_889:
	s_mov_b32 s8, -1
                                        ; implicit-def: $vgpr6
.LBB340_890:
	s_delay_alu instid0(SALU_CYCLE_1)
	s_and_b32 vcc_lo, exec_lo, s8
	s_cbranch_vccz .LBB340_892
; %bb.891:
	global_load_u8 v0, v[4:5], off
	s_wait_loadcnt 0x0
	v_lshlrev_b32_e32 v0, 24, v0
	s_delay_alu instid0(VALU_DEP_1) | instskip(NEXT) | instid1(VALU_DEP_1)
	v_and_b32_e32 v1, 0x7f000000, v0
	v_clz_i32_u32_e32 v3, v1
	v_add_nc_u32_e32 v7, 0x1000000, v1
	v_cmp_ne_u32_e32 vcc_lo, 0, v1
	s_delay_alu instid0(VALU_DEP_3) | instskip(NEXT) | instid1(VALU_DEP_1)
	v_min_u32_e32 v3, 32, v3
	v_sub_nc_u32_e64 v3, v3, 4 clamp
	s_delay_alu instid0(VALU_DEP_1) | instskip(NEXT) | instid1(VALU_DEP_1)
	v_dual_lshlrev_b32 v6, v3, v1 :: v_dual_lshlrev_b32 v3, 23, v3
	v_lshrrev_b32_e32 v6, 4, v6
	s_delay_alu instid0(VALU_DEP_1) | instskip(SKIP_1) | instid1(VALU_DEP_2)
	v_sub_nc_u32_e32 v3, v6, v3
	v_ashrrev_i32_e32 v6, 8, v7
	v_add_nc_u32_e32 v3, 0x3c000000, v3
	s_delay_alu instid0(VALU_DEP_1) | instskip(NEXT) | instid1(VALU_DEP_1)
	v_and_or_b32 v3, 0x7f800000, v6, v3
	v_cndmask_b32_e32 v1, 0, v3, vcc_lo
	s_delay_alu instid0(VALU_DEP_1) | instskip(NEXT) | instid1(VALU_DEP_1)
	v_and_or_b32 v0, 0x80000000, v0, v1
	v_cvt_u32_f32_e32 v6, v0
.LBB340_892:
	s_mov_b32 s8, 0
.LBB340_893:
	s_delay_alu instid0(SALU_CYCLE_1)
	s_and_not1_b32 vcc_lo, exec_lo, s8
	s_cbranch_vccnz .LBB340_895
; %bb.894:
	global_load_u8 v0, v[4:5], off
	s_wait_loadcnt 0x0
	v_lshlrev_b32_e32 v1, 25, v0
	v_lshlrev_b16 v0, 8, v0
	s_delay_alu instid0(VALU_DEP_1) | instskip(SKIP_1) | instid1(VALU_DEP_2)
	v_and_or_b32 v6, 0x7f00, v0, 0.5
	v_bfe_i32 v0, v0, 0, 16
	v_dual_add_f32 v6, -0.5, v6 :: v_dual_lshrrev_b32 v3, 4, v1
	v_cmp_gt_u32_e32 vcc_lo, 0x8000000, v1
	s_delay_alu instid0(VALU_DEP_2) | instskip(NEXT) | instid1(VALU_DEP_1)
	v_or_b32_e32 v3, 0x70000000, v3
	v_mul_f32_e32 v3, 0x7800000, v3
	s_delay_alu instid0(VALU_DEP_1) | instskip(NEXT) | instid1(VALU_DEP_1)
	v_cndmask_b32_e32 v1, v3, v6, vcc_lo
	v_and_or_b32 v0, 0x80000000, v0, v1
	s_delay_alu instid0(VALU_DEP_1)
	v_cvt_u32_f32_e32 v6, v0
.LBB340_895:
	s_mov_b32 s8, 0
	s_mov_b32 s10, -1
.LBB340_896:
	s_and_not1_b32 vcc_lo, exec_lo, s8
	s_mov_b32 s8, 0
	s_cbranch_vccnz .LBB340_907
; %bb.897:
	s_cmp_gt_i32 s6, 14
	s_cbranch_scc0 .LBB340_900
; %bb.898:
	s_cmp_eq_u32 s6, 15
	s_cbranch_scc0 .LBB340_903
; %bb.899:
	global_load_u16 v0, v[4:5], off
	s_mov_b32 s7, 0
	s_mov_b32 s10, -1
	s_wait_loadcnt 0x0
	v_lshlrev_b32_e32 v0, 16, v0
	s_delay_alu instid0(VALU_DEP_1)
	v_cvt_u32_f32_e32 v6, v0
	s_branch .LBB340_905
.LBB340_900:
	s_mov_b32 s8, -1
	s_branch .LBB340_904
.LBB340_901:
	s_and_not1_saveexec_b32 s8, s8
	s_cbranch_execz .LBB340_882
.LBB340_902:
	v_cmp_ne_u16_e32 vcc_lo, 0, v0
	s_and_not1_b32 s10, s10, exec_lo
	s_and_b32 s11, vcc_lo, exec_lo
	s_delay_alu instid0(SALU_CYCLE_1)
	s_or_b32 s10, s10, s11
	s_or_b32 exec_lo, exec_lo, s8
	v_mov_b32_e32 v6, 0
	s_and_saveexec_b32 s8, s10
	s_cbranch_execnz .LBB340_883
	s_branch .LBB340_884
.LBB340_903:
	s_mov_b32 s7, -1
.LBB340_904:
                                        ; implicit-def: $vgpr6
.LBB340_905:
	s_and_b32 vcc_lo, exec_lo, s8
	s_mov_b32 s8, 0
	s_cbranch_vccz .LBB340_907
; %bb.906:
	s_cmp_lg_u32 s6, 11
	s_mov_b32 s8, -1
	s_cselect_b32 s6, -1, 0
	s_and_not1_b32 s7, s7, exec_lo
	s_and_b32 s6, s6, exec_lo
	s_delay_alu instid0(SALU_CYCLE_1)
	s_or_b32 s7, s7, s6
.LBB340_907:
	s_mov_b32 s6, 0
.LBB340_908:
	s_delay_alu instid0(SALU_CYCLE_1)
	s_and_b32 s27, s6, exec_lo
	s_and_not1_b32 s6, s0, exec_lo
	s_and_b32 s7, s7, exec_lo
	s_and_b32 s28, s10, exec_lo
	;; [unrolled: 1-line block ×3, first 2 shown]
	s_or_b32 s29, s6, s7
.LBB340_909:
	s_wait_xcnt 0x0
	s_or_b32 exec_lo, exec_lo, s39
	s_delay_alu instid0(SALU_CYCLE_1)
	s_and_not1_b32 s0, s0, exec_lo
	s_and_b32 s6, s29, exec_lo
	s_and_b32 s28, s28, exec_lo
	;; [unrolled: 1-line block ×4, first 2 shown]
	s_or_b32 s0, s0, s6
.LBB340_910:
	s_or_b32 exec_lo, exec_lo, s31
	s_delay_alu instid0(SALU_CYCLE_1)
	s_and_not1_b32 s6, s45, exec_lo
	s_and_b32 s7, s30, exec_lo
	s_and_b32 s0, s0, exec_lo
	s_or_b32 s45, s6, s7
	s_and_not1_b32 s6, s44, exec_lo
	s_and_b32 s28, s28, exec_lo
	s_and_b32 s27, s27, exec_lo
	;; [unrolled: 1-line block ×3, first 2 shown]
	s_or_b32 s44, s6, s0
.LBB340_911:
	s_or_b32 exec_lo, exec_lo, s46
	s_delay_alu instid0(SALU_CYCLE_1)
	s_and_not1_b32 s0, s20, exec_lo
	s_and_b32 s6, s45, exec_lo
	s_and_b32 s7, s44, exec_lo
	s_or_b32 s20, s0, s6
	s_and_not1_b32 s6, s42, exec_lo
	s_and_b32 s0, s28, exec_lo
	s_and_b32 s27, s27, exec_lo
	;; [unrolled: 1-line block ×3, first 2 shown]
	s_or_b32 s42, s6, s7
	s_or_b32 exec_lo, exec_lo, s43
	s_mov_b32 s6, 0
	s_and_saveexec_b32 s7, s42
	s_cbranch_execz .LBB340_272
.LBB340_912:
	s_mov_b32 s6, exec_lo
	s_and_not1_b32 s19, s19, exec_lo
	s_trap 2
	s_or_b32 exec_lo, exec_lo, s7
	s_and_saveexec_b32 s7, s19
	s_delay_alu instid0(SALU_CYCLE_1)
	s_xor_b32 s7, exec_lo, s7
	s_cbranch_execnz .LBB340_273
.LBB340_913:
	s_or_b32 exec_lo, exec_lo, s7
	s_and_saveexec_b32 s7, s27
	s_cbranch_execz .LBB340_959
.LBB340_914:
	s_sext_i32_i16 s8, s37
	s_delay_alu instid0(SALU_CYCLE_1)
	s_cmp_lt_i32 s8, 5
	s_cbranch_scc1 .LBB340_919
; %bb.915:
	s_cmp_lt_i32 s8, 8
	s_cbranch_scc1 .LBB340_920
; %bb.916:
	;; [unrolled: 3-line block ×3, first 2 shown]
	s_cmp_gt_i32 s8, 9
	s_cbranch_scc0 .LBB340_922
; %bb.918:
	global_load_b64 v[0:1], v[4:5], off
	s_mov_b32 s8, 0
	s_wait_loadcnt 0x0
	v_cvt_u32_f64_e32 v6, v[0:1]
	s_branch .LBB340_923
.LBB340_919:
                                        ; implicit-def: $vgpr6
	s_branch .LBB340_940
.LBB340_920:
                                        ; implicit-def: $vgpr6
	s_branch .LBB340_929
.LBB340_921:
	s_mov_b32 s8, -1
                                        ; implicit-def: $vgpr6
	s_branch .LBB340_926
.LBB340_922:
	s_mov_b32 s8, -1
                                        ; implicit-def: $vgpr6
.LBB340_923:
	s_delay_alu instid0(SALU_CYCLE_1)
	s_and_not1_b32 vcc_lo, exec_lo, s8
	s_cbranch_vccnz .LBB340_925
; %bb.924:
	global_load_b32 v0, v[4:5], off
	s_wait_loadcnt 0x0
	v_cvt_u32_f32_e32 v6, v0
.LBB340_925:
	s_mov_b32 s8, 0
.LBB340_926:
	s_delay_alu instid0(SALU_CYCLE_1)
	s_and_not1_b32 vcc_lo, exec_lo, s8
	s_cbranch_vccnz .LBB340_928
; %bb.927:
	global_load_b32 v0, v[4:5], off
	s_wait_loadcnt 0x0
	v_cvt_u16_f16_e32 v6, v0
.LBB340_928:
	s_cbranch_execnz .LBB340_939
.LBB340_929:
	s_sext_i32_i16 s8, s37
	s_delay_alu instid0(SALU_CYCLE_1)
	s_cmp_lt_i32 s8, 6
	s_cbranch_scc1 .LBB340_932
; %bb.930:
	s_cmp_gt_i32 s8, 6
	s_cbranch_scc0 .LBB340_933
; %bb.931:
	global_load_b64 v[0:1], v[4:5], off
	s_mov_b32 s8, 0
	s_wait_loadcnt 0x0
	v_cvt_u32_f64_e32 v6, v[0:1]
	s_branch .LBB340_934
.LBB340_932:
	s_mov_b32 s8, -1
                                        ; implicit-def: $vgpr6
	s_branch .LBB340_937
.LBB340_933:
	s_mov_b32 s8, -1
                                        ; implicit-def: $vgpr6
.LBB340_934:
	s_delay_alu instid0(SALU_CYCLE_1)
	s_and_not1_b32 vcc_lo, exec_lo, s8
	s_cbranch_vccnz .LBB340_936
; %bb.935:
	global_load_b32 v0, v[4:5], off
	s_wait_loadcnt 0x0
	v_cvt_u32_f32_e32 v6, v0
.LBB340_936:
	s_mov_b32 s8, 0
.LBB340_937:
	s_delay_alu instid0(SALU_CYCLE_1)
	s_and_not1_b32 vcc_lo, exec_lo, s8
	s_cbranch_vccnz .LBB340_939
; %bb.938:
	global_load_u16 v0, v[4:5], off
	s_wait_loadcnt 0x0
	v_cvt_u16_f16_e32 v6, v0
.LBB340_939:
	s_cbranch_execnz .LBB340_958
.LBB340_940:
	s_sext_i32_i16 s8, s37
	s_delay_alu instid0(SALU_CYCLE_1)
	s_cmp_lt_i32 s8, 2
	s_cbranch_scc1 .LBB340_944
; %bb.941:
	s_cmp_lt_i32 s8, 3
	s_cbranch_scc1 .LBB340_945
; %bb.942:
	s_cmp_gt_i32 s8, 3
	s_cbranch_scc0 .LBB340_946
; %bb.943:
	s_wait_loadcnt 0x0
	global_load_b64 v[6:7], v[4:5], off
	s_mov_b32 s8, 0
	s_branch .LBB340_947
.LBB340_944:
                                        ; implicit-def: $vgpr6
	s_branch .LBB340_953
.LBB340_945:
	s_mov_b32 s8, -1
                                        ; implicit-def: $vgpr6
	s_branch .LBB340_950
.LBB340_946:
	s_mov_b32 s8, -1
                                        ; implicit-def: $vgpr6
.LBB340_947:
	s_delay_alu instid0(SALU_CYCLE_1)
	s_and_not1_b32 vcc_lo, exec_lo, s8
	s_cbranch_vccnz .LBB340_949
; %bb.948:
	s_wait_loadcnt 0x0
	global_load_b32 v6, v[4:5], off
.LBB340_949:
	s_mov_b32 s8, 0
.LBB340_950:
	s_delay_alu instid0(SALU_CYCLE_1)
	s_and_not1_b32 vcc_lo, exec_lo, s8
	s_cbranch_vccnz .LBB340_952
; %bb.951:
	s_wait_loadcnt 0x0
	global_load_u16 v6, v[4:5], off
.LBB340_952:
	s_cbranch_execnz .LBB340_958
.LBB340_953:
	s_sext_i32_i16 s8, s37
	s_delay_alu instid0(SALU_CYCLE_1)
	s_cmp_gt_i32 s8, 0
	s_mov_b32 s8, 0
	s_cbranch_scc0 .LBB340_955
; %bb.954:
	s_wait_loadcnt 0x0
	global_load_i8 v6, v[4:5], off
	s_branch .LBB340_956
.LBB340_955:
	s_mov_b32 s8, -1
                                        ; implicit-def: $vgpr6
.LBB340_956:
	s_delay_alu instid0(SALU_CYCLE_1)
	s_and_not1_b32 vcc_lo, exec_lo, s8
	s_cbranch_vccnz .LBB340_958
; %bb.957:
	s_wait_loadcnt 0x0
	global_load_u8 v6, v[4:5], off
.LBB340_958:
	s_or_b32 s0, s0, exec_lo
.LBB340_959:
	s_wait_xcnt 0x0
	s_or_b32 exec_lo, exec_lo, s7
	s_mov_b32 s12, 0
	s_mov_b32 s11, 0
                                        ; implicit-def: $sgpr7
                                        ; implicit-def: $sgpr8
                                        ; implicit-def: $vgpr0_vgpr1
	s_and_saveexec_b32 s10, s0
	s_cbranch_execz .LBB340_967
; %bb.960:
	v_mov_b32_e32 v3, 0
	s_wait_loadcnt 0x0
	s_delay_alu instid0(VALU_DEP_2) | instskip(SKIP_1) | instid1(VALU_DEP_2)
	v_cmp_ne_u16_e32 vcc_lo, s1, v6
	s_and_b32 s8, s2, 0xff
	v_add_nc_u64_e32 v[0:1], s[4:5], v[2:3]
	s_xor_b32 s7, s9, vcc_lo
	s_cmp_lt_i32 s8, 11
	s_cbranch_scc1 .LBB340_970
; %bb.961:
	s_and_b32 s1, 0xffff, s8
	s_mov_b32 s2, -1
	s_cmp_gt_i32 s1, 25
	s_mov_b32 s0, s20
	s_cbranch_scc0 .LBB340_998
; %bb.962:
	s_cmp_gt_i32 s1, 28
	s_mov_b32 s0, s20
	s_cbranch_scc0 .LBB340_982
; %bb.963:
	;; [unrolled: 4-line block ×4, first 2 shown]
	s_cmp_eq_u32 s1, 46
	s_mov_b32 s0, -1
	s_cbranch_scc0 .LBB340_971
; %bb.966:
	v_cndmask_b32_e64 v2, 0, 1.0, s7
	s_mov_b32 s0, 0
	s_mov_b32 s2, 0
	s_delay_alu instid0(VALU_DEP_1) | instskip(NEXT) | instid1(VALU_DEP_1)
	v_bfe_u32 v3, v2, 16, 1
	v_add3_u32 v2, v2, v3, 0x7fff
	s_delay_alu instid0(VALU_DEP_1)
	v_lshrrev_b32_e32 v2, 16, v2
	global_store_b32 v[0:1], v2, off
	s_branch .LBB340_972
.LBB340_967:
	s_or_b32 exec_lo, exec_lo, s10
	s_and_saveexec_b32 s0, s20
	s_cbranch_execnz .LBB340_1040
.LBB340_968:
	s_or_b32 exec_lo, exec_lo, s0
	s_and_saveexec_b32 s0, s12
	s_delay_alu instid0(SALU_CYCLE_1)
	s_xor_b32 s0, exec_lo, s0
	s_cbranch_execz .LBB340_1041
.LBB340_969:
	v_cndmask_b32_e64 v2, 0, 1, s7
	global_store_b8 v[0:1], v2, off
	s_wait_xcnt 0x0
	s_or_b32 exec_lo, exec_lo, s0
	s_and_saveexec_b32 s0, s11
	s_delay_alu instid0(SALU_CYCLE_1)
	s_xor_b32 s0, exec_lo, s0
	s_cbranch_execz .LBB340_1079
	s_branch .LBB340_1042
.LBB340_970:
	s_mov_b32 s4, 0
	s_mov_b32 s2, -1
	s_mov_b32 s0, s20
	s_branch .LBB340_1039
.LBB340_971:
	s_mov_b32 s2, 0
.LBB340_972:
	s_delay_alu instid0(SALU_CYCLE_1)
	s_and_b32 vcc_lo, exec_lo, s2
	s_cbranch_vccz .LBB340_977
; %bb.973:
	s_cmp_eq_u32 s1, 44
	s_mov_b32 s0, -1
	s_cbranch_scc0 .LBB340_977
; %bb.974:
	v_cndmask_b32_e64 v4, 0, 1.0, s7
	s_mov_b32 s2, exec_lo
	s_wait_xcnt 0x0
	s_delay_alu instid0(VALU_DEP_1) | instskip(NEXT) | instid1(VALU_DEP_1)
	v_dual_mov_b32 v3, 0xff :: v_dual_lshrrev_b32 v2, 23, v4
	v_cmpx_ne_u32_e32 0xff, v2
; %bb.975:
	v_and_b32_e32 v3, 0x400000, v4
	v_and_or_b32 v4, 0x3fffff, v4, v2
	s_delay_alu instid0(VALU_DEP_2) | instskip(NEXT) | instid1(VALU_DEP_2)
	v_cmp_ne_u32_e32 vcc_lo, 0, v3
	v_cmp_ne_u32_e64 s0, 0, v4
	s_and_b32 s0, vcc_lo, s0
	s_delay_alu instid0(SALU_CYCLE_1) | instskip(NEXT) | instid1(VALU_DEP_1)
	v_cndmask_b32_e64 v3, 0, 1, s0
	v_add_nc_u32_e32 v3, v2, v3
; %bb.976:
	s_or_b32 exec_lo, exec_lo, s2
	s_mov_b32 s0, 0
	global_store_b8 v[0:1], v3, off
.LBB340_977:
	s_mov_b32 s2, 0
.LBB340_978:
	s_delay_alu instid0(SALU_CYCLE_1)
	s_and_b32 vcc_lo, exec_lo, s2
	s_cbranch_vccz .LBB340_981
; %bb.979:
	s_cmp_eq_u32 s1, 29
	s_mov_b32 s0, -1
	s_cbranch_scc0 .LBB340_981
; %bb.980:
	s_mov_b32 s0, 0
	s_wait_xcnt 0x0
	v_cndmask_b32_e64 v2, 0, 1, s7
	v_mov_b32_e32 v3, s0
	s_mov_b32 s2, 0
	global_store_b64 v[0:1], v[2:3], off
	s_branch .LBB340_982
.LBB340_981:
	s_mov_b32 s2, 0
.LBB340_982:
	s_delay_alu instid0(SALU_CYCLE_1)
	s_and_b32 vcc_lo, exec_lo, s2
	s_cbranch_vccz .LBB340_997
; %bb.983:
	s_cmp_lt_i32 s1, 27
	s_mov_b32 s2, -1
	s_cbranch_scc1 .LBB340_989
; %bb.984:
	s_cmp_gt_i32 s1, 27
	s_cbranch_scc0 .LBB340_986
; %bb.985:
	s_wait_xcnt 0x0
	v_cndmask_b32_e64 v2, 0, 1, s7
	s_mov_b32 s2, 0
	global_store_b32 v[0:1], v2, off
.LBB340_986:
	s_and_not1_b32 vcc_lo, exec_lo, s2
	s_cbranch_vccnz .LBB340_988
; %bb.987:
	s_wait_xcnt 0x0
	v_cndmask_b32_e64 v2, 0, 1, s7
	global_store_b16 v[0:1], v2, off
.LBB340_988:
	s_mov_b32 s2, 0
.LBB340_989:
	s_delay_alu instid0(SALU_CYCLE_1)
	s_and_not1_b32 vcc_lo, exec_lo, s2
	s_cbranch_vccnz .LBB340_997
; %bb.990:
	s_wait_xcnt 0x0
	v_cndmask_b32_e64 v3, 0, 1.0, s7
	v_mov_b32_e32 v4, 0x80
	s_mov_b32 s2, exec_lo
	s_delay_alu instid0(VALU_DEP_2)
	v_cmpx_gt_u32_e32 0x43800000, v3
	s_cbranch_execz .LBB340_996
; %bb.991:
	s_mov_b32 s4, 0
	s_mov_b32 s5, exec_lo
                                        ; implicit-def: $vgpr2
	v_cmpx_lt_u32_e32 0x3bffffff, v3
	s_xor_b32 s5, exec_lo, s5
	s_cbranch_execz .LBB340_1154
; %bb.992:
	v_bfe_u32 v2, v3, 20, 1
	s_mov_b32 s4, exec_lo
	s_delay_alu instid0(VALU_DEP_1) | instskip(NEXT) | instid1(VALU_DEP_1)
	v_add3_u32 v2, v3, v2, 0x487ffff
                                        ; implicit-def: $vgpr3
	v_lshrrev_b32_e32 v2, 20, v2
	s_and_not1_saveexec_b32 s5, s5
	s_cbranch_execnz .LBB340_1155
.LBB340_993:
	s_or_b32 exec_lo, exec_lo, s5
	v_mov_b32_e32 v4, 0
	s_and_saveexec_b32 s5, s4
.LBB340_994:
	v_mov_b32_e32 v4, v2
.LBB340_995:
	s_or_b32 exec_lo, exec_lo, s5
.LBB340_996:
	s_delay_alu instid0(SALU_CYCLE_1)
	s_or_b32 exec_lo, exec_lo, s2
	global_store_b8 v[0:1], v4, off
.LBB340_997:
	s_mov_b32 s2, 0
.LBB340_998:
	s_delay_alu instid0(SALU_CYCLE_1)
	s_and_b32 vcc_lo, exec_lo, s2
	s_mov_b32 s2, 0
	s_cbranch_vccz .LBB340_1038
; %bb.999:
	s_cmp_gt_i32 s1, 22
	s_mov_b32 s4, -1
	s_cbranch_scc0 .LBB340_1031
; %bb.1000:
	s_cmp_lt_i32 s1, 24
	s_cbranch_scc1 .LBB340_1020
; %bb.1001:
	s_cmp_gt_i32 s1, 24
	s_cbranch_scc0 .LBB340_1009
; %bb.1002:
	s_wait_xcnt 0x0
	v_cndmask_b32_e64 v3, 0, 1.0, s7
	v_mov_b32_e32 v4, 0x80
	s_mov_b32 s4, exec_lo
	s_delay_alu instid0(VALU_DEP_2)
	v_cmpx_gt_u32_e32 0x47800000, v3
	s_cbranch_execz .LBB340_1008
; %bb.1003:
	s_mov_b32 s5, 0
	s_mov_b32 s9, exec_lo
                                        ; implicit-def: $vgpr2
	v_cmpx_lt_u32_e32 0x37ffffff, v3
	s_xor_b32 s9, exec_lo, s9
	s_cbranch_execz .LBB340_1275
; %bb.1004:
	v_bfe_u32 v2, v3, 21, 1
	s_mov_b32 s5, exec_lo
	s_delay_alu instid0(VALU_DEP_1) | instskip(NEXT) | instid1(VALU_DEP_1)
	v_add3_u32 v2, v3, v2, 0x88fffff
                                        ; implicit-def: $vgpr3
	v_lshrrev_b32_e32 v2, 21, v2
	s_and_not1_saveexec_b32 s9, s9
	s_cbranch_execnz .LBB340_1276
.LBB340_1005:
	s_or_b32 exec_lo, exec_lo, s9
	v_mov_b32_e32 v4, 0
	s_and_saveexec_b32 s9, s5
.LBB340_1006:
	v_mov_b32_e32 v4, v2
.LBB340_1007:
	s_or_b32 exec_lo, exec_lo, s9
.LBB340_1008:
	s_delay_alu instid0(SALU_CYCLE_1)
	s_or_b32 exec_lo, exec_lo, s4
	s_mov_b32 s4, 0
	global_store_b8 v[0:1], v4, off
.LBB340_1009:
	s_and_b32 vcc_lo, exec_lo, s4
	s_cbranch_vccz .LBB340_1019
; %bb.1010:
	s_wait_xcnt 0x0
	v_cndmask_b32_e64 v3, 0, 1.0, s7
	s_mov_b32 s4, exec_lo
                                        ; implicit-def: $vgpr2
	s_delay_alu instid0(VALU_DEP_1)
	v_cmpx_gt_u32_e32 0x43f00000, v3
	s_xor_b32 s4, exec_lo, s4
	s_cbranch_execz .LBB340_1016
; %bb.1011:
	s_mov_b32 s5, exec_lo
                                        ; implicit-def: $vgpr2
	v_cmpx_lt_u32_e32 0x3c7fffff, v3
	s_xor_b32 s5, exec_lo, s5
; %bb.1012:
	v_bfe_u32 v2, v3, 20, 1
	s_delay_alu instid0(VALU_DEP_1) | instskip(NEXT) | instid1(VALU_DEP_1)
	v_add3_u32 v2, v3, v2, 0x407ffff
	v_and_b32_e32 v3, 0xff00000, v2
	v_lshrrev_b32_e32 v2, 20, v2
	s_delay_alu instid0(VALU_DEP_2) | instskip(NEXT) | instid1(VALU_DEP_2)
	v_cmp_ne_u32_e32 vcc_lo, 0x7f00000, v3
                                        ; implicit-def: $vgpr3
	v_cndmask_b32_e32 v2, 0x7e, v2, vcc_lo
; %bb.1013:
	s_and_not1_saveexec_b32 s5, s5
; %bb.1014:
	v_add_f32_e32 v2, 0x46800000, v3
; %bb.1015:
	s_or_b32 exec_lo, exec_lo, s5
                                        ; implicit-def: $vgpr3
.LBB340_1016:
	s_and_not1_saveexec_b32 s4, s4
; %bb.1017:
	v_mov_b32_e32 v2, 0x7f
	v_cmp_lt_u32_e32 vcc_lo, 0x7f800000, v3
	s_delay_alu instid0(VALU_DEP_2)
	v_cndmask_b32_e32 v2, 0x7e, v2, vcc_lo
; %bb.1018:
	s_or_b32 exec_lo, exec_lo, s4
	global_store_b8 v[0:1], v2, off
.LBB340_1019:
	s_mov_b32 s4, 0
.LBB340_1020:
	s_delay_alu instid0(SALU_CYCLE_1)
	s_and_not1_b32 vcc_lo, exec_lo, s4
	s_cbranch_vccnz .LBB340_1030
; %bb.1021:
	s_wait_xcnt 0x0
	v_cndmask_b32_e64 v3, 0, 1.0, s7
	s_mov_b32 s4, exec_lo
                                        ; implicit-def: $vgpr2
	s_delay_alu instid0(VALU_DEP_1)
	v_cmpx_gt_u32_e32 0x47800000, v3
	s_xor_b32 s4, exec_lo, s4
	s_cbranch_execz .LBB340_1027
; %bb.1022:
	s_mov_b32 s5, exec_lo
                                        ; implicit-def: $vgpr2
	v_cmpx_lt_u32_e32 0x387fffff, v3
	s_xor_b32 s5, exec_lo, s5
; %bb.1023:
	v_bfe_u32 v2, v3, 21, 1
	s_delay_alu instid0(VALU_DEP_1) | instskip(NEXT) | instid1(VALU_DEP_1)
	v_add3_u32 v2, v3, v2, 0x80fffff
                                        ; implicit-def: $vgpr3
	v_lshrrev_b32_e32 v2, 21, v2
; %bb.1024:
	s_and_not1_saveexec_b32 s5, s5
; %bb.1025:
	v_add_f32_e32 v2, 0x43000000, v3
; %bb.1026:
	s_or_b32 exec_lo, exec_lo, s5
                                        ; implicit-def: $vgpr3
.LBB340_1027:
	s_and_not1_saveexec_b32 s4, s4
; %bb.1028:
	v_mov_b32_e32 v2, 0x7f
	v_cmp_lt_u32_e32 vcc_lo, 0x7f800000, v3
	s_delay_alu instid0(VALU_DEP_2)
	v_cndmask_b32_e32 v2, 0x7c, v2, vcc_lo
; %bb.1029:
	s_or_b32 exec_lo, exec_lo, s4
	global_store_b8 v[0:1], v2, off
.LBB340_1030:
	s_mov_b32 s4, 0
.LBB340_1031:
	s_delay_alu instid0(SALU_CYCLE_1)
	s_and_not1_b32 vcc_lo, exec_lo, s4
	s_mov_b32 s4, 0
	s_cbranch_vccnz .LBB340_1039
; %bb.1032:
	s_cmp_gt_i32 s1, 14
	s_mov_b32 s4, -1
	s_cbranch_scc0 .LBB340_1036
; %bb.1033:
	s_cmp_eq_u32 s1, 15
	s_mov_b32 s0, -1
	s_cbranch_scc0 .LBB340_1035
; %bb.1034:
	s_wait_xcnt 0x0
	v_cndmask_b32_e64 v2, 0, 1.0, s7
	s_mov_b32 s0, 0
	s_delay_alu instid0(VALU_DEP_1) | instskip(NEXT) | instid1(VALU_DEP_1)
	v_bfe_u32 v3, v2, 16, 1
	v_add3_u32 v2, v2, v3, 0x7fff
	global_store_d16_hi_b16 v[0:1], v2, off
.LBB340_1035:
	s_mov_b32 s4, 0
.LBB340_1036:
	s_delay_alu instid0(SALU_CYCLE_1)
	s_and_b32 vcc_lo, exec_lo, s4
	s_mov_b32 s4, 0
	s_cbranch_vccz .LBB340_1039
; %bb.1037:
	s_cmp_lg_u32 s1, 11
	s_mov_b32 s4, -1
	s_cselect_b32 s1, -1, 0
	s_and_not1_b32 s0, s0, exec_lo
	s_and_b32 s1, s1, exec_lo
	s_delay_alu instid0(SALU_CYCLE_1)
	s_or_b32 s0, s0, s1
	s_branch .LBB340_1039
.LBB340_1038:
	s_mov_b32 s4, 0
.LBB340_1039:
	s_and_not1_b32 s1, s20, exec_lo
	s_and_b32 s0, s0, exec_lo
	s_and_b32 s11, s2, exec_lo
	;; [unrolled: 1-line block ×3, first 2 shown]
	s_or_b32 s20, s1, s0
	s_wait_xcnt 0x0
	s_or_b32 exec_lo, exec_lo, s10
	s_and_saveexec_b32 s0, s20
	s_cbranch_execz .LBB340_968
.LBB340_1040:
	s_or_b32 s6, s6, exec_lo
	s_and_not1_b32 s12, s12, exec_lo
	s_trap 2
	s_or_b32 exec_lo, exec_lo, s0
	s_and_saveexec_b32 s0, s12
	s_delay_alu instid0(SALU_CYCLE_1)
	s_xor_b32 s0, exec_lo, s0
	s_cbranch_execnz .LBB340_969
.LBB340_1041:
	s_or_b32 exec_lo, exec_lo, s0
	s_and_saveexec_b32 s0, s11
	s_delay_alu instid0(SALU_CYCLE_1)
	s_xor_b32 s0, exec_lo, s0
	s_cbranch_execz .LBB340_1079
.LBB340_1042:
	s_sext_i32_i16 s2, s8
	s_mov_b32 s1, -1
	s_cmp_lt_i32 s2, 5
	s_cbranch_scc1 .LBB340_1063
; %bb.1043:
	s_cmp_lt_i32 s2, 8
	s_cbranch_scc1 .LBB340_1053
; %bb.1044:
	;; [unrolled: 3-line block ×3, first 2 shown]
	s_cmp_gt_i32 s2, 9
	s_cbranch_scc0 .LBB340_1047
; %bb.1046:
	v_cndmask_b32_e64 v2, 0, 1, s7
	v_mov_b32_e32 v4, 0
	s_mov_b32 s1, 0
	s_delay_alu instid0(VALU_DEP_2) | instskip(NEXT) | instid1(VALU_DEP_2)
	v_cvt_f64_u32_e32 v[2:3], v2
	v_mov_b32_e32 v5, v4
	global_store_b128 v[0:1], v[2:5], off
.LBB340_1047:
	s_and_not1_b32 vcc_lo, exec_lo, s1
	s_cbranch_vccnz .LBB340_1049
; %bb.1048:
	s_wait_xcnt 0x0
	v_cndmask_b32_e64 v2, 0, 1.0, s7
	v_mov_b32_e32 v3, 0
	global_store_b64 v[0:1], v[2:3], off
.LBB340_1049:
	s_mov_b32 s1, 0
.LBB340_1050:
	s_delay_alu instid0(SALU_CYCLE_1)
	s_and_not1_b32 vcc_lo, exec_lo, s1
	s_cbranch_vccnz .LBB340_1052
; %bb.1051:
	s_wait_xcnt 0x0
	v_cndmask_b32_e64 v2, 0, 1.0, s7
	s_delay_alu instid0(VALU_DEP_1) | instskip(NEXT) | instid1(VALU_DEP_1)
	v_cvt_f16_f32_e32 v2, v2
	v_and_b32_e32 v2, 0xffff, v2
	global_store_b32 v[0:1], v2, off
.LBB340_1052:
	s_mov_b32 s1, 0
.LBB340_1053:
	s_delay_alu instid0(SALU_CYCLE_1)
	s_and_not1_b32 vcc_lo, exec_lo, s1
	s_cbranch_vccnz .LBB340_1062
; %bb.1054:
	s_sext_i32_i16 s2, s8
	s_mov_b32 s1, -1
	s_cmp_lt_i32 s2, 6
	s_cbranch_scc1 .LBB340_1060
; %bb.1055:
	s_cmp_gt_i32 s2, 6
	s_cbranch_scc0 .LBB340_1057
; %bb.1056:
	s_wait_xcnt 0x0
	v_cndmask_b32_e64 v2, 0, 1, s7
	s_mov_b32 s1, 0
	s_delay_alu instid0(VALU_DEP_1)
	v_cvt_f64_u32_e32 v[2:3], v2
	global_store_b64 v[0:1], v[2:3], off
.LBB340_1057:
	s_and_not1_b32 vcc_lo, exec_lo, s1
	s_cbranch_vccnz .LBB340_1059
; %bb.1058:
	s_wait_xcnt 0x0
	v_cndmask_b32_e64 v2, 0, 1.0, s7
	global_store_b32 v[0:1], v2, off
.LBB340_1059:
	s_mov_b32 s1, 0
.LBB340_1060:
	s_delay_alu instid0(SALU_CYCLE_1)
	s_and_not1_b32 vcc_lo, exec_lo, s1
	s_cbranch_vccnz .LBB340_1062
; %bb.1061:
	s_wait_xcnt 0x0
	v_cndmask_b32_e64 v2, 0, 1.0, s7
	s_delay_alu instid0(VALU_DEP_1)
	v_cvt_f16_f32_e32 v2, v2
	global_store_b16 v[0:1], v2, off
.LBB340_1062:
	s_mov_b32 s1, 0
.LBB340_1063:
	s_delay_alu instid0(SALU_CYCLE_1)
	s_and_not1_b32 vcc_lo, exec_lo, s1
	s_cbranch_vccnz .LBB340_1079
; %bb.1064:
	s_sext_i32_i16 s2, s8
	s_mov_b32 s1, -1
	s_cmp_lt_i32 s2, 2
	s_cbranch_scc1 .LBB340_1074
; %bb.1065:
	s_cmp_lt_i32 s2, 3
	s_cbranch_scc1 .LBB340_1071
; %bb.1066:
	s_cmp_gt_i32 s2, 3
	s_cbranch_scc0 .LBB340_1068
; %bb.1067:
	s_mov_b32 s1, 0
	s_wait_xcnt 0x0
	v_cndmask_b32_e64 v2, 0, 1, s7
	v_mov_b32_e32 v3, s1
	global_store_b64 v[0:1], v[2:3], off
.LBB340_1068:
	s_and_not1_b32 vcc_lo, exec_lo, s1
	s_cbranch_vccnz .LBB340_1070
; %bb.1069:
	s_wait_xcnt 0x0
	v_cndmask_b32_e64 v2, 0, 1, s7
	global_store_b32 v[0:1], v2, off
.LBB340_1070:
	s_mov_b32 s1, 0
.LBB340_1071:
	s_delay_alu instid0(SALU_CYCLE_1)
	s_and_not1_b32 vcc_lo, exec_lo, s1
	s_cbranch_vccnz .LBB340_1073
; %bb.1072:
	s_wait_xcnt 0x0
	v_cndmask_b32_e64 v2, 0, 1, s7
	global_store_b16 v[0:1], v2, off
.LBB340_1073:
	s_mov_b32 s1, 0
.LBB340_1074:
	s_delay_alu instid0(SALU_CYCLE_1)
	s_and_not1_b32 vcc_lo, exec_lo, s1
	s_cbranch_vccnz .LBB340_1079
; %bb.1075:
	s_sext_i32_i16 s1, s8
	s_delay_alu instid0(SALU_CYCLE_1)
	s_cmp_gt_i32 s1, 0
	s_mov_b32 s1, -1
	s_cbranch_scc0 .LBB340_1077
; %bb.1076:
	s_wait_xcnt 0x0
	v_cndmask_b32_e64 v2, 0, 1, s7
	s_mov_b32 s1, 0
	global_store_b8 v[0:1], v2, off
.LBB340_1077:
	s_and_not1_b32 vcc_lo, exec_lo, s1
	s_cbranch_vccnz .LBB340_1079
; %bb.1078:
	s_wait_xcnt 0x0
	v_cndmask_b32_e64 v2, 0, 1, s7
	global_store_b8 v[0:1], v2, off
.LBB340_1079:
	s_wait_xcnt 0x0
	s_or_b32 exec_lo, exec_lo, s0
	s_delay_alu instid0(SALU_CYCLE_1)
	s_and_b32 s8, s6, exec_lo
                                        ; implicit-def: $vgpr9
                                        ; implicit-def: $vgpr0
.LBB340_1080:
	s_or_saveexec_b32 s9, s36
	s_mov_b32 s0, 0
                                        ; implicit-def: $sgpr1
                                        ; implicit-def: $vgpr2_vgpr3
                                        ; implicit-def: $sgpr2
	s_xor_b32 exec_lo, exec_lo, s9
	s_cbranch_execz .LBB340_2074
; %bb.1081:
	v_cndmask_b32_e64 v1, 0, 1, s35
	s_and_not1_b32 vcc_lo, exec_lo, s35
	s_cbranch_vccnz .LBB340_1087
; %bb.1082:
	s_cmp_lg_u32 s33, 0
	s_mov_b32 s6, 0
	s_cbranch_scc0 .LBB340_1088
; %bb.1083:
	s_min_u32 s1, s34, 15
	s_delay_alu instid0(SALU_CYCLE_1)
	s_add_co_i32 s1, s1, 1
	s_cmp_eq_u32 s34, 2
	s_cbranch_scc1 .LBB340_1089
; %bb.1084:
	s_wait_loadcnt 0x0
	v_dual_mov_b32 v6, 0 :: v_dual_mov_b32 v14, 0
	v_mov_b32_e32 v2, v0
	s_and_b32 s0, s1, 28
	s_add_nc_u64 s[2:3], s[16:17], 0xc4
	s_mov_b32 s7, 0
	s_mov_b64 s[4:5], s[16:17]
.LBB340_1085:                           ; =>This Inner Loop Header: Depth=1
	s_clause 0x1
	s_load_b256 s[20:27], s[4:5], 0x4
	s_load_b128 s[12:15], s[4:5], 0x24
	s_load_b256 s[36:43], s[2:3], 0x0
	s_add_co_i32 s7, s7, 4
	s_wait_xcnt 0x0
	s_add_nc_u64 s[4:5], s[4:5], 48
	s_cmp_lg_u32 s0, s7
	s_add_nc_u64 s[2:3], s[2:3], 32
	s_wait_kmcnt 0x0
	v_mul_hi_u32 v3, s21, v2
	s_delay_alu instid0(VALU_DEP_1) | instskip(NEXT) | instid1(VALU_DEP_1)
	v_add_nc_u32_e32 v3, v2, v3
	v_lshrrev_b32_e32 v3, s22, v3
	s_delay_alu instid0(VALU_DEP_1) | instskip(NEXT) | instid1(VALU_DEP_1)
	v_mul_hi_u32 v4, s24, v3
	v_add_nc_u32_e32 v4, v3, v4
	s_delay_alu instid0(VALU_DEP_1) | instskip(NEXT) | instid1(VALU_DEP_1)
	v_lshrrev_b32_e32 v4, s25, v4
	v_mul_hi_u32 v5, s27, v4
	s_delay_alu instid0(VALU_DEP_1) | instskip(SKIP_1) | instid1(VALU_DEP_1)
	v_add_nc_u32_e32 v5, v4, v5
	v_mul_lo_u32 v7, v3, s20
	v_sub_nc_u32_e32 v2, v2, v7
	v_mul_lo_u32 v7, v4, s23
	s_delay_alu instid0(VALU_DEP_4) | instskip(NEXT) | instid1(VALU_DEP_3)
	v_lshrrev_b32_e32 v5, s12, v5
	v_mad_u32 v10, v2, s37, v14
	v_mad_u32 v2, v2, s36, v6
	s_delay_alu instid0(VALU_DEP_4) | instskip(NEXT) | instid1(VALU_DEP_4)
	v_sub_nc_u32_e32 v3, v3, v7
	v_mul_hi_u32 v8, s14, v5
	v_mul_lo_u32 v6, v5, s26
	s_delay_alu instid0(VALU_DEP_1) | instskip(NEXT) | instid1(VALU_DEP_4)
	v_dual_add_nc_u32 v7, v5, v8 :: v_dual_sub_nc_u32 v4, v4, v6
	v_mad_u32 v8, v3, s39, v10
	v_mad_u32 v3, v3, s38, v2
	s_delay_alu instid0(VALU_DEP_3) | instskip(NEXT) | instid1(VALU_DEP_1)
	v_lshrrev_b32_e32 v2, s15, v7
	v_mul_lo_u32 v6, v2, s13
	s_delay_alu instid0(VALU_DEP_4) | instskip(NEXT) | instid1(VALU_DEP_4)
	v_mad_u32 v7, v4, s41, v8
	v_mad_u32 v3, v4, s40, v3
	s_delay_alu instid0(VALU_DEP_3) | instskip(NEXT) | instid1(VALU_DEP_1)
	v_sub_nc_u32_e32 v4, v5, v6
	v_mad_u32 v14, v4, s43, v7
	s_delay_alu instid0(VALU_DEP_3)
	v_mad_u32 v6, v4, s42, v3
	s_cbranch_scc1 .LBB340_1085
; %bb.1086:
	s_delay_alu instid0(VALU_DEP_2)
	v_mov_b32_e32 v7, v14
	s_and_b32 s4, s1, 3
	s_mov_b32 s1, 0
	s_cmp_eq_u32 s4, 0
	s_cbranch_scc0 .LBB340_1090
	s_branch .LBB340_1093
.LBB340_1087:
	s_mov_b32 s6, -1
                                        ; implicit-def: $vgpr14
                                        ; implicit-def: $vgpr6
	s_branch .LBB340_1093
.LBB340_1088:
	s_wait_loadcnt 0x0
	v_dual_mov_b32 v14, 0 :: v_dual_mov_b32 v6, 0
	s_branch .LBB340_1093
.LBB340_1089:
	s_wait_loadcnt 0x0
	v_mov_b64_e32 v[6:7], 0
	v_mov_b32_e32 v2, v0
                                        ; implicit-def: $vgpr14
	s_and_b32 s4, s1, 3
	s_mov_b32 s1, 0
	s_cmp_eq_u32 s4, 0
	s_cbranch_scc1 .LBB340_1093
.LBB340_1090:
	s_lshl_b32 s2, s0, 3
	s_mov_b32 s3, s1
	s_mul_u64 s[10:11], s[0:1], 12
	s_add_nc_u64 s[2:3], s[16:17], s[2:3]
	s_delay_alu instid0(SALU_CYCLE_1)
	s_add_nc_u64 s[0:1], s[2:3], 0xc4
	s_add_nc_u64 s[2:3], s[16:17], s[10:11]
.LBB340_1091:                           ; =>This Inner Loop Header: Depth=1
	s_load_b96 s[12:14], s[2:3], 0x4
	s_load_b64 s[10:11], s[0:1], 0x0
	s_add_co_i32 s4, s4, -1
	s_wait_xcnt 0x0
	s_add_nc_u64 s[2:3], s[2:3], 12
	s_cmp_lg_u32 s4, 0
	s_add_nc_u64 s[0:1], s[0:1], 8
	s_wait_kmcnt 0x0
	v_mul_hi_u32 v3, s13, v2
	s_delay_alu instid0(VALU_DEP_1) | instskip(NEXT) | instid1(VALU_DEP_1)
	v_add_nc_u32_e32 v3, v2, v3
	v_lshrrev_b32_e32 v3, s14, v3
	s_delay_alu instid0(VALU_DEP_1) | instskip(NEXT) | instid1(VALU_DEP_1)
	v_mul_lo_u32 v4, v3, s12
	v_sub_nc_u32_e32 v2, v2, v4
	s_delay_alu instid0(VALU_DEP_1)
	v_mad_u32 v7, v2, s11, v7
	v_mad_u32 v6, v2, s10, v6
	v_mov_b32_e32 v2, v3
	s_cbranch_scc1 .LBB340_1091
; %bb.1092:
	s_delay_alu instid0(VALU_DEP_3)
	v_mov_b32_e32 v14, v7
.LBB340_1093:
	s_and_not1_b32 vcc_lo, exec_lo, s6
	s_cbranch_vccnz .LBB340_1096
; %bb.1094:
	s_clause 0x1
	s_load_b96 s[0:2], s[16:17], 0x4
	s_load_b64 s[4:5], s[16:17], 0xc4
	s_cmp_lt_u32 s33, 2
	s_wait_kmcnt 0x0
	v_mul_hi_u32 v2, s1, v0
	s_delay_alu instid0(VALU_DEP_1) | instskip(NEXT) | instid1(VALU_DEP_1)
	v_add_nc_u32_e32 v2, v0, v2
	v_lshrrev_b32_e32 v2, s2, v2
	s_delay_alu instid0(VALU_DEP_1) | instskip(NEXT) | instid1(VALU_DEP_1)
	v_mul_lo_u32 v3, v2, s0
	v_sub_nc_u32_e32 v3, v0, v3
	s_delay_alu instid0(VALU_DEP_1)
	v_mul_lo_u32 v14, v3, s5
	s_wait_loadcnt 0x0
	v_mul_lo_u32 v6, v3, s4
	s_cbranch_scc1 .LBB340_1096
; %bb.1095:
	s_clause 0x1
	s_load_b96 s[0:2], s[16:17], 0x10
	s_load_b64 s[4:5], s[16:17], 0xcc
	s_wait_kmcnt 0x0
	v_mul_hi_u32 v3, s1, v2
	s_delay_alu instid0(VALU_DEP_1) | instskip(NEXT) | instid1(VALU_DEP_1)
	v_add_nc_u32_e32 v3, v2, v3
	v_lshrrev_b32_e32 v3, s2, v3
	s_delay_alu instid0(VALU_DEP_1) | instskip(NEXT) | instid1(VALU_DEP_1)
	v_mul_lo_u32 v3, v3, s0
	v_sub_nc_u32_e32 v2, v2, v3
	s_delay_alu instid0(VALU_DEP_1)
	v_mad_u32 v6, v2, s4, v6
	v_mad_u32 v14, v2, s5, v14
.LBB340_1096:
	v_cmp_ne_u32_e32 vcc_lo, 1, v1
	v_add_nc_u32_e32 v2, 0x80, v0
	s_cbranch_vccnz .LBB340_1102
; %bb.1097:
	s_cmp_lg_u32 s33, 0
	s_mov_b32 s6, 0
	s_cbranch_scc0 .LBB340_1103
; %bb.1098:
	s_min_u32 s1, s34, 15
	s_delay_alu instid0(SALU_CYCLE_1)
	s_add_co_i32 s1, s1, 1
	s_cmp_eq_u32 s34, 2
	s_cbranch_scc1 .LBB340_1104
; %bb.1099:
	v_dual_mov_b32 v4, 0 :: v_dual_mov_b32 v12, 0
	v_mov_b32_e32 v3, v2
	s_and_b32 s0, s1, 28
	s_add_nc_u64 s[2:3], s[16:17], 0xc4
	s_mov_b32 s7, 0
	s_mov_b64 s[4:5], s[16:17]
.LBB340_1100:                           ; =>This Inner Loop Header: Depth=1
	s_clause 0x1
	s_load_b256 s[20:27], s[4:5], 0x4
	s_load_b128 s[12:15], s[4:5], 0x24
	s_load_b256 s[36:43], s[2:3], 0x0
	s_add_co_i32 s7, s7, 4
	s_wait_xcnt 0x0
	s_add_nc_u64 s[4:5], s[4:5], 48
	s_cmp_lg_u32 s0, s7
	s_add_nc_u64 s[2:3], s[2:3], 32
	s_wait_kmcnt 0x0
	v_mul_hi_u32 v5, s21, v3
	s_delay_alu instid0(VALU_DEP_1) | instskip(NEXT) | instid1(VALU_DEP_1)
	v_add_nc_u32_e32 v5, v3, v5
	v_lshrrev_b32_e32 v5, s22, v5
	s_wait_loadcnt 0x0
	s_delay_alu instid0(VALU_DEP_1) | instskip(NEXT) | instid1(VALU_DEP_1)
	v_mul_hi_u32 v7, s24, v5
	v_add_nc_u32_e32 v7, v5, v7
	s_delay_alu instid0(VALU_DEP_1) | instskip(NEXT) | instid1(VALU_DEP_1)
	v_lshrrev_b32_e32 v7, s25, v7
	v_mul_hi_u32 v8, s27, v7
	s_delay_alu instid0(VALU_DEP_1) | instskip(SKIP_1) | instid1(VALU_DEP_1)
	v_add_nc_u32_e32 v8, v7, v8
	v_mul_lo_u32 v10, v5, s20
	v_sub_nc_u32_e32 v3, v3, v10
	v_mul_lo_u32 v10, v7, s23
	s_delay_alu instid0(VALU_DEP_4) | instskip(NEXT) | instid1(VALU_DEP_3)
	v_lshrrev_b32_e32 v8, s12, v8
	v_mad_u32 v12, v3, s37, v12
	v_mad_u32 v3, v3, s36, v4
	s_delay_alu instid0(VALU_DEP_4) | instskip(NEXT) | instid1(VALU_DEP_4)
	v_sub_nc_u32_e32 v4, v5, v10
	v_mul_hi_u32 v11, s14, v8
	v_mul_lo_u32 v5, v8, s26
	s_delay_alu instid0(VALU_DEP_1) | instskip(NEXT) | instid1(VALU_DEP_4)
	v_dual_add_nc_u32 v10, v8, v11 :: v_dual_sub_nc_u32 v5, v7, v5
	v_mad_u32 v11, v4, s39, v12
	v_mad_u32 v4, v4, s38, v3
	s_delay_alu instid0(VALU_DEP_3) | instskip(NEXT) | instid1(VALU_DEP_1)
	v_lshrrev_b32_e32 v3, s15, v10
	v_mul_lo_u32 v7, v3, s13
	s_delay_alu instid0(VALU_DEP_4) | instskip(NEXT) | instid1(VALU_DEP_4)
	v_mad_u32 v10, v5, s41, v11
	v_mad_u32 v4, v5, s40, v4
	s_delay_alu instid0(VALU_DEP_3) | instskip(NEXT) | instid1(VALU_DEP_1)
	v_sub_nc_u32_e32 v5, v8, v7
	v_mad_u32 v12, v5, s43, v10
	s_delay_alu instid0(VALU_DEP_3)
	v_mad_u32 v4, v5, s42, v4
	s_cbranch_scc1 .LBB340_1100
; %bb.1101:
	s_delay_alu instid0(VALU_DEP_2)
	v_mov_b32_e32 v5, v12
	s_and_b32 s4, s1, 3
	s_mov_b32 s1, 0
	s_cmp_eq_u32 s4, 0
	s_cbranch_scc0 .LBB340_1105
	s_branch .LBB340_1108
.LBB340_1102:
	s_mov_b32 s6, -1
                                        ; implicit-def: $vgpr12
                                        ; implicit-def: $vgpr4
	s_branch .LBB340_1108
.LBB340_1103:
	v_dual_mov_b32 v12, 0 :: v_dual_mov_b32 v4, 0
	s_branch .LBB340_1108
.LBB340_1104:
	v_mov_b64_e32 v[4:5], 0
	v_mov_b32_e32 v3, v2
	s_mov_b32 s0, 0
                                        ; implicit-def: $vgpr12
	s_and_b32 s4, s1, 3
	s_mov_b32 s1, 0
	s_cmp_eq_u32 s4, 0
	s_cbranch_scc1 .LBB340_1108
.LBB340_1105:
	s_lshl_b32 s2, s0, 3
	s_mov_b32 s3, s1
	s_mul_u64 s[10:11], s[0:1], 12
	s_add_nc_u64 s[2:3], s[16:17], s[2:3]
	s_delay_alu instid0(SALU_CYCLE_1)
	s_add_nc_u64 s[0:1], s[2:3], 0xc4
	s_add_nc_u64 s[2:3], s[16:17], s[10:11]
.LBB340_1106:                           ; =>This Inner Loop Header: Depth=1
	s_load_b96 s[12:14], s[2:3], 0x4
	s_load_b64 s[10:11], s[0:1], 0x0
	s_add_co_i32 s4, s4, -1
	s_wait_xcnt 0x0
	s_add_nc_u64 s[2:3], s[2:3], 12
	s_cmp_lg_u32 s4, 0
	s_add_nc_u64 s[0:1], s[0:1], 8
	s_wait_loadcnt 0x0
	s_wait_kmcnt 0x0
	v_mul_hi_u32 v7, s13, v3
	s_delay_alu instid0(VALU_DEP_1) | instskip(NEXT) | instid1(VALU_DEP_1)
	v_add_nc_u32_e32 v7, v3, v7
	v_lshrrev_b32_e32 v7, s14, v7
	s_delay_alu instid0(VALU_DEP_1) | instskip(NEXT) | instid1(VALU_DEP_1)
	v_mul_lo_u32 v8, v7, s12
	v_sub_nc_u32_e32 v3, v3, v8
	s_delay_alu instid0(VALU_DEP_1)
	v_mad_u32 v5, v3, s11, v5
	v_mad_u32 v4, v3, s10, v4
	v_mov_b32_e32 v3, v7
	s_cbranch_scc1 .LBB340_1106
; %bb.1107:
	s_delay_alu instid0(VALU_DEP_3)
	v_mov_b32_e32 v12, v5
.LBB340_1108:
	s_and_not1_b32 vcc_lo, exec_lo, s6
	s_cbranch_vccnz .LBB340_1111
; %bb.1109:
	s_clause 0x1
	s_load_b96 s[0:2], s[16:17], 0x4
	s_load_b64 s[4:5], s[16:17], 0xc4
	s_cmp_lt_u32 s33, 2
	s_wait_kmcnt 0x0
	v_mul_hi_u32 v3, s1, v2
	s_delay_alu instid0(VALU_DEP_1) | instskip(NEXT) | instid1(VALU_DEP_1)
	v_add_nc_u32_e32 v3, v2, v3
	v_lshrrev_b32_e32 v3, s2, v3
	s_delay_alu instid0(VALU_DEP_1) | instskip(NEXT) | instid1(VALU_DEP_1)
	v_mul_lo_u32 v4, v3, s0
	v_sub_nc_u32_e32 v2, v2, v4
	s_delay_alu instid0(VALU_DEP_1)
	v_mul_lo_u32 v12, v2, s5
	v_mul_lo_u32 v4, v2, s4
	s_cbranch_scc1 .LBB340_1111
; %bb.1110:
	s_clause 0x1
	s_load_b96 s[0:2], s[16:17], 0x10
	s_load_b64 s[4:5], s[16:17], 0xcc
	s_wait_kmcnt 0x0
	v_mul_hi_u32 v2, s1, v3
	s_delay_alu instid0(VALU_DEP_1) | instskip(NEXT) | instid1(VALU_DEP_1)
	v_add_nc_u32_e32 v2, v3, v2
	v_lshrrev_b32_e32 v2, s2, v2
	s_delay_alu instid0(VALU_DEP_1) | instskip(NEXT) | instid1(VALU_DEP_1)
	v_mul_lo_u32 v2, v2, s0
	v_sub_nc_u32_e32 v2, v3, v2
	s_delay_alu instid0(VALU_DEP_1)
	v_mad_u32 v4, v2, s4, v4
	v_mad_u32 v12, v2, s5, v12
.LBB340_1111:
	v_cmp_ne_u32_e32 vcc_lo, 1, v1
	v_add_nc_u32_e32 v0, 0x100, v0
	s_cbranch_vccnz .LBB340_1117
; %bb.1112:
	s_cmp_lg_u32 s33, 0
	s_mov_b32 s6, 0
	s_cbranch_scc0 .LBB340_1118
; %bb.1113:
	s_min_u32 s1, s34, 15
	s_delay_alu instid0(SALU_CYCLE_1)
	s_add_co_i32 s1, s1, 1
	s_cmp_eq_u32 s34, 2
	s_cbranch_scc1 .LBB340_1119
; %bb.1114:
	v_dual_mov_b32 v2, 0 :: v_dual_mov_b32 v10, 0
	v_mov_b32_e32 v5, v0
	s_and_b32 s0, s1, 28
	s_add_nc_u64 s[2:3], s[16:17], 0xc4
	s_mov_b32 s7, 0
	s_mov_b64 s[4:5], s[16:17]
.LBB340_1115:                           ; =>This Inner Loop Header: Depth=1
	s_clause 0x1
	s_load_b256 s[20:27], s[4:5], 0x4
	s_load_b128 s[12:15], s[4:5], 0x24
	s_load_b256 s[36:43], s[2:3], 0x0
	s_add_co_i32 s7, s7, 4
	s_wait_xcnt 0x0
	s_add_nc_u64 s[4:5], s[4:5], 48
	s_cmp_lg_u32 s0, s7
	s_add_nc_u64 s[2:3], s[2:3], 32
	s_wait_kmcnt 0x0
	v_mul_hi_u32 v3, s21, v5
	s_delay_alu instid0(VALU_DEP_1) | instskip(NEXT) | instid1(VALU_DEP_1)
	v_add_nc_u32_e32 v3, v5, v3
	v_lshrrev_b32_e32 v3, s22, v3
	s_wait_loadcnt 0x0
	s_delay_alu instid0(VALU_DEP_1) | instskip(NEXT) | instid1(VALU_DEP_1)
	v_mul_hi_u32 v7, s24, v3
	v_add_nc_u32_e32 v7, v3, v7
	s_delay_alu instid0(VALU_DEP_1) | instskip(NEXT) | instid1(VALU_DEP_1)
	v_lshrrev_b32_e32 v7, s25, v7
	v_mul_hi_u32 v8, s27, v7
	s_delay_alu instid0(VALU_DEP_1) | instskip(NEXT) | instid1(VALU_DEP_1)
	v_add_nc_u32_e32 v8, v7, v8
	v_lshrrev_b32_e32 v8, s12, v8
	v_mul_lo_u32 v11, v3, s20
	s_delay_alu instid0(VALU_DEP_2) | instskip(NEXT) | instid1(VALU_DEP_2)
	v_mul_hi_u32 v13, s14, v8
	v_sub_nc_u32_e32 v5, v5, v11
	s_delay_alu instid0(VALU_DEP_1) | instskip(SKIP_1) | instid1(VALU_DEP_4)
	v_mad_u32 v10, v5, s37, v10
	v_mad_u32 v2, v5, s36, v2
	v_add_nc_u32_e32 v5, v8, v13
	s_delay_alu instid0(VALU_DEP_1) | instskip(SKIP_1) | instid1(VALU_DEP_1)
	v_lshrrev_b32_e32 v5, s15, v5
	v_mul_lo_u32 v11, v7, s23
	v_sub_nc_u32_e32 v3, v3, v11
	v_mul_lo_u32 v11, v8, s26
	s_delay_alu instid0(VALU_DEP_2) | instskip(SKIP_1) | instid1(VALU_DEP_3)
	v_mad_u32 v10, v3, s39, v10
	v_mad_u32 v2, v3, s38, v2
	v_sub_nc_u32_e32 v3, v7, v11
	v_mul_lo_u32 v7, v5, s13
	s_delay_alu instid0(VALU_DEP_2) | instskip(NEXT) | instid1(VALU_DEP_4)
	v_mad_u32 v10, v3, s41, v10
	v_mad_u32 v2, v3, s40, v2
	s_delay_alu instid0(VALU_DEP_3) | instskip(NEXT) | instid1(VALU_DEP_1)
	v_sub_nc_u32_e32 v3, v8, v7
	v_mad_u32 v10, v3, s43, v10
	s_delay_alu instid0(VALU_DEP_3)
	v_mad_u32 v2, v3, s42, v2
	s_cbranch_scc1 .LBB340_1115
; %bb.1116:
	s_delay_alu instid0(VALU_DEP_2)
	v_mov_b32_e32 v3, v10
	s_and_b32 s4, s1, 3
	s_mov_b32 s1, 0
	s_cmp_eq_u32 s4, 0
	s_cbranch_scc0 .LBB340_1120
	s_branch .LBB340_1123
.LBB340_1117:
	s_mov_b32 s6, -1
                                        ; implicit-def: $vgpr10
                                        ; implicit-def: $vgpr2
	s_branch .LBB340_1123
.LBB340_1118:
	v_dual_mov_b32 v10, 0 :: v_dual_mov_b32 v2, 0
	s_branch .LBB340_1123
.LBB340_1119:
	v_mov_b64_e32 v[2:3], 0
	v_mov_b32_e32 v5, v0
	s_mov_b32 s0, 0
                                        ; implicit-def: $vgpr10
	s_and_b32 s4, s1, 3
	s_mov_b32 s1, 0
	s_cmp_eq_u32 s4, 0
	s_cbranch_scc1 .LBB340_1123
.LBB340_1120:
	s_lshl_b32 s2, s0, 3
	s_mov_b32 s3, s1
	s_mul_u64 s[10:11], s[0:1], 12
	s_add_nc_u64 s[2:3], s[16:17], s[2:3]
	s_delay_alu instid0(SALU_CYCLE_1)
	s_add_nc_u64 s[0:1], s[2:3], 0xc4
	s_add_nc_u64 s[2:3], s[16:17], s[10:11]
.LBB340_1121:                           ; =>This Inner Loop Header: Depth=1
	s_load_b96 s[12:14], s[2:3], 0x4
	s_load_b64 s[10:11], s[0:1], 0x0
	s_add_co_i32 s4, s4, -1
	s_wait_xcnt 0x0
	s_add_nc_u64 s[2:3], s[2:3], 12
	s_cmp_lg_u32 s4, 0
	s_add_nc_u64 s[0:1], s[0:1], 8
	s_wait_loadcnt 0x0
	s_wait_kmcnt 0x0
	v_mul_hi_u32 v7, s13, v5
	s_delay_alu instid0(VALU_DEP_1) | instskip(NEXT) | instid1(VALU_DEP_1)
	v_add_nc_u32_e32 v7, v5, v7
	v_lshrrev_b32_e32 v7, s14, v7
	s_delay_alu instid0(VALU_DEP_1) | instskip(NEXT) | instid1(VALU_DEP_1)
	v_mul_lo_u32 v8, v7, s12
	v_sub_nc_u32_e32 v5, v5, v8
	s_delay_alu instid0(VALU_DEP_1)
	v_mad_u32 v3, v5, s11, v3
	v_mad_u32 v2, v5, s10, v2
	v_mov_b32_e32 v5, v7
	s_cbranch_scc1 .LBB340_1121
; %bb.1122:
	s_delay_alu instid0(VALU_DEP_3)
	v_mov_b32_e32 v10, v3
.LBB340_1123:
	s_and_not1_b32 vcc_lo, exec_lo, s6
	s_cbranch_vccnz .LBB340_1126
; %bb.1124:
	s_clause 0x1
	s_load_b96 s[0:2], s[16:17], 0x4
	s_load_b64 s[4:5], s[16:17], 0xc4
	s_cmp_lt_u32 s33, 2
	s_wait_kmcnt 0x0
	v_mul_hi_u32 v2, s1, v0
	s_delay_alu instid0(VALU_DEP_1) | instskip(NEXT) | instid1(VALU_DEP_1)
	v_add_nc_u32_e32 v2, v0, v2
	v_lshrrev_b32_e32 v3, s2, v2
	s_delay_alu instid0(VALU_DEP_1) | instskip(NEXT) | instid1(VALU_DEP_1)
	v_mul_lo_u32 v2, v3, s0
	v_sub_nc_u32_e32 v0, v0, v2
	s_delay_alu instid0(VALU_DEP_1)
	v_mul_lo_u32 v10, v0, s5
	v_mul_lo_u32 v2, v0, s4
	s_cbranch_scc1 .LBB340_1126
; %bb.1125:
	s_clause 0x1
	s_load_b96 s[0:2], s[16:17], 0x10
	s_load_b64 s[4:5], s[16:17], 0xcc
	s_wait_kmcnt 0x0
	v_mul_hi_u32 v0, s1, v3
	s_delay_alu instid0(VALU_DEP_1) | instskip(NEXT) | instid1(VALU_DEP_1)
	v_add_nc_u32_e32 v0, v3, v0
	v_lshrrev_b32_e32 v0, s2, v0
	s_delay_alu instid0(VALU_DEP_1) | instskip(NEXT) | instid1(VALU_DEP_1)
	v_mul_lo_u32 v0, v0, s0
	v_sub_nc_u32_e32 v0, v3, v0
	s_delay_alu instid0(VALU_DEP_1)
	v_mad_u32 v2, v0, s4, v2
	v_mad_u32 v10, v0, s5, v10
.LBB340_1126:
	v_cmp_ne_u32_e32 vcc_lo, 1, v1
	s_cbranch_vccnz .LBB340_1132
; %bb.1127:
	s_cmp_lg_u32 s33, 0
	s_mov_b32 s6, 0
	s_cbranch_scc0 .LBB340_1133
; %bb.1128:
	s_min_u32 s1, s34, 15
	s_delay_alu instid0(SALU_CYCLE_1)
	s_add_co_i32 s1, s1, 1
	s_cmp_eq_u32 s34, 2
	s_cbranch_scc1 .LBB340_1134
; %bb.1129:
	v_dual_mov_b32 v0, 0 :: v_dual_mov_b32 v8, 0
	v_mov_b32_e32 v3, v9
	s_and_b32 s0, s1, 28
	s_add_nc_u64 s[2:3], s[16:17], 0xc4
	s_mov_b32 s7, 0
	s_mov_b64 s[4:5], s[16:17]
.LBB340_1130:                           ; =>This Inner Loop Header: Depth=1
	s_clause 0x1
	s_load_b256 s[20:27], s[4:5], 0x4
	s_load_b128 s[12:15], s[4:5], 0x24
	s_load_b256 s[36:43], s[2:3], 0x0
	s_add_co_i32 s7, s7, 4
	s_wait_xcnt 0x0
	s_add_nc_u64 s[4:5], s[4:5], 48
	s_cmp_lg_u32 s0, s7
	s_add_nc_u64 s[2:3], s[2:3], 32
	s_wait_kmcnt 0x0
	v_mul_hi_u32 v1, s21, v3
	s_delay_alu instid0(VALU_DEP_1) | instskip(NEXT) | instid1(VALU_DEP_1)
	v_add_nc_u32_e32 v1, v3, v1
	v_lshrrev_b32_e32 v1, s22, v1
	s_delay_alu instid0(VALU_DEP_1) | instskip(NEXT) | instid1(VALU_DEP_1)
	v_mul_lo_u32 v11, v1, s20
	v_sub_nc_u32_e32 v3, v3, v11
	v_mul_hi_u32 v5, s24, v1
	s_delay_alu instid0(VALU_DEP_2) | instskip(SKIP_1) | instid1(VALU_DEP_3)
	v_mad_u32 v8, v3, s37, v8
	v_mad_u32 v0, v3, s36, v0
	v_add_nc_u32_e32 v5, v1, v5
	s_delay_alu instid0(VALU_DEP_1) | instskip(NEXT) | instid1(VALU_DEP_1)
	v_lshrrev_b32_e32 v5, s25, v5
	v_mul_lo_u32 v11, v5, s23
	s_delay_alu instid0(VALU_DEP_1) | instskip(SKIP_2) | instid1(VALU_DEP_2)
	v_sub_nc_u32_e32 v1, v1, v11
	s_wait_loadcnt 0x0
	v_mul_hi_u32 v7, s27, v5
	v_mad_u32 v8, v1, s39, v8
	v_mad_u32 v0, v1, s38, v0
	s_delay_alu instid0(VALU_DEP_3) | instskip(NEXT) | instid1(VALU_DEP_1)
	v_add_nc_u32_e32 v7, v5, v7
	v_lshrrev_b32_e32 v7, s12, v7
	s_delay_alu instid0(VALU_DEP_1) | instskip(SKIP_1) | instid1(VALU_DEP_1)
	v_mul_hi_u32 v13, s14, v7
	v_mul_lo_u32 v11, v7, s26
	v_dual_add_nc_u32 v3, v7, v13 :: v_dual_sub_nc_u32 v1, v5, v11
	s_delay_alu instid0(VALU_DEP_1) | instskip(NEXT) | instid1(VALU_DEP_2)
	v_lshrrev_b32_e32 v3, s15, v3
	v_mad_u32 v8, v1, s41, v8
	v_mad_u32 v0, v1, s40, v0
	s_delay_alu instid0(VALU_DEP_3) | instskip(NEXT) | instid1(VALU_DEP_1)
	v_mul_lo_u32 v5, v3, s13
	v_sub_nc_u32_e32 v1, v7, v5
	s_delay_alu instid0(VALU_DEP_1) | instskip(NEXT) | instid1(VALU_DEP_4)
	v_mad_u32 v8, v1, s43, v8
	v_mad_u32 v0, v1, s42, v0
	s_cbranch_scc1 .LBB340_1130
; %bb.1131:
	s_delay_alu instid0(VALU_DEP_2)
	v_mov_b32_e32 v1, v8
	s_and_b32 s4, s1, 3
	s_mov_b32 s1, 0
	s_cmp_eq_u32 s4, 0
	s_cbranch_scc0 .LBB340_1135
	s_branch .LBB340_1138
.LBB340_1132:
	s_mov_b32 s6, -1
                                        ; implicit-def: $vgpr8
                                        ; implicit-def: $vgpr0
	s_branch .LBB340_1138
.LBB340_1133:
	v_dual_mov_b32 v8, 0 :: v_dual_mov_b32 v0, 0
	s_branch .LBB340_1138
.LBB340_1134:
	v_mov_b64_e32 v[0:1], 0
	v_mov_b32_e32 v3, v9
	s_mov_b32 s0, 0
                                        ; implicit-def: $vgpr8
	s_and_b32 s4, s1, 3
	s_mov_b32 s1, 0
	s_cmp_eq_u32 s4, 0
	s_cbranch_scc1 .LBB340_1138
.LBB340_1135:
	s_lshl_b32 s2, s0, 3
	s_mov_b32 s3, s1
	s_mul_u64 s[10:11], s[0:1], 12
	s_add_nc_u64 s[2:3], s[16:17], s[2:3]
	s_delay_alu instid0(SALU_CYCLE_1)
	s_add_nc_u64 s[0:1], s[2:3], 0xc4
	s_add_nc_u64 s[2:3], s[16:17], s[10:11]
.LBB340_1136:                           ; =>This Inner Loop Header: Depth=1
	s_load_b96 s[12:14], s[2:3], 0x4
	s_load_b64 s[10:11], s[0:1], 0x0
	s_add_co_i32 s4, s4, -1
	s_wait_xcnt 0x0
	s_add_nc_u64 s[2:3], s[2:3], 12
	s_cmp_lg_u32 s4, 0
	s_add_nc_u64 s[0:1], s[0:1], 8
	s_wait_kmcnt 0x0
	v_mul_hi_u32 v5, s13, v3
	s_delay_alu instid0(VALU_DEP_1) | instskip(NEXT) | instid1(VALU_DEP_1)
	v_add_nc_u32_e32 v5, v3, v5
	v_lshrrev_b32_e32 v5, s14, v5
	s_wait_loadcnt 0x0
	s_delay_alu instid0(VALU_DEP_1) | instskip(NEXT) | instid1(VALU_DEP_1)
	v_mul_lo_u32 v7, v5, s12
	v_sub_nc_u32_e32 v3, v3, v7
	s_delay_alu instid0(VALU_DEP_1)
	v_mad_u32 v1, v3, s11, v1
	v_mad_u32 v0, v3, s10, v0
	v_mov_b32_e32 v3, v5
	s_cbranch_scc1 .LBB340_1136
; %bb.1137:
	s_delay_alu instid0(VALU_DEP_3)
	v_mov_b32_e32 v8, v1
.LBB340_1138:
	s_and_not1_b32 vcc_lo, exec_lo, s6
	s_cbranch_vccnz .LBB340_1141
; %bb.1139:
	s_clause 0x1
	s_load_b96 s[0:2], s[16:17], 0x4
	s_load_b64 s[4:5], s[16:17], 0xc4
	s_cmp_lt_u32 s33, 2
	s_wait_kmcnt 0x0
	v_mul_hi_u32 v0, s1, v9
	s_delay_alu instid0(VALU_DEP_1) | instskip(NEXT) | instid1(VALU_DEP_1)
	v_add_nc_u32_e32 v0, v9, v0
	v_lshrrev_b32_e32 v1, s2, v0
	s_delay_alu instid0(VALU_DEP_1) | instskip(NEXT) | instid1(VALU_DEP_1)
	v_mul_lo_u32 v0, v1, s0
	v_sub_nc_u32_e32 v0, v9, v0
	s_delay_alu instid0(VALU_DEP_1)
	v_mul_lo_u32 v8, v0, s5
	v_mul_lo_u32 v0, v0, s4
	s_cbranch_scc1 .LBB340_1141
; %bb.1140:
	s_clause 0x1
	s_load_b96 s[0:2], s[16:17], 0x10
	s_load_b64 s[4:5], s[16:17], 0xcc
	s_wait_kmcnt 0x0
	v_mul_hi_u32 v3, s1, v1
	s_delay_alu instid0(VALU_DEP_1) | instskip(NEXT) | instid1(VALU_DEP_1)
	v_add_nc_u32_e32 v3, v1, v3
	v_lshrrev_b32_e32 v3, s2, v3
	s_delay_alu instid0(VALU_DEP_1) | instskip(NEXT) | instid1(VALU_DEP_1)
	v_mul_lo_u32 v3, v3, s0
	v_sub_nc_u32_e32 v1, v1, v3
	s_delay_alu instid0(VALU_DEP_1)
	v_mad_u32 v0, v1, s4, v0
	v_mad_u32 v8, v1, s5, v8
.LBB340_1141:
	v_mov_b32_e32 v15, 0
	s_load_b128 s[4:7], s[16:17], 0x148
	global_load_u8 v1, v15, s[16:17] offset:353
	s_wait_kmcnt 0x0
	v_add_nc_u64_e32 v[16:17], s[6:7], v[14:15]
	s_wait_loadcnt 0x0
	v_and_b32_e32 v3, 0xffff, v1
	v_readfirstlane_b32 s0, v1
	s_delay_alu instid0(VALU_DEP_2)
	v_cmp_gt_i32_e32 vcc_lo, 11, v3
	s_cbranch_vccnz .LBB340_1148
; %bb.1142:
	s_and_b32 s1, 0xffff, s0
	s_mov_b32 s10, 0
	s_cmp_gt_i32 s1, 25
	s_cbranch_scc0 .LBB340_1150
; %bb.1143:
	s_cmp_gt_i32 s1, 28
	s_cbranch_scc0 .LBB340_1151
; %bb.1144:
	;; [unrolled: 3-line block ×4, first 2 shown]
	s_cmp_eq_u32 s1, 46
	s_mov_b32 s3, 0
	s_cbranch_scc0 .LBB340_1156
; %bb.1147:
	global_load_b32 v1, v[16:17], off
	s_mov_b32 s2, 0
	s_mov_b32 s11, -1
	s_wait_loadcnt 0x0
	v_lshlrev_b32_e32 v1, 16, v1
	s_delay_alu instid0(VALU_DEP_1)
	v_cvt_u32_f32_e32 v14, v1
	s_branch .LBB340_1158
.LBB340_1148:
	s_mov_b32 s11, 0
	s_mov_b32 s3, s8
                                        ; implicit-def: $vgpr14
	s_cbranch_execnz .LBB340_1216
.LBB340_1149:
	s_and_not1_b32 vcc_lo, exec_lo, s11
	s_cbranch_vccz .LBB340_1261
	s_branch .LBB340_2072
.LBB340_1150:
	s_mov_b32 s11, 0
	s_mov_b32 s2, 0
                                        ; implicit-def: $vgpr14
	s_cbranch_execnz .LBB340_1183
	s_branch .LBB340_1212
.LBB340_1151:
	s_mov_b32 s11, 0
	s_mov_b32 s2, 0
                                        ; implicit-def: $vgpr14
	s_cbranch_execz .LBB340_1182
	s_branch .LBB340_1167
.LBB340_1152:
	s_mov_b32 s11, 0
	s_mov_b32 s2, 0
                                        ; implicit-def: $vgpr14
	s_cbranch_execnz .LBB340_1163
	s_branch .LBB340_1166
.LBB340_1153:
	s_mov_b32 s3, -1
	s_mov_b32 s11, 0
	s_mov_b32 s2, 0
	s_branch .LBB340_1157
.LBB340_1154:
	s_and_not1_saveexec_b32 s5, s5
	s_cbranch_execz .LBB340_993
.LBB340_1155:
	v_add_f32_e32 v2, 0x46000000, v3
	s_and_not1_b32 s4, s4, exec_lo
	s_delay_alu instid0(VALU_DEP_1) | instskip(NEXT) | instid1(VALU_DEP_1)
	v_and_b32_e32 v2, 0xff, v2
	v_cmp_ne_u32_e32 vcc_lo, 0, v2
	s_and_b32 s9, vcc_lo, exec_lo
	s_delay_alu instid0(SALU_CYCLE_1)
	s_or_b32 s4, s4, s9
	s_or_b32 exec_lo, exec_lo, s5
	v_mov_b32_e32 v4, 0
	s_and_saveexec_b32 s5, s4
	s_cbranch_execnz .LBB340_994
	s_branch .LBB340_995
.LBB340_1156:
	s_mov_b32 s2, -1
	s_mov_b32 s11, 0
.LBB340_1157:
                                        ; implicit-def: $vgpr14
.LBB340_1158:
	s_and_b32 vcc_lo, exec_lo, s3
	s_cbranch_vccz .LBB340_1161
; %bb.1159:
	s_cmp_eq_u32 s1, 44
	s_cbranch_scc0 .LBB340_1162
; %bb.1160:
	global_load_u8 v1, v[16:17], off
	s_mov_b32 s2, 0
	s_mov_b32 s11, -1
	s_wait_loadcnt 0x0
	v_lshlrev_b32_e32 v3, 23, v1
	v_cmp_ne_u32_e32 vcc_lo, 0, v1
	s_delay_alu instid0(VALU_DEP_2) | instskip(NEXT) | instid1(VALU_DEP_1)
	v_cvt_u32_f32_e32 v3, v3
	v_cndmask_b32_e32 v14, 0, v3, vcc_lo
.LBB340_1161:
	s_branch .LBB340_1166
.LBB340_1162:
	s_mov_b32 s2, -1
                                        ; implicit-def: $vgpr14
	s_branch .LBB340_1166
.LBB340_1163:
	s_cmp_eq_u32 s1, 29
	s_cbranch_scc0 .LBB340_1165
; %bb.1164:
	global_load_b64 v[14:15], v[16:17], off
	s_mov_b32 s2, 0
	s_mov_b32 s11, -1
	s_branch .LBB340_1166
.LBB340_1165:
	s_mov_b32 s2, -1
                                        ; implicit-def: $vgpr14
.LBB340_1166:
	s_branch .LBB340_1182
.LBB340_1167:
	s_cmp_lt_i32 s1, 27
	s_cbranch_scc1 .LBB340_1170
; %bb.1168:
	s_cmp_gt_i32 s1, 27
	s_cbranch_scc0 .LBB340_1171
; %bb.1169:
	s_wait_loadcnt 0x0
	global_load_b32 v14, v[16:17], off
	s_mov_b32 s3, 0
	s_branch .LBB340_1172
.LBB340_1170:
	s_mov_b32 s3, -1
                                        ; implicit-def: $vgpr14
	s_branch .LBB340_1175
.LBB340_1171:
	s_mov_b32 s3, -1
                                        ; implicit-def: $vgpr14
.LBB340_1172:
	s_delay_alu instid0(SALU_CYCLE_1)
	s_and_not1_b32 vcc_lo, exec_lo, s3
	s_cbranch_vccnz .LBB340_1174
; %bb.1173:
	s_wait_loadcnt 0x0
	global_load_u16 v14, v[16:17], off
.LBB340_1174:
	s_mov_b32 s3, 0
.LBB340_1175:
	s_delay_alu instid0(SALU_CYCLE_1)
	s_and_not1_b32 vcc_lo, exec_lo, s3
	s_cbranch_vccnz .LBB340_1181
; %bb.1176:
	global_load_u8 v1, v[16:17], off
	s_mov_b32 s11, 0
	s_mov_b32 s3, exec_lo
	s_wait_loadcnt 0x0
	v_cmpx_lt_i16_e32 0x7f, v1
	s_xor_b32 s3, exec_lo, s3
	s_cbranch_execz .LBB340_1192
; %bb.1177:
	v_cmp_ne_u16_e32 vcc_lo, 0x80, v1
	s_and_b32 s11, vcc_lo, exec_lo
	s_and_not1_saveexec_b32 s3, s3
	s_cbranch_execnz .LBB340_1193
.LBB340_1178:
	s_or_b32 exec_lo, exec_lo, s3
	v_mov_b32_e32 v14, 0
	s_and_saveexec_b32 s3, s11
	s_cbranch_execz .LBB340_1180
.LBB340_1179:
	v_and_b32_e32 v3, 0xffff, v1
	s_delay_alu instid0(VALU_DEP_1) | instskip(SKIP_1) | instid1(VALU_DEP_2)
	v_dual_lshlrev_b32 v1, 24, v1 :: v_dual_bitop2_b32 v5, 7, v3 bitop3:0x40
	v_bfe_u32 v11, v3, 3, 4
	v_and_b32_e32 v1, 0x80000000, v1
	s_delay_alu instid0(VALU_DEP_3) | instskip(NEXT) | instid1(VALU_DEP_3)
	v_clz_i32_u32_e32 v7, v5
	v_cmp_eq_u32_e32 vcc_lo, 0, v11
	s_delay_alu instid0(VALU_DEP_2) | instskip(NEXT) | instid1(VALU_DEP_1)
	v_min_u32_e32 v7, 32, v7
	v_subrev_nc_u32_e32 v9, 28, v7
	v_sub_nc_u32_e32 v7, 29, v7
	s_delay_alu instid0(VALU_DEP_2) | instskip(NEXT) | instid1(VALU_DEP_2)
	v_lshlrev_b32_e32 v3, v9, v3
	v_cndmask_b32_e32 v7, v11, v7, vcc_lo
	s_delay_alu instid0(VALU_DEP_2) | instskip(NEXT) | instid1(VALU_DEP_1)
	v_and_b32_e32 v3, 7, v3
	v_cndmask_b32_e32 v3, v5, v3, vcc_lo
	s_delay_alu instid0(VALU_DEP_3) | instskip(NEXT) | instid1(VALU_DEP_2)
	v_lshl_add_u32 v5, v7, 23, 0x3b800000
	v_lshlrev_b32_e32 v3, 20, v3
	s_delay_alu instid0(VALU_DEP_1) | instskip(NEXT) | instid1(VALU_DEP_1)
	v_or3_b32 v1, v1, v5, v3
	v_cvt_u32_f32_e32 v14, v1
.LBB340_1180:
	s_or_b32 exec_lo, exec_lo, s3
.LBB340_1181:
	s_mov_b32 s11, -1
.LBB340_1182:
	s_branch .LBB340_1212
.LBB340_1183:
	s_cmp_gt_i32 s1, 22
	s_cbranch_scc0 .LBB340_1191
; %bb.1184:
	s_cmp_lt_i32 s1, 24
	s_cbranch_scc1 .LBB340_1194
; %bb.1185:
	s_cmp_gt_i32 s1, 24
	s_cbranch_scc0 .LBB340_1195
; %bb.1186:
	global_load_u8 v1, v[16:17], off
	s_mov_b32 s3, exec_lo
	s_wait_loadcnt 0x0
	v_cmpx_lt_i16_e32 0x7f, v1
	s_xor_b32 s3, exec_lo, s3
	s_cbranch_execz .LBB340_1206
; %bb.1187:
	v_cmp_ne_u16_e32 vcc_lo, 0x80, v1
	s_and_b32 s10, vcc_lo, exec_lo
	s_and_not1_saveexec_b32 s3, s3
	s_cbranch_execnz .LBB340_1207
.LBB340_1188:
	s_or_b32 exec_lo, exec_lo, s3
	v_mov_b32_e32 v14, 0
	s_and_saveexec_b32 s3, s10
	s_cbranch_execz .LBB340_1190
.LBB340_1189:
	v_and_b32_e32 v3, 0xffff, v1
	s_delay_alu instid0(VALU_DEP_1) | instskip(SKIP_1) | instid1(VALU_DEP_2)
	v_dual_lshlrev_b32 v1, 24, v1 :: v_dual_bitop2_b32 v5, 3, v3 bitop3:0x40
	v_bfe_u32 v11, v3, 2, 5
	v_and_b32_e32 v1, 0x80000000, v1
	s_delay_alu instid0(VALU_DEP_3) | instskip(NEXT) | instid1(VALU_DEP_3)
	v_clz_i32_u32_e32 v7, v5
	v_cmp_eq_u32_e32 vcc_lo, 0, v11
	s_delay_alu instid0(VALU_DEP_2) | instskip(NEXT) | instid1(VALU_DEP_1)
	v_min_u32_e32 v7, 32, v7
	v_subrev_nc_u32_e32 v9, 29, v7
	v_sub_nc_u32_e32 v7, 30, v7
	s_delay_alu instid0(VALU_DEP_2) | instskip(NEXT) | instid1(VALU_DEP_2)
	v_lshlrev_b32_e32 v3, v9, v3
	v_cndmask_b32_e32 v7, v11, v7, vcc_lo
	s_delay_alu instid0(VALU_DEP_2) | instskip(NEXT) | instid1(VALU_DEP_1)
	v_and_b32_e32 v3, 3, v3
	v_cndmask_b32_e32 v3, v5, v3, vcc_lo
	s_delay_alu instid0(VALU_DEP_3) | instskip(NEXT) | instid1(VALU_DEP_2)
	v_lshl_add_u32 v5, v7, 23, 0x37800000
	v_lshlrev_b32_e32 v3, 21, v3
	s_delay_alu instid0(VALU_DEP_1) | instskip(NEXT) | instid1(VALU_DEP_1)
	v_or3_b32 v1, v1, v5, v3
	v_cvt_u32_f32_e32 v14, v1
.LBB340_1190:
	s_or_b32 exec_lo, exec_lo, s3
	s_mov_b32 s3, 0
	s_branch .LBB340_1196
.LBB340_1191:
                                        ; implicit-def: $vgpr14
	s_mov_b32 s10, 0
	s_branch .LBB340_1202
.LBB340_1192:
	s_and_not1_saveexec_b32 s3, s3
	s_cbranch_execz .LBB340_1178
.LBB340_1193:
	v_cmp_ne_u16_e32 vcc_lo, 0, v1
	s_and_not1_b32 s11, s11, exec_lo
	s_and_b32 s12, vcc_lo, exec_lo
	s_delay_alu instid0(SALU_CYCLE_1)
	s_or_b32 s11, s11, s12
	s_or_b32 exec_lo, exec_lo, s3
	v_mov_b32_e32 v14, 0
	s_and_saveexec_b32 s3, s11
	s_cbranch_execnz .LBB340_1179
	s_branch .LBB340_1180
.LBB340_1194:
	s_mov_b32 s3, -1
                                        ; implicit-def: $vgpr14
	s_branch .LBB340_1199
.LBB340_1195:
	s_mov_b32 s3, -1
                                        ; implicit-def: $vgpr14
.LBB340_1196:
	s_delay_alu instid0(SALU_CYCLE_1)
	s_and_b32 vcc_lo, exec_lo, s3
	s_cbranch_vccz .LBB340_1198
; %bb.1197:
	global_load_u8 v1, v[16:17], off
	s_wait_loadcnt 0x0
	v_lshlrev_b32_e32 v1, 24, v1
	s_delay_alu instid0(VALU_DEP_1) | instskip(NEXT) | instid1(VALU_DEP_1)
	v_and_b32_e32 v3, 0x7f000000, v1
	v_clz_i32_u32_e32 v5, v3
	v_add_nc_u32_e32 v9, 0x1000000, v3
	v_cmp_ne_u32_e32 vcc_lo, 0, v3
	s_delay_alu instid0(VALU_DEP_3) | instskip(NEXT) | instid1(VALU_DEP_1)
	v_min_u32_e32 v5, 32, v5
	v_sub_nc_u32_e64 v5, v5, 4 clamp
	s_delay_alu instid0(VALU_DEP_1) | instskip(NEXT) | instid1(VALU_DEP_1)
	v_dual_lshlrev_b32 v7, v5, v3 :: v_dual_lshlrev_b32 v5, 23, v5
	v_lshrrev_b32_e32 v7, 4, v7
	s_delay_alu instid0(VALU_DEP_1) | instskip(SKIP_1) | instid1(VALU_DEP_2)
	v_sub_nc_u32_e32 v5, v7, v5
	v_ashrrev_i32_e32 v7, 8, v9
	v_add_nc_u32_e32 v5, 0x3c000000, v5
	s_delay_alu instid0(VALU_DEP_1) | instskip(NEXT) | instid1(VALU_DEP_1)
	v_and_or_b32 v5, 0x7f800000, v7, v5
	v_cndmask_b32_e32 v3, 0, v5, vcc_lo
	s_delay_alu instid0(VALU_DEP_1) | instskip(NEXT) | instid1(VALU_DEP_1)
	v_and_or_b32 v1, 0x80000000, v1, v3
	v_cvt_u32_f32_e32 v14, v1
.LBB340_1198:
	s_mov_b32 s3, 0
.LBB340_1199:
	s_delay_alu instid0(SALU_CYCLE_1)
	s_and_not1_b32 vcc_lo, exec_lo, s3
	s_cbranch_vccnz .LBB340_1201
; %bb.1200:
	global_load_u8 v1, v[16:17], off
	s_wait_loadcnt 0x0
	v_lshlrev_b32_e32 v3, 25, v1
	v_lshlrev_b16 v1, 8, v1
	s_delay_alu instid0(VALU_DEP_1) | instskip(SKIP_1) | instid1(VALU_DEP_2)
	v_and_or_b32 v7, 0x7f00, v1, 0.5
	v_bfe_i32 v1, v1, 0, 16
	v_add_f32_e32 v7, -0.5, v7
	v_lshrrev_b32_e32 v5, 4, v3
	v_cmp_gt_u32_e32 vcc_lo, 0x8000000, v3
	s_delay_alu instid0(VALU_DEP_2) | instskip(NEXT) | instid1(VALU_DEP_1)
	v_or_b32_e32 v5, 0x70000000, v5
	v_mul_f32_e32 v5, 0x7800000, v5
	s_delay_alu instid0(VALU_DEP_1) | instskip(NEXT) | instid1(VALU_DEP_1)
	v_cndmask_b32_e32 v3, v5, v7, vcc_lo
	v_and_or_b32 v1, 0x80000000, v1, v3
	s_delay_alu instid0(VALU_DEP_1)
	v_cvt_u32_f32_e32 v14, v1
.LBB340_1201:
	s_mov_b32 s11, -1
	s_mov_b32 s10, 0
	s_cbranch_execnz .LBB340_1212
.LBB340_1202:
	s_cmp_gt_i32 s1, 14
	s_cbranch_scc0 .LBB340_1205
; %bb.1203:
	s_cmp_eq_u32 s1, 15
	s_cbranch_scc0 .LBB340_1208
; %bb.1204:
	global_load_u16 v1, v[16:17], off
	s_mov_b32 s2, 0
	s_mov_b32 s11, -1
	s_wait_loadcnt 0x0
	v_lshlrev_b32_e32 v1, 16, v1
	s_delay_alu instid0(VALU_DEP_1)
	v_cvt_u32_f32_e32 v14, v1
	s_branch .LBB340_1209
.LBB340_1205:
	s_mov_b32 s3, -1
                                        ; implicit-def: $vgpr14
	s_branch .LBB340_1210
.LBB340_1206:
	s_and_not1_saveexec_b32 s3, s3
	s_cbranch_execz .LBB340_1188
.LBB340_1207:
	v_cmp_ne_u16_e32 vcc_lo, 0, v1
	s_and_not1_b32 s10, s10, exec_lo
	s_and_b32 s11, vcc_lo, exec_lo
	s_delay_alu instid0(SALU_CYCLE_1)
	s_or_b32 s10, s10, s11
	s_or_b32 exec_lo, exec_lo, s3
	v_mov_b32_e32 v14, 0
	s_and_saveexec_b32 s3, s10
	s_cbranch_execnz .LBB340_1189
	s_branch .LBB340_1190
.LBB340_1208:
	s_mov_b32 s2, -1
                                        ; implicit-def: $vgpr14
.LBB340_1209:
	s_mov_b32 s3, 0
.LBB340_1210:
	s_delay_alu instid0(SALU_CYCLE_1)
	s_and_b32 vcc_lo, exec_lo, s3
	s_cbranch_vccz .LBB340_1212
; %bb.1211:
	s_cmp_lg_u32 s1, 11
	s_mov_b32 s10, -1
	s_cselect_b32 s2, -1, 0
.LBB340_1212:
	s_delay_alu instid0(SALU_CYCLE_1)
	s_and_b32 vcc_lo, exec_lo, s2
	s_mov_b32 s3, s8
	s_cbranch_vccnz .LBB340_1273
; %bb.1213:
	s_and_not1_b32 vcc_lo, exec_lo, s10
	s_cbranch_vccnz .LBB340_1215
.LBB340_1214:
	global_load_u8 v1, v[16:17], off
	s_mov_b32 s11, -1
	s_wait_loadcnt 0x0
	v_cmp_ne_u16_e32 vcc_lo, 0, v1
	v_cndmask_b32_e64 v14, 0, 1, vcc_lo
.LBB340_1215:
	s_branch .LBB340_1149
.LBB340_1216:
	s_and_b32 s1, 0xffff, s0
	s_delay_alu instid0(SALU_CYCLE_1)
	s_cmp_lt_i32 s1, 5
	s_cbranch_scc1 .LBB340_1221
; %bb.1217:
	s_cmp_lt_i32 s1, 8
	s_cbranch_scc1 .LBB340_1222
; %bb.1218:
	;; [unrolled: 3-line block ×3, first 2 shown]
	s_cmp_gt_i32 s1, 9
	s_cbranch_scc0 .LBB340_1224
; %bb.1220:
	s_wait_loadcnt 0x0
	global_load_b64 v[14:15], v[16:17], off
	s_mov_b32 s2, 0
	s_wait_loadcnt 0x0
	v_cvt_u32_f64_e32 v14, v[14:15]
	s_branch .LBB340_1225
.LBB340_1221:
                                        ; implicit-def: $vgpr14
	s_branch .LBB340_1242
.LBB340_1222:
                                        ; implicit-def: $vgpr14
	s_branch .LBB340_1231
.LBB340_1223:
	s_mov_b32 s2, -1
                                        ; implicit-def: $vgpr14
	s_branch .LBB340_1228
.LBB340_1224:
	s_mov_b32 s2, -1
                                        ; implicit-def: $vgpr14
.LBB340_1225:
	s_delay_alu instid0(SALU_CYCLE_1)
	s_and_not1_b32 vcc_lo, exec_lo, s2
	s_cbranch_vccnz .LBB340_1227
; %bb.1226:
	global_load_b32 v1, v[16:17], off
	s_wait_loadcnt 0x0
	v_cvt_u32_f32_e32 v14, v1
.LBB340_1227:
	s_mov_b32 s2, 0
.LBB340_1228:
	s_delay_alu instid0(SALU_CYCLE_1)
	s_and_not1_b32 vcc_lo, exec_lo, s2
	s_cbranch_vccnz .LBB340_1230
; %bb.1229:
	global_load_b32 v1, v[16:17], off
	s_wait_loadcnt 0x0
	v_cvt_u16_f16_e32 v14, v1
.LBB340_1230:
	s_cbranch_execnz .LBB340_1241
.LBB340_1231:
	s_cmp_lt_i32 s1, 6
	s_cbranch_scc1 .LBB340_1234
; %bb.1232:
	s_cmp_gt_i32 s1, 6
	s_cbranch_scc0 .LBB340_1235
; %bb.1233:
	s_wait_loadcnt 0x0
	global_load_b64 v[14:15], v[16:17], off
	s_mov_b32 s2, 0
	s_wait_loadcnt 0x0
	v_cvt_u32_f64_e32 v14, v[14:15]
	s_branch .LBB340_1236
.LBB340_1234:
	s_mov_b32 s2, -1
                                        ; implicit-def: $vgpr14
	s_branch .LBB340_1239
.LBB340_1235:
	s_mov_b32 s2, -1
                                        ; implicit-def: $vgpr14
.LBB340_1236:
	s_delay_alu instid0(SALU_CYCLE_1)
	s_and_not1_b32 vcc_lo, exec_lo, s2
	s_cbranch_vccnz .LBB340_1238
; %bb.1237:
	global_load_b32 v1, v[16:17], off
	s_wait_loadcnt 0x0
	v_cvt_u32_f32_e32 v14, v1
.LBB340_1238:
	s_mov_b32 s2, 0
.LBB340_1239:
	s_delay_alu instid0(SALU_CYCLE_1)
	s_and_not1_b32 vcc_lo, exec_lo, s2
	s_cbranch_vccnz .LBB340_1241
; %bb.1240:
	global_load_u16 v1, v[16:17], off
	s_wait_loadcnt 0x0
	v_cvt_u16_f16_e32 v14, v1
.LBB340_1241:
	s_cbranch_execnz .LBB340_1260
.LBB340_1242:
	s_cmp_lt_i32 s1, 2
	s_cbranch_scc1 .LBB340_1246
; %bb.1243:
	s_cmp_lt_i32 s1, 3
	s_cbranch_scc1 .LBB340_1247
; %bb.1244:
	s_cmp_gt_i32 s1, 3
	s_cbranch_scc0 .LBB340_1248
; %bb.1245:
	s_wait_loadcnt 0x0
	global_load_b64 v[14:15], v[16:17], off
	s_mov_b32 s2, 0
	s_branch .LBB340_1249
.LBB340_1246:
                                        ; implicit-def: $vgpr14
	s_branch .LBB340_1255
.LBB340_1247:
	s_mov_b32 s2, -1
                                        ; implicit-def: $vgpr14
	s_branch .LBB340_1252
.LBB340_1248:
	s_mov_b32 s2, -1
                                        ; implicit-def: $vgpr14
.LBB340_1249:
	s_delay_alu instid0(SALU_CYCLE_1)
	s_and_not1_b32 vcc_lo, exec_lo, s2
	s_cbranch_vccnz .LBB340_1251
; %bb.1250:
	s_wait_loadcnt 0x0
	global_load_b32 v14, v[16:17], off
.LBB340_1251:
	s_mov_b32 s2, 0
.LBB340_1252:
	s_delay_alu instid0(SALU_CYCLE_1)
	s_and_not1_b32 vcc_lo, exec_lo, s2
	s_cbranch_vccnz .LBB340_1254
; %bb.1253:
	s_wait_loadcnt 0x0
	global_load_u16 v14, v[16:17], off
.LBB340_1254:
	s_cbranch_execnz .LBB340_1260
.LBB340_1255:
	s_cmp_gt_i32 s1, 0
	s_mov_b32 s1, 0
	s_cbranch_scc0 .LBB340_1257
; %bb.1256:
	s_wait_loadcnt 0x0
	global_load_i8 v14, v[16:17], off
	s_branch .LBB340_1258
.LBB340_1257:
	s_mov_b32 s1, -1
                                        ; implicit-def: $vgpr14
.LBB340_1258:
	s_delay_alu instid0(SALU_CYCLE_1)
	s_and_not1_b32 vcc_lo, exec_lo, s1
	s_cbranch_vccnz .LBB340_1260
; %bb.1259:
	s_wait_loadcnt 0x0
	global_load_u8 v14, v[16:17], off
.LBB340_1260:
.LBB340_1261:
	v_mov_b32_e32 v13, 0
	s_and_b32 s0, 0xffff, s0
	s_delay_alu instid0(SALU_CYCLE_1) | instskip(SKIP_1) | instid1(VALU_DEP_1)
	s_cmp_lt_i32 s0, 11
	s_wait_xcnt 0x0
	v_add_nc_u64_e32 v[16:17], s[6:7], v[12:13]
	s_cbranch_scc1 .LBB340_1268
; %bb.1262:
	s_cmp_gt_i32 s0, 25
	s_mov_b32 s2, 0
	s_cbranch_scc0 .LBB340_1270
; %bb.1263:
	s_cmp_gt_i32 s0, 28
	s_cbranch_scc0 .LBB340_1271
; %bb.1264:
	s_cmp_gt_i32 s0, 43
	;; [unrolled: 3-line block ×3, first 2 shown]
	s_cbranch_scc0 .LBB340_1274
; %bb.1266:
	s_cmp_eq_u32 s0, 46
	s_mov_b32 s11, 0
	s_cbranch_scc0 .LBB340_1277
; %bb.1267:
	global_load_b32 v1, v[16:17], off
	s_mov_b32 s1, 0
	s_mov_b32 s10, -1
	s_wait_loadcnt 0x0
	v_lshlrev_b32_e32 v1, 16, v1
	s_delay_alu instid0(VALU_DEP_1)
	v_cvt_u32_f32_e32 v12, v1
	s_branch .LBB340_1279
.LBB340_1268:
	s_mov_b32 s10, 0
                                        ; implicit-def: $vgpr12
	s_cbranch_execnz .LBB340_1340
.LBB340_1269:
	s_and_not1_b32 vcc_lo, exec_lo, s10
	s_cbranch_vccnz .LBB340_2072
	s_branch .LBB340_1387
.LBB340_1270:
	s_mov_b32 s10, 0
	s_mov_b32 s1, 0
                                        ; implicit-def: $vgpr12
	s_cbranch_execnz .LBB340_1306
	s_branch .LBB340_1336
.LBB340_1271:
	s_mov_b32 s11, -1
	s_mov_b32 s10, 0
	s_mov_b32 s1, 0
                                        ; implicit-def: $vgpr12
	s_branch .LBB340_1289
.LBB340_1272:
	s_mov_b32 s11, -1
	s_mov_b32 s10, 0
	s_mov_b32 s1, 0
                                        ; implicit-def: $vgpr12
	s_branch .LBB340_1284
.LBB340_1273:
	s_or_b32 s3, s8, exec_lo
	s_trap 2
	s_cbranch_execz .LBB340_1214
	s_branch .LBB340_1215
.LBB340_1274:
	s_mov_b32 s11, -1
	s_mov_b32 s10, 0
	s_mov_b32 s1, 0
	s_branch .LBB340_1278
.LBB340_1275:
	s_and_not1_saveexec_b32 s9, s9
	s_cbranch_execz .LBB340_1005
.LBB340_1276:
	v_add_f32_e32 v2, 0x42800000, v3
	s_and_not1_b32 s5, s5, exec_lo
	s_delay_alu instid0(VALU_DEP_1) | instskip(NEXT) | instid1(VALU_DEP_1)
	v_and_b32_e32 v2, 0xff, v2
	v_cmp_ne_u32_e32 vcc_lo, 0, v2
	s_and_b32 s11, vcc_lo, exec_lo
	s_delay_alu instid0(SALU_CYCLE_1)
	s_or_b32 s5, s5, s11
	s_or_b32 exec_lo, exec_lo, s9
	v_mov_b32_e32 v4, 0
	s_and_saveexec_b32 s9, s5
	s_cbranch_execnz .LBB340_1006
	s_branch .LBB340_1007
.LBB340_1277:
	s_mov_b32 s1, -1
	s_mov_b32 s10, 0
.LBB340_1278:
                                        ; implicit-def: $vgpr12
.LBB340_1279:
	s_and_b32 vcc_lo, exec_lo, s11
	s_cbranch_vccz .LBB340_1283
; %bb.1280:
	s_cmp_eq_u32 s0, 44
	s_cbranch_scc0 .LBB340_1282
; %bb.1281:
	global_load_u8 v1, v[16:17], off
	s_mov_b32 s1, 0
	s_mov_b32 s10, -1
	s_wait_loadcnt 0x0
	v_lshlrev_b32_e32 v3, 23, v1
	v_cmp_ne_u32_e32 vcc_lo, 0, v1
	s_delay_alu instid0(VALU_DEP_2) | instskip(NEXT) | instid1(VALU_DEP_1)
	v_cvt_u32_f32_e32 v3, v3
	v_cndmask_b32_e32 v12, 0, v3, vcc_lo
	s_branch .LBB340_1283
.LBB340_1282:
	s_mov_b32 s1, -1
                                        ; implicit-def: $vgpr12
.LBB340_1283:
	s_mov_b32 s11, 0
.LBB340_1284:
	s_delay_alu instid0(SALU_CYCLE_1)
	s_and_b32 vcc_lo, exec_lo, s11
	s_cbranch_vccz .LBB340_1288
; %bb.1285:
	s_cmp_eq_u32 s0, 29
	s_cbranch_scc0 .LBB340_1287
; %bb.1286:
	global_load_b64 v[12:13], v[16:17], off
	s_mov_b32 s1, 0
	s_mov_b32 s10, -1
	s_branch .LBB340_1288
.LBB340_1287:
	s_mov_b32 s1, -1
                                        ; implicit-def: $vgpr12
.LBB340_1288:
	s_mov_b32 s11, 0
.LBB340_1289:
	s_delay_alu instid0(SALU_CYCLE_1)
	s_and_b32 vcc_lo, exec_lo, s11
	s_cbranch_vccz .LBB340_1305
; %bb.1290:
	s_cmp_lt_i32 s0, 27
	s_cbranch_scc1 .LBB340_1293
; %bb.1291:
	s_cmp_gt_i32 s0, 27
	s_cbranch_scc0 .LBB340_1294
; %bb.1292:
	s_wait_loadcnt 0x0
	global_load_b32 v12, v[16:17], off
	s_mov_b32 s10, 0
	s_branch .LBB340_1295
.LBB340_1293:
	s_mov_b32 s10, -1
                                        ; implicit-def: $vgpr12
	s_branch .LBB340_1298
.LBB340_1294:
	s_mov_b32 s10, -1
                                        ; implicit-def: $vgpr12
.LBB340_1295:
	s_delay_alu instid0(SALU_CYCLE_1)
	s_and_not1_b32 vcc_lo, exec_lo, s10
	s_cbranch_vccnz .LBB340_1297
; %bb.1296:
	s_wait_loadcnt 0x0
	global_load_u16 v12, v[16:17], off
.LBB340_1297:
	s_mov_b32 s10, 0
.LBB340_1298:
	s_delay_alu instid0(SALU_CYCLE_1)
	s_and_not1_b32 vcc_lo, exec_lo, s10
	s_cbranch_vccnz .LBB340_1304
; %bb.1299:
	global_load_u8 v1, v[16:17], off
	s_mov_b32 s11, 0
	s_mov_b32 s10, exec_lo
	s_wait_loadcnt 0x0
	v_cmpx_lt_i16_e32 0x7f, v1
	s_xor_b32 s10, exec_lo, s10
	s_cbranch_execz .LBB340_1315
; %bb.1300:
	v_cmp_ne_u16_e32 vcc_lo, 0x80, v1
	s_and_b32 s11, vcc_lo, exec_lo
	s_and_not1_saveexec_b32 s10, s10
	s_cbranch_execnz .LBB340_1316
.LBB340_1301:
	s_or_b32 exec_lo, exec_lo, s10
	v_mov_b32_e32 v12, 0
	s_and_saveexec_b32 s10, s11
	s_cbranch_execz .LBB340_1303
.LBB340_1302:
	v_and_b32_e32 v3, 0xffff, v1
	s_delay_alu instid0(VALU_DEP_1) | instskip(SKIP_1) | instid1(VALU_DEP_2)
	v_dual_lshlrev_b32 v1, 24, v1 :: v_dual_bitop2_b32 v5, 7, v3 bitop3:0x40
	v_bfe_u32 v11, v3, 3, 4
	v_and_b32_e32 v1, 0x80000000, v1
	s_delay_alu instid0(VALU_DEP_3) | instskip(NEXT) | instid1(VALU_DEP_3)
	v_clz_i32_u32_e32 v7, v5
	v_cmp_eq_u32_e32 vcc_lo, 0, v11
	s_delay_alu instid0(VALU_DEP_2) | instskip(NEXT) | instid1(VALU_DEP_1)
	v_min_u32_e32 v7, 32, v7
	v_subrev_nc_u32_e32 v9, 28, v7
	v_sub_nc_u32_e32 v7, 29, v7
	s_delay_alu instid0(VALU_DEP_2) | instskip(NEXT) | instid1(VALU_DEP_2)
	v_lshlrev_b32_e32 v3, v9, v3
	v_cndmask_b32_e32 v7, v11, v7, vcc_lo
	s_delay_alu instid0(VALU_DEP_2) | instskip(NEXT) | instid1(VALU_DEP_1)
	v_and_b32_e32 v3, 7, v3
	v_cndmask_b32_e32 v3, v5, v3, vcc_lo
	s_delay_alu instid0(VALU_DEP_3) | instskip(NEXT) | instid1(VALU_DEP_2)
	v_lshl_add_u32 v5, v7, 23, 0x3b800000
	v_lshlrev_b32_e32 v3, 20, v3
	s_delay_alu instid0(VALU_DEP_1) | instskip(NEXT) | instid1(VALU_DEP_1)
	v_or3_b32 v1, v1, v5, v3
	v_cvt_u32_f32_e32 v12, v1
.LBB340_1303:
	s_or_b32 exec_lo, exec_lo, s10
.LBB340_1304:
	s_mov_b32 s10, -1
.LBB340_1305:
	s_branch .LBB340_1336
.LBB340_1306:
	s_cmp_gt_i32 s0, 22
	s_cbranch_scc0 .LBB340_1314
; %bb.1307:
	s_cmp_lt_i32 s0, 24
	s_cbranch_scc1 .LBB340_1317
; %bb.1308:
	s_cmp_gt_i32 s0, 24
	s_cbranch_scc0 .LBB340_1318
; %bb.1309:
	global_load_u8 v1, v[16:17], off
	s_mov_b32 s10, 0
	s_mov_b32 s2, exec_lo
	s_wait_loadcnt 0x0
	v_cmpx_lt_i16_e32 0x7f, v1
	s_xor_b32 s2, exec_lo, s2
	s_cbranch_execz .LBB340_1330
; %bb.1310:
	v_cmp_ne_u16_e32 vcc_lo, 0x80, v1
	s_and_b32 s10, vcc_lo, exec_lo
	s_and_not1_saveexec_b32 s2, s2
	s_cbranch_execnz .LBB340_1331
.LBB340_1311:
	s_or_b32 exec_lo, exec_lo, s2
	v_mov_b32_e32 v12, 0
	s_and_saveexec_b32 s2, s10
	s_cbranch_execz .LBB340_1313
.LBB340_1312:
	v_and_b32_e32 v3, 0xffff, v1
	s_delay_alu instid0(VALU_DEP_1) | instskip(SKIP_1) | instid1(VALU_DEP_2)
	v_dual_lshlrev_b32 v1, 24, v1 :: v_dual_bitop2_b32 v5, 3, v3 bitop3:0x40
	v_bfe_u32 v11, v3, 2, 5
	v_and_b32_e32 v1, 0x80000000, v1
	s_delay_alu instid0(VALU_DEP_3) | instskip(NEXT) | instid1(VALU_DEP_3)
	v_clz_i32_u32_e32 v7, v5
	v_cmp_eq_u32_e32 vcc_lo, 0, v11
	s_delay_alu instid0(VALU_DEP_2) | instskip(NEXT) | instid1(VALU_DEP_1)
	v_min_u32_e32 v7, 32, v7
	v_subrev_nc_u32_e32 v9, 29, v7
	v_sub_nc_u32_e32 v7, 30, v7
	s_delay_alu instid0(VALU_DEP_2) | instskip(NEXT) | instid1(VALU_DEP_2)
	v_lshlrev_b32_e32 v3, v9, v3
	v_cndmask_b32_e32 v7, v11, v7, vcc_lo
	s_delay_alu instid0(VALU_DEP_2) | instskip(NEXT) | instid1(VALU_DEP_1)
	v_and_b32_e32 v3, 3, v3
	v_cndmask_b32_e32 v3, v5, v3, vcc_lo
	s_delay_alu instid0(VALU_DEP_3) | instskip(NEXT) | instid1(VALU_DEP_2)
	v_lshl_add_u32 v5, v7, 23, 0x37800000
	v_lshlrev_b32_e32 v3, 21, v3
	s_delay_alu instid0(VALU_DEP_1) | instskip(NEXT) | instid1(VALU_DEP_1)
	v_or3_b32 v1, v1, v5, v3
	v_cvt_u32_f32_e32 v12, v1
.LBB340_1313:
	s_or_b32 exec_lo, exec_lo, s2
	s_mov_b32 s2, 0
	s_branch .LBB340_1319
.LBB340_1314:
	s_mov_b32 s2, -1
                                        ; implicit-def: $vgpr12
	s_branch .LBB340_1325
.LBB340_1315:
	s_and_not1_saveexec_b32 s10, s10
	s_cbranch_execz .LBB340_1301
.LBB340_1316:
	v_cmp_ne_u16_e32 vcc_lo, 0, v1
	s_and_not1_b32 s11, s11, exec_lo
	s_and_b32 s12, vcc_lo, exec_lo
	s_delay_alu instid0(SALU_CYCLE_1)
	s_or_b32 s11, s11, s12
	s_or_b32 exec_lo, exec_lo, s10
	v_mov_b32_e32 v12, 0
	s_and_saveexec_b32 s10, s11
	s_cbranch_execnz .LBB340_1302
	s_branch .LBB340_1303
.LBB340_1317:
	s_mov_b32 s2, -1
                                        ; implicit-def: $vgpr12
	s_branch .LBB340_1322
.LBB340_1318:
	s_mov_b32 s2, -1
                                        ; implicit-def: $vgpr12
.LBB340_1319:
	s_delay_alu instid0(SALU_CYCLE_1)
	s_and_b32 vcc_lo, exec_lo, s2
	s_cbranch_vccz .LBB340_1321
; %bb.1320:
	global_load_u8 v1, v[16:17], off
	s_wait_loadcnt 0x0
	v_lshlrev_b32_e32 v1, 24, v1
	s_delay_alu instid0(VALU_DEP_1) | instskip(NEXT) | instid1(VALU_DEP_1)
	v_and_b32_e32 v3, 0x7f000000, v1
	v_clz_i32_u32_e32 v5, v3
	v_add_nc_u32_e32 v9, 0x1000000, v3
	v_cmp_ne_u32_e32 vcc_lo, 0, v3
	s_delay_alu instid0(VALU_DEP_3) | instskip(NEXT) | instid1(VALU_DEP_1)
	v_min_u32_e32 v5, 32, v5
	v_sub_nc_u32_e64 v5, v5, 4 clamp
	s_delay_alu instid0(VALU_DEP_1) | instskip(NEXT) | instid1(VALU_DEP_1)
	v_dual_lshlrev_b32 v7, v5, v3 :: v_dual_lshlrev_b32 v5, 23, v5
	v_lshrrev_b32_e32 v7, 4, v7
	s_delay_alu instid0(VALU_DEP_1) | instskip(SKIP_1) | instid1(VALU_DEP_2)
	v_sub_nc_u32_e32 v5, v7, v5
	v_ashrrev_i32_e32 v7, 8, v9
	v_add_nc_u32_e32 v5, 0x3c000000, v5
	s_delay_alu instid0(VALU_DEP_1) | instskip(NEXT) | instid1(VALU_DEP_1)
	v_and_or_b32 v5, 0x7f800000, v7, v5
	v_cndmask_b32_e32 v3, 0, v5, vcc_lo
	s_delay_alu instid0(VALU_DEP_1) | instskip(NEXT) | instid1(VALU_DEP_1)
	v_and_or_b32 v1, 0x80000000, v1, v3
	v_cvt_u32_f32_e32 v12, v1
.LBB340_1321:
	s_mov_b32 s2, 0
.LBB340_1322:
	s_delay_alu instid0(SALU_CYCLE_1)
	s_and_not1_b32 vcc_lo, exec_lo, s2
	s_cbranch_vccnz .LBB340_1324
; %bb.1323:
	global_load_u8 v1, v[16:17], off
	s_wait_loadcnt 0x0
	v_lshlrev_b32_e32 v3, 25, v1
	v_lshlrev_b16 v1, 8, v1
	s_delay_alu instid0(VALU_DEP_1) | instskip(SKIP_1) | instid1(VALU_DEP_2)
	v_and_or_b32 v7, 0x7f00, v1, 0.5
	v_bfe_i32 v1, v1, 0, 16
	v_add_f32_e32 v7, -0.5, v7
	v_lshrrev_b32_e32 v5, 4, v3
	v_cmp_gt_u32_e32 vcc_lo, 0x8000000, v3
	s_delay_alu instid0(VALU_DEP_2) | instskip(NEXT) | instid1(VALU_DEP_1)
	v_or_b32_e32 v5, 0x70000000, v5
	v_mul_f32_e32 v5, 0x7800000, v5
	s_delay_alu instid0(VALU_DEP_1) | instskip(NEXT) | instid1(VALU_DEP_1)
	v_cndmask_b32_e32 v3, v5, v7, vcc_lo
	v_and_or_b32 v1, 0x80000000, v1, v3
	s_delay_alu instid0(VALU_DEP_1)
	v_cvt_u32_f32_e32 v12, v1
.LBB340_1324:
	s_mov_b32 s2, 0
	s_mov_b32 s10, -1
.LBB340_1325:
	s_and_not1_b32 vcc_lo, exec_lo, s2
	s_mov_b32 s2, 0
	s_cbranch_vccnz .LBB340_1336
; %bb.1326:
	s_cmp_gt_i32 s0, 14
	s_cbranch_scc0 .LBB340_1329
; %bb.1327:
	s_cmp_eq_u32 s0, 15
	s_cbranch_scc0 .LBB340_1332
; %bb.1328:
	global_load_u16 v1, v[16:17], off
	s_mov_b32 s1, 0
	s_mov_b32 s10, -1
	s_wait_loadcnt 0x0
	v_lshlrev_b32_e32 v1, 16, v1
	s_delay_alu instid0(VALU_DEP_1)
	v_cvt_u32_f32_e32 v12, v1
	s_branch .LBB340_1334
.LBB340_1329:
	s_mov_b32 s2, -1
	s_branch .LBB340_1333
.LBB340_1330:
	s_and_not1_saveexec_b32 s2, s2
	s_cbranch_execz .LBB340_1311
.LBB340_1331:
	v_cmp_ne_u16_e32 vcc_lo, 0, v1
	s_and_not1_b32 s10, s10, exec_lo
	s_and_b32 s11, vcc_lo, exec_lo
	s_delay_alu instid0(SALU_CYCLE_1)
	s_or_b32 s10, s10, s11
	s_or_b32 exec_lo, exec_lo, s2
	v_mov_b32_e32 v12, 0
	s_and_saveexec_b32 s2, s10
	s_cbranch_execnz .LBB340_1312
	s_branch .LBB340_1313
.LBB340_1332:
	s_mov_b32 s1, -1
.LBB340_1333:
                                        ; implicit-def: $vgpr12
.LBB340_1334:
	s_and_b32 vcc_lo, exec_lo, s2
	s_mov_b32 s2, 0
	s_cbranch_vccz .LBB340_1336
; %bb.1335:
	s_cmp_lg_u32 s0, 11
	s_mov_b32 s2, -1
	s_cselect_b32 s1, -1, 0
.LBB340_1336:
	s_delay_alu instid0(SALU_CYCLE_1)
	s_and_b32 vcc_lo, exec_lo, s1
	s_cbranch_vccnz .LBB340_1399
; %bb.1337:
	s_and_not1_b32 vcc_lo, exec_lo, s2
	s_cbranch_vccnz .LBB340_1339
.LBB340_1338:
	global_load_u8 v1, v[16:17], off
	s_mov_b32 s10, -1
	s_wait_loadcnt 0x0
	v_cmp_ne_u16_e32 vcc_lo, 0, v1
	v_cndmask_b32_e64 v12, 0, 1, vcc_lo
.LBB340_1339:
	s_branch .LBB340_1269
.LBB340_1340:
	s_cmp_lt_i32 s0, 5
	s_cbranch_scc1 .LBB340_1345
; %bb.1341:
	s_cmp_lt_i32 s0, 8
	s_cbranch_scc1 .LBB340_1346
; %bb.1342:
	;; [unrolled: 3-line block ×3, first 2 shown]
	s_cmp_gt_i32 s0, 9
	s_cbranch_scc0 .LBB340_1348
; %bb.1344:
	s_wait_loadcnt 0x0
	global_load_b64 v[12:13], v[16:17], off
	s_mov_b32 s1, 0
	s_wait_loadcnt 0x0
	v_cvt_u32_f64_e32 v12, v[12:13]
	s_branch .LBB340_1349
.LBB340_1345:
                                        ; implicit-def: $vgpr12
	s_branch .LBB340_1367
.LBB340_1346:
	s_mov_b32 s1, -1
                                        ; implicit-def: $vgpr12
	s_branch .LBB340_1355
.LBB340_1347:
	s_mov_b32 s1, -1
                                        ; implicit-def: $vgpr12
	s_branch .LBB340_1352
.LBB340_1348:
	s_mov_b32 s1, -1
                                        ; implicit-def: $vgpr12
.LBB340_1349:
	s_delay_alu instid0(SALU_CYCLE_1)
	s_and_not1_b32 vcc_lo, exec_lo, s1
	s_cbranch_vccnz .LBB340_1351
; %bb.1350:
	global_load_b32 v1, v[16:17], off
	s_wait_loadcnt 0x0
	v_cvt_u32_f32_e32 v12, v1
.LBB340_1351:
	s_mov_b32 s1, 0
.LBB340_1352:
	s_delay_alu instid0(SALU_CYCLE_1)
	s_and_not1_b32 vcc_lo, exec_lo, s1
	s_cbranch_vccnz .LBB340_1354
; %bb.1353:
	global_load_b32 v1, v[16:17], off
	s_wait_loadcnt 0x0
	v_cvt_u16_f16_e32 v12, v1
.LBB340_1354:
	s_mov_b32 s1, 0
.LBB340_1355:
	s_delay_alu instid0(SALU_CYCLE_1)
	s_and_not1_b32 vcc_lo, exec_lo, s1
	s_cbranch_vccnz .LBB340_1366
; %bb.1356:
	s_cmp_lt_i32 s0, 6
	s_cbranch_scc1 .LBB340_1359
; %bb.1357:
	s_cmp_gt_i32 s0, 6
	s_cbranch_scc0 .LBB340_1360
; %bb.1358:
	s_wait_loadcnt 0x0
	global_load_b64 v[12:13], v[16:17], off
	s_mov_b32 s1, 0
	s_wait_loadcnt 0x0
	v_cvt_u32_f64_e32 v12, v[12:13]
	s_branch .LBB340_1361
.LBB340_1359:
	s_mov_b32 s1, -1
                                        ; implicit-def: $vgpr12
	s_branch .LBB340_1364
.LBB340_1360:
	s_mov_b32 s1, -1
                                        ; implicit-def: $vgpr12
.LBB340_1361:
	s_delay_alu instid0(SALU_CYCLE_1)
	s_and_not1_b32 vcc_lo, exec_lo, s1
	s_cbranch_vccnz .LBB340_1363
; %bb.1362:
	global_load_b32 v1, v[16:17], off
	s_wait_loadcnt 0x0
	v_cvt_u32_f32_e32 v12, v1
.LBB340_1363:
	s_mov_b32 s1, 0
.LBB340_1364:
	s_delay_alu instid0(SALU_CYCLE_1)
	s_and_not1_b32 vcc_lo, exec_lo, s1
	s_cbranch_vccnz .LBB340_1366
; %bb.1365:
	global_load_u16 v1, v[16:17], off
	s_wait_loadcnt 0x0
	v_cvt_u16_f16_e32 v12, v1
.LBB340_1366:
	s_cbranch_execnz .LBB340_1386
.LBB340_1367:
	s_cmp_lt_i32 s0, 2
	s_cbranch_scc1 .LBB340_1371
; %bb.1368:
	s_cmp_lt_i32 s0, 3
	s_cbranch_scc1 .LBB340_1372
; %bb.1369:
	s_cmp_gt_i32 s0, 3
	s_cbranch_scc0 .LBB340_1373
; %bb.1370:
	s_wait_loadcnt 0x0
	global_load_b64 v[12:13], v[16:17], off
	s_mov_b32 s1, 0
	s_branch .LBB340_1374
.LBB340_1371:
	s_mov_b32 s1, -1
                                        ; implicit-def: $vgpr12
	s_branch .LBB340_1380
.LBB340_1372:
	s_mov_b32 s1, -1
                                        ; implicit-def: $vgpr12
	s_branch .LBB340_1377
.LBB340_1373:
	s_mov_b32 s1, -1
                                        ; implicit-def: $vgpr12
.LBB340_1374:
	s_delay_alu instid0(SALU_CYCLE_1)
	s_and_not1_b32 vcc_lo, exec_lo, s1
	s_cbranch_vccnz .LBB340_1376
; %bb.1375:
	s_wait_loadcnt 0x0
	global_load_b32 v12, v[16:17], off
.LBB340_1376:
	s_mov_b32 s1, 0
.LBB340_1377:
	s_delay_alu instid0(SALU_CYCLE_1)
	s_and_not1_b32 vcc_lo, exec_lo, s1
	s_cbranch_vccnz .LBB340_1379
; %bb.1378:
	s_wait_loadcnt 0x0
	global_load_u16 v12, v[16:17], off
.LBB340_1379:
	s_mov_b32 s1, 0
.LBB340_1380:
	s_delay_alu instid0(SALU_CYCLE_1)
	s_and_not1_b32 vcc_lo, exec_lo, s1
	s_cbranch_vccnz .LBB340_1386
; %bb.1381:
	s_cmp_gt_i32 s0, 0
	s_mov_b32 s1, 0
	s_cbranch_scc0 .LBB340_1383
; %bb.1382:
	s_wait_loadcnt 0x0
	global_load_i8 v12, v[16:17], off
	s_branch .LBB340_1384
.LBB340_1383:
	s_mov_b32 s1, -1
                                        ; implicit-def: $vgpr12
.LBB340_1384:
	s_delay_alu instid0(SALU_CYCLE_1)
	s_and_not1_b32 vcc_lo, exec_lo, s1
	s_cbranch_vccnz .LBB340_1386
; %bb.1385:
	s_wait_loadcnt 0x0
	global_load_u8 v12, v[16:17], off
.LBB340_1386:
.LBB340_1387:
	v_mov_b32_e32 v11, 0
	s_cmp_lt_i32 s0, 11
	s_wait_xcnt 0x0
	s_delay_alu instid0(VALU_DEP_1)
	v_add_nc_u64_e32 v[16:17], s[6:7], v[10:11]
	s_cbranch_scc1 .LBB340_1394
; %bb.1388:
	s_cmp_gt_i32 s0, 25
	s_mov_b32 s2, 0
	s_cbranch_scc0 .LBB340_1396
; %bb.1389:
	s_cmp_gt_i32 s0, 28
	s_cbranch_scc0 .LBB340_1397
; %bb.1390:
	s_cmp_gt_i32 s0, 43
	;; [unrolled: 3-line block ×3, first 2 shown]
	s_cbranch_scc0 .LBB340_1400
; %bb.1392:
	s_cmp_eq_u32 s0, 46
	s_mov_b32 s11, 0
	s_cbranch_scc0 .LBB340_1401
; %bb.1393:
	global_load_b32 v1, v[16:17], off
	s_mov_b32 s1, 0
	s_mov_b32 s10, -1
	s_wait_loadcnt 0x0
	v_lshlrev_b32_e32 v1, 16, v1
	s_delay_alu instid0(VALU_DEP_1)
	v_cvt_u32_f32_e32 v10, v1
	s_branch .LBB340_1403
.LBB340_1394:
	s_mov_b32 s10, 0
                                        ; implicit-def: $vgpr10
	s_cbranch_execnz .LBB340_1465
.LBB340_1395:
	s_and_not1_b32 vcc_lo, exec_lo, s10
	s_cbranch_vccnz .LBB340_2072
	s_branch .LBB340_1513
.LBB340_1396:
	s_mov_b32 s11, -1
	s_mov_b32 s10, 0
	s_mov_b32 s1, 0
                                        ; implicit-def: $vgpr10
	s_branch .LBB340_1430
.LBB340_1397:
	s_mov_b32 s11, -1
	s_mov_b32 s10, 0
	s_mov_b32 s1, 0
                                        ; implicit-def: $vgpr10
	s_branch .LBB340_1413
.LBB340_1398:
	s_mov_b32 s11, -1
	s_mov_b32 s10, 0
	s_mov_b32 s1, 0
                                        ; implicit-def: $vgpr10
	s_branch .LBB340_1408
.LBB340_1399:
	s_or_b32 s3, s3, exec_lo
	s_trap 2
	s_cbranch_execz .LBB340_1338
	s_branch .LBB340_1339
.LBB340_1400:
	s_mov_b32 s11, -1
	s_mov_b32 s10, 0
	s_mov_b32 s1, 0
	s_branch .LBB340_1402
.LBB340_1401:
	s_mov_b32 s1, -1
	s_mov_b32 s10, 0
.LBB340_1402:
                                        ; implicit-def: $vgpr10
.LBB340_1403:
	s_and_b32 vcc_lo, exec_lo, s11
	s_cbranch_vccz .LBB340_1407
; %bb.1404:
	s_cmp_eq_u32 s0, 44
	s_cbranch_scc0 .LBB340_1406
; %bb.1405:
	global_load_u8 v1, v[16:17], off
	s_mov_b32 s1, 0
	s_mov_b32 s10, -1
	s_wait_loadcnt 0x0
	v_lshlrev_b32_e32 v3, 23, v1
	v_cmp_ne_u32_e32 vcc_lo, 0, v1
	s_delay_alu instid0(VALU_DEP_2) | instskip(NEXT) | instid1(VALU_DEP_1)
	v_cvt_u32_f32_e32 v3, v3
	v_cndmask_b32_e32 v10, 0, v3, vcc_lo
	s_branch .LBB340_1407
.LBB340_1406:
	s_mov_b32 s1, -1
                                        ; implicit-def: $vgpr10
.LBB340_1407:
	s_mov_b32 s11, 0
.LBB340_1408:
	s_delay_alu instid0(SALU_CYCLE_1)
	s_and_b32 vcc_lo, exec_lo, s11
	s_cbranch_vccz .LBB340_1412
; %bb.1409:
	s_cmp_eq_u32 s0, 29
	s_cbranch_scc0 .LBB340_1411
; %bb.1410:
	global_load_b64 v[10:11], v[16:17], off
	s_mov_b32 s1, 0
	s_mov_b32 s10, -1
	s_branch .LBB340_1412
.LBB340_1411:
	s_mov_b32 s1, -1
                                        ; implicit-def: $vgpr10
.LBB340_1412:
	s_mov_b32 s11, 0
.LBB340_1413:
	s_delay_alu instid0(SALU_CYCLE_1)
	s_and_b32 vcc_lo, exec_lo, s11
	s_cbranch_vccz .LBB340_1429
; %bb.1414:
	s_cmp_lt_i32 s0, 27
	s_cbranch_scc1 .LBB340_1417
; %bb.1415:
	s_cmp_gt_i32 s0, 27
	s_cbranch_scc0 .LBB340_1418
; %bb.1416:
	s_wait_loadcnt 0x0
	global_load_b32 v10, v[16:17], off
	s_mov_b32 s10, 0
	s_branch .LBB340_1419
.LBB340_1417:
	s_mov_b32 s10, -1
                                        ; implicit-def: $vgpr10
	s_branch .LBB340_1422
.LBB340_1418:
	s_mov_b32 s10, -1
                                        ; implicit-def: $vgpr10
.LBB340_1419:
	s_delay_alu instid0(SALU_CYCLE_1)
	s_and_not1_b32 vcc_lo, exec_lo, s10
	s_cbranch_vccnz .LBB340_1421
; %bb.1420:
	s_wait_loadcnt 0x0
	global_load_u16 v10, v[16:17], off
.LBB340_1421:
	s_mov_b32 s10, 0
.LBB340_1422:
	s_delay_alu instid0(SALU_CYCLE_1)
	s_and_not1_b32 vcc_lo, exec_lo, s10
	s_cbranch_vccnz .LBB340_1428
; %bb.1423:
	global_load_u8 v1, v[16:17], off
	s_mov_b32 s11, 0
	s_mov_b32 s10, exec_lo
	s_wait_loadcnt 0x0
	v_cmpx_lt_i16_e32 0x7f, v1
	s_xor_b32 s10, exec_lo, s10
	s_cbranch_execz .LBB340_1440
; %bb.1424:
	v_cmp_ne_u16_e32 vcc_lo, 0x80, v1
	s_and_b32 s11, vcc_lo, exec_lo
	s_and_not1_saveexec_b32 s10, s10
	s_cbranch_execnz .LBB340_1441
.LBB340_1425:
	s_or_b32 exec_lo, exec_lo, s10
	v_mov_b32_e32 v10, 0
	s_and_saveexec_b32 s10, s11
	s_cbranch_execz .LBB340_1427
.LBB340_1426:
	v_and_b32_e32 v3, 0xffff, v1
	s_delay_alu instid0(VALU_DEP_1) | instskip(SKIP_1) | instid1(VALU_DEP_2)
	v_dual_lshlrev_b32 v1, 24, v1 :: v_dual_bitop2_b32 v5, 7, v3 bitop3:0x40
	v_bfe_u32 v10, v3, 3, 4
	v_and_b32_e32 v1, 0x80000000, v1
	s_delay_alu instid0(VALU_DEP_3) | instskip(NEXT) | instid1(VALU_DEP_3)
	v_clz_i32_u32_e32 v7, v5
	v_cmp_eq_u32_e32 vcc_lo, 0, v10
	s_delay_alu instid0(VALU_DEP_2) | instskip(NEXT) | instid1(VALU_DEP_1)
	v_min_u32_e32 v7, 32, v7
	v_subrev_nc_u32_e32 v9, 28, v7
	v_sub_nc_u32_e32 v7, 29, v7
	s_delay_alu instid0(VALU_DEP_2) | instskip(NEXT) | instid1(VALU_DEP_2)
	v_lshlrev_b32_e32 v3, v9, v3
	v_cndmask_b32_e32 v7, v10, v7, vcc_lo
	s_delay_alu instid0(VALU_DEP_2) | instskip(NEXT) | instid1(VALU_DEP_1)
	v_and_b32_e32 v3, 7, v3
	v_cndmask_b32_e32 v3, v5, v3, vcc_lo
	s_delay_alu instid0(VALU_DEP_3) | instskip(NEXT) | instid1(VALU_DEP_2)
	v_lshl_add_u32 v5, v7, 23, 0x3b800000
	v_lshlrev_b32_e32 v3, 20, v3
	s_delay_alu instid0(VALU_DEP_1) | instskip(NEXT) | instid1(VALU_DEP_1)
	v_or3_b32 v1, v1, v5, v3
	v_cvt_u32_f32_e32 v10, v1
.LBB340_1427:
	s_or_b32 exec_lo, exec_lo, s10
.LBB340_1428:
	s_mov_b32 s10, -1
.LBB340_1429:
	s_mov_b32 s11, 0
.LBB340_1430:
	s_delay_alu instid0(SALU_CYCLE_1)
	s_and_b32 vcc_lo, exec_lo, s11
	s_cbranch_vccz .LBB340_1461
; %bb.1431:
	s_cmp_gt_i32 s0, 22
	s_cbranch_scc0 .LBB340_1439
; %bb.1432:
	s_cmp_lt_i32 s0, 24
	s_cbranch_scc1 .LBB340_1442
; %bb.1433:
	s_cmp_gt_i32 s0, 24
	s_cbranch_scc0 .LBB340_1443
; %bb.1434:
	global_load_u8 v1, v[16:17], off
	s_mov_b32 s10, 0
	s_mov_b32 s2, exec_lo
	s_wait_loadcnt 0x0
	v_cmpx_lt_i16_e32 0x7f, v1
	s_xor_b32 s2, exec_lo, s2
	s_cbranch_execz .LBB340_1455
; %bb.1435:
	v_cmp_ne_u16_e32 vcc_lo, 0x80, v1
	s_and_b32 s10, vcc_lo, exec_lo
	s_and_not1_saveexec_b32 s2, s2
	s_cbranch_execnz .LBB340_1456
.LBB340_1436:
	s_or_b32 exec_lo, exec_lo, s2
	v_mov_b32_e32 v10, 0
	s_and_saveexec_b32 s2, s10
	s_cbranch_execz .LBB340_1438
.LBB340_1437:
	v_and_b32_e32 v3, 0xffff, v1
	s_delay_alu instid0(VALU_DEP_1) | instskip(SKIP_1) | instid1(VALU_DEP_2)
	v_dual_lshlrev_b32 v1, 24, v1 :: v_dual_bitop2_b32 v5, 3, v3 bitop3:0x40
	v_bfe_u32 v10, v3, 2, 5
	v_and_b32_e32 v1, 0x80000000, v1
	s_delay_alu instid0(VALU_DEP_3) | instskip(NEXT) | instid1(VALU_DEP_3)
	v_clz_i32_u32_e32 v7, v5
	v_cmp_eq_u32_e32 vcc_lo, 0, v10
	s_delay_alu instid0(VALU_DEP_2) | instskip(NEXT) | instid1(VALU_DEP_1)
	v_min_u32_e32 v7, 32, v7
	v_subrev_nc_u32_e32 v9, 29, v7
	v_sub_nc_u32_e32 v7, 30, v7
	s_delay_alu instid0(VALU_DEP_2) | instskip(NEXT) | instid1(VALU_DEP_2)
	v_lshlrev_b32_e32 v3, v9, v3
	v_cndmask_b32_e32 v7, v10, v7, vcc_lo
	s_delay_alu instid0(VALU_DEP_2) | instskip(NEXT) | instid1(VALU_DEP_1)
	v_and_b32_e32 v3, 3, v3
	v_cndmask_b32_e32 v3, v5, v3, vcc_lo
	s_delay_alu instid0(VALU_DEP_3) | instskip(NEXT) | instid1(VALU_DEP_2)
	v_lshl_add_u32 v5, v7, 23, 0x37800000
	v_lshlrev_b32_e32 v3, 21, v3
	s_delay_alu instid0(VALU_DEP_1) | instskip(NEXT) | instid1(VALU_DEP_1)
	v_or3_b32 v1, v1, v5, v3
	v_cvt_u32_f32_e32 v10, v1
.LBB340_1438:
	s_or_b32 exec_lo, exec_lo, s2
	s_mov_b32 s2, 0
	s_branch .LBB340_1444
.LBB340_1439:
	s_mov_b32 s2, -1
                                        ; implicit-def: $vgpr10
	s_branch .LBB340_1450
.LBB340_1440:
	s_and_not1_saveexec_b32 s10, s10
	s_cbranch_execz .LBB340_1425
.LBB340_1441:
	v_cmp_ne_u16_e32 vcc_lo, 0, v1
	s_and_not1_b32 s11, s11, exec_lo
	s_and_b32 s12, vcc_lo, exec_lo
	s_delay_alu instid0(SALU_CYCLE_1)
	s_or_b32 s11, s11, s12
	s_or_b32 exec_lo, exec_lo, s10
	v_mov_b32_e32 v10, 0
	s_and_saveexec_b32 s10, s11
	s_cbranch_execnz .LBB340_1426
	s_branch .LBB340_1427
.LBB340_1442:
	s_mov_b32 s2, -1
                                        ; implicit-def: $vgpr10
	s_branch .LBB340_1447
.LBB340_1443:
	s_mov_b32 s2, -1
                                        ; implicit-def: $vgpr10
.LBB340_1444:
	s_delay_alu instid0(SALU_CYCLE_1)
	s_and_b32 vcc_lo, exec_lo, s2
	s_cbranch_vccz .LBB340_1446
; %bb.1445:
	global_load_u8 v1, v[16:17], off
	s_wait_loadcnt 0x0
	v_lshlrev_b32_e32 v1, 24, v1
	s_delay_alu instid0(VALU_DEP_1) | instskip(NEXT) | instid1(VALU_DEP_1)
	v_and_b32_e32 v3, 0x7f000000, v1
	v_clz_i32_u32_e32 v5, v3
	v_add_nc_u32_e32 v9, 0x1000000, v3
	v_cmp_ne_u32_e32 vcc_lo, 0, v3
	s_delay_alu instid0(VALU_DEP_3) | instskip(NEXT) | instid1(VALU_DEP_1)
	v_min_u32_e32 v5, 32, v5
	v_sub_nc_u32_e64 v5, v5, 4 clamp
	s_delay_alu instid0(VALU_DEP_1) | instskip(NEXT) | instid1(VALU_DEP_1)
	v_dual_lshlrev_b32 v7, v5, v3 :: v_dual_lshlrev_b32 v5, 23, v5
	v_lshrrev_b32_e32 v7, 4, v7
	s_delay_alu instid0(VALU_DEP_1) | instskip(SKIP_1) | instid1(VALU_DEP_2)
	v_sub_nc_u32_e32 v5, v7, v5
	v_ashrrev_i32_e32 v7, 8, v9
	v_add_nc_u32_e32 v5, 0x3c000000, v5
	s_delay_alu instid0(VALU_DEP_1) | instskip(NEXT) | instid1(VALU_DEP_1)
	v_and_or_b32 v5, 0x7f800000, v7, v5
	v_cndmask_b32_e32 v3, 0, v5, vcc_lo
	s_delay_alu instid0(VALU_DEP_1) | instskip(NEXT) | instid1(VALU_DEP_1)
	v_and_or_b32 v1, 0x80000000, v1, v3
	v_cvt_u32_f32_e32 v10, v1
.LBB340_1446:
	s_mov_b32 s2, 0
.LBB340_1447:
	s_delay_alu instid0(SALU_CYCLE_1)
	s_and_not1_b32 vcc_lo, exec_lo, s2
	s_cbranch_vccnz .LBB340_1449
; %bb.1448:
	global_load_u8 v1, v[16:17], off
	s_wait_loadcnt 0x0
	v_lshlrev_b32_e32 v3, 25, v1
	v_lshlrev_b16 v1, 8, v1
	s_delay_alu instid0(VALU_DEP_1) | instskip(SKIP_1) | instid1(VALU_DEP_2)
	v_and_or_b32 v7, 0x7f00, v1, 0.5
	v_bfe_i32 v1, v1, 0, 16
	v_add_f32_e32 v7, -0.5, v7
	v_lshrrev_b32_e32 v5, 4, v3
	v_cmp_gt_u32_e32 vcc_lo, 0x8000000, v3
	s_delay_alu instid0(VALU_DEP_2) | instskip(NEXT) | instid1(VALU_DEP_1)
	v_or_b32_e32 v5, 0x70000000, v5
	v_mul_f32_e32 v5, 0x7800000, v5
	s_delay_alu instid0(VALU_DEP_1) | instskip(NEXT) | instid1(VALU_DEP_1)
	v_cndmask_b32_e32 v3, v5, v7, vcc_lo
	v_and_or_b32 v1, 0x80000000, v1, v3
	s_delay_alu instid0(VALU_DEP_1)
	v_cvt_u32_f32_e32 v10, v1
.LBB340_1449:
	s_mov_b32 s2, 0
	s_mov_b32 s10, -1
.LBB340_1450:
	s_and_not1_b32 vcc_lo, exec_lo, s2
	s_mov_b32 s2, 0
	s_cbranch_vccnz .LBB340_1461
; %bb.1451:
	s_cmp_gt_i32 s0, 14
	s_cbranch_scc0 .LBB340_1454
; %bb.1452:
	s_cmp_eq_u32 s0, 15
	s_cbranch_scc0 .LBB340_1457
; %bb.1453:
	global_load_u16 v1, v[16:17], off
	s_mov_b32 s1, 0
	s_mov_b32 s10, -1
	s_wait_loadcnt 0x0
	v_lshlrev_b32_e32 v1, 16, v1
	s_delay_alu instid0(VALU_DEP_1)
	v_cvt_u32_f32_e32 v10, v1
	s_branch .LBB340_1459
.LBB340_1454:
	s_mov_b32 s2, -1
	s_branch .LBB340_1458
.LBB340_1455:
	s_and_not1_saveexec_b32 s2, s2
	s_cbranch_execz .LBB340_1436
.LBB340_1456:
	v_cmp_ne_u16_e32 vcc_lo, 0, v1
	s_and_not1_b32 s10, s10, exec_lo
	s_and_b32 s11, vcc_lo, exec_lo
	s_delay_alu instid0(SALU_CYCLE_1)
	s_or_b32 s10, s10, s11
	s_or_b32 exec_lo, exec_lo, s2
	v_mov_b32_e32 v10, 0
	s_and_saveexec_b32 s2, s10
	s_cbranch_execnz .LBB340_1437
	s_branch .LBB340_1438
.LBB340_1457:
	s_mov_b32 s1, -1
.LBB340_1458:
                                        ; implicit-def: $vgpr10
.LBB340_1459:
	s_and_b32 vcc_lo, exec_lo, s2
	s_mov_b32 s2, 0
	s_cbranch_vccz .LBB340_1461
; %bb.1460:
	s_cmp_lg_u32 s0, 11
	s_mov_b32 s2, -1
	s_cselect_b32 s1, -1, 0
.LBB340_1461:
	s_delay_alu instid0(SALU_CYCLE_1)
	s_and_b32 vcc_lo, exec_lo, s1
	s_cbranch_vccnz .LBB340_1524
; %bb.1462:
	s_and_not1_b32 vcc_lo, exec_lo, s2
	s_cbranch_vccnz .LBB340_1464
.LBB340_1463:
	global_load_u8 v1, v[16:17], off
	s_mov_b32 s10, -1
	s_wait_loadcnt 0x0
	v_cmp_ne_u16_e32 vcc_lo, 0, v1
	v_cndmask_b32_e64 v10, 0, 1, vcc_lo
.LBB340_1464:
	s_branch .LBB340_1395
.LBB340_1465:
	s_cmp_lt_i32 s0, 5
	s_cbranch_scc1 .LBB340_1470
; %bb.1466:
	s_cmp_lt_i32 s0, 8
	s_cbranch_scc1 .LBB340_1471
; %bb.1467:
	;; [unrolled: 3-line block ×3, first 2 shown]
	s_cmp_gt_i32 s0, 9
	s_cbranch_scc0 .LBB340_1473
; %bb.1469:
	s_wait_loadcnt 0x0
	global_load_b64 v[10:11], v[16:17], off
	s_mov_b32 s1, 0
	s_wait_loadcnt 0x0
	v_cvt_u32_f64_e32 v10, v[10:11]
	s_branch .LBB340_1474
.LBB340_1470:
	s_mov_b32 s1, -1
                                        ; implicit-def: $vgpr10
	s_branch .LBB340_1492
.LBB340_1471:
	s_mov_b32 s1, -1
                                        ; implicit-def: $vgpr10
	s_branch .LBB340_1480
.LBB340_1472:
	s_mov_b32 s1, -1
                                        ; implicit-def: $vgpr10
	s_branch .LBB340_1477
.LBB340_1473:
	s_mov_b32 s1, -1
                                        ; implicit-def: $vgpr10
.LBB340_1474:
	s_delay_alu instid0(SALU_CYCLE_1)
	s_and_not1_b32 vcc_lo, exec_lo, s1
	s_cbranch_vccnz .LBB340_1476
; %bb.1475:
	global_load_b32 v1, v[16:17], off
	s_wait_loadcnt 0x0
	v_cvt_u32_f32_e32 v10, v1
.LBB340_1476:
	s_mov_b32 s1, 0
.LBB340_1477:
	s_delay_alu instid0(SALU_CYCLE_1)
	s_and_not1_b32 vcc_lo, exec_lo, s1
	s_cbranch_vccnz .LBB340_1479
; %bb.1478:
	global_load_b32 v1, v[16:17], off
	s_wait_loadcnt 0x0
	v_cvt_u16_f16_e32 v10, v1
.LBB340_1479:
	s_mov_b32 s1, 0
.LBB340_1480:
	s_delay_alu instid0(SALU_CYCLE_1)
	s_and_not1_b32 vcc_lo, exec_lo, s1
	s_cbranch_vccnz .LBB340_1491
; %bb.1481:
	s_cmp_lt_i32 s0, 6
	s_cbranch_scc1 .LBB340_1484
; %bb.1482:
	s_cmp_gt_i32 s0, 6
	s_cbranch_scc0 .LBB340_1485
; %bb.1483:
	s_wait_loadcnt 0x0
	global_load_b64 v[10:11], v[16:17], off
	s_mov_b32 s1, 0
	s_wait_loadcnt 0x0
	v_cvt_u32_f64_e32 v10, v[10:11]
	s_branch .LBB340_1486
.LBB340_1484:
	s_mov_b32 s1, -1
                                        ; implicit-def: $vgpr10
	s_branch .LBB340_1489
.LBB340_1485:
	s_mov_b32 s1, -1
                                        ; implicit-def: $vgpr10
.LBB340_1486:
	s_delay_alu instid0(SALU_CYCLE_1)
	s_and_not1_b32 vcc_lo, exec_lo, s1
	s_cbranch_vccnz .LBB340_1488
; %bb.1487:
	global_load_b32 v1, v[16:17], off
	s_wait_loadcnt 0x0
	v_cvt_u32_f32_e32 v10, v1
.LBB340_1488:
	s_mov_b32 s1, 0
.LBB340_1489:
	s_delay_alu instid0(SALU_CYCLE_1)
	s_and_not1_b32 vcc_lo, exec_lo, s1
	s_cbranch_vccnz .LBB340_1491
; %bb.1490:
	global_load_u16 v1, v[16:17], off
	s_wait_loadcnt 0x0
	v_cvt_u16_f16_e32 v10, v1
.LBB340_1491:
	s_mov_b32 s1, 0
.LBB340_1492:
	s_delay_alu instid0(SALU_CYCLE_1)
	s_and_not1_b32 vcc_lo, exec_lo, s1
	s_cbranch_vccnz .LBB340_1512
; %bb.1493:
	s_cmp_lt_i32 s0, 2
	s_cbranch_scc1 .LBB340_1497
; %bb.1494:
	s_cmp_lt_i32 s0, 3
	s_cbranch_scc1 .LBB340_1498
; %bb.1495:
	s_cmp_gt_i32 s0, 3
	s_cbranch_scc0 .LBB340_1499
; %bb.1496:
	s_wait_loadcnt 0x0
	global_load_b64 v[10:11], v[16:17], off
	s_mov_b32 s1, 0
	s_branch .LBB340_1500
.LBB340_1497:
	s_mov_b32 s1, -1
                                        ; implicit-def: $vgpr10
	s_branch .LBB340_1506
.LBB340_1498:
	s_mov_b32 s1, -1
                                        ; implicit-def: $vgpr10
	s_branch .LBB340_1503
.LBB340_1499:
	s_mov_b32 s1, -1
                                        ; implicit-def: $vgpr10
.LBB340_1500:
	s_delay_alu instid0(SALU_CYCLE_1)
	s_and_not1_b32 vcc_lo, exec_lo, s1
	s_cbranch_vccnz .LBB340_1502
; %bb.1501:
	s_wait_loadcnt 0x0
	global_load_b32 v10, v[16:17], off
.LBB340_1502:
	s_mov_b32 s1, 0
.LBB340_1503:
	s_delay_alu instid0(SALU_CYCLE_1)
	s_and_not1_b32 vcc_lo, exec_lo, s1
	s_cbranch_vccnz .LBB340_1505
; %bb.1504:
	s_wait_loadcnt 0x0
	global_load_u16 v10, v[16:17], off
.LBB340_1505:
	s_mov_b32 s1, 0
.LBB340_1506:
	s_delay_alu instid0(SALU_CYCLE_1)
	s_and_not1_b32 vcc_lo, exec_lo, s1
	s_cbranch_vccnz .LBB340_1512
; %bb.1507:
	s_cmp_gt_i32 s0, 0
	s_mov_b32 s1, 0
	s_cbranch_scc0 .LBB340_1509
; %bb.1508:
	s_wait_loadcnt 0x0
	global_load_i8 v10, v[16:17], off
	s_branch .LBB340_1510
.LBB340_1509:
	s_mov_b32 s1, -1
                                        ; implicit-def: $vgpr10
.LBB340_1510:
	s_delay_alu instid0(SALU_CYCLE_1)
	s_and_not1_b32 vcc_lo, exec_lo, s1
	s_cbranch_vccnz .LBB340_1512
; %bb.1511:
	s_wait_loadcnt 0x0
	global_load_u8 v10, v[16:17], off
.LBB340_1512:
.LBB340_1513:
	v_mov_b32_e32 v9, 0
	s_cmp_lt_i32 s0, 11
	s_wait_xcnt 0x0
	s_delay_alu instid0(VALU_DEP_1)
	v_add_nc_u64_e32 v[16:17], s[6:7], v[8:9]
	s_cbranch_scc1 .LBB340_1520
; %bb.1514:
	s_cmp_gt_i32 s0, 25
	s_mov_b32 s2, 0
	s_cbranch_scc0 .LBB340_1521
; %bb.1515:
	s_cmp_gt_i32 s0, 28
	s_cbranch_scc0 .LBB340_1522
; %bb.1516:
	s_cmp_gt_i32 s0, 43
	;; [unrolled: 3-line block ×3, first 2 shown]
	s_cbranch_scc0 .LBB340_1525
; %bb.1518:
	s_cmp_eq_u32 s0, 46
	s_mov_b32 s7, 0
	s_cbranch_scc0 .LBB340_1526
; %bb.1519:
	global_load_b32 v1, v[16:17], off
	s_mov_b32 s1, 0
	s_mov_b32 s6, -1
	s_wait_loadcnt 0x0
	v_lshlrev_b32_e32 v1, 16, v1
	s_delay_alu instid0(VALU_DEP_1)
	v_cvt_u32_f32_e32 v8, v1
	s_branch .LBB340_1528
.LBB340_1520:
	s_mov_b32 s1, -1
	s_mov_b32 s6, 0
                                        ; implicit-def: $vgpr8
	s_branch .LBB340_1590
.LBB340_1521:
	s_mov_b32 s7, -1
	s_mov_b32 s6, 0
	s_mov_b32 s1, 0
                                        ; implicit-def: $vgpr8
	s_branch .LBB340_1555
.LBB340_1522:
	s_mov_b32 s7, -1
	s_mov_b32 s6, 0
	s_mov_b32 s1, 0
                                        ; implicit-def: $vgpr8
	s_branch .LBB340_1538
.LBB340_1523:
	s_mov_b32 s7, -1
	s_mov_b32 s6, 0
	s_mov_b32 s1, 0
                                        ; implicit-def: $vgpr8
	s_branch .LBB340_1533
.LBB340_1524:
	s_or_b32 s3, s3, exec_lo
	s_trap 2
	s_cbranch_execz .LBB340_1463
	s_branch .LBB340_1464
.LBB340_1525:
	s_mov_b32 s7, -1
	s_mov_b32 s6, 0
	s_mov_b32 s1, 0
	s_branch .LBB340_1527
.LBB340_1526:
	s_mov_b32 s1, -1
	s_mov_b32 s6, 0
.LBB340_1527:
                                        ; implicit-def: $vgpr8
.LBB340_1528:
	s_and_b32 vcc_lo, exec_lo, s7
	s_cbranch_vccz .LBB340_1532
; %bb.1529:
	s_cmp_eq_u32 s0, 44
	s_cbranch_scc0 .LBB340_1531
; %bb.1530:
	global_load_u8 v1, v[16:17], off
	s_mov_b32 s1, 0
	s_mov_b32 s6, -1
	s_wait_loadcnt 0x0
	v_lshlrev_b32_e32 v3, 23, v1
	v_cmp_ne_u32_e32 vcc_lo, 0, v1
	s_delay_alu instid0(VALU_DEP_2) | instskip(NEXT) | instid1(VALU_DEP_1)
	v_cvt_u32_f32_e32 v3, v3
	v_cndmask_b32_e32 v8, 0, v3, vcc_lo
	s_branch .LBB340_1532
.LBB340_1531:
	s_mov_b32 s1, -1
                                        ; implicit-def: $vgpr8
.LBB340_1532:
	s_mov_b32 s7, 0
.LBB340_1533:
	s_delay_alu instid0(SALU_CYCLE_1)
	s_and_b32 vcc_lo, exec_lo, s7
	s_cbranch_vccz .LBB340_1537
; %bb.1534:
	s_cmp_eq_u32 s0, 29
	s_cbranch_scc0 .LBB340_1536
; %bb.1535:
	global_load_b64 v[8:9], v[16:17], off
	s_mov_b32 s1, 0
	s_mov_b32 s6, -1
	s_branch .LBB340_1537
.LBB340_1536:
	s_mov_b32 s1, -1
                                        ; implicit-def: $vgpr8
.LBB340_1537:
	s_mov_b32 s7, 0
.LBB340_1538:
	s_delay_alu instid0(SALU_CYCLE_1)
	s_and_b32 vcc_lo, exec_lo, s7
	s_cbranch_vccz .LBB340_1554
; %bb.1539:
	s_cmp_lt_i32 s0, 27
	s_cbranch_scc1 .LBB340_1542
; %bb.1540:
	s_cmp_gt_i32 s0, 27
	s_cbranch_scc0 .LBB340_1543
; %bb.1541:
	s_wait_loadcnt 0x0
	global_load_b32 v8, v[16:17], off
	s_mov_b32 s6, 0
	s_branch .LBB340_1544
.LBB340_1542:
	s_mov_b32 s6, -1
                                        ; implicit-def: $vgpr8
	s_branch .LBB340_1547
.LBB340_1543:
	s_mov_b32 s6, -1
                                        ; implicit-def: $vgpr8
.LBB340_1544:
	s_delay_alu instid0(SALU_CYCLE_1)
	s_and_not1_b32 vcc_lo, exec_lo, s6
	s_cbranch_vccnz .LBB340_1546
; %bb.1545:
	s_wait_loadcnt 0x0
	global_load_u16 v8, v[16:17], off
.LBB340_1546:
	s_mov_b32 s6, 0
.LBB340_1547:
	s_delay_alu instid0(SALU_CYCLE_1)
	s_and_not1_b32 vcc_lo, exec_lo, s6
	s_cbranch_vccnz .LBB340_1553
; %bb.1548:
	global_load_u8 v1, v[16:17], off
	s_mov_b32 s7, 0
	s_mov_b32 s6, exec_lo
	s_wait_loadcnt 0x0
	v_cmpx_lt_i16_e32 0x7f, v1
	s_xor_b32 s6, exec_lo, s6
	s_cbranch_execz .LBB340_1565
; %bb.1549:
	v_cmp_ne_u16_e32 vcc_lo, 0x80, v1
	s_and_b32 s7, vcc_lo, exec_lo
	s_and_not1_saveexec_b32 s6, s6
	s_cbranch_execnz .LBB340_1566
.LBB340_1550:
	s_or_b32 exec_lo, exec_lo, s6
	v_mov_b32_e32 v8, 0
	s_and_saveexec_b32 s6, s7
	s_cbranch_execz .LBB340_1552
.LBB340_1551:
	v_and_b32_e32 v3, 0xffff, v1
	s_delay_alu instid0(VALU_DEP_1) | instskip(SKIP_1) | instid1(VALU_DEP_2)
	v_dual_lshlrev_b32 v1, 24, v1 :: v_dual_bitop2_b32 v5, 7, v3 bitop3:0x40
	v_bfe_u32 v9, v3, 3, 4
	v_and_b32_e32 v1, 0x80000000, v1
	s_delay_alu instid0(VALU_DEP_3) | instskip(NEXT) | instid1(VALU_DEP_3)
	v_clz_i32_u32_e32 v7, v5
	v_cmp_eq_u32_e32 vcc_lo, 0, v9
	s_delay_alu instid0(VALU_DEP_2) | instskip(NEXT) | instid1(VALU_DEP_1)
	v_min_u32_e32 v7, 32, v7
	v_subrev_nc_u32_e32 v8, 28, v7
	v_sub_nc_u32_e32 v7, 29, v7
	s_delay_alu instid0(VALU_DEP_2) | instskip(NEXT) | instid1(VALU_DEP_2)
	v_lshlrev_b32_e32 v3, v8, v3
	v_cndmask_b32_e32 v7, v9, v7, vcc_lo
	s_delay_alu instid0(VALU_DEP_2) | instskip(NEXT) | instid1(VALU_DEP_1)
	v_and_b32_e32 v3, 7, v3
	v_cndmask_b32_e32 v3, v5, v3, vcc_lo
	s_delay_alu instid0(VALU_DEP_3) | instskip(NEXT) | instid1(VALU_DEP_2)
	v_lshl_add_u32 v5, v7, 23, 0x3b800000
	v_lshlrev_b32_e32 v3, 20, v3
	s_delay_alu instid0(VALU_DEP_1) | instskip(NEXT) | instid1(VALU_DEP_1)
	v_or3_b32 v1, v1, v5, v3
	v_cvt_u32_f32_e32 v8, v1
.LBB340_1552:
	s_or_b32 exec_lo, exec_lo, s6
.LBB340_1553:
	s_mov_b32 s6, -1
.LBB340_1554:
	s_mov_b32 s7, 0
.LBB340_1555:
	s_delay_alu instid0(SALU_CYCLE_1)
	s_and_b32 vcc_lo, exec_lo, s7
	s_cbranch_vccz .LBB340_1586
; %bb.1556:
	s_cmp_gt_i32 s0, 22
	s_cbranch_scc0 .LBB340_1564
; %bb.1557:
	s_cmp_lt_i32 s0, 24
	s_cbranch_scc1 .LBB340_1567
; %bb.1558:
	s_cmp_gt_i32 s0, 24
	s_cbranch_scc0 .LBB340_1568
; %bb.1559:
	global_load_u8 v1, v[16:17], off
	s_mov_b32 s6, 0
	s_mov_b32 s2, exec_lo
	s_wait_loadcnt 0x0
	v_cmpx_lt_i16_e32 0x7f, v1
	s_xor_b32 s2, exec_lo, s2
	s_cbranch_execz .LBB340_1580
; %bb.1560:
	v_cmp_ne_u16_e32 vcc_lo, 0x80, v1
	s_and_b32 s6, vcc_lo, exec_lo
	s_and_not1_saveexec_b32 s2, s2
	s_cbranch_execnz .LBB340_1581
.LBB340_1561:
	s_or_b32 exec_lo, exec_lo, s2
	v_mov_b32_e32 v8, 0
	s_and_saveexec_b32 s2, s6
	s_cbranch_execz .LBB340_1563
.LBB340_1562:
	v_and_b32_e32 v3, 0xffff, v1
	s_delay_alu instid0(VALU_DEP_1) | instskip(SKIP_1) | instid1(VALU_DEP_2)
	v_dual_lshlrev_b32 v1, 24, v1 :: v_dual_bitop2_b32 v5, 3, v3 bitop3:0x40
	v_bfe_u32 v9, v3, 2, 5
	v_and_b32_e32 v1, 0x80000000, v1
	s_delay_alu instid0(VALU_DEP_3) | instskip(NEXT) | instid1(VALU_DEP_3)
	v_clz_i32_u32_e32 v7, v5
	v_cmp_eq_u32_e32 vcc_lo, 0, v9
	s_delay_alu instid0(VALU_DEP_2) | instskip(NEXT) | instid1(VALU_DEP_1)
	v_min_u32_e32 v7, 32, v7
	v_subrev_nc_u32_e32 v8, 29, v7
	v_sub_nc_u32_e32 v7, 30, v7
	s_delay_alu instid0(VALU_DEP_2) | instskip(NEXT) | instid1(VALU_DEP_2)
	v_lshlrev_b32_e32 v3, v8, v3
	v_cndmask_b32_e32 v7, v9, v7, vcc_lo
	s_delay_alu instid0(VALU_DEP_2) | instskip(NEXT) | instid1(VALU_DEP_1)
	v_and_b32_e32 v3, 3, v3
	v_cndmask_b32_e32 v3, v5, v3, vcc_lo
	s_delay_alu instid0(VALU_DEP_3) | instskip(NEXT) | instid1(VALU_DEP_2)
	v_lshl_add_u32 v5, v7, 23, 0x37800000
	v_lshlrev_b32_e32 v3, 21, v3
	s_delay_alu instid0(VALU_DEP_1) | instskip(NEXT) | instid1(VALU_DEP_1)
	v_or3_b32 v1, v1, v5, v3
	v_cvt_u32_f32_e32 v8, v1
.LBB340_1563:
	s_or_b32 exec_lo, exec_lo, s2
	s_mov_b32 s2, 0
	s_branch .LBB340_1569
.LBB340_1564:
	s_mov_b32 s2, -1
                                        ; implicit-def: $vgpr8
	s_branch .LBB340_1575
.LBB340_1565:
	s_and_not1_saveexec_b32 s6, s6
	s_cbranch_execz .LBB340_1550
.LBB340_1566:
	v_cmp_ne_u16_e32 vcc_lo, 0, v1
	s_and_not1_b32 s7, s7, exec_lo
	s_and_b32 s10, vcc_lo, exec_lo
	s_delay_alu instid0(SALU_CYCLE_1)
	s_or_b32 s7, s7, s10
	s_or_b32 exec_lo, exec_lo, s6
	v_mov_b32_e32 v8, 0
	s_and_saveexec_b32 s6, s7
	s_cbranch_execnz .LBB340_1551
	s_branch .LBB340_1552
.LBB340_1567:
	s_mov_b32 s2, -1
                                        ; implicit-def: $vgpr8
	s_branch .LBB340_1572
.LBB340_1568:
	s_mov_b32 s2, -1
                                        ; implicit-def: $vgpr8
.LBB340_1569:
	s_delay_alu instid0(SALU_CYCLE_1)
	s_and_b32 vcc_lo, exec_lo, s2
	s_cbranch_vccz .LBB340_1571
; %bb.1570:
	global_load_u8 v1, v[16:17], off
	s_wait_loadcnt 0x0
	v_lshlrev_b32_e32 v1, 24, v1
	s_delay_alu instid0(VALU_DEP_1) | instskip(NEXT) | instid1(VALU_DEP_1)
	v_and_b32_e32 v3, 0x7f000000, v1
	v_clz_i32_u32_e32 v5, v3
	v_cmp_ne_u32_e32 vcc_lo, 0, v3
	v_add_nc_u32_e32 v8, 0x1000000, v3
	s_delay_alu instid0(VALU_DEP_3) | instskip(NEXT) | instid1(VALU_DEP_1)
	v_min_u32_e32 v5, 32, v5
	v_sub_nc_u32_e64 v5, v5, 4 clamp
	s_delay_alu instid0(VALU_DEP_1) | instskip(NEXT) | instid1(VALU_DEP_1)
	v_dual_lshlrev_b32 v7, v5, v3 :: v_dual_lshlrev_b32 v5, 23, v5
	v_lshrrev_b32_e32 v7, 4, v7
	s_delay_alu instid0(VALU_DEP_1) | instskip(NEXT) | instid1(VALU_DEP_1)
	v_dual_sub_nc_u32 v5, v7, v5 :: v_dual_ashrrev_i32 v7, 8, v8
	v_add_nc_u32_e32 v5, 0x3c000000, v5
	s_delay_alu instid0(VALU_DEP_1) | instskip(NEXT) | instid1(VALU_DEP_1)
	v_and_or_b32 v5, 0x7f800000, v7, v5
	v_cndmask_b32_e32 v3, 0, v5, vcc_lo
	s_delay_alu instid0(VALU_DEP_1) | instskip(NEXT) | instid1(VALU_DEP_1)
	v_and_or_b32 v1, 0x80000000, v1, v3
	v_cvt_u32_f32_e32 v8, v1
.LBB340_1571:
	s_mov_b32 s2, 0
.LBB340_1572:
	s_delay_alu instid0(SALU_CYCLE_1)
	s_and_not1_b32 vcc_lo, exec_lo, s2
	s_cbranch_vccnz .LBB340_1574
; %bb.1573:
	global_load_u8 v1, v[16:17], off
	s_wait_loadcnt 0x0
	v_lshlrev_b32_e32 v3, 25, v1
	v_lshlrev_b16 v1, 8, v1
	s_delay_alu instid0(VALU_DEP_1) | instskip(SKIP_1) | instid1(VALU_DEP_2)
	v_and_or_b32 v7, 0x7f00, v1, 0.5
	v_bfe_i32 v1, v1, 0, 16
	v_add_f32_e32 v7, -0.5, v7
	v_lshrrev_b32_e32 v5, 4, v3
	v_cmp_gt_u32_e32 vcc_lo, 0x8000000, v3
	s_delay_alu instid0(VALU_DEP_2) | instskip(NEXT) | instid1(VALU_DEP_1)
	v_or_b32_e32 v5, 0x70000000, v5
	v_mul_f32_e32 v5, 0x7800000, v5
	s_delay_alu instid0(VALU_DEP_1) | instskip(NEXT) | instid1(VALU_DEP_1)
	v_cndmask_b32_e32 v3, v5, v7, vcc_lo
	v_and_or_b32 v1, 0x80000000, v1, v3
	s_delay_alu instid0(VALU_DEP_1)
	v_cvt_u32_f32_e32 v8, v1
.LBB340_1574:
	s_mov_b32 s2, 0
	s_mov_b32 s6, -1
.LBB340_1575:
	s_and_not1_b32 vcc_lo, exec_lo, s2
	s_mov_b32 s2, 0
	s_cbranch_vccnz .LBB340_1586
; %bb.1576:
	s_cmp_gt_i32 s0, 14
	s_cbranch_scc0 .LBB340_1579
; %bb.1577:
	s_cmp_eq_u32 s0, 15
	s_cbranch_scc0 .LBB340_1582
; %bb.1578:
	global_load_u16 v1, v[16:17], off
	s_mov_b32 s1, 0
	s_mov_b32 s6, -1
	s_wait_loadcnt 0x0
	v_lshlrev_b32_e32 v1, 16, v1
	s_delay_alu instid0(VALU_DEP_1)
	v_cvt_u32_f32_e32 v8, v1
	s_branch .LBB340_1584
.LBB340_1579:
	s_mov_b32 s2, -1
	s_branch .LBB340_1583
.LBB340_1580:
	s_and_not1_saveexec_b32 s2, s2
	s_cbranch_execz .LBB340_1561
.LBB340_1581:
	v_cmp_ne_u16_e32 vcc_lo, 0, v1
	s_and_not1_b32 s6, s6, exec_lo
	s_and_b32 s7, vcc_lo, exec_lo
	s_delay_alu instid0(SALU_CYCLE_1)
	s_or_b32 s6, s6, s7
	s_or_b32 exec_lo, exec_lo, s2
	v_mov_b32_e32 v8, 0
	s_and_saveexec_b32 s2, s6
	s_cbranch_execnz .LBB340_1562
	s_branch .LBB340_1563
.LBB340_1582:
	s_mov_b32 s1, -1
.LBB340_1583:
                                        ; implicit-def: $vgpr8
.LBB340_1584:
	s_and_b32 vcc_lo, exec_lo, s2
	s_mov_b32 s2, 0
	s_cbranch_vccz .LBB340_1586
; %bb.1585:
	s_cmp_lg_u32 s0, 11
	s_mov_b32 s2, -1
	s_cselect_b32 s1, -1, 0
.LBB340_1586:
	s_delay_alu instid0(SALU_CYCLE_1)
	s_and_b32 vcc_lo, exec_lo, s1
	s_cbranch_vccnz .LBB340_2118
; %bb.1587:
	s_and_not1_b32 vcc_lo, exec_lo, s2
	s_cbranch_vccnz .LBB340_1589
.LBB340_1588:
	global_load_u8 v1, v[16:17], off
	s_mov_b32 s6, -1
	s_wait_loadcnt 0x0
	v_cmp_ne_u16_e32 vcc_lo, 0, v1
	v_cndmask_b32_e64 v8, 0, 1, vcc_lo
.LBB340_1589:
	s_mov_b32 s1, 0
.LBB340_1590:
	s_delay_alu instid0(SALU_CYCLE_1)
	s_and_b32 vcc_lo, exec_lo, s1
	s_cbranch_vccz .LBB340_1639
; %bb.1591:
	s_cmp_lt_i32 s0, 5
	s_cbranch_scc1 .LBB340_1596
; %bb.1592:
	s_cmp_lt_i32 s0, 8
	s_cbranch_scc1 .LBB340_1597
	;; [unrolled: 3-line block ×3, first 2 shown]
; %bb.1594:
	s_cmp_gt_i32 s0, 9
	s_cbranch_scc0 .LBB340_1599
; %bb.1595:
	s_wait_loadcnt 0x0
	global_load_b64 v[8:9], v[16:17], off
	s_mov_b32 s1, 0
	s_wait_loadcnt 0x0
	v_cvt_u32_f64_e32 v8, v[8:9]
	s_branch .LBB340_1600
.LBB340_1596:
	s_mov_b32 s1, -1
                                        ; implicit-def: $vgpr8
	s_branch .LBB340_1618
.LBB340_1597:
	s_mov_b32 s1, -1
                                        ; implicit-def: $vgpr8
	s_branch .LBB340_1606
.LBB340_1598:
	s_mov_b32 s1, -1
                                        ; implicit-def: $vgpr8
	s_branch .LBB340_1603
.LBB340_1599:
	s_mov_b32 s1, -1
                                        ; implicit-def: $vgpr8
.LBB340_1600:
	s_delay_alu instid0(SALU_CYCLE_1)
	s_and_not1_b32 vcc_lo, exec_lo, s1
	s_cbranch_vccnz .LBB340_1602
; %bb.1601:
	global_load_b32 v1, v[16:17], off
	s_wait_loadcnt 0x0
	v_cvt_u32_f32_e32 v8, v1
.LBB340_1602:
	s_mov_b32 s1, 0
.LBB340_1603:
	s_delay_alu instid0(SALU_CYCLE_1)
	s_and_not1_b32 vcc_lo, exec_lo, s1
	s_cbranch_vccnz .LBB340_1605
; %bb.1604:
	global_load_b32 v1, v[16:17], off
	s_wait_loadcnt 0x0
	v_cvt_u16_f16_e32 v8, v1
.LBB340_1605:
	s_mov_b32 s1, 0
.LBB340_1606:
	s_delay_alu instid0(SALU_CYCLE_1)
	s_and_not1_b32 vcc_lo, exec_lo, s1
	s_cbranch_vccnz .LBB340_1617
; %bb.1607:
	s_cmp_lt_i32 s0, 6
	s_cbranch_scc1 .LBB340_1610
; %bb.1608:
	s_cmp_gt_i32 s0, 6
	s_cbranch_scc0 .LBB340_1611
; %bb.1609:
	s_wait_loadcnt 0x0
	global_load_b64 v[8:9], v[16:17], off
	s_mov_b32 s1, 0
	s_wait_loadcnt 0x0
	v_cvt_u32_f64_e32 v8, v[8:9]
	s_branch .LBB340_1612
.LBB340_1610:
	s_mov_b32 s1, -1
                                        ; implicit-def: $vgpr8
	s_branch .LBB340_1615
.LBB340_1611:
	s_mov_b32 s1, -1
                                        ; implicit-def: $vgpr8
.LBB340_1612:
	s_delay_alu instid0(SALU_CYCLE_1)
	s_and_not1_b32 vcc_lo, exec_lo, s1
	s_cbranch_vccnz .LBB340_1614
; %bb.1613:
	global_load_b32 v1, v[16:17], off
	s_wait_loadcnt 0x0
	v_cvt_u32_f32_e32 v8, v1
.LBB340_1614:
	s_mov_b32 s1, 0
.LBB340_1615:
	s_delay_alu instid0(SALU_CYCLE_1)
	s_and_not1_b32 vcc_lo, exec_lo, s1
	s_cbranch_vccnz .LBB340_1617
; %bb.1616:
	global_load_u16 v1, v[16:17], off
	s_wait_loadcnt 0x0
	v_cvt_u16_f16_e32 v8, v1
.LBB340_1617:
	s_mov_b32 s1, 0
.LBB340_1618:
	s_delay_alu instid0(SALU_CYCLE_1)
	s_and_not1_b32 vcc_lo, exec_lo, s1
	s_cbranch_vccnz .LBB340_1638
; %bb.1619:
	s_cmp_lt_i32 s0, 2
	s_cbranch_scc1 .LBB340_1623
; %bb.1620:
	s_cmp_lt_i32 s0, 3
	s_cbranch_scc1 .LBB340_1624
; %bb.1621:
	s_cmp_gt_i32 s0, 3
	s_cbranch_scc0 .LBB340_1625
; %bb.1622:
	s_wait_loadcnt 0x0
	global_load_b64 v[8:9], v[16:17], off
	s_mov_b32 s1, 0
	s_branch .LBB340_1626
.LBB340_1623:
	s_mov_b32 s1, -1
                                        ; implicit-def: $vgpr8
	s_branch .LBB340_1632
.LBB340_1624:
	s_mov_b32 s1, -1
                                        ; implicit-def: $vgpr8
	s_branch .LBB340_1629
.LBB340_1625:
	s_mov_b32 s1, -1
                                        ; implicit-def: $vgpr8
.LBB340_1626:
	s_delay_alu instid0(SALU_CYCLE_1)
	s_and_not1_b32 vcc_lo, exec_lo, s1
	s_cbranch_vccnz .LBB340_1628
; %bb.1627:
	s_wait_loadcnt 0x0
	global_load_b32 v8, v[16:17], off
.LBB340_1628:
	s_mov_b32 s1, 0
.LBB340_1629:
	s_delay_alu instid0(SALU_CYCLE_1)
	s_and_not1_b32 vcc_lo, exec_lo, s1
	s_cbranch_vccnz .LBB340_1631
; %bb.1630:
	s_wait_loadcnt 0x0
	global_load_u16 v8, v[16:17], off
.LBB340_1631:
	s_mov_b32 s1, 0
.LBB340_1632:
	s_delay_alu instid0(SALU_CYCLE_1)
	s_and_not1_b32 vcc_lo, exec_lo, s1
	s_cbranch_vccnz .LBB340_1638
; %bb.1633:
	s_cmp_gt_i32 s0, 0
	s_mov_b32 s0, 0
	s_cbranch_scc0 .LBB340_1635
; %bb.1634:
	s_wait_loadcnt 0x0
	global_load_i8 v8, v[16:17], off
	s_branch .LBB340_1636
.LBB340_1635:
	s_mov_b32 s0, -1
                                        ; implicit-def: $vgpr8
.LBB340_1636:
	s_delay_alu instid0(SALU_CYCLE_1)
	s_and_not1_b32 vcc_lo, exec_lo, s0
	s_cbranch_vccnz .LBB340_1638
; %bb.1637:
	s_wait_loadcnt 0x0
	global_load_u8 v8, v[16:17], off
.LBB340_1638:
	s_mov_b32 s6, -1
.LBB340_1639:
	s_delay_alu instid0(SALU_CYCLE_1)
	s_and_not1_b32 vcc_lo, exec_lo, s6
	s_cbranch_vccnz .LBB340_2072
; %bb.1640:
	s_load_b96 s[0:2], s[16:17], 0x158
	v_mov_b32_e32 v7, 0
	s_mov_b32 s12, 0
	s_delay_alu instid0(VALU_DEP_1)
	v_add_nc_u64_e32 v[6:7], s[4:5], v[6:7]
	s_wait_loadcnt 0x0
	s_wait_kmcnt 0x0
	v_cmp_ne_u16_e32 vcc_lo, s1, v14
	s_cmp_eq_u32 s0, 0
	s_mov_b32 s0, -1
	s_cselect_b32 s6, -1, 0
	s_and_b32 s2, s2, 0xff
	s_xor_b32 s7, s6, vcc_lo
	s_cmp_lt_i32 s2, 11
	s_cbranch_scc1 .LBB340_1719
; %bb.1641:
	s_and_b32 s10, 0xffff, s2
	s_mov_b32 s13, -1
	s_mov_b32 s11, 0
	s_cmp_gt_i32 s10, 25
	s_mov_b32 s0, 0
	s_cbranch_scc0 .LBB340_1674
; %bb.1642:
	s_cmp_gt_i32 s10, 28
	s_cbranch_scc0 .LBB340_1657
; %bb.1643:
	s_cmp_gt_i32 s10, 43
	;; [unrolled: 3-line block ×3, first 2 shown]
	s_cbranch_scc0 .LBB340_1647
; %bb.1645:
	s_mov_b32 s0, -1
	s_mov_b32 s13, 0
	s_cmp_eq_u32 s10, 46
	s_cbranch_scc0 .LBB340_1647
; %bb.1646:
	v_cndmask_b32_e64 v1, 0, 1.0, s7
	s_mov_b32 s0, 0
	s_mov_b32 s12, -1
	s_delay_alu instid0(VALU_DEP_1) | instskip(NEXT) | instid1(VALU_DEP_1)
	v_bfe_u32 v3, v1, 16, 1
	v_add3_u32 v1, v1, v3, 0x7fff
	s_delay_alu instid0(VALU_DEP_1)
	v_lshrrev_b32_e32 v1, 16, v1
	global_store_b32 v[6:7], v1, off
.LBB340_1647:
	s_and_b32 vcc_lo, exec_lo, s13
	s_cbranch_vccz .LBB340_1652
; %bb.1648:
	s_cmp_eq_u32 s10, 44
	s_mov_b32 s0, -1
	s_cbranch_scc0 .LBB340_1652
; %bb.1649:
	v_cndmask_b32_e64 v5, 0, 1.0, s7
	v_mov_b32_e32 v3, 0xff
	s_mov_b32 s12, exec_lo
	s_wait_xcnt 0x0
	s_delay_alu instid0(VALU_DEP_2) | instskip(NEXT) | instid1(VALU_DEP_1)
	v_lshrrev_b32_e32 v1, 23, v5
	v_cmpx_ne_u32_e32 0xff, v1
; %bb.1650:
	v_and_b32_e32 v3, 0x400000, v5
	v_and_or_b32 v5, 0x3fffff, v5, v1
	s_delay_alu instid0(VALU_DEP_2) | instskip(NEXT) | instid1(VALU_DEP_2)
	v_cmp_ne_u32_e32 vcc_lo, 0, v3
	v_cmp_ne_u32_e64 s0, 0, v5
	s_and_b32 s0, vcc_lo, s0
	s_delay_alu instid0(SALU_CYCLE_1) | instskip(NEXT) | instid1(VALU_DEP_1)
	v_cndmask_b32_e64 v3, 0, 1, s0
	v_add_nc_u32_e32 v3, v1, v3
; %bb.1651:
	s_or_b32 exec_lo, exec_lo, s12
	s_mov_b32 s0, 0
	s_mov_b32 s12, -1
	global_store_b8 v[6:7], v3, off
.LBB340_1652:
	s_mov_b32 s13, 0
.LBB340_1653:
	s_delay_alu instid0(SALU_CYCLE_1)
	s_and_b32 vcc_lo, exec_lo, s13
	s_cbranch_vccz .LBB340_1656
; %bb.1654:
	s_cmp_eq_u32 s10, 29
	s_mov_b32 s0, -1
	s_cbranch_scc0 .LBB340_1656
; %bb.1655:
	s_mov_b32 s0, 0
	v_cndmask_b32_e64 v14, 0, 1, s7
	v_mov_b32_e32 v15, s0
	s_mov_b32 s12, -1
	global_store_b64 v[6:7], v[14:15], off
.LBB340_1656:
	s_mov_b32 s13, 0
.LBB340_1657:
	s_delay_alu instid0(SALU_CYCLE_1)
	s_and_b32 vcc_lo, exec_lo, s13
	s_cbranch_vccz .LBB340_1673
; %bb.1658:
	s_cmp_lt_i32 s10, 27
	s_mov_b32 s12, -1
	s_cbranch_scc1 .LBB340_1664
; %bb.1659:
	s_cmp_gt_i32 s10, 27
	s_cbranch_scc0 .LBB340_1661
; %bb.1660:
	s_wait_xcnt 0x0
	v_cndmask_b32_e64 v1, 0, 1, s7
	s_mov_b32 s12, 0
	global_store_b32 v[6:7], v1, off
.LBB340_1661:
	s_and_not1_b32 vcc_lo, exec_lo, s12
	s_cbranch_vccnz .LBB340_1663
; %bb.1662:
	s_wait_xcnt 0x0
	v_cndmask_b32_e64 v1, 0, 1, s7
	global_store_b16 v[6:7], v1, off
.LBB340_1663:
	s_mov_b32 s12, 0
.LBB340_1664:
	s_delay_alu instid0(SALU_CYCLE_1)
	s_and_not1_b32 vcc_lo, exec_lo, s12
	s_cbranch_vccnz .LBB340_1672
; %bb.1665:
	s_wait_xcnt 0x0
	v_cndmask_b32_e64 v3, 0, 1.0, s7
	v_mov_b32_e32 v5, 0x80
	s_mov_b32 s12, exec_lo
	s_delay_alu instid0(VALU_DEP_2)
	v_cmpx_gt_u32_e32 0x43800000, v3
	s_cbranch_execz .LBB340_1671
; %bb.1666:
	s_mov_b32 s13, 0
	s_mov_b32 s14, exec_lo
                                        ; implicit-def: $vgpr1
	v_cmpx_lt_u32_e32 0x3bffffff, v3
	s_xor_b32 s14, exec_lo, s14
	s_cbranch_execz .LBB340_2119
; %bb.1667:
	v_bfe_u32 v1, v3, 20, 1
	s_mov_b32 s13, exec_lo
	s_delay_alu instid0(VALU_DEP_1) | instskip(NEXT) | instid1(VALU_DEP_1)
	v_add3_u32 v1, v3, v1, 0x487ffff
                                        ; implicit-def: $vgpr3
	v_lshrrev_b32_e32 v1, 20, v1
	s_and_not1_saveexec_b32 s14, s14
	s_cbranch_execnz .LBB340_2120
.LBB340_1668:
	s_or_b32 exec_lo, exec_lo, s14
	v_mov_b32_e32 v5, 0
	s_and_saveexec_b32 s14, s13
.LBB340_1669:
	v_mov_b32_e32 v5, v1
.LBB340_1670:
	s_or_b32 exec_lo, exec_lo, s14
.LBB340_1671:
	s_delay_alu instid0(SALU_CYCLE_1)
	s_or_b32 exec_lo, exec_lo, s12
	global_store_b8 v[6:7], v5, off
.LBB340_1672:
	s_mov_b32 s12, -1
.LBB340_1673:
	s_mov_b32 s13, 0
.LBB340_1674:
	s_delay_alu instid0(SALU_CYCLE_1)
	s_and_b32 vcc_lo, exec_lo, s13
	s_cbranch_vccz .LBB340_1714
; %bb.1675:
	s_cmp_gt_i32 s10, 22
	s_mov_b32 s11, -1
	s_cbranch_scc0 .LBB340_1707
; %bb.1676:
	s_cmp_lt_i32 s10, 24
	s_cbranch_scc1 .LBB340_1696
; %bb.1677:
	s_cmp_gt_i32 s10, 24
	s_cbranch_scc0 .LBB340_1685
; %bb.1678:
	s_wait_xcnt 0x0
	v_cndmask_b32_e64 v3, 0, 1.0, s7
	v_mov_b32_e32 v5, 0x80
	s_mov_b32 s11, exec_lo
	s_delay_alu instid0(VALU_DEP_2)
	v_cmpx_gt_u32_e32 0x47800000, v3
	s_cbranch_execz .LBB340_1684
; %bb.1679:
	s_mov_b32 s12, 0
	s_mov_b32 s13, exec_lo
                                        ; implicit-def: $vgpr1
	v_cmpx_lt_u32_e32 0x37ffffff, v3
	s_xor_b32 s13, exec_lo, s13
	s_cbranch_execz .LBB340_2122
; %bb.1680:
	v_bfe_u32 v1, v3, 21, 1
	s_mov_b32 s12, exec_lo
	s_delay_alu instid0(VALU_DEP_1) | instskip(NEXT) | instid1(VALU_DEP_1)
	v_add3_u32 v1, v3, v1, 0x88fffff
                                        ; implicit-def: $vgpr3
	v_lshrrev_b32_e32 v1, 21, v1
	s_and_not1_saveexec_b32 s13, s13
	s_cbranch_execnz .LBB340_2123
.LBB340_1681:
	s_or_b32 exec_lo, exec_lo, s13
	v_mov_b32_e32 v5, 0
	s_and_saveexec_b32 s13, s12
.LBB340_1682:
	v_mov_b32_e32 v5, v1
.LBB340_1683:
	s_or_b32 exec_lo, exec_lo, s13
.LBB340_1684:
	s_delay_alu instid0(SALU_CYCLE_1)
	s_or_b32 exec_lo, exec_lo, s11
	s_mov_b32 s11, 0
	global_store_b8 v[6:7], v5, off
.LBB340_1685:
	s_and_b32 vcc_lo, exec_lo, s11
	s_cbranch_vccz .LBB340_1695
; %bb.1686:
	s_wait_xcnt 0x0
	v_cndmask_b32_e64 v3, 0, 1.0, s7
	s_mov_b32 s11, exec_lo
                                        ; implicit-def: $vgpr1
	s_delay_alu instid0(VALU_DEP_1)
	v_cmpx_gt_u32_e32 0x43f00000, v3
	s_xor_b32 s11, exec_lo, s11
	s_cbranch_execz .LBB340_1692
; %bb.1687:
	s_mov_b32 s12, exec_lo
                                        ; implicit-def: $vgpr1
	v_cmpx_lt_u32_e32 0x3c7fffff, v3
	s_xor_b32 s12, exec_lo, s12
; %bb.1688:
	v_bfe_u32 v1, v3, 20, 1
	s_delay_alu instid0(VALU_DEP_1) | instskip(NEXT) | instid1(VALU_DEP_1)
	v_add3_u32 v1, v3, v1, 0x407ffff
	v_and_b32_e32 v3, 0xff00000, v1
	v_lshrrev_b32_e32 v1, 20, v1
	s_delay_alu instid0(VALU_DEP_2) | instskip(NEXT) | instid1(VALU_DEP_2)
	v_cmp_ne_u32_e32 vcc_lo, 0x7f00000, v3
                                        ; implicit-def: $vgpr3
	v_cndmask_b32_e32 v1, 0x7e, v1, vcc_lo
; %bb.1689:
	s_and_not1_saveexec_b32 s12, s12
; %bb.1690:
	v_add_f32_e32 v1, 0x46800000, v3
; %bb.1691:
	s_or_b32 exec_lo, exec_lo, s12
                                        ; implicit-def: $vgpr3
.LBB340_1692:
	s_and_not1_saveexec_b32 s11, s11
; %bb.1693:
	v_mov_b32_e32 v1, 0x7f
	v_cmp_lt_u32_e32 vcc_lo, 0x7f800000, v3
	s_delay_alu instid0(VALU_DEP_2)
	v_cndmask_b32_e32 v1, 0x7e, v1, vcc_lo
; %bb.1694:
	s_or_b32 exec_lo, exec_lo, s11
	global_store_b8 v[6:7], v1, off
.LBB340_1695:
	s_mov_b32 s11, 0
.LBB340_1696:
	s_delay_alu instid0(SALU_CYCLE_1)
	s_and_not1_b32 vcc_lo, exec_lo, s11
	s_cbranch_vccnz .LBB340_1706
; %bb.1697:
	s_wait_xcnt 0x0
	v_cndmask_b32_e64 v3, 0, 1.0, s7
	s_mov_b32 s11, exec_lo
                                        ; implicit-def: $vgpr1
	s_delay_alu instid0(VALU_DEP_1)
	v_cmpx_gt_u32_e32 0x47800000, v3
	s_xor_b32 s11, exec_lo, s11
	s_cbranch_execz .LBB340_1703
; %bb.1698:
	s_mov_b32 s12, exec_lo
                                        ; implicit-def: $vgpr1
	v_cmpx_lt_u32_e32 0x387fffff, v3
	s_xor_b32 s12, exec_lo, s12
; %bb.1699:
	v_bfe_u32 v1, v3, 21, 1
	s_delay_alu instid0(VALU_DEP_1) | instskip(NEXT) | instid1(VALU_DEP_1)
	v_add3_u32 v1, v3, v1, 0x80fffff
                                        ; implicit-def: $vgpr3
	v_lshrrev_b32_e32 v1, 21, v1
; %bb.1700:
	s_and_not1_saveexec_b32 s12, s12
; %bb.1701:
	v_add_f32_e32 v1, 0x43000000, v3
; %bb.1702:
	s_or_b32 exec_lo, exec_lo, s12
                                        ; implicit-def: $vgpr3
.LBB340_1703:
	s_and_not1_saveexec_b32 s11, s11
; %bb.1704:
	v_mov_b32_e32 v1, 0x7f
	v_cmp_lt_u32_e32 vcc_lo, 0x7f800000, v3
	s_delay_alu instid0(VALU_DEP_2)
	v_cndmask_b32_e32 v1, 0x7c, v1, vcc_lo
; %bb.1705:
	s_or_b32 exec_lo, exec_lo, s11
	global_store_b8 v[6:7], v1, off
.LBB340_1706:
	s_mov_b32 s11, 0
	s_mov_b32 s12, -1
.LBB340_1707:
	s_and_not1_b32 vcc_lo, exec_lo, s11
	s_mov_b32 s11, 0
	s_cbranch_vccnz .LBB340_1714
; %bb.1708:
	s_cmp_gt_i32 s10, 14
	s_mov_b32 s11, -1
	s_cbranch_scc0 .LBB340_1712
; %bb.1709:
	s_cmp_eq_u32 s10, 15
	s_mov_b32 s0, -1
	s_cbranch_scc0 .LBB340_1711
; %bb.1710:
	s_wait_xcnt 0x0
	v_cndmask_b32_e64 v1, 0, 1.0, s7
	s_mov_b32 s0, 0
	s_mov_b32 s12, -1
	s_delay_alu instid0(VALU_DEP_1) | instskip(NEXT) | instid1(VALU_DEP_1)
	v_bfe_u32 v3, v1, 16, 1
	v_add3_u32 v1, v1, v3, 0x7fff
	global_store_d16_hi_b16 v[6:7], v1, off
.LBB340_1711:
	s_mov_b32 s11, 0
.LBB340_1712:
	s_delay_alu instid0(SALU_CYCLE_1)
	s_and_b32 vcc_lo, exec_lo, s11
	s_mov_b32 s11, 0
	s_cbranch_vccz .LBB340_1714
; %bb.1713:
	s_cmp_lg_u32 s10, 11
	s_mov_b32 s11, -1
	s_cselect_b32 s0, -1, 0
.LBB340_1714:
	s_delay_alu instid0(SALU_CYCLE_1)
	s_and_b32 vcc_lo, exec_lo, s0
	s_cbranch_vccnz .LBB340_2121
; %bb.1715:
	s_and_not1_b32 vcc_lo, exec_lo, s11
	s_cbranch_vccnz .LBB340_1717
.LBB340_1716:
	s_wait_xcnt 0x0
	v_cndmask_b32_e64 v1, 0, 1, s7
	s_mov_b32 s12, -1
	global_store_b8 v[6:7], v1, off
.LBB340_1717:
.LBB340_1718:
	s_and_not1_b32 vcc_lo, exec_lo, s12
	s_cbranch_vccnz .LBB340_2072
	s_branch .LBB340_1758
.LBB340_1719:
	s_and_b32 vcc_lo, exec_lo, s0
	s_cbranch_vccz .LBB340_1718
; %bb.1720:
	s_and_b32 s0, 0xffff, s2
	s_mov_b32 s10, -1
	s_cmp_lt_i32 s0, 5
	s_cbranch_scc1 .LBB340_1741
; %bb.1721:
	s_cmp_lt_i32 s0, 8
	s_cbranch_scc1 .LBB340_1731
; %bb.1722:
	;; [unrolled: 3-line block ×3, first 2 shown]
	s_cmp_gt_i32 s0, 9
	s_cbranch_scc0 .LBB340_1725
; %bb.1724:
	s_wait_xcnt 0x0
	v_cndmask_b32_e64 v1, 0, 1, s7
	v_mov_b32_e32 v16, 0
	s_mov_b32 s10, 0
	s_delay_alu instid0(VALU_DEP_2) | instskip(NEXT) | instid1(VALU_DEP_2)
	v_cvt_f64_u32_e32 v[14:15], v1
	v_mov_b32_e32 v17, v16
	global_store_b128 v[6:7], v[14:17], off
.LBB340_1725:
	s_and_not1_b32 vcc_lo, exec_lo, s10
	s_cbranch_vccnz .LBB340_1727
; %bb.1726:
	s_wait_xcnt 0x0
	v_cndmask_b32_e64 v14, 0, 1.0, s7
	v_mov_b32_e32 v15, 0
	global_store_b64 v[6:7], v[14:15], off
.LBB340_1727:
	s_mov_b32 s10, 0
.LBB340_1728:
	s_delay_alu instid0(SALU_CYCLE_1)
	s_and_not1_b32 vcc_lo, exec_lo, s10
	s_cbranch_vccnz .LBB340_1730
; %bb.1729:
	s_wait_xcnt 0x0
	v_cndmask_b32_e64 v1, 0, 1.0, s7
	s_delay_alu instid0(VALU_DEP_1) | instskip(NEXT) | instid1(VALU_DEP_1)
	v_cvt_f16_f32_e32 v1, v1
	v_and_b32_e32 v1, 0xffff, v1
	global_store_b32 v[6:7], v1, off
.LBB340_1730:
	s_mov_b32 s10, 0
.LBB340_1731:
	s_delay_alu instid0(SALU_CYCLE_1)
	s_and_not1_b32 vcc_lo, exec_lo, s10
	s_cbranch_vccnz .LBB340_1740
; %bb.1732:
	s_cmp_lt_i32 s0, 6
	s_mov_b32 s10, -1
	s_cbranch_scc1 .LBB340_1738
; %bb.1733:
	s_cmp_gt_i32 s0, 6
	s_cbranch_scc0 .LBB340_1735
; %bb.1734:
	s_wait_xcnt 0x0
	v_cndmask_b32_e64 v1, 0, 1, s7
	s_mov_b32 s10, 0
	s_delay_alu instid0(VALU_DEP_1)
	v_cvt_f64_u32_e32 v[14:15], v1
	global_store_b64 v[6:7], v[14:15], off
.LBB340_1735:
	s_and_not1_b32 vcc_lo, exec_lo, s10
	s_cbranch_vccnz .LBB340_1737
; %bb.1736:
	s_wait_xcnt 0x0
	v_cndmask_b32_e64 v1, 0, 1.0, s7
	global_store_b32 v[6:7], v1, off
.LBB340_1737:
	s_mov_b32 s10, 0
.LBB340_1738:
	s_delay_alu instid0(SALU_CYCLE_1)
	s_and_not1_b32 vcc_lo, exec_lo, s10
	s_cbranch_vccnz .LBB340_1740
; %bb.1739:
	s_wait_xcnt 0x0
	v_cndmask_b32_e64 v1, 0, 1.0, s7
	s_delay_alu instid0(VALU_DEP_1)
	v_cvt_f16_f32_e32 v1, v1
	global_store_b16 v[6:7], v1, off
.LBB340_1740:
	s_mov_b32 s10, 0
.LBB340_1741:
	s_delay_alu instid0(SALU_CYCLE_1)
	s_and_not1_b32 vcc_lo, exec_lo, s10
	s_cbranch_vccnz .LBB340_1757
; %bb.1742:
	s_cmp_lt_i32 s0, 2
	s_mov_b32 s10, -1
	s_cbranch_scc1 .LBB340_1752
; %bb.1743:
	s_cmp_lt_i32 s0, 3
	s_cbranch_scc1 .LBB340_1749
; %bb.1744:
	s_cmp_gt_i32 s0, 3
	s_cbranch_scc0 .LBB340_1746
; %bb.1745:
	s_mov_b32 s10, 0
	s_wait_xcnt 0x0
	v_cndmask_b32_e64 v14, 0, 1, s7
	v_mov_b32_e32 v15, s10
	global_store_b64 v[6:7], v[14:15], off
.LBB340_1746:
	s_and_not1_b32 vcc_lo, exec_lo, s10
	s_cbranch_vccnz .LBB340_1748
; %bb.1747:
	s_wait_xcnt 0x0
	v_cndmask_b32_e64 v1, 0, 1, s7
	global_store_b32 v[6:7], v1, off
.LBB340_1748:
	s_mov_b32 s10, 0
.LBB340_1749:
	s_delay_alu instid0(SALU_CYCLE_1)
	s_and_not1_b32 vcc_lo, exec_lo, s10
	s_cbranch_vccnz .LBB340_1751
; %bb.1750:
	s_wait_xcnt 0x0
	v_cndmask_b32_e64 v1, 0, 1, s7
	global_store_b16 v[6:7], v1, off
.LBB340_1751:
	s_mov_b32 s10, 0
.LBB340_1752:
	s_delay_alu instid0(SALU_CYCLE_1)
	s_and_not1_b32 vcc_lo, exec_lo, s10
	s_cbranch_vccnz .LBB340_1757
; %bb.1753:
	s_wait_xcnt 0x0
	v_cndmask_b32_e64 v1, 0, 1, s7
	s_cmp_gt_i32 s0, 0
	s_mov_b32 s0, -1
	s_cbranch_scc0 .LBB340_1755
; %bb.1754:
	s_mov_b32 s0, 0
	global_store_b8 v[6:7], v1, off
.LBB340_1755:
	s_and_not1_b32 vcc_lo, exec_lo, s0
	s_cbranch_vccnz .LBB340_1757
; %bb.1756:
	global_store_b8 v[6:7], v1, off
.LBB340_1757:
.LBB340_1758:
	s_wait_xcnt 0x0
	v_mov_b32_e32 v5, 0
	v_cmp_ne_u16_e32 vcc_lo, s1, v12
	s_and_b32 s7, 0xffff, s2
	s_delay_alu instid0(VALU_DEP_2)
	v_add_nc_u64_e32 v[4:5], s[4:5], v[4:5]
	s_xor_b32 s10, s6, vcc_lo
	s_cmp_lt_i32 s7, 11
	s_cbranch_scc1 .LBB340_1836
; %bb.1759:
	s_mov_b32 s13, -1
	s_mov_b32 s11, 0
	s_cmp_gt_i32 s7, 25
	s_mov_b32 s12, 0
	s_mov_b32 s0, 0
	s_cbranch_scc0 .LBB340_1792
; %bb.1760:
	s_cmp_gt_i32 s7, 28
	s_cbranch_scc0 .LBB340_1775
; %bb.1761:
	s_cmp_gt_i32 s7, 43
	s_cbranch_scc0 .LBB340_1771
; %bb.1762:
	s_cmp_gt_i32 s7, 45
	s_cbranch_scc0 .LBB340_1765
; %bb.1763:
	s_mov_b32 s0, -1
	s_mov_b32 s13, 0
	s_cmp_eq_u32 s7, 46
	s_cbranch_scc0 .LBB340_1765
; %bb.1764:
	v_cndmask_b32_e64 v1, 0, 1.0, s10
	s_mov_b32 s0, 0
	s_mov_b32 s12, -1
	s_delay_alu instid0(VALU_DEP_1) | instskip(NEXT) | instid1(VALU_DEP_1)
	v_bfe_u32 v3, v1, 16, 1
	v_add3_u32 v1, v1, v3, 0x7fff
	s_delay_alu instid0(VALU_DEP_1)
	v_lshrrev_b32_e32 v1, 16, v1
	global_store_b32 v[4:5], v1, off
.LBB340_1765:
	s_and_b32 vcc_lo, exec_lo, s13
	s_cbranch_vccz .LBB340_1770
; %bb.1766:
	s_cmp_eq_u32 s7, 44
	s_mov_b32 s0, -1
	s_cbranch_scc0 .LBB340_1770
; %bb.1767:
	v_cndmask_b32_e64 v6, 0, 1.0, s10
	v_mov_b32_e32 v3, 0xff
	s_mov_b32 s12, exec_lo
	s_wait_xcnt 0x0
	s_delay_alu instid0(VALU_DEP_2) | instskip(NEXT) | instid1(VALU_DEP_1)
	v_lshrrev_b32_e32 v1, 23, v6
	v_cmpx_ne_u32_e32 0xff, v1
; %bb.1768:
	v_and_b32_e32 v3, 0x400000, v6
	v_and_or_b32 v6, 0x3fffff, v6, v1
	s_delay_alu instid0(VALU_DEP_2) | instskip(NEXT) | instid1(VALU_DEP_2)
	v_cmp_ne_u32_e32 vcc_lo, 0, v3
	v_cmp_ne_u32_e64 s0, 0, v6
	s_and_b32 s0, vcc_lo, s0
	s_delay_alu instid0(SALU_CYCLE_1) | instskip(NEXT) | instid1(VALU_DEP_1)
	v_cndmask_b32_e64 v3, 0, 1, s0
	v_add_nc_u32_e32 v3, v1, v3
; %bb.1769:
	s_or_b32 exec_lo, exec_lo, s12
	s_mov_b32 s0, 0
	s_mov_b32 s12, -1
	global_store_b8 v[4:5], v3, off
.LBB340_1770:
	s_mov_b32 s13, 0
.LBB340_1771:
	s_delay_alu instid0(SALU_CYCLE_1)
	s_and_b32 vcc_lo, exec_lo, s13
	s_cbranch_vccz .LBB340_1774
; %bb.1772:
	s_cmp_eq_u32 s7, 29
	s_mov_b32 s0, -1
	s_cbranch_scc0 .LBB340_1774
; %bb.1773:
	s_mov_b32 s0, 0
	v_cndmask_b32_e64 v6, 0, 1, s10
	v_mov_b32_e32 v7, s0
	s_mov_b32 s12, -1
	global_store_b64 v[4:5], v[6:7], off
.LBB340_1774:
	s_mov_b32 s13, 0
.LBB340_1775:
	s_delay_alu instid0(SALU_CYCLE_1)
	s_and_b32 vcc_lo, exec_lo, s13
	s_cbranch_vccz .LBB340_1791
; %bb.1776:
	s_cmp_lt_i32 s7, 27
	s_mov_b32 s12, -1
	s_cbranch_scc1 .LBB340_1782
; %bb.1777:
	s_cmp_gt_i32 s7, 27
	s_cbranch_scc0 .LBB340_1779
; %bb.1778:
	s_wait_xcnt 0x0
	v_cndmask_b32_e64 v1, 0, 1, s10
	s_mov_b32 s12, 0
	global_store_b32 v[4:5], v1, off
.LBB340_1779:
	s_and_not1_b32 vcc_lo, exec_lo, s12
	s_cbranch_vccnz .LBB340_1781
; %bb.1780:
	s_wait_xcnt 0x0
	v_cndmask_b32_e64 v1, 0, 1, s10
	global_store_b16 v[4:5], v1, off
.LBB340_1781:
	s_mov_b32 s12, 0
.LBB340_1782:
	s_delay_alu instid0(SALU_CYCLE_1)
	s_and_not1_b32 vcc_lo, exec_lo, s12
	s_cbranch_vccnz .LBB340_1790
; %bb.1783:
	s_wait_xcnt 0x0
	v_cndmask_b32_e64 v3, 0, 1.0, s10
	v_mov_b32_e32 v6, 0x80
	s_mov_b32 s12, exec_lo
	s_delay_alu instid0(VALU_DEP_2)
	v_cmpx_gt_u32_e32 0x43800000, v3
	s_cbranch_execz .LBB340_1789
; %bb.1784:
	s_mov_b32 s13, 0
	s_mov_b32 s14, exec_lo
                                        ; implicit-def: $vgpr1
	v_cmpx_lt_u32_e32 0x3bffffff, v3
	s_xor_b32 s14, exec_lo, s14
	s_cbranch_execz .LBB340_2124
; %bb.1785:
	v_bfe_u32 v1, v3, 20, 1
	s_mov_b32 s13, exec_lo
	s_delay_alu instid0(VALU_DEP_1) | instskip(NEXT) | instid1(VALU_DEP_1)
	v_add3_u32 v1, v3, v1, 0x487ffff
                                        ; implicit-def: $vgpr3
	v_lshrrev_b32_e32 v1, 20, v1
	s_and_not1_saveexec_b32 s14, s14
	s_cbranch_execnz .LBB340_2125
.LBB340_1786:
	s_or_b32 exec_lo, exec_lo, s14
	v_mov_b32_e32 v6, 0
	s_and_saveexec_b32 s14, s13
.LBB340_1787:
	v_mov_b32_e32 v6, v1
.LBB340_1788:
	s_or_b32 exec_lo, exec_lo, s14
.LBB340_1789:
	s_delay_alu instid0(SALU_CYCLE_1)
	s_or_b32 exec_lo, exec_lo, s12
	global_store_b8 v[4:5], v6, off
.LBB340_1790:
	s_mov_b32 s12, -1
.LBB340_1791:
	s_mov_b32 s13, 0
.LBB340_1792:
	s_delay_alu instid0(SALU_CYCLE_1)
	s_and_b32 vcc_lo, exec_lo, s13
	s_cbranch_vccz .LBB340_1832
; %bb.1793:
	s_cmp_gt_i32 s7, 22
	s_mov_b32 s11, -1
	s_cbranch_scc0 .LBB340_1825
; %bb.1794:
	s_cmp_lt_i32 s7, 24
	s_cbranch_scc1 .LBB340_1814
; %bb.1795:
	s_cmp_gt_i32 s7, 24
	s_cbranch_scc0 .LBB340_1803
; %bb.1796:
	s_wait_xcnt 0x0
	v_cndmask_b32_e64 v3, 0, 1.0, s10
	v_mov_b32_e32 v6, 0x80
	s_mov_b32 s11, exec_lo
	s_delay_alu instid0(VALU_DEP_2)
	v_cmpx_gt_u32_e32 0x47800000, v3
	s_cbranch_execz .LBB340_1802
; %bb.1797:
	s_mov_b32 s12, 0
	s_mov_b32 s13, exec_lo
                                        ; implicit-def: $vgpr1
	v_cmpx_lt_u32_e32 0x37ffffff, v3
	s_xor_b32 s13, exec_lo, s13
	s_cbranch_execz .LBB340_2127
; %bb.1798:
	v_bfe_u32 v1, v3, 21, 1
	s_mov_b32 s12, exec_lo
	s_delay_alu instid0(VALU_DEP_1) | instskip(NEXT) | instid1(VALU_DEP_1)
	v_add3_u32 v1, v3, v1, 0x88fffff
                                        ; implicit-def: $vgpr3
	v_lshrrev_b32_e32 v1, 21, v1
	s_and_not1_saveexec_b32 s13, s13
	s_cbranch_execnz .LBB340_2128
.LBB340_1799:
	s_or_b32 exec_lo, exec_lo, s13
	v_mov_b32_e32 v6, 0
	s_and_saveexec_b32 s13, s12
.LBB340_1800:
	v_mov_b32_e32 v6, v1
.LBB340_1801:
	s_or_b32 exec_lo, exec_lo, s13
.LBB340_1802:
	s_delay_alu instid0(SALU_CYCLE_1)
	s_or_b32 exec_lo, exec_lo, s11
	s_mov_b32 s11, 0
	global_store_b8 v[4:5], v6, off
.LBB340_1803:
	s_and_b32 vcc_lo, exec_lo, s11
	s_cbranch_vccz .LBB340_1813
; %bb.1804:
	s_wait_xcnt 0x0
	v_cndmask_b32_e64 v3, 0, 1.0, s10
	s_mov_b32 s11, exec_lo
                                        ; implicit-def: $vgpr1
	s_delay_alu instid0(VALU_DEP_1)
	v_cmpx_gt_u32_e32 0x43f00000, v3
	s_xor_b32 s11, exec_lo, s11
	s_cbranch_execz .LBB340_1810
; %bb.1805:
	s_mov_b32 s12, exec_lo
                                        ; implicit-def: $vgpr1
	v_cmpx_lt_u32_e32 0x3c7fffff, v3
	s_xor_b32 s12, exec_lo, s12
; %bb.1806:
	v_bfe_u32 v1, v3, 20, 1
	s_delay_alu instid0(VALU_DEP_1) | instskip(NEXT) | instid1(VALU_DEP_1)
	v_add3_u32 v1, v3, v1, 0x407ffff
	v_and_b32_e32 v3, 0xff00000, v1
	v_lshrrev_b32_e32 v1, 20, v1
	s_delay_alu instid0(VALU_DEP_2) | instskip(NEXT) | instid1(VALU_DEP_2)
	v_cmp_ne_u32_e32 vcc_lo, 0x7f00000, v3
                                        ; implicit-def: $vgpr3
	v_cndmask_b32_e32 v1, 0x7e, v1, vcc_lo
; %bb.1807:
	s_and_not1_saveexec_b32 s12, s12
; %bb.1808:
	v_add_f32_e32 v1, 0x46800000, v3
; %bb.1809:
	s_or_b32 exec_lo, exec_lo, s12
                                        ; implicit-def: $vgpr3
.LBB340_1810:
	s_and_not1_saveexec_b32 s11, s11
; %bb.1811:
	v_mov_b32_e32 v1, 0x7f
	v_cmp_lt_u32_e32 vcc_lo, 0x7f800000, v3
	s_delay_alu instid0(VALU_DEP_2)
	v_cndmask_b32_e32 v1, 0x7e, v1, vcc_lo
; %bb.1812:
	s_or_b32 exec_lo, exec_lo, s11
	global_store_b8 v[4:5], v1, off
.LBB340_1813:
	s_mov_b32 s11, 0
.LBB340_1814:
	s_delay_alu instid0(SALU_CYCLE_1)
	s_and_not1_b32 vcc_lo, exec_lo, s11
	s_cbranch_vccnz .LBB340_1824
; %bb.1815:
	s_wait_xcnt 0x0
	v_cndmask_b32_e64 v3, 0, 1.0, s10
	s_mov_b32 s11, exec_lo
                                        ; implicit-def: $vgpr1
	s_delay_alu instid0(VALU_DEP_1)
	v_cmpx_gt_u32_e32 0x47800000, v3
	s_xor_b32 s11, exec_lo, s11
	s_cbranch_execz .LBB340_1821
; %bb.1816:
	s_mov_b32 s12, exec_lo
                                        ; implicit-def: $vgpr1
	v_cmpx_lt_u32_e32 0x387fffff, v3
	s_xor_b32 s12, exec_lo, s12
; %bb.1817:
	v_bfe_u32 v1, v3, 21, 1
	s_delay_alu instid0(VALU_DEP_1) | instskip(NEXT) | instid1(VALU_DEP_1)
	v_add3_u32 v1, v3, v1, 0x80fffff
                                        ; implicit-def: $vgpr3
	v_lshrrev_b32_e32 v1, 21, v1
; %bb.1818:
	s_and_not1_saveexec_b32 s12, s12
; %bb.1819:
	v_add_f32_e32 v1, 0x43000000, v3
; %bb.1820:
	s_or_b32 exec_lo, exec_lo, s12
                                        ; implicit-def: $vgpr3
.LBB340_1821:
	s_and_not1_saveexec_b32 s11, s11
; %bb.1822:
	v_mov_b32_e32 v1, 0x7f
	v_cmp_lt_u32_e32 vcc_lo, 0x7f800000, v3
	s_delay_alu instid0(VALU_DEP_2)
	v_cndmask_b32_e32 v1, 0x7c, v1, vcc_lo
; %bb.1823:
	s_or_b32 exec_lo, exec_lo, s11
	global_store_b8 v[4:5], v1, off
.LBB340_1824:
	s_mov_b32 s11, 0
	s_mov_b32 s12, -1
.LBB340_1825:
	s_and_not1_b32 vcc_lo, exec_lo, s11
	s_mov_b32 s11, 0
	s_cbranch_vccnz .LBB340_1832
; %bb.1826:
	s_cmp_gt_i32 s7, 14
	s_mov_b32 s11, -1
	s_cbranch_scc0 .LBB340_1830
; %bb.1827:
	s_cmp_eq_u32 s7, 15
	s_mov_b32 s0, -1
	s_cbranch_scc0 .LBB340_1829
; %bb.1828:
	s_wait_xcnt 0x0
	v_cndmask_b32_e64 v1, 0, 1.0, s10
	s_mov_b32 s0, 0
	s_mov_b32 s12, -1
	s_delay_alu instid0(VALU_DEP_1) | instskip(NEXT) | instid1(VALU_DEP_1)
	v_bfe_u32 v3, v1, 16, 1
	v_add3_u32 v1, v1, v3, 0x7fff
	global_store_d16_hi_b16 v[4:5], v1, off
.LBB340_1829:
	s_mov_b32 s11, 0
.LBB340_1830:
	s_delay_alu instid0(SALU_CYCLE_1)
	s_and_b32 vcc_lo, exec_lo, s11
	s_mov_b32 s11, 0
	s_cbranch_vccz .LBB340_1832
; %bb.1831:
	s_cmp_lg_u32 s7, 11
	s_mov_b32 s11, -1
	s_cselect_b32 s0, -1, 0
.LBB340_1832:
	s_delay_alu instid0(SALU_CYCLE_1)
	s_and_b32 vcc_lo, exec_lo, s0
	s_cbranch_vccnz .LBB340_2126
; %bb.1833:
	s_and_not1_b32 vcc_lo, exec_lo, s11
	s_cbranch_vccnz .LBB340_1835
.LBB340_1834:
	s_wait_xcnt 0x0
	v_cndmask_b32_e64 v1, 0, 1, s10
	s_mov_b32 s12, -1
	global_store_b8 v[4:5], v1, off
.LBB340_1835:
	s_mov_b32 s0, 0
	s_branch .LBB340_1837
.LBB340_1836:
	s_mov_b32 s0, -1
	s_mov_b32 s12, 0
.LBB340_1837:
	s_and_b32 vcc_lo, exec_lo, s0
	s_cbranch_vccz .LBB340_1876
; %bb.1838:
	s_cmp_lt_i32 s7, 5
	s_mov_b32 s0, -1
	s_cbranch_scc1 .LBB340_1859
; %bb.1839:
	s_cmp_lt_i32 s7, 8
	s_cbranch_scc1 .LBB340_1849
; %bb.1840:
	s_cmp_lt_i32 s7, 9
	s_cbranch_scc1 .LBB340_1846
; %bb.1841:
	s_cmp_gt_i32 s7, 9
	s_cbranch_scc0 .LBB340_1843
; %bb.1842:
	s_wait_xcnt 0x0
	v_cndmask_b32_e64 v1, 0, 1, s10
	v_mov_b32_e32 v14, 0
	s_mov_b32 s0, 0
	s_delay_alu instid0(VALU_DEP_2) | instskip(NEXT) | instid1(VALU_DEP_2)
	v_cvt_f64_u32_e32 v[12:13], v1
	v_mov_b32_e32 v15, v14
	global_store_b128 v[4:5], v[12:15], off
.LBB340_1843:
	s_and_not1_b32 vcc_lo, exec_lo, s0
	s_cbranch_vccnz .LBB340_1845
; %bb.1844:
	s_wait_xcnt 0x0
	v_cndmask_b32_e64 v6, 0, 1.0, s10
	v_mov_b32_e32 v7, 0
	global_store_b64 v[4:5], v[6:7], off
.LBB340_1845:
	s_mov_b32 s0, 0
.LBB340_1846:
	s_delay_alu instid0(SALU_CYCLE_1)
	s_and_not1_b32 vcc_lo, exec_lo, s0
	s_cbranch_vccnz .LBB340_1848
; %bb.1847:
	s_wait_xcnt 0x0
	v_cndmask_b32_e64 v1, 0, 1.0, s10
	s_delay_alu instid0(VALU_DEP_1) | instskip(NEXT) | instid1(VALU_DEP_1)
	v_cvt_f16_f32_e32 v1, v1
	v_and_b32_e32 v1, 0xffff, v1
	global_store_b32 v[4:5], v1, off
.LBB340_1848:
	s_mov_b32 s0, 0
.LBB340_1849:
	s_delay_alu instid0(SALU_CYCLE_1)
	s_and_not1_b32 vcc_lo, exec_lo, s0
	s_cbranch_vccnz .LBB340_1858
; %bb.1850:
	s_cmp_lt_i32 s7, 6
	s_mov_b32 s0, -1
	s_cbranch_scc1 .LBB340_1856
; %bb.1851:
	s_cmp_gt_i32 s7, 6
	s_cbranch_scc0 .LBB340_1853
; %bb.1852:
	s_wait_xcnt 0x0
	v_cndmask_b32_e64 v1, 0, 1, s10
	s_mov_b32 s0, 0
	s_delay_alu instid0(VALU_DEP_1)
	v_cvt_f64_u32_e32 v[6:7], v1
	global_store_b64 v[4:5], v[6:7], off
.LBB340_1853:
	s_and_not1_b32 vcc_lo, exec_lo, s0
	s_cbranch_vccnz .LBB340_1855
; %bb.1854:
	s_wait_xcnt 0x0
	v_cndmask_b32_e64 v1, 0, 1.0, s10
	global_store_b32 v[4:5], v1, off
.LBB340_1855:
	s_mov_b32 s0, 0
.LBB340_1856:
	s_delay_alu instid0(SALU_CYCLE_1)
	s_and_not1_b32 vcc_lo, exec_lo, s0
	s_cbranch_vccnz .LBB340_1858
; %bb.1857:
	s_wait_xcnt 0x0
	v_cndmask_b32_e64 v1, 0, 1.0, s10
	s_delay_alu instid0(VALU_DEP_1)
	v_cvt_f16_f32_e32 v1, v1
	global_store_b16 v[4:5], v1, off
.LBB340_1858:
	s_mov_b32 s0, 0
.LBB340_1859:
	s_delay_alu instid0(SALU_CYCLE_1)
	s_and_not1_b32 vcc_lo, exec_lo, s0
	s_cbranch_vccnz .LBB340_1875
; %bb.1860:
	s_cmp_lt_i32 s7, 2
	s_mov_b32 s0, -1
	s_cbranch_scc1 .LBB340_1870
; %bb.1861:
	s_cmp_lt_i32 s7, 3
	s_cbranch_scc1 .LBB340_1867
; %bb.1862:
	s_cmp_gt_i32 s7, 3
	s_cbranch_scc0 .LBB340_1864
; %bb.1863:
	s_mov_b32 s0, 0
	s_wait_xcnt 0x0
	v_cndmask_b32_e64 v6, 0, 1, s10
	v_mov_b32_e32 v7, s0
	global_store_b64 v[4:5], v[6:7], off
.LBB340_1864:
	s_and_not1_b32 vcc_lo, exec_lo, s0
	s_cbranch_vccnz .LBB340_1866
; %bb.1865:
	s_wait_xcnt 0x0
	v_cndmask_b32_e64 v1, 0, 1, s10
	global_store_b32 v[4:5], v1, off
.LBB340_1866:
	s_mov_b32 s0, 0
.LBB340_1867:
	s_delay_alu instid0(SALU_CYCLE_1)
	s_and_not1_b32 vcc_lo, exec_lo, s0
	s_cbranch_vccnz .LBB340_1869
; %bb.1868:
	s_wait_xcnt 0x0
	v_cndmask_b32_e64 v1, 0, 1, s10
	global_store_b16 v[4:5], v1, off
.LBB340_1869:
	s_mov_b32 s0, 0
.LBB340_1870:
	s_delay_alu instid0(SALU_CYCLE_1)
	s_and_not1_b32 vcc_lo, exec_lo, s0
	s_cbranch_vccnz .LBB340_1875
; %bb.1871:
	s_wait_xcnt 0x0
	v_cndmask_b32_e64 v1, 0, 1, s10
	s_cmp_gt_i32 s7, 0
	s_mov_b32 s0, -1
	s_cbranch_scc0 .LBB340_1873
; %bb.1872:
	s_mov_b32 s0, 0
	global_store_b8 v[4:5], v1, off
.LBB340_1873:
	s_and_not1_b32 vcc_lo, exec_lo, s0
	s_cbranch_vccnz .LBB340_1875
; %bb.1874:
	global_store_b8 v[4:5], v1, off
.LBB340_1875:
	s_mov_b32 s12, -1
.LBB340_1876:
	s_delay_alu instid0(SALU_CYCLE_1)
	s_and_not1_b32 vcc_lo, exec_lo, s12
	s_cbranch_vccnz .LBB340_2072
; %bb.1877:
	s_wait_xcnt 0x0
	v_mov_b32_e32 v3, 0
	v_cmp_ne_u16_e32 vcc_lo, s1, v10
	s_delay_alu instid0(VALU_DEP_2)
	v_add_nc_u64_e32 v[2:3], s[4:5], v[2:3]
	s_xor_b32 s10, s6, vcc_lo
	s_cmp_lt_i32 s7, 11
	s_cbranch_scc1 .LBB340_1955
; %bb.1878:
	s_mov_b32 s13, -1
	s_mov_b32 s11, 0
	s_cmp_gt_i32 s7, 25
	s_mov_b32 s12, 0
	s_mov_b32 s0, 0
	s_cbranch_scc0 .LBB340_1911
; %bb.1879:
	s_cmp_gt_i32 s7, 28
	s_cbranch_scc0 .LBB340_1894
; %bb.1880:
	s_cmp_gt_i32 s7, 43
	s_cbranch_scc0 .LBB340_1890
; %bb.1881:
	s_cmp_gt_i32 s7, 45
	s_cbranch_scc0 .LBB340_1884
; %bb.1882:
	s_mov_b32 s0, -1
	s_mov_b32 s13, 0
	s_cmp_eq_u32 s7, 46
	s_cbranch_scc0 .LBB340_1884
; %bb.1883:
	v_cndmask_b32_e64 v1, 0, 1.0, s10
	s_mov_b32 s0, 0
	s_mov_b32 s12, -1
	s_delay_alu instid0(VALU_DEP_1) | instskip(NEXT) | instid1(VALU_DEP_1)
	v_bfe_u32 v4, v1, 16, 1
	v_add3_u32 v1, v1, v4, 0x7fff
	s_delay_alu instid0(VALU_DEP_1)
	v_lshrrev_b32_e32 v1, 16, v1
	global_store_b32 v[2:3], v1, off
.LBB340_1884:
	s_and_b32 vcc_lo, exec_lo, s13
	s_cbranch_vccz .LBB340_1889
; %bb.1885:
	s_cmp_eq_u32 s7, 44
	s_mov_b32 s0, -1
	s_cbranch_scc0 .LBB340_1889
; %bb.1886:
	v_cndmask_b32_e64 v5, 0, 1.0, s10
	s_mov_b32 s12, exec_lo
	s_wait_xcnt 0x0
	s_delay_alu instid0(VALU_DEP_1) | instskip(NEXT) | instid1(VALU_DEP_1)
	v_dual_mov_b32 v4, 0xff :: v_dual_lshrrev_b32 v1, 23, v5
	v_cmpx_ne_u32_e32 0xff, v1
; %bb.1887:
	v_and_b32_e32 v4, 0x400000, v5
	v_and_or_b32 v5, 0x3fffff, v5, v1
	s_delay_alu instid0(VALU_DEP_2) | instskip(NEXT) | instid1(VALU_DEP_2)
	v_cmp_ne_u32_e32 vcc_lo, 0, v4
	v_cmp_ne_u32_e64 s0, 0, v5
	s_and_b32 s0, vcc_lo, s0
	s_delay_alu instid0(SALU_CYCLE_1) | instskip(NEXT) | instid1(VALU_DEP_1)
	v_cndmask_b32_e64 v4, 0, 1, s0
	v_add_nc_u32_e32 v4, v1, v4
; %bb.1888:
	s_or_b32 exec_lo, exec_lo, s12
	s_mov_b32 s0, 0
	s_mov_b32 s12, -1
	global_store_b8 v[2:3], v4, off
.LBB340_1889:
	s_mov_b32 s13, 0
.LBB340_1890:
	s_delay_alu instid0(SALU_CYCLE_1)
	s_and_b32 vcc_lo, exec_lo, s13
	s_cbranch_vccz .LBB340_1893
; %bb.1891:
	s_cmp_eq_u32 s7, 29
	s_mov_b32 s0, -1
	s_cbranch_scc0 .LBB340_1893
; %bb.1892:
	s_mov_b32 s0, 0
	s_wait_xcnt 0x0
	v_cndmask_b32_e64 v4, 0, 1, s10
	v_mov_b32_e32 v5, s0
	s_mov_b32 s12, -1
	global_store_b64 v[2:3], v[4:5], off
.LBB340_1893:
	s_mov_b32 s13, 0
.LBB340_1894:
	s_delay_alu instid0(SALU_CYCLE_1)
	s_and_b32 vcc_lo, exec_lo, s13
	s_cbranch_vccz .LBB340_1910
; %bb.1895:
	s_cmp_lt_i32 s7, 27
	s_mov_b32 s12, -1
	s_cbranch_scc1 .LBB340_1901
; %bb.1896:
	s_cmp_gt_i32 s7, 27
	s_cbranch_scc0 .LBB340_1898
; %bb.1897:
	s_wait_xcnt 0x0
	v_cndmask_b32_e64 v1, 0, 1, s10
	s_mov_b32 s12, 0
	global_store_b32 v[2:3], v1, off
.LBB340_1898:
	s_and_not1_b32 vcc_lo, exec_lo, s12
	s_cbranch_vccnz .LBB340_1900
; %bb.1899:
	s_wait_xcnt 0x0
	v_cndmask_b32_e64 v1, 0, 1, s10
	global_store_b16 v[2:3], v1, off
.LBB340_1900:
	s_mov_b32 s12, 0
.LBB340_1901:
	s_delay_alu instid0(SALU_CYCLE_1)
	s_and_not1_b32 vcc_lo, exec_lo, s12
	s_cbranch_vccnz .LBB340_1909
; %bb.1902:
	s_wait_xcnt 0x0
	v_cndmask_b32_e64 v4, 0, 1.0, s10
	v_mov_b32_e32 v5, 0x80
	s_mov_b32 s12, exec_lo
	s_delay_alu instid0(VALU_DEP_2)
	v_cmpx_gt_u32_e32 0x43800000, v4
	s_cbranch_execz .LBB340_1908
; %bb.1903:
	s_mov_b32 s13, 0
	s_mov_b32 s14, exec_lo
                                        ; implicit-def: $vgpr1
	v_cmpx_lt_u32_e32 0x3bffffff, v4
	s_xor_b32 s14, exec_lo, s14
	s_cbranch_execz .LBB340_2129
; %bb.1904:
	v_bfe_u32 v1, v4, 20, 1
	s_mov_b32 s13, exec_lo
	s_delay_alu instid0(VALU_DEP_1) | instskip(NEXT) | instid1(VALU_DEP_1)
	v_add3_u32 v1, v4, v1, 0x487ffff
                                        ; implicit-def: $vgpr4
	v_lshrrev_b32_e32 v1, 20, v1
	s_and_not1_saveexec_b32 s14, s14
	s_cbranch_execnz .LBB340_2130
.LBB340_1905:
	s_or_b32 exec_lo, exec_lo, s14
	v_mov_b32_e32 v5, 0
	s_and_saveexec_b32 s14, s13
.LBB340_1906:
	v_mov_b32_e32 v5, v1
.LBB340_1907:
	s_or_b32 exec_lo, exec_lo, s14
.LBB340_1908:
	s_delay_alu instid0(SALU_CYCLE_1)
	s_or_b32 exec_lo, exec_lo, s12
	global_store_b8 v[2:3], v5, off
.LBB340_1909:
	s_mov_b32 s12, -1
.LBB340_1910:
	s_mov_b32 s13, 0
.LBB340_1911:
	s_delay_alu instid0(SALU_CYCLE_1)
	s_and_b32 vcc_lo, exec_lo, s13
	s_cbranch_vccz .LBB340_1951
; %bb.1912:
	s_cmp_gt_i32 s7, 22
	s_mov_b32 s11, -1
	s_cbranch_scc0 .LBB340_1944
; %bb.1913:
	s_cmp_lt_i32 s7, 24
	s_cbranch_scc1 .LBB340_1933
; %bb.1914:
	s_cmp_gt_i32 s7, 24
	s_cbranch_scc0 .LBB340_1922
; %bb.1915:
	s_wait_xcnt 0x0
	v_cndmask_b32_e64 v4, 0, 1.0, s10
	v_mov_b32_e32 v5, 0x80
	s_mov_b32 s11, exec_lo
	s_delay_alu instid0(VALU_DEP_2)
	v_cmpx_gt_u32_e32 0x47800000, v4
	s_cbranch_execz .LBB340_1921
; %bb.1916:
	s_mov_b32 s12, 0
	s_mov_b32 s13, exec_lo
                                        ; implicit-def: $vgpr1
	v_cmpx_lt_u32_e32 0x37ffffff, v4
	s_xor_b32 s13, exec_lo, s13
	s_cbranch_execz .LBB340_2132
; %bb.1917:
	v_bfe_u32 v1, v4, 21, 1
	s_mov_b32 s12, exec_lo
	s_delay_alu instid0(VALU_DEP_1) | instskip(NEXT) | instid1(VALU_DEP_1)
	v_add3_u32 v1, v4, v1, 0x88fffff
                                        ; implicit-def: $vgpr4
	v_lshrrev_b32_e32 v1, 21, v1
	s_and_not1_saveexec_b32 s13, s13
	s_cbranch_execnz .LBB340_2133
.LBB340_1918:
	s_or_b32 exec_lo, exec_lo, s13
	v_mov_b32_e32 v5, 0
	s_and_saveexec_b32 s13, s12
.LBB340_1919:
	v_mov_b32_e32 v5, v1
.LBB340_1920:
	s_or_b32 exec_lo, exec_lo, s13
.LBB340_1921:
	s_delay_alu instid0(SALU_CYCLE_1)
	s_or_b32 exec_lo, exec_lo, s11
	s_mov_b32 s11, 0
	global_store_b8 v[2:3], v5, off
.LBB340_1922:
	s_and_b32 vcc_lo, exec_lo, s11
	s_cbranch_vccz .LBB340_1932
; %bb.1923:
	s_wait_xcnt 0x0
	v_cndmask_b32_e64 v4, 0, 1.0, s10
	s_mov_b32 s11, exec_lo
                                        ; implicit-def: $vgpr1
	s_delay_alu instid0(VALU_DEP_1)
	v_cmpx_gt_u32_e32 0x43f00000, v4
	s_xor_b32 s11, exec_lo, s11
	s_cbranch_execz .LBB340_1929
; %bb.1924:
	s_mov_b32 s12, exec_lo
                                        ; implicit-def: $vgpr1
	v_cmpx_lt_u32_e32 0x3c7fffff, v4
	s_xor_b32 s12, exec_lo, s12
; %bb.1925:
	v_bfe_u32 v1, v4, 20, 1
	s_delay_alu instid0(VALU_DEP_1) | instskip(NEXT) | instid1(VALU_DEP_1)
	v_add3_u32 v1, v4, v1, 0x407ffff
	v_and_b32_e32 v4, 0xff00000, v1
	v_lshrrev_b32_e32 v1, 20, v1
	s_delay_alu instid0(VALU_DEP_2) | instskip(NEXT) | instid1(VALU_DEP_2)
	v_cmp_ne_u32_e32 vcc_lo, 0x7f00000, v4
                                        ; implicit-def: $vgpr4
	v_cndmask_b32_e32 v1, 0x7e, v1, vcc_lo
; %bb.1926:
	s_and_not1_saveexec_b32 s12, s12
; %bb.1927:
	v_add_f32_e32 v1, 0x46800000, v4
; %bb.1928:
	s_or_b32 exec_lo, exec_lo, s12
                                        ; implicit-def: $vgpr4
.LBB340_1929:
	s_and_not1_saveexec_b32 s11, s11
; %bb.1930:
	v_mov_b32_e32 v1, 0x7f
	v_cmp_lt_u32_e32 vcc_lo, 0x7f800000, v4
	s_delay_alu instid0(VALU_DEP_2)
	v_cndmask_b32_e32 v1, 0x7e, v1, vcc_lo
; %bb.1931:
	s_or_b32 exec_lo, exec_lo, s11
	global_store_b8 v[2:3], v1, off
.LBB340_1932:
	s_mov_b32 s11, 0
.LBB340_1933:
	s_delay_alu instid0(SALU_CYCLE_1)
	s_and_not1_b32 vcc_lo, exec_lo, s11
	s_cbranch_vccnz .LBB340_1943
; %bb.1934:
	s_wait_xcnt 0x0
	v_cndmask_b32_e64 v4, 0, 1.0, s10
	s_mov_b32 s11, exec_lo
                                        ; implicit-def: $vgpr1
	s_delay_alu instid0(VALU_DEP_1)
	v_cmpx_gt_u32_e32 0x47800000, v4
	s_xor_b32 s11, exec_lo, s11
	s_cbranch_execz .LBB340_1940
; %bb.1935:
	s_mov_b32 s12, exec_lo
                                        ; implicit-def: $vgpr1
	v_cmpx_lt_u32_e32 0x387fffff, v4
	s_xor_b32 s12, exec_lo, s12
; %bb.1936:
	v_bfe_u32 v1, v4, 21, 1
	s_delay_alu instid0(VALU_DEP_1) | instskip(NEXT) | instid1(VALU_DEP_1)
	v_add3_u32 v1, v4, v1, 0x80fffff
                                        ; implicit-def: $vgpr4
	v_lshrrev_b32_e32 v1, 21, v1
; %bb.1937:
	s_and_not1_saveexec_b32 s12, s12
; %bb.1938:
	v_add_f32_e32 v1, 0x43000000, v4
; %bb.1939:
	s_or_b32 exec_lo, exec_lo, s12
                                        ; implicit-def: $vgpr4
.LBB340_1940:
	s_and_not1_saveexec_b32 s11, s11
; %bb.1941:
	v_mov_b32_e32 v1, 0x7f
	v_cmp_lt_u32_e32 vcc_lo, 0x7f800000, v4
	s_delay_alu instid0(VALU_DEP_2)
	v_cndmask_b32_e32 v1, 0x7c, v1, vcc_lo
; %bb.1942:
	s_or_b32 exec_lo, exec_lo, s11
	global_store_b8 v[2:3], v1, off
.LBB340_1943:
	s_mov_b32 s11, 0
	s_mov_b32 s12, -1
.LBB340_1944:
	s_and_not1_b32 vcc_lo, exec_lo, s11
	s_mov_b32 s11, 0
	s_cbranch_vccnz .LBB340_1951
; %bb.1945:
	s_cmp_gt_i32 s7, 14
	s_mov_b32 s11, -1
	s_cbranch_scc0 .LBB340_1949
; %bb.1946:
	s_cmp_eq_u32 s7, 15
	s_mov_b32 s0, -1
	s_cbranch_scc0 .LBB340_1948
; %bb.1947:
	s_wait_xcnt 0x0
	v_cndmask_b32_e64 v1, 0, 1.0, s10
	s_mov_b32 s0, 0
	s_mov_b32 s12, -1
	s_delay_alu instid0(VALU_DEP_1) | instskip(NEXT) | instid1(VALU_DEP_1)
	v_bfe_u32 v4, v1, 16, 1
	v_add3_u32 v1, v1, v4, 0x7fff
	global_store_d16_hi_b16 v[2:3], v1, off
.LBB340_1948:
	s_mov_b32 s11, 0
.LBB340_1949:
	s_delay_alu instid0(SALU_CYCLE_1)
	s_and_b32 vcc_lo, exec_lo, s11
	s_mov_b32 s11, 0
	s_cbranch_vccz .LBB340_1951
; %bb.1950:
	s_cmp_lg_u32 s7, 11
	s_mov_b32 s11, -1
	s_cselect_b32 s0, -1, 0
.LBB340_1951:
	s_delay_alu instid0(SALU_CYCLE_1)
	s_and_b32 vcc_lo, exec_lo, s0
	s_cbranch_vccnz .LBB340_2131
; %bb.1952:
	s_and_not1_b32 vcc_lo, exec_lo, s11
	s_cbranch_vccnz .LBB340_1954
.LBB340_1953:
	s_wait_xcnt 0x0
	v_cndmask_b32_e64 v1, 0, 1, s10
	s_mov_b32 s12, -1
	global_store_b8 v[2:3], v1, off
.LBB340_1954:
	s_mov_b32 s0, 0
	s_branch .LBB340_1956
.LBB340_1955:
	s_mov_b32 s0, -1
	s_mov_b32 s12, 0
.LBB340_1956:
	s_and_b32 vcc_lo, exec_lo, s0
	s_cbranch_vccz .LBB340_1995
; %bb.1957:
	s_cmp_lt_i32 s7, 5
	s_mov_b32 s0, -1
	s_cbranch_scc1 .LBB340_1978
; %bb.1958:
	s_cmp_lt_i32 s7, 8
	s_cbranch_scc1 .LBB340_1968
; %bb.1959:
	s_cmp_lt_i32 s7, 9
	s_cbranch_scc1 .LBB340_1965
; %bb.1960:
	s_cmp_gt_i32 s7, 9
	s_cbranch_scc0 .LBB340_1962
; %bb.1961:
	s_wait_xcnt 0x0
	v_cndmask_b32_e64 v1, 0, 1, s10
	v_mov_b32_e32 v6, 0
	s_mov_b32 s0, 0
	s_delay_alu instid0(VALU_DEP_2) | instskip(NEXT) | instid1(VALU_DEP_2)
	v_cvt_f64_u32_e32 v[4:5], v1
	v_mov_b32_e32 v7, v6
	global_store_b128 v[2:3], v[4:7], off
.LBB340_1962:
	s_and_not1_b32 vcc_lo, exec_lo, s0
	s_cbranch_vccnz .LBB340_1964
; %bb.1963:
	s_wait_xcnt 0x0
	v_cndmask_b32_e64 v4, 0, 1.0, s10
	v_mov_b32_e32 v5, 0
	global_store_b64 v[2:3], v[4:5], off
.LBB340_1964:
	s_mov_b32 s0, 0
.LBB340_1965:
	s_delay_alu instid0(SALU_CYCLE_1)
	s_and_not1_b32 vcc_lo, exec_lo, s0
	s_cbranch_vccnz .LBB340_1967
; %bb.1966:
	s_wait_xcnt 0x0
	v_cndmask_b32_e64 v1, 0, 1.0, s10
	s_delay_alu instid0(VALU_DEP_1) | instskip(NEXT) | instid1(VALU_DEP_1)
	v_cvt_f16_f32_e32 v1, v1
	v_and_b32_e32 v1, 0xffff, v1
	global_store_b32 v[2:3], v1, off
.LBB340_1967:
	s_mov_b32 s0, 0
.LBB340_1968:
	s_delay_alu instid0(SALU_CYCLE_1)
	s_and_not1_b32 vcc_lo, exec_lo, s0
	s_cbranch_vccnz .LBB340_1977
; %bb.1969:
	s_cmp_lt_i32 s7, 6
	s_mov_b32 s0, -1
	s_cbranch_scc1 .LBB340_1975
; %bb.1970:
	s_cmp_gt_i32 s7, 6
	s_cbranch_scc0 .LBB340_1972
; %bb.1971:
	s_wait_xcnt 0x0
	v_cndmask_b32_e64 v1, 0, 1, s10
	s_mov_b32 s0, 0
	s_delay_alu instid0(VALU_DEP_1)
	v_cvt_f64_u32_e32 v[4:5], v1
	global_store_b64 v[2:3], v[4:5], off
.LBB340_1972:
	s_and_not1_b32 vcc_lo, exec_lo, s0
	s_cbranch_vccnz .LBB340_1974
; %bb.1973:
	s_wait_xcnt 0x0
	v_cndmask_b32_e64 v1, 0, 1.0, s10
	global_store_b32 v[2:3], v1, off
.LBB340_1974:
	s_mov_b32 s0, 0
.LBB340_1975:
	s_delay_alu instid0(SALU_CYCLE_1)
	s_and_not1_b32 vcc_lo, exec_lo, s0
	s_cbranch_vccnz .LBB340_1977
; %bb.1976:
	s_wait_xcnt 0x0
	v_cndmask_b32_e64 v1, 0, 1.0, s10
	s_delay_alu instid0(VALU_DEP_1)
	v_cvt_f16_f32_e32 v1, v1
	global_store_b16 v[2:3], v1, off
.LBB340_1977:
	s_mov_b32 s0, 0
.LBB340_1978:
	s_delay_alu instid0(SALU_CYCLE_1)
	s_and_not1_b32 vcc_lo, exec_lo, s0
	s_cbranch_vccnz .LBB340_1994
; %bb.1979:
	s_cmp_lt_i32 s7, 2
	s_mov_b32 s0, -1
	s_cbranch_scc1 .LBB340_1989
; %bb.1980:
	s_cmp_lt_i32 s7, 3
	s_cbranch_scc1 .LBB340_1986
; %bb.1981:
	s_cmp_gt_i32 s7, 3
	s_cbranch_scc0 .LBB340_1983
; %bb.1982:
	s_mov_b32 s0, 0
	s_wait_xcnt 0x0
	v_cndmask_b32_e64 v4, 0, 1, s10
	v_mov_b32_e32 v5, s0
	global_store_b64 v[2:3], v[4:5], off
.LBB340_1983:
	s_and_not1_b32 vcc_lo, exec_lo, s0
	s_cbranch_vccnz .LBB340_1985
; %bb.1984:
	s_wait_xcnt 0x0
	v_cndmask_b32_e64 v1, 0, 1, s10
	global_store_b32 v[2:3], v1, off
.LBB340_1985:
	s_mov_b32 s0, 0
.LBB340_1986:
	s_delay_alu instid0(SALU_CYCLE_1)
	s_and_not1_b32 vcc_lo, exec_lo, s0
	s_cbranch_vccnz .LBB340_1988
; %bb.1987:
	s_wait_xcnt 0x0
	v_cndmask_b32_e64 v1, 0, 1, s10
	global_store_b16 v[2:3], v1, off
.LBB340_1988:
	s_mov_b32 s0, 0
.LBB340_1989:
	s_delay_alu instid0(SALU_CYCLE_1)
	s_and_not1_b32 vcc_lo, exec_lo, s0
	s_cbranch_vccnz .LBB340_1994
; %bb.1990:
	s_cmp_gt_i32 s7, 0
	s_mov_b32 s0, -1
	s_cbranch_scc0 .LBB340_1992
; %bb.1991:
	s_wait_xcnt 0x0
	v_cndmask_b32_e64 v1, 0, 1, s10
	s_mov_b32 s0, 0
	global_store_b8 v[2:3], v1, off
.LBB340_1992:
	s_and_not1_b32 vcc_lo, exec_lo, s0
	s_cbranch_vccnz .LBB340_1994
; %bb.1993:
	s_wait_xcnt 0x0
	v_cndmask_b32_e64 v1, 0, 1, s10
	global_store_b8 v[2:3], v1, off
.LBB340_1994:
	s_mov_b32 s12, -1
.LBB340_1995:
	s_delay_alu instid0(SALU_CYCLE_1)
	s_and_not1_b32 vcc_lo, exec_lo, s12
	s_cbranch_vccnz .LBB340_2072
; %bb.1996:
	s_wait_xcnt 0x0
	v_mov_b32_e32 v1, 0
	v_cmp_ne_u16_e32 vcc_lo, s1, v8
	s_delay_alu instid0(VALU_DEP_2)
	v_add_nc_u64_e32 v[2:3], s[4:5], v[0:1]
	s_xor_b32 s1, s6, vcc_lo
	s_cmp_lt_i32 s7, 11
	s_cbranch_scc1 .LBB340_2117
; %bb.1997:
	s_mov_b32 s5, -1
	s_mov_b32 s4, 0
	s_cmp_gt_i32 s7, 25
	s_mov_b32 s0, 0
	s_cbranch_scc0 .LBB340_2030
; %bb.1998:
	s_cmp_gt_i32 s7, 28
	s_cbranch_scc0 .LBB340_2014
; %bb.1999:
	s_cmp_gt_i32 s7, 43
	;; [unrolled: 3-line block ×3, first 2 shown]
	s_cbranch_scc0 .LBB340_2004
; %bb.2001:
	s_cmp_eq_u32 s7, 46
	s_mov_b32 s0, -1
	s_cbranch_scc0 .LBB340_2003
; %bb.2002:
	v_cndmask_b32_e64 v0, 0, 1.0, s1
	s_mov_b32 s0, 0
	s_delay_alu instid0(VALU_DEP_1) | instskip(NEXT) | instid1(VALU_DEP_1)
	v_bfe_u32 v1, v0, 16, 1
	v_add3_u32 v0, v0, v1, 0x7fff
	s_delay_alu instid0(VALU_DEP_1)
	v_lshrrev_b32_e32 v0, 16, v0
	global_store_b32 v[2:3], v0, off
.LBB340_2003:
	s_mov_b32 s5, 0
.LBB340_2004:
	s_delay_alu instid0(SALU_CYCLE_1)
	s_and_b32 vcc_lo, exec_lo, s5
	s_cbranch_vccz .LBB340_2009
; %bb.2005:
	s_cmp_eq_u32 s7, 44
	s_mov_b32 s0, -1
	s_cbranch_scc0 .LBB340_2009
; %bb.2006:
	v_cndmask_b32_e64 v4, 0, 1.0, s1
	s_mov_b32 s5, exec_lo
	s_wait_xcnt 0x0
	s_delay_alu instid0(VALU_DEP_1) | instskip(NEXT) | instid1(VALU_DEP_1)
	v_dual_mov_b32 v1, 0xff :: v_dual_lshrrev_b32 v0, 23, v4
	v_cmpx_ne_u32_e32 0xff, v0
; %bb.2007:
	v_and_b32_e32 v1, 0x400000, v4
	v_and_or_b32 v4, 0x3fffff, v4, v0
	s_delay_alu instid0(VALU_DEP_2) | instskip(NEXT) | instid1(VALU_DEP_2)
	v_cmp_ne_u32_e32 vcc_lo, 0, v1
	v_cmp_ne_u32_e64 s0, 0, v4
	s_and_b32 s0, vcc_lo, s0
	s_delay_alu instid0(SALU_CYCLE_1) | instskip(NEXT) | instid1(VALU_DEP_1)
	v_cndmask_b32_e64 v1, 0, 1, s0
	v_add_nc_u32_e32 v1, v0, v1
; %bb.2008:
	s_or_b32 exec_lo, exec_lo, s5
	s_mov_b32 s0, 0
	global_store_b8 v[2:3], v1, off
.LBB340_2009:
	s_mov_b32 s5, 0
.LBB340_2010:
	s_delay_alu instid0(SALU_CYCLE_1)
	s_and_b32 vcc_lo, exec_lo, s5
	s_cbranch_vccz .LBB340_2013
; %bb.2011:
	s_cmp_eq_u32 s7, 29
	s_mov_b32 s0, -1
	s_cbranch_scc0 .LBB340_2013
; %bb.2012:
	s_mov_b32 s0, 0
	s_wait_xcnt 0x0
	v_cndmask_b32_e64 v0, 0, 1, s1
	v_mov_b32_e32 v1, s0
	global_store_b64 v[2:3], v[0:1], off
.LBB340_2013:
	s_mov_b32 s5, 0
.LBB340_2014:
	s_delay_alu instid0(SALU_CYCLE_1)
	s_and_b32 vcc_lo, exec_lo, s5
	s_cbranch_vccz .LBB340_2029
; %bb.2015:
	s_cmp_lt_i32 s7, 27
	s_mov_b32 s5, -1
	s_cbranch_scc1 .LBB340_2021
; %bb.2016:
	s_cmp_gt_i32 s7, 27
	s_cbranch_scc0 .LBB340_2018
; %bb.2017:
	s_wait_xcnt 0x0
	v_cndmask_b32_e64 v0, 0, 1, s1
	s_mov_b32 s5, 0
	global_store_b32 v[2:3], v0, off
.LBB340_2018:
	s_and_not1_b32 vcc_lo, exec_lo, s5
	s_cbranch_vccnz .LBB340_2020
; %bb.2019:
	s_wait_xcnt 0x0
	v_cndmask_b32_e64 v0, 0, 1, s1
	global_store_b16 v[2:3], v0, off
.LBB340_2020:
	s_mov_b32 s5, 0
.LBB340_2021:
	s_delay_alu instid0(SALU_CYCLE_1)
	s_and_not1_b32 vcc_lo, exec_lo, s5
	s_cbranch_vccnz .LBB340_2029
; %bb.2022:
	s_wait_xcnt 0x0
	v_cndmask_b32_e64 v1, 0, 1.0, s1
	v_mov_b32_e32 v4, 0x80
	s_mov_b32 s5, exec_lo
	s_delay_alu instid0(VALU_DEP_2)
	v_cmpx_gt_u32_e32 0x43800000, v1
	s_cbranch_execz .LBB340_2028
; %bb.2023:
	s_mov_b32 s6, 0
	s_mov_b32 s10, exec_lo
                                        ; implicit-def: $vgpr0
	v_cmpx_lt_u32_e32 0x3bffffff, v1
	s_xor_b32 s10, exec_lo, s10
	s_cbranch_execz .LBB340_2134
; %bb.2024:
	v_bfe_u32 v0, v1, 20, 1
	s_mov_b32 s6, exec_lo
	s_delay_alu instid0(VALU_DEP_1) | instskip(NEXT) | instid1(VALU_DEP_1)
	v_add3_u32 v0, v1, v0, 0x487ffff
                                        ; implicit-def: $vgpr1
	v_lshrrev_b32_e32 v0, 20, v0
	s_and_not1_saveexec_b32 s10, s10
	s_cbranch_execnz .LBB340_2135
.LBB340_2025:
	s_or_b32 exec_lo, exec_lo, s10
	v_mov_b32_e32 v4, 0
	s_and_saveexec_b32 s10, s6
.LBB340_2026:
	v_mov_b32_e32 v4, v0
.LBB340_2027:
	s_or_b32 exec_lo, exec_lo, s10
.LBB340_2028:
	s_delay_alu instid0(SALU_CYCLE_1)
	s_or_b32 exec_lo, exec_lo, s5
	global_store_b8 v[2:3], v4, off
.LBB340_2029:
	s_mov_b32 s5, 0
.LBB340_2030:
	s_delay_alu instid0(SALU_CYCLE_1)
	s_and_b32 vcc_lo, exec_lo, s5
	s_cbranch_vccz .LBB340_2070
; %bb.2031:
	s_cmp_gt_i32 s7, 22
	s_mov_b32 s4, -1
	s_cbranch_scc0 .LBB340_2063
; %bb.2032:
	s_cmp_lt_i32 s7, 24
	s_cbranch_scc1 .LBB340_2052
; %bb.2033:
	s_cmp_gt_i32 s7, 24
	s_cbranch_scc0 .LBB340_2041
; %bb.2034:
	s_wait_xcnt 0x0
	v_cndmask_b32_e64 v1, 0, 1.0, s1
	v_mov_b32_e32 v4, 0x80
	s_mov_b32 s4, exec_lo
	s_delay_alu instid0(VALU_DEP_2)
	v_cmpx_gt_u32_e32 0x47800000, v1
	s_cbranch_execz .LBB340_2040
; %bb.2035:
	s_mov_b32 s5, 0
	s_mov_b32 s6, exec_lo
                                        ; implicit-def: $vgpr0
	v_cmpx_lt_u32_e32 0x37ffffff, v1
	s_xor_b32 s6, exec_lo, s6
	s_cbranch_execz .LBB340_2137
; %bb.2036:
	v_bfe_u32 v0, v1, 21, 1
	s_mov_b32 s5, exec_lo
	s_delay_alu instid0(VALU_DEP_1) | instskip(NEXT) | instid1(VALU_DEP_1)
	v_add3_u32 v0, v1, v0, 0x88fffff
                                        ; implicit-def: $vgpr1
	v_lshrrev_b32_e32 v0, 21, v0
	s_and_not1_saveexec_b32 s6, s6
	s_cbranch_execnz .LBB340_2138
.LBB340_2037:
	s_or_b32 exec_lo, exec_lo, s6
	v_mov_b32_e32 v4, 0
	s_and_saveexec_b32 s6, s5
.LBB340_2038:
	v_mov_b32_e32 v4, v0
.LBB340_2039:
	s_or_b32 exec_lo, exec_lo, s6
.LBB340_2040:
	s_delay_alu instid0(SALU_CYCLE_1)
	s_or_b32 exec_lo, exec_lo, s4
	s_mov_b32 s4, 0
	global_store_b8 v[2:3], v4, off
.LBB340_2041:
	s_and_b32 vcc_lo, exec_lo, s4
	s_cbranch_vccz .LBB340_2051
; %bb.2042:
	s_wait_xcnt 0x0
	v_cndmask_b32_e64 v1, 0, 1.0, s1
	s_mov_b32 s4, exec_lo
                                        ; implicit-def: $vgpr0
	s_delay_alu instid0(VALU_DEP_1)
	v_cmpx_gt_u32_e32 0x43f00000, v1
	s_xor_b32 s4, exec_lo, s4
	s_cbranch_execz .LBB340_2048
; %bb.2043:
	s_mov_b32 s5, exec_lo
                                        ; implicit-def: $vgpr0
	v_cmpx_lt_u32_e32 0x3c7fffff, v1
	s_xor_b32 s5, exec_lo, s5
; %bb.2044:
	v_bfe_u32 v0, v1, 20, 1
	s_delay_alu instid0(VALU_DEP_1) | instskip(NEXT) | instid1(VALU_DEP_1)
	v_add3_u32 v0, v1, v0, 0x407ffff
	v_and_b32_e32 v1, 0xff00000, v0
	v_lshrrev_b32_e32 v0, 20, v0
	s_delay_alu instid0(VALU_DEP_2) | instskip(NEXT) | instid1(VALU_DEP_2)
	v_cmp_ne_u32_e32 vcc_lo, 0x7f00000, v1
                                        ; implicit-def: $vgpr1
	v_cndmask_b32_e32 v0, 0x7e, v0, vcc_lo
; %bb.2045:
	s_and_not1_saveexec_b32 s5, s5
; %bb.2046:
	v_add_f32_e32 v0, 0x46800000, v1
; %bb.2047:
	s_or_b32 exec_lo, exec_lo, s5
                                        ; implicit-def: $vgpr1
.LBB340_2048:
	s_and_not1_saveexec_b32 s4, s4
; %bb.2049:
	v_mov_b32_e32 v0, 0x7f
	v_cmp_lt_u32_e32 vcc_lo, 0x7f800000, v1
	s_delay_alu instid0(VALU_DEP_2)
	v_cndmask_b32_e32 v0, 0x7e, v0, vcc_lo
; %bb.2050:
	s_or_b32 exec_lo, exec_lo, s4
	global_store_b8 v[2:3], v0, off
.LBB340_2051:
	s_mov_b32 s4, 0
.LBB340_2052:
	s_delay_alu instid0(SALU_CYCLE_1)
	s_and_not1_b32 vcc_lo, exec_lo, s4
	s_cbranch_vccnz .LBB340_2062
; %bb.2053:
	s_wait_xcnt 0x0
	v_cndmask_b32_e64 v1, 0, 1.0, s1
	s_mov_b32 s4, exec_lo
                                        ; implicit-def: $vgpr0
	s_delay_alu instid0(VALU_DEP_1)
	v_cmpx_gt_u32_e32 0x47800000, v1
	s_xor_b32 s4, exec_lo, s4
	s_cbranch_execz .LBB340_2059
; %bb.2054:
	s_mov_b32 s5, exec_lo
                                        ; implicit-def: $vgpr0
	v_cmpx_lt_u32_e32 0x387fffff, v1
	s_xor_b32 s5, exec_lo, s5
; %bb.2055:
	v_bfe_u32 v0, v1, 21, 1
	s_delay_alu instid0(VALU_DEP_1) | instskip(NEXT) | instid1(VALU_DEP_1)
	v_add3_u32 v0, v1, v0, 0x80fffff
                                        ; implicit-def: $vgpr1
	v_lshrrev_b32_e32 v0, 21, v0
; %bb.2056:
	s_and_not1_saveexec_b32 s5, s5
; %bb.2057:
	v_add_f32_e32 v0, 0x43000000, v1
; %bb.2058:
	s_or_b32 exec_lo, exec_lo, s5
                                        ; implicit-def: $vgpr1
.LBB340_2059:
	s_and_not1_saveexec_b32 s4, s4
; %bb.2060:
	v_mov_b32_e32 v0, 0x7f
	v_cmp_lt_u32_e32 vcc_lo, 0x7f800000, v1
	s_delay_alu instid0(VALU_DEP_2)
	v_cndmask_b32_e32 v0, 0x7c, v0, vcc_lo
; %bb.2061:
	s_or_b32 exec_lo, exec_lo, s4
	global_store_b8 v[2:3], v0, off
.LBB340_2062:
	s_mov_b32 s4, 0
.LBB340_2063:
	s_delay_alu instid0(SALU_CYCLE_1)
	s_and_not1_b32 vcc_lo, exec_lo, s4
	s_mov_b32 s4, 0
	s_cbranch_vccnz .LBB340_2070
; %bb.2064:
	s_cmp_gt_i32 s7, 14
	s_mov_b32 s4, -1
	s_cbranch_scc0 .LBB340_2068
; %bb.2065:
	s_cmp_eq_u32 s7, 15
	s_mov_b32 s0, -1
	s_cbranch_scc0 .LBB340_2067
; %bb.2066:
	s_wait_xcnt 0x0
	v_cndmask_b32_e64 v0, 0, 1.0, s1
	s_mov_b32 s0, 0
	s_delay_alu instid0(VALU_DEP_1) | instskip(NEXT) | instid1(VALU_DEP_1)
	v_bfe_u32 v1, v0, 16, 1
	v_add3_u32 v0, v0, v1, 0x7fff
	global_store_d16_hi_b16 v[2:3], v0, off
.LBB340_2067:
	s_mov_b32 s4, 0
.LBB340_2068:
	s_delay_alu instid0(SALU_CYCLE_1)
	s_and_b32 vcc_lo, exec_lo, s4
	s_mov_b32 s4, 0
	s_cbranch_vccz .LBB340_2070
; %bb.2069:
	s_cmp_lg_u32 s7, 11
	s_mov_b32 s4, -1
	s_cselect_b32 s0, -1, 0
.LBB340_2070:
	s_delay_alu instid0(SALU_CYCLE_1)
	s_and_b32 vcc_lo, exec_lo, s0
	s_cbranch_vccnz .LBB340_2136
.LBB340_2071:
	s_mov_b32 s0, 0
	s_branch .LBB340_2073
.LBB340_2072:
	s_mov_b32 s0, 0
	s_mov_b32 s4, 0
                                        ; implicit-def: $sgpr1
                                        ; implicit-def: $vgpr2_vgpr3
                                        ; implicit-def: $sgpr2
.LBB340_2073:
	s_and_not1_b32 s5, s8, exec_lo
	s_and_b32 s6, s3, exec_lo
	s_and_b32 s0, s0, exec_lo
	;; [unrolled: 1-line block ×3, first 2 shown]
	s_or_b32 s8, s5, s6
.LBB340_2074:
	s_wait_xcnt 0x0
	s_or_b32 exec_lo, exec_lo, s9
	s_and_saveexec_b32 s4, s8
	s_cbranch_execz .LBB340_2077
; %bb.2075:
	; divergent unreachable
	s_or_b32 exec_lo, exec_lo, s4
	s_and_saveexec_b32 s4, s3
	s_delay_alu instid0(SALU_CYCLE_1)
	s_xor_b32 s3, exec_lo, s4
	s_cbranch_execnz .LBB340_2078
.LBB340_2076:
	s_or_b32 exec_lo, exec_lo, s3
	s_and_saveexec_b32 s3, s0
	s_cbranch_execnz .LBB340_2079
	s_branch .LBB340_2116
.LBB340_2077:
	s_or_b32 exec_lo, exec_lo, s4
	s_and_saveexec_b32 s4, s3
	s_delay_alu instid0(SALU_CYCLE_1)
	s_xor_b32 s3, exec_lo, s4
	s_cbranch_execz .LBB340_2076
.LBB340_2078:
	v_cndmask_b32_e64 v0, 0, 1, s1
	global_store_b8 v[2:3], v0, off
	s_wait_xcnt 0x0
	s_or_b32 exec_lo, exec_lo, s3
	s_and_saveexec_b32 s3, s0
	s_cbranch_execz .LBB340_2116
.LBB340_2079:
	s_sext_i32_i16 s3, s2
	s_mov_b32 s0, -1
	s_cmp_lt_i32 s3, 5
	s_cbranch_scc1 .LBB340_2100
; %bb.2080:
	s_cmp_lt_i32 s3, 8
	s_cbranch_scc1 .LBB340_2090
; %bb.2081:
	;; [unrolled: 3-line block ×3, first 2 shown]
	s_cmp_gt_i32 s3, 9
	s_cbranch_scc0 .LBB340_2084
; %bb.2083:
	v_cndmask_b32_e64 v0, 0, 1, s1
	s_wait_loadcnt 0x0
	v_mov_b32_e32 v6, 0
	s_mov_b32 s0, 0
	s_delay_alu instid0(VALU_DEP_2) | instskip(NEXT) | instid1(VALU_DEP_2)
	v_cvt_f64_u32_e32 v[4:5], v0
	v_mov_b32_e32 v7, v6
	global_store_b128 v[2:3], v[4:7], off
.LBB340_2084:
	s_and_not1_b32 vcc_lo, exec_lo, s0
	s_cbranch_vccnz .LBB340_2086
; %bb.2085:
	v_cndmask_b32_e64 v0, 0, 1.0, s1
	v_mov_b32_e32 v1, 0
	global_store_b64 v[2:3], v[0:1], off
.LBB340_2086:
	s_mov_b32 s0, 0
.LBB340_2087:
	s_delay_alu instid0(SALU_CYCLE_1)
	s_and_not1_b32 vcc_lo, exec_lo, s0
	s_cbranch_vccnz .LBB340_2089
; %bb.2088:
	s_wait_xcnt 0x0
	v_cndmask_b32_e64 v0, 0, 1.0, s1
	s_delay_alu instid0(VALU_DEP_1) | instskip(NEXT) | instid1(VALU_DEP_1)
	v_cvt_f16_f32_e32 v0, v0
	v_and_b32_e32 v0, 0xffff, v0
	global_store_b32 v[2:3], v0, off
.LBB340_2089:
	s_mov_b32 s0, 0
.LBB340_2090:
	s_delay_alu instid0(SALU_CYCLE_1)
	s_and_not1_b32 vcc_lo, exec_lo, s0
	s_cbranch_vccnz .LBB340_2099
; %bb.2091:
	s_sext_i32_i16 s3, s2
	s_mov_b32 s0, -1
	s_cmp_lt_i32 s3, 6
	s_cbranch_scc1 .LBB340_2097
; %bb.2092:
	s_cmp_gt_i32 s3, 6
	s_cbranch_scc0 .LBB340_2094
; %bb.2093:
	s_wait_xcnt 0x0
	v_cndmask_b32_e64 v0, 0, 1, s1
	s_mov_b32 s0, 0
	s_delay_alu instid0(VALU_DEP_1)
	v_cvt_f64_u32_e32 v[0:1], v0
	global_store_b64 v[2:3], v[0:1], off
.LBB340_2094:
	s_and_not1_b32 vcc_lo, exec_lo, s0
	s_cbranch_vccnz .LBB340_2096
; %bb.2095:
	s_wait_xcnt 0x0
	v_cndmask_b32_e64 v0, 0, 1.0, s1
	global_store_b32 v[2:3], v0, off
.LBB340_2096:
	s_mov_b32 s0, 0
.LBB340_2097:
	s_delay_alu instid0(SALU_CYCLE_1)
	s_and_not1_b32 vcc_lo, exec_lo, s0
	s_cbranch_vccnz .LBB340_2099
; %bb.2098:
	s_wait_xcnt 0x0
	v_cndmask_b32_e64 v0, 0, 1.0, s1
	s_delay_alu instid0(VALU_DEP_1)
	v_cvt_f16_f32_e32 v0, v0
	global_store_b16 v[2:3], v0, off
.LBB340_2099:
	s_mov_b32 s0, 0
.LBB340_2100:
	s_delay_alu instid0(SALU_CYCLE_1)
	s_and_not1_b32 vcc_lo, exec_lo, s0
	s_cbranch_vccnz .LBB340_2116
; %bb.2101:
	s_sext_i32_i16 s3, s2
	s_mov_b32 s0, -1
	s_cmp_lt_i32 s3, 2
	s_cbranch_scc1 .LBB340_2111
; %bb.2102:
	s_cmp_lt_i32 s3, 3
	s_cbranch_scc1 .LBB340_2108
; %bb.2103:
	s_cmp_gt_i32 s3, 3
	s_cbranch_scc0 .LBB340_2105
; %bb.2104:
	s_mov_b32 s0, 0
	s_wait_xcnt 0x0
	v_cndmask_b32_e64 v0, 0, 1, s1
	v_mov_b32_e32 v1, s0
	global_store_b64 v[2:3], v[0:1], off
.LBB340_2105:
	s_and_not1_b32 vcc_lo, exec_lo, s0
	s_cbranch_vccnz .LBB340_2107
; %bb.2106:
	s_wait_xcnt 0x0
	v_cndmask_b32_e64 v0, 0, 1, s1
	global_store_b32 v[2:3], v0, off
.LBB340_2107:
	s_mov_b32 s0, 0
.LBB340_2108:
	s_delay_alu instid0(SALU_CYCLE_1)
	s_and_not1_b32 vcc_lo, exec_lo, s0
	s_cbranch_vccnz .LBB340_2110
; %bb.2109:
	s_wait_xcnt 0x0
	v_cndmask_b32_e64 v0, 0, 1, s1
	global_store_b16 v[2:3], v0, off
.LBB340_2110:
	s_mov_b32 s0, 0
.LBB340_2111:
	s_delay_alu instid0(SALU_CYCLE_1)
	s_and_not1_b32 vcc_lo, exec_lo, s0
	s_cbranch_vccnz .LBB340_2116
; %bb.2112:
	s_sext_i32_i16 s0, s2
	s_delay_alu instid0(SALU_CYCLE_1)
	s_cmp_gt_i32 s0, 0
	s_mov_b32 s0, -1
	s_cbranch_scc0 .LBB340_2114
; %bb.2113:
	s_wait_xcnt 0x0
	v_cndmask_b32_e64 v0, 0, 1, s1
	s_mov_b32 s0, 0
	global_store_b8 v[2:3], v0, off
.LBB340_2114:
	s_and_not1_b32 vcc_lo, exec_lo, s0
	s_cbranch_vccnz .LBB340_2116
; %bb.2115:
	s_wait_xcnt 0x0
	v_cndmask_b32_e64 v0, 0, 1, s1
	global_store_b8 v[2:3], v0, off
	s_endpgm
.LBB340_2116:
	s_endpgm
.LBB340_2117:
	s_mov_b32 s4, 0
	s_mov_b32 s0, -1
	s_branch .LBB340_2073
.LBB340_2118:
	s_or_b32 s3, s3, exec_lo
	s_trap 2
	s_cbranch_execz .LBB340_1588
	s_branch .LBB340_1589
.LBB340_2119:
	s_and_not1_saveexec_b32 s14, s14
	s_cbranch_execz .LBB340_1668
.LBB340_2120:
	v_add_f32_e32 v1, 0x46000000, v3
	s_and_not1_b32 s13, s13, exec_lo
	s_delay_alu instid0(VALU_DEP_1) | instskip(NEXT) | instid1(VALU_DEP_1)
	v_and_b32_e32 v1, 0xff, v1
	v_cmp_ne_u32_e32 vcc_lo, 0, v1
	s_and_b32 s15, vcc_lo, exec_lo
	s_delay_alu instid0(SALU_CYCLE_1)
	s_or_b32 s13, s13, s15
	s_or_b32 exec_lo, exec_lo, s14
	v_mov_b32_e32 v5, 0
	s_and_saveexec_b32 s14, s13
	s_cbranch_execnz .LBB340_1669
	s_branch .LBB340_1670
.LBB340_2121:
	s_or_b32 s3, s3, exec_lo
	s_trap 2
	s_cbranch_execz .LBB340_1716
	s_branch .LBB340_1717
.LBB340_2122:
	s_and_not1_saveexec_b32 s13, s13
	s_cbranch_execz .LBB340_1681
.LBB340_2123:
	v_add_f32_e32 v1, 0x42800000, v3
	s_and_not1_b32 s12, s12, exec_lo
	s_delay_alu instid0(VALU_DEP_1) | instskip(NEXT) | instid1(VALU_DEP_1)
	v_and_b32_e32 v1, 0xff, v1
	v_cmp_ne_u32_e32 vcc_lo, 0, v1
	s_and_b32 s14, vcc_lo, exec_lo
	s_delay_alu instid0(SALU_CYCLE_1)
	s_or_b32 s12, s12, s14
	s_or_b32 exec_lo, exec_lo, s13
	v_mov_b32_e32 v5, 0
	s_and_saveexec_b32 s13, s12
	s_cbranch_execnz .LBB340_1682
	s_branch .LBB340_1683
.LBB340_2124:
	s_and_not1_saveexec_b32 s14, s14
	s_cbranch_execz .LBB340_1786
.LBB340_2125:
	v_add_f32_e32 v1, 0x46000000, v3
	s_and_not1_b32 s13, s13, exec_lo
	s_delay_alu instid0(VALU_DEP_1) | instskip(NEXT) | instid1(VALU_DEP_1)
	v_and_b32_e32 v1, 0xff, v1
	v_cmp_ne_u32_e32 vcc_lo, 0, v1
	s_and_b32 s15, vcc_lo, exec_lo
	s_delay_alu instid0(SALU_CYCLE_1)
	s_or_b32 s13, s13, s15
	s_or_b32 exec_lo, exec_lo, s14
	v_mov_b32_e32 v6, 0
	s_and_saveexec_b32 s14, s13
	s_cbranch_execnz .LBB340_1787
	s_branch .LBB340_1788
.LBB340_2126:
	s_or_b32 s3, s3, exec_lo
	s_trap 2
	s_cbranch_execz .LBB340_1834
	s_branch .LBB340_1835
.LBB340_2127:
	s_and_not1_saveexec_b32 s13, s13
	s_cbranch_execz .LBB340_1799
.LBB340_2128:
	v_add_f32_e32 v1, 0x42800000, v3
	s_and_not1_b32 s12, s12, exec_lo
	s_delay_alu instid0(VALU_DEP_1) | instskip(NEXT) | instid1(VALU_DEP_1)
	v_and_b32_e32 v1, 0xff, v1
	v_cmp_ne_u32_e32 vcc_lo, 0, v1
	s_and_b32 s14, vcc_lo, exec_lo
	s_delay_alu instid0(SALU_CYCLE_1)
	s_or_b32 s12, s12, s14
	s_or_b32 exec_lo, exec_lo, s13
	v_mov_b32_e32 v6, 0
	s_and_saveexec_b32 s13, s12
	s_cbranch_execnz .LBB340_1800
	s_branch .LBB340_1801
.LBB340_2129:
	s_and_not1_saveexec_b32 s14, s14
	s_cbranch_execz .LBB340_1905
.LBB340_2130:
	v_add_f32_e32 v1, 0x46000000, v4
	s_and_not1_b32 s13, s13, exec_lo
	s_delay_alu instid0(VALU_DEP_1) | instskip(NEXT) | instid1(VALU_DEP_1)
	v_and_b32_e32 v1, 0xff, v1
	v_cmp_ne_u32_e32 vcc_lo, 0, v1
	s_and_b32 s15, vcc_lo, exec_lo
	s_delay_alu instid0(SALU_CYCLE_1)
	s_or_b32 s13, s13, s15
	s_or_b32 exec_lo, exec_lo, s14
	v_mov_b32_e32 v5, 0
	s_and_saveexec_b32 s14, s13
	s_cbranch_execnz .LBB340_1906
	s_branch .LBB340_1907
.LBB340_2131:
	s_or_b32 s3, s3, exec_lo
	s_trap 2
	s_cbranch_execz .LBB340_1953
	s_branch .LBB340_1954
.LBB340_2132:
	s_and_not1_saveexec_b32 s13, s13
	s_cbranch_execz .LBB340_1918
.LBB340_2133:
	v_add_f32_e32 v1, 0x42800000, v4
	s_and_not1_b32 s12, s12, exec_lo
	s_delay_alu instid0(VALU_DEP_1) | instskip(NEXT) | instid1(VALU_DEP_1)
	v_and_b32_e32 v1, 0xff, v1
	v_cmp_ne_u32_e32 vcc_lo, 0, v1
	s_and_b32 s14, vcc_lo, exec_lo
	s_delay_alu instid0(SALU_CYCLE_1)
	s_or_b32 s12, s12, s14
	s_or_b32 exec_lo, exec_lo, s13
	v_mov_b32_e32 v5, 0
	s_and_saveexec_b32 s13, s12
	s_cbranch_execnz .LBB340_1919
	s_branch .LBB340_1920
.LBB340_2134:
	s_and_not1_saveexec_b32 s10, s10
	s_cbranch_execz .LBB340_2025
.LBB340_2135:
	v_add_f32_e32 v0, 0x46000000, v1
	s_and_not1_b32 s6, s6, exec_lo
	s_delay_alu instid0(VALU_DEP_1) | instskip(NEXT) | instid1(VALU_DEP_1)
	v_and_b32_e32 v0, 0xff, v0
	v_cmp_ne_u32_e32 vcc_lo, 0, v0
	s_and_b32 s11, vcc_lo, exec_lo
	s_delay_alu instid0(SALU_CYCLE_1)
	s_or_b32 s6, s6, s11
	s_or_b32 exec_lo, exec_lo, s10
	v_mov_b32_e32 v4, 0
	s_and_saveexec_b32 s10, s6
	s_cbranch_execnz .LBB340_2026
	s_branch .LBB340_2027
.LBB340_2136:
	s_mov_b32 s4, 0
	s_or_b32 s3, s3, exec_lo
	s_trap 2
	s_branch .LBB340_2071
.LBB340_2137:
	s_and_not1_saveexec_b32 s6, s6
	s_cbranch_execz .LBB340_2037
.LBB340_2138:
	v_add_f32_e32 v0, 0x42800000, v1
	s_and_not1_b32 s5, s5, exec_lo
	s_delay_alu instid0(VALU_DEP_1) | instskip(NEXT) | instid1(VALU_DEP_1)
	v_and_b32_e32 v0, 0xff, v0
	v_cmp_ne_u32_e32 vcc_lo, 0, v0
	s_and_b32 s10, vcc_lo, exec_lo
	s_delay_alu instid0(SALU_CYCLE_1)
	s_or_b32 s5, s5, s10
	s_or_b32 exec_lo, exec_lo, s6
	v_mov_b32_e32 v4, 0
	s_and_saveexec_b32 s6, s5
	s_cbranch_execnz .LBB340_2038
	s_branch .LBB340_2039
	.section	.rodata,"a",@progbits
	.p2align	6, 0x0
	.amdhsa_kernel _ZN2at6native32elementwise_kernel_manual_unrollILi128ELi4EZNS0_15gpu_kernel_implINS0_13AUnaryFunctorIttbNS0_12_GLOBAL__N_116CompareEqFunctorItEEEEEEvRNS_18TensorIteratorBaseERKT_EUlibE0_EEviT1_
		.amdhsa_group_segment_fixed_size 0
		.amdhsa_private_segment_fixed_size 0
		.amdhsa_kernarg_size 368
		.amdhsa_user_sgpr_count 2
		.amdhsa_user_sgpr_dispatch_ptr 0
		.amdhsa_user_sgpr_queue_ptr 0
		.amdhsa_user_sgpr_kernarg_segment_ptr 1
		.amdhsa_user_sgpr_dispatch_id 0
		.amdhsa_user_sgpr_kernarg_preload_length 0
		.amdhsa_user_sgpr_kernarg_preload_offset 0
		.amdhsa_user_sgpr_private_segment_size 0
		.amdhsa_wavefront_size32 1
		.amdhsa_uses_dynamic_stack 0
		.amdhsa_enable_private_segment 0
		.amdhsa_system_sgpr_workgroup_id_x 1
		.amdhsa_system_sgpr_workgroup_id_y 0
		.amdhsa_system_sgpr_workgroup_id_z 0
		.amdhsa_system_sgpr_workgroup_info 0
		.amdhsa_system_vgpr_workitem_id 0
		.amdhsa_next_free_vgpr 18
		.amdhsa_next_free_sgpr 68
		.amdhsa_named_barrier_count 0
		.amdhsa_reserve_vcc 1
		.amdhsa_float_round_mode_32 0
		.amdhsa_float_round_mode_16_64 0
		.amdhsa_float_denorm_mode_32 3
		.amdhsa_float_denorm_mode_16_64 3
		.amdhsa_fp16_overflow 0
		.amdhsa_memory_ordered 1
		.amdhsa_forward_progress 1
		.amdhsa_inst_pref_size 255
		.amdhsa_round_robin_scheduling 0
		.amdhsa_exception_fp_ieee_invalid_op 0
		.amdhsa_exception_fp_denorm_src 0
		.amdhsa_exception_fp_ieee_div_zero 0
		.amdhsa_exception_fp_ieee_overflow 0
		.amdhsa_exception_fp_ieee_underflow 0
		.amdhsa_exception_fp_ieee_inexact 0
		.amdhsa_exception_int_div_zero 0
	.end_amdhsa_kernel
	.section	.text._ZN2at6native32elementwise_kernel_manual_unrollILi128ELi4EZNS0_15gpu_kernel_implINS0_13AUnaryFunctorIttbNS0_12_GLOBAL__N_116CompareEqFunctorItEEEEEEvRNS_18TensorIteratorBaseERKT_EUlibE0_EEviT1_,"axG",@progbits,_ZN2at6native32elementwise_kernel_manual_unrollILi128ELi4EZNS0_15gpu_kernel_implINS0_13AUnaryFunctorIttbNS0_12_GLOBAL__N_116CompareEqFunctorItEEEEEEvRNS_18TensorIteratorBaseERKT_EUlibE0_EEviT1_,comdat
.Lfunc_end340:
	.size	_ZN2at6native32elementwise_kernel_manual_unrollILi128ELi4EZNS0_15gpu_kernel_implINS0_13AUnaryFunctorIttbNS0_12_GLOBAL__N_116CompareEqFunctorItEEEEEEvRNS_18TensorIteratorBaseERKT_EUlibE0_EEviT1_, .Lfunc_end340-_ZN2at6native32elementwise_kernel_manual_unrollILi128ELi4EZNS0_15gpu_kernel_implINS0_13AUnaryFunctorIttbNS0_12_GLOBAL__N_116CompareEqFunctorItEEEEEEvRNS_18TensorIteratorBaseERKT_EUlibE0_EEviT1_
                                        ; -- End function
	.set _ZN2at6native32elementwise_kernel_manual_unrollILi128ELi4EZNS0_15gpu_kernel_implINS0_13AUnaryFunctorIttbNS0_12_GLOBAL__N_116CompareEqFunctorItEEEEEEvRNS_18TensorIteratorBaseERKT_EUlibE0_EEviT1_.num_vgpr, 18
	.set _ZN2at6native32elementwise_kernel_manual_unrollILi128ELi4EZNS0_15gpu_kernel_implINS0_13AUnaryFunctorIttbNS0_12_GLOBAL__N_116CompareEqFunctorItEEEEEEvRNS_18TensorIteratorBaseERKT_EUlibE0_EEviT1_.num_agpr, 0
	.set _ZN2at6native32elementwise_kernel_manual_unrollILi128ELi4EZNS0_15gpu_kernel_implINS0_13AUnaryFunctorIttbNS0_12_GLOBAL__N_116CompareEqFunctorItEEEEEEvRNS_18TensorIteratorBaseERKT_EUlibE0_EEviT1_.numbered_sgpr, 68
	.set _ZN2at6native32elementwise_kernel_manual_unrollILi128ELi4EZNS0_15gpu_kernel_implINS0_13AUnaryFunctorIttbNS0_12_GLOBAL__N_116CompareEqFunctorItEEEEEEvRNS_18TensorIteratorBaseERKT_EUlibE0_EEviT1_.num_named_barrier, 0
	.set _ZN2at6native32elementwise_kernel_manual_unrollILi128ELi4EZNS0_15gpu_kernel_implINS0_13AUnaryFunctorIttbNS0_12_GLOBAL__N_116CompareEqFunctorItEEEEEEvRNS_18TensorIteratorBaseERKT_EUlibE0_EEviT1_.private_seg_size, 0
	.set _ZN2at6native32elementwise_kernel_manual_unrollILi128ELi4EZNS0_15gpu_kernel_implINS0_13AUnaryFunctorIttbNS0_12_GLOBAL__N_116CompareEqFunctorItEEEEEEvRNS_18TensorIteratorBaseERKT_EUlibE0_EEviT1_.uses_vcc, 1
	.set _ZN2at6native32elementwise_kernel_manual_unrollILi128ELi4EZNS0_15gpu_kernel_implINS0_13AUnaryFunctorIttbNS0_12_GLOBAL__N_116CompareEqFunctorItEEEEEEvRNS_18TensorIteratorBaseERKT_EUlibE0_EEviT1_.uses_flat_scratch, 0
	.set _ZN2at6native32elementwise_kernel_manual_unrollILi128ELi4EZNS0_15gpu_kernel_implINS0_13AUnaryFunctorIttbNS0_12_GLOBAL__N_116CompareEqFunctorItEEEEEEvRNS_18TensorIteratorBaseERKT_EUlibE0_EEviT1_.has_dyn_sized_stack, 0
	.set _ZN2at6native32elementwise_kernel_manual_unrollILi128ELi4EZNS0_15gpu_kernel_implINS0_13AUnaryFunctorIttbNS0_12_GLOBAL__N_116CompareEqFunctorItEEEEEEvRNS_18TensorIteratorBaseERKT_EUlibE0_EEviT1_.has_recursion, 0
	.set _ZN2at6native32elementwise_kernel_manual_unrollILi128ELi4EZNS0_15gpu_kernel_implINS0_13AUnaryFunctorIttbNS0_12_GLOBAL__N_116CompareEqFunctorItEEEEEEvRNS_18TensorIteratorBaseERKT_EUlibE0_EEviT1_.has_indirect_call, 0
	.section	.AMDGPU.csdata,"",@progbits
; Kernel info:
; codeLenInByte = 39792
; TotalNumSgprs: 70
; NumVgprs: 18
; ScratchSize: 0
; MemoryBound: 1
; FloatMode: 240
; IeeeMode: 1
; LDSByteSize: 0 bytes/workgroup (compile time only)
; SGPRBlocks: 0
; VGPRBlocks: 1
; NumSGPRsForWavesPerEU: 70
; NumVGPRsForWavesPerEU: 18
; NamedBarCnt: 0
; Occupancy: 16
; WaveLimiterHint : 1
; COMPUTE_PGM_RSRC2:SCRATCH_EN: 0
; COMPUTE_PGM_RSRC2:USER_SGPR: 2
; COMPUTE_PGM_RSRC2:TRAP_HANDLER: 0
; COMPUTE_PGM_RSRC2:TGID_X_EN: 1
; COMPUTE_PGM_RSRC2:TGID_Y_EN: 0
; COMPUTE_PGM_RSRC2:TGID_Z_EN: 0
; COMPUTE_PGM_RSRC2:TIDIG_COMP_CNT: 0
	.section	.text._ZN2at6native29vectorized_elementwise_kernelILi16ENS0_13BinaryFunctorIjjbNS0_12_GLOBAL__N_116CompareEqFunctorIjEEEESt5arrayIPcLm3EEEEviT0_T1_,"axG",@progbits,_ZN2at6native29vectorized_elementwise_kernelILi16ENS0_13BinaryFunctorIjjbNS0_12_GLOBAL__N_116CompareEqFunctorIjEEEESt5arrayIPcLm3EEEEviT0_T1_,comdat
	.globl	_ZN2at6native29vectorized_elementwise_kernelILi16ENS0_13BinaryFunctorIjjbNS0_12_GLOBAL__N_116CompareEqFunctorIjEEEESt5arrayIPcLm3EEEEviT0_T1_ ; -- Begin function _ZN2at6native29vectorized_elementwise_kernelILi16ENS0_13BinaryFunctorIjjbNS0_12_GLOBAL__N_116CompareEqFunctorIjEEEESt5arrayIPcLm3EEEEviT0_T1_
	.p2align	8
	.type	_ZN2at6native29vectorized_elementwise_kernelILi16ENS0_13BinaryFunctorIjjbNS0_12_GLOBAL__N_116CompareEqFunctorIjEEEESt5arrayIPcLm3EEEEviT0_T1_,@function
_ZN2at6native29vectorized_elementwise_kernelILi16ENS0_13BinaryFunctorIjjbNS0_12_GLOBAL__N_116CompareEqFunctorIjEEEESt5arrayIPcLm3EEEEviT0_T1_: ; @_ZN2at6native29vectorized_elementwise_kernelILi16ENS0_13BinaryFunctorIjjbNS0_12_GLOBAL__N_116CompareEqFunctorIjEEEESt5arrayIPcLm3EEEEviT0_T1_
; %bb.0:
	s_clause 0x2
	s_load_b64 s[14:15], s[0:1], 0x0
	s_load_b128 s[16:19], s[0:1], 0x8
	s_load_b64 s[22:23], s[0:1], 0x18
	s_wait_xcnt 0x0
	s_bfe_u32 s0, ttmp6, 0x4000c
	s_and_b32 s1, ttmp6, 15
	s_add_co_i32 s0, s0, 1
	s_getreg_b32 s2, hwreg(HW_REG_IB_STS2, 6, 4)
	s_mul_i32 s0, ttmp9, s0
	s_delay_alu instid0(SALU_CYCLE_1) | instskip(SKIP_2) | instid1(SALU_CYCLE_1)
	s_add_co_i32 s1, s1, s0
	s_cmp_eq_u32 s2, 0
	s_cselect_b32 s0, ttmp9, s1
	s_lshl_b32 s20, s0, 12
	s_mov_b32 s0, -1
	s_wait_kmcnt 0x0
	s_sub_co_i32 s24, s14, s20
	s_delay_alu instid0(SALU_CYCLE_1)
	s_cmp_gt_i32 s24, 0xfff
	s_cbranch_scc0 .LBB341_2
; %bb.1:
	s_ashr_i32 s21, s20, 31
	v_lshlrev_b32_e32 v1, 6, v0
	s_lshl_b64 s[0:1], s[20:21], 2
	s_cmp_eq_u32 s15, 0
	s_add_nc_u64 s[2:3], s[22:23], s[0:1]
	s_add_nc_u64 s[0:1], s[18:19], s[0:1]
	s_clause 0x7
	global_load_b128 v[2:5], v1, s[2:3] offset:16
	global_load_b128 v[6:9], v1, s[0:1] offset:16
	global_load_b128 v[10:13], v1, s[0:1]
	global_load_b128 v[14:17], v1, s[2:3]
	global_load_b128 v[18:21], v1, s[2:3] offset:48
	global_load_b128 v[22:25], v1, s[0:1] offset:48
	;; [unrolled: 1-line block ×4, first 2 shown]
	s_cselect_b32 s25, -1, 0
	s_wait_loadcnt 0x6
	s_wait_xcnt 0x1
	v_cmp_ne_u32_e64 s0, v6, v2
	v_cmp_ne_u32_e64 s1, v9, v5
	s_wait_xcnt 0x0
	v_cmp_ne_u32_e64 s2, v8, v4
	s_wait_loadcnt 0x4
	v_cmp_ne_u32_e64 s3, v11, v15
	v_cmp_ne_u32_e64 s4, v10, v14
	s_xor_b32 s0, s25, s0
	v_cmp_ne_u32_e32 vcc_lo, v7, v3
	v_cndmask_b32_e64 v2, 0, 1, s0
	s_xor_b32 s0, s25, s1
	v_cmp_ne_u32_e64 s5, v13, v17
	v_cndmask_b32_e64 v3, 0, 1, s0
	s_xor_b32 s0, s25, s2
	v_cmp_ne_u32_e64 s6, v12, v16
	v_cndmask_b32_e64 v4, 0, 1, s0
	s_xor_b32 s0, s25, s3
	s_wait_loadcnt 0x2
	v_cmp_ne_u32_e64 s7, v23, v19
	v_cndmask_b32_e64 v5, 0, 1, s0
	s_xor_b32 s0, s25, s4
	v_cmp_ne_u32_e64 s8, v22, v18
	v_cndmask_b32_e64 v6, 0, 1, s0
	s_xor_b32 s0, s25, s5
	;; [unrolled: 3-line block ×4, first 2 shown]
	s_wait_loadcnt 0x0
	v_cmp_ne_u32_e64 s11, v27, v31
	v_cndmask_b32_e64 v9, 0, 1, s0
	s_xor_b32 s0, s25, s8
	v_cmp_ne_u32_e64 s12, v26, v30
	v_cndmask_b32_e64 v10, 0, 1, s0
	s_xor_b32 s0, s25, s9
	;; [unrolled: 3-line block ×4, first 2 shown]
	s_xor_b32 s26, s25, vcc_lo
	v_cndmask_b32_e64 v13, 0, 1, s0
	s_xor_b32 s0, s25, s12
	v_cndmask_b32_e64 v1, 0, 1, s26
	v_cndmask_b32_e64 v14, 0, 1, s0
	s_xor_b32 s0, s25, s13
	v_lshlrev_b16 v3, 8, v3
	v_cndmask_b32_e64 v15, 0, 1, s0
	s_xor_b32 s0, s25, s14
	v_lshlrev_b16 v1, 8, v1
	v_cndmask_b32_e64 v16, 0, 1, s0
	v_lshlrev_b16 v5, 8, v5
	v_lshlrev_b16 v7, 8, v7
	;; [unrolled: 1-line block ×6, first 2 shown]
	v_or_b32_e32 v1, v2, v1
	v_or_b32_e32 v2, v4, v3
	;; [unrolled: 1-line block ×7, first 2 shown]
	v_dual_lshlrev_b32 v2, 16, v2 :: v_dual_bitop2_b32 v5, v10, v9 bitop3:0x54
	v_and_b32_e32 v1, 0xffff, v1
	v_dual_lshlrev_b32 v6, 16, v6 :: v_dual_lshlrev_b32 v4, 16, v4
	v_and_b32_e32 v9, 0xffff, v3
	v_and_b32_e32 v7, 0xffff, v7
	v_lshlrev_b32_e32 v8, 16, v8
	v_and_b32_e32 v5, 0xffff, v5
	v_or_b32_e32 v3, v1, v2
	v_or_b32_e32 v2, v9, v4
	s_add_nc_u64 s[2:3], s[16:17], s[20:21]
	v_or_b32_e32 v4, v7, v8
	v_or_b32_e32 v5, v5, v6
	s_mov_b32 s0, 0
	global_store_b128 v0, v[2:5], s[2:3] scale_offset
.LBB341_2:
	s_and_not1_b32 vcc_lo, exec_lo, s0
	s_cbranch_vccnz .LBB341_54
; %bb.3:
	v_cmp_le_i32_e64 s0, s24, v0
	v_or_b32_e32 v1, 0x100, v0
	v_cmp_gt_i32_e32 vcc_lo, s24, v0
	s_wait_xcnt 0x0
	s_and_saveexec_b32 s1, s0
	s_delay_alu instid0(SALU_CYCLE_1)
	s_xor_b32 s0, exec_lo, s1
; %bb.4:
	v_or_b32_e32 v1, 0x100, v0
; %bb.5:
	s_or_saveexec_b32 s1, s0
	v_dual_mov_b32 v36, 0 :: v_dual_bitop2_b32 v8, s20, v0 bitop3:0x54
	v_dual_mov_b32 v35, 0 :: v_dual_mov_b32 v34, 0
	v_dual_mov_b32 v33, 0 :: v_dual_mov_b32 v32, 0
	;; [unrolled: 1-line block ×14, first 2 shown]
	v_mov_b32_e32 v31, 0
	s_mov_b32 s0, 0
	s_xor_b32 exec_lo, exec_lo, s1
	s_cbranch_execz .LBB341_37
; %bb.6:
	s_clause 0x1
	global_load_b32 v30, v8, s[18:19] scale_offset
	global_load_b32 v31, v8, s[22:23] scale_offset
	v_cmp_gt_u32_e64 s0, s24, v1
	v_dual_mov_b32 v26, 0 :: v_dual_mov_b32 v27, 0
	v_dual_mov_b32 v3, 0 :: v_dual_mov_b32 v25, 0
	;; [unrolled: 1-line block ×14, first 2 shown]
	s_mov_b32 s3, 0
	s_wait_xcnt 0x0
	s_and_saveexec_b32 s2, s0
	s_cbranch_execz .LBB341_36
; %bb.7:
	v_dual_mov_b32 v3, 0 :: v_dual_add_nc_u32 v2, s20, v0
	v_or_b32_e32 v4, 0x200, v0
	v_dual_mov_b32 v25, 0 :: v_dual_mov_b32 v21, 0
	v_mov_b32_e32 v13, 0
	s_clause 0x1
	global_load_b32 v27, v2, s[18:19] offset:1024 scale_offset
	global_load_b32 v26, v2, s[22:23] offset:1024 scale_offset
	v_cmp_gt_u32_e64 s0, s24, v4
	v_dual_mov_b32 v4, 0 :: v_dual_mov_b32 v18, 0
	v_dual_mov_b32 v11, 0 :: v_dual_mov_b32 v16, 0
	;; [unrolled: 1-line block ×11, first 2 shown]
	s_mov_b32 s4, 0
	s_wait_xcnt 0x0
	s_and_saveexec_b32 s3, s0
	s_cbranch_execz .LBB341_35
; %bb.8:
	v_lshlrev_b64_e32 v[6:7], 2, v[2:3]
	v_or_b32_e32 v9, 0x300, v0
	v_dual_mov_b32 v21, 0 :: v_dual_mov_b32 v13, 0
	v_dual_mov_b32 v18, 0 :: v_dual_mov_b32 v11, 0
	s_delay_alu instid0(VALU_DEP_3)
	v_cmp_gt_u32_e64 s0, s24, v9
	v_add_nc_u64_e32 v[4:5], s[18:19], v[6:7]
	v_add_nc_u64_e32 v[6:7], s[22:23], v[6:7]
	v_dual_mov_b32 v16, 0 :: v_dual_mov_b32 v9, 0
	v_dual_mov_b32 v14, 0 :: v_dual_mov_b32 v10, 0
	;; [unrolled: 1-line block ×3, first 2 shown]
	global_load_b32 v25, v[4:5], off offset:2048
	global_load_b32 v2, v[6:7], off offset:2048
	v_dual_mov_b32 v19, 0 :: v_dual_mov_b32 v15, 0
	v_dual_mov_b32 v22, 0 :: v_dual_mov_b32 v20, 0
	v_dual_mov_b32 v24, 0 :: v_dual_mov_b32 v23, 0
	v_dual_mov_b32 v29, 0 :: v_dual_mov_b32 v28, 0
	v_dual_mov_b32 v32, 0 :: v_dual_mov_b32 v33, 0
	v_dual_mov_b32 v34, 0 :: v_dual_mov_b32 v35, 0
	v_mov_b32_e32 v36, 0
	s_mov_b32 s5, 0
	s_wait_xcnt 0x0
	s_and_saveexec_b32 s4, s0
	s_cbranch_execz .LBB341_34
; %bb.9:
	global_load_b32 v21, v[4:5], off offset:3072
	global_load_b32 v3, v[6:7], off offset:3072
	v_or_b32_e32 v9, 0x400, v0
	v_dual_mov_b32 v13, 0 :: v_dual_mov_b32 v18, 0
	v_dual_mov_b32 v11, 0 :: v_dual_mov_b32 v16, 0
	s_delay_alu instid0(VALU_DEP_3)
	v_cmp_gt_u32_e64 s0, s24, v9
	v_dual_mov_b32 v9, 0 :: v_dual_mov_b32 v14, 0
	v_dual_mov_b32 v10, 0 :: v_dual_mov_b32 v17, 0
	;; [unrolled: 1-line block ×9, first 2 shown]
	s_mov_b32 s6, 0
	s_wait_xcnt 0x0
	s_and_saveexec_b32 s5, s0
	s_cbranch_execz .LBB341_33
; %bb.10:
	global_load_b32 v18, v[4:5], off offset:4096
	global_load_b32 v13, v[6:7], off offset:4096
	v_or_b32_e32 v9, 0x500, v0
	v_dual_mov_b32 v11, 0 :: v_dual_mov_b32 v16, 0
	v_dual_mov_b32 v10, 0 :: v_dual_mov_b32 v17, 0
	s_delay_alu instid0(VALU_DEP_3)
	v_cmp_gt_u32_e64 s0, s24, v9
	v_dual_mov_b32 v9, 0 :: v_dual_mov_b32 v14, 0
	v_dual_mov_b32 v12, 0 :: v_dual_mov_b32 v19, 0
	;; [unrolled: 1-line block ×8, first 2 shown]
	s_mov_b32 s7, 0
	s_wait_xcnt 0x0
	s_and_saveexec_b32 s6, s0
	s_cbranch_execz .LBB341_32
; %bb.11:
	global_load_b32 v16, v[4:5], off offset:5120
	global_load_b32 v11, v[6:7], off offset:5120
	v_or_b32_e32 v9, 0x600, v0
	v_dual_mov_b32 v10, 0 :: v_dual_mov_b32 v17, 0
	v_dual_mov_b32 v12, 0 :: v_dual_mov_b32 v19, 0
	s_delay_alu instid0(VALU_DEP_3)
	v_cmp_gt_u32_e64 s0, s24, v9
	v_dual_mov_b32 v9, 0 :: v_dual_mov_b32 v14, 0
	v_dual_mov_b32 v15, 0 :: v_dual_mov_b32 v22, 0
	;; [unrolled: 1-line block ×7, first 2 shown]
	s_mov_b32 s8, 0
	s_wait_xcnt 0x0
	s_and_saveexec_b32 s7, s0
	s_cbranch_execz .LBB341_31
; %bb.12:
	global_load_b32 v14, v[4:5], off offset:6144
	global_load_b32 v9, v[6:7], off offset:6144
	v_or_b32_e32 v10, 0x700, v0
	v_dual_mov_b32 v12, 0 :: v_dual_mov_b32 v19, 0
	v_dual_mov_b32 v15, 0 :: v_dual_mov_b32 v22, 0
	s_delay_alu instid0(VALU_DEP_3)
	v_cmp_gt_u32_e64 s0, s24, v10
	v_dual_mov_b32 v10, 0 :: v_dual_mov_b32 v17, 0
	v_dual_mov_b32 v20, 0 :: v_dual_mov_b32 v24, 0
	;; [unrolled: 1-line block ×6, first 2 shown]
	s_mov_b32 s9, 0
	s_wait_xcnt 0x0
	s_and_saveexec_b32 s8, s0
	s_cbranch_execz .LBB341_30
; %bb.13:
	global_load_b32 v17, v[4:5], off offset:7168
	global_load_b32 v10, v[6:7], off offset:7168
	v_or_b32_e32 v12, 0x800, v0
	v_dual_mov_b32 v15, 0 :: v_dual_mov_b32 v22, 0
	v_dual_mov_b32 v20, 0 :: v_dual_mov_b32 v24, 0
	s_delay_alu instid0(VALU_DEP_3)
	v_cmp_gt_u32_e64 s0, s24, v12
	v_dual_mov_b32 v12, 0 :: v_dual_mov_b32 v19, 0
	v_dual_mov_b32 v23, 0 :: v_dual_mov_b32 v29, 0
	;; [unrolled: 1-line block ×5, first 2 shown]
	s_mov_b32 s10, 0
	s_wait_xcnt 0x0
	s_and_saveexec_b32 s9, s0
	s_cbranch_execz .LBB341_29
; %bb.14:
	global_load_b32 v19, v[4:5], off offset:8192
	global_load_b32 v12, v[6:7], off offset:8192
	v_or_b32_e32 v15, 0x900, v0
	v_dual_mov_b32 v20, 0 :: v_dual_mov_b32 v24, 0
	v_dual_mov_b32 v23, 0 :: v_dual_mov_b32 v29, 0
	s_delay_alu instid0(VALU_DEP_3)
	v_cmp_gt_u32_e64 s0, s24, v15
	v_dual_mov_b32 v15, 0 :: v_dual_mov_b32 v22, 0
	v_dual_mov_b32 v28, 0 :: v_dual_mov_b32 v32, 0
	;; [unrolled: 1-line block ×4, first 2 shown]
	s_mov_b32 s11, 0
	s_wait_xcnt 0x0
	s_and_saveexec_b32 s10, s0
	s_cbranch_execz .LBB341_28
; %bb.15:
	global_load_b32 v22, v[4:5], off offset:9216
	global_load_b32 v15, v[6:7], off offset:9216
	v_or_b32_e32 v20, 0xa00, v0
	v_dual_mov_b32 v23, 0 :: v_dual_mov_b32 v29, 0
	v_dual_mov_b32 v28, 0 :: v_dual_mov_b32 v32, 0
	s_delay_alu instid0(VALU_DEP_3)
	v_cmp_gt_u32_e64 s0, s24, v20
	v_dual_mov_b32 v20, 0 :: v_dual_mov_b32 v24, 0
	v_dual_mov_b32 v33, 0 :: v_dual_mov_b32 v34, 0
	;; [unrolled: 1-line block ×3, first 2 shown]
	s_mov_b32 s12, 0
	s_wait_xcnt 0x0
	s_and_saveexec_b32 s11, s0
	s_cbranch_execz .LBB341_27
; %bb.16:
	global_load_b32 v24, v[4:5], off offset:10240
	global_load_b32 v20, v[6:7], off offset:10240
	v_or_b32_e32 v23, 0xb00, v0
	v_dual_mov_b32 v28, 0 :: v_dual_mov_b32 v32, 0
	v_dual_mov_b32 v33, 0 :: v_dual_mov_b32 v34, 0
	s_delay_alu instid0(VALU_DEP_3)
	v_cmp_gt_u32_e64 s0, s24, v23
	v_dual_mov_b32 v23, 0 :: v_dual_mov_b32 v29, 0
	v_dual_mov_b32 v35, 0 :: v_dual_mov_b32 v36, 0
	s_mov_b32 s13, 0
	s_wait_xcnt 0x0
	s_and_saveexec_b32 s12, s0
	s_cbranch_execz .LBB341_26
; %bb.17:
	global_load_b32 v29, v[4:5], off offset:11264
	global_load_b32 v23, v[6:7], off offset:11264
	v_or_b32_e32 v28, 0xc00, v0
	v_dual_mov_b32 v33, 0 :: v_dual_mov_b32 v34, 0
	v_dual_mov_b32 v35, 0 :: v_dual_mov_b32 v36, 0
	s_delay_alu instid0(VALU_DEP_3)
	v_cmp_gt_u32_e64 s0, s24, v28
	v_dual_mov_b32 v28, 0 :: v_dual_mov_b32 v32, 0
	s_mov_b32 s14, 0
	s_wait_xcnt 0x0
	s_and_saveexec_b32 s13, s0
	s_cbranch_execz .LBB341_25
; %bb.18:
	global_load_b32 v32, v[4:5], off offset:12288
	global_load_b32 v28, v[6:7], off offset:12288
	v_or_b32_e32 v33, 0xd00, v0
	v_dual_mov_b32 v35, 0 :: v_dual_mov_b32 v36, 0
	s_mov_b32 s18, 0
	v_mov_b32_e32 v34, 0
	s_delay_alu instid0(VALU_DEP_3)
	v_cmp_gt_u32_e64 s0, s24, v33
	v_mov_b32_e32 v33, 0
	s_wait_xcnt 0x0
	s_and_saveexec_b32 s14, s0
	s_cbranch_execz .LBB341_24
; %bb.19:
	global_load_b32 v34, v[4:5], off offset:13312
	global_load_b32 v33, v[6:7], off offset:13312
	v_or_b32_e32 v35, 0xe00, v0
	s_mov_b32 s19, 0
	v_mov_b32_e32 v36, 0
	s_delay_alu instid0(VALU_DEP_2)
	v_cmp_gt_u32_e64 s0, s24, v35
	v_mov_b32_e32 v35, 0
	s_wait_xcnt 0x0
	s_and_saveexec_b32 s18, s0
	s_cbranch_execz .LBB341_23
; %bb.20:
	global_load_b32 v36, v[4:5], off offset:14336
	global_load_b32 v35, v[6:7], off offset:14336
	v_or_b32_e32 v37, 0xf00, v0
	s_mov_b32 s21, 0
	s_mov_b32 s19, exec_lo
	s_wait_xcnt 0x0
	s_delay_alu instid0(VALU_DEP_1)
	v_cmpx_gt_u32_e64 s24, v37
	s_cbranch_execz .LBB341_22
; %bb.21:
	global_load_b32 v37, v[4:5], off offset:15360
	global_load_b32 v38, v[6:7], off offset:15360
	s_wait_loadcnt 0x0
	v_cmp_ne_u32_e64 s0, v37, v38
	s_and_b32 s21, s0, exec_lo
.LBB341_22:
	s_wait_xcnt 0x0
	s_or_b32 exec_lo, exec_lo, s19
	s_delay_alu instid0(SALU_CYCLE_1)
	s_and_b32 s19, s21, exec_lo
.LBB341_23:
	s_or_b32 exec_lo, exec_lo, s18
	s_delay_alu instid0(SALU_CYCLE_1)
	s_and_b32 s18, s19, exec_lo
.LBB341_24:
	s_or_b32 exec_lo, exec_lo, s14
	s_delay_alu instid0(SALU_CYCLE_1)
	s_and_b32 s14, s18, exec_lo
.LBB341_25:
	s_or_b32 exec_lo, exec_lo, s13
	s_delay_alu instid0(SALU_CYCLE_1)
	s_and_b32 s13, s14, exec_lo
.LBB341_26:
	s_or_b32 exec_lo, exec_lo, s12
	s_delay_alu instid0(SALU_CYCLE_1)
	s_and_b32 s12, s13, exec_lo
.LBB341_27:
	s_or_b32 exec_lo, exec_lo, s11
	s_delay_alu instid0(SALU_CYCLE_1)
	s_and_b32 s11, s12, exec_lo
.LBB341_28:
	s_or_b32 exec_lo, exec_lo, s10
	s_delay_alu instid0(SALU_CYCLE_1)
	s_and_b32 s10, s11, exec_lo
.LBB341_29:
	s_or_b32 exec_lo, exec_lo, s9
	s_delay_alu instid0(SALU_CYCLE_1)
	s_and_b32 s9, s10, exec_lo
.LBB341_30:
	s_or_b32 exec_lo, exec_lo, s8
	s_delay_alu instid0(SALU_CYCLE_1)
	s_and_b32 s8, s9, exec_lo
.LBB341_31:
	s_or_b32 exec_lo, exec_lo, s7
	s_delay_alu instid0(SALU_CYCLE_1)
	s_and_b32 s7, s8, exec_lo
.LBB341_32:
	s_or_b32 exec_lo, exec_lo, s6
	s_delay_alu instid0(SALU_CYCLE_1)
	s_and_b32 s6, s7, exec_lo
.LBB341_33:
	s_or_b32 exec_lo, exec_lo, s5
	s_delay_alu instid0(SALU_CYCLE_1)
	s_and_b32 s5, s6, exec_lo
.LBB341_34:
	s_or_b32 exec_lo, exec_lo, s4
	s_wait_loadcnt 0x0
	v_dual_mov_b32 v4, v3 :: v_dual_mov_b32 v3, v2
	s_and_b32 s4, s5, exec_lo
.LBB341_35:
	s_or_b32 exec_lo, exec_lo, s3
	s_delay_alu instid0(SALU_CYCLE_1)
	s_and_b32 s3, s4, exec_lo
.LBB341_36:
	s_or_b32 exec_lo, exec_lo, s2
	s_delay_alu instid0(SALU_CYCLE_1)
	s_and_b32 s0, s3, exec_lo
.LBB341_37:
	s_or_b32 exec_lo, exec_lo, s1
	s_cmp_eq_u32 s15, 0
	s_cselect_b32 s1, -1, 0
	s_and_saveexec_b32 s2, vcc_lo
	s_cbranch_execnz .LBB341_55
; %bb.38:
	s_or_b32 exec_lo, exec_lo, s2
	s_delay_alu instid0(SALU_CYCLE_1)
	s_mov_b32 s2, exec_lo
	v_cmpx_gt_i32_e64 s24, v0
	s_cbranch_execnz .LBB341_56
.LBB341_39:
	s_or_b32 exec_lo, exec_lo, s2
	s_delay_alu instid0(SALU_CYCLE_1)
	s_mov_b32 s2, exec_lo
	v_cmpx_gt_i32_e64 s24, v0
	s_cbranch_execnz .LBB341_57
.LBB341_40:
	s_or_b32 exec_lo, exec_lo, s2
	s_delay_alu instid0(SALU_CYCLE_1)
	s_mov_b32 s2, exec_lo
	v_cmpx_gt_i32_e64 s24, v0
	s_cbranch_execnz .LBB341_58
.LBB341_41:
	s_or_b32 exec_lo, exec_lo, s2
	s_delay_alu instid0(SALU_CYCLE_1)
	s_mov_b32 s2, exec_lo
	v_cmpx_gt_i32_e64 s24, v0
	s_cbranch_execnz .LBB341_59
.LBB341_42:
	s_or_b32 exec_lo, exec_lo, s2
	s_delay_alu instid0(SALU_CYCLE_1)
	s_mov_b32 s2, exec_lo
	v_cmpx_gt_i32_e64 s24, v0
	s_cbranch_execnz .LBB341_60
.LBB341_43:
	s_or_b32 exec_lo, exec_lo, s2
	s_delay_alu instid0(SALU_CYCLE_1)
	s_mov_b32 s2, exec_lo
	v_cmpx_gt_i32_e64 s24, v0
	s_cbranch_execnz .LBB341_61
.LBB341_44:
	s_or_b32 exec_lo, exec_lo, s2
	s_delay_alu instid0(SALU_CYCLE_1)
	s_mov_b32 s2, exec_lo
	v_cmpx_gt_i32_e64 s24, v0
	s_cbranch_execnz .LBB341_62
.LBB341_45:
	s_or_b32 exec_lo, exec_lo, s2
	s_delay_alu instid0(SALU_CYCLE_1)
	s_mov_b32 s2, exec_lo
	v_cmpx_gt_i32_e64 s24, v0
	s_cbranch_execnz .LBB341_63
.LBB341_46:
	s_or_b32 exec_lo, exec_lo, s2
	s_delay_alu instid0(SALU_CYCLE_1)
	s_mov_b32 s2, exec_lo
	v_cmpx_gt_i32_e64 s24, v0
	s_cbranch_execnz .LBB341_64
.LBB341_47:
	s_or_b32 exec_lo, exec_lo, s2
	s_delay_alu instid0(SALU_CYCLE_1)
	s_mov_b32 s2, exec_lo
	v_cmpx_gt_i32_e64 s24, v0
	s_cbranch_execnz .LBB341_65
.LBB341_48:
	s_or_b32 exec_lo, exec_lo, s2
	s_delay_alu instid0(SALU_CYCLE_1)
	s_mov_b32 s2, exec_lo
	v_cmpx_gt_i32_e64 s24, v0
	s_cbranch_execnz .LBB341_66
.LBB341_49:
	s_or_b32 exec_lo, exec_lo, s2
	s_delay_alu instid0(SALU_CYCLE_1)
	s_mov_b32 s2, exec_lo
	v_cmpx_gt_i32_e64 s24, v0
	s_cbranch_execnz .LBB341_67
.LBB341_50:
	s_or_b32 exec_lo, exec_lo, s2
	s_delay_alu instid0(SALU_CYCLE_1)
	s_mov_b32 s2, exec_lo
	v_cmpx_gt_i32_e64 s24, v0
	s_cbranch_execnz .LBB341_68
.LBB341_51:
	s_or_b32 exec_lo, exec_lo, s2
	s_delay_alu instid0(SALU_CYCLE_1)
	s_mov_b32 s2, exec_lo
	v_cmpx_gt_i32_e64 s24, v0
	s_cbranch_execnz .LBB341_69
.LBB341_52:
	s_or_b32 exec_lo, exec_lo, s2
	s_delay_alu instid0(SALU_CYCLE_1)
	s_mov_b32 s2, exec_lo
	v_cmpx_gt_i32_e64 s24, v0
	s_cbranch_execz .LBB341_54
.LBB341_53:
	s_xor_b32 s0, s1, s0
	v_add_nc_u32_e32 v0, s20, v0
	v_cndmask_b32_e64 v1, 0, 1, s0
	global_store_b8 v0, v1, s[16:17]
.LBB341_54:
	s_endpgm
.LBB341_55:
	s_wait_loadcnt 0x0
	v_cmp_ne_u32_e32 vcc_lo, v30, v31
	v_mov_b32_e32 v0, v1
	s_xor_b32 s3, s1, vcc_lo
	s_delay_alu instid0(SALU_CYCLE_1) | instskip(SKIP_3) | instid1(SALU_CYCLE_1)
	v_cndmask_b32_e64 v2, 0, 1, s3
	global_store_b8 v8, v2, s[16:17]
	s_wait_xcnt 0x0
	s_or_b32 exec_lo, exec_lo, s2
	s_mov_b32 s2, exec_lo
	v_cmpx_gt_i32_e64 s24, v0
	s_cbranch_execz .LBB341_39
.LBB341_56:
	s_wait_loadcnt 0x0
	v_cmp_ne_u32_e32 vcc_lo, v27, v26
	v_add_nc_u32_e32 v2, s20, v0
	v_add_nc_u32_e32 v0, 0x100, v0
	s_xor_b32 s3, s1, vcc_lo
	s_delay_alu instid0(SALU_CYCLE_1) | instskip(SKIP_3) | instid1(SALU_CYCLE_1)
	v_cndmask_b32_e64 v1, 0, 1, s3
	global_store_b8 v2, v1, s[16:17]
	s_wait_xcnt 0x0
	s_or_b32 exec_lo, exec_lo, s2
	s_mov_b32 s2, exec_lo
	v_cmpx_gt_i32_e64 s24, v0
	s_cbranch_execz .LBB341_40
.LBB341_57:
	v_cmp_ne_u32_e32 vcc_lo, v25, v3
	v_add_nc_u32_e32 v2, s20, v0
	v_add_nc_u32_e32 v0, 0x100, v0
	s_xor_b32 s3, s1, vcc_lo
	s_delay_alu instid0(SALU_CYCLE_1) | instskip(SKIP_3) | instid1(SALU_CYCLE_1)
	v_cndmask_b32_e64 v1, 0, 1, s3
	global_store_b8 v2, v1, s[16:17]
	s_wait_xcnt 0x0
	s_or_b32 exec_lo, exec_lo, s2
	s_mov_b32 s2, exec_lo
	v_cmpx_gt_i32_e64 s24, v0
	s_cbranch_execz .LBB341_41
.LBB341_58:
	v_cmp_ne_u32_e32 vcc_lo, v21, v4
	v_add_nc_u32_e32 v2, s20, v0
	v_add_nc_u32_e32 v0, 0x100, v0
	s_xor_b32 s3, s1, vcc_lo
	s_delay_alu instid0(SALU_CYCLE_1) | instskip(SKIP_3) | instid1(SALU_CYCLE_1)
	v_cndmask_b32_e64 v1, 0, 1, s3
	global_store_b8 v2, v1, s[16:17]
	s_wait_xcnt 0x0
	s_or_b32 exec_lo, exec_lo, s2
	s_mov_b32 s2, exec_lo
	v_cmpx_gt_i32_e64 s24, v0
	s_cbranch_execz .LBB341_42
.LBB341_59:
	v_cmp_ne_u32_e32 vcc_lo, v18, v13
	v_add_nc_u32_e32 v2, s20, v0
	v_add_nc_u32_e32 v0, 0x100, v0
	s_xor_b32 s3, s1, vcc_lo
	s_delay_alu instid0(SALU_CYCLE_1) | instskip(SKIP_3) | instid1(SALU_CYCLE_1)
	v_cndmask_b32_e64 v1, 0, 1, s3
	global_store_b8 v2, v1, s[16:17]
	s_wait_xcnt 0x0
	s_or_b32 exec_lo, exec_lo, s2
	s_mov_b32 s2, exec_lo
	v_cmpx_gt_i32_e64 s24, v0
	s_cbranch_execz .LBB341_43
.LBB341_60:
	v_cmp_ne_u32_e32 vcc_lo, v16, v11
	v_add_nc_u32_e32 v2, s20, v0
	v_add_nc_u32_e32 v0, 0x100, v0
	s_xor_b32 s3, s1, vcc_lo
	s_delay_alu instid0(SALU_CYCLE_1) | instskip(SKIP_3) | instid1(SALU_CYCLE_1)
	v_cndmask_b32_e64 v1, 0, 1, s3
	global_store_b8 v2, v1, s[16:17]
	s_wait_xcnt 0x0
	s_or_b32 exec_lo, exec_lo, s2
	s_mov_b32 s2, exec_lo
	v_cmpx_gt_i32_e64 s24, v0
	s_cbranch_execz .LBB341_44
.LBB341_61:
	v_cmp_ne_u32_e32 vcc_lo, v14, v9
	v_add_nc_u32_e32 v2, s20, v0
	v_add_nc_u32_e32 v0, 0x100, v0
	s_xor_b32 s3, s1, vcc_lo
	s_delay_alu instid0(SALU_CYCLE_1) | instskip(SKIP_3) | instid1(SALU_CYCLE_1)
	v_cndmask_b32_e64 v1, 0, 1, s3
	global_store_b8 v2, v1, s[16:17]
	s_wait_xcnt 0x0
	s_or_b32 exec_lo, exec_lo, s2
	s_mov_b32 s2, exec_lo
	v_cmpx_gt_i32_e64 s24, v0
	s_cbranch_execz .LBB341_45
.LBB341_62:
	v_cmp_ne_u32_e32 vcc_lo, v17, v10
	v_add_nc_u32_e32 v2, s20, v0
	v_add_nc_u32_e32 v0, 0x100, v0
	s_xor_b32 s3, s1, vcc_lo
	s_delay_alu instid0(SALU_CYCLE_1) | instskip(SKIP_3) | instid1(SALU_CYCLE_1)
	v_cndmask_b32_e64 v1, 0, 1, s3
	global_store_b8 v2, v1, s[16:17]
	s_wait_xcnt 0x0
	s_or_b32 exec_lo, exec_lo, s2
	s_mov_b32 s2, exec_lo
	v_cmpx_gt_i32_e64 s24, v0
	s_cbranch_execz .LBB341_46
.LBB341_63:
	v_cmp_ne_u32_e32 vcc_lo, v19, v12
	v_add_nc_u32_e32 v2, s20, v0
	v_add_nc_u32_e32 v0, 0x100, v0
	s_xor_b32 s3, s1, vcc_lo
	s_delay_alu instid0(SALU_CYCLE_1) | instskip(SKIP_3) | instid1(SALU_CYCLE_1)
	v_cndmask_b32_e64 v1, 0, 1, s3
	global_store_b8 v2, v1, s[16:17]
	s_wait_xcnt 0x0
	s_or_b32 exec_lo, exec_lo, s2
	s_mov_b32 s2, exec_lo
	v_cmpx_gt_i32_e64 s24, v0
	s_cbranch_execz .LBB341_47
.LBB341_64:
	v_cmp_ne_u32_e32 vcc_lo, v22, v15
	v_add_nc_u32_e32 v2, s20, v0
	v_add_nc_u32_e32 v0, 0x100, v0
	s_xor_b32 s3, s1, vcc_lo
	s_delay_alu instid0(SALU_CYCLE_1) | instskip(SKIP_3) | instid1(SALU_CYCLE_1)
	v_cndmask_b32_e64 v1, 0, 1, s3
	global_store_b8 v2, v1, s[16:17]
	s_wait_xcnt 0x0
	s_or_b32 exec_lo, exec_lo, s2
	s_mov_b32 s2, exec_lo
	v_cmpx_gt_i32_e64 s24, v0
	s_cbranch_execz .LBB341_48
.LBB341_65:
	v_cmp_ne_u32_e32 vcc_lo, v24, v20
	v_add_nc_u32_e32 v2, s20, v0
	v_add_nc_u32_e32 v0, 0x100, v0
	s_xor_b32 s3, s1, vcc_lo
	s_delay_alu instid0(SALU_CYCLE_1) | instskip(SKIP_3) | instid1(SALU_CYCLE_1)
	v_cndmask_b32_e64 v1, 0, 1, s3
	global_store_b8 v2, v1, s[16:17]
	s_wait_xcnt 0x0
	s_or_b32 exec_lo, exec_lo, s2
	s_mov_b32 s2, exec_lo
	v_cmpx_gt_i32_e64 s24, v0
	s_cbranch_execz .LBB341_49
.LBB341_66:
	v_cmp_ne_u32_e32 vcc_lo, v29, v23
	v_add_nc_u32_e32 v2, s20, v0
	v_add_nc_u32_e32 v0, 0x100, v0
	s_xor_b32 s3, s1, vcc_lo
	s_delay_alu instid0(SALU_CYCLE_1) | instskip(SKIP_3) | instid1(SALU_CYCLE_1)
	v_cndmask_b32_e64 v1, 0, 1, s3
	global_store_b8 v2, v1, s[16:17]
	s_wait_xcnt 0x0
	s_or_b32 exec_lo, exec_lo, s2
	s_mov_b32 s2, exec_lo
	v_cmpx_gt_i32_e64 s24, v0
	s_cbranch_execz .LBB341_50
.LBB341_67:
	v_cmp_ne_u32_e32 vcc_lo, v32, v28
	v_add_nc_u32_e32 v2, s20, v0
	v_add_nc_u32_e32 v0, 0x100, v0
	s_xor_b32 s3, s1, vcc_lo
	s_delay_alu instid0(SALU_CYCLE_1) | instskip(SKIP_3) | instid1(SALU_CYCLE_1)
	v_cndmask_b32_e64 v1, 0, 1, s3
	global_store_b8 v2, v1, s[16:17]
	s_wait_xcnt 0x0
	s_or_b32 exec_lo, exec_lo, s2
	s_mov_b32 s2, exec_lo
	v_cmpx_gt_i32_e64 s24, v0
	s_cbranch_execz .LBB341_51
.LBB341_68:
	v_cmp_ne_u32_e32 vcc_lo, v34, v33
	v_add_nc_u32_e32 v2, s20, v0
	v_add_nc_u32_e32 v0, 0x100, v0
	s_xor_b32 s3, s1, vcc_lo
	s_delay_alu instid0(SALU_CYCLE_1) | instskip(SKIP_3) | instid1(SALU_CYCLE_1)
	v_cndmask_b32_e64 v1, 0, 1, s3
	global_store_b8 v2, v1, s[16:17]
	s_wait_xcnt 0x0
	s_or_b32 exec_lo, exec_lo, s2
	s_mov_b32 s2, exec_lo
	v_cmpx_gt_i32_e64 s24, v0
	s_cbranch_execz .LBB341_52
.LBB341_69:
	v_cmp_ne_u32_e32 vcc_lo, v36, v35
	v_add_nc_u32_e32 v2, s20, v0
	v_add_nc_u32_e32 v0, 0x100, v0
	s_xor_b32 s3, s1, vcc_lo
	s_delay_alu instid0(SALU_CYCLE_1) | instskip(SKIP_3) | instid1(SALU_CYCLE_1)
	v_cndmask_b32_e64 v1, 0, 1, s3
	global_store_b8 v2, v1, s[16:17]
	s_wait_xcnt 0x0
	s_or_b32 exec_lo, exec_lo, s2
	s_mov_b32 s2, exec_lo
	v_cmpx_gt_i32_e64 s24, v0
	s_cbranch_execnz .LBB341_53
	s_branch .LBB341_54
	.section	.rodata,"a",@progbits
	.p2align	6, 0x0
	.amdhsa_kernel _ZN2at6native29vectorized_elementwise_kernelILi16ENS0_13BinaryFunctorIjjbNS0_12_GLOBAL__N_116CompareEqFunctorIjEEEESt5arrayIPcLm3EEEEviT0_T1_
		.amdhsa_group_segment_fixed_size 0
		.amdhsa_private_segment_fixed_size 0
		.amdhsa_kernarg_size 32
		.amdhsa_user_sgpr_count 2
		.amdhsa_user_sgpr_dispatch_ptr 0
		.amdhsa_user_sgpr_queue_ptr 0
		.amdhsa_user_sgpr_kernarg_segment_ptr 1
		.amdhsa_user_sgpr_dispatch_id 0
		.amdhsa_user_sgpr_kernarg_preload_length 0
		.amdhsa_user_sgpr_kernarg_preload_offset 0
		.amdhsa_user_sgpr_private_segment_size 0
		.amdhsa_wavefront_size32 1
		.amdhsa_uses_dynamic_stack 0
		.amdhsa_enable_private_segment 0
		.amdhsa_system_sgpr_workgroup_id_x 1
		.amdhsa_system_sgpr_workgroup_id_y 0
		.amdhsa_system_sgpr_workgroup_id_z 0
		.amdhsa_system_sgpr_workgroup_info 0
		.amdhsa_system_vgpr_workitem_id 0
		.amdhsa_next_free_vgpr 39
		.amdhsa_next_free_sgpr 27
		.amdhsa_named_barrier_count 0
		.amdhsa_reserve_vcc 1
		.amdhsa_float_round_mode_32 0
		.amdhsa_float_round_mode_16_64 0
		.amdhsa_float_denorm_mode_32 3
		.amdhsa_float_denorm_mode_16_64 3
		.amdhsa_fp16_overflow 0
		.amdhsa_memory_ordered 1
		.amdhsa_forward_progress 1
		.amdhsa_inst_pref_size 36
		.amdhsa_round_robin_scheduling 0
		.amdhsa_exception_fp_ieee_invalid_op 0
		.amdhsa_exception_fp_denorm_src 0
		.amdhsa_exception_fp_ieee_div_zero 0
		.amdhsa_exception_fp_ieee_overflow 0
		.amdhsa_exception_fp_ieee_underflow 0
		.amdhsa_exception_fp_ieee_inexact 0
		.amdhsa_exception_int_div_zero 0
	.end_amdhsa_kernel
	.section	.text._ZN2at6native29vectorized_elementwise_kernelILi16ENS0_13BinaryFunctorIjjbNS0_12_GLOBAL__N_116CompareEqFunctorIjEEEESt5arrayIPcLm3EEEEviT0_T1_,"axG",@progbits,_ZN2at6native29vectorized_elementwise_kernelILi16ENS0_13BinaryFunctorIjjbNS0_12_GLOBAL__N_116CompareEqFunctorIjEEEESt5arrayIPcLm3EEEEviT0_T1_,comdat
.Lfunc_end341:
	.size	_ZN2at6native29vectorized_elementwise_kernelILi16ENS0_13BinaryFunctorIjjbNS0_12_GLOBAL__N_116CompareEqFunctorIjEEEESt5arrayIPcLm3EEEEviT0_T1_, .Lfunc_end341-_ZN2at6native29vectorized_elementwise_kernelILi16ENS0_13BinaryFunctorIjjbNS0_12_GLOBAL__N_116CompareEqFunctorIjEEEESt5arrayIPcLm3EEEEviT0_T1_
                                        ; -- End function
	.set _ZN2at6native29vectorized_elementwise_kernelILi16ENS0_13BinaryFunctorIjjbNS0_12_GLOBAL__N_116CompareEqFunctorIjEEEESt5arrayIPcLm3EEEEviT0_T1_.num_vgpr, 39
	.set _ZN2at6native29vectorized_elementwise_kernelILi16ENS0_13BinaryFunctorIjjbNS0_12_GLOBAL__N_116CompareEqFunctorIjEEEESt5arrayIPcLm3EEEEviT0_T1_.num_agpr, 0
	.set _ZN2at6native29vectorized_elementwise_kernelILi16ENS0_13BinaryFunctorIjjbNS0_12_GLOBAL__N_116CompareEqFunctorIjEEEESt5arrayIPcLm3EEEEviT0_T1_.numbered_sgpr, 27
	.set _ZN2at6native29vectorized_elementwise_kernelILi16ENS0_13BinaryFunctorIjjbNS0_12_GLOBAL__N_116CompareEqFunctorIjEEEESt5arrayIPcLm3EEEEviT0_T1_.num_named_barrier, 0
	.set _ZN2at6native29vectorized_elementwise_kernelILi16ENS0_13BinaryFunctorIjjbNS0_12_GLOBAL__N_116CompareEqFunctorIjEEEESt5arrayIPcLm3EEEEviT0_T1_.private_seg_size, 0
	.set _ZN2at6native29vectorized_elementwise_kernelILi16ENS0_13BinaryFunctorIjjbNS0_12_GLOBAL__N_116CompareEqFunctorIjEEEESt5arrayIPcLm3EEEEviT0_T1_.uses_vcc, 1
	.set _ZN2at6native29vectorized_elementwise_kernelILi16ENS0_13BinaryFunctorIjjbNS0_12_GLOBAL__N_116CompareEqFunctorIjEEEESt5arrayIPcLm3EEEEviT0_T1_.uses_flat_scratch, 0
	.set _ZN2at6native29vectorized_elementwise_kernelILi16ENS0_13BinaryFunctorIjjbNS0_12_GLOBAL__N_116CompareEqFunctorIjEEEESt5arrayIPcLm3EEEEviT0_T1_.has_dyn_sized_stack, 0
	.set _ZN2at6native29vectorized_elementwise_kernelILi16ENS0_13BinaryFunctorIjjbNS0_12_GLOBAL__N_116CompareEqFunctorIjEEEESt5arrayIPcLm3EEEEviT0_T1_.has_recursion, 0
	.set _ZN2at6native29vectorized_elementwise_kernelILi16ENS0_13BinaryFunctorIjjbNS0_12_GLOBAL__N_116CompareEqFunctorIjEEEESt5arrayIPcLm3EEEEviT0_T1_.has_indirect_call, 0
	.section	.AMDGPU.csdata,"",@progbits
; Kernel info:
; codeLenInByte = 4540
; TotalNumSgprs: 29
; NumVgprs: 39
; ScratchSize: 0
; MemoryBound: 1
; FloatMode: 240
; IeeeMode: 1
; LDSByteSize: 0 bytes/workgroup (compile time only)
; SGPRBlocks: 0
; VGPRBlocks: 2
; NumSGPRsForWavesPerEU: 29
; NumVGPRsForWavesPerEU: 39
; NamedBarCnt: 0
; Occupancy: 16
; WaveLimiterHint : 0
; COMPUTE_PGM_RSRC2:SCRATCH_EN: 0
; COMPUTE_PGM_RSRC2:USER_SGPR: 2
; COMPUTE_PGM_RSRC2:TRAP_HANDLER: 0
; COMPUTE_PGM_RSRC2:TGID_X_EN: 1
; COMPUTE_PGM_RSRC2:TGID_Y_EN: 0
; COMPUTE_PGM_RSRC2:TGID_Z_EN: 0
; COMPUTE_PGM_RSRC2:TIDIG_COMP_CNT: 0
	.section	.text._ZN2at6native29vectorized_elementwise_kernelILi8ENS0_13BinaryFunctorIjjbNS0_12_GLOBAL__N_116CompareEqFunctorIjEEEESt5arrayIPcLm3EEEEviT0_T1_,"axG",@progbits,_ZN2at6native29vectorized_elementwise_kernelILi8ENS0_13BinaryFunctorIjjbNS0_12_GLOBAL__N_116CompareEqFunctorIjEEEESt5arrayIPcLm3EEEEviT0_T1_,comdat
	.globl	_ZN2at6native29vectorized_elementwise_kernelILi8ENS0_13BinaryFunctorIjjbNS0_12_GLOBAL__N_116CompareEqFunctorIjEEEESt5arrayIPcLm3EEEEviT0_T1_ ; -- Begin function _ZN2at6native29vectorized_elementwise_kernelILi8ENS0_13BinaryFunctorIjjbNS0_12_GLOBAL__N_116CompareEqFunctorIjEEEESt5arrayIPcLm3EEEEviT0_T1_
	.p2align	8
	.type	_ZN2at6native29vectorized_elementwise_kernelILi8ENS0_13BinaryFunctorIjjbNS0_12_GLOBAL__N_116CompareEqFunctorIjEEEESt5arrayIPcLm3EEEEviT0_T1_,@function
_ZN2at6native29vectorized_elementwise_kernelILi8ENS0_13BinaryFunctorIjjbNS0_12_GLOBAL__N_116CompareEqFunctorIjEEEESt5arrayIPcLm3EEEEviT0_T1_: ; @_ZN2at6native29vectorized_elementwise_kernelILi8ENS0_13BinaryFunctorIjjbNS0_12_GLOBAL__N_116CompareEqFunctorIjEEEESt5arrayIPcLm3EEEEviT0_T1_
; %bb.0:
	s_clause 0x2
	s_load_b64 s[14:15], s[0:1], 0x0
	s_load_b128 s[16:19], s[0:1], 0x8
	s_load_b64 s[22:23], s[0:1], 0x18
	s_wait_xcnt 0x0
	s_bfe_u32 s0, ttmp6, 0x4000c
	s_and_b32 s1, ttmp6, 15
	s_add_co_i32 s0, s0, 1
	s_getreg_b32 s2, hwreg(HW_REG_IB_STS2, 6, 4)
	s_mul_i32 s0, ttmp9, s0
	s_delay_alu instid0(SALU_CYCLE_1) | instskip(SKIP_2) | instid1(SALU_CYCLE_1)
	s_add_co_i32 s1, s1, s0
	s_cmp_eq_u32 s2, 0
	s_cselect_b32 s0, ttmp9, s1
	s_lshl_b32 s20, s0, 12
	s_mov_b32 s0, -1
	s_wait_kmcnt 0x0
	s_sub_co_i32 s24, s14, s20
	s_delay_alu instid0(SALU_CYCLE_1)
	s_cmp_gt_i32 s24, 0xfff
	s_cbranch_scc0 .LBB342_2
; %bb.1:
	s_ashr_i32 s21, s20, 31
	v_lshlrev_b32_e32 v1, 5, v0
	s_lshl_b64 s[0:1], s[20:21], 2
	s_cmp_eq_u32 s15, 0
	s_add_nc_u64 s[2:3], s[22:23], s[0:1]
	s_add_nc_u64 s[0:1], s[18:19], s[0:1]
	s_clause 0x7
	global_load_b128 v[2:5], v1, s[2:3]
	global_load_b128 v[6:9], v1, s[0:1]
	global_load_b128 v[10:13], v1, s[0:1] offset:16
	global_load_b128 v[14:17], v1, s[2:3] offset:16
	;; [unrolled: 1-line block ×6, first 2 shown]
	s_cselect_b32 s25, -1, 0
	s_wait_xcnt 0x0
	v_or3_b32 v1, 0, 0, 0
	s_wait_loadcnt 0x6
	v_cmp_ne_u32_e64 s0, v7, v3
	v_cmp_ne_u32_e64 s1, v8, v4
	;; [unrolled: 1-line block ×3, first 2 shown]
	s_wait_loadcnt 0x4
	v_cmp_ne_u32_e64 s3, v10, v14
	v_cmp_ne_u32_e64 s4, v11, v15
	s_xor_b32 s0, s25, s0
	v_cmp_ne_u32_e64 s5, v12, v16
	v_cndmask_b32_e64 v3, 0, 0x100, s0
	s_xor_b32 s0, s25, s1
	v_cmp_ne_u32_e64 s6, v13, v17
	v_cndmask_b32_e64 v4, 0, 0x10000, s0
	s_xor_b32 s0, s25, s2
	v_cmp_ne_u32_e32 vcc_lo, v6, v2
	v_cndmask_b32_e64 v5, 0, 0x1000000, s0
	s_xor_b32 s0, s25, s3
	s_wait_loadcnt 0x2
	v_cmp_ne_u32_e64 s7, v22, v18
	v_cndmask_b32_e64 v6, 0, 1, s0
	s_xor_b32 s0, s25, s4
	v_cmp_ne_u32_e64 s8, v23, v19
	v_cndmask_b32_e64 v7, 0, 0x100, s0
	s_xor_b32 s0, s25, s5
	;; [unrolled: 3-line block ×3, first 2 shown]
	s_xor_b32 s26, s25, vcc_lo
	v_cndmask_b32_e64 v9, 0, 0x1000000, s0
	s_xor_b32 s0, s25, s7
	v_cmp_ne_u32_e64 s10, v25, v21
	v_cndmask_b32_e64 v10, 0, 1, s0
	s_xor_b32 s0, s25, s8
	v_cndmask_b32_e64 v2, 0, 1, s26
	v_cndmask_b32_e64 v11, 0, 0x100, s0
	s_wait_loadcnt 0x0
	v_cmp_ne_u32_e64 s11, v26, v30
	s_xor_b32 s0, s25, s9
	v_cmp_ne_u32_e64 s12, v27, v31
	v_cndmask_b32_e64 v12, 0, 0x10000, s0
	s_xor_b32 s0, s25, s10
	v_or_b32_e32 v2, v3, v2
	v_cndmask_b32_e64 v13, 0, 0x1000000, s0
	v_or_b32_e32 v3, v11, v10
	v_cmp_ne_u32_e64 s13, v28, v32
	s_xor_b32 s0, s25, s11
	v_cmp_ne_u32_e64 s14, v29, v33
	v_cndmask_b32_e64 v14, 0, 1, s0
	s_xor_b32 s0, s25, s12
	v_or3_b32 v2, v2, v4, v5
	v_cndmask_b32_e64 v10, 0, 0x100, s0
	v_or3_b32 v3, v3, v12, v13
	s_xor_b32 s0, s25, s13
	v_or3_b32 v5, v1, v6, v7
	v_cndmask_b32_e64 v11, 0, 0x10000, s0
	s_xor_b32 s0, s25, s14
	v_or3_b32 v2, v2, 0, 0
	v_cndmask_b32_e64 v4, 0, 0x1000000, s0
	v_or3_b32 v1, v1, v14, v10
	v_or3_b32 v6, v3, 0, 0
	;; [unrolled: 1-line block ×4, first 2 shown]
	s_add_nc_u64 s[2:3], s[16:17], s[20:21]
	v_or3_b32 v5, v1, v11, v4
	v_or3_b32 v4, v6, 0, 0
	s_mov_b32 s0, 0
	s_clause 0x1
	global_store_b64 v0, v[2:3], s[2:3] scale_offset
	global_store_b64 v0, v[4:5], s[2:3] offset:2048 scale_offset
.LBB342_2:
	s_and_not1_b32 vcc_lo, exec_lo, s0
	s_cbranch_vccnz .LBB342_54
; %bb.3:
	v_cmp_le_i32_e64 s0, s24, v0
	v_or_b32_e32 v1, 0x100, v0
	v_cmp_gt_i32_e32 vcc_lo, s24, v0
	s_wait_xcnt 0x0
	s_and_saveexec_b32 s1, s0
	s_delay_alu instid0(SALU_CYCLE_1)
	s_xor_b32 s0, exec_lo, s1
; %bb.4:
	v_or_b32_e32 v1, 0x100, v0
; %bb.5:
	s_or_saveexec_b32 s1, s0
	v_dual_mov_b32 v36, 0 :: v_dual_bitop2_b32 v8, s20, v0 bitop3:0x54
	v_dual_mov_b32 v35, 0 :: v_dual_mov_b32 v34, 0
	v_dual_mov_b32 v33, 0 :: v_dual_mov_b32 v32, 0
	;; [unrolled: 1-line block ×14, first 2 shown]
	v_mov_b32_e32 v31, 0
	s_mov_b32 s0, 0
	s_xor_b32 exec_lo, exec_lo, s1
	s_cbranch_execz .LBB342_37
; %bb.6:
	s_clause 0x1
	global_load_b32 v30, v8, s[18:19] scale_offset
	global_load_b32 v31, v8, s[22:23] scale_offset
	v_cmp_gt_u32_e64 s0, s24, v1
	v_dual_mov_b32 v26, 0 :: v_dual_mov_b32 v27, 0
	v_dual_mov_b32 v3, 0 :: v_dual_mov_b32 v25, 0
	v_dual_mov_b32 v4, 0 :: v_dual_mov_b32 v21, 0
	v_dual_mov_b32 v13, 0 :: v_dual_mov_b32 v18, 0
	v_dual_mov_b32 v11, 0 :: v_dual_mov_b32 v16, 0
	v_dual_mov_b32 v9, 0 :: v_dual_mov_b32 v14, 0
	v_dual_mov_b32 v10, 0 :: v_dual_mov_b32 v17, 0
	v_dual_mov_b32 v12, 0 :: v_dual_mov_b32 v19, 0
	v_dual_mov_b32 v15, 0 :: v_dual_mov_b32 v22, 0
	v_dual_mov_b32 v20, 0 :: v_dual_mov_b32 v24, 0
	v_dual_mov_b32 v23, 0 :: v_dual_mov_b32 v29, 0
	v_dual_mov_b32 v28, 0 :: v_dual_mov_b32 v32, 0
	v_dual_mov_b32 v33, 0 :: v_dual_mov_b32 v34, 0
	v_dual_mov_b32 v35, 0 :: v_dual_mov_b32 v36, 0
	s_mov_b32 s3, 0
	s_wait_xcnt 0x0
	s_and_saveexec_b32 s2, s0
	s_cbranch_execz .LBB342_36
; %bb.7:
	v_dual_mov_b32 v3, 0 :: v_dual_add_nc_u32 v2, s20, v0
	v_or_b32_e32 v4, 0x200, v0
	v_dual_mov_b32 v25, 0 :: v_dual_mov_b32 v21, 0
	v_mov_b32_e32 v13, 0
	s_clause 0x1
	global_load_b32 v27, v2, s[18:19] offset:1024 scale_offset
	global_load_b32 v26, v2, s[22:23] offset:1024 scale_offset
	v_cmp_gt_u32_e64 s0, s24, v4
	v_dual_mov_b32 v4, 0 :: v_dual_mov_b32 v18, 0
	v_dual_mov_b32 v11, 0 :: v_dual_mov_b32 v16, 0
	v_dual_mov_b32 v9, 0 :: v_dual_mov_b32 v14, 0
	v_dual_mov_b32 v10, 0 :: v_dual_mov_b32 v17, 0
	v_dual_mov_b32 v12, 0 :: v_dual_mov_b32 v19, 0
	v_dual_mov_b32 v15, 0 :: v_dual_mov_b32 v22, 0
	v_dual_mov_b32 v20, 0 :: v_dual_mov_b32 v24, 0
	v_dual_mov_b32 v23, 0 :: v_dual_mov_b32 v29, 0
	v_dual_mov_b32 v28, 0 :: v_dual_mov_b32 v32, 0
	v_dual_mov_b32 v33, 0 :: v_dual_mov_b32 v34, 0
	v_dual_mov_b32 v35, 0 :: v_dual_mov_b32 v36, 0
	s_mov_b32 s4, 0
	s_wait_xcnt 0x0
	s_and_saveexec_b32 s3, s0
	s_cbranch_execz .LBB342_35
; %bb.8:
	v_lshlrev_b64_e32 v[6:7], 2, v[2:3]
	v_or_b32_e32 v9, 0x300, v0
	v_dual_mov_b32 v21, 0 :: v_dual_mov_b32 v13, 0
	v_dual_mov_b32 v18, 0 :: v_dual_mov_b32 v11, 0
	s_delay_alu instid0(VALU_DEP_3)
	v_cmp_gt_u32_e64 s0, s24, v9
	v_add_nc_u64_e32 v[4:5], s[18:19], v[6:7]
	v_add_nc_u64_e32 v[6:7], s[22:23], v[6:7]
	v_dual_mov_b32 v16, 0 :: v_dual_mov_b32 v9, 0
	v_dual_mov_b32 v14, 0 :: v_dual_mov_b32 v10, 0
	;; [unrolled: 1-line block ×3, first 2 shown]
	global_load_b32 v25, v[4:5], off offset:2048
	global_load_b32 v2, v[6:7], off offset:2048
	v_dual_mov_b32 v19, 0 :: v_dual_mov_b32 v15, 0
	v_dual_mov_b32 v22, 0 :: v_dual_mov_b32 v20, 0
	;; [unrolled: 1-line block ×6, first 2 shown]
	v_mov_b32_e32 v36, 0
	s_mov_b32 s5, 0
	s_wait_xcnt 0x0
	s_and_saveexec_b32 s4, s0
	s_cbranch_execz .LBB342_34
; %bb.9:
	global_load_b32 v21, v[4:5], off offset:3072
	global_load_b32 v3, v[6:7], off offset:3072
	v_or_b32_e32 v9, 0x400, v0
	v_dual_mov_b32 v13, 0 :: v_dual_mov_b32 v18, 0
	v_dual_mov_b32 v11, 0 :: v_dual_mov_b32 v16, 0
	s_delay_alu instid0(VALU_DEP_3)
	v_cmp_gt_u32_e64 s0, s24, v9
	v_dual_mov_b32 v9, 0 :: v_dual_mov_b32 v14, 0
	v_dual_mov_b32 v10, 0 :: v_dual_mov_b32 v17, 0
	;; [unrolled: 1-line block ×9, first 2 shown]
	s_mov_b32 s6, 0
	s_wait_xcnt 0x0
	s_and_saveexec_b32 s5, s0
	s_cbranch_execz .LBB342_33
; %bb.10:
	global_load_b32 v18, v[4:5], off offset:4096
	global_load_b32 v13, v[6:7], off offset:4096
	v_or_b32_e32 v9, 0x500, v0
	v_dual_mov_b32 v11, 0 :: v_dual_mov_b32 v16, 0
	v_dual_mov_b32 v10, 0 :: v_dual_mov_b32 v17, 0
	s_delay_alu instid0(VALU_DEP_3)
	v_cmp_gt_u32_e64 s0, s24, v9
	v_dual_mov_b32 v9, 0 :: v_dual_mov_b32 v14, 0
	v_dual_mov_b32 v12, 0 :: v_dual_mov_b32 v19, 0
	v_dual_mov_b32 v15, 0 :: v_dual_mov_b32 v22, 0
	v_dual_mov_b32 v20, 0 :: v_dual_mov_b32 v24, 0
	v_dual_mov_b32 v23, 0 :: v_dual_mov_b32 v29, 0
	v_dual_mov_b32 v28, 0 :: v_dual_mov_b32 v32, 0
	v_dual_mov_b32 v33, 0 :: v_dual_mov_b32 v34, 0
	v_dual_mov_b32 v35, 0 :: v_dual_mov_b32 v36, 0
	s_mov_b32 s7, 0
	s_wait_xcnt 0x0
	s_and_saveexec_b32 s6, s0
	s_cbranch_execz .LBB342_32
; %bb.11:
	global_load_b32 v16, v[4:5], off offset:5120
	global_load_b32 v11, v[6:7], off offset:5120
	v_or_b32_e32 v9, 0x600, v0
	v_dual_mov_b32 v10, 0 :: v_dual_mov_b32 v17, 0
	v_dual_mov_b32 v12, 0 :: v_dual_mov_b32 v19, 0
	s_delay_alu instid0(VALU_DEP_3)
	v_cmp_gt_u32_e64 s0, s24, v9
	v_dual_mov_b32 v9, 0 :: v_dual_mov_b32 v14, 0
	v_dual_mov_b32 v15, 0 :: v_dual_mov_b32 v22, 0
	v_dual_mov_b32 v20, 0 :: v_dual_mov_b32 v24, 0
	v_dual_mov_b32 v23, 0 :: v_dual_mov_b32 v29, 0
	v_dual_mov_b32 v28, 0 :: v_dual_mov_b32 v32, 0
	v_dual_mov_b32 v33, 0 :: v_dual_mov_b32 v34, 0
	v_dual_mov_b32 v35, 0 :: v_dual_mov_b32 v36, 0
	s_mov_b32 s8, 0
	s_wait_xcnt 0x0
	s_and_saveexec_b32 s7, s0
	s_cbranch_execz .LBB342_31
; %bb.12:
	global_load_b32 v14, v[4:5], off offset:6144
	global_load_b32 v9, v[6:7], off offset:6144
	v_or_b32_e32 v10, 0x700, v0
	v_dual_mov_b32 v12, 0 :: v_dual_mov_b32 v19, 0
	v_dual_mov_b32 v15, 0 :: v_dual_mov_b32 v22, 0
	s_delay_alu instid0(VALU_DEP_3)
	v_cmp_gt_u32_e64 s0, s24, v10
	v_dual_mov_b32 v10, 0 :: v_dual_mov_b32 v17, 0
	v_dual_mov_b32 v20, 0 :: v_dual_mov_b32 v24, 0
	;; [unrolled: 1-line block ×6, first 2 shown]
	s_mov_b32 s9, 0
	s_wait_xcnt 0x0
	s_and_saveexec_b32 s8, s0
	s_cbranch_execz .LBB342_30
; %bb.13:
	global_load_b32 v17, v[4:5], off offset:7168
	global_load_b32 v10, v[6:7], off offset:7168
	v_or_b32_e32 v12, 0x800, v0
	v_dual_mov_b32 v15, 0 :: v_dual_mov_b32 v22, 0
	v_dual_mov_b32 v20, 0 :: v_dual_mov_b32 v24, 0
	s_delay_alu instid0(VALU_DEP_3)
	v_cmp_gt_u32_e64 s0, s24, v12
	v_dual_mov_b32 v12, 0 :: v_dual_mov_b32 v19, 0
	v_dual_mov_b32 v23, 0 :: v_dual_mov_b32 v29, 0
	;; [unrolled: 1-line block ×5, first 2 shown]
	s_mov_b32 s10, 0
	s_wait_xcnt 0x0
	s_and_saveexec_b32 s9, s0
	s_cbranch_execz .LBB342_29
; %bb.14:
	global_load_b32 v19, v[4:5], off offset:8192
	global_load_b32 v12, v[6:7], off offset:8192
	v_or_b32_e32 v15, 0x900, v0
	v_dual_mov_b32 v20, 0 :: v_dual_mov_b32 v24, 0
	v_dual_mov_b32 v23, 0 :: v_dual_mov_b32 v29, 0
	s_delay_alu instid0(VALU_DEP_3)
	v_cmp_gt_u32_e64 s0, s24, v15
	v_dual_mov_b32 v15, 0 :: v_dual_mov_b32 v22, 0
	v_dual_mov_b32 v28, 0 :: v_dual_mov_b32 v32, 0
	;; [unrolled: 1-line block ×4, first 2 shown]
	s_mov_b32 s11, 0
	s_wait_xcnt 0x0
	s_and_saveexec_b32 s10, s0
	s_cbranch_execz .LBB342_28
; %bb.15:
	global_load_b32 v22, v[4:5], off offset:9216
	global_load_b32 v15, v[6:7], off offset:9216
	v_or_b32_e32 v20, 0xa00, v0
	v_dual_mov_b32 v23, 0 :: v_dual_mov_b32 v29, 0
	v_dual_mov_b32 v28, 0 :: v_dual_mov_b32 v32, 0
	s_delay_alu instid0(VALU_DEP_3)
	v_cmp_gt_u32_e64 s0, s24, v20
	v_dual_mov_b32 v20, 0 :: v_dual_mov_b32 v24, 0
	v_dual_mov_b32 v33, 0 :: v_dual_mov_b32 v34, 0
	;; [unrolled: 1-line block ×3, first 2 shown]
	s_mov_b32 s12, 0
	s_wait_xcnt 0x0
	s_and_saveexec_b32 s11, s0
	s_cbranch_execz .LBB342_27
; %bb.16:
	global_load_b32 v24, v[4:5], off offset:10240
	global_load_b32 v20, v[6:7], off offset:10240
	v_or_b32_e32 v23, 0xb00, v0
	v_dual_mov_b32 v28, 0 :: v_dual_mov_b32 v32, 0
	v_dual_mov_b32 v33, 0 :: v_dual_mov_b32 v34, 0
	s_delay_alu instid0(VALU_DEP_3)
	v_cmp_gt_u32_e64 s0, s24, v23
	v_dual_mov_b32 v23, 0 :: v_dual_mov_b32 v29, 0
	v_dual_mov_b32 v35, 0 :: v_dual_mov_b32 v36, 0
	s_mov_b32 s13, 0
	s_wait_xcnt 0x0
	s_and_saveexec_b32 s12, s0
	s_cbranch_execz .LBB342_26
; %bb.17:
	global_load_b32 v29, v[4:5], off offset:11264
	global_load_b32 v23, v[6:7], off offset:11264
	v_or_b32_e32 v28, 0xc00, v0
	v_dual_mov_b32 v33, 0 :: v_dual_mov_b32 v34, 0
	v_dual_mov_b32 v35, 0 :: v_dual_mov_b32 v36, 0
	s_delay_alu instid0(VALU_DEP_3)
	v_cmp_gt_u32_e64 s0, s24, v28
	v_dual_mov_b32 v28, 0 :: v_dual_mov_b32 v32, 0
	s_mov_b32 s14, 0
	s_wait_xcnt 0x0
	s_and_saveexec_b32 s13, s0
	s_cbranch_execz .LBB342_25
; %bb.18:
	global_load_b32 v32, v[4:5], off offset:12288
	global_load_b32 v28, v[6:7], off offset:12288
	v_or_b32_e32 v33, 0xd00, v0
	v_dual_mov_b32 v35, 0 :: v_dual_mov_b32 v36, 0
	s_mov_b32 s18, 0
	v_mov_b32_e32 v34, 0
	s_delay_alu instid0(VALU_DEP_3)
	v_cmp_gt_u32_e64 s0, s24, v33
	v_mov_b32_e32 v33, 0
	s_wait_xcnt 0x0
	s_and_saveexec_b32 s14, s0
	s_cbranch_execz .LBB342_24
; %bb.19:
	global_load_b32 v34, v[4:5], off offset:13312
	global_load_b32 v33, v[6:7], off offset:13312
	v_or_b32_e32 v35, 0xe00, v0
	s_mov_b32 s19, 0
	v_mov_b32_e32 v36, 0
	s_delay_alu instid0(VALU_DEP_2)
	v_cmp_gt_u32_e64 s0, s24, v35
	v_mov_b32_e32 v35, 0
	s_wait_xcnt 0x0
	s_and_saveexec_b32 s18, s0
	s_cbranch_execz .LBB342_23
; %bb.20:
	global_load_b32 v36, v[4:5], off offset:14336
	global_load_b32 v35, v[6:7], off offset:14336
	v_or_b32_e32 v37, 0xf00, v0
	s_mov_b32 s21, 0
	s_mov_b32 s19, exec_lo
	s_wait_xcnt 0x0
	s_delay_alu instid0(VALU_DEP_1)
	v_cmpx_gt_u32_e64 s24, v37
	s_cbranch_execz .LBB342_22
; %bb.21:
	global_load_b32 v37, v[4:5], off offset:15360
	global_load_b32 v38, v[6:7], off offset:15360
	s_wait_loadcnt 0x0
	v_cmp_ne_u32_e64 s0, v37, v38
	s_and_b32 s21, s0, exec_lo
.LBB342_22:
	s_wait_xcnt 0x0
	s_or_b32 exec_lo, exec_lo, s19
	s_delay_alu instid0(SALU_CYCLE_1)
	s_and_b32 s19, s21, exec_lo
.LBB342_23:
	s_or_b32 exec_lo, exec_lo, s18
	s_delay_alu instid0(SALU_CYCLE_1)
	s_and_b32 s18, s19, exec_lo
.LBB342_24:
	s_or_b32 exec_lo, exec_lo, s14
	s_delay_alu instid0(SALU_CYCLE_1)
	s_and_b32 s14, s18, exec_lo
.LBB342_25:
	s_or_b32 exec_lo, exec_lo, s13
	s_delay_alu instid0(SALU_CYCLE_1)
	s_and_b32 s13, s14, exec_lo
.LBB342_26:
	s_or_b32 exec_lo, exec_lo, s12
	s_delay_alu instid0(SALU_CYCLE_1)
	s_and_b32 s12, s13, exec_lo
.LBB342_27:
	s_or_b32 exec_lo, exec_lo, s11
	s_delay_alu instid0(SALU_CYCLE_1)
	s_and_b32 s11, s12, exec_lo
.LBB342_28:
	s_or_b32 exec_lo, exec_lo, s10
	s_delay_alu instid0(SALU_CYCLE_1)
	s_and_b32 s10, s11, exec_lo
.LBB342_29:
	s_or_b32 exec_lo, exec_lo, s9
	s_delay_alu instid0(SALU_CYCLE_1)
	s_and_b32 s9, s10, exec_lo
.LBB342_30:
	s_or_b32 exec_lo, exec_lo, s8
	s_delay_alu instid0(SALU_CYCLE_1)
	s_and_b32 s8, s9, exec_lo
.LBB342_31:
	s_or_b32 exec_lo, exec_lo, s7
	s_delay_alu instid0(SALU_CYCLE_1)
	s_and_b32 s7, s8, exec_lo
.LBB342_32:
	s_or_b32 exec_lo, exec_lo, s6
	s_delay_alu instid0(SALU_CYCLE_1)
	s_and_b32 s6, s7, exec_lo
.LBB342_33:
	s_or_b32 exec_lo, exec_lo, s5
	s_delay_alu instid0(SALU_CYCLE_1)
	s_and_b32 s5, s6, exec_lo
.LBB342_34:
	s_or_b32 exec_lo, exec_lo, s4
	s_wait_loadcnt 0x0
	v_dual_mov_b32 v4, v3 :: v_dual_mov_b32 v3, v2
	s_and_b32 s4, s5, exec_lo
.LBB342_35:
	s_or_b32 exec_lo, exec_lo, s3
	s_delay_alu instid0(SALU_CYCLE_1)
	s_and_b32 s3, s4, exec_lo
.LBB342_36:
	s_or_b32 exec_lo, exec_lo, s2
	s_delay_alu instid0(SALU_CYCLE_1)
	s_and_b32 s0, s3, exec_lo
.LBB342_37:
	s_or_b32 exec_lo, exec_lo, s1
	s_cmp_eq_u32 s15, 0
	s_cselect_b32 s1, -1, 0
	s_and_saveexec_b32 s2, vcc_lo
	s_cbranch_execnz .LBB342_55
; %bb.38:
	s_or_b32 exec_lo, exec_lo, s2
	s_delay_alu instid0(SALU_CYCLE_1)
	s_mov_b32 s2, exec_lo
	v_cmpx_gt_i32_e64 s24, v0
	s_cbranch_execnz .LBB342_56
.LBB342_39:
	s_or_b32 exec_lo, exec_lo, s2
	s_delay_alu instid0(SALU_CYCLE_1)
	s_mov_b32 s2, exec_lo
	v_cmpx_gt_i32_e64 s24, v0
	s_cbranch_execnz .LBB342_57
.LBB342_40:
	s_or_b32 exec_lo, exec_lo, s2
	s_delay_alu instid0(SALU_CYCLE_1)
	s_mov_b32 s2, exec_lo
	v_cmpx_gt_i32_e64 s24, v0
	s_cbranch_execnz .LBB342_58
.LBB342_41:
	s_or_b32 exec_lo, exec_lo, s2
	s_delay_alu instid0(SALU_CYCLE_1)
	s_mov_b32 s2, exec_lo
	v_cmpx_gt_i32_e64 s24, v0
	s_cbranch_execnz .LBB342_59
.LBB342_42:
	s_or_b32 exec_lo, exec_lo, s2
	s_delay_alu instid0(SALU_CYCLE_1)
	s_mov_b32 s2, exec_lo
	v_cmpx_gt_i32_e64 s24, v0
	s_cbranch_execnz .LBB342_60
.LBB342_43:
	s_or_b32 exec_lo, exec_lo, s2
	s_delay_alu instid0(SALU_CYCLE_1)
	s_mov_b32 s2, exec_lo
	v_cmpx_gt_i32_e64 s24, v0
	s_cbranch_execnz .LBB342_61
.LBB342_44:
	s_or_b32 exec_lo, exec_lo, s2
	s_delay_alu instid0(SALU_CYCLE_1)
	s_mov_b32 s2, exec_lo
	v_cmpx_gt_i32_e64 s24, v0
	s_cbranch_execnz .LBB342_62
.LBB342_45:
	s_or_b32 exec_lo, exec_lo, s2
	s_delay_alu instid0(SALU_CYCLE_1)
	s_mov_b32 s2, exec_lo
	v_cmpx_gt_i32_e64 s24, v0
	s_cbranch_execnz .LBB342_63
.LBB342_46:
	s_or_b32 exec_lo, exec_lo, s2
	s_delay_alu instid0(SALU_CYCLE_1)
	s_mov_b32 s2, exec_lo
	v_cmpx_gt_i32_e64 s24, v0
	s_cbranch_execnz .LBB342_64
.LBB342_47:
	s_or_b32 exec_lo, exec_lo, s2
	s_delay_alu instid0(SALU_CYCLE_1)
	s_mov_b32 s2, exec_lo
	v_cmpx_gt_i32_e64 s24, v0
	s_cbranch_execnz .LBB342_65
.LBB342_48:
	s_or_b32 exec_lo, exec_lo, s2
	s_delay_alu instid0(SALU_CYCLE_1)
	s_mov_b32 s2, exec_lo
	v_cmpx_gt_i32_e64 s24, v0
	s_cbranch_execnz .LBB342_66
.LBB342_49:
	s_or_b32 exec_lo, exec_lo, s2
	s_delay_alu instid0(SALU_CYCLE_1)
	s_mov_b32 s2, exec_lo
	v_cmpx_gt_i32_e64 s24, v0
	s_cbranch_execnz .LBB342_67
.LBB342_50:
	s_or_b32 exec_lo, exec_lo, s2
	s_delay_alu instid0(SALU_CYCLE_1)
	s_mov_b32 s2, exec_lo
	v_cmpx_gt_i32_e64 s24, v0
	s_cbranch_execnz .LBB342_68
.LBB342_51:
	s_or_b32 exec_lo, exec_lo, s2
	s_delay_alu instid0(SALU_CYCLE_1)
	s_mov_b32 s2, exec_lo
	v_cmpx_gt_i32_e64 s24, v0
	s_cbranch_execnz .LBB342_69
.LBB342_52:
	s_or_b32 exec_lo, exec_lo, s2
	s_delay_alu instid0(SALU_CYCLE_1)
	s_mov_b32 s2, exec_lo
	v_cmpx_gt_i32_e64 s24, v0
	s_cbranch_execz .LBB342_54
.LBB342_53:
	s_xor_b32 s0, s1, s0
	v_add_nc_u32_e32 v0, s20, v0
	v_cndmask_b32_e64 v1, 0, 1, s0
	global_store_b8 v0, v1, s[16:17]
.LBB342_54:
	s_endpgm
.LBB342_55:
	s_wait_loadcnt 0x0
	v_cmp_ne_u32_e32 vcc_lo, v30, v31
	v_mov_b32_e32 v0, v1
	s_xor_b32 s3, s1, vcc_lo
	s_delay_alu instid0(SALU_CYCLE_1) | instskip(SKIP_3) | instid1(SALU_CYCLE_1)
	v_cndmask_b32_e64 v2, 0, 1, s3
	global_store_b8 v8, v2, s[16:17]
	s_wait_xcnt 0x0
	s_or_b32 exec_lo, exec_lo, s2
	s_mov_b32 s2, exec_lo
	v_cmpx_gt_i32_e64 s24, v0
	s_cbranch_execz .LBB342_39
.LBB342_56:
	s_wait_loadcnt 0x0
	v_cmp_ne_u32_e32 vcc_lo, v27, v26
	v_add_nc_u32_e32 v2, s20, v0
	v_add_nc_u32_e32 v0, 0x100, v0
	s_xor_b32 s3, s1, vcc_lo
	s_delay_alu instid0(SALU_CYCLE_1) | instskip(SKIP_3) | instid1(SALU_CYCLE_1)
	v_cndmask_b32_e64 v1, 0, 1, s3
	global_store_b8 v2, v1, s[16:17]
	s_wait_xcnt 0x0
	s_or_b32 exec_lo, exec_lo, s2
	s_mov_b32 s2, exec_lo
	v_cmpx_gt_i32_e64 s24, v0
	s_cbranch_execz .LBB342_40
.LBB342_57:
	v_cmp_ne_u32_e32 vcc_lo, v25, v3
	v_add_nc_u32_e32 v2, s20, v0
	v_add_nc_u32_e32 v0, 0x100, v0
	s_xor_b32 s3, s1, vcc_lo
	s_delay_alu instid0(SALU_CYCLE_1) | instskip(SKIP_3) | instid1(SALU_CYCLE_1)
	v_cndmask_b32_e64 v1, 0, 1, s3
	global_store_b8 v2, v1, s[16:17]
	s_wait_xcnt 0x0
	s_or_b32 exec_lo, exec_lo, s2
	s_mov_b32 s2, exec_lo
	v_cmpx_gt_i32_e64 s24, v0
	s_cbranch_execz .LBB342_41
.LBB342_58:
	v_cmp_ne_u32_e32 vcc_lo, v21, v4
	v_add_nc_u32_e32 v2, s20, v0
	v_add_nc_u32_e32 v0, 0x100, v0
	s_xor_b32 s3, s1, vcc_lo
	s_delay_alu instid0(SALU_CYCLE_1) | instskip(SKIP_3) | instid1(SALU_CYCLE_1)
	v_cndmask_b32_e64 v1, 0, 1, s3
	global_store_b8 v2, v1, s[16:17]
	s_wait_xcnt 0x0
	s_or_b32 exec_lo, exec_lo, s2
	s_mov_b32 s2, exec_lo
	v_cmpx_gt_i32_e64 s24, v0
	s_cbranch_execz .LBB342_42
.LBB342_59:
	v_cmp_ne_u32_e32 vcc_lo, v18, v13
	v_add_nc_u32_e32 v2, s20, v0
	v_add_nc_u32_e32 v0, 0x100, v0
	s_xor_b32 s3, s1, vcc_lo
	s_delay_alu instid0(SALU_CYCLE_1) | instskip(SKIP_3) | instid1(SALU_CYCLE_1)
	v_cndmask_b32_e64 v1, 0, 1, s3
	global_store_b8 v2, v1, s[16:17]
	s_wait_xcnt 0x0
	s_or_b32 exec_lo, exec_lo, s2
	s_mov_b32 s2, exec_lo
	v_cmpx_gt_i32_e64 s24, v0
	s_cbranch_execz .LBB342_43
.LBB342_60:
	v_cmp_ne_u32_e32 vcc_lo, v16, v11
	v_add_nc_u32_e32 v2, s20, v0
	v_add_nc_u32_e32 v0, 0x100, v0
	s_xor_b32 s3, s1, vcc_lo
	s_delay_alu instid0(SALU_CYCLE_1) | instskip(SKIP_3) | instid1(SALU_CYCLE_1)
	v_cndmask_b32_e64 v1, 0, 1, s3
	global_store_b8 v2, v1, s[16:17]
	s_wait_xcnt 0x0
	s_or_b32 exec_lo, exec_lo, s2
	s_mov_b32 s2, exec_lo
	v_cmpx_gt_i32_e64 s24, v0
	s_cbranch_execz .LBB342_44
.LBB342_61:
	v_cmp_ne_u32_e32 vcc_lo, v14, v9
	v_add_nc_u32_e32 v2, s20, v0
	v_add_nc_u32_e32 v0, 0x100, v0
	s_xor_b32 s3, s1, vcc_lo
	s_delay_alu instid0(SALU_CYCLE_1) | instskip(SKIP_3) | instid1(SALU_CYCLE_1)
	v_cndmask_b32_e64 v1, 0, 1, s3
	global_store_b8 v2, v1, s[16:17]
	s_wait_xcnt 0x0
	s_or_b32 exec_lo, exec_lo, s2
	s_mov_b32 s2, exec_lo
	v_cmpx_gt_i32_e64 s24, v0
	s_cbranch_execz .LBB342_45
.LBB342_62:
	v_cmp_ne_u32_e32 vcc_lo, v17, v10
	v_add_nc_u32_e32 v2, s20, v0
	v_add_nc_u32_e32 v0, 0x100, v0
	s_xor_b32 s3, s1, vcc_lo
	s_delay_alu instid0(SALU_CYCLE_1) | instskip(SKIP_3) | instid1(SALU_CYCLE_1)
	v_cndmask_b32_e64 v1, 0, 1, s3
	global_store_b8 v2, v1, s[16:17]
	s_wait_xcnt 0x0
	s_or_b32 exec_lo, exec_lo, s2
	s_mov_b32 s2, exec_lo
	v_cmpx_gt_i32_e64 s24, v0
	s_cbranch_execz .LBB342_46
.LBB342_63:
	v_cmp_ne_u32_e32 vcc_lo, v19, v12
	v_add_nc_u32_e32 v2, s20, v0
	v_add_nc_u32_e32 v0, 0x100, v0
	s_xor_b32 s3, s1, vcc_lo
	s_delay_alu instid0(SALU_CYCLE_1) | instskip(SKIP_3) | instid1(SALU_CYCLE_1)
	v_cndmask_b32_e64 v1, 0, 1, s3
	global_store_b8 v2, v1, s[16:17]
	s_wait_xcnt 0x0
	s_or_b32 exec_lo, exec_lo, s2
	s_mov_b32 s2, exec_lo
	v_cmpx_gt_i32_e64 s24, v0
	s_cbranch_execz .LBB342_47
.LBB342_64:
	v_cmp_ne_u32_e32 vcc_lo, v22, v15
	v_add_nc_u32_e32 v2, s20, v0
	v_add_nc_u32_e32 v0, 0x100, v0
	s_xor_b32 s3, s1, vcc_lo
	s_delay_alu instid0(SALU_CYCLE_1) | instskip(SKIP_3) | instid1(SALU_CYCLE_1)
	v_cndmask_b32_e64 v1, 0, 1, s3
	global_store_b8 v2, v1, s[16:17]
	s_wait_xcnt 0x0
	s_or_b32 exec_lo, exec_lo, s2
	s_mov_b32 s2, exec_lo
	v_cmpx_gt_i32_e64 s24, v0
	s_cbranch_execz .LBB342_48
.LBB342_65:
	v_cmp_ne_u32_e32 vcc_lo, v24, v20
	v_add_nc_u32_e32 v2, s20, v0
	v_add_nc_u32_e32 v0, 0x100, v0
	s_xor_b32 s3, s1, vcc_lo
	s_delay_alu instid0(SALU_CYCLE_1) | instskip(SKIP_3) | instid1(SALU_CYCLE_1)
	v_cndmask_b32_e64 v1, 0, 1, s3
	global_store_b8 v2, v1, s[16:17]
	s_wait_xcnt 0x0
	s_or_b32 exec_lo, exec_lo, s2
	s_mov_b32 s2, exec_lo
	v_cmpx_gt_i32_e64 s24, v0
	s_cbranch_execz .LBB342_49
.LBB342_66:
	v_cmp_ne_u32_e32 vcc_lo, v29, v23
	v_add_nc_u32_e32 v2, s20, v0
	v_add_nc_u32_e32 v0, 0x100, v0
	s_xor_b32 s3, s1, vcc_lo
	s_delay_alu instid0(SALU_CYCLE_1) | instskip(SKIP_3) | instid1(SALU_CYCLE_1)
	v_cndmask_b32_e64 v1, 0, 1, s3
	global_store_b8 v2, v1, s[16:17]
	s_wait_xcnt 0x0
	s_or_b32 exec_lo, exec_lo, s2
	s_mov_b32 s2, exec_lo
	v_cmpx_gt_i32_e64 s24, v0
	s_cbranch_execz .LBB342_50
.LBB342_67:
	v_cmp_ne_u32_e32 vcc_lo, v32, v28
	v_add_nc_u32_e32 v2, s20, v0
	v_add_nc_u32_e32 v0, 0x100, v0
	s_xor_b32 s3, s1, vcc_lo
	s_delay_alu instid0(SALU_CYCLE_1) | instskip(SKIP_3) | instid1(SALU_CYCLE_1)
	v_cndmask_b32_e64 v1, 0, 1, s3
	global_store_b8 v2, v1, s[16:17]
	s_wait_xcnt 0x0
	s_or_b32 exec_lo, exec_lo, s2
	s_mov_b32 s2, exec_lo
	v_cmpx_gt_i32_e64 s24, v0
	s_cbranch_execz .LBB342_51
.LBB342_68:
	v_cmp_ne_u32_e32 vcc_lo, v34, v33
	v_add_nc_u32_e32 v2, s20, v0
	v_add_nc_u32_e32 v0, 0x100, v0
	s_xor_b32 s3, s1, vcc_lo
	s_delay_alu instid0(SALU_CYCLE_1) | instskip(SKIP_3) | instid1(SALU_CYCLE_1)
	v_cndmask_b32_e64 v1, 0, 1, s3
	global_store_b8 v2, v1, s[16:17]
	s_wait_xcnt 0x0
	s_or_b32 exec_lo, exec_lo, s2
	s_mov_b32 s2, exec_lo
	v_cmpx_gt_i32_e64 s24, v0
	s_cbranch_execz .LBB342_52
.LBB342_69:
	v_cmp_ne_u32_e32 vcc_lo, v36, v35
	v_add_nc_u32_e32 v2, s20, v0
	v_add_nc_u32_e32 v0, 0x100, v0
	s_xor_b32 s3, s1, vcc_lo
	s_delay_alu instid0(SALU_CYCLE_1) | instskip(SKIP_3) | instid1(SALU_CYCLE_1)
	v_cndmask_b32_e64 v1, 0, 1, s3
	global_store_b8 v2, v1, s[16:17]
	s_wait_xcnt 0x0
	s_or_b32 exec_lo, exec_lo, s2
	s_mov_b32 s2, exec_lo
	v_cmpx_gt_i32_e64 s24, v0
	s_cbranch_execnz .LBB342_53
	s_branch .LBB342_54
	.section	.rodata,"a",@progbits
	.p2align	6, 0x0
	.amdhsa_kernel _ZN2at6native29vectorized_elementwise_kernelILi8ENS0_13BinaryFunctorIjjbNS0_12_GLOBAL__N_116CompareEqFunctorIjEEEESt5arrayIPcLm3EEEEviT0_T1_
		.amdhsa_group_segment_fixed_size 0
		.amdhsa_private_segment_fixed_size 0
		.amdhsa_kernarg_size 32
		.amdhsa_user_sgpr_count 2
		.amdhsa_user_sgpr_dispatch_ptr 0
		.amdhsa_user_sgpr_queue_ptr 0
		.amdhsa_user_sgpr_kernarg_segment_ptr 1
		.amdhsa_user_sgpr_dispatch_id 0
		.amdhsa_user_sgpr_kernarg_preload_length 0
		.amdhsa_user_sgpr_kernarg_preload_offset 0
		.amdhsa_user_sgpr_private_segment_size 0
		.amdhsa_wavefront_size32 1
		.amdhsa_uses_dynamic_stack 0
		.amdhsa_enable_private_segment 0
		.amdhsa_system_sgpr_workgroup_id_x 1
		.amdhsa_system_sgpr_workgroup_id_y 0
		.amdhsa_system_sgpr_workgroup_id_z 0
		.amdhsa_system_sgpr_workgroup_info 0
		.amdhsa_system_vgpr_workitem_id 0
		.amdhsa_next_free_vgpr 39
		.amdhsa_next_free_sgpr 27
		.amdhsa_named_barrier_count 0
		.amdhsa_reserve_vcc 1
		.amdhsa_float_round_mode_32 0
		.amdhsa_float_round_mode_16_64 0
		.amdhsa_float_denorm_mode_32 3
		.amdhsa_float_denorm_mode_16_64 3
		.amdhsa_fp16_overflow 0
		.amdhsa_memory_ordered 1
		.amdhsa_forward_progress 1
		.amdhsa_inst_pref_size 36
		.amdhsa_round_robin_scheduling 0
		.amdhsa_exception_fp_ieee_invalid_op 0
		.amdhsa_exception_fp_denorm_src 0
		.amdhsa_exception_fp_ieee_div_zero 0
		.amdhsa_exception_fp_ieee_overflow 0
		.amdhsa_exception_fp_ieee_underflow 0
		.amdhsa_exception_fp_ieee_inexact 0
		.amdhsa_exception_int_div_zero 0
	.end_amdhsa_kernel
	.section	.text._ZN2at6native29vectorized_elementwise_kernelILi8ENS0_13BinaryFunctorIjjbNS0_12_GLOBAL__N_116CompareEqFunctorIjEEEESt5arrayIPcLm3EEEEviT0_T1_,"axG",@progbits,_ZN2at6native29vectorized_elementwise_kernelILi8ENS0_13BinaryFunctorIjjbNS0_12_GLOBAL__N_116CompareEqFunctorIjEEEESt5arrayIPcLm3EEEEviT0_T1_,comdat
.Lfunc_end342:
	.size	_ZN2at6native29vectorized_elementwise_kernelILi8ENS0_13BinaryFunctorIjjbNS0_12_GLOBAL__N_116CompareEqFunctorIjEEEESt5arrayIPcLm3EEEEviT0_T1_, .Lfunc_end342-_ZN2at6native29vectorized_elementwise_kernelILi8ENS0_13BinaryFunctorIjjbNS0_12_GLOBAL__N_116CompareEqFunctorIjEEEESt5arrayIPcLm3EEEEviT0_T1_
                                        ; -- End function
	.set _ZN2at6native29vectorized_elementwise_kernelILi8ENS0_13BinaryFunctorIjjbNS0_12_GLOBAL__N_116CompareEqFunctorIjEEEESt5arrayIPcLm3EEEEviT0_T1_.num_vgpr, 39
	.set _ZN2at6native29vectorized_elementwise_kernelILi8ENS0_13BinaryFunctorIjjbNS0_12_GLOBAL__N_116CompareEqFunctorIjEEEESt5arrayIPcLm3EEEEviT0_T1_.num_agpr, 0
	.set _ZN2at6native29vectorized_elementwise_kernelILi8ENS0_13BinaryFunctorIjjbNS0_12_GLOBAL__N_116CompareEqFunctorIjEEEESt5arrayIPcLm3EEEEviT0_T1_.numbered_sgpr, 27
	.set _ZN2at6native29vectorized_elementwise_kernelILi8ENS0_13BinaryFunctorIjjbNS0_12_GLOBAL__N_116CompareEqFunctorIjEEEESt5arrayIPcLm3EEEEviT0_T1_.num_named_barrier, 0
	.set _ZN2at6native29vectorized_elementwise_kernelILi8ENS0_13BinaryFunctorIjjbNS0_12_GLOBAL__N_116CompareEqFunctorIjEEEESt5arrayIPcLm3EEEEviT0_T1_.private_seg_size, 0
	.set _ZN2at6native29vectorized_elementwise_kernelILi8ENS0_13BinaryFunctorIjjbNS0_12_GLOBAL__N_116CompareEqFunctorIjEEEESt5arrayIPcLm3EEEEviT0_T1_.uses_vcc, 1
	.set _ZN2at6native29vectorized_elementwise_kernelILi8ENS0_13BinaryFunctorIjjbNS0_12_GLOBAL__N_116CompareEqFunctorIjEEEESt5arrayIPcLm3EEEEviT0_T1_.uses_flat_scratch, 0
	.set _ZN2at6native29vectorized_elementwise_kernelILi8ENS0_13BinaryFunctorIjjbNS0_12_GLOBAL__N_116CompareEqFunctorIjEEEESt5arrayIPcLm3EEEEviT0_T1_.has_dyn_sized_stack, 0
	.set _ZN2at6native29vectorized_elementwise_kernelILi8ENS0_13BinaryFunctorIjjbNS0_12_GLOBAL__N_116CompareEqFunctorIjEEEESt5arrayIPcLm3EEEEviT0_T1_.has_recursion, 0
	.set _ZN2at6native29vectorized_elementwise_kernelILi8ENS0_13BinaryFunctorIjjbNS0_12_GLOBAL__N_116CompareEqFunctorIjEEEESt5arrayIPcLm3EEEEviT0_T1_.has_indirect_call, 0
	.section	.AMDGPU.csdata,"",@progbits
; Kernel info:
; codeLenInByte = 4528
; TotalNumSgprs: 29
; NumVgprs: 39
; ScratchSize: 0
; MemoryBound: 0
; FloatMode: 240
; IeeeMode: 1
; LDSByteSize: 0 bytes/workgroup (compile time only)
; SGPRBlocks: 0
; VGPRBlocks: 2
; NumSGPRsForWavesPerEU: 29
; NumVGPRsForWavesPerEU: 39
; NamedBarCnt: 0
; Occupancy: 16
; WaveLimiterHint : 1
; COMPUTE_PGM_RSRC2:SCRATCH_EN: 0
; COMPUTE_PGM_RSRC2:USER_SGPR: 2
; COMPUTE_PGM_RSRC2:TRAP_HANDLER: 0
; COMPUTE_PGM_RSRC2:TGID_X_EN: 1
; COMPUTE_PGM_RSRC2:TGID_Y_EN: 0
; COMPUTE_PGM_RSRC2:TGID_Z_EN: 0
; COMPUTE_PGM_RSRC2:TIDIG_COMP_CNT: 0
	.section	.text._ZN2at6native29vectorized_elementwise_kernelILi4ENS0_13BinaryFunctorIjjbNS0_12_GLOBAL__N_116CompareEqFunctorIjEEEESt5arrayIPcLm3EEEEviT0_T1_,"axG",@progbits,_ZN2at6native29vectorized_elementwise_kernelILi4ENS0_13BinaryFunctorIjjbNS0_12_GLOBAL__N_116CompareEqFunctorIjEEEESt5arrayIPcLm3EEEEviT0_T1_,comdat
	.globl	_ZN2at6native29vectorized_elementwise_kernelILi4ENS0_13BinaryFunctorIjjbNS0_12_GLOBAL__N_116CompareEqFunctorIjEEEESt5arrayIPcLm3EEEEviT0_T1_ ; -- Begin function _ZN2at6native29vectorized_elementwise_kernelILi4ENS0_13BinaryFunctorIjjbNS0_12_GLOBAL__N_116CompareEqFunctorIjEEEESt5arrayIPcLm3EEEEviT0_T1_
	.p2align	8
	.type	_ZN2at6native29vectorized_elementwise_kernelILi4ENS0_13BinaryFunctorIjjbNS0_12_GLOBAL__N_116CompareEqFunctorIjEEEESt5arrayIPcLm3EEEEviT0_T1_,@function
_ZN2at6native29vectorized_elementwise_kernelILi4ENS0_13BinaryFunctorIjjbNS0_12_GLOBAL__N_116CompareEqFunctorIjEEEESt5arrayIPcLm3EEEEviT0_T1_: ; @_ZN2at6native29vectorized_elementwise_kernelILi4ENS0_13BinaryFunctorIjjbNS0_12_GLOBAL__N_116CompareEqFunctorIjEEEESt5arrayIPcLm3EEEEviT0_T1_
; %bb.0:
	s_clause 0x2
	s_load_b64 s[14:15], s[0:1], 0x0
	s_load_b128 s[16:19], s[0:1], 0x8
	s_load_b64 s[22:23], s[0:1], 0x18
	s_wait_xcnt 0x0
	s_bfe_u32 s0, ttmp6, 0x4000c
	s_and_b32 s1, ttmp6, 15
	s_add_co_i32 s0, s0, 1
	s_getreg_b32 s2, hwreg(HW_REG_IB_STS2, 6, 4)
	s_mul_i32 s0, ttmp9, s0
	s_delay_alu instid0(SALU_CYCLE_1) | instskip(SKIP_2) | instid1(SALU_CYCLE_1)
	s_add_co_i32 s1, s1, s0
	s_cmp_eq_u32 s2, 0
	s_cselect_b32 s0, ttmp9, s1
	s_lshl_b32 s20, s0, 12
	s_mov_b32 s0, -1
	s_wait_kmcnt 0x0
	s_sub_co_i32 s24, s14, s20
	s_delay_alu instid0(SALU_CYCLE_1)
	s_cmp_gt_i32 s24, 0xfff
	s_cbranch_scc0 .LBB343_2
; %bb.1:
	s_ashr_i32 s21, s20, 31
	s_delay_alu instid0(SALU_CYCLE_1)
	s_lshl_b64 s[0:1], s[20:21], 2
	s_cmp_eq_u32 s15, 0
	s_add_nc_u64 s[2:3], s[22:23], s[0:1]
	s_add_nc_u64 s[0:1], s[18:19], s[0:1]
	s_clause 0x7
	global_load_b128 v[2:5], v0, s[2:3] scale_offset
	global_load_b128 v[6:9], v0, s[0:1] scale_offset
	global_load_b128 v[10:13], v0, s[0:1] offset:4096 scale_offset
	global_load_b128 v[14:17], v0, s[2:3] offset:4096 scale_offset
	;; [unrolled: 1-line block ×6, first 2 shown]
	s_cselect_b32 s25, -1, 0
	s_wait_loadcnt 0x6
	s_wait_xcnt 0x1
	v_cmp_ne_u32_e64 s0, v7, v3
	v_cmp_ne_u32_e64 s1, v8, v4
	s_wait_xcnt 0x0
	v_cmp_ne_u32_e64 s2, v9, v5
	s_wait_loadcnt 0x4
	v_cmp_ne_u32_e64 s3, v10, v14
	v_cmp_ne_u32_e32 vcc_lo, v6, v2
	s_xor_b32 s0, s25, s0
	v_cmp_ne_u32_e64 s4, v11, v15
	v_cndmask_b32_e64 v2, 0, 0x100, s0
	s_xor_b32 s0, s25, s1
	v_cmp_ne_u32_e64 s5, v12, v16
	v_cndmask_b32_e64 v3, 0, 0x10000, s0
	;; [unrolled: 3-line block ×3, first 2 shown]
	s_xor_b32 s0, s25, s3
	s_wait_loadcnt 0x2
	v_cmp_ne_u32_e64 s7, v22, v18
	v_cndmask_b32_e64 v5, 0, 1, s0
	s_xor_b32 s0, s25, s4
	v_cmp_ne_u32_e64 s8, v23, v19
	v_cndmask_b32_e64 v6, 0, 0x100, s0
	s_xor_b32 s0, s25, s5
	;; [unrolled: 3-line block ×4, first 2 shown]
	s_wait_loadcnt 0x0
	v_cmp_ne_u32_e64 s11, v26, v30
	v_cndmask_b32_e64 v9, 0, 1, s0
	s_xor_b32 s0, s25, s8
	v_cmp_ne_u32_e64 s12, v27, v31
	v_cndmask_b32_e64 v10, 0, 0x100, s0
	s_xor_b32 s0, s25, s9
	s_xor_b32 s26, s25, vcc_lo
	v_cndmask_b32_e64 v11, 0, 0x10000, s0
	s_xor_b32 s0, s25, s10
	v_cmp_ne_u32_e64 s13, v28, v32
	v_cndmask_b32_e64 v12, 0, 0x1000000, s0
	s_xor_b32 s0, s25, s11
	v_cndmask_b32_e64 v1, 0, 1, s26
	v_cmp_ne_u32_e64 s14, v29, v33
	v_cndmask_b32_e64 v13, 0, 1, s0
	s_xor_b32 s0, s25, s12
	s_add_nc_u64 s[2:3], s[16:17], s[20:21]
	v_cndmask_b32_e64 v14, 0, 0x100, s0
	s_xor_b32 s0, s25, s13
	v_or_b32_e32 v1, v2, v1
	v_cndmask_b32_e64 v15, 0, 0x10000, s0
	s_xor_b32 s0, s25, s14
	v_or_b32_e32 v2, v6, v5
	v_or_b32_e32 v5, v10, v9
	v_cndmask_b32_e64 v16, 0, 0x1000000, s0
	v_or_b32_e32 v6, v14, v13
	v_or3_b32 v1, v1, v3, v4
	v_or3_b32 v2, v2, v7, v8
	;; [unrolled: 1-line block ×3, first 2 shown]
	s_mov_b32 s0, 0
	v_or3_b32 v4, v6, v15, v16
	s_clause 0x3
	global_store_b32 v0, v1, s[2:3] scale_offset
	global_store_b32 v0, v2, s[2:3] offset:1024 scale_offset
	global_store_b32 v0, v3, s[2:3] offset:2048 scale_offset
	;; [unrolled: 1-line block ×3, first 2 shown]
.LBB343_2:
	s_and_not1_b32 vcc_lo, exec_lo, s0
	s_cbranch_vccnz .LBB343_54
; %bb.3:
	v_cmp_le_i32_e64 s0, s24, v0
	s_wait_xcnt 0x3
	v_or_b32_e32 v1, 0x100, v0
	v_cmp_gt_i32_e32 vcc_lo, s24, v0
	s_wait_xcnt 0x0
	s_and_saveexec_b32 s1, s0
	s_delay_alu instid0(SALU_CYCLE_1)
	s_xor_b32 s0, exec_lo, s1
; %bb.4:
	v_or_b32_e32 v1, 0x100, v0
; %bb.5:
	s_or_saveexec_b32 s1, s0
	v_dual_mov_b32 v36, 0 :: v_dual_bitop2_b32 v8, s20, v0 bitop3:0x54
	v_dual_mov_b32 v35, 0 :: v_dual_mov_b32 v34, 0
	v_dual_mov_b32 v33, 0 :: v_dual_mov_b32 v32, 0
	;; [unrolled: 1-line block ×14, first 2 shown]
	v_mov_b32_e32 v31, 0
	s_mov_b32 s0, 0
	s_xor_b32 exec_lo, exec_lo, s1
	s_cbranch_execz .LBB343_37
; %bb.6:
	s_clause 0x1
	global_load_b32 v30, v8, s[18:19] scale_offset
	global_load_b32 v31, v8, s[22:23] scale_offset
	v_cmp_gt_u32_e64 s0, s24, v1
	v_dual_mov_b32 v26, 0 :: v_dual_mov_b32 v27, 0
	v_dual_mov_b32 v3, 0 :: v_dual_mov_b32 v25, 0
	;; [unrolled: 1-line block ×14, first 2 shown]
	s_mov_b32 s3, 0
	s_wait_xcnt 0x0
	s_and_saveexec_b32 s2, s0
	s_cbranch_execz .LBB343_36
; %bb.7:
	v_dual_mov_b32 v3, 0 :: v_dual_add_nc_u32 v2, s20, v0
	v_or_b32_e32 v4, 0x200, v0
	v_dual_mov_b32 v25, 0 :: v_dual_mov_b32 v21, 0
	v_mov_b32_e32 v13, 0
	s_clause 0x1
	global_load_b32 v27, v2, s[18:19] offset:1024 scale_offset
	global_load_b32 v26, v2, s[22:23] offset:1024 scale_offset
	v_cmp_gt_u32_e64 s0, s24, v4
	v_dual_mov_b32 v4, 0 :: v_dual_mov_b32 v18, 0
	v_dual_mov_b32 v11, 0 :: v_dual_mov_b32 v16, 0
	;; [unrolled: 1-line block ×11, first 2 shown]
	s_mov_b32 s4, 0
	s_wait_xcnt 0x0
	s_and_saveexec_b32 s3, s0
	s_cbranch_execz .LBB343_35
; %bb.8:
	v_lshlrev_b64_e32 v[6:7], 2, v[2:3]
	v_or_b32_e32 v9, 0x300, v0
	v_dual_mov_b32 v21, 0 :: v_dual_mov_b32 v13, 0
	v_dual_mov_b32 v18, 0 :: v_dual_mov_b32 v11, 0
	s_delay_alu instid0(VALU_DEP_3)
	v_cmp_gt_u32_e64 s0, s24, v9
	v_add_nc_u64_e32 v[4:5], s[18:19], v[6:7]
	v_add_nc_u64_e32 v[6:7], s[22:23], v[6:7]
	v_dual_mov_b32 v16, 0 :: v_dual_mov_b32 v9, 0
	v_dual_mov_b32 v14, 0 :: v_dual_mov_b32 v10, 0
	;; [unrolled: 1-line block ×3, first 2 shown]
	global_load_b32 v25, v[4:5], off offset:2048
	global_load_b32 v2, v[6:7], off offset:2048
	v_dual_mov_b32 v19, 0 :: v_dual_mov_b32 v15, 0
	v_dual_mov_b32 v22, 0 :: v_dual_mov_b32 v20, 0
	;; [unrolled: 1-line block ×6, first 2 shown]
	v_mov_b32_e32 v36, 0
	s_mov_b32 s5, 0
	s_wait_xcnt 0x0
	s_and_saveexec_b32 s4, s0
	s_cbranch_execz .LBB343_34
; %bb.9:
	global_load_b32 v21, v[4:5], off offset:3072
	global_load_b32 v3, v[6:7], off offset:3072
	v_or_b32_e32 v9, 0x400, v0
	v_dual_mov_b32 v13, 0 :: v_dual_mov_b32 v18, 0
	v_dual_mov_b32 v11, 0 :: v_dual_mov_b32 v16, 0
	s_delay_alu instid0(VALU_DEP_3)
	v_cmp_gt_u32_e64 s0, s24, v9
	v_dual_mov_b32 v9, 0 :: v_dual_mov_b32 v14, 0
	v_dual_mov_b32 v10, 0 :: v_dual_mov_b32 v17, 0
	;; [unrolled: 1-line block ×9, first 2 shown]
	s_mov_b32 s6, 0
	s_wait_xcnt 0x0
	s_and_saveexec_b32 s5, s0
	s_cbranch_execz .LBB343_33
; %bb.10:
	global_load_b32 v18, v[4:5], off offset:4096
	global_load_b32 v13, v[6:7], off offset:4096
	v_or_b32_e32 v9, 0x500, v0
	v_dual_mov_b32 v11, 0 :: v_dual_mov_b32 v16, 0
	v_dual_mov_b32 v10, 0 :: v_dual_mov_b32 v17, 0
	s_delay_alu instid0(VALU_DEP_3)
	v_cmp_gt_u32_e64 s0, s24, v9
	v_dual_mov_b32 v9, 0 :: v_dual_mov_b32 v14, 0
	v_dual_mov_b32 v12, 0 :: v_dual_mov_b32 v19, 0
	;; [unrolled: 1-line block ×8, first 2 shown]
	s_mov_b32 s7, 0
	s_wait_xcnt 0x0
	s_and_saveexec_b32 s6, s0
	s_cbranch_execz .LBB343_32
; %bb.11:
	global_load_b32 v16, v[4:5], off offset:5120
	global_load_b32 v11, v[6:7], off offset:5120
	v_or_b32_e32 v9, 0x600, v0
	v_dual_mov_b32 v10, 0 :: v_dual_mov_b32 v17, 0
	v_dual_mov_b32 v12, 0 :: v_dual_mov_b32 v19, 0
	s_delay_alu instid0(VALU_DEP_3)
	v_cmp_gt_u32_e64 s0, s24, v9
	v_dual_mov_b32 v9, 0 :: v_dual_mov_b32 v14, 0
	v_dual_mov_b32 v15, 0 :: v_dual_mov_b32 v22, 0
	;; [unrolled: 1-line block ×7, first 2 shown]
	s_mov_b32 s8, 0
	s_wait_xcnt 0x0
	s_and_saveexec_b32 s7, s0
	s_cbranch_execz .LBB343_31
; %bb.12:
	global_load_b32 v14, v[4:5], off offset:6144
	global_load_b32 v9, v[6:7], off offset:6144
	v_or_b32_e32 v10, 0x700, v0
	v_dual_mov_b32 v12, 0 :: v_dual_mov_b32 v19, 0
	v_dual_mov_b32 v15, 0 :: v_dual_mov_b32 v22, 0
	s_delay_alu instid0(VALU_DEP_3)
	v_cmp_gt_u32_e64 s0, s24, v10
	v_dual_mov_b32 v10, 0 :: v_dual_mov_b32 v17, 0
	v_dual_mov_b32 v20, 0 :: v_dual_mov_b32 v24, 0
	;; [unrolled: 1-line block ×6, first 2 shown]
	s_mov_b32 s9, 0
	s_wait_xcnt 0x0
	s_and_saveexec_b32 s8, s0
	s_cbranch_execz .LBB343_30
; %bb.13:
	global_load_b32 v17, v[4:5], off offset:7168
	global_load_b32 v10, v[6:7], off offset:7168
	v_or_b32_e32 v12, 0x800, v0
	v_dual_mov_b32 v15, 0 :: v_dual_mov_b32 v22, 0
	v_dual_mov_b32 v20, 0 :: v_dual_mov_b32 v24, 0
	s_delay_alu instid0(VALU_DEP_3)
	v_cmp_gt_u32_e64 s0, s24, v12
	v_dual_mov_b32 v12, 0 :: v_dual_mov_b32 v19, 0
	v_dual_mov_b32 v23, 0 :: v_dual_mov_b32 v29, 0
	;; [unrolled: 1-line block ×5, first 2 shown]
	s_mov_b32 s10, 0
	s_wait_xcnt 0x0
	s_and_saveexec_b32 s9, s0
	s_cbranch_execz .LBB343_29
; %bb.14:
	global_load_b32 v19, v[4:5], off offset:8192
	global_load_b32 v12, v[6:7], off offset:8192
	v_or_b32_e32 v15, 0x900, v0
	v_dual_mov_b32 v20, 0 :: v_dual_mov_b32 v24, 0
	v_dual_mov_b32 v23, 0 :: v_dual_mov_b32 v29, 0
	s_delay_alu instid0(VALU_DEP_3)
	v_cmp_gt_u32_e64 s0, s24, v15
	v_dual_mov_b32 v15, 0 :: v_dual_mov_b32 v22, 0
	v_dual_mov_b32 v28, 0 :: v_dual_mov_b32 v32, 0
	;; [unrolled: 1-line block ×4, first 2 shown]
	s_mov_b32 s11, 0
	s_wait_xcnt 0x0
	s_and_saveexec_b32 s10, s0
	s_cbranch_execz .LBB343_28
; %bb.15:
	global_load_b32 v22, v[4:5], off offset:9216
	global_load_b32 v15, v[6:7], off offset:9216
	v_or_b32_e32 v20, 0xa00, v0
	v_dual_mov_b32 v23, 0 :: v_dual_mov_b32 v29, 0
	v_dual_mov_b32 v28, 0 :: v_dual_mov_b32 v32, 0
	s_delay_alu instid0(VALU_DEP_3)
	v_cmp_gt_u32_e64 s0, s24, v20
	v_dual_mov_b32 v20, 0 :: v_dual_mov_b32 v24, 0
	v_dual_mov_b32 v33, 0 :: v_dual_mov_b32 v34, 0
	;; [unrolled: 1-line block ×3, first 2 shown]
	s_mov_b32 s12, 0
	s_wait_xcnt 0x0
	s_and_saveexec_b32 s11, s0
	s_cbranch_execz .LBB343_27
; %bb.16:
	global_load_b32 v24, v[4:5], off offset:10240
	global_load_b32 v20, v[6:7], off offset:10240
	v_or_b32_e32 v23, 0xb00, v0
	v_dual_mov_b32 v28, 0 :: v_dual_mov_b32 v32, 0
	v_dual_mov_b32 v33, 0 :: v_dual_mov_b32 v34, 0
	s_delay_alu instid0(VALU_DEP_3)
	v_cmp_gt_u32_e64 s0, s24, v23
	v_dual_mov_b32 v23, 0 :: v_dual_mov_b32 v29, 0
	v_dual_mov_b32 v35, 0 :: v_dual_mov_b32 v36, 0
	s_mov_b32 s13, 0
	s_wait_xcnt 0x0
	s_and_saveexec_b32 s12, s0
	s_cbranch_execz .LBB343_26
; %bb.17:
	global_load_b32 v29, v[4:5], off offset:11264
	global_load_b32 v23, v[6:7], off offset:11264
	v_or_b32_e32 v28, 0xc00, v0
	v_dual_mov_b32 v33, 0 :: v_dual_mov_b32 v34, 0
	v_dual_mov_b32 v35, 0 :: v_dual_mov_b32 v36, 0
	s_delay_alu instid0(VALU_DEP_3)
	v_cmp_gt_u32_e64 s0, s24, v28
	v_dual_mov_b32 v28, 0 :: v_dual_mov_b32 v32, 0
	s_mov_b32 s14, 0
	s_wait_xcnt 0x0
	s_and_saveexec_b32 s13, s0
	s_cbranch_execz .LBB343_25
; %bb.18:
	global_load_b32 v32, v[4:5], off offset:12288
	global_load_b32 v28, v[6:7], off offset:12288
	v_or_b32_e32 v33, 0xd00, v0
	v_dual_mov_b32 v35, 0 :: v_dual_mov_b32 v36, 0
	s_mov_b32 s18, 0
	v_mov_b32_e32 v34, 0
	s_delay_alu instid0(VALU_DEP_3)
	v_cmp_gt_u32_e64 s0, s24, v33
	v_mov_b32_e32 v33, 0
	s_wait_xcnt 0x0
	s_and_saveexec_b32 s14, s0
	s_cbranch_execz .LBB343_24
; %bb.19:
	global_load_b32 v34, v[4:5], off offset:13312
	global_load_b32 v33, v[6:7], off offset:13312
	v_or_b32_e32 v35, 0xe00, v0
	s_mov_b32 s19, 0
	v_mov_b32_e32 v36, 0
	s_delay_alu instid0(VALU_DEP_2)
	v_cmp_gt_u32_e64 s0, s24, v35
	v_mov_b32_e32 v35, 0
	s_wait_xcnt 0x0
	s_and_saveexec_b32 s18, s0
	s_cbranch_execz .LBB343_23
; %bb.20:
	global_load_b32 v36, v[4:5], off offset:14336
	global_load_b32 v35, v[6:7], off offset:14336
	v_or_b32_e32 v37, 0xf00, v0
	s_mov_b32 s21, 0
	s_mov_b32 s19, exec_lo
	s_wait_xcnt 0x0
	s_delay_alu instid0(VALU_DEP_1)
	v_cmpx_gt_u32_e64 s24, v37
	s_cbranch_execz .LBB343_22
; %bb.21:
	global_load_b32 v37, v[4:5], off offset:15360
	global_load_b32 v38, v[6:7], off offset:15360
	s_wait_loadcnt 0x0
	v_cmp_ne_u32_e64 s0, v37, v38
	s_and_b32 s21, s0, exec_lo
.LBB343_22:
	s_wait_xcnt 0x0
	s_or_b32 exec_lo, exec_lo, s19
	s_delay_alu instid0(SALU_CYCLE_1)
	s_and_b32 s19, s21, exec_lo
.LBB343_23:
	s_or_b32 exec_lo, exec_lo, s18
	s_delay_alu instid0(SALU_CYCLE_1)
	s_and_b32 s18, s19, exec_lo
.LBB343_24:
	s_or_b32 exec_lo, exec_lo, s14
	s_delay_alu instid0(SALU_CYCLE_1)
	s_and_b32 s14, s18, exec_lo
.LBB343_25:
	s_or_b32 exec_lo, exec_lo, s13
	s_delay_alu instid0(SALU_CYCLE_1)
	s_and_b32 s13, s14, exec_lo
.LBB343_26:
	s_or_b32 exec_lo, exec_lo, s12
	s_delay_alu instid0(SALU_CYCLE_1)
	s_and_b32 s12, s13, exec_lo
.LBB343_27:
	s_or_b32 exec_lo, exec_lo, s11
	s_delay_alu instid0(SALU_CYCLE_1)
	s_and_b32 s11, s12, exec_lo
.LBB343_28:
	s_or_b32 exec_lo, exec_lo, s10
	s_delay_alu instid0(SALU_CYCLE_1)
	s_and_b32 s10, s11, exec_lo
.LBB343_29:
	s_or_b32 exec_lo, exec_lo, s9
	s_delay_alu instid0(SALU_CYCLE_1)
	s_and_b32 s9, s10, exec_lo
.LBB343_30:
	s_or_b32 exec_lo, exec_lo, s8
	s_delay_alu instid0(SALU_CYCLE_1)
	s_and_b32 s8, s9, exec_lo
.LBB343_31:
	s_or_b32 exec_lo, exec_lo, s7
	s_delay_alu instid0(SALU_CYCLE_1)
	s_and_b32 s7, s8, exec_lo
.LBB343_32:
	s_or_b32 exec_lo, exec_lo, s6
	s_delay_alu instid0(SALU_CYCLE_1)
	s_and_b32 s6, s7, exec_lo
.LBB343_33:
	s_or_b32 exec_lo, exec_lo, s5
	s_delay_alu instid0(SALU_CYCLE_1)
	s_and_b32 s5, s6, exec_lo
.LBB343_34:
	s_or_b32 exec_lo, exec_lo, s4
	s_wait_loadcnt 0x0
	v_dual_mov_b32 v4, v3 :: v_dual_mov_b32 v3, v2
	s_and_b32 s4, s5, exec_lo
.LBB343_35:
	s_or_b32 exec_lo, exec_lo, s3
	s_delay_alu instid0(SALU_CYCLE_1)
	s_and_b32 s3, s4, exec_lo
.LBB343_36:
	s_or_b32 exec_lo, exec_lo, s2
	s_delay_alu instid0(SALU_CYCLE_1)
	s_and_b32 s0, s3, exec_lo
.LBB343_37:
	s_or_b32 exec_lo, exec_lo, s1
	s_cmp_eq_u32 s15, 0
	s_cselect_b32 s1, -1, 0
	s_and_saveexec_b32 s2, vcc_lo
	s_cbranch_execnz .LBB343_55
; %bb.38:
	s_or_b32 exec_lo, exec_lo, s2
	s_delay_alu instid0(SALU_CYCLE_1)
	s_mov_b32 s2, exec_lo
	v_cmpx_gt_i32_e64 s24, v0
	s_cbranch_execnz .LBB343_56
.LBB343_39:
	s_or_b32 exec_lo, exec_lo, s2
	s_delay_alu instid0(SALU_CYCLE_1)
	s_mov_b32 s2, exec_lo
	v_cmpx_gt_i32_e64 s24, v0
	s_cbranch_execnz .LBB343_57
.LBB343_40:
	s_or_b32 exec_lo, exec_lo, s2
	s_delay_alu instid0(SALU_CYCLE_1)
	s_mov_b32 s2, exec_lo
	v_cmpx_gt_i32_e64 s24, v0
	s_cbranch_execnz .LBB343_58
.LBB343_41:
	s_or_b32 exec_lo, exec_lo, s2
	s_delay_alu instid0(SALU_CYCLE_1)
	s_mov_b32 s2, exec_lo
	v_cmpx_gt_i32_e64 s24, v0
	s_cbranch_execnz .LBB343_59
.LBB343_42:
	s_or_b32 exec_lo, exec_lo, s2
	s_delay_alu instid0(SALU_CYCLE_1)
	s_mov_b32 s2, exec_lo
	v_cmpx_gt_i32_e64 s24, v0
	s_cbranch_execnz .LBB343_60
.LBB343_43:
	s_or_b32 exec_lo, exec_lo, s2
	s_delay_alu instid0(SALU_CYCLE_1)
	s_mov_b32 s2, exec_lo
	v_cmpx_gt_i32_e64 s24, v0
	s_cbranch_execnz .LBB343_61
.LBB343_44:
	s_or_b32 exec_lo, exec_lo, s2
	s_delay_alu instid0(SALU_CYCLE_1)
	s_mov_b32 s2, exec_lo
	v_cmpx_gt_i32_e64 s24, v0
	s_cbranch_execnz .LBB343_62
.LBB343_45:
	s_or_b32 exec_lo, exec_lo, s2
	s_delay_alu instid0(SALU_CYCLE_1)
	s_mov_b32 s2, exec_lo
	v_cmpx_gt_i32_e64 s24, v0
	s_cbranch_execnz .LBB343_63
.LBB343_46:
	s_or_b32 exec_lo, exec_lo, s2
	s_delay_alu instid0(SALU_CYCLE_1)
	s_mov_b32 s2, exec_lo
	v_cmpx_gt_i32_e64 s24, v0
	s_cbranch_execnz .LBB343_64
.LBB343_47:
	s_or_b32 exec_lo, exec_lo, s2
	s_delay_alu instid0(SALU_CYCLE_1)
	s_mov_b32 s2, exec_lo
	v_cmpx_gt_i32_e64 s24, v0
	s_cbranch_execnz .LBB343_65
.LBB343_48:
	s_or_b32 exec_lo, exec_lo, s2
	s_delay_alu instid0(SALU_CYCLE_1)
	s_mov_b32 s2, exec_lo
	v_cmpx_gt_i32_e64 s24, v0
	s_cbranch_execnz .LBB343_66
.LBB343_49:
	s_or_b32 exec_lo, exec_lo, s2
	s_delay_alu instid0(SALU_CYCLE_1)
	s_mov_b32 s2, exec_lo
	v_cmpx_gt_i32_e64 s24, v0
	s_cbranch_execnz .LBB343_67
.LBB343_50:
	s_or_b32 exec_lo, exec_lo, s2
	s_delay_alu instid0(SALU_CYCLE_1)
	s_mov_b32 s2, exec_lo
	v_cmpx_gt_i32_e64 s24, v0
	s_cbranch_execnz .LBB343_68
.LBB343_51:
	s_or_b32 exec_lo, exec_lo, s2
	s_delay_alu instid0(SALU_CYCLE_1)
	s_mov_b32 s2, exec_lo
	v_cmpx_gt_i32_e64 s24, v0
	s_cbranch_execnz .LBB343_69
.LBB343_52:
	s_or_b32 exec_lo, exec_lo, s2
	s_delay_alu instid0(SALU_CYCLE_1)
	s_mov_b32 s2, exec_lo
	v_cmpx_gt_i32_e64 s24, v0
	s_cbranch_execz .LBB343_54
.LBB343_53:
	s_xor_b32 s0, s1, s0
	v_add_nc_u32_e32 v0, s20, v0
	v_cndmask_b32_e64 v1, 0, 1, s0
	global_store_b8 v0, v1, s[16:17]
.LBB343_54:
	s_endpgm
.LBB343_55:
	s_wait_loadcnt 0x0
	v_cmp_ne_u32_e32 vcc_lo, v30, v31
	v_mov_b32_e32 v0, v1
	s_xor_b32 s3, s1, vcc_lo
	s_delay_alu instid0(SALU_CYCLE_1) | instskip(SKIP_3) | instid1(SALU_CYCLE_1)
	v_cndmask_b32_e64 v2, 0, 1, s3
	global_store_b8 v8, v2, s[16:17]
	s_wait_xcnt 0x0
	s_or_b32 exec_lo, exec_lo, s2
	s_mov_b32 s2, exec_lo
	v_cmpx_gt_i32_e64 s24, v0
	s_cbranch_execz .LBB343_39
.LBB343_56:
	s_wait_loadcnt 0x0
	v_cmp_ne_u32_e32 vcc_lo, v27, v26
	v_add_nc_u32_e32 v2, s20, v0
	v_add_nc_u32_e32 v0, 0x100, v0
	s_xor_b32 s3, s1, vcc_lo
	s_delay_alu instid0(SALU_CYCLE_1) | instskip(SKIP_3) | instid1(SALU_CYCLE_1)
	v_cndmask_b32_e64 v1, 0, 1, s3
	global_store_b8 v2, v1, s[16:17]
	s_wait_xcnt 0x0
	s_or_b32 exec_lo, exec_lo, s2
	s_mov_b32 s2, exec_lo
	v_cmpx_gt_i32_e64 s24, v0
	s_cbranch_execz .LBB343_40
.LBB343_57:
	v_cmp_ne_u32_e32 vcc_lo, v25, v3
	v_add_nc_u32_e32 v2, s20, v0
	v_add_nc_u32_e32 v0, 0x100, v0
	s_xor_b32 s3, s1, vcc_lo
	s_delay_alu instid0(SALU_CYCLE_1) | instskip(SKIP_3) | instid1(SALU_CYCLE_1)
	v_cndmask_b32_e64 v1, 0, 1, s3
	global_store_b8 v2, v1, s[16:17]
	s_wait_xcnt 0x0
	s_or_b32 exec_lo, exec_lo, s2
	s_mov_b32 s2, exec_lo
	v_cmpx_gt_i32_e64 s24, v0
	s_cbranch_execz .LBB343_41
.LBB343_58:
	v_cmp_ne_u32_e32 vcc_lo, v21, v4
	v_add_nc_u32_e32 v2, s20, v0
	v_add_nc_u32_e32 v0, 0x100, v0
	s_xor_b32 s3, s1, vcc_lo
	s_delay_alu instid0(SALU_CYCLE_1) | instskip(SKIP_3) | instid1(SALU_CYCLE_1)
	v_cndmask_b32_e64 v1, 0, 1, s3
	global_store_b8 v2, v1, s[16:17]
	s_wait_xcnt 0x0
	s_or_b32 exec_lo, exec_lo, s2
	s_mov_b32 s2, exec_lo
	v_cmpx_gt_i32_e64 s24, v0
	s_cbranch_execz .LBB343_42
.LBB343_59:
	v_cmp_ne_u32_e32 vcc_lo, v18, v13
	v_add_nc_u32_e32 v2, s20, v0
	v_add_nc_u32_e32 v0, 0x100, v0
	s_xor_b32 s3, s1, vcc_lo
	s_delay_alu instid0(SALU_CYCLE_1) | instskip(SKIP_3) | instid1(SALU_CYCLE_1)
	v_cndmask_b32_e64 v1, 0, 1, s3
	global_store_b8 v2, v1, s[16:17]
	s_wait_xcnt 0x0
	s_or_b32 exec_lo, exec_lo, s2
	s_mov_b32 s2, exec_lo
	v_cmpx_gt_i32_e64 s24, v0
	s_cbranch_execz .LBB343_43
.LBB343_60:
	v_cmp_ne_u32_e32 vcc_lo, v16, v11
	v_add_nc_u32_e32 v2, s20, v0
	v_add_nc_u32_e32 v0, 0x100, v0
	s_xor_b32 s3, s1, vcc_lo
	s_delay_alu instid0(SALU_CYCLE_1) | instskip(SKIP_3) | instid1(SALU_CYCLE_1)
	v_cndmask_b32_e64 v1, 0, 1, s3
	global_store_b8 v2, v1, s[16:17]
	s_wait_xcnt 0x0
	s_or_b32 exec_lo, exec_lo, s2
	s_mov_b32 s2, exec_lo
	v_cmpx_gt_i32_e64 s24, v0
	s_cbranch_execz .LBB343_44
.LBB343_61:
	v_cmp_ne_u32_e32 vcc_lo, v14, v9
	v_add_nc_u32_e32 v2, s20, v0
	v_add_nc_u32_e32 v0, 0x100, v0
	s_xor_b32 s3, s1, vcc_lo
	s_delay_alu instid0(SALU_CYCLE_1) | instskip(SKIP_3) | instid1(SALU_CYCLE_1)
	v_cndmask_b32_e64 v1, 0, 1, s3
	global_store_b8 v2, v1, s[16:17]
	s_wait_xcnt 0x0
	s_or_b32 exec_lo, exec_lo, s2
	s_mov_b32 s2, exec_lo
	v_cmpx_gt_i32_e64 s24, v0
	s_cbranch_execz .LBB343_45
.LBB343_62:
	v_cmp_ne_u32_e32 vcc_lo, v17, v10
	v_add_nc_u32_e32 v2, s20, v0
	v_add_nc_u32_e32 v0, 0x100, v0
	s_xor_b32 s3, s1, vcc_lo
	s_delay_alu instid0(SALU_CYCLE_1) | instskip(SKIP_3) | instid1(SALU_CYCLE_1)
	v_cndmask_b32_e64 v1, 0, 1, s3
	global_store_b8 v2, v1, s[16:17]
	s_wait_xcnt 0x0
	s_or_b32 exec_lo, exec_lo, s2
	s_mov_b32 s2, exec_lo
	v_cmpx_gt_i32_e64 s24, v0
	s_cbranch_execz .LBB343_46
.LBB343_63:
	v_cmp_ne_u32_e32 vcc_lo, v19, v12
	v_add_nc_u32_e32 v2, s20, v0
	v_add_nc_u32_e32 v0, 0x100, v0
	s_xor_b32 s3, s1, vcc_lo
	s_delay_alu instid0(SALU_CYCLE_1) | instskip(SKIP_3) | instid1(SALU_CYCLE_1)
	v_cndmask_b32_e64 v1, 0, 1, s3
	global_store_b8 v2, v1, s[16:17]
	s_wait_xcnt 0x0
	s_or_b32 exec_lo, exec_lo, s2
	s_mov_b32 s2, exec_lo
	v_cmpx_gt_i32_e64 s24, v0
	s_cbranch_execz .LBB343_47
.LBB343_64:
	v_cmp_ne_u32_e32 vcc_lo, v22, v15
	v_add_nc_u32_e32 v2, s20, v0
	v_add_nc_u32_e32 v0, 0x100, v0
	s_xor_b32 s3, s1, vcc_lo
	s_delay_alu instid0(SALU_CYCLE_1) | instskip(SKIP_3) | instid1(SALU_CYCLE_1)
	v_cndmask_b32_e64 v1, 0, 1, s3
	global_store_b8 v2, v1, s[16:17]
	s_wait_xcnt 0x0
	s_or_b32 exec_lo, exec_lo, s2
	s_mov_b32 s2, exec_lo
	v_cmpx_gt_i32_e64 s24, v0
	s_cbranch_execz .LBB343_48
.LBB343_65:
	v_cmp_ne_u32_e32 vcc_lo, v24, v20
	v_add_nc_u32_e32 v2, s20, v0
	v_add_nc_u32_e32 v0, 0x100, v0
	s_xor_b32 s3, s1, vcc_lo
	s_delay_alu instid0(SALU_CYCLE_1) | instskip(SKIP_3) | instid1(SALU_CYCLE_1)
	v_cndmask_b32_e64 v1, 0, 1, s3
	global_store_b8 v2, v1, s[16:17]
	s_wait_xcnt 0x0
	s_or_b32 exec_lo, exec_lo, s2
	s_mov_b32 s2, exec_lo
	v_cmpx_gt_i32_e64 s24, v0
	s_cbranch_execz .LBB343_49
.LBB343_66:
	v_cmp_ne_u32_e32 vcc_lo, v29, v23
	v_add_nc_u32_e32 v2, s20, v0
	v_add_nc_u32_e32 v0, 0x100, v0
	s_xor_b32 s3, s1, vcc_lo
	s_delay_alu instid0(SALU_CYCLE_1) | instskip(SKIP_3) | instid1(SALU_CYCLE_1)
	v_cndmask_b32_e64 v1, 0, 1, s3
	global_store_b8 v2, v1, s[16:17]
	s_wait_xcnt 0x0
	s_or_b32 exec_lo, exec_lo, s2
	s_mov_b32 s2, exec_lo
	v_cmpx_gt_i32_e64 s24, v0
	s_cbranch_execz .LBB343_50
.LBB343_67:
	v_cmp_ne_u32_e32 vcc_lo, v32, v28
	v_add_nc_u32_e32 v2, s20, v0
	v_add_nc_u32_e32 v0, 0x100, v0
	s_xor_b32 s3, s1, vcc_lo
	s_delay_alu instid0(SALU_CYCLE_1) | instskip(SKIP_3) | instid1(SALU_CYCLE_1)
	v_cndmask_b32_e64 v1, 0, 1, s3
	global_store_b8 v2, v1, s[16:17]
	s_wait_xcnt 0x0
	s_or_b32 exec_lo, exec_lo, s2
	s_mov_b32 s2, exec_lo
	v_cmpx_gt_i32_e64 s24, v0
	s_cbranch_execz .LBB343_51
.LBB343_68:
	v_cmp_ne_u32_e32 vcc_lo, v34, v33
	v_add_nc_u32_e32 v2, s20, v0
	v_add_nc_u32_e32 v0, 0x100, v0
	s_xor_b32 s3, s1, vcc_lo
	s_delay_alu instid0(SALU_CYCLE_1) | instskip(SKIP_3) | instid1(SALU_CYCLE_1)
	v_cndmask_b32_e64 v1, 0, 1, s3
	global_store_b8 v2, v1, s[16:17]
	s_wait_xcnt 0x0
	s_or_b32 exec_lo, exec_lo, s2
	s_mov_b32 s2, exec_lo
	v_cmpx_gt_i32_e64 s24, v0
	s_cbranch_execz .LBB343_52
.LBB343_69:
	v_cmp_ne_u32_e32 vcc_lo, v36, v35
	v_add_nc_u32_e32 v2, s20, v0
	v_add_nc_u32_e32 v0, 0x100, v0
	s_xor_b32 s3, s1, vcc_lo
	s_delay_alu instid0(SALU_CYCLE_1) | instskip(SKIP_3) | instid1(SALU_CYCLE_1)
	v_cndmask_b32_e64 v1, 0, 1, s3
	global_store_b8 v2, v1, s[16:17]
	s_wait_xcnt 0x0
	s_or_b32 exec_lo, exec_lo, s2
	s_mov_b32 s2, exec_lo
	v_cmpx_gt_i32_e64 s24, v0
	s_cbranch_execnz .LBB343_53
	s_branch .LBB343_54
	.section	.rodata,"a",@progbits
	.p2align	6, 0x0
	.amdhsa_kernel _ZN2at6native29vectorized_elementwise_kernelILi4ENS0_13BinaryFunctorIjjbNS0_12_GLOBAL__N_116CompareEqFunctorIjEEEESt5arrayIPcLm3EEEEviT0_T1_
		.amdhsa_group_segment_fixed_size 0
		.amdhsa_private_segment_fixed_size 0
		.amdhsa_kernarg_size 32
		.amdhsa_user_sgpr_count 2
		.amdhsa_user_sgpr_dispatch_ptr 0
		.amdhsa_user_sgpr_queue_ptr 0
		.amdhsa_user_sgpr_kernarg_segment_ptr 1
		.amdhsa_user_sgpr_dispatch_id 0
		.amdhsa_user_sgpr_kernarg_preload_length 0
		.amdhsa_user_sgpr_kernarg_preload_offset 0
		.amdhsa_user_sgpr_private_segment_size 0
		.amdhsa_wavefront_size32 1
		.amdhsa_uses_dynamic_stack 0
		.amdhsa_enable_private_segment 0
		.amdhsa_system_sgpr_workgroup_id_x 1
		.amdhsa_system_sgpr_workgroup_id_y 0
		.amdhsa_system_sgpr_workgroup_id_z 0
		.amdhsa_system_sgpr_workgroup_info 0
		.amdhsa_system_vgpr_workitem_id 0
		.amdhsa_next_free_vgpr 39
		.amdhsa_next_free_sgpr 27
		.amdhsa_named_barrier_count 0
		.amdhsa_reserve_vcc 1
		.amdhsa_float_round_mode_32 0
		.amdhsa_float_round_mode_16_64 0
		.amdhsa_float_denorm_mode_32 3
		.amdhsa_float_denorm_mode_16_64 3
		.amdhsa_fp16_overflow 0
		.amdhsa_memory_ordered 1
		.amdhsa_forward_progress 1
		.amdhsa_inst_pref_size 36
		.amdhsa_round_robin_scheduling 0
		.amdhsa_exception_fp_ieee_invalid_op 0
		.amdhsa_exception_fp_denorm_src 0
		.amdhsa_exception_fp_ieee_div_zero 0
		.amdhsa_exception_fp_ieee_overflow 0
		.amdhsa_exception_fp_ieee_underflow 0
		.amdhsa_exception_fp_ieee_inexact 0
		.amdhsa_exception_int_div_zero 0
	.end_amdhsa_kernel
	.section	.text._ZN2at6native29vectorized_elementwise_kernelILi4ENS0_13BinaryFunctorIjjbNS0_12_GLOBAL__N_116CompareEqFunctorIjEEEESt5arrayIPcLm3EEEEviT0_T1_,"axG",@progbits,_ZN2at6native29vectorized_elementwise_kernelILi4ENS0_13BinaryFunctorIjjbNS0_12_GLOBAL__N_116CompareEqFunctorIjEEEESt5arrayIPcLm3EEEEviT0_T1_,comdat
.Lfunc_end343:
	.size	_ZN2at6native29vectorized_elementwise_kernelILi4ENS0_13BinaryFunctorIjjbNS0_12_GLOBAL__N_116CompareEqFunctorIjEEEESt5arrayIPcLm3EEEEviT0_T1_, .Lfunc_end343-_ZN2at6native29vectorized_elementwise_kernelILi4ENS0_13BinaryFunctorIjjbNS0_12_GLOBAL__N_116CompareEqFunctorIjEEEESt5arrayIPcLm3EEEEviT0_T1_
                                        ; -- End function
	.set _ZN2at6native29vectorized_elementwise_kernelILi4ENS0_13BinaryFunctorIjjbNS0_12_GLOBAL__N_116CompareEqFunctorIjEEEESt5arrayIPcLm3EEEEviT0_T1_.num_vgpr, 39
	.set _ZN2at6native29vectorized_elementwise_kernelILi4ENS0_13BinaryFunctorIjjbNS0_12_GLOBAL__N_116CompareEqFunctorIjEEEESt5arrayIPcLm3EEEEviT0_T1_.num_agpr, 0
	.set _ZN2at6native29vectorized_elementwise_kernelILi4ENS0_13BinaryFunctorIjjbNS0_12_GLOBAL__N_116CompareEqFunctorIjEEEESt5arrayIPcLm3EEEEviT0_T1_.numbered_sgpr, 27
	.set _ZN2at6native29vectorized_elementwise_kernelILi4ENS0_13BinaryFunctorIjjbNS0_12_GLOBAL__N_116CompareEqFunctorIjEEEESt5arrayIPcLm3EEEEviT0_T1_.num_named_barrier, 0
	.set _ZN2at6native29vectorized_elementwise_kernelILi4ENS0_13BinaryFunctorIjjbNS0_12_GLOBAL__N_116CompareEqFunctorIjEEEESt5arrayIPcLm3EEEEviT0_T1_.private_seg_size, 0
	.set _ZN2at6native29vectorized_elementwise_kernelILi4ENS0_13BinaryFunctorIjjbNS0_12_GLOBAL__N_116CompareEqFunctorIjEEEESt5arrayIPcLm3EEEEviT0_T1_.uses_vcc, 1
	.set _ZN2at6native29vectorized_elementwise_kernelILi4ENS0_13BinaryFunctorIjjbNS0_12_GLOBAL__N_116CompareEqFunctorIjEEEESt5arrayIPcLm3EEEEviT0_T1_.uses_flat_scratch, 0
	.set _ZN2at6native29vectorized_elementwise_kernelILi4ENS0_13BinaryFunctorIjjbNS0_12_GLOBAL__N_116CompareEqFunctorIjEEEESt5arrayIPcLm3EEEEviT0_T1_.has_dyn_sized_stack, 0
	.set _ZN2at6native29vectorized_elementwise_kernelILi4ENS0_13BinaryFunctorIjjbNS0_12_GLOBAL__N_116CompareEqFunctorIjEEEESt5arrayIPcLm3EEEEviT0_T1_.has_recursion, 0
	.set _ZN2at6native29vectorized_elementwise_kernelILi4ENS0_13BinaryFunctorIjjbNS0_12_GLOBAL__N_116CompareEqFunctorIjEEEESt5arrayIPcLm3EEEEviT0_T1_.has_indirect_call, 0
	.section	.AMDGPU.csdata,"",@progbits
; Kernel info:
; codeLenInByte = 4512
; TotalNumSgprs: 29
; NumVgprs: 39
; ScratchSize: 0
; MemoryBound: 0
; FloatMode: 240
; IeeeMode: 1
; LDSByteSize: 0 bytes/workgroup (compile time only)
; SGPRBlocks: 0
; VGPRBlocks: 2
; NumSGPRsForWavesPerEU: 29
; NumVGPRsForWavesPerEU: 39
; NamedBarCnt: 0
; Occupancy: 16
; WaveLimiterHint : 1
; COMPUTE_PGM_RSRC2:SCRATCH_EN: 0
; COMPUTE_PGM_RSRC2:USER_SGPR: 2
; COMPUTE_PGM_RSRC2:TRAP_HANDLER: 0
; COMPUTE_PGM_RSRC2:TGID_X_EN: 1
; COMPUTE_PGM_RSRC2:TGID_Y_EN: 0
; COMPUTE_PGM_RSRC2:TGID_Z_EN: 0
; COMPUTE_PGM_RSRC2:TIDIG_COMP_CNT: 0
	.section	.text._ZN2at6native29vectorized_elementwise_kernelILi2ENS0_13BinaryFunctorIjjbNS0_12_GLOBAL__N_116CompareEqFunctorIjEEEESt5arrayIPcLm3EEEEviT0_T1_,"axG",@progbits,_ZN2at6native29vectorized_elementwise_kernelILi2ENS0_13BinaryFunctorIjjbNS0_12_GLOBAL__N_116CompareEqFunctorIjEEEESt5arrayIPcLm3EEEEviT0_T1_,comdat
	.globl	_ZN2at6native29vectorized_elementwise_kernelILi2ENS0_13BinaryFunctorIjjbNS0_12_GLOBAL__N_116CompareEqFunctorIjEEEESt5arrayIPcLm3EEEEviT0_T1_ ; -- Begin function _ZN2at6native29vectorized_elementwise_kernelILi2ENS0_13BinaryFunctorIjjbNS0_12_GLOBAL__N_116CompareEqFunctorIjEEEESt5arrayIPcLm3EEEEviT0_T1_
	.p2align	8
	.type	_ZN2at6native29vectorized_elementwise_kernelILi2ENS0_13BinaryFunctorIjjbNS0_12_GLOBAL__N_116CompareEqFunctorIjEEEESt5arrayIPcLm3EEEEviT0_T1_,@function
_ZN2at6native29vectorized_elementwise_kernelILi2ENS0_13BinaryFunctorIjjbNS0_12_GLOBAL__N_116CompareEqFunctorIjEEEESt5arrayIPcLm3EEEEviT0_T1_: ; @_ZN2at6native29vectorized_elementwise_kernelILi2ENS0_13BinaryFunctorIjjbNS0_12_GLOBAL__N_116CompareEqFunctorIjEEEESt5arrayIPcLm3EEEEviT0_T1_
; %bb.0:
	s_clause 0x2
	s_load_b64 s[14:15], s[0:1], 0x0
	s_load_b128 s[16:19], s[0:1], 0x8
	s_load_b64 s[22:23], s[0:1], 0x18
	s_wait_xcnt 0x0
	s_bfe_u32 s0, ttmp6, 0x4000c
	s_and_b32 s1, ttmp6, 15
	s_add_co_i32 s0, s0, 1
	s_getreg_b32 s2, hwreg(HW_REG_IB_STS2, 6, 4)
	s_mul_i32 s0, ttmp9, s0
	s_mov_b32 s25, -1
	s_add_co_i32 s1, s1, s0
	s_cmp_eq_u32 s2, 0
	s_cselect_b32 s0, ttmp9, s1
	s_delay_alu instid0(SALU_CYCLE_1) | instskip(SKIP_2) | instid1(SALU_CYCLE_1)
	s_lshl_b32 s20, s0, 12
	s_wait_kmcnt 0x0
	s_sub_co_i32 s24, s14, s20
	s_cmp_gt_i32 s24, 0xfff
	s_cbranch_scc0 .LBB344_2
; %bb.1:
	s_ashr_i32 s21, s20, 31
	s_mov_b32 s25, 0
	s_lshl_b64 s[0:1], s[20:21], 2
	s_cmp_eq_u32 s15, 0
	s_add_nc_u64 s[2:3], s[22:23], s[0:1]
	s_add_nc_u64 s[0:1], s[18:19], s[0:1]
	s_clause 0xf
	global_load_b64 v[2:3], v0, s[2:3] scale_offset
	global_load_b64 v[4:5], v0, s[0:1] scale_offset
	global_load_b64 v[6:7], v0, s[0:1] offset:2048 scale_offset
	global_load_b64 v[8:9], v0, s[2:3] offset:2048 scale_offset
	;; [unrolled: 1-line block ×13, first 2 shown]
	; meta instruction
	global_load_b64 v[32:33], v0, s[2:3] offset:14336 scale_offset
	s_add_nc_u64 s[26:27], s[16:17], s[20:21]
	s_cselect_b32 s21, -1, 0
	s_wait_loadcnt 0xe
	s_wait_xcnt 0x1
	v_cmp_ne_u32_e64 s0, v5, v3
	v_cmp_ne_u32_e32 vcc_lo, v4, v2
	s_wait_loadcnt 0xc
	v_cmp_ne_u32_e64 s1, v6, v8
	s_wait_xcnt 0x0
	v_cmp_ne_u32_e64 s2, v7, v9
	s_wait_loadcnt 0xa
	v_cmp_ne_u32_e64 s3, v12, v10
	s_xor_b32 s0, s21, s0
	v_cmp_ne_u32_e64 s4, v13, v11
	v_cndmask_b32_e64 v2, 0, 0x100, s0
	s_xor_b32 s0, s21, s1
	s_wait_loadcnt 0x8
	v_cmp_ne_u32_e64 s5, v14, v16
	v_cndmask_b32_e64 v3, 0, 1, s0
	s_xor_b32 s0, s21, s2
	v_cmp_ne_u32_e64 s6, v15, v17
	v_cndmask_b32_e64 v4, 0, 0x100, s0
	s_xor_b32 s0, s21, s3
	s_wait_loadcnt 0x6
	v_cmp_ne_u32_e64 s7, v20, v18
	v_cndmask_b32_e64 v5, 0, 1, s0
	;; [unrolled: 7-line block ×5, first 2 shown]
	s_xor_b32 s0, s21, s10
	v_cmp_ne_u32_e64 s14, v31, v33
	v_cndmask_b32_e64 v12, 0, 0x100, s0
	s_xor_b32 s0, s21, s11
	s_xor_b32 s28, s21, vcc_lo
	v_cndmask_b32_e64 v13, 0, 1, s0
	s_xor_b32 s0, s21, s12
	v_cndmask_b32_e64 v1, 0, 1, s28
	v_cndmask_b32_e64 v14, 0, 0x100, s0
	s_xor_b32 s0, s21, s13
	s_delay_alu instid0(SALU_CYCLE_1)
	v_cndmask_b32_e64 v15, 0, 1, s0
	s_xor_b32 s0, s21, s14
	v_or_b32_e32 v1, v2, v1
	v_cndmask_b32_e64 v16, 0, 0x100, s0
	v_or_b32_e32 v2, v4, v3
	v_or_b32_e32 v3, v6, v5
	;; [unrolled: 1-line block ×7, first 2 shown]
	s_clause 0x7
	global_store_b16 v0, v1, s[26:27] scale_offset
	global_store_b16 v0, v2, s[26:27] offset:512 scale_offset
	global_store_b16 v0, v3, s[26:27] offset:1024 scale_offset
	;; [unrolled: 1-line block ×7, first 2 shown]
.LBB344_2:
	s_and_not1_b32 vcc_lo, exec_lo, s25
	s_cbranch_vccnz .LBB344_54
; %bb.3:
	v_cmp_le_i32_e64 s0, s24, v0
	s_wait_xcnt 0x7
	v_or_b32_e32 v1, 0x100, v0
	v_cmp_gt_i32_e32 vcc_lo, s24, v0
	s_wait_xcnt 0x0
	s_and_saveexec_b32 s1, s0
	s_delay_alu instid0(SALU_CYCLE_1)
	s_xor_b32 s0, exec_lo, s1
; %bb.4:
	v_or_b32_e32 v1, 0x100, v0
; %bb.5:
	s_or_saveexec_b32 s1, s0
	v_dual_mov_b32 v36, 0 :: v_dual_bitop2_b32 v8, s20, v0 bitop3:0x54
	v_dual_mov_b32 v35, 0 :: v_dual_mov_b32 v34, 0
	v_dual_mov_b32 v33, 0 :: v_dual_mov_b32 v32, 0
	;; [unrolled: 1-line block ×14, first 2 shown]
	v_mov_b32_e32 v31, 0
	s_mov_b32 s0, 0
	s_xor_b32 exec_lo, exec_lo, s1
	s_cbranch_execz .LBB344_37
; %bb.6:
	s_clause 0x1
	global_load_b32 v30, v8, s[18:19] scale_offset
	global_load_b32 v31, v8, s[22:23] scale_offset
	v_cmp_gt_u32_e64 s0, s24, v1
	v_dual_mov_b32 v26, 0 :: v_dual_mov_b32 v27, 0
	v_dual_mov_b32 v3, 0 :: v_dual_mov_b32 v25, 0
	;; [unrolled: 1-line block ×14, first 2 shown]
	s_mov_b32 s3, 0
	s_wait_xcnt 0x0
	s_and_saveexec_b32 s2, s0
	s_cbranch_execz .LBB344_36
; %bb.7:
	v_dual_mov_b32 v3, 0 :: v_dual_add_nc_u32 v2, s20, v0
	v_or_b32_e32 v4, 0x200, v0
	v_dual_mov_b32 v25, 0 :: v_dual_mov_b32 v21, 0
	v_mov_b32_e32 v13, 0
	s_clause 0x1
	global_load_b32 v27, v2, s[18:19] offset:1024 scale_offset
	global_load_b32 v26, v2, s[22:23] offset:1024 scale_offset
	v_cmp_gt_u32_e64 s0, s24, v4
	v_dual_mov_b32 v4, 0 :: v_dual_mov_b32 v18, 0
	v_dual_mov_b32 v11, 0 :: v_dual_mov_b32 v16, 0
	;; [unrolled: 1-line block ×11, first 2 shown]
	s_mov_b32 s4, 0
	s_wait_xcnt 0x0
	s_and_saveexec_b32 s3, s0
	s_cbranch_execz .LBB344_35
; %bb.8:
	v_lshlrev_b64_e32 v[6:7], 2, v[2:3]
	v_or_b32_e32 v9, 0x300, v0
	v_dual_mov_b32 v21, 0 :: v_dual_mov_b32 v13, 0
	v_dual_mov_b32 v18, 0 :: v_dual_mov_b32 v11, 0
	s_delay_alu instid0(VALU_DEP_3)
	v_cmp_gt_u32_e64 s0, s24, v9
	v_add_nc_u64_e32 v[4:5], s[18:19], v[6:7]
	v_add_nc_u64_e32 v[6:7], s[22:23], v[6:7]
	v_dual_mov_b32 v16, 0 :: v_dual_mov_b32 v9, 0
	v_dual_mov_b32 v14, 0 :: v_dual_mov_b32 v10, 0
	;; [unrolled: 1-line block ×3, first 2 shown]
	global_load_b32 v25, v[4:5], off offset:2048
	global_load_b32 v2, v[6:7], off offset:2048
	v_dual_mov_b32 v19, 0 :: v_dual_mov_b32 v15, 0
	v_dual_mov_b32 v22, 0 :: v_dual_mov_b32 v20, 0
	;; [unrolled: 1-line block ×6, first 2 shown]
	v_mov_b32_e32 v36, 0
	s_mov_b32 s5, 0
	s_wait_xcnt 0x0
	s_and_saveexec_b32 s4, s0
	s_cbranch_execz .LBB344_34
; %bb.9:
	global_load_b32 v21, v[4:5], off offset:3072
	global_load_b32 v3, v[6:7], off offset:3072
	v_or_b32_e32 v9, 0x400, v0
	v_dual_mov_b32 v13, 0 :: v_dual_mov_b32 v18, 0
	v_dual_mov_b32 v11, 0 :: v_dual_mov_b32 v16, 0
	s_delay_alu instid0(VALU_DEP_3)
	v_cmp_gt_u32_e64 s0, s24, v9
	v_dual_mov_b32 v9, 0 :: v_dual_mov_b32 v14, 0
	v_dual_mov_b32 v10, 0 :: v_dual_mov_b32 v17, 0
	;; [unrolled: 1-line block ×9, first 2 shown]
	s_mov_b32 s6, 0
	s_wait_xcnt 0x0
	s_and_saveexec_b32 s5, s0
	s_cbranch_execz .LBB344_33
; %bb.10:
	global_load_b32 v18, v[4:5], off offset:4096
	global_load_b32 v13, v[6:7], off offset:4096
	v_or_b32_e32 v9, 0x500, v0
	v_dual_mov_b32 v11, 0 :: v_dual_mov_b32 v16, 0
	v_dual_mov_b32 v10, 0 :: v_dual_mov_b32 v17, 0
	s_delay_alu instid0(VALU_DEP_3)
	v_cmp_gt_u32_e64 s0, s24, v9
	v_dual_mov_b32 v9, 0 :: v_dual_mov_b32 v14, 0
	v_dual_mov_b32 v12, 0 :: v_dual_mov_b32 v19, 0
	;; [unrolled: 1-line block ×8, first 2 shown]
	s_mov_b32 s7, 0
	s_wait_xcnt 0x0
	s_and_saveexec_b32 s6, s0
	s_cbranch_execz .LBB344_32
; %bb.11:
	global_load_b32 v16, v[4:5], off offset:5120
	global_load_b32 v11, v[6:7], off offset:5120
	v_or_b32_e32 v9, 0x600, v0
	v_dual_mov_b32 v10, 0 :: v_dual_mov_b32 v17, 0
	v_dual_mov_b32 v12, 0 :: v_dual_mov_b32 v19, 0
	s_delay_alu instid0(VALU_DEP_3)
	v_cmp_gt_u32_e64 s0, s24, v9
	v_dual_mov_b32 v9, 0 :: v_dual_mov_b32 v14, 0
	v_dual_mov_b32 v15, 0 :: v_dual_mov_b32 v22, 0
	;; [unrolled: 1-line block ×7, first 2 shown]
	s_mov_b32 s8, 0
	s_wait_xcnt 0x0
	s_and_saveexec_b32 s7, s0
	s_cbranch_execz .LBB344_31
; %bb.12:
	global_load_b32 v14, v[4:5], off offset:6144
	global_load_b32 v9, v[6:7], off offset:6144
	v_or_b32_e32 v10, 0x700, v0
	v_dual_mov_b32 v12, 0 :: v_dual_mov_b32 v19, 0
	v_dual_mov_b32 v15, 0 :: v_dual_mov_b32 v22, 0
	s_delay_alu instid0(VALU_DEP_3)
	v_cmp_gt_u32_e64 s0, s24, v10
	v_dual_mov_b32 v10, 0 :: v_dual_mov_b32 v17, 0
	v_dual_mov_b32 v20, 0 :: v_dual_mov_b32 v24, 0
	;; [unrolled: 1-line block ×6, first 2 shown]
	s_mov_b32 s9, 0
	s_wait_xcnt 0x0
	s_and_saveexec_b32 s8, s0
	s_cbranch_execz .LBB344_30
; %bb.13:
	global_load_b32 v17, v[4:5], off offset:7168
	global_load_b32 v10, v[6:7], off offset:7168
	v_or_b32_e32 v12, 0x800, v0
	v_dual_mov_b32 v15, 0 :: v_dual_mov_b32 v22, 0
	v_dual_mov_b32 v20, 0 :: v_dual_mov_b32 v24, 0
	s_delay_alu instid0(VALU_DEP_3)
	v_cmp_gt_u32_e64 s0, s24, v12
	v_dual_mov_b32 v12, 0 :: v_dual_mov_b32 v19, 0
	v_dual_mov_b32 v23, 0 :: v_dual_mov_b32 v29, 0
	;; [unrolled: 1-line block ×5, first 2 shown]
	s_mov_b32 s10, 0
	s_wait_xcnt 0x0
	s_and_saveexec_b32 s9, s0
	s_cbranch_execz .LBB344_29
; %bb.14:
	global_load_b32 v19, v[4:5], off offset:8192
	global_load_b32 v12, v[6:7], off offset:8192
	v_or_b32_e32 v15, 0x900, v0
	v_dual_mov_b32 v20, 0 :: v_dual_mov_b32 v24, 0
	v_dual_mov_b32 v23, 0 :: v_dual_mov_b32 v29, 0
	s_delay_alu instid0(VALU_DEP_3)
	v_cmp_gt_u32_e64 s0, s24, v15
	v_dual_mov_b32 v15, 0 :: v_dual_mov_b32 v22, 0
	v_dual_mov_b32 v28, 0 :: v_dual_mov_b32 v32, 0
	;; [unrolled: 1-line block ×4, first 2 shown]
	s_mov_b32 s11, 0
	s_wait_xcnt 0x0
	s_and_saveexec_b32 s10, s0
	s_cbranch_execz .LBB344_28
; %bb.15:
	global_load_b32 v22, v[4:5], off offset:9216
	global_load_b32 v15, v[6:7], off offset:9216
	v_or_b32_e32 v20, 0xa00, v0
	v_dual_mov_b32 v23, 0 :: v_dual_mov_b32 v29, 0
	v_dual_mov_b32 v28, 0 :: v_dual_mov_b32 v32, 0
	s_delay_alu instid0(VALU_DEP_3)
	v_cmp_gt_u32_e64 s0, s24, v20
	v_dual_mov_b32 v20, 0 :: v_dual_mov_b32 v24, 0
	v_dual_mov_b32 v33, 0 :: v_dual_mov_b32 v34, 0
	;; [unrolled: 1-line block ×3, first 2 shown]
	s_mov_b32 s12, 0
	s_wait_xcnt 0x0
	s_and_saveexec_b32 s11, s0
	s_cbranch_execz .LBB344_27
; %bb.16:
	global_load_b32 v24, v[4:5], off offset:10240
	global_load_b32 v20, v[6:7], off offset:10240
	v_or_b32_e32 v23, 0xb00, v0
	v_dual_mov_b32 v28, 0 :: v_dual_mov_b32 v32, 0
	v_dual_mov_b32 v33, 0 :: v_dual_mov_b32 v34, 0
	s_delay_alu instid0(VALU_DEP_3)
	v_cmp_gt_u32_e64 s0, s24, v23
	v_dual_mov_b32 v23, 0 :: v_dual_mov_b32 v29, 0
	v_dual_mov_b32 v35, 0 :: v_dual_mov_b32 v36, 0
	s_mov_b32 s13, 0
	s_wait_xcnt 0x0
	s_and_saveexec_b32 s12, s0
	s_cbranch_execz .LBB344_26
; %bb.17:
	global_load_b32 v29, v[4:5], off offset:11264
	global_load_b32 v23, v[6:7], off offset:11264
	v_or_b32_e32 v28, 0xc00, v0
	v_dual_mov_b32 v33, 0 :: v_dual_mov_b32 v34, 0
	v_dual_mov_b32 v35, 0 :: v_dual_mov_b32 v36, 0
	s_delay_alu instid0(VALU_DEP_3)
	v_cmp_gt_u32_e64 s0, s24, v28
	v_dual_mov_b32 v28, 0 :: v_dual_mov_b32 v32, 0
	s_mov_b32 s14, 0
	s_wait_xcnt 0x0
	s_and_saveexec_b32 s13, s0
	s_cbranch_execz .LBB344_25
; %bb.18:
	global_load_b32 v32, v[4:5], off offset:12288
	global_load_b32 v28, v[6:7], off offset:12288
	v_or_b32_e32 v33, 0xd00, v0
	v_dual_mov_b32 v35, 0 :: v_dual_mov_b32 v36, 0
	s_mov_b32 s18, 0
	v_mov_b32_e32 v34, 0
	s_delay_alu instid0(VALU_DEP_3)
	v_cmp_gt_u32_e64 s0, s24, v33
	v_mov_b32_e32 v33, 0
	s_wait_xcnt 0x0
	s_and_saveexec_b32 s14, s0
	s_cbranch_execz .LBB344_24
; %bb.19:
	global_load_b32 v34, v[4:5], off offset:13312
	global_load_b32 v33, v[6:7], off offset:13312
	v_or_b32_e32 v35, 0xe00, v0
	s_mov_b32 s19, 0
	v_mov_b32_e32 v36, 0
	s_delay_alu instid0(VALU_DEP_2)
	v_cmp_gt_u32_e64 s0, s24, v35
	v_mov_b32_e32 v35, 0
	s_wait_xcnt 0x0
	s_and_saveexec_b32 s18, s0
	s_cbranch_execz .LBB344_23
; %bb.20:
	global_load_b32 v36, v[4:5], off offset:14336
	global_load_b32 v35, v[6:7], off offset:14336
	v_or_b32_e32 v37, 0xf00, v0
	s_mov_b32 s21, 0
	s_mov_b32 s19, exec_lo
	s_wait_xcnt 0x0
	s_delay_alu instid0(VALU_DEP_1)
	v_cmpx_gt_u32_e64 s24, v37
	s_cbranch_execz .LBB344_22
; %bb.21:
	global_load_b32 v37, v[4:5], off offset:15360
	global_load_b32 v38, v[6:7], off offset:15360
	s_wait_loadcnt 0x0
	v_cmp_ne_u32_e64 s0, v37, v38
	s_and_b32 s21, s0, exec_lo
.LBB344_22:
	s_wait_xcnt 0x0
	s_or_b32 exec_lo, exec_lo, s19
	s_delay_alu instid0(SALU_CYCLE_1)
	s_and_b32 s19, s21, exec_lo
.LBB344_23:
	s_or_b32 exec_lo, exec_lo, s18
	s_delay_alu instid0(SALU_CYCLE_1)
	s_and_b32 s18, s19, exec_lo
.LBB344_24:
	s_or_b32 exec_lo, exec_lo, s14
	s_delay_alu instid0(SALU_CYCLE_1)
	s_and_b32 s14, s18, exec_lo
.LBB344_25:
	s_or_b32 exec_lo, exec_lo, s13
	s_delay_alu instid0(SALU_CYCLE_1)
	s_and_b32 s13, s14, exec_lo
.LBB344_26:
	s_or_b32 exec_lo, exec_lo, s12
	s_delay_alu instid0(SALU_CYCLE_1)
	s_and_b32 s12, s13, exec_lo
.LBB344_27:
	s_or_b32 exec_lo, exec_lo, s11
	s_delay_alu instid0(SALU_CYCLE_1)
	s_and_b32 s11, s12, exec_lo
.LBB344_28:
	s_or_b32 exec_lo, exec_lo, s10
	s_delay_alu instid0(SALU_CYCLE_1)
	s_and_b32 s10, s11, exec_lo
.LBB344_29:
	s_or_b32 exec_lo, exec_lo, s9
	s_delay_alu instid0(SALU_CYCLE_1)
	s_and_b32 s9, s10, exec_lo
.LBB344_30:
	s_or_b32 exec_lo, exec_lo, s8
	s_delay_alu instid0(SALU_CYCLE_1)
	s_and_b32 s8, s9, exec_lo
.LBB344_31:
	s_or_b32 exec_lo, exec_lo, s7
	s_delay_alu instid0(SALU_CYCLE_1)
	s_and_b32 s7, s8, exec_lo
.LBB344_32:
	s_or_b32 exec_lo, exec_lo, s6
	s_delay_alu instid0(SALU_CYCLE_1)
	s_and_b32 s6, s7, exec_lo
.LBB344_33:
	s_or_b32 exec_lo, exec_lo, s5
	s_delay_alu instid0(SALU_CYCLE_1)
	s_and_b32 s5, s6, exec_lo
.LBB344_34:
	s_or_b32 exec_lo, exec_lo, s4
	s_wait_loadcnt 0x0
	v_dual_mov_b32 v4, v3 :: v_dual_mov_b32 v3, v2
	s_and_b32 s4, s5, exec_lo
.LBB344_35:
	s_or_b32 exec_lo, exec_lo, s3
	s_delay_alu instid0(SALU_CYCLE_1)
	s_and_b32 s3, s4, exec_lo
.LBB344_36:
	s_or_b32 exec_lo, exec_lo, s2
	s_delay_alu instid0(SALU_CYCLE_1)
	s_and_b32 s0, s3, exec_lo
.LBB344_37:
	s_or_b32 exec_lo, exec_lo, s1
	s_cmp_eq_u32 s15, 0
	s_cselect_b32 s1, -1, 0
	s_and_saveexec_b32 s2, vcc_lo
	s_cbranch_execnz .LBB344_55
; %bb.38:
	s_or_b32 exec_lo, exec_lo, s2
	s_delay_alu instid0(SALU_CYCLE_1)
	s_mov_b32 s2, exec_lo
	v_cmpx_gt_i32_e64 s24, v0
	s_cbranch_execnz .LBB344_56
.LBB344_39:
	s_or_b32 exec_lo, exec_lo, s2
	s_delay_alu instid0(SALU_CYCLE_1)
	s_mov_b32 s2, exec_lo
	v_cmpx_gt_i32_e64 s24, v0
	s_cbranch_execnz .LBB344_57
.LBB344_40:
	s_or_b32 exec_lo, exec_lo, s2
	s_delay_alu instid0(SALU_CYCLE_1)
	s_mov_b32 s2, exec_lo
	v_cmpx_gt_i32_e64 s24, v0
	s_cbranch_execnz .LBB344_58
.LBB344_41:
	s_or_b32 exec_lo, exec_lo, s2
	s_delay_alu instid0(SALU_CYCLE_1)
	s_mov_b32 s2, exec_lo
	v_cmpx_gt_i32_e64 s24, v0
	s_cbranch_execnz .LBB344_59
.LBB344_42:
	s_or_b32 exec_lo, exec_lo, s2
	s_delay_alu instid0(SALU_CYCLE_1)
	s_mov_b32 s2, exec_lo
	v_cmpx_gt_i32_e64 s24, v0
	s_cbranch_execnz .LBB344_60
.LBB344_43:
	s_or_b32 exec_lo, exec_lo, s2
	s_delay_alu instid0(SALU_CYCLE_1)
	s_mov_b32 s2, exec_lo
	v_cmpx_gt_i32_e64 s24, v0
	s_cbranch_execnz .LBB344_61
.LBB344_44:
	s_or_b32 exec_lo, exec_lo, s2
	s_delay_alu instid0(SALU_CYCLE_1)
	s_mov_b32 s2, exec_lo
	v_cmpx_gt_i32_e64 s24, v0
	s_cbranch_execnz .LBB344_62
.LBB344_45:
	s_or_b32 exec_lo, exec_lo, s2
	s_delay_alu instid0(SALU_CYCLE_1)
	s_mov_b32 s2, exec_lo
	v_cmpx_gt_i32_e64 s24, v0
	s_cbranch_execnz .LBB344_63
.LBB344_46:
	s_or_b32 exec_lo, exec_lo, s2
	s_delay_alu instid0(SALU_CYCLE_1)
	s_mov_b32 s2, exec_lo
	v_cmpx_gt_i32_e64 s24, v0
	s_cbranch_execnz .LBB344_64
.LBB344_47:
	s_or_b32 exec_lo, exec_lo, s2
	s_delay_alu instid0(SALU_CYCLE_1)
	s_mov_b32 s2, exec_lo
	v_cmpx_gt_i32_e64 s24, v0
	s_cbranch_execnz .LBB344_65
.LBB344_48:
	s_or_b32 exec_lo, exec_lo, s2
	s_delay_alu instid0(SALU_CYCLE_1)
	s_mov_b32 s2, exec_lo
	v_cmpx_gt_i32_e64 s24, v0
	s_cbranch_execnz .LBB344_66
.LBB344_49:
	s_or_b32 exec_lo, exec_lo, s2
	s_delay_alu instid0(SALU_CYCLE_1)
	s_mov_b32 s2, exec_lo
	v_cmpx_gt_i32_e64 s24, v0
	s_cbranch_execnz .LBB344_67
.LBB344_50:
	s_or_b32 exec_lo, exec_lo, s2
	s_delay_alu instid0(SALU_CYCLE_1)
	s_mov_b32 s2, exec_lo
	v_cmpx_gt_i32_e64 s24, v0
	s_cbranch_execnz .LBB344_68
.LBB344_51:
	s_or_b32 exec_lo, exec_lo, s2
	s_delay_alu instid0(SALU_CYCLE_1)
	s_mov_b32 s2, exec_lo
	v_cmpx_gt_i32_e64 s24, v0
	s_cbranch_execnz .LBB344_69
.LBB344_52:
	s_or_b32 exec_lo, exec_lo, s2
	s_delay_alu instid0(SALU_CYCLE_1)
	s_mov_b32 s2, exec_lo
	v_cmpx_gt_i32_e64 s24, v0
	s_cbranch_execz .LBB344_54
.LBB344_53:
	s_xor_b32 s0, s1, s0
	v_add_nc_u32_e32 v0, s20, v0
	v_cndmask_b32_e64 v1, 0, 1, s0
	global_store_b8 v0, v1, s[16:17]
.LBB344_54:
	s_endpgm
.LBB344_55:
	s_wait_loadcnt 0x0
	v_cmp_ne_u32_e32 vcc_lo, v30, v31
	v_mov_b32_e32 v0, v1
	s_xor_b32 s3, s1, vcc_lo
	s_delay_alu instid0(SALU_CYCLE_1) | instskip(SKIP_3) | instid1(SALU_CYCLE_1)
	v_cndmask_b32_e64 v2, 0, 1, s3
	global_store_b8 v8, v2, s[16:17]
	s_wait_xcnt 0x0
	s_or_b32 exec_lo, exec_lo, s2
	s_mov_b32 s2, exec_lo
	v_cmpx_gt_i32_e64 s24, v0
	s_cbranch_execz .LBB344_39
.LBB344_56:
	s_wait_loadcnt 0x0
	v_cmp_ne_u32_e32 vcc_lo, v27, v26
	v_add_nc_u32_e32 v2, s20, v0
	v_add_nc_u32_e32 v0, 0x100, v0
	s_xor_b32 s3, s1, vcc_lo
	s_delay_alu instid0(SALU_CYCLE_1) | instskip(SKIP_3) | instid1(SALU_CYCLE_1)
	v_cndmask_b32_e64 v1, 0, 1, s3
	global_store_b8 v2, v1, s[16:17]
	s_wait_xcnt 0x0
	s_or_b32 exec_lo, exec_lo, s2
	s_mov_b32 s2, exec_lo
	v_cmpx_gt_i32_e64 s24, v0
	s_cbranch_execz .LBB344_40
.LBB344_57:
	v_cmp_ne_u32_e32 vcc_lo, v25, v3
	v_add_nc_u32_e32 v2, s20, v0
	v_add_nc_u32_e32 v0, 0x100, v0
	s_xor_b32 s3, s1, vcc_lo
	s_delay_alu instid0(SALU_CYCLE_1) | instskip(SKIP_3) | instid1(SALU_CYCLE_1)
	v_cndmask_b32_e64 v1, 0, 1, s3
	global_store_b8 v2, v1, s[16:17]
	s_wait_xcnt 0x0
	s_or_b32 exec_lo, exec_lo, s2
	s_mov_b32 s2, exec_lo
	v_cmpx_gt_i32_e64 s24, v0
	s_cbranch_execz .LBB344_41
.LBB344_58:
	v_cmp_ne_u32_e32 vcc_lo, v21, v4
	v_add_nc_u32_e32 v2, s20, v0
	v_add_nc_u32_e32 v0, 0x100, v0
	s_xor_b32 s3, s1, vcc_lo
	s_delay_alu instid0(SALU_CYCLE_1) | instskip(SKIP_3) | instid1(SALU_CYCLE_1)
	v_cndmask_b32_e64 v1, 0, 1, s3
	global_store_b8 v2, v1, s[16:17]
	s_wait_xcnt 0x0
	s_or_b32 exec_lo, exec_lo, s2
	s_mov_b32 s2, exec_lo
	v_cmpx_gt_i32_e64 s24, v0
	s_cbranch_execz .LBB344_42
.LBB344_59:
	v_cmp_ne_u32_e32 vcc_lo, v18, v13
	v_add_nc_u32_e32 v2, s20, v0
	v_add_nc_u32_e32 v0, 0x100, v0
	s_xor_b32 s3, s1, vcc_lo
	s_delay_alu instid0(SALU_CYCLE_1) | instskip(SKIP_3) | instid1(SALU_CYCLE_1)
	v_cndmask_b32_e64 v1, 0, 1, s3
	global_store_b8 v2, v1, s[16:17]
	s_wait_xcnt 0x0
	s_or_b32 exec_lo, exec_lo, s2
	s_mov_b32 s2, exec_lo
	v_cmpx_gt_i32_e64 s24, v0
	s_cbranch_execz .LBB344_43
.LBB344_60:
	v_cmp_ne_u32_e32 vcc_lo, v16, v11
	v_add_nc_u32_e32 v2, s20, v0
	v_add_nc_u32_e32 v0, 0x100, v0
	s_xor_b32 s3, s1, vcc_lo
	s_delay_alu instid0(SALU_CYCLE_1) | instskip(SKIP_3) | instid1(SALU_CYCLE_1)
	v_cndmask_b32_e64 v1, 0, 1, s3
	global_store_b8 v2, v1, s[16:17]
	s_wait_xcnt 0x0
	s_or_b32 exec_lo, exec_lo, s2
	s_mov_b32 s2, exec_lo
	v_cmpx_gt_i32_e64 s24, v0
	s_cbranch_execz .LBB344_44
.LBB344_61:
	v_cmp_ne_u32_e32 vcc_lo, v14, v9
	v_add_nc_u32_e32 v2, s20, v0
	v_add_nc_u32_e32 v0, 0x100, v0
	s_xor_b32 s3, s1, vcc_lo
	s_delay_alu instid0(SALU_CYCLE_1) | instskip(SKIP_3) | instid1(SALU_CYCLE_1)
	v_cndmask_b32_e64 v1, 0, 1, s3
	global_store_b8 v2, v1, s[16:17]
	s_wait_xcnt 0x0
	s_or_b32 exec_lo, exec_lo, s2
	s_mov_b32 s2, exec_lo
	v_cmpx_gt_i32_e64 s24, v0
	s_cbranch_execz .LBB344_45
.LBB344_62:
	v_cmp_ne_u32_e32 vcc_lo, v17, v10
	v_add_nc_u32_e32 v2, s20, v0
	v_add_nc_u32_e32 v0, 0x100, v0
	s_xor_b32 s3, s1, vcc_lo
	s_delay_alu instid0(SALU_CYCLE_1) | instskip(SKIP_3) | instid1(SALU_CYCLE_1)
	v_cndmask_b32_e64 v1, 0, 1, s3
	global_store_b8 v2, v1, s[16:17]
	s_wait_xcnt 0x0
	s_or_b32 exec_lo, exec_lo, s2
	s_mov_b32 s2, exec_lo
	v_cmpx_gt_i32_e64 s24, v0
	s_cbranch_execz .LBB344_46
.LBB344_63:
	v_cmp_ne_u32_e32 vcc_lo, v19, v12
	v_add_nc_u32_e32 v2, s20, v0
	v_add_nc_u32_e32 v0, 0x100, v0
	s_xor_b32 s3, s1, vcc_lo
	s_delay_alu instid0(SALU_CYCLE_1) | instskip(SKIP_3) | instid1(SALU_CYCLE_1)
	v_cndmask_b32_e64 v1, 0, 1, s3
	global_store_b8 v2, v1, s[16:17]
	s_wait_xcnt 0x0
	s_or_b32 exec_lo, exec_lo, s2
	s_mov_b32 s2, exec_lo
	v_cmpx_gt_i32_e64 s24, v0
	s_cbranch_execz .LBB344_47
.LBB344_64:
	v_cmp_ne_u32_e32 vcc_lo, v22, v15
	v_add_nc_u32_e32 v2, s20, v0
	v_add_nc_u32_e32 v0, 0x100, v0
	s_xor_b32 s3, s1, vcc_lo
	s_delay_alu instid0(SALU_CYCLE_1) | instskip(SKIP_3) | instid1(SALU_CYCLE_1)
	v_cndmask_b32_e64 v1, 0, 1, s3
	global_store_b8 v2, v1, s[16:17]
	s_wait_xcnt 0x0
	s_or_b32 exec_lo, exec_lo, s2
	s_mov_b32 s2, exec_lo
	v_cmpx_gt_i32_e64 s24, v0
	s_cbranch_execz .LBB344_48
.LBB344_65:
	v_cmp_ne_u32_e32 vcc_lo, v24, v20
	v_add_nc_u32_e32 v2, s20, v0
	v_add_nc_u32_e32 v0, 0x100, v0
	s_xor_b32 s3, s1, vcc_lo
	s_delay_alu instid0(SALU_CYCLE_1) | instskip(SKIP_3) | instid1(SALU_CYCLE_1)
	v_cndmask_b32_e64 v1, 0, 1, s3
	global_store_b8 v2, v1, s[16:17]
	s_wait_xcnt 0x0
	s_or_b32 exec_lo, exec_lo, s2
	s_mov_b32 s2, exec_lo
	v_cmpx_gt_i32_e64 s24, v0
	s_cbranch_execz .LBB344_49
.LBB344_66:
	v_cmp_ne_u32_e32 vcc_lo, v29, v23
	v_add_nc_u32_e32 v2, s20, v0
	v_add_nc_u32_e32 v0, 0x100, v0
	s_xor_b32 s3, s1, vcc_lo
	s_delay_alu instid0(SALU_CYCLE_1) | instskip(SKIP_3) | instid1(SALU_CYCLE_1)
	v_cndmask_b32_e64 v1, 0, 1, s3
	global_store_b8 v2, v1, s[16:17]
	s_wait_xcnt 0x0
	s_or_b32 exec_lo, exec_lo, s2
	s_mov_b32 s2, exec_lo
	v_cmpx_gt_i32_e64 s24, v0
	s_cbranch_execz .LBB344_50
.LBB344_67:
	v_cmp_ne_u32_e32 vcc_lo, v32, v28
	v_add_nc_u32_e32 v2, s20, v0
	v_add_nc_u32_e32 v0, 0x100, v0
	s_xor_b32 s3, s1, vcc_lo
	s_delay_alu instid0(SALU_CYCLE_1) | instskip(SKIP_3) | instid1(SALU_CYCLE_1)
	v_cndmask_b32_e64 v1, 0, 1, s3
	global_store_b8 v2, v1, s[16:17]
	s_wait_xcnt 0x0
	s_or_b32 exec_lo, exec_lo, s2
	s_mov_b32 s2, exec_lo
	v_cmpx_gt_i32_e64 s24, v0
	s_cbranch_execz .LBB344_51
.LBB344_68:
	v_cmp_ne_u32_e32 vcc_lo, v34, v33
	v_add_nc_u32_e32 v2, s20, v0
	v_add_nc_u32_e32 v0, 0x100, v0
	s_xor_b32 s3, s1, vcc_lo
	s_delay_alu instid0(SALU_CYCLE_1) | instskip(SKIP_3) | instid1(SALU_CYCLE_1)
	v_cndmask_b32_e64 v1, 0, 1, s3
	global_store_b8 v2, v1, s[16:17]
	s_wait_xcnt 0x0
	s_or_b32 exec_lo, exec_lo, s2
	s_mov_b32 s2, exec_lo
	v_cmpx_gt_i32_e64 s24, v0
	s_cbranch_execz .LBB344_52
.LBB344_69:
	v_cmp_ne_u32_e32 vcc_lo, v36, v35
	v_add_nc_u32_e32 v2, s20, v0
	v_add_nc_u32_e32 v0, 0x100, v0
	s_xor_b32 s3, s1, vcc_lo
	s_delay_alu instid0(SALU_CYCLE_1) | instskip(SKIP_3) | instid1(SALU_CYCLE_1)
	v_cndmask_b32_e64 v1, 0, 1, s3
	global_store_b8 v2, v1, s[16:17]
	s_wait_xcnt 0x0
	s_or_b32 exec_lo, exec_lo, s2
	s_mov_b32 s2, exec_lo
	v_cmpx_gt_i32_e64 s24, v0
	s_cbranch_execnz .LBB344_53
	s_branch .LBB344_54
	.section	.rodata,"a",@progbits
	.p2align	6, 0x0
	.amdhsa_kernel _ZN2at6native29vectorized_elementwise_kernelILi2ENS0_13BinaryFunctorIjjbNS0_12_GLOBAL__N_116CompareEqFunctorIjEEEESt5arrayIPcLm3EEEEviT0_T1_
		.amdhsa_group_segment_fixed_size 0
		.amdhsa_private_segment_fixed_size 0
		.amdhsa_kernarg_size 32
		.amdhsa_user_sgpr_count 2
		.amdhsa_user_sgpr_dispatch_ptr 0
		.amdhsa_user_sgpr_queue_ptr 0
		.amdhsa_user_sgpr_kernarg_segment_ptr 1
		.amdhsa_user_sgpr_dispatch_id 0
		.amdhsa_user_sgpr_kernarg_preload_length 0
		.amdhsa_user_sgpr_kernarg_preload_offset 0
		.amdhsa_user_sgpr_private_segment_size 0
		.amdhsa_wavefront_size32 1
		.amdhsa_uses_dynamic_stack 0
		.amdhsa_enable_private_segment 0
		.amdhsa_system_sgpr_workgroup_id_x 1
		.amdhsa_system_sgpr_workgroup_id_y 0
		.amdhsa_system_sgpr_workgroup_id_z 0
		.amdhsa_system_sgpr_workgroup_info 0
		.amdhsa_system_vgpr_workitem_id 0
		.amdhsa_next_free_vgpr 39
		.amdhsa_next_free_sgpr 29
		.amdhsa_named_barrier_count 0
		.amdhsa_reserve_vcc 1
		.amdhsa_float_round_mode_32 0
		.amdhsa_float_round_mode_16_64 0
		.amdhsa_float_denorm_mode_32 3
		.amdhsa_float_denorm_mode_16_64 3
		.amdhsa_fp16_overflow 0
		.amdhsa_memory_ordered 1
		.amdhsa_forward_progress 1
		.amdhsa_inst_pref_size 37
		.amdhsa_round_robin_scheduling 0
		.amdhsa_exception_fp_ieee_invalid_op 0
		.amdhsa_exception_fp_denorm_src 0
		.amdhsa_exception_fp_ieee_div_zero 0
		.amdhsa_exception_fp_ieee_overflow 0
		.amdhsa_exception_fp_ieee_underflow 0
		.amdhsa_exception_fp_ieee_inexact 0
		.amdhsa_exception_int_div_zero 0
	.end_amdhsa_kernel
	.section	.text._ZN2at6native29vectorized_elementwise_kernelILi2ENS0_13BinaryFunctorIjjbNS0_12_GLOBAL__N_116CompareEqFunctorIjEEEESt5arrayIPcLm3EEEEviT0_T1_,"axG",@progbits,_ZN2at6native29vectorized_elementwise_kernelILi2ENS0_13BinaryFunctorIjjbNS0_12_GLOBAL__N_116CompareEqFunctorIjEEEESt5arrayIPcLm3EEEEviT0_T1_,comdat
.Lfunc_end344:
	.size	_ZN2at6native29vectorized_elementwise_kernelILi2ENS0_13BinaryFunctorIjjbNS0_12_GLOBAL__N_116CompareEqFunctorIjEEEESt5arrayIPcLm3EEEEviT0_T1_, .Lfunc_end344-_ZN2at6native29vectorized_elementwise_kernelILi2ENS0_13BinaryFunctorIjjbNS0_12_GLOBAL__N_116CompareEqFunctorIjEEEESt5arrayIPcLm3EEEEviT0_T1_
                                        ; -- End function
	.set _ZN2at6native29vectorized_elementwise_kernelILi2ENS0_13BinaryFunctorIjjbNS0_12_GLOBAL__N_116CompareEqFunctorIjEEEESt5arrayIPcLm3EEEEviT0_T1_.num_vgpr, 39
	.set _ZN2at6native29vectorized_elementwise_kernelILi2ENS0_13BinaryFunctorIjjbNS0_12_GLOBAL__N_116CompareEqFunctorIjEEEESt5arrayIPcLm3EEEEviT0_T1_.num_agpr, 0
	.set _ZN2at6native29vectorized_elementwise_kernelILi2ENS0_13BinaryFunctorIjjbNS0_12_GLOBAL__N_116CompareEqFunctorIjEEEESt5arrayIPcLm3EEEEviT0_T1_.numbered_sgpr, 29
	.set _ZN2at6native29vectorized_elementwise_kernelILi2ENS0_13BinaryFunctorIjjbNS0_12_GLOBAL__N_116CompareEqFunctorIjEEEESt5arrayIPcLm3EEEEviT0_T1_.num_named_barrier, 0
	.set _ZN2at6native29vectorized_elementwise_kernelILi2ENS0_13BinaryFunctorIjjbNS0_12_GLOBAL__N_116CompareEqFunctorIjEEEESt5arrayIPcLm3EEEEviT0_T1_.private_seg_size, 0
	.set _ZN2at6native29vectorized_elementwise_kernelILi2ENS0_13BinaryFunctorIjjbNS0_12_GLOBAL__N_116CompareEqFunctorIjEEEESt5arrayIPcLm3EEEEviT0_T1_.uses_vcc, 1
	.set _ZN2at6native29vectorized_elementwise_kernelILi2ENS0_13BinaryFunctorIjjbNS0_12_GLOBAL__N_116CompareEqFunctorIjEEEESt5arrayIPcLm3EEEEviT0_T1_.uses_flat_scratch, 0
	.set _ZN2at6native29vectorized_elementwise_kernelILi2ENS0_13BinaryFunctorIjjbNS0_12_GLOBAL__N_116CompareEqFunctorIjEEEESt5arrayIPcLm3EEEEviT0_T1_.has_dyn_sized_stack, 0
	.set _ZN2at6native29vectorized_elementwise_kernelILi2ENS0_13BinaryFunctorIjjbNS0_12_GLOBAL__N_116CompareEqFunctorIjEEEESt5arrayIPcLm3EEEEviT0_T1_.has_recursion, 0
	.set _ZN2at6native29vectorized_elementwise_kernelILi2ENS0_13BinaryFunctorIjjbNS0_12_GLOBAL__N_116CompareEqFunctorIjEEEESt5arrayIPcLm3EEEEviT0_T1_.has_indirect_call, 0
	.section	.AMDGPU.csdata,"",@progbits
; Kernel info:
; codeLenInByte = 4636
; TotalNumSgprs: 31
; NumVgprs: 39
; ScratchSize: 0
; MemoryBound: 0
; FloatMode: 240
; IeeeMode: 1
; LDSByteSize: 0 bytes/workgroup (compile time only)
; SGPRBlocks: 0
; VGPRBlocks: 2
; NumSGPRsForWavesPerEU: 31
; NumVGPRsForWavesPerEU: 39
; NamedBarCnt: 0
; Occupancy: 16
; WaveLimiterHint : 1
; COMPUTE_PGM_RSRC2:SCRATCH_EN: 0
; COMPUTE_PGM_RSRC2:USER_SGPR: 2
; COMPUTE_PGM_RSRC2:TRAP_HANDLER: 0
; COMPUTE_PGM_RSRC2:TGID_X_EN: 1
; COMPUTE_PGM_RSRC2:TGID_Y_EN: 0
; COMPUTE_PGM_RSRC2:TGID_Z_EN: 0
; COMPUTE_PGM_RSRC2:TIDIG_COMP_CNT: 0
	.section	.text._ZN2at6native27unrolled_elementwise_kernelINS0_13BinaryFunctorIjjbNS0_12_GLOBAL__N_116CompareEqFunctorIjEEEESt5arrayIPcLm3EELi4E23TrivialOffsetCalculatorILi2EjESA_ILi1EjENS0_6memory15LoadWithoutCastENSD_16StoreWithoutCastEEEviT_T0_T2_T3_T4_T5_,"axG",@progbits,_ZN2at6native27unrolled_elementwise_kernelINS0_13BinaryFunctorIjjbNS0_12_GLOBAL__N_116CompareEqFunctorIjEEEESt5arrayIPcLm3EELi4E23TrivialOffsetCalculatorILi2EjESA_ILi1EjENS0_6memory15LoadWithoutCastENSD_16StoreWithoutCastEEEviT_T0_T2_T3_T4_T5_,comdat
	.globl	_ZN2at6native27unrolled_elementwise_kernelINS0_13BinaryFunctorIjjbNS0_12_GLOBAL__N_116CompareEqFunctorIjEEEESt5arrayIPcLm3EELi4E23TrivialOffsetCalculatorILi2EjESA_ILi1EjENS0_6memory15LoadWithoutCastENSD_16StoreWithoutCastEEEviT_T0_T2_T3_T4_T5_ ; -- Begin function _ZN2at6native27unrolled_elementwise_kernelINS0_13BinaryFunctorIjjbNS0_12_GLOBAL__N_116CompareEqFunctorIjEEEESt5arrayIPcLm3EELi4E23TrivialOffsetCalculatorILi2EjESA_ILi1EjENS0_6memory15LoadWithoutCastENSD_16StoreWithoutCastEEEviT_T0_T2_T3_T4_T5_
	.p2align	8
	.type	_ZN2at6native27unrolled_elementwise_kernelINS0_13BinaryFunctorIjjbNS0_12_GLOBAL__N_116CompareEqFunctorIjEEEESt5arrayIPcLm3EELi4E23TrivialOffsetCalculatorILi2EjESA_ILi1EjENS0_6memory15LoadWithoutCastENSD_16StoreWithoutCastEEEviT_T0_T2_T3_T4_T5_,@function
_ZN2at6native27unrolled_elementwise_kernelINS0_13BinaryFunctorIjjbNS0_12_GLOBAL__N_116CompareEqFunctorIjEEEESt5arrayIPcLm3EELi4E23TrivialOffsetCalculatorILi2EjESA_ILi1EjENS0_6memory15LoadWithoutCastENSD_16StoreWithoutCastEEEviT_T0_T2_T3_T4_T5_: ; @_ZN2at6native27unrolled_elementwise_kernelINS0_13BinaryFunctorIjjbNS0_12_GLOBAL__N_116CompareEqFunctorIjEEEESt5arrayIPcLm3EELi4E23TrivialOffsetCalculatorILi2EjESA_ILi1EjENS0_6memory15LoadWithoutCastENSD_16StoreWithoutCastEEEviT_T0_T2_T3_T4_T5_
; %bb.0:
	s_load_b64 s[2:3], s[0:1], 0x0
	s_bfe_u32 s10, ttmp6, 0x4000c
	s_clause 0x1
	s_load_b128 s[4:7], s[0:1], 0x8
	s_load_b64 s[8:9], s[0:1], 0x18
	s_add_co_i32 s10, s10, 1
	s_wait_xcnt 0x0
	s_and_b32 s0, ttmp6, 15
	s_mul_i32 s1, ttmp9, s10
	s_getreg_b32 s10, hwreg(HW_REG_IB_STS2, 6, 4)
	s_add_co_i32 s0, s0, s1
	s_cmp_eq_u32 s10, 0
	v_or_b32_e32 v1, 0x100, v0
	s_cselect_b32 s0, ttmp9, s0
	s_mov_b32 s11, 0
	s_lshl_b32 s10, s0, 10
	s_wait_kmcnt 0x0
	s_sub_co_i32 s2, s2, s10
	s_delay_alu instid0(SALU_CYCLE_1) | instskip(SKIP_2) | instid1(SALU_CYCLE_1)
	v_cmp_le_i32_e64 s0, s2, v0
	v_cmp_gt_i32_e32 vcc_lo, s2, v0
	s_and_saveexec_b32 s1, s0
	s_xor_b32 s0, exec_lo, s1
; %bb.1:
	v_or_b32_e32 v1, 0x100, v0
; %bb.2:
	s_or_saveexec_b32 s1, s0
	v_dual_mov_b32 v3, 0 :: v_dual_bitop2_b32 v2, s10, v0 bitop3:0x54
	v_dual_mov_b32 v4, 0 :: v_dual_mov_b32 v7, 0
	v_dual_mov_b32 v6, 0 :: v_dual_mov_b32 v5, 0
	v_mov_b32_e32 v8, 0
	s_xor_b32 exec_lo, exec_lo, s1
	s_cbranch_execz .LBB345_10
; %bb.3:
	s_clause 0x1
	global_load_b32 v5, v2, s[6:7] scale_offset
	global_load_b32 v8, v2, s[8:9] scale_offset
	v_dual_mov_b32 v6, 0 :: v_dual_mov_b32 v7, 0
	v_dual_mov_b32 v4, 0 :: v_dual_mov_b32 v3, 0
	s_mov_b32 s12, 0
	s_mov_b32 s11, exec_lo
	s_wait_xcnt 0x0
	v_cmpx_gt_u32_e64 s2, v1
	s_cbranch_execz .LBB345_9
; %bb.4:
	v_dual_mov_b32 v4, 0 :: v_dual_add_nc_u32 v3, s10, v1
	v_or_b32_e32 v9, 0x200, v0
	s_mov_b32 s13, 0
	s_mov_b32 s12, exec_lo
	s_clause 0x1
	global_load_b32 v7, v3, s[6:7] scale_offset
	global_load_b32 v6, v3, s[8:9] scale_offset
	s_wait_xcnt 0x0
	v_mov_b32_e32 v3, 0
	v_cmpx_gt_u32_e64 s2, v9
	s_cbranch_execz .LBB345_8
; %bb.5:
	v_add_nc_u32_e32 v9, s10, v9
	s_mov_b32 s14, 0
	s_mov_b32 s13, exec_lo
	s_clause 0x1
	global_load_b32 v3, v9, s[6:7] scale_offset
	global_load_b32 v4, v9, s[8:9] scale_offset
	s_wait_xcnt 0x0
	v_or_b32_e32 v9, 0x300, v0
	s_delay_alu instid0(VALU_DEP_1)
	v_cmpx_gt_u32_e64 s2, v9
	s_cbranch_execz .LBB345_7
; %bb.6:
	v_add_nc_u32_e32 v9, s10, v9
	s_clause 0x1
	global_load_b32 v10, v9, s[6:7] scale_offset
	global_load_b32 v11, v9, s[8:9] scale_offset
	s_wait_loadcnt 0x0
	v_cmp_ne_u32_e64 s0, v10, v11
	s_and_b32 s14, s0, exec_lo
.LBB345_7:
	s_or_b32 exec_lo, exec_lo, s13
	s_delay_alu instid0(SALU_CYCLE_1)
	s_and_b32 s13, s14, exec_lo
.LBB345_8:
	s_or_b32 exec_lo, exec_lo, s12
	s_delay_alu instid0(SALU_CYCLE_1)
	s_and_b32 s12, s13, exec_lo
.LBB345_9:
	s_or_b32 exec_lo, exec_lo, s11
	s_delay_alu instid0(SALU_CYCLE_1)
	s_and_b32 s11, s12, exec_lo
.LBB345_10:
	s_or_b32 exec_lo, exec_lo, s1
	s_wait_loadcnt 0x0
	v_cmp_ne_u32_e64 s0, v5, v8
	s_cmp_eq_u32 s3, 0
	v_cmp_ne_u32_e64 s1, v7, v6
	s_cselect_b32 s3, -1, 0
	s_delay_alu instid0(SALU_CYCLE_1) | instskip(NEXT) | instid1(SALU_CYCLE_1)
	s_xor_b32 s0, s3, s0
	v_cndmask_b32_e64 v5, 0, 1, s0
	s_xor_b32 s0, s3, s1
	s_delay_alu instid0(SALU_CYCLE_1) | instskip(SKIP_1) | instid1(VALU_DEP_2)
	v_cndmask_b32_e64 v6, 0, 1, s0
	v_cmp_ne_u32_e64 s0, v3, v4
	v_lshlrev_b16 v6, 8, v6
	s_xor_b32 s0, s3, s0
	s_delay_alu instid0(SALU_CYCLE_1) | instskip(SKIP_2) | instid1(VALU_DEP_2)
	v_cndmask_b32_e64 v4, 0, 1, s0
	v_cndmask_b32_e32 v5, 0, v5, vcc_lo
	v_cmp_gt_i32_e64 s0, s2, v1
	v_dual_lshlrev_b32 v4, 16, v4 :: v_dual_bitop2_b32 v3, v5, v6 bitop3:0x54
	s_delay_alu instid0(VALU_DEP_1) | instskip(NEXT) | instid1(VALU_DEP_1)
	v_and_b32_e32 v3, 0xffff, v3
	v_cndmask_b32_e64 v3, v5, v3, s0
	v_or_b32_e32 v5, 0x200, v0
	s_delay_alu instid0(VALU_DEP_2) | instskip(NEXT) | instid1(VALU_DEP_2)
	v_or_b32_e32 v4, v3, v4
	v_cmp_gt_i32_e64 s0, s2, v5
	s_delay_alu instid0(VALU_DEP_1) | instskip(SKIP_1) | instid1(SALU_CYCLE_1)
	v_cndmask_b32_e64 v3, v3, v4, s0
	s_xor_b32 s0, s3, s11
	v_cndmask_b32_e64 v4, 0, 1, s0
	s_delay_alu instid0(VALU_DEP_2) | instskip(NEXT) | instid1(VALU_DEP_2)
	v_lshrrev_b32_e32 v5, 16, v3
	v_lshlrev_b16 v4, 8, v4
	s_delay_alu instid0(VALU_DEP_1) | instskip(SKIP_1) | instid1(VALU_DEP_2)
	v_bitop3_b16 v4, v5, v4, 0xff bitop3:0xec
	v_or_b32_e32 v5, 0x300, v0
	v_lshlrev_b32_e32 v4, 16, v4
	s_delay_alu instid0(VALU_DEP_2) | instskip(NEXT) | instid1(VALU_DEP_2)
	v_cmp_gt_i32_e64 s0, s2, v5
	v_and_or_b32 v4, 0xffff, v3, v4
	s_delay_alu instid0(VALU_DEP_1)
	v_cndmask_b32_e64 v3, v3, v4, s0
	s_and_saveexec_b32 s0, vcc_lo
	s_cbranch_execnz .LBB345_15
; %bb.11:
	s_or_b32 exec_lo, exec_lo, s0
	s_delay_alu instid0(SALU_CYCLE_1)
	s_mov_b32 s0, exec_lo
	v_cmpx_gt_i32_e64 s2, v0
	s_cbranch_execnz .LBB345_16
.LBB345_12:
	s_or_b32 exec_lo, exec_lo, s0
	s_delay_alu instid0(SALU_CYCLE_1)
	s_mov_b32 s0, exec_lo
	v_cmpx_gt_i32_e64 s2, v0
	s_cbranch_execnz .LBB345_17
.LBB345_13:
	s_or_b32 exec_lo, exec_lo, s0
	s_delay_alu instid0(SALU_CYCLE_1)
	s_mov_b32 s0, exec_lo
	v_cmpx_gt_i32_e64 s2, v0
	s_cbranch_execnz .LBB345_18
.LBB345_14:
	s_endpgm
.LBB345_15:
	v_mov_b32_e32 v0, v1
	global_store_b8 v2, v3, s[4:5]
	s_wait_xcnt 0x0
	s_or_b32 exec_lo, exec_lo, s0
	s_delay_alu instid0(SALU_CYCLE_1)
	s_mov_b32 s0, exec_lo
	v_cmpx_gt_i32_e64 s2, v0
	s_cbranch_execz .LBB345_12
.LBB345_16:
	v_add_nc_u32_e32 v1, 0x100, v0
	v_dual_add_nc_u32 v2, s10, v0 :: v_dual_lshrrev_b32 v4, 8, v3
	s_delay_alu instid0(VALU_DEP_2) | instskip(SKIP_3) | instid1(SALU_CYCLE_1)
	v_mov_b32_e32 v0, v1
	global_store_b8 v2, v4, s[4:5]
	s_wait_xcnt 0x0
	s_or_b32 exec_lo, exec_lo, s0
	s_mov_b32 s0, exec_lo
	v_cmpx_gt_i32_e64 s2, v0
	s_cbranch_execz .LBB345_13
.LBB345_17:
	v_add_nc_u32_e32 v1, 0x100, v0
	s_delay_alu instid0(VALU_DEP_1) | instskip(SKIP_3) | instid1(SALU_CYCLE_1)
	v_dual_add_nc_u32 v2, s10, v0 :: v_dual_mov_b32 v0, v1
	global_store_d16_hi_b8 v2, v3, s[4:5]
	s_wait_xcnt 0x0
	s_or_b32 exec_lo, exec_lo, s0
	s_mov_b32 s0, exec_lo
	v_cmpx_gt_i32_e64 s2, v0
	s_cbranch_execz .LBB345_14
.LBB345_18:
	v_dual_add_nc_u32 v0, s10, v0 :: v_dual_lshrrev_b32 v1, 24, v3
	global_store_b8 v0, v1, s[4:5]
	s_endpgm
	.section	.rodata,"a",@progbits
	.p2align	6, 0x0
	.amdhsa_kernel _ZN2at6native27unrolled_elementwise_kernelINS0_13BinaryFunctorIjjbNS0_12_GLOBAL__N_116CompareEqFunctorIjEEEESt5arrayIPcLm3EELi4E23TrivialOffsetCalculatorILi2EjESA_ILi1EjENS0_6memory15LoadWithoutCastENSD_16StoreWithoutCastEEEviT_T0_T2_T3_T4_T5_
		.amdhsa_group_segment_fixed_size 0
		.amdhsa_private_segment_fixed_size 0
		.amdhsa_kernarg_size 36
		.amdhsa_user_sgpr_count 2
		.amdhsa_user_sgpr_dispatch_ptr 0
		.amdhsa_user_sgpr_queue_ptr 0
		.amdhsa_user_sgpr_kernarg_segment_ptr 1
		.amdhsa_user_sgpr_dispatch_id 0
		.amdhsa_user_sgpr_kernarg_preload_length 0
		.amdhsa_user_sgpr_kernarg_preload_offset 0
		.amdhsa_user_sgpr_private_segment_size 0
		.amdhsa_wavefront_size32 1
		.amdhsa_uses_dynamic_stack 0
		.amdhsa_enable_private_segment 0
		.amdhsa_system_sgpr_workgroup_id_x 1
		.amdhsa_system_sgpr_workgroup_id_y 0
		.amdhsa_system_sgpr_workgroup_id_z 0
		.amdhsa_system_sgpr_workgroup_info 0
		.amdhsa_system_vgpr_workitem_id 0
		.amdhsa_next_free_vgpr 12
		.amdhsa_next_free_sgpr 15
		.amdhsa_named_barrier_count 0
		.amdhsa_reserve_vcc 1
		.amdhsa_float_round_mode_32 0
		.amdhsa_float_round_mode_16_64 0
		.amdhsa_float_denorm_mode_32 3
		.amdhsa_float_denorm_mode_16_64 3
		.amdhsa_fp16_overflow 0
		.amdhsa_memory_ordered 1
		.amdhsa_forward_progress 1
		.amdhsa_inst_pref_size 8
		.amdhsa_round_robin_scheduling 0
		.amdhsa_exception_fp_ieee_invalid_op 0
		.amdhsa_exception_fp_denorm_src 0
		.amdhsa_exception_fp_ieee_div_zero 0
		.amdhsa_exception_fp_ieee_overflow 0
		.amdhsa_exception_fp_ieee_underflow 0
		.amdhsa_exception_fp_ieee_inexact 0
		.amdhsa_exception_int_div_zero 0
	.end_amdhsa_kernel
	.section	.text._ZN2at6native27unrolled_elementwise_kernelINS0_13BinaryFunctorIjjbNS0_12_GLOBAL__N_116CompareEqFunctorIjEEEESt5arrayIPcLm3EELi4E23TrivialOffsetCalculatorILi2EjESA_ILi1EjENS0_6memory15LoadWithoutCastENSD_16StoreWithoutCastEEEviT_T0_T2_T3_T4_T5_,"axG",@progbits,_ZN2at6native27unrolled_elementwise_kernelINS0_13BinaryFunctorIjjbNS0_12_GLOBAL__N_116CompareEqFunctorIjEEEESt5arrayIPcLm3EELi4E23TrivialOffsetCalculatorILi2EjESA_ILi1EjENS0_6memory15LoadWithoutCastENSD_16StoreWithoutCastEEEviT_T0_T2_T3_T4_T5_,comdat
.Lfunc_end345:
	.size	_ZN2at6native27unrolled_elementwise_kernelINS0_13BinaryFunctorIjjbNS0_12_GLOBAL__N_116CompareEqFunctorIjEEEESt5arrayIPcLm3EELi4E23TrivialOffsetCalculatorILi2EjESA_ILi1EjENS0_6memory15LoadWithoutCastENSD_16StoreWithoutCastEEEviT_T0_T2_T3_T4_T5_, .Lfunc_end345-_ZN2at6native27unrolled_elementwise_kernelINS0_13BinaryFunctorIjjbNS0_12_GLOBAL__N_116CompareEqFunctorIjEEEESt5arrayIPcLm3EELi4E23TrivialOffsetCalculatorILi2EjESA_ILi1EjENS0_6memory15LoadWithoutCastENSD_16StoreWithoutCastEEEviT_T0_T2_T3_T4_T5_
                                        ; -- End function
	.set _ZN2at6native27unrolled_elementwise_kernelINS0_13BinaryFunctorIjjbNS0_12_GLOBAL__N_116CompareEqFunctorIjEEEESt5arrayIPcLm3EELi4E23TrivialOffsetCalculatorILi2EjESA_ILi1EjENS0_6memory15LoadWithoutCastENSD_16StoreWithoutCastEEEviT_T0_T2_T3_T4_T5_.num_vgpr, 12
	.set _ZN2at6native27unrolled_elementwise_kernelINS0_13BinaryFunctorIjjbNS0_12_GLOBAL__N_116CompareEqFunctorIjEEEESt5arrayIPcLm3EELi4E23TrivialOffsetCalculatorILi2EjESA_ILi1EjENS0_6memory15LoadWithoutCastENSD_16StoreWithoutCastEEEviT_T0_T2_T3_T4_T5_.num_agpr, 0
	.set _ZN2at6native27unrolled_elementwise_kernelINS0_13BinaryFunctorIjjbNS0_12_GLOBAL__N_116CompareEqFunctorIjEEEESt5arrayIPcLm3EELi4E23TrivialOffsetCalculatorILi2EjESA_ILi1EjENS0_6memory15LoadWithoutCastENSD_16StoreWithoutCastEEEviT_T0_T2_T3_T4_T5_.numbered_sgpr, 15
	.set _ZN2at6native27unrolled_elementwise_kernelINS0_13BinaryFunctorIjjbNS0_12_GLOBAL__N_116CompareEqFunctorIjEEEESt5arrayIPcLm3EELi4E23TrivialOffsetCalculatorILi2EjESA_ILi1EjENS0_6memory15LoadWithoutCastENSD_16StoreWithoutCastEEEviT_T0_T2_T3_T4_T5_.num_named_barrier, 0
	.set _ZN2at6native27unrolled_elementwise_kernelINS0_13BinaryFunctorIjjbNS0_12_GLOBAL__N_116CompareEqFunctorIjEEEESt5arrayIPcLm3EELi4E23TrivialOffsetCalculatorILi2EjESA_ILi1EjENS0_6memory15LoadWithoutCastENSD_16StoreWithoutCastEEEviT_T0_T2_T3_T4_T5_.private_seg_size, 0
	.set _ZN2at6native27unrolled_elementwise_kernelINS0_13BinaryFunctorIjjbNS0_12_GLOBAL__N_116CompareEqFunctorIjEEEESt5arrayIPcLm3EELi4E23TrivialOffsetCalculatorILi2EjESA_ILi1EjENS0_6memory15LoadWithoutCastENSD_16StoreWithoutCastEEEviT_T0_T2_T3_T4_T5_.uses_vcc, 1
	.set _ZN2at6native27unrolled_elementwise_kernelINS0_13BinaryFunctorIjjbNS0_12_GLOBAL__N_116CompareEqFunctorIjEEEESt5arrayIPcLm3EELi4E23TrivialOffsetCalculatorILi2EjESA_ILi1EjENS0_6memory15LoadWithoutCastENSD_16StoreWithoutCastEEEviT_T0_T2_T3_T4_T5_.uses_flat_scratch, 0
	.set _ZN2at6native27unrolled_elementwise_kernelINS0_13BinaryFunctorIjjbNS0_12_GLOBAL__N_116CompareEqFunctorIjEEEESt5arrayIPcLm3EELi4E23TrivialOffsetCalculatorILi2EjESA_ILi1EjENS0_6memory15LoadWithoutCastENSD_16StoreWithoutCastEEEviT_T0_T2_T3_T4_T5_.has_dyn_sized_stack, 0
	.set _ZN2at6native27unrolled_elementwise_kernelINS0_13BinaryFunctorIjjbNS0_12_GLOBAL__N_116CompareEqFunctorIjEEEESt5arrayIPcLm3EELi4E23TrivialOffsetCalculatorILi2EjESA_ILi1EjENS0_6memory15LoadWithoutCastENSD_16StoreWithoutCastEEEviT_T0_T2_T3_T4_T5_.has_recursion, 0
	.set _ZN2at6native27unrolled_elementwise_kernelINS0_13BinaryFunctorIjjbNS0_12_GLOBAL__N_116CompareEqFunctorIjEEEESt5arrayIPcLm3EELi4E23TrivialOffsetCalculatorILi2EjESA_ILi1EjENS0_6memory15LoadWithoutCastENSD_16StoreWithoutCastEEEviT_T0_T2_T3_T4_T5_.has_indirect_call, 0
	.section	.AMDGPU.csdata,"",@progbits
; Kernel info:
; codeLenInByte = 1008
; TotalNumSgprs: 17
; NumVgprs: 12
; ScratchSize: 0
; MemoryBound: 0
; FloatMode: 240
; IeeeMode: 1
; LDSByteSize: 0 bytes/workgroup (compile time only)
; SGPRBlocks: 0
; VGPRBlocks: 0
; NumSGPRsForWavesPerEU: 17
; NumVGPRsForWavesPerEU: 12
; NamedBarCnt: 0
; Occupancy: 16
; WaveLimiterHint : 0
; COMPUTE_PGM_RSRC2:SCRATCH_EN: 0
; COMPUTE_PGM_RSRC2:USER_SGPR: 2
; COMPUTE_PGM_RSRC2:TRAP_HANDLER: 0
; COMPUTE_PGM_RSRC2:TGID_X_EN: 1
; COMPUTE_PGM_RSRC2:TGID_Y_EN: 0
; COMPUTE_PGM_RSRC2:TGID_Z_EN: 0
; COMPUTE_PGM_RSRC2:TIDIG_COMP_CNT: 0
	.section	.text._ZN2at6native32elementwise_kernel_manual_unrollILi128ELi8EZNS0_22gpu_kernel_impl_nocastINS0_13BinaryFunctorIjjbNS0_12_GLOBAL__N_116CompareEqFunctorIjEEEEEEvRNS_18TensorIteratorBaseERKT_EUlibE_EEviT1_,"axG",@progbits,_ZN2at6native32elementwise_kernel_manual_unrollILi128ELi8EZNS0_22gpu_kernel_impl_nocastINS0_13BinaryFunctorIjjbNS0_12_GLOBAL__N_116CompareEqFunctorIjEEEEEEvRNS_18TensorIteratorBaseERKT_EUlibE_EEviT1_,comdat
	.globl	_ZN2at6native32elementwise_kernel_manual_unrollILi128ELi8EZNS0_22gpu_kernel_impl_nocastINS0_13BinaryFunctorIjjbNS0_12_GLOBAL__N_116CompareEqFunctorIjEEEEEEvRNS_18TensorIteratorBaseERKT_EUlibE_EEviT1_ ; -- Begin function _ZN2at6native32elementwise_kernel_manual_unrollILi128ELi8EZNS0_22gpu_kernel_impl_nocastINS0_13BinaryFunctorIjjbNS0_12_GLOBAL__N_116CompareEqFunctorIjEEEEEEvRNS_18TensorIteratorBaseERKT_EUlibE_EEviT1_
	.p2align	8
	.type	_ZN2at6native32elementwise_kernel_manual_unrollILi128ELi8EZNS0_22gpu_kernel_impl_nocastINS0_13BinaryFunctorIjjbNS0_12_GLOBAL__N_116CompareEqFunctorIjEEEEEEvRNS_18TensorIteratorBaseERKT_EUlibE_EEviT1_,@function
_ZN2at6native32elementwise_kernel_manual_unrollILi128ELi8EZNS0_22gpu_kernel_impl_nocastINS0_13BinaryFunctorIjjbNS0_12_GLOBAL__N_116CompareEqFunctorIjEEEEEEvRNS_18TensorIteratorBaseERKT_EUlibE_EEviT1_: ; @_ZN2at6native32elementwise_kernel_manual_unrollILi128ELi8EZNS0_22gpu_kernel_impl_nocastINS0_13BinaryFunctorIjjbNS0_12_GLOBAL__N_116CompareEqFunctorIjEEEEEEvRNS_18TensorIteratorBaseERKT_EUlibE_EEviT1_
; %bb.0:
	s_clause 0x1
	s_load_b32 s26, s[0:1], 0x8
	s_load_b32 s33, s[0:1], 0x0
	s_bfe_u32 s2, ttmp6, 0x4000c
	s_and_b32 s3, ttmp6, 15
	s_add_co_i32 s2, s2, 1
	s_getreg_b32 s4, hwreg(HW_REG_IB_STS2, 6, 4)
	s_mul_i32 s2, ttmp9, s2
	s_add_nc_u64 s[16:17], s[0:1], 8
	s_add_co_i32 s3, s3, s2
	s_cmp_eq_u32 s4, 0
	s_mov_b32 s21, 0
	s_cselect_b32 s2, ttmp9, s3
	s_wait_xcnt 0x0
	s_mov_b32 s0, exec_lo
	v_lshl_or_b32 v0, s2, 10, v0
	s_delay_alu instid0(VALU_DEP_1) | instskip(SKIP_2) | instid1(SALU_CYCLE_1)
	v_or_b32_e32 v4, 0x380, v0
	s_wait_kmcnt 0x0
	s_add_co_i32 s27, s26, -1
	s_cmp_gt_u32 s27, 1
	s_cselect_b32 s28, -1, 0
	v_cmpx_le_i32_e64 s33, v4
	s_xor_b32 s29, exec_lo, s0
	s_cbranch_execz .LBB346_106
; %bb.1:
	s_clause 0x5
	s_load_b128 s[4:7], s[16:17], 0x4
	s_load_b64 s[18:19], s[16:17], 0x14
	s_load_b96 s[12:14], s[16:17], 0x198
	s_load_b128 s[8:11], s[16:17], 0xc4
	s_load_b64 s[22:23], s[16:17], 0xd4
	s_load_b128 s[0:3], s[16:17], 0x188
	s_cmp_lg_u32 s26, 0
	s_mov_b32 s25, s21
	s_cselect_b32 s34, -1, 0
	s_min_u32 s31, s27, 15
	s_cmp_gt_u32 s26, 1
	s_cselect_b32 s30, -1, 0
	s_wait_kmcnt 0x0
	s_mov_b32 s20, s5
	s_mov_b32 s24, s18
	s_cmp_eq_u32 s14, 0
	s_mov_b32 s18, exec_lo
	s_cselect_b32 s5, -1, 0
	v_cmpx_gt_i32_e64 s33, v0
	s_cbranch_execnz .LBB346_9
; %bb.2:
	s_or_b32 exec_lo, exec_lo, s18
	s_delay_alu instid0(SALU_CYCLE_1)
	s_mov_b32 s18, exec_lo
	v_cmpx_gt_i32_e64 s33, v0
	s_cbranch_execnz .LBB346_21
.LBB346_3:
	s_or_b32 exec_lo, exec_lo, s18
	s_delay_alu instid0(SALU_CYCLE_1)
	s_mov_b32 s18, exec_lo
	v_cmpx_gt_i32_e64 s33, v0
	s_cbranch_execnz .LBB346_33
.LBB346_4:
	s_or_b32 exec_lo, exec_lo, s18
	s_delay_alu instid0(SALU_CYCLE_1)
	s_mov_b32 s18, exec_lo
	v_cmpx_gt_i32_e64 s33, v0
	s_cbranch_execnz .LBB346_45
.LBB346_5:
	s_or_b32 exec_lo, exec_lo, s18
	s_delay_alu instid0(SALU_CYCLE_1)
	s_mov_b32 s18, exec_lo
	v_cmpx_gt_i32_e64 s33, v0
	s_cbranch_execnz .LBB346_57
.LBB346_6:
	s_or_b32 exec_lo, exec_lo, s18
	s_delay_alu instid0(SALU_CYCLE_1)
	s_mov_b32 s18, exec_lo
	v_cmpx_gt_i32_e64 s33, v0
	s_cbranch_execnz .LBB346_69
.LBB346_7:
	s_or_b32 exec_lo, exec_lo, s18
	s_delay_alu instid0(SALU_CYCLE_1)
	s_mov_b32 s18, exec_lo
	v_cmpx_gt_i32_e64 s33, v0
	s_cbranch_execnz .LBB346_81
.LBB346_8:
	s_or_b32 exec_lo, exec_lo, s18
	s_delay_alu instid0(SALU_CYCLE_1)
	s_mov_b32 s18, exec_lo
	v_cmpx_gt_i32_e64 s33, v0
	s_cbranch_execnz .LBB346_93
	s_branch .LBB346_105
.LBB346_9:
	s_and_not1_b32 vcc_lo, exec_lo, s28
	s_cbranch_vccnz .LBB346_15
; %bb.10:
	s_and_not1_b32 vcc_lo, exec_lo, s34
	s_cbranch_vccnz .LBB346_16
; %bb.11:
	v_dual_mov_b32 v4, 0 :: v_dual_mov_b32 v1, v0
	v_dual_mov_b32 v6, 0 :: v_dual_mov_b32 v5, 0
	s_add_co_i32 s35, s31, 1
	s_mov_b64 s[14:15], 0xffffffffffffffe8
	s_and_b32 s35, s35, 30
	s_add_nc_u64 s[14:15], s[16:17], s[14:15]
.LBB346_12:                             ; =>This Inner Loop Header: Depth=1
	s_clause 0x1
	s_load_b128 s[36:39], s[14:15], 0x1c
	s_load_b64 s[44:45], s[14:15], 0x2c
	s_add_co_i32 s35, s35, -2
	s_delay_alu instid0(SALU_CYCLE_1) | instskip(SKIP_2) | instid1(VALU_DEP_1)
	s_cmp_lg_u32 s35, 0
	s_wait_kmcnt 0x0
	v_mul_hi_u32 v2, s37, v1
	v_add_nc_u32_e32 v2, v1, v2
	s_delay_alu instid0(VALU_DEP_1) | instskip(NEXT) | instid1(VALU_DEP_1)
	v_lshrrev_b32_e32 v2, s38, v2
	v_mul_hi_u32 v3, s44, v2
	v_mul_lo_u32 v7, v2, s36
	s_clause 0x1
	s_load_b128 s[40:43], s[14:15], 0xdc
	s_load_b64 s[36:37], s[14:15], 0xec
	s_wait_xcnt 0x0
	s_add_nc_u64 s[14:15], s[14:15], 24
	s_delay_alu instid0(VALU_DEP_2) | instskip(NEXT) | instid1(VALU_DEP_2)
	v_add_nc_u32_e32 v3, v2, v3
	v_sub_nc_u32_e32 v7, v1, v7
	s_delay_alu instid0(VALU_DEP_2) | instskip(SKIP_1) | instid1(VALU_DEP_2)
	v_lshrrev_b32_e32 v1, s45, v3
	s_wait_kmcnt 0x0
	v_mad_u32 v4, v7, s40, v4
	s_delay_alu instid0(VALU_DEP_2) | instskip(SKIP_2) | instid1(VALU_DEP_3)
	v_mul_lo_u32 v3, v1, s39
	v_mad_u32 v5, v7, s42, v5
	v_mad_u32 v6, v7, s41, v6
	v_sub_nc_u32_e32 v2, v2, v3
	s_delay_alu instid0(VALU_DEP_1) | instskip(NEXT) | instid1(VALU_DEP_4)
	v_mad_u32 v4, v2, s43, v4
	v_mad_u32 v5, v2, s37, v5
	s_delay_alu instid0(VALU_DEP_4)
	v_mad_u32 v6, v2, s36, v6
	s_cbranch_scc1 .LBB346_12
; %bb.13:
	s_bitcmp1_b32 s31, 0
	s_cselect_b32 s35, -1, 0
	s_delay_alu instid0(SALU_CYCLE_1)
	s_and_b32 vcc_lo, exec_lo, s35
	s_cbranch_vccnz .LBB346_17
; %bb.14:
	s_clause 0x1
	s_load_b96 s[36:38], s[14:15], 0x1c
	s_load_b96 s[40:42], s[14:15], 0xdc
	s_wait_xcnt 0x0
	s_wait_kmcnt 0x0
	v_mul_hi_u32 v2, s37, v1
	s_delay_alu instid0(VALU_DEP_1) | instskip(NEXT) | instid1(VALU_DEP_1)
	v_add_nc_u32_e32 v2, v1, v2
	v_lshrrev_b32_e32 v2, s38, v2
	s_delay_alu instid0(VALU_DEP_1) | instskip(NEXT) | instid1(VALU_DEP_1)
	v_mul_lo_u32 v2, v2, s36
	v_sub_nc_u32_e32 v1, v1, v2
	s_delay_alu instid0(VALU_DEP_1)
	v_mad_u32 v4, v1, s40, v4
	v_mad_u32 v6, v1, s41, v6
	;; [unrolled: 1-line block ×3, first 2 shown]
	s_cbranch_execz .LBB346_18
	s_branch .LBB346_20
.LBB346_15:
                                        ; implicit-def: $vgpr5
                                        ; implicit-def: $vgpr6
                                        ; implicit-def: $vgpr4
	s_branch .LBB346_18
.LBB346_16:
	v_dual_mov_b32 v5, 0 :: v_dual_mov_b32 v6, 0
	v_mov_b32_e32 v4, 0
.LBB346_17:
	s_cbranch_execnz .LBB346_20
.LBB346_18:
	v_mov_b32_e32 v1, 0
	s_and_not1_b32 vcc_lo, exec_lo, s30
	s_delay_alu instid0(VALU_DEP_1) | instskip(NEXT) | instid1(VALU_DEP_1)
	v_mul_u64_e32 v[2:3], s[20:21], v[0:1]
	v_add_nc_u32_e32 v2, v0, v3
	s_delay_alu instid0(VALU_DEP_1) | instskip(NEXT) | instid1(VALU_DEP_1)
	v_lshrrev_b32_e32 v2, s6, v2
	v_mul_lo_u32 v3, v2, s4
	s_delay_alu instid0(VALU_DEP_1) | instskip(NEXT) | instid1(VALU_DEP_1)
	v_sub_nc_u32_e32 v3, v0, v3
	v_mul_lo_u32 v4, v3, s8
	v_mul_lo_u32 v5, v3, s10
	v_mul_lo_u32 v6, v3, s9
	s_cbranch_vccnz .LBB346_20
; %bb.19:
	v_mov_b32_e32 v3, v1
	s_delay_alu instid0(VALU_DEP_1) | instskip(NEXT) | instid1(VALU_DEP_1)
	v_mul_u64_e32 v[8:9], s[24:25], v[2:3]
	v_add_nc_u32_e32 v1, v2, v9
	s_delay_alu instid0(VALU_DEP_1) | instskip(NEXT) | instid1(VALU_DEP_1)
	v_lshrrev_b32_e32 v1, s19, v1
	v_mul_lo_u32 v1, v1, s7
	s_delay_alu instid0(VALU_DEP_1) | instskip(NEXT) | instid1(VALU_DEP_1)
	v_sub_nc_u32_e32 v1, v2, v1
	v_mad_u32 v4, v1, s11, v4
	v_mad_u32 v6, v1, s22, v6
	;; [unrolled: 1-line block ×3, first 2 shown]
.LBB346_20:
	global_load_b32 v1, v6, s[2:3]
	global_load_b32 v2, v5, s[12:13]
	v_add_nc_u32_e32 v0, 0x80, v0
	s_wait_loadcnt 0x0
	v_cmp_ne_u32_e32 vcc_lo, v1, v2
	s_xor_b32 s14, s5, vcc_lo
	s_delay_alu instid0(SALU_CYCLE_1) | instskip(SKIP_3) | instid1(SALU_CYCLE_1)
	v_cndmask_b32_e64 v1, 0, 1, s14
	global_store_b8 v4, v1, s[0:1]
	s_wait_xcnt 0x0
	s_or_b32 exec_lo, exec_lo, s18
	s_mov_b32 s18, exec_lo
	v_cmpx_gt_i32_e64 s33, v0
	s_cbranch_execz .LBB346_3
.LBB346_21:
	s_and_not1_b32 vcc_lo, exec_lo, s28
	s_cbranch_vccnz .LBB346_27
; %bb.22:
	s_and_not1_b32 vcc_lo, exec_lo, s34
	s_cbranch_vccnz .LBB346_28
; %bb.23:
	v_dual_mov_b32 v4, 0 :: v_dual_mov_b32 v1, v0
	v_dual_mov_b32 v6, 0 :: v_dual_mov_b32 v5, 0
	s_add_co_i32 s35, s31, 1
	s_mov_b64 s[14:15], 0xffffffffffffffe8
	s_and_b32 s35, s35, 30
	s_add_nc_u64 s[14:15], s[16:17], s[14:15]
.LBB346_24:                             ; =>This Inner Loop Header: Depth=1
	s_clause 0x1
	s_load_b128 s[36:39], s[14:15], 0x1c
	s_load_b64 s[44:45], s[14:15], 0x2c
	s_add_co_i32 s35, s35, -2
	s_delay_alu instid0(SALU_CYCLE_1) | instskip(SKIP_2) | instid1(VALU_DEP_1)
	s_cmp_eq_u32 s35, 0
	s_wait_kmcnt 0x0
	v_mul_hi_u32 v2, s37, v1
	v_add_nc_u32_e32 v2, v1, v2
	s_delay_alu instid0(VALU_DEP_1) | instskip(NEXT) | instid1(VALU_DEP_1)
	v_lshrrev_b32_e32 v2, s38, v2
	v_mul_hi_u32 v3, s44, v2
	v_mul_lo_u32 v7, v2, s36
	s_clause 0x1
	s_load_b128 s[40:43], s[14:15], 0xdc
	s_load_b64 s[36:37], s[14:15], 0xec
	s_wait_xcnt 0x0
	s_add_nc_u64 s[14:15], s[14:15], 24
	s_delay_alu instid0(VALU_DEP_2) | instskip(NEXT) | instid1(VALU_DEP_2)
	v_add_nc_u32_e32 v3, v2, v3
	v_sub_nc_u32_e32 v7, v1, v7
	s_delay_alu instid0(VALU_DEP_2) | instskip(SKIP_1) | instid1(VALU_DEP_2)
	v_lshrrev_b32_e32 v1, s45, v3
	s_wait_kmcnt 0x0
	v_mad_u32 v4, v7, s40, v4
	s_delay_alu instid0(VALU_DEP_2) | instskip(SKIP_2) | instid1(VALU_DEP_3)
	v_mul_lo_u32 v3, v1, s39
	v_mad_u32 v5, v7, s42, v5
	v_mad_u32 v6, v7, s41, v6
	v_sub_nc_u32_e32 v2, v2, v3
	s_delay_alu instid0(VALU_DEP_1) | instskip(NEXT) | instid1(VALU_DEP_4)
	v_mad_u32 v4, v2, s43, v4
	v_mad_u32 v5, v2, s37, v5
	s_delay_alu instid0(VALU_DEP_4)
	v_mad_u32 v6, v2, s36, v6
	s_cbranch_scc0 .LBB346_24
; %bb.25:
	s_bitcmp1_b32 s31, 0
	s_cselect_b32 s35, -1, 0
	s_delay_alu instid0(SALU_CYCLE_1)
	s_and_b32 vcc_lo, exec_lo, s35
	s_cbranch_vccnz .LBB346_29
; %bb.26:
	s_clause 0x1
	s_load_b96 s[36:38], s[14:15], 0x1c
	s_load_b96 s[40:42], s[14:15], 0xdc
	s_wait_kmcnt 0x0
	v_mul_hi_u32 v2, s37, v1
	s_delay_alu instid0(VALU_DEP_1) | instskip(NEXT) | instid1(VALU_DEP_1)
	v_add_nc_u32_e32 v2, v1, v2
	v_lshrrev_b32_e32 v2, s38, v2
	s_delay_alu instid0(VALU_DEP_1) | instskip(NEXT) | instid1(VALU_DEP_1)
	v_mul_lo_u32 v2, v2, s36
	v_sub_nc_u32_e32 v1, v1, v2
	s_delay_alu instid0(VALU_DEP_1)
	v_mad_u32 v4, v1, s40, v4
	v_mad_u32 v6, v1, s41, v6
	;; [unrolled: 1-line block ×3, first 2 shown]
	s_branch .LBB346_29
.LBB346_27:
                                        ; implicit-def: $vgpr5
                                        ; implicit-def: $vgpr6
                                        ; implicit-def: $vgpr4
	s_branch .LBB346_30
.LBB346_28:
	v_dual_mov_b32 v5, 0 :: v_dual_mov_b32 v6, 0
	v_mov_b32_e32 v4, 0
.LBB346_29:
	s_cbranch_execnz .LBB346_32
.LBB346_30:
	v_mov_b32_e32 v1, 0
	s_and_not1_b32 vcc_lo, exec_lo, s30
	s_delay_alu instid0(VALU_DEP_1) | instskip(NEXT) | instid1(VALU_DEP_1)
	v_mul_u64_e32 v[2:3], s[20:21], v[0:1]
	v_add_nc_u32_e32 v2, v0, v3
	s_delay_alu instid0(VALU_DEP_1) | instskip(NEXT) | instid1(VALU_DEP_1)
	v_lshrrev_b32_e32 v2, s6, v2
	v_mul_lo_u32 v3, v2, s4
	s_delay_alu instid0(VALU_DEP_1) | instskip(NEXT) | instid1(VALU_DEP_1)
	v_sub_nc_u32_e32 v3, v0, v3
	v_mul_lo_u32 v4, v3, s8
	v_mul_lo_u32 v5, v3, s10
	;; [unrolled: 1-line block ×3, first 2 shown]
	s_cbranch_vccnz .LBB346_32
; %bb.31:
	v_mov_b32_e32 v3, v1
	s_delay_alu instid0(VALU_DEP_1) | instskip(NEXT) | instid1(VALU_DEP_1)
	v_mul_u64_e32 v[8:9], s[24:25], v[2:3]
	v_add_nc_u32_e32 v1, v2, v9
	s_delay_alu instid0(VALU_DEP_1) | instskip(NEXT) | instid1(VALU_DEP_1)
	v_lshrrev_b32_e32 v1, s19, v1
	v_mul_lo_u32 v1, v1, s7
	s_delay_alu instid0(VALU_DEP_1) | instskip(NEXT) | instid1(VALU_DEP_1)
	v_sub_nc_u32_e32 v1, v2, v1
	v_mad_u32 v4, v1, s11, v4
	v_mad_u32 v6, v1, s22, v6
	;; [unrolled: 1-line block ×3, first 2 shown]
.LBB346_32:
	global_load_b32 v1, v6, s[2:3]
	global_load_b32 v2, v5, s[12:13]
	v_add_nc_u32_e32 v0, 0x80, v0
	s_wait_loadcnt 0x0
	v_cmp_ne_u32_e32 vcc_lo, v1, v2
	s_xor_b32 s14, s5, vcc_lo
	s_delay_alu instid0(SALU_CYCLE_1) | instskip(SKIP_3) | instid1(SALU_CYCLE_1)
	v_cndmask_b32_e64 v1, 0, 1, s14
	global_store_b8 v4, v1, s[0:1]
	s_wait_xcnt 0x0
	s_or_b32 exec_lo, exec_lo, s18
	s_mov_b32 s18, exec_lo
	v_cmpx_gt_i32_e64 s33, v0
	s_cbranch_execz .LBB346_4
.LBB346_33:
	s_and_not1_b32 vcc_lo, exec_lo, s28
	s_cbranch_vccnz .LBB346_39
; %bb.34:
	s_and_not1_b32 vcc_lo, exec_lo, s34
	s_cbranch_vccnz .LBB346_40
; %bb.35:
	v_dual_mov_b32 v4, 0 :: v_dual_mov_b32 v1, v0
	v_dual_mov_b32 v6, 0 :: v_dual_mov_b32 v5, 0
	s_add_co_i32 s35, s31, 1
	s_mov_b64 s[14:15], 0xffffffffffffffe8
	s_and_b32 s35, s35, 30
	s_add_nc_u64 s[14:15], s[16:17], s[14:15]
.LBB346_36:                             ; =>This Inner Loop Header: Depth=1
	s_clause 0x1
	s_load_b128 s[36:39], s[14:15], 0x1c
	s_load_b64 s[44:45], s[14:15], 0x2c
	s_add_co_i32 s35, s35, -2
	s_delay_alu instid0(SALU_CYCLE_1) | instskip(SKIP_2) | instid1(VALU_DEP_1)
	s_cmp_eq_u32 s35, 0
	s_wait_kmcnt 0x0
	v_mul_hi_u32 v2, s37, v1
	v_add_nc_u32_e32 v2, v1, v2
	s_delay_alu instid0(VALU_DEP_1) | instskip(NEXT) | instid1(VALU_DEP_1)
	v_lshrrev_b32_e32 v2, s38, v2
	v_mul_hi_u32 v3, s44, v2
	v_mul_lo_u32 v7, v2, s36
	s_clause 0x1
	s_load_b128 s[40:43], s[14:15], 0xdc
	s_load_b64 s[36:37], s[14:15], 0xec
	s_wait_xcnt 0x0
	s_add_nc_u64 s[14:15], s[14:15], 24
	s_delay_alu instid0(VALU_DEP_2) | instskip(NEXT) | instid1(VALU_DEP_2)
	v_add_nc_u32_e32 v3, v2, v3
	v_sub_nc_u32_e32 v7, v1, v7
	s_delay_alu instid0(VALU_DEP_2) | instskip(SKIP_1) | instid1(VALU_DEP_2)
	v_lshrrev_b32_e32 v1, s45, v3
	s_wait_kmcnt 0x0
	v_mad_u32 v4, v7, s40, v4
	s_delay_alu instid0(VALU_DEP_2) | instskip(SKIP_2) | instid1(VALU_DEP_3)
	v_mul_lo_u32 v3, v1, s39
	v_mad_u32 v5, v7, s42, v5
	v_mad_u32 v6, v7, s41, v6
	v_sub_nc_u32_e32 v2, v2, v3
	s_delay_alu instid0(VALU_DEP_1) | instskip(NEXT) | instid1(VALU_DEP_4)
	v_mad_u32 v4, v2, s43, v4
	v_mad_u32 v5, v2, s37, v5
	s_delay_alu instid0(VALU_DEP_4)
	v_mad_u32 v6, v2, s36, v6
	s_cbranch_scc0 .LBB346_36
; %bb.37:
	s_bitcmp1_b32 s31, 0
	s_cselect_b32 s35, -1, 0
	s_delay_alu instid0(SALU_CYCLE_1)
	s_and_b32 vcc_lo, exec_lo, s35
	s_cbranch_vccnz .LBB346_41
; %bb.38:
	s_clause 0x1
	s_load_b96 s[36:38], s[14:15], 0x1c
	s_load_b96 s[40:42], s[14:15], 0xdc
	s_wait_kmcnt 0x0
	v_mul_hi_u32 v2, s37, v1
	s_delay_alu instid0(VALU_DEP_1) | instskip(NEXT) | instid1(VALU_DEP_1)
	v_add_nc_u32_e32 v2, v1, v2
	v_lshrrev_b32_e32 v2, s38, v2
	s_delay_alu instid0(VALU_DEP_1) | instskip(NEXT) | instid1(VALU_DEP_1)
	v_mul_lo_u32 v2, v2, s36
	v_sub_nc_u32_e32 v1, v1, v2
	s_delay_alu instid0(VALU_DEP_1)
	v_mad_u32 v4, v1, s40, v4
	v_mad_u32 v6, v1, s41, v6
	;; [unrolled: 1-line block ×3, first 2 shown]
	s_branch .LBB346_41
.LBB346_39:
                                        ; implicit-def: $vgpr5
                                        ; implicit-def: $vgpr6
                                        ; implicit-def: $vgpr4
	s_branch .LBB346_42
.LBB346_40:
	v_dual_mov_b32 v5, 0 :: v_dual_mov_b32 v6, 0
	v_mov_b32_e32 v4, 0
.LBB346_41:
	s_cbranch_execnz .LBB346_44
.LBB346_42:
	v_mov_b32_e32 v1, 0
	s_and_not1_b32 vcc_lo, exec_lo, s30
	s_delay_alu instid0(VALU_DEP_1) | instskip(NEXT) | instid1(VALU_DEP_1)
	v_mul_u64_e32 v[2:3], s[20:21], v[0:1]
	v_add_nc_u32_e32 v2, v0, v3
	s_delay_alu instid0(VALU_DEP_1) | instskip(NEXT) | instid1(VALU_DEP_1)
	v_lshrrev_b32_e32 v2, s6, v2
	v_mul_lo_u32 v3, v2, s4
	s_delay_alu instid0(VALU_DEP_1) | instskip(NEXT) | instid1(VALU_DEP_1)
	v_sub_nc_u32_e32 v3, v0, v3
	v_mul_lo_u32 v4, v3, s8
	v_mul_lo_u32 v5, v3, s10
	;; [unrolled: 1-line block ×3, first 2 shown]
	s_cbranch_vccnz .LBB346_44
; %bb.43:
	v_mov_b32_e32 v3, v1
	s_delay_alu instid0(VALU_DEP_1) | instskip(NEXT) | instid1(VALU_DEP_1)
	v_mul_u64_e32 v[8:9], s[24:25], v[2:3]
	v_add_nc_u32_e32 v1, v2, v9
	s_delay_alu instid0(VALU_DEP_1) | instskip(NEXT) | instid1(VALU_DEP_1)
	v_lshrrev_b32_e32 v1, s19, v1
	v_mul_lo_u32 v1, v1, s7
	s_delay_alu instid0(VALU_DEP_1) | instskip(NEXT) | instid1(VALU_DEP_1)
	v_sub_nc_u32_e32 v1, v2, v1
	v_mad_u32 v4, v1, s11, v4
	v_mad_u32 v6, v1, s22, v6
	;; [unrolled: 1-line block ×3, first 2 shown]
.LBB346_44:
	global_load_b32 v1, v6, s[2:3]
	global_load_b32 v2, v5, s[12:13]
	v_add_nc_u32_e32 v0, 0x80, v0
	s_wait_loadcnt 0x0
	v_cmp_ne_u32_e32 vcc_lo, v1, v2
	s_xor_b32 s14, s5, vcc_lo
	s_delay_alu instid0(SALU_CYCLE_1) | instskip(SKIP_3) | instid1(SALU_CYCLE_1)
	v_cndmask_b32_e64 v1, 0, 1, s14
	global_store_b8 v4, v1, s[0:1]
	s_wait_xcnt 0x0
	s_or_b32 exec_lo, exec_lo, s18
	s_mov_b32 s18, exec_lo
	v_cmpx_gt_i32_e64 s33, v0
	s_cbranch_execz .LBB346_5
.LBB346_45:
	s_and_not1_b32 vcc_lo, exec_lo, s28
	s_cbranch_vccnz .LBB346_51
; %bb.46:
	s_and_not1_b32 vcc_lo, exec_lo, s34
	s_cbranch_vccnz .LBB346_52
; %bb.47:
	v_dual_mov_b32 v4, 0 :: v_dual_mov_b32 v1, v0
	v_dual_mov_b32 v6, 0 :: v_dual_mov_b32 v5, 0
	s_add_co_i32 s35, s31, 1
	s_mov_b64 s[14:15], 0xffffffffffffffe8
	s_and_b32 s35, s35, 30
	s_add_nc_u64 s[14:15], s[16:17], s[14:15]
.LBB346_48:                             ; =>This Inner Loop Header: Depth=1
	s_clause 0x1
	s_load_b128 s[36:39], s[14:15], 0x1c
	s_load_b64 s[44:45], s[14:15], 0x2c
	s_add_co_i32 s35, s35, -2
	s_delay_alu instid0(SALU_CYCLE_1) | instskip(SKIP_2) | instid1(VALU_DEP_1)
	s_cmp_eq_u32 s35, 0
	s_wait_kmcnt 0x0
	v_mul_hi_u32 v2, s37, v1
	v_add_nc_u32_e32 v2, v1, v2
	s_delay_alu instid0(VALU_DEP_1) | instskip(NEXT) | instid1(VALU_DEP_1)
	v_lshrrev_b32_e32 v2, s38, v2
	v_mul_hi_u32 v3, s44, v2
	v_mul_lo_u32 v7, v2, s36
	s_clause 0x1
	s_load_b128 s[40:43], s[14:15], 0xdc
	s_load_b64 s[36:37], s[14:15], 0xec
	s_wait_xcnt 0x0
	s_add_nc_u64 s[14:15], s[14:15], 24
	s_delay_alu instid0(VALU_DEP_2) | instskip(NEXT) | instid1(VALU_DEP_2)
	v_add_nc_u32_e32 v3, v2, v3
	v_sub_nc_u32_e32 v7, v1, v7
	s_delay_alu instid0(VALU_DEP_2) | instskip(SKIP_1) | instid1(VALU_DEP_2)
	v_lshrrev_b32_e32 v1, s45, v3
	s_wait_kmcnt 0x0
	v_mad_u32 v4, v7, s40, v4
	s_delay_alu instid0(VALU_DEP_2) | instskip(SKIP_2) | instid1(VALU_DEP_3)
	v_mul_lo_u32 v3, v1, s39
	v_mad_u32 v5, v7, s42, v5
	v_mad_u32 v6, v7, s41, v6
	v_sub_nc_u32_e32 v2, v2, v3
	s_delay_alu instid0(VALU_DEP_1) | instskip(NEXT) | instid1(VALU_DEP_4)
	v_mad_u32 v4, v2, s43, v4
	v_mad_u32 v5, v2, s37, v5
	s_delay_alu instid0(VALU_DEP_4)
	v_mad_u32 v6, v2, s36, v6
	s_cbranch_scc0 .LBB346_48
; %bb.49:
	s_bitcmp1_b32 s31, 0
	s_cselect_b32 s35, -1, 0
	s_delay_alu instid0(SALU_CYCLE_1)
	s_and_b32 vcc_lo, exec_lo, s35
	s_cbranch_vccnz .LBB346_53
; %bb.50:
	s_clause 0x1
	s_load_b96 s[36:38], s[14:15], 0x1c
	s_load_b96 s[40:42], s[14:15], 0xdc
	s_wait_kmcnt 0x0
	v_mul_hi_u32 v2, s37, v1
	s_delay_alu instid0(VALU_DEP_1) | instskip(NEXT) | instid1(VALU_DEP_1)
	v_add_nc_u32_e32 v2, v1, v2
	v_lshrrev_b32_e32 v2, s38, v2
	s_delay_alu instid0(VALU_DEP_1) | instskip(NEXT) | instid1(VALU_DEP_1)
	v_mul_lo_u32 v2, v2, s36
	v_sub_nc_u32_e32 v1, v1, v2
	s_delay_alu instid0(VALU_DEP_1)
	v_mad_u32 v4, v1, s40, v4
	v_mad_u32 v6, v1, s41, v6
	;; [unrolled: 1-line block ×3, first 2 shown]
	s_branch .LBB346_53
.LBB346_51:
                                        ; implicit-def: $vgpr5
                                        ; implicit-def: $vgpr6
                                        ; implicit-def: $vgpr4
	s_branch .LBB346_54
.LBB346_52:
	v_dual_mov_b32 v5, 0 :: v_dual_mov_b32 v6, 0
	v_mov_b32_e32 v4, 0
.LBB346_53:
	s_cbranch_execnz .LBB346_56
.LBB346_54:
	v_mov_b32_e32 v1, 0
	s_and_not1_b32 vcc_lo, exec_lo, s30
	s_delay_alu instid0(VALU_DEP_1) | instskip(NEXT) | instid1(VALU_DEP_1)
	v_mul_u64_e32 v[2:3], s[20:21], v[0:1]
	v_add_nc_u32_e32 v2, v0, v3
	s_delay_alu instid0(VALU_DEP_1) | instskip(NEXT) | instid1(VALU_DEP_1)
	v_lshrrev_b32_e32 v2, s6, v2
	v_mul_lo_u32 v3, v2, s4
	s_delay_alu instid0(VALU_DEP_1) | instskip(NEXT) | instid1(VALU_DEP_1)
	v_sub_nc_u32_e32 v3, v0, v3
	v_mul_lo_u32 v4, v3, s8
	v_mul_lo_u32 v5, v3, s10
	;; [unrolled: 1-line block ×3, first 2 shown]
	s_cbranch_vccnz .LBB346_56
; %bb.55:
	v_mov_b32_e32 v3, v1
	s_delay_alu instid0(VALU_DEP_1) | instskip(NEXT) | instid1(VALU_DEP_1)
	v_mul_u64_e32 v[8:9], s[24:25], v[2:3]
	v_add_nc_u32_e32 v1, v2, v9
	s_delay_alu instid0(VALU_DEP_1) | instskip(NEXT) | instid1(VALU_DEP_1)
	v_lshrrev_b32_e32 v1, s19, v1
	v_mul_lo_u32 v1, v1, s7
	s_delay_alu instid0(VALU_DEP_1) | instskip(NEXT) | instid1(VALU_DEP_1)
	v_sub_nc_u32_e32 v1, v2, v1
	v_mad_u32 v4, v1, s11, v4
	v_mad_u32 v6, v1, s22, v6
	;; [unrolled: 1-line block ×3, first 2 shown]
.LBB346_56:
	global_load_b32 v1, v6, s[2:3]
	global_load_b32 v2, v5, s[12:13]
	v_add_nc_u32_e32 v0, 0x80, v0
	s_wait_loadcnt 0x0
	v_cmp_ne_u32_e32 vcc_lo, v1, v2
	s_xor_b32 s14, s5, vcc_lo
	s_delay_alu instid0(SALU_CYCLE_1) | instskip(SKIP_3) | instid1(SALU_CYCLE_1)
	v_cndmask_b32_e64 v1, 0, 1, s14
	global_store_b8 v4, v1, s[0:1]
	s_wait_xcnt 0x0
	s_or_b32 exec_lo, exec_lo, s18
	s_mov_b32 s18, exec_lo
	v_cmpx_gt_i32_e64 s33, v0
	s_cbranch_execz .LBB346_6
.LBB346_57:
	s_and_not1_b32 vcc_lo, exec_lo, s28
	s_cbranch_vccnz .LBB346_63
; %bb.58:
	s_and_not1_b32 vcc_lo, exec_lo, s34
	s_cbranch_vccnz .LBB346_64
; %bb.59:
	v_dual_mov_b32 v4, 0 :: v_dual_mov_b32 v1, v0
	v_dual_mov_b32 v6, 0 :: v_dual_mov_b32 v5, 0
	s_add_co_i32 s35, s31, 1
	s_mov_b64 s[14:15], 0xffffffffffffffe8
	s_and_b32 s35, s35, 30
	s_add_nc_u64 s[14:15], s[16:17], s[14:15]
.LBB346_60:                             ; =>This Inner Loop Header: Depth=1
	s_clause 0x1
	s_load_b128 s[36:39], s[14:15], 0x1c
	s_load_b64 s[44:45], s[14:15], 0x2c
	s_add_co_i32 s35, s35, -2
	s_delay_alu instid0(SALU_CYCLE_1) | instskip(SKIP_2) | instid1(VALU_DEP_1)
	s_cmp_eq_u32 s35, 0
	s_wait_kmcnt 0x0
	v_mul_hi_u32 v2, s37, v1
	v_add_nc_u32_e32 v2, v1, v2
	s_delay_alu instid0(VALU_DEP_1) | instskip(NEXT) | instid1(VALU_DEP_1)
	v_lshrrev_b32_e32 v2, s38, v2
	v_mul_hi_u32 v3, s44, v2
	v_mul_lo_u32 v7, v2, s36
	s_clause 0x1
	s_load_b128 s[40:43], s[14:15], 0xdc
	s_load_b64 s[36:37], s[14:15], 0xec
	s_wait_xcnt 0x0
	s_add_nc_u64 s[14:15], s[14:15], 24
	s_delay_alu instid0(VALU_DEP_2) | instskip(NEXT) | instid1(VALU_DEP_2)
	v_add_nc_u32_e32 v3, v2, v3
	v_sub_nc_u32_e32 v7, v1, v7
	s_delay_alu instid0(VALU_DEP_2) | instskip(SKIP_1) | instid1(VALU_DEP_2)
	v_lshrrev_b32_e32 v1, s45, v3
	s_wait_kmcnt 0x0
	v_mad_u32 v4, v7, s40, v4
	s_delay_alu instid0(VALU_DEP_2) | instskip(SKIP_2) | instid1(VALU_DEP_3)
	v_mul_lo_u32 v3, v1, s39
	v_mad_u32 v5, v7, s42, v5
	v_mad_u32 v6, v7, s41, v6
	v_sub_nc_u32_e32 v2, v2, v3
	s_delay_alu instid0(VALU_DEP_1) | instskip(NEXT) | instid1(VALU_DEP_4)
	v_mad_u32 v4, v2, s43, v4
	v_mad_u32 v5, v2, s37, v5
	s_delay_alu instid0(VALU_DEP_4)
	v_mad_u32 v6, v2, s36, v6
	s_cbranch_scc0 .LBB346_60
; %bb.61:
	s_bitcmp1_b32 s31, 0
	s_cselect_b32 s35, -1, 0
	s_delay_alu instid0(SALU_CYCLE_1)
	s_and_b32 vcc_lo, exec_lo, s35
	s_cbranch_vccnz .LBB346_65
; %bb.62:
	s_clause 0x1
	s_load_b96 s[36:38], s[14:15], 0x1c
	s_load_b96 s[40:42], s[14:15], 0xdc
	s_wait_kmcnt 0x0
	v_mul_hi_u32 v2, s37, v1
	s_delay_alu instid0(VALU_DEP_1) | instskip(NEXT) | instid1(VALU_DEP_1)
	v_add_nc_u32_e32 v2, v1, v2
	v_lshrrev_b32_e32 v2, s38, v2
	s_delay_alu instid0(VALU_DEP_1) | instskip(NEXT) | instid1(VALU_DEP_1)
	v_mul_lo_u32 v2, v2, s36
	v_sub_nc_u32_e32 v1, v1, v2
	s_delay_alu instid0(VALU_DEP_1)
	v_mad_u32 v4, v1, s40, v4
	v_mad_u32 v6, v1, s41, v6
	v_mad_u32 v5, v1, s42, v5
	s_branch .LBB346_65
.LBB346_63:
                                        ; implicit-def: $vgpr5
                                        ; implicit-def: $vgpr6
                                        ; implicit-def: $vgpr4
	s_branch .LBB346_66
.LBB346_64:
	v_dual_mov_b32 v5, 0 :: v_dual_mov_b32 v6, 0
	v_mov_b32_e32 v4, 0
.LBB346_65:
	s_cbranch_execnz .LBB346_68
.LBB346_66:
	v_mov_b32_e32 v1, 0
	s_and_not1_b32 vcc_lo, exec_lo, s30
	s_delay_alu instid0(VALU_DEP_1) | instskip(NEXT) | instid1(VALU_DEP_1)
	v_mul_u64_e32 v[2:3], s[20:21], v[0:1]
	v_add_nc_u32_e32 v2, v0, v3
	s_delay_alu instid0(VALU_DEP_1) | instskip(NEXT) | instid1(VALU_DEP_1)
	v_lshrrev_b32_e32 v2, s6, v2
	v_mul_lo_u32 v3, v2, s4
	s_delay_alu instid0(VALU_DEP_1) | instskip(NEXT) | instid1(VALU_DEP_1)
	v_sub_nc_u32_e32 v3, v0, v3
	v_mul_lo_u32 v4, v3, s8
	v_mul_lo_u32 v5, v3, s10
	;; [unrolled: 1-line block ×3, first 2 shown]
	s_cbranch_vccnz .LBB346_68
; %bb.67:
	v_mov_b32_e32 v3, v1
	s_delay_alu instid0(VALU_DEP_1) | instskip(NEXT) | instid1(VALU_DEP_1)
	v_mul_u64_e32 v[8:9], s[24:25], v[2:3]
	v_add_nc_u32_e32 v1, v2, v9
	s_delay_alu instid0(VALU_DEP_1) | instskip(NEXT) | instid1(VALU_DEP_1)
	v_lshrrev_b32_e32 v1, s19, v1
	v_mul_lo_u32 v1, v1, s7
	s_delay_alu instid0(VALU_DEP_1) | instskip(NEXT) | instid1(VALU_DEP_1)
	v_sub_nc_u32_e32 v1, v2, v1
	v_mad_u32 v4, v1, s11, v4
	v_mad_u32 v6, v1, s22, v6
	;; [unrolled: 1-line block ×3, first 2 shown]
.LBB346_68:
	global_load_b32 v1, v6, s[2:3]
	global_load_b32 v2, v5, s[12:13]
	v_add_nc_u32_e32 v0, 0x80, v0
	s_wait_loadcnt 0x0
	v_cmp_ne_u32_e32 vcc_lo, v1, v2
	s_xor_b32 s14, s5, vcc_lo
	s_delay_alu instid0(SALU_CYCLE_1) | instskip(SKIP_3) | instid1(SALU_CYCLE_1)
	v_cndmask_b32_e64 v1, 0, 1, s14
	global_store_b8 v4, v1, s[0:1]
	s_wait_xcnt 0x0
	s_or_b32 exec_lo, exec_lo, s18
	s_mov_b32 s18, exec_lo
	v_cmpx_gt_i32_e64 s33, v0
	s_cbranch_execz .LBB346_7
.LBB346_69:
	s_and_not1_b32 vcc_lo, exec_lo, s28
	s_cbranch_vccnz .LBB346_75
; %bb.70:
	s_and_not1_b32 vcc_lo, exec_lo, s34
	s_cbranch_vccnz .LBB346_76
; %bb.71:
	v_dual_mov_b32 v4, 0 :: v_dual_mov_b32 v1, v0
	v_dual_mov_b32 v6, 0 :: v_dual_mov_b32 v5, 0
	s_add_co_i32 s35, s31, 1
	s_mov_b64 s[14:15], 0xffffffffffffffe8
	s_and_b32 s35, s35, 30
	s_add_nc_u64 s[14:15], s[16:17], s[14:15]
.LBB346_72:                             ; =>This Inner Loop Header: Depth=1
	s_clause 0x1
	s_load_b128 s[36:39], s[14:15], 0x1c
	s_load_b64 s[44:45], s[14:15], 0x2c
	s_add_co_i32 s35, s35, -2
	s_delay_alu instid0(SALU_CYCLE_1) | instskip(SKIP_2) | instid1(VALU_DEP_1)
	s_cmp_eq_u32 s35, 0
	s_wait_kmcnt 0x0
	v_mul_hi_u32 v2, s37, v1
	v_add_nc_u32_e32 v2, v1, v2
	s_delay_alu instid0(VALU_DEP_1) | instskip(NEXT) | instid1(VALU_DEP_1)
	v_lshrrev_b32_e32 v2, s38, v2
	v_mul_hi_u32 v3, s44, v2
	v_mul_lo_u32 v7, v2, s36
	s_clause 0x1
	s_load_b128 s[40:43], s[14:15], 0xdc
	s_load_b64 s[36:37], s[14:15], 0xec
	s_wait_xcnt 0x0
	s_add_nc_u64 s[14:15], s[14:15], 24
	s_delay_alu instid0(VALU_DEP_2) | instskip(NEXT) | instid1(VALU_DEP_2)
	v_add_nc_u32_e32 v3, v2, v3
	v_sub_nc_u32_e32 v7, v1, v7
	s_delay_alu instid0(VALU_DEP_2) | instskip(SKIP_1) | instid1(VALU_DEP_2)
	v_lshrrev_b32_e32 v1, s45, v3
	s_wait_kmcnt 0x0
	v_mad_u32 v4, v7, s40, v4
	s_delay_alu instid0(VALU_DEP_2) | instskip(SKIP_2) | instid1(VALU_DEP_3)
	v_mul_lo_u32 v3, v1, s39
	v_mad_u32 v5, v7, s42, v5
	v_mad_u32 v6, v7, s41, v6
	v_sub_nc_u32_e32 v2, v2, v3
	s_delay_alu instid0(VALU_DEP_1) | instskip(NEXT) | instid1(VALU_DEP_4)
	v_mad_u32 v4, v2, s43, v4
	v_mad_u32 v5, v2, s37, v5
	s_delay_alu instid0(VALU_DEP_4)
	v_mad_u32 v6, v2, s36, v6
	s_cbranch_scc0 .LBB346_72
; %bb.73:
	s_bitcmp1_b32 s31, 0
	s_cselect_b32 s35, -1, 0
	s_delay_alu instid0(SALU_CYCLE_1)
	s_and_b32 vcc_lo, exec_lo, s35
	s_cbranch_vccnz .LBB346_77
; %bb.74:
	s_clause 0x1
	s_load_b96 s[36:38], s[14:15], 0x1c
	s_load_b96 s[40:42], s[14:15], 0xdc
	s_wait_kmcnt 0x0
	v_mul_hi_u32 v2, s37, v1
	s_delay_alu instid0(VALU_DEP_1) | instskip(NEXT) | instid1(VALU_DEP_1)
	v_add_nc_u32_e32 v2, v1, v2
	v_lshrrev_b32_e32 v2, s38, v2
	s_delay_alu instid0(VALU_DEP_1) | instskip(NEXT) | instid1(VALU_DEP_1)
	v_mul_lo_u32 v2, v2, s36
	v_sub_nc_u32_e32 v1, v1, v2
	s_delay_alu instid0(VALU_DEP_1)
	v_mad_u32 v4, v1, s40, v4
	v_mad_u32 v6, v1, s41, v6
	v_mad_u32 v5, v1, s42, v5
	s_branch .LBB346_77
.LBB346_75:
                                        ; implicit-def: $vgpr5
                                        ; implicit-def: $vgpr6
                                        ; implicit-def: $vgpr4
	s_branch .LBB346_78
.LBB346_76:
	v_dual_mov_b32 v5, 0 :: v_dual_mov_b32 v6, 0
	v_mov_b32_e32 v4, 0
.LBB346_77:
	s_cbranch_execnz .LBB346_80
.LBB346_78:
	v_mov_b32_e32 v1, 0
	s_and_not1_b32 vcc_lo, exec_lo, s30
	s_delay_alu instid0(VALU_DEP_1) | instskip(NEXT) | instid1(VALU_DEP_1)
	v_mul_u64_e32 v[2:3], s[20:21], v[0:1]
	v_add_nc_u32_e32 v2, v0, v3
	s_delay_alu instid0(VALU_DEP_1) | instskip(NEXT) | instid1(VALU_DEP_1)
	v_lshrrev_b32_e32 v2, s6, v2
	v_mul_lo_u32 v3, v2, s4
	s_delay_alu instid0(VALU_DEP_1) | instskip(NEXT) | instid1(VALU_DEP_1)
	v_sub_nc_u32_e32 v3, v0, v3
	v_mul_lo_u32 v4, v3, s8
	v_mul_lo_u32 v5, v3, s10
	;; [unrolled: 1-line block ×3, first 2 shown]
	s_cbranch_vccnz .LBB346_80
; %bb.79:
	v_mov_b32_e32 v3, v1
	s_delay_alu instid0(VALU_DEP_1) | instskip(NEXT) | instid1(VALU_DEP_1)
	v_mul_u64_e32 v[8:9], s[24:25], v[2:3]
	v_add_nc_u32_e32 v1, v2, v9
	s_delay_alu instid0(VALU_DEP_1) | instskip(NEXT) | instid1(VALU_DEP_1)
	v_lshrrev_b32_e32 v1, s19, v1
	v_mul_lo_u32 v1, v1, s7
	s_delay_alu instid0(VALU_DEP_1) | instskip(NEXT) | instid1(VALU_DEP_1)
	v_sub_nc_u32_e32 v1, v2, v1
	v_mad_u32 v4, v1, s11, v4
	v_mad_u32 v6, v1, s22, v6
	;; [unrolled: 1-line block ×3, first 2 shown]
.LBB346_80:
	global_load_b32 v1, v6, s[2:3]
	global_load_b32 v2, v5, s[12:13]
	v_add_nc_u32_e32 v0, 0x80, v0
	s_wait_loadcnt 0x0
	v_cmp_ne_u32_e32 vcc_lo, v1, v2
	s_xor_b32 s14, s5, vcc_lo
	s_delay_alu instid0(SALU_CYCLE_1) | instskip(SKIP_3) | instid1(SALU_CYCLE_1)
	v_cndmask_b32_e64 v1, 0, 1, s14
	global_store_b8 v4, v1, s[0:1]
	s_wait_xcnt 0x0
	s_or_b32 exec_lo, exec_lo, s18
	s_mov_b32 s18, exec_lo
	v_cmpx_gt_i32_e64 s33, v0
	s_cbranch_execz .LBB346_8
.LBB346_81:
	s_and_not1_b32 vcc_lo, exec_lo, s28
	s_cbranch_vccnz .LBB346_87
; %bb.82:
	s_and_not1_b32 vcc_lo, exec_lo, s34
	s_cbranch_vccnz .LBB346_88
; %bb.83:
	v_dual_mov_b32 v4, 0 :: v_dual_mov_b32 v1, v0
	v_dual_mov_b32 v6, 0 :: v_dual_mov_b32 v5, 0
	s_add_co_i32 s35, s31, 1
	s_mov_b64 s[14:15], 0xffffffffffffffe8
	s_and_b32 s35, s35, 30
	s_add_nc_u64 s[14:15], s[16:17], s[14:15]
.LBB346_84:                             ; =>This Inner Loop Header: Depth=1
	s_clause 0x1
	s_load_b128 s[36:39], s[14:15], 0x1c
	s_load_b64 s[44:45], s[14:15], 0x2c
	s_add_co_i32 s35, s35, -2
	s_delay_alu instid0(SALU_CYCLE_1) | instskip(SKIP_2) | instid1(VALU_DEP_1)
	s_cmp_eq_u32 s35, 0
	s_wait_kmcnt 0x0
	v_mul_hi_u32 v2, s37, v1
	v_add_nc_u32_e32 v2, v1, v2
	s_delay_alu instid0(VALU_DEP_1) | instskip(NEXT) | instid1(VALU_DEP_1)
	v_lshrrev_b32_e32 v2, s38, v2
	v_mul_hi_u32 v3, s44, v2
	v_mul_lo_u32 v7, v2, s36
	s_clause 0x1
	s_load_b128 s[40:43], s[14:15], 0xdc
	s_load_b64 s[36:37], s[14:15], 0xec
	s_wait_xcnt 0x0
	s_add_nc_u64 s[14:15], s[14:15], 24
	s_delay_alu instid0(VALU_DEP_2) | instskip(NEXT) | instid1(VALU_DEP_2)
	v_add_nc_u32_e32 v3, v2, v3
	v_sub_nc_u32_e32 v7, v1, v7
	s_delay_alu instid0(VALU_DEP_2) | instskip(SKIP_1) | instid1(VALU_DEP_2)
	v_lshrrev_b32_e32 v1, s45, v3
	s_wait_kmcnt 0x0
	v_mad_u32 v4, v7, s40, v4
	s_delay_alu instid0(VALU_DEP_2) | instskip(SKIP_2) | instid1(VALU_DEP_3)
	v_mul_lo_u32 v3, v1, s39
	v_mad_u32 v5, v7, s42, v5
	v_mad_u32 v6, v7, s41, v6
	v_sub_nc_u32_e32 v2, v2, v3
	s_delay_alu instid0(VALU_DEP_1) | instskip(NEXT) | instid1(VALU_DEP_4)
	v_mad_u32 v4, v2, s43, v4
	v_mad_u32 v5, v2, s37, v5
	s_delay_alu instid0(VALU_DEP_4)
	v_mad_u32 v6, v2, s36, v6
	s_cbranch_scc0 .LBB346_84
; %bb.85:
	s_bitcmp1_b32 s31, 0
	s_cselect_b32 s35, -1, 0
	s_delay_alu instid0(SALU_CYCLE_1)
	s_and_b32 vcc_lo, exec_lo, s35
	s_cbranch_vccnz .LBB346_89
; %bb.86:
	s_clause 0x1
	s_load_b96 s[36:38], s[14:15], 0x1c
	s_load_b96 s[40:42], s[14:15], 0xdc
	s_wait_kmcnt 0x0
	v_mul_hi_u32 v2, s37, v1
	s_delay_alu instid0(VALU_DEP_1) | instskip(NEXT) | instid1(VALU_DEP_1)
	v_add_nc_u32_e32 v2, v1, v2
	v_lshrrev_b32_e32 v2, s38, v2
	s_delay_alu instid0(VALU_DEP_1) | instskip(NEXT) | instid1(VALU_DEP_1)
	v_mul_lo_u32 v2, v2, s36
	v_sub_nc_u32_e32 v1, v1, v2
	s_delay_alu instid0(VALU_DEP_1)
	v_mad_u32 v4, v1, s40, v4
	v_mad_u32 v6, v1, s41, v6
	;; [unrolled: 1-line block ×3, first 2 shown]
	s_branch .LBB346_89
.LBB346_87:
                                        ; implicit-def: $vgpr5
                                        ; implicit-def: $vgpr6
                                        ; implicit-def: $vgpr4
	s_branch .LBB346_90
.LBB346_88:
	v_dual_mov_b32 v5, 0 :: v_dual_mov_b32 v6, 0
	v_mov_b32_e32 v4, 0
.LBB346_89:
	s_cbranch_execnz .LBB346_92
.LBB346_90:
	v_mov_b32_e32 v1, 0
	s_and_not1_b32 vcc_lo, exec_lo, s30
	s_delay_alu instid0(VALU_DEP_1) | instskip(NEXT) | instid1(VALU_DEP_1)
	v_mul_u64_e32 v[2:3], s[20:21], v[0:1]
	v_add_nc_u32_e32 v2, v0, v3
	s_delay_alu instid0(VALU_DEP_1) | instskip(NEXT) | instid1(VALU_DEP_1)
	v_lshrrev_b32_e32 v2, s6, v2
	v_mul_lo_u32 v3, v2, s4
	s_delay_alu instid0(VALU_DEP_1) | instskip(NEXT) | instid1(VALU_DEP_1)
	v_sub_nc_u32_e32 v3, v0, v3
	v_mul_lo_u32 v4, v3, s8
	v_mul_lo_u32 v5, v3, s10
	;; [unrolled: 1-line block ×3, first 2 shown]
	s_cbranch_vccnz .LBB346_92
; %bb.91:
	v_mov_b32_e32 v3, v1
	s_delay_alu instid0(VALU_DEP_1) | instskip(NEXT) | instid1(VALU_DEP_1)
	v_mul_u64_e32 v[8:9], s[24:25], v[2:3]
	v_add_nc_u32_e32 v1, v2, v9
	s_delay_alu instid0(VALU_DEP_1) | instskip(NEXT) | instid1(VALU_DEP_1)
	v_lshrrev_b32_e32 v1, s19, v1
	v_mul_lo_u32 v1, v1, s7
	s_delay_alu instid0(VALU_DEP_1) | instskip(NEXT) | instid1(VALU_DEP_1)
	v_sub_nc_u32_e32 v1, v2, v1
	v_mad_u32 v4, v1, s11, v4
	v_mad_u32 v6, v1, s22, v6
	;; [unrolled: 1-line block ×3, first 2 shown]
.LBB346_92:
	global_load_b32 v1, v6, s[2:3]
	global_load_b32 v2, v5, s[12:13]
	v_add_nc_u32_e32 v0, 0x80, v0
	s_wait_loadcnt 0x0
	v_cmp_ne_u32_e32 vcc_lo, v1, v2
	s_xor_b32 s14, s5, vcc_lo
	s_delay_alu instid0(SALU_CYCLE_1) | instskip(SKIP_3) | instid1(SALU_CYCLE_1)
	v_cndmask_b32_e64 v1, 0, 1, s14
	global_store_b8 v4, v1, s[0:1]
	s_wait_xcnt 0x0
	s_or_b32 exec_lo, exec_lo, s18
	s_mov_b32 s18, exec_lo
	v_cmpx_gt_i32_e64 s33, v0
	s_cbranch_execz .LBB346_105
.LBB346_93:
	s_and_not1_b32 vcc_lo, exec_lo, s28
	s_cbranch_vccnz .LBB346_99
; %bb.94:
	s_and_not1_b32 vcc_lo, exec_lo, s34
	s_cbranch_vccnz .LBB346_100
; %bb.95:
	v_dual_mov_b32 v4, 0 :: v_dual_mov_b32 v1, v0
	v_dual_mov_b32 v6, 0 :: v_dual_mov_b32 v5, 0
	s_add_co_i32 s33, s31, 1
	s_mov_b64 s[14:15], 0xffffffffffffffe8
	s_and_b32 s33, s33, 30
	s_add_nc_u64 s[14:15], s[16:17], s[14:15]
.LBB346_96:                             ; =>This Inner Loop Header: Depth=1
	s_clause 0x1
	s_load_b128 s[36:39], s[14:15], 0x1c
	s_load_b64 s[34:35], s[14:15], 0x2c
	s_add_co_i32 s33, s33, -2
	s_delay_alu instid0(SALU_CYCLE_1) | instskip(SKIP_2) | instid1(VALU_DEP_1)
	s_cmp_eq_u32 s33, 0
	s_wait_kmcnt 0x0
	v_mul_hi_u32 v2, s37, v1
	v_add_nc_u32_e32 v2, v1, v2
	s_delay_alu instid0(VALU_DEP_1) | instskip(NEXT) | instid1(VALU_DEP_1)
	v_lshrrev_b32_e32 v2, s38, v2
	v_mul_hi_u32 v3, s34, v2
	v_mul_lo_u32 v7, v2, s36
	s_clause 0x1
	s_load_b128 s[40:43], s[14:15], 0xdc
	s_load_b64 s[36:37], s[14:15], 0xec
	s_wait_xcnt 0x0
	s_add_nc_u64 s[14:15], s[14:15], 24
	s_delay_alu instid0(VALU_DEP_2) | instskip(NEXT) | instid1(VALU_DEP_2)
	v_add_nc_u32_e32 v3, v2, v3
	v_sub_nc_u32_e32 v7, v1, v7
	s_delay_alu instid0(VALU_DEP_2) | instskip(SKIP_1) | instid1(VALU_DEP_2)
	v_lshrrev_b32_e32 v1, s35, v3
	s_wait_kmcnt 0x0
	v_mad_u32 v4, v7, s40, v4
	s_delay_alu instid0(VALU_DEP_2) | instskip(SKIP_2) | instid1(VALU_DEP_3)
	v_mul_lo_u32 v3, v1, s39
	v_mad_u32 v5, v7, s42, v5
	v_mad_u32 v6, v7, s41, v6
	v_sub_nc_u32_e32 v2, v2, v3
	s_delay_alu instid0(VALU_DEP_1) | instskip(NEXT) | instid1(VALU_DEP_4)
	v_mad_u32 v4, v2, s43, v4
	v_mad_u32 v5, v2, s37, v5
	s_delay_alu instid0(VALU_DEP_4)
	v_mad_u32 v6, v2, s36, v6
	s_cbranch_scc0 .LBB346_96
; %bb.97:
	s_bitcmp1_b32 s31, 0
	s_cselect_b32 s31, -1, 0
	s_delay_alu instid0(SALU_CYCLE_1)
	s_and_b32 vcc_lo, exec_lo, s31
	s_cbranch_vccnz .LBB346_101
; %bb.98:
	s_clause 0x1
	s_load_b96 s[36:38], s[14:15], 0x1c
	s_load_b96 s[40:42], s[14:15], 0xdc
	s_wait_kmcnt 0x0
	v_mul_hi_u32 v2, s37, v1
	s_delay_alu instid0(VALU_DEP_1) | instskip(NEXT) | instid1(VALU_DEP_1)
	v_add_nc_u32_e32 v2, v1, v2
	v_lshrrev_b32_e32 v2, s38, v2
	s_delay_alu instid0(VALU_DEP_1) | instskip(NEXT) | instid1(VALU_DEP_1)
	v_mul_lo_u32 v2, v2, s36
	v_sub_nc_u32_e32 v1, v1, v2
	s_delay_alu instid0(VALU_DEP_1)
	v_mad_u32 v4, v1, s40, v4
	v_mad_u32 v6, v1, s41, v6
	;; [unrolled: 1-line block ×3, first 2 shown]
	s_branch .LBB346_101
.LBB346_99:
                                        ; implicit-def: $vgpr5
                                        ; implicit-def: $vgpr6
                                        ; implicit-def: $vgpr4
	s_branch .LBB346_102
.LBB346_100:
	v_dual_mov_b32 v5, 0 :: v_dual_mov_b32 v6, 0
	v_mov_b32_e32 v4, 0
.LBB346_101:
	s_cbranch_execnz .LBB346_104
.LBB346_102:
	v_mov_b32_e32 v1, 0
	s_and_not1_b32 vcc_lo, exec_lo, s30
	s_delay_alu instid0(VALU_DEP_1) | instskip(NEXT) | instid1(VALU_DEP_1)
	v_mul_u64_e32 v[2:3], s[20:21], v[0:1]
	v_add_nc_u32_e32 v2, v0, v3
	s_delay_alu instid0(VALU_DEP_1) | instskip(NEXT) | instid1(VALU_DEP_1)
	v_lshrrev_b32_e32 v2, s6, v2
	v_mul_lo_u32 v3, v2, s4
	s_delay_alu instid0(VALU_DEP_1) | instskip(NEXT) | instid1(VALU_DEP_1)
	v_sub_nc_u32_e32 v0, v0, v3
	v_mul_lo_u32 v4, v0, s8
	v_mul_lo_u32 v5, v0, s10
	;; [unrolled: 1-line block ×3, first 2 shown]
	s_cbranch_vccnz .LBB346_104
; %bb.103:
	v_mov_b32_e32 v3, v1
	s_delay_alu instid0(VALU_DEP_1) | instskip(NEXT) | instid1(VALU_DEP_1)
	v_mul_u64_e32 v[0:1], s[24:25], v[2:3]
	v_add_nc_u32_e32 v0, v2, v1
	s_delay_alu instid0(VALU_DEP_1) | instskip(NEXT) | instid1(VALU_DEP_1)
	v_lshrrev_b32_e32 v0, s19, v0
	v_mul_lo_u32 v0, v0, s7
	s_delay_alu instid0(VALU_DEP_1) | instskip(NEXT) | instid1(VALU_DEP_1)
	v_sub_nc_u32_e32 v0, v2, v0
	v_mad_u32 v4, v0, s11, v4
	v_mad_u32 v6, v0, s22, v6
	;; [unrolled: 1-line block ×3, first 2 shown]
.LBB346_104:
	global_load_b32 v0, v6, s[2:3]
	global_load_b32 v1, v5, s[12:13]
	s_wait_loadcnt 0x0
	v_cmp_ne_u32_e32 vcc_lo, v0, v1
	s_wait_xcnt 0x1
	s_xor_b32 s2, s5, vcc_lo
	s_delay_alu instid0(SALU_CYCLE_1)
	v_cndmask_b32_e64 v0, 0, 1, s2
	global_store_b8 v4, v0, s[0:1]
.LBB346_105:
	s_wait_xcnt 0x0
	s_or_b32 exec_lo, exec_lo, s18
                                        ; implicit-def: $vgpr4
                                        ; implicit-def: $vgpr0
.LBB346_106:
	s_and_not1_saveexec_b32 s0, s29
	s_cbranch_execz .LBB346_113
; %bb.107:
	v_cndmask_b32_e64 v8, 0, 1, s28
	s_and_not1_b32 vcc_lo, exec_lo, s28
	s_cbranch_vccnz .LBB346_114
; %bb.108:
	s_cmp_lg_u32 s26, 0
	s_mov_b32 s2, 0
	s_cbranch_scc0 .LBB346_118
; %bb.109:
	s_min_u32 s3, s27, 15
	v_dual_mov_b32 v1, 0 :: v_dual_mov_b32 v5, v0
	v_dual_mov_b32 v3, 0 :: v_dual_mov_b32 v2, 0
	s_add_co_i32 s4, s3, 1
	s_mov_b64 s[0:1], 0xffffffffffffffe8
	s_and_b32 s4, s4, 30
	s_add_nc_u64 s[0:1], s[16:17], s[0:1]
.LBB346_110:                            ; =>This Inner Loop Header: Depth=1
	s_clause 0x1
	s_load_b128 s[8:11], s[0:1], 0x1c
	s_load_b64 s[6:7], s[0:1], 0x2c
	s_add_co_i32 s4, s4, -2
	s_delay_alu instid0(SALU_CYCLE_1) | instskip(SKIP_2) | instid1(VALU_DEP_1)
	s_cmp_lg_u32 s4, 0
	s_wait_kmcnt 0x0
	v_mul_hi_u32 v6, s9, v5
	v_add_nc_u32_e32 v6, v5, v6
	s_delay_alu instid0(VALU_DEP_1) | instskip(NEXT) | instid1(VALU_DEP_1)
	v_lshrrev_b32_e32 v6, s10, v6
	v_mul_hi_u32 v7, s6, v6
	v_mul_lo_u32 v9, v6, s8
	s_clause 0x1
	s_load_b128 s[12:15], s[0:1], 0xdc
	s_load_b64 s[8:9], s[0:1], 0xec
	s_wait_xcnt 0x0
	s_add_nc_u64 s[0:1], s[0:1], 24
	s_delay_alu instid0(VALU_DEP_1) | instskip(NEXT) | instid1(VALU_DEP_1)
	v_dual_add_nc_u32 v7, v6, v7 :: v_dual_sub_nc_u32 v9, v5, v9
	v_lshrrev_b32_e32 v5, s7, v7
	s_wait_kmcnt 0x0
	s_delay_alu instid0(VALU_DEP_2) | instskip(NEXT) | instid1(VALU_DEP_2)
	v_mad_u32 v1, v9, s12, v1
	v_mul_lo_u32 v7, v5, s11
	v_mad_u32 v2, v9, s14, v2
	v_mad_u32 v3, v9, s13, v3
	s_delay_alu instid0(VALU_DEP_3) | instskip(NEXT) | instid1(VALU_DEP_1)
	v_sub_nc_u32_e32 v6, v6, v7
	v_mad_u32 v1, v6, s15, v1
	s_delay_alu instid0(VALU_DEP_4) | instskip(NEXT) | instid1(VALU_DEP_4)
	v_mad_u32 v2, v6, s9, v2
	v_mad_u32 v3, v6, s8, v3
	s_cbranch_scc1 .LBB346_110
; %bb.111:
	s_bitcmp1_b32 s3, 0
	s_cselect_b32 s3, -1, 0
	s_delay_alu instid0(SALU_CYCLE_1)
	s_and_b32 vcc_lo, exec_lo, s3
	s_cbranch_vccnz .LBB346_115
; %bb.112:
	s_clause 0x1
	s_load_b96 s[4:6], s[0:1], 0x1c
	s_load_b96 s[8:10], s[0:1], 0xdc
	s_wait_kmcnt 0x0
	v_mul_hi_u32 v6, s5, v5
	s_delay_alu instid0(VALU_DEP_1) | instskip(NEXT) | instid1(VALU_DEP_1)
	v_add_nc_u32_e32 v6, v5, v6
	v_lshrrev_b32_e32 v6, s6, v6
	s_delay_alu instid0(VALU_DEP_1) | instskip(NEXT) | instid1(VALU_DEP_1)
	v_mul_lo_u32 v6, v6, s4
	v_sub_nc_u32_e32 v5, v5, v6
	s_delay_alu instid0(VALU_DEP_1)
	v_mad_u32 v1, v5, s8, v1
	v_mad_u32 v3, v5, s9, v3
	;; [unrolled: 1-line block ×3, first 2 shown]
	s_and_not1_b32 vcc_lo, exec_lo, s2
	s_cbranch_vccz .LBB346_116
	s_branch .LBB346_119
.LBB346_113:
	s_endpgm
.LBB346_114:
	s_mov_b32 s2, -1
                                        ; implicit-def: $vgpr2
                                        ; implicit-def: $vgpr3
                                        ; implicit-def: $vgpr1
.LBB346_115:
	s_delay_alu instid0(SALU_CYCLE_1)
	s_and_not1_b32 vcc_lo, exec_lo, s2
	s_cbranch_vccnz .LBB346_119
.LBB346_116:
	s_clause 0x1
	s_load_b96 s[0:2], s[16:17], 0x4
	s_load_b96 s[4:6], s[16:17], 0xc4
	s_cmp_lt_u32 s26, 2
	s_wait_kmcnt 0x0
	v_mul_hi_u32 v1, s1, v0
	s_delay_alu instid0(VALU_DEP_1) | instskip(NEXT) | instid1(VALU_DEP_1)
	v_add_nc_u32_e32 v1, v0, v1
	v_lshrrev_b32_e32 v5, s2, v1
	s_delay_alu instid0(VALU_DEP_1) | instskip(NEXT) | instid1(VALU_DEP_1)
	v_mul_lo_u32 v1, v5, s0
	v_sub_nc_u32_e32 v3, v0, v1
	s_delay_alu instid0(VALU_DEP_1)
	v_mul_lo_u32 v1, v3, s4
	v_mul_lo_u32 v2, v3, s6
	;; [unrolled: 1-line block ×3, first 2 shown]
	s_cbranch_scc1 .LBB346_119
; %bb.117:
	s_clause 0x1
	s_load_b96 s[0:2], s[16:17], 0x10
	s_load_b96 s[4:6], s[16:17], 0xd0
	s_wait_kmcnt 0x0
	v_mul_hi_u32 v6, s1, v5
	s_delay_alu instid0(VALU_DEP_1) | instskip(NEXT) | instid1(VALU_DEP_1)
	v_add_nc_u32_e32 v6, v5, v6
	v_lshrrev_b32_e32 v6, s2, v6
	s_delay_alu instid0(VALU_DEP_1) | instskip(NEXT) | instid1(VALU_DEP_1)
	v_mul_lo_u32 v6, v6, s0
	v_sub_nc_u32_e32 v5, v5, v6
	s_delay_alu instid0(VALU_DEP_1)
	v_mad_u32 v1, v5, s4, v1
	v_mad_u32 v3, v5, s5, v3
	;; [unrolled: 1-line block ×3, first 2 shown]
	s_branch .LBB346_119
.LBB346_118:
	v_dual_mov_b32 v2, 0 :: v_dual_mov_b32 v3, 0
	v_mov_b32_e32 v1, 0
	s_and_not1_b32 vcc_lo, exec_lo, s2
	s_cbranch_vccz .LBB346_116
.LBB346_119:
	v_cmp_ne_u32_e32 vcc_lo, 1, v8
	v_add_nc_u32_e32 v9, 0x80, v0
	s_cbranch_vccnz .LBB346_125
; %bb.120:
	s_cmp_lg_u32 s26, 0
	s_mov_b32 s2, 0
	s_cbranch_scc0 .LBB346_129
; %bb.121:
	s_min_u32 s3, s27, 15
	v_dual_mov_b32 v5, 0 :: v_dual_mov_b32 v10, v9
	v_dual_mov_b32 v6, 0 :: v_dual_mov_b32 v7, 0
	s_add_co_i32 s4, s3, 1
	s_mov_b64 s[0:1], 0xffffffffffffffe8
	s_and_b32 s4, s4, 30
	s_add_nc_u64 s[0:1], s[16:17], s[0:1]
.LBB346_122:                            ; =>This Inner Loop Header: Depth=1
	s_clause 0x1
	s_load_b128 s[8:11], s[0:1], 0x1c
	s_load_b64 s[6:7], s[0:1], 0x2c
	s_add_co_i32 s4, s4, -2
	s_delay_alu instid0(SALU_CYCLE_1) | instskip(SKIP_2) | instid1(VALU_DEP_1)
	s_cmp_lg_u32 s4, 0
	s_wait_kmcnt 0x0
	v_mul_hi_u32 v11, s9, v10
	v_add_nc_u32_e32 v11, v10, v11
	s_delay_alu instid0(VALU_DEP_1) | instskip(NEXT) | instid1(VALU_DEP_1)
	v_lshrrev_b32_e32 v11, s10, v11
	v_mul_hi_u32 v12, s6, v11
	v_mul_lo_u32 v13, v11, s8
	s_clause 0x1
	s_load_b128 s[12:15], s[0:1], 0xdc
	s_load_b64 s[8:9], s[0:1], 0xec
	s_wait_xcnt 0x0
	s_add_nc_u64 s[0:1], s[0:1], 24
	s_delay_alu instid0(VALU_DEP_1) | instskip(NEXT) | instid1(VALU_DEP_1)
	v_dual_add_nc_u32 v12, v11, v12 :: v_dual_sub_nc_u32 v13, v10, v13
	v_lshrrev_b32_e32 v10, s7, v12
	s_wait_kmcnt 0x0
	s_delay_alu instid0(VALU_DEP_2) | instskip(NEXT) | instid1(VALU_DEP_2)
	v_mad_u32 v5, v13, s12, v5
	v_mul_lo_u32 v12, v10, s11
	v_mad_u32 v7, v13, s14, v7
	v_mad_u32 v6, v13, s13, v6
	s_delay_alu instid0(VALU_DEP_3) | instskip(NEXT) | instid1(VALU_DEP_1)
	v_sub_nc_u32_e32 v11, v11, v12
	v_mad_u32 v5, v11, s15, v5
	s_delay_alu instid0(VALU_DEP_4) | instskip(NEXT) | instid1(VALU_DEP_4)
	v_mad_u32 v7, v11, s9, v7
	v_mad_u32 v6, v11, s8, v6
	s_cbranch_scc1 .LBB346_122
; %bb.123:
	s_bitcmp1_b32 s3, 0
	s_cselect_b32 s3, -1, 0
	s_delay_alu instid0(SALU_CYCLE_1)
	s_and_b32 vcc_lo, exec_lo, s3
	s_cbranch_vccnz .LBB346_126
; %bb.124:
	s_clause 0x1
	s_load_b96 s[4:6], s[0:1], 0x1c
	s_load_b96 s[8:10], s[0:1], 0xdc
	s_wait_kmcnt 0x0
	v_mul_hi_u32 v11, s5, v10
	s_delay_alu instid0(VALU_DEP_1) | instskip(NEXT) | instid1(VALU_DEP_1)
	v_add_nc_u32_e32 v11, v10, v11
	v_lshrrev_b32_e32 v11, s6, v11
	s_delay_alu instid0(VALU_DEP_1) | instskip(NEXT) | instid1(VALU_DEP_1)
	v_mul_lo_u32 v11, v11, s4
	v_sub_nc_u32_e32 v10, v10, v11
	s_delay_alu instid0(VALU_DEP_1)
	v_mad_u32 v5, v10, s8, v5
	v_mad_u32 v6, v10, s9, v6
	;; [unrolled: 1-line block ×3, first 2 shown]
	s_and_not1_b32 vcc_lo, exec_lo, s2
	s_cbranch_vccz .LBB346_127
	s_branch .LBB346_130
.LBB346_125:
	s_mov_b32 s2, -1
                                        ; implicit-def: $vgpr7
                                        ; implicit-def: $vgpr6
                                        ; implicit-def: $vgpr5
.LBB346_126:
	s_delay_alu instid0(SALU_CYCLE_1)
	s_and_not1_b32 vcc_lo, exec_lo, s2
	s_cbranch_vccnz .LBB346_130
.LBB346_127:
	s_clause 0x1
	s_load_b96 s[0:2], s[16:17], 0x4
	s_load_b96 s[4:6], s[16:17], 0xc4
	s_cmp_lt_u32 s26, 2
	s_wait_kmcnt 0x0
	v_mul_hi_u32 v5, s1, v9
	s_delay_alu instid0(VALU_DEP_1) | instskip(NEXT) | instid1(VALU_DEP_1)
	v_add_nc_u32_e32 v5, v9, v5
	v_lshrrev_b32_e32 v10, s2, v5
	s_delay_alu instid0(VALU_DEP_1) | instskip(NEXT) | instid1(VALU_DEP_1)
	v_mul_lo_u32 v5, v10, s0
	v_sub_nc_u32_e32 v6, v9, v5
	s_delay_alu instid0(VALU_DEP_1)
	v_mul_lo_u32 v5, v6, s4
	v_mul_lo_u32 v7, v6, s6
	;; [unrolled: 1-line block ×3, first 2 shown]
	s_cbranch_scc1 .LBB346_130
; %bb.128:
	s_clause 0x1
	s_load_b96 s[0:2], s[16:17], 0x10
	s_load_b96 s[4:6], s[16:17], 0xd0
	s_wait_kmcnt 0x0
	v_mul_hi_u32 v9, s1, v10
	s_delay_alu instid0(VALU_DEP_1) | instskip(NEXT) | instid1(VALU_DEP_1)
	v_add_nc_u32_e32 v9, v10, v9
	v_lshrrev_b32_e32 v9, s2, v9
	s_delay_alu instid0(VALU_DEP_1) | instskip(NEXT) | instid1(VALU_DEP_1)
	v_mul_lo_u32 v9, v9, s0
	v_sub_nc_u32_e32 v9, v10, v9
	s_delay_alu instid0(VALU_DEP_1)
	v_mad_u32 v5, v9, s4, v5
	v_mad_u32 v6, v9, s5, v6
	;; [unrolled: 1-line block ×3, first 2 shown]
	s_branch .LBB346_130
.LBB346_129:
	v_dual_mov_b32 v7, 0 :: v_dual_mov_b32 v6, 0
	v_mov_b32_e32 v5, 0
	s_and_not1_b32 vcc_lo, exec_lo, s2
	s_cbranch_vccz .LBB346_127
.LBB346_130:
	v_cmp_ne_u32_e32 vcc_lo, 1, v8
	v_add_nc_u32_e32 v12, 0x100, v0
	s_cbranch_vccnz .LBB346_136
; %bb.131:
	s_cmp_lg_u32 s26, 0
	s_mov_b32 s2, 0
	s_cbranch_scc0 .LBB346_140
; %bb.132:
	s_min_u32 s3, s27, 15
	v_dual_mov_b32 v9, 0 :: v_dual_mov_b32 v13, v12
	v_dual_mov_b32 v11, 0 :: v_dual_mov_b32 v10, 0
	s_add_co_i32 s4, s3, 1
	s_mov_b64 s[0:1], 0xffffffffffffffe8
	s_and_b32 s4, s4, 30
	s_add_nc_u64 s[0:1], s[16:17], s[0:1]
.LBB346_133:                            ; =>This Inner Loop Header: Depth=1
	s_clause 0x1
	s_load_b128 s[8:11], s[0:1], 0x1c
	s_load_b64 s[6:7], s[0:1], 0x2c
	s_add_co_i32 s4, s4, -2
	s_delay_alu instid0(SALU_CYCLE_1) | instskip(SKIP_2) | instid1(VALU_DEP_1)
	s_cmp_lg_u32 s4, 0
	s_wait_kmcnt 0x0
	v_mul_hi_u32 v14, s9, v13
	v_add_nc_u32_e32 v14, v13, v14
	s_delay_alu instid0(VALU_DEP_1) | instskip(NEXT) | instid1(VALU_DEP_1)
	v_lshrrev_b32_e32 v14, s10, v14
	v_mul_hi_u32 v15, s6, v14
	v_mul_lo_u32 v16, v14, s8
	s_clause 0x1
	s_load_b128 s[12:15], s[0:1], 0xdc
	s_load_b64 s[8:9], s[0:1], 0xec
	s_wait_xcnt 0x0
	s_add_nc_u64 s[0:1], s[0:1], 24
	s_delay_alu instid0(VALU_DEP_1) | instskip(NEXT) | instid1(VALU_DEP_1)
	v_dual_add_nc_u32 v15, v14, v15 :: v_dual_sub_nc_u32 v16, v13, v16
	v_lshrrev_b32_e32 v13, s7, v15
	s_wait_kmcnt 0x0
	s_delay_alu instid0(VALU_DEP_2) | instskip(NEXT) | instid1(VALU_DEP_2)
	v_mad_u32 v9, v16, s12, v9
	v_mul_lo_u32 v15, v13, s11
	v_mad_u32 v10, v16, s14, v10
	v_mad_u32 v11, v16, s13, v11
	s_delay_alu instid0(VALU_DEP_3) | instskip(NEXT) | instid1(VALU_DEP_1)
	v_sub_nc_u32_e32 v14, v14, v15
	v_mad_u32 v9, v14, s15, v9
	s_delay_alu instid0(VALU_DEP_4) | instskip(NEXT) | instid1(VALU_DEP_4)
	v_mad_u32 v10, v14, s9, v10
	v_mad_u32 v11, v14, s8, v11
	s_cbranch_scc1 .LBB346_133
; %bb.134:
	s_bitcmp1_b32 s3, 0
	s_cselect_b32 s3, -1, 0
	s_delay_alu instid0(SALU_CYCLE_1)
	s_and_b32 vcc_lo, exec_lo, s3
	s_cbranch_vccnz .LBB346_137
; %bb.135:
	s_clause 0x1
	s_load_b96 s[4:6], s[0:1], 0x1c
	s_load_b96 s[8:10], s[0:1], 0xdc
	s_wait_kmcnt 0x0
	v_mul_hi_u32 v14, s5, v13
	s_delay_alu instid0(VALU_DEP_1) | instskip(NEXT) | instid1(VALU_DEP_1)
	v_add_nc_u32_e32 v14, v13, v14
	v_lshrrev_b32_e32 v14, s6, v14
	s_delay_alu instid0(VALU_DEP_1) | instskip(NEXT) | instid1(VALU_DEP_1)
	v_mul_lo_u32 v14, v14, s4
	v_sub_nc_u32_e32 v13, v13, v14
	s_delay_alu instid0(VALU_DEP_1)
	v_mad_u32 v9, v13, s8, v9
	v_mad_u32 v11, v13, s9, v11
	;; [unrolled: 1-line block ×3, first 2 shown]
	s_and_not1_b32 vcc_lo, exec_lo, s2
	s_cbranch_vccz .LBB346_138
	s_branch .LBB346_141
.LBB346_136:
	s_mov_b32 s2, -1
                                        ; implicit-def: $vgpr10
                                        ; implicit-def: $vgpr11
                                        ; implicit-def: $vgpr9
.LBB346_137:
	s_delay_alu instid0(SALU_CYCLE_1)
	s_and_not1_b32 vcc_lo, exec_lo, s2
	s_cbranch_vccnz .LBB346_141
.LBB346_138:
	s_clause 0x1
	s_load_b96 s[0:2], s[16:17], 0x4
	s_load_b96 s[4:6], s[16:17], 0xc4
	s_cmp_lt_u32 s26, 2
	s_wait_kmcnt 0x0
	v_mul_hi_u32 v9, s1, v12
	s_delay_alu instid0(VALU_DEP_1) | instskip(NEXT) | instid1(VALU_DEP_1)
	v_add_nc_u32_e32 v9, v12, v9
	v_lshrrev_b32_e32 v13, s2, v9
	s_delay_alu instid0(VALU_DEP_1) | instskip(NEXT) | instid1(VALU_DEP_1)
	v_mul_lo_u32 v9, v13, s0
	v_sub_nc_u32_e32 v11, v12, v9
	s_delay_alu instid0(VALU_DEP_1)
	v_mul_lo_u32 v9, v11, s4
	v_mul_lo_u32 v10, v11, s6
	;; [unrolled: 1-line block ×3, first 2 shown]
	s_cbranch_scc1 .LBB346_141
; %bb.139:
	s_clause 0x1
	s_load_b96 s[0:2], s[16:17], 0x10
	s_load_b96 s[4:6], s[16:17], 0xd0
	s_wait_kmcnt 0x0
	v_mul_hi_u32 v12, s1, v13
	s_delay_alu instid0(VALU_DEP_1) | instskip(NEXT) | instid1(VALU_DEP_1)
	v_add_nc_u32_e32 v12, v13, v12
	v_lshrrev_b32_e32 v12, s2, v12
	s_delay_alu instid0(VALU_DEP_1) | instskip(NEXT) | instid1(VALU_DEP_1)
	v_mul_lo_u32 v12, v12, s0
	v_sub_nc_u32_e32 v12, v13, v12
	s_delay_alu instid0(VALU_DEP_1)
	v_mad_u32 v9, v12, s4, v9
	v_mad_u32 v11, v12, s5, v11
	;; [unrolled: 1-line block ×3, first 2 shown]
	s_branch .LBB346_141
.LBB346_140:
	v_dual_mov_b32 v10, 0 :: v_dual_mov_b32 v11, 0
	v_mov_b32_e32 v9, 0
	s_and_not1_b32 vcc_lo, exec_lo, s2
	s_cbranch_vccz .LBB346_138
.LBB346_141:
	v_cmp_ne_u32_e32 vcc_lo, 1, v8
	v_add_nc_u32_e32 v15, 0x180, v0
	s_cbranch_vccnz .LBB346_147
; %bb.142:
	s_cmp_lg_u32 s26, 0
	s_mov_b32 s2, 0
	s_cbranch_scc0 .LBB346_151
; %bb.143:
	s_min_u32 s3, s27, 15
	v_dual_mov_b32 v12, 0 :: v_dual_mov_b32 v16, v15
	v_dual_mov_b32 v14, 0 :: v_dual_mov_b32 v13, 0
	s_add_co_i32 s4, s3, 1
	s_mov_b64 s[0:1], 0xffffffffffffffe8
	s_and_b32 s4, s4, 30
	s_add_nc_u64 s[0:1], s[16:17], s[0:1]
.LBB346_144:                            ; =>This Inner Loop Header: Depth=1
	s_clause 0x1
	s_load_b128 s[8:11], s[0:1], 0x1c
	s_load_b64 s[6:7], s[0:1], 0x2c
	s_add_co_i32 s4, s4, -2
	s_delay_alu instid0(SALU_CYCLE_1) | instskip(SKIP_2) | instid1(VALU_DEP_1)
	s_cmp_lg_u32 s4, 0
	s_wait_kmcnt 0x0
	v_mul_hi_u32 v17, s9, v16
	v_add_nc_u32_e32 v17, v16, v17
	s_delay_alu instid0(VALU_DEP_1) | instskip(NEXT) | instid1(VALU_DEP_1)
	v_lshrrev_b32_e32 v17, s10, v17
	v_mul_hi_u32 v18, s6, v17
	v_mul_lo_u32 v19, v17, s8
	s_clause 0x1
	s_load_b128 s[12:15], s[0:1], 0xdc
	s_load_b64 s[8:9], s[0:1], 0xec
	s_wait_xcnt 0x0
	s_add_nc_u64 s[0:1], s[0:1], 24
	s_delay_alu instid0(VALU_DEP_1) | instskip(NEXT) | instid1(VALU_DEP_1)
	v_dual_add_nc_u32 v18, v17, v18 :: v_dual_sub_nc_u32 v19, v16, v19
	v_lshrrev_b32_e32 v16, s7, v18
	s_wait_kmcnt 0x0
	s_delay_alu instid0(VALU_DEP_2) | instskip(NEXT) | instid1(VALU_DEP_2)
	v_mad_u32 v12, v19, s12, v12
	v_mul_lo_u32 v18, v16, s11
	v_mad_u32 v13, v19, s14, v13
	v_mad_u32 v14, v19, s13, v14
	s_delay_alu instid0(VALU_DEP_3) | instskip(NEXT) | instid1(VALU_DEP_1)
	v_sub_nc_u32_e32 v17, v17, v18
	v_mad_u32 v12, v17, s15, v12
	s_delay_alu instid0(VALU_DEP_4) | instskip(NEXT) | instid1(VALU_DEP_4)
	v_mad_u32 v13, v17, s9, v13
	v_mad_u32 v14, v17, s8, v14
	s_cbranch_scc1 .LBB346_144
; %bb.145:
	s_bitcmp1_b32 s3, 0
	s_cselect_b32 s3, -1, 0
	s_delay_alu instid0(SALU_CYCLE_1)
	s_and_b32 vcc_lo, exec_lo, s3
	s_cbranch_vccnz .LBB346_148
; %bb.146:
	s_clause 0x1
	s_load_b96 s[4:6], s[0:1], 0x1c
	s_load_b96 s[8:10], s[0:1], 0xdc
	s_wait_kmcnt 0x0
	v_mul_hi_u32 v17, s5, v16
	s_delay_alu instid0(VALU_DEP_1) | instskip(NEXT) | instid1(VALU_DEP_1)
	v_add_nc_u32_e32 v17, v16, v17
	v_lshrrev_b32_e32 v17, s6, v17
	s_delay_alu instid0(VALU_DEP_1) | instskip(NEXT) | instid1(VALU_DEP_1)
	v_mul_lo_u32 v17, v17, s4
	v_sub_nc_u32_e32 v16, v16, v17
	s_delay_alu instid0(VALU_DEP_1)
	v_mad_u32 v12, v16, s8, v12
	v_mad_u32 v14, v16, s9, v14
	;; [unrolled: 1-line block ×3, first 2 shown]
	s_and_not1_b32 vcc_lo, exec_lo, s2
	s_cbranch_vccz .LBB346_149
	s_branch .LBB346_152
.LBB346_147:
	s_mov_b32 s2, -1
                                        ; implicit-def: $vgpr13
                                        ; implicit-def: $vgpr14
                                        ; implicit-def: $vgpr12
.LBB346_148:
	s_delay_alu instid0(SALU_CYCLE_1)
	s_and_not1_b32 vcc_lo, exec_lo, s2
	s_cbranch_vccnz .LBB346_152
.LBB346_149:
	s_clause 0x1
	s_load_b96 s[0:2], s[16:17], 0x4
	s_load_b96 s[4:6], s[16:17], 0xc4
	s_cmp_lt_u32 s26, 2
	s_wait_kmcnt 0x0
	v_mul_hi_u32 v12, s1, v15
	s_delay_alu instid0(VALU_DEP_1) | instskip(NEXT) | instid1(VALU_DEP_1)
	v_add_nc_u32_e32 v12, v15, v12
	v_lshrrev_b32_e32 v16, s2, v12
	s_delay_alu instid0(VALU_DEP_1) | instskip(NEXT) | instid1(VALU_DEP_1)
	v_mul_lo_u32 v12, v16, s0
	v_sub_nc_u32_e32 v14, v15, v12
	s_delay_alu instid0(VALU_DEP_1)
	v_mul_lo_u32 v12, v14, s4
	v_mul_lo_u32 v13, v14, s6
	v_mul_lo_u32 v14, v14, s5
	s_cbranch_scc1 .LBB346_152
; %bb.150:
	s_clause 0x1
	s_load_b96 s[0:2], s[16:17], 0x10
	s_load_b96 s[4:6], s[16:17], 0xd0
	s_wait_kmcnt 0x0
	v_mul_hi_u32 v15, s1, v16
	s_delay_alu instid0(VALU_DEP_1) | instskip(NEXT) | instid1(VALU_DEP_1)
	v_add_nc_u32_e32 v15, v16, v15
	v_lshrrev_b32_e32 v15, s2, v15
	s_delay_alu instid0(VALU_DEP_1) | instskip(NEXT) | instid1(VALU_DEP_1)
	v_mul_lo_u32 v15, v15, s0
	v_sub_nc_u32_e32 v15, v16, v15
	s_delay_alu instid0(VALU_DEP_1)
	v_mad_u32 v12, v15, s4, v12
	v_mad_u32 v14, v15, s5, v14
	;; [unrolled: 1-line block ×3, first 2 shown]
	s_branch .LBB346_152
.LBB346_151:
	v_dual_mov_b32 v13, 0 :: v_dual_mov_b32 v14, 0
	v_mov_b32_e32 v12, 0
	s_and_not1_b32 vcc_lo, exec_lo, s2
	s_cbranch_vccz .LBB346_149
.LBB346_152:
	v_cmp_ne_u32_e32 vcc_lo, 1, v8
	v_add_nc_u32_e32 v18, 0x200, v0
	s_cbranch_vccnz .LBB346_158
; %bb.153:
	s_cmp_lg_u32 s26, 0
	s_mov_b32 s2, 0
	s_cbranch_scc0 .LBB346_162
; %bb.154:
	s_min_u32 s3, s27, 15
	v_dual_mov_b32 v15, 0 :: v_dual_mov_b32 v19, v18
	v_dual_mov_b32 v16, 0 :: v_dual_mov_b32 v17, 0
	s_add_co_i32 s4, s3, 1
	s_mov_b64 s[0:1], 0xffffffffffffffe8
	s_and_b32 s4, s4, 30
	s_add_nc_u64 s[0:1], s[16:17], s[0:1]
.LBB346_155:                            ; =>This Inner Loop Header: Depth=1
	s_clause 0x1
	s_load_b128 s[8:11], s[0:1], 0x1c
	s_load_b64 s[6:7], s[0:1], 0x2c
	s_add_co_i32 s4, s4, -2
	s_delay_alu instid0(SALU_CYCLE_1) | instskip(SKIP_2) | instid1(VALU_DEP_1)
	s_cmp_lg_u32 s4, 0
	s_wait_kmcnt 0x0
	v_mul_hi_u32 v20, s9, v19
	v_add_nc_u32_e32 v20, v19, v20
	s_delay_alu instid0(VALU_DEP_1) | instskip(NEXT) | instid1(VALU_DEP_1)
	v_lshrrev_b32_e32 v20, s10, v20
	v_mul_hi_u32 v21, s6, v20
	v_mul_lo_u32 v22, v20, s8
	s_clause 0x1
	s_load_b128 s[12:15], s[0:1], 0xdc
	s_load_b64 s[8:9], s[0:1], 0xec
	s_wait_xcnt 0x0
	s_add_nc_u64 s[0:1], s[0:1], 24
	s_delay_alu instid0(VALU_DEP_1) | instskip(NEXT) | instid1(VALU_DEP_1)
	v_dual_add_nc_u32 v21, v20, v21 :: v_dual_sub_nc_u32 v22, v19, v22
	v_lshrrev_b32_e32 v19, s7, v21
	s_wait_kmcnt 0x0
	s_delay_alu instid0(VALU_DEP_2) | instskip(NEXT) | instid1(VALU_DEP_2)
	v_mad_u32 v15, v22, s12, v15
	v_mul_lo_u32 v21, v19, s11
	v_mad_u32 v17, v22, s14, v17
	v_mad_u32 v16, v22, s13, v16
	s_delay_alu instid0(VALU_DEP_3) | instskip(NEXT) | instid1(VALU_DEP_1)
	v_sub_nc_u32_e32 v20, v20, v21
	v_mad_u32 v15, v20, s15, v15
	s_delay_alu instid0(VALU_DEP_4) | instskip(NEXT) | instid1(VALU_DEP_4)
	v_mad_u32 v17, v20, s9, v17
	v_mad_u32 v16, v20, s8, v16
	s_cbranch_scc1 .LBB346_155
; %bb.156:
	s_bitcmp1_b32 s3, 0
	s_cselect_b32 s3, -1, 0
	s_delay_alu instid0(SALU_CYCLE_1)
	s_and_b32 vcc_lo, exec_lo, s3
	s_cbranch_vccnz .LBB346_159
; %bb.157:
	s_clause 0x1
	s_load_b96 s[4:6], s[0:1], 0x1c
	s_load_b96 s[8:10], s[0:1], 0xdc
	s_wait_kmcnt 0x0
	v_mul_hi_u32 v20, s5, v19
	s_delay_alu instid0(VALU_DEP_1) | instskip(NEXT) | instid1(VALU_DEP_1)
	v_add_nc_u32_e32 v20, v19, v20
	v_lshrrev_b32_e32 v20, s6, v20
	s_delay_alu instid0(VALU_DEP_1) | instskip(NEXT) | instid1(VALU_DEP_1)
	v_mul_lo_u32 v20, v20, s4
	v_sub_nc_u32_e32 v19, v19, v20
	s_delay_alu instid0(VALU_DEP_1)
	v_mad_u32 v15, v19, s8, v15
	v_mad_u32 v16, v19, s9, v16
	;; [unrolled: 1-line block ×3, first 2 shown]
	s_and_not1_b32 vcc_lo, exec_lo, s2
	s_cbranch_vccz .LBB346_160
	s_branch .LBB346_163
.LBB346_158:
	s_mov_b32 s2, -1
                                        ; implicit-def: $vgpr17
                                        ; implicit-def: $vgpr16
                                        ; implicit-def: $vgpr15
.LBB346_159:
	s_delay_alu instid0(SALU_CYCLE_1)
	s_and_not1_b32 vcc_lo, exec_lo, s2
	s_cbranch_vccnz .LBB346_163
.LBB346_160:
	s_clause 0x1
	s_load_b96 s[0:2], s[16:17], 0x4
	s_load_b96 s[4:6], s[16:17], 0xc4
	s_cmp_lt_u32 s26, 2
	s_wait_kmcnt 0x0
	v_mul_hi_u32 v15, s1, v18
	s_delay_alu instid0(VALU_DEP_1) | instskip(NEXT) | instid1(VALU_DEP_1)
	v_add_nc_u32_e32 v15, v18, v15
	v_lshrrev_b32_e32 v19, s2, v15
	s_delay_alu instid0(VALU_DEP_1) | instskip(NEXT) | instid1(VALU_DEP_1)
	v_mul_lo_u32 v15, v19, s0
	v_sub_nc_u32_e32 v16, v18, v15
	s_delay_alu instid0(VALU_DEP_1)
	v_mul_lo_u32 v15, v16, s4
	v_mul_lo_u32 v17, v16, s6
	;; [unrolled: 1-line block ×3, first 2 shown]
	s_cbranch_scc1 .LBB346_163
; %bb.161:
	s_clause 0x1
	s_load_b96 s[0:2], s[16:17], 0x10
	s_load_b96 s[4:6], s[16:17], 0xd0
	s_wait_kmcnt 0x0
	v_mul_hi_u32 v18, s1, v19
	s_delay_alu instid0(VALU_DEP_1) | instskip(NEXT) | instid1(VALU_DEP_1)
	v_add_nc_u32_e32 v18, v19, v18
	v_lshrrev_b32_e32 v18, s2, v18
	s_delay_alu instid0(VALU_DEP_1) | instskip(NEXT) | instid1(VALU_DEP_1)
	v_mul_lo_u32 v18, v18, s0
	v_sub_nc_u32_e32 v18, v19, v18
	s_delay_alu instid0(VALU_DEP_1)
	v_mad_u32 v15, v18, s4, v15
	v_mad_u32 v16, v18, s5, v16
	;; [unrolled: 1-line block ×3, first 2 shown]
	s_branch .LBB346_163
.LBB346_162:
	v_dual_mov_b32 v17, 0 :: v_dual_mov_b32 v16, 0
	v_mov_b32_e32 v15, 0
	s_and_not1_b32 vcc_lo, exec_lo, s2
	s_cbranch_vccz .LBB346_160
.LBB346_163:
	v_cmp_ne_u32_e32 vcc_lo, 1, v8
	v_add_nc_u32_e32 v21, 0x280, v0
	s_cbranch_vccnz .LBB346_169
; %bb.164:
	s_cmp_lg_u32 s26, 0
	s_mov_b32 s2, 0
	s_cbranch_scc0 .LBB346_173
; %bb.165:
	s_min_u32 s3, s27, 15
	v_dual_mov_b32 v18, 0 :: v_dual_mov_b32 v22, v21
	v_dual_mov_b32 v19, 0 :: v_dual_mov_b32 v20, 0
	s_add_co_i32 s4, s3, 1
	s_mov_b64 s[0:1], 0xffffffffffffffe8
	s_and_b32 s4, s4, 30
	s_add_nc_u64 s[0:1], s[16:17], s[0:1]
.LBB346_166:                            ; =>This Inner Loop Header: Depth=1
	s_clause 0x1
	s_load_b128 s[8:11], s[0:1], 0x1c
	s_load_b64 s[6:7], s[0:1], 0x2c
	s_add_co_i32 s4, s4, -2
	s_delay_alu instid0(SALU_CYCLE_1) | instskip(SKIP_2) | instid1(VALU_DEP_1)
	s_cmp_lg_u32 s4, 0
	s_wait_kmcnt 0x0
	v_mul_hi_u32 v23, s9, v22
	v_add_nc_u32_e32 v23, v22, v23
	s_delay_alu instid0(VALU_DEP_1) | instskip(NEXT) | instid1(VALU_DEP_1)
	v_lshrrev_b32_e32 v23, s10, v23
	v_mul_hi_u32 v24, s6, v23
	v_mul_lo_u32 v25, v23, s8
	s_clause 0x1
	s_load_b128 s[12:15], s[0:1], 0xdc
	s_load_b64 s[8:9], s[0:1], 0xec
	s_wait_xcnt 0x0
	s_add_nc_u64 s[0:1], s[0:1], 24
	s_delay_alu instid0(VALU_DEP_1) | instskip(NEXT) | instid1(VALU_DEP_1)
	v_dual_add_nc_u32 v24, v23, v24 :: v_dual_sub_nc_u32 v25, v22, v25
	v_lshrrev_b32_e32 v22, s7, v24
	s_wait_kmcnt 0x0
	s_delay_alu instid0(VALU_DEP_2) | instskip(NEXT) | instid1(VALU_DEP_2)
	v_mad_u32 v18, v25, s12, v18
	v_mul_lo_u32 v24, v22, s11
	v_mad_u32 v20, v25, s14, v20
	v_mad_u32 v19, v25, s13, v19
	s_delay_alu instid0(VALU_DEP_3) | instskip(NEXT) | instid1(VALU_DEP_1)
	v_sub_nc_u32_e32 v23, v23, v24
	v_mad_u32 v18, v23, s15, v18
	s_delay_alu instid0(VALU_DEP_4) | instskip(NEXT) | instid1(VALU_DEP_4)
	v_mad_u32 v20, v23, s9, v20
	v_mad_u32 v19, v23, s8, v19
	s_cbranch_scc1 .LBB346_166
; %bb.167:
	s_bitcmp1_b32 s3, 0
	s_cselect_b32 s3, -1, 0
	s_delay_alu instid0(SALU_CYCLE_1)
	s_and_b32 vcc_lo, exec_lo, s3
	s_cbranch_vccnz .LBB346_170
; %bb.168:
	s_clause 0x1
	s_load_b96 s[4:6], s[0:1], 0x1c
	s_load_b96 s[8:10], s[0:1], 0xdc
	s_wait_kmcnt 0x0
	v_mul_hi_u32 v23, s5, v22
	s_delay_alu instid0(VALU_DEP_1) | instskip(NEXT) | instid1(VALU_DEP_1)
	v_add_nc_u32_e32 v23, v22, v23
	v_lshrrev_b32_e32 v23, s6, v23
	s_delay_alu instid0(VALU_DEP_1) | instskip(NEXT) | instid1(VALU_DEP_1)
	v_mul_lo_u32 v23, v23, s4
	v_sub_nc_u32_e32 v22, v22, v23
	s_delay_alu instid0(VALU_DEP_1)
	v_mad_u32 v18, v22, s8, v18
	v_mad_u32 v19, v22, s9, v19
	;; [unrolled: 1-line block ×3, first 2 shown]
	s_and_not1_b32 vcc_lo, exec_lo, s2
	s_cbranch_vccz .LBB346_171
	s_branch .LBB346_174
.LBB346_169:
	s_mov_b32 s2, -1
                                        ; implicit-def: $vgpr20
                                        ; implicit-def: $vgpr19
                                        ; implicit-def: $vgpr18
.LBB346_170:
	s_delay_alu instid0(SALU_CYCLE_1)
	s_and_not1_b32 vcc_lo, exec_lo, s2
	s_cbranch_vccnz .LBB346_174
.LBB346_171:
	s_clause 0x1
	s_load_b96 s[0:2], s[16:17], 0x4
	s_load_b96 s[4:6], s[16:17], 0xc4
	s_cmp_lt_u32 s26, 2
	s_wait_kmcnt 0x0
	v_mul_hi_u32 v18, s1, v21
	s_delay_alu instid0(VALU_DEP_1) | instskip(NEXT) | instid1(VALU_DEP_1)
	v_add_nc_u32_e32 v18, v21, v18
	v_lshrrev_b32_e32 v22, s2, v18
	s_delay_alu instid0(VALU_DEP_1) | instskip(NEXT) | instid1(VALU_DEP_1)
	v_mul_lo_u32 v18, v22, s0
	v_sub_nc_u32_e32 v19, v21, v18
	s_delay_alu instid0(VALU_DEP_1)
	v_mul_lo_u32 v18, v19, s4
	v_mul_lo_u32 v20, v19, s6
	;; [unrolled: 1-line block ×3, first 2 shown]
	s_cbranch_scc1 .LBB346_174
; %bb.172:
	s_clause 0x1
	s_load_b96 s[0:2], s[16:17], 0x10
	s_load_b96 s[4:6], s[16:17], 0xd0
	s_wait_kmcnt 0x0
	v_mul_hi_u32 v21, s1, v22
	s_delay_alu instid0(VALU_DEP_1) | instskip(NEXT) | instid1(VALU_DEP_1)
	v_add_nc_u32_e32 v21, v22, v21
	v_lshrrev_b32_e32 v21, s2, v21
	s_delay_alu instid0(VALU_DEP_1) | instskip(NEXT) | instid1(VALU_DEP_1)
	v_mul_lo_u32 v21, v21, s0
	v_sub_nc_u32_e32 v21, v22, v21
	s_delay_alu instid0(VALU_DEP_1)
	v_mad_u32 v18, v21, s4, v18
	v_mad_u32 v19, v21, s5, v19
	;; [unrolled: 1-line block ×3, first 2 shown]
	s_branch .LBB346_174
.LBB346_173:
	v_dual_mov_b32 v20, 0 :: v_dual_mov_b32 v19, 0
	v_mov_b32_e32 v18, 0
	s_and_not1_b32 vcc_lo, exec_lo, s2
	s_cbranch_vccz .LBB346_171
.LBB346_174:
	v_cmp_ne_u32_e32 vcc_lo, 1, v8
	v_add_nc_u32_e32 v23, 0x300, v0
	s_cbranch_vccnz .LBB346_180
; %bb.175:
	s_cmp_lg_u32 s26, 0
	s_mov_b32 s2, 0
	s_cbranch_scc0 .LBB346_184
; %bb.176:
	s_min_u32 s3, s27, 15
	v_dual_mov_b32 v0, 0 :: v_dual_mov_b32 v24, v23
	v_dual_mov_b32 v22, 0 :: v_dual_mov_b32 v21, 0
	s_add_co_i32 s4, s3, 1
	s_mov_b64 s[0:1], 0xffffffffffffffe8
	s_and_b32 s4, s4, 30
	s_add_nc_u64 s[0:1], s[16:17], s[0:1]
.LBB346_177:                            ; =>This Inner Loop Header: Depth=1
	s_clause 0x1
	s_load_b128 s[8:11], s[0:1], 0x1c
	s_load_b64 s[6:7], s[0:1], 0x2c
	s_add_co_i32 s4, s4, -2
	s_delay_alu instid0(SALU_CYCLE_1) | instskip(SKIP_2) | instid1(VALU_DEP_1)
	s_cmp_lg_u32 s4, 0
	s_wait_kmcnt 0x0
	v_mul_hi_u32 v25, s9, v24
	v_add_nc_u32_e32 v25, v24, v25
	s_delay_alu instid0(VALU_DEP_1) | instskip(NEXT) | instid1(VALU_DEP_1)
	v_lshrrev_b32_e32 v25, s10, v25
	v_mul_hi_u32 v26, s6, v25
	v_mul_lo_u32 v27, v25, s8
	s_clause 0x1
	s_load_b128 s[12:15], s[0:1], 0xdc
	s_load_b64 s[8:9], s[0:1], 0xec
	s_wait_xcnt 0x0
	s_add_nc_u64 s[0:1], s[0:1], 24
	s_delay_alu instid0(VALU_DEP_1) | instskip(NEXT) | instid1(VALU_DEP_1)
	v_dual_add_nc_u32 v26, v25, v26 :: v_dual_sub_nc_u32 v27, v24, v27
	v_lshrrev_b32_e32 v24, s7, v26
	s_wait_kmcnt 0x0
	s_delay_alu instid0(VALU_DEP_2) | instskip(NEXT) | instid1(VALU_DEP_2)
	v_mad_u32 v0, v27, s12, v0
	v_mul_lo_u32 v26, v24, s11
	v_mad_u32 v21, v27, s14, v21
	v_mad_u32 v22, v27, s13, v22
	s_delay_alu instid0(VALU_DEP_3) | instskip(NEXT) | instid1(VALU_DEP_1)
	v_sub_nc_u32_e32 v25, v25, v26
	v_mad_u32 v0, v25, s15, v0
	s_delay_alu instid0(VALU_DEP_4) | instskip(NEXT) | instid1(VALU_DEP_4)
	v_mad_u32 v21, v25, s9, v21
	v_mad_u32 v22, v25, s8, v22
	s_cbranch_scc1 .LBB346_177
; %bb.178:
	s_bitcmp1_b32 s3, 0
	s_cselect_b32 s3, -1, 0
	s_delay_alu instid0(SALU_CYCLE_1)
	s_and_b32 vcc_lo, exec_lo, s3
	s_cbranch_vccnz .LBB346_181
; %bb.179:
	s_clause 0x1
	s_load_b96 s[4:6], s[0:1], 0x1c
	s_load_b96 s[8:10], s[0:1], 0xdc
	s_wait_kmcnt 0x0
	v_mul_hi_u32 v25, s5, v24
	s_delay_alu instid0(VALU_DEP_1) | instskip(NEXT) | instid1(VALU_DEP_1)
	v_add_nc_u32_e32 v25, v24, v25
	v_lshrrev_b32_e32 v25, s6, v25
	s_delay_alu instid0(VALU_DEP_1) | instskip(NEXT) | instid1(VALU_DEP_1)
	v_mul_lo_u32 v25, v25, s4
	v_sub_nc_u32_e32 v24, v24, v25
	s_delay_alu instid0(VALU_DEP_1)
	v_mad_u32 v0, v24, s8, v0
	v_mad_u32 v22, v24, s9, v22
	;; [unrolled: 1-line block ×3, first 2 shown]
	s_and_not1_b32 vcc_lo, exec_lo, s2
	s_cbranch_vccz .LBB346_182
	s_branch .LBB346_185
.LBB346_180:
	s_mov_b32 s2, -1
                                        ; implicit-def: $vgpr21
                                        ; implicit-def: $vgpr22
                                        ; implicit-def: $vgpr0
.LBB346_181:
	s_delay_alu instid0(SALU_CYCLE_1)
	s_and_not1_b32 vcc_lo, exec_lo, s2
	s_cbranch_vccnz .LBB346_185
.LBB346_182:
	s_clause 0x1
	s_load_b96 s[0:2], s[16:17], 0x4
	s_load_b96 s[4:6], s[16:17], 0xc4
	s_cmp_lt_u32 s26, 2
	s_wait_kmcnt 0x0
	v_mul_hi_u32 v0, s1, v23
	s_delay_alu instid0(VALU_DEP_1) | instskip(NEXT) | instid1(VALU_DEP_1)
	v_add_nc_u32_e32 v0, v23, v0
	v_lshrrev_b32_e32 v24, s2, v0
	s_delay_alu instid0(VALU_DEP_1) | instskip(NEXT) | instid1(VALU_DEP_1)
	v_mul_lo_u32 v0, v24, s0
	v_sub_nc_u32_e32 v22, v23, v0
	s_delay_alu instid0(VALU_DEP_1)
	v_mul_lo_u32 v0, v22, s4
	v_mul_lo_u32 v21, v22, s6
	;; [unrolled: 1-line block ×3, first 2 shown]
	s_cbranch_scc1 .LBB346_185
; %bb.183:
	s_clause 0x1
	s_load_b96 s[0:2], s[16:17], 0x10
	s_load_b96 s[4:6], s[16:17], 0xd0
	s_wait_kmcnt 0x0
	v_mul_hi_u32 v23, s1, v24
	s_delay_alu instid0(VALU_DEP_1) | instskip(NEXT) | instid1(VALU_DEP_1)
	v_add_nc_u32_e32 v23, v24, v23
	v_lshrrev_b32_e32 v23, s2, v23
	s_delay_alu instid0(VALU_DEP_1) | instskip(NEXT) | instid1(VALU_DEP_1)
	v_mul_lo_u32 v23, v23, s0
	v_sub_nc_u32_e32 v23, v24, v23
	s_delay_alu instid0(VALU_DEP_1)
	v_mad_u32 v0, v23, s4, v0
	v_mad_u32 v22, v23, s5, v22
	;; [unrolled: 1-line block ×3, first 2 shown]
	s_branch .LBB346_185
.LBB346_184:
	v_dual_mov_b32 v21, 0 :: v_dual_mov_b32 v22, 0
	v_mov_b32_e32 v0, 0
	s_and_not1_b32 vcc_lo, exec_lo, s2
	s_cbranch_vccz .LBB346_182
.LBB346_185:
	v_cmp_ne_u32_e32 vcc_lo, 1, v8
	s_cbranch_vccnz .LBB346_191
; %bb.186:
	s_cmp_lg_u32 s26, 0
	s_mov_b32 s2, 0
	s_cbranch_scc0 .LBB346_195
; %bb.187:
	s_min_u32 s3, s27, 15
	v_dual_mov_b32 v8, 0 :: v_dual_mov_b32 v25, v4
	v_dual_mov_b32 v24, 0 :: v_dual_mov_b32 v23, 0
	s_add_co_i32 s4, s3, 1
	s_mov_b64 s[0:1], 0xffffffffffffffe8
	s_and_b32 s4, s4, 30
	s_add_nc_u64 s[0:1], s[16:17], s[0:1]
.LBB346_188:                            ; =>This Inner Loop Header: Depth=1
	s_clause 0x1
	s_load_b128 s[8:11], s[0:1], 0x1c
	s_load_b64 s[6:7], s[0:1], 0x2c
	s_add_co_i32 s4, s4, -2
	s_delay_alu instid0(SALU_CYCLE_1) | instskip(SKIP_2) | instid1(VALU_DEP_1)
	s_cmp_lg_u32 s4, 0
	s_wait_kmcnt 0x0
	v_mul_hi_u32 v26, s9, v25
	v_add_nc_u32_e32 v26, v25, v26
	s_delay_alu instid0(VALU_DEP_1) | instskip(NEXT) | instid1(VALU_DEP_1)
	v_lshrrev_b32_e32 v26, s10, v26
	v_mul_hi_u32 v27, s6, v26
	v_mul_lo_u32 v28, v26, s8
	s_clause 0x1
	s_load_b128 s[12:15], s[0:1], 0xdc
	s_load_b64 s[8:9], s[0:1], 0xec
	s_wait_xcnt 0x0
	s_add_nc_u64 s[0:1], s[0:1], 24
	s_delay_alu instid0(VALU_DEP_1) | instskip(NEXT) | instid1(VALU_DEP_1)
	v_dual_add_nc_u32 v27, v26, v27 :: v_dual_sub_nc_u32 v28, v25, v28
	v_lshrrev_b32_e32 v25, s7, v27
	s_wait_kmcnt 0x0
	s_delay_alu instid0(VALU_DEP_2) | instskip(NEXT) | instid1(VALU_DEP_2)
	v_mad_u32 v8, v28, s12, v8
	v_mul_lo_u32 v27, v25, s11
	v_mad_u32 v23, v28, s14, v23
	v_mad_u32 v24, v28, s13, v24
	s_delay_alu instid0(VALU_DEP_3) | instskip(NEXT) | instid1(VALU_DEP_1)
	v_sub_nc_u32_e32 v26, v26, v27
	v_mad_u32 v8, v26, s15, v8
	s_delay_alu instid0(VALU_DEP_4) | instskip(NEXT) | instid1(VALU_DEP_4)
	v_mad_u32 v23, v26, s9, v23
	v_mad_u32 v24, v26, s8, v24
	s_cbranch_scc1 .LBB346_188
; %bb.189:
	s_bitcmp1_b32 s3, 0
	s_cselect_b32 s3, -1, 0
	s_delay_alu instid0(SALU_CYCLE_1)
	s_and_b32 vcc_lo, exec_lo, s3
	s_cbranch_vccnz .LBB346_192
; %bb.190:
	s_clause 0x1
	s_load_b96 s[4:6], s[0:1], 0x1c
	s_load_b96 s[8:10], s[0:1], 0xdc
	s_wait_kmcnt 0x0
	v_mul_hi_u32 v26, s5, v25
	s_delay_alu instid0(VALU_DEP_1) | instskip(NEXT) | instid1(VALU_DEP_1)
	v_add_nc_u32_e32 v26, v25, v26
	v_lshrrev_b32_e32 v26, s6, v26
	s_delay_alu instid0(VALU_DEP_1) | instskip(NEXT) | instid1(VALU_DEP_1)
	v_mul_lo_u32 v26, v26, s4
	v_sub_nc_u32_e32 v25, v25, v26
	s_delay_alu instid0(VALU_DEP_1)
	v_mad_u32 v8, v25, s8, v8
	v_mad_u32 v24, v25, s9, v24
	;; [unrolled: 1-line block ×3, first 2 shown]
	s_and_not1_b32 vcc_lo, exec_lo, s2
	s_cbranch_vccz .LBB346_193
	s_branch .LBB346_196
.LBB346_191:
	s_mov_b32 s2, -1
                                        ; implicit-def: $vgpr23
                                        ; implicit-def: $vgpr24
                                        ; implicit-def: $vgpr8
.LBB346_192:
	s_delay_alu instid0(SALU_CYCLE_1)
	s_and_not1_b32 vcc_lo, exec_lo, s2
	s_cbranch_vccnz .LBB346_196
.LBB346_193:
	s_clause 0x1
	s_load_b96 s[0:2], s[16:17], 0x4
	s_load_b96 s[4:6], s[16:17], 0xc4
	s_cmp_lt_u32 s26, 2
	s_wait_kmcnt 0x0
	v_mul_hi_u32 v8, s1, v4
	s_delay_alu instid0(VALU_DEP_1) | instskip(NEXT) | instid1(VALU_DEP_1)
	v_add_nc_u32_e32 v8, v4, v8
	v_lshrrev_b32_e32 v25, s2, v8
	s_delay_alu instid0(VALU_DEP_1) | instskip(NEXT) | instid1(VALU_DEP_1)
	v_mul_lo_u32 v8, v25, s0
	v_sub_nc_u32_e32 v4, v4, v8
	s_delay_alu instid0(VALU_DEP_1)
	v_mul_lo_u32 v8, v4, s4
	v_mul_lo_u32 v23, v4, s6
	;; [unrolled: 1-line block ×3, first 2 shown]
	s_cbranch_scc1 .LBB346_196
; %bb.194:
	s_clause 0x1
	s_load_b96 s[0:2], s[16:17], 0x10
	s_load_b96 s[4:6], s[16:17], 0xd0
	s_wait_kmcnt 0x0
	v_mul_hi_u32 v4, s1, v25
	s_delay_alu instid0(VALU_DEP_1) | instskip(NEXT) | instid1(VALU_DEP_1)
	v_add_nc_u32_e32 v4, v25, v4
	v_lshrrev_b32_e32 v4, s2, v4
	s_delay_alu instid0(VALU_DEP_1) | instskip(NEXT) | instid1(VALU_DEP_1)
	v_mul_lo_u32 v4, v4, s0
	v_sub_nc_u32_e32 v4, v25, v4
	s_delay_alu instid0(VALU_DEP_1)
	v_mad_u32 v8, v4, s4, v8
	v_mad_u32 v24, v4, s5, v24
	;; [unrolled: 1-line block ×3, first 2 shown]
	s_branch .LBB346_196
.LBB346_195:
	v_dual_mov_b32 v23, 0 :: v_dual_mov_b32 v24, 0
	v_mov_b32_e32 v8, 0
	s_and_not1_b32 vcc_lo, exec_lo, s2
	s_cbranch_vccz .LBB346_193
.LBB346_196:
	s_clause 0x1
	s_load_b128 s[8:11], s[16:17], 0x188
	s_load_b96 s[0:2], s[16:17], 0x198
	s_wait_kmcnt 0x0
	global_load_b32 v4, v3, s[10:11]
	global_load_b32 v25, v2, s[0:1]
	global_load_b32 v26, v6, s[10:11]
	global_load_b32 v27, v7, s[0:1]
	global_load_b32 v28, v11, s[10:11]
	global_load_b32 v29, v10, s[0:1]
	global_load_b32 v30, v14, s[10:11]
	global_load_b32 v31, v13, s[0:1]
	global_load_b32 v32, v16, s[10:11]
	global_load_b32 v33, v17, s[0:1]
	global_load_b32 v34, v19, s[10:11]
	global_load_b32 v35, v20, s[0:1]
	global_load_b32 v36, v22, s[10:11]
	global_load_b32 v37, v21, s[0:1]
	global_load_b32 v38, v24, s[10:11]
                                        ; kill: killed $vgpr17
                                        ; kill: killed $vgpr11
                                        ; kill: killed $vgpr22
                                        ; kill: killed $vgpr7
                                        ; kill: killed $vgpr20
                                        ; kill: killed $vgpr14
                                        ; kill: killed $vgpr24
                                        ; kill: killed $vgpr10
                                        ; kill: killed $vgpr3
                                        ; kill: killed $vgpr21
                                        ; kill: killed $vgpr16
                                        ; kill: killed $vgpr13
                                        ; kill: killed $vgpr6
                                        ; kill: killed $sgpr10_sgpr11
                                        ; kill: killed $vgpr19
                                        ; kill: killed $vgpr2
	global_load_b32 v2, v23, s[0:1]
	s_cmp_eq_u32 s2, 0
	s_cselect_b32 s7, -1, 0
	s_wait_loadcnt 0xe
	v_cmp_ne_u32_e32 vcc_lo, v4, v25
	s_wait_loadcnt 0xc
	s_wait_xcnt 0x0
	v_cmp_ne_u32_e64 s0, v26, v27
	s_wait_loadcnt 0xa
	v_cmp_ne_u32_e64 s1, v28, v29
	s_xor_b32 s10, s7, vcc_lo
	s_wait_loadcnt 0x8
	v_cmp_ne_u32_e64 s2, v30, v31
	s_xor_b32 s0, s7, s0
	s_wait_loadcnt 0x6
	v_cmp_ne_u32_e64 s3, v32, v33
	v_cndmask_b32_e64 v3, 0, 1, s0
	s_xor_b32 s0, s7, s1
	s_wait_loadcnt 0x4
	v_cmp_ne_u32_e64 s4, v34, v35
	v_cndmask_b32_e64 v4, 0, 1, s0
	;; [unrolled: 4-line block ×3, first 2 shown]
	s_xor_b32 s0, s7, s3
	s_delay_alu instid0(SALU_CYCLE_1) | instskip(SKIP_1) | instid1(SALU_CYCLE_1)
	v_cndmask_b32_e64 v7, 0, 1, s0
	s_xor_b32 s0, s7, s4
	v_cndmask_b32_e64 v10, 0, 1, s0
	s_xor_b32 s0, s7, s5
	s_delay_alu instid0(SALU_CYCLE_1) | instskip(SKIP_4) | instid1(SALU_CYCLE_1)
	v_cndmask_b32_e64 v11, 0, 1, s0
	s_wait_loadcnt 0x0
	v_cmp_ne_u32_e64 s6, v38, v2
	v_cndmask_b32_e64 v2, 0, 1, s10
	s_xor_b32 s0, s7, s6
	v_cndmask_b32_e64 v13, 0, 1, s0
	s_clause 0x7
	global_store_b8 v1, v2, s[8:9]
	global_store_b8 v5, v3, s[8:9]
	;; [unrolled: 1-line block ×8, first 2 shown]
	s_endpgm
	.section	.rodata,"a",@progbits
	.p2align	6, 0x0
	.amdhsa_kernel _ZN2at6native32elementwise_kernel_manual_unrollILi128ELi8EZNS0_22gpu_kernel_impl_nocastINS0_13BinaryFunctorIjjbNS0_12_GLOBAL__N_116CompareEqFunctorIjEEEEEEvRNS_18TensorIteratorBaseERKT_EUlibE_EEviT1_
		.amdhsa_group_segment_fixed_size 0
		.amdhsa_private_segment_fixed_size 0
		.amdhsa_kernarg_size 432
		.amdhsa_user_sgpr_count 2
		.amdhsa_user_sgpr_dispatch_ptr 0
		.amdhsa_user_sgpr_queue_ptr 0
		.amdhsa_user_sgpr_kernarg_segment_ptr 1
		.amdhsa_user_sgpr_dispatch_id 0
		.amdhsa_user_sgpr_kernarg_preload_length 0
		.amdhsa_user_sgpr_kernarg_preload_offset 0
		.amdhsa_user_sgpr_private_segment_size 0
		.amdhsa_wavefront_size32 1
		.amdhsa_uses_dynamic_stack 0
		.amdhsa_enable_private_segment 0
		.amdhsa_system_sgpr_workgroup_id_x 1
		.amdhsa_system_sgpr_workgroup_id_y 0
		.amdhsa_system_sgpr_workgroup_id_z 0
		.amdhsa_system_sgpr_workgroup_info 0
		.amdhsa_system_vgpr_workitem_id 0
		.amdhsa_next_free_vgpr 39
		.amdhsa_next_free_sgpr 46
		.amdhsa_named_barrier_count 0
		.amdhsa_reserve_vcc 1
		.amdhsa_float_round_mode_32 0
		.amdhsa_float_round_mode_16_64 0
		.amdhsa_float_denorm_mode_32 3
		.amdhsa_float_denorm_mode_16_64 3
		.amdhsa_fp16_overflow 0
		.amdhsa_memory_ordered 1
		.amdhsa_forward_progress 1
		.amdhsa_inst_pref_size 84
		.amdhsa_round_robin_scheduling 0
		.amdhsa_exception_fp_ieee_invalid_op 0
		.amdhsa_exception_fp_denorm_src 0
		.amdhsa_exception_fp_ieee_div_zero 0
		.amdhsa_exception_fp_ieee_overflow 0
		.amdhsa_exception_fp_ieee_underflow 0
		.amdhsa_exception_fp_ieee_inexact 0
		.amdhsa_exception_int_div_zero 0
	.end_amdhsa_kernel
	.section	.text._ZN2at6native32elementwise_kernel_manual_unrollILi128ELi8EZNS0_22gpu_kernel_impl_nocastINS0_13BinaryFunctorIjjbNS0_12_GLOBAL__N_116CompareEqFunctorIjEEEEEEvRNS_18TensorIteratorBaseERKT_EUlibE_EEviT1_,"axG",@progbits,_ZN2at6native32elementwise_kernel_manual_unrollILi128ELi8EZNS0_22gpu_kernel_impl_nocastINS0_13BinaryFunctorIjjbNS0_12_GLOBAL__N_116CompareEqFunctorIjEEEEEEvRNS_18TensorIteratorBaseERKT_EUlibE_EEviT1_,comdat
.Lfunc_end346:
	.size	_ZN2at6native32elementwise_kernel_manual_unrollILi128ELi8EZNS0_22gpu_kernel_impl_nocastINS0_13BinaryFunctorIjjbNS0_12_GLOBAL__N_116CompareEqFunctorIjEEEEEEvRNS_18TensorIteratorBaseERKT_EUlibE_EEviT1_, .Lfunc_end346-_ZN2at6native32elementwise_kernel_manual_unrollILi128ELi8EZNS0_22gpu_kernel_impl_nocastINS0_13BinaryFunctorIjjbNS0_12_GLOBAL__N_116CompareEqFunctorIjEEEEEEvRNS_18TensorIteratorBaseERKT_EUlibE_EEviT1_
                                        ; -- End function
	.set _ZN2at6native32elementwise_kernel_manual_unrollILi128ELi8EZNS0_22gpu_kernel_impl_nocastINS0_13BinaryFunctorIjjbNS0_12_GLOBAL__N_116CompareEqFunctorIjEEEEEEvRNS_18TensorIteratorBaseERKT_EUlibE_EEviT1_.num_vgpr, 39
	.set _ZN2at6native32elementwise_kernel_manual_unrollILi128ELi8EZNS0_22gpu_kernel_impl_nocastINS0_13BinaryFunctorIjjbNS0_12_GLOBAL__N_116CompareEqFunctorIjEEEEEEvRNS_18TensorIteratorBaseERKT_EUlibE_EEviT1_.num_agpr, 0
	.set _ZN2at6native32elementwise_kernel_manual_unrollILi128ELi8EZNS0_22gpu_kernel_impl_nocastINS0_13BinaryFunctorIjjbNS0_12_GLOBAL__N_116CompareEqFunctorIjEEEEEEvRNS_18TensorIteratorBaseERKT_EUlibE_EEviT1_.numbered_sgpr, 46
	.set _ZN2at6native32elementwise_kernel_manual_unrollILi128ELi8EZNS0_22gpu_kernel_impl_nocastINS0_13BinaryFunctorIjjbNS0_12_GLOBAL__N_116CompareEqFunctorIjEEEEEEvRNS_18TensorIteratorBaseERKT_EUlibE_EEviT1_.num_named_barrier, 0
	.set _ZN2at6native32elementwise_kernel_manual_unrollILi128ELi8EZNS0_22gpu_kernel_impl_nocastINS0_13BinaryFunctorIjjbNS0_12_GLOBAL__N_116CompareEqFunctorIjEEEEEEvRNS_18TensorIteratorBaseERKT_EUlibE_EEviT1_.private_seg_size, 0
	.set _ZN2at6native32elementwise_kernel_manual_unrollILi128ELi8EZNS0_22gpu_kernel_impl_nocastINS0_13BinaryFunctorIjjbNS0_12_GLOBAL__N_116CompareEqFunctorIjEEEEEEvRNS_18TensorIteratorBaseERKT_EUlibE_EEviT1_.uses_vcc, 1
	.set _ZN2at6native32elementwise_kernel_manual_unrollILi128ELi8EZNS0_22gpu_kernel_impl_nocastINS0_13BinaryFunctorIjjbNS0_12_GLOBAL__N_116CompareEqFunctorIjEEEEEEvRNS_18TensorIteratorBaseERKT_EUlibE_EEviT1_.uses_flat_scratch, 0
	.set _ZN2at6native32elementwise_kernel_manual_unrollILi128ELi8EZNS0_22gpu_kernel_impl_nocastINS0_13BinaryFunctorIjjbNS0_12_GLOBAL__N_116CompareEqFunctorIjEEEEEEvRNS_18TensorIteratorBaseERKT_EUlibE_EEviT1_.has_dyn_sized_stack, 0
	.set _ZN2at6native32elementwise_kernel_manual_unrollILi128ELi8EZNS0_22gpu_kernel_impl_nocastINS0_13BinaryFunctorIjjbNS0_12_GLOBAL__N_116CompareEqFunctorIjEEEEEEvRNS_18TensorIteratorBaseERKT_EUlibE_EEviT1_.has_recursion, 0
	.set _ZN2at6native32elementwise_kernel_manual_unrollILi128ELi8EZNS0_22gpu_kernel_impl_nocastINS0_13BinaryFunctorIjjbNS0_12_GLOBAL__N_116CompareEqFunctorIjEEEEEEvRNS_18TensorIteratorBaseERKT_EUlibE_EEviT1_.has_indirect_call, 0
	.section	.AMDGPU.csdata,"",@progbits
; Kernel info:
; codeLenInByte = 10744
; TotalNumSgprs: 48
; NumVgprs: 39
; ScratchSize: 0
; MemoryBound: 0
; FloatMode: 240
; IeeeMode: 1
; LDSByteSize: 0 bytes/workgroup (compile time only)
; SGPRBlocks: 0
; VGPRBlocks: 2
; NumSGPRsForWavesPerEU: 48
; NumVGPRsForWavesPerEU: 39
; NamedBarCnt: 0
; Occupancy: 16
; WaveLimiterHint : 1
; COMPUTE_PGM_RSRC2:SCRATCH_EN: 0
; COMPUTE_PGM_RSRC2:USER_SGPR: 2
; COMPUTE_PGM_RSRC2:TRAP_HANDLER: 0
; COMPUTE_PGM_RSRC2:TGID_X_EN: 1
; COMPUTE_PGM_RSRC2:TGID_Y_EN: 0
; COMPUTE_PGM_RSRC2:TGID_Z_EN: 0
; COMPUTE_PGM_RSRC2:TIDIG_COMP_CNT: 0
	.section	.text._ZN2at6native32elementwise_kernel_manual_unrollILi128ELi4EZNS0_15gpu_kernel_implINS0_13BinaryFunctorIjjbNS0_12_GLOBAL__N_116CompareEqFunctorIjEEEEEEvRNS_18TensorIteratorBaseERKT_EUlibE_EEviT1_,"axG",@progbits,_ZN2at6native32elementwise_kernel_manual_unrollILi128ELi4EZNS0_15gpu_kernel_implINS0_13BinaryFunctorIjjbNS0_12_GLOBAL__N_116CompareEqFunctorIjEEEEEEvRNS_18TensorIteratorBaseERKT_EUlibE_EEviT1_,comdat
	.globl	_ZN2at6native32elementwise_kernel_manual_unrollILi128ELi4EZNS0_15gpu_kernel_implINS0_13BinaryFunctorIjjbNS0_12_GLOBAL__N_116CompareEqFunctorIjEEEEEEvRNS_18TensorIteratorBaseERKT_EUlibE_EEviT1_ ; -- Begin function _ZN2at6native32elementwise_kernel_manual_unrollILi128ELi4EZNS0_15gpu_kernel_implINS0_13BinaryFunctorIjjbNS0_12_GLOBAL__N_116CompareEqFunctorIjEEEEEEvRNS_18TensorIteratorBaseERKT_EUlibE_EEviT1_
	.p2align	8
	.type	_ZN2at6native32elementwise_kernel_manual_unrollILi128ELi4EZNS0_15gpu_kernel_implINS0_13BinaryFunctorIjjbNS0_12_GLOBAL__N_116CompareEqFunctorIjEEEEEEvRNS_18TensorIteratorBaseERKT_EUlibE_EEviT1_,@function
_ZN2at6native32elementwise_kernel_manual_unrollILi128ELi4EZNS0_15gpu_kernel_implINS0_13BinaryFunctorIjjbNS0_12_GLOBAL__N_116CompareEqFunctorIjEEEEEEvRNS_18TensorIteratorBaseERKT_EUlibE_EEviT1_: ; @_ZN2at6native32elementwise_kernel_manual_unrollILi128ELi4EZNS0_15gpu_kernel_implINS0_13BinaryFunctorIjjbNS0_12_GLOBAL__N_116CompareEqFunctorIjEEEEEEvRNS_18TensorIteratorBaseERKT_EUlibE_EEviT1_
; %bb.0:
	s_load_b32 s12, s[0:1], 0x30
	s_bfe_u32 s2, ttmp6, 0x4000c
	s_clause 0x1
	s_load_b32 s17, s[0:1], 0x0
	s_load_b128 s[4:7], s[0:1], 0x8
	s_add_co_i32 s14, s2, 1
	s_clause 0x1
	s_load_b64 s[2:3], s[0:1], 0x18
	s_load_b128 s[8:11], s[0:1], 0x20
	s_and_b32 s13, ttmp6, 15
	s_wait_xcnt 0x0
	s_mul_i32 s0, ttmp9, s14
	s_getreg_b32 s15, hwreg(HW_REG_IB_STS2, 6, 4)
	s_add_co_i32 s13, s13, s0
	s_mov_b32 s16, 0
	s_wait_kmcnt 0x0
	s_lshr_b32 s14, s12, 8
	s_lshr_b32 s1, s12, 16
	s_cmp_eq_u32 s15, 0
	s_cselect_b32 s0, ttmp9, s13
	s_mov_b32 s13, 0
	v_lshl_or_b32 v6, s0, 9, v0
	s_mov_b32 s0, exec_lo
	s_delay_alu instid0(VALU_DEP_1) | instskip(NEXT) | instid1(VALU_DEP_1)
	v_or_b32_e32 v0, 0x180, v6
	v_cmpx_le_i32_e64 s17, v0
	s_xor_b32 s15, exec_lo, s0
	s_cbranch_execz .LBB347_1515
; %bb.1:
	s_cmp_eq_u32 s11, 0
	s_mov_b32 s22, 0
	s_cselect_b32 s16, -1, 0
	s_mov_b32 s25, -1
	s_mov_b32 s20, 0
	s_mov_b32 s19, 0
	;; [unrolled: 1-line block ×3, first 2 shown]
	s_mov_b32 s21, exec_lo
	v_cmpx_gt_i32_e64 s17, v6
	s_cbranch_execz .LBB347_374
; %bb.2:
	v_mul_lo_u32 v0, v6, s9
	s_and_b32 s0, s14, 0xff
	s_delay_alu instid0(SALU_CYCLE_1) | instskip(NEXT) | instid1(VALU_DEP_1)
	s_cmp_lt_i32 s0, 11
	v_ashrrev_i32_e32 v1, 31, v0
	s_delay_alu instid0(VALU_DEP_1)
	v_add_nc_u64_e32 v[0:1], s[6:7], v[0:1]
	s_cbranch_scc1 .LBB347_9
; %bb.3:
	s_and_b32 s18, 0xffff, s0
	s_delay_alu instid0(SALU_CYCLE_1)
	s_cmp_gt_i32 s18, 25
	s_cbranch_scc0 .LBB347_18
; %bb.4:
	s_cmp_gt_i32 s18, 28
	s_cbranch_scc0 .LBB347_28
; %bb.5:
	s_cmp_gt_i32 s18, 43
	s_cbranch_scc0 .LBB347_31
; %bb.6:
	s_cmp_gt_i32 s18, 45
	s_cbranch_scc0 .LBB347_34
; %bb.7:
	s_cmp_eq_u32 s18, 46
	s_mov_b32 s23, 0
	s_cbranch_scc0 .LBB347_37
; %bb.8:
	global_load_b32 v2, v[0:1], off
	s_mov_b32 s19, -1
	s_wait_loadcnt 0x0
	v_lshlrev_b32_e32 v2, 16, v2
	s_delay_alu instid0(VALU_DEP_1)
	v_cvt_u32_f32_e32 v2, v2
	s_branch .LBB347_39
.LBB347_9:
                                        ; implicit-def: $vgpr2
	s_cbranch_execnz .LBB347_101
.LBB347_10:
	s_and_not1_b32 vcc_lo, exec_lo, s19
	s_cbranch_vccnz .LBB347_148
.LBB347_11:
	s_wait_xcnt 0x0
	v_mul_lo_u32 v0, v6, s10
	s_and_b32 s0, s1, 0xff
	s_delay_alu instid0(SALU_CYCLE_1) | instskip(NEXT) | instid1(VALU_DEP_1)
	s_cmp_lt_i32 s0, 11
	v_ashrrev_i32_e32 v1, 31, v0
	s_delay_alu instid0(VALU_DEP_1)
	v_add_nc_u64_e32 v[0:1], s[2:3], v[0:1]
	s_cbranch_scc1 .LBB347_19
; %bb.12:
	s_and_b32 s18, 0xffff, s0
	s_delay_alu instid0(SALU_CYCLE_1)
	s_cmp_gt_i32 s18, 25
	s_cbranch_scc0 .LBB347_29
; %bb.13:
	s_cmp_gt_i32 s18, 28
	s_cbranch_scc0 .LBB347_32
; %bb.14:
	;; [unrolled: 3-line block ×4, first 2 shown]
	s_cmp_eq_u32 s18, 46
	s_mov_b32 s24, 0
	s_cbranch_scc0 .LBB347_149
; %bb.17:
	global_load_b32 v3, v[0:1], off
	s_mov_b32 s23, -1
	s_mov_b32 s19, 0
	s_wait_loadcnt 0x0
	v_lshlrev_b32_e32 v3, 16, v3
	s_delay_alu instid0(VALU_DEP_1)
	v_cvt_u32_f32_e32 v3, v3
	s_branch .LBB347_151
.LBB347_18:
                                        ; implicit-def: $vgpr2
	s_cbranch_execnz .LBB347_68
	s_branch .LBB347_100
.LBB347_19:
	s_mov_b32 s19, 0
	s_mov_b32 s23, 0
                                        ; implicit-def: $vgpr3
	s_cbranch_execnz .LBB347_323
.LBB347_20:
	s_and_not1_b32 vcc_lo, exec_lo, s23
	s_cbranch_vccnz .LBB347_371
.LBB347_21:
	s_wait_xcnt 0x0
	v_mul_lo_u32 v0, v6, s8
	s_wait_loadcnt 0x0
	s_delay_alu instid0(VALU_DEP_2) | instskip(SKIP_3) | instid1(VALU_DEP_2)
	v_cmp_ne_u32_e32 vcc_lo, v2, v3
	s_and_b32 s23, s12, 0xff
	s_xor_b32 s18, s16, vcc_lo
	s_cmp_lt_i32 s23, 11
	v_ashrrev_i32_e32 v1, 31, v0
	s_delay_alu instid0(VALU_DEP_1)
	v_add_nc_u64_e32 v[0:1], s[4:5], v[0:1]
	s_cbranch_scc1 .LBB347_30
; %bb.22:
	s_and_b32 s24, 0xffff, s23
	s_delay_alu instid0(SALU_CYCLE_1)
	s_cmp_gt_i32 s24, 25
	s_cbranch_scc0 .LBB347_33
; %bb.23:
	s_cmp_gt_i32 s24, 28
	s_cbranch_scc0 .LBB347_36
; %bb.24:
	;; [unrolled: 3-line block ×4, first 2 shown]
	s_mov_b32 s26, 0
	s_mov_b32 s0, -1
	s_cmp_eq_u32 s24, 46
	s_mov_b32 s25, 0
	s_cbranch_scc0 .LBB347_155
; %bb.27:
	v_cndmask_b32_e64 v2, 0, 1.0, s18
	s_mov_b32 s25, -1
	s_mov_b32 s0, 0
	s_delay_alu instid0(VALU_DEP_1) | instskip(NEXT) | instid1(VALU_DEP_1)
	v_bfe_u32 v3, v2, 16, 1
	v_add3_u32 v2, v2, v3, 0x7fff
	s_delay_alu instid0(VALU_DEP_1)
	v_lshrrev_b32_e32 v2, 16, v2
	global_store_b32 v[0:1], v2, off
	s_branch .LBB347_155
.LBB347_28:
	s_mov_b32 s23, -1
                                        ; implicit-def: $vgpr2
	s_branch .LBB347_51
.LBB347_29:
	s_mov_b32 s24, -1
	s_mov_b32 s19, 0
	s_mov_b32 s23, 0
                                        ; implicit-def: $vgpr3
	s_branch .LBB347_289
.LBB347_30:
	s_mov_b32 s24, -1
	s_mov_b32 s0, 0
	s_mov_b32 s25, 0
	s_branch .LBB347_224
.LBB347_31:
	s_mov_b32 s23, -1
                                        ; implicit-def: $vgpr2
	s_branch .LBB347_46
.LBB347_32:
	s_mov_b32 s24, -1
	s_mov_b32 s19, 0
	s_mov_b32 s23, 0
                                        ; implicit-def: $vgpr3
	s_branch .LBB347_272
.LBB347_33:
	s_mov_b32 s26, -1
	s_mov_b32 s0, 0
	s_mov_b32 s25, 0
	s_branch .LBB347_182
.LBB347_34:
	s_mov_b32 s23, -1
	s_branch .LBB347_38
.LBB347_35:
	s_mov_b32 s24, -1
	s_mov_b32 s19, 0
	s_mov_b32 s23, 0
                                        ; implicit-def: $vgpr3
	s_branch .LBB347_267
.LBB347_36:
	s_mov_b32 s26, -1
	s_mov_b32 s0, 0
	s_mov_b32 s25, 0
	s_branch .LBB347_165
.LBB347_37:
	s_mov_b32 s20, -1
.LBB347_38:
                                        ; implicit-def: $vgpr2
.LBB347_39:
	s_and_b32 vcc_lo, exec_lo, s23
	s_cbranch_vccz .LBB347_45
; %bb.40:
	s_cmp_eq_u32 s18, 44
	s_cbranch_scc0 .LBB347_44
; %bb.41:
	global_load_u8 v2, v[0:1], off
	s_mov_b32 s20, 0
	s_mov_b32 s19, -1
	s_wait_loadcnt 0x0
	v_lshlrev_b32_e32 v3, 23, v2
	v_cmp_ne_u32_e32 vcc_lo, 0, v2
	s_delay_alu instid0(VALU_DEP_2) | instskip(NEXT) | instid1(VALU_DEP_1)
	v_cvt_u32_f32_e32 v3, v3
	v_cndmask_b32_e32 v2, 0, v3, vcc_lo
	s_branch .LBB347_45
.LBB347_42:
	s_mov_b32 s24, -1
	s_mov_b32 s19, 0
	s_branch .LBB347_150
.LBB347_43:
	s_mov_b32 s26, -1
	s_mov_b32 s0, 0
	s_mov_b32 s25, 0
	s_branch .LBB347_161
.LBB347_44:
	s_mov_b32 s20, -1
                                        ; implicit-def: $vgpr2
.LBB347_45:
	s_mov_b32 s23, 0
.LBB347_46:
	s_delay_alu instid0(SALU_CYCLE_1)
	s_and_b32 vcc_lo, exec_lo, s23
	s_cbranch_vccz .LBB347_50
; %bb.47:
	s_cmp_eq_u32 s18, 29
	s_cbranch_scc0 .LBB347_49
; %bb.48:
	global_load_b32 v2, v[0:1], off
	s_mov_b32 s19, -1
	s_mov_b32 s20, 0
	s_branch .LBB347_50
.LBB347_49:
	s_mov_b32 s20, -1
                                        ; implicit-def: $vgpr2
.LBB347_50:
	s_mov_b32 s23, 0
.LBB347_51:
	s_delay_alu instid0(SALU_CYCLE_1)
	s_and_b32 vcc_lo, exec_lo, s23
	s_cbranch_vccz .LBB347_67
; %bb.52:
	s_cmp_lt_i32 s18, 27
	s_cbranch_scc1 .LBB347_55
; %bb.53:
	s_cmp_gt_i32 s18, 27
	s_cbranch_scc0 .LBB347_56
; %bb.54:
	s_wait_loadcnt 0x0
	global_load_b32 v2, v[0:1], off
	s_mov_b32 s19, 0
	s_branch .LBB347_57
.LBB347_55:
	s_mov_b32 s19, -1
                                        ; implicit-def: $vgpr2
	s_branch .LBB347_60
.LBB347_56:
	s_mov_b32 s19, -1
                                        ; implicit-def: $vgpr2
.LBB347_57:
	s_delay_alu instid0(SALU_CYCLE_1)
	s_and_not1_b32 vcc_lo, exec_lo, s19
	s_cbranch_vccnz .LBB347_59
; %bb.58:
	s_wait_loadcnt 0x0
	global_load_u16 v2, v[0:1], off
.LBB347_59:
	s_mov_b32 s19, 0
.LBB347_60:
	s_delay_alu instid0(SALU_CYCLE_1)
	s_and_not1_b32 vcc_lo, exec_lo, s19
	s_cbranch_vccnz .LBB347_66
; %bb.61:
	global_load_u8 v3, v[0:1], off
	s_mov_b32 s23, 0
	s_mov_b32 s19, exec_lo
	s_wait_loadcnt 0x0
	v_cmpx_lt_i16_e32 0x7f, v3
	s_xor_b32 s19, exec_lo, s19
	s_cbranch_execz .LBB347_77
; %bb.62:
	v_cmp_ne_u16_e32 vcc_lo, 0x80, v3
	s_and_b32 s23, vcc_lo, exec_lo
	s_and_not1_saveexec_b32 s19, s19
	s_cbranch_execnz .LBB347_78
.LBB347_63:
	s_or_b32 exec_lo, exec_lo, s19
	v_mov_b32_e32 v2, 0
	s_and_saveexec_b32 s19, s23
	s_cbranch_execz .LBB347_65
.LBB347_64:
	v_and_b32_e32 v2, 0xffff, v3
	s_delay_alu instid0(VALU_DEP_1) | instskip(SKIP_1) | instid1(VALU_DEP_2)
	v_and_b32_e32 v4, 7, v2
	v_bfe_u32 v8, v2, 3, 4
	v_clz_i32_u32_e32 v5, v4
	s_delay_alu instid0(VALU_DEP_2) | instskip(NEXT) | instid1(VALU_DEP_2)
	v_cmp_eq_u32_e32 vcc_lo, 0, v8
	v_min_u32_e32 v5, 32, v5
	s_delay_alu instid0(VALU_DEP_1) | instskip(NEXT) | instid1(VALU_DEP_1)
	v_subrev_nc_u32_e32 v7, 28, v5
	v_dual_lshlrev_b32 v2, v7, v2 :: v_dual_sub_nc_u32 v5, 29, v5
	s_delay_alu instid0(VALU_DEP_1) | instskip(NEXT) | instid1(VALU_DEP_2)
	v_dual_lshlrev_b32 v3, 24, v3 :: v_dual_bitop2_b32 v2, 7, v2 bitop3:0x40
	v_cndmask_b32_e32 v5, v8, v5, vcc_lo
	s_delay_alu instid0(VALU_DEP_2) | instskip(NEXT) | instid1(VALU_DEP_3)
	v_cndmask_b32_e32 v2, v4, v2, vcc_lo
	v_and_b32_e32 v3, 0x80000000, v3
	s_delay_alu instid0(VALU_DEP_3) | instskip(NEXT) | instid1(VALU_DEP_3)
	v_lshl_add_u32 v4, v5, 23, 0x3b800000
	v_lshlrev_b32_e32 v2, 20, v2
	s_delay_alu instid0(VALU_DEP_1) | instskip(NEXT) | instid1(VALU_DEP_1)
	v_or3_b32 v2, v3, v4, v2
	v_cvt_u32_f32_e32 v2, v2
.LBB347_65:
	s_or_b32 exec_lo, exec_lo, s19
.LBB347_66:
	s_mov_b32 s19, -1
.LBB347_67:
	s_branch .LBB347_100
.LBB347_68:
	s_cmp_gt_i32 s18, 22
	s_cbranch_scc0 .LBB347_76
; %bb.69:
	s_cmp_lt_i32 s18, 24
	s_cbranch_scc1 .LBB347_79
; %bb.70:
	s_cmp_gt_i32 s18, 24
	s_cbranch_scc0 .LBB347_80
; %bb.71:
	global_load_u8 v3, v[0:1], off
	s_mov_b32 s23, 0
	s_mov_b32 s19, exec_lo
	s_wait_loadcnt 0x0
	v_cmpx_lt_i16_e32 0x7f, v3
	s_xor_b32 s19, exec_lo, s19
	s_cbranch_execz .LBB347_92
; %bb.72:
	v_cmp_ne_u16_e32 vcc_lo, 0x80, v3
	s_and_b32 s23, vcc_lo, exec_lo
	s_and_not1_saveexec_b32 s19, s19
	s_cbranch_execnz .LBB347_93
.LBB347_73:
	s_or_b32 exec_lo, exec_lo, s19
	v_mov_b32_e32 v2, 0
	s_and_saveexec_b32 s19, s23
	s_cbranch_execz .LBB347_75
.LBB347_74:
	v_and_b32_e32 v2, 0xffff, v3
	s_delay_alu instid0(VALU_DEP_1) | instskip(SKIP_1) | instid1(VALU_DEP_2)
	v_and_b32_e32 v4, 3, v2
	v_bfe_u32 v8, v2, 2, 5
	v_clz_i32_u32_e32 v5, v4
	s_delay_alu instid0(VALU_DEP_2) | instskip(NEXT) | instid1(VALU_DEP_2)
	v_cmp_eq_u32_e32 vcc_lo, 0, v8
	v_min_u32_e32 v5, 32, v5
	s_delay_alu instid0(VALU_DEP_1) | instskip(NEXT) | instid1(VALU_DEP_1)
	v_subrev_nc_u32_e32 v7, 29, v5
	v_dual_lshlrev_b32 v2, v7, v2 :: v_dual_sub_nc_u32 v5, 30, v5
	s_delay_alu instid0(VALU_DEP_1) | instskip(NEXT) | instid1(VALU_DEP_2)
	v_dual_lshlrev_b32 v3, 24, v3 :: v_dual_bitop2_b32 v2, 3, v2 bitop3:0x40
	v_cndmask_b32_e32 v5, v8, v5, vcc_lo
	s_delay_alu instid0(VALU_DEP_2) | instskip(NEXT) | instid1(VALU_DEP_3)
	v_cndmask_b32_e32 v2, v4, v2, vcc_lo
	v_and_b32_e32 v3, 0x80000000, v3
	s_delay_alu instid0(VALU_DEP_3) | instskip(NEXT) | instid1(VALU_DEP_3)
	v_lshl_add_u32 v4, v5, 23, 0x37800000
	v_lshlrev_b32_e32 v2, 21, v2
	s_delay_alu instid0(VALU_DEP_1) | instskip(NEXT) | instid1(VALU_DEP_1)
	v_or3_b32 v2, v3, v4, v2
	v_cvt_u32_f32_e32 v2, v2
.LBB347_75:
	s_or_b32 exec_lo, exec_lo, s19
	s_mov_b32 s19, 0
	s_branch .LBB347_81
.LBB347_76:
	s_mov_b32 s23, -1
                                        ; implicit-def: $vgpr2
	s_branch .LBB347_87
.LBB347_77:
	s_and_not1_saveexec_b32 s19, s19
	s_cbranch_execz .LBB347_63
.LBB347_78:
	v_cmp_ne_u16_e32 vcc_lo, 0, v3
	s_and_not1_b32 s23, s23, exec_lo
	s_and_b32 s24, vcc_lo, exec_lo
	s_delay_alu instid0(SALU_CYCLE_1)
	s_or_b32 s23, s23, s24
	s_or_b32 exec_lo, exec_lo, s19
	v_mov_b32_e32 v2, 0
	s_and_saveexec_b32 s19, s23
	s_cbranch_execnz .LBB347_64
	s_branch .LBB347_65
.LBB347_79:
	s_mov_b32 s19, -1
                                        ; implicit-def: $vgpr2
	s_branch .LBB347_84
.LBB347_80:
	s_mov_b32 s19, -1
                                        ; implicit-def: $vgpr2
.LBB347_81:
	s_delay_alu instid0(SALU_CYCLE_1)
	s_and_b32 vcc_lo, exec_lo, s19
	s_cbranch_vccz .LBB347_83
; %bb.82:
	s_wait_loadcnt 0x0
	global_load_u8 v2, v[0:1], off
	s_wait_loadcnt 0x0
	v_lshlrev_b32_e32 v2, 24, v2
	s_delay_alu instid0(VALU_DEP_1) | instskip(NEXT) | instid1(VALU_DEP_1)
	v_and_b32_e32 v3, 0x7f000000, v2
	v_clz_i32_u32_e32 v4, v3
	v_add_nc_u32_e32 v7, 0x1000000, v3
	v_cmp_ne_u32_e32 vcc_lo, 0, v3
	s_delay_alu instid0(VALU_DEP_3) | instskip(NEXT) | instid1(VALU_DEP_1)
	v_min_u32_e32 v4, 32, v4
	v_sub_nc_u32_e64 v4, v4, 4 clamp
	s_delay_alu instid0(VALU_DEP_1) | instskip(NEXT) | instid1(VALU_DEP_1)
	v_dual_lshlrev_b32 v5, v4, v3 :: v_dual_lshlrev_b32 v4, 23, v4
	v_lshrrev_b32_e32 v5, 4, v5
	s_delay_alu instid0(VALU_DEP_1) | instskip(NEXT) | instid1(VALU_DEP_1)
	v_dual_sub_nc_u32 v4, v5, v4 :: v_dual_ashrrev_i32 v5, 8, v7
	v_add_nc_u32_e32 v4, 0x3c000000, v4
	s_delay_alu instid0(VALU_DEP_1) | instskip(NEXT) | instid1(VALU_DEP_1)
	v_and_or_b32 v4, 0x7f800000, v5, v4
	v_cndmask_b32_e32 v3, 0, v4, vcc_lo
	s_delay_alu instid0(VALU_DEP_1) | instskip(NEXT) | instid1(VALU_DEP_1)
	v_and_or_b32 v2, 0x80000000, v2, v3
	v_cvt_u32_f32_e32 v2, v2
.LBB347_83:
	s_mov_b32 s19, 0
.LBB347_84:
	s_delay_alu instid0(SALU_CYCLE_1)
	s_and_not1_b32 vcc_lo, exec_lo, s19
	s_cbranch_vccnz .LBB347_86
; %bb.85:
	s_wait_loadcnt 0x0
	global_load_u8 v2, v[0:1], off
	s_wait_loadcnt 0x0
	v_lshlrev_b32_e32 v3, 25, v2
	v_lshlrev_b16 v2, 8, v2
	s_delay_alu instid0(VALU_DEP_1) | instskip(SKIP_1) | instid1(VALU_DEP_2)
	v_and_or_b32 v5, 0x7f00, v2, 0.5
	v_bfe_i32 v2, v2, 0, 16
	v_dual_add_f32 v5, -0.5, v5 :: v_dual_lshrrev_b32 v4, 4, v3
	v_cmp_gt_u32_e32 vcc_lo, 0x8000000, v3
	s_delay_alu instid0(VALU_DEP_2) | instskip(NEXT) | instid1(VALU_DEP_1)
	v_or_b32_e32 v4, 0x70000000, v4
	v_mul_f32_e32 v4, 0x7800000, v4
	s_delay_alu instid0(VALU_DEP_1) | instskip(NEXT) | instid1(VALU_DEP_1)
	v_cndmask_b32_e32 v3, v4, v5, vcc_lo
	v_and_or_b32 v2, 0x80000000, v2, v3
	s_delay_alu instid0(VALU_DEP_1)
	v_cvt_u32_f32_e32 v2, v2
.LBB347_86:
	s_mov_b32 s23, 0
	s_mov_b32 s19, -1
.LBB347_87:
	s_and_not1_b32 vcc_lo, exec_lo, s23
	s_cbranch_vccnz .LBB347_100
; %bb.88:
	s_cmp_gt_i32 s18, 14
	s_cbranch_scc0 .LBB347_91
; %bb.89:
	s_cmp_eq_u32 s18, 15
	s_cbranch_scc0 .LBB347_94
; %bb.90:
	s_wait_loadcnt 0x0
	global_load_u16 v2, v[0:1], off
	s_mov_b32 s19, -1
	s_mov_b32 s20, 0
	s_wait_loadcnt 0x0
	v_lshlrev_b32_e32 v2, 16, v2
	s_delay_alu instid0(VALU_DEP_1)
	v_cvt_u32_f32_e32 v2, v2
	s_branch .LBB347_95
.LBB347_91:
	s_mov_b32 s23, -1
                                        ; implicit-def: $vgpr2
	s_branch .LBB347_96
.LBB347_92:
	s_and_not1_saveexec_b32 s19, s19
	s_cbranch_execz .LBB347_73
.LBB347_93:
	v_cmp_ne_u16_e32 vcc_lo, 0, v3
	s_and_not1_b32 s23, s23, exec_lo
	s_and_b32 s24, vcc_lo, exec_lo
	s_delay_alu instid0(SALU_CYCLE_1)
	s_or_b32 s23, s23, s24
	s_or_b32 exec_lo, exec_lo, s19
	v_mov_b32_e32 v2, 0
	s_and_saveexec_b32 s19, s23
	s_cbranch_execnz .LBB347_74
	s_branch .LBB347_75
.LBB347_94:
	s_mov_b32 s20, -1
                                        ; implicit-def: $vgpr2
.LBB347_95:
	s_mov_b32 s23, 0
.LBB347_96:
	s_delay_alu instid0(SALU_CYCLE_1)
	s_and_b32 vcc_lo, exec_lo, s23
	s_cbranch_vccz .LBB347_100
; %bb.97:
	s_cmp_eq_u32 s18, 11
	s_cbranch_scc0 .LBB347_99
; %bb.98:
	s_wait_loadcnt 0x0
	global_load_u8 v2, v[0:1], off
	s_mov_b32 s20, 0
	s_mov_b32 s19, -1
	s_wait_loadcnt 0x0
	v_cmp_ne_u16_e32 vcc_lo, 0, v2
	v_cndmask_b32_e64 v2, 0, 1, vcc_lo
	s_branch .LBB347_100
.LBB347_99:
	s_mov_b32 s20, -1
                                        ; implicit-def: $vgpr2
.LBB347_100:
	s_branch .LBB347_10
.LBB347_101:
	s_and_b32 s0, 0xffff, s0
	s_delay_alu instid0(SALU_CYCLE_1)
	s_cmp_lt_i32 s0, 5
	s_cbranch_scc1 .LBB347_106
; %bb.102:
	s_cmp_lt_i32 s0, 8
	s_cbranch_scc1 .LBB347_107
; %bb.103:
	;; [unrolled: 3-line block ×3, first 2 shown]
	s_cmp_gt_i32 s0, 9
	s_cbranch_scc0 .LBB347_109
; %bb.105:
	s_wait_loadcnt 0x0
	global_load_b64 v[2:3], v[0:1], off
	s_mov_b32 s18, 0
	s_wait_loadcnt 0x0
	v_cvt_u32_f64_e32 v2, v[2:3]
	s_branch .LBB347_110
.LBB347_106:
                                        ; implicit-def: $vgpr2
	s_branch .LBB347_128
.LBB347_107:
	s_mov_b32 s18, -1
                                        ; implicit-def: $vgpr2
	s_branch .LBB347_116
.LBB347_108:
	s_mov_b32 s18, -1
                                        ; implicit-def: $vgpr2
	s_branch .LBB347_113
.LBB347_109:
	s_mov_b32 s18, -1
                                        ; implicit-def: $vgpr2
.LBB347_110:
	s_delay_alu instid0(SALU_CYCLE_1)
	s_and_not1_b32 vcc_lo, exec_lo, s18
	s_cbranch_vccnz .LBB347_112
; %bb.111:
	s_wait_loadcnt 0x0
	global_load_b32 v2, v[0:1], off
	s_wait_loadcnt 0x0
	v_cvt_u32_f32_e32 v2, v2
.LBB347_112:
	s_mov_b32 s18, 0
.LBB347_113:
	s_delay_alu instid0(SALU_CYCLE_1)
	s_and_not1_b32 vcc_lo, exec_lo, s18
	s_cbranch_vccnz .LBB347_115
; %bb.114:
	s_wait_loadcnt 0x0
	global_load_b32 v2, v[0:1], off
	s_wait_loadcnt 0x0
	v_cvt_f32_f16_e32 v2, v2
	s_delay_alu instid0(VALU_DEP_1)
	v_cvt_u32_f32_e32 v2, v2
.LBB347_115:
	s_mov_b32 s18, 0
.LBB347_116:
	s_delay_alu instid0(SALU_CYCLE_1)
	s_and_not1_b32 vcc_lo, exec_lo, s18
	s_cbranch_vccnz .LBB347_127
; %bb.117:
	s_cmp_lt_i32 s0, 6
	s_cbranch_scc1 .LBB347_120
; %bb.118:
	s_cmp_gt_i32 s0, 6
	s_cbranch_scc0 .LBB347_121
; %bb.119:
	s_wait_loadcnt 0x0
	global_load_b64 v[2:3], v[0:1], off
	s_mov_b32 s18, 0
	s_wait_loadcnt 0x0
	v_cvt_u32_f64_e32 v2, v[2:3]
	s_branch .LBB347_122
.LBB347_120:
	s_mov_b32 s18, -1
                                        ; implicit-def: $vgpr2
	s_branch .LBB347_125
.LBB347_121:
	s_mov_b32 s18, -1
                                        ; implicit-def: $vgpr2
.LBB347_122:
	s_delay_alu instid0(SALU_CYCLE_1)
	s_and_not1_b32 vcc_lo, exec_lo, s18
	s_cbranch_vccnz .LBB347_124
; %bb.123:
	s_wait_loadcnt 0x0
	global_load_b32 v2, v[0:1], off
	s_wait_loadcnt 0x0
	v_cvt_u32_f32_e32 v2, v2
.LBB347_124:
	s_mov_b32 s18, 0
.LBB347_125:
	s_delay_alu instid0(SALU_CYCLE_1)
	s_and_not1_b32 vcc_lo, exec_lo, s18
	s_cbranch_vccnz .LBB347_127
; %bb.126:
	s_wait_loadcnt 0x0
	global_load_u16 v2, v[0:1], off
	s_wait_loadcnt 0x0
	v_cvt_f32_f16_e32 v2, v2
	s_delay_alu instid0(VALU_DEP_1)
	v_cvt_u32_f32_e32 v2, v2
.LBB347_127:
	s_cbranch_execnz .LBB347_147
.LBB347_128:
	s_cmp_lt_i32 s0, 2
	s_cbranch_scc1 .LBB347_132
; %bb.129:
	s_cmp_lt_i32 s0, 3
	s_cbranch_scc1 .LBB347_133
; %bb.130:
	s_cmp_gt_i32 s0, 3
	s_cbranch_scc0 .LBB347_134
; %bb.131:
	s_wait_loadcnt 0x0
	global_load_b32 v2, v[0:1], off
	s_mov_b32 s18, 0
	s_branch .LBB347_135
.LBB347_132:
	s_mov_b32 s18, -1
                                        ; implicit-def: $vgpr2
	s_branch .LBB347_141
.LBB347_133:
	s_mov_b32 s18, -1
                                        ; implicit-def: $vgpr2
	s_branch .LBB347_138
.LBB347_134:
	s_mov_b32 s18, -1
                                        ; implicit-def: $vgpr2
.LBB347_135:
	s_delay_alu instid0(SALU_CYCLE_1)
	s_and_not1_b32 vcc_lo, exec_lo, s18
	s_cbranch_vccnz .LBB347_137
; %bb.136:
	s_wait_loadcnt 0x0
	global_load_b32 v2, v[0:1], off
.LBB347_137:
	s_mov_b32 s18, 0
.LBB347_138:
	s_delay_alu instid0(SALU_CYCLE_1)
	s_and_not1_b32 vcc_lo, exec_lo, s18
	s_cbranch_vccnz .LBB347_140
; %bb.139:
	s_wait_loadcnt 0x0
	global_load_i16 v2, v[0:1], off
.LBB347_140:
	s_mov_b32 s18, 0
.LBB347_141:
	s_delay_alu instid0(SALU_CYCLE_1)
	s_and_not1_b32 vcc_lo, exec_lo, s18
	s_cbranch_vccnz .LBB347_147
; %bb.142:
	s_cmp_gt_i32 s0, 0
	s_mov_b32 s0, 0
	s_cbranch_scc0 .LBB347_144
; %bb.143:
	s_wait_loadcnt 0x0
	global_load_i8 v2, v[0:1], off
	s_branch .LBB347_145
.LBB347_144:
	s_mov_b32 s0, -1
                                        ; implicit-def: $vgpr2
.LBB347_145:
	s_delay_alu instid0(SALU_CYCLE_1)
	s_and_not1_b32 vcc_lo, exec_lo, s0
	s_cbranch_vccnz .LBB347_147
; %bb.146:
	s_wait_loadcnt 0x0
	global_load_u8 v2, v[0:1], off
.LBB347_147:
	s_branch .LBB347_11
.LBB347_148:
	s_mov_b32 s0, 0
	s_mov_b32 s19, 0
	s_branch .LBB347_372
.LBB347_149:
	s_mov_b32 s19, -1
.LBB347_150:
	s_mov_b32 s23, 0
                                        ; implicit-def: $vgpr3
.LBB347_151:
	s_and_b32 vcc_lo, exec_lo, s24
	s_cbranch_vccz .LBB347_266
; %bb.152:
	s_cmp_eq_u32 s18, 44
	s_cbranch_scc0 .LBB347_265
; %bb.153:
	global_load_u8 v3, v[0:1], off
	s_mov_b32 s19, 0
	s_mov_b32 s23, -1
	s_wait_loadcnt 0x0
	v_lshlrev_b32_e32 v4, 23, v3
	v_cmp_ne_u32_e32 vcc_lo, 0, v3
	s_delay_alu instid0(VALU_DEP_2) | instskip(NEXT) | instid1(VALU_DEP_1)
	v_cvt_u32_f32_e32 v4, v4
	v_cndmask_b32_e32 v3, 0, v4, vcc_lo
	s_branch .LBB347_266
.LBB347_154:
	s_mov_b32 s26, -1
	s_mov_b32 s0, 0
	s_mov_b32 s25, 0
.LBB347_155:
	s_and_b32 vcc_lo, exec_lo, s26
	s_cbranch_vccz .LBB347_160
; %bb.156:
	s_cmp_eq_u32 s24, 44
	s_mov_b32 s0, -1
	s_cbranch_scc0 .LBB347_160
; %bb.157:
	v_cndmask_b32_e64 v4, 0, 1.0, s18
	s_mov_b32 s25, exec_lo
	s_wait_xcnt 0x0
	s_delay_alu instid0(VALU_DEP_1) | instskip(NEXT) | instid1(VALU_DEP_1)
	v_dual_mov_b32 v3, 0xff :: v_dual_lshrrev_b32 v2, 23, v4
	v_cmpx_ne_u32_e32 0xff, v2
; %bb.158:
	v_and_b32_e32 v3, 0x400000, v4
	v_and_or_b32 v4, 0x3fffff, v4, v2
	s_delay_alu instid0(VALU_DEP_2) | instskip(NEXT) | instid1(VALU_DEP_2)
	v_cmp_ne_u32_e32 vcc_lo, 0, v3
	v_cmp_ne_u32_e64 s0, 0, v4
	s_and_b32 s0, vcc_lo, s0
	s_delay_alu instid0(SALU_CYCLE_1) | instskip(NEXT) | instid1(VALU_DEP_1)
	v_cndmask_b32_e64 v3, 0, 1, s0
	v_add_nc_u32_e32 v3, v2, v3
; %bb.159:
	s_or_b32 exec_lo, exec_lo, s25
	s_mov_b32 s25, -1
	s_mov_b32 s0, 0
	global_store_b8 v[0:1], v3, off
.LBB347_160:
	s_mov_b32 s26, 0
.LBB347_161:
	s_delay_alu instid0(SALU_CYCLE_1)
	s_and_b32 vcc_lo, exec_lo, s26
	s_cbranch_vccz .LBB347_164
; %bb.162:
	s_cmp_eq_u32 s24, 29
	s_mov_b32 s0, -1
	s_cbranch_scc0 .LBB347_164
; %bb.163:
	s_mov_b32 s0, 0
	s_wait_xcnt 0x0
	v_cndmask_b32_e64 v2, 0, 1, s18
	v_mov_b32_e32 v3, s0
	s_mov_b32 s25, -1
	s_mov_b32 s26, 0
	global_store_b64 v[0:1], v[2:3], off
	s_branch .LBB347_165
.LBB347_164:
	s_mov_b32 s26, 0
.LBB347_165:
	s_delay_alu instid0(SALU_CYCLE_1)
	s_and_b32 vcc_lo, exec_lo, s26
	s_cbranch_vccz .LBB347_181
; %bb.166:
	s_cmp_lt_i32 s24, 27
	s_mov_b32 s25, -1
	s_cbranch_scc1 .LBB347_172
; %bb.167:
	s_cmp_gt_i32 s24, 27
	s_cbranch_scc0 .LBB347_169
; %bb.168:
	s_wait_xcnt 0x0
	v_cndmask_b32_e64 v2, 0, 1, s18
	s_mov_b32 s25, 0
	global_store_b32 v[0:1], v2, off
.LBB347_169:
	s_and_not1_b32 vcc_lo, exec_lo, s25
	s_cbranch_vccnz .LBB347_171
; %bb.170:
	s_wait_xcnt 0x0
	v_cndmask_b32_e64 v2, 0, 1, s18
	global_store_b16 v[0:1], v2, off
.LBB347_171:
	s_mov_b32 s25, 0
.LBB347_172:
	s_delay_alu instid0(SALU_CYCLE_1)
	s_and_not1_b32 vcc_lo, exec_lo, s25
	s_cbranch_vccnz .LBB347_180
; %bb.173:
	s_wait_xcnt 0x0
	v_cndmask_b32_e64 v3, 0, 1.0, s18
	v_mov_b32_e32 v4, 0x80
	s_mov_b32 s25, exec_lo
	s_delay_alu instid0(VALU_DEP_2)
	v_cmpx_gt_u32_e32 0x43800000, v3
	s_cbranch_execz .LBB347_179
; %bb.174:
	s_mov_b32 s26, 0
	s_mov_b32 s27, exec_lo
                                        ; implicit-def: $vgpr2
	v_cmpx_lt_u32_e32 0x3bffffff, v3
	s_xor_b32 s27, exec_lo, s27
	s_cbranch_execz .LBB347_403
; %bb.175:
	v_bfe_u32 v2, v3, 20, 1
	s_mov_b32 s26, exec_lo
	s_delay_alu instid0(VALU_DEP_1) | instskip(NEXT) | instid1(VALU_DEP_1)
	v_add3_u32 v2, v3, v2, 0x487ffff
                                        ; implicit-def: $vgpr3
	v_lshrrev_b32_e32 v2, 20, v2
	s_and_not1_saveexec_b32 s27, s27
	s_cbranch_execnz .LBB347_404
.LBB347_176:
	s_or_b32 exec_lo, exec_lo, s27
	v_mov_b32_e32 v4, 0
	s_and_saveexec_b32 s27, s26
.LBB347_177:
	v_mov_b32_e32 v4, v2
.LBB347_178:
	s_or_b32 exec_lo, exec_lo, s27
.LBB347_179:
	s_delay_alu instid0(SALU_CYCLE_1)
	s_or_b32 exec_lo, exec_lo, s25
	global_store_b8 v[0:1], v4, off
.LBB347_180:
	s_mov_b32 s25, -1
.LBB347_181:
	s_mov_b32 s26, 0
.LBB347_182:
	s_delay_alu instid0(SALU_CYCLE_1)
	s_and_b32 vcc_lo, exec_lo, s26
	s_cbranch_vccz .LBB347_223
; %bb.183:
	s_cmp_gt_i32 s24, 22
	s_mov_b32 s26, -1
	s_cbranch_scc0 .LBB347_215
; %bb.184:
	s_cmp_lt_i32 s24, 24
	s_mov_b32 s25, -1
	s_cbranch_scc1 .LBB347_204
; %bb.185:
	s_cmp_gt_i32 s24, 24
	s_cbranch_scc0 .LBB347_193
; %bb.186:
	s_wait_xcnt 0x0
	v_cndmask_b32_e64 v3, 0, 1.0, s18
	v_mov_b32_e32 v4, 0x80
	s_mov_b32 s25, exec_lo
	s_delay_alu instid0(VALU_DEP_2)
	v_cmpx_gt_u32_e32 0x47800000, v3
	s_cbranch_execz .LBB347_192
; %bb.187:
	s_mov_b32 s26, 0
	s_mov_b32 s27, exec_lo
                                        ; implicit-def: $vgpr2
	v_cmpx_lt_u32_e32 0x37ffffff, v3
	s_xor_b32 s27, exec_lo, s27
	s_cbranch_execz .LBB347_518
; %bb.188:
	v_bfe_u32 v2, v3, 21, 1
	s_mov_b32 s26, exec_lo
	s_delay_alu instid0(VALU_DEP_1) | instskip(NEXT) | instid1(VALU_DEP_1)
	v_add3_u32 v2, v3, v2, 0x88fffff
                                        ; implicit-def: $vgpr3
	v_lshrrev_b32_e32 v2, 21, v2
	s_and_not1_saveexec_b32 s27, s27
	s_cbranch_execnz .LBB347_519
.LBB347_189:
	s_or_b32 exec_lo, exec_lo, s27
	v_mov_b32_e32 v4, 0
	s_and_saveexec_b32 s27, s26
.LBB347_190:
	v_mov_b32_e32 v4, v2
.LBB347_191:
	s_or_b32 exec_lo, exec_lo, s27
.LBB347_192:
	s_delay_alu instid0(SALU_CYCLE_1)
	s_or_b32 exec_lo, exec_lo, s25
	s_mov_b32 s25, 0
	global_store_b8 v[0:1], v4, off
.LBB347_193:
	s_and_b32 vcc_lo, exec_lo, s25
	s_cbranch_vccz .LBB347_203
; %bb.194:
	s_wait_xcnt 0x0
	v_cndmask_b32_e64 v3, 0, 1.0, s18
	s_mov_b32 s25, exec_lo
                                        ; implicit-def: $vgpr2
	s_delay_alu instid0(VALU_DEP_1)
	v_cmpx_gt_u32_e32 0x43f00000, v3
	s_xor_b32 s25, exec_lo, s25
	s_cbranch_execz .LBB347_200
; %bb.195:
	s_mov_b32 s26, exec_lo
                                        ; implicit-def: $vgpr2
	v_cmpx_lt_u32_e32 0x3c7fffff, v3
	s_xor_b32 s26, exec_lo, s26
; %bb.196:
	v_bfe_u32 v2, v3, 20, 1
	s_delay_alu instid0(VALU_DEP_1) | instskip(NEXT) | instid1(VALU_DEP_1)
	v_add3_u32 v2, v3, v2, 0x407ffff
	v_and_b32_e32 v3, 0xff00000, v2
	v_lshrrev_b32_e32 v2, 20, v2
	s_delay_alu instid0(VALU_DEP_2) | instskip(NEXT) | instid1(VALU_DEP_2)
	v_cmp_ne_u32_e32 vcc_lo, 0x7f00000, v3
                                        ; implicit-def: $vgpr3
	v_cndmask_b32_e32 v2, 0x7e, v2, vcc_lo
; %bb.197:
	s_and_not1_saveexec_b32 s26, s26
; %bb.198:
	v_add_f32_e32 v2, 0x46800000, v3
; %bb.199:
	s_or_b32 exec_lo, exec_lo, s26
                                        ; implicit-def: $vgpr3
.LBB347_200:
	s_and_not1_saveexec_b32 s25, s25
; %bb.201:
	v_mov_b32_e32 v2, 0x7f
	v_cmp_lt_u32_e32 vcc_lo, 0x7f800000, v3
	s_delay_alu instid0(VALU_DEP_2)
	v_cndmask_b32_e32 v2, 0x7e, v2, vcc_lo
; %bb.202:
	s_or_b32 exec_lo, exec_lo, s25
	global_store_b8 v[0:1], v2, off
.LBB347_203:
	s_mov_b32 s25, 0
.LBB347_204:
	s_delay_alu instid0(SALU_CYCLE_1)
	s_and_not1_b32 vcc_lo, exec_lo, s25
	s_cbranch_vccnz .LBB347_214
; %bb.205:
	s_wait_xcnt 0x0
	v_cndmask_b32_e64 v3, 0, 1.0, s18
	s_mov_b32 s25, exec_lo
                                        ; implicit-def: $vgpr2
	s_delay_alu instid0(VALU_DEP_1)
	v_cmpx_gt_u32_e32 0x47800000, v3
	s_xor_b32 s25, exec_lo, s25
	s_cbranch_execz .LBB347_211
; %bb.206:
	s_mov_b32 s26, exec_lo
                                        ; implicit-def: $vgpr2
	v_cmpx_lt_u32_e32 0x387fffff, v3
	s_xor_b32 s26, exec_lo, s26
; %bb.207:
	v_bfe_u32 v2, v3, 21, 1
	s_delay_alu instid0(VALU_DEP_1) | instskip(NEXT) | instid1(VALU_DEP_1)
	v_add3_u32 v2, v3, v2, 0x80fffff
                                        ; implicit-def: $vgpr3
	v_lshrrev_b32_e32 v2, 21, v2
; %bb.208:
	s_and_not1_saveexec_b32 s26, s26
; %bb.209:
	v_add_f32_e32 v2, 0x43000000, v3
; %bb.210:
	s_or_b32 exec_lo, exec_lo, s26
                                        ; implicit-def: $vgpr3
.LBB347_211:
	s_and_not1_saveexec_b32 s25, s25
; %bb.212:
	v_mov_b32_e32 v2, 0x7f
	v_cmp_lt_u32_e32 vcc_lo, 0x7f800000, v3
	s_delay_alu instid0(VALU_DEP_2)
	v_cndmask_b32_e32 v2, 0x7c, v2, vcc_lo
; %bb.213:
	s_or_b32 exec_lo, exec_lo, s25
	global_store_b8 v[0:1], v2, off
.LBB347_214:
	s_mov_b32 s26, 0
	s_mov_b32 s25, -1
.LBB347_215:
	s_and_not1_b32 vcc_lo, exec_lo, s26
	s_cbranch_vccnz .LBB347_223
; %bb.216:
	s_cmp_gt_i32 s24, 14
	s_mov_b32 s26, -1
	s_cbranch_scc0 .LBB347_220
; %bb.217:
	s_cmp_eq_u32 s24, 15
	s_mov_b32 s0, -1
	s_cbranch_scc0 .LBB347_219
; %bb.218:
	s_wait_xcnt 0x0
	v_cndmask_b32_e64 v2, 0, 1.0, s18
	s_mov_b32 s25, -1
	s_mov_b32 s0, 0
	s_delay_alu instid0(VALU_DEP_1) | instskip(NEXT) | instid1(VALU_DEP_1)
	v_bfe_u32 v3, v2, 16, 1
	v_add3_u32 v2, v2, v3, 0x7fff
	global_store_d16_hi_b16 v[0:1], v2, off
.LBB347_219:
	s_mov_b32 s26, 0
.LBB347_220:
	s_delay_alu instid0(SALU_CYCLE_1)
	s_and_b32 vcc_lo, exec_lo, s26
	s_cbranch_vccz .LBB347_223
; %bb.221:
	s_cmp_eq_u32 s24, 11
	s_mov_b32 s0, -1
	s_cbranch_scc0 .LBB347_223
; %bb.222:
	s_wait_xcnt 0x0
	v_cndmask_b32_e64 v2, 0, 1, s18
	s_mov_b32 s25, -1
	s_mov_b32 s0, 0
	global_store_b8 v[0:1], v2, off
.LBB347_223:
	s_mov_b32 s24, 0
.LBB347_224:
	s_delay_alu instid0(SALU_CYCLE_1)
	s_and_b32 vcc_lo, exec_lo, s24
	s_cbranch_vccz .LBB347_263
; %bb.225:
	s_and_b32 s23, 0xffff, s23
	s_mov_b32 s24, -1
	s_cmp_lt_i32 s23, 5
	s_cbranch_scc1 .LBB347_246
; %bb.226:
	s_cmp_lt_i32 s23, 8
	s_cbranch_scc1 .LBB347_236
; %bb.227:
	;; [unrolled: 3-line block ×3, first 2 shown]
	s_cmp_gt_i32 s23, 9
	s_cbranch_scc0 .LBB347_230
; %bb.229:
	s_wait_xcnt 0x0
	v_cndmask_b32_e64 v2, 0, 1, s18
	v_mov_b32_e32 v4, 0
	s_mov_b32 s24, 0
	s_delay_alu instid0(VALU_DEP_2) | instskip(NEXT) | instid1(VALU_DEP_2)
	v_cvt_f64_u32_e32 v[2:3], v2
	v_mov_b32_e32 v5, v4
	global_store_b128 v[0:1], v[2:5], off
.LBB347_230:
	s_and_not1_b32 vcc_lo, exec_lo, s24
	s_cbranch_vccnz .LBB347_232
; %bb.231:
	s_wait_xcnt 0x0
	v_cndmask_b32_e64 v2, 0, 1.0, s18
	v_mov_b32_e32 v3, 0
	global_store_b64 v[0:1], v[2:3], off
.LBB347_232:
	s_mov_b32 s24, 0
.LBB347_233:
	s_delay_alu instid0(SALU_CYCLE_1)
	s_and_not1_b32 vcc_lo, exec_lo, s24
	s_cbranch_vccnz .LBB347_235
; %bb.234:
	s_wait_xcnt 0x0
	v_cndmask_b32_e64 v2, 0, 1.0, s18
	s_delay_alu instid0(VALU_DEP_1) | instskip(NEXT) | instid1(VALU_DEP_1)
	v_cvt_f16_f32_e32 v2, v2
	v_and_b32_e32 v2, 0xffff, v2
	global_store_b32 v[0:1], v2, off
.LBB347_235:
	s_mov_b32 s24, 0
.LBB347_236:
	s_delay_alu instid0(SALU_CYCLE_1)
	s_and_not1_b32 vcc_lo, exec_lo, s24
	s_cbranch_vccnz .LBB347_245
; %bb.237:
	s_cmp_lt_i32 s23, 6
	s_mov_b32 s24, -1
	s_cbranch_scc1 .LBB347_243
; %bb.238:
	s_cmp_gt_i32 s23, 6
	s_cbranch_scc0 .LBB347_240
; %bb.239:
	s_wait_xcnt 0x0
	v_cndmask_b32_e64 v2, 0, 1, s18
	s_mov_b32 s24, 0
	s_delay_alu instid0(VALU_DEP_1)
	v_cvt_f64_u32_e32 v[2:3], v2
	global_store_b64 v[0:1], v[2:3], off
.LBB347_240:
	s_and_not1_b32 vcc_lo, exec_lo, s24
	s_cbranch_vccnz .LBB347_242
; %bb.241:
	s_wait_xcnt 0x0
	v_cndmask_b32_e64 v2, 0, 1.0, s18
	global_store_b32 v[0:1], v2, off
.LBB347_242:
	s_mov_b32 s24, 0
.LBB347_243:
	s_delay_alu instid0(SALU_CYCLE_1)
	s_and_not1_b32 vcc_lo, exec_lo, s24
	s_cbranch_vccnz .LBB347_245
; %bb.244:
	s_wait_xcnt 0x0
	v_cndmask_b32_e64 v2, 0, 1.0, s18
	s_delay_alu instid0(VALU_DEP_1)
	v_cvt_f16_f32_e32 v2, v2
	global_store_b16 v[0:1], v2, off
.LBB347_245:
	s_mov_b32 s24, 0
.LBB347_246:
	s_delay_alu instid0(SALU_CYCLE_1)
	s_and_not1_b32 vcc_lo, exec_lo, s24
	s_cbranch_vccnz .LBB347_262
; %bb.247:
	s_cmp_lt_i32 s23, 2
	s_mov_b32 s24, -1
	s_cbranch_scc1 .LBB347_257
; %bb.248:
	s_cmp_lt_i32 s23, 3
	s_cbranch_scc1 .LBB347_254
; %bb.249:
	s_cmp_gt_i32 s23, 3
	s_cbranch_scc0 .LBB347_251
; %bb.250:
	s_mov_b32 s24, 0
	s_wait_xcnt 0x0
	v_cndmask_b32_e64 v2, 0, 1, s18
	v_mov_b32_e32 v3, s24
	global_store_b64 v[0:1], v[2:3], off
.LBB347_251:
	s_and_not1_b32 vcc_lo, exec_lo, s24
	s_cbranch_vccnz .LBB347_253
; %bb.252:
	s_wait_xcnt 0x0
	v_cndmask_b32_e64 v2, 0, 1, s18
	global_store_b32 v[0:1], v2, off
.LBB347_253:
	s_mov_b32 s24, 0
.LBB347_254:
	s_delay_alu instid0(SALU_CYCLE_1)
	s_and_not1_b32 vcc_lo, exec_lo, s24
	s_cbranch_vccnz .LBB347_256
; %bb.255:
	s_wait_xcnt 0x0
	v_cndmask_b32_e64 v2, 0, 1, s18
	global_store_b16 v[0:1], v2, off
.LBB347_256:
	s_mov_b32 s24, 0
.LBB347_257:
	s_delay_alu instid0(SALU_CYCLE_1)
	s_and_not1_b32 vcc_lo, exec_lo, s24
	s_cbranch_vccnz .LBB347_262
; %bb.258:
	s_wait_xcnt 0x0
	v_cndmask_b32_e64 v2, 0, 1, s18
	s_cmp_gt_i32 s23, 0
	s_mov_b32 s18, -1
	s_cbranch_scc0 .LBB347_260
; %bb.259:
	s_mov_b32 s18, 0
	global_store_b8 v[0:1], v2, off
.LBB347_260:
	s_and_not1_b32 vcc_lo, exec_lo, s18
	s_cbranch_vccnz .LBB347_262
; %bb.261:
	global_store_b8 v[0:1], v2, off
.LBB347_262:
	s_mov_b32 s25, -1
.LBB347_263:
	s_delay_alu instid0(SALU_CYCLE_1)
	s_and_not1_b32 vcc_lo, exec_lo, s25
	s_cbranch_vccnz .LBB347_372
; %bb.264:
	v_add_nc_u32_e32 v6, 0x80, v6
	s_mov_b32 s23, -1
	s_branch .LBB347_373
.LBB347_265:
	s_mov_b32 s19, -1
                                        ; implicit-def: $vgpr3
.LBB347_266:
	s_mov_b32 s24, 0
.LBB347_267:
	s_delay_alu instid0(SALU_CYCLE_1)
	s_and_b32 vcc_lo, exec_lo, s24
	s_cbranch_vccz .LBB347_271
; %bb.268:
	s_cmp_eq_u32 s18, 29
	s_cbranch_scc0 .LBB347_270
; %bb.269:
	global_load_b32 v3, v[0:1], off
	s_mov_b32 s23, -1
	s_mov_b32 s19, 0
	s_branch .LBB347_271
.LBB347_270:
	s_mov_b32 s19, -1
                                        ; implicit-def: $vgpr3
.LBB347_271:
	s_mov_b32 s24, 0
.LBB347_272:
	s_delay_alu instid0(SALU_CYCLE_1)
	s_and_b32 vcc_lo, exec_lo, s24
	s_cbranch_vccz .LBB347_288
; %bb.273:
	s_cmp_lt_i32 s18, 27
	s_cbranch_scc1 .LBB347_276
; %bb.274:
	s_cmp_gt_i32 s18, 27
	s_cbranch_scc0 .LBB347_277
; %bb.275:
	s_wait_loadcnt 0x0
	global_load_b32 v3, v[0:1], off
	s_mov_b32 s23, 0
	s_branch .LBB347_278
.LBB347_276:
	s_mov_b32 s23, -1
                                        ; implicit-def: $vgpr3
	s_branch .LBB347_281
.LBB347_277:
	s_mov_b32 s23, -1
                                        ; implicit-def: $vgpr3
.LBB347_278:
	s_delay_alu instid0(SALU_CYCLE_1)
	s_and_not1_b32 vcc_lo, exec_lo, s23
	s_cbranch_vccnz .LBB347_280
; %bb.279:
	s_wait_loadcnt 0x0
	global_load_u16 v3, v[0:1], off
.LBB347_280:
	s_mov_b32 s23, 0
.LBB347_281:
	s_delay_alu instid0(SALU_CYCLE_1)
	s_and_not1_b32 vcc_lo, exec_lo, s23
	s_cbranch_vccnz .LBB347_287
; %bb.282:
	global_load_u8 v4, v[0:1], off
	s_mov_b32 s24, 0
	s_mov_b32 s23, exec_lo
	s_wait_loadcnt 0x0
	v_cmpx_lt_i16_e32 0x7f, v4
	s_xor_b32 s23, exec_lo, s23
	s_cbranch_execz .LBB347_299
; %bb.283:
	v_cmp_ne_u16_e32 vcc_lo, 0x80, v4
	s_and_b32 s24, vcc_lo, exec_lo
	s_and_not1_saveexec_b32 s23, s23
	s_cbranch_execnz .LBB347_300
.LBB347_284:
	s_or_b32 exec_lo, exec_lo, s23
	v_mov_b32_e32 v3, 0
	s_and_saveexec_b32 s23, s24
	s_cbranch_execz .LBB347_286
.LBB347_285:
	v_and_b32_e32 v3, 0xffff, v4
	s_delay_alu instid0(VALU_DEP_1) | instskip(SKIP_1) | instid1(VALU_DEP_2)
	v_dual_lshlrev_b32 v4, 24, v4 :: v_dual_bitop2_b32 v5, 7, v3 bitop3:0x40
	v_bfe_u32 v9, v3, 3, 4
	v_and_b32_e32 v4, 0x80000000, v4
	s_delay_alu instid0(VALU_DEP_3) | instskip(NEXT) | instid1(VALU_DEP_3)
	v_clz_i32_u32_e32 v7, v5
	v_cmp_eq_u32_e32 vcc_lo, 0, v9
	s_delay_alu instid0(VALU_DEP_2) | instskip(NEXT) | instid1(VALU_DEP_1)
	v_min_u32_e32 v7, 32, v7
	v_subrev_nc_u32_e32 v8, 28, v7
	v_sub_nc_u32_e32 v7, 29, v7
	s_delay_alu instid0(VALU_DEP_2) | instskip(NEXT) | instid1(VALU_DEP_2)
	v_lshlrev_b32_e32 v3, v8, v3
	v_cndmask_b32_e32 v7, v9, v7, vcc_lo
	s_delay_alu instid0(VALU_DEP_2) | instskip(NEXT) | instid1(VALU_DEP_1)
	v_and_b32_e32 v3, 7, v3
	v_cndmask_b32_e32 v3, v5, v3, vcc_lo
	s_delay_alu instid0(VALU_DEP_3) | instskip(NEXT) | instid1(VALU_DEP_2)
	v_lshl_add_u32 v5, v7, 23, 0x3b800000
	v_lshlrev_b32_e32 v3, 20, v3
	s_delay_alu instid0(VALU_DEP_1) | instskip(NEXT) | instid1(VALU_DEP_1)
	v_or3_b32 v3, v4, v5, v3
	v_cvt_u32_f32_e32 v3, v3
.LBB347_286:
	s_or_b32 exec_lo, exec_lo, s23
.LBB347_287:
	s_mov_b32 s23, -1
.LBB347_288:
	s_mov_b32 s24, 0
.LBB347_289:
	s_delay_alu instid0(SALU_CYCLE_1)
	s_and_b32 vcc_lo, exec_lo, s24
	s_cbranch_vccz .LBB347_322
; %bb.290:
	s_cmp_gt_i32 s18, 22
	s_cbranch_scc0 .LBB347_298
; %bb.291:
	s_cmp_lt_i32 s18, 24
	s_cbranch_scc1 .LBB347_301
; %bb.292:
	s_cmp_gt_i32 s18, 24
	s_cbranch_scc0 .LBB347_302
; %bb.293:
	global_load_u8 v4, v[0:1], off
	s_mov_b32 s24, 0
	s_mov_b32 s23, exec_lo
	s_wait_loadcnt 0x0
	v_cmpx_lt_i16_e32 0x7f, v4
	s_xor_b32 s23, exec_lo, s23
	s_cbranch_execz .LBB347_314
; %bb.294:
	v_cmp_ne_u16_e32 vcc_lo, 0x80, v4
	s_and_b32 s24, vcc_lo, exec_lo
	s_and_not1_saveexec_b32 s23, s23
	s_cbranch_execnz .LBB347_315
.LBB347_295:
	s_or_b32 exec_lo, exec_lo, s23
	v_mov_b32_e32 v3, 0
	s_and_saveexec_b32 s23, s24
	s_cbranch_execz .LBB347_297
.LBB347_296:
	v_and_b32_e32 v3, 0xffff, v4
	s_delay_alu instid0(VALU_DEP_1) | instskip(SKIP_1) | instid1(VALU_DEP_2)
	v_dual_lshlrev_b32 v4, 24, v4 :: v_dual_bitop2_b32 v5, 3, v3 bitop3:0x40
	v_bfe_u32 v9, v3, 2, 5
	v_and_b32_e32 v4, 0x80000000, v4
	s_delay_alu instid0(VALU_DEP_3) | instskip(NEXT) | instid1(VALU_DEP_3)
	v_clz_i32_u32_e32 v7, v5
	v_cmp_eq_u32_e32 vcc_lo, 0, v9
	s_delay_alu instid0(VALU_DEP_2) | instskip(NEXT) | instid1(VALU_DEP_1)
	v_min_u32_e32 v7, 32, v7
	v_subrev_nc_u32_e32 v8, 29, v7
	v_sub_nc_u32_e32 v7, 30, v7
	s_delay_alu instid0(VALU_DEP_2) | instskip(NEXT) | instid1(VALU_DEP_2)
	v_lshlrev_b32_e32 v3, v8, v3
	v_cndmask_b32_e32 v7, v9, v7, vcc_lo
	s_delay_alu instid0(VALU_DEP_2) | instskip(NEXT) | instid1(VALU_DEP_1)
	v_and_b32_e32 v3, 3, v3
	v_cndmask_b32_e32 v3, v5, v3, vcc_lo
	s_delay_alu instid0(VALU_DEP_3) | instskip(NEXT) | instid1(VALU_DEP_2)
	v_lshl_add_u32 v5, v7, 23, 0x37800000
	v_lshlrev_b32_e32 v3, 21, v3
	s_delay_alu instid0(VALU_DEP_1) | instskip(NEXT) | instid1(VALU_DEP_1)
	v_or3_b32 v3, v4, v5, v3
	v_cvt_u32_f32_e32 v3, v3
.LBB347_297:
	s_or_b32 exec_lo, exec_lo, s23
	s_mov_b32 s23, 0
	s_branch .LBB347_303
.LBB347_298:
	s_mov_b32 s24, -1
                                        ; implicit-def: $vgpr3
	s_branch .LBB347_309
.LBB347_299:
	s_and_not1_saveexec_b32 s23, s23
	s_cbranch_execz .LBB347_284
.LBB347_300:
	v_cmp_ne_u16_e32 vcc_lo, 0, v4
	s_and_not1_b32 s24, s24, exec_lo
	s_and_b32 s25, vcc_lo, exec_lo
	s_delay_alu instid0(SALU_CYCLE_1)
	s_or_b32 s24, s24, s25
	s_or_b32 exec_lo, exec_lo, s23
	v_mov_b32_e32 v3, 0
	s_and_saveexec_b32 s23, s24
	s_cbranch_execnz .LBB347_285
	s_branch .LBB347_286
.LBB347_301:
	s_mov_b32 s23, -1
                                        ; implicit-def: $vgpr3
	s_branch .LBB347_306
.LBB347_302:
	s_mov_b32 s23, -1
                                        ; implicit-def: $vgpr3
.LBB347_303:
	s_delay_alu instid0(SALU_CYCLE_1)
	s_and_b32 vcc_lo, exec_lo, s23
	s_cbranch_vccz .LBB347_305
; %bb.304:
	s_wait_loadcnt 0x0
	global_load_u8 v3, v[0:1], off
	s_wait_loadcnt 0x0
	v_lshlrev_b32_e32 v3, 24, v3
	s_delay_alu instid0(VALU_DEP_1) | instskip(NEXT) | instid1(VALU_DEP_1)
	v_and_b32_e32 v4, 0x7f000000, v3
	v_clz_i32_u32_e32 v5, v4
	v_add_nc_u32_e32 v8, 0x1000000, v4
	v_cmp_ne_u32_e32 vcc_lo, 0, v4
	s_delay_alu instid0(VALU_DEP_3) | instskip(NEXT) | instid1(VALU_DEP_1)
	v_min_u32_e32 v5, 32, v5
	v_sub_nc_u32_e64 v5, v5, 4 clamp
	s_delay_alu instid0(VALU_DEP_1) | instskip(NEXT) | instid1(VALU_DEP_1)
	v_dual_lshlrev_b32 v7, v5, v4 :: v_dual_lshlrev_b32 v5, 23, v5
	v_lshrrev_b32_e32 v7, 4, v7
	s_delay_alu instid0(VALU_DEP_1) | instskip(NEXT) | instid1(VALU_DEP_1)
	v_dual_sub_nc_u32 v5, v7, v5 :: v_dual_ashrrev_i32 v7, 8, v8
	v_add_nc_u32_e32 v5, 0x3c000000, v5
	s_delay_alu instid0(VALU_DEP_1) | instskip(NEXT) | instid1(VALU_DEP_1)
	v_and_or_b32 v5, 0x7f800000, v7, v5
	v_cndmask_b32_e32 v4, 0, v5, vcc_lo
	s_delay_alu instid0(VALU_DEP_1) | instskip(NEXT) | instid1(VALU_DEP_1)
	v_and_or_b32 v3, 0x80000000, v3, v4
	v_cvt_u32_f32_e32 v3, v3
.LBB347_305:
	s_mov_b32 s23, 0
.LBB347_306:
	s_delay_alu instid0(SALU_CYCLE_1)
	s_and_not1_b32 vcc_lo, exec_lo, s23
	s_cbranch_vccnz .LBB347_308
; %bb.307:
	s_wait_loadcnt 0x0
	global_load_u8 v3, v[0:1], off
	s_wait_loadcnt 0x0
	v_lshlrev_b32_e32 v4, 25, v3
	v_lshlrev_b16 v3, 8, v3
	s_delay_alu instid0(VALU_DEP_1) | instskip(NEXT) | instid1(VALU_DEP_3)
	v_and_or_b32 v7, 0x7f00, v3, 0.5
	v_lshrrev_b32_e32 v5, 4, v4
	v_bfe_i32 v3, v3, 0, 16
	s_delay_alu instid0(VALU_DEP_3) | instskip(NEXT) | instid1(VALU_DEP_3)
	v_add_f32_e32 v7, -0.5, v7
	v_or_b32_e32 v5, 0x70000000, v5
	s_delay_alu instid0(VALU_DEP_1) | instskip(SKIP_1) | instid1(VALU_DEP_2)
	v_mul_f32_e32 v5, 0x7800000, v5
	v_cmp_gt_u32_e32 vcc_lo, 0x8000000, v4
	v_cndmask_b32_e32 v4, v5, v7, vcc_lo
	s_delay_alu instid0(VALU_DEP_1) | instskip(NEXT) | instid1(VALU_DEP_1)
	v_and_or_b32 v3, 0x80000000, v3, v4
	v_cvt_u32_f32_e32 v3, v3
.LBB347_308:
	s_mov_b32 s24, 0
	s_mov_b32 s23, -1
.LBB347_309:
	s_and_not1_b32 vcc_lo, exec_lo, s24
	s_cbranch_vccnz .LBB347_322
; %bb.310:
	s_cmp_gt_i32 s18, 14
	s_cbranch_scc0 .LBB347_313
; %bb.311:
	s_cmp_eq_u32 s18, 15
	s_cbranch_scc0 .LBB347_316
; %bb.312:
	s_wait_loadcnt 0x0
	global_load_u16 v3, v[0:1], off
	s_mov_b32 s23, -1
	s_mov_b32 s19, 0
	s_wait_loadcnt 0x0
	v_lshlrev_b32_e32 v3, 16, v3
	s_delay_alu instid0(VALU_DEP_1)
	v_cvt_u32_f32_e32 v3, v3
	s_branch .LBB347_317
.LBB347_313:
	s_mov_b32 s24, -1
                                        ; implicit-def: $vgpr3
	s_branch .LBB347_318
.LBB347_314:
	s_and_not1_saveexec_b32 s23, s23
	s_cbranch_execz .LBB347_295
.LBB347_315:
	v_cmp_ne_u16_e32 vcc_lo, 0, v4
	s_and_not1_b32 s24, s24, exec_lo
	s_and_b32 s25, vcc_lo, exec_lo
	s_delay_alu instid0(SALU_CYCLE_1)
	s_or_b32 s24, s24, s25
	s_or_b32 exec_lo, exec_lo, s23
	v_mov_b32_e32 v3, 0
	s_and_saveexec_b32 s23, s24
	s_cbranch_execnz .LBB347_296
	s_branch .LBB347_297
.LBB347_316:
	s_mov_b32 s19, -1
                                        ; implicit-def: $vgpr3
.LBB347_317:
	s_mov_b32 s24, 0
.LBB347_318:
	s_delay_alu instid0(SALU_CYCLE_1)
	s_and_b32 vcc_lo, exec_lo, s24
	s_cbranch_vccz .LBB347_322
; %bb.319:
	s_cmp_eq_u32 s18, 11
	s_cbranch_scc0 .LBB347_321
; %bb.320:
	s_wait_loadcnt 0x0
	global_load_u8 v3, v[0:1], off
	s_mov_b32 s19, 0
	s_mov_b32 s23, -1
	s_wait_loadcnt 0x0
	v_cmp_ne_u16_e32 vcc_lo, 0, v3
	v_cndmask_b32_e64 v3, 0, 1, vcc_lo
	s_branch .LBB347_322
.LBB347_321:
	s_mov_b32 s19, -1
                                        ; implicit-def: $vgpr3
.LBB347_322:
	s_branch .LBB347_20
.LBB347_323:
	s_and_b32 s0, 0xffff, s0
	s_delay_alu instid0(SALU_CYCLE_1)
	s_cmp_lt_i32 s0, 5
	s_cbranch_scc1 .LBB347_328
; %bb.324:
	s_cmp_lt_i32 s0, 8
	s_cbranch_scc1 .LBB347_329
; %bb.325:
	;; [unrolled: 3-line block ×3, first 2 shown]
	s_cmp_gt_i32 s0, 9
	s_cbranch_scc0 .LBB347_331
; %bb.327:
	global_load_b64 v[4:5], v[0:1], off
	s_mov_b32 s18, 0
	s_wait_loadcnt 0x0
	v_cvt_u32_f64_e32 v3, v[4:5]
	s_branch .LBB347_332
.LBB347_328:
	s_mov_b32 s18, -1
                                        ; implicit-def: $vgpr3
	s_branch .LBB347_350
.LBB347_329:
	s_mov_b32 s18, -1
                                        ; implicit-def: $vgpr3
	s_branch .LBB347_338
.LBB347_330:
	s_mov_b32 s18, -1
                                        ; implicit-def: $vgpr3
	s_branch .LBB347_335
.LBB347_331:
	s_mov_b32 s18, -1
                                        ; implicit-def: $vgpr3
.LBB347_332:
	s_delay_alu instid0(SALU_CYCLE_1)
	s_and_not1_b32 vcc_lo, exec_lo, s18
	s_cbranch_vccnz .LBB347_334
; %bb.333:
	s_wait_loadcnt 0x0
	global_load_b32 v3, v[0:1], off
	s_wait_loadcnt 0x0
	v_cvt_u32_f32_e32 v3, v3
.LBB347_334:
	s_mov_b32 s18, 0
.LBB347_335:
	s_delay_alu instid0(SALU_CYCLE_1)
	s_and_not1_b32 vcc_lo, exec_lo, s18
	s_cbranch_vccnz .LBB347_337
; %bb.336:
	s_wait_loadcnt 0x0
	global_load_b32 v3, v[0:1], off
	s_wait_loadcnt 0x0
	v_cvt_f32_f16_e32 v3, v3
	s_delay_alu instid0(VALU_DEP_1)
	v_cvt_u32_f32_e32 v3, v3
.LBB347_337:
	s_mov_b32 s18, 0
.LBB347_338:
	s_delay_alu instid0(SALU_CYCLE_1)
	s_and_not1_b32 vcc_lo, exec_lo, s18
	s_cbranch_vccnz .LBB347_349
; %bb.339:
	s_cmp_lt_i32 s0, 6
	s_cbranch_scc1 .LBB347_342
; %bb.340:
	s_cmp_gt_i32 s0, 6
	s_cbranch_scc0 .LBB347_343
; %bb.341:
	global_load_b64 v[4:5], v[0:1], off
	s_mov_b32 s18, 0
	s_wait_loadcnt 0x0
	v_cvt_u32_f64_e32 v3, v[4:5]
	s_branch .LBB347_344
.LBB347_342:
	s_mov_b32 s18, -1
                                        ; implicit-def: $vgpr3
	s_branch .LBB347_347
.LBB347_343:
	s_mov_b32 s18, -1
                                        ; implicit-def: $vgpr3
.LBB347_344:
	s_delay_alu instid0(SALU_CYCLE_1)
	s_and_not1_b32 vcc_lo, exec_lo, s18
	s_cbranch_vccnz .LBB347_346
; %bb.345:
	s_wait_loadcnt 0x0
	global_load_b32 v3, v[0:1], off
	s_wait_loadcnt 0x0
	v_cvt_u32_f32_e32 v3, v3
.LBB347_346:
	s_mov_b32 s18, 0
.LBB347_347:
	s_delay_alu instid0(SALU_CYCLE_1)
	s_and_not1_b32 vcc_lo, exec_lo, s18
	s_cbranch_vccnz .LBB347_349
; %bb.348:
	s_wait_loadcnt 0x0
	global_load_u16 v3, v[0:1], off
	s_wait_loadcnt 0x0
	v_cvt_f32_f16_e32 v3, v3
	s_delay_alu instid0(VALU_DEP_1)
	v_cvt_u32_f32_e32 v3, v3
.LBB347_349:
	s_mov_b32 s18, 0
.LBB347_350:
	s_delay_alu instid0(SALU_CYCLE_1)
	s_and_not1_b32 vcc_lo, exec_lo, s18
	s_cbranch_vccnz .LBB347_370
; %bb.351:
	s_cmp_lt_i32 s0, 2
	s_cbranch_scc1 .LBB347_355
; %bb.352:
	s_cmp_lt_i32 s0, 3
	s_cbranch_scc1 .LBB347_356
; %bb.353:
	s_cmp_gt_i32 s0, 3
	s_cbranch_scc0 .LBB347_357
; %bb.354:
	s_wait_loadcnt 0x0
	global_load_b32 v3, v[0:1], off
	s_mov_b32 s18, 0
	s_branch .LBB347_358
.LBB347_355:
	s_mov_b32 s18, -1
                                        ; implicit-def: $vgpr3
	s_branch .LBB347_364
.LBB347_356:
	s_mov_b32 s18, -1
                                        ; implicit-def: $vgpr3
	s_branch .LBB347_361
.LBB347_357:
	s_mov_b32 s18, -1
                                        ; implicit-def: $vgpr3
.LBB347_358:
	s_delay_alu instid0(SALU_CYCLE_1)
	s_and_not1_b32 vcc_lo, exec_lo, s18
	s_cbranch_vccnz .LBB347_360
; %bb.359:
	s_wait_loadcnt 0x0
	global_load_b32 v3, v[0:1], off
.LBB347_360:
	s_mov_b32 s18, 0
.LBB347_361:
	s_delay_alu instid0(SALU_CYCLE_1)
	s_and_not1_b32 vcc_lo, exec_lo, s18
	s_cbranch_vccnz .LBB347_363
; %bb.362:
	s_wait_loadcnt 0x0
	global_load_i16 v3, v[0:1], off
.LBB347_363:
	s_mov_b32 s18, 0
.LBB347_364:
	s_delay_alu instid0(SALU_CYCLE_1)
	s_and_not1_b32 vcc_lo, exec_lo, s18
	s_cbranch_vccnz .LBB347_370
; %bb.365:
	s_cmp_gt_i32 s0, 0
	s_mov_b32 s0, 0
	s_cbranch_scc0 .LBB347_367
; %bb.366:
	s_wait_loadcnt 0x0
	global_load_i8 v3, v[0:1], off
	s_branch .LBB347_368
.LBB347_367:
	s_mov_b32 s0, -1
                                        ; implicit-def: $vgpr3
.LBB347_368:
	s_delay_alu instid0(SALU_CYCLE_1)
	s_and_not1_b32 vcc_lo, exec_lo, s0
	s_cbranch_vccnz .LBB347_370
; %bb.369:
	s_wait_loadcnt 0x0
	global_load_u8 v3, v[0:1], off
.LBB347_370:
	s_branch .LBB347_21
.LBB347_371:
	s_mov_b32 s0, 0
.LBB347_372:
	s_mov_b32 s23, 0
                                        ; implicit-def: $vgpr6
.LBB347_373:
	s_and_b32 s18, s0, exec_lo
	s_and_b32 s19, s19, exec_lo
	s_and_b32 s20, s20, exec_lo
	s_or_not1_b32 s25, s23, exec_lo
.LBB347_374:
	s_wait_xcnt 0x0
	s_or_b32 exec_lo, exec_lo, s21
	s_mov_b32 s24, 0
	s_mov_b32 s23, 0
                                        ; implicit-def: $sgpr0
                                        ; implicit-def: $vgpr0_vgpr1
                                        ; implicit-def: $vgpr2
	s_and_saveexec_b32 s21, s25
	s_cbranch_execz .LBB347_383
; %bb.375:
	s_mov_b32 s27, -1
	s_mov_b32 s22, s20
	s_mov_b32 s24, s19
	s_mov_b32 s23, s18
	s_mov_b32 s25, exec_lo
	v_cmpx_gt_i32_e64 s17, v6
	s_cbranch_execz .LBB347_759
; %bb.376:
	v_mul_lo_u32 v0, v6, s9
	s_and_b32 s0, s14, 0xff
	s_delay_alu instid0(SALU_CYCLE_1) | instskip(NEXT) | instid1(VALU_DEP_1)
	s_cmp_lt_i32 s0, 11
	v_ashrrev_i32_e32 v1, 31, v0
	s_delay_alu instid0(VALU_DEP_1)
	v_add_nc_u64_e32 v[0:1], s[6:7], v[0:1]
	s_cbranch_scc1 .LBB347_386
; %bb.377:
	s_and_b32 s23, 0xffff, s0
	s_delay_alu instid0(SALU_CYCLE_1)
	s_cmp_gt_i32 s23, 25
	s_cbranch_scc0 .LBB347_395
; %bb.378:
	s_cmp_gt_i32 s23, 28
	s_cbranch_scc0 .LBB347_397
; %bb.379:
	;; [unrolled: 3-line block ×4, first 2 shown]
	s_cmp_eq_u32 s23, 46
	s_mov_b32 s26, 0
	s_cbranch_scc0 .LBB347_405
; %bb.382:
	s_wait_loadcnt 0x0
	global_load_b32 v2, v[0:1], off
	s_mov_b32 s24, -1
	s_mov_b32 s22, 0
	s_wait_loadcnt 0x0
	v_lshlrev_b32_e32 v2, 16, v2
	s_delay_alu instid0(VALU_DEP_1)
	v_cvt_u32_f32_e32 v2, v2
	s_branch .LBB347_407
.LBB347_383:
	s_or_b32 exec_lo, exec_lo, s21
	s_mov_b32 s17, 0
	s_and_saveexec_b32 s21, s20
	s_cbranch_execnz .LBB347_1223
.LBB347_384:
	s_or_b32 exec_lo, exec_lo, s21
	s_and_saveexec_b32 s20, s22
	s_delay_alu instid0(SALU_CYCLE_1)
	s_xor_b32 s20, exec_lo, s20
	s_cbranch_execz .LBB347_1224
.LBB347_385:
	s_wait_loadcnt 0x0
	global_load_u8 v2, v[0:1], off
	s_or_b32 s23, s23, exec_lo
	s_wait_loadcnt 0x0
	v_cmp_ne_u16_e32 vcc_lo, 0, v2
	v_cndmask_b32_e64 v2, 0, 1, vcc_lo
	s_wait_xcnt 0x0
	s_or_b32 exec_lo, exec_lo, s20
	s_and_saveexec_b32 s20, s24
	s_cbranch_execz .LBB347_1270
	s_branch .LBB347_1225
.LBB347_386:
	s_mov_b32 s24, 0
	s_mov_b32 s22, s20
                                        ; implicit-def: $vgpr2
	s_cbranch_execnz .LBB347_469
.LBB347_387:
	s_and_not1_b32 vcc_lo, exec_lo, s24
	s_cbranch_vccnz .LBB347_517
.LBB347_388:
	s_wait_xcnt 0x0
	v_mul_lo_u32 v0, v6, s10
	s_and_b32 s0, s1, 0xff
	s_delay_alu instid0(SALU_CYCLE_1) | instskip(NEXT) | instid1(VALU_DEP_1)
	s_cmp_lt_i32 s0, 11
	v_ashrrev_i32_e32 v1, 31, v0
	s_delay_alu instid0(VALU_DEP_1)
	v_add_nc_u64_e32 v[0:1], s[2:3], v[0:1]
	s_cbranch_scc1 .LBB347_396
; %bb.389:
	s_and_b32 s23, 0xffff, s0
	s_delay_alu instid0(SALU_CYCLE_1)
	s_cmp_gt_i32 s23, 25
	s_cbranch_scc0 .LBB347_398
; %bb.390:
	s_cmp_gt_i32 s23, 28
	s_cbranch_scc0 .LBB347_400
; %bb.391:
	;; [unrolled: 3-line block ×4, first 2 shown]
	s_cmp_eq_u32 s23, 46
	s_mov_b32 s27, 0
	s_cbranch_scc0 .LBB347_520
; %bb.394:
	s_wait_loadcnt 0x0
	global_load_b32 v3, v[0:1], off
	s_mov_b32 s26, -1
	s_mov_b32 s24, 0
	s_wait_loadcnt 0x0
	v_lshlrev_b32_e32 v3, 16, v3
	s_delay_alu instid0(VALU_DEP_1)
	v_cvt_u32_f32_e32 v3, v3
	s_branch .LBB347_522
.LBB347_395:
	s_mov_b32 s26, -1
	s_mov_b32 s24, 0
	s_mov_b32 s22, s20
                                        ; implicit-def: $vgpr2
	s_branch .LBB347_435
.LBB347_396:
	s_mov_b32 s23, -1
	s_mov_b32 s26, 0
	s_mov_b32 s24, s19
                                        ; implicit-def: $vgpr3
	s_branch .LBB347_583
.LBB347_397:
	s_mov_b32 s26, -1
	s_mov_b32 s24, 0
	s_mov_b32 s22, s20
                                        ; implicit-def: $vgpr2
	s_branch .LBB347_418
.LBB347_398:
	s_mov_b32 s27, -1
	s_mov_b32 s26, 0
	s_mov_b32 s24, s19
                                        ; implicit-def: $vgpr3
	s_branch .LBB347_549
.LBB347_399:
	s_mov_b32 s26, -1
	s_mov_b32 s24, 0
	s_mov_b32 s22, s20
                                        ; implicit-def: $vgpr2
	s_branch .LBB347_413
.LBB347_400:
	s_mov_b32 s27, -1
	s_mov_b32 s26, 0
	s_mov_b32 s24, s19
                                        ; implicit-def: $vgpr3
	s_branch .LBB347_532
.LBB347_401:
	s_mov_b32 s26, -1
	s_mov_b32 s24, 0
	s_mov_b32 s22, s20
	s_branch .LBB347_406
.LBB347_402:
	s_mov_b32 s27, -1
	s_mov_b32 s26, 0
	s_mov_b32 s24, s19
                                        ; implicit-def: $vgpr3
	s_branch .LBB347_527
.LBB347_403:
	s_and_not1_saveexec_b32 s27, s27
	s_cbranch_execz .LBB347_176
.LBB347_404:
	v_add_f32_e32 v2, 0x46000000, v3
	s_and_not1_b32 s26, s26, exec_lo
	s_delay_alu instid0(VALU_DEP_1) | instskip(NEXT) | instid1(VALU_DEP_1)
	v_and_b32_e32 v2, 0xff, v2
	v_cmp_ne_u32_e32 vcc_lo, 0, v2
	s_and_b32 s28, vcc_lo, exec_lo
	s_delay_alu instid0(SALU_CYCLE_1)
	s_or_b32 s26, s26, s28
	s_or_b32 exec_lo, exec_lo, s27
	v_mov_b32_e32 v4, 0
	s_and_saveexec_b32 s27, s26
	s_cbranch_execnz .LBB347_177
	s_branch .LBB347_178
.LBB347_405:
	s_mov_b32 s22, -1
	s_mov_b32 s24, 0
.LBB347_406:
                                        ; implicit-def: $vgpr2
.LBB347_407:
	s_and_b32 vcc_lo, exec_lo, s26
	s_cbranch_vccz .LBB347_412
; %bb.408:
	s_cmp_eq_u32 s23, 44
	s_cbranch_scc0 .LBB347_411
; %bb.409:
	s_wait_loadcnt 0x0
	global_load_u8 v2, v[0:1], off
	s_mov_b32 s22, 0
	s_mov_b32 s24, -1
	s_wait_loadcnt 0x0
	v_lshlrev_b32_e32 v3, 23, v2
	v_cmp_ne_u32_e32 vcc_lo, 0, v2
	s_delay_alu instid0(VALU_DEP_2) | instskip(NEXT) | instid1(VALU_DEP_1)
	v_cvt_u32_f32_e32 v3, v3
	v_cndmask_b32_e32 v2, 0, v3, vcc_lo
	s_branch .LBB347_412
.LBB347_410:
	s_mov_b32 s27, -1
	s_mov_b32 s26, 0
	s_mov_b32 s24, s19
	s_branch .LBB347_521
.LBB347_411:
	s_mov_b32 s22, -1
                                        ; implicit-def: $vgpr2
.LBB347_412:
	s_mov_b32 s26, 0
.LBB347_413:
	s_delay_alu instid0(SALU_CYCLE_1)
	s_and_b32 vcc_lo, exec_lo, s26
	s_cbranch_vccz .LBB347_417
; %bb.414:
	s_cmp_eq_u32 s23, 29
	s_cbranch_scc0 .LBB347_416
; %bb.415:
	s_wait_loadcnt 0x0
	global_load_b32 v2, v[0:1], off
	s_mov_b32 s24, -1
	s_mov_b32 s22, 0
	s_branch .LBB347_417
.LBB347_416:
	s_mov_b32 s22, -1
                                        ; implicit-def: $vgpr2
.LBB347_417:
	s_mov_b32 s26, 0
.LBB347_418:
	s_delay_alu instid0(SALU_CYCLE_1)
	s_and_b32 vcc_lo, exec_lo, s26
	s_cbranch_vccz .LBB347_434
; %bb.419:
	s_cmp_lt_i32 s23, 27
	s_cbranch_scc1 .LBB347_422
; %bb.420:
	s_cmp_gt_i32 s23, 27
	s_cbranch_scc0 .LBB347_423
; %bb.421:
	s_wait_loadcnt 0x0
	global_load_b32 v2, v[0:1], off
	s_mov_b32 s24, 0
	s_branch .LBB347_424
.LBB347_422:
	s_mov_b32 s24, -1
                                        ; implicit-def: $vgpr2
	s_branch .LBB347_427
.LBB347_423:
	s_mov_b32 s24, -1
                                        ; implicit-def: $vgpr2
.LBB347_424:
	s_delay_alu instid0(SALU_CYCLE_1)
	s_and_not1_b32 vcc_lo, exec_lo, s24
	s_cbranch_vccnz .LBB347_426
; %bb.425:
	s_wait_loadcnt 0x0
	global_load_u16 v2, v[0:1], off
.LBB347_426:
	s_mov_b32 s24, 0
.LBB347_427:
	s_delay_alu instid0(SALU_CYCLE_1)
	s_and_not1_b32 vcc_lo, exec_lo, s24
	s_cbranch_vccnz .LBB347_433
; %bb.428:
	s_wait_loadcnt 0x0
	global_load_u8 v3, v[0:1], off
	s_mov_b32 s26, 0
	s_mov_b32 s24, exec_lo
	s_wait_loadcnt 0x0
	v_cmpx_lt_i16_e32 0x7f, v3
	s_xor_b32 s24, exec_lo, s24
	s_cbranch_execz .LBB347_445
; %bb.429:
	v_cmp_ne_u16_e32 vcc_lo, 0x80, v3
	s_and_b32 s26, vcc_lo, exec_lo
	s_and_not1_saveexec_b32 s24, s24
	s_cbranch_execnz .LBB347_446
.LBB347_430:
	s_or_b32 exec_lo, exec_lo, s24
	v_mov_b32_e32 v2, 0
	s_and_saveexec_b32 s24, s26
	s_cbranch_execz .LBB347_432
.LBB347_431:
	v_and_b32_e32 v2, 0xffff, v3
	s_delay_alu instid0(VALU_DEP_1) | instskip(SKIP_1) | instid1(VALU_DEP_2)
	v_and_b32_e32 v4, 7, v2
	v_bfe_u32 v8, v2, 3, 4
	v_clz_i32_u32_e32 v5, v4
	s_delay_alu instid0(VALU_DEP_2) | instskip(NEXT) | instid1(VALU_DEP_2)
	v_cmp_eq_u32_e32 vcc_lo, 0, v8
	v_min_u32_e32 v5, 32, v5
	s_delay_alu instid0(VALU_DEP_1) | instskip(NEXT) | instid1(VALU_DEP_1)
	v_subrev_nc_u32_e32 v7, 28, v5
	v_dual_lshlrev_b32 v2, v7, v2 :: v_dual_sub_nc_u32 v5, 29, v5
	s_delay_alu instid0(VALU_DEP_1) | instskip(NEXT) | instid1(VALU_DEP_2)
	v_dual_lshlrev_b32 v3, 24, v3 :: v_dual_bitop2_b32 v2, 7, v2 bitop3:0x40
	v_cndmask_b32_e32 v5, v8, v5, vcc_lo
	s_delay_alu instid0(VALU_DEP_2) | instskip(NEXT) | instid1(VALU_DEP_3)
	v_cndmask_b32_e32 v2, v4, v2, vcc_lo
	v_and_b32_e32 v3, 0x80000000, v3
	s_delay_alu instid0(VALU_DEP_3) | instskip(NEXT) | instid1(VALU_DEP_3)
	v_lshl_add_u32 v4, v5, 23, 0x3b800000
	v_lshlrev_b32_e32 v2, 20, v2
	s_delay_alu instid0(VALU_DEP_1) | instskip(NEXT) | instid1(VALU_DEP_1)
	v_or3_b32 v2, v3, v4, v2
	v_cvt_u32_f32_e32 v2, v2
.LBB347_432:
	s_or_b32 exec_lo, exec_lo, s24
.LBB347_433:
	s_mov_b32 s24, -1
.LBB347_434:
	s_mov_b32 s26, 0
.LBB347_435:
	s_delay_alu instid0(SALU_CYCLE_1)
	s_and_b32 vcc_lo, exec_lo, s26
	s_cbranch_vccz .LBB347_468
; %bb.436:
	s_cmp_gt_i32 s23, 22
	s_cbranch_scc0 .LBB347_444
; %bb.437:
	s_cmp_lt_i32 s23, 24
	s_cbranch_scc1 .LBB347_447
; %bb.438:
	s_cmp_gt_i32 s23, 24
	s_cbranch_scc0 .LBB347_448
; %bb.439:
	s_wait_loadcnt 0x0
	global_load_u8 v3, v[0:1], off
	s_mov_b32 s26, 0
	s_mov_b32 s24, exec_lo
	s_wait_loadcnt 0x0
	v_cmpx_lt_i16_e32 0x7f, v3
	s_xor_b32 s24, exec_lo, s24
	s_cbranch_execz .LBB347_460
; %bb.440:
	v_cmp_ne_u16_e32 vcc_lo, 0x80, v3
	s_and_b32 s26, vcc_lo, exec_lo
	s_and_not1_saveexec_b32 s24, s24
	s_cbranch_execnz .LBB347_461
.LBB347_441:
	s_or_b32 exec_lo, exec_lo, s24
	v_mov_b32_e32 v2, 0
	s_and_saveexec_b32 s24, s26
	s_cbranch_execz .LBB347_443
.LBB347_442:
	v_and_b32_e32 v2, 0xffff, v3
	s_delay_alu instid0(VALU_DEP_1) | instskip(SKIP_1) | instid1(VALU_DEP_2)
	v_and_b32_e32 v4, 3, v2
	v_bfe_u32 v8, v2, 2, 5
	v_clz_i32_u32_e32 v5, v4
	s_delay_alu instid0(VALU_DEP_2) | instskip(NEXT) | instid1(VALU_DEP_2)
	v_cmp_eq_u32_e32 vcc_lo, 0, v8
	v_min_u32_e32 v5, 32, v5
	s_delay_alu instid0(VALU_DEP_1) | instskip(NEXT) | instid1(VALU_DEP_1)
	v_subrev_nc_u32_e32 v7, 29, v5
	v_dual_lshlrev_b32 v2, v7, v2 :: v_dual_sub_nc_u32 v5, 30, v5
	s_delay_alu instid0(VALU_DEP_1) | instskip(NEXT) | instid1(VALU_DEP_2)
	v_dual_lshlrev_b32 v3, 24, v3 :: v_dual_bitop2_b32 v2, 3, v2 bitop3:0x40
	v_cndmask_b32_e32 v5, v8, v5, vcc_lo
	s_delay_alu instid0(VALU_DEP_2) | instskip(NEXT) | instid1(VALU_DEP_3)
	v_cndmask_b32_e32 v2, v4, v2, vcc_lo
	v_and_b32_e32 v3, 0x80000000, v3
	s_delay_alu instid0(VALU_DEP_3) | instskip(NEXT) | instid1(VALU_DEP_3)
	v_lshl_add_u32 v4, v5, 23, 0x37800000
	v_lshlrev_b32_e32 v2, 21, v2
	s_delay_alu instid0(VALU_DEP_1) | instskip(NEXT) | instid1(VALU_DEP_1)
	v_or3_b32 v2, v3, v4, v2
	v_cvt_u32_f32_e32 v2, v2
.LBB347_443:
	s_or_b32 exec_lo, exec_lo, s24
	s_mov_b32 s24, 0
	s_branch .LBB347_449
.LBB347_444:
	s_mov_b32 s26, -1
                                        ; implicit-def: $vgpr2
	s_branch .LBB347_455
.LBB347_445:
	s_and_not1_saveexec_b32 s24, s24
	s_cbranch_execz .LBB347_430
.LBB347_446:
	v_cmp_ne_u16_e32 vcc_lo, 0, v3
	s_and_not1_b32 s26, s26, exec_lo
	s_and_b32 s27, vcc_lo, exec_lo
	s_delay_alu instid0(SALU_CYCLE_1)
	s_or_b32 s26, s26, s27
	s_or_b32 exec_lo, exec_lo, s24
	v_mov_b32_e32 v2, 0
	s_and_saveexec_b32 s24, s26
	s_cbranch_execnz .LBB347_431
	s_branch .LBB347_432
.LBB347_447:
	s_mov_b32 s24, -1
                                        ; implicit-def: $vgpr2
	s_branch .LBB347_452
.LBB347_448:
	s_mov_b32 s24, -1
                                        ; implicit-def: $vgpr2
.LBB347_449:
	s_delay_alu instid0(SALU_CYCLE_1)
	s_and_b32 vcc_lo, exec_lo, s24
	s_cbranch_vccz .LBB347_451
; %bb.450:
	s_wait_loadcnt 0x0
	global_load_u8 v2, v[0:1], off
	s_wait_loadcnt 0x0
	v_lshlrev_b32_e32 v2, 24, v2
	s_delay_alu instid0(VALU_DEP_1) | instskip(NEXT) | instid1(VALU_DEP_1)
	v_and_b32_e32 v3, 0x7f000000, v2
	v_clz_i32_u32_e32 v4, v3
	v_add_nc_u32_e32 v7, 0x1000000, v3
	v_cmp_ne_u32_e32 vcc_lo, 0, v3
	s_delay_alu instid0(VALU_DEP_3) | instskip(NEXT) | instid1(VALU_DEP_1)
	v_min_u32_e32 v4, 32, v4
	v_sub_nc_u32_e64 v4, v4, 4 clamp
	s_delay_alu instid0(VALU_DEP_1) | instskip(NEXT) | instid1(VALU_DEP_1)
	v_dual_lshlrev_b32 v5, v4, v3 :: v_dual_lshlrev_b32 v4, 23, v4
	v_lshrrev_b32_e32 v5, 4, v5
	s_delay_alu instid0(VALU_DEP_1) | instskip(NEXT) | instid1(VALU_DEP_1)
	v_dual_sub_nc_u32 v4, v5, v4 :: v_dual_ashrrev_i32 v5, 8, v7
	v_add_nc_u32_e32 v4, 0x3c000000, v4
	s_delay_alu instid0(VALU_DEP_1) | instskip(NEXT) | instid1(VALU_DEP_1)
	v_and_or_b32 v4, 0x7f800000, v5, v4
	v_cndmask_b32_e32 v3, 0, v4, vcc_lo
	s_delay_alu instid0(VALU_DEP_1) | instskip(NEXT) | instid1(VALU_DEP_1)
	v_and_or_b32 v2, 0x80000000, v2, v3
	v_cvt_u32_f32_e32 v2, v2
.LBB347_451:
	s_mov_b32 s24, 0
.LBB347_452:
	s_delay_alu instid0(SALU_CYCLE_1)
	s_and_not1_b32 vcc_lo, exec_lo, s24
	s_cbranch_vccnz .LBB347_454
; %bb.453:
	s_wait_loadcnt 0x0
	global_load_u8 v2, v[0:1], off
	s_wait_loadcnt 0x0
	v_lshlrev_b32_e32 v3, 25, v2
	v_lshlrev_b16 v2, 8, v2
	s_delay_alu instid0(VALU_DEP_1) | instskip(SKIP_1) | instid1(VALU_DEP_2)
	v_and_or_b32 v5, 0x7f00, v2, 0.5
	v_bfe_i32 v2, v2, 0, 16
	v_dual_add_f32 v5, -0.5, v5 :: v_dual_lshrrev_b32 v4, 4, v3
	v_cmp_gt_u32_e32 vcc_lo, 0x8000000, v3
	s_delay_alu instid0(VALU_DEP_2) | instskip(NEXT) | instid1(VALU_DEP_1)
	v_or_b32_e32 v4, 0x70000000, v4
	v_mul_f32_e32 v4, 0x7800000, v4
	s_delay_alu instid0(VALU_DEP_1) | instskip(NEXT) | instid1(VALU_DEP_1)
	v_cndmask_b32_e32 v3, v4, v5, vcc_lo
	v_and_or_b32 v2, 0x80000000, v2, v3
	s_delay_alu instid0(VALU_DEP_1)
	v_cvt_u32_f32_e32 v2, v2
.LBB347_454:
	s_mov_b32 s26, 0
	s_mov_b32 s24, -1
.LBB347_455:
	s_and_not1_b32 vcc_lo, exec_lo, s26
	s_cbranch_vccnz .LBB347_468
; %bb.456:
	s_cmp_gt_i32 s23, 14
	s_cbranch_scc0 .LBB347_459
; %bb.457:
	s_cmp_eq_u32 s23, 15
	s_cbranch_scc0 .LBB347_462
; %bb.458:
	s_wait_loadcnt 0x0
	global_load_u16 v2, v[0:1], off
	s_mov_b32 s24, -1
	s_mov_b32 s22, 0
	s_wait_loadcnt 0x0
	v_lshlrev_b32_e32 v2, 16, v2
	s_delay_alu instid0(VALU_DEP_1)
	v_cvt_u32_f32_e32 v2, v2
	s_branch .LBB347_463
.LBB347_459:
	s_mov_b32 s26, -1
                                        ; implicit-def: $vgpr2
	s_branch .LBB347_464
.LBB347_460:
	s_and_not1_saveexec_b32 s24, s24
	s_cbranch_execz .LBB347_441
.LBB347_461:
	v_cmp_ne_u16_e32 vcc_lo, 0, v3
	s_and_not1_b32 s26, s26, exec_lo
	s_and_b32 s27, vcc_lo, exec_lo
	s_delay_alu instid0(SALU_CYCLE_1)
	s_or_b32 s26, s26, s27
	s_or_b32 exec_lo, exec_lo, s24
	v_mov_b32_e32 v2, 0
	s_and_saveexec_b32 s24, s26
	s_cbranch_execnz .LBB347_442
	s_branch .LBB347_443
.LBB347_462:
	s_mov_b32 s22, -1
                                        ; implicit-def: $vgpr2
.LBB347_463:
	s_mov_b32 s26, 0
.LBB347_464:
	s_delay_alu instid0(SALU_CYCLE_1)
	s_and_b32 vcc_lo, exec_lo, s26
	s_cbranch_vccz .LBB347_468
; %bb.465:
	s_cmp_eq_u32 s23, 11
	s_cbranch_scc0 .LBB347_467
; %bb.466:
	s_wait_loadcnt 0x0
	global_load_u8 v2, v[0:1], off
	s_mov_b32 s22, 0
	s_mov_b32 s24, -1
	s_wait_loadcnt 0x0
	v_cmp_ne_u16_e32 vcc_lo, 0, v2
	v_cndmask_b32_e64 v2, 0, 1, vcc_lo
	s_branch .LBB347_468
.LBB347_467:
	s_mov_b32 s22, -1
                                        ; implicit-def: $vgpr2
.LBB347_468:
	s_branch .LBB347_387
.LBB347_469:
	s_and_b32 s0, 0xffff, s0
	s_delay_alu instid0(SALU_CYCLE_1)
	s_cmp_lt_i32 s0, 5
	s_cbranch_scc1 .LBB347_474
; %bb.470:
	s_cmp_lt_i32 s0, 8
	s_cbranch_scc1 .LBB347_475
; %bb.471:
	;; [unrolled: 3-line block ×3, first 2 shown]
	s_cmp_gt_i32 s0, 9
	s_cbranch_scc0 .LBB347_477
; %bb.473:
	s_wait_loadcnt 0x0
	global_load_b64 v[2:3], v[0:1], off
	s_mov_b32 s23, 0
	s_wait_loadcnt 0x0
	v_cvt_u32_f64_e32 v2, v[2:3]
	s_branch .LBB347_478
.LBB347_474:
	s_mov_b32 s23, -1
                                        ; implicit-def: $vgpr2
	s_branch .LBB347_496
.LBB347_475:
	s_mov_b32 s23, -1
                                        ; implicit-def: $vgpr2
	s_branch .LBB347_484
.LBB347_476:
	s_mov_b32 s23, -1
                                        ; implicit-def: $vgpr2
	s_branch .LBB347_481
.LBB347_477:
	s_mov_b32 s23, -1
                                        ; implicit-def: $vgpr2
.LBB347_478:
	s_delay_alu instid0(SALU_CYCLE_1)
	s_and_not1_b32 vcc_lo, exec_lo, s23
	s_cbranch_vccnz .LBB347_480
; %bb.479:
	s_wait_loadcnt 0x0
	global_load_b32 v2, v[0:1], off
	s_wait_loadcnt 0x0
	v_cvt_u32_f32_e32 v2, v2
.LBB347_480:
	s_mov_b32 s23, 0
.LBB347_481:
	s_delay_alu instid0(SALU_CYCLE_1)
	s_and_not1_b32 vcc_lo, exec_lo, s23
	s_cbranch_vccnz .LBB347_483
; %bb.482:
	s_wait_loadcnt 0x0
	global_load_b32 v2, v[0:1], off
	s_wait_loadcnt 0x0
	v_cvt_f32_f16_e32 v2, v2
	s_delay_alu instid0(VALU_DEP_1)
	v_cvt_u32_f32_e32 v2, v2
.LBB347_483:
	s_mov_b32 s23, 0
.LBB347_484:
	s_delay_alu instid0(SALU_CYCLE_1)
	s_and_not1_b32 vcc_lo, exec_lo, s23
	s_cbranch_vccnz .LBB347_495
; %bb.485:
	s_cmp_lt_i32 s0, 6
	s_cbranch_scc1 .LBB347_488
; %bb.486:
	s_cmp_gt_i32 s0, 6
	s_cbranch_scc0 .LBB347_489
; %bb.487:
	s_wait_loadcnt 0x0
	global_load_b64 v[2:3], v[0:1], off
	s_mov_b32 s23, 0
	s_wait_loadcnt 0x0
	v_cvt_u32_f64_e32 v2, v[2:3]
	s_branch .LBB347_490
.LBB347_488:
	s_mov_b32 s23, -1
                                        ; implicit-def: $vgpr2
	s_branch .LBB347_493
.LBB347_489:
	s_mov_b32 s23, -1
                                        ; implicit-def: $vgpr2
.LBB347_490:
	s_delay_alu instid0(SALU_CYCLE_1)
	s_and_not1_b32 vcc_lo, exec_lo, s23
	s_cbranch_vccnz .LBB347_492
; %bb.491:
	s_wait_loadcnt 0x0
	global_load_b32 v2, v[0:1], off
	s_wait_loadcnt 0x0
	v_cvt_u32_f32_e32 v2, v2
.LBB347_492:
	s_mov_b32 s23, 0
.LBB347_493:
	s_delay_alu instid0(SALU_CYCLE_1)
	s_and_not1_b32 vcc_lo, exec_lo, s23
	s_cbranch_vccnz .LBB347_495
; %bb.494:
	s_wait_loadcnt 0x0
	global_load_u16 v2, v[0:1], off
	s_wait_loadcnt 0x0
	v_cvt_f32_f16_e32 v2, v2
	s_delay_alu instid0(VALU_DEP_1)
	v_cvt_u32_f32_e32 v2, v2
.LBB347_495:
	s_mov_b32 s23, 0
.LBB347_496:
	s_delay_alu instid0(SALU_CYCLE_1)
	s_and_not1_b32 vcc_lo, exec_lo, s23
	s_cbranch_vccnz .LBB347_516
; %bb.497:
	s_cmp_lt_i32 s0, 2
	s_cbranch_scc1 .LBB347_501
; %bb.498:
	s_cmp_lt_i32 s0, 3
	s_cbranch_scc1 .LBB347_502
; %bb.499:
	s_cmp_gt_i32 s0, 3
	s_cbranch_scc0 .LBB347_503
; %bb.500:
	s_wait_loadcnt 0x0
	global_load_b32 v2, v[0:1], off
	s_mov_b32 s23, 0
	s_branch .LBB347_504
.LBB347_501:
	s_mov_b32 s23, -1
                                        ; implicit-def: $vgpr2
	s_branch .LBB347_510
.LBB347_502:
	s_mov_b32 s23, -1
                                        ; implicit-def: $vgpr2
	s_branch .LBB347_507
.LBB347_503:
	s_mov_b32 s23, -1
                                        ; implicit-def: $vgpr2
.LBB347_504:
	s_delay_alu instid0(SALU_CYCLE_1)
	s_and_not1_b32 vcc_lo, exec_lo, s23
	s_cbranch_vccnz .LBB347_506
; %bb.505:
	s_wait_loadcnt 0x0
	global_load_b32 v2, v[0:1], off
.LBB347_506:
	s_mov_b32 s23, 0
.LBB347_507:
	s_delay_alu instid0(SALU_CYCLE_1)
	s_and_not1_b32 vcc_lo, exec_lo, s23
	s_cbranch_vccnz .LBB347_509
; %bb.508:
	s_wait_loadcnt 0x0
	global_load_i16 v2, v[0:1], off
.LBB347_509:
	s_mov_b32 s23, 0
.LBB347_510:
	s_delay_alu instid0(SALU_CYCLE_1)
	s_and_not1_b32 vcc_lo, exec_lo, s23
	s_cbranch_vccnz .LBB347_516
; %bb.511:
	s_cmp_gt_i32 s0, 0
	s_mov_b32 s0, 0
	s_cbranch_scc0 .LBB347_513
; %bb.512:
	s_wait_loadcnt 0x0
	global_load_i8 v2, v[0:1], off
	s_branch .LBB347_514
.LBB347_513:
	s_mov_b32 s0, -1
                                        ; implicit-def: $vgpr2
.LBB347_514:
	s_delay_alu instid0(SALU_CYCLE_1)
	s_and_not1_b32 vcc_lo, exec_lo, s0
	s_cbranch_vccnz .LBB347_516
; %bb.515:
	s_wait_loadcnt 0x0
	global_load_u8 v2, v[0:1], off
.LBB347_516:
	s_branch .LBB347_388
.LBB347_517:
	s_mov_b32 s26, 0
	s_mov_b32 s0, s18
	;; [unrolled: 1-line block ×3, first 2 shown]
	s_branch .LBB347_757
.LBB347_518:
	s_and_not1_saveexec_b32 s27, s27
	s_cbranch_execz .LBB347_189
.LBB347_519:
	v_add_f32_e32 v2, 0x42800000, v3
	s_and_not1_b32 s26, s26, exec_lo
	s_delay_alu instid0(VALU_DEP_1) | instskip(NEXT) | instid1(VALU_DEP_1)
	v_and_b32_e32 v2, 0xff, v2
	v_cmp_ne_u32_e32 vcc_lo, 0, v2
	s_and_b32 s28, vcc_lo, exec_lo
	s_delay_alu instid0(SALU_CYCLE_1)
	s_or_b32 s26, s26, s28
	s_or_b32 exec_lo, exec_lo, s27
	v_mov_b32_e32 v4, 0
	s_and_saveexec_b32 s27, s26
	s_cbranch_execnz .LBB347_190
	s_branch .LBB347_191
.LBB347_520:
	s_mov_b32 s24, -1
	s_mov_b32 s26, 0
.LBB347_521:
                                        ; implicit-def: $vgpr3
.LBB347_522:
	s_and_b32 vcc_lo, exec_lo, s27
	s_cbranch_vccz .LBB347_526
; %bb.523:
	s_cmp_eq_u32 s23, 44
	s_cbranch_scc0 .LBB347_525
; %bb.524:
	s_wait_loadcnt 0x0
	global_load_u8 v3, v[0:1], off
	s_mov_b32 s24, 0
	s_mov_b32 s26, -1
	s_wait_loadcnt 0x0
	v_lshlrev_b32_e32 v4, 23, v3
	v_cmp_ne_u32_e32 vcc_lo, 0, v3
	s_delay_alu instid0(VALU_DEP_2) | instskip(NEXT) | instid1(VALU_DEP_1)
	v_cvt_u32_f32_e32 v4, v4
	v_cndmask_b32_e32 v3, 0, v4, vcc_lo
	s_branch .LBB347_526
.LBB347_525:
	s_mov_b32 s24, -1
                                        ; implicit-def: $vgpr3
.LBB347_526:
	s_mov_b32 s27, 0
.LBB347_527:
	s_delay_alu instid0(SALU_CYCLE_1)
	s_and_b32 vcc_lo, exec_lo, s27
	s_cbranch_vccz .LBB347_531
; %bb.528:
	s_cmp_eq_u32 s23, 29
	s_cbranch_scc0 .LBB347_530
; %bb.529:
	s_wait_loadcnt 0x0
	global_load_b32 v3, v[0:1], off
	s_mov_b32 s26, -1
	s_mov_b32 s24, 0
	s_branch .LBB347_531
.LBB347_530:
	s_mov_b32 s24, -1
                                        ; implicit-def: $vgpr3
.LBB347_531:
	s_mov_b32 s27, 0
.LBB347_532:
	s_delay_alu instid0(SALU_CYCLE_1)
	s_and_b32 vcc_lo, exec_lo, s27
	s_cbranch_vccz .LBB347_548
; %bb.533:
	s_cmp_lt_i32 s23, 27
	s_cbranch_scc1 .LBB347_536
; %bb.534:
	s_cmp_gt_i32 s23, 27
	s_cbranch_scc0 .LBB347_537
; %bb.535:
	s_wait_loadcnt 0x0
	global_load_b32 v3, v[0:1], off
	s_mov_b32 s26, 0
	s_branch .LBB347_538
.LBB347_536:
	s_mov_b32 s26, -1
                                        ; implicit-def: $vgpr3
	s_branch .LBB347_541
.LBB347_537:
	s_mov_b32 s26, -1
                                        ; implicit-def: $vgpr3
.LBB347_538:
	s_delay_alu instid0(SALU_CYCLE_1)
	s_and_not1_b32 vcc_lo, exec_lo, s26
	s_cbranch_vccnz .LBB347_540
; %bb.539:
	s_wait_loadcnt 0x0
	global_load_u16 v3, v[0:1], off
.LBB347_540:
	s_mov_b32 s26, 0
.LBB347_541:
	s_delay_alu instid0(SALU_CYCLE_1)
	s_and_not1_b32 vcc_lo, exec_lo, s26
	s_cbranch_vccnz .LBB347_547
; %bb.542:
	global_load_u8 v4, v[0:1], off
	s_mov_b32 s27, 0
	s_mov_b32 s26, exec_lo
	s_wait_loadcnt 0x0
	v_cmpx_lt_i16_e32 0x7f, v4
	s_xor_b32 s26, exec_lo, s26
	s_cbranch_execz .LBB347_559
; %bb.543:
	v_cmp_ne_u16_e32 vcc_lo, 0x80, v4
	s_and_b32 s27, vcc_lo, exec_lo
	s_and_not1_saveexec_b32 s26, s26
	s_cbranch_execnz .LBB347_560
.LBB347_544:
	s_or_b32 exec_lo, exec_lo, s26
	v_mov_b32_e32 v3, 0
	s_and_saveexec_b32 s26, s27
	s_cbranch_execz .LBB347_546
.LBB347_545:
	v_and_b32_e32 v3, 0xffff, v4
	s_delay_alu instid0(VALU_DEP_1) | instskip(SKIP_1) | instid1(VALU_DEP_2)
	v_dual_lshlrev_b32 v4, 24, v4 :: v_dual_bitop2_b32 v5, 7, v3 bitop3:0x40
	v_bfe_u32 v9, v3, 3, 4
	v_and_b32_e32 v4, 0x80000000, v4
	s_delay_alu instid0(VALU_DEP_3) | instskip(NEXT) | instid1(VALU_DEP_3)
	v_clz_i32_u32_e32 v7, v5
	v_cmp_eq_u32_e32 vcc_lo, 0, v9
	s_delay_alu instid0(VALU_DEP_2) | instskip(NEXT) | instid1(VALU_DEP_1)
	v_min_u32_e32 v7, 32, v7
	v_subrev_nc_u32_e32 v8, 28, v7
	v_sub_nc_u32_e32 v7, 29, v7
	s_delay_alu instid0(VALU_DEP_2) | instskip(NEXT) | instid1(VALU_DEP_2)
	v_lshlrev_b32_e32 v3, v8, v3
	v_cndmask_b32_e32 v7, v9, v7, vcc_lo
	s_delay_alu instid0(VALU_DEP_2) | instskip(NEXT) | instid1(VALU_DEP_1)
	v_and_b32_e32 v3, 7, v3
	v_cndmask_b32_e32 v3, v5, v3, vcc_lo
	s_delay_alu instid0(VALU_DEP_3) | instskip(NEXT) | instid1(VALU_DEP_2)
	v_lshl_add_u32 v5, v7, 23, 0x3b800000
	v_lshlrev_b32_e32 v3, 20, v3
	s_delay_alu instid0(VALU_DEP_1) | instskip(NEXT) | instid1(VALU_DEP_1)
	v_or3_b32 v3, v4, v5, v3
	v_cvt_u32_f32_e32 v3, v3
.LBB347_546:
	s_or_b32 exec_lo, exec_lo, s26
.LBB347_547:
	s_mov_b32 s26, -1
.LBB347_548:
	s_mov_b32 s27, 0
.LBB347_549:
	s_delay_alu instid0(SALU_CYCLE_1)
	s_and_b32 vcc_lo, exec_lo, s27
	s_cbranch_vccz .LBB347_582
; %bb.550:
	s_cmp_gt_i32 s23, 22
	s_cbranch_scc0 .LBB347_558
; %bb.551:
	s_cmp_lt_i32 s23, 24
	s_cbranch_scc1 .LBB347_561
; %bb.552:
	s_cmp_gt_i32 s23, 24
	s_cbranch_scc0 .LBB347_562
; %bb.553:
	global_load_u8 v4, v[0:1], off
	s_mov_b32 s27, 0
	s_mov_b32 s26, exec_lo
	s_wait_loadcnt 0x0
	v_cmpx_lt_i16_e32 0x7f, v4
	s_xor_b32 s26, exec_lo, s26
	s_cbranch_execz .LBB347_574
; %bb.554:
	v_cmp_ne_u16_e32 vcc_lo, 0x80, v4
	s_and_b32 s27, vcc_lo, exec_lo
	s_and_not1_saveexec_b32 s26, s26
	s_cbranch_execnz .LBB347_575
.LBB347_555:
	s_or_b32 exec_lo, exec_lo, s26
	v_mov_b32_e32 v3, 0
	s_and_saveexec_b32 s26, s27
	s_cbranch_execz .LBB347_557
.LBB347_556:
	v_and_b32_e32 v3, 0xffff, v4
	s_delay_alu instid0(VALU_DEP_1) | instskip(SKIP_1) | instid1(VALU_DEP_2)
	v_dual_lshlrev_b32 v4, 24, v4 :: v_dual_bitop2_b32 v5, 3, v3 bitop3:0x40
	v_bfe_u32 v9, v3, 2, 5
	v_and_b32_e32 v4, 0x80000000, v4
	s_delay_alu instid0(VALU_DEP_3) | instskip(NEXT) | instid1(VALU_DEP_3)
	v_clz_i32_u32_e32 v7, v5
	v_cmp_eq_u32_e32 vcc_lo, 0, v9
	s_delay_alu instid0(VALU_DEP_2) | instskip(NEXT) | instid1(VALU_DEP_1)
	v_min_u32_e32 v7, 32, v7
	v_subrev_nc_u32_e32 v8, 29, v7
	v_sub_nc_u32_e32 v7, 30, v7
	s_delay_alu instid0(VALU_DEP_2) | instskip(NEXT) | instid1(VALU_DEP_2)
	v_lshlrev_b32_e32 v3, v8, v3
	v_cndmask_b32_e32 v7, v9, v7, vcc_lo
	s_delay_alu instid0(VALU_DEP_2) | instskip(NEXT) | instid1(VALU_DEP_1)
	v_and_b32_e32 v3, 3, v3
	v_cndmask_b32_e32 v3, v5, v3, vcc_lo
	s_delay_alu instid0(VALU_DEP_3) | instskip(NEXT) | instid1(VALU_DEP_2)
	v_lshl_add_u32 v5, v7, 23, 0x37800000
	v_lshlrev_b32_e32 v3, 21, v3
	s_delay_alu instid0(VALU_DEP_1) | instskip(NEXT) | instid1(VALU_DEP_1)
	v_or3_b32 v3, v4, v5, v3
	v_cvt_u32_f32_e32 v3, v3
.LBB347_557:
	s_or_b32 exec_lo, exec_lo, s26
	s_mov_b32 s26, 0
	s_branch .LBB347_563
.LBB347_558:
	s_mov_b32 s27, -1
                                        ; implicit-def: $vgpr3
	s_branch .LBB347_569
.LBB347_559:
	s_and_not1_saveexec_b32 s26, s26
	s_cbranch_execz .LBB347_544
.LBB347_560:
	v_cmp_ne_u16_e32 vcc_lo, 0, v4
	s_and_not1_b32 s27, s27, exec_lo
	s_and_b32 s28, vcc_lo, exec_lo
	s_delay_alu instid0(SALU_CYCLE_1)
	s_or_b32 s27, s27, s28
	s_or_b32 exec_lo, exec_lo, s26
	v_mov_b32_e32 v3, 0
	s_and_saveexec_b32 s26, s27
	s_cbranch_execnz .LBB347_545
	s_branch .LBB347_546
.LBB347_561:
	s_mov_b32 s26, -1
                                        ; implicit-def: $vgpr3
	s_branch .LBB347_566
.LBB347_562:
	s_mov_b32 s26, -1
                                        ; implicit-def: $vgpr3
.LBB347_563:
	s_delay_alu instid0(SALU_CYCLE_1)
	s_and_b32 vcc_lo, exec_lo, s26
	s_cbranch_vccz .LBB347_565
; %bb.564:
	s_wait_loadcnt 0x0
	global_load_u8 v3, v[0:1], off
	s_wait_loadcnt 0x0
	v_lshlrev_b32_e32 v3, 24, v3
	s_delay_alu instid0(VALU_DEP_1) | instskip(NEXT) | instid1(VALU_DEP_1)
	v_and_b32_e32 v4, 0x7f000000, v3
	v_clz_i32_u32_e32 v5, v4
	v_add_nc_u32_e32 v8, 0x1000000, v4
	v_cmp_ne_u32_e32 vcc_lo, 0, v4
	s_delay_alu instid0(VALU_DEP_3) | instskip(NEXT) | instid1(VALU_DEP_1)
	v_min_u32_e32 v5, 32, v5
	v_sub_nc_u32_e64 v5, v5, 4 clamp
	s_delay_alu instid0(VALU_DEP_1) | instskip(NEXT) | instid1(VALU_DEP_1)
	v_dual_lshlrev_b32 v7, v5, v4 :: v_dual_lshlrev_b32 v5, 23, v5
	v_lshrrev_b32_e32 v7, 4, v7
	s_delay_alu instid0(VALU_DEP_1) | instskip(NEXT) | instid1(VALU_DEP_1)
	v_dual_sub_nc_u32 v5, v7, v5 :: v_dual_ashrrev_i32 v7, 8, v8
	v_add_nc_u32_e32 v5, 0x3c000000, v5
	s_delay_alu instid0(VALU_DEP_1) | instskip(NEXT) | instid1(VALU_DEP_1)
	v_and_or_b32 v5, 0x7f800000, v7, v5
	v_cndmask_b32_e32 v4, 0, v5, vcc_lo
	s_delay_alu instid0(VALU_DEP_1) | instskip(NEXT) | instid1(VALU_DEP_1)
	v_and_or_b32 v3, 0x80000000, v3, v4
	v_cvt_u32_f32_e32 v3, v3
.LBB347_565:
	s_mov_b32 s26, 0
.LBB347_566:
	s_delay_alu instid0(SALU_CYCLE_1)
	s_and_not1_b32 vcc_lo, exec_lo, s26
	s_cbranch_vccnz .LBB347_568
; %bb.567:
	s_wait_loadcnt 0x0
	global_load_u8 v3, v[0:1], off
	s_wait_loadcnt 0x0
	v_lshlrev_b32_e32 v4, 25, v3
	v_lshlrev_b16 v3, 8, v3
	s_delay_alu instid0(VALU_DEP_1) | instskip(NEXT) | instid1(VALU_DEP_3)
	v_and_or_b32 v7, 0x7f00, v3, 0.5
	v_lshrrev_b32_e32 v5, 4, v4
	v_bfe_i32 v3, v3, 0, 16
	s_delay_alu instid0(VALU_DEP_3) | instskip(NEXT) | instid1(VALU_DEP_3)
	v_add_f32_e32 v7, -0.5, v7
	v_or_b32_e32 v5, 0x70000000, v5
	s_delay_alu instid0(VALU_DEP_1) | instskip(SKIP_1) | instid1(VALU_DEP_2)
	v_mul_f32_e32 v5, 0x7800000, v5
	v_cmp_gt_u32_e32 vcc_lo, 0x8000000, v4
	v_cndmask_b32_e32 v4, v5, v7, vcc_lo
	s_delay_alu instid0(VALU_DEP_1) | instskip(NEXT) | instid1(VALU_DEP_1)
	v_and_or_b32 v3, 0x80000000, v3, v4
	v_cvt_u32_f32_e32 v3, v3
.LBB347_568:
	s_mov_b32 s27, 0
	s_mov_b32 s26, -1
.LBB347_569:
	s_and_not1_b32 vcc_lo, exec_lo, s27
	s_cbranch_vccnz .LBB347_582
; %bb.570:
	s_cmp_gt_i32 s23, 14
	s_cbranch_scc0 .LBB347_573
; %bb.571:
	s_cmp_eq_u32 s23, 15
	s_cbranch_scc0 .LBB347_576
; %bb.572:
	s_wait_loadcnt 0x0
	global_load_u16 v3, v[0:1], off
	s_mov_b32 s26, -1
	s_mov_b32 s24, 0
	s_wait_loadcnt 0x0
	v_lshlrev_b32_e32 v3, 16, v3
	s_delay_alu instid0(VALU_DEP_1)
	v_cvt_u32_f32_e32 v3, v3
	s_branch .LBB347_577
.LBB347_573:
	s_mov_b32 s27, -1
                                        ; implicit-def: $vgpr3
	s_branch .LBB347_578
.LBB347_574:
	s_and_not1_saveexec_b32 s26, s26
	s_cbranch_execz .LBB347_555
.LBB347_575:
	v_cmp_ne_u16_e32 vcc_lo, 0, v4
	s_and_not1_b32 s27, s27, exec_lo
	s_and_b32 s28, vcc_lo, exec_lo
	s_delay_alu instid0(SALU_CYCLE_1)
	s_or_b32 s27, s27, s28
	s_or_b32 exec_lo, exec_lo, s26
	v_mov_b32_e32 v3, 0
	s_and_saveexec_b32 s26, s27
	s_cbranch_execnz .LBB347_556
	s_branch .LBB347_557
.LBB347_576:
	s_mov_b32 s24, -1
                                        ; implicit-def: $vgpr3
.LBB347_577:
	s_mov_b32 s27, 0
.LBB347_578:
	s_delay_alu instid0(SALU_CYCLE_1)
	s_and_b32 vcc_lo, exec_lo, s27
	s_cbranch_vccz .LBB347_582
; %bb.579:
	s_cmp_eq_u32 s23, 11
	s_cbranch_scc0 .LBB347_581
; %bb.580:
	s_wait_loadcnt 0x0
	global_load_u8 v3, v[0:1], off
	s_mov_b32 s24, 0
	s_mov_b32 s26, -1
	s_wait_loadcnt 0x0
	v_cmp_ne_u16_e32 vcc_lo, 0, v3
	v_cndmask_b32_e64 v3, 0, 1, vcc_lo
	s_branch .LBB347_582
.LBB347_581:
	s_mov_b32 s24, -1
                                        ; implicit-def: $vgpr3
.LBB347_582:
	s_mov_b32 s23, 0
.LBB347_583:
	s_delay_alu instid0(SALU_CYCLE_1)
	s_and_b32 vcc_lo, exec_lo, s23
	s_cbranch_vccz .LBB347_632
; %bb.584:
	s_and_b32 s0, 0xffff, s0
	s_delay_alu instid0(SALU_CYCLE_1)
	s_cmp_lt_i32 s0, 5
	s_cbranch_scc1 .LBB347_589
; %bb.585:
	s_cmp_lt_i32 s0, 8
	s_cbranch_scc1 .LBB347_590
; %bb.586:
	s_cmp_lt_i32 s0, 9
	s_cbranch_scc1 .LBB347_591
; %bb.587:
	s_cmp_gt_i32 s0, 9
	s_cbranch_scc0 .LBB347_592
; %bb.588:
	global_load_b64 v[4:5], v[0:1], off
	s_mov_b32 s23, 0
	s_wait_loadcnt 0x0
	v_cvt_u32_f64_e32 v3, v[4:5]
	s_branch .LBB347_593
.LBB347_589:
	s_mov_b32 s23, -1
                                        ; implicit-def: $vgpr3
	s_branch .LBB347_611
.LBB347_590:
	s_mov_b32 s23, -1
                                        ; implicit-def: $vgpr3
	s_branch .LBB347_599
.LBB347_591:
	s_mov_b32 s23, -1
                                        ; implicit-def: $vgpr3
	s_branch .LBB347_596
.LBB347_592:
	s_mov_b32 s23, -1
                                        ; implicit-def: $vgpr3
.LBB347_593:
	s_delay_alu instid0(SALU_CYCLE_1)
	s_and_not1_b32 vcc_lo, exec_lo, s23
	s_cbranch_vccnz .LBB347_595
; %bb.594:
	s_wait_loadcnt 0x0
	global_load_b32 v3, v[0:1], off
	s_wait_loadcnt 0x0
	v_cvt_u32_f32_e32 v3, v3
.LBB347_595:
	s_mov_b32 s23, 0
.LBB347_596:
	s_delay_alu instid0(SALU_CYCLE_1)
	s_and_not1_b32 vcc_lo, exec_lo, s23
	s_cbranch_vccnz .LBB347_598
; %bb.597:
	s_wait_loadcnt 0x0
	global_load_b32 v3, v[0:1], off
	s_wait_loadcnt 0x0
	v_cvt_f32_f16_e32 v3, v3
	s_delay_alu instid0(VALU_DEP_1)
	v_cvt_u32_f32_e32 v3, v3
.LBB347_598:
	s_mov_b32 s23, 0
.LBB347_599:
	s_delay_alu instid0(SALU_CYCLE_1)
	s_and_not1_b32 vcc_lo, exec_lo, s23
	s_cbranch_vccnz .LBB347_610
; %bb.600:
	s_cmp_lt_i32 s0, 6
	s_cbranch_scc1 .LBB347_603
; %bb.601:
	s_cmp_gt_i32 s0, 6
	s_cbranch_scc0 .LBB347_604
; %bb.602:
	global_load_b64 v[4:5], v[0:1], off
	s_mov_b32 s23, 0
	s_wait_loadcnt 0x0
	v_cvt_u32_f64_e32 v3, v[4:5]
	s_branch .LBB347_605
.LBB347_603:
	s_mov_b32 s23, -1
                                        ; implicit-def: $vgpr3
	s_branch .LBB347_608
.LBB347_604:
	s_mov_b32 s23, -1
                                        ; implicit-def: $vgpr3
.LBB347_605:
	s_delay_alu instid0(SALU_CYCLE_1)
	s_and_not1_b32 vcc_lo, exec_lo, s23
	s_cbranch_vccnz .LBB347_607
; %bb.606:
	s_wait_loadcnt 0x0
	global_load_b32 v3, v[0:1], off
	s_wait_loadcnt 0x0
	v_cvt_u32_f32_e32 v3, v3
.LBB347_607:
	s_mov_b32 s23, 0
.LBB347_608:
	s_delay_alu instid0(SALU_CYCLE_1)
	s_and_not1_b32 vcc_lo, exec_lo, s23
	s_cbranch_vccnz .LBB347_610
; %bb.609:
	s_wait_loadcnt 0x0
	global_load_u16 v3, v[0:1], off
	s_wait_loadcnt 0x0
	v_cvt_f32_f16_e32 v3, v3
	s_delay_alu instid0(VALU_DEP_1)
	v_cvt_u32_f32_e32 v3, v3
.LBB347_610:
	s_mov_b32 s23, 0
.LBB347_611:
	s_delay_alu instid0(SALU_CYCLE_1)
	s_and_not1_b32 vcc_lo, exec_lo, s23
	s_cbranch_vccnz .LBB347_631
; %bb.612:
	s_cmp_lt_i32 s0, 2
	s_cbranch_scc1 .LBB347_616
; %bb.613:
	s_cmp_lt_i32 s0, 3
	s_cbranch_scc1 .LBB347_617
; %bb.614:
	s_cmp_gt_i32 s0, 3
	s_cbranch_scc0 .LBB347_618
; %bb.615:
	s_wait_loadcnt 0x0
	global_load_b32 v3, v[0:1], off
	s_mov_b32 s23, 0
	s_branch .LBB347_619
.LBB347_616:
	s_mov_b32 s23, -1
                                        ; implicit-def: $vgpr3
	s_branch .LBB347_625
.LBB347_617:
	s_mov_b32 s23, -1
                                        ; implicit-def: $vgpr3
	s_branch .LBB347_622
.LBB347_618:
	s_mov_b32 s23, -1
                                        ; implicit-def: $vgpr3
.LBB347_619:
	s_delay_alu instid0(SALU_CYCLE_1)
	s_and_not1_b32 vcc_lo, exec_lo, s23
	s_cbranch_vccnz .LBB347_621
; %bb.620:
	s_wait_loadcnt 0x0
	global_load_b32 v3, v[0:1], off
.LBB347_621:
	s_mov_b32 s23, 0
.LBB347_622:
	s_delay_alu instid0(SALU_CYCLE_1)
	s_and_not1_b32 vcc_lo, exec_lo, s23
	s_cbranch_vccnz .LBB347_624
; %bb.623:
	s_wait_loadcnt 0x0
	global_load_i16 v3, v[0:1], off
.LBB347_624:
	s_mov_b32 s23, 0
.LBB347_625:
	s_delay_alu instid0(SALU_CYCLE_1)
	s_and_not1_b32 vcc_lo, exec_lo, s23
	s_cbranch_vccnz .LBB347_631
; %bb.626:
	s_cmp_gt_i32 s0, 0
	s_mov_b32 s0, 0
	s_cbranch_scc0 .LBB347_628
; %bb.627:
	s_wait_loadcnt 0x0
	global_load_i8 v3, v[0:1], off
	s_branch .LBB347_629
.LBB347_628:
	s_mov_b32 s0, -1
                                        ; implicit-def: $vgpr3
.LBB347_629:
	s_delay_alu instid0(SALU_CYCLE_1)
	s_and_not1_b32 vcc_lo, exec_lo, s0
	s_cbranch_vccnz .LBB347_631
; %bb.630:
	s_wait_loadcnt 0x0
	global_load_u8 v3, v[0:1], off
.LBB347_631:
	s_mov_b32 s26, -1
.LBB347_632:
	s_delay_alu instid0(SALU_CYCLE_1)
	s_and_not1_b32 vcc_lo, exec_lo, s26
	s_cbranch_vccnz .LBB347_640
; %bb.633:
	s_wait_xcnt 0x0
	v_mul_lo_u32 v0, v6, s8
	s_wait_loadcnt 0x0
	s_delay_alu instid0(VALU_DEP_2) | instskip(SKIP_3) | instid1(VALU_DEP_2)
	v_cmp_ne_u32_e32 vcc_lo, v2, v3
	s_and_b32 s26, s12, 0xff
	s_xor_b32 s23, s16, vcc_lo
	s_cmp_lt_i32 s26, 11
	v_ashrrev_i32_e32 v1, 31, v0
	s_delay_alu instid0(VALU_DEP_1)
	v_add_nc_u64_e32 v[0:1], s[4:5], v[0:1]
	s_cbranch_scc1 .LBB347_641
; %bb.634:
	s_and_b32 s27, 0xffff, s26
	s_delay_alu instid0(SALU_CYCLE_1)
	s_cmp_gt_i32 s27, 25
	s_cbranch_scc0 .LBB347_642
; %bb.635:
	s_cmp_gt_i32 s27, 28
	s_cbranch_scc0 .LBB347_643
; %bb.636:
	;; [unrolled: 3-line block ×4, first 2 shown]
	s_mov_b32 s29, 0
	s_mov_b32 s0, -1
	s_cmp_eq_u32 s27, 46
	s_mov_b32 s28, 0
	s_cbranch_scc0 .LBB347_646
; %bb.639:
	v_cndmask_b32_e64 v2, 0, 1.0, s23
	s_mov_b32 s28, -1
	s_mov_b32 s0, 0
	s_delay_alu instid0(VALU_DEP_1) | instskip(NEXT) | instid1(VALU_DEP_1)
	v_bfe_u32 v3, v2, 16, 1
	v_add3_u32 v2, v2, v3, 0x7fff
	s_delay_alu instid0(VALU_DEP_1)
	v_lshrrev_b32_e32 v2, 16, v2
	global_store_b32 v[0:1], v2, off
	s_branch .LBB347_646
.LBB347_640:
	s_mov_b32 s26, 0
	s_mov_b32 s0, s18
	s_branch .LBB347_757
.LBB347_641:
	s_mov_b32 s27, -1
	s_mov_b32 s28, 0
	s_mov_b32 s0, s18
	s_branch .LBB347_715
.LBB347_642:
	s_mov_b32 s29, -1
	s_mov_b32 s28, 0
	s_mov_b32 s0, s18
	s_branch .LBB347_673
.LBB347_643:
	s_mov_b32 s29, -1
	s_mov_b32 s28, 0
	s_mov_b32 s0, s18
	s_branch .LBB347_656
.LBB347_644:
	s_mov_b32 s29, -1
	s_mov_b32 s28, 0
	s_mov_b32 s0, s18
	s_branch .LBB347_652
.LBB347_645:
	s_mov_b32 s29, -1
	s_mov_b32 s28, 0
	s_mov_b32 s0, s18
.LBB347_646:
	s_and_b32 vcc_lo, exec_lo, s29
	s_cbranch_vccz .LBB347_651
; %bb.647:
	s_cmp_eq_u32 s27, 44
	s_mov_b32 s0, -1
	s_cbranch_scc0 .LBB347_651
; %bb.648:
	v_cndmask_b32_e64 v4, 0, 1.0, s23
	s_mov_b32 s28, exec_lo
	s_wait_xcnt 0x0
	s_delay_alu instid0(VALU_DEP_1) | instskip(NEXT) | instid1(VALU_DEP_1)
	v_dual_mov_b32 v3, 0xff :: v_dual_lshrrev_b32 v2, 23, v4
	v_cmpx_ne_u32_e32 0xff, v2
; %bb.649:
	v_and_b32_e32 v3, 0x400000, v4
	v_and_or_b32 v4, 0x3fffff, v4, v2
	s_delay_alu instid0(VALU_DEP_2) | instskip(NEXT) | instid1(VALU_DEP_2)
	v_cmp_ne_u32_e32 vcc_lo, 0, v3
	v_cmp_ne_u32_e64 s0, 0, v4
	s_and_b32 s0, vcc_lo, s0
	s_delay_alu instid0(SALU_CYCLE_1) | instskip(NEXT) | instid1(VALU_DEP_1)
	v_cndmask_b32_e64 v3, 0, 1, s0
	v_add_nc_u32_e32 v3, v2, v3
; %bb.650:
	s_or_b32 exec_lo, exec_lo, s28
	s_mov_b32 s28, -1
	s_mov_b32 s0, 0
	global_store_b8 v[0:1], v3, off
.LBB347_651:
	s_mov_b32 s29, 0
.LBB347_652:
	s_delay_alu instid0(SALU_CYCLE_1)
	s_and_b32 vcc_lo, exec_lo, s29
	s_cbranch_vccz .LBB347_655
; %bb.653:
	s_cmp_eq_u32 s27, 29
	s_mov_b32 s0, -1
	s_cbranch_scc0 .LBB347_655
; %bb.654:
	s_mov_b32 s0, 0
	s_wait_xcnt 0x0
	v_cndmask_b32_e64 v2, 0, 1, s23
	v_mov_b32_e32 v3, s0
	s_mov_b32 s28, -1
	s_mov_b32 s29, 0
	global_store_b64 v[0:1], v[2:3], off
	s_branch .LBB347_656
.LBB347_655:
	s_mov_b32 s29, 0
.LBB347_656:
	s_delay_alu instid0(SALU_CYCLE_1)
	s_and_b32 vcc_lo, exec_lo, s29
	s_cbranch_vccz .LBB347_672
; %bb.657:
	s_cmp_lt_i32 s27, 27
	s_mov_b32 s28, -1
	s_cbranch_scc1 .LBB347_663
; %bb.658:
	s_cmp_gt_i32 s27, 27
	s_cbranch_scc0 .LBB347_660
; %bb.659:
	s_wait_xcnt 0x0
	v_cndmask_b32_e64 v2, 0, 1, s23
	s_mov_b32 s28, 0
	global_store_b32 v[0:1], v2, off
.LBB347_660:
	s_and_not1_b32 vcc_lo, exec_lo, s28
	s_cbranch_vccnz .LBB347_662
; %bb.661:
	s_wait_xcnt 0x0
	v_cndmask_b32_e64 v2, 0, 1, s23
	global_store_b16 v[0:1], v2, off
.LBB347_662:
	s_mov_b32 s28, 0
.LBB347_663:
	s_delay_alu instid0(SALU_CYCLE_1)
	s_and_not1_b32 vcc_lo, exec_lo, s28
	s_cbranch_vccnz .LBB347_671
; %bb.664:
	s_wait_xcnt 0x0
	v_cndmask_b32_e64 v3, 0, 1.0, s23
	v_mov_b32_e32 v4, 0x80
	s_mov_b32 s28, exec_lo
	s_delay_alu instid0(VALU_DEP_2)
	v_cmpx_gt_u32_e32 0x43800000, v3
	s_cbranch_execz .LBB347_670
; %bb.665:
	s_mov_b32 s29, 0
	s_mov_b32 s30, exec_lo
                                        ; implicit-def: $vgpr2
	v_cmpx_lt_u32_e32 0x3bffffff, v3
	s_xor_b32 s30, exec_lo, s30
	s_cbranch_execz .LBB347_773
; %bb.666:
	v_bfe_u32 v2, v3, 20, 1
	s_mov_b32 s29, exec_lo
	s_delay_alu instid0(VALU_DEP_1) | instskip(NEXT) | instid1(VALU_DEP_1)
	v_add3_u32 v2, v3, v2, 0x487ffff
                                        ; implicit-def: $vgpr3
	v_lshrrev_b32_e32 v2, 20, v2
	s_and_not1_saveexec_b32 s30, s30
	s_cbranch_execnz .LBB347_774
.LBB347_667:
	s_or_b32 exec_lo, exec_lo, s30
	v_mov_b32_e32 v4, 0
	s_and_saveexec_b32 s30, s29
.LBB347_668:
	v_mov_b32_e32 v4, v2
.LBB347_669:
	s_or_b32 exec_lo, exec_lo, s30
.LBB347_670:
	s_delay_alu instid0(SALU_CYCLE_1)
	s_or_b32 exec_lo, exec_lo, s28
	global_store_b8 v[0:1], v4, off
.LBB347_671:
	s_mov_b32 s28, -1
.LBB347_672:
	s_mov_b32 s29, 0
.LBB347_673:
	s_delay_alu instid0(SALU_CYCLE_1)
	s_and_b32 vcc_lo, exec_lo, s29
	s_cbranch_vccz .LBB347_714
; %bb.674:
	s_cmp_gt_i32 s27, 22
	s_mov_b32 s29, -1
	s_cbranch_scc0 .LBB347_706
; %bb.675:
	s_cmp_lt_i32 s27, 24
	s_mov_b32 s28, -1
	s_cbranch_scc1 .LBB347_695
; %bb.676:
	s_cmp_gt_i32 s27, 24
	s_cbranch_scc0 .LBB347_684
; %bb.677:
	s_wait_xcnt 0x0
	v_cndmask_b32_e64 v3, 0, 1.0, s23
	v_mov_b32_e32 v4, 0x80
	s_mov_b32 s28, exec_lo
	s_delay_alu instid0(VALU_DEP_2)
	v_cmpx_gt_u32_e32 0x47800000, v3
	s_cbranch_execz .LBB347_683
; %bb.678:
	s_mov_b32 s29, 0
	s_mov_b32 s30, exec_lo
                                        ; implicit-def: $vgpr2
	v_cmpx_lt_u32_e32 0x37ffffff, v3
	s_xor_b32 s30, exec_lo, s30
	s_cbranch_execz .LBB347_901
; %bb.679:
	v_bfe_u32 v2, v3, 21, 1
	s_mov_b32 s29, exec_lo
	s_delay_alu instid0(VALU_DEP_1) | instskip(NEXT) | instid1(VALU_DEP_1)
	v_add3_u32 v2, v3, v2, 0x88fffff
                                        ; implicit-def: $vgpr3
	v_lshrrev_b32_e32 v2, 21, v2
	s_and_not1_saveexec_b32 s30, s30
	s_cbranch_execnz .LBB347_902
.LBB347_680:
	s_or_b32 exec_lo, exec_lo, s30
	v_mov_b32_e32 v4, 0
	s_and_saveexec_b32 s30, s29
.LBB347_681:
	v_mov_b32_e32 v4, v2
.LBB347_682:
	s_or_b32 exec_lo, exec_lo, s30
.LBB347_683:
	s_delay_alu instid0(SALU_CYCLE_1)
	s_or_b32 exec_lo, exec_lo, s28
	s_mov_b32 s28, 0
	global_store_b8 v[0:1], v4, off
.LBB347_684:
	s_and_b32 vcc_lo, exec_lo, s28
	s_cbranch_vccz .LBB347_694
; %bb.685:
	s_wait_xcnt 0x0
	v_cndmask_b32_e64 v3, 0, 1.0, s23
	s_mov_b32 s28, exec_lo
                                        ; implicit-def: $vgpr2
	s_delay_alu instid0(VALU_DEP_1)
	v_cmpx_gt_u32_e32 0x43f00000, v3
	s_xor_b32 s28, exec_lo, s28
	s_cbranch_execz .LBB347_691
; %bb.686:
	s_mov_b32 s29, exec_lo
                                        ; implicit-def: $vgpr2
	v_cmpx_lt_u32_e32 0x3c7fffff, v3
	s_xor_b32 s29, exec_lo, s29
; %bb.687:
	v_bfe_u32 v2, v3, 20, 1
	s_delay_alu instid0(VALU_DEP_1) | instskip(NEXT) | instid1(VALU_DEP_1)
	v_add3_u32 v2, v3, v2, 0x407ffff
	v_and_b32_e32 v3, 0xff00000, v2
	v_lshrrev_b32_e32 v2, 20, v2
	s_delay_alu instid0(VALU_DEP_2) | instskip(NEXT) | instid1(VALU_DEP_2)
	v_cmp_ne_u32_e32 vcc_lo, 0x7f00000, v3
                                        ; implicit-def: $vgpr3
	v_cndmask_b32_e32 v2, 0x7e, v2, vcc_lo
; %bb.688:
	s_and_not1_saveexec_b32 s29, s29
; %bb.689:
	v_add_f32_e32 v2, 0x46800000, v3
; %bb.690:
	s_or_b32 exec_lo, exec_lo, s29
                                        ; implicit-def: $vgpr3
.LBB347_691:
	s_and_not1_saveexec_b32 s28, s28
; %bb.692:
	v_mov_b32_e32 v2, 0x7f
	v_cmp_lt_u32_e32 vcc_lo, 0x7f800000, v3
	s_delay_alu instid0(VALU_DEP_2)
	v_cndmask_b32_e32 v2, 0x7e, v2, vcc_lo
; %bb.693:
	s_or_b32 exec_lo, exec_lo, s28
	global_store_b8 v[0:1], v2, off
.LBB347_694:
	s_mov_b32 s28, 0
.LBB347_695:
	s_delay_alu instid0(SALU_CYCLE_1)
	s_and_not1_b32 vcc_lo, exec_lo, s28
	s_cbranch_vccnz .LBB347_705
; %bb.696:
	s_wait_xcnt 0x0
	v_cndmask_b32_e64 v3, 0, 1.0, s23
	s_mov_b32 s28, exec_lo
                                        ; implicit-def: $vgpr2
	s_delay_alu instid0(VALU_DEP_1)
	v_cmpx_gt_u32_e32 0x47800000, v3
	s_xor_b32 s28, exec_lo, s28
	s_cbranch_execz .LBB347_702
; %bb.697:
	s_mov_b32 s29, exec_lo
                                        ; implicit-def: $vgpr2
	v_cmpx_lt_u32_e32 0x387fffff, v3
	s_xor_b32 s29, exec_lo, s29
; %bb.698:
	v_bfe_u32 v2, v3, 21, 1
	s_delay_alu instid0(VALU_DEP_1) | instskip(NEXT) | instid1(VALU_DEP_1)
	v_add3_u32 v2, v3, v2, 0x80fffff
                                        ; implicit-def: $vgpr3
	v_lshrrev_b32_e32 v2, 21, v2
; %bb.699:
	s_and_not1_saveexec_b32 s29, s29
; %bb.700:
	v_add_f32_e32 v2, 0x43000000, v3
; %bb.701:
	s_or_b32 exec_lo, exec_lo, s29
                                        ; implicit-def: $vgpr3
.LBB347_702:
	s_and_not1_saveexec_b32 s28, s28
; %bb.703:
	v_mov_b32_e32 v2, 0x7f
	v_cmp_lt_u32_e32 vcc_lo, 0x7f800000, v3
	s_delay_alu instid0(VALU_DEP_2)
	v_cndmask_b32_e32 v2, 0x7c, v2, vcc_lo
; %bb.704:
	s_or_b32 exec_lo, exec_lo, s28
	global_store_b8 v[0:1], v2, off
.LBB347_705:
	s_mov_b32 s29, 0
	s_mov_b32 s28, -1
.LBB347_706:
	s_and_not1_b32 vcc_lo, exec_lo, s29
	s_cbranch_vccnz .LBB347_714
; %bb.707:
	s_cmp_gt_i32 s27, 14
	s_mov_b32 s29, -1
	s_cbranch_scc0 .LBB347_711
; %bb.708:
	s_cmp_eq_u32 s27, 15
	s_mov_b32 s0, -1
	s_cbranch_scc0 .LBB347_710
; %bb.709:
	s_wait_xcnt 0x0
	v_cndmask_b32_e64 v2, 0, 1.0, s23
	s_mov_b32 s28, -1
	s_mov_b32 s0, 0
	s_delay_alu instid0(VALU_DEP_1) | instskip(NEXT) | instid1(VALU_DEP_1)
	v_bfe_u32 v3, v2, 16, 1
	v_add3_u32 v2, v2, v3, 0x7fff
	global_store_d16_hi_b16 v[0:1], v2, off
.LBB347_710:
	s_mov_b32 s29, 0
.LBB347_711:
	s_delay_alu instid0(SALU_CYCLE_1)
	s_and_b32 vcc_lo, exec_lo, s29
	s_cbranch_vccz .LBB347_714
; %bb.712:
	s_cmp_eq_u32 s27, 11
	s_mov_b32 s0, -1
	s_cbranch_scc0 .LBB347_714
; %bb.713:
	s_wait_xcnt 0x0
	v_cndmask_b32_e64 v2, 0, 1, s23
	s_mov_b32 s28, -1
	s_mov_b32 s0, 0
	global_store_b8 v[0:1], v2, off
.LBB347_714:
	s_mov_b32 s27, 0
.LBB347_715:
	s_delay_alu instid0(SALU_CYCLE_1)
	s_and_b32 vcc_lo, exec_lo, s27
	s_cbranch_vccz .LBB347_754
; %bb.716:
	s_and_b32 s26, 0xffff, s26
	s_mov_b32 s27, -1
	s_cmp_lt_i32 s26, 5
	s_cbranch_scc1 .LBB347_737
; %bb.717:
	s_cmp_lt_i32 s26, 8
	s_cbranch_scc1 .LBB347_727
; %bb.718:
	;; [unrolled: 3-line block ×3, first 2 shown]
	s_cmp_gt_i32 s26, 9
	s_cbranch_scc0 .LBB347_721
; %bb.720:
	s_wait_xcnt 0x0
	v_cndmask_b32_e64 v2, 0, 1, s23
	v_mov_b32_e32 v4, 0
	s_mov_b32 s27, 0
	s_delay_alu instid0(VALU_DEP_2) | instskip(NEXT) | instid1(VALU_DEP_2)
	v_cvt_f64_u32_e32 v[2:3], v2
	v_mov_b32_e32 v5, v4
	global_store_b128 v[0:1], v[2:5], off
.LBB347_721:
	s_and_not1_b32 vcc_lo, exec_lo, s27
	s_cbranch_vccnz .LBB347_723
; %bb.722:
	s_wait_xcnt 0x0
	v_cndmask_b32_e64 v2, 0, 1.0, s23
	v_mov_b32_e32 v3, 0
	global_store_b64 v[0:1], v[2:3], off
.LBB347_723:
	s_mov_b32 s27, 0
.LBB347_724:
	s_delay_alu instid0(SALU_CYCLE_1)
	s_and_not1_b32 vcc_lo, exec_lo, s27
	s_cbranch_vccnz .LBB347_726
; %bb.725:
	s_wait_xcnt 0x0
	v_cndmask_b32_e64 v2, 0, 1.0, s23
	s_delay_alu instid0(VALU_DEP_1) | instskip(NEXT) | instid1(VALU_DEP_1)
	v_cvt_f16_f32_e32 v2, v2
	v_and_b32_e32 v2, 0xffff, v2
	global_store_b32 v[0:1], v2, off
.LBB347_726:
	s_mov_b32 s27, 0
.LBB347_727:
	s_delay_alu instid0(SALU_CYCLE_1)
	s_and_not1_b32 vcc_lo, exec_lo, s27
	s_cbranch_vccnz .LBB347_736
; %bb.728:
	s_cmp_lt_i32 s26, 6
	s_mov_b32 s27, -1
	s_cbranch_scc1 .LBB347_734
; %bb.729:
	s_cmp_gt_i32 s26, 6
	s_cbranch_scc0 .LBB347_731
; %bb.730:
	s_wait_xcnt 0x0
	v_cndmask_b32_e64 v2, 0, 1, s23
	s_mov_b32 s27, 0
	s_delay_alu instid0(VALU_DEP_1)
	v_cvt_f64_u32_e32 v[2:3], v2
	global_store_b64 v[0:1], v[2:3], off
.LBB347_731:
	s_and_not1_b32 vcc_lo, exec_lo, s27
	s_cbranch_vccnz .LBB347_733
; %bb.732:
	s_wait_xcnt 0x0
	v_cndmask_b32_e64 v2, 0, 1.0, s23
	global_store_b32 v[0:1], v2, off
.LBB347_733:
	s_mov_b32 s27, 0
.LBB347_734:
	s_delay_alu instid0(SALU_CYCLE_1)
	s_and_not1_b32 vcc_lo, exec_lo, s27
	s_cbranch_vccnz .LBB347_736
; %bb.735:
	s_wait_xcnt 0x0
	v_cndmask_b32_e64 v2, 0, 1.0, s23
	s_delay_alu instid0(VALU_DEP_1)
	v_cvt_f16_f32_e32 v2, v2
	global_store_b16 v[0:1], v2, off
.LBB347_736:
	s_mov_b32 s27, 0
.LBB347_737:
	s_delay_alu instid0(SALU_CYCLE_1)
	s_and_not1_b32 vcc_lo, exec_lo, s27
	s_cbranch_vccnz .LBB347_753
; %bb.738:
	s_cmp_lt_i32 s26, 2
	s_mov_b32 s27, -1
	s_cbranch_scc1 .LBB347_748
; %bb.739:
	s_cmp_lt_i32 s26, 3
	s_cbranch_scc1 .LBB347_745
; %bb.740:
	s_cmp_gt_i32 s26, 3
	s_cbranch_scc0 .LBB347_742
; %bb.741:
	s_mov_b32 s27, 0
	s_wait_xcnt 0x0
	v_cndmask_b32_e64 v2, 0, 1, s23
	v_mov_b32_e32 v3, s27
	global_store_b64 v[0:1], v[2:3], off
.LBB347_742:
	s_and_not1_b32 vcc_lo, exec_lo, s27
	s_cbranch_vccnz .LBB347_744
; %bb.743:
	s_wait_xcnt 0x0
	v_cndmask_b32_e64 v2, 0, 1, s23
	global_store_b32 v[0:1], v2, off
.LBB347_744:
	s_mov_b32 s27, 0
.LBB347_745:
	s_delay_alu instid0(SALU_CYCLE_1)
	s_and_not1_b32 vcc_lo, exec_lo, s27
	s_cbranch_vccnz .LBB347_747
; %bb.746:
	s_wait_xcnt 0x0
	v_cndmask_b32_e64 v2, 0, 1, s23
	global_store_b16 v[0:1], v2, off
.LBB347_747:
	s_mov_b32 s27, 0
.LBB347_748:
	s_delay_alu instid0(SALU_CYCLE_1)
	s_and_not1_b32 vcc_lo, exec_lo, s27
	s_cbranch_vccnz .LBB347_753
; %bb.749:
	s_wait_xcnt 0x0
	v_cndmask_b32_e64 v2, 0, 1, s23
	s_cmp_gt_i32 s26, 0
	s_mov_b32 s23, -1
	s_cbranch_scc0 .LBB347_751
; %bb.750:
	s_mov_b32 s23, 0
	global_store_b8 v[0:1], v2, off
.LBB347_751:
	s_and_not1_b32 vcc_lo, exec_lo, s23
	s_cbranch_vccnz .LBB347_753
; %bb.752:
	global_store_b8 v[0:1], v2, off
.LBB347_753:
	s_mov_b32 s28, -1
.LBB347_754:
	s_delay_alu instid0(SALU_CYCLE_1)
	s_and_not1_b32 vcc_lo, exec_lo, s28
	s_cbranch_vccnz .LBB347_756
; %bb.755:
	v_add_nc_u32_e32 v6, 0x80, v6
	s_mov_b32 s26, -1
	s_branch .LBB347_758
.LBB347_756:
	s_mov_b32 s26, 0
.LBB347_757:
                                        ; implicit-def: $vgpr6
.LBB347_758:
	s_and_not1_b32 s23, s18, exec_lo
	s_and_b32 s0, s0, exec_lo
	s_and_b32 s24, s24, exec_lo
	s_or_b32 s23, s23, s0
	s_and_not1_b32 s0, s19, exec_lo
	s_and_not1_b32 s27, s20, exec_lo
	s_and_b32 s22, s22, exec_lo
	s_or_b32 s24, s0, s24
	s_or_b32 s22, s27, s22
	s_or_not1_b32 s27, s26, exec_lo
.LBB347_759:
	s_wait_xcnt 0x0
	s_or_b32 exec_lo, exec_lo, s25
	s_mov_b32 s26, 0
	s_mov_b32 s28, 0
	;; [unrolled: 1-line block ×3, first 2 shown]
                                        ; implicit-def: $sgpr0
                                        ; implicit-def: $vgpr0_vgpr1
                                        ; implicit-def: $vgpr2
	s_and_saveexec_b32 s25, s27
	s_cbranch_execz .LBB347_1222
; %bb.760:
	s_mov_b32 s34, -1
	s_mov_b32 s27, s22
	s_mov_b32 s28, s24
	;; [unrolled: 1-line block ×3, first 2 shown]
	s_mov_b32 s26, exec_lo
	v_cmpx_gt_i32_e64 s17, v6
	s_cbranch_execz .LBB347_1142
; %bb.761:
	v_mul_lo_u32 v0, v6, s9
	s_and_b32 s0, s14, 0xff
	s_delay_alu instid0(SALU_CYCLE_1) | instskip(NEXT) | instid1(VALU_DEP_1)
	s_cmp_lt_i32 s0, 11
	v_ashrrev_i32_e32 v1, 31, v0
	s_delay_alu instid0(VALU_DEP_1)
	v_add_nc_u64_e32 v[0:1], s[6:7], v[0:1]
	s_cbranch_scc1 .LBB347_768
; %bb.762:
	s_and_b32 s28, 0xffff, s0
	s_delay_alu instid0(SALU_CYCLE_1)
	s_cmp_gt_i32 s28, 25
	s_cbranch_scc0 .LBB347_769
; %bb.763:
	s_cmp_gt_i32 s28, 28
	s_cbranch_scc0 .LBB347_770
; %bb.764:
	;; [unrolled: 3-line block ×4, first 2 shown]
	s_cmp_eq_u32 s28, 46
	s_mov_b32 s30, 0
	s_cbranch_scc0 .LBB347_775
; %bb.767:
	s_wait_loadcnt 0x0
	global_load_b32 v2, v[0:1], off
	s_mov_b32 s29, -1
	s_mov_b32 s27, 0
	s_wait_loadcnt 0x0
	v_lshlrev_b32_e32 v2, 16, v2
	s_delay_alu instid0(VALU_DEP_1)
	v_cvt_u32_f32_e32 v2, v2
	s_branch .LBB347_777
.LBB347_768:
	s_mov_b32 s28, -1
	s_mov_b32 s29, 0
	s_mov_b32 s27, s22
                                        ; implicit-def: $vgpr2
	s_branch .LBB347_838
.LBB347_769:
	s_mov_b32 s30, -1
	s_mov_b32 s29, 0
	s_mov_b32 s27, s22
                                        ; implicit-def: $vgpr2
	s_branch .LBB347_804
.LBB347_770:
	s_mov_b32 s30, -1
	s_mov_b32 s29, 0
	s_mov_b32 s27, s22
                                        ; implicit-def: $vgpr2
	s_branch .LBB347_787
.LBB347_771:
	s_mov_b32 s30, -1
	s_mov_b32 s29, 0
	s_mov_b32 s27, s22
                                        ; implicit-def: $vgpr2
	s_branch .LBB347_782
.LBB347_772:
	s_mov_b32 s30, -1
	s_mov_b32 s29, 0
	s_mov_b32 s27, s22
	s_branch .LBB347_776
.LBB347_773:
	s_and_not1_saveexec_b32 s30, s30
	s_cbranch_execz .LBB347_667
.LBB347_774:
	v_add_f32_e32 v2, 0x46000000, v3
	s_and_not1_b32 s29, s29, exec_lo
	s_delay_alu instid0(VALU_DEP_1) | instskip(NEXT) | instid1(VALU_DEP_1)
	v_and_b32_e32 v2, 0xff, v2
	v_cmp_ne_u32_e32 vcc_lo, 0, v2
	s_and_b32 s31, vcc_lo, exec_lo
	s_delay_alu instid0(SALU_CYCLE_1)
	s_or_b32 s29, s29, s31
	s_or_b32 exec_lo, exec_lo, s30
	v_mov_b32_e32 v4, 0
	s_and_saveexec_b32 s30, s29
	s_cbranch_execnz .LBB347_668
	s_branch .LBB347_669
.LBB347_775:
	s_mov_b32 s27, -1
	s_mov_b32 s29, 0
.LBB347_776:
                                        ; implicit-def: $vgpr2
.LBB347_777:
	s_and_b32 vcc_lo, exec_lo, s30
	s_cbranch_vccz .LBB347_781
; %bb.778:
	s_cmp_eq_u32 s28, 44
	s_cbranch_scc0 .LBB347_780
; %bb.779:
	s_wait_loadcnt 0x0
	global_load_u8 v2, v[0:1], off
	s_mov_b32 s27, 0
	s_mov_b32 s29, -1
	s_wait_loadcnt 0x0
	v_lshlrev_b32_e32 v3, 23, v2
	v_cmp_ne_u32_e32 vcc_lo, 0, v2
	s_delay_alu instid0(VALU_DEP_2) | instskip(NEXT) | instid1(VALU_DEP_1)
	v_cvt_u32_f32_e32 v3, v3
	v_cndmask_b32_e32 v2, 0, v3, vcc_lo
	s_branch .LBB347_781
.LBB347_780:
	s_mov_b32 s27, -1
                                        ; implicit-def: $vgpr2
.LBB347_781:
	s_mov_b32 s30, 0
.LBB347_782:
	s_delay_alu instid0(SALU_CYCLE_1)
	s_and_b32 vcc_lo, exec_lo, s30
	s_cbranch_vccz .LBB347_786
; %bb.783:
	s_cmp_eq_u32 s28, 29
	s_cbranch_scc0 .LBB347_785
; %bb.784:
	s_wait_loadcnt 0x0
	global_load_b32 v2, v[0:1], off
	s_mov_b32 s29, -1
	s_mov_b32 s27, 0
	s_branch .LBB347_786
.LBB347_785:
	s_mov_b32 s27, -1
                                        ; implicit-def: $vgpr2
.LBB347_786:
	s_mov_b32 s30, 0
.LBB347_787:
	s_delay_alu instid0(SALU_CYCLE_1)
	s_and_b32 vcc_lo, exec_lo, s30
	s_cbranch_vccz .LBB347_803
; %bb.788:
	s_cmp_lt_i32 s28, 27
	s_cbranch_scc1 .LBB347_791
; %bb.789:
	s_cmp_gt_i32 s28, 27
	s_cbranch_scc0 .LBB347_792
; %bb.790:
	s_wait_loadcnt 0x0
	global_load_b32 v2, v[0:1], off
	s_mov_b32 s29, 0
	s_branch .LBB347_793
.LBB347_791:
	s_mov_b32 s29, -1
                                        ; implicit-def: $vgpr2
	s_branch .LBB347_796
.LBB347_792:
	s_mov_b32 s29, -1
                                        ; implicit-def: $vgpr2
.LBB347_793:
	s_delay_alu instid0(SALU_CYCLE_1)
	s_and_not1_b32 vcc_lo, exec_lo, s29
	s_cbranch_vccnz .LBB347_795
; %bb.794:
	s_wait_loadcnt 0x0
	global_load_u16 v2, v[0:1], off
.LBB347_795:
	s_mov_b32 s29, 0
.LBB347_796:
	s_delay_alu instid0(SALU_CYCLE_1)
	s_and_not1_b32 vcc_lo, exec_lo, s29
	s_cbranch_vccnz .LBB347_802
; %bb.797:
	s_wait_loadcnt 0x0
	global_load_u8 v3, v[0:1], off
	s_mov_b32 s30, 0
	s_mov_b32 s29, exec_lo
	s_wait_loadcnt 0x0
	v_cmpx_lt_i16_e32 0x7f, v3
	s_xor_b32 s29, exec_lo, s29
	s_cbranch_execz .LBB347_814
; %bb.798:
	v_cmp_ne_u16_e32 vcc_lo, 0x80, v3
	s_and_b32 s30, vcc_lo, exec_lo
	s_and_not1_saveexec_b32 s29, s29
	s_cbranch_execnz .LBB347_815
.LBB347_799:
	s_or_b32 exec_lo, exec_lo, s29
	v_mov_b32_e32 v2, 0
	s_and_saveexec_b32 s29, s30
	s_cbranch_execz .LBB347_801
.LBB347_800:
	v_and_b32_e32 v2, 0xffff, v3
	s_delay_alu instid0(VALU_DEP_1) | instskip(SKIP_1) | instid1(VALU_DEP_2)
	v_and_b32_e32 v4, 7, v2
	v_bfe_u32 v8, v2, 3, 4
	v_clz_i32_u32_e32 v5, v4
	s_delay_alu instid0(VALU_DEP_2) | instskip(NEXT) | instid1(VALU_DEP_2)
	v_cmp_eq_u32_e32 vcc_lo, 0, v8
	v_min_u32_e32 v5, 32, v5
	s_delay_alu instid0(VALU_DEP_1) | instskip(NEXT) | instid1(VALU_DEP_1)
	v_subrev_nc_u32_e32 v7, 28, v5
	v_dual_lshlrev_b32 v2, v7, v2 :: v_dual_sub_nc_u32 v5, 29, v5
	s_delay_alu instid0(VALU_DEP_1) | instskip(NEXT) | instid1(VALU_DEP_2)
	v_dual_lshlrev_b32 v3, 24, v3 :: v_dual_bitop2_b32 v2, 7, v2 bitop3:0x40
	v_cndmask_b32_e32 v5, v8, v5, vcc_lo
	s_delay_alu instid0(VALU_DEP_2) | instskip(NEXT) | instid1(VALU_DEP_3)
	v_cndmask_b32_e32 v2, v4, v2, vcc_lo
	v_and_b32_e32 v3, 0x80000000, v3
	s_delay_alu instid0(VALU_DEP_3) | instskip(NEXT) | instid1(VALU_DEP_3)
	v_lshl_add_u32 v4, v5, 23, 0x3b800000
	v_lshlrev_b32_e32 v2, 20, v2
	s_delay_alu instid0(VALU_DEP_1) | instskip(NEXT) | instid1(VALU_DEP_1)
	v_or3_b32 v2, v3, v4, v2
	v_cvt_u32_f32_e32 v2, v2
.LBB347_801:
	s_or_b32 exec_lo, exec_lo, s29
.LBB347_802:
	s_mov_b32 s29, -1
.LBB347_803:
	s_mov_b32 s30, 0
.LBB347_804:
	s_delay_alu instid0(SALU_CYCLE_1)
	s_and_b32 vcc_lo, exec_lo, s30
	s_cbranch_vccz .LBB347_837
; %bb.805:
	s_cmp_gt_i32 s28, 22
	s_cbranch_scc0 .LBB347_813
; %bb.806:
	s_cmp_lt_i32 s28, 24
	s_cbranch_scc1 .LBB347_816
; %bb.807:
	s_cmp_gt_i32 s28, 24
	s_cbranch_scc0 .LBB347_817
; %bb.808:
	s_wait_loadcnt 0x0
	global_load_u8 v3, v[0:1], off
	s_mov_b32 s30, 0
	s_mov_b32 s29, exec_lo
	s_wait_loadcnt 0x0
	v_cmpx_lt_i16_e32 0x7f, v3
	s_xor_b32 s29, exec_lo, s29
	s_cbranch_execz .LBB347_829
; %bb.809:
	v_cmp_ne_u16_e32 vcc_lo, 0x80, v3
	s_and_b32 s30, vcc_lo, exec_lo
	s_and_not1_saveexec_b32 s29, s29
	s_cbranch_execnz .LBB347_830
.LBB347_810:
	s_or_b32 exec_lo, exec_lo, s29
	v_mov_b32_e32 v2, 0
	s_and_saveexec_b32 s29, s30
	s_cbranch_execz .LBB347_812
.LBB347_811:
	v_and_b32_e32 v2, 0xffff, v3
	s_delay_alu instid0(VALU_DEP_1) | instskip(SKIP_1) | instid1(VALU_DEP_2)
	v_and_b32_e32 v4, 3, v2
	v_bfe_u32 v8, v2, 2, 5
	v_clz_i32_u32_e32 v5, v4
	s_delay_alu instid0(VALU_DEP_2) | instskip(NEXT) | instid1(VALU_DEP_2)
	v_cmp_eq_u32_e32 vcc_lo, 0, v8
	v_min_u32_e32 v5, 32, v5
	s_delay_alu instid0(VALU_DEP_1) | instskip(NEXT) | instid1(VALU_DEP_1)
	v_subrev_nc_u32_e32 v7, 29, v5
	v_dual_lshlrev_b32 v2, v7, v2 :: v_dual_sub_nc_u32 v5, 30, v5
	s_delay_alu instid0(VALU_DEP_1) | instskip(NEXT) | instid1(VALU_DEP_2)
	v_dual_lshlrev_b32 v3, 24, v3 :: v_dual_bitop2_b32 v2, 3, v2 bitop3:0x40
	v_cndmask_b32_e32 v5, v8, v5, vcc_lo
	s_delay_alu instid0(VALU_DEP_2) | instskip(NEXT) | instid1(VALU_DEP_3)
	v_cndmask_b32_e32 v2, v4, v2, vcc_lo
	v_and_b32_e32 v3, 0x80000000, v3
	s_delay_alu instid0(VALU_DEP_3) | instskip(NEXT) | instid1(VALU_DEP_3)
	v_lshl_add_u32 v4, v5, 23, 0x37800000
	v_lshlrev_b32_e32 v2, 21, v2
	s_delay_alu instid0(VALU_DEP_1) | instskip(NEXT) | instid1(VALU_DEP_1)
	v_or3_b32 v2, v3, v4, v2
	v_cvt_u32_f32_e32 v2, v2
.LBB347_812:
	s_or_b32 exec_lo, exec_lo, s29
	s_mov_b32 s29, 0
	s_branch .LBB347_818
.LBB347_813:
	s_mov_b32 s30, -1
                                        ; implicit-def: $vgpr2
	s_branch .LBB347_824
.LBB347_814:
	s_and_not1_saveexec_b32 s29, s29
	s_cbranch_execz .LBB347_799
.LBB347_815:
	v_cmp_ne_u16_e32 vcc_lo, 0, v3
	s_and_not1_b32 s30, s30, exec_lo
	s_and_b32 s31, vcc_lo, exec_lo
	s_delay_alu instid0(SALU_CYCLE_1)
	s_or_b32 s30, s30, s31
	s_or_b32 exec_lo, exec_lo, s29
	v_mov_b32_e32 v2, 0
	s_and_saveexec_b32 s29, s30
	s_cbranch_execnz .LBB347_800
	s_branch .LBB347_801
.LBB347_816:
	s_mov_b32 s29, -1
                                        ; implicit-def: $vgpr2
	s_branch .LBB347_821
.LBB347_817:
	s_mov_b32 s29, -1
                                        ; implicit-def: $vgpr2
.LBB347_818:
	s_delay_alu instid0(SALU_CYCLE_1)
	s_and_b32 vcc_lo, exec_lo, s29
	s_cbranch_vccz .LBB347_820
; %bb.819:
	s_wait_loadcnt 0x0
	global_load_u8 v2, v[0:1], off
	s_wait_loadcnt 0x0
	v_lshlrev_b32_e32 v2, 24, v2
	s_delay_alu instid0(VALU_DEP_1) | instskip(NEXT) | instid1(VALU_DEP_1)
	v_and_b32_e32 v3, 0x7f000000, v2
	v_clz_i32_u32_e32 v4, v3
	v_add_nc_u32_e32 v7, 0x1000000, v3
	v_cmp_ne_u32_e32 vcc_lo, 0, v3
	s_delay_alu instid0(VALU_DEP_3) | instskip(NEXT) | instid1(VALU_DEP_1)
	v_min_u32_e32 v4, 32, v4
	v_sub_nc_u32_e64 v4, v4, 4 clamp
	s_delay_alu instid0(VALU_DEP_1) | instskip(NEXT) | instid1(VALU_DEP_1)
	v_dual_lshlrev_b32 v5, v4, v3 :: v_dual_lshlrev_b32 v4, 23, v4
	v_lshrrev_b32_e32 v5, 4, v5
	s_delay_alu instid0(VALU_DEP_1) | instskip(NEXT) | instid1(VALU_DEP_1)
	v_dual_sub_nc_u32 v4, v5, v4 :: v_dual_ashrrev_i32 v5, 8, v7
	v_add_nc_u32_e32 v4, 0x3c000000, v4
	s_delay_alu instid0(VALU_DEP_1) | instskip(NEXT) | instid1(VALU_DEP_1)
	v_and_or_b32 v4, 0x7f800000, v5, v4
	v_cndmask_b32_e32 v3, 0, v4, vcc_lo
	s_delay_alu instid0(VALU_DEP_1) | instskip(NEXT) | instid1(VALU_DEP_1)
	v_and_or_b32 v2, 0x80000000, v2, v3
	v_cvt_u32_f32_e32 v2, v2
.LBB347_820:
	s_mov_b32 s29, 0
.LBB347_821:
	s_delay_alu instid0(SALU_CYCLE_1)
	s_and_not1_b32 vcc_lo, exec_lo, s29
	s_cbranch_vccnz .LBB347_823
; %bb.822:
	s_wait_loadcnt 0x0
	global_load_u8 v2, v[0:1], off
	s_wait_loadcnt 0x0
	v_lshlrev_b32_e32 v3, 25, v2
	v_lshlrev_b16 v2, 8, v2
	s_delay_alu instid0(VALU_DEP_1) | instskip(SKIP_1) | instid1(VALU_DEP_2)
	v_and_or_b32 v5, 0x7f00, v2, 0.5
	v_bfe_i32 v2, v2, 0, 16
	v_dual_add_f32 v5, -0.5, v5 :: v_dual_lshrrev_b32 v4, 4, v3
	v_cmp_gt_u32_e32 vcc_lo, 0x8000000, v3
	s_delay_alu instid0(VALU_DEP_2) | instskip(NEXT) | instid1(VALU_DEP_1)
	v_or_b32_e32 v4, 0x70000000, v4
	v_mul_f32_e32 v4, 0x7800000, v4
	s_delay_alu instid0(VALU_DEP_1) | instskip(NEXT) | instid1(VALU_DEP_1)
	v_cndmask_b32_e32 v3, v4, v5, vcc_lo
	v_and_or_b32 v2, 0x80000000, v2, v3
	s_delay_alu instid0(VALU_DEP_1)
	v_cvt_u32_f32_e32 v2, v2
.LBB347_823:
	s_mov_b32 s30, 0
	s_mov_b32 s29, -1
.LBB347_824:
	s_and_not1_b32 vcc_lo, exec_lo, s30
	s_cbranch_vccnz .LBB347_837
; %bb.825:
	s_cmp_gt_i32 s28, 14
	s_cbranch_scc0 .LBB347_828
; %bb.826:
	s_cmp_eq_u32 s28, 15
	s_cbranch_scc0 .LBB347_831
; %bb.827:
	s_wait_loadcnt 0x0
	global_load_u16 v2, v[0:1], off
	s_mov_b32 s29, -1
	s_mov_b32 s27, 0
	s_wait_loadcnt 0x0
	v_lshlrev_b32_e32 v2, 16, v2
	s_delay_alu instid0(VALU_DEP_1)
	v_cvt_u32_f32_e32 v2, v2
	s_branch .LBB347_832
.LBB347_828:
	s_mov_b32 s30, -1
                                        ; implicit-def: $vgpr2
	s_branch .LBB347_833
.LBB347_829:
	s_and_not1_saveexec_b32 s29, s29
	s_cbranch_execz .LBB347_810
.LBB347_830:
	v_cmp_ne_u16_e32 vcc_lo, 0, v3
	s_and_not1_b32 s30, s30, exec_lo
	s_and_b32 s31, vcc_lo, exec_lo
	s_delay_alu instid0(SALU_CYCLE_1)
	s_or_b32 s30, s30, s31
	s_or_b32 exec_lo, exec_lo, s29
	v_mov_b32_e32 v2, 0
	s_and_saveexec_b32 s29, s30
	s_cbranch_execnz .LBB347_811
	s_branch .LBB347_812
.LBB347_831:
	s_mov_b32 s27, -1
                                        ; implicit-def: $vgpr2
.LBB347_832:
	s_mov_b32 s30, 0
.LBB347_833:
	s_delay_alu instid0(SALU_CYCLE_1)
	s_and_b32 vcc_lo, exec_lo, s30
	s_cbranch_vccz .LBB347_837
; %bb.834:
	s_cmp_eq_u32 s28, 11
	s_cbranch_scc0 .LBB347_836
; %bb.835:
	s_wait_loadcnt 0x0
	global_load_u8 v2, v[0:1], off
	s_mov_b32 s27, 0
	s_mov_b32 s29, -1
	s_wait_loadcnt 0x0
	v_cmp_ne_u16_e32 vcc_lo, 0, v2
	v_cndmask_b32_e64 v2, 0, 1, vcc_lo
	s_branch .LBB347_837
.LBB347_836:
	s_mov_b32 s27, -1
                                        ; implicit-def: $vgpr2
.LBB347_837:
	s_mov_b32 s28, 0
.LBB347_838:
	s_delay_alu instid0(SALU_CYCLE_1)
	s_and_b32 vcc_lo, exec_lo, s28
	s_cbranch_vccz .LBB347_887
; %bb.839:
	s_and_b32 s0, 0xffff, s0
	s_delay_alu instid0(SALU_CYCLE_1)
	s_cmp_lt_i32 s0, 5
	s_cbranch_scc1 .LBB347_844
; %bb.840:
	s_cmp_lt_i32 s0, 8
	s_cbranch_scc1 .LBB347_845
; %bb.841:
	;; [unrolled: 3-line block ×3, first 2 shown]
	s_cmp_gt_i32 s0, 9
	s_cbranch_scc0 .LBB347_847
; %bb.843:
	s_wait_loadcnt 0x0
	global_load_b64 v[2:3], v[0:1], off
	s_mov_b32 s28, 0
	s_wait_loadcnt 0x0
	v_cvt_u32_f64_e32 v2, v[2:3]
	s_branch .LBB347_848
.LBB347_844:
	s_mov_b32 s28, -1
                                        ; implicit-def: $vgpr2
	s_branch .LBB347_866
.LBB347_845:
	s_mov_b32 s28, -1
                                        ; implicit-def: $vgpr2
	s_branch .LBB347_854
.LBB347_846:
	s_mov_b32 s28, -1
                                        ; implicit-def: $vgpr2
	s_branch .LBB347_851
.LBB347_847:
	s_mov_b32 s28, -1
                                        ; implicit-def: $vgpr2
.LBB347_848:
	s_delay_alu instid0(SALU_CYCLE_1)
	s_and_not1_b32 vcc_lo, exec_lo, s28
	s_cbranch_vccnz .LBB347_850
; %bb.849:
	s_wait_loadcnt 0x0
	global_load_b32 v2, v[0:1], off
	s_wait_loadcnt 0x0
	v_cvt_u32_f32_e32 v2, v2
.LBB347_850:
	s_mov_b32 s28, 0
.LBB347_851:
	s_delay_alu instid0(SALU_CYCLE_1)
	s_and_not1_b32 vcc_lo, exec_lo, s28
	s_cbranch_vccnz .LBB347_853
; %bb.852:
	s_wait_loadcnt 0x0
	global_load_b32 v2, v[0:1], off
	s_wait_loadcnt 0x0
	v_cvt_f32_f16_e32 v2, v2
	s_delay_alu instid0(VALU_DEP_1)
	v_cvt_u32_f32_e32 v2, v2
.LBB347_853:
	s_mov_b32 s28, 0
.LBB347_854:
	s_delay_alu instid0(SALU_CYCLE_1)
	s_and_not1_b32 vcc_lo, exec_lo, s28
	s_cbranch_vccnz .LBB347_865
; %bb.855:
	s_cmp_lt_i32 s0, 6
	s_cbranch_scc1 .LBB347_858
; %bb.856:
	s_cmp_gt_i32 s0, 6
	s_cbranch_scc0 .LBB347_859
; %bb.857:
	s_wait_loadcnt 0x0
	global_load_b64 v[2:3], v[0:1], off
	s_mov_b32 s28, 0
	s_wait_loadcnt 0x0
	v_cvt_u32_f64_e32 v2, v[2:3]
	s_branch .LBB347_860
.LBB347_858:
	s_mov_b32 s28, -1
                                        ; implicit-def: $vgpr2
	s_branch .LBB347_863
.LBB347_859:
	s_mov_b32 s28, -1
                                        ; implicit-def: $vgpr2
.LBB347_860:
	s_delay_alu instid0(SALU_CYCLE_1)
	s_and_not1_b32 vcc_lo, exec_lo, s28
	s_cbranch_vccnz .LBB347_862
; %bb.861:
	s_wait_loadcnt 0x0
	global_load_b32 v2, v[0:1], off
	s_wait_loadcnt 0x0
	v_cvt_u32_f32_e32 v2, v2
.LBB347_862:
	s_mov_b32 s28, 0
.LBB347_863:
	s_delay_alu instid0(SALU_CYCLE_1)
	s_and_not1_b32 vcc_lo, exec_lo, s28
	s_cbranch_vccnz .LBB347_865
; %bb.864:
	s_wait_loadcnt 0x0
	global_load_u16 v2, v[0:1], off
	s_wait_loadcnt 0x0
	v_cvt_f32_f16_e32 v2, v2
	s_delay_alu instid0(VALU_DEP_1)
	v_cvt_u32_f32_e32 v2, v2
.LBB347_865:
	s_mov_b32 s28, 0
.LBB347_866:
	s_delay_alu instid0(SALU_CYCLE_1)
	s_and_not1_b32 vcc_lo, exec_lo, s28
	s_cbranch_vccnz .LBB347_886
; %bb.867:
	s_cmp_lt_i32 s0, 2
	s_cbranch_scc1 .LBB347_871
; %bb.868:
	s_cmp_lt_i32 s0, 3
	s_cbranch_scc1 .LBB347_872
; %bb.869:
	s_cmp_gt_i32 s0, 3
	s_cbranch_scc0 .LBB347_873
; %bb.870:
	s_wait_loadcnt 0x0
	global_load_b32 v2, v[0:1], off
	s_mov_b32 s28, 0
	s_branch .LBB347_874
.LBB347_871:
	s_mov_b32 s28, -1
                                        ; implicit-def: $vgpr2
	s_branch .LBB347_880
.LBB347_872:
	s_mov_b32 s28, -1
                                        ; implicit-def: $vgpr2
	s_branch .LBB347_877
.LBB347_873:
	s_mov_b32 s28, -1
                                        ; implicit-def: $vgpr2
.LBB347_874:
	s_delay_alu instid0(SALU_CYCLE_1)
	s_and_not1_b32 vcc_lo, exec_lo, s28
	s_cbranch_vccnz .LBB347_876
; %bb.875:
	s_wait_loadcnt 0x0
	global_load_b32 v2, v[0:1], off
.LBB347_876:
	s_mov_b32 s28, 0
.LBB347_877:
	s_delay_alu instid0(SALU_CYCLE_1)
	s_and_not1_b32 vcc_lo, exec_lo, s28
	s_cbranch_vccnz .LBB347_879
; %bb.878:
	s_wait_loadcnt 0x0
	global_load_i16 v2, v[0:1], off
.LBB347_879:
	s_mov_b32 s28, 0
.LBB347_880:
	s_delay_alu instid0(SALU_CYCLE_1)
	s_and_not1_b32 vcc_lo, exec_lo, s28
	s_cbranch_vccnz .LBB347_886
; %bb.881:
	s_cmp_gt_i32 s0, 0
	s_mov_b32 s0, 0
	s_cbranch_scc0 .LBB347_883
; %bb.882:
	s_wait_loadcnt 0x0
	global_load_i8 v2, v[0:1], off
	s_branch .LBB347_884
.LBB347_883:
	s_mov_b32 s0, -1
                                        ; implicit-def: $vgpr2
.LBB347_884:
	s_delay_alu instid0(SALU_CYCLE_1)
	s_and_not1_b32 vcc_lo, exec_lo, s0
	s_cbranch_vccnz .LBB347_886
; %bb.885:
	s_wait_loadcnt 0x0
	global_load_u8 v2, v[0:1], off
.LBB347_886:
	s_mov_b32 s29, -1
.LBB347_887:
	s_delay_alu instid0(SALU_CYCLE_1)
	s_and_not1_b32 vcc_lo, exec_lo, s29
	s_cbranch_vccnz .LBB347_895
; %bb.888:
	s_wait_xcnt 0x0
	v_mul_lo_u32 v0, v6, s10
	s_and_b32 s0, s1, 0xff
	s_delay_alu instid0(SALU_CYCLE_1) | instskip(NEXT) | instid1(VALU_DEP_1)
	s_cmp_lt_i32 s0, 11
	v_ashrrev_i32_e32 v1, 31, v0
	s_delay_alu instid0(VALU_DEP_1)
	v_add_nc_u64_e32 v[0:1], s[2:3], v[0:1]
	s_cbranch_scc1 .LBB347_896
; %bb.889:
	s_and_b32 s29, 0xffff, s0
	s_delay_alu instid0(SALU_CYCLE_1)
	s_cmp_gt_i32 s29, 25
	s_cbranch_scc0 .LBB347_897
; %bb.890:
	s_cmp_gt_i32 s29, 28
	s_cbranch_scc0 .LBB347_898
; %bb.891:
	;; [unrolled: 3-line block ×4, first 2 shown]
	s_cmp_eq_u32 s29, 46
	s_mov_b32 s31, 0
	s_cbranch_scc0 .LBB347_903
; %bb.894:
	s_wait_loadcnt 0x0
	global_load_b32 v3, v[0:1], off
	s_mov_b32 s30, -1
	s_mov_b32 s28, 0
	s_wait_loadcnt 0x0
	v_lshlrev_b32_e32 v3, 16, v3
	s_delay_alu instid0(VALU_DEP_1)
	v_cvt_u32_f32_e32 v3, v3
	s_branch .LBB347_905
.LBB347_895:
	s_mov_b32 s30, 0
	s_mov_b32 s0, s23
	;; [unrolled: 1-line block ×3, first 2 shown]
	s_branch .LBB347_1140
.LBB347_896:
	s_mov_b32 s29, -1
	s_mov_b32 s30, 0
	s_mov_b32 s28, s24
                                        ; implicit-def: $vgpr3
	s_branch .LBB347_966
.LBB347_897:
	s_mov_b32 s31, -1
	s_mov_b32 s30, 0
	s_mov_b32 s28, s24
                                        ; implicit-def: $vgpr3
	s_branch .LBB347_932
.LBB347_898:
	s_mov_b32 s31, -1
	s_mov_b32 s30, 0
	s_mov_b32 s28, s24
                                        ; implicit-def: $vgpr3
	s_branch .LBB347_915
.LBB347_899:
	s_mov_b32 s31, -1
	s_mov_b32 s30, 0
	s_mov_b32 s28, s24
                                        ; implicit-def: $vgpr3
	s_branch .LBB347_910
.LBB347_900:
	s_mov_b32 s31, -1
	s_mov_b32 s30, 0
	s_mov_b32 s28, s24
	s_branch .LBB347_904
.LBB347_901:
	s_and_not1_saveexec_b32 s30, s30
	s_cbranch_execz .LBB347_680
.LBB347_902:
	v_add_f32_e32 v2, 0x42800000, v3
	s_and_not1_b32 s29, s29, exec_lo
	s_delay_alu instid0(VALU_DEP_1) | instskip(NEXT) | instid1(VALU_DEP_1)
	v_and_b32_e32 v2, 0xff, v2
	v_cmp_ne_u32_e32 vcc_lo, 0, v2
	s_and_b32 s31, vcc_lo, exec_lo
	s_delay_alu instid0(SALU_CYCLE_1)
	s_or_b32 s29, s29, s31
	s_or_b32 exec_lo, exec_lo, s30
	v_mov_b32_e32 v4, 0
	s_and_saveexec_b32 s30, s29
	s_cbranch_execnz .LBB347_681
	s_branch .LBB347_682
.LBB347_903:
	s_mov_b32 s28, -1
	s_mov_b32 s30, 0
.LBB347_904:
                                        ; implicit-def: $vgpr3
.LBB347_905:
	s_and_b32 vcc_lo, exec_lo, s31
	s_cbranch_vccz .LBB347_909
; %bb.906:
	s_cmp_eq_u32 s29, 44
	s_cbranch_scc0 .LBB347_908
; %bb.907:
	s_wait_loadcnt 0x0
	global_load_u8 v3, v[0:1], off
	s_mov_b32 s28, 0
	s_mov_b32 s30, -1
	s_wait_loadcnt 0x0
	v_lshlrev_b32_e32 v4, 23, v3
	v_cmp_ne_u32_e32 vcc_lo, 0, v3
	s_delay_alu instid0(VALU_DEP_2) | instskip(NEXT) | instid1(VALU_DEP_1)
	v_cvt_u32_f32_e32 v4, v4
	v_cndmask_b32_e32 v3, 0, v4, vcc_lo
	s_branch .LBB347_909
.LBB347_908:
	s_mov_b32 s28, -1
                                        ; implicit-def: $vgpr3
.LBB347_909:
	s_mov_b32 s31, 0
.LBB347_910:
	s_delay_alu instid0(SALU_CYCLE_1)
	s_and_b32 vcc_lo, exec_lo, s31
	s_cbranch_vccz .LBB347_914
; %bb.911:
	s_cmp_eq_u32 s29, 29
	s_cbranch_scc0 .LBB347_913
; %bb.912:
	s_wait_loadcnt 0x0
	global_load_b32 v3, v[0:1], off
	s_mov_b32 s30, -1
	s_mov_b32 s28, 0
	s_branch .LBB347_914
.LBB347_913:
	s_mov_b32 s28, -1
                                        ; implicit-def: $vgpr3
.LBB347_914:
	s_mov_b32 s31, 0
.LBB347_915:
	s_delay_alu instid0(SALU_CYCLE_1)
	s_and_b32 vcc_lo, exec_lo, s31
	s_cbranch_vccz .LBB347_931
; %bb.916:
	s_cmp_lt_i32 s29, 27
	s_cbranch_scc1 .LBB347_919
; %bb.917:
	s_cmp_gt_i32 s29, 27
	s_cbranch_scc0 .LBB347_920
; %bb.918:
	s_wait_loadcnt 0x0
	global_load_b32 v3, v[0:1], off
	s_mov_b32 s30, 0
	s_branch .LBB347_921
.LBB347_919:
	s_mov_b32 s30, -1
                                        ; implicit-def: $vgpr3
	s_branch .LBB347_924
.LBB347_920:
	s_mov_b32 s30, -1
                                        ; implicit-def: $vgpr3
.LBB347_921:
	s_delay_alu instid0(SALU_CYCLE_1)
	s_and_not1_b32 vcc_lo, exec_lo, s30
	s_cbranch_vccnz .LBB347_923
; %bb.922:
	s_wait_loadcnt 0x0
	global_load_u16 v3, v[0:1], off
.LBB347_923:
	s_mov_b32 s30, 0
.LBB347_924:
	s_delay_alu instid0(SALU_CYCLE_1)
	s_and_not1_b32 vcc_lo, exec_lo, s30
	s_cbranch_vccnz .LBB347_930
; %bb.925:
	global_load_u8 v4, v[0:1], off
	s_mov_b32 s31, 0
	s_mov_b32 s30, exec_lo
	s_wait_loadcnt 0x0
	v_cmpx_lt_i16_e32 0x7f, v4
	s_xor_b32 s30, exec_lo, s30
	s_cbranch_execz .LBB347_942
; %bb.926:
	v_cmp_ne_u16_e32 vcc_lo, 0x80, v4
	s_and_b32 s31, vcc_lo, exec_lo
	s_and_not1_saveexec_b32 s30, s30
	s_cbranch_execnz .LBB347_943
.LBB347_927:
	s_or_b32 exec_lo, exec_lo, s30
	v_mov_b32_e32 v3, 0
	s_and_saveexec_b32 s30, s31
	s_cbranch_execz .LBB347_929
.LBB347_928:
	v_and_b32_e32 v3, 0xffff, v4
	s_delay_alu instid0(VALU_DEP_1) | instskip(SKIP_1) | instid1(VALU_DEP_2)
	v_dual_lshlrev_b32 v4, 24, v4 :: v_dual_bitop2_b32 v5, 7, v3 bitop3:0x40
	v_bfe_u32 v9, v3, 3, 4
	v_and_b32_e32 v4, 0x80000000, v4
	s_delay_alu instid0(VALU_DEP_3) | instskip(NEXT) | instid1(VALU_DEP_3)
	v_clz_i32_u32_e32 v7, v5
	v_cmp_eq_u32_e32 vcc_lo, 0, v9
	s_delay_alu instid0(VALU_DEP_2) | instskip(NEXT) | instid1(VALU_DEP_1)
	v_min_u32_e32 v7, 32, v7
	v_subrev_nc_u32_e32 v8, 28, v7
	v_sub_nc_u32_e32 v7, 29, v7
	s_delay_alu instid0(VALU_DEP_2) | instskip(NEXT) | instid1(VALU_DEP_2)
	v_lshlrev_b32_e32 v3, v8, v3
	v_cndmask_b32_e32 v7, v9, v7, vcc_lo
	s_delay_alu instid0(VALU_DEP_2) | instskip(NEXT) | instid1(VALU_DEP_1)
	v_and_b32_e32 v3, 7, v3
	v_cndmask_b32_e32 v3, v5, v3, vcc_lo
	s_delay_alu instid0(VALU_DEP_3) | instskip(NEXT) | instid1(VALU_DEP_2)
	v_lshl_add_u32 v5, v7, 23, 0x3b800000
	v_lshlrev_b32_e32 v3, 20, v3
	s_delay_alu instid0(VALU_DEP_1) | instskip(NEXT) | instid1(VALU_DEP_1)
	v_or3_b32 v3, v4, v5, v3
	v_cvt_u32_f32_e32 v3, v3
.LBB347_929:
	s_or_b32 exec_lo, exec_lo, s30
.LBB347_930:
	s_mov_b32 s30, -1
.LBB347_931:
	s_mov_b32 s31, 0
.LBB347_932:
	s_delay_alu instid0(SALU_CYCLE_1)
	s_and_b32 vcc_lo, exec_lo, s31
	s_cbranch_vccz .LBB347_965
; %bb.933:
	s_cmp_gt_i32 s29, 22
	s_cbranch_scc0 .LBB347_941
; %bb.934:
	s_cmp_lt_i32 s29, 24
	s_cbranch_scc1 .LBB347_944
; %bb.935:
	s_cmp_gt_i32 s29, 24
	s_cbranch_scc0 .LBB347_945
; %bb.936:
	global_load_u8 v4, v[0:1], off
	s_mov_b32 s31, 0
	s_mov_b32 s30, exec_lo
	s_wait_loadcnt 0x0
	v_cmpx_lt_i16_e32 0x7f, v4
	s_xor_b32 s30, exec_lo, s30
	s_cbranch_execz .LBB347_957
; %bb.937:
	v_cmp_ne_u16_e32 vcc_lo, 0x80, v4
	s_and_b32 s31, vcc_lo, exec_lo
	s_and_not1_saveexec_b32 s30, s30
	s_cbranch_execnz .LBB347_958
.LBB347_938:
	s_or_b32 exec_lo, exec_lo, s30
	v_mov_b32_e32 v3, 0
	s_and_saveexec_b32 s30, s31
	s_cbranch_execz .LBB347_940
.LBB347_939:
	v_and_b32_e32 v3, 0xffff, v4
	s_delay_alu instid0(VALU_DEP_1) | instskip(SKIP_1) | instid1(VALU_DEP_2)
	v_dual_lshlrev_b32 v4, 24, v4 :: v_dual_bitop2_b32 v5, 3, v3 bitop3:0x40
	v_bfe_u32 v9, v3, 2, 5
	v_and_b32_e32 v4, 0x80000000, v4
	s_delay_alu instid0(VALU_DEP_3) | instskip(NEXT) | instid1(VALU_DEP_3)
	v_clz_i32_u32_e32 v7, v5
	v_cmp_eq_u32_e32 vcc_lo, 0, v9
	s_delay_alu instid0(VALU_DEP_2) | instskip(NEXT) | instid1(VALU_DEP_1)
	v_min_u32_e32 v7, 32, v7
	v_subrev_nc_u32_e32 v8, 29, v7
	v_sub_nc_u32_e32 v7, 30, v7
	s_delay_alu instid0(VALU_DEP_2) | instskip(NEXT) | instid1(VALU_DEP_2)
	v_lshlrev_b32_e32 v3, v8, v3
	v_cndmask_b32_e32 v7, v9, v7, vcc_lo
	s_delay_alu instid0(VALU_DEP_2) | instskip(NEXT) | instid1(VALU_DEP_1)
	v_and_b32_e32 v3, 3, v3
	v_cndmask_b32_e32 v3, v5, v3, vcc_lo
	s_delay_alu instid0(VALU_DEP_3) | instskip(NEXT) | instid1(VALU_DEP_2)
	v_lshl_add_u32 v5, v7, 23, 0x37800000
	v_lshlrev_b32_e32 v3, 21, v3
	s_delay_alu instid0(VALU_DEP_1) | instskip(NEXT) | instid1(VALU_DEP_1)
	v_or3_b32 v3, v4, v5, v3
	v_cvt_u32_f32_e32 v3, v3
.LBB347_940:
	s_or_b32 exec_lo, exec_lo, s30
	s_mov_b32 s30, 0
	s_branch .LBB347_946
.LBB347_941:
	s_mov_b32 s31, -1
                                        ; implicit-def: $vgpr3
	s_branch .LBB347_952
.LBB347_942:
	s_and_not1_saveexec_b32 s30, s30
	s_cbranch_execz .LBB347_927
.LBB347_943:
	v_cmp_ne_u16_e32 vcc_lo, 0, v4
	s_and_not1_b32 s31, s31, exec_lo
	s_and_b32 s33, vcc_lo, exec_lo
	s_delay_alu instid0(SALU_CYCLE_1)
	s_or_b32 s31, s31, s33
	s_or_b32 exec_lo, exec_lo, s30
	v_mov_b32_e32 v3, 0
	s_and_saveexec_b32 s30, s31
	s_cbranch_execnz .LBB347_928
	s_branch .LBB347_929
.LBB347_944:
	s_mov_b32 s30, -1
                                        ; implicit-def: $vgpr3
	s_branch .LBB347_949
.LBB347_945:
	s_mov_b32 s30, -1
                                        ; implicit-def: $vgpr3
.LBB347_946:
	s_delay_alu instid0(SALU_CYCLE_1)
	s_and_b32 vcc_lo, exec_lo, s30
	s_cbranch_vccz .LBB347_948
; %bb.947:
	s_wait_loadcnt 0x0
	global_load_u8 v3, v[0:1], off
	s_wait_loadcnt 0x0
	v_lshlrev_b32_e32 v3, 24, v3
	s_delay_alu instid0(VALU_DEP_1) | instskip(NEXT) | instid1(VALU_DEP_1)
	v_and_b32_e32 v4, 0x7f000000, v3
	v_clz_i32_u32_e32 v5, v4
	v_add_nc_u32_e32 v8, 0x1000000, v4
	v_cmp_ne_u32_e32 vcc_lo, 0, v4
	s_delay_alu instid0(VALU_DEP_3) | instskip(NEXT) | instid1(VALU_DEP_1)
	v_min_u32_e32 v5, 32, v5
	v_sub_nc_u32_e64 v5, v5, 4 clamp
	s_delay_alu instid0(VALU_DEP_1) | instskip(NEXT) | instid1(VALU_DEP_1)
	v_dual_lshlrev_b32 v7, v5, v4 :: v_dual_lshlrev_b32 v5, 23, v5
	v_lshrrev_b32_e32 v7, 4, v7
	s_delay_alu instid0(VALU_DEP_1) | instskip(NEXT) | instid1(VALU_DEP_1)
	v_dual_sub_nc_u32 v5, v7, v5 :: v_dual_ashrrev_i32 v7, 8, v8
	v_add_nc_u32_e32 v5, 0x3c000000, v5
	s_delay_alu instid0(VALU_DEP_1) | instskip(NEXT) | instid1(VALU_DEP_1)
	v_and_or_b32 v5, 0x7f800000, v7, v5
	v_cndmask_b32_e32 v4, 0, v5, vcc_lo
	s_delay_alu instid0(VALU_DEP_1) | instskip(NEXT) | instid1(VALU_DEP_1)
	v_and_or_b32 v3, 0x80000000, v3, v4
	v_cvt_u32_f32_e32 v3, v3
.LBB347_948:
	s_mov_b32 s30, 0
.LBB347_949:
	s_delay_alu instid0(SALU_CYCLE_1)
	s_and_not1_b32 vcc_lo, exec_lo, s30
	s_cbranch_vccnz .LBB347_951
; %bb.950:
	s_wait_loadcnt 0x0
	global_load_u8 v3, v[0:1], off
	s_wait_loadcnt 0x0
	v_lshlrev_b32_e32 v4, 25, v3
	v_lshlrev_b16 v3, 8, v3
	s_delay_alu instid0(VALU_DEP_1) | instskip(NEXT) | instid1(VALU_DEP_3)
	v_and_or_b32 v7, 0x7f00, v3, 0.5
	v_lshrrev_b32_e32 v5, 4, v4
	v_bfe_i32 v3, v3, 0, 16
	s_delay_alu instid0(VALU_DEP_3) | instskip(NEXT) | instid1(VALU_DEP_3)
	v_add_f32_e32 v7, -0.5, v7
	v_or_b32_e32 v5, 0x70000000, v5
	s_delay_alu instid0(VALU_DEP_1) | instskip(SKIP_1) | instid1(VALU_DEP_2)
	v_mul_f32_e32 v5, 0x7800000, v5
	v_cmp_gt_u32_e32 vcc_lo, 0x8000000, v4
	v_cndmask_b32_e32 v4, v5, v7, vcc_lo
	s_delay_alu instid0(VALU_DEP_1) | instskip(NEXT) | instid1(VALU_DEP_1)
	v_and_or_b32 v3, 0x80000000, v3, v4
	v_cvt_u32_f32_e32 v3, v3
.LBB347_951:
	s_mov_b32 s31, 0
	s_mov_b32 s30, -1
.LBB347_952:
	s_and_not1_b32 vcc_lo, exec_lo, s31
	s_cbranch_vccnz .LBB347_965
; %bb.953:
	s_cmp_gt_i32 s29, 14
	s_cbranch_scc0 .LBB347_956
; %bb.954:
	s_cmp_eq_u32 s29, 15
	s_cbranch_scc0 .LBB347_959
; %bb.955:
	s_wait_loadcnt 0x0
	global_load_u16 v3, v[0:1], off
	s_mov_b32 s30, -1
	s_mov_b32 s28, 0
	s_wait_loadcnt 0x0
	v_lshlrev_b32_e32 v3, 16, v3
	s_delay_alu instid0(VALU_DEP_1)
	v_cvt_u32_f32_e32 v3, v3
	s_branch .LBB347_960
.LBB347_956:
	s_mov_b32 s31, -1
                                        ; implicit-def: $vgpr3
	s_branch .LBB347_961
.LBB347_957:
	s_and_not1_saveexec_b32 s30, s30
	s_cbranch_execz .LBB347_938
.LBB347_958:
	v_cmp_ne_u16_e32 vcc_lo, 0, v4
	s_and_not1_b32 s31, s31, exec_lo
	s_and_b32 s33, vcc_lo, exec_lo
	s_delay_alu instid0(SALU_CYCLE_1)
	s_or_b32 s31, s31, s33
	s_or_b32 exec_lo, exec_lo, s30
	v_mov_b32_e32 v3, 0
	s_and_saveexec_b32 s30, s31
	s_cbranch_execnz .LBB347_939
	s_branch .LBB347_940
.LBB347_959:
	s_mov_b32 s28, -1
                                        ; implicit-def: $vgpr3
.LBB347_960:
	s_mov_b32 s31, 0
.LBB347_961:
	s_delay_alu instid0(SALU_CYCLE_1)
	s_and_b32 vcc_lo, exec_lo, s31
	s_cbranch_vccz .LBB347_965
; %bb.962:
	s_cmp_eq_u32 s29, 11
	s_cbranch_scc0 .LBB347_964
; %bb.963:
	s_wait_loadcnt 0x0
	global_load_u8 v3, v[0:1], off
	s_mov_b32 s28, 0
	s_mov_b32 s30, -1
	s_wait_loadcnt 0x0
	v_cmp_ne_u16_e32 vcc_lo, 0, v3
	v_cndmask_b32_e64 v3, 0, 1, vcc_lo
	s_branch .LBB347_965
.LBB347_964:
	s_mov_b32 s28, -1
                                        ; implicit-def: $vgpr3
.LBB347_965:
	s_mov_b32 s29, 0
.LBB347_966:
	s_delay_alu instid0(SALU_CYCLE_1)
	s_and_b32 vcc_lo, exec_lo, s29
	s_cbranch_vccz .LBB347_1015
; %bb.967:
	s_and_b32 s0, 0xffff, s0
	s_delay_alu instid0(SALU_CYCLE_1)
	s_cmp_lt_i32 s0, 5
	s_cbranch_scc1 .LBB347_972
; %bb.968:
	s_cmp_lt_i32 s0, 8
	s_cbranch_scc1 .LBB347_973
; %bb.969:
	s_cmp_lt_i32 s0, 9
	s_cbranch_scc1 .LBB347_974
; %bb.970:
	s_cmp_gt_i32 s0, 9
	s_cbranch_scc0 .LBB347_975
; %bb.971:
	global_load_b64 v[4:5], v[0:1], off
	s_mov_b32 s29, 0
	s_wait_loadcnt 0x0
	v_cvt_u32_f64_e32 v3, v[4:5]
	s_branch .LBB347_976
.LBB347_972:
	s_mov_b32 s29, -1
                                        ; implicit-def: $vgpr3
	s_branch .LBB347_994
.LBB347_973:
	s_mov_b32 s29, -1
                                        ; implicit-def: $vgpr3
	s_branch .LBB347_982
.LBB347_974:
	s_mov_b32 s29, -1
                                        ; implicit-def: $vgpr3
	s_branch .LBB347_979
.LBB347_975:
	s_mov_b32 s29, -1
                                        ; implicit-def: $vgpr3
.LBB347_976:
	s_delay_alu instid0(SALU_CYCLE_1)
	s_and_not1_b32 vcc_lo, exec_lo, s29
	s_cbranch_vccnz .LBB347_978
; %bb.977:
	s_wait_loadcnt 0x0
	global_load_b32 v3, v[0:1], off
	s_wait_loadcnt 0x0
	v_cvt_u32_f32_e32 v3, v3
.LBB347_978:
	s_mov_b32 s29, 0
.LBB347_979:
	s_delay_alu instid0(SALU_CYCLE_1)
	s_and_not1_b32 vcc_lo, exec_lo, s29
	s_cbranch_vccnz .LBB347_981
; %bb.980:
	s_wait_loadcnt 0x0
	global_load_b32 v3, v[0:1], off
	s_wait_loadcnt 0x0
	v_cvt_f32_f16_e32 v3, v3
	s_delay_alu instid0(VALU_DEP_1)
	v_cvt_u32_f32_e32 v3, v3
.LBB347_981:
	s_mov_b32 s29, 0
.LBB347_982:
	s_delay_alu instid0(SALU_CYCLE_1)
	s_and_not1_b32 vcc_lo, exec_lo, s29
	s_cbranch_vccnz .LBB347_993
; %bb.983:
	s_cmp_lt_i32 s0, 6
	s_cbranch_scc1 .LBB347_986
; %bb.984:
	s_cmp_gt_i32 s0, 6
	s_cbranch_scc0 .LBB347_987
; %bb.985:
	global_load_b64 v[4:5], v[0:1], off
	s_mov_b32 s29, 0
	s_wait_loadcnt 0x0
	v_cvt_u32_f64_e32 v3, v[4:5]
	s_branch .LBB347_988
.LBB347_986:
	s_mov_b32 s29, -1
                                        ; implicit-def: $vgpr3
	s_branch .LBB347_991
.LBB347_987:
	s_mov_b32 s29, -1
                                        ; implicit-def: $vgpr3
.LBB347_988:
	s_delay_alu instid0(SALU_CYCLE_1)
	s_and_not1_b32 vcc_lo, exec_lo, s29
	s_cbranch_vccnz .LBB347_990
; %bb.989:
	s_wait_loadcnt 0x0
	global_load_b32 v3, v[0:1], off
	s_wait_loadcnt 0x0
	v_cvt_u32_f32_e32 v3, v3
.LBB347_990:
	s_mov_b32 s29, 0
.LBB347_991:
	s_delay_alu instid0(SALU_CYCLE_1)
	s_and_not1_b32 vcc_lo, exec_lo, s29
	s_cbranch_vccnz .LBB347_993
; %bb.992:
	s_wait_loadcnt 0x0
	global_load_u16 v3, v[0:1], off
	s_wait_loadcnt 0x0
	v_cvt_f32_f16_e32 v3, v3
	s_delay_alu instid0(VALU_DEP_1)
	v_cvt_u32_f32_e32 v3, v3
.LBB347_993:
	s_mov_b32 s29, 0
.LBB347_994:
	s_delay_alu instid0(SALU_CYCLE_1)
	s_and_not1_b32 vcc_lo, exec_lo, s29
	s_cbranch_vccnz .LBB347_1014
; %bb.995:
	s_cmp_lt_i32 s0, 2
	s_cbranch_scc1 .LBB347_999
; %bb.996:
	s_cmp_lt_i32 s0, 3
	s_cbranch_scc1 .LBB347_1000
; %bb.997:
	s_cmp_gt_i32 s0, 3
	s_cbranch_scc0 .LBB347_1001
; %bb.998:
	s_wait_loadcnt 0x0
	global_load_b32 v3, v[0:1], off
	s_mov_b32 s29, 0
	s_branch .LBB347_1002
.LBB347_999:
	s_mov_b32 s29, -1
                                        ; implicit-def: $vgpr3
	s_branch .LBB347_1008
.LBB347_1000:
	s_mov_b32 s29, -1
                                        ; implicit-def: $vgpr3
	s_branch .LBB347_1005
.LBB347_1001:
	s_mov_b32 s29, -1
                                        ; implicit-def: $vgpr3
.LBB347_1002:
	s_delay_alu instid0(SALU_CYCLE_1)
	s_and_not1_b32 vcc_lo, exec_lo, s29
	s_cbranch_vccnz .LBB347_1004
; %bb.1003:
	s_wait_loadcnt 0x0
	global_load_b32 v3, v[0:1], off
.LBB347_1004:
	s_mov_b32 s29, 0
.LBB347_1005:
	s_delay_alu instid0(SALU_CYCLE_1)
	s_and_not1_b32 vcc_lo, exec_lo, s29
	s_cbranch_vccnz .LBB347_1007
; %bb.1006:
	s_wait_loadcnt 0x0
	global_load_i16 v3, v[0:1], off
.LBB347_1007:
	s_mov_b32 s29, 0
.LBB347_1008:
	s_delay_alu instid0(SALU_CYCLE_1)
	s_and_not1_b32 vcc_lo, exec_lo, s29
	s_cbranch_vccnz .LBB347_1014
; %bb.1009:
	s_cmp_gt_i32 s0, 0
	s_mov_b32 s0, 0
	s_cbranch_scc0 .LBB347_1011
; %bb.1010:
	s_wait_loadcnt 0x0
	global_load_i8 v3, v[0:1], off
	s_branch .LBB347_1012
.LBB347_1011:
	s_mov_b32 s0, -1
                                        ; implicit-def: $vgpr3
.LBB347_1012:
	s_delay_alu instid0(SALU_CYCLE_1)
	s_and_not1_b32 vcc_lo, exec_lo, s0
	s_cbranch_vccnz .LBB347_1014
; %bb.1013:
	s_wait_loadcnt 0x0
	global_load_u8 v3, v[0:1], off
.LBB347_1014:
	s_mov_b32 s30, -1
.LBB347_1015:
	s_delay_alu instid0(SALU_CYCLE_1)
	s_and_not1_b32 vcc_lo, exec_lo, s30
	s_cbranch_vccnz .LBB347_1023
; %bb.1016:
	s_wait_xcnt 0x0
	v_mul_lo_u32 v0, v6, s8
	s_wait_loadcnt 0x0
	s_delay_alu instid0(VALU_DEP_2) | instskip(SKIP_3) | instid1(VALU_DEP_2)
	v_cmp_ne_u32_e32 vcc_lo, v2, v3
	s_and_b32 s30, s12, 0xff
	s_xor_b32 s29, s16, vcc_lo
	s_cmp_lt_i32 s30, 11
	v_ashrrev_i32_e32 v1, 31, v0
	s_delay_alu instid0(VALU_DEP_1)
	v_add_nc_u64_e32 v[0:1], s[4:5], v[0:1]
	s_cbranch_scc1 .LBB347_1024
; %bb.1017:
	s_and_b32 s31, 0xffff, s30
	s_delay_alu instid0(SALU_CYCLE_1)
	s_cmp_gt_i32 s31, 25
	s_cbranch_scc0 .LBB347_1025
; %bb.1018:
	s_cmp_gt_i32 s31, 28
	s_cbranch_scc0 .LBB347_1026
; %bb.1019:
	;; [unrolled: 3-line block ×4, first 2 shown]
	s_mov_b32 s34, 0
	s_mov_b32 s0, -1
	s_cmp_eq_u32 s31, 46
	s_mov_b32 s33, 0
	s_cbranch_scc0 .LBB347_1029
; %bb.1022:
	v_cndmask_b32_e64 v2, 0, 1.0, s29
	s_mov_b32 s33, -1
	s_mov_b32 s0, 0
	s_delay_alu instid0(VALU_DEP_1) | instskip(NEXT) | instid1(VALU_DEP_1)
	v_bfe_u32 v3, v2, 16, 1
	v_add3_u32 v2, v2, v3, 0x7fff
	s_delay_alu instid0(VALU_DEP_1)
	v_lshrrev_b32_e32 v2, 16, v2
	global_store_b32 v[0:1], v2, off
	s_branch .LBB347_1029
.LBB347_1023:
	s_mov_b32 s30, 0
	s_mov_b32 s0, s23
	s_branch .LBB347_1140
.LBB347_1024:
	s_mov_b32 s31, -1
	s_mov_b32 s33, 0
	s_mov_b32 s0, s23
	s_branch .LBB347_1098
.LBB347_1025:
	s_mov_b32 s33, 0
	s_mov_b32 s0, s23
	s_branch .LBB347_1056
.LBB347_1026:
	s_mov_b32 s33, 0
	s_mov_b32 s0, s23
	s_branch .LBB347_1039
.LBB347_1027:
	s_mov_b32 s33, 0
	s_mov_b32 s0, s23
	s_branch .LBB347_1035
.LBB347_1028:
	s_mov_b32 s33, 0
	s_mov_b32 s0, s23
.LBB347_1029:
	s_and_b32 vcc_lo, exec_lo, s34
	s_cbranch_vccz .LBB347_1034
; %bb.1030:
	s_cmp_eq_u32 s31, 44
	s_mov_b32 s0, -1
	s_cbranch_scc0 .LBB347_1034
; %bb.1031:
	v_cndmask_b32_e64 v4, 0, 1.0, s29
	s_mov_b32 s33, exec_lo
	s_wait_xcnt 0x0
	s_delay_alu instid0(VALU_DEP_1) | instskip(NEXT) | instid1(VALU_DEP_1)
	v_dual_mov_b32 v3, 0xff :: v_dual_lshrrev_b32 v2, 23, v4
	v_cmpx_ne_u32_e32 0xff, v2
; %bb.1032:
	v_and_b32_e32 v3, 0x400000, v4
	v_and_or_b32 v4, 0x3fffff, v4, v2
	s_delay_alu instid0(VALU_DEP_2) | instskip(NEXT) | instid1(VALU_DEP_2)
	v_cmp_ne_u32_e32 vcc_lo, 0, v3
	v_cmp_ne_u32_e64 s0, 0, v4
	s_and_b32 s0, vcc_lo, s0
	s_delay_alu instid0(SALU_CYCLE_1) | instskip(NEXT) | instid1(VALU_DEP_1)
	v_cndmask_b32_e64 v3, 0, 1, s0
	v_add_nc_u32_e32 v3, v2, v3
; %bb.1033:
	s_or_b32 exec_lo, exec_lo, s33
	s_mov_b32 s33, -1
	s_mov_b32 s0, 0
	global_store_b8 v[0:1], v3, off
.LBB347_1034:
	s_mov_b32 s34, 0
.LBB347_1035:
	s_delay_alu instid0(SALU_CYCLE_1)
	s_and_b32 vcc_lo, exec_lo, s34
	s_cbranch_vccz .LBB347_1038
; %bb.1036:
	s_cmp_eq_u32 s31, 29
	s_mov_b32 s0, -1
	s_cbranch_scc0 .LBB347_1038
; %bb.1037:
	s_mov_b32 s0, 0
	s_wait_xcnt 0x0
	v_cndmask_b32_e64 v2, 0, 1, s29
	v_mov_b32_e32 v3, s0
	s_mov_b32 s33, -1
	s_mov_b32 s34, 0
	global_store_b64 v[0:1], v[2:3], off
	s_branch .LBB347_1039
.LBB347_1038:
	s_mov_b32 s34, 0
.LBB347_1039:
	s_delay_alu instid0(SALU_CYCLE_1)
	s_and_b32 vcc_lo, exec_lo, s34
	s_cbranch_vccz .LBB347_1055
; %bb.1040:
	s_cmp_lt_i32 s31, 27
	s_mov_b32 s33, -1
	s_cbranch_scc1 .LBB347_1046
; %bb.1041:
	s_cmp_gt_i32 s31, 27
	s_cbranch_scc0 .LBB347_1043
; %bb.1042:
	s_wait_xcnt 0x0
	v_cndmask_b32_e64 v2, 0, 1, s29
	s_mov_b32 s33, 0
	global_store_b32 v[0:1], v2, off
.LBB347_1043:
	s_and_not1_b32 vcc_lo, exec_lo, s33
	s_cbranch_vccnz .LBB347_1045
; %bb.1044:
	s_wait_xcnt 0x0
	v_cndmask_b32_e64 v2, 0, 1, s29
	global_store_b16 v[0:1], v2, off
.LBB347_1045:
	s_mov_b32 s33, 0
.LBB347_1046:
	s_delay_alu instid0(SALU_CYCLE_1)
	s_and_not1_b32 vcc_lo, exec_lo, s33
	s_cbranch_vccnz .LBB347_1054
; %bb.1047:
	s_wait_xcnt 0x0
	v_cndmask_b32_e64 v3, 0, 1.0, s29
	v_mov_b32_e32 v4, 0x80
	s_mov_b32 s33, exec_lo
	s_delay_alu instid0(VALU_DEP_2)
	v_cmpx_gt_u32_e32 0x43800000, v3
	s_cbranch_execz .LBB347_1053
; %bb.1048:
	s_mov_b32 s34, 0
	s_mov_b32 s35, exec_lo
                                        ; implicit-def: $vgpr2
	v_cmpx_lt_u32_e32 0x3bffffff, v3
	s_xor_b32 s35, exec_lo, s35
	s_cbranch_execz .LBB347_1156
; %bb.1049:
	v_bfe_u32 v2, v3, 20, 1
	s_mov_b32 s34, exec_lo
	s_delay_alu instid0(VALU_DEP_1) | instskip(NEXT) | instid1(VALU_DEP_1)
	v_add3_u32 v2, v3, v2, 0x487ffff
                                        ; implicit-def: $vgpr3
	v_lshrrev_b32_e32 v2, 20, v2
	s_and_not1_saveexec_b32 s35, s35
	s_cbranch_execnz .LBB347_1157
.LBB347_1050:
	s_or_b32 exec_lo, exec_lo, s35
	v_mov_b32_e32 v4, 0
	s_and_saveexec_b32 s35, s34
.LBB347_1051:
	v_mov_b32_e32 v4, v2
.LBB347_1052:
	s_or_b32 exec_lo, exec_lo, s35
.LBB347_1053:
	s_delay_alu instid0(SALU_CYCLE_1)
	s_or_b32 exec_lo, exec_lo, s33
	global_store_b8 v[0:1], v4, off
.LBB347_1054:
	s_mov_b32 s33, -1
.LBB347_1055:
	s_mov_b32 s34, 0
.LBB347_1056:
	s_delay_alu instid0(SALU_CYCLE_1)
	s_and_b32 vcc_lo, exec_lo, s34
	s_cbranch_vccz .LBB347_1097
; %bb.1057:
	s_cmp_gt_i32 s31, 22
	s_mov_b32 s34, -1
	s_cbranch_scc0 .LBB347_1089
; %bb.1058:
	s_cmp_lt_i32 s31, 24
	s_mov_b32 s33, -1
	s_cbranch_scc1 .LBB347_1078
; %bb.1059:
	s_cmp_gt_i32 s31, 24
	s_cbranch_scc0 .LBB347_1067
; %bb.1060:
	s_wait_xcnt 0x0
	v_cndmask_b32_e64 v3, 0, 1.0, s29
	v_mov_b32_e32 v4, 0x80
	s_mov_b32 s33, exec_lo
	s_delay_alu instid0(VALU_DEP_2)
	v_cmpx_gt_u32_e32 0x47800000, v3
	s_cbranch_execz .LBB347_1066
; %bb.1061:
	s_mov_b32 s34, 0
	s_mov_b32 s35, exec_lo
                                        ; implicit-def: $vgpr2
	v_cmpx_lt_u32_e32 0x37ffffff, v3
	s_xor_b32 s35, exec_lo, s35
	s_cbranch_execz .LBB347_2155
; %bb.1062:
	v_bfe_u32 v2, v3, 21, 1
	s_mov_b32 s34, exec_lo
	s_delay_alu instid0(VALU_DEP_1) | instskip(NEXT) | instid1(VALU_DEP_1)
	v_add3_u32 v2, v3, v2, 0x88fffff
                                        ; implicit-def: $vgpr3
	v_lshrrev_b32_e32 v2, 21, v2
	s_and_not1_saveexec_b32 s35, s35
	s_cbranch_execnz .LBB347_2156
.LBB347_1063:
	s_or_b32 exec_lo, exec_lo, s35
	v_mov_b32_e32 v4, 0
	s_and_saveexec_b32 s35, s34
.LBB347_1064:
	v_mov_b32_e32 v4, v2
.LBB347_1065:
	s_or_b32 exec_lo, exec_lo, s35
.LBB347_1066:
	s_delay_alu instid0(SALU_CYCLE_1)
	s_or_b32 exec_lo, exec_lo, s33
	s_mov_b32 s33, 0
	global_store_b8 v[0:1], v4, off
.LBB347_1067:
	s_and_b32 vcc_lo, exec_lo, s33
	s_cbranch_vccz .LBB347_1077
; %bb.1068:
	s_wait_xcnt 0x0
	v_cndmask_b32_e64 v3, 0, 1.0, s29
	s_mov_b32 s33, exec_lo
                                        ; implicit-def: $vgpr2
	s_delay_alu instid0(VALU_DEP_1)
	v_cmpx_gt_u32_e32 0x43f00000, v3
	s_xor_b32 s33, exec_lo, s33
	s_cbranch_execz .LBB347_1074
; %bb.1069:
	s_mov_b32 s34, exec_lo
                                        ; implicit-def: $vgpr2
	v_cmpx_lt_u32_e32 0x3c7fffff, v3
	s_xor_b32 s34, exec_lo, s34
; %bb.1070:
	v_bfe_u32 v2, v3, 20, 1
	s_delay_alu instid0(VALU_DEP_1) | instskip(NEXT) | instid1(VALU_DEP_1)
	v_add3_u32 v2, v3, v2, 0x407ffff
	v_and_b32_e32 v3, 0xff00000, v2
	v_lshrrev_b32_e32 v2, 20, v2
	s_delay_alu instid0(VALU_DEP_2) | instskip(NEXT) | instid1(VALU_DEP_2)
	v_cmp_ne_u32_e32 vcc_lo, 0x7f00000, v3
                                        ; implicit-def: $vgpr3
	v_cndmask_b32_e32 v2, 0x7e, v2, vcc_lo
; %bb.1071:
	s_and_not1_saveexec_b32 s34, s34
; %bb.1072:
	v_add_f32_e32 v2, 0x46800000, v3
; %bb.1073:
	s_or_b32 exec_lo, exec_lo, s34
                                        ; implicit-def: $vgpr3
.LBB347_1074:
	s_and_not1_saveexec_b32 s33, s33
; %bb.1075:
	v_mov_b32_e32 v2, 0x7f
	v_cmp_lt_u32_e32 vcc_lo, 0x7f800000, v3
	s_delay_alu instid0(VALU_DEP_2)
	v_cndmask_b32_e32 v2, 0x7e, v2, vcc_lo
; %bb.1076:
	s_or_b32 exec_lo, exec_lo, s33
	global_store_b8 v[0:1], v2, off
.LBB347_1077:
	s_mov_b32 s33, 0
.LBB347_1078:
	s_delay_alu instid0(SALU_CYCLE_1)
	s_and_not1_b32 vcc_lo, exec_lo, s33
	s_cbranch_vccnz .LBB347_1088
; %bb.1079:
	s_wait_xcnt 0x0
	v_cndmask_b32_e64 v3, 0, 1.0, s29
	s_mov_b32 s33, exec_lo
                                        ; implicit-def: $vgpr2
	s_delay_alu instid0(VALU_DEP_1)
	v_cmpx_gt_u32_e32 0x47800000, v3
	s_xor_b32 s33, exec_lo, s33
	s_cbranch_execz .LBB347_1085
; %bb.1080:
	s_mov_b32 s34, exec_lo
                                        ; implicit-def: $vgpr2
	v_cmpx_lt_u32_e32 0x387fffff, v3
	s_xor_b32 s34, exec_lo, s34
; %bb.1081:
	v_bfe_u32 v2, v3, 21, 1
	s_delay_alu instid0(VALU_DEP_1) | instskip(NEXT) | instid1(VALU_DEP_1)
	v_add3_u32 v2, v3, v2, 0x80fffff
                                        ; implicit-def: $vgpr3
	v_lshrrev_b32_e32 v2, 21, v2
; %bb.1082:
	s_and_not1_saveexec_b32 s34, s34
; %bb.1083:
	v_add_f32_e32 v2, 0x43000000, v3
; %bb.1084:
	s_or_b32 exec_lo, exec_lo, s34
                                        ; implicit-def: $vgpr3
.LBB347_1085:
	s_and_not1_saveexec_b32 s33, s33
; %bb.1086:
	v_mov_b32_e32 v2, 0x7f
	v_cmp_lt_u32_e32 vcc_lo, 0x7f800000, v3
	s_delay_alu instid0(VALU_DEP_2)
	v_cndmask_b32_e32 v2, 0x7c, v2, vcc_lo
; %bb.1087:
	s_or_b32 exec_lo, exec_lo, s33
	global_store_b8 v[0:1], v2, off
.LBB347_1088:
	s_mov_b32 s34, 0
	s_mov_b32 s33, -1
.LBB347_1089:
	s_and_not1_b32 vcc_lo, exec_lo, s34
	s_cbranch_vccnz .LBB347_1097
; %bb.1090:
	s_cmp_gt_i32 s31, 14
	s_mov_b32 s34, -1
	s_cbranch_scc0 .LBB347_1094
; %bb.1091:
	s_cmp_eq_u32 s31, 15
	s_mov_b32 s0, -1
	s_cbranch_scc0 .LBB347_1093
; %bb.1092:
	s_wait_xcnt 0x0
	v_cndmask_b32_e64 v2, 0, 1.0, s29
	s_mov_b32 s33, -1
	s_mov_b32 s0, 0
	s_delay_alu instid0(VALU_DEP_1) | instskip(NEXT) | instid1(VALU_DEP_1)
	v_bfe_u32 v3, v2, 16, 1
	v_add3_u32 v2, v2, v3, 0x7fff
	global_store_d16_hi_b16 v[0:1], v2, off
.LBB347_1093:
	s_mov_b32 s34, 0
.LBB347_1094:
	s_delay_alu instid0(SALU_CYCLE_1)
	s_and_b32 vcc_lo, exec_lo, s34
	s_cbranch_vccz .LBB347_1097
; %bb.1095:
	s_cmp_eq_u32 s31, 11
	s_mov_b32 s0, -1
	s_cbranch_scc0 .LBB347_1097
; %bb.1096:
	s_wait_xcnt 0x0
	v_cndmask_b32_e64 v2, 0, 1, s29
	s_mov_b32 s33, -1
	s_mov_b32 s0, 0
	global_store_b8 v[0:1], v2, off
.LBB347_1097:
	s_mov_b32 s31, 0
.LBB347_1098:
	s_delay_alu instid0(SALU_CYCLE_1)
	s_and_b32 vcc_lo, exec_lo, s31
	s_cbranch_vccz .LBB347_1137
; %bb.1099:
	s_and_b32 s30, 0xffff, s30
	s_mov_b32 s31, -1
	s_cmp_lt_i32 s30, 5
	s_cbranch_scc1 .LBB347_1120
; %bb.1100:
	s_cmp_lt_i32 s30, 8
	s_cbranch_scc1 .LBB347_1110
; %bb.1101:
	;; [unrolled: 3-line block ×3, first 2 shown]
	s_cmp_gt_i32 s30, 9
	s_cbranch_scc0 .LBB347_1104
; %bb.1103:
	s_wait_xcnt 0x0
	v_cndmask_b32_e64 v2, 0, 1, s29
	v_mov_b32_e32 v4, 0
	s_mov_b32 s31, 0
	s_delay_alu instid0(VALU_DEP_2) | instskip(NEXT) | instid1(VALU_DEP_2)
	v_cvt_f64_u32_e32 v[2:3], v2
	v_mov_b32_e32 v5, v4
	global_store_b128 v[0:1], v[2:5], off
.LBB347_1104:
	s_and_not1_b32 vcc_lo, exec_lo, s31
	s_cbranch_vccnz .LBB347_1106
; %bb.1105:
	s_wait_xcnt 0x0
	v_cndmask_b32_e64 v2, 0, 1.0, s29
	v_mov_b32_e32 v3, 0
	global_store_b64 v[0:1], v[2:3], off
.LBB347_1106:
	s_mov_b32 s31, 0
.LBB347_1107:
	s_delay_alu instid0(SALU_CYCLE_1)
	s_and_not1_b32 vcc_lo, exec_lo, s31
	s_cbranch_vccnz .LBB347_1109
; %bb.1108:
	s_wait_xcnt 0x0
	v_cndmask_b32_e64 v2, 0, 1.0, s29
	s_delay_alu instid0(VALU_DEP_1) | instskip(NEXT) | instid1(VALU_DEP_1)
	v_cvt_f16_f32_e32 v2, v2
	v_and_b32_e32 v2, 0xffff, v2
	global_store_b32 v[0:1], v2, off
.LBB347_1109:
	s_mov_b32 s31, 0
.LBB347_1110:
	s_delay_alu instid0(SALU_CYCLE_1)
	s_and_not1_b32 vcc_lo, exec_lo, s31
	s_cbranch_vccnz .LBB347_1119
; %bb.1111:
	s_cmp_lt_i32 s30, 6
	s_mov_b32 s31, -1
	s_cbranch_scc1 .LBB347_1117
; %bb.1112:
	s_cmp_gt_i32 s30, 6
	s_cbranch_scc0 .LBB347_1114
; %bb.1113:
	s_wait_xcnt 0x0
	v_cndmask_b32_e64 v2, 0, 1, s29
	s_mov_b32 s31, 0
	s_delay_alu instid0(VALU_DEP_1)
	v_cvt_f64_u32_e32 v[2:3], v2
	global_store_b64 v[0:1], v[2:3], off
.LBB347_1114:
	s_and_not1_b32 vcc_lo, exec_lo, s31
	s_cbranch_vccnz .LBB347_1116
; %bb.1115:
	s_wait_xcnt 0x0
	v_cndmask_b32_e64 v2, 0, 1.0, s29
	global_store_b32 v[0:1], v2, off
.LBB347_1116:
	s_mov_b32 s31, 0
.LBB347_1117:
	s_delay_alu instid0(SALU_CYCLE_1)
	s_and_not1_b32 vcc_lo, exec_lo, s31
	s_cbranch_vccnz .LBB347_1119
; %bb.1118:
	s_wait_xcnt 0x0
	v_cndmask_b32_e64 v2, 0, 1.0, s29
	s_delay_alu instid0(VALU_DEP_1)
	v_cvt_f16_f32_e32 v2, v2
	global_store_b16 v[0:1], v2, off
.LBB347_1119:
	s_mov_b32 s31, 0
.LBB347_1120:
	s_delay_alu instid0(SALU_CYCLE_1)
	s_and_not1_b32 vcc_lo, exec_lo, s31
	s_cbranch_vccnz .LBB347_1136
; %bb.1121:
	s_cmp_lt_i32 s30, 2
	s_mov_b32 s31, -1
	s_cbranch_scc1 .LBB347_1131
; %bb.1122:
	s_cmp_lt_i32 s30, 3
	s_cbranch_scc1 .LBB347_1128
; %bb.1123:
	s_cmp_gt_i32 s30, 3
	s_cbranch_scc0 .LBB347_1125
; %bb.1124:
	s_mov_b32 s31, 0
	s_wait_xcnt 0x0
	v_cndmask_b32_e64 v2, 0, 1, s29
	v_mov_b32_e32 v3, s31
	global_store_b64 v[0:1], v[2:3], off
.LBB347_1125:
	s_and_not1_b32 vcc_lo, exec_lo, s31
	s_cbranch_vccnz .LBB347_1127
; %bb.1126:
	s_wait_xcnt 0x0
	v_cndmask_b32_e64 v2, 0, 1, s29
	global_store_b32 v[0:1], v2, off
.LBB347_1127:
	s_mov_b32 s31, 0
.LBB347_1128:
	s_delay_alu instid0(SALU_CYCLE_1)
	s_and_not1_b32 vcc_lo, exec_lo, s31
	s_cbranch_vccnz .LBB347_1130
; %bb.1129:
	s_wait_xcnt 0x0
	v_cndmask_b32_e64 v2, 0, 1, s29
	global_store_b16 v[0:1], v2, off
.LBB347_1130:
	s_mov_b32 s31, 0
.LBB347_1131:
	s_delay_alu instid0(SALU_CYCLE_1)
	s_and_not1_b32 vcc_lo, exec_lo, s31
	s_cbranch_vccnz .LBB347_1136
; %bb.1132:
	s_wait_xcnt 0x0
	v_cndmask_b32_e64 v2, 0, 1, s29
	s_cmp_gt_i32 s30, 0
	s_mov_b32 s29, -1
	s_cbranch_scc0 .LBB347_1134
; %bb.1133:
	s_mov_b32 s29, 0
	global_store_b8 v[0:1], v2, off
.LBB347_1134:
	s_and_not1_b32 vcc_lo, exec_lo, s29
	s_cbranch_vccnz .LBB347_1136
; %bb.1135:
	global_store_b8 v[0:1], v2, off
.LBB347_1136:
	s_mov_b32 s33, -1
.LBB347_1137:
	s_delay_alu instid0(SALU_CYCLE_1)
	s_and_not1_b32 vcc_lo, exec_lo, s33
	s_cbranch_vccnz .LBB347_1139
; %bb.1138:
	v_add_nc_u32_e32 v6, 0x80, v6
	s_mov_b32 s30, -1
	s_branch .LBB347_1141
.LBB347_1139:
	s_mov_b32 s30, 0
.LBB347_1140:
                                        ; implicit-def: $vgpr6
.LBB347_1141:
	s_and_not1_b32 s29, s23, exec_lo
	s_and_b32 s0, s0, exec_lo
	s_and_b32 s28, s28, exec_lo
	s_or_b32 s29, s29, s0
	s_and_not1_b32 s0, s24, exec_lo
	s_and_not1_b32 s31, s22, exec_lo
	s_and_b32 s27, s27, exec_lo
	s_or_b32 s28, s0, s28
	s_or_b32 s27, s31, s27
	s_or_not1_b32 s34, s30, exec_lo
.LBB347_1142:
	s_wait_xcnt 0x0
	s_or_b32 exec_lo, exec_lo, s26
	s_mov_b32 s30, 0
	s_mov_b32 s31, 0
	;; [unrolled: 1-line block ×3, first 2 shown]
                                        ; implicit-def: $sgpr0
                                        ; implicit-def: $vgpr0_vgpr1
                                        ; implicit-def: $vgpr2
	s_and_saveexec_b32 s26, s34
	s_cbranch_execz .LBB347_1221
; %bb.1143:
	v_cmp_gt_i32_e32 vcc_lo, s17, v6
	s_mov_b32 s34, s27
	s_mov_b32 s35, 0
                                        ; implicit-def: $sgpr0
                                        ; implicit-def: $vgpr0_vgpr1
                                        ; implicit-def: $vgpr2
	s_and_saveexec_b32 s17, vcc_lo
	s_cbranch_execz .LBB347_1220
; %bb.1144:
	v_mul_lo_u32 v0, v6, s9
	s_and_b32 s0, s14, 0xff
	s_delay_alu instid0(SALU_CYCLE_1) | instskip(NEXT) | instid1(VALU_DEP_1)
	s_cmp_lt_i32 s0, 11
	v_ashrrev_i32_e32 v1, 31, v0
	s_delay_alu instid0(VALU_DEP_1)
	v_add_nc_u64_e32 v[0:1], s[6:7], v[0:1]
	s_cbranch_scc1 .LBB347_1151
; %bb.1145:
	s_and_b32 s31, 0xffff, s0
	s_delay_alu instid0(SALU_CYCLE_1)
	s_cmp_gt_i32 s31, 25
	s_cbranch_scc0 .LBB347_1152
; %bb.1146:
	s_cmp_gt_i32 s31, 28
	s_cbranch_scc0 .LBB347_1153
; %bb.1147:
	;; [unrolled: 3-line block ×4, first 2 shown]
	s_cmp_eq_u32 s31, 46
	s_cbranch_scc0 .LBB347_1158
; %bb.1150:
	s_wait_loadcnt 0x0
	global_load_b32 v2, v[0:1], off
	s_mov_b32 s34, -1
	s_wait_loadcnt 0x0
	v_lshlrev_b32_e32 v2, 16, v2
	s_delay_alu instid0(VALU_DEP_1)
	v_cvt_u32_f32_e32 v2, v2
	s_branch .LBB347_1160
.LBB347_1151:
	s_mov_b32 s31, -1
	s_mov_b32 s34, 0
	s_mov_b32 s30, s27
                                        ; implicit-def: $vgpr2
	s_branch .LBB347_1219
.LBB347_1152:
	s_mov_b32 s35, -1
	s_mov_b32 s34, 0
	s_mov_b32 s30, s27
                                        ; implicit-def: $vgpr2
	s_branch .LBB347_1187
.LBB347_1153:
	s_mov_b32 s35, -1
	s_mov_b32 s34, 0
	s_mov_b32 s30, s27
                                        ; implicit-def: $vgpr2
	s_branch .LBB347_1170
.LBB347_1154:
	s_mov_b32 s35, -1
	s_mov_b32 s34, 0
	s_mov_b32 s30, s27
                                        ; implicit-def: $vgpr2
	s_branch .LBB347_1165
.LBB347_1155:
	s_mov_b32 s35, -1
	s_mov_b32 s34, 0
	s_mov_b32 s30, s27
	s_branch .LBB347_1159
.LBB347_1156:
	s_and_not1_saveexec_b32 s35, s35
	s_cbranch_execz .LBB347_1050
.LBB347_1157:
	v_add_f32_e32 v2, 0x46000000, v3
	s_and_not1_b32 s34, s34, exec_lo
	s_delay_alu instid0(VALU_DEP_1) | instskip(NEXT) | instid1(VALU_DEP_1)
	v_and_b32_e32 v2, 0xff, v2
	v_cmp_ne_u32_e32 vcc_lo, 0, v2
	s_and_b32 s36, vcc_lo, exec_lo
	s_delay_alu instid0(SALU_CYCLE_1)
	s_or_b32 s34, s34, s36
	s_or_b32 exec_lo, exec_lo, s35
	v_mov_b32_e32 v4, 0
	s_and_saveexec_b32 s35, s34
	s_cbranch_execnz .LBB347_1051
	s_branch .LBB347_1052
.LBB347_1158:
	s_mov_b32 s30, -1
	s_mov_b32 s34, 0
.LBB347_1159:
                                        ; implicit-def: $vgpr2
.LBB347_1160:
	s_and_b32 vcc_lo, exec_lo, s35
	s_cbranch_vccz .LBB347_1164
; %bb.1161:
	s_cmp_eq_u32 s31, 44
	s_cbranch_scc0 .LBB347_1163
; %bb.1162:
	s_wait_loadcnt 0x0
	global_load_u8 v2, v[0:1], off
	s_mov_b32 s30, 0
	s_mov_b32 s34, -1
	s_wait_loadcnt 0x0
	v_lshlrev_b32_e32 v3, 23, v2
	v_cmp_ne_u32_e32 vcc_lo, 0, v2
	s_delay_alu instid0(VALU_DEP_2) | instskip(NEXT) | instid1(VALU_DEP_1)
	v_cvt_u32_f32_e32 v3, v3
	v_cndmask_b32_e32 v2, 0, v3, vcc_lo
	s_branch .LBB347_1164
.LBB347_1163:
	s_mov_b32 s30, -1
                                        ; implicit-def: $vgpr2
.LBB347_1164:
	s_mov_b32 s35, 0
.LBB347_1165:
	s_delay_alu instid0(SALU_CYCLE_1)
	s_and_b32 vcc_lo, exec_lo, s35
	s_cbranch_vccz .LBB347_1169
; %bb.1166:
	s_cmp_eq_u32 s31, 29
	s_cbranch_scc0 .LBB347_1168
; %bb.1167:
	s_wait_loadcnt 0x0
	global_load_b32 v2, v[0:1], off
	s_mov_b32 s30, 0
	s_mov_b32 s34, -1
	s_branch .LBB347_1169
.LBB347_1168:
	s_mov_b32 s30, -1
                                        ; implicit-def: $vgpr2
.LBB347_1169:
	s_mov_b32 s35, 0
.LBB347_1170:
	s_delay_alu instid0(SALU_CYCLE_1)
	s_and_b32 vcc_lo, exec_lo, s35
	s_cbranch_vccz .LBB347_1186
; %bb.1171:
	s_cmp_lt_i32 s31, 27
	s_cbranch_scc1 .LBB347_1174
; %bb.1172:
	s_cmp_gt_i32 s31, 27
	s_cbranch_scc0 .LBB347_1175
; %bb.1173:
	s_wait_loadcnt 0x0
	global_load_b32 v2, v[0:1], off
	s_mov_b32 s34, 0
	s_branch .LBB347_1176
.LBB347_1174:
	s_mov_b32 s34, -1
                                        ; implicit-def: $vgpr2
	s_branch .LBB347_1179
.LBB347_1175:
	s_mov_b32 s34, -1
                                        ; implicit-def: $vgpr2
.LBB347_1176:
	s_delay_alu instid0(SALU_CYCLE_1)
	s_and_not1_b32 vcc_lo, exec_lo, s34
	s_cbranch_vccnz .LBB347_1178
; %bb.1177:
	s_wait_loadcnt 0x0
	global_load_u16 v2, v[0:1], off
.LBB347_1178:
	s_mov_b32 s34, 0
.LBB347_1179:
	s_delay_alu instid0(SALU_CYCLE_1)
	s_and_not1_b32 vcc_lo, exec_lo, s34
	s_cbranch_vccnz .LBB347_1185
; %bb.1180:
	s_wait_loadcnt 0x0
	global_load_u8 v3, v[0:1], off
	s_mov_b32 s35, 0
	s_mov_b32 s34, exec_lo
	s_wait_loadcnt 0x0
	v_cmpx_lt_i16_e32 0x7f, v3
	s_xor_b32 s34, exec_lo, s34
	s_cbranch_execz .LBB347_1197
; %bb.1181:
	v_cmp_ne_u16_e32 vcc_lo, 0x80, v3
	s_and_b32 s35, vcc_lo, exec_lo
	s_and_not1_saveexec_b32 s34, s34
	s_cbranch_execnz .LBB347_1198
.LBB347_1182:
	s_or_b32 exec_lo, exec_lo, s34
	v_mov_b32_e32 v2, 0
	s_and_saveexec_b32 s34, s35
	s_cbranch_execz .LBB347_1184
.LBB347_1183:
	v_and_b32_e32 v2, 0xffff, v3
	s_delay_alu instid0(VALU_DEP_1) | instskip(SKIP_1) | instid1(VALU_DEP_2)
	v_and_b32_e32 v4, 7, v2
	v_bfe_u32 v8, v2, 3, 4
	v_clz_i32_u32_e32 v5, v4
	s_delay_alu instid0(VALU_DEP_2) | instskip(NEXT) | instid1(VALU_DEP_2)
	v_cmp_eq_u32_e32 vcc_lo, 0, v8
	v_min_u32_e32 v5, 32, v5
	s_delay_alu instid0(VALU_DEP_1) | instskip(NEXT) | instid1(VALU_DEP_1)
	v_subrev_nc_u32_e32 v7, 28, v5
	v_dual_lshlrev_b32 v2, v7, v2 :: v_dual_sub_nc_u32 v5, 29, v5
	s_delay_alu instid0(VALU_DEP_1) | instskip(NEXT) | instid1(VALU_DEP_2)
	v_dual_lshlrev_b32 v3, 24, v3 :: v_dual_bitop2_b32 v2, 7, v2 bitop3:0x40
	v_cndmask_b32_e32 v5, v8, v5, vcc_lo
	s_delay_alu instid0(VALU_DEP_2) | instskip(NEXT) | instid1(VALU_DEP_3)
	v_cndmask_b32_e32 v2, v4, v2, vcc_lo
	v_and_b32_e32 v3, 0x80000000, v3
	s_delay_alu instid0(VALU_DEP_3) | instskip(NEXT) | instid1(VALU_DEP_3)
	v_lshl_add_u32 v4, v5, 23, 0x3b800000
	v_lshlrev_b32_e32 v2, 20, v2
	s_delay_alu instid0(VALU_DEP_1) | instskip(NEXT) | instid1(VALU_DEP_1)
	v_or3_b32 v2, v3, v4, v2
	v_cvt_u32_f32_e32 v2, v2
.LBB347_1184:
	s_or_b32 exec_lo, exec_lo, s34
.LBB347_1185:
	s_mov_b32 s34, -1
.LBB347_1186:
	s_mov_b32 s35, 0
.LBB347_1187:
	s_delay_alu instid0(SALU_CYCLE_1)
	s_and_b32 vcc_lo, exec_lo, s35
	s_cbranch_vccz .LBB347_1218
; %bb.1188:
	s_cmp_gt_i32 s31, 22
	s_cbranch_scc0 .LBB347_1196
; %bb.1189:
	s_cmp_lt_i32 s31, 24
	s_cbranch_scc1 .LBB347_1199
; %bb.1190:
	s_cmp_gt_i32 s31, 24
	s_cbranch_scc0 .LBB347_1200
; %bb.1191:
	s_wait_loadcnt 0x0
	global_load_u8 v3, v[0:1], off
	s_mov_b32 s34, 0
	s_mov_b32 s33, exec_lo
	s_wait_loadcnt 0x0
	v_cmpx_lt_i16_e32 0x7f, v3
	s_xor_b32 s33, exec_lo, s33
	s_cbranch_execz .LBB347_1212
; %bb.1192:
	v_cmp_ne_u16_e32 vcc_lo, 0x80, v3
	s_and_b32 s34, vcc_lo, exec_lo
	s_and_not1_saveexec_b32 s33, s33
	s_cbranch_execnz .LBB347_1213
.LBB347_1193:
	s_or_b32 exec_lo, exec_lo, s33
	v_mov_b32_e32 v2, 0
	s_and_saveexec_b32 s33, s34
	s_cbranch_execz .LBB347_1195
.LBB347_1194:
	v_and_b32_e32 v2, 0xffff, v3
	s_delay_alu instid0(VALU_DEP_1) | instskip(SKIP_1) | instid1(VALU_DEP_2)
	v_and_b32_e32 v4, 3, v2
	v_bfe_u32 v8, v2, 2, 5
	v_clz_i32_u32_e32 v5, v4
	s_delay_alu instid0(VALU_DEP_2) | instskip(NEXT) | instid1(VALU_DEP_2)
	v_cmp_eq_u32_e32 vcc_lo, 0, v8
	v_min_u32_e32 v5, 32, v5
	s_delay_alu instid0(VALU_DEP_1) | instskip(NEXT) | instid1(VALU_DEP_1)
	v_subrev_nc_u32_e32 v7, 29, v5
	v_dual_lshlrev_b32 v2, v7, v2 :: v_dual_sub_nc_u32 v5, 30, v5
	s_delay_alu instid0(VALU_DEP_1) | instskip(NEXT) | instid1(VALU_DEP_2)
	v_dual_lshlrev_b32 v3, 24, v3 :: v_dual_bitop2_b32 v2, 3, v2 bitop3:0x40
	v_cndmask_b32_e32 v5, v8, v5, vcc_lo
	s_delay_alu instid0(VALU_DEP_2) | instskip(NEXT) | instid1(VALU_DEP_3)
	v_cndmask_b32_e32 v2, v4, v2, vcc_lo
	v_and_b32_e32 v3, 0x80000000, v3
	s_delay_alu instid0(VALU_DEP_3) | instskip(NEXT) | instid1(VALU_DEP_3)
	v_lshl_add_u32 v4, v5, 23, 0x37800000
	v_lshlrev_b32_e32 v2, 21, v2
	s_delay_alu instid0(VALU_DEP_1) | instskip(NEXT) | instid1(VALU_DEP_1)
	v_or3_b32 v2, v3, v4, v2
	v_cvt_u32_f32_e32 v2, v2
.LBB347_1195:
	s_or_b32 exec_lo, exec_lo, s33
	s_mov_b32 s33, 0
	s_branch .LBB347_1201
.LBB347_1196:
	s_mov_b32 s33, -1
                                        ; implicit-def: $vgpr2
	s_branch .LBB347_1207
.LBB347_1197:
	s_and_not1_saveexec_b32 s34, s34
	s_cbranch_execz .LBB347_1182
.LBB347_1198:
	v_cmp_ne_u16_e32 vcc_lo, 0, v3
	s_and_not1_b32 s35, s35, exec_lo
	s_and_b32 s36, vcc_lo, exec_lo
	s_delay_alu instid0(SALU_CYCLE_1)
	s_or_b32 s35, s35, s36
	s_or_b32 exec_lo, exec_lo, s34
	v_mov_b32_e32 v2, 0
	s_and_saveexec_b32 s34, s35
	s_cbranch_execnz .LBB347_1183
	s_branch .LBB347_1184
.LBB347_1199:
	s_mov_b32 s33, -1
                                        ; implicit-def: $vgpr2
	s_branch .LBB347_1204
.LBB347_1200:
	s_mov_b32 s33, -1
                                        ; implicit-def: $vgpr2
.LBB347_1201:
	s_delay_alu instid0(SALU_CYCLE_1)
	s_and_b32 vcc_lo, exec_lo, s33
	s_cbranch_vccz .LBB347_1203
; %bb.1202:
	s_wait_loadcnt 0x0
	global_load_u8 v2, v[0:1], off
	s_wait_loadcnt 0x0
	v_lshlrev_b32_e32 v2, 24, v2
	s_delay_alu instid0(VALU_DEP_1) | instskip(NEXT) | instid1(VALU_DEP_1)
	v_and_b32_e32 v3, 0x7f000000, v2
	v_clz_i32_u32_e32 v4, v3
	v_add_nc_u32_e32 v7, 0x1000000, v3
	v_cmp_ne_u32_e32 vcc_lo, 0, v3
	s_delay_alu instid0(VALU_DEP_3) | instskip(NEXT) | instid1(VALU_DEP_1)
	v_min_u32_e32 v4, 32, v4
	v_sub_nc_u32_e64 v4, v4, 4 clamp
	s_delay_alu instid0(VALU_DEP_1) | instskip(NEXT) | instid1(VALU_DEP_1)
	v_dual_lshlrev_b32 v5, v4, v3 :: v_dual_lshlrev_b32 v4, 23, v4
	v_lshrrev_b32_e32 v5, 4, v5
	s_delay_alu instid0(VALU_DEP_1) | instskip(NEXT) | instid1(VALU_DEP_1)
	v_dual_sub_nc_u32 v4, v5, v4 :: v_dual_ashrrev_i32 v5, 8, v7
	v_add_nc_u32_e32 v4, 0x3c000000, v4
	s_delay_alu instid0(VALU_DEP_1) | instskip(NEXT) | instid1(VALU_DEP_1)
	v_and_or_b32 v4, 0x7f800000, v5, v4
	v_cndmask_b32_e32 v3, 0, v4, vcc_lo
	s_delay_alu instid0(VALU_DEP_1) | instskip(NEXT) | instid1(VALU_DEP_1)
	v_and_or_b32 v2, 0x80000000, v2, v3
	v_cvt_u32_f32_e32 v2, v2
.LBB347_1203:
	s_mov_b32 s33, 0
.LBB347_1204:
	s_delay_alu instid0(SALU_CYCLE_1)
	s_and_not1_b32 vcc_lo, exec_lo, s33
	s_cbranch_vccnz .LBB347_1206
; %bb.1205:
	s_wait_loadcnt 0x0
	global_load_u8 v2, v[0:1], off
	s_wait_loadcnt 0x0
	v_lshlrev_b32_e32 v3, 25, v2
	v_lshlrev_b16 v2, 8, v2
	s_delay_alu instid0(VALU_DEP_1) | instskip(SKIP_1) | instid1(VALU_DEP_2)
	v_and_or_b32 v5, 0x7f00, v2, 0.5
	v_bfe_i32 v2, v2, 0, 16
	v_dual_add_f32 v5, -0.5, v5 :: v_dual_lshrrev_b32 v4, 4, v3
	v_cmp_gt_u32_e32 vcc_lo, 0x8000000, v3
	s_delay_alu instid0(VALU_DEP_2) | instskip(NEXT) | instid1(VALU_DEP_1)
	v_or_b32_e32 v4, 0x70000000, v4
	v_mul_f32_e32 v4, 0x7800000, v4
	s_delay_alu instid0(VALU_DEP_1) | instskip(NEXT) | instid1(VALU_DEP_1)
	v_cndmask_b32_e32 v3, v4, v5, vcc_lo
	v_and_or_b32 v2, 0x80000000, v2, v3
	s_delay_alu instid0(VALU_DEP_1)
	v_cvt_u32_f32_e32 v2, v2
.LBB347_1206:
	s_mov_b32 s33, 0
	s_mov_b32 s34, -1
.LBB347_1207:
	s_and_not1_b32 vcc_lo, exec_lo, s33
	s_mov_b32 s33, 0
	s_cbranch_vccnz .LBB347_1218
; %bb.1208:
	s_cmp_gt_i32 s31, 14
	s_cbranch_scc0 .LBB347_1211
; %bb.1209:
	s_cmp_eq_u32 s31, 15
	s_cbranch_scc0 .LBB347_1214
; %bb.1210:
	s_wait_loadcnt 0x0
	global_load_u16 v2, v[0:1], off
	s_mov_b32 s30, 0
	s_mov_b32 s34, -1
	s_wait_loadcnt 0x0
	v_lshlrev_b32_e32 v2, 16, v2
	s_delay_alu instid0(VALU_DEP_1)
	v_cvt_u32_f32_e32 v2, v2
	s_branch .LBB347_1216
.LBB347_1211:
	s_mov_b32 s33, -1
	s_branch .LBB347_1215
.LBB347_1212:
	s_and_not1_saveexec_b32 s33, s33
	s_cbranch_execz .LBB347_1193
.LBB347_1213:
	v_cmp_ne_u16_e32 vcc_lo, 0, v3
	s_and_not1_b32 s34, s34, exec_lo
	s_and_b32 s35, vcc_lo, exec_lo
	s_delay_alu instid0(SALU_CYCLE_1)
	s_or_b32 s34, s34, s35
	s_or_b32 exec_lo, exec_lo, s33
	v_mov_b32_e32 v2, 0
	s_and_saveexec_b32 s33, s34
	s_cbranch_execnz .LBB347_1194
	s_branch .LBB347_1195
.LBB347_1214:
	s_mov_b32 s30, -1
.LBB347_1215:
                                        ; implicit-def: $vgpr2
.LBB347_1216:
	s_and_b32 vcc_lo, exec_lo, s33
	s_mov_b32 s33, 0
	s_cbranch_vccz .LBB347_1218
; %bb.1217:
	s_cmp_lg_u32 s31, 11
	s_mov_b32 s33, -1
	s_cselect_b32 s31, -1, 0
	s_and_not1_b32 s30, s30, exec_lo
	s_and_b32 s31, s31, exec_lo
	s_delay_alu instid0(SALU_CYCLE_1)
	s_or_b32 s30, s30, s31
.LBB347_1218:
	s_mov_b32 s31, 0
.LBB347_1219:
	s_and_b32 s35, s34, exec_lo
	s_and_not1_b32 s34, s27, exec_lo
	s_and_b32 s36, s30, exec_lo
	s_and_b32 s31, s31, exec_lo
	;; [unrolled: 1-line block ×3, first 2 shown]
	s_or_b32 s34, s34, s36
.LBB347_1220:
	s_wait_xcnt 0x0
	s_or_b32 exec_lo, exec_lo, s17
	s_delay_alu instid0(SALU_CYCLE_1)
	s_and_not1_b32 s17, s27, exec_lo
	s_and_b32 s27, s34, exec_lo
	s_and_b32 s33, s35, exec_lo
	;; [unrolled: 1-line block ×4, first 2 shown]
	s_or_b32 s27, s17, s27
.LBB347_1221:
	s_or_b32 exec_lo, exec_lo, s26
	s_delay_alu instid0(SALU_CYCLE_1)
	s_and_not1_b32 s17, s23, exec_lo
	s_and_b32 s23, s29, exec_lo
	s_and_not1_b32 s24, s24, exec_lo
	s_and_b32 s26, s28, exec_lo
	s_or_b32 s23, s17, s23
	s_and_not1_b32 s17, s22, exec_lo
	s_and_b32 s22, s27, exec_lo
	s_or_b32 s24, s24, s26
	s_and_b32 s29, s33, exec_lo
	s_and_b32 s28, s31, exec_lo
	s_and_b32 s26, s30, exec_lo
	s_or_b32 s22, s17, s22
.LBB347_1222:
	s_or_b32 exec_lo, exec_lo, s25
	s_delay_alu instid0(SALU_CYCLE_1)
	s_and_not1_b32 s17, s18, exec_lo
	s_and_b32 s18, s23, exec_lo
	s_and_not1_b32 s19, s19, exec_lo
	s_and_b32 s23, s24, exec_lo
	s_or_b32 s18, s17, s18
	s_and_not1_b32 s17, s20, exec_lo
	s_and_b32 s20, s22, exec_lo
	s_or_b32 s19, s19, s23
	s_and_b32 s23, s29, exec_lo
	s_and_b32 s24, s28, exec_lo
	;; [unrolled: 1-line block ×3, first 2 shown]
	s_or_b32 s20, s17, s20
	s_or_b32 exec_lo, exec_lo, s21
	s_mov_b32 s17, 0
	s_and_saveexec_b32 s21, s20
	s_cbranch_execz .LBB347_384
.LBB347_1223:
	s_mov_b32 s17, exec_lo
	s_and_not1_b32 s22, s22, exec_lo
	s_trap 2
	s_or_b32 exec_lo, exec_lo, s21
	s_and_saveexec_b32 s20, s22
	s_delay_alu instid0(SALU_CYCLE_1)
	s_xor_b32 s20, exec_lo, s20
	s_cbranch_execnz .LBB347_385
.LBB347_1224:
	s_or_b32 exec_lo, exec_lo, s20
	s_and_saveexec_b32 s20, s24
	s_cbranch_execz .LBB347_1270
.LBB347_1225:
	s_sext_i32_i16 s21, s0
	s_delay_alu instid0(SALU_CYCLE_1)
	s_cmp_lt_i32 s21, 5
	s_cbranch_scc1 .LBB347_1230
; %bb.1226:
	s_cmp_lt_i32 s21, 8
	s_cbranch_scc1 .LBB347_1231
; %bb.1227:
	s_cmp_lt_i32 s21, 9
	s_cbranch_scc1 .LBB347_1232
; %bb.1228:
	s_cmp_gt_i32 s21, 9
	s_cbranch_scc0 .LBB347_1233
; %bb.1229:
	s_wait_loadcnt 0x0
	global_load_b64 v[2:3], v[0:1], off
	s_mov_b32 s21, 0
	s_wait_loadcnt 0x0
	v_cvt_u32_f64_e32 v2, v[2:3]
	s_branch .LBB347_1234
.LBB347_1230:
                                        ; implicit-def: $vgpr2
	s_branch .LBB347_1251
.LBB347_1231:
                                        ; implicit-def: $vgpr2
	s_branch .LBB347_1240
.LBB347_1232:
	s_mov_b32 s21, -1
                                        ; implicit-def: $vgpr2
	s_branch .LBB347_1237
.LBB347_1233:
	s_mov_b32 s21, -1
                                        ; implicit-def: $vgpr2
.LBB347_1234:
	s_delay_alu instid0(SALU_CYCLE_1)
	s_and_not1_b32 vcc_lo, exec_lo, s21
	s_cbranch_vccnz .LBB347_1236
; %bb.1235:
	s_wait_loadcnt 0x0
	global_load_b32 v2, v[0:1], off
	s_wait_loadcnt 0x0
	v_cvt_u32_f32_e32 v2, v2
.LBB347_1236:
	s_mov_b32 s21, 0
.LBB347_1237:
	s_delay_alu instid0(SALU_CYCLE_1)
	s_and_not1_b32 vcc_lo, exec_lo, s21
	s_cbranch_vccnz .LBB347_1239
; %bb.1238:
	s_wait_loadcnt 0x0
	global_load_b32 v2, v[0:1], off
	s_wait_loadcnt 0x0
	v_cvt_f32_f16_e32 v2, v2
	s_delay_alu instid0(VALU_DEP_1)
	v_cvt_u32_f32_e32 v2, v2
.LBB347_1239:
	s_cbranch_execnz .LBB347_1250
.LBB347_1240:
	s_sext_i32_i16 s21, s0
	s_delay_alu instid0(SALU_CYCLE_1)
	s_cmp_lt_i32 s21, 6
	s_cbranch_scc1 .LBB347_1243
; %bb.1241:
	s_cmp_gt_i32 s21, 6
	s_cbranch_scc0 .LBB347_1244
; %bb.1242:
	s_wait_loadcnt 0x0
	global_load_b64 v[2:3], v[0:1], off
	s_mov_b32 s21, 0
	s_wait_loadcnt 0x0
	v_cvt_u32_f64_e32 v2, v[2:3]
	s_branch .LBB347_1245
.LBB347_1243:
	s_mov_b32 s21, -1
                                        ; implicit-def: $vgpr2
	s_branch .LBB347_1248
.LBB347_1244:
	s_mov_b32 s21, -1
                                        ; implicit-def: $vgpr2
.LBB347_1245:
	s_delay_alu instid0(SALU_CYCLE_1)
	s_and_not1_b32 vcc_lo, exec_lo, s21
	s_cbranch_vccnz .LBB347_1247
; %bb.1246:
	s_wait_loadcnt 0x0
	global_load_b32 v2, v[0:1], off
	s_wait_loadcnt 0x0
	v_cvt_u32_f32_e32 v2, v2
.LBB347_1247:
	s_mov_b32 s21, 0
.LBB347_1248:
	s_delay_alu instid0(SALU_CYCLE_1)
	s_and_not1_b32 vcc_lo, exec_lo, s21
	s_cbranch_vccnz .LBB347_1250
; %bb.1249:
	s_wait_loadcnt 0x0
	global_load_u16 v2, v[0:1], off
	s_wait_loadcnt 0x0
	v_cvt_f32_f16_e32 v2, v2
	s_delay_alu instid0(VALU_DEP_1)
	v_cvt_u32_f32_e32 v2, v2
.LBB347_1250:
	s_cbranch_execnz .LBB347_1269
.LBB347_1251:
	s_sext_i32_i16 s21, s0
	s_delay_alu instid0(SALU_CYCLE_1)
	s_cmp_lt_i32 s21, 2
	s_cbranch_scc1 .LBB347_1255
; %bb.1252:
	s_cmp_lt_i32 s21, 3
	s_cbranch_scc1 .LBB347_1256
; %bb.1253:
	s_cmp_gt_i32 s21, 3
	s_cbranch_scc0 .LBB347_1257
; %bb.1254:
	s_wait_loadcnt 0x0
	global_load_b32 v2, v[0:1], off
	s_mov_b32 s21, 0
	s_branch .LBB347_1258
.LBB347_1255:
                                        ; implicit-def: $vgpr2
	s_branch .LBB347_1264
.LBB347_1256:
	s_mov_b32 s21, -1
                                        ; implicit-def: $vgpr2
	s_branch .LBB347_1261
.LBB347_1257:
	s_mov_b32 s21, -1
                                        ; implicit-def: $vgpr2
.LBB347_1258:
	s_delay_alu instid0(SALU_CYCLE_1)
	s_and_not1_b32 vcc_lo, exec_lo, s21
	s_cbranch_vccnz .LBB347_1260
; %bb.1259:
	s_wait_loadcnt 0x0
	global_load_b32 v2, v[0:1], off
.LBB347_1260:
	s_mov_b32 s21, 0
.LBB347_1261:
	s_delay_alu instid0(SALU_CYCLE_1)
	s_and_not1_b32 vcc_lo, exec_lo, s21
	s_cbranch_vccnz .LBB347_1263
; %bb.1262:
	s_wait_loadcnt 0x0
	global_load_i16 v2, v[0:1], off
.LBB347_1263:
	s_cbranch_execnz .LBB347_1269
.LBB347_1264:
	s_sext_i32_i16 s0, s0
	s_delay_alu instid0(SALU_CYCLE_1)
	s_cmp_gt_i32 s0, 0
	s_mov_b32 s0, 0
	s_cbranch_scc0 .LBB347_1266
; %bb.1265:
	s_wait_loadcnt 0x0
	global_load_i8 v2, v[0:1], off
	s_branch .LBB347_1267
.LBB347_1266:
	s_mov_b32 s0, -1
                                        ; implicit-def: $vgpr2
.LBB347_1267:
	s_delay_alu instid0(SALU_CYCLE_1)
	s_and_not1_b32 vcc_lo, exec_lo, s0
	s_cbranch_vccnz .LBB347_1269
; %bb.1268:
	s_wait_loadcnt 0x0
	global_load_u8 v2, v[0:1], off
.LBB347_1269:
	s_or_b32 s23, s23, exec_lo
.LBB347_1270:
	s_wait_xcnt 0x0
	s_or_b32 exec_lo, exec_lo, s20
	s_mov_b32 s21, 0
	s_mov_b32 s24, 0
	;; [unrolled: 1-line block ×3, first 2 shown]
                                        ; implicit-def: $sgpr0
                                        ; implicit-def: $vgpr0_vgpr1
                                        ; implicit-def: $vgpr3
	s_and_saveexec_b32 s20, s23
	s_cbranch_execz .LBB347_1278
; %bb.1271:
	v_mul_lo_u32 v0, v6, s10
	s_and_b32 s0, s1, 0xff
	s_delay_alu instid0(SALU_CYCLE_1) | instskip(NEXT) | instid1(VALU_DEP_1)
	s_cmp_lt_i32 s0, 11
	v_ashrrev_i32_e32 v1, 31, v0
	s_delay_alu instid0(VALU_DEP_1)
	v_add_nc_u64_e32 v[0:1], s[2:3], v[0:1]
	s_cbranch_scc1 .LBB347_1281
; %bb.1272:
	s_and_b32 s22, 0xffff, s0
	s_mov_b32 s23, 0
	s_cmp_gt_i32 s22, 25
	s_cbranch_scc0 .LBB347_1282
; %bb.1273:
	s_cmp_gt_i32 s22, 28
	s_cbranch_scc0 .LBB347_1283
; %bb.1274:
	;; [unrolled: 3-line block ×4, first 2 shown]
	s_cmp_eq_u32 s22, 46
	s_mov_b32 s25, 0
	s_cbranch_scc0 .LBB347_1286
; %bb.1277:
	s_wait_loadcnt 0x0
	global_load_b32 v3, v[0:1], off
	s_mov_b32 s24, -1
	s_wait_loadcnt 0x0
	v_lshlrev_b32_e32 v3, 16, v3
	s_delay_alu instid0(VALU_DEP_1)
	v_cvt_u32_f32_e32 v3, v3
	s_branch .LBB347_1288
.LBB347_1278:
	s_or_b32 exec_lo, exec_lo, s20
	s_and_saveexec_b32 s20, s19
	s_cbranch_execnz .LBB347_1347
.LBB347_1279:
	s_or_b32 exec_lo, exec_lo, s20
	s_and_saveexec_b32 s19, s21
	s_delay_alu instid0(SALU_CYCLE_1)
	s_xor_b32 s19, exec_lo, s19
	s_cbranch_execz .LBB347_1348
.LBB347_1280:
	s_wait_loadcnt 0x0
	global_load_u8 v3, v[0:1], off
	s_or_b32 s22, s22, exec_lo
	s_wait_loadcnt 0x0
	v_cmp_ne_u16_e32 vcc_lo, 0, v3
	v_cndmask_b32_e64 v3, 0, 1, vcc_lo
	s_wait_xcnt 0x0
	s_or_b32 exec_lo, exec_lo, s19
	s_and_saveexec_b32 s19, s24
	s_cbranch_execz .LBB347_1394
	s_branch .LBB347_1349
.LBB347_1281:
	s_mov_b32 s25, -1
	s_mov_b32 s23, 0
	s_mov_b32 s21, s19
                                        ; implicit-def: $vgpr3
	s_branch .LBB347_1346
.LBB347_1282:
	s_mov_b32 s21, s19
                                        ; implicit-def: $vgpr3
	s_cbranch_execnz .LBB347_1315
	s_branch .LBB347_1345
.LBB347_1283:
	s_mov_b32 s25, -1
	s_mov_b32 s21, s19
                                        ; implicit-def: $vgpr3
	s_branch .LBB347_1298
.LBB347_1284:
	s_mov_b32 s25, -1
	s_mov_b32 s21, s19
                                        ; implicit-def: $vgpr3
	s_branch .LBB347_1293
.LBB347_1285:
	s_mov_b32 s25, -1
	s_mov_b32 s21, s19
	s_branch .LBB347_1287
.LBB347_1286:
	s_mov_b32 s21, -1
.LBB347_1287:
                                        ; implicit-def: $vgpr3
.LBB347_1288:
	s_and_b32 vcc_lo, exec_lo, s25
	s_cbranch_vccz .LBB347_1292
; %bb.1289:
	s_cmp_eq_u32 s22, 44
	s_cbranch_scc0 .LBB347_1291
; %bb.1290:
	s_wait_loadcnt 0x0
	global_load_u8 v3, v[0:1], off
	s_mov_b32 s21, 0
	s_mov_b32 s24, -1
	s_wait_loadcnt 0x0
	v_lshlrev_b32_e32 v4, 23, v3
	v_cmp_ne_u32_e32 vcc_lo, 0, v3
	s_delay_alu instid0(VALU_DEP_2) | instskip(NEXT) | instid1(VALU_DEP_1)
	v_cvt_u32_f32_e32 v4, v4
	v_cndmask_b32_e32 v3, 0, v4, vcc_lo
	s_branch .LBB347_1292
.LBB347_1291:
	s_mov_b32 s21, -1
                                        ; implicit-def: $vgpr3
.LBB347_1292:
	s_mov_b32 s25, 0
.LBB347_1293:
	s_delay_alu instid0(SALU_CYCLE_1)
	s_and_b32 vcc_lo, exec_lo, s25
	s_cbranch_vccz .LBB347_1297
; %bb.1294:
	s_cmp_eq_u32 s22, 29
	s_cbranch_scc0 .LBB347_1296
; %bb.1295:
	s_wait_loadcnt 0x0
	global_load_b32 v3, v[0:1], off
	s_mov_b32 s21, 0
	s_mov_b32 s24, -1
	s_branch .LBB347_1297
.LBB347_1296:
	s_mov_b32 s21, -1
                                        ; implicit-def: $vgpr3
.LBB347_1297:
	s_mov_b32 s25, 0
.LBB347_1298:
	s_delay_alu instid0(SALU_CYCLE_1)
	s_and_b32 vcc_lo, exec_lo, s25
	s_cbranch_vccz .LBB347_1314
; %bb.1299:
	s_cmp_lt_i32 s22, 27
	s_cbranch_scc1 .LBB347_1302
; %bb.1300:
	s_cmp_gt_i32 s22, 27
	s_cbranch_scc0 .LBB347_1303
; %bb.1301:
	s_wait_loadcnt 0x0
	global_load_b32 v3, v[0:1], off
	s_mov_b32 s24, 0
	s_branch .LBB347_1304
.LBB347_1302:
	s_mov_b32 s24, -1
                                        ; implicit-def: $vgpr3
	s_branch .LBB347_1307
.LBB347_1303:
	s_mov_b32 s24, -1
                                        ; implicit-def: $vgpr3
.LBB347_1304:
	s_delay_alu instid0(SALU_CYCLE_1)
	s_and_not1_b32 vcc_lo, exec_lo, s24
	s_cbranch_vccnz .LBB347_1306
; %bb.1305:
	s_wait_loadcnt 0x0
	global_load_u16 v3, v[0:1], off
.LBB347_1306:
	s_mov_b32 s24, 0
.LBB347_1307:
	s_delay_alu instid0(SALU_CYCLE_1)
	s_and_not1_b32 vcc_lo, exec_lo, s24
	s_cbranch_vccnz .LBB347_1313
; %bb.1308:
	global_load_u8 v4, v[0:1], off
	s_mov_b32 s25, 0
	s_mov_b32 s24, exec_lo
	s_wait_loadcnt 0x0
	v_cmpx_lt_i16_e32 0x7f, v4
	s_xor_b32 s24, exec_lo, s24
	s_cbranch_execz .LBB347_1324
; %bb.1309:
	v_cmp_ne_u16_e32 vcc_lo, 0x80, v4
	s_and_b32 s25, vcc_lo, exec_lo
	s_and_not1_saveexec_b32 s24, s24
	s_cbranch_execnz .LBB347_1325
.LBB347_1310:
	s_or_b32 exec_lo, exec_lo, s24
	v_mov_b32_e32 v3, 0
	s_and_saveexec_b32 s24, s25
	s_cbranch_execz .LBB347_1312
.LBB347_1311:
	v_and_b32_e32 v3, 0xffff, v4
	s_delay_alu instid0(VALU_DEP_1) | instskip(SKIP_1) | instid1(VALU_DEP_2)
	v_dual_lshlrev_b32 v4, 24, v4 :: v_dual_bitop2_b32 v5, 7, v3 bitop3:0x40
	v_bfe_u32 v9, v3, 3, 4
	v_and_b32_e32 v4, 0x80000000, v4
	s_delay_alu instid0(VALU_DEP_3) | instskip(NEXT) | instid1(VALU_DEP_3)
	v_clz_i32_u32_e32 v7, v5
	v_cmp_eq_u32_e32 vcc_lo, 0, v9
	s_delay_alu instid0(VALU_DEP_2) | instskip(NEXT) | instid1(VALU_DEP_1)
	v_min_u32_e32 v7, 32, v7
	v_subrev_nc_u32_e32 v8, 28, v7
	v_sub_nc_u32_e32 v7, 29, v7
	s_delay_alu instid0(VALU_DEP_2) | instskip(NEXT) | instid1(VALU_DEP_2)
	v_lshlrev_b32_e32 v3, v8, v3
	v_cndmask_b32_e32 v7, v9, v7, vcc_lo
	s_delay_alu instid0(VALU_DEP_2) | instskip(NEXT) | instid1(VALU_DEP_1)
	v_and_b32_e32 v3, 7, v3
	v_cndmask_b32_e32 v3, v5, v3, vcc_lo
	s_delay_alu instid0(VALU_DEP_3) | instskip(NEXT) | instid1(VALU_DEP_2)
	v_lshl_add_u32 v5, v7, 23, 0x3b800000
	v_lshlrev_b32_e32 v3, 20, v3
	s_delay_alu instid0(VALU_DEP_1) | instskip(NEXT) | instid1(VALU_DEP_1)
	v_or3_b32 v3, v4, v5, v3
	v_cvt_u32_f32_e32 v3, v3
.LBB347_1312:
	s_or_b32 exec_lo, exec_lo, s24
.LBB347_1313:
	s_mov_b32 s24, -1
.LBB347_1314:
	s_branch .LBB347_1345
.LBB347_1315:
	s_cmp_gt_i32 s22, 22
	s_cbranch_scc0 .LBB347_1323
; %bb.1316:
	s_cmp_lt_i32 s22, 24
	s_cbranch_scc1 .LBB347_1326
; %bb.1317:
	s_cmp_gt_i32 s22, 24
	s_cbranch_scc0 .LBB347_1327
; %bb.1318:
	global_load_u8 v4, v[0:1], off
	s_mov_b32 s24, 0
	s_mov_b32 s23, exec_lo
	s_wait_loadcnt 0x0
	v_cmpx_lt_i16_e32 0x7f, v4
	s_xor_b32 s23, exec_lo, s23
	s_cbranch_execz .LBB347_1339
; %bb.1319:
	v_cmp_ne_u16_e32 vcc_lo, 0x80, v4
	s_and_b32 s24, vcc_lo, exec_lo
	s_and_not1_saveexec_b32 s23, s23
	s_cbranch_execnz .LBB347_1340
.LBB347_1320:
	s_or_b32 exec_lo, exec_lo, s23
	v_mov_b32_e32 v3, 0
	s_and_saveexec_b32 s23, s24
	s_cbranch_execz .LBB347_1322
.LBB347_1321:
	v_and_b32_e32 v3, 0xffff, v4
	s_delay_alu instid0(VALU_DEP_1) | instskip(SKIP_1) | instid1(VALU_DEP_2)
	v_dual_lshlrev_b32 v4, 24, v4 :: v_dual_bitop2_b32 v5, 3, v3 bitop3:0x40
	v_bfe_u32 v9, v3, 2, 5
	v_and_b32_e32 v4, 0x80000000, v4
	s_delay_alu instid0(VALU_DEP_3) | instskip(NEXT) | instid1(VALU_DEP_3)
	v_clz_i32_u32_e32 v7, v5
	v_cmp_eq_u32_e32 vcc_lo, 0, v9
	s_delay_alu instid0(VALU_DEP_2) | instskip(NEXT) | instid1(VALU_DEP_1)
	v_min_u32_e32 v7, 32, v7
	v_subrev_nc_u32_e32 v8, 29, v7
	v_sub_nc_u32_e32 v7, 30, v7
	s_delay_alu instid0(VALU_DEP_2) | instskip(NEXT) | instid1(VALU_DEP_2)
	v_lshlrev_b32_e32 v3, v8, v3
	v_cndmask_b32_e32 v7, v9, v7, vcc_lo
	s_delay_alu instid0(VALU_DEP_2) | instskip(NEXT) | instid1(VALU_DEP_1)
	v_and_b32_e32 v3, 3, v3
	v_cndmask_b32_e32 v3, v5, v3, vcc_lo
	s_delay_alu instid0(VALU_DEP_3) | instskip(NEXT) | instid1(VALU_DEP_2)
	v_lshl_add_u32 v5, v7, 23, 0x37800000
	v_lshlrev_b32_e32 v3, 21, v3
	s_delay_alu instid0(VALU_DEP_1) | instskip(NEXT) | instid1(VALU_DEP_1)
	v_or3_b32 v3, v4, v5, v3
	v_cvt_u32_f32_e32 v3, v3
.LBB347_1322:
	s_or_b32 exec_lo, exec_lo, s23
	s_mov_b32 s23, 0
	s_branch .LBB347_1328
.LBB347_1323:
	s_mov_b32 s23, -1
                                        ; implicit-def: $vgpr3
	s_branch .LBB347_1334
.LBB347_1324:
	s_and_not1_saveexec_b32 s24, s24
	s_cbranch_execz .LBB347_1310
.LBB347_1325:
	v_cmp_ne_u16_e32 vcc_lo, 0, v4
	s_and_not1_b32 s25, s25, exec_lo
	s_and_b32 s26, vcc_lo, exec_lo
	s_delay_alu instid0(SALU_CYCLE_1)
	s_or_b32 s25, s25, s26
	s_or_b32 exec_lo, exec_lo, s24
	v_mov_b32_e32 v3, 0
	s_and_saveexec_b32 s24, s25
	s_cbranch_execnz .LBB347_1311
	s_branch .LBB347_1312
.LBB347_1326:
	s_mov_b32 s23, -1
                                        ; implicit-def: $vgpr3
	s_branch .LBB347_1331
.LBB347_1327:
	s_mov_b32 s23, -1
                                        ; implicit-def: $vgpr3
.LBB347_1328:
	s_delay_alu instid0(SALU_CYCLE_1)
	s_and_b32 vcc_lo, exec_lo, s23
	s_cbranch_vccz .LBB347_1330
; %bb.1329:
	s_wait_loadcnt 0x0
	global_load_u8 v3, v[0:1], off
	s_wait_loadcnt 0x0
	v_lshlrev_b32_e32 v3, 24, v3
	s_delay_alu instid0(VALU_DEP_1) | instskip(NEXT) | instid1(VALU_DEP_1)
	v_and_b32_e32 v4, 0x7f000000, v3
	v_clz_i32_u32_e32 v5, v4
	v_add_nc_u32_e32 v8, 0x1000000, v4
	v_cmp_ne_u32_e32 vcc_lo, 0, v4
	s_delay_alu instid0(VALU_DEP_3) | instskip(NEXT) | instid1(VALU_DEP_1)
	v_min_u32_e32 v5, 32, v5
	v_sub_nc_u32_e64 v5, v5, 4 clamp
	s_delay_alu instid0(VALU_DEP_1) | instskip(NEXT) | instid1(VALU_DEP_1)
	v_dual_lshlrev_b32 v7, v5, v4 :: v_dual_lshlrev_b32 v5, 23, v5
	v_lshrrev_b32_e32 v7, 4, v7
	s_delay_alu instid0(VALU_DEP_1) | instskip(NEXT) | instid1(VALU_DEP_1)
	v_dual_sub_nc_u32 v5, v7, v5 :: v_dual_ashrrev_i32 v7, 8, v8
	v_add_nc_u32_e32 v5, 0x3c000000, v5
	s_delay_alu instid0(VALU_DEP_1) | instskip(NEXT) | instid1(VALU_DEP_1)
	v_and_or_b32 v5, 0x7f800000, v7, v5
	v_cndmask_b32_e32 v4, 0, v5, vcc_lo
	s_delay_alu instid0(VALU_DEP_1) | instskip(NEXT) | instid1(VALU_DEP_1)
	v_and_or_b32 v3, 0x80000000, v3, v4
	v_cvt_u32_f32_e32 v3, v3
.LBB347_1330:
	s_mov_b32 s23, 0
.LBB347_1331:
	s_delay_alu instid0(SALU_CYCLE_1)
	s_and_not1_b32 vcc_lo, exec_lo, s23
	s_cbranch_vccnz .LBB347_1333
; %bb.1332:
	s_wait_loadcnt 0x0
	global_load_u8 v3, v[0:1], off
	s_wait_loadcnt 0x0
	v_lshlrev_b32_e32 v4, 25, v3
	v_lshlrev_b16 v3, 8, v3
	s_delay_alu instid0(VALU_DEP_1) | instskip(NEXT) | instid1(VALU_DEP_3)
	v_and_or_b32 v7, 0x7f00, v3, 0.5
	v_lshrrev_b32_e32 v5, 4, v4
	v_bfe_i32 v3, v3, 0, 16
	s_delay_alu instid0(VALU_DEP_3) | instskip(NEXT) | instid1(VALU_DEP_3)
	v_add_f32_e32 v7, -0.5, v7
	v_or_b32_e32 v5, 0x70000000, v5
	s_delay_alu instid0(VALU_DEP_1) | instskip(SKIP_1) | instid1(VALU_DEP_2)
	v_mul_f32_e32 v5, 0x7800000, v5
	v_cmp_gt_u32_e32 vcc_lo, 0x8000000, v4
	v_cndmask_b32_e32 v4, v5, v7, vcc_lo
	s_delay_alu instid0(VALU_DEP_1) | instskip(NEXT) | instid1(VALU_DEP_1)
	v_and_or_b32 v3, 0x80000000, v3, v4
	v_cvt_u32_f32_e32 v3, v3
.LBB347_1333:
	s_mov_b32 s23, 0
	s_mov_b32 s24, -1
.LBB347_1334:
	s_and_not1_b32 vcc_lo, exec_lo, s23
	s_mov_b32 s23, 0
	s_cbranch_vccnz .LBB347_1345
; %bb.1335:
	s_cmp_gt_i32 s22, 14
	s_cbranch_scc0 .LBB347_1338
; %bb.1336:
	s_cmp_eq_u32 s22, 15
	s_cbranch_scc0 .LBB347_1341
; %bb.1337:
	s_wait_loadcnt 0x0
	global_load_u16 v3, v[0:1], off
	s_mov_b32 s21, 0
	s_mov_b32 s24, -1
	s_wait_loadcnt 0x0
	v_lshlrev_b32_e32 v3, 16, v3
	s_delay_alu instid0(VALU_DEP_1)
	v_cvt_u32_f32_e32 v3, v3
	s_branch .LBB347_1343
.LBB347_1338:
	s_mov_b32 s23, -1
	s_branch .LBB347_1342
.LBB347_1339:
	s_and_not1_saveexec_b32 s23, s23
	s_cbranch_execz .LBB347_1320
.LBB347_1340:
	v_cmp_ne_u16_e32 vcc_lo, 0, v4
	s_and_not1_b32 s24, s24, exec_lo
	s_and_b32 s25, vcc_lo, exec_lo
	s_delay_alu instid0(SALU_CYCLE_1)
	s_or_b32 s24, s24, s25
	s_or_b32 exec_lo, exec_lo, s23
	v_mov_b32_e32 v3, 0
	s_and_saveexec_b32 s23, s24
	s_cbranch_execnz .LBB347_1321
	s_branch .LBB347_1322
.LBB347_1341:
	s_mov_b32 s21, -1
.LBB347_1342:
                                        ; implicit-def: $vgpr3
.LBB347_1343:
	s_and_b32 vcc_lo, exec_lo, s23
	s_mov_b32 s23, 0
	s_cbranch_vccz .LBB347_1345
; %bb.1344:
	s_cmp_lg_u32 s22, 11
	s_mov_b32 s23, -1
	s_cselect_b32 s22, -1, 0
	s_and_not1_b32 s21, s21, exec_lo
	s_and_b32 s22, s22, exec_lo
	s_delay_alu instid0(SALU_CYCLE_1)
	s_or_b32 s21, s21, s22
.LBB347_1345:
	s_mov_b32 s25, 0
.LBB347_1346:
	s_and_b32 s22, s24, exec_lo
	s_and_b32 s24, s25, exec_lo
	s_and_not1_b32 s19, s19, exec_lo
	s_and_b32 s25, s21, exec_lo
	s_and_b32 s21, s23, exec_lo
	s_or_b32 s19, s19, s25
	s_wait_xcnt 0x0
	s_or_b32 exec_lo, exec_lo, s20
	s_and_saveexec_b32 s20, s19
	s_cbranch_execz .LBB347_1279
.LBB347_1347:
	s_or_b32 s17, s17, exec_lo
	s_and_not1_b32 s21, s21, exec_lo
	s_trap 2
	s_or_b32 exec_lo, exec_lo, s20
	s_and_saveexec_b32 s19, s21
	s_delay_alu instid0(SALU_CYCLE_1)
	s_xor_b32 s19, exec_lo, s19
	s_cbranch_execnz .LBB347_1280
.LBB347_1348:
	s_or_b32 exec_lo, exec_lo, s19
	s_and_saveexec_b32 s19, s24
	s_cbranch_execz .LBB347_1394
.LBB347_1349:
	s_sext_i32_i16 s20, s0
	s_delay_alu instid0(SALU_CYCLE_1)
	s_cmp_lt_i32 s20, 5
	s_cbranch_scc1 .LBB347_1354
; %bb.1350:
	s_cmp_lt_i32 s20, 8
	s_cbranch_scc1 .LBB347_1355
; %bb.1351:
	;; [unrolled: 3-line block ×3, first 2 shown]
	s_cmp_gt_i32 s20, 9
	s_cbranch_scc0 .LBB347_1357
; %bb.1353:
	global_load_b64 v[4:5], v[0:1], off
	s_mov_b32 s20, 0
	s_wait_loadcnt 0x0
	v_cvt_u32_f64_e32 v3, v[4:5]
	s_branch .LBB347_1358
.LBB347_1354:
                                        ; implicit-def: $vgpr3
	s_branch .LBB347_1375
.LBB347_1355:
                                        ; implicit-def: $vgpr3
	s_branch .LBB347_1364
.LBB347_1356:
	s_mov_b32 s20, -1
                                        ; implicit-def: $vgpr3
	s_branch .LBB347_1361
.LBB347_1357:
	s_mov_b32 s20, -1
                                        ; implicit-def: $vgpr3
.LBB347_1358:
	s_delay_alu instid0(SALU_CYCLE_1)
	s_and_not1_b32 vcc_lo, exec_lo, s20
	s_cbranch_vccnz .LBB347_1360
; %bb.1359:
	s_wait_loadcnt 0x0
	global_load_b32 v3, v[0:1], off
	s_wait_loadcnt 0x0
	v_cvt_u32_f32_e32 v3, v3
.LBB347_1360:
	s_mov_b32 s20, 0
.LBB347_1361:
	s_delay_alu instid0(SALU_CYCLE_1)
	s_and_not1_b32 vcc_lo, exec_lo, s20
	s_cbranch_vccnz .LBB347_1363
; %bb.1362:
	s_wait_loadcnt 0x0
	global_load_b32 v3, v[0:1], off
	s_wait_loadcnt 0x0
	v_cvt_f32_f16_e32 v3, v3
	s_delay_alu instid0(VALU_DEP_1)
	v_cvt_u32_f32_e32 v3, v3
.LBB347_1363:
	s_cbranch_execnz .LBB347_1374
.LBB347_1364:
	s_sext_i32_i16 s20, s0
	s_delay_alu instid0(SALU_CYCLE_1)
	s_cmp_lt_i32 s20, 6
	s_cbranch_scc1 .LBB347_1367
; %bb.1365:
	s_cmp_gt_i32 s20, 6
	s_cbranch_scc0 .LBB347_1368
; %bb.1366:
	global_load_b64 v[4:5], v[0:1], off
	s_mov_b32 s20, 0
	s_wait_loadcnt 0x0
	v_cvt_u32_f64_e32 v3, v[4:5]
	s_branch .LBB347_1369
.LBB347_1367:
	s_mov_b32 s20, -1
                                        ; implicit-def: $vgpr3
	s_branch .LBB347_1372
.LBB347_1368:
	s_mov_b32 s20, -1
                                        ; implicit-def: $vgpr3
.LBB347_1369:
	s_delay_alu instid0(SALU_CYCLE_1)
	s_and_not1_b32 vcc_lo, exec_lo, s20
	s_cbranch_vccnz .LBB347_1371
; %bb.1370:
	s_wait_loadcnt 0x0
	global_load_b32 v3, v[0:1], off
	s_wait_loadcnt 0x0
	v_cvt_u32_f32_e32 v3, v3
.LBB347_1371:
	s_mov_b32 s20, 0
.LBB347_1372:
	s_delay_alu instid0(SALU_CYCLE_1)
	s_and_not1_b32 vcc_lo, exec_lo, s20
	s_cbranch_vccnz .LBB347_1374
; %bb.1373:
	s_wait_loadcnt 0x0
	global_load_u16 v3, v[0:1], off
	s_wait_loadcnt 0x0
	v_cvt_f32_f16_e32 v3, v3
	s_delay_alu instid0(VALU_DEP_1)
	v_cvt_u32_f32_e32 v3, v3
.LBB347_1374:
	s_cbranch_execnz .LBB347_1393
.LBB347_1375:
	s_sext_i32_i16 s20, s0
	s_delay_alu instid0(SALU_CYCLE_1)
	s_cmp_lt_i32 s20, 2
	s_cbranch_scc1 .LBB347_1379
; %bb.1376:
	s_cmp_lt_i32 s20, 3
	s_cbranch_scc1 .LBB347_1380
; %bb.1377:
	s_cmp_gt_i32 s20, 3
	s_cbranch_scc0 .LBB347_1381
; %bb.1378:
	s_wait_loadcnt 0x0
	global_load_b32 v3, v[0:1], off
	s_mov_b32 s20, 0
	s_branch .LBB347_1382
.LBB347_1379:
                                        ; implicit-def: $vgpr3
	s_branch .LBB347_1388
.LBB347_1380:
	s_mov_b32 s20, -1
                                        ; implicit-def: $vgpr3
	s_branch .LBB347_1385
.LBB347_1381:
	s_mov_b32 s20, -1
                                        ; implicit-def: $vgpr3
.LBB347_1382:
	s_delay_alu instid0(SALU_CYCLE_1)
	s_and_not1_b32 vcc_lo, exec_lo, s20
	s_cbranch_vccnz .LBB347_1384
; %bb.1383:
	s_wait_loadcnt 0x0
	global_load_b32 v3, v[0:1], off
.LBB347_1384:
	s_mov_b32 s20, 0
.LBB347_1385:
	s_delay_alu instid0(SALU_CYCLE_1)
	s_and_not1_b32 vcc_lo, exec_lo, s20
	s_cbranch_vccnz .LBB347_1387
; %bb.1386:
	s_wait_loadcnt 0x0
	global_load_i16 v3, v[0:1], off
.LBB347_1387:
	s_cbranch_execnz .LBB347_1393
.LBB347_1388:
	s_sext_i32_i16 s0, s0
	s_delay_alu instid0(SALU_CYCLE_1)
	s_cmp_gt_i32 s0, 0
	s_mov_b32 s0, 0
	s_cbranch_scc0 .LBB347_1390
; %bb.1389:
	s_wait_loadcnt 0x0
	global_load_i8 v3, v[0:1], off
	s_branch .LBB347_1391
.LBB347_1390:
	s_mov_b32 s0, -1
                                        ; implicit-def: $vgpr3
.LBB347_1391:
	s_delay_alu instid0(SALU_CYCLE_1)
	s_and_not1_b32 vcc_lo, exec_lo, s0
	s_cbranch_vccnz .LBB347_1393
; %bb.1392:
	s_wait_loadcnt 0x0
	global_load_u8 v3, v[0:1], off
.LBB347_1393:
	s_or_b32 s22, s22, exec_lo
.LBB347_1394:
	s_wait_xcnt 0x0
	s_or_b32 exec_lo, exec_lo, s19
	s_mov_b32 s0, 0
	s_mov_b32 s23, 0
                                        ; implicit-def: $sgpr19
                                        ; implicit-def: $sgpr20
                                        ; implicit-def: $vgpr0_vgpr1
	s_and_saveexec_b32 s21, s22
	s_cbranch_execz .LBB347_1402
; %bb.1395:
	v_mul_lo_u32 v0, v6, s8
	s_wait_loadcnt 0x0
	s_delay_alu instid0(VALU_DEP_2) | instskip(SKIP_3) | instid1(VALU_DEP_2)
	v_cmp_ne_u32_e32 vcc_lo, v2, v3
	s_and_b32 s20, s12, 0xff
	s_xor_b32 s19, s16, vcc_lo
	s_cmp_lt_i32 s20, 11
	v_ashrrev_i32_e32 v1, 31, v0
	s_delay_alu instid0(VALU_DEP_1)
	v_add_nc_u64_e32 v[0:1], s[4:5], v[0:1]
	s_cbranch_scc1 .LBB347_1405
; %bb.1396:
	s_and_b32 s16, 0xffff, s20
	s_mov_b32 s22, -1
	s_cmp_gt_i32 s16, 25
	s_mov_b32 s0, s18
	s_cbranch_scc0 .LBB347_1433
; %bb.1397:
	s_cmp_gt_i32 s16, 28
	s_mov_b32 s0, s18
	s_cbranch_scc0 .LBB347_1417
; %bb.1398:
	;; [unrolled: 4-line block ×4, first 2 shown]
	s_cmp_eq_u32 s16, 46
	s_mov_b32 s0, -1
	s_cbranch_scc0 .LBB347_1406
; %bb.1401:
	v_cndmask_b32_e64 v2, 0, 1.0, s19
	s_mov_b32 s0, 0
	s_mov_b32 s22, 0
	s_delay_alu instid0(VALU_DEP_1) | instskip(NEXT) | instid1(VALU_DEP_1)
	v_bfe_u32 v3, v2, 16, 1
	v_add3_u32 v2, v2, v3, 0x7fff
	s_delay_alu instid0(VALU_DEP_1)
	v_lshrrev_b32_e32 v2, 16, v2
	global_store_b32 v[0:1], v2, off
	s_branch .LBB347_1407
.LBB347_1402:
	s_or_b32 exec_lo, exec_lo, s21
	s_and_saveexec_b32 s16, s18
	s_cbranch_execnz .LBB347_1475
.LBB347_1403:
	s_or_b32 exec_lo, exec_lo, s16
	s_and_saveexec_b32 s16, s0
	s_delay_alu instid0(SALU_CYCLE_1)
	s_xor_b32 s0, exec_lo, s16
	s_cbranch_execz .LBB347_1476
.LBB347_1404:
	s_wait_loadcnt 0x0
	v_cndmask_b32_e64 v2, 0, 1, s19
	global_store_b8 v[0:1], v2, off
	s_wait_xcnt 0x0
	s_or_b32 exec_lo, exec_lo, s0
	s_and_saveexec_b32 s0, s23
	s_delay_alu instid0(SALU_CYCLE_1)
	s_xor_b32 s0, exec_lo, s0
	s_cbranch_execz .LBB347_1514
	s_branch .LBB347_1477
.LBB347_1405:
	s_mov_b32 s24, 0
	s_mov_b32 s22, -1
	s_mov_b32 s0, s18
	s_branch .LBB347_1474
.LBB347_1406:
	s_mov_b32 s22, 0
.LBB347_1407:
	s_delay_alu instid0(SALU_CYCLE_1)
	s_and_b32 vcc_lo, exec_lo, s22
	s_cbranch_vccz .LBB347_1412
; %bb.1408:
	s_cmp_eq_u32 s16, 44
	s_mov_b32 s0, -1
	s_cbranch_scc0 .LBB347_1412
; %bb.1409:
	v_cndmask_b32_e64 v4, 0, 1.0, s19
	s_mov_b32 s22, exec_lo
	s_wait_xcnt 0x0
	s_delay_alu instid0(VALU_DEP_1) | instskip(NEXT) | instid1(VALU_DEP_1)
	v_dual_mov_b32 v3, 0xff :: v_dual_lshrrev_b32 v2, 23, v4
	v_cmpx_ne_u32_e32 0xff, v2
; %bb.1410:
	v_and_b32_e32 v3, 0x400000, v4
	v_and_or_b32 v4, 0x3fffff, v4, v2
	s_delay_alu instid0(VALU_DEP_2) | instskip(NEXT) | instid1(VALU_DEP_2)
	v_cmp_ne_u32_e32 vcc_lo, 0, v3
	v_cmp_ne_u32_e64 s0, 0, v4
	s_and_b32 s0, vcc_lo, s0
	s_delay_alu instid0(SALU_CYCLE_1) | instskip(NEXT) | instid1(VALU_DEP_1)
	v_cndmask_b32_e64 v3, 0, 1, s0
	v_add_nc_u32_e32 v3, v2, v3
; %bb.1411:
	s_or_b32 exec_lo, exec_lo, s22
	s_mov_b32 s0, 0
	global_store_b8 v[0:1], v3, off
.LBB347_1412:
	s_mov_b32 s22, 0
.LBB347_1413:
	s_delay_alu instid0(SALU_CYCLE_1)
	s_and_b32 vcc_lo, exec_lo, s22
	s_cbranch_vccz .LBB347_1416
; %bb.1414:
	s_cmp_eq_u32 s16, 29
	s_mov_b32 s0, -1
	s_cbranch_scc0 .LBB347_1416
; %bb.1415:
	s_mov_b32 s0, 0
	s_wait_xcnt 0x0
	v_cndmask_b32_e64 v2, 0, 1, s19
	v_mov_b32_e32 v3, s0
	s_mov_b32 s22, 0
	global_store_b64 v[0:1], v[2:3], off
	s_branch .LBB347_1417
.LBB347_1416:
	s_mov_b32 s22, 0
.LBB347_1417:
	s_delay_alu instid0(SALU_CYCLE_1)
	s_and_b32 vcc_lo, exec_lo, s22
	s_cbranch_vccz .LBB347_1432
; %bb.1418:
	s_cmp_lt_i32 s16, 27
	s_mov_b32 s22, -1
	s_cbranch_scc1 .LBB347_1424
; %bb.1419:
	s_wait_xcnt 0x0
	v_cndmask_b32_e64 v2, 0, 1, s19
	s_cmp_gt_i32 s16, 27
	s_cbranch_scc0 .LBB347_1421
; %bb.1420:
	s_mov_b32 s22, 0
	global_store_b32 v[0:1], v2, off
.LBB347_1421:
	s_and_not1_b32 vcc_lo, exec_lo, s22
	s_cbranch_vccnz .LBB347_1423
; %bb.1422:
	global_store_b16 v[0:1], v2, off
.LBB347_1423:
	s_mov_b32 s22, 0
.LBB347_1424:
	s_delay_alu instid0(SALU_CYCLE_1)
	s_and_not1_b32 vcc_lo, exec_lo, s22
	s_cbranch_vccnz .LBB347_1432
; %bb.1425:
	s_wait_xcnt 0x0
	v_cndmask_b32_e64 v3, 0, 1.0, s19
	v_mov_b32_e32 v4, 0x80
	s_mov_b32 s22, exec_lo
	s_delay_alu instid0(VALU_DEP_2)
	v_cmpx_gt_u32_e32 0x43800000, v3
	s_cbranch_execz .LBB347_1431
; %bb.1426:
	s_mov_b32 s24, exec_lo
                                        ; implicit-def: $vgpr2
	v_cmpx_lt_u32_e32 0x3bffffff, v3
	s_xor_b32 s24, exec_lo, s24
	s_cbranch_execz .LBB347_1529
; %bb.1427:
	v_bfe_u32 v2, v3, 20, 1
	s_mov_b32 s23, exec_lo
	s_delay_alu instid0(VALU_DEP_1) | instskip(NEXT) | instid1(VALU_DEP_1)
	v_add3_u32 v2, v3, v2, 0x487ffff
                                        ; implicit-def: $vgpr3
	v_lshrrev_b32_e32 v2, 20, v2
	s_and_not1_saveexec_b32 s24, s24
	s_cbranch_execnz .LBB347_1530
.LBB347_1428:
	s_or_b32 exec_lo, exec_lo, s24
	v_mov_b32_e32 v4, 0
	s_and_saveexec_b32 s24, s23
.LBB347_1429:
	v_mov_b32_e32 v4, v2
.LBB347_1430:
	s_or_b32 exec_lo, exec_lo, s24
.LBB347_1431:
	s_delay_alu instid0(SALU_CYCLE_1)
	s_or_b32 exec_lo, exec_lo, s22
	global_store_b8 v[0:1], v4, off
.LBB347_1432:
	s_mov_b32 s22, 0
.LBB347_1433:
	s_delay_alu instid0(SALU_CYCLE_1)
	s_and_b32 vcc_lo, exec_lo, s22
	s_mov_b32 s22, 0
	s_cbranch_vccz .LBB347_1473
; %bb.1434:
	s_cmp_gt_i32 s16, 22
	s_mov_b32 s23, -1
	s_cbranch_scc0 .LBB347_1466
; %bb.1435:
	s_cmp_lt_i32 s16, 24
	s_cbranch_scc1 .LBB347_1455
; %bb.1436:
	s_cmp_gt_i32 s16, 24
	s_cbranch_scc0 .LBB347_1444
; %bb.1437:
	s_wait_xcnt 0x0
	v_cndmask_b32_e64 v3, 0, 1.0, s19
	v_mov_b32_e32 v4, 0x80
	s_mov_b32 s23, exec_lo
	s_delay_alu instid0(VALU_DEP_2)
	v_cmpx_gt_u32_e32 0x47800000, v3
	s_cbranch_execz .LBB347_1443
; %bb.1438:
	s_mov_b32 s24, 0
	s_mov_b32 s25, exec_lo
                                        ; implicit-def: $vgpr2
	v_cmpx_lt_u32_e32 0x37ffffff, v3
	s_xor_b32 s25, exec_lo, s25
	s_cbranch_execz .LBB347_1650
; %bb.1439:
	v_bfe_u32 v2, v3, 21, 1
	s_mov_b32 s24, exec_lo
	s_delay_alu instid0(VALU_DEP_1) | instskip(NEXT) | instid1(VALU_DEP_1)
	v_add3_u32 v2, v3, v2, 0x88fffff
                                        ; implicit-def: $vgpr3
	v_lshrrev_b32_e32 v2, 21, v2
	s_and_not1_saveexec_b32 s25, s25
	s_cbranch_execnz .LBB347_1651
.LBB347_1440:
	s_or_b32 exec_lo, exec_lo, s25
	v_mov_b32_e32 v4, 0
	s_and_saveexec_b32 s25, s24
.LBB347_1441:
	v_mov_b32_e32 v4, v2
.LBB347_1442:
	s_or_b32 exec_lo, exec_lo, s25
.LBB347_1443:
	s_delay_alu instid0(SALU_CYCLE_1)
	s_or_b32 exec_lo, exec_lo, s23
	s_mov_b32 s23, 0
	global_store_b8 v[0:1], v4, off
.LBB347_1444:
	s_and_b32 vcc_lo, exec_lo, s23
	s_cbranch_vccz .LBB347_1454
; %bb.1445:
	s_wait_xcnt 0x0
	v_cndmask_b32_e64 v3, 0, 1.0, s19
	s_mov_b32 s23, exec_lo
                                        ; implicit-def: $vgpr2
	s_delay_alu instid0(VALU_DEP_1)
	v_cmpx_gt_u32_e32 0x43f00000, v3
	s_xor_b32 s23, exec_lo, s23
	s_cbranch_execz .LBB347_1451
; %bb.1446:
	s_mov_b32 s24, exec_lo
                                        ; implicit-def: $vgpr2
	v_cmpx_lt_u32_e32 0x3c7fffff, v3
	s_xor_b32 s24, exec_lo, s24
; %bb.1447:
	v_bfe_u32 v2, v3, 20, 1
	s_delay_alu instid0(VALU_DEP_1) | instskip(NEXT) | instid1(VALU_DEP_1)
	v_add3_u32 v2, v3, v2, 0x407ffff
	v_and_b32_e32 v3, 0xff00000, v2
	v_lshrrev_b32_e32 v2, 20, v2
	s_delay_alu instid0(VALU_DEP_2) | instskip(NEXT) | instid1(VALU_DEP_2)
	v_cmp_ne_u32_e32 vcc_lo, 0x7f00000, v3
                                        ; implicit-def: $vgpr3
	v_cndmask_b32_e32 v2, 0x7e, v2, vcc_lo
; %bb.1448:
	s_and_not1_saveexec_b32 s24, s24
; %bb.1449:
	v_add_f32_e32 v2, 0x46800000, v3
; %bb.1450:
	s_or_b32 exec_lo, exec_lo, s24
                                        ; implicit-def: $vgpr3
.LBB347_1451:
	s_and_not1_saveexec_b32 s23, s23
; %bb.1452:
	v_mov_b32_e32 v2, 0x7f
	v_cmp_lt_u32_e32 vcc_lo, 0x7f800000, v3
	s_delay_alu instid0(VALU_DEP_2)
	v_cndmask_b32_e32 v2, 0x7e, v2, vcc_lo
; %bb.1453:
	s_or_b32 exec_lo, exec_lo, s23
	global_store_b8 v[0:1], v2, off
.LBB347_1454:
	s_mov_b32 s23, 0
.LBB347_1455:
	s_delay_alu instid0(SALU_CYCLE_1)
	s_and_not1_b32 vcc_lo, exec_lo, s23
	s_cbranch_vccnz .LBB347_1465
; %bb.1456:
	s_wait_xcnt 0x0
	v_cndmask_b32_e64 v3, 0, 1.0, s19
	s_mov_b32 s23, exec_lo
                                        ; implicit-def: $vgpr2
	s_delay_alu instid0(VALU_DEP_1)
	v_cmpx_gt_u32_e32 0x47800000, v3
	s_xor_b32 s23, exec_lo, s23
	s_cbranch_execz .LBB347_1462
; %bb.1457:
	s_mov_b32 s24, exec_lo
                                        ; implicit-def: $vgpr2
	v_cmpx_lt_u32_e32 0x387fffff, v3
	s_xor_b32 s24, exec_lo, s24
; %bb.1458:
	v_bfe_u32 v2, v3, 21, 1
	s_delay_alu instid0(VALU_DEP_1) | instskip(NEXT) | instid1(VALU_DEP_1)
	v_add3_u32 v2, v3, v2, 0x80fffff
                                        ; implicit-def: $vgpr3
	v_lshrrev_b32_e32 v2, 21, v2
; %bb.1459:
	s_and_not1_saveexec_b32 s24, s24
; %bb.1460:
	v_add_f32_e32 v2, 0x43000000, v3
; %bb.1461:
	s_or_b32 exec_lo, exec_lo, s24
                                        ; implicit-def: $vgpr3
.LBB347_1462:
	s_and_not1_saveexec_b32 s23, s23
; %bb.1463:
	v_mov_b32_e32 v2, 0x7f
	v_cmp_lt_u32_e32 vcc_lo, 0x7f800000, v3
	s_delay_alu instid0(VALU_DEP_2)
	v_cndmask_b32_e32 v2, 0x7c, v2, vcc_lo
; %bb.1464:
	s_or_b32 exec_lo, exec_lo, s23
	global_store_b8 v[0:1], v2, off
.LBB347_1465:
	s_mov_b32 s23, 0
.LBB347_1466:
	s_delay_alu instid0(SALU_CYCLE_1)
	s_and_not1_b32 vcc_lo, exec_lo, s23
	s_mov_b32 s24, 0
	s_cbranch_vccnz .LBB347_1474
; %bb.1467:
	s_cmp_gt_i32 s16, 14
	s_mov_b32 s23, -1
	s_cbranch_scc0 .LBB347_1471
; %bb.1468:
	s_cmp_eq_u32 s16, 15
	s_mov_b32 s0, -1
	s_cbranch_scc0 .LBB347_1470
; %bb.1469:
	s_wait_xcnt 0x0
	v_cndmask_b32_e64 v2, 0, 1.0, s19
	s_mov_b32 s0, 0
	s_delay_alu instid0(VALU_DEP_1) | instskip(NEXT) | instid1(VALU_DEP_1)
	v_bfe_u32 v3, v2, 16, 1
	v_add3_u32 v2, v2, v3, 0x7fff
	global_store_d16_hi_b16 v[0:1], v2, off
.LBB347_1470:
	s_mov_b32 s23, 0
.LBB347_1471:
	s_delay_alu instid0(SALU_CYCLE_1)
	s_and_b32 vcc_lo, exec_lo, s23
	s_cbranch_vccz .LBB347_1474
; %bb.1472:
	s_cmp_lg_u32 s16, 11
	s_mov_b32 s24, -1
	s_cselect_b32 s16, -1, 0
	s_and_not1_b32 s0, s0, exec_lo
	s_and_b32 s16, s16, exec_lo
	s_delay_alu instid0(SALU_CYCLE_1)
	s_or_b32 s0, s0, s16
	s_branch .LBB347_1474
.LBB347_1473:
	s_mov_b32 s24, 0
.LBB347_1474:
	s_and_not1_b32 s16, s18, exec_lo
	s_and_b32 s18, s0, exec_lo
	s_and_b32 s23, s22, exec_lo
	;; [unrolled: 1-line block ×3, first 2 shown]
	s_or_b32 s18, s16, s18
	s_wait_xcnt 0x0
	s_or_b32 exec_lo, exec_lo, s21
	s_and_saveexec_b32 s16, s18
	s_cbranch_execz .LBB347_1403
.LBB347_1475:
	s_or_b32 s17, s17, exec_lo
	s_and_not1_b32 s0, s0, exec_lo
	s_trap 2
	s_or_b32 exec_lo, exec_lo, s16
	s_and_saveexec_b32 s16, s0
	s_delay_alu instid0(SALU_CYCLE_1)
	s_xor_b32 s0, exec_lo, s16
	s_cbranch_execnz .LBB347_1404
.LBB347_1476:
	s_or_b32 exec_lo, exec_lo, s0
	s_and_saveexec_b32 s0, s23
	s_delay_alu instid0(SALU_CYCLE_1)
	s_xor_b32 s0, exec_lo, s0
	s_cbranch_execz .LBB347_1514
.LBB347_1477:
	s_sext_i32_i16 s18, s20
	s_mov_b32 s16, -1
	s_cmp_lt_i32 s18, 5
	s_cbranch_scc1 .LBB347_1498
; %bb.1478:
	s_cmp_lt_i32 s18, 8
	s_cbranch_scc1 .LBB347_1488
; %bb.1479:
	;; [unrolled: 3-line block ×3, first 2 shown]
	s_cmp_gt_i32 s18, 9
	s_cbranch_scc0 .LBB347_1482
; %bb.1481:
	s_wait_loadcnt 0x0
	v_cndmask_b32_e64 v2, 0, 1, s19
	v_mov_b32_e32 v4, 0
	s_mov_b32 s16, 0
	s_delay_alu instid0(VALU_DEP_2) | instskip(NEXT) | instid1(VALU_DEP_2)
	v_cvt_f64_u32_e32 v[2:3], v2
	v_mov_b32_e32 v5, v4
	global_store_b128 v[0:1], v[2:5], off
.LBB347_1482:
	s_and_not1_b32 vcc_lo, exec_lo, s16
	s_cbranch_vccnz .LBB347_1484
; %bb.1483:
	s_wait_loadcnt 0x0
	v_cndmask_b32_e64 v2, 0, 1.0, s19
	v_mov_b32_e32 v3, 0
	global_store_b64 v[0:1], v[2:3], off
.LBB347_1484:
	s_mov_b32 s16, 0
.LBB347_1485:
	s_delay_alu instid0(SALU_CYCLE_1)
	s_and_not1_b32 vcc_lo, exec_lo, s16
	s_cbranch_vccnz .LBB347_1487
; %bb.1486:
	s_wait_loadcnt 0x0
	v_cndmask_b32_e64 v2, 0, 1.0, s19
	s_delay_alu instid0(VALU_DEP_1) | instskip(NEXT) | instid1(VALU_DEP_1)
	v_cvt_f16_f32_e32 v2, v2
	v_and_b32_e32 v2, 0xffff, v2
	global_store_b32 v[0:1], v2, off
.LBB347_1487:
	s_mov_b32 s16, 0
.LBB347_1488:
	s_delay_alu instid0(SALU_CYCLE_1)
	s_and_not1_b32 vcc_lo, exec_lo, s16
	s_cbranch_vccnz .LBB347_1497
; %bb.1489:
	s_sext_i32_i16 s18, s20
	s_mov_b32 s16, -1
	s_cmp_lt_i32 s18, 6
	s_cbranch_scc1 .LBB347_1495
; %bb.1490:
	s_cmp_gt_i32 s18, 6
	s_cbranch_scc0 .LBB347_1492
; %bb.1491:
	s_wait_loadcnt 0x0
	v_cndmask_b32_e64 v2, 0, 1, s19
	s_mov_b32 s16, 0
	s_delay_alu instid0(VALU_DEP_1)
	v_cvt_f64_u32_e32 v[2:3], v2
	global_store_b64 v[0:1], v[2:3], off
.LBB347_1492:
	s_and_not1_b32 vcc_lo, exec_lo, s16
	s_cbranch_vccnz .LBB347_1494
; %bb.1493:
	s_wait_loadcnt 0x0
	v_cndmask_b32_e64 v2, 0, 1.0, s19
	global_store_b32 v[0:1], v2, off
.LBB347_1494:
	s_mov_b32 s16, 0
.LBB347_1495:
	s_delay_alu instid0(SALU_CYCLE_1)
	s_and_not1_b32 vcc_lo, exec_lo, s16
	s_cbranch_vccnz .LBB347_1497
; %bb.1496:
	s_wait_loadcnt 0x0
	v_cndmask_b32_e64 v2, 0, 1.0, s19
	s_delay_alu instid0(VALU_DEP_1)
	v_cvt_f16_f32_e32 v2, v2
	global_store_b16 v[0:1], v2, off
.LBB347_1497:
	s_mov_b32 s16, 0
.LBB347_1498:
	s_delay_alu instid0(SALU_CYCLE_1)
	s_and_not1_b32 vcc_lo, exec_lo, s16
	s_cbranch_vccnz .LBB347_1514
; %bb.1499:
	s_sext_i32_i16 s18, s20
	s_mov_b32 s16, -1
	s_cmp_lt_i32 s18, 2
	s_cbranch_scc1 .LBB347_1509
; %bb.1500:
	s_cmp_lt_i32 s18, 3
	s_cbranch_scc1 .LBB347_1506
; %bb.1501:
	s_cmp_gt_i32 s18, 3
	s_cbranch_scc0 .LBB347_1503
; %bb.1502:
	s_mov_b32 s16, 0
	s_wait_loadcnt 0x0
	v_cndmask_b32_e64 v2, 0, 1, s19
	v_mov_b32_e32 v3, s16
	global_store_b64 v[0:1], v[2:3], off
.LBB347_1503:
	s_and_not1_b32 vcc_lo, exec_lo, s16
	s_cbranch_vccnz .LBB347_1505
; %bb.1504:
	s_wait_loadcnt 0x0
	v_cndmask_b32_e64 v2, 0, 1, s19
	global_store_b32 v[0:1], v2, off
.LBB347_1505:
	s_mov_b32 s16, 0
.LBB347_1506:
	s_delay_alu instid0(SALU_CYCLE_1)
	s_and_not1_b32 vcc_lo, exec_lo, s16
	s_cbranch_vccnz .LBB347_1508
; %bb.1507:
	s_wait_loadcnt 0x0
	v_cndmask_b32_e64 v2, 0, 1, s19
	global_store_b16 v[0:1], v2, off
.LBB347_1508:
	s_mov_b32 s16, 0
.LBB347_1509:
	s_delay_alu instid0(SALU_CYCLE_1)
	s_and_not1_b32 vcc_lo, exec_lo, s16
	s_cbranch_vccnz .LBB347_1514
; %bb.1510:
	s_wait_loadcnt 0x0
	v_cndmask_b32_e64 v2, 0, 1, s19
	s_sext_i32_i16 s16, s20
	s_delay_alu instid0(SALU_CYCLE_1)
	s_cmp_gt_i32 s16, 0
	s_mov_b32 s16, -1
	s_cbranch_scc0 .LBB347_1512
; %bb.1511:
	s_mov_b32 s16, 0
	global_store_b8 v[0:1], v2, off
.LBB347_1512:
	s_and_not1_b32 vcc_lo, exec_lo, s16
	s_cbranch_vccnz .LBB347_1514
; %bb.1513:
	global_store_b8 v[0:1], v2, off
.LBB347_1514:
	s_wait_xcnt 0x0
	s_or_b32 exec_lo, exec_lo, s0
	s_delay_alu instid0(SALU_CYCLE_1)
	s_and_b32 s16, s17, exec_lo
                                        ; implicit-def: $vgpr6
.LBB347_1515:
	s_or_saveexec_b32 s15, s15
	s_mov_b32 s0, 0
                                        ; implicit-def: $sgpr18
                                        ; implicit-def: $sgpr17
                                        ; implicit-def: $vgpr0_vgpr1
	s_xor_b32 exec_lo, exec_lo, s15
	s_cbranch_execz .LBB347_2959
; %bb.1516:
	v_mul_lo_u32 v0, s9, v6
	s_and_b32 s0, s14, 0xff
	s_delay_alu instid0(SALU_CYCLE_1) | instskip(NEXT) | instid1(VALU_DEP_1)
	s_cmp_lt_i32 s0, 11
	v_ashrrev_i32_e32 v1, 31, v0
	s_wait_loadcnt 0x0
	s_delay_alu instid0(VALU_DEP_1)
	v_add_nc_u64_e32 v[2:3], s[6:7], v[0:1]
	s_cbranch_scc1 .LBB347_1523
; %bb.1517:
	s_and_b32 s13, 0xffff, s0
	s_mov_b32 s17, 0
	s_cmp_gt_i32 s13, 25
	s_cbranch_scc0 .LBB347_1525
; %bb.1518:
	s_cmp_gt_i32 s13, 28
	s_cbranch_scc0 .LBB347_1526
; %bb.1519:
	s_cmp_gt_i32 s13, 43
	s_cbranch_scc0 .LBB347_1527
; %bb.1520:
	s_cmp_gt_i32 s13, 45
	s_cbranch_scc0 .LBB347_1528
; %bb.1521:
	s_cmp_eq_u32 s13, 46
	s_mov_b32 s19, 0
	s_cbranch_scc0 .LBB347_1531
; %bb.1522:
	global_load_b32 v1, v[2:3], off
	s_mov_b32 s14, 0
	s_mov_b32 s18, -1
	s_wait_loadcnt 0x0
	v_lshlrev_b32_e32 v1, 16, v1
	s_delay_alu instid0(VALU_DEP_1)
	v_cvt_u32_f32_e32 v7, v1
	s_branch .LBB347_1533
.LBB347_1523:
	s_mov_b32 s18, 0
	s_mov_b32 s13, s16
                                        ; implicit-def: $vgpr7
	s_cbranch_execnz .LBB347_1591
.LBB347_1524:
	s_and_not1_b32 vcc_lo, exec_lo, s18
	s_cbranch_vccz .LBB347_1636
	s_branch .LBB347_2957
.LBB347_1525:
	s_mov_b32 s18, 0
	s_mov_b32 s14, 0
                                        ; implicit-def: $vgpr7
	s_cbranch_execnz .LBB347_1558
	s_branch .LBB347_1587
.LBB347_1526:
	s_mov_b32 s18, 0
	s_mov_b32 s14, 0
                                        ; implicit-def: $vgpr7
	s_cbranch_execz .LBB347_1557
	s_branch .LBB347_1542
.LBB347_1527:
	s_mov_b32 s18, 0
	s_mov_b32 s14, 0
                                        ; implicit-def: $vgpr7
	s_cbranch_execnz .LBB347_1538
	s_branch .LBB347_1541
.LBB347_1528:
	s_mov_b32 s19, -1
	s_mov_b32 s18, 0
	s_mov_b32 s14, 0
	s_branch .LBB347_1532
.LBB347_1529:
	s_and_not1_saveexec_b32 s24, s24
	s_cbranch_execz .LBB347_1428
.LBB347_1530:
	v_add_f32_e32 v2, 0x46000000, v3
	s_and_not1_b32 s23, s23, exec_lo
	s_delay_alu instid0(VALU_DEP_1) | instskip(NEXT) | instid1(VALU_DEP_1)
	v_and_b32_e32 v2, 0xff, v2
	v_cmp_ne_u32_e32 vcc_lo, 0, v2
	s_and_b32 s25, vcc_lo, exec_lo
	s_delay_alu instid0(SALU_CYCLE_1)
	s_or_b32 s23, s23, s25
	s_or_b32 exec_lo, exec_lo, s24
	v_mov_b32_e32 v4, 0
	s_and_saveexec_b32 s24, s23
	s_cbranch_execnz .LBB347_1429
	s_branch .LBB347_1430
.LBB347_1531:
	s_mov_b32 s14, -1
	s_mov_b32 s18, 0
.LBB347_1532:
                                        ; implicit-def: $vgpr7
.LBB347_1533:
	s_and_b32 vcc_lo, exec_lo, s19
	s_cbranch_vccz .LBB347_1536
; %bb.1534:
	s_cmp_eq_u32 s13, 44
	s_cbranch_scc0 .LBB347_1537
; %bb.1535:
	global_load_u8 v1, v[2:3], off
	s_mov_b32 s14, 0
	s_mov_b32 s18, -1
	s_wait_loadcnt 0x0
	v_lshlrev_b32_e32 v4, 23, v1
	v_cmp_ne_u32_e32 vcc_lo, 0, v1
	s_delay_alu instid0(VALU_DEP_2) | instskip(NEXT) | instid1(VALU_DEP_1)
	v_cvt_u32_f32_e32 v4, v4
	v_cndmask_b32_e32 v7, 0, v4, vcc_lo
.LBB347_1536:
	s_branch .LBB347_1541
.LBB347_1537:
	s_mov_b32 s14, -1
                                        ; implicit-def: $vgpr7
	s_branch .LBB347_1541
.LBB347_1538:
	s_cmp_eq_u32 s13, 29
	s_cbranch_scc0 .LBB347_1540
; %bb.1539:
	global_load_b32 v7, v[2:3], off
	s_mov_b32 s14, 0
	s_mov_b32 s18, -1
	s_branch .LBB347_1541
.LBB347_1540:
	s_mov_b32 s14, -1
                                        ; implicit-def: $vgpr7
.LBB347_1541:
	s_branch .LBB347_1557
.LBB347_1542:
	s_cmp_lt_i32 s13, 27
	s_cbranch_scc1 .LBB347_1545
; %bb.1543:
	s_cmp_gt_i32 s13, 27
	s_cbranch_scc0 .LBB347_1546
; %bb.1544:
	s_wait_loadcnt 0x0
	global_load_b32 v7, v[2:3], off
	s_mov_b32 s18, 0
	s_branch .LBB347_1547
.LBB347_1545:
	s_mov_b32 s18, -1
                                        ; implicit-def: $vgpr7
	s_branch .LBB347_1550
.LBB347_1546:
	s_mov_b32 s18, -1
                                        ; implicit-def: $vgpr7
.LBB347_1547:
	s_delay_alu instid0(SALU_CYCLE_1)
	s_and_not1_b32 vcc_lo, exec_lo, s18
	s_cbranch_vccnz .LBB347_1549
; %bb.1548:
	s_wait_loadcnt 0x0
	global_load_u16 v7, v[2:3], off
.LBB347_1549:
	s_mov_b32 s18, 0
.LBB347_1550:
	s_delay_alu instid0(SALU_CYCLE_1)
	s_and_not1_b32 vcc_lo, exec_lo, s18
	s_cbranch_vccnz .LBB347_1556
; %bb.1551:
	global_load_u8 v1, v[2:3], off
	s_mov_b32 s19, 0
	s_mov_b32 s18, exec_lo
	s_wait_loadcnt 0x0
	v_cmpx_lt_i16_e32 0x7f, v1
	s_xor_b32 s18, exec_lo, s18
	s_cbranch_execz .LBB347_1567
; %bb.1552:
	v_cmp_ne_u16_e32 vcc_lo, 0x80, v1
	s_and_b32 s19, vcc_lo, exec_lo
	s_and_not1_saveexec_b32 s18, s18
	s_cbranch_execnz .LBB347_1568
.LBB347_1553:
	s_or_b32 exec_lo, exec_lo, s18
	v_mov_b32_e32 v7, 0
	s_and_saveexec_b32 s18, s19
	s_cbranch_execz .LBB347_1555
.LBB347_1554:
	v_and_b32_e32 v4, 0xffff, v1
	s_delay_alu instid0(VALU_DEP_1) | instskip(SKIP_1) | instid1(VALU_DEP_2)
	v_and_b32_e32 v5, 7, v4
	v_bfe_u32 v9, v4, 3, 4
	v_clz_i32_u32_e32 v7, v5
	s_delay_alu instid0(VALU_DEP_2) | instskip(NEXT) | instid1(VALU_DEP_2)
	v_cmp_eq_u32_e32 vcc_lo, 0, v9
	v_min_u32_e32 v7, 32, v7
	s_delay_alu instid0(VALU_DEP_1) | instskip(NEXT) | instid1(VALU_DEP_1)
	v_subrev_nc_u32_e32 v8, 28, v7
	v_dual_lshlrev_b32 v4, v8, v4 :: v_dual_sub_nc_u32 v7, 29, v7
	s_delay_alu instid0(VALU_DEP_1) | instskip(NEXT) | instid1(VALU_DEP_2)
	v_dual_lshlrev_b32 v1, 24, v1 :: v_dual_bitop2_b32 v4, 7, v4 bitop3:0x40
	v_cndmask_b32_e32 v7, v9, v7, vcc_lo
	s_delay_alu instid0(VALU_DEP_2) | instskip(NEXT) | instid1(VALU_DEP_3)
	v_cndmask_b32_e32 v4, v5, v4, vcc_lo
	v_and_b32_e32 v1, 0x80000000, v1
	s_delay_alu instid0(VALU_DEP_3) | instskip(NEXT) | instid1(VALU_DEP_3)
	v_lshl_add_u32 v5, v7, 23, 0x3b800000
	v_lshlrev_b32_e32 v4, 20, v4
	s_delay_alu instid0(VALU_DEP_1) | instskip(NEXT) | instid1(VALU_DEP_1)
	v_or3_b32 v1, v1, v5, v4
	v_cvt_u32_f32_e32 v7, v1
.LBB347_1555:
	s_or_b32 exec_lo, exec_lo, s18
.LBB347_1556:
	s_mov_b32 s18, -1
.LBB347_1557:
	s_branch .LBB347_1587
.LBB347_1558:
	s_cmp_gt_i32 s13, 22
	s_cbranch_scc0 .LBB347_1566
; %bb.1559:
	s_cmp_lt_i32 s13, 24
	s_cbranch_scc1 .LBB347_1569
; %bb.1560:
	s_cmp_gt_i32 s13, 24
	s_cbranch_scc0 .LBB347_1570
; %bb.1561:
	global_load_u8 v1, v[2:3], off
	s_mov_b32 s18, 0
	s_mov_b32 s17, exec_lo
	s_wait_loadcnt 0x0
	v_cmpx_lt_i16_e32 0x7f, v1
	s_xor_b32 s17, exec_lo, s17
	s_cbranch_execz .LBB347_1581
; %bb.1562:
	v_cmp_ne_u16_e32 vcc_lo, 0x80, v1
	s_and_b32 s18, vcc_lo, exec_lo
	s_and_not1_saveexec_b32 s17, s17
	s_cbranch_execnz .LBB347_1582
.LBB347_1563:
	s_or_b32 exec_lo, exec_lo, s17
	v_mov_b32_e32 v7, 0
	s_and_saveexec_b32 s17, s18
	s_cbranch_execz .LBB347_1565
.LBB347_1564:
	v_and_b32_e32 v4, 0xffff, v1
	s_delay_alu instid0(VALU_DEP_1) | instskip(SKIP_1) | instid1(VALU_DEP_2)
	v_and_b32_e32 v5, 3, v4
	v_bfe_u32 v9, v4, 2, 5
	v_clz_i32_u32_e32 v7, v5
	s_delay_alu instid0(VALU_DEP_2) | instskip(NEXT) | instid1(VALU_DEP_2)
	v_cmp_eq_u32_e32 vcc_lo, 0, v9
	v_min_u32_e32 v7, 32, v7
	s_delay_alu instid0(VALU_DEP_1) | instskip(NEXT) | instid1(VALU_DEP_1)
	v_subrev_nc_u32_e32 v8, 29, v7
	v_dual_lshlrev_b32 v4, v8, v4 :: v_dual_sub_nc_u32 v7, 30, v7
	s_delay_alu instid0(VALU_DEP_1) | instskip(NEXT) | instid1(VALU_DEP_2)
	v_dual_lshlrev_b32 v1, 24, v1 :: v_dual_bitop2_b32 v4, 3, v4 bitop3:0x40
	v_cndmask_b32_e32 v7, v9, v7, vcc_lo
	s_delay_alu instid0(VALU_DEP_2) | instskip(NEXT) | instid1(VALU_DEP_3)
	v_cndmask_b32_e32 v4, v5, v4, vcc_lo
	v_and_b32_e32 v1, 0x80000000, v1
	s_delay_alu instid0(VALU_DEP_3) | instskip(NEXT) | instid1(VALU_DEP_3)
	v_lshl_add_u32 v5, v7, 23, 0x37800000
	v_lshlrev_b32_e32 v4, 21, v4
	s_delay_alu instid0(VALU_DEP_1) | instskip(NEXT) | instid1(VALU_DEP_1)
	v_or3_b32 v1, v1, v5, v4
	v_cvt_u32_f32_e32 v7, v1
.LBB347_1565:
	s_or_b32 exec_lo, exec_lo, s17
	s_mov_b32 s17, 0
	s_branch .LBB347_1571
.LBB347_1566:
                                        ; implicit-def: $vgpr7
	s_mov_b32 s17, 0
	s_branch .LBB347_1577
.LBB347_1567:
	s_and_not1_saveexec_b32 s18, s18
	s_cbranch_execz .LBB347_1553
.LBB347_1568:
	v_cmp_ne_u16_e32 vcc_lo, 0, v1
	s_and_not1_b32 s19, s19, exec_lo
	s_and_b32 s20, vcc_lo, exec_lo
	s_delay_alu instid0(SALU_CYCLE_1)
	s_or_b32 s19, s19, s20
	s_or_b32 exec_lo, exec_lo, s18
	v_mov_b32_e32 v7, 0
	s_and_saveexec_b32 s18, s19
	s_cbranch_execnz .LBB347_1554
	s_branch .LBB347_1555
.LBB347_1569:
	s_mov_b32 s17, -1
                                        ; implicit-def: $vgpr7
	s_branch .LBB347_1574
.LBB347_1570:
	s_mov_b32 s17, -1
                                        ; implicit-def: $vgpr7
.LBB347_1571:
	s_delay_alu instid0(SALU_CYCLE_1)
	s_and_b32 vcc_lo, exec_lo, s17
	s_cbranch_vccz .LBB347_1573
; %bb.1572:
	global_load_u8 v1, v[2:3], off
	s_wait_loadcnt 0x0
	v_lshlrev_b32_e32 v1, 24, v1
	s_delay_alu instid0(VALU_DEP_1) | instskip(NEXT) | instid1(VALU_DEP_1)
	v_and_b32_e32 v4, 0x7f000000, v1
	v_clz_i32_u32_e32 v5, v4
	v_add_nc_u32_e32 v8, 0x1000000, v4
	v_cmp_ne_u32_e32 vcc_lo, 0, v4
	s_delay_alu instid0(VALU_DEP_3) | instskip(NEXT) | instid1(VALU_DEP_1)
	v_min_u32_e32 v5, 32, v5
	v_sub_nc_u32_e64 v5, v5, 4 clamp
	s_delay_alu instid0(VALU_DEP_1) | instskip(NEXT) | instid1(VALU_DEP_1)
	v_dual_lshlrev_b32 v7, v5, v4 :: v_dual_lshlrev_b32 v5, 23, v5
	v_lshrrev_b32_e32 v7, 4, v7
	s_delay_alu instid0(VALU_DEP_1) | instskip(NEXT) | instid1(VALU_DEP_1)
	v_dual_sub_nc_u32 v5, v7, v5 :: v_dual_ashrrev_i32 v7, 8, v8
	v_add_nc_u32_e32 v5, 0x3c000000, v5
	s_delay_alu instid0(VALU_DEP_1) | instskip(NEXT) | instid1(VALU_DEP_1)
	v_and_or_b32 v5, 0x7f800000, v7, v5
	v_cndmask_b32_e32 v4, 0, v5, vcc_lo
	s_delay_alu instid0(VALU_DEP_1) | instskip(NEXT) | instid1(VALU_DEP_1)
	v_and_or_b32 v1, 0x80000000, v1, v4
	v_cvt_u32_f32_e32 v7, v1
.LBB347_1573:
	s_mov_b32 s17, 0
.LBB347_1574:
	s_delay_alu instid0(SALU_CYCLE_1)
	s_and_not1_b32 vcc_lo, exec_lo, s17
	s_cbranch_vccnz .LBB347_1576
; %bb.1575:
	global_load_u8 v1, v[2:3], off
	s_wait_loadcnt 0x0
	v_lshlrev_b32_e32 v4, 25, v1
	v_lshlrev_b16 v1, 8, v1
	s_delay_alu instid0(VALU_DEP_1) | instskip(SKIP_1) | instid1(VALU_DEP_2)
	v_and_or_b32 v7, 0x7f00, v1, 0.5
	v_bfe_i32 v1, v1, 0, 16
	v_dual_add_f32 v7, -0.5, v7 :: v_dual_lshrrev_b32 v5, 4, v4
	v_cmp_gt_u32_e32 vcc_lo, 0x8000000, v4
	s_delay_alu instid0(VALU_DEP_2) | instskip(NEXT) | instid1(VALU_DEP_1)
	v_or_b32_e32 v5, 0x70000000, v5
	v_mul_f32_e32 v5, 0x7800000, v5
	s_delay_alu instid0(VALU_DEP_1) | instskip(NEXT) | instid1(VALU_DEP_1)
	v_cndmask_b32_e32 v4, v5, v7, vcc_lo
	v_and_or_b32 v1, 0x80000000, v1, v4
	s_delay_alu instid0(VALU_DEP_1)
	v_cvt_u32_f32_e32 v7, v1
.LBB347_1576:
	s_mov_b32 s18, -1
	s_mov_b32 s17, 0
	s_cbranch_execnz .LBB347_1587
.LBB347_1577:
	s_cmp_gt_i32 s13, 14
	s_cbranch_scc0 .LBB347_1580
; %bb.1578:
	s_cmp_eq_u32 s13, 15
	s_cbranch_scc0 .LBB347_1583
; %bb.1579:
	global_load_u16 v1, v[2:3], off
	s_mov_b32 s14, 0
	s_mov_b32 s18, -1
	s_wait_loadcnt 0x0
	v_lshlrev_b32_e32 v1, 16, v1
	s_delay_alu instid0(VALU_DEP_1)
	v_cvt_u32_f32_e32 v7, v1
	s_branch .LBB347_1585
.LBB347_1580:
	s_mov_b32 s17, -1
	s_branch .LBB347_1584
.LBB347_1581:
	s_and_not1_saveexec_b32 s17, s17
	s_cbranch_execz .LBB347_1563
.LBB347_1582:
	v_cmp_ne_u16_e32 vcc_lo, 0, v1
	s_and_not1_b32 s18, s18, exec_lo
	s_and_b32 s19, vcc_lo, exec_lo
	s_delay_alu instid0(SALU_CYCLE_1)
	s_or_b32 s18, s18, s19
	s_or_b32 exec_lo, exec_lo, s17
	v_mov_b32_e32 v7, 0
	s_and_saveexec_b32 s17, s18
	s_cbranch_execnz .LBB347_1564
	s_branch .LBB347_1565
.LBB347_1583:
	s_mov_b32 s14, -1
.LBB347_1584:
                                        ; implicit-def: $vgpr7
.LBB347_1585:
	s_and_b32 vcc_lo, exec_lo, s17
	s_mov_b32 s17, 0
	s_cbranch_vccz .LBB347_1587
; %bb.1586:
	s_cmp_lg_u32 s13, 11
	s_mov_b32 s17, -1
	s_cselect_b32 s14, -1, 0
.LBB347_1587:
	s_delay_alu instid0(SALU_CYCLE_1)
	s_and_b32 vcc_lo, exec_lo, s14
	s_mov_b32 s13, s16
	s_cbranch_vccnz .LBB347_1648
; %bb.1588:
	s_and_not1_b32 vcc_lo, exec_lo, s17
	s_cbranch_vccnz .LBB347_1590
.LBB347_1589:
	global_load_u8 v1, v[2:3], off
	s_mov_b32 s18, -1
	s_wait_loadcnt 0x0
	v_cmp_ne_u16_e32 vcc_lo, 0, v1
	v_cndmask_b32_e64 v7, 0, 1, vcc_lo
.LBB347_1590:
	s_branch .LBB347_1524
.LBB347_1591:
	s_and_b32 s14, 0xffff, s0
	s_delay_alu instid0(SALU_CYCLE_1)
	s_cmp_lt_i32 s14, 5
	s_cbranch_scc1 .LBB347_1596
; %bb.1592:
	s_cmp_lt_i32 s14, 8
	s_cbranch_scc1 .LBB347_1597
; %bb.1593:
	;; [unrolled: 3-line block ×3, first 2 shown]
	s_cmp_gt_i32 s14, 9
	s_cbranch_scc0 .LBB347_1599
; %bb.1595:
	global_load_b64 v[4:5], v[2:3], off
	s_mov_b32 s17, 0
	s_wait_loadcnt 0x0
	v_cvt_u32_f64_e32 v7, v[4:5]
	s_branch .LBB347_1600
.LBB347_1596:
                                        ; implicit-def: $vgpr7
	s_branch .LBB347_1617
.LBB347_1597:
                                        ; implicit-def: $vgpr7
	s_branch .LBB347_1606
.LBB347_1598:
	s_mov_b32 s17, -1
                                        ; implicit-def: $vgpr7
	s_branch .LBB347_1603
.LBB347_1599:
	s_mov_b32 s17, -1
                                        ; implicit-def: $vgpr7
.LBB347_1600:
	s_delay_alu instid0(SALU_CYCLE_1)
	s_and_not1_b32 vcc_lo, exec_lo, s17
	s_cbranch_vccnz .LBB347_1602
; %bb.1601:
	global_load_b32 v1, v[2:3], off
	s_wait_loadcnt 0x0
	v_cvt_u32_f32_e32 v7, v1
.LBB347_1602:
	s_mov_b32 s17, 0
.LBB347_1603:
	s_delay_alu instid0(SALU_CYCLE_1)
	s_and_not1_b32 vcc_lo, exec_lo, s17
	s_cbranch_vccnz .LBB347_1605
; %bb.1604:
	global_load_b32 v1, v[2:3], off
	s_wait_loadcnt 0x0
	v_cvt_f32_f16_e32 v1, v1
	s_delay_alu instid0(VALU_DEP_1)
	v_cvt_u32_f32_e32 v7, v1
.LBB347_1605:
	s_cbranch_execnz .LBB347_1616
.LBB347_1606:
	s_cmp_lt_i32 s14, 6
	s_cbranch_scc1 .LBB347_1609
; %bb.1607:
	s_cmp_gt_i32 s14, 6
	s_cbranch_scc0 .LBB347_1610
; %bb.1608:
	global_load_b64 v[4:5], v[2:3], off
	s_mov_b32 s17, 0
	s_wait_loadcnt 0x0
	v_cvt_u32_f64_e32 v7, v[4:5]
	s_branch .LBB347_1611
.LBB347_1609:
	s_mov_b32 s17, -1
                                        ; implicit-def: $vgpr7
	s_branch .LBB347_1614
.LBB347_1610:
	s_mov_b32 s17, -1
                                        ; implicit-def: $vgpr7
.LBB347_1611:
	s_delay_alu instid0(SALU_CYCLE_1)
	s_and_not1_b32 vcc_lo, exec_lo, s17
	s_cbranch_vccnz .LBB347_1613
; %bb.1612:
	global_load_b32 v1, v[2:3], off
	s_wait_loadcnt 0x0
	v_cvt_u32_f32_e32 v7, v1
.LBB347_1613:
	s_mov_b32 s17, 0
.LBB347_1614:
	s_delay_alu instid0(SALU_CYCLE_1)
	s_and_not1_b32 vcc_lo, exec_lo, s17
	s_cbranch_vccnz .LBB347_1616
; %bb.1615:
	global_load_u16 v1, v[2:3], off
	s_wait_loadcnt 0x0
	v_cvt_f32_f16_e32 v1, v1
	s_delay_alu instid0(VALU_DEP_1)
	v_cvt_u32_f32_e32 v7, v1
.LBB347_1616:
	s_cbranch_execnz .LBB347_1635
.LBB347_1617:
	s_cmp_lt_i32 s14, 2
	s_cbranch_scc1 .LBB347_1621
; %bb.1618:
	s_cmp_lt_i32 s14, 3
	s_cbranch_scc1 .LBB347_1622
; %bb.1619:
	s_cmp_gt_i32 s14, 3
	s_cbranch_scc0 .LBB347_1623
; %bb.1620:
	s_wait_loadcnt 0x0
	global_load_b32 v7, v[2:3], off
	s_mov_b32 s17, 0
	s_branch .LBB347_1624
.LBB347_1621:
                                        ; implicit-def: $vgpr7
	s_branch .LBB347_1630
.LBB347_1622:
	s_mov_b32 s17, -1
                                        ; implicit-def: $vgpr7
	s_branch .LBB347_1627
.LBB347_1623:
	s_mov_b32 s17, -1
                                        ; implicit-def: $vgpr7
.LBB347_1624:
	s_delay_alu instid0(SALU_CYCLE_1)
	s_and_not1_b32 vcc_lo, exec_lo, s17
	s_cbranch_vccnz .LBB347_1626
; %bb.1625:
	s_wait_loadcnt 0x0
	global_load_b32 v7, v[2:3], off
.LBB347_1626:
	s_mov_b32 s17, 0
.LBB347_1627:
	s_delay_alu instid0(SALU_CYCLE_1)
	s_and_not1_b32 vcc_lo, exec_lo, s17
	s_cbranch_vccnz .LBB347_1629
; %bb.1628:
	s_wait_loadcnt 0x0
	global_load_i16 v7, v[2:3], off
.LBB347_1629:
	s_cbranch_execnz .LBB347_1635
.LBB347_1630:
	s_cmp_gt_i32 s14, 0
	s_mov_b32 s14, 0
	s_cbranch_scc0 .LBB347_1632
; %bb.1631:
	s_wait_loadcnt 0x0
	global_load_i8 v7, v[2:3], off
	s_branch .LBB347_1633
.LBB347_1632:
	s_mov_b32 s14, -1
                                        ; implicit-def: $vgpr7
.LBB347_1633:
	s_delay_alu instid0(SALU_CYCLE_1)
	s_and_not1_b32 vcc_lo, exec_lo, s14
	s_cbranch_vccnz .LBB347_1635
; %bb.1634:
	s_wait_loadcnt 0x0
	global_load_u8 v7, v[2:3], off
.LBB347_1635:
.LBB347_1636:
	s_wait_xcnt 0x0
	v_mul_lo_u32 v2, s10, v6
	s_and_b32 s1, s1, 0xff
	s_delay_alu instid0(SALU_CYCLE_1) | instskip(NEXT) | instid1(VALU_DEP_1)
	s_cmp_lt_i32 s1, 11
	v_ashrrev_i32_e32 v3, 31, v2
	s_delay_alu instid0(VALU_DEP_1)
	v_add_nc_u64_e32 v[4:5], s[2:3], v[2:3]
	s_cbranch_scc1 .LBB347_1643
; %bb.1637:
	s_and_b32 s14, 0xffff, s1
	s_mov_b32 s18, 0
	s_cmp_gt_i32 s14, 25
	s_cbranch_scc0 .LBB347_1645
; %bb.1638:
	s_cmp_gt_i32 s14, 28
	s_cbranch_scc0 .LBB347_1646
; %bb.1639:
	;; [unrolled: 3-line block ×4, first 2 shown]
	s_cmp_eq_u32 s14, 46
	s_mov_b32 s20, 0
	s_cbranch_scc0 .LBB347_1652
; %bb.1642:
	global_load_b32 v1, v[4:5], off
	s_mov_b32 s17, 0
	s_mov_b32 s19, -1
	s_wait_loadcnt 0x0
	v_lshlrev_b32_e32 v1, 16, v1
	s_delay_alu instid0(VALU_DEP_1)
	v_cvt_u32_f32_e32 v9, v1
	s_branch .LBB347_1654
.LBB347_1643:
	s_mov_b32 s19, 0
                                        ; implicit-def: $vgpr9
	s_cbranch_execnz .LBB347_1715
.LBB347_1644:
	s_and_not1_b32 vcc_lo, exec_lo, s19
	s_cbranch_vccnz .LBB347_2957
	s_branch .LBB347_1762
.LBB347_1645:
	s_mov_b32 s19, 0
	s_mov_b32 s17, 0
                                        ; implicit-def: $vgpr9
	s_cbranch_execnz .LBB347_1681
	s_branch .LBB347_1711
.LBB347_1646:
	s_mov_b32 s20, -1
	s_mov_b32 s19, 0
	s_mov_b32 s17, 0
                                        ; implicit-def: $vgpr9
	s_branch .LBB347_1664
.LBB347_1647:
	s_mov_b32 s20, -1
	s_mov_b32 s19, 0
	s_mov_b32 s17, 0
                                        ; implicit-def: $vgpr9
	s_branch .LBB347_1659
.LBB347_1648:
	s_or_b32 s13, s16, exec_lo
	s_trap 2
	s_cbranch_execz .LBB347_1589
	s_branch .LBB347_1590
.LBB347_1649:
	s_mov_b32 s20, -1
	s_mov_b32 s19, 0
	s_mov_b32 s17, 0
	s_branch .LBB347_1653
.LBB347_1650:
	s_and_not1_saveexec_b32 s25, s25
	s_cbranch_execz .LBB347_1440
.LBB347_1651:
	v_add_f32_e32 v2, 0x42800000, v3
	s_and_not1_b32 s24, s24, exec_lo
	s_delay_alu instid0(VALU_DEP_1) | instskip(NEXT) | instid1(VALU_DEP_1)
	v_and_b32_e32 v2, 0xff, v2
	v_cmp_ne_u32_e32 vcc_lo, 0, v2
	s_and_b32 s26, vcc_lo, exec_lo
	s_delay_alu instid0(SALU_CYCLE_1)
	s_or_b32 s24, s24, s26
	s_or_b32 exec_lo, exec_lo, s25
	v_mov_b32_e32 v4, 0
	s_and_saveexec_b32 s25, s24
	s_cbranch_execnz .LBB347_1441
	s_branch .LBB347_1442
.LBB347_1652:
	s_mov_b32 s17, -1
	s_mov_b32 s19, 0
.LBB347_1653:
                                        ; implicit-def: $vgpr9
.LBB347_1654:
	s_and_b32 vcc_lo, exec_lo, s20
	s_cbranch_vccz .LBB347_1658
; %bb.1655:
	s_cmp_eq_u32 s14, 44
	s_cbranch_scc0 .LBB347_1657
; %bb.1656:
	global_load_u8 v1, v[4:5], off
	s_mov_b32 s17, 0
	s_mov_b32 s19, -1
	s_wait_loadcnt 0x0
	v_lshlrev_b32_e32 v3, 23, v1
	v_cmp_ne_u32_e32 vcc_lo, 0, v1
	s_delay_alu instid0(VALU_DEP_2) | instskip(NEXT) | instid1(VALU_DEP_1)
	v_cvt_u32_f32_e32 v3, v3
	v_cndmask_b32_e32 v9, 0, v3, vcc_lo
	s_branch .LBB347_1658
.LBB347_1657:
	s_mov_b32 s17, -1
                                        ; implicit-def: $vgpr9
.LBB347_1658:
	s_mov_b32 s20, 0
.LBB347_1659:
	s_delay_alu instid0(SALU_CYCLE_1)
	s_and_b32 vcc_lo, exec_lo, s20
	s_cbranch_vccz .LBB347_1663
; %bb.1660:
	s_cmp_eq_u32 s14, 29
	s_cbranch_scc0 .LBB347_1662
; %bb.1661:
	global_load_b32 v9, v[4:5], off
	s_mov_b32 s17, 0
	s_mov_b32 s19, -1
	s_branch .LBB347_1663
.LBB347_1662:
	s_mov_b32 s17, -1
                                        ; implicit-def: $vgpr9
.LBB347_1663:
	s_mov_b32 s20, 0
.LBB347_1664:
	s_delay_alu instid0(SALU_CYCLE_1)
	s_and_b32 vcc_lo, exec_lo, s20
	s_cbranch_vccz .LBB347_1680
; %bb.1665:
	s_cmp_lt_i32 s14, 27
	s_cbranch_scc1 .LBB347_1668
; %bb.1666:
	s_cmp_gt_i32 s14, 27
	s_cbranch_scc0 .LBB347_1669
; %bb.1667:
	s_wait_loadcnt 0x0
	global_load_b32 v9, v[4:5], off
	s_mov_b32 s19, 0
	s_branch .LBB347_1670
.LBB347_1668:
	s_mov_b32 s19, -1
                                        ; implicit-def: $vgpr9
	s_branch .LBB347_1673
.LBB347_1669:
	s_mov_b32 s19, -1
                                        ; implicit-def: $vgpr9
.LBB347_1670:
	s_delay_alu instid0(SALU_CYCLE_1)
	s_and_not1_b32 vcc_lo, exec_lo, s19
	s_cbranch_vccnz .LBB347_1672
; %bb.1671:
	s_wait_loadcnt 0x0
	global_load_u16 v9, v[4:5], off
.LBB347_1672:
	s_mov_b32 s19, 0
.LBB347_1673:
	s_delay_alu instid0(SALU_CYCLE_1)
	s_and_not1_b32 vcc_lo, exec_lo, s19
	s_cbranch_vccnz .LBB347_1679
; %bb.1674:
	global_load_u8 v1, v[4:5], off
	s_mov_b32 s20, 0
	s_mov_b32 s19, exec_lo
	s_wait_loadcnt 0x0
	v_cmpx_lt_i16_e32 0x7f, v1
	s_xor_b32 s19, exec_lo, s19
	s_cbranch_execz .LBB347_1690
; %bb.1675:
	v_cmp_ne_u16_e32 vcc_lo, 0x80, v1
	s_and_b32 s20, vcc_lo, exec_lo
	s_and_not1_saveexec_b32 s19, s19
	s_cbranch_execnz .LBB347_1691
.LBB347_1676:
	s_or_b32 exec_lo, exec_lo, s19
	v_mov_b32_e32 v9, 0
	s_and_saveexec_b32 s19, s20
	s_cbranch_execz .LBB347_1678
.LBB347_1677:
	v_and_b32_e32 v3, 0xffff, v1
	s_delay_alu instid0(VALU_DEP_1) | instskip(SKIP_1) | instid1(VALU_DEP_2)
	v_and_b32_e32 v8, 7, v3
	v_bfe_u32 v11, v3, 3, 4
	v_clz_i32_u32_e32 v9, v8
	s_delay_alu instid0(VALU_DEP_2) | instskip(NEXT) | instid1(VALU_DEP_2)
	v_cmp_eq_u32_e32 vcc_lo, 0, v11
	v_min_u32_e32 v9, 32, v9
	s_delay_alu instid0(VALU_DEP_1) | instskip(NEXT) | instid1(VALU_DEP_1)
	v_subrev_nc_u32_e32 v10, 28, v9
	v_dual_lshlrev_b32 v3, v10, v3 :: v_dual_sub_nc_u32 v9, 29, v9
	s_delay_alu instid0(VALU_DEP_1) | instskip(NEXT) | instid1(VALU_DEP_1)
	v_dual_lshlrev_b32 v1, 24, v1 :: v_dual_bitop2_b32 v3, 7, v3 bitop3:0x40
	v_dual_cndmask_b32 v3, v8, v3, vcc_lo :: v_dual_cndmask_b32 v9, v11, v9, vcc_lo
	s_delay_alu instid0(VALU_DEP_2) | instskip(NEXT) | instid1(VALU_DEP_2)
	v_and_b32_e32 v1, 0x80000000, v1
	v_lshlrev_b32_e32 v3, 20, v3
	s_delay_alu instid0(VALU_DEP_3) | instskip(NEXT) | instid1(VALU_DEP_1)
	v_lshl_add_u32 v8, v9, 23, 0x3b800000
	v_or3_b32 v1, v1, v8, v3
	s_delay_alu instid0(VALU_DEP_1)
	v_cvt_u32_f32_e32 v9, v1
.LBB347_1678:
	s_or_b32 exec_lo, exec_lo, s19
.LBB347_1679:
	s_mov_b32 s19, -1
.LBB347_1680:
	s_branch .LBB347_1711
.LBB347_1681:
	s_cmp_gt_i32 s14, 22
	s_cbranch_scc0 .LBB347_1689
; %bb.1682:
	s_cmp_lt_i32 s14, 24
	s_cbranch_scc1 .LBB347_1692
; %bb.1683:
	s_cmp_gt_i32 s14, 24
	s_cbranch_scc0 .LBB347_1693
; %bb.1684:
	global_load_u8 v1, v[4:5], off
	s_mov_b32 s19, 0
	s_mov_b32 s18, exec_lo
	s_wait_loadcnt 0x0
	v_cmpx_lt_i16_e32 0x7f, v1
	s_xor_b32 s18, exec_lo, s18
	s_cbranch_execz .LBB347_1705
; %bb.1685:
	v_cmp_ne_u16_e32 vcc_lo, 0x80, v1
	s_and_b32 s19, vcc_lo, exec_lo
	s_and_not1_saveexec_b32 s18, s18
	s_cbranch_execnz .LBB347_1706
.LBB347_1686:
	s_or_b32 exec_lo, exec_lo, s18
	v_mov_b32_e32 v9, 0
	s_and_saveexec_b32 s18, s19
	s_cbranch_execz .LBB347_1688
.LBB347_1687:
	v_and_b32_e32 v3, 0xffff, v1
	s_delay_alu instid0(VALU_DEP_1) | instskip(SKIP_1) | instid1(VALU_DEP_2)
	v_and_b32_e32 v8, 3, v3
	v_bfe_u32 v11, v3, 2, 5
	v_clz_i32_u32_e32 v9, v8
	s_delay_alu instid0(VALU_DEP_2) | instskip(NEXT) | instid1(VALU_DEP_2)
	v_cmp_eq_u32_e32 vcc_lo, 0, v11
	v_min_u32_e32 v9, 32, v9
	s_delay_alu instid0(VALU_DEP_1) | instskip(NEXT) | instid1(VALU_DEP_1)
	v_subrev_nc_u32_e32 v10, 29, v9
	v_dual_lshlrev_b32 v3, v10, v3 :: v_dual_sub_nc_u32 v9, 30, v9
	s_delay_alu instid0(VALU_DEP_1) | instskip(NEXT) | instid1(VALU_DEP_1)
	v_dual_lshlrev_b32 v1, 24, v1 :: v_dual_bitop2_b32 v3, 3, v3 bitop3:0x40
	v_dual_cndmask_b32 v3, v8, v3, vcc_lo :: v_dual_cndmask_b32 v9, v11, v9, vcc_lo
	s_delay_alu instid0(VALU_DEP_2) | instskip(NEXT) | instid1(VALU_DEP_2)
	v_and_b32_e32 v1, 0x80000000, v1
	v_lshlrev_b32_e32 v3, 21, v3
	s_delay_alu instid0(VALU_DEP_3) | instskip(NEXT) | instid1(VALU_DEP_1)
	v_lshl_add_u32 v8, v9, 23, 0x37800000
	v_or3_b32 v1, v1, v8, v3
	s_delay_alu instid0(VALU_DEP_1)
	v_cvt_u32_f32_e32 v9, v1
.LBB347_1688:
	s_or_b32 exec_lo, exec_lo, s18
	s_mov_b32 s18, 0
	s_branch .LBB347_1694
.LBB347_1689:
	s_mov_b32 s18, -1
                                        ; implicit-def: $vgpr9
	s_branch .LBB347_1700
.LBB347_1690:
	s_and_not1_saveexec_b32 s19, s19
	s_cbranch_execz .LBB347_1676
.LBB347_1691:
	v_cmp_ne_u16_e32 vcc_lo, 0, v1
	s_and_not1_b32 s20, s20, exec_lo
	s_and_b32 s21, vcc_lo, exec_lo
	s_delay_alu instid0(SALU_CYCLE_1)
	s_or_b32 s20, s20, s21
	s_or_b32 exec_lo, exec_lo, s19
	v_mov_b32_e32 v9, 0
	s_and_saveexec_b32 s19, s20
	s_cbranch_execnz .LBB347_1677
	s_branch .LBB347_1678
.LBB347_1692:
	s_mov_b32 s18, -1
                                        ; implicit-def: $vgpr9
	s_branch .LBB347_1697
.LBB347_1693:
	s_mov_b32 s18, -1
                                        ; implicit-def: $vgpr9
.LBB347_1694:
	s_delay_alu instid0(SALU_CYCLE_1)
	s_and_b32 vcc_lo, exec_lo, s18
	s_cbranch_vccz .LBB347_1696
; %bb.1695:
	global_load_u8 v1, v[4:5], off
	s_wait_loadcnt 0x0
	v_lshlrev_b32_e32 v1, 24, v1
	s_delay_alu instid0(VALU_DEP_1) | instskip(NEXT) | instid1(VALU_DEP_1)
	v_and_b32_e32 v3, 0x7f000000, v1
	v_clz_i32_u32_e32 v8, v3
	v_cmp_ne_u32_e32 vcc_lo, 0, v3
	v_add_nc_u32_e32 v10, 0x1000000, v3
	s_delay_alu instid0(VALU_DEP_3) | instskip(NEXT) | instid1(VALU_DEP_1)
	v_min_u32_e32 v8, 32, v8
	v_sub_nc_u32_e64 v8, v8, 4 clamp
	s_delay_alu instid0(VALU_DEP_1) | instskip(NEXT) | instid1(VALU_DEP_1)
	v_dual_lshlrev_b32 v9, v8, v3 :: v_dual_lshlrev_b32 v8, 23, v8
	v_lshrrev_b32_e32 v9, 4, v9
	s_delay_alu instid0(VALU_DEP_1) | instskip(NEXT) | instid1(VALU_DEP_1)
	v_dual_sub_nc_u32 v8, v9, v8 :: v_dual_ashrrev_i32 v9, 8, v10
	v_add_nc_u32_e32 v8, 0x3c000000, v8
	s_delay_alu instid0(VALU_DEP_1) | instskip(NEXT) | instid1(VALU_DEP_1)
	v_and_or_b32 v8, 0x7f800000, v9, v8
	v_cndmask_b32_e32 v3, 0, v8, vcc_lo
	s_delay_alu instid0(VALU_DEP_1) | instskip(NEXT) | instid1(VALU_DEP_1)
	v_and_or_b32 v1, 0x80000000, v1, v3
	v_cvt_u32_f32_e32 v9, v1
.LBB347_1696:
	s_mov_b32 s18, 0
.LBB347_1697:
	s_delay_alu instid0(SALU_CYCLE_1)
	s_and_not1_b32 vcc_lo, exec_lo, s18
	s_cbranch_vccnz .LBB347_1699
; %bb.1698:
	global_load_u8 v1, v[4:5], off
	s_wait_loadcnt 0x0
	v_lshlrev_b32_e32 v3, 25, v1
	v_lshlrev_b16 v1, 8, v1
	s_delay_alu instid0(VALU_DEP_1) | instskip(NEXT) | instid1(VALU_DEP_3)
	v_and_or_b32 v9, 0x7f00, v1, 0.5
	v_lshrrev_b32_e32 v8, 4, v3
	v_bfe_i32 v1, v1, 0, 16
	s_delay_alu instid0(VALU_DEP_3) | instskip(NEXT) | instid1(VALU_DEP_3)
	v_add_f32_e32 v9, -0.5, v9
	v_or_b32_e32 v8, 0x70000000, v8
	s_delay_alu instid0(VALU_DEP_1) | instskip(SKIP_1) | instid1(VALU_DEP_2)
	v_mul_f32_e32 v8, 0x7800000, v8
	v_cmp_gt_u32_e32 vcc_lo, 0x8000000, v3
	v_cndmask_b32_e32 v3, v8, v9, vcc_lo
	s_delay_alu instid0(VALU_DEP_1) | instskip(NEXT) | instid1(VALU_DEP_1)
	v_and_or_b32 v1, 0x80000000, v1, v3
	v_cvt_u32_f32_e32 v9, v1
.LBB347_1699:
	s_mov_b32 s18, 0
	s_mov_b32 s19, -1
.LBB347_1700:
	s_and_not1_b32 vcc_lo, exec_lo, s18
	s_mov_b32 s18, 0
	s_cbranch_vccnz .LBB347_1711
; %bb.1701:
	s_cmp_gt_i32 s14, 14
	s_cbranch_scc0 .LBB347_1704
; %bb.1702:
	s_cmp_eq_u32 s14, 15
	s_cbranch_scc0 .LBB347_1707
; %bb.1703:
	global_load_u16 v1, v[4:5], off
	s_mov_b32 s17, 0
	s_mov_b32 s19, -1
	s_wait_loadcnt 0x0
	v_lshlrev_b32_e32 v1, 16, v1
	s_delay_alu instid0(VALU_DEP_1)
	v_cvt_u32_f32_e32 v9, v1
	s_branch .LBB347_1709
.LBB347_1704:
	s_mov_b32 s18, -1
	s_branch .LBB347_1708
.LBB347_1705:
	s_and_not1_saveexec_b32 s18, s18
	s_cbranch_execz .LBB347_1686
.LBB347_1706:
	v_cmp_ne_u16_e32 vcc_lo, 0, v1
	s_and_not1_b32 s19, s19, exec_lo
	s_and_b32 s20, vcc_lo, exec_lo
	s_delay_alu instid0(SALU_CYCLE_1)
	s_or_b32 s19, s19, s20
	s_or_b32 exec_lo, exec_lo, s18
	v_mov_b32_e32 v9, 0
	s_and_saveexec_b32 s18, s19
	s_cbranch_execnz .LBB347_1687
	s_branch .LBB347_1688
.LBB347_1707:
	s_mov_b32 s17, -1
.LBB347_1708:
                                        ; implicit-def: $vgpr9
.LBB347_1709:
	s_and_b32 vcc_lo, exec_lo, s18
	s_mov_b32 s18, 0
	s_cbranch_vccz .LBB347_1711
; %bb.1710:
	s_cmp_lg_u32 s14, 11
	s_mov_b32 s18, -1
	s_cselect_b32 s17, -1, 0
.LBB347_1711:
	s_delay_alu instid0(SALU_CYCLE_1)
	s_and_b32 vcc_lo, exec_lo, s17
	s_cbranch_vccnz .LBB347_1774
; %bb.1712:
	s_and_not1_b32 vcc_lo, exec_lo, s18
	s_cbranch_vccnz .LBB347_1714
.LBB347_1713:
	global_load_u8 v1, v[4:5], off
	s_mov_b32 s19, -1
	s_wait_loadcnt 0x0
	v_cmp_ne_u16_e32 vcc_lo, 0, v1
	v_cndmask_b32_e64 v9, 0, 1, vcc_lo
.LBB347_1714:
	s_branch .LBB347_1644
.LBB347_1715:
	s_and_b32 s14, 0xffff, s1
	s_delay_alu instid0(SALU_CYCLE_1)
	s_cmp_lt_i32 s14, 5
	s_cbranch_scc1 .LBB347_1720
; %bb.1716:
	s_cmp_lt_i32 s14, 8
	s_cbranch_scc1 .LBB347_1721
; %bb.1717:
	s_cmp_lt_i32 s14, 9
	s_cbranch_scc1 .LBB347_1722
; %bb.1718:
	s_cmp_gt_i32 s14, 9
	s_cbranch_scc0 .LBB347_1723
; %bb.1719:
	s_wait_loadcnt 0x0
	global_load_b64 v[8:9], v[4:5], off
	s_mov_b32 s17, 0
	s_wait_loadcnt 0x0
	v_cvt_u32_f64_e32 v9, v[8:9]
	s_branch .LBB347_1724
.LBB347_1720:
                                        ; implicit-def: $vgpr9
	s_branch .LBB347_1742
.LBB347_1721:
	s_mov_b32 s17, -1
                                        ; implicit-def: $vgpr9
	s_branch .LBB347_1730
.LBB347_1722:
	s_mov_b32 s17, -1
                                        ; implicit-def: $vgpr9
	s_branch .LBB347_1727
.LBB347_1723:
	s_mov_b32 s17, -1
                                        ; implicit-def: $vgpr9
.LBB347_1724:
	s_delay_alu instid0(SALU_CYCLE_1)
	s_and_not1_b32 vcc_lo, exec_lo, s17
	s_cbranch_vccnz .LBB347_1726
; %bb.1725:
	global_load_b32 v1, v[4:5], off
	s_wait_loadcnt 0x0
	v_cvt_u32_f32_e32 v9, v1
.LBB347_1726:
	s_mov_b32 s17, 0
.LBB347_1727:
	s_delay_alu instid0(SALU_CYCLE_1)
	s_and_not1_b32 vcc_lo, exec_lo, s17
	s_cbranch_vccnz .LBB347_1729
; %bb.1728:
	global_load_b32 v1, v[4:5], off
	s_wait_loadcnt 0x0
	v_cvt_f32_f16_e32 v1, v1
	s_delay_alu instid0(VALU_DEP_1)
	v_cvt_u32_f32_e32 v9, v1
.LBB347_1729:
	s_mov_b32 s17, 0
.LBB347_1730:
	s_delay_alu instid0(SALU_CYCLE_1)
	s_and_not1_b32 vcc_lo, exec_lo, s17
	s_cbranch_vccnz .LBB347_1741
; %bb.1731:
	s_cmp_lt_i32 s14, 6
	s_cbranch_scc1 .LBB347_1734
; %bb.1732:
	s_cmp_gt_i32 s14, 6
	s_cbranch_scc0 .LBB347_1735
; %bb.1733:
	s_wait_loadcnt 0x0
	global_load_b64 v[8:9], v[4:5], off
	s_mov_b32 s17, 0
	s_wait_loadcnt 0x0
	v_cvt_u32_f64_e32 v9, v[8:9]
	s_branch .LBB347_1736
.LBB347_1734:
	s_mov_b32 s17, -1
                                        ; implicit-def: $vgpr9
	s_branch .LBB347_1739
.LBB347_1735:
	s_mov_b32 s17, -1
                                        ; implicit-def: $vgpr9
.LBB347_1736:
	s_delay_alu instid0(SALU_CYCLE_1)
	s_and_not1_b32 vcc_lo, exec_lo, s17
	s_cbranch_vccnz .LBB347_1738
; %bb.1737:
	global_load_b32 v1, v[4:5], off
	s_wait_loadcnt 0x0
	v_cvt_u32_f32_e32 v9, v1
.LBB347_1738:
	s_mov_b32 s17, 0
.LBB347_1739:
	s_delay_alu instid0(SALU_CYCLE_1)
	s_and_not1_b32 vcc_lo, exec_lo, s17
	s_cbranch_vccnz .LBB347_1741
; %bb.1740:
	global_load_u16 v1, v[4:5], off
	s_wait_loadcnt 0x0
	v_cvt_f32_f16_e32 v1, v1
	s_delay_alu instid0(VALU_DEP_1)
	v_cvt_u32_f32_e32 v9, v1
.LBB347_1741:
	s_cbranch_execnz .LBB347_1761
.LBB347_1742:
	s_cmp_lt_i32 s14, 2
	s_cbranch_scc1 .LBB347_1746
; %bb.1743:
	s_cmp_lt_i32 s14, 3
	s_cbranch_scc1 .LBB347_1747
; %bb.1744:
	s_cmp_gt_i32 s14, 3
	s_cbranch_scc0 .LBB347_1748
; %bb.1745:
	s_wait_loadcnt 0x0
	global_load_b32 v9, v[4:5], off
	s_mov_b32 s17, 0
	s_branch .LBB347_1749
.LBB347_1746:
	s_mov_b32 s17, -1
                                        ; implicit-def: $vgpr9
	s_branch .LBB347_1755
.LBB347_1747:
	s_mov_b32 s17, -1
                                        ; implicit-def: $vgpr9
	s_branch .LBB347_1752
.LBB347_1748:
	s_mov_b32 s17, -1
                                        ; implicit-def: $vgpr9
.LBB347_1749:
	s_delay_alu instid0(SALU_CYCLE_1)
	s_and_not1_b32 vcc_lo, exec_lo, s17
	s_cbranch_vccnz .LBB347_1751
; %bb.1750:
	s_wait_loadcnt 0x0
	global_load_b32 v9, v[4:5], off
.LBB347_1751:
	s_mov_b32 s17, 0
.LBB347_1752:
	s_delay_alu instid0(SALU_CYCLE_1)
	s_and_not1_b32 vcc_lo, exec_lo, s17
	s_cbranch_vccnz .LBB347_1754
; %bb.1753:
	s_wait_loadcnt 0x0
	global_load_i16 v9, v[4:5], off
.LBB347_1754:
	s_mov_b32 s17, 0
.LBB347_1755:
	s_delay_alu instid0(SALU_CYCLE_1)
	s_and_not1_b32 vcc_lo, exec_lo, s17
	s_cbranch_vccnz .LBB347_1761
; %bb.1756:
	s_cmp_gt_i32 s14, 0
	s_mov_b32 s14, 0
	s_cbranch_scc0 .LBB347_1758
; %bb.1757:
	s_wait_loadcnt 0x0
	global_load_i8 v9, v[4:5], off
	s_branch .LBB347_1759
.LBB347_1758:
	s_mov_b32 s14, -1
                                        ; implicit-def: $vgpr9
.LBB347_1759:
	s_delay_alu instid0(SALU_CYCLE_1)
	s_and_not1_b32 vcc_lo, exec_lo, s14
	s_cbranch_vccnz .LBB347_1761
; %bb.1760:
	s_wait_loadcnt 0x0
	global_load_u8 v9, v[4:5], off
.LBB347_1761:
.LBB347_1762:
	s_lshl_b32 s9, s9, 7
	s_cmp_lt_i32 s0, 11
	v_add_nc_u32_e32 v0, s9, v0
	s_delay_alu instid0(VALU_DEP_1) | instskip(SKIP_1) | instid1(VALU_DEP_1)
	v_ashrrev_i32_e32 v1, 31, v0
	s_wait_xcnt 0x0
	v_add_nc_u64_e32 v[4:5], s[6:7], v[0:1]
	s_cbranch_scc1 .LBB347_1769
; %bb.1763:
	s_and_b32 s14, 0xffff, s0
	s_mov_b32 s18, 0
	s_cmp_gt_i32 s14, 25
	s_cbranch_scc0 .LBB347_1771
; %bb.1764:
	s_cmp_gt_i32 s14, 28
	s_cbranch_scc0 .LBB347_1772
; %bb.1765:
	;; [unrolled: 3-line block ×4, first 2 shown]
	s_cmp_eq_u32 s14, 46
	s_mov_b32 s20, 0
	s_cbranch_scc0 .LBB347_1776
; %bb.1768:
	global_load_b32 v1, v[4:5], off
	s_mov_b32 s17, 0
	s_mov_b32 s19, -1
	s_wait_loadcnt 0x0
	v_lshlrev_b32_e32 v1, 16, v1
	s_delay_alu instid0(VALU_DEP_1)
	v_cvt_u32_f32_e32 v8, v1
	s_branch .LBB347_1778
.LBB347_1769:
	s_mov_b32 s19, 0
                                        ; implicit-def: $vgpr8
	s_cbranch_execnz .LBB347_1840
.LBB347_1770:
	s_and_not1_b32 vcc_lo, exec_lo, s19
	s_cbranch_vccnz .LBB347_2957
	s_branch .LBB347_1888
.LBB347_1771:
	s_mov_b32 s20, -1
	s_mov_b32 s19, 0
	s_mov_b32 s17, 0
                                        ; implicit-def: $vgpr8
	s_branch .LBB347_1805
.LBB347_1772:
	s_mov_b32 s20, -1
	s_mov_b32 s19, 0
	s_mov_b32 s17, 0
                                        ; implicit-def: $vgpr8
	s_branch .LBB347_1788
.LBB347_1773:
	s_mov_b32 s20, -1
	s_mov_b32 s19, 0
	s_mov_b32 s17, 0
                                        ; implicit-def: $vgpr8
	s_branch .LBB347_1783
.LBB347_1774:
	s_or_b32 s13, s13, exec_lo
	s_trap 2
	s_cbranch_execz .LBB347_1713
	s_branch .LBB347_1714
.LBB347_1775:
	s_mov_b32 s20, -1
	s_mov_b32 s19, 0
	s_mov_b32 s17, 0
	s_branch .LBB347_1777
.LBB347_1776:
	s_mov_b32 s17, -1
	s_mov_b32 s19, 0
.LBB347_1777:
                                        ; implicit-def: $vgpr8
.LBB347_1778:
	s_and_b32 vcc_lo, exec_lo, s20
	s_cbranch_vccz .LBB347_1782
; %bb.1779:
	s_cmp_eq_u32 s14, 44
	s_cbranch_scc0 .LBB347_1781
; %bb.1780:
	global_load_u8 v1, v[4:5], off
	s_mov_b32 s17, 0
	s_mov_b32 s19, -1
	s_wait_loadcnt 0x0
	v_lshlrev_b32_e32 v3, 23, v1
	v_cmp_ne_u32_e32 vcc_lo, 0, v1
	s_delay_alu instid0(VALU_DEP_2) | instskip(NEXT) | instid1(VALU_DEP_1)
	v_cvt_u32_f32_e32 v3, v3
	v_cndmask_b32_e32 v8, 0, v3, vcc_lo
	s_branch .LBB347_1782
.LBB347_1781:
	s_mov_b32 s17, -1
                                        ; implicit-def: $vgpr8
.LBB347_1782:
	s_mov_b32 s20, 0
.LBB347_1783:
	s_delay_alu instid0(SALU_CYCLE_1)
	s_and_b32 vcc_lo, exec_lo, s20
	s_cbranch_vccz .LBB347_1787
; %bb.1784:
	s_cmp_eq_u32 s14, 29
	s_cbranch_scc0 .LBB347_1786
; %bb.1785:
	global_load_b32 v8, v[4:5], off
	s_mov_b32 s17, 0
	s_mov_b32 s19, -1
	s_branch .LBB347_1787
.LBB347_1786:
	s_mov_b32 s17, -1
                                        ; implicit-def: $vgpr8
.LBB347_1787:
	s_mov_b32 s20, 0
.LBB347_1788:
	s_delay_alu instid0(SALU_CYCLE_1)
	s_and_b32 vcc_lo, exec_lo, s20
	s_cbranch_vccz .LBB347_1804
; %bb.1789:
	s_cmp_lt_i32 s14, 27
	s_cbranch_scc1 .LBB347_1792
; %bb.1790:
	s_cmp_gt_i32 s14, 27
	s_cbranch_scc0 .LBB347_1793
; %bb.1791:
	s_wait_loadcnt 0x0
	global_load_b32 v8, v[4:5], off
	s_mov_b32 s19, 0
	s_branch .LBB347_1794
.LBB347_1792:
	s_mov_b32 s19, -1
                                        ; implicit-def: $vgpr8
	s_branch .LBB347_1797
.LBB347_1793:
	s_mov_b32 s19, -1
                                        ; implicit-def: $vgpr8
.LBB347_1794:
	s_delay_alu instid0(SALU_CYCLE_1)
	s_and_not1_b32 vcc_lo, exec_lo, s19
	s_cbranch_vccnz .LBB347_1796
; %bb.1795:
	s_wait_loadcnt 0x0
	global_load_u16 v8, v[4:5], off
.LBB347_1796:
	s_mov_b32 s19, 0
.LBB347_1797:
	s_delay_alu instid0(SALU_CYCLE_1)
	s_and_not1_b32 vcc_lo, exec_lo, s19
	s_cbranch_vccnz .LBB347_1803
; %bb.1798:
	global_load_u8 v1, v[4:5], off
	s_mov_b32 s20, 0
	s_mov_b32 s19, exec_lo
	s_wait_loadcnt 0x0
	v_cmpx_lt_i16_e32 0x7f, v1
	s_xor_b32 s19, exec_lo, s19
	s_cbranch_execz .LBB347_1815
; %bb.1799:
	v_cmp_ne_u16_e32 vcc_lo, 0x80, v1
	s_and_b32 s20, vcc_lo, exec_lo
	s_and_not1_saveexec_b32 s19, s19
	s_cbranch_execnz .LBB347_1816
.LBB347_1800:
	s_or_b32 exec_lo, exec_lo, s19
	v_mov_b32_e32 v8, 0
	s_and_saveexec_b32 s19, s20
	s_cbranch_execz .LBB347_1802
.LBB347_1801:
	v_and_b32_e32 v3, 0xffff, v1
	s_delay_alu instid0(VALU_DEP_1) | instskip(SKIP_1) | instid1(VALU_DEP_2)
	v_and_b32_e32 v8, 7, v3
	v_bfe_u32 v12, v3, 3, 4
	v_clz_i32_u32_e32 v10, v8
	s_delay_alu instid0(VALU_DEP_2) | instskip(NEXT) | instid1(VALU_DEP_2)
	v_cmp_eq_u32_e32 vcc_lo, 0, v12
	v_min_u32_e32 v10, 32, v10
	s_delay_alu instid0(VALU_DEP_1) | instskip(NEXT) | instid1(VALU_DEP_1)
	v_subrev_nc_u32_e32 v11, 28, v10
	v_dual_lshlrev_b32 v3, v11, v3 :: v_dual_sub_nc_u32 v10, 29, v10
	s_delay_alu instid0(VALU_DEP_1) | instskip(NEXT) | instid1(VALU_DEP_2)
	v_dual_lshlrev_b32 v1, 24, v1 :: v_dual_bitop2_b32 v3, 7, v3 bitop3:0x40
	v_cndmask_b32_e32 v10, v12, v10, vcc_lo
	s_delay_alu instid0(VALU_DEP_2) | instskip(NEXT) | instid1(VALU_DEP_3)
	v_cndmask_b32_e32 v3, v8, v3, vcc_lo
	v_and_b32_e32 v1, 0x80000000, v1
	s_delay_alu instid0(VALU_DEP_3) | instskip(NEXT) | instid1(VALU_DEP_3)
	v_lshl_add_u32 v8, v10, 23, 0x3b800000
	v_lshlrev_b32_e32 v3, 20, v3
	s_delay_alu instid0(VALU_DEP_1) | instskip(NEXT) | instid1(VALU_DEP_1)
	v_or3_b32 v1, v1, v8, v3
	v_cvt_u32_f32_e32 v8, v1
.LBB347_1802:
	s_or_b32 exec_lo, exec_lo, s19
.LBB347_1803:
	s_mov_b32 s19, -1
.LBB347_1804:
	s_mov_b32 s20, 0
.LBB347_1805:
	s_delay_alu instid0(SALU_CYCLE_1)
	s_and_b32 vcc_lo, exec_lo, s20
	s_cbranch_vccz .LBB347_1836
; %bb.1806:
	s_cmp_gt_i32 s14, 22
	s_cbranch_scc0 .LBB347_1814
; %bb.1807:
	s_cmp_lt_i32 s14, 24
	s_cbranch_scc1 .LBB347_1817
; %bb.1808:
	s_cmp_gt_i32 s14, 24
	s_cbranch_scc0 .LBB347_1818
; %bb.1809:
	global_load_u8 v1, v[4:5], off
	s_mov_b32 s19, 0
	s_mov_b32 s18, exec_lo
	s_wait_loadcnt 0x0
	v_cmpx_lt_i16_e32 0x7f, v1
	s_xor_b32 s18, exec_lo, s18
	s_cbranch_execz .LBB347_1830
; %bb.1810:
	v_cmp_ne_u16_e32 vcc_lo, 0x80, v1
	s_and_b32 s19, vcc_lo, exec_lo
	s_and_not1_saveexec_b32 s18, s18
	s_cbranch_execnz .LBB347_1831
.LBB347_1811:
	s_or_b32 exec_lo, exec_lo, s18
	v_mov_b32_e32 v8, 0
	s_and_saveexec_b32 s18, s19
	s_cbranch_execz .LBB347_1813
.LBB347_1812:
	v_and_b32_e32 v3, 0xffff, v1
	s_delay_alu instid0(VALU_DEP_1) | instskip(SKIP_1) | instid1(VALU_DEP_2)
	v_and_b32_e32 v8, 3, v3
	v_bfe_u32 v12, v3, 2, 5
	v_clz_i32_u32_e32 v10, v8
	s_delay_alu instid0(VALU_DEP_2) | instskip(NEXT) | instid1(VALU_DEP_2)
	v_cmp_eq_u32_e32 vcc_lo, 0, v12
	v_min_u32_e32 v10, 32, v10
	s_delay_alu instid0(VALU_DEP_1) | instskip(NEXT) | instid1(VALU_DEP_1)
	v_subrev_nc_u32_e32 v11, 29, v10
	v_dual_lshlrev_b32 v3, v11, v3 :: v_dual_sub_nc_u32 v10, 30, v10
	s_delay_alu instid0(VALU_DEP_1) | instskip(NEXT) | instid1(VALU_DEP_2)
	v_dual_lshlrev_b32 v1, 24, v1 :: v_dual_bitop2_b32 v3, 3, v3 bitop3:0x40
	v_cndmask_b32_e32 v10, v12, v10, vcc_lo
	s_delay_alu instid0(VALU_DEP_2) | instskip(NEXT) | instid1(VALU_DEP_3)
	v_cndmask_b32_e32 v3, v8, v3, vcc_lo
	v_and_b32_e32 v1, 0x80000000, v1
	s_delay_alu instid0(VALU_DEP_3) | instskip(NEXT) | instid1(VALU_DEP_3)
	v_lshl_add_u32 v8, v10, 23, 0x37800000
	v_lshlrev_b32_e32 v3, 21, v3
	s_delay_alu instid0(VALU_DEP_1) | instskip(NEXT) | instid1(VALU_DEP_1)
	v_or3_b32 v1, v1, v8, v3
	v_cvt_u32_f32_e32 v8, v1
.LBB347_1813:
	s_or_b32 exec_lo, exec_lo, s18
	s_mov_b32 s18, 0
	s_branch .LBB347_1819
.LBB347_1814:
	s_mov_b32 s18, -1
                                        ; implicit-def: $vgpr8
	s_branch .LBB347_1825
.LBB347_1815:
	s_and_not1_saveexec_b32 s19, s19
	s_cbranch_execz .LBB347_1800
.LBB347_1816:
	v_cmp_ne_u16_e32 vcc_lo, 0, v1
	s_and_not1_b32 s20, s20, exec_lo
	s_and_b32 s21, vcc_lo, exec_lo
	s_delay_alu instid0(SALU_CYCLE_1)
	s_or_b32 s20, s20, s21
	s_or_b32 exec_lo, exec_lo, s19
	v_mov_b32_e32 v8, 0
	s_and_saveexec_b32 s19, s20
	s_cbranch_execnz .LBB347_1801
	s_branch .LBB347_1802
.LBB347_1817:
	s_mov_b32 s18, -1
                                        ; implicit-def: $vgpr8
	s_branch .LBB347_1822
.LBB347_1818:
	s_mov_b32 s18, -1
                                        ; implicit-def: $vgpr8
.LBB347_1819:
	s_delay_alu instid0(SALU_CYCLE_1)
	s_and_b32 vcc_lo, exec_lo, s18
	s_cbranch_vccz .LBB347_1821
; %bb.1820:
	global_load_u8 v1, v[4:5], off
	s_wait_loadcnt 0x0
	v_lshlrev_b32_e32 v1, 24, v1
	s_delay_alu instid0(VALU_DEP_1) | instskip(NEXT) | instid1(VALU_DEP_1)
	v_and_b32_e32 v3, 0x7f000000, v1
	v_clz_i32_u32_e32 v8, v3
	v_add_nc_u32_e32 v11, 0x1000000, v3
	v_cmp_ne_u32_e32 vcc_lo, 0, v3
	s_delay_alu instid0(VALU_DEP_3) | instskip(NEXT) | instid1(VALU_DEP_1)
	v_min_u32_e32 v8, 32, v8
	v_sub_nc_u32_e64 v8, v8, 4 clamp
	s_delay_alu instid0(VALU_DEP_1) | instskip(NEXT) | instid1(VALU_DEP_1)
	v_dual_lshlrev_b32 v10, v8, v3 :: v_dual_lshlrev_b32 v8, 23, v8
	v_lshrrev_b32_e32 v10, 4, v10
	s_delay_alu instid0(VALU_DEP_1) | instskip(NEXT) | instid1(VALU_DEP_1)
	v_dual_sub_nc_u32 v8, v10, v8 :: v_dual_ashrrev_i32 v10, 8, v11
	v_add_nc_u32_e32 v8, 0x3c000000, v8
	s_delay_alu instid0(VALU_DEP_1) | instskip(NEXT) | instid1(VALU_DEP_1)
	v_and_or_b32 v8, 0x7f800000, v10, v8
	v_cndmask_b32_e32 v3, 0, v8, vcc_lo
	s_delay_alu instid0(VALU_DEP_1) | instskip(NEXT) | instid1(VALU_DEP_1)
	v_and_or_b32 v1, 0x80000000, v1, v3
	v_cvt_u32_f32_e32 v8, v1
.LBB347_1821:
	s_mov_b32 s18, 0
.LBB347_1822:
	s_delay_alu instid0(SALU_CYCLE_1)
	s_and_not1_b32 vcc_lo, exec_lo, s18
	s_cbranch_vccnz .LBB347_1824
; %bb.1823:
	global_load_u8 v1, v[4:5], off
	s_wait_loadcnt 0x0
	v_lshlrev_b32_e32 v3, 25, v1
	v_lshlrev_b16 v1, 8, v1
	s_delay_alu instid0(VALU_DEP_1) | instskip(SKIP_1) | instid1(VALU_DEP_2)
	v_and_or_b32 v10, 0x7f00, v1, 0.5
	v_bfe_i32 v1, v1, 0, 16
	v_dual_add_f32 v10, -0.5, v10 :: v_dual_lshrrev_b32 v8, 4, v3
	v_cmp_gt_u32_e32 vcc_lo, 0x8000000, v3
	s_delay_alu instid0(VALU_DEP_2) | instskip(NEXT) | instid1(VALU_DEP_1)
	v_or_b32_e32 v8, 0x70000000, v8
	v_mul_f32_e32 v8, 0x7800000, v8
	s_delay_alu instid0(VALU_DEP_1) | instskip(NEXT) | instid1(VALU_DEP_1)
	v_cndmask_b32_e32 v3, v8, v10, vcc_lo
	v_and_or_b32 v1, 0x80000000, v1, v3
	s_delay_alu instid0(VALU_DEP_1)
	v_cvt_u32_f32_e32 v8, v1
.LBB347_1824:
	s_mov_b32 s18, 0
	s_mov_b32 s19, -1
.LBB347_1825:
	s_and_not1_b32 vcc_lo, exec_lo, s18
	s_mov_b32 s18, 0
	s_cbranch_vccnz .LBB347_1836
; %bb.1826:
	s_cmp_gt_i32 s14, 14
	s_cbranch_scc0 .LBB347_1829
; %bb.1827:
	s_cmp_eq_u32 s14, 15
	s_cbranch_scc0 .LBB347_1832
; %bb.1828:
	global_load_u16 v1, v[4:5], off
	s_mov_b32 s17, 0
	s_mov_b32 s19, -1
	s_wait_loadcnt 0x0
	v_lshlrev_b32_e32 v1, 16, v1
	s_delay_alu instid0(VALU_DEP_1)
	v_cvt_u32_f32_e32 v8, v1
	s_branch .LBB347_1834
.LBB347_1829:
	s_mov_b32 s18, -1
	s_branch .LBB347_1833
.LBB347_1830:
	s_and_not1_saveexec_b32 s18, s18
	s_cbranch_execz .LBB347_1811
.LBB347_1831:
	v_cmp_ne_u16_e32 vcc_lo, 0, v1
	s_and_not1_b32 s19, s19, exec_lo
	s_and_b32 s20, vcc_lo, exec_lo
	s_delay_alu instid0(SALU_CYCLE_1)
	s_or_b32 s19, s19, s20
	s_or_b32 exec_lo, exec_lo, s18
	v_mov_b32_e32 v8, 0
	s_and_saveexec_b32 s18, s19
	s_cbranch_execnz .LBB347_1812
	s_branch .LBB347_1813
.LBB347_1832:
	s_mov_b32 s17, -1
.LBB347_1833:
                                        ; implicit-def: $vgpr8
.LBB347_1834:
	s_and_b32 vcc_lo, exec_lo, s18
	s_mov_b32 s18, 0
	s_cbranch_vccz .LBB347_1836
; %bb.1835:
	s_cmp_lg_u32 s14, 11
	s_mov_b32 s18, -1
	s_cselect_b32 s17, -1, 0
.LBB347_1836:
	s_delay_alu instid0(SALU_CYCLE_1)
	s_and_b32 vcc_lo, exec_lo, s17
	s_cbranch_vccnz .LBB347_1899
; %bb.1837:
	s_and_not1_b32 vcc_lo, exec_lo, s18
	s_cbranch_vccnz .LBB347_1839
.LBB347_1838:
	global_load_u8 v1, v[4:5], off
	s_mov_b32 s19, -1
	s_wait_loadcnt 0x0
	v_cmp_ne_u16_e32 vcc_lo, 0, v1
	v_cndmask_b32_e64 v8, 0, 1, vcc_lo
.LBB347_1839:
	s_branch .LBB347_1770
.LBB347_1840:
	s_and_b32 s14, 0xffff, s0
	s_delay_alu instid0(SALU_CYCLE_1)
	s_cmp_lt_i32 s14, 5
	s_cbranch_scc1 .LBB347_1845
; %bb.1841:
	s_cmp_lt_i32 s14, 8
	s_cbranch_scc1 .LBB347_1846
; %bb.1842:
	;; [unrolled: 3-line block ×3, first 2 shown]
	s_cmp_gt_i32 s14, 9
	s_cbranch_scc0 .LBB347_1848
; %bb.1844:
	global_load_b64 v[10:11], v[4:5], off
	s_mov_b32 s17, 0
	s_wait_loadcnt 0x0
	v_cvt_u32_f64_e32 v8, v[10:11]
	s_branch .LBB347_1849
.LBB347_1845:
	s_mov_b32 s17, -1
                                        ; implicit-def: $vgpr8
	s_branch .LBB347_1867
.LBB347_1846:
	s_mov_b32 s17, -1
                                        ; implicit-def: $vgpr8
	s_branch .LBB347_1855
.LBB347_1847:
	s_mov_b32 s17, -1
                                        ; implicit-def: $vgpr8
	s_branch .LBB347_1852
.LBB347_1848:
	s_mov_b32 s17, -1
                                        ; implicit-def: $vgpr8
.LBB347_1849:
	s_delay_alu instid0(SALU_CYCLE_1)
	s_and_not1_b32 vcc_lo, exec_lo, s17
	s_cbranch_vccnz .LBB347_1851
; %bb.1850:
	global_load_b32 v1, v[4:5], off
	s_wait_loadcnt 0x0
	v_cvt_u32_f32_e32 v8, v1
.LBB347_1851:
	s_mov_b32 s17, 0
.LBB347_1852:
	s_delay_alu instid0(SALU_CYCLE_1)
	s_and_not1_b32 vcc_lo, exec_lo, s17
	s_cbranch_vccnz .LBB347_1854
; %bb.1853:
	global_load_b32 v1, v[4:5], off
	s_wait_loadcnt 0x0
	v_cvt_f32_f16_e32 v1, v1
	s_delay_alu instid0(VALU_DEP_1)
	v_cvt_u32_f32_e32 v8, v1
.LBB347_1854:
	s_mov_b32 s17, 0
.LBB347_1855:
	s_delay_alu instid0(SALU_CYCLE_1)
	s_and_not1_b32 vcc_lo, exec_lo, s17
	s_cbranch_vccnz .LBB347_1866
; %bb.1856:
	s_cmp_lt_i32 s14, 6
	s_cbranch_scc1 .LBB347_1859
; %bb.1857:
	s_cmp_gt_i32 s14, 6
	s_cbranch_scc0 .LBB347_1860
; %bb.1858:
	global_load_b64 v[10:11], v[4:5], off
	s_mov_b32 s17, 0
	s_wait_loadcnt 0x0
	v_cvt_u32_f64_e32 v8, v[10:11]
	s_branch .LBB347_1861
.LBB347_1859:
	s_mov_b32 s17, -1
                                        ; implicit-def: $vgpr8
	s_branch .LBB347_1864
.LBB347_1860:
	s_mov_b32 s17, -1
                                        ; implicit-def: $vgpr8
.LBB347_1861:
	s_delay_alu instid0(SALU_CYCLE_1)
	s_and_not1_b32 vcc_lo, exec_lo, s17
	s_cbranch_vccnz .LBB347_1863
; %bb.1862:
	global_load_b32 v1, v[4:5], off
	s_wait_loadcnt 0x0
	v_cvt_u32_f32_e32 v8, v1
.LBB347_1863:
	s_mov_b32 s17, 0
.LBB347_1864:
	s_delay_alu instid0(SALU_CYCLE_1)
	s_and_not1_b32 vcc_lo, exec_lo, s17
	s_cbranch_vccnz .LBB347_1866
; %bb.1865:
	global_load_u16 v1, v[4:5], off
	s_wait_loadcnt 0x0
	v_cvt_f32_f16_e32 v1, v1
	s_delay_alu instid0(VALU_DEP_1)
	v_cvt_u32_f32_e32 v8, v1
.LBB347_1866:
	s_mov_b32 s17, 0
.LBB347_1867:
	s_delay_alu instid0(SALU_CYCLE_1)
	s_and_not1_b32 vcc_lo, exec_lo, s17
	s_cbranch_vccnz .LBB347_1887
; %bb.1868:
	s_cmp_lt_i32 s14, 2
	s_cbranch_scc1 .LBB347_1872
; %bb.1869:
	s_cmp_lt_i32 s14, 3
	s_cbranch_scc1 .LBB347_1873
; %bb.1870:
	s_cmp_gt_i32 s14, 3
	s_cbranch_scc0 .LBB347_1874
; %bb.1871:
	s_wait_loadcnt 0x0
	global_load_b32 v8, v[4:5], off
	s_mov_b32 s17, 0
	s_branch .LBB347_1875
.LBB347_1872:
	s_mov_b32 s17, -1
                                        ; implicit-def: $vgpr8
	s_branch .LBB347_1881
.LBB347_1873:
	s_mov_b32 s17, -1
                                        ; implicit-def: $vgpr8
	s_branch .LBB347_1878
.LBB347_1874:
	s_mov_b32 s17, -1
                                        ; implicit-def: $vgpr8
.LBB347_1875:
	s_delay_alu instid0(SALU_CYCLE_1)
	s_and_not1_b32 vcc_lo, exec_lo, s17
	s_cbranch_vccnz .LBB347_1877
; %bb.1876:
	s_wait_loadcnt 0x0
	global_load_b32 v8, v[4:5], off
.LBB347_1877:
	s_mov_b32 s17, 0
.LBB347_1878:
	s_delay_alu instid0(SALU_CYCLE_1)
	s_and_not1_b32 vcc_lo, exec_lo, s17
	s_cbranch_vccnz .LBB347_1880
; %bb.1879:
	s_wait_loadcnt 0x0
	global_load_i16 v8, v[4:5], off
.LBB347_1880:
	s_mov_b32 s17, 0
.LBB347_1881:
	s_delay_alu instid0(SALU_CYCLE_1)
	s_and_not1_b32 vcc_lo, exec_lo, s17
	s_cbranch_vccnz .LBB347_1887
; %bb.1882:
	s_cmp_gt_i32 s14, 0
	s_mov_b32 s14, 0
	s_cbranch_scc0 .LBB347_1884
; %bb.1883:
	s_wait_loadcnt 0x0
	global_load_i8 v8, v[4:5], off
	s_branch .LBB347_1885
.LBB347_1884:
	s_mov_b32 s14, -1
                                        ; implicit-def: $vgpr8
.LBB347_1885:
	s_delay_alu instid0(SALU_CYCLE_1)
	s_and_not1_b32 vcc_lo, exec_lo, s14
	s_cbranch_vccnz .LBB347_1887
; %bb.1886:
	s_wait_loadcnt 0x0
	global_load_u8 v8, v[4:5], off
.LBB347_1887:
.LBB347_1888:
	s_lshl_b32 s10, s10, 7
	s_cmp_lt_i32 s1, 11
	v_add_nc_u32_e32 v2, s10, v2
	s_delay_alu instid0(VALU_DEP_1) | instskip(SKIP_1) | instid1(VALU_DEP_1)
	v_ashrrev_i32_e32 v3, 31, v2
	s_wait_xcnt 0x0
	v_add_nc_u64_e32 v[4:5], s[2:3], v[2:3]
	s_cbranch_scc1 .LBB347_1895
; %bb.1889:
	s_and_b32 s14, 0xffff, s1
	s_mov_b32 s18, 0
	s_cmp_gt_i32 s14, 25
	s_cbranch_scc0 .LBB347_1896
; %bb.1890:
	s_cmp_gt_i32 s14, 28
	s_cbranch_scc0 .LBB347_1897
; %bb.1891:
	;; [unrolled: 3-line block ×4, first 2 shown]
	s_cmp_eq_u32 s14, 46
	s_mov_b32 s20, 0
	s_cbranch_scc0 .LBB347_1901
; %bb.1894:
	global_load_b32 v1, v[4:5], off
	s_mov_b32 s17, 0
	s_mov_b32 s19, -1
	s_wait_loadcnt 0x0
	v_lshlrev_b32_e32 v1, 16, v1
	s_delay_alu instid0(VALU_DEP_1)
	v_cvt_u32_f32_e32 v11, v1
	s_branch .LBB347_1903
.LBB347_1895:
	s_mov_b32 s14, -1
	s_mov_b32 s19, 0
                                        ; implicit-def: $vgpr11
	s_branch .LBB347_1965
.LBB347_1896:
	s_mov_b32 s20, -1
	s_mov_b32 s19, 0
	s_mov_b32 s17, 0
                                        ; implicit-def: $vgpr11
	s_branch .LBB347_1930
.LBB347_1897:
	s_mov_b32 s20, -1
	s_mov_b32 s19, 0
	s_mov_b32 s17, 0
                                        ; implicit-def: $vgpr11
	s_branch .LBB347_1913
.LBB347_1898:
	s_mov_b32 s20, -1
	s_mov_b32 s19, 0
	s_mov_b32 s17, 0
                                        ; implicit-def: $vgpr11
	s_branch .LBB347_1908
.LBB347_1899:
	s_or_b32 s13, s13, exec_lo
	s_trap 2
	s_cbranch_execz .LBB347_1838
	s_branch .LBB347_1839
.LBB347_1900:
	s_mov_b32 s20, -1
	s_mov_b32 s19, 0
	s_mov_b32 s17, 0
	s_branch .LBB347_1902
.LBB347_1901:
	s_mov_b32 s17, -1
	s_mov_b32 s19, 0
.LBB347_1902:
                                        ; implicit-def: $vgpr11
.LBB347_1903:
	s_and_b32 vcc_lo, exec_lo, s20
	s_cbranch_vccz .LBB347_1907
; %bb.1904:
	s_cmp_eq_u32 s14, 44
	s_cbranch_scc0 .LBB347_1906
; %bb.1905:
	global_load_u8 v1, v[4:5], off
	s_mov_b32 s17, 0
	s_mov_b32 s19, -1
	s_wait_loadcnt 0x0
	v_lshlrev_b32_e32 v3, 23, v1
	v_cmp_ne_u32_e32 vcc_lo, 0, v1
	s_delay_alu instid0(VALU_DEP_2) | instskip(NEXT) | instid1(VALU_DEP_1)
	v_cvt_u32_f32_e32 v3, v3
	v_cndmask_b32_e32 v11, 0, v3, vcc_lo
	s_branch .LBB347_1907
.LBB347_1906:
	s_mov_b32 s17, -1
                                        ; implicit-def: $vgpr11
.LBB347_1907:
	s_mov_b32 s20, 0
.LBB347_1908:
	s_delay_alu instid0(SALU_CYCLE_1)
	s_and_b32 vcc_lo, exec_lo, s20
	s_cbranch_vccz .LBB347_1912
; %bb.1909:
	s_cmp_eq_u32 s14, 29
	s_cbranch_scc0 .LBB347_1911
; %bb.1910:
	global_load_b32 v11, v[4:5], off
	s_mov_b32 s17, 0
	s_mov_b32 s19, -1
	s_branch .LBB347_1912
.LBB347_1911:
	s_mov_b32 s17, -1
                                        ; implicit-def: $vgpr11
.LBB347_1912:
	s_mov_b32 s20, 0
.LBB347_1913:
	s_delay_alu instid0(SALU_CYCLE_1)
	s_and_b32 vcc_lo, exec_lo, s20
	s_cbranch_vccz .LBB347_1929
; %bb.1914:
	s_cmp_lt_i32 s14, 27
	s_cbranch_scc1 .LBB347_1917
; %bb.1915:
	s_cmp_gt_i32 s14, 27
	s_cbranch_scc0 .LBB347_1918
; %bb.1916:
	s_wait_loadcnt 0x0
	global_load_b32 v11, v[4:5], off
	s_mov_b32 s19, 0
	s_branch .LBB347_1919
.LBB347_1917:
	s_mov_b32 s19, -1
                                        ; implicit-def: $vgpr11
	s_branch .LBB347_1922
.LBB347_1918:
	s_mov_b32 s19, -1
                                        ; implicit-def: $vgpr11
.LBB347_1919:
	s_delay_alu instid0(SALU_CYCLE_1)
	s_and_not1_b32 vcc_lo, exec_lo, s19
	s_cbranch_vccnz .LBB347_1921
; %bb.1920:
	s_wait_loadcnt 0x0
	global_load_u16 v11, v[4:5], off
.LBB347_1921:
	s_mov_b32 s19, 0
.LBB347_1922:
	s_delay_alu instid0(SALU_CYCLE_1)
	s_and_not1_b32 vcc_lo, exec_lo, s19
	s_cbranch_vccnz .LBB347_1928
; %bb.1923:
	global_load_u8 v1, v[4:5], off
	s_mov_b32 s20, 0
	s_mov_b32 s19, exec_lo
	s_wait_loadcnt 0x0
	v_cmpx_lt_i16_e32 0x7f, v1
	s_xor_b32 s19, exec_lo, s19
	s_cbranch_execz .LBB347_1940
; %bb.1924:
	v_cmp_ne_u16_e32 vcc_lo, 0x80, v1
	s_and_b32 s20, vcc_lo, exec_lo
	s_and_not1_saveexec_b32 s19, s19
	s_cbranch_execnz .LBB347_1941
.LBB347_1925:
	s_or_b32 exec_lo, exec_lo, s19
	v_mov_b32_e32 v11, 0
	s_and_saveexec_b32 s19, s20
	s_cbranch_execz .LBB347_1927
.LBB347_1926:
	v_and_b32_e32 v3, 0xffff, v1
	s_delay_alu instid0(VALU_DEP_1) | instskip(SKIP_1) | instid1(VALU_DEP_2)
	v_dual_lshlrev_b32 v1, 24, v1 :: v_dual_bitop2_b32 v10, 7, v3 bitop3:0x40
	v_bfe_u32 v13, v3, 3, 4
	v_and_b32_e32 v1, 0x80000000, v1
	s_delay_alu instid0(VALU_DEP_3) | instskip(NEXT) | instid1(VALU_DEP_3)
	v_clz_i32_u32_e32 v11, v10
	v_cmp_eq_u32_e32 vcc_lo, 0, v13
	s_delay_alu instid0(VALU_DEP_2) | instskip(NEXT) | instid1(VALU_DEP_1)
	v_min_u32_e32 v11, 32, v11
	v_subrev_nc_u32_e32 v12, 28, v11
	v_sub_nc_u32_e32 v11, 29, v11
	s_delay_alu instid0(VALU_DEP_2) | instskip(NEXT) | instid1(VALU_DEP_2)
	v_lshlrev_b32_e32 v3, v12, v3
	v_cndmask_b32_e32 v11, v13, v11, vcc_lo
	s_delay_alu instid0(VALU_DEP_2) | instskip(NEXT) | instid1(VALU_DEP_1)
	v_and_b32_e32 v3, 7, v3
	v_cndmask_b32_e32 v3, v10, v3, vcc_lo
	s_delay_alu instid0(VALU_DEP_3) | instskip(NEXT) | instid1(VALU_DEP_2)
	v_lshl_add_u32 v10, v11, 23, 0x3b800000
	v_lshlrev_b32_e32 v3, 20, v3
	s_delay_alu instid0(VALU_DEP_1) | instskip(NEXT) | instid1(VALU_DEP_1)
	v_or3_b32 v1, v1, v10, v3
	v_cvt_u32_f32_e32 v11, v1
.LBB347_1927:
	s_or_b32 exec_lo, exec_lo, s19
.LBB347_1928:
	s_mov_b32 s19, -1
.LBB347_1929:
	s_mov_b32 s20, 0
.LBB347_1930:
	s_delay_alu instid0(SALU_CYCLE_1)
	s_and_b32 vcc_lo, exec_lo, s20
	s_cbranch_vccz .LBB347_1961
; %bb.1931:
	s_cmp_gt_i32 s14, 22
	s_cbranch_scc0 .LBB347_1939
; %bb.1932:
	s_cmp_lt_i32 s14, 24
	s_cbranch_scc1 .LBB347_1942
; %bb.1933:
	s_cmp_gt_i32 s14, 24
	s_cbranch_scc0 .LBB347_1943
; %bb.1934:
	global_load_u8 v1, v[4:5], off
	s_mov_b32 s19, 0
	s_mov_b32 s18, exec_lo
	s_wait_loadcnt 0x0
	v_cmpx_lt_i16_e32 0x7f, v1
	s_xor_b32 s18, exec_lo, s18
	s_cbranch_execz .LBB347_1955
; %bb.1935:
	v_cmp_ne_u16_e32 vcc_lo, 0x80, v1
	s_and_b32 s19, vcc_lo, exec_lo
	s_and_not1_saveexec_b32 s18, s18
	s_cbranch_execnz .LBB347_1956
.LBB347_1936:
	s_or_b32 exec_lo, exec_lo, s18
	v_mov_b32_e32 v11, 0
	s_and_saveexec_b32 s18, s19
	s_cbranch_execz .LBB347_1938
.LBB347_1937:
	v_and_b32_e32 v3, 0xffff, v1
	s_delay_alu instid0(VALU_DEP_1) | instskip(SKIP_1) | instid1(VALU_DEP_2)
	v_dual_lshlrev_b32 v1, 24, v1 :: v_dual_bitop2_b32 v10, 3, v3 bitop3:0x40
	v_bfe_u32 v13, v3, 2, 5
	v_and_b32_e32 v1, 0x80000000, v1
	s_delay_alu instid0(VALU_DEP_3) | instskip(NEXT) | instid1(VALU_DEP_3)
	v_clz_i32_u32_e32 v11, v10
	v_cmp_eq_u32_e32 vcc_lo, 0, v13
	s_delay_alu instid0(VALU_DEP_2) | instskip(NEXT) | instid1(VALU_DEP_1)
	v_min_u32_e32 v11, 32, v11
	v_subrev_nc_u32_e32 v12, 29, v11
	v_sub_nc_u32_e32 v11, 30, v11
	s_delay_alu instid0(VALU_DEP_2) | instskip(NEXT) | instid1(VALU_DEP_2)
	v_lshlrev_b32_e32 v3, v12, v3
	v_cndmask_b32_e32 v11, v13, v11, vcc_lo
	s_delay_alu instid0(VALU_DEP_2) | instskip(NEXT) | instid1(VALU_DEP_1)
	v_and_b32_e32 v3, 3, v3
	v_cndmask_b32_e32 v3, v10, v3, vcc_lo
	s_delay_alu instid0(VALU_DEP_3) | instskip(NEXT) | instid1(VALU_DEP_2)
	v_lshl_add_u32 v10, v11, 23, 0x37800000
	v_lshlrev_b32_e32 v3, 21, v3
	s_delay_alu instid0(VALU_DEP_1) | instskip(NEXT) | instid1(VALU_DEP_1)
	v_or3_b32 v1, v1, v10, v3
	v_cvt_u32_f32_e32 v11, v1
.LBB347_1938:
	s_or_b32 exec_lo, exec_lo, s18
	s_mov_b32 s18, 0
	s_branch .LBB347_1944
.LBB347_1939:
	s_mov_b32 s18, -1
                                        ; implicit-def: $vgpr11
	s_branch .LBB347_1950
.LBB347_1940:
	s_and_not1_saveexec_b32 s19, s19
	s_cbranch_execz .LBB347_1925
.LBB347_1941:
	v_cmp_ne_u16_e32 vcc_lo, 0, v1
	s_and_not1_b32 s20, s20, exec_lo
	s_and_b32 s21, vcc_lo, exec_lo
	s_delay_alu instid0(SALU_CYCLE_1)
	s_or_b32 s20, s20, s21
	s_or_b32 exec_lo, exec_lo, s19
	v_mov_b32_e32 v11, 0
	s_and_saveexec_b32 s19, s20
	s_cbranch_execnz .LBB347_1926
	s_branch .LBB347_1927
.LBB347_1942:
	s_mov_b32 s18, -1
                                        ; implicit-def: $vgpr11
	s_branch .LBB347_1947
.LBB347_1943:
	s_mov_b32 s18, -1
                                        ; implicit-def: $vgpr11
.LBB347_1944:
	s_delay_alu instid0(SALU_CYCLE_1)
	s_and_b32 vcc_lo, exec_lo, s18
	s_cbranch_vccz .LBB347_1946
; %bb.1945:
	global_load_u8 v1, v[4:5], off
	s_wait_loadcnt 0x0
	v_lshlrev_b32_e32 v1, 24, v1
	s_delay_alu instid0(VALU_DEP_1) | instskip(NEXT) | instid1(VALU_DEP_1)
	v_and_b32_e32 v3, 0x7f000000, v1
	v_clz_i32_u32_e32 v10, v3
	v_cmp_ne_u32_e32 vcc_lo, 0, v3
	v_add_nc_u32_e32 v12, 0x1000000, v3
	s_delay_alu instid0(VALU_DEP_3) | instskip(NEXT) | instid1(VALU_DEP_1)
	v_min_u32_e32 v10, 32, v10
	v_sub_nc_u32_e64 v10, v10, 4 clamp
	s_delay_alu instid0(VALU_DEP_1) | instskip(NEXT) | instid1(VALU_DEP_1)
	v_dual_lshlrev_b32 v11, v10, v3 :: v_dual_lshlrev_b32 v10, 23, v10
	v_lshrrev_b32_e32 v11, 4, v11
	s_delay_alu instid0(VALU_DEP_1) | instskip(NEXT) | instid1(VALU_DEP_1)
	v_dual_sub_nc_u32 v10, v11, v10 :: v_dual_ashrrev_i32 v11, 8, v12
	v_add_nc_u32_e32 v10, 0x3c000000, v10
	s_delay_alu instid0(VALU_DEP_1) | instskip(NEXT) | instid1(VALU_DEP_1)
	v_and_or_b32 v10, 0x7f800000, v11, v10
	v_cndmask_b32_e32 v3, 0, v10, vcc_lo
	s_delay_alu instid0(VALU_DEP_1) | instskip(NEXT) | instid1(VALU_DEP_1)
	v_and_or_b32 v1, 0x80000000, v1, v3
	v_cvt_u32_f32_e32 v11, v1
.LBB347_1946:
	s_mov_b32 s18, 0
.LBB347_1947:
	s_delay_alu instid0(SALU_CYCLE_1)
	s_and_not1_b32 vcc_lo, exec_lo, s18
	s_cbranch_vccnz .LBB347_1949
; %bb.1948:
	global_load_u8 v1, v[4:5], off
	s_wait_loadcnt 0x0
	v_lshlrev_b32_e32 v3, 25, v1
	v_lshlrev_b16 v1, 8, v1
	s_delay_alu instid0(VALU_DEP_1) | instskip(SKIP_1) | instid1(VALU_DEP_2)
	v_and_or_b32 v11, 0x7f00, v1, 0.5
	v_bfe_i32 v1, v1, 0, 16
	v_add_f32_e32 v11, -0.5, v11
	v_lshrrev_b32_e32 v10, 4, v3
	v_cmp_gt_u32_e32 vcc_lo, 0x8000000, v3
	s_delay_alu instid0(VALU_DEP_2) | instskip(NEXT) | instid1(VALU_DEP_1)
	v_or_b32_e32 v10, 0x70000000, v10
	v_mul_f32_e32 v10, 0x7800000, v10
	s_delay_alu instid0(VALU_DEP_1) | instskip(NEXT) | instid1(VALU_DEP_1)
	v_cndmask_b32_e32 v3, v10, v11, vcc_lo
	v_and_or_b32 v1, 0x80000000, v1, v3
	s_delay_alu instid0(VALU_DEP_1)
	v_cvt_u32_f32_e32 v11, v1
.LBB347_1949:
	s_mov_b32 s18, 0
	s_mov_b32 s19, -1
.LBB347_1950:
	s_and_not1_b32 vcc_lo, exec_lo, s18
	s_mov_b32 s18, 0
	s_cbranch_vccnz .LBB347_1961
; %bb.1951:
	s_cmp_gt_i32 s14, 14
	s_cbranch_scc0 .LBB347_1954
; %bb.1952:
	s_cmp_eq_u32 s14, 15
	s_cbranch_scc0 .LBB347_1957
; %bb.1953:
	global_load_u16 v1, v[4:5], off
	s_mov_b32 s17, 0
	s_mov_b32 s19, -1
	s_wait_loadcnt 0x0
	v_lshlrev_b32_e32 v1, 16, v1
	s_delay_alu instid0(VALU_DEP_1)
	v_cvt_u32_f32_e32 v11, v1
	s_branch .LBB347_1959
.LBB347_1954:
	s_mov_b32 s18, -1
	s_branch .LBB347_1958
.LBB347_1955:
	s_and_not1_saveexec_b32 s18, s18
	s_cbranch_execz .LBB347_1936
.LBB347_1956:
	v_cmp_ne_u16_e32 vcc_lo, 0, v1
	s_and_not1_b32 s19, s19, exec_lo
	s_and_b32 s20, vcc_lo, exec_lo
	s_delay_alu instid0(SALU_CYCLE_1)
	s_or_b32 s19, s19, s20
	s_or_b32 exec_lo, exec_lo, s18
	v_mov_b32_e32 v11, 0
	s_and_saveexec_b32 s18, s19
	s_cbranch_execnz .LBB347_1937
	s_branch .LBB347_1938
.LBB347_1957:
	s_mov_b32 s17, -1
.LBB347_1958:
                                        ; implicit-def: $vgpr11
.LBB347_1959:
	s_and_b32 vcc_lo, exec_lo, s18
	s_mov_b32 s18, 0
	s_cbranch_vccz .LBB347_1961
; %bb.1960:
	s_cmp_lg_u32 s14, 11
	s_mov_b32 s18, -1
	s_cselect_b32 s17, -1, 0
.LBB347_1961:
	s_delay_alu instid0(SALU_CYCLE_1)
	s_and_b32 vcc_lo, exec_lo, s17
	s_cbranch_vccnz .LBB347_2026
; %bb.1962:
	s_and_not1_b32 vcc_lo, exec_lo, s18
	s_cbranch_vccnz .LBB347_1964
.LBB347_1963:
	global_load_u8 v1, v[4:5], off
	s_mov_b32 s19, -1
	s_wait_loadcnt 0x0
	v_cmp_ne_u16_e32 vcc_lo, 0, v1
	v_cndmask_b32_e64 v11, 0, 1, vcc_lo
.LBB347_1964:
	s_mov_b32 s14, 0
.LBB347_1965:
	s_delay_alu instid0(SALU_CYCLE_1)
	s_and_b32 vcc_lo, exec_lo, s14
	s_cbranch_vccz .LBB347_2014
; %bb.1966:
	s_and_b32 s14, 0xffff, s1
	s_delay_alu instid0(SALU_CYCLE_1)
	s_cmp_lt_i32 s14, 5
	s_cbranch_scc1 .LBB347_1971
; %bb.1967:
	s_cmp_lt_i32 s14, 8
	s_cbranch_scc1 .LBB347_1972
; %bb.1968:
	;; [unrolled: 3-line block ×3, first 2 shown]
	s_cmp_gt_i32 s14, 9
	s_cbranch_scc0 .LBB347_1974
; %bb.1970:
	s_wait_loadcnt 0x0
	global_load_b64 v[10:11], v[4:5], off
	s_mov_b32 s17, 0
	s_wait_loadcnt 0x0
	v_cvt_u32_f64_e32 v11, v[10:11]
	s_branch .LBB347_1975
.LBB347_1971:
	s_mov_b32 s17, -1
                                        ; implicit-def: $vgpr11
	s_branch .LBB347_1993
.LBB347_1972:
	s_mov_b32 s17, -1
                                        ; implicit-def: $vgpr11
	s_branch .LBB347_1981
.LBB347_1973:
	s_mov_b32 s17, -1
                                        ; implicit-def: $vgpr11
	s_branch .LBB347_1978
.LBB347_1974:
	s_mov_b32 s17, -1
                                        ; implicit-def: $vgpr11
.LBB347_1975:
	s_delay_alu instid0(SALU_CYCLE_1)
	s_and_not1_b32 vcc_lo, exec_lo, s17
	s_cbranch_vccnz .LBB347_1977
; %bb.1976:
	global_load_b32 v1, v[4:5], off
	s_wait_loadcnt 0x0
	v_cvt_u32_f32_e32 v11, v1
.LBB347_1977:
	s_mov_b32 s17, 0
.LBB347_1978:
	s_delay_alu instid0(SALU_CYCLE_1)
	s_and_not1_b32 vcc_lo, exec_lo, s17
	s_cbranch_vccnz .LBB347_1980
; %bb.1979:
	global_load_b32 v1, v[4:5], off
	s_wait_loadcnt 0x0
	v_cvt_f32_f16_e32 v1, v1
	s_delay_alu instid0(VALU_DEP_1)
	v_cvt_u32_f32_e32 v11, v1
.LBB347_1980:
	s_mov_b32 s17, 0
.LBB347_1981:
	s_delay_alu instid0(SALU_CYCLE_1)
	s_and_not1_b32 vcc_lo, exec_lo, s17
	s_cbranch_vccnz .LBB347_1992
; %bb.1982:
	s_cmp_lt_i32 s14, 6
	s_cbranch_scc1 .LBB347_1985
; %bb.1983:
	s_cmp_gt_i32 s14, 6
	s_cbranch_scc0 .LBB347_1986
; %bb.1984:
	s_wait_loadcnt 0x0
	global_load_b64 v[10:11], v[4:5], off
	s_mov_b32 s17, 0
	s_wait_loadcnt 0x0
	v_cvt_u32_f64_e32 v11, v[10:11]
	s_branch .LBB347_1987
.LBB347_1985:
	s_mov_b32 s17, -1
                                        ; implicit-def: $vgpr11
	s_branch .LBB347_1990
.LBB347_1986:
	s_mov_b32 s17, -1
                                        ; implicit-def: $vgpr11
.LBB347_1987:
	s_delay_alu instid0(SALU_CYCLE_1)
	s_and_not1_b32 vcc_lo, exec_lo, s17
	s_cbranch_vccnz .LBB347_1989
; %bb.1988:
	global_load_b32 v1, v[4:5], off
	s_wait_loadcnt 0x0
	v_cvt_u32_f32_e32 v11, v1
.LBB347_1989:
	s_mov_b32 s17, 0
.LBB347_1990:
	s_delay_alu instid0(SALU_CYCLE_1)
	s_and_not1_b32 vcc_lo, exec_lo, s17
	s_cbranch_vccnz .LBB347_1992
; %bb.1991:
	global_load_u16 v1, v[4:5], off
	s_wait_loadcnt 0x0
	v_cvt_f32_f16_e32 v1, v1
	s_delay_alu instid0(VALU_DEP_1)
	v_cvt_u32_f32_e32 v11, v1
.LBB347_1992:
	s_mov_b32 s17, 0
.LBB347_1993:
	s_delay_alu instid0(SALU_CYCLE_1)
	s_and_not1_b32 vcc_lo, exec_lo, s17
	s_cbranch_vccnz .LBB347_2013
; %bb.1994:
	s_cmp_lt_i32 s14, 2
	s_cbranch_scc1 .LBB347_1998
; %bb.1995:
	s_cmp_lt_i32 s14, 3
	s_cbranch_scc1 .LBB347_1999
; %bb.1996:
	s_cmp_gt_i32 s14, 3
	s_cbranch_scc0 .LBB347_2000
; %bb.1997:
	s_wait_loadcnt 0x0
	global_load_b32 v11, v[4:5], off
	s_mov_b32 s17, 0
	s_branch .LBB347_2001
.LBB347_1998:
	s_mov_b32 s17, -1
                                        ; implicit-def: $vgpr11
	s_branch .LBB347_2007
.LBB347_1999:
	s_mov_b32 s17, -1
                                        ; implicit-def: $vgpr11
	s_branch .LBB347_2004
.LBB347_2000:
	s_mov_b32 s17, -1
                                        ; implicit-def: $vgpr11
.LBB347_2001:
	s_delay_alu instid0(SALU_CYCLE_1)
	s_and_not1_b32 vcc_lo, exec_lo, s17
	s_cbranch_vccnz .LBB347_2003
; %bb.2002:
	s_wait_loadcnt 0x0
	global_load_b32 v11, v[4:5], off
.LBB347_2003:
	s_mov_b32 s17, 0
.LBB347_2004:
	s_delay_alu instid0(SALU_CYCLE_1)
	s_and_not1_b32 vcc_lo, exec_lo, s17
	s_cbranch_vccnz .LBB347_2006
; %bb.2005:
	s_wait_loadcnt 0x0
	global_load_i16 v11, v[4:5], off
.LBB347_2006:
	s_mov_b32 s17, 0
.LBB347_2007:
	s_delay_alu instid0(SALU_CYCLE_1)
	s_and_not1_b32 vcc_lo, exec_lo, s17
	s_cbranch_vccnz .LBB347_2013
; %bb.2008:
	s_cmp_gt_i32 s14, 0
	s_mov_b32 s14, 0
	s_cbranch_scc0 .LBB347_2010
; %bb.2009:
	s_wait_loadcnt 0x0
	global_load_i8 v11, v[4:5], off
	s_branch .LBB347_2011
.LBB347_2010:
	s_mov_b32 s14, -1
                                        ; implicit-def: $vgpr11
.LBB347_2011:
	s_delay_alu instid0(SALU_CYCLE_1)
	s_and_not1_b32 vcc_lo, exec_lo, s14
	s_cbranch_vccnz .LBB347_2013
; %bb.2012:
	s_wait_loadcnt 0x0
	global_load_u8 v11, v[4:5], off
.LBB347_2013:
	s_mov_b32 s19, -1
.LBB347_2014:
	s_delay_alu instid0(SALU_CYCLE_1)
	s_and_not1_b32 vcc_lo, exec_lo, s19
	s_cbranch_vccnz .LBB347_2957
; %bb.2015:
	v_add_nc_u32_e32 v0, s9, v0
	s_cmp_lt_i32 s0, 11
	s_delay_alu instid0(VALU_DEP_1) | instskip(SKIP_1) | instid1(VALU_DEP_1)
	v_ashrrev_i32_e32 v1, 31, v0
	s_wait_xcnt 0x0
	v_add_nc_u64_e32 v[4:5], s[6:7], v[0:1]
	s_cbranch_scc1 .LBB347_2022
; %bb.2016:
	s_and_b32 s14, 0xffff, s0
	s_mov_b32 s18, 0
	s_cmp_gt_i32 s14, 25
	s_cbranch_scc0 .LBB347_2023
; %bb.2017:
	s_cmp_gt_i32 s14, 28
	s_cbranch_scc0 .LBB347_2024
; %bb.2018:
	;; [unrolled: 3-line block ×4, first 2 shown]
	s_cmp_eq_u32 s14, 46
	s_mov_b32 s20, 0
	s_cbranch_scc0 .LBB347_2028
; %bb.2021:
	global_load_b32 v1, v[4:5], off
	s_mov_b32 s17, 0
	s_mov_b32 s19, -1
	s_wait_loadcnt 0x0
	v_lshlrev_b32_e32 v1, 16, v1
	s_delay_alu instid0(VALU_DEP_1)
	v_cvt_u32_f32_e32 v10, v1
	s_branch .LBB347_2030
.LBB347_2022:
	s_mov_b32 s14, -1
	s_mov_b32 s19, 0
                                        ; implicit-def: $vgpr10
	s_branch .LBB347_2092
.LBB347_2023:
	s_mov_b32 s20, -1
	s_mov_b32 s19, 0
	s_mov_b32 s17, 0
                                        ; implicit-def: $vgpr10
	s_branch .LBB347_2057
.LBB347_2024:
	s_mov_b32 s20, -1
	s_mov_b32 s19, 0
	s_mov_b32 s17, 0
                                        ; implicit-def: $vgpr10
	s_branch .LBB347_2040
.LBB347_2025:
	s_mov_b32 s20, -1
	s_mov_b32 s19, 0
	s_mov_b32 s17, 0
                                        ; implicit-def: $vgpr10
	s_branch .LBB347_2035
.LBB347_2026:
	s_or_b32 s13, s13, exec_lo
	s_trap 2
	s_cbranch_execz .LBB347_1963
	s_branch .LBB347_1964
.LBB347_2027:
	s_mov_b32 s20, -1
	s_mov_b32 s19, 0
	s_mov_b32 s17, 0
	s_branch .LBB347_2029
.LBB347_2028:
	s_mov_b32 s17, -1
	s_mov_b32 s19, 0
.LBB347_2029:
                                        ; implicit-def: $vgpr10
.LBB347_2030:
	s_and_b32 vcc_lo, exec_lo, s20
	s_cbranch_vccz .LBB347_2034
; %bb.2031:
	s_cmp_eq_u32 s14, 44
	s_cbranch_scc0 .LBB347_2033
; %bb.2032:
	global_load_u8 v1, v[4:5], off
	s_mov_b32 s17, 0
	s_mov_b32 s19, -1
	s_wait_loadcnt 0x0
	v_lshlrev_b32_e32 v3, 23, v1
	v_cmp_ne_u32_e32 vcc_lo, 0, v1
	s_delay_alu instid0(VALU_DEP_2) | instskip(NEXT) | instid1(VALU_DEP_1)
	v_cvt_u32_f32_e32 v3, v3
	v_cndmask_b32_e32 v10, 0, v3, vcc_lo
	s_branch .LBB347_2034
.LBB347_2033:
	s_mov_b32 s17, -1
                                        ; implicit-def: $vgpr10
.LBB347_2034:
	s_mov_b32 s20, 0
.LBB347_2035:
	s_delay_alu instid0(SALU_CYCLE_1)
	s_and_b32 vcc_lo, exec_lo, s20
	s_cbranch_vccz .LBB347_2039
; %bb.2036:
	s_cmp_eq_u32 s14, 29
	s_cbranch_scc0 .LBB347_2038
; %bb.2037:
	global_load_b32 v10, v[4:5], off
	s_mov_b32 s17, 0
	s_mov_b32 s19, -1
	s_branch .LBB347_2039
.LBB347_2038:
	s_mov_b32 s17, -1
                                        ; implicit-def: $vgpr10
.LBB347_2039:
	s_mov_b32 s20, 0
.LBB347_2040:
	s_delay_alu instid0(SALU_CYCLE_1)
	s_and_b32 vcc_lo, exec_lo, s20
	s_cbranch_vccz .LBB347_2056
; %bb.2041:
	s_cmp_lt_i32 s14, 27
	s_cbranch_scc1 .LBB347_2044
; %bb.2042:
	s_cmp_gt_i32 s14, 27
	s_cbranch_scc0 .LBB347_2045
; %bb.2043:
	s_wait_loadcnt 0x0
	global_load_b32 v10, v[4:5], off
	s_mov_b32 s19, 0
	s_branch .LBB347_2046
.LBB347_2044:
	s_mov_b32 s19, -1
                                        ; implicit-def: $vgpr10
	s_branch .LBB347_2049
.LBB347_2045:
	s_mov_b32 s19, -1
                                        ; implicit-def: $vgpr10
.LBB347_2046:
	s_delay_alu instid0(SALU_CYCLE_1)
	s_and_not1_b32 vcc_lo, exec_lo, s19
	s_cbranch_vccnz .LBB347_2048
; %bb.2047:
	s_wait_loadcnt 0x0
	global_load_u16 v10, v[4:5], off
.LBB347_2048:
	s_mov_b32 s19, 0
.LBB347_2049:
	s_delay_alu instid0(SALU_CYCLE_1)
	s_and_not1_b32 vcc_lo, exec_lo, s19
	s_cbranch_vccnz .LBB347_2055
; %bb.2050:
	global_load_u8 v1, v[4:5], off
	s_mov_b32 s20, 0
	s_mov_b32 s19, exec_lo
	s_wait_loadcnt 0x0
	v_cmpx_lt_i16_e32 0x7f, v1
	s_xor_b32 s19, exec_lo, s19
	s_cbranch_execz .LBB347_2067
; %bb.2051:
	v_cmp_ne_u16_e32 vcc_lo, 0x80, v1
	s_and_b32 s20, vcc_lo, exec_lo
	s_and_not1_saveexec_b32 s19, s19
	s_cbranch_execnz .LBB347_2068
.LBB347_2052:
	s_or_b32 exec_lo, exec_lo, s19
	v_mov_b32_e32 v10, 0
	s_and_saveexec_b32 s19, s20
	s_cbranch_execz .LBB347_2054
.LBB347_2053:
	v_and_b32_e32 v3, 0xffff, v1
	s_delay_alu instid0(VALU_DEP_1) | instskip(SKIP_1) | instid1(VALU_DEP_2)
	v_and_b32_e32 v10, 7, v3
	v_bfe_u32 v14, v3, 3, 4
	v_clz_i32_u32_e32 v12, v10
	s_delay_alu instid0(VALU_DEP_2) | instskip(NEXT) | instid1(VALU_DEP_2)
	v_cmp_eq_u32_e32 vcc_lo, 0, v14
	v_min_u32_e32 v12, 32, v12
	s_delay_alu instid0(VALU_DEP_1) | instskip(NEXT) | instid1(VALU_DEP_1)
	v_subrev_nc_u32_e32 v13, 28, v12
	v_dual_lshlrev_b32 v3, v13, v3 :: v_dual_sub_nc_u32 v12, 29, v12
	s_delay_alu instid0(VALU_DEP_1) | instskip(NEXT) | instid1(VALU_DEP_2)
	v_dual_lshlrev_b32 v1, 24, v1 :: v_dual_bitop2_b32 v3, 7, v3 bitop3:0x40
	v_cndmask_b32_e32 v12, v14, v12, vcc_lo
	s_delay_alu instid0(VALU_DEP_2) | instskip(NEXT) | instid1(VALU_DEP_3)
	v_cndmask_b32_e32 v3, v10, v3, vcc_lo
	v_and_b32_e32 v1, 0x80000000, v1
	s_delay_alu instid0(VALU_DEP_3) | instskip(NEXT) | instid1(VALU_DEP_3)
	v_lshl_add_u32 v10, v12, 23, 0x3b800000
	v_lshlrev_b32_e32 v3, 20, v3
	s_delay_alu instid0(VALU_DEP_1) | instskip(NEXT) | instid1(VALU_DEP_1)
	v_or3_b32 v1, v1, v10, v3
	v_cvt_u32_f32_e32 v10, v1
.LBB347_2054:
	s_or_b32 exec_lo, exec_lo, s19
.LBB347_2055:
	s_mov_b32 s19, -1
.LBB347_2056:
	s_mov_b32 s20, 0
.LBB347_2057:
	s_delay_alu instid0(SALU_CYCLE_1)
	s_and_b32 vcc_lo, exec_lo, s20
	s_cbranch_vccz .LBB347_2088
; %bb.2058:
	s_cmp_gt_i32 s14, 22
	s_cbranch_scc0 .LBB347_2066
; %bb.2059:
	s_cmp_lt_i32 s14, 24
	s_cbranch_scc1 .LBB347_2069
; %bb.2060:
	s_cmp_gt_i32 s14, 24
	s_cbranch_scc0 .LBB347_2070
; %bb.2061:
	global_load_u8 v1, v[4:5], off
	s_mov_b32 s19, 0
	s_mov_b32 s18, exec_lo
	s_wait_loadcnt 0x0
	v_cmpx_lt_i16_e32 0x7f, v1
	s_xor_b32 s18, exec_lo, s18
	s_cbranch_execz .LBB347_2082
; %bb.2062:
	v_cmp_ne_u16_e32 vcc_lo, 0x80, v1
	s_and_b32 s19, vcc_lo, exec_lo
	s_and_not1_saveexec_b32 s18, s18
	s_cbranch_execnz .LBB347_2083
.LBB347_2063:
	s_or_b32 exec_lo, exec_lo, s18
	v_mov_b32_e32 v10, 0
	s_and_saveexec_b32 s18, s19
	s_cbranch_execz .LBB347_2065
.LBB347_2064:
	v_and_b32_e32 v3, 0xffff, v1
	s_delay_alu instid0(VALU_DEP_1) | instskip(SKIP_1) | instid1(VALU_DEP_2)
	v_and_b32_e32 v10, 3, v3
	v_bfe_u32 v14, v3, 2, 5
	v_clz_i32_u32_e32 v12, v10
	s_delay_alu instid0(VALU_DEP_2) | instskip(NEXT) | instid1(VALU_DEP_2)
	v_cmp_eq_u32_e32 vcc_lo, 0, v14
	v_min_u32_e32 v12, 32, v12
	s_delay_alu instid0(VALU_DEP_1) | instskip(NEXT) | instid1(VALU_DEP_1)
	v_subrev_nc_u32_e32 v13, 29, v12
	v_dual_lshlrev_b32 v3, v13, v3 :: v_dual_sub_nc_u32 v12, 30, v12
	s_delay_alu instid0(VALU_DEP_1) | instskip(NEXT) | instid1(VALU_DEP_2)
	v_dual_lshlrev_b32 v1, 24, v1 :: v_dual_bitop2_b32 v3, 3, v3 bitop3:0x40
	v_cndmask_b32_e32 v12, v14, v12, vcc_lo
	s_delay_alu instid0(VALU_DEP_2) | instskip(NEXT) | instid1(VALU_DEP_3)
	v_cndmask_b32_e32 v3, v10, v3, vcc_lo
	v_and_b32_e32 v1, 0x80000000, v1
	s_delay_alu instid0(VALU_DEP_3) | instskip(NEXT) | instid1(VALU_DEP_3)
	v_lshl_add_u32 v10, v12, 23, 0x37800000
	v_lshlrev_b32_e32 v3, 21, v3
	s_delay_alu instid0(VALU_DEP_1) | instskip(NEXT) | instid1(VALU_DEP_1)
	v_or3_b32 v1, v1, v10, v3
	v_cvt_u32_f32_e32 v10, v1
.LBB347_2065:
	s_or_b32 exec_lo, exec_lo, s18
	s_mov_b32 s18, 0
	s_branch .LBB347_2071
.LBB347_2066:
	s_mov_b32 s18, -1
                                        ; implicit-def: $vgpr10
	s_branch .LBB347_2077
.LBB347_2067:
	s_and_not1_saveexec_b32 s19, s19
	s_cbranch_execz .LBB347_2052
.LBB347_2068:
	v_cmp_ne_u16_e32 vcc_lo, 0, v1
	s_and_not1_b32 s20, s20, exec_lo
	s_and_b32 s21, vcc_lo, exec_lo
	s_delay_alu instid0(SALU_CYCLE_1)
	s_or_b32 s20, s20, s21
	s_or_b32 exec_lo, exec_lo, s19
	v_mov_b32_e32 v10, 0
	s_and_saveexec_b32 s19, s20
	s_cbranch_execnz .LBB347_2053
	s_branch .LBB347_2054
.LBB347_2069:
	s_mov_b32 s18, -1
                                        ; implicit-def: $vgpr10
	s_branch .LBB347_2074
.LBB347_2070:
	s_mov_b32 s18, -1
                                        ; implicit-def: $vgpr10
.LBB347_2071:
	s_delay_alu instid0(SALU_CYCLE_1)
	s_and_b32 vcc_lo, exec_lo, s18
	s_cbranch_vccz .LBB347_2073
; %bb.2072:
	global_load_u8 v1, v[4:5], off
	s_wait_loadcnt 0x0
	v_lshlrev_b32_e32 v1, 24, v1
	s_delay_alu instid0(VALU_DEP_1) | instskip(NEXT) | instid1(VALU_DEP_1)
	v_and_b32_e32 v3, 0x7f000000, v1
	v_clz_i32_u32_e32 v10, v3
	v_add_nc_u32_e32 v13, 0x1000000, v3
	v_cmp_ne_u32_e32 vcc_lo, 0, v3
	s_delay_alu instid0(VALU_DEP_3) | instskip(NEXT) | instid1(VALU_DEP_1)
	v_min_u32_e32 v10, 32, v10
	v_sub_nc_u32_e64 v10, v10, 4 clamp
	s_delay_alu instid0(VALU_DEP_1) | instskip(NEXT) | instid1(VALU_DEP_1)
	v_dual_lshlrev_b32 v12, v10, v3 :: v_dual_lshlrev_b32 v10, 23, v10
	v_lshrrev_b32_e32 v12, 4, v12
	s_delay_alu instid0(VALU_DEP_1) | instskip(NEXT) | instid1(VALU_DEP_1)
	v_dual_sub_nc_u32 v10, v12, v10 :: v_dual_ashrrev_i32 v12, 8, v13
	v_add_nc_u32_e32 v10, 0x3c000000, v10
	s_delay_alu instid0(VALU_DEP_1) | instskip(NEXT) | instid1(VALU_DEP_1)
	v_and_or_b32 v10, 0x7f800000, v12, v10
	v_cndmask_b32_e32 v3, 0, v10, vcc_lo
	s_delay_alu instid0(VALU_DEP_1) | instskip(NEXT) | instid1(VALU_DEP_1)
	v_and_or_b32 v1, 0x80000000, v1, v3
	v_cvt_u32_f32_e32 v10, v1
.LBB347_2073:
	s_mov_b32 s18, 0
.LBB347_2074:
	s_delay_alu instid0(SALU_CYCLE_1)
	s_and_not1_b32 vcc_lo, exec_lo, s18
	s_cbranch_vccnz .LBB347_2076
; %bb.2075:
	global_load_u8 v1, v[4:5], off
	s_wait_loadcnt 0x0
	v_lshlrev_b32_e32 v3, 25, v1
	v_lshlrev_b16 v1, 8, v1
	s_delay_alu instid0(VALU_DEP_1) | instskip(SKIP_1) | instid1(VALU_DEP_2)
	v_and_or_b32 v12, 0x7f00, v1, 0.5
	v_bfe_i32 v1, v1, 0, 16
	v_dual_add_f32 v12, -0.5, v12 :: v_dual_lshrrev_b32 v10, 4, v3
	v_cmp_gt_u32_e32 vcc_lo, 0x8000000, v3
	s_delay_alu instid0(VALU_DEP_2) | instskip(NEXT) | instid1(VALU_DEP_1)
	v_or_b32_e32 v10, 0x70000000, v10
	v_mul_f32_e32 v10, 0x7800000, v10
	s_delay_alu instid0(VALU_DEP_1) | instskip(NEXT) | instid1(VALU_DEP_1)
	v_cndmask_b32_e32 v3, v10, v12, vcc_lo
	v_and_or_b32 v1, 0x80000000, v1, v3
	s_delay_alu instid0(VALU_DEP_1)
	v_cvt_u32_f32_e32 v10, v1
.LBB347_2076:
	s_mov_b32 s18, 0
	s_mov_b32 s19, -1
.LBB347_2077:
	s_and_not1_b32 vcc_lo, exec_lo, s18
	s_mov_b32 s18, 0
	s_cbranch_vccnz .LBB347_2088
; %bb.2078:
	s_cmp_gt_i32 s14, 14
	s_cbranch_scc0 .LBB347_2081
; %bb.2079:
	s_cmp_eq_u32 s14, 15
	s_cbranch_scc0 .LBB347_2084
; %bb.2080:
	global_load_u16 v1, v[4:5], off
	s_mov_b32 s17, 0
	s_mov_b32 s19, -1
	s_wait_loadcnt 0x0
	v_lshlrev_b32_e32 v1, 16, v1
	s_delay_alu instid0(VALU_DEP_1)
	v_cvt_u32_f32_e32 v10, v1
	s_branch .LBB347_2086
.LBB347_2081:
	s_mov_b32 s18, -1
	s_branch .LBB347_2085
.LBB347_2082:
	s_and_not1_saveexec_b32 s18, s18
	s_cbranch_execz .LBB347_2063
.LBB347_2083:
	v_cmp_ne_u16_e32 vcc_lo, 0, v1
	s_and_not1_b32 s19, s19, exec_lo
	s_and_b32 s20, vcc_lo, exec_lo
	s_delay_alu instid0(SALU_CYCLE_1)
	s_or_b32 s19, s19, s20
	s_or_b32 exec_lo, exec_lo, s18
	v_mov_b32_e32 v10, 0
	s_and_saveexec_b32 s18, s19
	s_cbranch_execnz .LBB347_2064
	s_branch .LBB347_2065
.LBB347_2084:
	s_mov_b32 s17, -1
.LBB347_2085:
                                        ; implicit-def: $vgpr10
.LBB347_2086:
	s_and_b32 vcc_lo, exec_lo, s18
	s_mov_b32 s18, 0
	s_cbranch_vccz .LBB347_2088
; %bb.2087:
	s_cmp_lg_u32 s14, 11
	s_mov_b32 s18, -1
	s_cselect_b32 s17, -1, 0
.LBB347_2088:
	s_delay_alu instid0(SALU_CYCLE_1)
	s_and_b32 vcc_lo, exec_lo, s17
	s_cbranch_vccnz .LBB347_2153
; %bb.2089:
	s_and_not1_b32 vcc_lo, exec_lo, s18
	s_cbranch_vccnz .LBB347_2091
.LBB347_2090:
	global_load_u8 v1, v[4:5], off
	s_mov_b32 s19, -1
	s_wait_loadcnt 0x0
	v_cmp_ne_u16_e32 vcc_lo, 0, v1
	v_cndmask_b32_e64 v10, 0, 1, vcc_lo
.LBB347_2091:
	s_mov_b32 s14, 0
.LBB347_2092:
	s_delay_alu instid0(SALU_CYCLE_1)
	s_and_b32 vcc_lo, exec_lo, s14
	s_cbranch_vccz .LBB347_2141
; %bb.2093:
	s_and_b32 s14, 0xffff, s0
	s_delay_alu instid0(SALU_CYCLE_1)
	s_cmp_lt_i32 s14, 5
	s_cbranch_scc1 .LBB347_2098
; %bb.2094:
	s_cmp_lt_i32 s14, 8
	s_cbranch_scc1 .LBB347_2099
; %bb.2095:
	;; [unrolled: 3-line block ×3, first 2 shown]
	s_cmp_gt_i32 s14, 9
	s_cbranch_scc0 .LBB347_2101
; %bb.2097:
	global_load_b64 v[12:13], v[4:5], off
	s_mov_b32 s17, 0
	s_wait_loadcnt 0x0
	v_cvt_u32_f64_e32 v10, v[12:13]
	s_branch .LBB347_2102
.LBB347_2098:
	s_mov_b32 s17, -1
                                        ; implicit-def: $vgpr10
	s_branch .LBB347_2120
.LBB347_2099:
	s_mov_b32 s17, -1
                                        ; implicit-def: $vgpr10
	s_branch .LBB347_2108
.LBB347_2100:
	s_mov_b32 s17, -1
                                        ; implicit-def: $vgpr10
	s_branch .LBB347_2105
.LBB347_2101:
	s_mov_b32 s17, -1
                                        ; implicit-def: $vgpr10
.LBB347_2102:
	s_delay_alu instid0(SALU_CYCLE_1)
	s_and_not1_b32 vcc_lo, exec_lo, s17
	s_cbranch_vccnz .LBB347_2104
; %bb.2103:
	global_load_b32 v1, v[4:5], off
	s_wait_loadcnt 0x0
	v_cvt_u32_f32_e32 v10, v1
.LBB347_2104:
	s_mov_b32 s17, 0
.LBB347_2105:
	s_delay_alu instid0(SALU_CYCLE_1)
	s_and_not1_b32 vcc_lo, exec_lo, s17
	s_cbranch_vccnz .LBB347_2107
; %bb.2106:
	global_load_b32 v1, v[4:5], off
	s_wait_loadcnt 0x0
	v_cvt_f32_f16_e32 v1, v1
	s_delay_alu instid0(VALU_DEP_1)
	v_cvt_u32_f32_e32 v10, v1
.LBB347_2107:
	s_mov_b32 s17, 0
.LBB347_2108:
	s_delay_alu instid0(SALU_CYCLE_1)
	s_and_not1_b32 vcc_lo, exec_lo, s17
	s_cbranch_vccnz .LBB347_2119
; %bb.2109:
	s_cmp_lt_i32 s14, 6
	s_cbranch_scc1 .LBB347_2112
; %bb.2110:
	s_cmp_gt_i32 s14, 6
	s_cbranch_scc0 .LBB347_2113
; %bb.2111:
	global_load_b64 v[12:13], v[4:5], off
	s_mov_b32 s17, 0
	s_wait_loadcnt 0x0
	v_cvt_u32_f64_e32 v10, v[12:13]
	s_branch .LBB347_2114
.LBB347_2112:
	s_mov_b32 s17, -1
                                        ; implicit-def: $vgpr10
	s_branch .LBB347_2117
.LBB347_2113:
	s_mov_b32 s17, -1
                                        ; implicit-def: $vgpr10
.LBB347_2114:
	s_delay_alu instid0(SALU_CYCLE_1)
	s_and_not1_b32 vcc_lo, exec_lo, s17
	s_cbranch_vccnz .LBB347_2116
; %bb.2115:
	global_load_b32 v1, v[4:5], off
	s_wait_loadcnt 0x0
	v_cvt_u32_f32_e32 v10, v1
.LBB347_2116:
	s_mov_b32 s17, 0
.LBB347_2117:
	s_delay_alu instid0(SALU_CYCLE_1)
	s_and_not1_b32 vcc_lo, exec_lo, s17
	s_cbranch_vccnz .LBB347_2119
; %bb.2118:
	global_load_u16 v1, v[4:5], off
	s_wait_loadcnt 0x0
	v_cvt_f32_f16_e32 v1, v1
	s_delay_alu instid0(VALU_DEP_1)
	v_cvt_u32_f32_e32 v10, v1
.LBB347_2119:
	s_mov_b32 s17, 0
.LBB347_2120:
	s_delay_alu instid0(SALU_CYCLE_1)
	s_and_not1_b32 vcc_lo, exec_lo, s17
	s_cbranch_vccnz .LBB347_2140
; %bb.2121:
	s_cmp_lt_i32 s14, 2
	s_cbranch_scc1 .LBB347_2125
; %bb.2122:
	s_cmp_lt_i32 s14, 3
	s_cbranch_scc1 .LBB347_2126
; %bb.2123:
	s_cmp_gt_i32 s14, 3
	s_cbranch_scc0 .LBB347_2127
; %bb.2124:
	s_wait_loadcnt 0x0
	global_load_b32 v10, v[4:5], off
	s_mov_b32 s17, 0
	s_branch .LBB347_2128
.LBB347_2125:
	s_mov_b32 s17, -1
                                        ; implicit-def: $vgpr10
	s_branch .LBB347_2134
.LBB347_2126:
	s_mov_b32 s17, -1
                                        ; implicit-def: $vgpr10
	s_branch .LBB347_2131
.LBB347_2127:
	s_mov_b32 s17, -1
                                        ; implicit-def: $vgpr10
.LBB347_2128:
	s_delay_alu instid0(SALU_CYCLE_1)
	s_and_not1_b32 vcc_lo, exec_lo, s17
	s_cbranch_vccnz .LBB347_2130
; %bb.2129:
	s_wait_loadcnt 0x0
	global_load_b32 v10, v[4:5], off
.LBB347_2130:
	s_mov_b32 s17, 0
.LBB347_2131:
	s_delay_alu instid0(SALU_CYCLE_1)
	s_and_not1_b32 vcc_lo, exec_lo, s17
	s_cbranch_vccnz .LBB347_2133
; %bb.2132:
	s_wait_loadcnt 0x0
	global_load_i16 v10, v[4:5], off
.LBB347_2133:
	s_mov_b32 s17, 0
.LBB347_2134:
	s_delay_alu instid0(SALU_CYCLE_1)
	s_and_not1_b32 vcc_lo, exec_lo, s17
	s_cbranch_vccnz .LBB347_2140
; %bb.2135:
	s_cmp_gt_i32 s14, 0
	s_mov_b32 s14, 0
	s_cbranch_scc0 .LBB347_2137
; %bb.2136:
	s_wait_loadcnt 0x0
	global_load_i8 v10, v[4:5], off
	s_branch .LBB347_2138
.LBB347_2137:
	s_mov_b32 s14, -1
                                        ; implicit-def: $vgpr10
.LBB347_2138:
	s_delay_alu instid0(SALU_CYCLE_1)
	s_and_not1_b32 vcc_lo, exec_lo, s14
	s_cbranch_vccnz .LBB347_2140
; %bb.2139:
	s_wait_loadcnt 0x0
	global_load_u8 v10, v[4:5], off
.LBB347_2140:
	s_mov_b32 s19, -1
.LBB347_2141:
	s_delay_alu instid0(SALU_CYCLE_1)
	s_and_not1_b32 vcc_lo, exec_lo, s19
	s_cbranch_vccnz .LBB347_2957
; %bb.2142:
	v_add_nc_u32_e32 v2, s10, v2
	s_cmp_lt_i32 s1, 11
	s_delay_alu instid0(VALU_DEP_1) | instskip(SKIP_1) | instid1(VALU_DEP_1)
	v_ashrrev_i32_e32 v3, 31, v2
	s_wait_xcnt 0x0
	v_add_nc_u64_e32 v[4:5], s[2:3], v[2:3]
	s_cbranch_scc1 .LBB347_2149
; %bb.2143:
	s_and_b32 s14, 0xffff, s1
	s_mov_b32 s18, 0
	s_cmp_gt_i32 s14, 25
	s_cbranch_scc0 .LBB347_2150
; %bb.2144:
	s_cmp_gt_i32 s14, 28
	s_cbranch_scc0 .LBB347_2151
; %bb.2145:
	;; [unrolled: 3-line block ×4, first 2 shown]
	s_cmp_eq_u32 s14, 46
	s_mov_b32 s20, 0
	s_cbranch_scc0 .LBB347_2157
; %bb.2148:
	global_load_b32 v1, v[4:5], off
	s_mov_b32 s17, 0
	s_mov_b32 s19, -1
	s_wait_loadcnt 0x0
	v_lshlrev_b32_e32 v1, 16, v1
	s_delay_alu instid0(VALU_DEP_1)
	v_cvt_u32_f32_e32 v12, v1
	s_branch .LBB347_2159
.LBB347_2149:
	s_mov_b32 s14, -1
	s_mov_b32 s19, 0
                                        ; implicit-def: $vgpr12
	s_branch .LBB347_2221
.LBB347_2150:
	s_mov_b32 s20, -1
	s_mov_b32 s19, 0
	s_mov_b32 s17, 0
                                        ; implicit-def: $vgpr12
	s_branch .LBB347_2186
.LBB347_2151:
	s_mov_b32 s20, -1
	s_mov_b32 s19, 0
	s_mov_b32 s17, 0
                                        ; implicit-def: $vgpr12
	s_branch .LBB347_2169
.LBB347_2152:
	s_mov_b32 s20, -1
	s_mov_b32 s19, 0
	s_mov_b32 s17, 0
                                        ; implicit-def: $vgpr12
	s_branch .LBB347_2164
.LBB347_2153:
	s_or_b32 s13, s13, exec_lo
	s_trap 2
	s_cbranch_execz .LBB347_2090
	s_branch .LBB347_2091
.LBB347_2154:
	s_mov_b32 s20, -1
	s_mov_b32 s19, 0
	s_mov_b32 s17, 0
	s_branch .LBB347_2158
.LBB347_2155:
	s_and_not1_saveexec_b32 s35, s35
	s_cbranch_execz .LBB347_1063
.LBB347_2156:
	v_add_f32_e32 v2, 0x42800000, v3
	s_and_not1_b32 s34, s34, exec_lo
	s_delay_alu instid0(VALU_DEP_1) | instskip(NEXT) | instid1(VALU_DEP_1)
	v_and_b32_e32 v2, 0xff, v2
	v_cmp_ne_u32_e32 vcc_lo, 0, v2
	s_and_b32 s36, vcc_lo, exec_lo
	s_delay_alu instid0(SALU_CYCLE_1)
	s_or_b32 s34, s34, s36
	s_or_b32 exec_lo, exec_lo, s35
	v_mov_b32_e32 v4, 0
	s_and_saveexec_b32 s35, s34
	s_cbranch_execnz .LBB347_1064
	s_branch .LBB347_1065
.LBB347_2157:
	s_mov_b32 s17, -1
	s_mov_b32 s19, 0
.LBB347_2158:
                                        ; implicit-def: $vgpr12
.LBB347_2159:
	s_and_b32 vcc_lo, exec_lo, s20
	s_cbranch_vccz .LBB347_2163
; %bb.2160:
	s_cmp_eq_u32 s14, 44
	s_cbranch_scc0 .LBB347_2162
; %bb.2161:
	global_load_u8 v1, v[4:5], off
	s_mov_b32 s17, 0
	s_mov_b32 s19, -1
	s_wait_loadcnt 0x0
	v_lshlrev_b32_e32 v3, 23, v1
	v_cmp_ne_u32_e32 vcc_lo, 0, v1
	s_delay_alu instid0(VALU_DEP_2) | instskip(NEXT) | instid1(VALU_DEP_1)
	v_cvt_u32_f32_e32 v3, v3
	v_cndmask_b32_e32 v12, 0, v3, vcc_lo
	s_branch .LBB347_2163
.LBB347_2162:
	s_mov_b32 s17, -1
                                        ; implicit-def: $vgpr12
.LBB347_2163:
	s_mov_b32 s20, 0
.LBB347_2164:
	s_delay_alu instid0(SALU_CYCLE_1)
	s_and_b32 vcc_lo, exec_lo, s20
	s_cbranch_vccz .LBB347_2168
; %bb.2165:
	s_cmp_eq_u32 s14, 29
	s_cbranch_scc0 .LBB347_2167
; %bb.2166:
	global_load_b32 v12, v[4:5], off
	s_mov_b32 s17, 0
	s_mov_b32 s19, -1
	s_branch .LBB347_2168
.LBB347_2167:
	s_mov_b32 s17, -1
                                        ; implicit-def: $vgpr12
.LBB347_2168:
	s_mov_b32 s20, 0
.LBB347_2169:
	s_delay_alu instid0(SALU_CYCLE_1)
	s_and_b32 vcc_lo, exec_lo, s20
	s_cbranch_vccz .LBB347_2185
; %bb.2170:
	s_cmp_lt_i32 s14, 27
	s_cbranch_scc1 .LBB347_2173
; %bb.2171:
	s_cmp_gt_i32 s14, 27
	s_cbranch_scc0 .LBB347_2174
; %bb.2172:
	s_wait_loadcnt 0x0
	global_load_b32 v12, v[4:5], off
	s_mov_b32 s19, 0
	s_branch .LBB347_2175
.LBB347_2173:
	s_mov_b32 s19, -1
                                        ; implicit-def: $vgpr12
	s_branch .LBB347_2178
.LBB347_2174:
	s_mov_b32 s19, -1
                                        ; implicit-def: $vgpr12
.LBB347_2175:
	s_delay_alu instid0(SALU_CYCLE_1)
	s_and_not1_b32 vcc_lo, exec_lo, s19
	s_cbranch_vccnz .LBB347_2177
; %bb.2176:
	s_wait_loadcnt 0x0
	global_load_u16 v12, v[4:5], off
.LBB347_2177:
	s_mov_b32 s19, 0
.LBB347_2178:
	s_delay_alu instid0(SALU_CYCLE_1)
	s_and_not1_b32 vcc_lo, exec_lo, s19
	s_cbranch_vccnz .LBB347_2184
; %bb.2179:
	global_load_u8 v1, v[4:5], off
	s_mov_b32 s20, 0
	s_mov_b32 s19, exec_lo
	s_wait_loadcnt 0x0
	v_cmpx_lt_i16_e32 0x7f, v1
	s_xor_b32 s19, exec_lo, s19
	s_cbranch_execz .LBB347_2196
; %bb.2180:
	v_cmp_ne_u16_e32 vcc_lo, 0x80, v1
	s_and_b32 s20, vcc_lo, exec_lo
	s_and_not1_saveexec_b32 s19, s19
	s_cbranch_execnz .LBB347_2197
.LBB347_2181:
	s_or_b32 exec_lo, exec_lo, s19
	v_mov_b32_e32 v12, 0
	s_and_saveexec_b32 s19, s20
	s_cbranch_execz .LBB347_2183
.LBB347_2182:
	v_and_b32_e32 v3, 0xffff, v1
	s_delay_alu instid0(VALU_DEP_1) | instskip(SKIP_1) | instid1(VALU_DEP_2)
	v_and_b32_e32 v12, 7, v3
	v_bfe_u32 v15, v3, 3, 4
	v_clz_i32_u32_e32 v13, v12
	s_delay_alu instid0(VALU_DEP_2) | instskip(NEXT) | instid1(VALU_DEP_2)
	v_cmp_eq_u32_e32 vcc_lo, 0, v15
	v_min_u32_e32 v13, 32, v13
	s_delay_alu instid0(VALU_DEP_1) | instskip(NEXT) | instid1(VALU_DEP_1)
	v_subrev_nc_u32_e32 v14, 28, v13
	v_dual_lshlrev_b32 v3, v14, v3 :: v_dual_sub_nc_u32 v13, 29, v13
	s_delay_alu instid0(VALU_DEP_1) | instskip(NEXT) | instid1(VALU_DEP_1)
	v_dual_lshlrev_b32 v1, 24, v1 :: v_dual_bitop2_b32 v3, 7, v3 bitop3:0x40
	v_dual_cndmask_b32 v3, v12, v3, vcc_lo :: v_dual_cndmask_b32 v13, v15, v13, vcc_lo
	s_delay_alu instid0(VALU_DEP_2) | instskip(NEXT) | instid1(VALU_DEP_2)
	v_and_b32_e32 v1, 0x80000000, v1
	v_lshlrev_b32_e32 v3, 20, v3
	s_delay_alu instid0(VALU_DEP_3) | instskip(NEXT) | instid1(VALU_DEP_1)
	v_lshl_add_u32 v12, v13, 23, 0x3b800000
	v_or3_b32 v1, v1, v12, v3
	s_delay_alu instid0(VALU_DEP_1)
	v_cvt_u32_f32_e32 v12, v1
.LBB347_2183:
	s_or_b32 exec_lo, exec_lo, s19
.LBB347_2184:
	s_mov_b32 s19, -1
.LBB347_2185:
	s_mov_b32 s20, 0
.LBB347_2186:
	s_delay_alu instid0(SALU_CYCLE_1)
	s_and_b32 vcc_lo, exec_lo, s20
	s_cbranch_vccz .LBB347_2217
; %bb.2187:
	s_cmp_gt_i32 s14, 22
	s_cbranch_scc0 .LBB347_2195
; %bb.2188:
	s_cmp_lt_i32 s14, 24
	s_cbranch_scc1 .LBB347_2198
; %bb.2189:
	s_cmp_gt_i32 s14, 24
	s_cbranch_scc0 .LBB347_2199
; %bb.2190:
	global_load_u8 v1, v[4:5], off
	s_mov_b32 s19, 0
	s_mov_b32 s18, exec_lo
	s_wait_loadcnt 0x0
	v_cmpx_lt_i16_e32 0x7f, v1
	s_xor_b32 s18, exec_lo, s18
	s_cbranch_execz .LBB347_2211
; %bb.2191:
	v_cmp_ne_u16_e32 vcc_lo, 0x80, v1
	s_and_b32 s19, vcc_lo, exec_lo
	s_and_not1_saveexec_b32 s18, s18
	s_cbranch_execnz .LBB347_2212
.LBB347_2192:
	s_or_b32 exec_lo, exec_lo, s18
	v_mov_b32_e32 v12, 0
	s_and_saveexec_b32 s18, s19
	s_cbranch_execz .LBB347_2194
.LBB347_2193:
	v_and_b32_e32 v3, 0xffff, v1
	s_delay_alu instid0(VALU_DEP_1) | instskip(SKIP_1) | instid1(VALU_DEP_2)
	v_and_b32_e32 v12, 3, v3
	v_bfe_u32 v15, v3, 2, 5
	v_clz_i32_u32_e32 v13, v12
	s_delay_alu instid0(VALU_DEP_2) | instskip(NEXT) | instid1(VALU_DEP_2)
	v_cmp_eq_u32_e32 vcc_lo, 0, v15
	v_min_u32_e32 v13, 32, v13
	s_delay_alu instid0(VALU_DEP_1) | instskip(NEXT) | instid1(VALU_DEP_1)
	v_subrev_nc_u32_e32 v14, 29, v13
	v_dual_lshlrev_b32 v3, v14, v3 :: v_dual_sub_nc_u32 v13, 30, v13
	s_delay_alu instid0(VALU_DEP_1) | instskip(NEXT) | instid1(VALU_DEP_1)
	v_dual_lshlrev_b32 v1, 24, v1 :: v_dual_bitop2_b32 v3, 3, v3 bitop3:0x40
	v_dual_cndmask_b32 v3, v12, v3, vcc_lo :: v_dual_cndmask_b32 v13, v15, v13, vcc_lo
	s_delay_alu instid0(VALU_DEP_2) | instskip(NEXT) | instid1(VALU_DEP_2)
	v_and_b32_e32 v1, 0x80000000, v1
	v_lshlrev_b32_e32 v3, 21, v3
	s_delay_alu instid0(VALU_DEP_3) | instskip(NEXT) | instid1(VALU_DEP_1)
	v_lshl_add_u32 v12, v13, 23, 0x37800000
	v_or3_b32 v1, v1, v12, v3
	s_delay_alu instid0(VALU_DEP_1)
	v_cvt_u32_f32_e32 v12, v1
.LBB347_2194:
	s_or_b32 exec_lo, exec_lo, s18
	s_mov_b32 s18, 0
	s_branch .LBB347_2200
.LBB347_2195:
	s_mov_b32 s18, -1
                                        ; implicit-def: $vgpr12
	s_branch .LBB347_2206
.LBB347_2196:
	s_and_not1_saveexec_b32 s19, s19
	s_cbranch_execz .LBB347_2181
.LBB347_2197:
	v_cmp_ne_u16_e32 vcc_lo, 0, v1
	s_and_not1_b32 s20, s20, exec_lo
	s_and_b32 s21, vcc_lo, exec_lo
	s_delay_alu instid0(SALU_CYCLE_1)
	s_or_b32 s20, s20, s21
	s_or_b32 exec_lo, exec_lo, s19
	v_mov_b32_e32 v12, 0
	s_and_saveexec_b32 s19, s20
	s_cbranch_execnz .LBB347_2182
	s_branch .LBB347_2183
.LBB347_2198:
	s_mov_b32 s18, -1
                                        ; implicit-def: $vgpr12
	s_branch .LBB347_2203
.LBB347_2199:
	s_mov_b32 s18, -1
                                        ; implicit-def: $vgpr12
.LBB347_2200:
	s_delay_alu instid0(SALU_CYCLE_1)
	s_and_b32 vcc_lo, exec_lo, s18
	s_cbranch_vccz .LBB347_2202
; %bb.2201:
	global_load_u8 v1, v[4:5], off
	s_wait_loadcnt 0x0
	v_lshlrev_b32_e32 v1, 24, v1
	s_delay_alu instid0(VALU_DEP_1) | instskip(NEXT) | instid1(VALU_DEP_1)
	v_and_b32_e32 v3, 0x7f000000, v1
	v_clz_i32_u32_e32 v12, v3
	v_cmp_ne_u32_e32 vcc_lo, 0, v3
	v_add_nc_u32_e32 v14, 0x1000000, v3
	s_delay_alu instid0(VALU_DEP_3) | instskip(NEXT) | instid1(VALU_DEP_1)
	v_min_u32_e32 v12, 32, v12
	v_sub_nc_u32_e64 v12, v12, 4 clamp
	s_delay_alu instid0(VALU_DEP_1) | instskip(NEXT) | instid1(VALU_DEP_1)
	v_dual_lshlrev_b32 v13, v12, v3 :: v_dual_lshlrev_b32 v12, 23, v12
	v_lshrrev_b32_e32 v13, 4, v13
	s_delay_alu instid0(VALU_DEP_1) | instskip(NEXT) | instid1(VALU_DEP_1)
	v_dual_sub_nc_u32 v12, v13, v12 :: v_dual_ashrrev_i32 v13, 8, v14
	v_add_nc_u32_e32 v12, 0x3c000000, v12
	s_delay_alu instid0(VALU_DEP_1) | instskip(NEXT) | instid1(VALU_DEP_1)
	v_and_or_b32 v12, 0x7f800000, v13, v12
	v_cndmask_b32_e32 v3, 0, v12, vcc_lo
	s_delay_alu instid0(VALU_DEP_1) | instskip(NEXT) | instid1(VALU_DEP_1)
	v_and_or_b32 v1, 0x80000000, v1, v3
	v_cvt_u32_f32_e32 v12, v1
.LBB347_2202:
	s_mov_b32 s18, 0
.LBB347_2203:
	s_delay_alu instid0(SALU_CYCLE_1)
	s_and_not1_b32 vcc_lo, exec_lo, s18
	s_cbranch_vccnz .LBB347_2205
; %bb.2204:
	global_load_u8 v1, v[4:5], off
	s_wait_loadcnt 0x0
	v_lshlrev_b32_e32 v3, 25, v1
	v_lshlrev_b16 v1, 8, v1
	s_delay_alu instid0(VALU_DEP_1) | instskip(NEXT) | instid1(VALU_DEP_3)
	v_and_or_b32 v13, 0x7f00, v1, 0.5
	v_lshrrev_b32_e32 v12, 4, v3
	v_bfe_i32 v1, v1, 0, 16
	s_delay_alu instid0(VALU_DEP_3) | instskip(NEXT) | instid1(VALU_DEP_3)
	v_add_f32_e32 v13, -0.5, v13
	v_or_b32_e32 v12, 0x70000000, v12
	s_delay_alu instid0(VALU_DEP_1) | instskip(SKIP_1) | instid1(VALU_DEP_2)
	v_mul_f32_e32 v12, 0x7800000, v12
	v_cmp_gt_u32_e32 vcc_lo, 0x8000000, v3
	v_cndmask_b32_e32 v3, v12, v13, vcc_lo
	s_delay_alu instid0(VALU_DEP_1) | instskip(NEXT) | instid1(VALU_DEP_1)
	v_and_or_b32 v1, 0x80000000, v1, v3
	v_cvt_u32_f32_e32 v12, v1
.LBB347_2205:
	s_mov_b32 s18, 0
	s_mov_b32 s19, -1
.LBB347_2206:
	s_and_not1_b32 vcc_lo, exec_lo, s18
	s_mov_b32 s18, 0
	s_cbranch_vccnz .LBB347_2217
; %bb.2207:
	s_cmp_gt_i32 s14, 14
	s_cbranch_scc0 .LBB347_2210
; %bb.2208:
	s_cmp_eq_u32 s14, 15
	s_cbranch_scc0 .LBB347_2213
; %bb.2209:
	global_load_u16 v1, v[4:5], off
	s_mov_b32 s17, 0
	s_mov_b32 s19, -1
	s_wait_loadcnt 0x0
	v_lshlrev_b32_e32 v1, 16, v1
	s_delay_alu instid0(VALU_DEP_1)
	v_cvt_u32_f32_e32 v12, v1
	s_branch .LBB347_2215
.LBB347_2210:
	s_mov_b32 s18, -1
	s_branch .LBB347_2214
.LBB347_2211:
	s_and_not1_saveexec_b32 s18, s18
	s_cbranch_execz .LBB347_2192
.LBB347_2212:
	v_cmp_ne_u16_e32 vcc_lo, 0, v1
	s_and_not1_b32 s19, s19, exec_lo
	s_and_b32 s20, vcc_lo, exec_lo
	s_delay_alu instid0(SALU_CYCLE_1)
	s_or_b32 s19, s19, s20
	s_or_b32 exec_lo, exec_lo, s18
	v_mov_b32_e32 v12, 0
	s_and_saveexec_b32 s18, s19
	s_cbranch_execnz .LBB347_2193
	s_branch .LBB347_2194
.LBB347_2213:
	s_mov_b32 s17, -1
.LBB347_2214:
                                        ; implicit-def: $vgpr12
.LBB347_2215:
	s_and_b32 vcc_lo, exec_lo, s18
	s_mov_b32 s18, 0
	s_cbranch_vccz .LBB347_2217
; %bb.2216:
	s_cmp_lg_u32 s14, 11
	s_mov_b32 s18, -1
	s_cselect_b32 s17, -1, 0
.LBB347_2217:
	s_delay_alu instid0(SALU_CYCLE_1)
	s_and_b32 vcc_lo, exec_lo, s17
	s_cbranch_vccnz .LBB347_2282
; %bb.2218:
	s_and_not1_b32 vcc_lo, exec_lo, s18
	s_cbranch_vccnz .LBB347_2220
.LBB347_2219:
	global_load_u8 v1, v[4:5], off
	s_mov_b32 s19, -1
	s_wait_loadcnt 0x0
	v_cmp_ne_u16_e32 vcc_lo, 0, v1
	v_cndmask_b32_e64 v12, 0, 1, vcc_lo
.LBB347_2220:
	s_mov_b32 s14, 0
.LBB347_2221:
	s_delay_alu instid0(SALU_CYCLE_1)
	s_and_b32 vcc_lo, exec_lo, s14
	s_cbranch_vccz .LBB347_2270
; %bb.2222:
	s_and_b32 s14, 0xffff, s1
	s_delay_alu instid0(SALU_CYCLE_1)
	s_cmp_lt_i32 s14, 5
	s_cbranch_scc1 .LBB347_2227
; %bb.2223:
	s_cmp_lt_i32 s14, 8
	s_cbranch_scc1 .LBB347_2228
; %bb.2224:
	;; [unrolled: 3-line block ×3, first 2 shown]
	s_cmp_gt_i32 s14, 9
	s_cbranch_scc0 .LBB347_2230
; %bb.2226:
	s_wait_loadcnt 0x0
	global_load_b64 v[12:13], v[4:5], off
	s_mov_b32 s17, 0
	s_wait_loadcnt 0x0
	v_cvt_u32_f64_e32 v12, v[12:13]
	s_branch .LBB347_2231
.LBB347_2227:
	s_mov_b32 s17, -1
                                        ; implicit-def: $vgpr12
	s_branch .LBB347_2249
.LBB347_2228:
	s_mov_b32 s17, -1
                                        ; implicit-def: $vgpr12
	s_branch .LBB347_2237
.LBB347_2229:
	s_mov_b32 s17, -1
                                        ; implicit-def: $vgpr12
	s_branch .LBB347_2234
.LBB347_2230:
	s_mov_b32 s17, -1
                                        ; implicit-def: $vgpr12
.LBB347_2231:
	s_delay_alu instid0(SALU_CYCLE_1)
	s_and_not1_b32 vcc_lo, exec_lo, s17
	s_cbranch_vccnz .LBB347_2233
; %bb.2232:
	global_load_b32 v1, v[4:5], off
	s_wait_loadcnt 0x0
	v_cvt_u32_f32_e32 v12, v1
.LBB347_2233:
	s_mov_b32 s17, 0
.LBB347_2234:
	s_delay_alu instid0(SALU_CYCLE_1)
	s_and_not1_b32 vcc_lo, exec_lo, s17
	s_cbranch_vccnz .LBB347_2236
; %bb.2235:
	global_load_b32 v1, v[4:5], off
	s_wait_loadcnt 0x0
	v_cvt_f32_f16_e32 v1, v1
	s_delay_alu instid0(VALU_DEP_1)
	v_cvt_u32_f32_e32 v12, v1
.LBB347_2236:
	s_mov_b32 s17, 0
.LBB347_2237:
	s_delay_alu instid0(SALU_CYCLE_1)
	s_and_not1_b32 vcc_lo, exec_lo, s17
	s_cbranch_vccnz .LBB347_2248
; %bb.2238:
	s_cmp_lt_i32 s14, 6
	s_cbranch_scc1 .LBB347_2241
; %bb.2239:
	s_cmp_gt_i32 s14, 6
	s_cbranch_scc0 .LBB347_2242
; %bb.2240:
	s_wait_loadcnt 0x0
	global_load_b64 v[12:13], v[4:5], off
	s_mov_b32 s17, 0
	s_wait_loadcnt 0x0
	v_cvt_u32_f64_e32 v12, v[12:13]
	s_branch .LBB347_2243
.LBB347_2241:
	s_mov_b32 s17, -1
                                        ; implicit-def: $vgpr12
	s_branch .LBB347_2246
.LBB347_2242:
	s_mov_b32 s17, -1
                                        ; implicit-def: $vgpr12
.LBB347_2243:
	s_delay_alu instid0(SALU_CYCLE_1)
	s_and_not1_b32 vcc_lo, exec_lo, s17
	s_cbranch_vccnz .LBB347_2245
; %bb.2244:
	global_load_b32 v1, v[4:5], off
	s_wait_loadcnt 0x0
	v_cvt_u32_f32_e32 v12, v1
.LBB347_2245:
	s_mov_b32 s17, 0
.LBB347_2246:
	s_delay_alu instid0(SALU_CYCLE_1)
	s_and_not1_b32 vcc_lo, exec_lo, s17
	s_cbranch_vccnz .LBB347_2248
; %bb.2247:
	global_load_u16 v1, v[4:5], off
	s_wait_loadcnt 0x0
	v_cvt_f32_f16_e32 v1, v1
	s_delay_alu instid0(VALU_DEP_1)
	v_cvt_u32_f32_e32 v12, v1
.LBB347_2248:
	s_mov_b32 s17, 0
.LBB347_2249:
	s_delay_alu instid0(SALU_CYCLE_1)
	s_and_not1_b32 vcc_lo, exec_lo, s17
	s_cbranch_vccnz .LBB347_2269
; %bb.2250:
	s_cmp_lt_i32 s14, 2
	s_cbranch_scc1 .LBB347_2254
; %bb.2251:
	s_cmp_lt_i32 s14, 3
	s_cbranch_scc1 .LBB347_2255
; %bb.2252:
	s_cmp_gt_i32 s14, 3
	s_cbranch_scc0 .LBB347_2256
; %bb.2253:
	s_wait_loadcnt 0x0
	global_load_b32 v12, v[4:5], off
	s_mov_b32 s17, 0
	s_branch .LBB347_2257
.LBB347_2254:
	s_mov_b32 s17, -1
                                        ; implicit-def: $vgpr12
	s_branch .LBB347_2263
.LBB347_2255:
	s_mov_b32 s17, -1
                                        ; implicit-def: $vgpr12
	s_branch .LBB347_2260
.LBB347_2256:
	s_mov_b32 s17, -1
                                        ; implicit-def: $vgpr12
.LBB347_2257:
	s_delay_alu instid0(SALU_CYCLE_1)
	s_and_not1_b32 vcc_lo, exec_lo, s17
	s_cbranch_vccnz .LBB347_2259
; %bb.2258:
	s_wait_loadcnt 0x0
	global_load_b32 v12, v[4:5], off
.LBB347_2259:
	s_mov_b32 s17, 0
.LBB347_2260:
	s_delay_alu instid0(SALU_CYCLE_1)
	s_and_not1_b32 vcc_lo, exec_lo, s17
	s_cbranch_vccnz .LBB347_2262
; %bb.2261:
	s_wait_loadcnt 0x0
	global_load_i16 v12, v[4:5], off
.LBB347_2262:
	s_mov_b32 s17, 0
.LBB347_2263:
	s_delay_alu instid0(SALU_CYCLE_1)
	s_and_not1_b32 vcc_lo, exec_lo, s17
	s_cbranch_vccnz .LBB347_2269
; %bb.2264:
	s_cmp_gt_i32 s14, 0
	s_mov_b32 s14, 0
	s_cbranch_scc0 .LBB347_2266
; %bb.2265:
	s_wait_loadcnt 0x0
	global_load_i8 v12, v[4:5], off
	s_branch .LBB347_2267
.LBB347_2266:
	s_mov_b32 s14, -1
                                        ; implicit-def: $vgpr12
.LBB347_2267:
	s_delay_alu instid0(SALU_CYCLE_1)
	s_and_not1_b32 vcc_lo, exec_lo, s14
	s_cbranch_vccnz .LBB347_2269
; %bb.2268:
	s_wait_loadcnt 0x0
	global_load_u8 v12, v[4:5], off
.LBB347_2269:
	s_mov_b32 s19, -1
.LBB347_2270:
	s_delay_alu instid0(SALU_CYCLE_1)
	s_and_not1_b32 vcc_lo, exec_lo, s19
	s_cbranch_vccnz .LBB347_2957
; %bb.2271:
	v_add_nc_u32_e32 v0, s9, v0
	s_cmp_lt_i32 s0, 11
	s_delay_alu instid0(VALU_DEP_1) | instskip(NEXT) | instid1(VALU_DEP_1)
	v_ashrrev_i32_e32 v1, 31, v0
	v_add_nc_u64_e32 v[0:1], s[6:7], v[0:1]
	s_cbranch_scc1 .LBB347_2278
; %bb.2272:
	s_and_b32 s6, 0xffff, s0
	s_mov_b32 s9, 0
	s_cmp_gt_i32 s6, 25
	s_cbranch_scc0 .LBB347_2279
; %bb.2273:
	s_cmp_gt_i32 s6, 28
	s_cbranch_scc0 .LBB347_2280
; %bb.2274:
	;; [unrolled: 3-line block ×4, first 2 shown]
	s_cmp_eq_u32 s6, 46
	s_mov_b32 s17, 0
	s_cbranch_scc0 .LBB347_2284
; %bb.2277:
	global_load_b32 v3, v[0:1], off
	s_mov_b32 s7, 0
	s_mov_b32 s14, -1
	s_wait_loadcnt 0x0
	v_lshlrev_b32_e32 v3, 16, v3
	s_wait_xcnt 0x1
	s_delay_alu instid0(VALU_DEP_1)
	v_cvt_u32_f32_e32 v4, v3
	s_branch .LBB347_2286
.LBB347_2278:
	s_mov_b32 s6, -1
	s_mov_b32 s14, 0
                                        ; implicit-def: $vgpr4
	s_branch .LBB347_2348
.LBB347_2279:
	s_mov_b32 s17, -1
	s_mov_b32 s14, 0
	s_mov_b32 s7, 0
                                        ; implicit-def: $vgpr4
	s_branch .LBB347_2313
.LBB347_2280:
	s_mov_b32 s17, -1
	s_mov_b32 s14, 0
	s_mov_b32 s7, 0
                                        ; implicit-def: $vgpr4
	s_branch .LBB347_2296
.LBB347_2281:
	s_mov_b32 s17, -1
	s_mov_b32 s14, 0
	s_mov_b32 s7, 0
                                        ; implicit-def: $vgpr4
	s_branch .LBB347_2291
.LBB347_2282:
	s_or_b32 s13, s13, exec_lo
	s_trap 2
	s_cbranch_execz .LBB347_2219
	s_branch .LBB347_2220
.LBB347_2283:
	s_mov_b32 s17, -1
	s_mov_b32 s14, 0
	s_mov_b32 s7, 0
	s_branch .LBB347_2285
.LBB347_2284:
	s_mov_b32 s7, -1
	s_mov_b32 s14, 0
.LBB347_2285:
                                        ; implicit-def: $vgpr4
.LBB347_2286:
	s_and_b32 vcc_lo, exec_lo, s17
	s_cbranch_vccz .LBB347_2290
; %bb.2287:
	s_cmp_eq_u32 s6, 44
	s_cbranch_scc0 .LBB347_2289
; %bb.2288:
	global_load_u8 v3, v[0:1], off
	s_mov_b32 s7, 0
	s_mov_b32 s14, -1
	s_wait_loadcnt 0x0
	s_wait_xcnt 0x1
	v_lshlrev_b32_e32 v4, 23, v3
	v_cmp_ne_u32_e32 vcc_lo, 0, v3
	s_delay_alu instid0(VALU_DEP_2) | instskip(NEXT) | instid1(VALU_DEP_1)
	v_cvt_u32_f32_e32 v4, v4
	v_cndmask_b32_e32 v4, 0, v4, vcc_lo
	s_branch .LBB347_2290
.LBB347_2289:
	s_mov_b32 s7, -1
                                        ; implicit-def: $vgpr4
.LBB347_2290:
	s_mov_b32 s17, 0
.LBB347_2291:
	s_delay_alu instid0(SALU_CYCLE_1)
	s_and_b32 vcc_lo, exec_lo, s17
	s_cbranch_vccz .LBB347_2295
; %bb.2292:
	s_cmp_eq_u32 s6, 29
	s_cbranch_scc0 .LBB347_2294
; %bb.2293:
	global_load_b32 v4, v[0:1], off
	s_mov_b32 s7, 0
	s_mov_b32 s14, -1
	s_branch .LBB347_2295
.LBB347_2294:
	s_mov_b32 s7, -1
                                        ; implicit-def: $vgpr4
.LBB347_2295:
	s_mov_b32 s17, 0
.LBB347_2296:
	s_delay_alu instid0(SALU_CYCLE_1)
	s_and_b32 vcc_lo, exec_lo, s17
	s_cbranch_vccz .LBB347_2312
; %bb.2297:
	s_cmp_lt_i32 s6, 27
	s_cbranch_scc1 .LBB347_2300
; %bb.2298:
	s_cmp_gt_i32 s6, 27
	s_cbranch_scc0 .LBB347_2301
; %bb.2299:
	s_wait_loadcnt 0x0
	global_load_b32 v4, v[0:1], off
	s_mov_b32 s14, 0
	s_branch .LBB347_2302
.LBB347_2300:
	s_mov_b32 s14, -1
                                        ; implicit-def: $vgpr4
	s_branch .LBB347_2305
.LBB347_2301:
	s_mov_b32 s14, -1
                                        ; implicit-def: $vgpr4
.LBB347_2302:
	s_delay_alu instid0(SALU_CYCLE_1)
	s_and_not1_b32 vcc_lo, exec_lo, s14
	s_cbranch_vccnz .LBB347_2304
; %bb.2303:
	s_wait_loadcnt 0x0
	global_load_u16 v4, v[0:1], off
.LBB347_2304:
	s_mov_b32 s14, 0
.LBB347_2305:
	s_delay_alu instid0(SALU_CYCLE_1)
	s_and_not1_b32 vcc_lo, exec_lo, s14
	s_cbranch_vccnz .LBB347_2311
; %bb.2306:
	global_load_u8 v3, v[0:1], off
	s_mov_b32 s17, 0
	s_mov_b32 s14, exec_lo
	s_wait_loadcnt 0x0
	v_cmpx_lt_i16_e32 0x7f, v3
	s_xor_b32 s14, exec_lo, s14
	s_cbranch_execz .LBB347_2323
; %bb.2307:
	v_cmp_ne_u16_e32 vcc_lo, 0x80, v3
	s_and_b32 s17, vcc_lo, exec_lo
	s_and_not1_saveexec_b32 s14, s14
	s_cbranch_execnz .LBB347_2324
.LBB347_2308:
	s_or_b32 exec_lo, exec_lo, s14
	v_mov_b32_e32 v4, 0
	s_and_saveexec_b32 s14, s17
	s_cbranch_execz .LBB347_2310
.LBB347_2309:
	v_and_b32_e32 v4, 0xffff, v3
	s_delay_alu instid0(VALU_DEP_1) | instskip(SKIP_1) | instid1(VALU_DEP_2)
	v_and_b32_e32 v5, 7, v4
	v_bfe_u32 v15, v4, 3, 4
	v_clz_i32_u32_e32 v13, v5
	s_delay_alu instid0(VALU_DEP_2) | instskip(NEXT) | instid1(VALU_DEP_2)
	v_cmp_eq_u32_e32 vcc_lo, 0, v15
	v_min_u32_e32 v13, 32, v13
	s_delay_alu instid0(VALU_DEP_1) | instskip(NEXT) | instid1(VALU_DEP_1)
	v_subrev_nc_u32_e32 v14, 28, v13
	v_dual_lshlrev_b32 v4, v14, v4 :: v_dual_sub_nc_u32 v13, 29, v13
	s_delay_alu instid0(VALU_DEP_1) | instskip(NEXT) | instid1(VALU_DEP_1)
	v_dual_lshlrev_b32 v3, 24, v3 :: v_dual_bitop2_b32 v4, 7, v4 bitop3:0x40
	v_dual_cndmask_b32 v13, v15, v13 :: v_dual_cndmask_b32 v4, v5, v4
	s_delay_alu instid0(VALU_DEP_2) | instskip(NEXT) | instid1(VALU_DEP_2)
	v_and_b32_e32 v3, 0x80000000, v3
	v_lshl_add_u32 v5, v13, 23, 0x3b800000
	s_delay_alu instid0(VALU_DEP_3) | instskip(NEXT) | instid1(VALU_DEP_1)
	v_lshlrev_b32_e32 v4, 20, v4
	v_or3_b32 v3, v3, v5, v4
	s_delay_alu instid0(VALU_DEP_1)
	v_cvt_u32_f32_e32 v4, v3
.LBB347_2310:
	s_or_b32 exec_lo, exec_lo, s14
.LBB347_2311:
	s_mov_b32 s14, -1
.LBB347_2312:
	s_mov_b32 s17, 0
.LBB347_2313:
	s_delay_alu instid0(SALU_CYCLE_1)
	s_and_b32 vcc_lo, exec_lo, s17
	s_cbranch_vccz .LBB347_2344
; %bb.2314:
	s_cmp_gt_i32 s6, 22
	s_cbranch_scc0 .LBB347_2322
; %bb.2315:
	s_cmp_lt_i32 s6, 24
	s_cbranch_scc1 .LBB347_2325
; %bb.2316:
	s_cmp_gt_i32 s6, 24
	s_cbranch_scc0 .LBB347_2326
; %bb.2317:
	global_load_u8 v3, v[0:1], off
	s_mov_b32 s14, 0
	s_mov_b32 s9, exec_lo
	s_wait_loadcnt 0x0
	v_cmpx_lt_i16_e32 0x7f, v3
	s_xor_b32 s9, exec_lo, s9
	s_cbranch_execz .LBB347_2338
; %bb.2318:
	v_cmp_ne_u16_e32 vcc_lo, 0x80, v3
	s_and_b32 s14, vcc_lo, exec_lo
	s_and_not1_saveexec_b32 s9, s9
	s_cbranch_execnz .LBB347_2339
.LBB347_2319:
	s_or_b32 exec_lo, exec_lo, s9
	v_mov_b32_e32 v4, 0
	s_and_saveexec_b32 s9, s14
	s_cbranch_execz .LBB347_2321
.LBB347_2320:
	v_and_b32_e32 v4, 0xffff, v3
	s_delay_alu instid0(VALU_DEP_1) | instskip(SKIP_1) | instid1(VALU_DEP_2)
	v_and_b32_e32 v5, 3, v4
	v_bfe_u32 v15, v4, 2, 5
	v_clz_i32_u32_e32 v13, v5
	s_delay_alu instid0(VALU_DEP_2) | instskip(NEXT) | instid1(VALU_DEP_2)
	v_cmp_eq_u32_e32 vcc_lo, 0, v15
	v_min_u32_e32 v13, 32, v13
	s_delay_alu instid0(VALU_DEP_1) | instskip(NEXT) | instid1(VALU_DEP_1)
	v_subrev_nc_u32_e32 v14, 29, v13
	v_dual_lshlrev_b32 v4, v14, v4 :: v_dual_sub_nc_u32 v13, 30, v13
	s_delay_alu instid0(VALU_DEP_1) | instskip(NEXT) | instid1(VALU_DEP_1)
	v_dual_lshlrev_b32 v3, 24, v3 :: v_dual_bitop2_b32 v4, 3, v4 bitop3:0x40
	v_dual_cndmask_b32 v13, v15, v13 :: v_dual_cndmask_b32 v4, v5, v4
	s_delay_alu instid0(VALU_DEP_2) | instskip(NEXT) | instid1(VALU_DEP_2)
	v_and_b32_e32 v3, 0x80000000, v3
	v_lshl_add_u32 v5, v13, 23, 0x37800000
	s_delay_alu instid0(VALU_DEP_3) | instskip(NEXT) | instid1(VALU_DEP_1)
	v_lshlrev_b32_e32 v4, 21, v4
	v_or3_b32 v3, v3, v5, v4
	s_delay_alu instid0(VALU_DEP_1)
	v_cvt_u32_f32_e32 v4, v3
.LBB347_2321:
	s_or_b32 exec_lo, exec_lo, s9
	s_mov_b32 s9, 0
	s_branch .LBB347_2327
.LBB347_2322:
	s_mov_b32 s9, -1
                                        ; implicit-def: $vgpr4
	s_branch .LBB347_2333
.LBB347_2323:
	s_and_not1_saveexec_b32 s14, s14
	s_cbranch_execz .LBB347_2308
.LBB347_2324:
	v_cmp_ne_u16_e32 vcc_lo, 0, v3
	s_and_not1_b32 s17, s17, exec_lo
	s_and_b32 s18, vcc_lo, exec_lo
	s_delay_alu instid0(SALU_CYCLE_1)
	s_or_b32 s17, s17, s18
	s_or_b32 exec_lo, exec_lo, s14
	v_mov_b32_e32 v4, 0
	s_and_saveexec_b32 s14, s17
	s_cbranch_execnz .LBB347_2309
	s_branch .LBB347_2310
.LBB347_2325:
	s_mov_b32 s9, -1
                                        ; implicit-def: $vgpr4
	s_branch .LBB347_2330
.LBB347_2326:
	s_mov_b32 s9, -1
                                        ; implicit-def: $vgpr4
.LBB347_2327:
	s_delay_alu instid0(SALU_CYCLE_1)
	s_and_b32 vcc_lo, exec_lo, s9
	s_cbranch_vccz .LBB347_2329
; %bb.2328:
	global_load_u8 v3, v[0:1], off
	s_wait_loadcnt 0x0
	v_lshlrev_b32_e32 v3, 24, v3
	s_wait_xcnt 0x1
	s_delay_alu instid0(VALU_DEP_1) | instskip(NEXT) | instid1(VALU_DEP_1)
	v_and_b32_e32 v4, 0x7f000000, v3
	v_clz_i32_u32_e32 v5, v4
	v_add_nc_u32_e32 v14, 0x1000000, v4
	v_cmp_ne_u32_e32 vcc_lo, 0, v4
	s_delay_alu instid0(VALU_DEP_3) | instskip(NEXT) | instid1(VALU_DEP_1)
	v_min_u32_e32 v5, 32, v5
	v_sub_nc_u32_e64 v5, v5, 4 clamp
	s_delay_alu instid0(VALU_DEP_1) | instskip(NEXT) | instid1(VALU_DEP_1)
	v_dual_lshlrev_b32 v13, v5, v4 :: v_dual_lshlrev_b32 v5, 23, v5
	v_lshrrev_b32_e32 v13, 4, v13
	s_delay_alu instid0(VALU_DEP_1) | instskip(NEXT) | instid1(VALU_DEP_1)
	v_dual_sub_nc_u32 v5, v13, v5 :: v_dual_ashrrev_i32 v13, 8, v14
	v_add_nc_u32_e32 v5, 0x3c000000, v5
	s_delay_alu instid0(VALU_DEP_1) | instskip(NEXT) | instid1(VALU_DEP_1)
	v_and_or_b32 v5, 0x7f800000, v13, v5
	v_cndmask_b32_e32 v4, 0, v5, vcc_lo
	s_delay_alu instid0(VALU_DEP_1) | instskip(NEXT) | instid1(VALU_DEP_1)
	v_and_or_b32 v3, 0x80000000, v3, v4
	v_cvt_u32_f32_e32 v4, v3
.LBB347_2329:
	s_mov_b32 s9, 0
.LBB347_2330:
	s_delay_alu instid0(SALU_CYCLE_1)
	s_and_not1_b32 vcc_lo, exec_lo, s9
	s_cbranch_vccnz .LBB347_2332
; %bb.2331:
	global_load_u8 v3, v[0:1], off
	s_wait_loadcnt 0x0
	s_wait_xcnt 0x1
	v_lshlrev_b32_e32 v4, 25, v3
	v_lshlrev_b16 v3, 8, v3
	s_delay_alu instid0(VALU_DEP_1) | instskip(SKIP_1) | instid1(VALU_DEP_2)
	v_and_or_b32 v13, 0x7f00, v3, 0.5
	v_bfe_i32 v3, v3, 0, 16
	v_dual_add_f32 v13, -0.5, v13 :: v_dual_lshrrev_b32 v5, 4, v4
	v_cmp_gt_u32_e32 vcc_lo, 0x8000000, v4
	s_delay_alu instid0(VALU_DEP_2) | instskip(NEXT) | instid1(VALU_DEP_1)
	v_or_b32_e32 v5, 0x70000000, v5
	v_mul_f32_e32 v5, 0x7800000, v5
	s_delay_alu instid0(VALU_DEP_1) | instskip(NEXT) | instid1(VALU_DEP_1)
	v_cndmask_b32_e32 v4, v5, v13, vcc_lo
	v_and_or_b32 v3, 0x80000000, v3, v4
	s_delay_alu instid0(VALU_DEP_1)
	v_cvt_u32_f32_e32 v4, v3
.LBB347_2332:
	s_mov_b32 s9, 0
	s_mov_b32 s14, -1
.LBB347_2333:
	s_and_not1_b32 vcc_lo, exec_lo, s9
	s_mov_b32 s9, 0
	s_cbranch_vccnz .LBB347_2344
; %bb.2334:
	s_cmp_gt_i32 s6, 14
	s_cbranch_scc0 .LBB347_2337
; %bb.2335:
	s_cmp_eq_u32 s6, 15
	s_cbranch_scc0 .LBB347_2340
; %bb.2336:
	global_load_u16 v3, v[0:1], off
	s_mov_b32 s7, 0
	s_mov_b32 s14, -1
	s_wait_loadcnt 0x0
	v_lshlrev_b32_e32 v3, 16, v3
	s_wait_xcnt 0x1
	s_delay_alu instid0(VALU_DEP_1)
	v_cvt_u32_f32_e32 v4, v3
	s_branch .LBB347_2342
.LBB347_2337:
	s_mov_b32 s9, -1
	s_branch .LBB347_2341
.LBB347_2338:
	s_and_not1_saveexec_b32 s9, s9
	s_cbranch_execz .LBB347_2319
.LBB347_2339:
	v_cmp_ne_u16_e32 vcc_lo, 0, v3
	s_and_not1_b32 s14, s14, exec_lo
	s_and_b32 s17, vcc_lo, exec_lo
	s_delay_alu instid0(SALU_CYCLE_1)
	s_or_b32 s14, s14, s17
	s_or_b32 exec_lo, exec_lo, s9
	v_mov_b32_e32 v4, 0
	s_and_saveexec_b32 s9, s14
	s_cbranch_execnz .LBB347_2320
	s_branch .LBB347_2321
.LBB347_2340:
	s_mov_b32 s7, -1
.LBB347_2341:
                                        ; implicit-def: $vgpr4
.LBB347_2342:
	s_and_b32 vcc_lo, exec_lo, s9
	s_mov_b32 s9, 0
	s_cbranch_vccz .LBB347_2344
; %bb.2343:
	s_cmp_lg_u32 s6, 11
	s_mov_b32 s9, -1
	s_cselect_b32 s7, -1, 0
.LBB347_2344:
	s_delay_alu instid0(SALU_CYCLE_1)
	s_and_b32 vcc_lo, exec_lo, s7
	s_cbranch_vccnz .LBB347_2409
; %bb.2345:
	s_and_not1_b32 vcc_lo, exec_lo, s9
	s_cbranch_vccnz .LBB347_2347
.LBB347_2346:
	global_load_u8 v3, v[0:1], off
	s_mov_b32 s14, -1
	s_wait_loadcnt 0x0
	v_cmp_ne_u16_e32 vcc_lo, 0, v3
	s_wait_xcnt 0x1
	v_cndmask_b32_e64 v4, 0, 1, vcc_lo
.LBB347_2347:
	s_mov_b32 s6, 0
.LBB347_2348:
	s_delay_alu instid0(SALU_CYCLE_1)
	s_and_b32 vcc_lo, exec_lo, s6
	s_cbranch_vccz .LBB347_2397
; %bb.2349:
	s_and_b32 s0, 0xffff, s0
	s_delay_alu instid0(SALU_CYCLE_1)
	s_cmp_lt_i32 s0, 5
	s_cbranch_scc1 .LBB347_2354
; %bb.2350:
	s_cmp_lt_i32 s0, 8
	s_cbranch_scc1 .LBB347_2355
; %bb.2351:
	;; [unrolled: 3-line block ×3, first 2 shown]
	s_cmp_gt_i32 s0, 9
	s_cbranch_scc0 .LBB347_2357
; %bb.2353:
	s_wait_loadcnt 0x0
	global_load_b64 v[4:5], v[0:1], off
	s_mov_b32 s6, 0
	s_wait_loadcnt 0x0
	v_cvt_u32_f64_e32 v4, v[4:5]
	s_branch .LBB347_2358
.LBB347_2354:
	s_mov_b32 s6, -1
                                        ; implicit-def: $vgpr4
	s_branch .LBB347_2376
.LBB347_2355:
	s_mov_b32 s6, -1
                                        ; implicit-def: $vgpr4
	s_branch .LBB347_2364
.LBB347_2356:
	s_mov_b32 s6, -1
                                        ; implicit-def: $vgpr4
	s_branch .LBB347_2361
.LBB347_2357:
	s_mov_b32 s6, -1
                                        ; implicit-def: $vgpr4
.LBB347_2358:
	s_delay_alu instid0(SALU_CYCLE_1)
	s_and_not1_b32 vcc_lo, exec_lo, s6
	s_cbranch_vccnz .LBB347_2360
; %bb.2359:
	global_load_b32 v3, v[0:1], off
	s_wait_loadcnt 0x0
	s_wait_xcnt 0x1
	v_cvt_u32_f32_e32 v4, v3
.LBB347_2360:
	s_mov_b32 s6, 0
.LBB347_2361:
	s_delay_alu instid0(SALU_CYCLE_1)
	s_and_not1_b32 vcc_lo, exec_lo, s6
	s_cbranch_vccnz .LBB347_2363
; %bb.2362:
	global_load_b32 v3, v[0:1], off
	s_wait_loadcnt 0x0
	v_cvt_f32_f16_e32 v3, v3
	s_wait_xcnt 0x1
	s_delay_alu instid0(VALU_DEP_1)
	v_cvt_u32_f32_e32 v4, v3
.LBB347_2363:
	s_mov_b32 s6, 0
.LBB347_2364:
	s_delay_alu instid0(SALU_CYCLE_1)
	s_and_not1_b32 vcc_lo, exec_lo, s6
	s_cbranch_vccnz .LBB347_2375
; %bb.2365:
	s_cmp_lt_i32 s0, 6
	s_cbranch_scc1 .LBB347_2368
; %bb.2366:
	s_cmp_gt_i32 s0, 6
	s_cbranch_scc0 .LBB347_2369
; %bb.2367:
	s_wait_loadcnt 0x0
	global_load_b64 v[4:5], v[0:1], off
	s_mov_b32 s6, 0
	s_wait_loadcnt 0x0
	v_cvt_u32_f64_e32 v4, v[4:5]
	s_branch .LBB347_2370
.LBB347_2368:
	s_mov_b32 s6, -1
                                        ; implicit-def: $vgpr4
	s_branch .LBB347_2373
.LBB347_2369:
	s_mov_b32 s6, -1
                                        ; implicit-def: $vgpr4
.LBB347_2370:
	s_delay_alu instid0(SALU_CYCLE_1)
	s_and_not1_b32 vcc_lo, exec_lo, s6
	s_cbranch_vccnz .LBB347_2372
; %bb.2371:
	global_load_b32 v3, v[0:1], off
	s_wait_loadcnt 0x0
	s_wait_xcnt 0x1
	v_cvt_u32_f32_e32 v4, v3
.LBB347_2372:
	s_mov_b32 s6, 0
.LBB347_2373:
	s_delay_alu instid0(SALU_CYCLE_1)
	s_and_not1_b32 vcc_lo, exec_lo, s6
	s_cbranch_vccnz .LBB347_2375
; %bb.2374:
	global_load_u16 v3, v[0:1], off
	s_wait_loadcnt 0x0
	v_cvt_f32_f16_e32 v3, v3
	s_wait_xcnt 0x1
	s_delay_alu instid0(VALU_DEP_1)
	v_cvt_u32_f32_e32 v4, v3
.LBB347_2375:
	s_mov_b32 s6, 0
.LBB347_2376:
	s_delay_alu instid0(SALU_CYCLE_1)
	s_and_not1_b32 vcc_lo, exec_lo, s6
	s_cbranch_vccnz .LBB347_2396
; %bb.2377:
	s_cmp_lt_i32 s0, 2
	s_cbranch_scc1 .LBB347_2381
; %bb.2378:
	s_cmp_lt_i32 s0, 3
	s_cbranch_scc1 .LBB347_2382
; %bb.2379:
	s_cmp_gt_i32 s0, 3
	s_cbranch_scc0 .LBB347_2383
; %bb.2380:
	s_wait_loadcnt 0x0
	global_load_b32 v4, v[0:1], off
	s_mov_b32 s6, 0
	s_branch .LBB347_2384
.LBB347_2381:
	s_mov_b32 s6, -1
                                        ; implicit-def: $vgpr4
	s_branch .LBB347_2390
.LBB347_2382:
	s_mov_b32 s6, -1
                                        ; implicit-def: $vgpr4
	s_branch .LBB347_2387
.LBB347_2383:
	s_mov_b32 s6, -1
                                        ; implicit-def: $vgpr4
.LBB347_2384:
	s_delay_alu instid0(SALU_CYCLE_1)
	s_and_not1_b32 vcc_lo, exec_lo, s6
	s_cbranch_vccnz .LBB347_2386
; %bb.2385:
	s_wait_loadcnt 0x0
	global_load_b32 v4, v[0:1], off
.LBB347_2386:
	s_mov_b32 s6, 0
.LBB347_2387:
	s_delay_alu instid0(SALU_CYCLE_1)
	s_and_not1_b32 vcc_lo, exec_lo, s6
	s_cbranch_vccnz .LBB347_2389
; %bb.2388:
	s_wait_loadcnt 0x0
	global_load_i16 v4, v[0:1], off
.LBB347_2389:
	s_mov_b32 s6, 0
.LBB347_2390:
	s_delay_alu instid0(SALU_CYCLE_1)
	s_and_not1_b32 vcc_lo, exec_lo, s6
	s_cbranch_vccnz .LBB347_2396
; %bb.2391:
	s_cmp_gt_i32 s0, 0
	s_mov_b32 s0, 0
	s_cbranch_scc0 .LBB347_2393
; %bb.2392:
	s_wait_loadcnt 0x0
	global_load_i8 v4, v[0:1], off
	s_branch .LBB347_2394
.LBB347_2393:
	s_mov_b32 s0, -1
                                        ; implicit-def: $vgpr4
.LBB347_2394:
	s_delay_alu instid0(SALU_CYCLE_1)
	s_and_not1_b32 vcc_lo, exec_lo, s0
	s_cbranch_vccnz .LBB347_2396
; %bb.2395:
	s_wait_loadcnt 0x0
	global_load_u8 v4, v[0:1], off
.LBB347_2396:
	s_mov_b32 s14, -1
.LBB347_2397:
	s_delay_alu instid0(SALU_CYCLE_1)
	s_and_not1_b32 vcc_lo, exec_lo, s14
	s_cbranch_vccnz .LBB347_2957
; %bb.2398:
	s_wait_xcnt 0x0
	v_add_nc_u32_e32 v0, s10, v2
	s_cmp_lt_i32 s1, 11
	s_delay_alu instid0(VALU_DEP_1) | instskip(NEXT) | instid1(VALU_DEP_1)
	v_ashrrev_i32_e32 v1, 31, v0
	v_add_nc_u64_e32 v[0:1], s[2:3], v[0:1]
	s_cbranch_scc1 .LBB347_2405
; %bb.2399:
	s_and_b32 s0, 0xffff, s1
	s_mov_b32 s3, 0
	s_cmp_gt_i32 s0, 25
	s_cbranch_scc0 .LBB347_2406
; %bb.2400:
	s_cmp_gt_i32 s0, 28
	s_cbranch_scc0 .LBB347_2407
; %bb.2401:
	;; [unrolled: 3-line block ×4, first 2 shown]
	s_cmp_eq_u32 s0, 46
	s_mov_b32 s7, 0
	s_cbranch_scc0 .LBB347_2411
; %bb.2404:
	global_load_b32 v2, v[0:1], off
	s_mov_b32 s2, 0
	s_mov_b32 s6, -1
	s_wait_loadcnt 0x0
	v_lshlrev_b32_e32 v2, 16, v2
	s_delay_alu instid0(VALU_DEP_1)
	v_cvt_u32_f32_e32 v5, v2
	s_branch .LBB347_2413
.LBB347_2405:
	s_mov_b32 s0, -1
	s_mov_b32 s6, 0
                                        ; implicit-def: $vgpr5
	s_branch .LBB347_2475
.LBB347_2406:
	s_mov_b32 s7, -1
	s_mov_b32 s6, 0
	s_mov_b32 s2, 0
                                        ; implicit-def: $vgpr5
	s_branch .LBB347_2440
.LBB347_2407:
	s_mov_b32 s7, -1
	s_mov_b32 s6, 0
	s_mov_b32 s2, 0
                                        ; implicit-def: $vgpr5
	s_branch .LBB347_2423
.LBB347_2408:
	s_mov_b32 s7, -1
	s_mov_b32 s6, 0
	s_mov_b32 s2, 0
                                        ; implicit-def: $vgpr5
	s_branch .LBB347_2418
.LBB347_2409:
	s_or_b32 s13, s13, exec_lo
	s_trap 2
	s_cbranch_execz .LBB347_2346
	s_branch .LBB347_2347
.LBB347_2410:
	s_mov_b32 s7, -1
	s_mov_b32 s6, 0
	s_mov_b32 s2, 0
	s_branch .LBB347_2412
.LBB347_2411:
	s_mov_b32 s2, -1
	s_mov_b32 s6, 0
.LBB347_2412:
                                        ; implicit-def: $vgpr5
.LBB347_2413:
	s_and_b32 vcc_lo, exec_lo, s7
	s_cbranch_vccz .LBB347_2417
; %bb.2414:
	s_cmp_eq_u32 s0, 44
	s_cbranch_scc0 .LBB347_2416
; %bb.2415:
	global_load_u8 v2, v[0:1], off
	s_mov_b32 s2, 0
	s_mov_b32 s6, -1
	s_wait_loadcnt 0x0
	v_lshlrev_b32_e32 v3, 23, v2
	v_cmp_ne_u32_e32 vcc_lo, 0, v2
	s_delay_alu instid0(VALU_DEP_2) | instskip(NEXT) | instid1(VALU_DEP_1)
	v_cvt_u32_f32_e32 v3, v3
	v_cndmask_b32_e32 v5, 0, v3, vcc_lo
	s_branch .LBB347_2417
.LBB347_2416:
	s_mov_b32 s2, -1
                                        ; implicit-def: $vgpr5
.LBB347_2417:
	s_mov_b32 s7, 0
.LBB347_2418:
	s_delay_alu instid0(SALU_CYCLE_1)
	s_and_b32 vcc_lo, exec_lo, s7
	s_cbranch_vccz .LBB347_2422
; %bb.2419:
	s_cmp_eq_u32 s0, 29
	s_cbranch_scc0 .LBB347_2421
; %bb.2420:
	global_load_b32 v5, v[0:1], off
	s_mov_b32 s2, 0
	s_mov_b32 s6, -1
	s_branch .LBB347_2422
.LBB347_2421:
	s_mov_b32 s2, -1
                                        ; implicit-def: $vgpr5
.LBB347_2422:
	s_mov_b32 s7, 0
.LBB347_2423:
	s_delay_alu instid0(SALU_CYCLE_1)
	s_and_b32 vcc_lo, exec_lo, s7
	s_cbranch_vccz .LBB347_2439
; %bb.2424:
	s_cmp_lt_i32 s0, 27
	s_cbranch_scc1 .LBB347_2427
; %bb.2425:
	s_cmp_gt_i32 s0, 27
	s_cbranch_scc0 .LBB347_2428
; %bb.2426:
	s_wait_loadcnt 0x0
	global_load_b32 v5, v[0:1], off
	s_mov_b32 s6, 0
	s_branch .LBB347_2429
.LBB347_2427:
	s_mov_b32 s6, -1
                                        ; implicit-def: $vgpr5
	s_branch .LBB347_2432
.LBB347_2428:
	s_mov_b32 s6, -1
                                        ; implicit-def: $vgpr5
.LBB347_2429:
	s_delay_alu instid0(SALU_CYCLE_1)
	s_and_not1_b32 vcc_lo, exec_lo, s6
	s_cbranch_vccnz .LBB347_2431
; %bb.2430:
	s_wait_loadcnt 0x0
	global_load_u16 v5, v[0:1], off
.LBB347_2431:
	s_mov_b32 s6, 0
.LBB347_2432:
	s_delay_alu instid0(SALU_CYCLE_1)
	s_and_not1_b32 vcc_lo, exec_lo, s6
	s_cbranch_vccnz .LBB347_2438
; %bb.2433:
	global_load_u8 v2, v[0:1], off
	s_mov_b32 s7, 0
	s_mov_b32 s6, exec_lo
	s_wait_loadcnt 0x0
	v_cmpx_lt_i16_e32 0x7f, v2
	s_xor_b32 s6, exec_lo, s6
	s_cbranch_execz .LBB347_2450
; %bb.2434:
	v_cmp_ne_u16_e32 vcc_lo, 0x80, v2
	s_and_b32 s7, vcc_lo, exec_lo
	s_and_not1_saveexec_b32 s6, s6
	s_cbranch_execnz .LBB347_2451
.LBB347_2435:
	s_or_b32 exec_lo, exec_lo, s6
	v_mov_b32_e32 v5, 0
	s_and_saveexec_b32 s6, s7
	s_cbranch_execz .LBB347_2437
.LBB347_2436:
	v_and_b32_e32 v3, 0xffff, v2
	s_delay_alu instid0(VALU_DEP_1) | instskip(SKIP_1) | instid1(VALU_DEP_2)
	v_and_b32_e32 v5, 7, v3
	v_bfe_u32 v15, v3, 3, 4
	v_clz_i32_u32_e32 v13, v5
	s_delay_alu instid0(VALU_DEP_2) | instskip(NEXT) | instid1(VALU_DEP_2)
	v_cmp_eq_u32_e32 vcc_lo, 0, v15
	v_min_u32_e32 v13, 32, v13
	s_delay_alu instid0(VALU_DEP_1) | instskip(NEXT) | instid1(VALU_DEP_1)
	v_subrev_nc_u32_e32 v14, 28, v13
	v_dual_lshlrev_b32 v3, v14, v3 :: v_dual_sub_nc_u32 v13, 29, v13
	s_delay_alu instid0(VALU_DEP_1) | instskip(NEXT) | instid1(VALU_DEP_1)
	v_dual_lshlrev_b32 v2, 24, v2 :: v_dual_bitop2_b32 v3, 7, v3 bitop3:0x40
	v_dual_cndmask_b32 v13, v15, v13, vcc_lo :: v_dual_cndmask_b32 v3, v5, v3, vcc_lo
	s_delay_alu instid0(VALU_DEP_2) | instskip(NEXT) | instid1(VALU_DEP_2)
	v_and_b32_e32 v2, 0x80000000, v2
	v_lshl_add_u32 v5, v13, 23, 0x3b800000
	s_delay_alu instid0(VALU_DEP_3) | instskip(NEXT) | instid1(VALU_DEP_1)
	v_lshlrev_b32_e32 v3, 20, v3
	v_or3_b32 v2, v2, v5, v3
	s_delay_alu instid0(VALU_DEP_1)
	v_cvt_u32_f32_e32 v5, v2
.LBB347_2437:
	s_or_b32 exec_lo, exec_lo, s6
.LBB347_2438:
	s_mov_b32 s6, -1
.LBB347_2439:
	s_mov_b32 s7, 0
.LBB347_2440:
	s_delay_alu instid0(SALU_CYCLE_1)
	s_and_b32 vcc_lo, exec_lo, s7
	s_cbranch_vccz .LBB347_2471
; %bb.2441:
	s_cmp_gt_i32 s0, 22
	s_cbranch_scc0 .LBB347_2449
; %bb.2442:
	s_cmp_lt_i32 s0, 24
	s_cbranch_scc1 .LBB347_2452
; %bb.2443:
	s_cmp_gt_i32 s0, 24
	s_cbranch_scc0 .LBB347_2453
; %bb.2444:
	global_load_u8 v2, v[0:1], off
	s_mov_b32 s6, 0
	s_mov_b32 s3, exec_lo
	s_wait_loadcnt 0x0
	v_cmpx_lt_i16_e32 0x7f, v2
	s_xor_b32 s3, exec_lo, s3
	s_cbranch_execz .LBB347_2465
; %bb.2445:
	v_cmp_ne_u16_e32 vcc_lo, 0x80, v2
	s_and_b32 s6, vcc_lo, exec_lo
	s_and_not1_saveexec_b32 s3, s3
	s_cbranch_execnz .LBB347_2466
.LBB347_2446:
	s_or_b32 exec_lo, exec_lo, s3
	v_mov_b32_e32 v5, 0
	s_and_saveexec_b32 s3, s6
	s_cbranch_execz .LBB347_2448
.LBB347_2447:
	v_and_b32_e32 v3, 0xffff, v2
	s_delay_alu instid0(VALU_DEP_1) | instskip(SKIP_1) | instid1(VALU_DEP_2)
	v_and_b32_e32 v5, 3, v3
	v_bfe_u32 v15, v3, 2, 5
	v_clz_i32_u32_e32 v13, v5
	s_delay_alu instid0(VALU_DEP_2) | instskip(NEXT) | instid1(VALU_DEP_2)
	v_cmp_eq_u32_e32 vcc_lo, 0, v15
	v_min_u32_e32 v13, 32, v13
	s_delay_alu instid0(VALU_DEP_1) | instskip(NEXT) | instid1(VALU_DEP_1)
	v_subrev_nc_u32_e32 v14, 29, v13
	v_dual_lshlrev_b32 v3, v14, v3 :: v_dual_sub_nc_u32 v13, 30, v13
	s_delay_alu instid0(VALU_DEP_1) | instskip(NEXT) | instid1(VALU_DEP_1)
	v_dual_lshlrev_b32 v2, 24, v2 :: v_dual_bitop2_b32 v3, 3, v3 bitop3:0x40
	v_dual_cndmask_b32 v13, v15, v13, vcc_lo :: v_dual_cndmask_b32 v3, v5, v3, vcc_lo
	s_delay_alu instid0(VALU_DEP_2) | instskip(NEXT) | instid1(VALU_DEP_2)
	v_and_b32_e32 v2, 0x80000000, v2
	v_lshl_add_u32 v5, v13, 23, 0x37800000
	s_delay_alu instid0(VALU_DEP_3) | instskip(NEXT) | instid1(VALU_DEP_1)
	v_lshlrev_b32_e32 v3, 21, v3
	v_or3_b32 v2, v2, v5, v3
	s_delay_alu instid0(VALU_DEP_1)
	v_cvt_u32_f32_e32 v5, v2
.LBB347_2448:
	s_or_b32 exec_lo, exec_lo, s3
	s_mov_b32 s3, 0
	s_branch .LBB347_2454
.LBB347_2449:
	s_mov_b32 s3, -1
                                        ; implicit-def: $vgpr5
	s_branch .LBB347_2460
.LBB347_2450:
	s_and_not1_saveexec_b32 s6, s6
	s_cbranch_execz .LBB347_2435
.LBB347_2451:
	v_cmp_ne_u16_e32 vcc_lo, 0, v2
	s_and_not1_b32 s7, s7, exec_lo
	s_and_b32 s9, vcc_lo, exec_lo
	s_delay_alu instid0(SALU_CYCLE_1)
	s_or_b32 s7, s7, s9
	s_or_b32 exec_lo, exec_lo, s6
	v_mov_b32_e32 v5, 0
	s_and_saveexec_b32 s6, s7
	s_cbranch_execnz .LBB347_2436
	s_branch .LBB347_2437
.LBB347_2452:
	s_mov_b32 s3, -1
                                        ; implicit-def: $vgpr5
	s_branch .LBB347_2457
.LBB347_2453:
	s_mov_b32 s3, -1
                                        ; implicit-def: $vgpr5
.LBB347_2454:
	s_delay_alu instid0(SALU_CYCLE_1)
	s_and_b32 vcc_lo, exec_lo, s3
	s_cbranch_vccz .LBB347_2456
; %bb.2455:
	global_load_u8 v2, v[0:1], off
	s_wait_loadcnt 0x0
	v_lshlrev_b32_e32 v2, 24, v2
	s_delay_alu instid0(VALU_DEP_1) | instskip(NEXT) | instid1(VALU_DEP_1)
	v_and_b32_e32 v3, 0x7f000000, v2
	v_clz_i32_u32_e32 v5, v3
	v_cmp_ne_u32_e32 vcc_lo, 0, v3
	v_add_nc_u32_e32 v14, 0x1000000, v3
	s_delay_alu instid0(VALU_DEP_3) | instskip(NEXT) | instid1(VALU_DEP_1)
	v_min_u32_e32 v5, 32, v5
	v_sub_nc_u32_e64 v5, v5, 4 clamp
	s_delay_alu instid0(VALU_DEP_1) | instskip(NEXT) | instid1(VALU_DEP_1)
	v_dual_lshlrev_b32 v13, v5, v3 :: v_dual_lshlrev_b32 v5, 23, v5
	v_lshrrev_b32_e32 v13, 4, v13
	s_delay_alu instid0(VALU_DEP_1) | instskip(NEXT) | instid1(VALU_DEP_1)
	v_dual_sub_nc_u32 v5, v13, v5 :: v_dual_ashrrev_i32 v13, 8, v14
	v_add_nc_u32_e32 v5, 0x3c000000, v5
	s_delay_alu instid0(VALU_DEP_1) | instskip(NEXT) | instid1(VALU_DEP_1)
	v_and_or_b32 v5, 0x7f800000, v13, v5
	v_cndmask_b32_e32 v3, 0, v5, vcc_lo
	s_delay_alu instid0(VALU_DEP_1) | instskip(NEXT) | instid1(VALU_DEP_1)
	v_and_or_b32 v2, 0x80000000, v2, v3
	v_cvt_u32_f32_e32 v5, v2
.LBB347_2456:
	s_mov_b32 s3, 0
.LBB347_2457:
	s_delay_alu instid0(SALU_CYCLE_1)
	s_and_not1_b32 vcc_lo, exec_lo, s3
	s_cbranch_vccnz .LBB347_2459
; %bb.2458:
	global_load_u8 v2, v[0:1], off
	s_wait_loadcnt 0x0
	v_lshlrev_b32_e32 v3, 25, v2
	v_lshlrev_b16 v2, 8, v2
	s_delay_alu instid0(VALU_DEP_1) | instskip(SKIP_1) | instid1(VALU_DEP_2)
	v_and_or_b32 v13, 0x7f00, v2, 0.5
	v_bfe_i32 v2, v2, 0, 16
	v_dual_add_f32 v13, -0.5, v13 :: v_dual_lshrrev_b32 v5, 4, v3
	v_cmp_gt_u32_e32 vcc_lo, 0x8000000, v3
	s_delay_alu instid0(VALU_DEP_2) | instskip(NEXT) | instid1(VALU_DEP_1)
	v_or_b32_e32 v5, 0x70000000, v5
	v_mul_f32_e32 v5, 0x7800000, v5
	s_delay_alu instid0(VALU_DEP_1) | instskip(NEXT) | instid1(VALU_DEP_1)
	v_cndmask_b32_e32 v3, v5, v13, vcc_lo
	v_and_or_b32 v2, 0x80000000, v2, v3
	s_delay_alu instid0(VALU_DEP_1)
	v_cvt_u32_f32_e32 v5, v2
.LBB347_2459:
	s_mov_b32 s3, 0
	s_mov_b32 s6, -1
.LBB347_2460:
	s_and_not1_b32 vcc_lo, exec_lo, s3
	s_mov_b32 s3, 0
	s_cbranch_vccnz .LBB347_2471
; %bb.2461:
	s_cmp_gt_i32 s0, 14
	s_cbranch_scc0 .LBB347_2464
; %bb.2462:
	s_cmp_eq_u32 s0, 15
	s_cbranch_scc0 .LBB347_2467
; %bb.2463:
	global_load_u16 v2, v[0:1], off
	s_mov_b32 s2, 0
	s_mov_b32 s6, -1
	s_wait_loadcnt 0x0
	v_lshlrev_b32_e32 v2, 16, v2
	s_delay_alu instid0(VALU_DEP_1)
	v_cvt_u32_f32_e32 v5, v2
	s_branch .LBB347_2469
.LBB347_2464:
	s_mov_b32 s3, -1
	s_branch .LBB347_2468
.LBB347_2465:
	s_and_not1_saveexec_b32 s3, s3
	s_cbranch_execz .LBB347_2446
.LBB347_2466:
	v_cmp_ne_u16_e32 vcc_lo, 0, v2
	s_and_not1_b32 s6, s6, exec_lo
	s_and_b32 s7, vcc_lo, exec_lo
	s_delay_alu instid0(SALU_CYCLE_1)
	s_or_b32 s6, s6, s7
	s_or_b32 exec_lo, exec_lo, s3
	v_mov_b32_e32 v5, 0
	s_and_saveexec_b32 s3, s6
	s_cbranch_execnz .LBB347_2447
	s_branch .LBB347_2448
.LBB347_2467:
	s_mov_b32 s2, -1
.LBB347_2468:
                                        ; implicit-def: $vgpr5
.LBB347_2469:
	s_and_b32 vcc_lo, exec_lo, s3
	s_mov_b32 s3, 0
	s_cbranch_vccz .LBB347_2471
; %bb.2470:
	s_cmp_lg_u32 s0, 11
	s_mov_b32 s3, -1
	s_cselect_b32 s2, -1, 0
.LBB347_2471:
	s_delay_alu instid0(SALU_CYCLE_1)
	s_and_b32 vcc_lo, exec_lo, s2
	s_cbranch_vccnz .LBB347_3003
; %bb.2472:
	s_and_not1_b32 vcc_lo, exec_lo, s3
	s_cbranch_vccnz .LBB347_2474
.LBB347_2473:
	global_load_u8 v2, v[0:1], off
	s_mov_b32 s6, -1
	s_wait_loadcnt 0x0
	v_cmp_ne_u16_e32 vcc_lo, 0, v2
	v_cndmask_b32_e64 v5, 0, 1, vcc_lo
.LBB347_2474:
	s_mov_b32 s0, 0
.LBB347_2475:
	s_delay_alu instid0(SALU_CYCLE_1)
	s_and_b32 vcc_lo, exec_lo, s0
	s_cbranch_vccz .LBB347_2524
; %bb.2476:
	s_and_b32 s0, 0xffff, s1
	s_delay_alu instid0(SALU_CYCLE_1)
	s_cmp_lt_i32 s0, 5
	s_cbranch_scc1 .LBB347_2481
; %bb.2477:
	s_cmp_lt_i32 s0, 8
	s_cbranch_scc1 .LBB347_2482
; %bb.2478:
	;; [unrolled: 3-line block ×3, first 2 shown]
	s_cmp_gt_i32 s0, 9
	s_cbranch_scc0 .LBB347_2484
; %bb.2480:
	global_load_b64 v[2:3], v[0:1], off
	s_mov_b32 s1, 0
	s_wait_loadcnt 0x0
	v_cvt_u32_f64_e32 v5, v[2:3]
	s_branch .LBB347_2485
.LBB347_2481:
	s_mov_b32 s1, -1
                                        ; implicit-def: $vgpr5
	s_branch .LBB347_2503
.LBB347_2482:
	s_mov_b32 s1, -1
                                        ; implicit-def: $vgpr5
	s_branch .LBB347_2491
.LBB347_2483:
	s_mov_b32 s1, -1
                                        ; implicit-def: $vgpr5
	s_branch .LBB347_2488
.LBB347_2484:
	s_mov_b32 s1, -1
                                        ; implicit-def: $vgpr5
.LBB347_2485:
	s_delay_alu instid0(SALU_CYCLE_1)
	s_and_not1_b32 vcc_lo, exec_lo, s1
	s_cbranch_vccnz .LBB347_2487
; %bb.2486:
	global_load_b32 v2, v[0:1], off
	s_wait_loadcnt 0x0
	v_cvt_u32_f32_e32 v5, v2
.LBB347_2487:
	s_mov_b32 s1, 0
.LBB347_2488:
	s_delay_alu instid0(SALU_CYCLE_1)
	s_and_not1_b32 vcc_lo, exec_lo, s1
	s_cbranch_vccnz .LBB347_2490
; %bb.2489:
	global_load_b32 v2, v[0:1], off
	s_wait_loadcnt 0x0
	v_cvt_f32_f16_e32 v2, v2
	s_delay_alu instid0(VALU_DEP_1)
	v_cvt_u32_f32_e32 v5, v2
.LBB347_2490:
	s_mov_b32 s1, 0
.LBB347_2491:
	s_delay_alu instid0(SALU_CYCLE_1)
	s_and_not1_b32 vcc_lo, exec_lo, s1
	s_cbranch_vccnz .LBB347_2502
; %bb.2492:
	s_cmp_lt_i32 s0, 6
	s_cbranch_scc1 .LBB347_2495
; %bb.2493:
	s_cmp_gt_i32 s0, 6
	s_cbranch_scc0 .LBB347_2496
; %bb.2494:
	global_load_b64 v[2:3], v[0:1], off
	s_mov_b32 s1, 0
	s_wait_loadcnt 0x0
	v_cvt_u32_f64_e32 v5, v[2:3]
	s_branch .LBB347_2497
.LBB347_2495:
	s_mov_b32 s1, -1
                                        ; implicit-def: $vgpr5
	s_branch .LBB347_2500
.LBB347_2496:
	s_mov_b32 s1, -1
                                        ; implicit-def: $vgpr5
.LBB347_2497:
	s_delay_alu instid0(SALU_CYCLE_1)
	s_and_not1_b32 vcc_lo, exec_lo, s1
	s_cbranch_vccnz .LBB347_2499
; %bb.2498:
	global_load_b32 v2, v[0:1], off
	s_wait_loadcnt 0x0
	v_cvt_u32_f32_e32 v5, v2
.LBB347_2499:
	s_mov_b32 s1, 0
.LBB347_2500:
	s_delay_alu instid0(SALU_CYCLE_1)
	s_and_not1_b32 vcc_lo, exec_lo, s1
	s_cbranch_vccnz .LBB347_2502
; %bb.2501:
	global_load_u16 v2, v[0:1], off
	s_wait_loadcnt 0x0
	v_cvt_f32_f16_e32 v2, v2
	s_delay_alu instid0(VALU_DEP_1)
	v_cvt_u32_f32_e32 v5, v2
.LBB347_2502:
	s_mov_b32 s1, 0
.LBB347_2503:
	s_delay_alu instid0(SALU_CYCLE_1)
	s_and_not1_b32 vcc_lo, exec_lo, s1
	s_cbranch_vccnz .LBB347_2523
; %bb.2504:
	s_cmp_lt_i32 s0, 2
	s_cbranch_scc1 .LBB347_2508
; %bb.2505:
	s_cmp_lt_i32 s0, 3
	s_cbranch_scc1 .LBB347_2509
; %bb.2506:
	s_cmp_gt_i32 s0, 3
	s_cbranch_scc0 .LBB347_2510
; %bb.2507:
	s_wait_loadcnt 0x0
	global_load_b32 v5, v[0:1], off
	s_mov_b32 s1, 0
	s_branch .LBB347_2511
.LBB347_2508:
	s_mov_b32 s1, -1
                                        ; implicit-def: $vgpr5
	s_branch .LBB347_2517
.LBB347_2509:
	s_mov_b32 s1, -1
                                        ; implicit-def: $vgpr5
	s_branch .LBB347_2514
.LBB347_2510:
	s_mov_b32 s1, -1
                                        ; implicit-def: $vgpr5
.LBB347_2511:
	s_delay_alu instid0(SALU_CYCLE_1)
	s_and_not1_b32 vcc_lo, exec_lo, s1
	s_cbranch_vccnz .LBB347_2513
; %bb.2512:
	s_wait_loadcnt 0x0
	global_load_b32 v5, v[0:1], off
.LBB347_2513:
	s_mov_b32 s1, 0
.LBB347_2514:
	s_delay_alu instid0(SALU_CYCLE_1)
	s_and_not1_b32 vcc_lo, exec_lo, s1
	s_cbranch_vccnz .LBB347_2516
; %bb.2515:
	s_wait_loadcnt 0x0
	global_load_i16 v5, v[0:1], off
.LBB347_2516:
	s_mov_b32 s1, 0
.LBB347_2517:
	s_delay_alu instid0(SALU_CYCLE_1)
	s_and_not1_b32 vcc_lo, exec_lo, s1
	s_cbranch_vccnz .LBB347_2523
; %bb.2518:
	s_cmp_gt_i32 s0, 0
	s_mov_b32 s0, 0
	s_cbranch_scc0 .LBB347_2520
; %bb.2519:
	s_wait_loadcnt 0x0
	global_load_i8 v5, v[0:1], off
	s_branch .LBB347_2521
.LBB347_2520:
	s_mov_b32 s0, -1
                                        ; implicit-def: $vgpr5
.LBB347_2521:
	s_delay_alu instid0(SALU_CYCLE_1)
	s_and_not1_b32 vcc_lo, exec_lo, s0
	s_cbranch_vccnz .LBB347_2523
; %bb.2522:
	s_wait_loadcnt 0x0
	global_load_u8 v5, v[0:1], off
.LBB347_2523:
	s_mov_b32 s6, -1
.LBB347_2524:
	s_delay_alu instid0(SALU_CYCLE_1)
	s_and_not1_b32 vcc_lo, exec_lo, s6
	s_cbranch_vccnz .LBB347_2957
; %bb.2525:
	s_wait_xcnt 0x0
	v_mul_lo_u32 v0, s8, v6
	s_wait_loadcnt 0x0
	v_cmp_ne_u32_e32 vcc_lo, v7, v9
	s_cmp_eq_u32 s11, 0
	s_mov_b32 s7, 0
	s_cselect_b32 s1, -1, 0
	s_and_b32 s17, s12, 0xff
	s_xor_b32 s2, s1, vcc_lo
	s_cmp_lt_i32 s17, 11
	s_mov_b32 s0, -1
	s_delay_alu instid0(VALU_DEP_2) | instskip(NEXT) | instid1(VALU_DEP_1)
	v_ashrrev_i32_e32 v1, 31, v0
	v_add_nc_u64_e32 v[2:3], s[4:5], v[0:1]
	s_cbranch_scc1 .LBB347_2604
; %bb.2526:
	s_and_b32 s3, 0xffff, s17
	s_mov_b32 s9, -1
	s_mov_b32 s6, 0
	s_cmp_gt_i32 s3, 25
	s_mov_b32 s0, 0
	s_cbranch_scc0 .LBB347_2559
; %bb.2527:
	s_cmp_gt_i32 s3, 28
	s_cbranch_scc0 .LBB347_2542
; %bb.2528:
	s_cmp_gt_i32 s3, 43
	;; [unrolled: 3-line block ×3, first 2 shown]
	s_cbranch_scc0 .LBB347_2532
; %bb.2530:
	s_mov_b32 s0, -1
	s_mov_b32 s9, 0
	s_cmp_eq_u32 s3, 46
	s_cbranch_scc0 .LBB347_2532
; %bb.2531:
	v_cndmask_b32_e64 v1, 0, 1.0, s2
	s_mov_b32 s0, 0
	s_mov_b32 s7, -1
	s_delay_alu instid0(VALU_DEP_1) | instskip(NEXT) | instid1(VALU_DEP_1)
	v_bfe_u32 v6, v1, 16, 1
	v_add3_u32 v1, v1, v6, 0x7fff
	s_delay_alu instid0(VALU_DEP_1)
	v_lshrrev_b32_e32 v1, 16, v1
	global_store_b32 v[2:3], v1, off
.LBB347_2532:
	s_and_b32 vcc_lo, exec_lo, s9
	s_cbranch_vccz .LBB347_2537
; %bb.2533:
	s_cmp_eq_u32 s3, 44
	s_mov_b32 s0, -1
	s_cbranch_scc0 .LBB347_2537
; %bb.2534:
	v_cndmask_b32_e64 v7, 0, 1.0, s2
	s_mov_b32 s7, exec_lo
	s_wait_xcnt 0x0
	s_delay_alu instid0(VALU_DEP_1) | instskip(NEXT) | instid1(VALU_DEP_1)
	v_dual_mov_b32 v6, 0xff :: v_dual_lshrrev_b32 v1, 23, v7
	v_cmpx_ne_u32_e32 0xff, v1
; %bb.2535:
	v_and_b32_e32 v6, 0x400000, v7
	v_and_or_b32 v7, 0x3fffff, v7, v1
	s_delay_alu instid0(VALU_DEP_2) | instskip(NEXT) | instid1(VALU_DEP_2)
	v_cmp_ne_u32_e32 vcc_lo, 0, v6
	v_cmp_ne_u32_e64 s0, 0, v7
	s_and_b32 s0, vcc_lo, s0
	s_delay_alu instid0(SALU_CYCLE_1) | instskip(NEXT) | instid1(VALU_DEP_1)
	v_cndmask_b32_e64 v6, 0, 1, s0
	v_add_nc_u32_e32 v6, v1, v6
; %bb.2536:
	s_or_b32 exec_lo, exec_lo, s7
	s_mov_b32 s0, 0
	s_mov_b32 s7, -1
	global_store_b8 v[2:3], v6, off
.LBB347_2537:
	s_mov_b32 s9, 0
.LBB347_2538:
	s_delay_alu instid0(SALU_CYCLE_1)
	s_and_b32 vcc_lo, exec_lo, s9
	s_cbranch_vccz .LBB347_2541
; %bb.2539:
	s_cmp_eq_u32 s3, 29
	s_mov_b32 s0, -1
	s_cbranch_scc0 .LBB347_2541
; %bb.2540:
	s_mov_b32 s0, 0
	s_wait_xcnt 0x0
	v_cndmask_b32_e64 v6, 0, 1, s2
	v_mov_b32_e32 v7, s0
	s_mov_b32 s7, -1
	global_store_b64 v[2:3], v[6:7], off
.LBB347_2541:
	s_mov_b32 s9, 0
.LBB347_2542:
	s_delay_alu instid0(SALU_CYCLE_1)
	s_and_b32 vcc_lo, exec_lo, s9
	s_cbranch_vccz .LBB347_2558
; %bb.2543:
	s_cmp_lt_i32 s3, 27
	s_mov_b32 s7, -1
	s_cbranch_scc1 .LBB347_2549
; %bb.2544:
	s_cmp_gt_i32 s3, 27
	s_cbranch_scc0 .LBB347_2546
; %bb.2545:
	s_wait_xcnt 0x0
	v_cndmask_b32_e64 v1, 0, 1, s2
	s_mov_b32 s7, 0
	global_store_b32 v[2:3], v1, off
.LBB347_2546:
	s_and_not1_b32 vcc_lo, exec_lo, s7
	s_cbranch_vccnz .LBB347_2548
; %bb.2547:
	s_wait_xcnt 0x0
	v_cndmask_b32_e64 v1, 0, 1, s2
	global_store_b16 v[2:3], v1, off
.LBB347_2548:
	s_mov_b32 s7, 0
.LBB347_2549:
	s_delay_alu instid0(SALU_CYCLE_1)
	s_and_not1_b32 vcc_lo, exec_lo, s7
	s_cbranch_vccnz .LBB347_2557
; %bb.2550:
	s_wait_xcnt 0x0
	v_cndmask_b32_e64 v6, 0, 1.0, s2
	v_mov_b32_e32 v7, 0x80
	s_mov_b32 s7, exec_lo
	s_delay_alu instid0(VALU_DEP_2)
	v_cmpx_gt_u32_e32 0x43800000, v6
	s_cbranch_execz .LBB347_2556
; %bb.2551:
	s_mov_b32 s9, 0
	s_mov_b32 s10, exec_lo
                                        ; implicit-def: $vgpr1
	v_cmpx_lt_u32_e32 0x3bffffff, v6
	s_xor_b32 s10, exec_lo, s10
	s_cbranch_execz .LBB347_3004
; %bb.2552:
	v_bfe_u32 v1, v6, 20, 1
	s_mov_b32 s9, exec_lo
	s_delay_alu instid0(VALU_DEP_1) | instskip(NEXT) | instid1(VALU_DEP_1)
	v_add3_u32 v1, v6, v1, 0x487ffff
                                        ; implicit-def: $vgpr6
	v_lshrrev_b32_e32 v1, 20, v1
	s_and_not1_saveexec_b32 s10, s10
	s_cbranch_execnz .LBB347_3005
.LBB347_2553:
	s_or_b32 exec_lo, exec_lo, s10
	v_mov_b32_e32 v7, 0
	s_and_saveexec_b32 s10, s9
.LBB347_2554:
	v_mov_b32_e32 v7, v1
.LBB347_2555:
	s_or_b32 exec_lo, exec_lo, s10
.LBB347_2556:
	s_delay_alu instid0(SALU_CYCLE_1)
	s_or_b32 exec_lo, exec_lo, s7
	global_store_b8 v[2:3], v7, off
.LBB347_2557:
	s_mov_b32 s7, -1
.LBB347_2558:
	s_mov_b32 s9, 0
.LBB347_2559:
	s_delay_alu instid0(SALU_CYCLE_1)
	s_and_b32 vcc_lo, exec_lo, s9
	s_cbranch_vccz .LBB347_2599
; %bb.2560:
	s_cmp_gt_i32 s3, 22
	s_mov_b32 s6, -1
	s_cbranch_scc0 .LBB347_2592
; %bb.2561:
	s_cmp_lt_i32 s3, 24
	s_cbranch_scc1 .LBB347_2581
; %bb.2562:
	s_cmp_gt_i32 s3, 24
	s_cbranch_scc0 .LBB347_2570
; %bb.2563:
	s_wait_xcnt 0x0
	v_cndmask_b32_e64 v6, 0, 1.0, s2
	v_mov_b32_e32 v7, 0x80
	s_mov_b32 s6, exec_lo
	s_delay_alu instid0(VALU_DEP_2)
	v_cmpx_gt_u32_e32 0x47800000, v6
	s_cbranch_execz .LBB347_2569
; %bb.2564:
	s_mov_b32 s7, 0
	s_mov_b32 s9, exec_lo
                                        ; implicit-def: $vgpr1
	v_cmpx_lt_u32_e32 0x37ffffff, v6
	s_xor_b32 s9, exec_lo, s9
	s_cbranch_execz .LBB347_3007
; %bb.2565:
	v_bfe_u32 v1, v6, 21, 1
	s_mov_b32 s7, exec_lo
	s_delay_alu instid0(VALU_DEP_1) | instskip(NEXT) | instid1(VALU_DEP_1)
	v_add3_u32 v1, v6, v1, 0x88fffff
                                        ; implicit-def: $vgpr6
	v_lshrrev_b32_e32 v1, 21, v1
	s_and_not1_saveexec_b32 s9, s9
	s_cbranch_execnz .LBB347_3008
.LBB347_2566:
	s_or_b32 exec_lo, exec_lo, s9
	v_mov_b32_e32 v7, 0
	s_and_saveexec_b32 s9, s7
.LBB347_2567:
	v_mov_b32_e32 v7, v1
.LBB347_2568:
	s_or_b32 exec_lo, exec_lo, s9
.LBB347_2569:
	s_delay_alu instid0(SALU_CYCLE_1)
	s_or_b32 exec_lo, exec_lo, s6
	s_mov_b32 s6, 0
	global_store_b8 v[2:3], v7, off
.LBB347_2570:
	s_and_b32 vcc_lo, exec_lo, s6
	s_cbranch_vccz .LBB347_2580
; %bb.2571:
	s_wait_xcnt 0x0
	v_cndmask_b32_e64 v6, 0, 1.0, s2
	s_mov_b32 s6, exec_lo
                                        ; implicit-def: $vgpr1
	s_delay_alu instid0(VALU_DEP_1)
	v_cmpx_gt_u32_e32 0x43f00000, v6
	s_xor_b32 s6, exec_lo, s6
	s_cbranch_execz .LBB347_2577
; %bb.2572:
	s_mov_b32 s7, exec_lo
                                        ; implicit-def: $vgpr1
	v_cmpx_lt_u32_e32 0x3c7fffff, v6
	s_xor_b32 s7, exec_lo, s7
; %bb.2573:
	v_bfe_u32 v1, v6, 20, 1
	s_delay_alu instid0(VALU_DEP_1) | instskip(NEXT) | instid1(VALU_DEP_1)
	v_add3_u32 v1, v6, v1, 0x407ffff
	v_and_b32_e32 v6, 0xff00000, v1
	v_lshrrev_b32_e32 v1, 20, v1
	s_delay_alu instid0(VALU_DEP_2) | instskip(NEXT) | instid1(VALU_DEP_2)
	v_cmp_ne_u32_e32 vcc_lo, 0x7f00000, v6
                                        ; implicit-def: $vgpr6
	v_cndmask_b32_e32 v1, 0x7e, v1, vcc_lo
; %bb.2574:
	s_and_not1_saveexec_b32 s7, s7
; %bb.2575:
	v_add_f32_e32 v1, 0x46800000, v6
; %bb.2576:
	s_or_b32 exec_lo, exec_lo, s7
                                        ; implicit-def: $vgpr6
.LBB347_2577:
	s_and_not1_saveexec_b32 s6, s6
; %bb.2578:
	v_mov_b32_e32 v1, 0x7f
	v_cmp_lt_u32_e32 vcc_lo, 0x7f800000, v6
	s_delay_alu instid0(VALU_DEP_2)
	v_cndmask_b32_e32 v1, 0x7e, v1, vcc_lo
; %bb.2579:
	s_or_b32 exec_lo, exec_lo, s6
	global_store_b8 v[2:3], v1, off
.LBB347_2580:
	s_mov_b32 s6, 0
.LBB347_2581:
	s_delay_alu instid0(SALU_CYCLE_1)
	s_and_not1_b32 vcc_lo, exec_lo, s6
	s_cbranch_vccnz .LBB347_2591
; %bb.2582:
	s_wait_xcnt 0x0
	v_cndmask_b32_e64 v6, 0, 1.0, s2
	s_mov_b32 s6, exec_lo
                                        ; implicit-def: $vgpr1
	s_delay_alu instid0(VALU_DEP_1)
	v_cmpx_gt_u32_e32 0x47800000, v6
	s_xor_b32 s6, exec_lo, s6
	s_cbranch_execz .LBB347_2588
; %bb.2583:
	s_mov_b32 s7, exec_lo
                                        ; implicit-def: $vgpr1
	v_cmpx_lt_u32_e32 0x387fffff, v6
	s_xor_b32 s7, exec_lo, s7
; %bb.2584:
	v_bfe_u32 v1, v6, 21, 1
	s_delay_alu instid0(VALU_DEP_1) | instskip(NEXT) | instid1(VALU_DEP_1)
	v_add3_u32 v1, v6, v1, 0x80fffff
                                        ; implicit-def: $vgpr6
	v_lshrrev_b32_e32 v1, 21, v1
; %bb.2585:
	s_and_not1_saveexec_b32 s7, s7
; %bb.2586:
	v_add_f32_e32 v1, 0x43000000, v6
; %bb.2587:
	s_or_b32 exec_lo, exec_lo, s7
                                        ; implicit-def: $vgpr6
.LBB347_2588:
	s_and_not1_saveexec_b32 s6, s6
; %bb.2589:
	v_mov_b32_e32 v1, 0x7f
	v_cmp_lt_u32_e32 vcc_lo, 0x7f800000, v6
	s_delay_alu instid0(VALU_DEP_2)
	v_cndmask_b32_e32 v1, 0x7c, v1, vcc_lo
; %bb.2590:
	s_or_b32 exec_lo, exec_lo, s6
	global_store_b8 v[2:3], v1, off
.LBB347_2591:
	s_mov_b32 s6, 0
	s_mov_b32 s7, -1
.LBB347_2592:
	s_and_not1_b32 vcc_lo, exec_lo, s6
	s_mov_b32 s6, 0
	s_cbranch_vccnz .LBB347_2599
; %bb.2593:
	s_cmp_gt_i32 s3, 14
	s_mov_b32 s6, -1
	s_cbranch_scc0 .LBB347_2597
; %bb.2594:
	s_cmp_eq_u32 s3, 15
	s_mov_b32 s0, -1
	s_cbranch_scc0 .LBB347_2596
; %bb.2595:
	s_wait_xcnt 0x0
	v_cndmask_b32_e64 v1, 0, 1.0, s2
	s_mov_b32 s0, 0
	s_mov_b32 s7, -1
	s_delay_alu instid0(VALU_DEP_1) | instskip(NEXT) | instid1(VALU_DEP_1)
	v_bfe_u32 v6, v1, 16, 1
	v_add3_u32 v1, v1, v6, 0x7fff
	global_store_d16_hi_b16 v[2:3], v1, off
.LBB347_2596:
	s_mov_b32 s6, 0
.LBB347_2597:
	s_delay_alu instid0(SALU_CYCLE_1)
	s_and_b32 vcc_lo, exec_lo, s6
	s_mov_b32 s6, 0
	s_cbranch_vccz .LBB347_2599
; %bb.2598:
	s_cmp_lg_u32 s3, 11
	s_mov_b32 s6, -1
	s_cselect_b32 s0, -1, 0
.LBB347_2599:
	s_delay_alu instid0(SALU_CYCLE_1)
	s_and_b32 vcc_lo, exec_lo, s0
	s_cbranch_vccnz .LBB347_3006
; %bb.2600:
	s_and_not1_b32 vcc_lo, exec_lo, s6
	s_cbranch_vccnz .LBB347_2602
.LBB347_2601:
	s_wait_xcnt 0x0
	v_cndmask_b32_e64 v1, 0, 1, s2
	s_mov_b32 s7, -1
	global_store_b8 v[2:3], v1, off
.LBB347_2602:
.LBB347_2603:
	s_and_not1_b32 vcc_lo, exec_lo, s7
	s_cbranch_vccnz .LBB347_2957
	s_branch .LBB347_2643
.LBB347_2604:
	s_and_b32 vcc_lo, exec_lo, s0
	s_cbranch_vccz .LBB347_2603
; %bb.2605:
	s_and_b32 s0, 0xffff, s17
	s_mov_b32 s3, -1
	s_cmp_lt_i32 s0, 5
	s_cbranch_scc1 .LBB347_2626
; %bb.2606:
	s_cmp_lt_i32 s0, 8
	s_cbranch_scc1 .LBB347_2616
; %bb.2607:
	;; [unrolled: 3-line block ×3, first 2 shown]
	s_cmp_gt_i32 s0, 9
	s_cbranch_scc0 .LBB347_2610
; %bb.2609:
	s_wait_xcnt 0x0
	v_cndmask_b32_e64 v1, 0, 1, s2
	v_mov_b32_e32 v16, 0
	s_mov_b32 s3, 0
	s_delay_alu instid0(VALU_DEP_2) | instskip(NEXT) | instid1(VALU_DEP_2)
	v_cvt_f64_u32_e32 v[14:15], v1
	v_mov_b32_e32 v17, v16
	global_store_b128 v[2:3], v[14:17], off
.LBB347_2610:
	s_and_not1_b32 vcc_lo, exec_lo, s3
	s_cbranch_vccnz .LBB347_2612
; %bb.2611:
	s_wait_xcnt 0x0
	v_cndmask_b32_e64 v6, 0, 1.0, s2
	v_mov_b32_e32 v7, 0
	global_store_b64 v[2:3], v[6:7], off
.LBB347_2612:
	s_mov_b32 s3, 0
.LBB347_2613:
	s_delay_alu instid0(SALU_CYCLE_1)
	s_and_not1_b32 vcc_lo, exec_lo, s3
	s_cbranch_vccnz .LBB347_2615
; %bb.2614:
	s_wait_xcnt 0x0
	v_cndmask_b32_e64 v1, 0, 1.0, s2
	s_delay_alu instid0(VALU_DEP_1) | instskip(NEXT) | instid1(VALU_DEP_1)
	v_cvt_f16_f32_e32 v1, v1
	v_and_b32_e32 v1, 0xffff, v1
	global_store_b32 v[2:3], v1, off
.LBB347_2615:
	s_mov_b32 s3, 0
.LBB347_2616:
	s_delay_alu instid0(SALU_CYCLE_1)
	s_and_not1_b32 vcc_lo, exec_lo, s3
	s_cbranch_vccnz .LBB347_2625
; %bb.2617:
	s_cmp_lt_i32 s0, 6
	s_mov_b32 s3, -1
	s_cbranch_scc1 .LBB347_2623
; %bb.2618:
	s_cmp_gt_i32 s0, 6
	s_cbranch_scc0 .LBB347_2620
; %bb.2619:
	s_wait_xcnt 0x0
	v_cndmask_b32_e64 v1, 0, 1, s2
	s_mov_b32 s3, 0
	s_delay_alu instid0(VALU_DEP_1)
	v_cvt_f64_u32_e32 v[6:7], v1
	global_store_b64 v[2:3], v[6:7], off
.LBB347_2620:
	s_and_not1_b32 vcc_lo, exec_lo, s3
	s_cbranch_vccnz .LBB347_2622
; %bb.2621:
	s_wait_xcnt 0x0
	v_cndmask_b32_e64 v1, 0, 1.0, s2
	global_store_b32 v[2:3], v1, off
.LBB347_2622:
	s_mov_b32 s3, 0
.LBB347_2623:
	s_delay_alu instid0(SALU_CYCLE_1)
	s_and_not1_b32 vcc_lo, exec_lo, s3
	s_cbranch_vccnz .LBB347_2625
; %bb.2624:
	s_wait_xcnt 0x0
	v_cndmask_b32_e64 v1, 0, 1.0, s2
	s_delay_alu instid0(VALU_DEP_1)
	v_cvt_f16_f32_e32 v1, v1
	global_store_b16 v[2:3], v1, off
.LBB347_2625:
	s_mov_b32 s3, 0
.LBB347_2626:
	s_delay_alu instid0(SALU_CYCLE_1)
	s_and_not1_b32 vcc_lo, exec_lo, s3
	s_cbranch_vccnz .LBB347_2642
; %bb.2627:
	s_cmp_lt_i32 s0, 2
	s_mov_b32 s3, -1
	s_cbranch_scc1 .LBB347_2637
; %bb.2628:
	s_cmp_lt_i32 s0, 3
	s_cbranch_scc1 .LBB347_2634
; %bb.2629:
	s_cmp_gt_i32 s0, 3
	s_cbranch_scc0 .LBB347_2631
; %bb.2630:
	s_mov_b32 s3, 0
	s_wait_xcnt 0x0
	v_cndmask_b32_e64 v6, 0, 1, s2
	v_mov_b32_e32 v7, s3
	global_store_b64 v[2:3], v[6:7], off
.LBB347_2631:
	s_and_not1_b32 vcc_lo, exec_lo, s3
	s_cbranch_vccnz .LBB347_2633
; %bb.2632:
	s_wait_xcnt 0x0
	v_cndmask_b32_e64 v1, 0, 1, s2
	global_store_b32 v[2:3], v1, off
.LBB347_2633:
	s_mov_b32 s3, 0
.LBB347_2634:
	s_delay_alu instid0(SALU_CYCLE_1)
	s_and_not1_b32 vcc_lo, exec_lo, s3
	s_cbranch_vccnz .LBB347_2636
; %bb.2635:
	s_wait_xcnt 0x0
	v_cndmask_b32_e64 v1, 0, 1, s2
	global_store_b16 v[2:3], v1, off
.LBB347_2636:
	s_mov_b32 s3, 0
.LBB347_2637:
	s_delay_alu instid0(SALU_CYCLE_1)
	s_and_not1_b32 vcc_lo, exec_lo, s3
	s_cbranch_vccnz .LBB347_2642
; %bb.2638:
	s_wait_xcnt 0x0
	v_cndmask_b32_e64 v1, 0, 1, s2
	s_cmp_gt_i32 s0, 0
	s_mov_b32 s0, -1
	s_cbranch_scc0 .LBB347_2640
; %bb.2639:
	s_mov_b32 s0, 0
	global_store_b8 v[2:3], v1, off
.LBB347_2640:
	s_and_not1_b32 vcc_lo, exec_lo, s0
	s_cbranch_vccnz .LBB347_2642
; %bb.2641:
	global_store_b8 v[2:3], v1, off
.LBB347_2642:
.LBB347_2643:
	s_lshl_b32 s2, s8, 7
	v_cmp_ne_u32_e32 vcc_lo, v8, v11
	v_add_nc_u32_e32 v0, s2, v0
	s_xor_b32 s3, s1, vcc_lo
	s_wait_xcnt 0x0
	s_delay_alu instid0(VALU_DEP_1) | instskip(SKIP_1) | instid1(VALU_DEP_1)
	v_ashrrev_i32_e32 v1, 31, v0
	s_cmp_lt_i32 s17, 11
	v_add_nc_u64_e32 v[2:3], s[4:5], v[0:1]
	s_cbranch_scc1 .LBB347_2721
; %bb.2644:
	s_and_b32 s6, 0xffff, s17
	s_mov_b32 s9, -1
	s_mov_b32 s7, 0
	s_cmp_gt_i32 s6, 25
	s_mov_b32 s8, 0
	s_mov_b32 s0, 0
	s_cbranch_scc0 .LBB347_2677
; %bb.2645:
	s_cmp_gt_i32 s6, 28
	s_cbranch_scc0 .LBB347_2660
; %bb.2646:
	s_cmp_gt_i32 s6, 43
	;; [unrolled: 3-line block ×3, first 2 shown]
	s_cbranch_scc0 .LBB347_2650
; %bb.2648:
	s_mov_b32 s0, -1
	s_mov_b32 s9, 0
	s_cmp_eq_u32 s6, 46
	s_cbranch_scc0 .LBB347_2650
; %bb.2649:
	v_cndmask_b32_e64 v1, 0, 1.0, s3
	s_mov_b32 s0, 0
	s_mov_b32 s8, -1
	s_delay_alu instid0(VALU_DEP_1) | instskip(NEXT) | instid1(VALU_DEP_1)
	v_bfe_u32 v6, v1, 16, 1
	v_add3_u32 v1, v1, v6, 0x7fff
	s_delay_alu instid0(VALU_DEP_1)
	v_lshrrev_b32_e32 v1, 16, v1
	global_store_b32 v[2:3], v1, off
.LBB347_2650:
	s_and_b32 vcc_lo, exec_lo, s9
	s_cbranch_vccz .LBB347_2655
; %bb.2651:
	s_cmp_eq_u32 s6, 44
	s_mov_b32 s0, -1
	s_cbranch_scc0 .LBB347_2655
; %bb.2652:
	v_cndmask_b32_e64 v7, 0, 1.0, s3
	s_mov_b32 s8, exec_lo
	s_wait_xcnt 0x0
	s_delay_alu instid0(VALU_DEP_1) | instskip(NEXT) | instid1(VALU_DEP_1)
	v_dual_mov_b32 v6, 0xff :: v_dual_lshrrev_b32 v1, 23, v7
	v_cmpx_ne_u32_e32 0xff, v1
; %bb.2653:
	v_and_b32_e32 v6, 0x400000, v7
	v_and_or_b32 v7, 0x3fffff, v7, v1
	s_delay_alu instid0(VALU_DEP_2) | instskip(NEXT) | instid1(VALU_DEP_2)
	v_cmp_ne_u32_e32 vcc_lo, 0, v6
	v_cmp_ne_u32_e64 s0, 0, v7
	s_and_b32 s0, vcc_lo, s0
	s_delay_alu instid0(SALU_CYCLE_1) | instskip(NEXT) | instid1(VALU_DEP_1)
	v_cndmask_b32_e64 v6, 0, 1, s0
	v_add_nc_u32_e32 v6, v1, v6
; %bb.2654:
	s_or_b32 exec_lo, exec_lo, s8
	s_mov_b32 s0, 0
	s_mov_b32 s8, -1
	global_store_b8 v[2:3], v6, off
.LBB347_2655:
	s_mov_b32 s9, 0
.LBB347_2656:
	s_delay_alu instid0(SALU_CYCLE_1)
	s_and_b32 vcc_lo, exec_lo, s9
	s_cbranch_vccz .LBB347_2659
; %bb.2657:
	s_cmp_eq_u32 s6, 29
	s_mov_b32 s0, -1
	s_cbranch_scc0 .LBB347_2659
; %bb.2658:
	s_mov_b32 s0, 0
	s_wait_xcnt 0x0
	v_cndmask_b32_e64 v6, 0, 1, s3
	v_mov_b32_e32 v7, s0
	s_mov_b32 s8, -1
	global_store_b64 v[2:3], v[6:7], off
.LBB347_2659:
	s_mov_b32 s9, 0
.LBB347_2660:
	s_delay_alu instid0(SALU_CYCLE_1)
	s_and_b32 vcc_lo, exec_lo, s9
	s_cbranch_vccz .LBB347_2676
; %bb.2661:
	s_cmp_lt_i32 s6, 27
	s_mov_b32 s8, -1
	s_cbranch_scc1 .LBB347_2667
; %bb.2662:
	s_cmp_gt_i32 s6, 27
	s_cbranch_scc0 .LBB347_2664
; %bb.2663:
	s_wait_xcnt 0x0
	v_cndmask_b32_e64 v1, 0, 1, s3
	s_mov_b32 s8, 0
	global_store_b32 v[2:3], v1, off
.LBB347_2664:
	s_and_not1_b32 vcc_lo, exec_lo, s8
	s_cbranch_vccnz .LBB347_2666
; %bb.2665:
	s_wait_xcnt 0x0
	v_cndmask_b32_e64 v1, 0, 1, s3
	global_store_b16 v[2:3], v1, off
.LBB347_2666:
	s_mov_b32 s8, 0
.LBB347_2667:
	s_delay_alu instid0(SALU_CYCLE_1)
	s_and_not1_b32 vcc_lo, exec_lo, s8
	s_cbranch_vccnz .LBB347_2675
; %bb.2668:
	s_wait_xcnt 0x0
	v_cndmask_b32_e64 v6, 0, 1.0, s3
	v_mov_b32_e32 v7, 0x80
	s_mov_b32 s8, exec_lo
	s_delay_alu instid0(VALU_DEP_2)
	v_cmpx_gt_u32_e32 0x43800000, v6
	s_cbranch_execz .LBB347_2674
; %bb.2669:
	s_mov_b32 s9, 0
	s_mov_b32 s10, exec_lo
                                        ; implicit-def: $vgpr1
	v_cmpx_lt_u32_e32 0x3bffffff, v6
	s_xor_b32 s10, exec_lo, s10
	s_cbranch_execz .LBB347_3009
; %bb.2670:
	v_bfe_u32 v1, v6, 20, 1
	s_mov_b32 s9, exec_lo
	s_delay_alu instid0(VALU_DEP_1) | instskip(NEXT) | instid1(VALU_DEP_1)
	v_add3_u32 v1, v6, v1, 0x487ffff
                                        ; implicit-def: $vgpr6
	v_lshrrev_b32_e32 v1, 20, v1
	s_and_not1_saveexec_b32 s10, s10
	s_cbranch_execnz .LBB347_3010
.LBB347_2671:
	s_or_b32 exec_lo, exec_lo, s10
	v_mov_b32_e32 v7, 0
	s_and_saveexec_b32 s10, s9
.LBB347_2672:
	v_mov_b32_e32 v7, v1
.LBB347_2673:
	s_or_b32 exec_lo, exec_lo, s10
.LBB347_2674:
	s_delay_alu instid0(SALU_CYCLE_1)
	s_or_b32 exec_lo, exec_lo, s8
	global_store_b8 v[2:3], v7, off
.LBB347_2675:
	s_mov_b32 s8, -1
.LBB347_2676:
	s_mov_b32 s9, 0
.LBB347_2677:
	s_delay_alu instid0(SALU_CYCLE_1)
	s_and_b32 vcc_lo, exec_lo, s9
	s_cbranch_vccz .LBB347_2717
; %bb.2678:
	s_cmp_gt_i32 s6, 22
	s_mov_b32 s7, -1
	s_cbranch_scc0 .LBB347_2710
; %bb.2679:
	s_cmp_lt_i32 s6, 24
	s_cbranch_scc1 .LBB347_2699
; %bb.2680:
	s_cmp_gt_i32 s6, 24
	s_cbranch_scc0 .LBB347_2688
; %bb.2681:
	s_wait_xcnt 0x0
	v_cndmask_b32_e64 v6, 0, 1.0, s3
	v_mov_b32_e32 v7, 0x80
	s_mov_b32 s7, exec_lo
	s_delay_alu instid0(VALU_DEP_2)
	v_cmpx_gt_u32_e32 0x47800000, v6
	s_cbranch_execz .LBB347_2687
; %bb.2682:
	s_mov_b32 s8, 0
	s_mov_b32 s9, exec_lo
                                        ; implicit-def: $vgpr1
	v_cmpx_lt_u32_e32 0x37ffffff, v6
	s_xor_b32 s9, exec_lo, s9
	s_cbranch_execz .LBB347_3012
; %bb.2683:
	v_bfe_u32 v1, v6, 21, 1
	s_mov_b32 s8, exec_lo
	s_delay_alu instid0(VALU_DEP_1) | instskip(NEXT) | instid1(VALU_DEP_1)
	v_add3_u32 v1, v6, v1, 0x88fffff
                                        ; implicit-def: $vgpr6
	v_lshrrev_b32_e32 v1, 21, v1
	s_and_not1_saveexec_b32 s9, s9
	s_cbranch_execnz .LBB347_3013
.LBB347_2684:
	s_or_b32 exec_lo, exec_lo, s9
	v_mov_b32_e32 v7, 0
	s_and_saveexec_b32 s9, s8
.LBB347_2685:
	v_mov_b32_e32 v7, v1
.LBB347_2686:
	s_or_b32 exec_lo, exec_lo, s9
.LBB347_2687:
	s_delay_alu instid0(SALU_CYCLE_1)
	s_or_b32 exec_lo, exec_lo, s7
	s_mov_b32 s7, 0
	global_store_b8 v[2:3], v7, off
.LBB347_2688:
	s_and_b32 vcc_lo, exec_lo, s7
	s_cbranch_vccz .LBB347_2698
; %bb.2689:
	s_wait_xcnt 0x0
	v_cndmask_b32_e64 v6, 0, 1.0, s3
	s_mov_b32 s7, exec_lo
                                        ; implicit-def: $vgpr1
	s_delay_alu instid0(VALU_DEP_1)
	v_cmpx_gt_u32_e32 0x43f00000, v6
	s_xor_b32 s7, exec_lo, s7
	s_cbranch_execz .LBB347_2695
; %bb.2690:
	s_mov_b32 s8, exec_lo
                                        ; implicit-def: $vgpr1
	v_cmpx_lt_u32_e32 0x3c7fffff, v6
	s_xor_b32 s8, exec_lo, s8
; %bb.2691:
	v_bfe_u32 v1, v6, 20, 1
	s_delay_alu instid0(VALU_DEP_1) | instskip(NEXT) | instid1(VALU_DEP_1)
	v_add3_u32 v1, v6, v1, 0x407ffff
	v_and_b32_e32 v6, 0xff00000, v1
	v_lshrrev_b32_e32 v1, 20, v1
	s_delay_alu instid0(VALU_DEP_2) | instskip(NEXT) | instid1(VALU_DEP_2)
	v_cmp_ne_u32_e32 vcc_lo, 0x7f00000, v6
                                        ; implicit-def: $vgpr6
	v_cndmask_b32_e32 v1, 0x7e, v1, vcc_lo
; %bb.2692:
	s_and_not1_saveexec_b32 s8, s8
; %bb.2693:
	v_add_f32_e32 v1, 0x46800000, v6
; %bb.2694:
	s_or_b32 exec_lo, exec_lo, s8
                                        ; implicit-def: $vgpr6
.LBB347_2695:
	s_and_not1_saveexec_b32 s7, s7
; %bb.2696:
	v_mov_b32_e32 v1, 0x7f
	v_cmp_lt_u32_e32 vcc_lo, 0x7f800000, v6
	s_delay_alu instid0(VALU_DEP_2)
	v_cndmask_b32_e32 v1, 0x7e, v1, vcc_lo
; %bb.2697:
	s_or_b32 exec_lo, exec_lo, s7
	global_store_b8 v[2:3], v1, off
.LBB347_2698:
	s_mov_b32 s7, 0
.LBB347_2699:
	s_delay_alu instid0(SALU_CYCLE_1)
	s_and_not1_b32 vcc_lo, exec_lo, s7
	s_cbranch_vccnz .LBB347_2709
; %bb.2700:
	s_wait_xcnt 0x0
	v_cndmask_b32_e64 v6, 0, 1.0, s3
	s_mov_b32 s7, exec_lo
                                        ; implicit-def: $vgpr1
	s_delay_alu instid0(VALU_DEP_1)
	v_cmpx_gt_u32_e32 0x47800000, v6
	s_xor_b32 s7, exec_lo, s7
	s_cbranch_execz .LBB347_2706
; %bb.2701:
	s_mov_b32 s8, exec_lo
                                        ; implicit-def: $vgpr1
	v_cmpx_lt_u32_e32 0x387fffff, v6
	s_xor_b32 s8, exec_lo, s8
; %bb.2702:
	v_bfe_u32 v1, v6, 21, 1
	s_delay_alu instid0(VALU_DEP_1) | instskip(NEXT) | instid1(VALU_DEP_1)
	v_add3_u32 v1, v6, v1, 0x80fffff
                                        ; implicit-def: $vgpr6
	v_lshrrev_b32_e32 v1, 21, v1
; %bb.2703:
	s_and_not1_saveexec_b32 s8, s8
; %bb.2704:
	v_add_f32_e32 v1, 0x43000000, v6
; %bb.2705:
	s_or_b32 exec_lo, exec_lo, s8
                                        ; implicit-def: $vgpr6
.LBB347_2706:
	s_and_not1_saveexec_b32 s7, s7
; %bb.2707:
	v_mov_b32_e32 v1, 0x7f
	v_cmp_lt_u32_e32 vcc_lo, 0x7f800000, v6
	s_delay_alu instid0(VALU_DEP_2)
	v_cndmask_b32_e32 v1, 0x7c, v1, vcc_lo
; %bb.2708:
	s_or_b32 exec_lo, exec_lo, s7
	global_store_b8 v[2:3], v1, off
.LBB347_2709:
	s_mov_b32 s7, 0
	s_mov_b32 s8, -1
.LBB347_2710:
	s_and_not1_b32 vcc_lo, exec_lo, s7
	s_mov_b32 s7, 0
	s_cbranch_vccnz .LBB347_2717
; %bb.2711:
	s_cmp_gt_i32 s6, 14
	s_mov_b32 s7, -1
	s_cbranch_scc0 .LBB347_2715
; %bb.2712:
	s_cmp_eq_u32 s6, 15
	s_mov_b32 s0, -1
	s_cbranch_scc0 .LBB347_2714
; %bb.2713:
	s_wait_xcnt 0x0
	v_cndmask_b32_e64 v1, 0, 1.0, s3
	s_mov_b32 s0, 0
	s_mov_b32 s8, -1
	s_delay_alu instid0(VALU_DEP_1) | instskip(NEXT) | instid1(VALU_DEP_1)
	v_bfe_u32 v6, v1, 16, 1
	v_add3_u32 v1, v1, v6, 0x7fff
	global_store_d16_hi_b16 v[2:3], v1, off
.LBB347_2714:
	s_mov_b32 s7, 0
.LBB347_2715:
	s_delay_alu instid0(SALU_CYCLE_1)
	s_and_b32 vcc_lo, exec_lo, s7
	s_mov_b32 s7, 0
	s_cbranch_vccz .LBB347_2717
; %bb.2716:
	s_cmp_lg_u32 s6, 11
	s_mov_b32 s7, -1
	s_cselect_b32 s0, -1, 0
.LBB347_2717:
	s_delay_alu instid0(SALU_CYCLE_1)
	s_and_b32 vcc_lo, exec_lo, s0
	s_cbranch_vccnz .LBB347_3011
; %bb.2718:
	s_and_not1_b32 vcc_lo, exec_lo, s7
	s_cbranch_vccnz .LBB347_2720
.LBB347_2719:
	s_wait_xcnt 0x0
	v_cndmask_b32_e64 v1, 0, 1, s3
	s_mov_b32 s8, -1
	global_store_b8 v[2:3], v1, off
.LBB347_2720:
	s_mov_b32 s0, 0
	s_branch .LBB347_2722
.LBB347_2721:
	s_mov_b32 s0, -1
	s_mov_b32 s8, 0
.LBB347_2722:
	s_and_b32 vcc_lo, exec_lo, s0
	s_cbranch_vccz .LBB347_2761
; %bb.2723:
	s_and_b32 s0, 0xffff, s17
	s_mov_b32 s6, -1
	s_cmp_lt_i32 s0, 5
	s_cbranch_scc1 .LBB347_2744
; %bb.2724:
	s_cmp_lt_i32 s0, 8
	s_cbranch_scc1 .LBB347_2734
; %bb.2725:
	;; [unrolled: 3-line block ×3, first 2 shown]
	s_cmp_gt_i32 s0, 9
	s_cbranch_scc0 .LBB347_2728
; %bb.2727:
	s_wait_xcnt 0x0
	v_cndmask_b32_e64 v1, 0, 1, s3
	v_mov_b32_e32 v8, 0
	s_mov_b32 s6, 0
	s_delay_alu instid0(VALU_DEP_2) | instskip(NEXT) | instid1(VALU_DEP_2)
	v_cvt_f64_u32_e32 v[6:7], v1
	v_mov_b32_e32 v9, v8
	global_store_b128 v[2:3], v[6:9], off
.LBB347_2728:
	s_and_not1_b32 vcc_lo, exec_lo, s6
	s_cbranch_vccnz .LBB347_2730
; %bb.2729:
	s_wait_xcnt 0x0
	v_cndmask_b32_e64 v6, 0, 1.0, s3
	v_mov_b32_e32 v7, 0
	global_store_b64 v[2:3], v[6:7], off
.LBB347_2730:
	s_mov_b32 s6, 0
.LBB347_2731:
	s_delay_alu instid0(SALU_CYCLE_1)
	s_and_not1_b32 vcc_lo, exec_lo, s6
	s_cbranch_vccnz .LBB347_2733
; %bb.2732:
	s_wait_xcnt 0x0
	v_cndmask_b32_e64 v1, 0, 1.0, s3
	s_delay_alu instid0(VALU_DEP_1) | instskip(NEXT) | instid1(VALU_DEP_1)
	v_cvt_f16_f32_e32 v1, v1
	v_and_b32_e32 v1, 0xffff, v1
	global_store_b32 v[2:3], v1, off
.LBB347_2733:
	s_mov_b32 s6, 0
.LBB347_2734:
	s_delay_alu instid0(SALU_CYCLE_1)
	s_and_not1_b32 vcc_lo, exec_lo, s6
	s_cbranch_vccnz .LBB347_2743
; %bb.2735:
	s_cmp_lt_i32 s0, 6
	s_mov_b32 s6, -1
	s_cbranch_scc1 .LBB347_2741
; %bb.2736:
	s_cmp_gt_i32 s0, 6
	s_cbranch_scc0 .LBB347_2738
; %bb.2737:
	s_wait_xcnt 0x0
	v_cndmask_b32_e64 v1, 0, 1, s3
	s_mov_b32 s6, 0
	s_delay_alu instid0(VALU_DEP_1)
	v_cvt_f64_u32_e32 v[6:7], v1
	global_store_b64 v[2:3], v[6:7], off
.LBB347_2738:
	s_and_not1_b32 vcc_lo, exec_lo, s6
	s_cbranch_vccnz .LBB347_2740
; %bb.2739:
	s_wait_xcnt 0x0
	v_cndmask_b32_e64 v1, 0, 1.0, s3
	global_store_b32 v[2:3], v1, off
.LBB347_2740:
	s_mov_b32 s6, 0
.LBB347_2741:
	s_delay_alu instid0(SALU_CYCLE_1)
	s_and_not1_b32 vcc_lo, exec_lo, s6
	s_cbranch_vccnz .LBB347_2743
; %bb.2742:
	s_wait_xcnt 0x0
	v_cndmask_b32_e64 v1, 0, 1.0, s3
	s_delay_alu instid0(VALU_DEP_1)
	v_cvt_f16_f32_e32 v1, v1
	global_store_b16 v[2:3], v1, off
.LBB347_2743:
	s_mov_b32 s6, 0
.LBB347_2744:
	s_delay_alu instid0(SALU_CYCLE_1)
	s_and_not1_b32 vcc_lo, exec_lo, s6
	s_cbranch_vccnz .LBB347_2760
; %bb.2745:
	s_cmp_lt_i32 s0, 2
	s_mov_b32 s6, -1
	s_cbranch_scc1 .LBB347_2755
; %bb.2746:
	s_cmp_lt_i32 s0, 3
	s_cbranch_scc1 .LBB347_2752
; %bb.2747:
	s_cmp_gt_i32 s0, 3
	s_cbranch_scc0 .LBB347_2749
; %bb.2748:
	s_mov_b32 s6, 0
	s_wait_xcnt 0x0
	v_cndmask_b32_e64 v6, 0, 1, s3
	v_mov_b32_e32 v7, s6
	global_store_b64 v[2:3], v[6:7], off
.LBB347_2749:
	s_and_not1_b32 vcc_lo, exec_lo, s6
	s_cbranch_vccnz .LBB347_2751
; %bb.2750:
	s_wait_xcnt 0x0
	v_cndmask_b32_e64 v1, 0, 1, s3
	global_store_b32 v[2:3], v1, off
.LBB347_2751:
	s_mov_b32 s6, 0
.LBB347_2752:
	s_delay_alu instid0(SALU_CYCLE_1)
	s_and_not1_b32 vcc_lo, exec_lo, s6
	s_cbranch_vccnz .LBB347_2754
; %bb.2753:
	s_wait_xcnt 0x0
	v_cndmask_b32_e64 v1, 0, 1, s3
	global_store_b16 v[2:3], v1, off
.LBB347_2754:
	s_mov_b32 s6, 0
.LBB347_2755:
	s_delay_alu instid0(SALU_CYCLE_1)
	s_and_not1_b32 vcc_lo, exec_lo, s6
	s_cbranch_vccnz .LBB347_2760
; %bb.2756:
	s_wait_xcnt 0x0
	v_cndmask_b32_e64 v1, 0, 1, s3
	s_cmp_gt_i32 s0, 0
	s_mov_b32 s0, -1
	s_cbranch_scc0 .LBB347_2758
; %bb.2757:
	s_mov_b32 s0, 0
	global_store_b8 v[2:3], v1, off
.LBB347_2758:
	s_and_not1_b32 vcc_lo, exec_lo, s0
	s_cbranch_vccnz .LBB347_2760
; %bb.2759:
	global_store_b8 v[2:3], v1, off
.LBB347_2760:
	s_mov_b32 s8, -1
.LBB347_2761:
	s_delay_alu instid0(SALU_CYCLE_1)
	s_and_not1_b32 vcc_lo, exec_lo, s8
	s_cbranch_vccnz .LBB347_2957
; %bb.2762:
	v_add_nc_u32_e32 v0, s2, v0
	v_cmp_ne_u32_e32 vcc_lo, v10, v12
	s_wait_xcnt 0x0
	s_delay_alu instid0(VALU_DEP_2) | instskip(SKIP_2) | instid1(VALU_DEP_1)
	v_ashrrev_i32_e32 v1, 31, v0
	s_xor_b32 s3, s1, vcc_lo
	s_cmp_lt_i32 s17, 11
	v_add_nc_u64_e32 v[2:3], s[4:5], v[0:1]
	s_cbranch_scc1 .LBB347_2840
; %bb.2763:
	s_and_b32 s6, 0xffff, s17
	s_mov_b32 s9, -1
	s_mov_b32 s7, 0
	s_cmp_gt_i32 s6, 25
	s_mov_b32 s8, 0
	s_mov_b32 s0, 0
	s_cbranch_scc0 .LBB347_2796
; %bb.2764:
	s_cmp_gt_i32 s6, 28
	s_cbranch_scc0 .LBB347_2779
; %bb.2765:
	s_cmp_gt_i32 s6, 43
	;; [unrolled: 3-line block ×3, first 2 shown]
	s_cbranch_scc0 .LBB347_2769
; %bb.2767:
	s_mov_b32 s0, -1
	s_mov_b32 s9, 0
	s_cmp_eq_u32 s6, 46
	s_cbranch_scc0 .LBB347_2769
; %bb.2768:
	v_cndmask_b32_e64 v1, 0, 1.0, s3
	s_mov_b32 s0, 0
	s_mov_b32 s8, -1
	s_delay_alu instid0(VALU_DEP_1) | instskip(NEXT) | instid1(VALU_DEP_1)
	v_bfe_u32 v6, v1, 16, 1
	v_add3_u32 v1, v1, v6, 0x7fff
	s_delay_alu instid0(VALU_DEP_1)
	v_lshrrev_b32_e32 v1, 16, v1
	global_store_b32 v[2:3], v1, off
.LBB347_2769:
	s_and_b32 vcc_lo, exec_lo, s9
	s_cbranch_vccz .LBB347_2774
; %bb.2770:
	s_cmp_eq_u32 s6, 44
	s_mov_b32 s0, -1
	s_cbranch_scc0 .LBB347_2774
; %bb.2771:
	v_cndmask_b32_e64 v7, 0, 1.0, s3
	s_mov_b32 s8, exec_lo
	s_wait_xcnt 0x0
	s_delay_alu instid0(VALU_DEP_1) | instskip(NEXT) | instid1(VALU_DEP_1)
	v_dual_mov_b32 v6, 0xff :: v_dual_lshrrev_b32 v1, 23, v7
	v_cmpx_ne_u32_e32 0xff, v1
; %bb.2772:
	v_and_b32_e32 v6, 0x400000, v7
	v_and_or_b32 v7, 0x3fffff, v7, v1
	s_delay_alu instid0(VALU_DEP_2) | instskip(NEXT) | instid1(VALU_DEP_2)
	v_cmp_ne_u32_e32 vcc_lo, 0, v6
	v_cmp_ne_u32_e64 s0, 0, v7
	s_and_b32 s0, vcc_lo, s0
	s_delay_alu instid0(SALU_CYCLE_1) | instskip(NEXT) | instid1(VALU_DEP_1)
	v_cndmask_b32_e64 v6, 0, 1, s0
	v_add_nc_u32_e32 v6, v1, v6
; %bb.2773:
	s_or_b32 exec_lo, exec_lo, s8
	s_mov_b32 s0, 0
	s_mov_b32 s8, -1
	global_store_b8 v[2:3], v6, off
.LBB347_2774:
	s_mov_b32 s9, 0
.LBB347_2775:
	s_delay_alu instid0(SALU_CYCLE_1)
	s_and_b32 vcc_lo, exec_lo, s9
	s_cbranch_vccz .LBB347_2778
; %bb.2776:
	s_cmp_eq_u32 s6, 29
	s_mov_b32 s0, -1
	s_cbranch_scc0 .LBB347_2778
; %bb.2777:
	s_mov_b32 s0, 0
	s_wait_xcnt 0x0
	v_cndmask_b32_e64 v6, 0, 1, s3
	v_mov_b32_e32 v7, s0
	s_mov_b32 s8, -1
	global_store_b64 v[2:3], v[6:7], off
.LBB347_2778:
	s_mov_b32 s9, 0
.LBB347_2779:
	s_delay_alu instid0(SALU_CYCLE_1)
	s_and_b32 vcc_lo, exec_lo, s9
	s_cbranch_vccz .LBB347_2795
; %bb.2780:
	s_cmp_lt_i32 s6, 27
	s_mov_b32 s8, -1
	s_cbranch_scc1 .LBB347_2786
; %bb.2781:
	s_cmp_gt_i32 s6, 27
	s_cbranch_scc0 .LBB347_2783
; %bb.2782:
	s_wait_xcnt 0x0
	v_cndmask_b32_e64 v1, 0, 1, s3
	s_mov_b32 s8, 0
	global_store_b32 v[2:3], v1, off
.LBB347_2783:
	s_and_not1_b32 vcc_lo, exec_lo, s8
	s_cbranch_vccnz .LBB347_2785
; %bb.2784:
	s_wait_xcnt 0x0
	v_cndmask_b32_e64 v1, 0, 1, s3
	global_store_b16 v[2:3], v1, off
.LBB347_2785:
	s_mov_b32 s8, 0
.LBB347_2786:
	s_delay_alu instid0(SALU_CYCLE_1)
	s_and_not1_b32 vcc_lo, exec_lo, s8
	s_cbranch_vccnz .LBB347_2794
; %bb.2787:
	s_wait_xcnt 0x0
	v_cndmask_b32_e64 v6, 0, 1.0, s3
	v_mov_b32_e32 v7, 0x80
	s_mov_b32 s8, exec_lo
	s_delay_alu instid0(VALU_DEP_2)
	v_cmpx_gt_u32_e32 0x43800000, v6
	s_cbranch_execz .LBB347_2793
; %bb.2788:
	s_mov_b32 s9, 0
	s_mov_b32 s10, exec_lo
                                        ; implicit-def: $vgpr1
	v_cmpx_lt_u32_e32 0x3bffffff, v6
	s_xor_b32 s10, exec_lo, s10
	s_cbranch_execz .LBB347_3014
; %bb.2789:
	v_bfe_u32 v1, v6, 20, 1
	s_mov_b32 s9, exec_lo
	s_delay_alu instid0(VALU_DEP_1) | instskip(NEXT) | instid1(VALU_DEP_1)
	v_add3_u32 v1, v6, v1, 0x487ffff
                                        ; implicit-def: $vgpr6
	v_lshrrev_b32_e32 v1, 20, v1
	s_and_not1_saveexec_b32 s10, s10
	s_cbranch_execnz .LBB347_3015
.LBB347_2790:
	s_or_b32 exec_lo, exec_lo, s10
	v_mov_b32_e32 v7, 0
	s_and_saveexec_b32 s10, s9
.LBB347_2791:
	v_mov_b32_e32 v7, v1
.LBB347_2792:
	s_or_b32 exec_lo, exec_lo, s10
.LBB347_2793:
	s_delay_alu instid0(SALU_CYCLE_1)
	s_or_b32 exec_lo, exec_lo, s8
	global_store_b8 v[2:3], v7, off
.LBB347_2794:
	s_mov_b32 s8, -1
.LBB347_2795:
	s_mov_b32 s9, 0
.LBB347_2796:
	s_delay_alu instid0(SALU_CYCLE_1)
	s_and_b32 vcc_lo, exec_lo, s9
	s_cbranch_vccz .LBB347_2836
; %bb.2797:
	s_cmp_gt_i32 s6, 22
	s_mov_b32 s7, -1
	s_cbranch_scc0 .LBB347_2829
; %bb.2798:
	s_cmp_lt_i32 s6, 24
	s_cbranch_scc1 .LBB347_2818
; %bb.2799:
	s_cmp_gt_i32 s6, 24
	s_cbranch_scc0 .LBB347_2807
; %bb.2800:
	s_wait_xcnt 0x0
	v_cndmask_b32_e64 v6, 0, 1.0, s3
	v_mov_b32_e32 v7, 0x80
	s_mov_b32 s7, exec_lo
	s_delay_alu instid0(VALU_DEP_2)
	v_cmpx_gt_u32_e32 0x47800000, v6
	s_cbranch_execz .LBB347_2806
; %bb.2801:
	s_mov_b32 s8, 0
	s_mov_b32 s9, exec_lo
                                        ; implicit-def: $vgpr1
	v_cmpx_lt_u32_e32 0x37ffffff, v6
	s_xor_b32 s9, exec_lo, s9
	s_cbranch_execz .LBB347_3017
; %bb.2802:
	v_bfe_u32 v1, v6, 21, 1
	s_mov_b32 s8, exec_lo
	s_delay_alu instid0(VALU_DEP_1) | instskip(NEXT) | instid1(VALU_DEP_1)
	v_add3_u32 v1, v6, v1, 0x88fffff
                                        ; implicit-def: $vgpr6
	v_lshrrev_b32_e32 v1, 21, v1
	s_and_not1_saveexec_b32 s9, s9
	s_cbranch_execnz .LBB347_3018
.LBB347_2803:
	s_or_b32 exec_lo, exec_lo, s9
	v_mov_b32_e32 v7, 0
	s_and_saveexec_b32 s9, s8
.LBB347_2804:
	v_mov_b32_e32 v7, v1
.LBB347_2805:
	s_or_b32 exec_lo, exec_lo, s9
.LBB347_2806:
	s_delay_alu instid0(SALU_CYCLE_1)
	s_or_b32 exec_lo, exec_lo, s7
	s_mov_b32 s7, 0
	global_store_b8 v[2:3], v7, off
.LBB347_2807:
	s_and_b32 vcc_lo, exec_lo, s7
	s_cbranch_vccz .LBB347_2817
; %bb.2808:
	s_wait_xcnt 0x0
	v_cndmask_b32_e64 v6, 0, 1.0, s3
	s_mov_b32 s7, exec_lo
                                        ; implicit-def: $vgpr1
	s_delay_alu instid0(VALU_DEP_1)
	v_cmpx_gt_u32_e32 0x43f00000, v6
	s_xor_b32 s7, exec_lo, s7
	s_cbranch_execz .LBB347_2814
; %bb.2809:
	s_mov_b32 s8, exec_lo
                                        ; implicit-def: $vgpr1
	v_cmpx_lt_u32_e32 0x3c7fffff, v6
	s_xor_b32 s8, exec_lo, s8
; %bb.2810:
	v_bfe_u32 v1, v6, 20, 1
	s_delay_alu instid0(VALU_DEP_1) | instskip(NEXT) | instid1(VALU_DEP_1)
	v_add3_u32 v1, v6, v1, 0x407ffff
	v_and_b32_e32 v6, 0xff00000, v1
	v_lshrrev_b32_e32 v1, 20, v1
	s_delay_alu instid0(VALU_DEP_2) | instskip(NEXT) | instid1(VALU_DEP_2)
	v_cmp_ne_u32_e32 vcc_lo, 0x7f00000, v6
                                        ; implicit-def: $vgpr6
	v_cndmask_b32_e32 v1, 0x7e, v1, vcc_lo
; %bb.2811:
	s_and_not1_saveexec_b32 s8, s8
; %bb.2812:
	v_add_f32_e32 v1, 0x46800000, v6
; %bb.2813:
	s_or_b32 exec_lo, exec_lo, s8
                                        ; implicit-def: $vgpr6
.LBB347_2814:
	s_and_not1_saveexec_b32 s7, s7
; %bb.2815:
	v_mov_b32_e32 v1, 0x7f
	v_cmp_lt_u32_e32 vcc_lo, 0x7f800000, v6
	s_delay_alu instid0(VALU_DEP_2)
	v_cndmask_b32_e32 v1, 0x7e, v1, vcc_lo
; %bb.2816:
	s_or_b32 exec_lo, exec_lo, s7
	global_store_b8 v[2:3], v1, off
.LBB347_2817:
	s_mov_b32 s7, 0
.LBB347_2818:
	s_delay_alu instid0(SALU_CYCLE_1)
	s_and_not1_b32 vcc_lo, exec_lo, s7
	s_cbranch_vccnz .LBB347_2828
; %bb.2819:
	s_wait_xcnt 0x0
	v_cndmask_b32_e64 v6, 0, 1.0, s3
	s_mov_b32 s7, exec_lo
                                        ; implicit-def: $vgpr1
	s_delay_alu instid0(VALU_DEP_1)
	v_cmpx_gt_u32_e32 0x47800000, v6
	s_xor_b32 s7, exec_lo, s7
	s_cbranch_execz .LBB347_2825
; %bb.2820:
	s_mov_b32 s8, exec_lo
                                        ; implicit-def: $vgpr1
	v_cmpx_lt_u32_e32 0x387fffff, v6
	s_xor_b32 s8, exec_lo, s8
; %bb.2821:
	v_bfe_u32 v1, v6, 21, 1
	s_delay_alu instid0(VALU_DEP_1) | instskip(NEXT) | instid1(VALU_DEP_1)
	v_add3_u32 v1, v6, v1, 0x80fffff
                                        ; implicit-def: $vgpr6
	v_lshrrev_b32_e32 v1, 21, v1
; %bb.2822:
	s_and_not1_saveexec_b32 s8, s8
; %bb.2823:
	v_add_f32_e32 v1, 0x43000000, v6
; %bb.2824:
	s_or_b32 exec_lo, exec_lo, s8
                                        ; implicit-def: $vgpr6
.LBB347_2825:
	s_and_not1_saveexec_b32 s7, s7
; %bb.2826:
	v_mov_b32_e32 v1, 0x7f
	v_cmp_lt_u32_e32 vcc_lo, 0x7f800000, v6
	s_delay_alu instid0(VALU_DEP_2)
	v_cndmask_b32_e32 v1, 0x7c, v1, vcc_lo
; %bb.2827:
	s_or_b32 exec_lo, exec_lo, s7
	global_store_b8 v[2:3], v1, off
.LBB347_2828:
	s_mov_b32 s7, 0
	s_mov_b32 s8, -1
.LBB347_2829:
	s_and_not1_b32 vcc_lo, exec_lo, s7
	s_mov_b32 s7, 0
	s_cbranch_vccnz .LBB347_2836
; %bb.2830:
	s_cmp_gt_i32 s6, 14
	s_mov_b32 s7, -1
	s_cbranch_scc0 .LBB347_2834
; %bb.2831:
	s_cmp_eq_u32 s6, 15
	s_mov_b32 s0, -1
	s_cbranch_scc0 .LBB347_2833
; %bb.2832:
	s_wait_xcnt 0x0
	v_cndmask_b32_e64 v1, 0, 1.0, s3
	s_mov_b32 s0, 0
	s_mov_b32 s8, -1
	s_delay_alu instid0(VALU_DEP_1) | instskip(NEXT) | instid1(VALU_DEP_1)
	v_bfe_u32 v6, v1, 16, 1
	v_add3_u32 v1, v1, v6, 0x7fff
	global_store_d16_hi_b16 v[2:3], v1, off
.LBB347_2833:
	s_mov_b32 s7, 0
.LBB347_2834:
	s_delay_alu instid0(SALU_CYCLE_1)
	s_and_b32 vcc_lo, exec_lo, s7
	s_mov_b32 s7, 0
	s_cbranch_vccz .LBB347_2836
; %bb.2835:
	s_cmp_lg_u32 s6, 11
	s_mov_b32 s7, -1
	s_cselect_b32 s0, -1, 0
.LBB347_2836:
	s_delay_alu instid0(SALU_CYCLE_1)
	s_and_b32 vcc_lo, exec_lo, s0
	s_cbranch_vccnz .LBB347_3016
; %bb.2837:
	s_and_not1_b32 vcc_lo, exec_lo, s7
	s_cbranch_vccnz .LBB347_2839
.LBB347_2838:
	s_wait_xcnt 0x0
	v_cndmask_b32_e64 v1, 0, 1, s3
	s_mov_b32 s8, -1
	global_store_b8 v[2:3], v1, off
.LBB347_2839:
	s_mov_b32 s0, 0
	s_branch .LBB347_2841
.LBB347_2840:
	s_mov_b32 s0, -1
	s_mov_b32 s8, 0
.LBB347_2841:
	s_and_b32 vcc_lo, exec_lo, s0
	s_cbranch_vccz .LBB347_2880
; %bb.2842:
	s_and_b32 s0, 0xffff, s17
	s_mov_b32 s6, -1
	s_cmp_lt_i32 s0, 5
	s_cbranch_scc1 .LBB347_2863
; %bb.2843:
	s_cmp_lt_i32 s0, 8
	s_cbranch_scc1 .LBB347_2853
; %bb.2844:
	s_cmp_lt_i32 s0, 9
	s_cbranch_scc1 .LBB347_2850
; %bb.2845:
	s_cmp_gt_i32 s0, 9
	s_cbranch_scc0 .LBB347_2847
; %bb.2846:
	s_wait_xcnt 0x0
	v_cndmask_b32_e64 v1, 0, 1, s3
	v_mov_b32_e32 v8, 0
	s_mov_b32 s6, 0
	s_delay_alu instid0(VALU_DEP_2) | instskip(NEXT) | instid1(VALU_DEP_2)
	v_cvt_f64_u32_e32 v[6:7], v1
	v_mov_b32_e32 v9, v8
	global_store_b128 v[2:3], v[6:9], off
.LBB347_2847:
	s_and_not1_b32 vcc_lo, exec_lo, s6
	s_cbranch_vccnz .LBB347_2849
; %bb.2848:
	s_wait_xcnt 0x0
	v_cndmask_b32_e64 v6, 0, 1.0, s3
	v_mov_b32_e32 v7, 0
	global_store_b64 v[2:3], v[6:7], off
.LBB347_2849:
	s_mov_b32 s6, 0
.LBB347_2850:
	s_delay_alu instid0(SALU_CYCLE_1)
	s_and_not1_b32 vcc_lo, exec_lo, s6
	s_cbranch_vccnz .LBB347_2852
; %bb.2851:
	s_wait_xcnt 0x0
	v_cndmask_b32_e64 v1, 0, 1.0, s3
	s_delay_alu instid0(VALU_DEP_1) | instskip(NEXT) | instid1(VALU_DEP_1)
	v_cvt_f16_f32_e32 v1, v1
	v_and_b32_e32 v1, 0xffff, v1
	global_store_b32 v[2:3], v1, off
.LBB347_2852:
	s_mov_b32 s6, 0
.LBB347_2853:
	s_delay_alu instid0(SALU_CYCLE_1)
	s_and_not1_b32 vcc_lo, exec_lo, s6
	s_cbranch_vccnz .LBB347_2862
; %bb.2854:
	s_cmp_lt_i32 s0, 6
	s_mov_b32 s6, -1
	s_cbranch_scc1 .LBB347_2860
; %bb.2855:
	s_cmp_gt_i32 s0, 6
	s_cbranch_scc0 .LBB347_2857
; %bb.2856:
	s_wait_xcnt 0x0
	v_cndmask_b32_e64 v1, 0, 1, s3
	s_mov_b32 s6, 0
	s_delay_alu instid0(VALU_DEP_1)
	v_cvt_f64_u32_e32 v[6:7], v1
	global_store_b64 v[2:3], v[6:7], off
.LBB347_2857:
	s_and_not1_b32 vcc_lo, exec_lo, s6
	s_cbranch_vccnz .LBB347_2859
; %bb.2858:
	s_wait_xcnt 0x0
	v_cndmask_b32_e64 v1, 0, 1.0, s3
	global_store_b32 v[2:3], v1, off
.LBB347_2859:
	s_mov_b32 s6, 0
.LBB347_2860:
	s_delay_alu instid0(SALU_CYCLE_1)
	s_and_not1_b32 vcc_lo, exec_lo, s6
	s_cbranch_vccnz .LBB347_2862
; %bb.2861:
	s_wait_xcnt 0x0
	v_cndmask_b32_e64 v1, 0, 1.0, s3
	s_delay_alu instid0(VALU_DEP_1)
	v_cvt_f16_f32_e32 v1, v1
	global_store_b16 v[2:3], v1, off
.LBB347_2862:
	s_mov_b32 s6, 0
.LBB347_2863:
	s_delay_alu instid0(SALU_CYCLE_1)
	s_and_not1_b32 vcc_lo, exec_lo, s6
	s_cbranch_vccnz .LBB347_2879
; %bb.2864:
	s_cmp_lt_i32 s0, 2
	s_mov_b32 s6, -1
	s_cbranch_scc1 .LBB347_2874
; %bb.2865:
	s_cmp_lt_i32 s0, 3
	s_cbranch_scc1 .LBB347_2871
; %bb.2866:
	s_cmp_gt_i32 s0, 3
	s_cbranch_scc0 .LBB347_2868
; %bb.2867:
	s_mov_b32 s6, 0
	s_wait_xcnt 0x0
	v_cndmask_b32_e64 v6, 0, 1, s3
	v_mov_b32_e32 v7, s6
	global_store_b64 v[2:3], v[6:7], off
.LBB347_2868:
	s_and_not1_b32 vcc_lo, exec_lo, s6
	s_cbranch_vccnz .LBB347_2870
; %bb.2869:
	s_wait_xcnt 0x0
	v_cndmask_b32_e64 v1, 0, 1, s3
	global_store_b32 v[2:3], v1, off
.LBB347_2870:
	s_mov_b32 s6, 0
.LBB347_2871:
	s_delay_alu instid0(SALU_CYCLE_1)
	s_and_not1_b32 vcc_lo, exec_lo, s6
	s_cbranch_vccnz .LBB347_2873
; %bb.2872:
	s_wait_xcnt 0x0
	v_cndmask_b32_e64 v1, 0, 1, s3
	global_store_b16 v[2:3], v1, off
.LBB347_2873:
	s_mov_b32 s6, 0
.LBB347_2874:
	s_delay_alu instid0(SALU_CYCLE_1)
	s_and_not1_b32 vcc_lo, exec_lo, s6
	s_cbranch_vccnz .LBB347_2879
; %bb.2875:
	s_wait_xcnt 0x0
	v_cndmask_b32_e64 v1, 0, 1, s3
	s_cmp_gt_i32 s0, 0
	s_mov_b32 s0, -1
	s_cbranch_scc0 .LBB347_2877
; %bb.2876:
	s_mov_b32 s0, 0
	global_store_b8 v[2:3], v1, off
.LBB347_2877:
	s_and_not1_b32 vcc_lo, exec_lo, s0
	s_cbranch_vccnz .LBB347_2879
; %bb.2878:
	global_store_b8 v[2:3], v1, off
.LBB347_2879:
	s_mov_b32 s8, -1
.LBB347_2880:
	s_delay_alu instid0(SALU_CYCLE_1)
	s_and_not1_b32 vcc_lo, exec_lo, s8
	s_cbranch_vccnz .LBB347_2957
; %bb.2881:
	v_add_nc_u32_e32 v0, s2, v0
	v_cmp_ne_u32_e32 vcc_lo, v4, v5
	s_wait_xcnt 0x0
	s_delay_alu instid0(VALU_DEP_2) | instskip(SKIP_2) | instid1(VALU_DEP_1)
	v_ashrrev_i32_e32 v1, 31, v0
	s_xor_b32 s18, s1, vcc_lo
	s_cmp_lt_i32 s17, 11
	v_add_nc_u64_e32 v[0:1], s[4:5], v[0:1]
	s_cbranch_scc1 .LBB347_3002
; %bb.2882:
	s_and_b32 s1, 0xffff, s17
	s_mov_b32 s3, -1
	s_mov_b32 s2, 0
	s_cmp_gt_i32 s1, 25
	s_mov_b32 s0, 0
	s_cbranch_scc0 .LBB347_2915
; %bb.2883:
	s_cmp_gt_i32 s1, 28
	s_cbranch_scc0 .LBB347_2899
; %bb.2884:
	s_cmp_gt_i32 s1, 43
	s_cbranch_scc0 .LBB347_2895
; %bb.2885:
	s_cmp_gt_i32 s1, 45
	s_cbranch_scc0 .LBB347_2889
; %bb.2886:
	s_cmp_eq_u32 s1, 46
	s_mov_b32 s0, -1
	s_cbranch_scc0 .LBB347_2888
; %bb.2887:
	v_cndmask_b32_e64 v2, 0, 1.0, s18
	s_mov_b32 s0, 0
	s_delay_alu instid0(VALU_DEP_1) | instskip(NEXT) | instid1(VALU_DEP_1)
	v_bfe_u32 v3, v2, 16, 1
	v_add3_u32 v2, v2, v3, 0x7fff
	s_delay_alu instid0(VALU_DEP_1)
	v_lshrrev_b32_e32 v2, 16, v2
	global_store_b32 v[0:1], v2, off
.LBB347_2888:
	s_mov_b32 s3, 0
.LBB347_2889:
	s_delay_alu instid0(SALU_CYCLE_1)
	s_and_b32 vcc_lo, exec_lo, s3
	s_cbranch_vccz .LBB347_2894
; %bb.2890:
	s_cmp_eq_u32 s1, 44
	s_mov_b32 s0, -1
	s_cbranch_scc0 .LBB347_2894
; %bb.2891:
	v_cndmask_b32_e64 v4, 0, 1.0, s18
	s_mov_b32 s3, exec_lo
	s_wait_xcnt 0x0
	s_delay_alu instid0(VALU_DEP_1) | instskip(NEXT) | instid1(VALU_DEP_1)
	v_dual_mov_b32 v3, 0xff :: v_dual_lshrrev_b32 v2, 23, v4
	v_cmpx_ne_u32_e32 0xff, v2
; %bb.2892:
	v_and_b32_e32 v3, 0x400000, v4
	v_and_or_b32 v4, 0x3fffff, v4, v2
	s_delay_alu instid0(VALU_DEP_2) | instskip(NEXT) | instid1(VALU_DEP_2)
	v_cmp_ne_u32_e32 vcc_lo, 0, v3
	v_cmp_ne_u32_e64 s0, 0, v4
	s_and_b32 s0, vcc_lo, s0
	s_delay_alu instid0(SALU_CYCLE_1) | instskip(NEXT) | instid1(VALU_DEP_1)
	v_cndmask_b32_e64 v3, 0, 1, s0
	v_add_nc_u32_e32 v3, v2, v3
; %bb.2893:
	s_or_b32 exec_lo, exec_lo, s3
	s_mov_b32 s0, 0
	global_store_b8 v[0:1], v3, off
.LBB347_2894:
	s_mov_b32 s3, 0
.LBB347_2895:
	s_delay_alu instid0(SALU_CYCLE_1)
	s_and_b32 vcc_lo, exec_lo, s3
	s_cbranch_vccz .LBB347_2898
; %bb.2896:
	s_cmp_eq_u32 s1, 29
	s_mov_b32 s0, -1
	s_cbranch_scc0 .LBB347_2898
; %bb.2897:
	s_mov_b32 s0, 0
	s_wait_xcnt 0x0
	v_cndmask_b32_e64 v2, 0, 1, s18
	v_mov_b32_e32 v3, s0
	global_store_b64 v[0:1], v[2:3], off
.LBB347_2898:
	s_mov_b32 s3, 0
.LBB347_2899:
	s_delay_alu instid0(SALU_CYCLE_1)
	s_and_b32 vcc_lo, exec_lo, s3
	s_cbranch_vccz .LBB347_2914
; %bb.2900:
	s_cmp_lt_i32 s1, 27
	s_mov_b32 s3, -1
	s_cbranch_scc1 .LBB347_2906
; %bb.2901:
	s_wait_xcnt 0x0
	v_cndmask_b32_e64 v2, 0, 1, s18
	s_cmp_gt_i32 s1, 27
	s_cbranch_scc0 .LBB347_2903
; %bb.2902:
	s_mov_b32 s3, 0
	global_store_b32 v[0:1], v2, off
.LBB347_2903:
	s_and_not1_b32 vcc_lo, exec_lo, s3
	s_cbranch_vccnz .LBB347_2905
; %bb.2904:
	global_store_b16 v[0:1], v2, off
.LBB347_2905:
	s_mov_b32 s3, 0
.LBB347_2906:
	s_delay_alu instid0(SALU_CYCLE_1)
	s_and_not1_b32 vcc_lo, exec_lo, s3
	s_cbranch_vccnz .LBB347_2914
; %bb.2907:
	s_wait_xcnt 0x0
	v_cndmask_b32_e64 v3, 0, 1.0, s18
	v_mov_b32_e32 v4, 0x80
	s_mov_b32 s3, exec_lo
	s_delay_alu instid0(VALU_DEP_2)
	v_cmpx_gt_u32_e32 0x43800000, v3
	s_cbranch_execz .LBB347_2913
; %bb.2908:
	s_mov_b32 s4, 0
	s_mov_b32 s5, exec_lo
                                        ; implicit-def: $vgpr2
	v_cmpx_lt_u32_e32 0x3bffffff, v3
	s_xor_b32 s5, exec_lo, s5
	s_cbranch_execz .LBB347_3019
; %bb.2909:
	v_bfe_u32 v2, v3, 20, 1
	s_mov_b32 s4, exec_lo
	s_delay_alu instid0(VALU_DEP_1) | instskip(NEXT) | instid1(VALU_DEP_1)
	v_add3_u32 v2, v3, v2, 0x487ffff
                                        ; implicit-def: $vgpr3
	v_lshrrev_b32_e32 v2, 20, v2
	s_and_not1_saveexec_b32 s5, s5
	s_cbranch_execnz .LBB347_3020
.LBB347_2910:
	s_or_b32 exec_lo, exec_lo, s5
	v_mov_b32_e32 v4, 0
	s_and_saveexec_b32 s5, s4
.LBB347_2911:
	v_mov_b32_e32 v4, v2
.LBB347_2912:
	s_or_b32 exec_lo, exec_lo, s5
.LBB347_2913:
	s_delay_alu instid0(SALU_CYCLE_1)
	s_or_b32 exec_lo, exec_lo, s3
	global_store_b8 v[0:1], v4, off
.LBB347_2914:
	s_mov_b32 s3, 0
.LBB347_2915:
	s_delay_alu instid0(SALU_CYCLE_1)
	s_and_b32 vcc_lo, exec_lo, s3
	s_cbranch_vccz .LBB347_2955
; %bb.2916:
	s_cmp_gt_i32 s1, 22
	s_mov_b32 s2, -1
	s_cbranch_scc0 .LBB347_2948
; %bb.2917:
	s_cmp_lt_i32 s1, 24
	s_cbranch_scc1 .LBB347_2937
; %bb.2918:
	s_cmp_gt_i32 s1, 24
	s_cbranch_scc0 .LBB347_2926
; %bb.2919:
	s_wait_xcnt 0x0
	v_cndmask_b32_e64 v3, 0, 1.0, s18
	v_mov_b32_e32 v4, 0x80
	s_mov_b32 s2, exec_lo
	s_delay_alu instid0(VALU_DEP_2)
	v_cmpx_gt_u32_e32 0x47800000, v3
	s_cbranch_execz .LBB347_2925
; %bb.2920:
	s_mov_b32 s3, 0
	s_mov_b32 s4, exec_lo
                                        ; implicit-def: $vgpr2
	v_cmpx_lt_u32_e32 0x37ffffff, v3
	s_xor_b32 s4, exec_lo, s4
	s_cbranch_execz .LBB347_3022
; %bb.2921:
	v_bfe_u32 v2, v3, 21, 1
	s_mov_b32 s3, exec_lo
	s_delay_alu instid0(VALU_DEP_1) | instskip(NEXT) | instid1(VALU_DEP_1)
	v_add3_u32 v2, v3, v2, 0x88fffff
                                        ; implicit-def: $vgpr3
	v_lshrrev_b32_e32 v2, 21, v2
	s_and_not1_saveexec_b32 s4, s4
	s_cbranch_execnz .LBB347_3023
.LBB347_2922:
	s_or_b32 exec_lo, exec_lo, s4
	v_mov_b32_e32 v4, 0
	s_and_saveexec_b32 s4, s3
.LBB347_2923:
	v_mov_b32_e32 v4, v2
.LBB347_2924:
	s_or_b32 exec_lo, exec_lo, s4
.LBB347_2925:
	s_delay_alu instid0(SALU_CYCLE_1)
	s_or_b32 exec_lo, exec_lo, s2
	s_mov_b32 s2, 0
	global_store_b8 v[0:1], v4, off
.LBB347_2926:
	s_and_b32 vcc_lo, exec_lo, s2
	s_cbranch_vccz .LBB347_2936
; %bb.2927:
	s_wait_xcnt 0x0
	v_cndmask_b32_e64 v3, 0, 1.0, s18
	s_mov_b32 s2, exec_lo
                                        ; implicit-def: $vgpr2
	s_delay_alu instid0(VALU_DEP_1)
	v_cmpx_gt_u32_e32 0x43f00000, v3
	s_xor_b32 s2, exec_lo, s2
	s_cbranch_execz .LBB347_2933
; %bb.2928:
	s_mov_b32 s3, exec_lo
                                        ; implicit-def: $vgpr2
	v_cmpx_lt_u32_e32 0x3c7fffff, v3
	s_xor_b32 s3, exec_lo, s3
; %bb.2929:
	v_bfe_u32 v2, v3, 20, 1
	s_delay_alu instid0(VALU_DEP_1) | instskip(NEXT) | instid1(VALU_DEP_1)
	v_add3_u32 v2, v3, v2, 0x407ffff
	v_and_b32_e32 v3, 0xff00000, v2
	v_lshrrev_b32_e32 v2, 20, v2
	s_delay_alu instid0(VALU_DEP_2) | instskip(NEXT) | instid1(VALU_DEP_2)
	v_cmp_ne_u32_e32 vcc_lo, 0x7f00000, v3
                                        ; implicit-def: $vgpr3
	v_cndmask_b32_e32 v2, 0x7e, v2, vcc_lo
; %bb.2930:
	s_and_not1_saveexec_b32 s3, s3
; %bb.2931:
	v_add_f32_e32 v2, 0x46800000, v3
; %bb.2932:
	s_or_b32 exec_lo, exec_lo, s3
                                        ; implicit-def: $vgpr3
.LBB347_2933:
	s_and_not1_saveexec_b32 s2, s2
; %bb.2934:
	v_mov_b32_e32 v2, 0x7f
	v_cmp_lt_u32_e32 vcc_lo, 0x7f800000, v3
	s_delay_alu instid0(VALU_DEP_2)
	v_cndmask_b32_e32 v2, 0x7e, v2, vcc_lo
; %bb.2935:
	s_or_b32 exec_lo, exec_lo, s2
	global_store_b8 v[0:1], v2, off
.LBB347_2936:
	s_mov_b32 s2, 0
.LBB347_2937:
	s_delay_alu instid0(SALU_CYCLE_1)
	s_and_not1_b32 vcc_lo, exec_lo, s2
	s_cbranch_vccnz .LBB347_2947
; %bb.2938:
	s_wait_xcnt 0x0
	v_cndmask_b32_e64 v3, 0, 1.0, s18
	s_mov_b32 s2, exec_lo
                                        ; implicit-def: $vgpr2
	s_delay_alu instid0(VALU_DEP_1)
	v_cmpx_gt_u32_e32 0x47800000, v3
	s_xor_b32 s2, exec_lo, s2
	s_cbranch_execz .LBB347_2944
; %bb.2939:
	s_mov_b32 s3, exec_lo
                                        ; implicit-def: $vgpr2
	v_cmpx_lt_u32_e32 0x387fffff, v3
	s_xor_b32 s3, exec_lo, s3
; %bb.2940:
	v_bfe_u32 v2, v3, 21, 1
	s_delay_alu instid0(VALU_DEP_1) | instskip(NEXT) | instid1(VALU_DEP_1)
	v_add3_u32 v2, v3, v2, 0x80fffff
                                        ; implicit-def: $vgpr3
	v_lshrrev_b32_e32 v2, 21, v2
; %bb.2941:
	s_and_not1_saveexec_b32 s3, s3
; %bb.2942:
	v_add_f32_e32 v2, 0x43000000, v3
; %bb.2943:
	s_or_b32 exec_lo, exec_lo, s3
                                        ; implicit-def: $vgpr3
.LBB347_2944:
	s_and_not1_saveexec_b32 s2, s2
; %bb.2945:
	v_mov_b32_e32 v2, 0x7f
	v_cmp_lt_u32_e32 vcc_lo, 0x7f800000, v3
	s_delay_alu instid0(VALU_DEP_2)
	v_cndmask_b32_e32 v2, 0x7c, v2, vcc_lo
; %bb.2946:
	s_or_b32 exec_lo, exec_lo, s2
	global_store_b8 v[0:1], v2, off
.LBB347_2947:
	s_mov_b32 s2, 0
.LBB347_2948:
	s_delay_alu instid0(SALU_CYCLE_1)
	s_and_not1_b32 vcc_lo, exec_lo, s2
	s_mov_b32 s2, 0
	s_cbranch_vccnz .LBB347_2955
; %bb.2949:
	s_cmp_gt_i32 s1, 14
	s_mov_b32 s2, -1
	s_cbranch_scc0 .LBB347_2953
; %bb.2950:
	s_cmp_eq_u32 s1, 15
	s_mov_b32 s0, -1
	s_cbranch_scc0 .LBB347_2952
; %bb.2951:
	s_wait_xcnt 0x0
	v_cndmask_b32_e64 v2, 0, 1.0, s18
	s_mov_b32 s0, 0
	s_delay_alu instid0(VALU_DEP_1) | instskip(NEXT) | instid1(VALU_DEP_1)
	v_bfe_u32 v3, v2, 16, 1
	v_add3_u32 v2, v2, v3, 0x7fff
	global_store_d16_hi_b16 v[0:1], v2, off
.LBB347_2952:
	s_mov_b32 s2, 0
.LBB347_2953:
	s_delay_alu instid0(SALU_CYCLE_1)
	s_and_b32 vcc_lo, exec_lo, s2
	s_mov_b32 s2, 0
	s_cbranch_vccz .LBB347_2955
; %bb.2954:
	s_cmp_lg_u32 s1, 11
	s_mov_b32 s2, -1
	s_cselect_b32 s0, -1, 0
.LBB347_2955:
	s_delay_alu instid0(SALU_CYCLE_1)
	s_and_b32 vcc_lo, exec_lo, s0
	s_cbranch_vccnz .LBB347_3021
.LBB347_2956:
	s_mov_b32 s0, 0
	s_branch .LBB347_2958
.LBB347_2957:
	s_mov_b32 s0, 0
	s_mov_b32 s2, 0
                                        ; implicit-def: $sgpr18
                                        ; implicit-def: $sgpr17
                                        ; implicit-def: $vgpr0_vgpr1
.LBB347_2958:
	s_and_not1_b32 s1, s16, exec_lo
	s_and_b32 s3, s13, exec_lo
	s_and_b32 s0, s0, exec_lo
	;; [unrolled: 1-line block ×3, first 2 shown]
	s_or_b32 s16, s1, s3
.LBB347_2959:
	s_wait_xcnt 0x0
	s_or_b32 exec_lo, exec_lo, s15
	s_and_saveexec_b32 s1, s16
	s_cbranch_execz .LBB347_2962
; %bb.2960:
	; divergent unreachable
	s_or_b32 exec_lo, exec_lo, s1
	s_and_saveexec_b32 s1, s13
	s_delay_alu instid0(SALU_CYCLE_1)
	s_xor_b32 s1, exec_lo, s1
	s_cbranch_execnz .LBB347_2963
.LBB347_2961:
	s_or_b32 exec_lo, exec_lo, s1
	s_and_saveexec_b32 s1, s0
	s_cbranch_execnz .LBB347_2964
	s_branch .LBB347_3001
.LBB347_2962:
	s_or_b32 exec_lo, exec_lo, s1
	s_and_saveexec_b32 s1, s13
	s_delay_alu instid0(SALU_CYCLE_1)
	s_xor_b32 s1, exec_lo, s1
	s_cbranch_execz .LBB347_2961
.LBB347_2963:
	s_wait_loadcnt 0x0
	v_cndmask_b32_e64 v2, 0, 1, s18
	global_store_b8 v[0:1], v2, off
	s_wait_xcnt 0x0
	s_or_b32 exec_lo, exec_lo, s1
	s_and_saveexec_b32 s1, s0
	s_cbranch_execz .LBB347_3001
.LBB347_2964:
	s_sext_i32_i16 s1, s17
	s_mov_b32 s0, -1
	s_cmp_lt_i32 s1, 5
	s_cbranch_scc1 .LBB347_2985
; %bb.2965:
	s_cmp_lt_i32 s1, 8
	s_cbranch_scc1 .LBB347_2975
; %bb.2966:
	;; [unrolled: 3-line block ×3, first 2 shown]
	s_cmp_gt_i32 s1, 9
	s_cbranch_scc0 .LBB347_2969
; %bb.2968:
	s_wait_loadcnt 0x0
	v_cndmask_b32_e64 v2, 0, 1, s18
	v_mov_b32_e32 v4, 0
	s_mov_b32 s0, 0
	s_delay_alu instid0(VALU_DEP_2) | instskip(NEXT) | instid1(VALU_DEP_2)
	v_cvt_f64_u32_e32 v[2:3], v2
	v_mov_b32_e32 v5, v4
	global_store_b128 v[0:1], v[2:5], off
.LBB347_2969:
	s_and_not1_b32 vcc_lo, exec_lo, s0
	s_cbranch_vccnz .LBB347_2971
; %bb.2970:
	s_wait_loadcnt 0x0
	v_cndmask_b32_e64 v2, 0, 1.0, s18
	v_mov_b32_e32 v3, 0
	global_store_b64 v[0:1], v[2:3], off
.LBB347_2971:
	s_mov_b32 s0, 0
.LBB347_2972:
	s_delay_alu instid0(SALU_CYCLE_1)
	s_and_not1_b32 vcc_lo, exec_lo, s0
	s_cbranch_vccnz .LBB347_2974
; %bb.2973:
	s_wait_loadcnt 0x0
	v_cndmask_b32_e64 v2, 0, 1.0, s18
	s_delay_alu instid0(VALU_DEP_1) | instskip(NEXT) | instid1(VALU_DEP_1)
	v_cvt_f16_f32_e32 v2, v2
	v_and_b32_e32 v2, 0xffff, v2
	global_store_b32 v[0:1], v2, off
.LBB347_2974:
	s_mov_b32 s0, 0
.LBB347_2975:
	s_delay_alu instid0(SALU_CYCLE_1)
	s_and_not1_b32 vcc_lo, exec_lo, s0
	s_cbranch_vccnz .LBB347_2984
; %bb.2976:
	s_sext_i32_i16 s1, s17
	s_mov_b32 s0, -1
	s_cmp_lt_i32 s1, 6
	s_cbranch_scc1 .LBB347_2982
; %bb.2977:
	s_cmp_gt_i32 s1, 6
	s_cbranch_scc0 .LBB347_2979
; %bb.2978:
	s_wait_loadcnt 0x0
	v_cndmask_b32_e64 v2, 0, 1, s18
	s_mov_b32 s0, 0
	s_delay_alu instid0(VALU_DEP_1)
	v_cvt_f64_u32_e32 v[2:3], v2
	global_store_b64 v[0:1], v[2:3], off
.LBB347_2979:
	s_and_not1_b32 vcc_lo, exec_lo, s0
	s_cbranch_vccnz .LBB347_2981
; %bb.2980:
	s_wait_loadcnt 0x0
	v_cndmask_b32_e64 v2, 0, 1.0, s18
	global_store_b32 v[0:1], v2, off
.LBB347_2981:
	s_mov_b32 s0, 0
.LBB347_2982:
	s_delay_alu instid0(SALU_CYCLE_1)
	s_and_not1_b32 vcc_lo, exec_lo, s0
	s_cbranch_vccnz .LBB347_2984
; %bb.2983:
	s_wait_loadcnt 0x0
	v_cndmask_b32_e64 v2, 0, 1.0, s18
	s_delay_alu instid0(VALU_DEP_1)
	v_cvt_f16_f32_e32 v2, v2
	global_store_b16 v[0:1], v2, off
.LBB347_2984:
	s_mov_b32 s0, 0
.LBB347_2985:
	s_delay_alu instid0(SALU_CYCLE_1)
	s_and_not1_b32 vcc_lo, exec_lo, s0
	s_cbranch_vccnz .LBB347_3001
; %bb.2986:
	s_sext_i32_i16 s1, s17
	s_mov_b32 s0, -1
	s_cmp_lt_i32 s1, 2
	s_cbranch_scc1 .LBB347_2996
; %bb.2987:
	s_cmp_lt_i32 s1, 3
	s_cbranch_scc1 .LBB347_2993
; %bb.2988:
	s_cmp_gt_i32 s1, 3
	s_cbranch_scc0 .LBB347_2990
; %bb.2989:
	s_mov_b32 s0, 0
	s_wait_loadcnt 0x0
	v_cndmask_b32_e64 v2, 0, 1, s18
	v_mov_b32_e32 v3, s0
	global_store_b64 v[0:1], v[2:3], off
.LBB347_2990:
	s_and_not1_b32 vcc_lo, exec_lo, s0
	s_cbranch_vccnz .LBB347_2992
; %bb.2991:
	s_wait_loadcnt 0x0
	v_cndmask_b32_e64 v2, 0, 1, s18
	global_store_b32 v[0:1], v2, off
.LBB347_2992:
	s_mov_b32 s0, 0
.LBB347_2993:
	s_delay_alu instid0(SALU_CYCLE_1)
	s_and_not1_b32 vcc_lo, exec_lo, s0
	s_cbranch_vccnz .LBB347_2995
; %bb.2994:
	s_wait_loadcnt 0x0
	v_cndmask_b32_e64 v2, 0, 1, s18
	global_store_b16 v[0:1], v2, off
.LBB347_2995:
	s_mov_b32 s0, 0
.LBB347_2996:
	s_delay_alu instid0(SALU_CYCLE_1)
	s_and_not1_b32 vcc_lo, exec_lo, s0
	s_cbranch_vccnz .LBB347_3001
; %bb.2997:
	s_wait_loadcnt 0x0
	v_cndmask_b32_e64 v2, 0, 1, s18
	s_sext_i32_i16 s0, s17
	s_delay_alu instid0(SALU_CYCLE_1)
	s_cmp_gt_i32 s0, 0
	s_mov_b32 s0, -1
	s_cbranch_scc0 .LBB347_2999
; %bb.2998:
	s_mov_b32 s0, 0
	global_store_b8 v[0:1], v2, off
.LBB347_2999:
	s_and_not1_b32 vcc_lo, exec_lo, s0
	s_cbranch_vccnz .LBB347_3001
; %bb.3000:
	global_store_b8 v[0:1], v2, off
	s_endpgm
.LBB347_3001:
	s_endpgm
.LBB347_3002:
	s_mov_b32 s2, 0
	s_mov_b32 s0, -1
	s_branch .LBB347_2958
.LBB347_3003:
	s_or_b32 s13, s13, exec_lo
	s_trap 2
	s_cbranch_execz .LBB347_2473
	s_branch .LBB347_2474
.LBB347_3004:
	s_and_not1_saveexec_b32 s10, s10
	s_cbranch_execz .LBB347_2553
.LBB347_3005:
	v_add_f32_e32 v1, 0x46000000, v6
	s_and_not1_b32 s9, s9, exec_lo
	s_delay_alu instid0(VALU_DEP_1) | instskip(NEXT) | instid1(VALU_DEP_1)
	v_and_b32_e32 v1, 0xff, v1
	v_cmp_ne_u32_e32 vcc_lo, 0, v1
	s_and_b32 s11, vcc_lo, exec_lo
	s_delay_alu instid0(SALU_CYCLE_1)
	s_or_b32 s9, s9, s11
	s_or_b32 exec_lo, exec_lo, s10
	v_mov_b32_e32 v7, 0
	s_and_saveexec_b32 s10, s9
	s_cbranch_execnz .LBB347_2554
	s_branch .LBB347_2555
.LBB347_3006:
	s_or_b32 s13, s13, exec_lo
	s_trap 2
	s_cbranch_execz .LBB347_2601
	s_branch .LBB347_2602
.LBB347_3007:
	s_and_not1_saveexec_b32 s9, s9
	s_cbranch_execz .LBB347_2566
.LBB347_3008:
	v_add_f32_e32 v1, 0x42800000, v6
	s_and_not1_b32 s7, s7, exec_lo
	s_delay_alu instid0(VALU_DEP_1) | instskip(NEXT) | instid1(VALU_DEP_1)
	v_and_b32_e32 v1, 0xff, v1
	v_cmp_ne_u32_e32 vcc_lo, 0, v1
	s_and_b32 s10, vcc_lo, exec_lo
	s_delay_alu instid0(SALU_CYCLE_1)
	s_or_b32 s7, s7, s10
	s_or_b32 exec_lo, exec_lo, s9
	v_mov_b32_e32 v7, 0
	s_and_saveexec_b32 s9, s7
	s_cbranch_execnz .LBB347_2567
	s_branch .LBB347_2568
.LBB347_3009:
	s_and_not1_saveexec_b32 s10, s10
	s_cbranch_execz .LBB347_2671
.LBB347_3010:
	v_add_f32_e32 v1, 0x46000000, v6
	s_and_not1_b32 s9, s9, exec_lo
	s_delay_alu instid0(VALU_DEP_1) | instskip(NEXT) | instid1(VALU_DEP_1)
	v_and_b32_e32 v1, 0xff, v1
	v_cmp_ne_u32_e32 vcc_lo, 0, v1
	s_and_b32 s11, vcc_lo, exec_lo
	s_delay_alu instid0(SALU_CYCLE_1)
	s_or_b32 s9, s9, s11
	s_or_b32 exec_lo, exec_lo, s10
	v_mov_b32_e32 v7, 0
	s_and_saveexec_b32 s10, s9
	s_cbranch_execnz .LBB347_2672
	s_branch .LBB347_2673
.LBB347_3011:
	s_or_b32 s13, s13, exec_lo
	s_trap 2
	s_cbranch_execz .LBB347_2719
	s_branch .LBB347_2720
.LBB347_3012:
	s_and_not1_saveexec_b32 s9, s9
	s_cbranch_execz .LBB347_2684
.LBB347_3013:
	v_add_f32_e32 v1, 0x42800000, v6
	s_and_not1_b32 s8, s8, exec_lo
	s_delay_alu instid0(VALU_DEP_1) | instskip(NEXT) | instid1(VALU_DEP_1)
	v_and_b32_e32 v1, 0xff, v1
	v_cmp_ne_u32_e32 vcc_lo, 0, v1
	s_and_b32 s10, vcc_lo, exec_lo
	s_delay_alu instid0(SALU_CYCLE_1)
	s_or_b32 s8, s8, s10
	s_or_b32 exec_lo, exec_lo, s9
	v_mov_b32_e32 v7, 0
	s_and_saveexec_b32 s9, s8
	s_cbranch_execnz .LBB347_2685
	s_branch .LBB347_2686
.LBB347_3014:
	s_and_not1_saveexec_b32 s10, s10
	s_cbranch_execz .LBB347_2790
.LBB347_3015:
	v_add_f32_e32 v1, 0x46000000, v6
	s_and_not1_b32 s9, s9, exec_lo
	s_delay_alu instid0(VALU_DEP_1) | instskip(NEXT) | instid1(VALU_DEP_1)
	v_and_b32_e32 v1, 0xff, v1
	v_cmp_ne_u32_e32 vcc_lo, 0, v1
	s_and_b32 s11, vcc_lo, exec_lo
	s_delay_alu instid0(SALU_CYCLE_1)
	s_or_b32 s9, s9, s11
	s_or_b32 exec_lo, exec_lo, s10
	v_mov_b32_e32 v7, 0
	s_and_saveexec_b32 s10, s9
	s_cbranch_execnz .LBB347_2791
	s_branch .LBB347_2792
.LBB347_3016:
	s_or_b32 s13, s13, exec_lo
	s_trap 2
	s_cbranch_execz .LBB347_2838
	s_branch .LBB347_2839
.LBB347_3017:
	s_and_not1_saveexec_b32 s9, s9
	s_cbranch_execz .LBB347_2803
.LBB347_3018:
	v_add_f32_e32 v1, 0x42800000, v6
	s_and_not1_b32 s8, s8, exec_lo
	s_delay_alu instid0(VALU_DEP_1) | instskip(NEXT) | instid1(VALU_DEP_1)
	v_and_b32_e32 v1, 0xff, v1
	v_cmp_ne_u32_e32 vcc_lo, 0, v1
	s_and_b32 s10, vcc_lo, exec_lo
	s_delay_alu instid0(SALU_CYCLE_1)
	s_or_b32 s8, s8, s10
	s_or_b32 exec_lo, exec_lo, s9
	v_mov_b32_e32 v7, 0
	s_and_saveexec_b32 s9, s8
	s_cbranch_execnz .LBB347_2804
	s_branch .LBB347_2805
.LBB347_3019:
	s_and_not1_saveexec_b32 s5, s5
	s_cbranch_execz .LBB347_2910
.LBB347_3020:
	v_add_f32_e32 v2, 0x46000000, v3
	s_and_not1_b32 s4, s4, exec_lo
	s_delay_alu instid0(VALU_DEP_1) | instskip(NEXT) | instid1(VALU_DEP_1)
	v_and_b32_e32 v2, 0xff, v2
	v_cmp_ne_u32_e32 vcc_lo, 0, v2
	s_and_b32 s6, vcc_lo, exec_lo
	s_delay_alu instid0(SALU_CYCLE_1)
	s_or_b32 s4, s4, s6
	s_or_b32 exec_lo, exec_lo, s5
	v_mov_b32_e32 v4, 0
	s_and_saveexec_b32 s5, s4
	s_cbranch_execnz .LBB347_2911
	s_branch .LBB347_2912
.LBB347_3021:
	s_mov_b32 s2, 0
	s_or_b32 s13, s13, exec_lo
	s_trap 2
	s_branch .LBB347_2956
.LBB347_3022:
	s_and_not1_saveexec_b32 s4, s4
	s_cbranch_execz .LBB347_2922
.LBB347_3023:
	v_add_f32_e32 v2, 0x42800000, v3
	s_and_not1_b32 s3, s3, exec_lo
	s_delay_alu instid0(VALU_DEP_1) | instskip(NEXT) | instid1(VALU_DEP_1)
	v_and_b32_e32 v2, 0xff, v2
	v_cmp_ne_u32_e32 vcc_lo, 0, v2
	s_and_b32 s5, vcc_lo, exec_lo
	s_delay_alu instid0(SALU_CYCLE_1)
	s_or_b32 s3, s3, s5
	s_or_b32 exec_lo, exec_lo, s4
	v_mov_b32_e32 v4, 0
	s_and_saveexec_b32 s4, s3
	s_cbranch_execnz .LBB347_2923
	s_branch .LBB347_2924
	.section	.rodata,"a",@progbits
	.p2align	6, 0x0
	.amdhsa_kernel _ZN2at6native32elementwise_kernel_manual_unrollILi128ELi4EZNS0_15gpu_kernel_implINS0_13BinaryFunctorIjjbNS0_12_GLOBAL__N_116CompareEqFunctorIjEEEEEEvRNS_18TensorIteratorBaseERKT_EUlibE_EEviT1_
		.amdhsa_group_segment_fixed_size 0
		.amdhsa_private_segment_fixed_size 0
		.amdhsa_kernarg_size 56
		.amdhsa_user_sgpr_count 2
		.amdhsa_user_sgpr_dispatch_ptr 0
		.amdhsa_user_sgpr_queue_ptr 0
		.amdhsa_user_sgpr_kernarg_segment_ptr 1
		.amdhsa_user_sgpr_dispatch_id 0
		.amdhsa_user_sgpr_kernarg_preload_length 0
		.amdhsa_user_sgpr_kernarg_preload_offset 0
		.amdhsa_user_sgpr_private_segment_size 0
		.amdhsa_wavefront_size32 1
		.amdhsa_uses_dynamic_stack 0
		.amdhsa_enable_private_segment 0
		.amdhsa_system_sgpr_workgroup_id_x 1
		.amdhsa_system_sgpr_workgroup_id_y 0
		.amdhsa_system_sgpr_workgroup_id_z 0
		.amdhsa_system_sgpr_workgroup_info 0
		.amdhsa_system_vgpr_workitem_id 0
		.amdhsa_next_free_vgpr 18
		.amdhsa_next_free_sgpr 37
		.amdhsa_named_barrier_count 0
		.amdhsa_reserve_vcc 1
		.amdhsa_float_round_mode_32 0
		.amdhsa_float_round_mode_16_64 0
		.amdhsa_float_denorm_mode_32 3
		.amdhsa_float_denorm_mode_16_64 3
		.amdhsa_fp16_overflow 0
		.amdhsa_memory_ordered 1
		.amdhsa_forward_progress 1
		.amdhsa_inst_pref_size 255
		.amdhsa_round_robin_scheduling 0
		.amdhsa_exception_fp_ieee_invalid_op 0
		.amdhsa_exception_fp_denorm_src 0
		.amdhsa_exception_fp_ieee_div_zero 0
		.amdhsa_exception_fp_ieee_overflow 0
		.amdhsa_exception_fp_ieee_underflow 0
		.amdhsa_exception_fp_ieee_inexact 0
		.amdhsa_exception_int_div_zero 0
	.end_amdhsa_kernel
	.section	.text._ZN2at6native32elementwise_kernel_manual_unrollILi128ELi4EZNS0_15gpu_kernel_implINS0_13BinaryFunctorIjjbNS0_12_GLOBAL__N_116CompareEqFunctorIjEEEEEEvRNS_18TensorIteratorBaseERKT_EUlibE_EEviT1_,"axG",@progbits,_ZN2at6native32elementwise_kernel_manual_unrollILi128ELi4EZNS0_15gpu_kernel_implINS0_13BinaryFunctorIjjbNS0_12_GLOBAL__N_116CompareEqFunctorIjEEEEEEvRNS_18TensorIteratorBaseERKT_EUlibE_EEviT1_,comdat
.Lfunc_end347:
	.size	_ZN2at6native32elementwise_kernel_manual_unrollILi128ELi4EZNS0_15gpu_kernel_implINS0_13BinaryFunctorIjjbNS0_12_GLOBAL__N_116CompareEqFunctorIjEEEEEEvRNS_18TensorIteratorBaseERKT_EUlibE_EEviT1_, .Lfunc_end347-_ZN2at6native32elementwise_kernel_manual_unrollILi128ELi4EZNS0_15gpu_kernel_implINS0_13BinaryFunctorIjjbNS0_12_GLOBAL__N_116CompareEqFunctorIjEEEEEEvRNS_18TensorIteratorBaseERKT_EUlibE_EEviT1_
                                        ; -- End function
	.set _ZN2at6native32elementwise_kernel_manual_unrollILi128ELi4EZNS0_15gpu_kernel_implINS0_13BinaryFunctorIjjbNS0_12_GLOBAL__N_116CompareEqFunctorIjEEEEEEvRNS_18TensorIteratorBaseERKT_EUlibE_EEviT1_.num_vgpr, 18
	.set _ZN2at6native32elementwise_kernel_manual_unrollILi128ELi4EZNS0_15gpu_kernel_implINS0_13BinaryFunctorIjjbNS0_12_GLOBAL__N_116CompareEqFunctorIjEEEEEEvRNS_18TensorIteratorBaseERKT_EUlibE_EEviT1_.num_agpr, 0
	.set _ZN2at6native32elementwise_kernel_manual_unrollILi128ELi4EZNS0_15gpu_kernel_implINS0_13BinaryFunctorIjjbNS0_12_GLOBAL__N_116CompareEqFunctorIjEEEEEEvRNS_18TensorIteratorBaseERKT_EUlibE_EEviT1_.numbered_sgpr, 37
	.set _ZN2at6native32elementwise_kernel_manual_unrollILi128ELi4EZNS0_15gpu_kernel_implINS0_13BinaryFunctorIjjbNS0_12_GLOBAL__N_116CompareEqFunctorIjEEEEEEvRNS_18TensorIteratorBaseERKT_EUlibE_EEviT1_.num_named_barrier, 0
	.set _ZN2at6native32elementwise_kernel_manual_unrollILi128ELi4EZNS0_15gpu_kernel_implINS0_13BinaryFunctorIjjbNS0_12_GLOBAL__N_116CompareEqFunctorIjEEEEEEvRNS_18TensorIteratorBaseERKT_EUlibE_EEviT1_.private_seg_size, 0
	.set _ZN2at6native32elementwise_kernel_manual_unrollILi128ELi4EZNS0_15gpu_kernel_implINS0_13BinaryFunctorIjjbNS0_12_GLOBAL__N_116CompareEqFunctorIjEEEEEEvRNS_18TensorIteratorBaseERKT_EUlibE_EEviT1_.uses_vcc, 1
	.set _ZN2at6native32elementwise_kernel_manual_unrollILi128ELi4EZNS0_15gpu_kernel_implINS0_13BinaryFunctorIjjbNS0_12_GLOBAL__N_116CompareEqFunctorIjEEEEEEvRNS_18TensorIteratorBaseERKT_EUlibE_EEviT1_.uses_flat_scratch, 0
	.set _ZN2at6native32elementwise_kernel_manual_unrollILi128ELi4EZNS0_15gpu_kernel_implINS0_13BinaryFunctorIjjbNS0_12_GLOBAL__N_116CompareEqFunctorIjEEEEEEvRNS_18TensorIteratorBaseERKT_EUlibE_EEviT1_.has_dyn_sized_stack, 0
	.set _ZN2at6native32elementwise_kernel_manual_unrollILi128ELi4EZNS0_15gpu_kernel_implINS0_13BinaryFunctorIjjbNS0_12_GLOBAL__N_116CompareEqFunctorIjEEEEEEvRNS_18TensorIteratorBaseERKT_EUlibE_EEviT1_.has_recursion, 0
	.set _ZN2at6native32elementwise_kernel_manual_unrollILi128ELi4EZNS0_15gpu_kernel_implINS0_13BinaryFunctorIjjbNS0_12_GLOBAL__N_116CompareEqFunctorIjEEEEEEvRNS_18TensorIteratorBaseERKT_EUlibE_EEviT1_.has_indirect_call, 0
	.section	.AMDGPU.csdata,"",@progbits
; Kernel info:
; codeLenInByte = 51500
; TotalNumSgprs: 39
; NumVgprs: 18
; ScratchSize: 0
; MemoryBound: 1
; FloatMode: 240
; IeeeMode: 1
; LDSByteSize: 0 bytes/workgroup (compile time only)
; SGPRBlocks: 0
; VGPRBlocks: 1
; NumSGPRsForWavesPerEU: 39
; NumVGPRsForWavesPerEU: 18
; NamedBarCnt: 0
; Occupancy: 16
; WaveLimiterHint : 0
; COMPUTE_PGM_RSRC2:SCRATCH_EN: 0
; COMPUTE_PGM_RSRC2:USER_SGPR: 2
; COMPUTE_PGM_RSRC2:TRAP_HANDLER: 0
; COMPUTE_PGM_RSRC2:TGID_X_EN: 1
; COMPUTE_PGM_RSRC2:TGID_Y_EN: 0
; COMPUTE_PGM_RSRC2:TGID_Z_EN: 0
; COMPUTE_PGM_RSRC2:TIDIG_COMP_CNT: 0
	.section	.text._ZN2at6native32elementwise_kernel_manual_unrollILi128ELi4EZNS0_15gpu_kernel_implINS0_13BinaryFunctorIjjbNS0_12_GLOBAL__N_116CompareEqFunctorIjEEEEEEvRNS_18TensorIteratorBaseERKT_EUlibE0_EEviT1_,"axG",@progbits,_ZN2at6native32elementwise_kernel_manual_unrollILi128ELi4EZNS0_15gpu_kernel_implINS0_13BinaryFunctorIjjbNS0_12_GLOBAL__N_116CompareEqFunctorIjEEEEEEvRNS_18TensorIteratorBaseERKT_EUlibE0_EEviT1_,comdat
	.globl	_ZN2at6native32elementwise_kernel_manual_unrollILi128ELi4EZNS0_15gpu_kernel_implINS0_13BinaryFunctorIjjbNS0_12_GLOBAL__N_116CompareEqFunctorIjEEEEEEvRNS_18TensorIteratorBaseERKT_EUlibE0_EEviT1_ ; -- Begin function _ZN2at6native32elementwise_kernel_manual_unrollILi128ELi4EZNS0_15gpu_kernel_implINS0_13BinaryFunctorIjjbNS0_12_GLOBAL__N_116CompareEqFunctorIjEEEEEEvRNS_18TensorIteratorBaseERKT_EUlibE0_EEviT1_
	.p2align	8
	.type	_ZN2at6native32elementwise_kernel_manual_unrollILi128ELi4EZNS0_15gpu_kernel_implINS0_13BinaryFunctorIjjbNS0_12_GLOBAL__N_116CompareEqFunctorIjEEEEEEvRNS_18TensorIteratorBaseERKT_EUlibE0_EEviT1_,@function
_ZN2at6native32elementwise_kernel_manual_unrollILi128ELi4EZNS0_15gpu_kernel_implINS0_13BinaryFunctorIjjbNS0_12_GLOBAL__N_116CompareEqFunctorIjEEEEEEvRNS_18TensorIteratorBaseERKT_EUlibE0_EEviT1_: ; @_ZN2at6native32elementwise_kernel_manual_unrollILi128ELi4EZNS0_15gpu_kernel_implINS0_13BinaryFunctorIjjbNS0_12_GLOBAL__N_116CompareEqFunctorIjEEEEEEvRNS_18TensorIteratorBaseERKT_EUlibE0_EEviT1_
; %bb.0:
	s_clause 0x1
	s_load_b32 s28, s[0:1], 0x8
	s_load_b32 s37, s[0:1], 0x0
	s_bfe_u32 s2, ttmp6, 0x4000c
	s_and_b32 s3, ttmp6, 15
	s_add_co_i32 s2, s2, 1
	s_getreg_b32 s4, hwreg(HW_REG_IB_STS2, 6, 4)
	s_mul_i32 s2, ttmp9, s2
	s_mov_b32 s30, 0
	s_add_co_i32 s3, s3, s2
	s_cmp_eq_u32 s4, 0
	s_mov_b32 s27, -1
	s_cselect_b32 s2, ttmp9, s3
	s_mov_b32 s8, 0
	v_lshl_or_b32 v0, s2, 9, v0
	s_add_nc_u64 s[2:3], s[0:1], 8
	s_wait_xcnt 0x0
	s_mov_b32 s0, exec_lo
	s_delay_alu instid0(VALU_DEP_1) | instskip(SKIP_2) | instid1(SALU_CYCLE_1)
	v_or_b32_e32 v1, 0x180, v0
	s_wait_kmcnt 0x0
	s_add_co_i32 s29, s28, -1
	s_cmp_gt_u32 s29, 1
	s_cselect_b32 s31, -1, 0
	v_cmpx_le_i32_e64 s37, v1
	s_xor_b32 s33, exec_lo, s0
	s_cbranch_execz .LBB348_1561
; %bb.1:
	s_clause 0x4
	s_load_b128 s[12:15], s[2:3], 0x4
	s_load_b256 s[4:11], s[2:3], 0x188
	s_load_b64 s[0:1], s[2:3], 0x14
	s_load_b128 s[16:19], s[2:3], 0xc4
	s_load_b64 s[22:23], s[2:3], 0xd4
	s_cmp_lg_u32 s28, 0
	s_mov_b32 s21, 0
	s_cselect_b32 s38, -1, 0
	s_min_u32 s36, s29, 15
	s_cmp_gt_u32 s28, 1
	s_mov_b32 s25, s21
	s_cselect_b32 s35, -1, 0
	s_mov_b32 s41, s21
	s_mov_b32 s40, s21
	;; [unrolled: 1-line block ×3, first 2 shown]
	s_mov_b32 s42, exec_lo
	s_wait_kmcnt 0x0
	s_mov_b32 s20, s13
	s_lshr_b32 s34, s11, 8
	s_lshr_b32 s13, s11, 16
	s_cmp_eq_u32 s10, 0
	s_mov_b32 s24, s0
	s_cselect_b32 s10, -1, 0
	v_cmpx_gt_i32_e64 s37, v0
	s_cbranch_execz .LBB348_385
; %bb.2:
	s_and_not1_b32 vcc_lo, exec_lo, s31
	s_cbranch_vccnz .LBB348_8
; %bb.3:
	s_and_not1_b32 vcc_lo, exec_lo, s38
	s_cbranch_vccnz .LBB348_9
; %bb.4:
	v_dual_mov_b32 v2, 0 :: v_dual_mov_b32 v1, v0
	v_dual_mov_b32 v6, 0 :: v_dual_mov_b32 v4, 0
	s_add_co_i32 s0, s36, 1
	s_mov_b64 s[26:27], 0xffffffffffffffe8
	s_and_b32 s0, s0, 30
	s_add_nc_u64 s[26:27], s[2:3], s[26:27]
.LBB348_5:                              ; =>This Inner Loop Header: Depth=1
	s_clause 0x1
	s_load_b128 s[44:47], s[26:27], 0x1c
	s_load_b64 s[40:41], s[26:27], 0x2c
	s_add_co_i32 s0, s0, -2
	s_delay_alu instid0(SALU_CYCLE_1) | instskip(SKIP_2) | instid1(VALU_DEP_1)
	s_cmp_lg_u32 s0, 0
	s_wait_kmcnt 0x0
	v_mul_hi_u32 v3, s45, v1
	v_add_nc_u32_e32 v3, v1, v3
	s_delay_alu instid0(VALU_DEP_1) | instskip(NEXT) | instid1(VALU_DEP_1)
	v_lshrrev_b32_e32 v3, s46, v3
	v_mul_hi_u32 v5, s40, v3
	v_mul_lo_u32 v7, v3, s44
	s_clause 0x1
	s_load_b128 s[48:51], s[26:27], 0xdc
	s_load_b64 s[44:45], s[26:27], 0xec
	s_wait_xcnt 0x0
	s_add_nc_u64 s[26:27], s[26:27], 24
	s_delay_alu instid0(VALU_DEP_1) | instskip(NEXT) | instid1(VALU_DEP_1)
	v_dual_add_nc_u32 v5, v3, v5 :: v_dual_sub_nc_u32 v7, v1, v7
	v_lshrrev_b32_e32 v1, s41, v5
	s_wait_kmcnt 0x0
	s_delay_alu instid0(VALU_DEP_2) | instskip(NEXT) | instid1(VALU_DEP_2)
	v_mad_u32 v2, v7, s48, v2
	v_mul_lo_u32 v5, v1, s47
	v_mad_u32 v4, v7, s50, v4
	v_mad_u32 v6, v7, s49, v6
	s_delay_alu instid0(VALU_DEP_3) | instskip(NEXT) | instid1(VALU_DEP_1)
	v_sub_nc_u32_e32 v3, v3, v5
	v_mad_u32 v2, v3, s51, v2
	s_delay_alu instid0(VALU_DEP_4) | instskip(NEXT) | instid1(VALU_DEP_4)
	v_mad_u32 v4, v3, s45, v4
	v_mad_u32 v6, v3, s44, v6
	s_cbranch_scc1 .LBB348_5
; %bb.6:
	s_bitcmp1_b32 s36, 0
	s_cselect_b32 s0, -1, 0
	s_delay_alu instid0(SALU_CYCLE_1)
	s_and_b32 vcc_lo, exec_lo, s0
	s_cbranch_vccnz .LBB348_10
; %bb.7:
	s_clause 0x1
	s_load_b96 s[44:46], s[26:27], 0x1c
	s_load_b96 s[48:50], s[26:27], 0xdc
	s_wait_kmcnt 0x0
	v_mul_hi_u32 v3, s45, v1
	s_delay_alu instid0(VALU_DEP_1) | instskip(NEXT) | instid1(VALU_DEP_1)
	v_add_nc_u32_e32 v3, v1, v3
	v_lshrrev_b32_e32 v3, s46, v3
	s_delay_alu instid0(VALU_DEP_1) | instskip(NEXT) | instid1(VALU_DEP_1)
	v_mul_lo_u32 v3, v3, s44
	v_sub_nc_u32_e32 v1, v1, v3
	s_delay_alu instid0(VALU_DEP_1)
	v_mad_u32 v2, v1, s48, v2
	v_mad_u32 v6, v1, s49, v6
	v_mad_u32 v4, v1, s50, v4
	s_cbranch_execz .LBB348_11
	s_branch .LBB348_13
.LBB348_8:
                                        ; implicit-def: $vgpr4
                                        ; implicit-def: $vgpr6
                                        ; implicit-def: $vgpr2
	s_branch .LBB348_11
.LBB348_9:
	v_dual_mov_b32 v4, 0 :: v_dual_mov_b32 v6, 0
	v_mov_b32_e32 v2, 0
.LBB348_10:
	s_cbranch_execnz .LBB348_13
.LBB348_11:
	v_mov_b32_e32 v1, 0
	s_and_not1_b32 vcc_lo, exec_lo, s35
	s_delay_alu instid0(VALU_DEP_1) | instskip(NEXT) | instid1(VALU_DEP_1)
	v_mul_u64_e32 v[2:3], s[20:21], v[0:1]
	v_add_nc_u32_e32 v2, v0, v3
	s_delay_alu instid0(VALU_DEP_1) | instskip(NEXT) | instid1(VALU_DEP_1)
	v_lshrrev_b32_e32 v8, s14, v2
	v_mul_lo_u32 v2, v8, s12
	s_delay_alu instid0(VALU_DEP_1) | instskip(NEXT) | instid1(VALU_DEP_1)
	v_sub_nc_u32_e32 v3, v0, v2
	v_mul_lo_u32 v2, v3, s16
	v_mul_lo_u32 v4, v3, s18
	;; [unrolled: 1-line block ×3, first 2 shown]
	s_cbranch_vccnz .LBB348_13
; %bb.12:
	v_mov_b32_e32 v9, v1
	s_delay_alu instid0(VALU_DEP_1) | instskip(NEXT) | instid1(VALU_DEP_1)
	v_mul_u64_e32 v[10:11], s[24:25], v[8:9]
	v_add_nc_u32_e32 v1, v8, v11
	s_delay_alu instid0(VALU_DEP_1) | instskip(NEXT) | instid1(VALU_DEP_1)
	v_lshrrev_b32_e32 v1, s1, v1
	v_mul_lo_u32 v1, v1, s15
	s_delay_alu instid0(VALU_DEP_1) | instskip(NEXT) | instid1(VALU_DEP_1)
	v_sub_nc_u32_e32 v1, v8, v1
	v_mad_u32 v2, v1, s19, v2
	v_mad_u32 v6, v1, s22, v6
	;; [unrolled: 1-line block ×3, first 2 shown]
.LBB348_13:
	v_mov_b32_e32 v7, 0
	s_and_b32 s0, s34, 0xff
	s_delay_alu instid0(SALU_CYCLE_1) | instskip(NEXT) | instid1(VALU_DEP_1)
	s_cmp_lt_i32 s0, 11
	v_add_nc_u64_e32 v[6:7], s[6:7], v[6:7]
	s_cbranch_scc1 .LBB348_20
; %bb.14:
	s_and_b32 s27, 0xffff, s0
	s_delay_alu instid0(SALU_CYCLE_1)
	s_cmp_gt_i32 s27, 25
	s_cbranch_scc0 .LBB348_29
; %bb.15:
	s_cmp_gt_i32 s27, 28
	s_cbranch_scc0 .LBB348_39
; %bb.16:
	;; [unrolled: 3-line block ×4, first 2 shown]
	s_cmp_eq_u32 s27, 46
	s_mov_b32 s40, 0
	s_cbranch_scc0 .LBB348_48
; %bb.19:
	global_load_b32 v1, v[6:7], off
	s_mov_b32 s39, -1
	s_mov_b32 s26, 0
	s_wait_loadcnt 0x0
	v_lshlrev_b32_e32 v1, 16, v1
	s_delay_alu instid0(VALU_DEP_1)
	v_cvt_u32_f32_e32 v1, v1
	s_branch .LBB348_50
.LBB348_20:
	s_mov_b32 s26, 0
	s_mov_b32 s39, 0
                                        ; implicit-def: $vgpr1
	s_cbranch_execnz .LBB348_112
.LBB348_21:
	s_and_not1_b32 vcc_lo, exec_lo, s39
	s_cbranch_vccnz .LBB348_159
.LBB348_22:
	v_mov_b32_e32 v5, 0
	s_and_b32 s0, s13, 0xff
	s_delay_alu instid0(SALU_CYCLE_1) | instskip(NEXT) | instid1(VALU_DEP_1)
	s_cmp_lt_i32 s0, 11
	v_add_nc_u64_e32 v[4:5], s[8:9], v[4:5]
	s_cbranch_scc1 .LBB348_30
; %bb.23:
	s_and_b32 s39, 0xffff, s0
	s_delay_alu instid0(SALU_CYCLE_1)
	s_cmp_gt_i32 s39, 25
	s_cbranch_scc0 .LBB348_40
; %bb.24:
	s_cmp_gt_i32 s39, 28
	s_cbranch_scc0 .LBB348_43
; %bb.25:
	;; [unrolled: 3-line block ×4, first 2 shown]
	s_cmp_eq_u32 s39, 46
	s_mov_b32 s41, 0
	s_cbranch_scc0 .LBB348_160
; %bb.28:
	global_load_b32 v3, v[4:5], off
	s_mov_b32 s40, -1
	s_mov_b32 s27, 0
	s_wait_loadcnt 0x0
	v_lshlrev_b32_e32 v3, 16, v3
	s_delay_alu instid0(VALU_DEP_1)
	v_cvt_u32_f32_e32 v6, v3
	s_branch .LBB348_162
.LBB348_29:
	s_mov_b32 s26, 0
	s_mov_b32 s39, 0
                                        ; implicit-def: $vgpr1
	s_cbranch_execnz .LBB348_79
	s_branch .LBB348_111
.LBB348_30:
	s_mov_b32 s27, 0
	s_mov_b32 s40, 0
                                        ; implicit-def: $vgpr6
	s_cbranch_execnz .LBB348_334
.LBB348_31:
	s_and_not1_b32 vcc_lo, exec_lo, s40
	s_cbranch_vccnz .LBB348_382
.LBB348_32:
	v_mov_b32_e32 v3, 0
	s_wait_loadcnt 0x0
	s_delay_alu instid0(VALU_DEP_2) | instskip(SKIP_1) | instid1(VALU_DEP_2)
	v_cmp_ne_u32_e32 vcc_lo, v1, v6
	s_and_b32 s40, s11, 0xff
	v_add_nc_u64_e32 v[2:3], s[4:5], v[2:3]
	s_xor_b32 s39, s10, vcc_lo
	s_cmp_lt_i32 s40, 11
	s_cbranch_scc1 .LBB348_41
; %bb.33:
	s_and_b32 s41, 0xffff, s40
	s_delay_alu instid0(SALU_CYCLE_1)
	s_cmp_gt_i32 s41, 25
	s_cbranch_scc0 .LBB348_44
; %bb.34:
	s_cmp_gt_i32 s41, 28
	s_cbranch_scc0 .LBB348_47
; %bb.35:
	;; [unrolled: 3-line block ×4, first 2 shown]
	s_mov_b32 s44, 0
	s_mov_b32 s0, -1
	s_cmp_eq_u32 s41, 46
	s_mov_b32 s43, 0
	s_cbranch_scc0 .LBB348_166
; %bb.38:
	v_cndmask_b32_e64 v1, 0, 1.0, s39
	s_mov_b32 s43, -1
	s_mov_b32 s0, 0
	s_delay_alu instid0(VALU_DEP_1) | instskip(NEXT) | instid1(VALU_DEP_1)
	v_bfe_u32 v4, v1, 16, 1
	v_add3_u32 v1, v1, v4, 0x7fff
	s_delay_alu instid0(VALU_DEP_1)
	v_lshrrev_b32_e32 v1, 16, v1
	global_store_b32 v[2:3], v1, off
	s_branch .LBB348_166
.LBB348_39:
	s_mov_b32 s40, -1
	s_mov_b32 s26, 0
	s_mov_b32 s39, 0
                                        ; implicit-def: $vgpr1
	s_branch .LBB348_62
.LBB348_40:
	s_mov_b32 s41, -1
	s_mov_b32 s27, 0
	s_mov_b32 s40, 0
                                        ; implicit-def: $vgpr6
	s_branch .LBB348_300
.LBB348_41:
	s_mov_b32 s41, -1
	s_mov_b32 s0, 0
	s_mov_b32 s43, 0
	s_branch .LBB348_235
.LBB348_42:
	s_mov_b32 s40, -1
	s_mov_b32 s26, 0
	s_mov_b32 s39, 0
                                        ; implicit-def: $vgpr1
	s_branch .LBB348_57
.LBB348_43:
	s_mov_b32 s41, -1
	s_mov_b32 s27, 0
	s_mov_b32 s40, 0
                                        ; implicit-def: $vgpr6
	s_branch .LBB348_283
.LBB348_44:
	s_mov_b32 s44, -1
	s_mov_b32 s0, 0
	s_mov_b32 s43, 0
	s_branch .LBB348_193
.LBB348_45:
	s_mov_b32 s40, -1
	s_mov_b32 s26, 0
	s_branch .LBB348_49
.LBB348_46:
	s_mov_b32 s41, -1
	s_mov_b32 s27, 0
	s_mov_b32 s40, 0
                                        ; implicit-def: $vgpr6
	s_branch .LBB348_278
.LBB348_47:
	s_mov_b32 s44, -1
	s_mov_b32 s0, 0
	s_mov_b32 s43, 0
	s_branch .LBB348_176
.LBB348_48:
	s_mov_b32 s26, -1
.LBB348_49:
	s_mov_b32 s39, 0
                                        ; implicit-def: $vgpr1
.LBB348_50:
	s_and_b32 vcc_lo, exec_lo, s40
	s_cbranch_vccz .LBB348_56
; %bb.51:
	s_cmp_eq_u32 s27, 44
	s_cbranch_scc0 .LBB348_55
; %bb.52:
	global_load_u8 v1, v[6:7], off
	s_mov_b32 s26, 0
	s_mov_b32 s39, -1
	s_wait_loadcnt 0x0
	v_lshlrev_b32_e32 v3, 23, v1
	v_cmp_ne_u32_e32 vcc_lo, 0, v1
	s_delay_alu instid0(VALU_DEP_2) | instskip(NEXT) | instid1(VALU_DEP_1)
	v_cvt_u32_f32_e32 v3, v3
	v_cndmask_b32_e32 v1, 0, v3, vcc_lo
	s_branch .LBB348_56
.LBB348_53:
	s_mov_b32 s41, -1
	s_mov_b32 s27, 0
	s_branch .LBB348_161
.LBB348_54:
	s_mov_b32 s44, -1
	s_mov_b32 s0, 0
	s_mov_b32 s43, 0
	s_branch .LBB348_172
.LBB348_55:
	s_mov_b32 s26, -1
                                        ; implicit-def: $vgpr1
.LBB348_56:
	s_mov_b32 s40, 0
.LBB348_57:
	s_delay_alu instid0(SALU_CYCLE_1)
	s_and_b32 vcc_lo, exec_lo, s40
	s_cbranch_vccz .LBB348_61
; %bb.58:
	s_cmp_eq_u32 s27, 29
	s_cbranch_scc0 .LBB348_60
; %bb.59:
	global_load_b32 v1, v[6:7], off
	s_mov_b32 s39, -1
	s_mov_b32 s26, 0
	s_branch .LBB348_61
.LBB348_60:
	s_mov_b32 s26, -1
                                        ; implicit-def: $vgpr1
.LBB348_61:
	s_mov_b32 s40, 0
.LBB348_62:
	s_delay_alu instid0(SALU_CYCLE_1)
	s_and_b32 vcc_lo, exec_lo, s40
	s_cbranch_vccz .LBB348_78
; %bb.63:
	s_cmp_lt_i32 s27, 27
	s_cbranch_scc1 .LBB348_66
; %bb.64:
	s_cmp_gt_i32 s27, 27
	s_cbranch_scc0 .LBB348_67
; %bb.65:
	s_wait_loadcnt 0x0
	global_load_b32 v1, v[6:7], off
	s_mov_b32 s39, 0
	s_branch .LBB348_68
.LBB348_66:
	s_mov_b32 s39, -1
                                        ; implicit-def: $vgpr1
	s_branch .LBB348_71
.LBB348_67:
	s_mov_b32 s39, -1
                                        ; implicit-def: $vgpr1
.LBB348_68:
	s_delay_alu instid0(SALU_CYCLE_1)
	s_and_not1_b32 vcc_lo, exec_lo, s39
	s_cbranch_vccnz .LBB348_70
; %bb.69:
	s_wait_loadcnt 0x0
	global_load_u16 v1, v[6:7], off
.LBB348_70:
	s_mov_b32 s39, 0
.LBB348_71:
	s_delay_alu instid0(SALU_CYCLE_1)
	s_and_not1_b32 vcc_lo, exec_lo, s39
	s_cbranch_vccnz .LBB348_77
; %bb.72:
	global_load_u8 v3, v[6:7], off
	s_mov_b32 s40, 0
	s_mov_b32 s39, exec_lo
	s_wait_loadcnt 0x0
	v_cmpx_lt_i16_e32 0x7f, v3
	s_xor_b32 s39, exec_lo, s39
	s_cbranch_execz .LBB348_88
; %bb.73:
	v_cmp_ne_u16_e32 vcc_lo, 0x80, v3
	s_and_b32 s40, vcc_lo, exec_lo
	s_and_not1_saveexec_b32 s39, s39
	s_cbranch_execnz .LBB348_89
.LBB348_74:
	s_or_b32 exec_lo, exec_lo, s39
	v_mov_b32_e32 v1, 0
	s_and_saveexec_b32 s39, s40
	s_cbranch_execz .LBB348_76
.LBB348_75:
	v_and_b32_e32 v1, 0xffff, v3
	s_delay_alu instid0(VALU_DEP_1) | instskip(SKIP_1) | instid1(VALU_DEP_2)
	v_and_b32_e32 v5, 7, v1
	v_bfe_u32 v10, v1, 3, 4
	v_clz_i32_u32_e32 v8, v5
	s_delay_alu instid0(VALU_DEP_2) | instskip(NEXT) | instid1(VALU_DEP_2)
	v_cmp_eq_u32_e32 vcc_lo, 0, v10
	v_min_u32_e32 v8, 32, v8
	s_delay_alu instid0(VALU_DEP_1) | instskip(NEXT) | instid1(VALU_DEP_1)
	v_subrev_nc_u32_e32 v9, 28, v8
	v_dual_lshlrev_b32 v1, v9, v1 :: v_dual_sub_nc_u32 v8, 29, v8
	s_delay_alu instid0(VALU_DEP_1) | instskip(NEXT) | instid1(VALU_DEP_1)
	v_dual_lshlrev_b32 v3, 24, v3 :: v_dual_bitop2_b32 v1, 7, v1 bitop3:0x40
	v_dual_cndmask_b32 v8, v10, v8 :: v_dual_cndmask_b32 v1, v5, v1
	s_delay_alu instid0(VALU_DEP_2) | instskip(NEXT) | instid1(VALU_DEP_2)
	v_and_b32_e32 v3, 0x80000000, v3
	v_lshl_add_u32 v5, v8, 23, 0x3b800000
	s_delay_alu instid0(VALU_DEP_3) | instskip(NEXT) | instid1(VALU_DEP_1)
	v_lshlrev_b32_e32 v1, 20, v1
	v_or3_b32 v1, v3, v5, v1
	s_delay_alu instid0(VALU_DEP_1)
	v_cvt_u32_f32_e32 v1, v1
.LBB348_76:
	s_or_b32 exec_lo, exec_lo, s39
.LBB348_77:
	s_mov_b32 s39, -1
.LBB348_78:
	s_branch .LBB348_111
.LBB348_79:
	s_cmp_gt_i32 s27, 22
	s_cbranch_scc0 .LBB348_87
; %bb.80:
	s_cmp_lt_i32 s27, 24
	s_cbranch_scc1 .LBB348_90
; %bb.81:
	s_cmp_gt_i32 s27, 24
	s_cbranch_scc0 .LBB348_91
; %bb.82:
	global_load_u8 v3, v[6:7], off
	s_mov_b32 s40, 0
	s_mov_b32 s39, exec_lo
	s_wait_loadcnt 0x0
	v_cmpx_lt_i16_e32 0x7f, v3
	s_xor_b32 s39, exec_lo, s39
	s_cbranch_execz .LBB348_103
; %bb.83:
	v_cmp_ne_u16_e32 vcc_lo, 0x80, v3
	s_and_b32 s40, vcc_lo, exec_lo
	s_and_not1_saveexec_b32 s39, s39
	s_cbranch_execnz .LBB348_104
.LBB348_84:
	s_or_b32 exec_lo, exec_lo, s39
	v_mov_b32_e32 v1, 0
	s_and_saveexec_b32 s39, s40
	s_cbranch_execz .LBB348_86
.LBB348_85:
	v_and_b32_e32 v1, 0xffff, v3
	s_delay_alu instid0(VALU_DEP_1) | instskip(SKIP_1) | instid1(VALU_DEP_2)
	v_and_b32_e32 v5, 3, v1
	v_bfe_u32 v10, v1, 2, 5
	v_clz_i32_u32_e32 v8, v5
	s_delay_alu instid0(VALU_DEP_2) | instskip(NEXT) | instid1(VALU_DEP_2)
	v_cmp_eq_u32_e32 vcc_lo, 0, v10
	v_min_u32_e32 v8, 32, v8
	s_delay_alu instid0(VALU_DEP_1) | instskip(NEXT) | instid1(VALU_DEP_1)
	v_subrev_nc_u32_e32 v9, 29, v8
	v_dual_lshlrev_b32 v1, v9, v1 :: v_dual_sub_nc_u32 v8, 30, v8
	s_delay_alu instid0(VALU_DEP_1) | instskip(NEXT) | instid1(VALU_DEP_1)
	v_dual_lshlrev_b32 v3, 24, v3 :: v_dual_bitop2_b32 v1, 3, v1 bitop3:0x40
	v_dual_cndmask_b32 v8, v10, v8 :: v_dual_cndmask_b32 v1, v5, v1
	s_delay_alu instid0(VALU_DEP_2) | instskip(NEXT) | instid1(VALU_DEP_2)
	v_and_b32_e32 v3, 0x80000000, v3
	v_lshl_add_u32 v5, v8, 23, 0x37800000
	s_delay_alu instid0(VALU_DEP_3) | instskip(NEXT) | instid1(VALU_DEP_1)
	v_lshlrev_b32_e32 v1, 21, v1
	v_or3_b32 v1, v3, v5, v1
	s_delay_alu instid0(VALU_DEP_1)
	v_cvt_u32_f32_e32 v1, v1
.LBB348_86:
	s_or_b32 exec_lo, exec_lo, s39
	s_mov_b32 s39, 0
	s_branch .LBB348_92
.LBB348_87:
	s_mov_b32 s40, -1
                                        ; implicit-def: $vgpr1
	s_branch .LBB348_98
.LBB348_88:
	s_and_not1_saveexec_b32 s39, s39
	s_cbranch_execz .LBB348_74
.LBB348_89:
	v_cmp_ne_u16_e32 vcc_lo, 0, v3
	s_and_not1_b32 s40, s40, exec_lo
	s_and_b32 s41, vcc_lo, exec_lo
	s_delay_alu instid0(SALU_CYCLE_1)
	s_or_b32 s40, s40, s41
	s_or_b32 exec_lo, exec_lo, s39
	v_mov_b32_e32 v1, 0
	s_and_saveexec_b32 s39, s40
	s_cbranch_execnz .LBB348_75
	s_branch .LBB348_76
.LBB348_90:
	s_mov_b32 s39, -1
                                        ; implicit-def: $vgpr1
	s_branch .LBB348_95
.LBB348_91:
	s_mov_b32 s39, -1
                                        ; implicit-def: $vgpr1
.LBB348_92:
	s_delay_alu instid0(SALU_CYCLE_1)
	s_and_b32 vcc_lo, exec_lo, s39
	s_cbranch_vccz .LBB348_94
; %bb.93:
	s_wait_loadcnt 0x0
	global_load_u8 v1, v[6:7], off
	s_wait_loadcnt 0x0
	v_lshlrev_b32_e32 v1, 24, v1
	s_delay_alu instid0(VALU_DEP_1) | instskip(NEXT) | instid1(VALU_DEP_1)
	v_and_b32_e32 v3, 0x7f000000, v1
	v_clz_i32_u32_e32 v5, v3
	v_add_nc_u32_e32 v9, 0x1000000, v3
	v_cmp_ne_u32_e32 vcc_lo, 0, v3
	s_delay_alu instid0(VALU_DEP_3) | instskip(NEXT) | instid1(VALU_DEP_1)
	v_min_u32_e32 v5, 32, v5
	v_sub_nc_u32_e64 v5, v5, 4 clamp
	s_delay_alu instid0(VALU_DEP_1) | instskip(NEXT) | instid1(VALU_DEP_1)
	v_dual_lshlrev_b32 v8, v5, v3 :: v_dual_lshlrev_b32 v5, 23, v5
	v_lshrrev_b32_e32 v8, 4, v8
	s_delay_alu instid0(VALU_DEP_1) | instskip(SKIP_1) | instid1(VALU_DEP_2)
	v_sub_nc_u32_e32 v5, v8, v5
	v_ashrrev_i32_e32 v8, 8, v9
	v_add_nc_u32_e32 v5, 0x3c000000, v5
	s_delay_alu instid0(VALU_DEP_1) | instskip(NEXT) | instid1(VALU_DEP_1)
	v_and_or_b32 v5, 0x7f800000, v8, v5
	v_cndmask_b32_e32 v3, 0, v5, vcc_lo
	s_delay_alu instid0(VALU_DEP_1) | instskip(NEXT) | instid1(VALU_DEP_1)
	v_and_or_b32 v1, 0x80000000, v1, v3
	v_cvt_u32_f32_e32 v1, v1
.LBB348_94:
	s_mov_b32 s39, 0
.LBB348_95:
	s_delay_alu instid0(SALU_CYCLE_1)
	s_and_not1_b32 vcc_lo, exec_lo, s39
	s_cbranch_vccnz .LBB348_97
; %bb.96:
	s_wait_loadcnt 0x0
	global_load_u8 v1, v[6:7], off
	s_wait_loadcnt 0x0
	v_lshlrev_b32_e32 v3, 25, v1
	v_lshlrev_b16 v1, 8, v1
	s_delay_alu instid0(VALU_DEP_1) | instskip(SKIP_1) | instid1(VALU_DEP_2)
	v_and_or_b32 v8, 0x7f00, v1, 0.5
	v_bfe_i32 v1, v1, 0, 16
	v_dual_add_f32 v8, -0.5, v8 :: v_dual_lshrrev_b32 v5, 4, v3
	v_cmp_gt_u32_e32 vcc_lo, 0x8000000, v3
	s_delay_alu instid0(VALU_DEP_2) | instskip(NEXT) | instid1(VALU_DEP_1)
	v_or_b32_e32 v5, 0x70000000, v5
	v_mul_f32_e32 v5, 0x7800000, v5
	s_delay_alu instid0(VALU_DEP_1) | instskip(NEXT) | instid1(VALU_DEP_1)
	v_cndmask_b32_e32 v3, v5, v8, vcc_lo
	v_and_or_b32 v1, 0x80000000, v1, v3
	s_delay_alu instid0(VALU_DEP_1)
	v_cvt_u32_f32_e32 v1, v1
.LBB348_97:
	s_mov_b32 s40, 0
	s_mov_b32 s39, -1
.LBB348_98:
	s_and_not1_b32 vcc_lo, exec_lo, s40
	s_cbranch_vccnz .LBB348_111
; %bb.99:
	s_cmp_gt_i32 s27, 14
	s_cbranch_scc0 .LBB348_102
; %bb.100:
	s_cmp_eq_u32 s27, 15
	s_cbranch_scc0 .LBB348_105
; %bb.101:
	s_wait_loadcnt 0x0
	global_load_u16 v1, v[6:7], off
	s_mov_b32 s39, -1
	s_mov_b32 s26, 0
	s_wait_loadcnt 0x0
	v_lshlrev_b32_e32 v1, 16, v1
	s_delay_alu instid0(VALU_DEP_1)
	v_cvt_u32_f32_e32 v1, v1
	s_branch .LBB348_106
.LBB348_102:
	s_mov_b32 s40, -1
                                        ; implicit-def: $vgpr1
	s_branch .LBB348_107
.LBB348_103:
	s_and_not1_saveexec_b32 s39, s39
	s_cbranch_execz .LBB348_84
.LBB348_104:
	v_cmp_ne_u16_e32 vcc_lo, 0, v3
	s_and_not1_b32 s40, s40, exec_lo
	s_and_b32 s41, vcc_lo, exec_lo
	s_delay_alu instid0(SALU_CYCLE_1)
	s_or_b32 s40, s40, s41
	s_or_b32 exec_lo, exec_lo, s39
	v_mov_b32_e32 v1, 0
	s_and_saveexec_b32 s39, s40
	s_cbranch_execnz .LBB348_85
	s_branch .LBB348_86
.LBB348_105:
	s_mov_b32 s26, -1
                                        ; implicit-def: $vgpr1
.LBB348_106:
	s_mov_b32 s40, 0
.LBB348_107:
	s_delay_alu instid0(SALU_CYCLE_1)
	s_and_b32 vcc_lo, exec_lo, s40
	s_cbranch_vccz .LBB348_111
; %bb.108:
	s_cmp_eq_u32 s27, 11
	s_cbranch_scc0 .LBB348_110
; %bb.109:
	s_wait_loadcnt 0x0
	global_load_u8 v1, v[6:7], off
	s_mov_b32 s26, 0
	s_mov_b32 s39, -1
	s_wait_loadcnt 0x0
	v_cmp_ne_u16_e32 vcc_lo, 0, v1
	v_cndmask_b32_e64 v1, 0, 1, vcc_lo
	s_branch .LBB348_111
.LBB348_110:
	s_mov_b32 s26, -1
                                        ; implicit-def: $vgpr1
.LBB348_111:
	s_branch .LBB348_21
.LBB348_112:
	s_and_b32 s0, 0xffff, s0
	s_delay_alu instid0(SALU_CYCLE_1)
	s_cmp_lt_i32 s0, 5
	s_cbranch_scc1 .LBB348_117
; %bb.113:
	s_cmp_lt_i32 s0, 8
	s_cbranch_scc1 .LBB348_118
; %bb.114:
	;; [unrolled: 3-line block ×3, first 2 shown]
	s_cmp_gt_i32 s0, 9
	s_cbranch_scc0 .LBB348_120
; %bb.116:
	global_load_b64 v[8:9], v[6:7], off
	s_mov_b32 s27, 0
	s_wait_loadcnt 0x0
	v_cvt_u32_f64_e32 v1, v[8:9]
	s_branch .LBB348_121
.LBB348_117:
                                        ; implicit-def: $vgpr1
	s_branch .LBB348_139
.LBB348_118:
	s_mov_b32 s27, -1
                                        ; implicit-def: $vgpr1
	s_branch .LBB348_127
.LBB348_119:
	s_mov_b32 s27, -1
                                        ; implicit-def: $vgpr1
	s_branch .LBB348_124
.LBB348_120:
	s_mov_b32 s27, -1
                                        ; implicit-def: $vgpr1
.LBB348_121:
	s_delay_alu instid0(SALU_CYCLE_1)
	s_and_not1_b32 vcc_lo, exec_lo, s27
	s_cbranch_vccnz .LBB348_123
; %bb.122:
	s_wait_loadcnt 0x0
	global_load_b32 v1, v[6:7], off
	s_wait_loadcnt 0x0
	v_cvt_u32_f32_e32 v1, v1
.LBB348_123:
	s_mov_b32 s27, 0
.LBB348_124:
	s_delay_alu instid0(SALU_CYCLE_1)
	s_and_not1_b32 vcc_lo, exec_lo, s27
	s_cbranch_vccnz .LBB348_126
; %bb.125:
	s_wait_loadcnt 0x0
	global_load_b32 v1, v[6:7], off
	s_wait_loadcnt 0x0
	v_cvt_f32_f16_e32 v1, v1
	s_delay_alu instid0(VALU_DEP_1)
	v_cvt_u32_f32_e32 v1, v1
.LBB348_126:
	s_mov_b32 s27, 0
.LBB348_127:
	s_delay_alu instid0(SALU_CYCLE_1)
	s_and_not1_b32 vcc_lo, exec_lo, s27
	s_cbranch_vccnz .LBB348_138
; %bb.128:
	s_cmp_lt_i32 s0, 6
	s_cbranch_scc1 .LBB348_131
; %bb.129:
	s_cmp_gt_i32 s0, 6
	s_cbranch_scc0 .LBB348_132
; %bb.130:
	global_load_b64 v[8:9], v[6:7], off
	s_mov_b32 s27, 0
	s_wait_loadcnt 0x0
	v_cvt_u32_f64_e32 v1, v[8:9]
	s_branch .LBB348_133
.LBB348_131:
	s_mov_b32 s27, -1
                                        ; implicit-def: $vgpr1
	s_branch .LBB348_136
.LBB348_132:
	s_mov_b32 s27, -1
                                        ; implicit-def: $vgpr1
.LBB348_133:
	s_delay_alu instid0(SALU_CYCLE_1)
	s_and_not1_b32 vcc_lo, exec_lo, s27
	s_cbranch_vccnz .LBB348_135
; %bb.134:
	s_wait_loadcnt 0x0
	global_load_b32 v1, v[6:7], off
	s_wait_loadcnt 0x0
	v_cvt_u32_f32_e32 v1, v1
.LBB348_135:
	s_mov_b32 s27, 0
.LBB348_136:
	s_delay_alu instid0(SALU_CYCLE_1)
	s_and_not1_b32 vcc_lo, exec_lo, s27
	s_cbranch_vccnz .LBB348_138
; %bb.137:
	s_wait_loadcnt 0x0
	global_load_u16 v1, v[6:7], off
	s_wait_loadcnt 0x0
	v_cvt_f32_f16_e32 v1, v1
	s_delay_alu instid0(VALU_DEP_1)
	v_cvt_u32_f32_e32 v1, v1
.LBB348_138:
	s_cbranch_execnz .LBB348_158
.LBB348_139:
	s_cmp_lt_i32 s0, 2
	s_cbranch_scc1 .LBB348_143
; %bb.140:
	s_cmp_lt_i32 s0, 3
	s_cbranch_scc1 .LBB348_144
; %bb.141:
	s_cmp_gt_i32 s0, 3
	s_cbranch_scc0 .LBB348_145
; %bb.142:
	s_wait_loadcnt 0x0
	global_load_b32 v1, v[6:7], off
	s_mov_b32 s27, 0
	s_branch .LBB348_146
.LBB348_143:
	s_mov_b32 s27, -1
                                        ; implicit-def: $vgpr1
	s_branch .LBB348_152
.LBB348_144:
	s_mov_b32 s27, -1
                                        ; implicit-def: $vgpr1
	s_branch .LBB348_149
.LBB348_145:
	s_mov_b32 s27, -1
                                        ; implicit-def: $vgpr1
.LBB348_146:
	s_delay_alu instid0(SALU_CYCLE_1)
	s_and_not1_b32 vcc_lo, exec_lo, s27
	s_cbranch_vccnz .LBB348_148
; %bb.147:
	s_wait_loadcnt 0x0
	global_load_b32 v1, v[6:7], off
.LBB348_148:
	s_mov_b32 s27, 0
.LBB348_149:
	s_delay_alu instid0(SALU_CYCLE_1)
	s_and_not1_b32 vcc_lo, exec_lo, s27
	s_cbranch_vccnz .LBB348_151
; %bb.150:
	s_wait_loadcnt 0x0
	global_load_i16 v1, v[6:7], off
.LBB348_151:
	s_mov_b32 s27, 0
.LBB348_152:
	s_delay_alu instid0(SALU_CYCLE_1)
	s_and_not1_b32 vcc_lo, exec_lo, s27
	s_cbranch_vccnz .LBB348_158
; %bb.153:
	s_cmp_gt_i32 s0, 0
	s_mov_b32 s0, 0
	s_cbranch_scc0 .LBB348_155
; %bb.154:
	s_wait_loadcnt 0x0
	global_load_i8 v1, v[6:7], off
	s_branch .LBB348_156
.LBB348_155:
	s_mov_b32 s0, -1
                                        ; implicit-def: $vgpr1
.LBB348_156:
	s_delay_alu instid0(SALU_CYCLE_1)
	s_and_not1_b32 vcc_lo, exec_lo, s0
	s_cbranch_vccnz .LBB348_158
; %bb.157:
	s_wait_loadcnt 0x0
	global_load_u8 v1, v[6:7], off
.LBB348_158:
	s_branch .LBB348_22
.LBB348_159:
	s_mov_b32 s0, 0
	s_mov_b32 s27, 0
	s_branch .LBB348_383
.LBB348_160:
	s_mov_b32 s27, -1
.LBB348_161:
	s_mov_b32 s40, 0
                                        ; implicit-def: $vgpr6
.LBB348_162:
	s_and_b32 vcc_lo, exec_lo, s41
	s_cbranch_vccz .LBB348_277
; %bb.163:
	s_cmp_eq_u32 s39, 44
	s_cbranch_scc0 .LBB348_276
; %bb.164:
	global_load_u8 v3, v[4:5], off
	s_mov_b32 s27, 0
	s_mov_b32 s40, -1
	s_wait_loadcnt 0x0
	v_lshlrev_b32_e32 v6, 23, v3
	v_cmp_ne_u32_e32 vcc_lo, 0, v3
	s_delay_alu instid0(VALU_DEP_2) | instskip(NEXT) | instid1(VALU_DEP_1)
	v_cvt_u32_f32_e32 v6, v6
	v_cndmask_b32_e32 v6, 0, v6, vcc_lo
	s_branch .LBB348_277
.LBB348_165:
	s_mov_b32 s44, -1
	s_mov_b32 s0, 0
	s_mov_b32 s43, 0
.LBB348_166:
	s_and_b32 vcc_lo, exec_lo, s44
	s_cbranch_vccz .LBB348_171
; %bb.167:
	s_cmp_eq_u32 s41, 44
	s_mov_b32 s0, -1
	s_cbranch_scc0 .LBB348_171
; %bb.168:
	v_cndmask_b32_e64 v5, 0, 1.0, s39
	s_mov_b32 s43, exec_lo
	s_wait_xcnt 0x0
	s_delay_alu instid0(VALU_DEP_1) | instskip(NEXT) | instid1(VALU_DEP_1)
	v_dual_mov_b32 v4, 0xff :: v_dual_lshrrev_b32 v1, 23, v5
	v_cmpx_ne_u32_e32 0xff, v1
; %bb.169:
	v_and_b32_e32 v4, 0x400000, v5
	v_and_or_b32 v5, 0x3fffff, v5, v1
	s_delay_alu instid0(VALU_DEP_2) | instskip(NEXT) | instid1(VALU_DEP_2)
	v_cmp_ne_u32_e32 vcc_lo, 0, v4
	v_cmp_ne_u32_e64 s0, 0, v5
	s_and_b32 s0, vcc_lo, s0
	s_delay_alu instid0(SALU_CYCLE_1) | instskip(NEXT) | instid1(VALU_DEP_1)
	v_cndmask_b32_e64 v4, 0, 1, s0
	v_add_nc_u32_e32 v4, v1, v4
; %bb.170:
	s_or_b32 exec_lo, exec_lo, s43
	s_mov_b32 s43, -1
	s_mov_b32 s0, 0
	global_store_b8 v[2:3], v4, off
.LBB348_171:
	s_mov_b32 s44, 0
.LBB348_172:
	s_delay_alu instid0(SALU_CYCLE_1)
	s_and_b32 vcc_lo, exec_lo, s44
	s_cbranch_vccz .LBB348_175
; %bb.173:
	s_cmp_eq_u32 s41, 29
	s_mov_b32 s0, -1
	s_cbranch_scc0 .LBB348_175
; %bb.174:
	s_mov_b32 s0, 0
	s_wait_xcnt 0x0
	v_cndmask_b32_e64 v4, 0, 1, s39
	v_mov_b32_e32 v5, s0
	s_mov_b32 s43, -1
	s_mov_b32 s44, 0
	global_store_b64 v[2:3], v[4:5], off
	s_branch .LBB348_176
.LBB348_175:
	s_mov_b32 s44, 0
.LBB348_176:
	s_delay_alu instid0(SALU_CYCLE_1)
	s_and_b32 vcc_lo, exec_lo, s44
	s_cbranch_vccz .LBB348_192
; %bb.177:
	s_cmp_lt_i32 s41, 27
	s_mov_b32 s43, -1
	s_cbranch_scc1 .LBB348_183
; %bb.178:
	s_cmp_gt_i32 s41, 27
	s_cbranch_scc0 .LBB348_180
; %bb.179:
	s_wait_xcnt 0x0
	v_cndmask_b32_e64 v1, 0, 1, s39
	s_mov_b32 s43, 0
	global_store_b32 v[2:3], v1, off
.LBB348_180:
	s_and_not1_b32 vcc_lo, exec_lo, s43
	s_cbranch_vccnz .LBB348_182
; %bb.181:
	s_wait_xcnt 0x0
	v_cndmask_b32_e64 v1, 0, 1, s39
	global_store_b16 v[2:3], v1, off
.LBB348_182:
	s_mov_b32 s43, 0
.LBB348_183:
	s_delay_alu instid0(SALU_CYCLE_1)
	s_and_not1_b32 vcc_lo, exec_lo, s43
	s_cbranch_vccnz .LBB348_191
; %bb.184:
	s_wait_xcnt 0x0
	v_cndmask_b32_e64 v4, 0, 1.0, s39
	v_mov_b32_e32 v5, 0x80
	s_mov_b32 s43, exec_lo
	s_delay_alu instid0(VALU_DEP_2)
	v_cmpx_gt_u32_e32 0x43800000, v4
	s_cbranch_execz .LBB348_190
; %bb.185:
	s_mov_b32 s44, 0
	s_mov_b32 s45, exec_lo
                                        ; implicit-def: $vgpr1
	v_cmpx_lt_u32_e32 0x3bffffff, v4
	s_xor_b32 s45, exec_lo, s45
	s_cbranch_execz .LBB348_425
; %bb.186:
	v_bfe_u32 v1, v4, 20, 1
	s_mov_b32 s44, exec_lo
	s_delay_alu instid0(VALU_DEP_1) | instskip(NEXT) | instid1(VALU_DEP_1)
	v_add3_u32 v1, v4, v1, 0x487ffff
                                        ; implicit-def: $vgpr4
	v_lshrrev_b32_e32 v1, 20, v1
	s_and_not1_saveexec_b32 s45, s45
	s_cbranch_execnz .LBB348_426
.LBB348_187:
	s_or_b32 exec_lo, exec_lo, s45
	v_mov_b32_e32 v5, 0
	s_and_saveexec_b32 s45, s44
.LBB348_188:
	v_mov_b32_e32 v5, v1
.LBB348_189:
	s_or_b32 exec_lo, exec_lo, s45
.LBB348_190:
	s_delay_alu instid0(SALU_CYCLE_1)
	s_or_b32 exec_lo, exec_lo, s43
	global_store_b8 v[2:3], v5, off
.LBB348_191:
	s_mov_b32 s43, -1
.LBB348_192:
	s_mov_b32 s44, 0
.LBB348_193:
	s_delay_alu instid0(SALU_CYCLE_1)
	s_and_b32 vcc_lo, exec_lo, s44
	s_cbranch_vccz .LBB348_234
; %bb.194:
	s_cmp_gt_i32 s41, 22
	s_mov_b32 s44, -1
	s_cbranch_scc0 .LBB348_226
; %bb.195:
	s_cmp_lt_i32 s41, 24
	s_mov_b32 s43, -1
	s_cbranch_scc1 .LBB348_215
; %bb.196:
	s_cmp_gt_i32 s41, 24
	s_cbranch_scc0 .LBB348_204
; %bb.197:
	s_wait_xcnt 0x0
	v_cndmask_b32_e64 v4, 0, 1.0, s39
	v_mov_b32_e32 v5, 0x80
	s_mov_b32 s43, exec_lo
	s_delay_alu instid0(VALU_DEP_2)
	v_cmpx_gt_u32_e32 0x47800000, v4
	s_cbranch_execz .LBB348_203
; %bb.198:
	s_mov_b32 s44, 0
	s_mov_b32 s45, exec_lo
                                        ; implicit-def: $vgpr1
	v_cmpx_lt_u32_e32 0x37ffffff, v4
	s_xor_b32 s45, exec_lo, s45
	s_cbranch_execz .LBB348_540
; %bb.199:
	v_bfe_u32 v1, v4, 21, 1
	s_mov_b32 s44, exec_lo
	s_delay_alu instid0(VALU_DEP_1) | instskip(NEXT) | instid1(VALU_DEP_1)
	v_add3_u32 v1, v4, v1, 0x88fffff
                                        ; implicit-def: $vgpr4
	v_lshrrev_b32_e32 v1, 21, v1
	s_and_not1_saveexec_b32 s45, s45
	s_cbranch_execnz .LBB348_541
.LBB348_200:
	s_or_b32 exec_lo, exec_lo, s45
	v_mov_b32_e32 v5, 0
	s_and_saveexec_b32 s45, s44
.LBB348_201:
	v_mov_b32_e32 v5, v1
.LBB348_202:
	s_or_b32 exec_lo, exec_lo, s45
.LBB348_203:
	s_delay_alu instid0(SALU_CYCLE_1)
	s_or_b32 exec_lo, exec_lo, s43
	s_mov_b32 s43, 0
	global_store_b8 v[2:3], v5, off
.LBB348_204:
	s_and_b32 vcc_lo, exec_lo, s43
	s_cbranch_vccz .LBB348_214
; %bb.205:
	s_wait_xcnt 0x0
	v_cndmask_b32_e64 v4, 0, 1.0, s39
	s_mov_b32 s43, exec_lo
                                        ; implicit-def: $vgpr1
	s_delay_alu instid0(VALU_DEP_1)
	v_cmpx_gt_u32_e32 0x43f00000, v4
	s_xor_b32 s43, exec_lo, s43
	s_cbranch_execz .LBB348_211
; %bb.206:
	s_mov_b32 s44, exec_lo
                                        ; implicit-def: $vgpr1
	v_cmpx_lt_u32_e32 0x3c7fffff, v4
	s_xor_b32 s44, exec_lo, s44
; %bb.207:
	v_bfe_u32 v1, v4, 20, 1
	s_delay_alu instid0(VALU_DEP_1) | instskip(NEXT) | instid1(VALU_DEP_1)
	v_add3_u32 v1, v4, v1, 0x407ffff
	v_and_b32_e32 v4, 0xff00000, v1
	v_lshrrev_b32_e32 v1, 20, v1
	s_delay_alu instid0(VALU_DEP_2) | instskip(NEXT) | instid1(VALU_DEP_2)
	v_cmp_ne_u32_e32 vcc_lo, 0x7f00000, v4
                                        ; implicit-def: $vgpr4
	v_cndmask_b32_e32 v1, 0x7e, v1, vcc_lo
; %bb.208:
	s_and_not1_saveexec_b32 s44, s44
; %bb.209:
	v_add_f32_e32 v1, 0x46800000, v4
; %bb.210:
	s_or_b32 exec_lo, exec_lo, s44
                                        ; implicit-def: $vgpr4
.LBB348_211:
	s_and_not1_saveexec_b32 s43, s43
; %bb.212:
	v_mov_b32_e32 v1, 0x7f
	v_cmp_lt_u32_e32 vcc_lo, 0x7f800000, v4
	s_delay_alu instid0(VALU_DEP_2)
	v_cndmask_b32_e32 v1, 0x7e, v1, vcc_lo
; %bb.213:
	s_or_b32 exec_lo, exec_lo, s43
	global_store_b8 v[2:3], v1, off
.LBB348_214:
	s_mov_b32 s43, 0
.LBB348_215:
	s_delay_alu instid0(SALU_CYCLE_1)
	s_and_not1_b32 vcc_lo, exec_lo, s43
	s_cbranch_vccnz .LBB348_225
; %bb.216:
	s_wait_xcnt 0x0
	v_cndmask_b32_e64 v4, 0, 1.0, s39
	s_mov_b32 s43, exec_lo
                                        ; implicit-def: $vgpr1
	s_delay_alu instid0(VALU_DEP_1)
	v_cmpx_gt_u32_e32 0x47800000, v4
	s_xor_b32 s43, exec_lo, s43
	s_cbranch_execz .LBB348_222
; %bb.217:
	s_mov_b32 s44, exec_lo
                                        ; implicit-def: $vgpr1
	v_cmpx_lt_u32_e32 0x387fffff, v4
	s_xor_b32 s44, exec_lo, s44
; %bb.218:
	v_bfe_u32 v1, v4, 21, 1
	s_delay_alu instid0(VALU_DEP_1) | instskip(NEXT) | instid1(VALU_DEP_1)
	v_add3_u32 v1, v4, v1, 0x80fffff
                                        ; implicit-def: $vgpr4
	v_lshrrev_b32_e32 v1, 21, v1
; %bb.219:
	s_and_not1_saveexec_b32 s44, s44
; %bb.220:
	v_add_f32_e32 v1, 0x43000000, v4
; %bb.221:
	s_or_b32 exec_lo, exec_lo, s44
                                        ; implicit-def: $vgpr4
.LBB348_222:
	s_and_not1_saveexec_b32 s43, s43
; %bb.223:
	v_mov_b32_e32 v1, 0x7f
	v_cmp_lt_u32_e32 vcc_lo, 0x7f800000, v4
	s_delay_alu instid0(VALU_DEP_2)
	v_cndmask_b32_e32 v1, 0x7c, v1, vcc_lo
; %bb.224:
	s_or_b32 exec_lo, exec_lo, s43
	global_store_b8 v[2:3], v1, off
.LBB348_225:
	s_mov_b32 s44, 0
	s_mov_b32 s43, -1
.LBB348_226:
	s_and_not1_b32 vcc_lo, exec_lo, s44
	s_cbranch_vccnz .LBB348_234
; %bb.227:
	s_cmp_gt_i32 s41, 14
	s_mov_b32 s44, -1
	s_cbranch_scc0 .LBB348_231
; %bb.228:
	s_cmp_eq_u32 s41, 15
	s_mov_b32 s0, -1
	s_cbranch_scc0 .LBB348_230
; %bb.229:
	s_wait_xcnt 0x0
	v_cndmask_b32_e64 v1, 0, 1.0, s39
	s_mov_b32 s43, -1
	s_mov_b32 s0, 0
	s_delay_alu instid0(VALU_DEP_1) | instskip(NEXT) | instid1(VALU_DEP_1)
	v_bfe_u32 v4, v1, 16, 1
	v_add3_u32 v1, v1, v4, 0x7fff
	global_store_d16_hi_b16 v[2:3], v1, off
.LBB348_230:
	s_mov_b32 s44, 0
.LBB348_231:
	s_delay_alu instid0(SALU_CYCLE_1)
	s_and_b32 vcc_lo, exec_lo, s44
	s_cbranch_vccz .LBB348_234
; %bb.232:
	s_cmp_eq_u32 s41, 11
	s_mov_b32 s0, -1
	s_cbranch_scc0 .LBB348_234
; %bb.233:
	s_wait_xcnt 0x0
	v_cndmask_b32_e64 v1, 0, 1, s39
	s_mov_b32 s43, -1
	s_mov_b32 s0, 0
	global_store_b8 v[2:3], v1, off
.LBB348_234:
	s_mov_b32 s41, 0
.LBB348_235:
	s_delay_alu instid0(SALU_CYCLE_1)
	s_and_b32 vcc_lo, exec_lo, s41
	s_cbranch_vccz .LBB348_274
; %bb.236:
	s_and_b32 s40, 0xffff, s40
	s_mov_b32 s41, -1
	s_cmp_lt_i32 s40, 5
	s_cbranch_scc1 .LBB348_257
; %bb.237:
	s_cmp_lt_i32 s40, 8
	s_cbranch_scc1 .LBB348_247
; %bb.238:
	;; [unrolled: 3-line block ×3, first 2 shown]
	s_cmp_gt_i32 s40, 9
	s_cbranch_scc0 .LBB348_241
; %bb.240:
	s_wait_xcnt 0x0
	v_cndmask_b32_e64 v1, 0, 1, s39
	v_mov_b32_e32 v6, 0
	s_mov_b32 s41, 0
	s_delay_alu instid0(VALU_DEP_2) | instskip(NEXT) | instid1(VALU_DEP_2)
	v_cvt_f64_u32_e32 v[4:5], v1
	v_mov_b32_e32 v7, v6
	global_store_b128 v[2:3], v[4:7], off
.LBB348_241:
	s_and_not1_b32 vcc_lo, exec_lo, s41
	s_cbranch_vccnz .LBB348_243
; %bb.242:
	s_wait_xcnt 0x0
	v_cndmask_b32_e64 v4, 0, 1.0, s39
	v_mov_b32_e32 v5, 0
	global_store_b64 v[2:3], v[4:5], off
.LBB348_243:
	s_mov_b32 s41, 0
.LBB348_244:
	s_delay_alu instid0(SALU_CYCLE_1)
	s_and_not1_b32 vcc_lo, exec_lo, s41
	s_cbranch_vccnz .LBB348_246
; %bb.245:
	s_wait_xcnt 0x0
	v_cndmask_b32_e64 v1, 0, 1.0, s39
	s_delay_alu instid0(VALU_DEP_1) | instskip(NEXT) | instid1(VALU_DEP_1)
	v_cvt_f16_f32_e32 v1, v1
	v_and_b32_e32 v1, 0xffff, v1
	global_store_b32 v[2:3], v1, off
.LBB348_246:
	s_mov_b32 s41, 0
.LBB348_247:
	s_delay_alu instid0(SALU_CYCLE_1)
	s_and_not1_b32 vcc_lo, exec_lo, s41
	s_cbranch_vccnz .LBB348_256
; %bb.248:
	s_cmp_lt_i32 s40, 6
	s_mov_b32 s41, -1
	s_cbranch_scc1 .LBB348_254
; %bb.249:
	s_cmp_gt_i32 s40, 6
	s_cbranch_scc0 .LBB348_251
; %bb.250:
	s_wait_xcnt 0x0
	v_cndmask_b32_e64 v1, 0, 1, s39
	s_mov_b32 s41, 0
	s_delay_alu instid0(VALU_DEP_1)
	v_cvt_f64_u32_e32 v[4:5], v1
	global_store_b64 v[2:3], v[4:5], off
.LBB348_251:
	s_and_not1_b32 vcc_lo, exec_lo, s41
	s_cbranch_vccnz .LBB348_253
; %bb.252:
	s_wait_xcnt 0x0
	v_cndmask_b32_e64 v1, 0, 1.0, s39
	global_store_b32 v[2:3], v1, off
.LBB348_253:
	s_mov_b32 s41, 0
.LBB348_254:
	s_delay_alu instid0(SALU_CYCLE_1)
	s_and_not1_b32 vcc_lo, exec_lo, s41
	s_cbranch_vccnz .LBB348_256
; %bb.255:
	s_wait_xcnt 0x0
	v_cndmask_b32_e64 v1, 0, 1.0, s39
	s_delay_alu instid0(VALU_DEP_1)
	v_cvt_f16_f32_e32 v1, v1
	global_store_b16 v[2:3], v1, off
.LBB348_256:
	s_mov_b32 s41, 0
.LBB348_257:
	s_delay_alu instid0(SALU_CYCLE_1)
	s_and_not1_b32 vcc_lo, exec_lo, s41
	s_cbranch_vccnz .LBB348_273
; %bb.258:
	s_cmp_lt_i32 s40, 2
	s_mov_b32 s41, -1
	s_cbranch_scc1 .LBB348_268
; %bb.259:
	s_cmp_lt_i32 s40, 3
	s_cbranch_scc1 .LBB348_265
; %bb.260:
	s_cmp_gt_i32 s40, 3
	s_cbranch_scc0 .LBB348_262
; %bb.261:
	s_mov_b32 s41, 0
	s_wait_xcnt 0x0
	v_cndmask_b32_e64 v4, 0, 1, s39
	v_mov_b32_e32 v5, s41
	global_store_b64 v[2:3], v[4:5], off
.LBB348_262:
	s_and_not1_b32 vcc_lo, exec_lo, s41
	s_cbranch_vccnz .LBB348_264
; %bb.263:
	s_wait_xcnt 0x0
	v_cndmask_b32_e64 v1, 0, 1, s39
	global_store_b32 v[2:3], v1, off
.LBB348_264:
	s_mov_b32 s41, 0
.LBB348_265:
	s_delay_alu instid0(SALU_CYCLE_1)
	s_and_not1_b32 vcc_lo, exec_lo, s41
	s_cbranch_vccnz .LBB348_267
; %bb.266:
	s_wait_xcnt 0x0
	v_cndmask_b32_e64 v1, 0, 1, s39
	global_store_b16 v[2:3], v1, off
.LBB348_267:
	s_mov_b32 s41, 0
.LBB348_268:
	s_delay_alu instid0(SALU_CYCLE_1)
	s_and_not1_b32 vcc_lo, exec_lo, s41
	s_cbranch_vccnz .LBB348_273
; %bb.269:
	s_cmp_gt_i32 s40, 0
	s_mov_b32 s40, -1
	s_cbranch_scc0 .LBB348_271
; %bb.270:
	s_wait_xcnt 0x0
	v_cndmask_b32_e64 v1, 0, 1, s39
	s_mov_b32 s40, 0
	global_store_b8 v[2:3], v1, off
.LBB348_271:
	s_and_not1_b32 vcc_lo, exec_lo, s40
	s_cbranch_vccnz .LBB348_273
; %bb.272:
	s_wait_xcnt 0x0
	v_cndmask_b32_e64 v1, 0, 1, s39
	global_store_b8 v[2:3], v1, off
.LBB348_273:
	s_mov_b32 s43, -1
.LBB348_274:
	s_delay_alu instid0(SALU_CYCLE_1)
	s_and_not1_b32 vcc_lo, exec_lo, s43
	s_cbranch_vccnz .LBB348_383
; %bb.275:
	v_add_nc_u32_e32 v0, 0x80, v0
	s_mov_b32 s43, -1
	s_branch .LBB348_384
.LBB348_276:
	s_mov_b32 s27, -1
                                        ; implicit-def: $vgpr6
.LBB348_277:
	s_mov_b32 s41, 0
.LBB348_278:
	s_delay_alu instid0(SALU_CYCLE_1)
	s_and_b32 vcc_lo, exec_lo, s41
	s_cbranch_vccz .LBB348_282
; %bb.279:
	s_cmp_eq_u32 s39, 29
	s_cbranch_scc0 .LBB348_281
; %bb.280:
	global_load_b32 v6, v[4:5], off
	s_mov_b32 s40, -1
	s_mov_b32 s27, 0
	s_branch .LBB348_282
.LBB348_281:
	s_mov_b32 s27, -1
                                        ; implicit-def: $vgpr6
.LBB348_282:
	s_mov_b32 s41, 0
.LBB348_283:
	s_delay_alu instid0(SALU_CYCLE_1)
	s_and_b32 vcc_lo, exec_lo, s41
	s_cbranch_vccz .LBB348_299
; %bb.284:
	s_cmp_lt_i32 s39, 27
	s_cbranch_scc1 .LBB348_287
; %bb.285:
	s_cmp_gt_i32 s39, 27
	s_cbranch_scc0 .LBB348_288
; %bb.286:
	s_wait_loadcnt 0x0
	global_load_b32 v6, v[4:5], off
	s_mov_b32 s40, 0
	s_branch .LBB348_289
.LBB348_287:
	s_mov_b32 s40, -1
                                        ; implicit-def: $vgpr6
	s_branch .LBB348_292
.LBB348_288:
	s_mov_b32 s40, -1
                                        ; implicit-def: $vgpr6
.LBB348_289:
	s_delay_alu instid0(SALU_CYCLE_1)
	s_and_not1_b32 vcc_lo, exec_lo, s40
	s_cbranch_vccnz .LBB348_291
; %bb.290:
	s_wait_loadcnt 0x0
	global_load_u16 v6, v[4:5], off
.LBB348_291:
	s_mov_b32 s40, 0
.LBB348_292:
	s_delay_alu instid0(SALU_CYCLE_1)
	s_and_not1_b32 vcc_lo, exec_lo, s40
	s_cbranch_vccnz .LBB348_298
; %bb.293:
	global_load_u8 v3, v[4:5], off
	s_mov_b32 s41, 0
	s_mov_b32 s40, exec_lo
	s_wait_loadcnt 0x0
	v_cmpx_lt_i16_e32 0x7f, v3
	s_xor_b32 s40, exec_lo, s40
	s_cbranch_execz .LBB348_310
; %bb.294:
	v_cmp_ne_u16_e32 vcc_lo, 0x80, v3
	s_and_b32 s41, vcc_lo, exec_lo
	s_and_not1_saveexec_b32 s40, s40
	s_cbranch_execnz .LBB348_311
.LBB348_295:
	s_or_b32 exec_lo, exec_lo, s40
	v_mov_b32_e32 v6, 0
	s_and_saveexec_b32 s40, s41
	s_cbranch_execz .LBB348_297
.LBB348_296:
	v_and_b32_e32 v6, 0xffff, v3
	s_delay_alu instid0(VALU_DEP_1) | instskip(SKIP_1) | instid1(VALU_DEP_2)
	v_and_b32_e32 v7, 7, v6
	v_bfe_u32 v10, v6, 3, 4
	v_clz_i32_u32_e32 v8, v7
	s_delay_alu instid0(VALU_DEP_2) | instskip(NEXT) | instid1(VALU_DEP_2)
	v_cmp_eq_u32_e32 vcc_lo, 0, v10
	v_min_u32_e32 v8, 32, v8
	s_delay_alu instid0(VALU_DEP_1) | instskip(NEXT) | instid1(VALU_DEP_1)
	v_subrev_nc_u32_e32 v9, 28, v8
	v_dual_lshlrev_b32 v6, v9, v6 :: v_dual_sub_nc_u32 v8, 29, v8
	s_delay_alu instid0(VALU_DEP_1) | instskip(NEXT) | instid1(VALU_DEP_1)
	v_dual_lshlrev_b32 v3, 24, v3 :: v_dual_bitop2_b32 v6, 7, v6 bitop3:0x40
	v_dual_cndmask_b32 v8, v10, v8, vcc_lo :: v_dual_cndmask_b32 v6, v7, v6, vcc_lo
	s_delay_alu instid0(VALU_DEP_2) | instskip(NEXT) | instid1(VALU_DEP_2)
	v_and_b32_e32 v3, 0x80000000, v3
	v_lshl_add_u32 v7, v8, 23, 0x3b800000
	s_delay_alu instid0(VALU_DEP_3) | instskip(NEXT) | instid1(VALU_DEP_1)
	v_lshlrev_b32_e32 v6, 20, v6
	v_or3_b32 v3, v3, v7, v6
	s_delay_alu instid0(VALU_DEP_1)
	v_cvt_u32_f32_e32 v6, v3
.LBB348_297:
	s_or_b32 exec_lo, exec_lo, s40
.LBB348_298:
	s_mov_b32 s40, -1
.LBB348_299:
	s_mov_b32 s41, 0
.LBB348_300:
	s_delay_alu instid0(SALU_CYCLE_1)
	s_and_b32 vcc_lo, exec_lo, s41
	s_cbranch_vccz .LBB348_333
; %bb.301:
	s_cmp_gt_i32 s39, 22
	s_cbranch_scc0 .LBB348_309
; %bb.302:
	s_cmp_lt_i32 s39, 24
	s_cbranch_scc1 .LBB348_312
; %bb.303:
	s_cmp_gt_i32 s39, 24
	s_cbranch_scc0 .LBB348_313
; %bb.304:
	global_load_u8 v3, v[4:5], off
	s_mov_b32 s41, 0
	s_mov_b32 s40, exec_lo
	s_wait_loadcnt 0x0
	v_cmpx_lt_i16_e32 0x7f, v3
	s_xor_b32 s40, exec_lo, s40
	s_cbranch_execz .LBB348_325
; %bb.305:
	v_cmp_ne_u16_e32 vcc_lo, 0x80, v3
	s_and_b32 s41, vcc_lo, exec_lo
	s_and_not1_saveexec_b32 s40, s40
	s_cbranch_execnz .LBB348_326
.LBB348_306:
	s_or_b32 exec_lo, exec_lo, s40
	v_mov_b32_e32 v6, 0
	s_and_saveexec_b32 s40, s41
	s_cbranch_execz .LBB348_308
.LBB348_307:
	v_and_b32_e32 v6, 0xffff, v3
	s_delay_alu instid0(VALU_DEP_1) | instskip(SKIP_1) | instid1(VALU_DEP_2)
	v_and_b32_e32 v7, 3, v6
	v_bfe_u32 v10, v6, 2, 5
	v_clz_i32_u32_e32 v8, v7
	s_delay_alu instid0(VALU_DEP_2) | instskip(NEXT) | instid1(VALU_DEP_2)
	v_cmp_eq_u32_e32 vcc_lo, 0, v10
	v_min_u32_e32 v8, 32, v8
	s_delay_alu instid0(VALU_DEP_1) | instskip(NEXT) | instid1(VALU_DEP_1)
	v_subrev_nc_u32_e32 v9, 29, v8
	v_dual_lshlrev_b32 v6, v9, v6 :: v_dual_sub_nc_u32 v8, 30, v8
	s_delay_alu instid0(VALU_DEP_1) | instskip(NEXT) | instid1(VALU_DEP_1)
	v_dual_lshlrev_b32 v3, 24, v3 :: v_dual_bitop2_b32 v6, 3, v6 bitop3:0x40
	v_dual_cndmask_b32 v8, v10, v8, vcc_lo :: v_dual_cndmask_b32 v6, v7, v6, vcc_lo
	s_delay_alu instid0(VALU_DEP_2) | instskip(NEXT) | instid1(VALU_DEP_2)
	v_and_b32_e32 v3, 0x80000000, v3
	v_lshl_add_u32 v7, v8, 23, 0x37800000
	s_delay_alu instid0(VALU_DEP_3) | instskip(NEXT) | instid1(VALU_DEP_1)
	v_lshlrev_b32_e32 v6, 21, v6
	v_or3_b32 v3, v3, v7, v6
	s_delay_alu instid0(VALU_DEP_1)
	v_cvt_u32_f32_e32 v6, v3
.LBB348_308:
	s_or_b32 exec_lo, exec_lo, s40
	s_mov_b32 s40, 0
	s_branch .LBB348_314
.LBB348_309:
	s_mov_b32 s41, -1
                                        ; implicit-def: $vgpr6
	s_branch .LBB348_320
.LBB348_310:
	s_and_not1_saveexec_b32 s40, s40
	s_cbranch_execz .LBB348_295
.LBB348_311:
	v_cmp_ne_u16_e32 vcc_lo, 0, v3
	s_and_not1_b32 s41, s41, exec_lo
	s_and_b32 s43, vcc_lo, exec_lo
	s_delay_alu instid0(SALU_CYCLE_1)
	s_or_b32 s41, s41, s43
	s_or_b32 exec_lo, exec_lo, s40
	v_mov_b32_e32 v6, 0
	s_and_saveexec_b32 s40, s41
	s_cbranch_execnz .LBB348_296
	s_branch .LBB348_297
.LBB348_312:
	s_mov_b32 s40, -1
                                        ; implicit-def: $vgpr6
	s_branch .LBB348_317
.LBB348_313:
	s_mov_b32 s40, -1
                                        ; implicit-def: $vgpr6
.LBB348_314:
	s_delay_alu instid0(SALU_CYCLE_1)
	s_and_b32 vcc_lo, exec_lo, s40
	s_cbranch_vccz .LBB348_316
; %bb.315:
	global_load_u8 v3, v[4:5], off
	s_wait_loadcnt 0x0
	v_lshlrev_b32_e32 v3, 24, v3
	s_delay_alu instid0(VALU_DEP_1) | instskip(NEXT) | instid1(VALU_DEP_1)
	v_and_b32_e32 v6, 0x7f000000, v3
	v_clz_i32_u32_e32 v7, v6
	v_cmp_ne_u32_e32 vcc_lo, 0, v6
	v_add_nc_u32_e32 v9, 0x1000000, v6
	s_delay_alu instid0(VALU_DEP_3) | instskip(NEXT) | instid1(VALU_DEP_1)
	v_min_u32_e32 v7, 32, v7
	v_sub_nc_u32_e64 v7, v7, 4 clamp
	s_delay_alu instid0(VALU_DEP_1) | instskip(NEXT) | instid1(VALU_DEP_1)
	v_dual_lshlrev_b32 v8, v7, v6 :: v_dual_lshlrev_b32 v7, 23, v7
	v_lshrrev_b32_e32 v8, 4, v8
	s_delay_alu instid0(VALU_DEP_1) | instskip(NEXT) | instid1(VALU_DEP_1)
	v_dual_sub_nc_u32 v7, v8, v7 :: v_dual_ashrrev_i32 v8, 8, v9
	v_add_nc_u32_e32 v7, 0x3c000000, v7
	s_delay_alu instid0(VALU_DEP_1) | instskip(NEXT) | instid1(VALU_DEP_1)
	v_and_or_b32 v7, 0x7f800000, v8, v7
	v_cndmask_b32_e32 v6, 0, v7, vcc_lo
	s_delay_alu instid0(VALU_DEP_1) | instskip(NEXT) | instid1(VALU_DEP_1)
	v_and_or_b32 v3, 0x80000000, v3, v6
	v_cvt_u32_f32_e32 v6, v3
.LBB348_316:
	s_mov_b32 s40, 0
.LBB348_317:
	s_delay_alu instid0(SALU_CYCLE_1)
	s_and_not1_b32 vcc_lo, exec_lo, s40
	s_cbranch_vccnz .LBB348_319
; %bb.318:
	global_load_u8 v3, v[4:5], off
	s_wait_loadcnt 0x0
	v_lshlrev_b32_e32 v6, 25, v3
	v_lshlrev_b16 v3, 8, v3
	s_delay_alu instid0(VALU_DEP_1) | instskip(SKIP_1) | instid1(VALU_DEP_2)
	v_and_or_b32 v8, 0x7f00, v3, 0.5
	v_bfe_i32 v3, v3, 0, 16
	v_dual_add_f32 v8, -0.5, v8 :: v_dual_lshrrev_b32 v7, 4, v6
	v_cmp_gt_u32_e32 vcc_lo, 0x8000000, v6
	s_delay_alu instid0(VALU_DEP_2) | instskip(NEXT) | instid1(VALU_DEP_1)
	v_or_b32_e32 v7, 0x70000000, v7
	v_mul_f32_e32 v7, 0x7800000, v7
	s_delay_alu instid0(VALU_DEP_1) | instskip(NEXT) | instid1(VALU_DEP_1)
	v_cndmask_b32_e32 v6, v7, v8, vcc_lo
	v_and_or_b32 v3, 0x80000000, v3, v6
	s_delay_alu instid0(VALU_DEP_1)
	v_cvt_u32_f32_e32 v6, v3
.LBB348_319:
	s_mov_b32 s41, 0
	s_mov_b32 s40, -1
.LBB348_320:
	s_and_not1_b32 vcc_lo, exec_lo, s41
	s_cbranch_vccnz .LBB348_333
; %bb.321:
	s_cmp_gt_i32 s39, 14
	s_cbranch_scc0 .LBB348_324
; %bb.322:
	s_cmp_eq_u32 s39, 15
	s_cbranch_scc0 .LBB348_327
; %bb.323:
	global_load_u16 v3, v[4:5], off
	s_mov_b32 s40, -1
	s_mov_b32 s27, 0
	s_wait_loadcnt 0x0
	v_lshlrev_b32_e32 v3, 16, v3
	s_delay_alu instid0(VALU_DEP_1)
	v_cvt_u32_f32_e32 v6, v3
	s_branch .LBB348_328
.LBB348_324:
	s_mov_b32 s41, -1
                                        ; implicit-def: $vgpr6
	s_branch .LBB348_329
.LBB348_325:
	s_and_not1_saveexec_b32 s40, s40
	s_cbranch_execz .LBB348_306
.LBB348_326:
	v_cmp_ne_u16_e32 vcc_lo, 0, v3
	s_and_not1_b32 s41, s41, exec_lo
	s_and_b32 s43, vcc_lo, exec_lo
	s_delay_alu instid0(SALU_CYCLE_1)
	s_or_b32 s41, s41, s43
	s_or_b32 exec_lo, exec_lo, s40
	v_mov_b32_e32 v6, 0
	s_and_saveexec_b32 s40, s41
	s_cbranch_execnz .LBB348_307
	s_branch .LBB348_308
.LBB348_327:
	s_mov_b32 s27, -1
                                        ; implicit-def: $vgpr6
.LBB348_328:
	s_mov_b32 s41, 0
.LBB348_329:
	s_delay_alu instid0(SALU_CYCLE_1)
	s_and_b32 vcc_lo, exec_lo, s41
	s_cbranch_vccz .LBB348_333
; %bb.330:
	s_cmp_eq_u32 s39, 11
	s_cbranch_scc0 .LBB348_332
; %bb.331:
	global_load_u8 v3, v[4:5], off
	s_mov_b32 s27, 0
	s_mov_b32 s40, -1
	s_wait_loadcnt 0x0
	v_cmp_ne_u16_e32 vcc_lo, 0, v3
	v_cndmask_b32_e64 v6, 0, 1, vcc_lo
	s_branch .LBB348_333
.LBB348_332:
	s_mov_b32 s27, -1
                                        ; implicit-def: $vgpr6
.LBB348_333:
	s_branch .LBB348_31
.LBB348_334:
	s_and_b32 s0, 0xffff, s0
	s_delay_alu instid0(SALU_CYCLE_1)
	s_cmp_lt_i32 s0, 5
	s_cbranch_scc1 .LBB348_339
; %bb.335:
	s_cmp_lt_i32 s0, 8
	s_cbranch_scc1 .LBB348_340
; %bb.336:
	;; [unrolled: 3-line block ×3, first 2 shown]
	s_cmp_gt_i32 s0, 9
	s_cbranch_scc0 .LBB348_342
; %bb.338:
	s_wait_loadcnt 0x0
	global_load_b64 v[6:7], v[4:5], off
	s_mov_b32 s39, 0
	s_wait_loadcnt 0x0
	v_cvt_u32_f64_e32 v6, v[6:7]
	s_branch .LBB348_343
.LBB348_339:
	s_mov_b32 s39, -1
                                        ; implicit-def: $vgpr6
	s_branch .LBB348_361
.LBB348_340:
	s_mov_b32 s39, -1
                                        ; implicit-def: $vgpr6
	s_branch .LBB348_349
.LBB348_341:
	s_mov_b32 s39, -1
                                        ; implicit-def: $vgpr6
	s_branch .LBB348_346
.LBB348_342:
	s_mov_b32 s39, -1
                                        ; implicit-def: $vgpr6
.LBB348_343:
	s_delay_alu instid0(SALU_CYCLE_1)
	s_and_not1_b32 vcc_lo, exec_lo, s39
	s_cbranch_vccnz .LBB348_345
; %bb.344:
	global_load_b32 v3, v[4:5], off
	s_wait_loadcnt 0x0
	v_cvt_u32_f32_e32 v6, v3
.LBB348_345:
	s_mov_b32 s39, 0
.LBB348_346:
	s_delay_alu instid0(SALU_CYCLE_1)
	s_and_not1_b32 vcc_lo, exec_lo, s39
	s_cbranch_vccnz .LBB348_348
; %bb.347:
	global_load_b32 v3, v[4:5], off
	s_wait_loadcnt 0x0
	v_cvt_f32_f16_e32 v3, v3
	s_delay_alu instid0(VALU_DEP_1)
	v_cvt_u32_f32_e32 v6, v3
.LBB348_348:
	s_mov_b32 s39, 0
.LBB348_349:
	s_delay_alu instid0(SALU_CYCLE_1)
	s_and_not1_b32 vcc_lo, exec_lo, s39
	s_cbranch_vccnz .LBB348_360
; %bb.350:
	s_cmp_lt_i32 s0, 6
	s_cbranch_scc1 .LBB348_353
; %bb.351:
	s_cmp_gt_i32 s0, 6
	s_cbranch_scc0 .LBB348_354
; %bb.352:
	s_wait_loadcnt 0x0
	global_load_b64 v[6:7], v[4:5], off
	s_mov_b32 s39, 0
	s_wait_loadcnt 0x0
	v_cvt_u32_f64_e32 v6, v[6:7]
	s_branch .LBB348_355
.LBB348_353:
	s_mov_b32 s39, -1
                                        ; implicit-def: $vgpr6
	s_branch .LBB348_358
.LBB348_354:
	s_mov_b32 s39, -1
                                        ; implicit-def: $vgpr6
.LBB348_355:
	s_delay_alu instid0(SALU_CYCLE_1)
	s_and_not1_b32 vcc_lo, exec_lo, s39
	s_cbranch_vccnz .LBB348_357
; %bb.356:
	global_load_b32 v3, v[4:5], off
	s_wait_loadcnt 0x0
	v_cvt_u32_f32_e32 v6, v3
.LBB348_357:
	s_mov_b32 s39, 0
.LBB348_358:
	s_delay_alu instid0(SALU_CYCLE_1)
	s_and_not1_b32 vcc_lo, exec_lo, s39
	s_cbranch_vccnz .LBB348_360
; %bb.359:
	global_load_u16 v3, v[4:5], off
	s_wait_loadcnt 0x0
	v_cvt_f32_f16_e32 v3, v3
	s_delay_alu instid0(VALU_DEP_1)
	v_cvt_u32_f32_e32 v6, v3
.LBB348_360:
	s_mov_b32 s39, 0
.LBB348_361:
	s_delay_alu instid0(SALU_CYCLE_1)
	s_and_not1_b32 vcc_lo, exec_lo, s39
	s_cbranch_vccnz .LBB348_381
; %bb.362:
	s_cmp_lt_i32 s0, 2
	s_cbranch_scc1 .LBB348_366
; %bb.363:
	s_cmp_lt_i32 s0, 3
	s_cbranch_scc1 .LBB348_367
; %bb.364:
	s_cmp_gt_i32 s0, 3
	s_cbranch_scc0 .LBB348_368
; %bb.365:
	s_wait_loadcnt 0x0
	global_load_b32 v6, v[4:5], off
	s_mov_b32 s39, 0
	s_branch .LBB348_369
.LBB348_366:
	s_mov_b32 s39, -1
                                        ; implicit-def: $vgpr6
	s_branch .LBB348_375
.LBB348_367:
	s_mov_b32 s39, -1
                                        ; implicit-def: $vgpr6
	s_branch .LBB348_372
.LBB348_368:
	s_mov_b32 s39, -1
                                        ; implicit-def: $vgpr6
.LBB348_369:
	s_delay_alu instid0(SALU_CYCLE_1)
	s_and_not1_b32 vcc_lo, exec_lo, s39
	s_cbranch_vccnz .LBB348_371
; %bb.370:
	s_wait_loadcnt 0x0
	global_load_b32 v6, v[4:5], off
.LBB348_371:
	s_mov_b32 s39, 0
.LBB348_372:
	s_delay_alu instid0(SALU_CYCLE_1)
	s_and_not1_b32 vcc_lo, exec_lo, s39
	s_cbranch_vccnz .LBB348_374
; %bb.373:
	s_wait_loadcnt 0x0
	global_load_i16 v6, v[4:5], off
.LBB348_374:
	s_mov_b32 s39, 0
.LBB348_375:
	s_delay_alu instid0(SALU_CYCLE_1)
	s_and_not1_b32 vcc_lo, exec_lo, s39
	s_cbranch_vccnz .LBB348_381
; %bb.376:
	s_cmp_gt_i32 s0, 0
	s_mov_b32 s0, 0
	s_cbranch_scc0 .LBB348_378
; %bb.377:
	s_wait_loadcnt 0x0
	global_load_i8 v6, v[4:5], off
	s_branch .LBB348_379
.LBB348_378:
	s_mov_b32 s0, -1
                                        ; implicit-def: $vgpr6
.LBB348_379:
	s_delay_alu instid0(SALU_CYCLE_1)
	s_and_not1_b32 vcc_lo, exec_lo, s0
	s_cbranch_vccnz .LBB348_381
; %bb.380:
	s_wait_loadcnt 0x0
	global_load_u8 v6, v[4:5], off
.LBB348_381:
	s_branch .LBB348_32
.LBB348_382:
	s_mov_b32 s0, 0
.LBB348_383:
	s_mov_b32 s43, 0
                                        ; implicit-def: $vgpr0
.LBB348_384:
	s_and_b32 s39, s0, exec_lo
	s_and_b32 s40, s27, exec_lo
	;; [unrolled: 1-line block ×3, first 2 shown]
	s_or_not1_b32 s27, s43, exec_lo
.LBB348_385:
	s_wait_xcnt 0x0
	s_or_b32 exec_lo, exec_lo, s42
	s_mov_b32 s44, 0
	s_mov_b32 s26, 0
                                        ; implicit-def: $sgpr0
                                        ; implicit-def: $vgpr6_vgpr7
                                        ; implicit-def: $vgpr4
                                        ; implicit-def: $vgpr2
                                        ; implicit-def: $vgpr8
	s_and_saveexec_b32 s42, s27
	s_cbranch_execz .LBB348_393
; %bb.386:
	s_mov_b32 s48, -1
	s_mov_b32 s43, s41
	s_mov_b32 s45, s40
	;; [unrolled: 1-line block ×3, first 2 shown]
	s_mov_b32 s46, exec_lo
	v_cmpx_gt_i32_e64 s37, v0
	s_cbranch_execz .LBB348_781
; %bb.387:
	s_and_not1_b32 vcc_lo, exec_lo, s31
	s_cbranch_vccnz .LBB348_396
; %bb.388:
	s_and_not1_b32 vcc_lo, exec_lo, s38
	s_cbranch_vccnz .LBB348_397
; %bb.389:
	s_wait_loadcnt 0x0
	v_dual_mov_b32 v2, 0 :: v_dual_mov_b32 v1, v0
	v_dual_mov_b32 v6, 0 :: v_dual_mov_b32 v4, 0
	s_add_co_i32 s0, s36, 1
	s_mov_b64 s[26:27], 0xffffffffffffffe8
	s_and_b32 s0, s0, 30
	s_add_nc_u64 s[26:27], s[2:3], s[26:27]
.LBB348_390:                            ; =>This Inner Loop Header: Depth=1
	s_clause 0x1
	s_load_b128 s[48:51], s[26:27], 0x1c
	s_load_b64 s[44:45], s[26:27], 0x2c
	s_add_co_i32 s0, s0, -2
	s_delay_alu instid0(SALU_CYCLE_1) | instskip(SKIP_2) | instid1(VALU_DEP_1)
	s_cmp_eq_u32 s0, 0
	s_wait_kmcnt 0x0
	v_mul_hi_u32 v3, s49, v1
	v_add_nc_u32_e32 v3, v1, v3
	s_delay_alu instid0(VALU_DEP_1) | instskip(NEXT) | instid1(VALU_DEP_1)
	v_lshrrev_b32_e32 v3, s50, v3
	v_mul_hi_u32 v5, s44, v3
	v_mul_lo_u32 v7, v3, s48
	s_clause 0x1
	s_load_b128 s[52:55], s[26:27], 0xdc
	s_load_b64 s[48:49], s[26:27], 0xec
	s_wait_xcnt 0x0
	s_add_nc_u64 s[26:27], s[26:27], 24
	s_delay_alu instid0(VALU_DEP_1) | instskip(NEXT) | instid1(VALU_DEP_1)
	v_dual_add_nc_u32 v5, v3, v5 :: v_dual_sub_nc_u32 v7, v1, v7
	v_lshrrev_b32_e32 v1, s45, v5
	s_wait_kmcnt 0x0
	s_delay_alu instid0(VALU_DEP_2) | instskip(NEXT) | instid1(VALU_DEP_2)
	v_mad_u32 v2, v7, s52, v2
	v_mul_lo_u32 v5, v1, s51
	v_mad_u32 v4, v7, s54, v4
	v_mad_u32 v6, v7, s53, v6
	s_delay_alu instid0(VALU_DEP_3) | instskip(NEXT) | instid1(VALU_DEP_1)
	v_sub_nc_u32_e32 v3, v3, v5
	v_mad_u32 v2, v3, s55, v2
	s_delay_alu instid0(VALU_DEP_4) | instskip(NEXT) | instid1(VALU_DEP_4)
	v_mad_u32 v4, v3, s49, v4
	v_mad_u32 v6, v3, s48, v6
	s_cbranch_scc0 .LBB348_390
; %bb.391:
	s_bitcmp1_b32 s36, 0
	s_cselect_b32 s0, -1, 0
	s_delay_alu instid0(SALU_CYCLE_1)
	s_and_b32 vcc_lo, exec_lo, s0
	s_cbranch_vccnz .LBB348_398
; %bb.392:
	s_clause 0x1
	s_load_b96 s[48:50], s[26:27], 0x1c
	s_load_b96 s[52:54], s[26:27], 0xdc
	s_wait_kmcnt 0x0
	v_mul_hi_u32 v3, s49, v1
	s_delay_alu instid0(VALU_DEP_1) | instskip(NEXT) | instid1(VALU_DEP_1)
	v_add_nc_u32_e32 v3, v1, v3
	v_lshrrev_b32_e32 v3, s50, v3
	s_delay_alu instid0(VALU_DEP_1) | instskip(NEXT) | instid1(VALU_DEP_1)
	v_mul_lo_u32 v3, v3, s48
	v_sub_nc_u32_e32 v1, v1, v3
	s_delay_alu instid0(VALU_DEP_1)
	v_mad_u32 v2, v1, s52, v2
	v_mad_u32 v6, v1, s53, v6
	;; [unrolled: 1-line block ×3, first 2 shown]
	s_branch .LBB348_398
.LBB348_393:
	s_or_b32 exec_lo, exec_lo, s42
	s_mov_b32 s1, 0
	s_and_saveexec_b32 s6, s41
	s_cbranch_execnz .LBB348_1269
.LBB348_394:
	s_or_b32 exec_lo, exec_lo, s6
	s_and_saveexec_b32 s6, s21
	s_delay_alu instid0(SALU_CYCLE_1)
	s_xor_b32 s6, exec_lo, s6
	s_cbranch_execz .LBB348_1270
.LBB348_395:
	s_wait_loadcnt 0x0
	global_load_u8 v0, v[6:7], off
	s_or_b32 s26, s26, exec_lo
	s_wait_loadcnt 0x0
	v_cmp_ne_u16_e32 vcc_lo, 0, v0
	v_cndmask_b32_e64 v8, 0, 1, vcc_lo
	s_wait_xcnt 0x0
	s_or_b32 exec_lo, exec_lo, s6
	s_and_saveexec_b32 s6, s44
	s_cbranch_execz .LBB348_1316
	s_branch .LBB348_1271
.LBB348_396:
                                        ; implicit-def: $vgpr4
                                        ; implicit-def: $vgpr6
                                        ; implicit-def: $vgpr2
	s_branch .LBB348_399
.LBB348_397:
	s_wait_loadcnt 0x0
	v_dual_mov_b32 v4, 0 :: v_dual_mov_b32 v6, 0
	v_mov_b32_e32 v2, 0
.LBB348_398:
	s_cbranch_execnz .LBB348_401
.LBB348_399:
	s_wait_loadcnt 0x0
	v_mov_b32_e32 v1, 0
	s_and_not1_b32 vcc_lo, exec_lo, s35
	s_delay_alu instid0(VALU_DEP_1) | instskip(NEXT) | instid1(VALU_DEP_1)
	v_mul_u64_e32 v[2:3], s[20:21], v[0:1]
	v_add_nc_u32_e32 v2, v0, v3
	s_delay_alu instid0(VALU_DEP_1) | instskip(NEXT) | instid1(VALU_DEP_1)
	v_lshrrev_b32_e32 v8, s14, v2
	v_mul_lo_u32 v2, v8, s12
	s_delay_alu instid0(VALU_DEP_1) | instskip(NEXT) | instid1(VALU_DEP_1)
	v_sub_nc_u32_e32 v3, v0, v2
	v_mul_lo_u32 v2, v3, s16
	v_mul_lo_u32 v4, v3, s18
	;; [unrolled: 1-line block ×3, first 2 shown]
	s_cbranch_vccnz .LBB348_401
; %bb.400:
	v_mov_b32_e32 v9, v1
	s_delay_alu instid0(VALU_DEP_1) | instskip(NEXT) | instid1(VALU_DEP_1)
	v_mul_u64_e32 v[10:11], s[24:25], v[8:9]
	v_add_nc_u32_e32 v1, v8, v11
	s_delay_alu instid0(VALU_DEP_1) | instskip(NEXT) | instid1(VALU_DEP_1)
	v_lshrrev_b32_e32 v1, s1, v1
	v_mul_lo_u32 v1, v1, s15
	s_delay_alu instid0(VALU_DEP_1) | instskip(NEXT) | instid1(VALU_DEP_1)
	v_sub_nc_u32_e32 v1, v8, v1
	v_mad_u32 v2, v1, s19, v2
	v_mad_u32 v6, v1, s22, v6
	;; [unrolled: 1-line block ×3, first 2 shown]
.LBB348_401:
	v_mov_b32_e32 v7, 0
	s_and_b32 s0, s34, 0xff
	s_delay_alu instid0(SALU_CYCLE_1) | instskip(SKIP_1) | instid1(VALU_DEP_1)
	s_cmp_lt_i32 s0, 11
	s_wait_loadcnt 0x0
	v_add_nc_u64_e32 v[6:7], s[6:7], v[6:7]
	s_cbranch_scc1 .LBB348_408
; %bb.402:
	s_and_b32 s27, 0xffff, s0
	s_delay_alu instid0(SALU_CYCLE_1)
	s_cmp_gt_i32 s27, 25
	s_cbranch_scc0 .LBB348_417
; %bb.403:
	s_cmp_gt_i32 s27, 28
	s_cbranch_scc0 .LBB348_419
; %bb.404:
	;; [unrolled: 3-line block ×4, first 2 shown]
	s_cmp_eq_u32 s27, 46
	s_mov_b32 s44, 0
	s_cbranch_scc0 .LBB348_427
; %bb.407:
	global_load_b32 v1, v[6:7], off
	s_mov_b32 s43, -1
	s_mov_b32 s26, 0
	s_wait_loadcnt 0x0
	v_lshlrev_b32_e32 v1, 16, v1
	s_delay_alu instid0(VALU_DEP_1)
	v_cvt_u32_f32_e32 v1, v1
	s_branch .LBB348_429
.LBB348_408:
	s_mov_b32 s43, 0
	s_mov_b32 s26, s41
                                        ; implicit-def: $vgpr1
	s_cbranch_execnz .LBB348_491
.LBB348_409:
	s_and_not1_b32 vcc_lo, exec_lo, s43
	s_cbranch_vccnz .LBB348_539
.LBB348_410:
	v_mov_b32_e32 v5, 0
	s_and_b32 s0, s13, 0xff
	s_delay_alu instid0(SALU_CYCLE_1) | instskip(NEXT) | instid1(VALU_DEP_1)
	s_cmp_lt_i32 s0, 11
	v_add_nc_u64_e32 v[4:5], s[8:9], v[4:5]
	s_cbranch_scc1 .LBB348_418
; %bb.411:
	s_and_b32 s43, 0xffff, s0
	s_delay_alu instid0(SALU_CYCLE_1)
	s_cmp_gt_i32 s43, 25
	s_cbranch_scc0 .LBB348_420
; %bb.412:
	s_cmp_gt_i32 s43, 28
	s_cbranch_scc0 .LBB348_422
; %bb.413:
	;; [unrolled: 3-line block ×4, first 2 shown]
	s_cmp_eq_u32 s43, 46
	s_mov_b32 s45, 0
	s_cbranch_scc0 .LBB348_542
; %bb.416:
	global_load_b32 v3, v[4:5], off
	s_mov_b32 s44, -1
	s_mov_b32 s27, 0
	s_wait_loadcnt 0x0
	v_lshlrev_b32_e32 v3, 16, v3
	s_wait_xcnt 0x1
	s_delay_alu instid0(VALU_DEP_1)
	v_cvt_u32_f32_e32 v6, v3
	s_branch .LBB348_544
.LBB348_417:
	s_mov_b32 s44, -1
	s_mov_b32 s43, 0
	s_mov_b32 s26, s41
                                        ; implicit-def: $vgpr1
	s_branch .LBB348_457
.LBB348_418:
	s_mov_b32 s43, -1
	s_mov_b32 s44, 0
	s_mov_b32 s27, s40
                                        ; implicit-def: $vgpr6
	s_branch .LBB348_605
.LBB348_419:
	s_mov_b32 s44, -1
	s_mov_b32 s43, 0
	s_mov_b32 s26, s41
                                        ; implicit-def: $vgpr1
	s_branch .LBB348_440
.LBB348_420:
	s_mov_b32 s45, -1
	s_mov_b32 s44, 0
	s_mov_b32 s27, s40
                                        ; implicit-def: $vgpr6
	s_branch .LBB348_571
.LBB348_421:
	s_mov_b32 s44, -1
	s_mov_b32 s43, 0
	s_mov_b32 s26, s41
                                        ; implicit-def: $vgpr1
	s_branch .LBB348_435
.LBB348_422:
	s_mov_b32 s45, -1
	s_mov_b32 s44, 0
	s_mov_b32 s27, s40
                                        ; implicit-def: $vgpr6
	s_branch .LBB348_554
.LBB348_423:
	s_mov_b32 s44, -1
	s_mov_b32 s43, 0
	s_mov_b32 s26, s41
	s_branch .LBB348_428
.LBB348_424:
	s_mov_b32 s45, -1
	s_mov_b32 s44, 0
	s_mov_b32 s27, s40
                                        ; implicit-def: $vgpr6
	s_branch .LBB348_549
.LBB348_425:
	s_and_not1_saveexec_b32 s45, s45
	s_cbranch_execz .LBB348_187
.LBB348_426:
	v_add_f32_e32 v1, 0x46000000, v4
	s_and_not1_b32 s44, s44, exec_lo
	s_delay_alu instid0(VALU_DEP_1) | instskip(NEXT) | instid1(VALU_DEP_1)
	v_and_b32_e32 v1, 0xff, v1
	v_cmp_ne_u32_e32 vcc_lo, 0, v1
	s_and_b32 s46, vcc_lo, exec_lo
	s_delay_alu instid0(SALU_CYCLE_1)
	s_or_b32 s44, s44, s46
	s_or_b32 exec_lo, exec_lo, s45
	v_mov_b32_e32 v5, 0
	s_and_saveexec_b32 s45, s44
	s_cbranch_execnz .LBB348_188
	s_branch .LBB348_189
.LBB348_427:
	s_mov_b32 s26, -1
	s_mov_b32 s43, 0
.LBB348_428:
                                        ; implicit-def: $vgpr1
.LBB348_429:
	s_and_b32 vcc_lo, exec_lo, s44
	s_cbranch_vccz .LBB348_434
; %bb.430:
	s_cmp_eq_u32 s27, 44
	s_cbranch_scc0 .LBB348_433
; %bb.431:
	global_load_u8 v1, v[6:7], off
	s_mov_b32 s26, 0
	s_mov_b32 s43, -1
	s_wait_loadcnt 0x0
	v_lshlrev_b32_e32 v3, 23, v1
	v_cmp_ne_u32_e32 vcc_lo, 0, v1
	s_delay_alu instid0(VALU_DEP_2) | instskip(NEXT) | instid1(VALU_DEP_1)
	v_cvt_u32_f32_e32 v3, v3
	v_cndmask_b32_e32 v1, 0, v3, vcc_lo
	s_branch .LBB348_434
.LBB348_432:
	s_mov_b32 s45, -1
	s_mov_b32 s44, 0
	s_mov_b32 s27, s40
	s_branch .LBB348_543
.LBB348_433:
	s_mov_b32 s26, -1
                                        ; implicit-def: $vgpr1
.LBB348_434:
	s_mov_b32 s44, 0
.LBB348_435:
	s_delay_alu instid0(SALU_CYCLE_1)
	s_and_b32 vcc_lo, exec_lo, s44
	s_cbranch_vccz .LBB348_439
; %bb.436:
	s_cmp_eq_u32 s27, 29
	s_cbranch_scc0 .LBB348_438
; %bb.437:
	global_load_b32 v1, v[6:7], off
	s_mov_b32 s43, -1
	s_mov_b32 s26, 0
	s_branch .LBB348_439
.LBB348_438:
	s_mov_b32 s26, -1
                                        ; implicit-def: $vgpr1
.LBB348_439:
	s_mov_b32 s44, 0
.LBB348_440:
	s_delay_alu instid0(SALU_CYCLE_1)
	s_and_b32 vcc_lo, exec_lo, s44
	s_cbranch_vccz .LBB348_456
; %bb.441:
	s_cmp_lt_i32 s27, 27
	s_cbranch_scc1 .LBB348_444
; %bb.442:
	s_cmp_gt_i32 s27, 27
	s_cbranch_scc0 .LBB348_445
; %bb.443:
	s_wait_loadcnt 0x0
	global_load_b32 v1, v[6:7], off
	s_mov_b32 s43, 0
	s_branch .LBB348_446
.LBB348_444:
	s_mov_b32 s43, -1
                                        ; implicit-def: $vgpr1
	s_branch .LBB348_449
.LBB348_445:
	s_mov_b32 s43, -1
                                        ; implicit-def: $vgpr1
.LBB348_446:
	s_delay_alu instid0(SALU_CYCLE_1)
	s_and_not1_b32 vcc_lo, exec_lo, s43
	s_cbranch_vccnz .LBB348_448
; %bb.447:
	s_wait_loadcnt 0x0
	global_load_u16 v1, v[6:7], off
.LBB348_448:
	s_mov_b32 s43, 0
.LBB348_449:
	s_delay_alu instid0(SALU_CYCLE_1)
	s_and_not1_b32 vcc_lo, exec_lo, s43
	s_cbranch_vccnz .LBB348_455
; %bb.450:
	global_load_u8 v3, v[6:7], off
	s_mov_b32 s44, 0
	s_mov_b32 s43, exec_lo
	s_wait_loadcnt 0x0
	v_cmpx_lt_i16_e32 0x7f, v3
	s_xor_b32 s43, exec_lo, s43
	s_cbranch_execz .LBB348_467
; %bb.451:
	v_cmp_ne_u16_e32 vcc_lo, 0x80, v3
	s_and_b32 s44, vcc_lo, exec_lo
	s_and_not1_saveexec_b32 s43, s43
	s_cbranch_execnz .LBB348_468
.LBB348_452:
	s_or_b32 exec_lo, exec_lo, s43
	v_mov_b32_e32 v1, 0
	s_and_saveexec_b32 s43, s44
	s_cbranch_execz .LBB348_454
.LBB348_453:
	v_and_b32_e32 v1, 0xffff, v3
	s_delay_alu instid0(VALU_DEP_1) | instskip(SKIP_1) | instid1(VALU_DEP_2)
	v_and_b32_e32 v5, 7, v1
	v_bfe_u32 v10, v1, 3, 4
	v_clz_i32_u32_e32 v8, v5
	s_delay_alu instid0(VALU_DEP_2) | instskip(NEXT) | instid1(VALU_DEP_2)
	v_cmp_eq_u32_e32 vcc_lo, 0, v10
	v_min_u32_e32 v8, 32, v8
	s_delay_alu instid0(VALU_DEP_1) | instskip(NEXT) | instid1(VALU_DEP_1)
	v_subrev_nc_u32_e32 v9, 28, v8
	v_dual_lshlrev_b32 v1, v9, v1 :: v_dual_sub_nc_u32 v8, 29, v8
	s_delay_alu instid0(VALU_DEP_1) | instskip(NEXT) | instid1(VALU_DEP_1)
	v_dual_lshlrev_b32 v3, 24, v3 :: v_dual_bitop2_b32 v1, 7, v1 bitop3:0x40
	v_dual_cndmask_b32 v8, v10, v8 :: v_dual_cndmask_b32 v1, v5, v1
	s_delay_alu instid0(VALU_DEP_2) | instskip(NEXT) | instid1(VALU_DEP_2)
	v_and_b32_e32 v3, 0x80000000, v3
	v_lshl_add_u32 v5, v8, 23, 0x3b800000
	s_delay_alu instid0(VALU_DEP_3) | instskip(NEXT) | instid1(VALU_DEP_1)
	v_lshlrev_b32_e32 v1, 20, v1
	v_or3_b32 v1, v3, v5, v1
	s_delay_alu instid0(VALU_DEP_1)
	v_cvt_u32_f32_e32 v1, v1
.LBB348_454:
	s_or_b32 exec_lo, exec_lo, s43
.LBB348_455:
	s_mov_b32 s43, -1
.LBB348_456:
	s_mov_b32 s44, 0
.LBB348_457:
	s_delay_alu instid0(SALU_CYCLE_1)
	s_and_b32 vcc_lo, exec_lo, s44
	s_cbranch_vccz .LBB348_490
; %bb.458:
	s_cmp_gt_i32 s27, 22
	s_cbranch_scc0 .LBB348_466
; %bb.459:
	s_cmp_lt_i32 s27, 24
	s_cbranch_scc1 .LBB348_469
; %bb.460:
	s_cmp_gt_i32 s27, 24
	s_cbranch_scc0 .LBB348_470
; %bb.461:
	global_load_u8 v3, v[6:7], off
	s_mov_b32 s44, 0
	s_mov_b32 s43, exec_lo
	s_wait_loadcnt 0x0
	v_cmpx_lt_i16_e32 0x7f, v3
	s_xor_b32 s43, exec_lo, s43
	s_cbranch_execz .LBB348_482
; %bb.462:
	v_cmp_ne_u16_e32 vcc_lo, 0x80, v3
	s_and_b32 s44, vcc_lo, exec_lo
	s_and_not1_saveexec_b32 s43, s43
	s_cbranch_execnz .LBB348_483
.LBB348_463:
	s_or_b32 exec_lo, exec_lo, s43
	v_mov_b32_e32 v1, 0
	s_and_saveexec_b32 s43, s44
	s_cbranch_execz .LBB348_465
.LBB348_464:
	v_and_b32_e32 v1, 0xffff, v3
	s_delay_alu instid0(VALU_DEP_1) | instskip(SKIP_1) | instid1(VALU_DEP_2)
	v_and_b32_e32 v5, 3, v1
	v_bfe_u32 v10, v1, 2, 5
	v_clz_i32_u32_e32 v8, v5
	s_delay_alu instid0(VALU_DEP_2) | instskip(NEXT) | instid1(VALU_DEP_2)
	v_cmp_eq_u32_e32 vcc_lo, 0, v10
	v_min_u32_e32 v8, 32, v8
	s_delay_alu instid0(VALU_DEP_1) | instskip(NEXT) | instid1(VALU_DEP_1)
	v_subrev_nc_u32_e32 v9, 29, v8
	v_dual_lshlrev_b32 v1, v9, v1 :: v_dual_sub_nc_u32 v8, 30, v8
	s_delay_alu instid0(VALU_DEP_1) | instskip(NEXT) | instid1(VALU_DEP_1)
	v_dual_lshlrev_b32 v3, 24, v3 :: v_dual_bitop2_b32 v1, 3, v1 bitop3:0x40
	v_dual_cndmask_b32 v8, v10, v8 :: v_dual_cndmask_b32 v1, v5, v1
	s_delay_alu instid0(VALU_DEP_2) | instskip(NEXT) | instid1(VALU_DEP_2)
	v_and_b32_e32 v3, 0x80000000, v3
	v_lshl_add_u32 v5, v8, 23, 0x37800000
	s_delay_alu instid0(VALU_DEP_3) | instskip(NEXT) | instid1(VALU_DEP_1)
	v_lshlrev_b32_e32 v1, 21, v1
	v_or3_b32 v1, v3, v5, v1
	s_delay_alu instid0(VALU_DEP_1)
	v_cvt_u32_f32_e32 v1, v1
.LBB348_465:
	s_or_b32 exec_lo, exec_lo, s43
	s_mov_b32 s43, 0
	s_branch .LBB348_471
.LBB348_466:
	s_mov_b32 s44, -1
                                        ; implicit-def: $vgpr1
	s_branch .LBB348_477
.LBB348_467:
	s_and_not1_saveexec_b32 s43, s43
	s_cbranch_execz .LBB348_452
.LBB348_468:
	v_cmp_ne_u16_e32 vcc_lo, 0, v3
	s_and_not1_b32 s44, s44, exec_lo
	s_and_b32 s45, vcc_lo, exec_lo
	s_delay_alu instid0(SALU_CYCLE_1)
	s_or_b32 s44, s44, s45
	s_or_b32 exec_lo, exec_lo, s43
	v_mov_b32_e32 v1, 0
	s_and_saveexec_b32 s43, s44
	s_cbranch_execnz .LBB348_453
	s_branch .LBB348_454
.LBB348_469:
	s_mov_b32 s43, -1
                                        ; implicit-def: $vgpr1
	s_branch .LBB348_474
.LBB348_470:
	s_mov_b32 s43, -1
                                        ; implicit-def: $vgpr1
.LBB348_471:
	s_delay_alu instid0(SALU_CYCLE_1)
	s_and_b32 vcc_lo, exec_lo, s43
	s_cbranch_vccz .LBB348_473
; %bb.472:
	s_wait_loadcnt 0x0
	global_load_u8 v1, v[6:7], off
	s_wait_loadcnt 0x0
	v_lshlrev_b32_e32 v1, 24, v1
	s_delay_alu instid0(VALU_DEP_1) | instskip(NEXT) | instid1(VALU_DEP_1)
	v_and_b32_e32 v3, 0x7f000000, v1
	v_clz_i32_u32_e32 v5, v3
	v_add_nc_u32_e32 v9, 0x1000000, v3
	v_cmp_ne_u32_e32 vcc_lo, 0, v3
	s_delay_alu instid0(VALU_DEP_3) | instskip(NEXT) | instid1(VALU_DEP_1)
	v_min_u32_e32 v5, 32, v5
	v_sub_nc_u32_e64 v5, v5, 4 clamp
	s_delay_alu instid0(VALU_DEP_1) | instskip(NEXT) | instid1(VALU_DEP_1)
	v_dual_lshlrev_b32 v8, v5, v3 :: v_dual_lshlrev_b32 v5, 23, v5
	v_lshrrev_b32_e32 v8, 4, v8
	s_delay_alu instid0(VALU_DEP_1) | instskip(SKIP_1) | instid1(VALU_DEP_2)
	v_sub_nc_u32_e32 v5, v8, v5
	v_ashrrev_i32_e32 v8, 8, v9
	v_add_nc_u32_e32 v5, 0x3c000000, v5
	s_delay_alu instid0(VALU_DEP_1) | instskip(NEXT) | instid1(VALU_DEP_1)
	v_and_or_b32 v5, 0x7f800000, v8, v5
	v_cndmask_b32_e32 v3, 0, v5, vcc_lo
	s_delay_alu instid0(VALU_DEP_1) | instskip(NEXT) | instid1(VALU_DEP_1)
	v_and_or_b32 v1, 0x80000000, v1, v3
	v_cvt_u32_f32_e32 v1, v1
.LBB348_473:
	s_mov_b32 s43, 0
.LBB348_474:
	s_delay_alu instid0(SALU_CYCLE_1)
	s_and_not1_b32 vcc_lo, exec_lo, s43
	s_cbranch_vccnz .LBB348_476
; %bb.475:
	s_wait_loadcnt 0x0
	global_load_u8 v1, v[6:7], off
	s_wait_loadcnt 0x0
	v_lshlrev_b32_e32 v3, 25, v1
	v_lshlrev_b16 v1, 8, v1
	s_delay_alu instid0(VALU_DEP_1) | instskip(SKIP_1) | instid1(VALU_DEP_2)
	v_and_or_b32 v8, 0x7f00, v1, 0.5
	v_bfe_i32 v1, v1, 0, 16
	v_dual_add_f32 v8, -0.5, v8 :: v_dual_lshrrev_b32 v5, 4, v3
	v_cmp_gt_u32_e32 vcc_lo, 0x8000000, v3
	s_delay_alu instid0(VALU_DEP_2) | instskip(NEXT) | instid1(VALU_DEP_1)
	v_or_b32_e32 v5, 0x70000000, v5
	v_mul_f32_e32 v5, 0x7800000, v5
	s_delay_alu instid0(VALU_DEP_1) | instskip(NEXT) | instid1(VALU_DEP_1)
	v_cndmask_b32_e32 v3, v5, v8, vcc_lo
	v_and_or_b32 v1, 0x80000000, v1, v3
	s_delay_alu instid0(VALU_DEP_1)
	v_cvt_u32_f32_e32 v1, v1
.LBB348_476:
	s_mov_b32 s44, 0
	s_mov_b32 s43, -1
.LBB348_477:
	s_and_not1_b32 vcc_lo, exec_lo, s44
	s_cbranch_vccnz .LBB348_490
; %bb.478:
	s_cmp_gt_i32 s27, 14
	s_cbranch_scc0 .LBB348_481
; %bb.479:
	s_cmp_eq_u32 s27, 15
	s_cbranch_scc0 .LBB348_484
; %bb.480:
	s_wait_loadcnt 0x0
	global_load_u16 v1, v[6:7], off
	s_mov_b32 s43, -1
	s_mov_b32 s26, 0
	s_wait_loadcnt 0x0
	v_lshlrev_b32_e32 v1, 16, v1
	s_delay_alu instid0(VALU_DEP_1)
	v_cvt_u32_f32_e32 v1, v1
	s_branch .LBB348_485
.LBB348_481:
	s_mov_b32 s44, -1
                                        ; implicit-def: $vgpr1
	s_branch .LBB348_486
.LBB348_482:
	s_and_not1_saveexec_b32 s43, s43
	s_cbranch_execz .LBB348_463
.LBB348_483:
	v_cmp_ne_u16_e32 vcc_lo, 0, v3
	s_and_not1_b32 s44, s44, exec_lo
	s_and_b32 s45, vcc_lo, exec_lo
	s_delay_alu instid0(SALU_CYCLE_1)
	s_or_b32 s44, s44, s45
	s_or_b32 exec_lo, exec_lo, s43
	v_mov_b32_e32 v1, 0
	s_and_saveexec_b32 s43, s44
	s_cbranch_execnz .LBB348_464
	s_branch .LBB348_465
.LBB348_484:
	s_mov_b32 s26, -1
                                        ; implicit-def: $vgpr1
.LBB348_485:
	s_mov_b32 s44, 0
.LBB348_486:
	s_delay_alu instid0(SALU_CYCLE_1)
	s_and_b32 vcc_lo, exec_lo, s44
	s_cbranch_vccz .LBB348_490
; %bb.487:
	s_cmp_eq_u32 s27, 11
	s_cbranch_scc0 .LBB348_489
; %bb.488:
	s_wait_loadcnt 0x0
	global_load_u8 v1, v[6:7], off
	s_mov_b32 s26, 0
	s_mov_b32 s43, -1
	s_wait_loadcnt 0x0
	v_cmp_ne_u16_e32 vcc_lo, 0, v1
	v_cndmask_b32_e64 v1, 0, 1, vcc_lo
	s_branch .LBB348_490
.LBB348_489:
	s_mov_b32 s26, -1
                                        ; implicit-def: $vgpr1
.LBB348_490:
	s_branch .LBB348_409
.LBB348_491:
	s_and_b32 s0, 0xffff, s0
	s_delay_alu instid0(SALU_CYCLE_1)
	s_cmp_lt_i32 s0, 5
	s_cbranch_scc1 .LBB348_496
; %bb.492:
	s_cmp_lt_i32 s0, 8
	s_cbranch_scc1 .LBB348_497
; %bb.493:
	s_cmp_lt_i32 s0, 9
	s_cbranch_scc1 .LBB348_498
; %bb.494:
	s_cmp_gt_i32 s0, 9
	s_cbranch_scc0 .LBB348_499
; %bb.495:
	global_load_b64 v[8:9], v[6:7], off
	s_mov_b32 s27, 0
	s_wait_loadcnt 0x0
	v_cvt_u32_f64_e32 v1, v[8:9]
	s_branch .LBB348_500
.LBB348_496:
	s_mov_b32 s27, -1
                                        ; implicit-def: $vgpr1
	s_branch .LBB348_518
.LBB348_497:
	s_mov_b32 s27, -1
                                        ; implicit-def: $vgpr1
	s_branch .LBB348_506
.LBB348_498:
	s_mov_b32 s27, -1
                                        ; implicit-def: $vgpr1
	s_branch .LBB348_503
.LBB348_499:
	s_mov_b32 s27, -1
                                        ; implicit-def: $vgpr1
.LBB348_500:
	s_delay_alu instid0(SALU_CYCLE_1)
	s_and_not1_b32 vcc_lo, exec_lo, s27
	s_cbranch_vccnz .LBB348_502
; %bb.501:
	s_wait_loadcnt 0x0
	global_load_b32 v1, v[6:7], off
	s_wait_loadcnt 0x0
	v_cvt_u32_f32_e32 v1, v1
.LBB348_502:
	s_mov_b32 s27, 0
.LBB348_503:
	s_delay_alu instid0(SALU_CYCLE_1)
	s_and_not1_b32 vcc_lo, exec_lo, s27
	s_cbranch_vccnz .LBB348_505
; %bb.504:
	s_wait_loadcnt 0x0
	global_load_b32 v1, v[6:7], off
	s_wait_loadcnt 0x0
	v_cvt_f32_f16_e32 v1, v1
	s_delay_alu instid0(VALU_DEP_1)
	v_cvt_u32_f32_e32 v1, v1
.LBB348_505:
	s_mov_b32 s27, 0
.LBB348_506:
	s_delay_alu instid0(SALU_CYCLE_1)
	s_and_not1_b32 vcc_lo, exec_lo, s27
	s_cbranch_vccnz .LBB348_517
; %bb.507:
	s_cmp_lt_i32 s0, 6
	s_cbranch_scc1 .LBB348_510
; %bb.508:
	s_cmp_gt_i32 s0, 6
	s_cbranch_scc0 .LBB348_511
; %bb.509:
	global_load_b64 v[8:9], v[6:7], off
	s_mov_b32 s27, 0
	s_wait_loadcnt 0x0
	v_cvt_u32_f64_e32 v1, v[8:9]
	s_branch .LBB348_512
.LBB348_510:
	s_mov_b32 s27, -1
                                        ; implicit-def: $vgpr1
	s_branch .LBB348_515
.LBB348_511:
	s_mov_b32 s27, -1
                                        ; implicit-def: $vgpr1
.LBB348_512:
	s_delay_alu instid0(SALU_CYCLE_1)
	s_and_not1_b32 vcc_lo, exec_lo, s27
	s_cbranch_vccnz .LBB348_514
; %bb.513:
	s_wait_loadcnt 0x0
	global_load_b32 v1, v[6:7], off
	s_wait_loadcnt 0x0
	v_cvt_u32_f32_e32 v1, v1
.LBB348_514:
	s_mov_b32 s27, 0
.LBB348_515:
	s_delay_alu instid0(SALU_CYCLE_1)
	s_and_not1_b32 vcc_lo, exec_lo, s27
	s_cbranch_vccnz .LBB348_517
; %bb.516:
	s_wait_loadcnt 0x0
	global_load_u16 v1, v[6:7], off
	s_wait_loadcnt 0x0
	v_cvt_f32_f16_e32 v1, v1
	s_delay_alu instid0(VALU_DEP_1)
	v_cvt_u32_f32_e32 v1, v1
.LBB348_517:
	s_mov_b32 s27, 0
.LBB348_518:
	s_delay_alu instid0(SALU_CYCLE_1)
	s_and_not1_b32 vcc_lo, exec_lo, s27
	s_cbranch_vccnz .LBB348_538
; %bb.519:
	s_cmp_lt_i32 s0, 2
	s_cbranch_scc1 .LBB348_523
; %bb.520:
	s_cmp_lt_i32 s0, 3
	s_cbranch_scc1 .LBB348_524
; %bb.521:
	s_cmp_gt_i32 s0, 3
	s_cbranch_scc0 .LBB348_525
; %bb.522:
	s_wait_loadcnt 0x0
	global_load_b32 v1, v[6:7], off
	s_mov_b32 s27, 0
	s_branch .LBB348_526
.LBB348_523:
	s_mov_b32 s27, -1
                                        ; implicit-def: $vgpr1
	s_branch .LBB348_532
.LBB348_524:
	s_mov_b32 s27, -1
                                        ; implicit-def: $vgpr1
	s_branch .LBB348_529
.LBB348_525:
	s_mov_b32 s27, -1
                                        ; implicit-def: $vgpr1
.LBB348_526:
	s_delay_alu instid0(SALU_CYCLE_1)
	s_and_not1_b32 vcc_lo, exec_lo, s27
	s_cbranch_vccnz .LBB348_528
; %bb.527:
	s_wait_loadcnt 0x0
	global_load_b32 v1, v[6:7], off
.LBB348_528:
	s_mov_b32 s27, 0
.LBB348_529:
	s_delay_alu instid0(SALU_CYCLE_1)
	s_and_not1_b32 vcc_lo, exec_lo, s27
	s_cbranch_vccnz .LBB348_531
; %bb.530:
	s_wait_loadcnt 0x0
	global_load_i16 v1, v[6:7], off
.LBB348_531:
	s_mov_b32 s27, 0
.LBB348_532:
	s_delay_alu instid0(SALU_CYCLE_1)
	s_and_not1_b32 vcc_lo, exec_lo, s27
	s_cbranch_vccnz .LBB348_538
; %bb.533:
	s_cmp_gt_i32 s0, 0
	s_mov_b32 s0, 0
	s_cbranch_scc0 .LBB348_535
; %bb.534:
	s_wait_loadcnt 0x0
	global_load_i8 v1, v[6:7], off
	s_branch .LBB348_536
.LBB348_535:
	s_mov_b32 s0, -1
                                        ; implicit-def: $vgpr1
.LBB348_536:
	s_delay_alu instid0(SALU_CYCLE_1)
	s_and_not1_b32 vcc_lo, exec_lo, s0
	s_cbranch_vccnz .LBB348_538
; %bb.537:
	s_wait_loadcnt 0x0
	global_load_u8 v1, v[6:7], off
.LBB348_538:
	s_branch .LBB348_410
.LBB348_539:
	s_mov_b32 s47, 0
	s_mov_b32 s0, s39
	;; [unrolled: 1-line block ×3, first 2 shown]
	s_branch .LBB348_779
.LBB348_540:
	s_and_not1_saveexec_b32 s45, s45
	s_cbranch_execz .LBB348_200
.LBB348_541:
	v_add_f32_e32 v1, 0x42800000, v4
	s_and_not1_b32 s44, s44, exec_lo
	s_delay_alu instid0(VALU_DEP_1) | instskip(NEXT) | instid1(VALU_DEP_1)
	v_and_b32_e32 v1, 0xff, v1
	v_cmp_ne_u32_e32 vcc_lo, 0, v1
	s_and_b32 s46, vcc_lo, exec_lo
	s_delay_alu instid0(SALU_CYCLE_1)
	s_or_b32 s44, s44, s46
	s_or_b32 exec_lo, exec_lo, s45
	v_mov_b32_e32 v5, 0
	s_and_saveexec_b32 s45, s44
	s_cbranch_execnz .LBB348_201
	s_branch .LBB348_202
.LBB348_542:
	s_mov_b32 s27, -1
	s_mov_b32 s44, 0
.LBB348_543:
                                        ; implicit-def: $vgpr6
.LBB348_544:
	s_and_b32 vcc_lo, exec_lo, s45
	s_cbranch_vccz .LBB348_548
; %bb.545:
	s_cmp_eq_u32 s43, 44
	s_cbranch_scc0 .LBB348_547
; %bb.546:
	global_load_u8 v3, v[4:5], off
	s_mov_b32 s27, 0
	s_mov_b32 s44, -1
	s_wait_loadcnt 0x0
	s_wait_xcnt 0x1
	v_lshlrev_b32_e32 v6, 23, v3
	v_cmp_ne_u32_e32 vcc_lo, 0, v3
	s_delay_alu instid0(VALU_DEP_2) | instskip(NEXT) | instid1(VALU_DEP_1)
	v_cvt_u32_f32_e32 v6, v6
	v_cndmask_b32_e32 v6, 0, v6, vcc_lo
	s_branch .LBB348_548
.LBB348_547:
	s_mov_b32 s27, -1
                                        ; implicit-def: $vgpr6
.LBB348_548:
	s_mov_b32 s45, 0
.LBB348_549:
	s_delay_alu instid0(SALU_CYCLE_1)
	s_and_b32 vcc_lo, exec_lo, s45
	s_cbranch_vccz .LBB348_553
; %bb.550:
	s_cmp_eq_u32 s43, 29
	s_cbranch_scc0 .LBB348_552
; %bb.551:
	global_load_b32 v6, v[4:5], off
	s_mov_b32 s44, -1
	s_mov_b32 s27, 0
	s_branch .LBB348_553
.LBB348_552:
	s_mov_b32 s27, -1
                                        ; implicit-def: $vgpr6
.LBB348_553:
	s_mov_b32 s45, 0
.LBB348_554:
	s_delay_alu instid0(SALU_CYCLE_1)
	s_and_b32 vcc_lo, exec_lo, s45
	s_cbranch_vccz .LBB348_570
; %bb.555:
	s_cmp_lt_i32 s43, 27
	s_cbranch_scc1 .LBB348_558
; %bb.556:
	s_cmp_gt_i32 s43, 27
	s_cbranch_scc0 .LBB348_559
; %bb.557:
	s_wait_loadcnt 0x0
	global_load_b32 v6, v[4:5], off
	s_mov_b32 s44, 0
	s_branch .LBB348_560
.LBB348_558:
	s_mov_b32 s44, -1
                                        ; implicit-def: $vgpr6
	s_branch .LBB348_563
.LBB348_559:
	s_mov_b32 s44, -1
                                        ; implicit-def: $vgpr6
.LBB348_560:
	s_delay_alu instid0(SALU_CYCLE_1)
	s_and_not1_b32 vcc_lo, exec_lo, s44
	s_cbranch_vccnz .LBB348_562
; %bb.561:
	s_wait_loadcnt 0x0
	global_load_u16 v6, v[4:5], off
.LBB348_562:
	s_mov_b32 s44, 0
.LBB348_563:
	s_delay_alu instid0(SALU_CYCLE_1)
	s_and_not1_b32 vcc_lo, exec_lo, s44
	s_cbranch_vccnz .LBB348_569
; %bb.564:
	global_load_u8 v3, v[4:5], off
	s_mov_b32 s45, 0
	s_mov_b32 s44, exec_lo
	s_wait_loadcnt 0x0
	v_cmpx_lt_i16_e32 0x7f, v3
	s_xor_b32 s44, exec_lo, s44
	s_cbranch_execz .LBB348_581
; %bb.565:
	v_cmp_ne_u16_e32 vcc_lo, 0x80, v3
	s_and_b32 s45, vcc_lo, exec_lo
	s_and_not1_saveexec_b32 s44, s44
	s_cbranch_execnz .LBB348_582
.LBB348_566:
	s_or_b32 exec_lo, exec_lo, s44
	v_mov_b32_e32 v6, 0
	s_and_saveexec_b32 s44, s45
	s_cbranch_execz .LBB348_568
.LBB348_567:
	v_and_b32_e32 v6, 0xffff, v3
	s_delay_alu instid0(VALU_DEP_1) | instskip(SKIP_1) | instid1(VALU_DEP_2)
	v_and_b32_e32 v7, 7, v6
	v_bfe_u32 v10, v6, 3, 4
	v_clz_i32_u32_e32 v8, v7
	s_delay_alu instid0(VALU_DEP_2) | instskip(NEXT) | instid1(VALU_DEP_2)
	v_cmp_eq_u32_e32 vcc_lo, 0, v10
	v_min_u32_e32 v8, 32, v8
	s_delay_alu instid0(VALU_DEP_1) | instskip(NEXT) | instid1(VALU_DEP_1)
	v_subrev_nc_u32_e32 v9, 28, v8
	v_dual_lshlrev_b32 v6, v9, v6 :: v_dual_sub_nc_u32 v8, 29, v8
	s_delay_alu instid0(VALU_DEP_1) | instskip(NEXT) | instid1(VALU_DEP_1)
	v_dual_lshlrev_b32 v3, 24, v3 :: v_dual_bitop2_b32 v6, 7, v6 bitop3:0x40
	v_dual_cndmask_b32 v8, v10, v8, vcc_lo :: v_dual_cndmask_b32 v6, v7, v6, vcc_lo
	s_delay_alu instid0(VALU_DEP_2) | instskip(NEXT) | instid1(VALU_DEP_2)
	v_and_b32_e32 v3, 0x80000000, v3
	v_lshl_add_u32 v7, v8, 23, 0x3b800000
	s_delay_alu instid0(VALU_DEP_3) | instskip(NEXT) | instid1(VALU_DEP_1)
	v_lshlrev_b32_e32 v6, 20, v6
	v_or3_b32 v3, v3, v7, v6
	s_delay_alu instid0(VALU_DEP_1)
	v_cvt_u32_f32_e32 v6, v3
.LBB348_568:
	s_or_b32 exec_lo, exec_lo, s44
.LBB348_569:
	s_mov_b32 s44, -1
.LBB348_570:
	s_mov_b32 s45, 0
.LBB348_571:
	s_delay_alu instid0(SALU_CYCLE_1)
	s_and_b32 vcc_lo, exec_lo, s45
	s_cbranch_vccz .LBB348_604
; %bb.572:
	s_cmp_gt_i32 s43, 22
	s_cbranch_scc0 .LBB348_580
; %bb.573:
	s_cmp_lt_i32 s43, 24
	s_cbranch_scc1 .LBB348_583
; %bb.574:
	s_cmp_gt_i32 s43, 24
	s_cbranch_scc0 .LBB348_584
; %bb.575:
	global_load_u8 v3, v[4:5], off
	s_mov_b32 s45, 0
	s_mov_b32 s44, exec_lo
	s_wait_loadcnt 0x0
	v_cmpx_lt_i16_e32 0x7f, v3
	s_xor_b32 s44, exec_lo, s44
	s_cbranch_execz .LBB348_596
; %bb.576:
	v_cmp_ne_u16_e32 vcc_lo, 0x80, v3
	s_and_b32 s45, vcc_lo, exec_lo
	s_and_not1_saveexec_b32 s44, s44
	s_cbranch_execnz .LBB348_597
.LBB348_577:
	s_or_b32 exec_lo, exec_lo, s44
	v_mov_b32_e32 v6, 0
	s_and_saveexec_b32 s44, s45
	s_cbranch_execz .LBB348_579
.LBB348_578:
	v_and_b32_e32 v6, 0xffff, v3
	s_delay_alu instid0(VALU_DEP_1) | instskip(SKIP_1) | instid1(VALU_DEP_2)
	v_and_b32_e32 v7, 3, v6
	v_bfe_u32 v10, v6, 2, 5
	v_clz_i32_u32_e32 v8, v7
	s_delay_alu instid0(VALU_DEP_2) | instskip(NEXT) | instid1(VALU_DEP_2)
	v_cmp_eq_u32_e32 vcc_lo, 0, v10
	v_min_u32_e32 v8, 32, v8
	s_delay_alu instid0(VALU_DEP_1) | instskip(NEXT) | instid1(VALU_DEP_1)
	v_subrev_nc_u32_e32 v9, 29, v8
	v_dual_lshlrev_b32 v6, v9, v6 :: v_dual_sub_nc_u32 v8, 30, v8
	s_delay_alu instid0(VALU_DEP_1) | instskip(NEXT) | instid1(VALU_DEP_1)
	v_dual_lshlrev_b32 v3, 24, v3 :: v_dual_bitop2_b32 v6, 3, v6 bitop3:0x40
	v_dual_cndmask_b32 v8, v10, v8, vcc_lo :: v_dual_cndmask_b32 v6, v7, v6, vcc_lo
	s_delay_alu instid0(VALU_DEP_2) | instskip(NEXT) | instid1(VALU_DEP_2)
	v_and_b32_e32 v3, 0x80000000, v3
	v_lshl_add_u32 v7, v8, 23, 0x37800000
	s_delay_alu instid0(VALU_DEP_3) | instskip(NEXT) | instid1(VALU_DEP_1)
	v_lshlrev_b32_e32 v6, 21, v6
	v_or3_b32 v3, v3, v7, v6
	s_delay_alu instid0(VALU_DEP_1)
	v_cvt_u32_f32_e32 v6, v3
.LBB348_579:
	s_or_b32 exec_lo, exec_lo, s44
	s_mov_b32 s44, 0
	s_branch .LBB348_585
.LBB348_580:
	s_mov_b32 s45, -1
                                        ; implicit-def: $vgpr6
	s_branch .LBB348_591
.LBB348_581:
	s_and_not1_saveexec_b32 s44, s44
	s_cbranch_execz .LBB348_566
.LBB348_582:
	v_cmp_ne_u16_e32 vcc_lo, 0, v3
	s_and_not1_b32 s45, s45, exec_lo
	s_and_b32 s47, vcc_lo, exec_lo
	s_delay_alu instid0(SALU_CYCLE_1)
	s_or_b32 s45, s45, s47
	s_or_b32 exec_lo, exec_lo, s44
	v_mov_b32_e32 v6, 0
	s_and_saveexec_b32 s44, s45
	s_cbranch_execnz .LBB348_567
	s_branch .LBB348_568
.LBB348_583:
	s_mov_b32 s44, -1
                                        ; implicit-def: $vgpr6
	s_branch .LBB348_588
.LBB348_584:
	s_mov_b32 s44, -1
                                        ; implicit-def: $vgpr6
.LBB348_585:
	s_delay_alu instid0(SALU_CYCLE_1)
	s_and_b32 vcc_lo, exec_lo, s44
	s_cbranch_vccz .LBB348_587
; %bb.586:
	global_load_u8 v3, v[4:5], off
	s_wait_loadcnt 0x0
	v_lshlrev_b32_e32 v3, 24, v3
	s_wait_xcnt 0x1
	s_delay_alu instid0(VALU_DEP_1) | instskip(NEXT) | instid1(VALU_DEP_1)
	v_and_b32_e32 v6, 0x7f000000, v3
	v_clz_i32_u32_e32 v7, v6
	v_cmp_ne_u32_e32 vcc_lo, 0, v6
	v_add_nc_u32_e32 v9, 0x1000000, v6
	s_delay_alu instid0(VALU_DEP_3) | instskip(NEXT) | instid1(VALU_DEP_1)
	v_min_u32_e32 v7, 32, v7
	v_sub_nc_u32_e64 v7, v7, 4 clamp
	s_delay_alu instid0(VALU_DEP_1) | instskip(NEXT) | instid1(VALU_DEP_1)
	v_dual_lshlrev_b32 v8, v7, v6 :: v_dual_lshlrev_b32 v7, 23, v7
	v_lshrrev_b32_e32 v8, 4, v8
	s_delay_alu instid0(VALU_DEP_1) | instskip(NEXT) | instid1(VALU_DEP_1)
	v_dual_sub_nc_u32 v7, v8, v7 :: v_dual_ashrrev_i32 v8, 8, v9
	v_add_nc_u32_e32 v7, 0x3c000000, v7
	s_delay_alu instid0(VALU_DEP_1) | instskip(NEXT) | instid1(VALU_DEP_1)
	v_and_or_b32 v7, 0x7f800000, v8, v7
	v_cndmask_b32_e32 v6, 0, v7, vcc_lo
	s_delay_alu instid0(VALU_DEP_1) | instskip(NEXT) | instid1(VALU_DEP_1)
	v_and_or_b32 v3, 0x80000000, v3, v6
	v_cvt_u32_f32_e32 v6, v3
.LBB348_587:
	s_mov_b32 s44, 0
.LBB348_588:
	s_delay_alu instid0(SALU_CYCLE_1)
	s_and_not1_b32 vcc_lo, exec_lo, s44
	s_cbranch_vccnz .LBB348_590
; %bb.589:
	global_load_u8 v3, v[4:5], off
	s_wait_loadcnt 0x0
	s_wait_xcnt 0x1
	v_lshlrev_b32_e32 v6, 25, v3
	v_lshlrev_b16 v3, 8, v3
	s_delay_alu instid0(VALU_DEP_1) | instskip(SKIP_1) | instid1(VALU_DEP_2)
	v_and_or_b32 v8, 0x7f00, v3, 0.5
	v_bfe_i32 v3, v3, 0, 16
	v_dual_add_f32 v8, -0.5, v8 :: v_dual_lshrrev_b32 v7, 4, v6
	v_cmp_gt_u32_e32 vcc_lo, 0x8000000, v6
	s_delay_alu instid0(VALU_DEP_2) | instskip(NEXT) | instid1(VALU_DEP_1)
	v_or_b32_e32 v7, 0x70000000, v7
	v_mul_f32_e32 v7, 0x7800000, v7
	s_delay_alu instid0(VALU_DEP_1) | instskip(NEXT) | instid1(VALU_DEP_1)
	v_cndmask_b32_e32 v6, v7, v8, vcc_lo
	v_and_or_b32 v3, 0x80000000, v3, v6
	s_delay_alu instid0(VALU_DEP_1)
	v_cvt_u32_f32_e32 v6, v3
.LBB348_590:
	s_mov_b32 s45, 0
	s_mov_b32 s44, -1
.LBB348_591:
	s_and_not1_b32 vcc_lo, exec_lo, s45
	s_cbranch_vccnz .LBB348_604
; %bb.592:
	s_cmp_gt_i32 s43, 14
	s_cbranch_scc0 .LBB348_595
; %bb.593:
	s_cmp_eq_u32 s43, 15
	s_cbranch_scc0 .LBB348_598
; %bb.594:
	global_load_u16 v3, v[4:5], off
	s_mov_b32 s44, -1
	s_mov_b32 s27, 0
	s_wait_loadcnt 0x0
	v_lshlrev_b32_e32 v3, 16, v3
	s_wait_xcnt 0x1
	s_delay_alu instid0(VALU_DEP_1)
	v_cvt_u32_f32_e32 v6, v3
	s_branch .LBB348_599
.LBB348_595:
	s_mov_b32 s45, -1
                                        ; implicit-def: $vgpr6
	s_branch .LBB348_600
.LBB348_596:
	s_and_not1_saveexec_b32 s44, s44
	s_cbranch_execz .LBB348_577
.LBB348_597:
	v_cmp_ne_u16_e32 vcc_lo, 0, v3
	s_and_not1_b32 s45, s45, exec_lo
	s_and_b32 s47, vcc_lo, exec_lo
	s_delay_alu instid0(SALU_CYCLE_1)
	s_or_b32 s45, s45, s47
	s_or_b32 exec_lo, exec_lo, s44
	v_mov_b32_e32 v6, 0
	s_and_saveexec_b32 s44, s45
	s_cbranch_execnz .LBB348_578
	s_branch .LBB348_579
.LBB348_598:
	s_mov_b32 s27, -1
                                        ; implicit-def: $vgpr6
.LBB348_599:
	s_mov_b32 s45, 0
.LBB348_600:
	s_delay_alu instid0(SALU_CYCLE_1)
	s_and_b32 vcc_lo, exec_lo, s45
	s_cbranch_vccz .LBB348_604
; %bb.601:
	s_cmp_eq_u32 s43, 11
	s_cbranch_scc0 .LBB348_603
; %bb.602:
	global_load_u8 v3, v[4:5], off
	s_mov_b32 s27, 0
	s_mov_b32 s44, -1
	s_wait_loadcnt 0x0
	v_cmp_ne_u16_e32 vcc_lo, 0, v3
	s_wait_xcnt 0x1
	v_cndmask_b32_e64 v6, 0, 1, vcc_lo
	s_branch .LBB348_604
.LBB348_603:
	s_mov_b32 s27, -1
                                        ; implicit-def: $vgpr6
.LBB348_604:
	s_mov_b32 s43, 0
.LBB348_605:
	s_delay_alu instid0(SALU_CYCLE_1)
	s_and_b32 vcc_lo, exec_lo, s43
	s_cbranch_vccz .LBB348_654
; %bb.606:
	s_and_b32 s0, 0xffff, s0
	s_delay_alu instid0(SALU_CYCLE_1)
	s_cmp_lt_i32 s0, 5
	s_cbranch_scc1 .LBB348_611
; %bb.607:
	s_cmp_lt_i32 s0, 8
	s_cbranch_scc1 .LBB348_612
; %bb.608:
	;; [unrolled: 3-line block ×3, first 2 shown]
	s_cmp_gt_i32 s0, 9
	s_cbranch_scc0 .LBB348_614
; %bb.610:
	s_wait_loadcnt 0x0
	global_load_b64 v[6:7], v[4:5], off
	s_mov_b32 s43, 0
	s_wait_loadcnt 0x0
	v_cvt_u32_f64_e32 v6, v[6:7]
	s_branch .LBB348_615
.LBB348_611:
	s_mov_b32 s43, -1
                                        ; implicit-def: $vgpr6
	s_branch .LBB348_633
.LBB348_612:
	s_mov_b32 s43, -1
                                        ; implicit-def: $vgpr6
	s_branch .LBB348_621
.LBB348_613:
	s_mov_b32 s43, -1
                                        ; implicit-def: $vgpr6
	s_branch .LBB348_618
.LBB348_614:
	s_mov_b32 s43, -1
                                        ; implicit-def: $vgpr6
.LBB348_615:
	s_delay_alu instid0(SALU_CYCLE_1)
	s_and_not1_b32 vcc_lo, exec_lo, s43
	s_cbranch_vccnz .LBB348_617
; %bb.616:
	global_load_b32 v3, v[4:5], off
	s_wait_loadcnt 0x0
	s_wait_xcnt 0x1
	v_cvt_u32_f32_e32 v6, v3
.LBB348_617:
	s_mov_b32 s43, 0
.LBB348_618:
	s_delay_alu instid0(SALU_CYCLE_1)
	s_and_not1_b32 vcc_lo, exec_lo, s43
	s_cbranch_vccnz .LBB348_620
; %bb.619:
	global_load_b32 v3, v[4:5], off
	s_wait_loadcnt 0x0
	v_cvt_f32_f16_e32 v3, v3
	s_wait_xcnt 0x1
	s_delay_alu instid0(VALU_DEP_1)
	v_cvt_u32_f32_e32 v6, v3
.LBB348_620:
	s_mov_b32 s43, 0
.LBB348_621:
	s_delay_alu instid0(SALU_CYCLE_1)
	s_and_not1_b32 vcc_lo, exec_lo, s43
	s_cbranch_vccnz .LBB348_632
; %bb.622:
	s_cmp_lt_i32 s0, 6
	s_cbranch_scc1 .LBB348_625
; %bb.623:
	s_cmp_gt_i32 s0, 6
	s_cbranch_scc0 .LBB348_626
; %bb.624:
	s_wait_loadcnt 0x0
	global_load_b64 v[6:7], v[4:5], off
	s_mov_b32 s43, 0
	s_wait_loadcnt 0x0
	v_cvt_u32_f64_e32 v6, v[6:7]
	s_branch .LBB348_627
.LBB348_625:
	s_mov_b32 s43, -1
                                        ; implicit-def: $vgpr6
	s_branch .LBB348_630
.LBB348_626:
	s_mov_b32 s43, -1
                                        ; implicit-def: $vgpr6
.LBB348_627:
	s_delay_alu instid0(SALU_CYCLE_1)
	s_and_not1_b32 vcc_lo, exec_lo, s43
	s_cbranch_vccnz .LBB348_629
; %bb.628:
	global_load_b32 v3, v[4:5], off
	s_wait_loadcnt 0x0
	s_wait_xcnt 0x1
	v_cvt_u32_f32_e32 v6, v3
.LBB348_629:
	s_mov_b32 s43, 0
.LBB348_630:
	s_delay_alu instid0(SALU_CYCLE_1)
	s_and_not1_b32 vcc_lo, exec_lo, s43
	s_cbranch_vccnz .LBB348_632
; %bb.631:
	global_load_u16 v3, v[4:5], off
	s_wait_loadcnt 0x0
	v_cvt_f32_f16_e32 v3, v3
	s_wait_xcnt 0x1
	s_delay_alu instid0(VALU_DEP_1)
	v_cvt_u32_f32_e32 v6, v3
.LBB348_632:
	s_mov_b32 s43, 0
.LBB348_633:
	s_delay_alu instid0(SALU_CYCLE_1)
	s_and_not1_b32 vcc_lo, exec_lo, s43
	s_cbranch_vccnz .LBB348_653
; %bb.634:
	s_cmp_lt_i32 s0, 2
	s_cbranch_scc1 .LBB348_638
; %bb.635:
	s_cmp_lt_i32 s0, 3
	s_cbranch_scc1 .LBB348_639
; %bb.636:
	s_cmp_gt_i32 s0, 3
	s_cbranch_scc0 .LBB348_640
; %bb.637:
	s_wait_loadcnt 0x0
	global_load_b32 v6, v[4:5], off
	s_mov_b32 s43, 0
	s_branch .LBB348_641
.LBB348_638:
	s_mov_b32 s43, -1
                                        ; implicit-def: $vgpr6
	s_branch .LBB348_647
.LBB348_639:
	s_mov_b32 s43, -1
                                        ; implicit-def: $vgpr6
	s_branch .LBB348_644
.LBB348_640:
	s_mov_b32 s43, -1
                                        ; implicit-def: $vgpr6
.LBB348_641:
	s_delay_alu instid0(SALU_CYCLE_1)
	s_and_not1_b32 vcc_lo, exec_lo, s43
	s_cbranch_vccnz .LBB348_643
; %bb.642:
	s_wait_loadcnt 0x0
	global_load_b32 v6, v[4:5], off
.LBB348_643:
	s_mov_b32 s43, 0
.LBB348_644:
	s_delay_alu instid0(SALU_CYCLE_1)
	s_and_not1_b32 vcc_lo, exec_lo, s43
	s_cbranch_vccnz .LBB348_646
; %bb.645:
	s_wait_loadcnt 0x0
	global_load_i16 v6, v[4:5], off
.LBB348_646:
	s_mov_b32 s43, 0
.LBB348_647:
	s_delay_alu instid0(SALU_CYCLE_1)
	s_and_not1_b32 vcc_lo, exec_lo, s43
	s_cbranch_vccnz .LBB348_653
; %bb.648:
	s_cmp_gt_i32 s0, 0
	s_mov_b32 s0, 0
	s_cbranch_scc0 .LBB348_650
; %bb.649:
	s_wait_loadcnt 0x0
	global_load_i8 v6, v[4:5], off
	s_branch .LBB348_651
.LBB348_650:
	s_mov_b32 s0, -1
                                        ; implicit-def: $vgpr6
.LBB348_651:
	s_delay_alu instid0(SALU_CYCLE_1)
	s_and_not1_b32 vcc_lo, exec_lo, s0
	s_cbranch_vccnz .LBB348_653
; %bb.652:
	s_wait_loadcnt 0x0
	global_load_u8 v6, v[4:5], off
.LBB348_653:
	s_mov_b32 s44, -1
.LBB348_654:
	s_delay_alu instid0(SALU_CYCLE_1)
	s_and_not1_b32 vcc_lo, exec_lo, s44
	s_cbranch_vccnz .LBB348_662
; %bb.655:
	v_mov_b32_e32 v3, 0
	s_wait_loadcnt 0x0
	s_delay_alu instid0(VALU_DEP_2) | instskip(SKIP_1) | instid1(VALU_DEP_2)
	v_cmp_ne_u32_e32 vcc_lo, v1, v6
	s_and_b32 s44, s11, 0xff
	v_add_nc_u64_e32 v[2:3], s[4:5], v[2:3]
	s_xor_b32 s43, s10, vcc_lo
	s_cmp_lt_i32 s44, 11
	s_cbranch_scc1 .LBB348_663
; %bb.656:
	s_and_b32 s45, 0xffff, s44
	s_delay_alu instid0(SALU_CYCLE_1)
	s_cmp_gt_i32 s45, 25
	s_cbranch_scc0 .LBB348_664
; %bb.657:
	s_cmp_gt_i32 s45, 28
	s_cbranch_scc0 .LBB348_665
; %bb.658:
	;; [unrolled: 3-line block ×4, first 2 shown]
	s_mov_b32 s48, 0
	s_mov_b32 s0, -1
	s_cmp_eq_u32 s45, 46
	s_mov_b32 s47, 0
	s_cbranch_scc0 .LBB348_668
; %bb.661:
	v_cndmask_b32_e64 v1, 0, 1.0, s43
	s_mov_b32 s47, -1
	s_mov_b32 s0, 0
	s_wait_xcnt 0x0
	s_delay_alu instid0(VALU_DEP_1) | instskip(NEXT) | instid1(VALU_DEP_1)
	v_bfe_u32 v4, v1, 16, 1
	v_add3_u32 v1, v1, v4, 0x7fff
	s_delay_alu instid0(VALU_DEP_1)
	v_lshrrev_b32_e32 v1, 16, v1
	global_store_b32 v[2:3], v1, off
	s_branch .LBB348_668
.LBB348_662:
	s_mov_b32 s47, 0
	s_mov_b32 s0, s39
	s_branch .LBB348_779
.LBB348_663:
	s_mov_b32 s45, -1
	s_mov_b32 s47, 0
	s_mov_b32 s0, s39
	s_branch .LBB348_737
.LBB348_664:
	s_mov_b32 s48, -1
	s_mov_b32 s47, 0
	s_mov_b32 s0, s39
	s_branch .LBB348_695
.LBB348_665:
	s_mov_b32 s48, -1
	s_mov_b32 s47, 0
	s_mov_b32 s0, s39
	s_branch .LBB348_678
.LBB348_666:
	s_mov_b32 s48, -1
	s_mov_b32 s47, 0
	s_mov_b32 s0, s39
	s_branch .LBB348_674
.LBB348_667:
	s_mov_b32 s48, -1
	s_mov_b32 s47, 0
	s_mov_b32 s0, s39
.LBB348_668:
	s_and_b32 vcc_lo, exec_lo, s48
	s_cbranch_vccz .LBB348_673
; %bb.669:
	s_cmp_eq_u32 s45, 44
	s_mov_b32 s0, -1
	s_cbranch_scc0 .LBB348_673
; %bb.670:
	s_wait_xcnt 0x0
	v_cndmask_b32_e64 v5, 0, 1.0, s43
	s_mov_b32 s47, exec_lo
	s_delay_alu instid0(VALU_DEP_1) | instskip(NEXT) | instid1(VALU_DEP_1)
	v_dual_mov_b32 v4, 0xff :: v_dual_lshrrev_b32 v1, 23, v5
	v_cmpx_ne_u32_e32 0xff, v1
; %bb.671:
	v_and_b32_e32 v4, 0x400000, v5
	v_and_or_b32 v5, 0x3fffff, v5, v1
	s_delay_alu instid0(VALU_DEP_2) | instskip(NEXT) | instid1(VALU_DEP_2)
	v_cmp_ne_u32_e32 vcc_lo, 0, v4
	v_cmp_ne_u32_e64 s0, 0, v5
	s_and_b32 s0, vcc_lo, s0
	s_delay_alu instid0(SALU_CYCLE_1) | instskip(NEXT) | instid1(VALU_DEP_1)
	v_cndmask_b32_e64 v4, 0, 1, s0
	v_add_nc_u32_e32 v4, v1, v4
; %bb.672:
	s_or_b32 exec_lo, exec_lo, s47
	s_mov_b32 s47, -1
	s_mov_b32 s0, 0
	global_store_b8 v[2:3], v4, off
.LBB348_673:
	s_mov_b32 s48, 0
.LBB348_674:
	s_delay_alu instid0(SALU_CYCLE_1)
	s_and_b32 vcc_lo, exec_lo, s48
	s_cbranch_vccz .LBB348_677
; %bb.675:
	s_cmp_eq_u32 s45, 29
	s_mov_b32 s0, -1
	s_cbranch_scc0 .LBB348_677
; %bb.676:
	s_mov_b32 s0, 0
	s_wait_xcnt 0x0
	v_cndmask_b32_e64 v4, 0, 1, s43
	v_mov_b32_e32 v5, s0
	s_mov_b32 s47, -1
	s_mov_b32 s48, 0
	global_store_b64 v[2:3], v[4:5], off
	s_branch .LBB348_678
.LBB348_677:
	s_mov_b32 s48, 0
.LBB348_678:
	s_delay_alu instid0(SALU_CYCLE_1)
	s_and_b32 vcc_lo, exec_lo, s48
	s_cbranch_vccz .LBB348_694
; %bb.679:
	s_cmp_lt_i32 s45, 27
	s_mov_b32 s47, -1
	s_cbranch_scc1 .LBB348_685
; %bb.680:
	s_cmp_gt_i32 s45, 27
	s_cbranch_scc0 .LBB348_682
; %bb.681:
	s_wait_xcnt 0x0
	v_cndmask_b32_e64 v1, 0, 1, s43
	s_mov_b32 s47, 0
	global_store_b32 v[2:3], v1, off
.LBB348_682:
	s_and_not1_b32 vcc_lo, exec_lo, s47
	s_cbranch_vccnz .LBB348_684
; %bb.683:
	s_wait_xcnt 0x0
	v_cndmask_b32_e64 v1, 0, 1, s43
	global_store_b16 v[2:3], v1, off
.LBB348_684:
	s_mov_b32 s47, 0
.LBB348_685:
	s_delay_alu instid0(SALU_CYCLE_1)
	s_and_not1_b32 vcc_lo, exec_lo, s47
	s_cbranch_vccnz .LBB348_693
; %bb.686:
	s_wait_xcnt 0x0
	v_cndmask_b32_e64 v4, 0, 1.0, s43
	v_mov_b32_e32 v5, 0x80
	s_mov_b32 s47, exec_lo
	s_delay_alu instid0(VALU_DEP_2)
	v_cmpx_gt_u32_e32 0x43800000, v4
	s_cbranch_execz .LBB348_692
; %bb.687:
	s_mov_b32 s48, 0
	s_mov_b32 s49, exec_lo
                                        ; implicit-def: $vgpr1
	v_cmpx_lt_u32_e32 0x3bffffff, v4
	s_xor_b32 s49, exec_lo, s49
	s_cbranch_execz .LBB348_807
; %bb.688:
	v_bfe_u32 v1, v4, 20, 1
	s_mov_b32 s48, exec_lo
	s_delay_alu instid0(VALU_DEP_1) | instskip(NEXT) | instid1(VALU_DEP_1)
	v_add3_u32 v1, v4, v1, 0x487ffff
                                        ; implicit-def: $vgpr4
	v_lshrrev_b32_e32 v1, 20, v1
	s_and_not1_saveexec_b32 s49, s49
	s_cbranch_execnz .LBB348_808
.LBB348_689:
	s_or_b32 exec_lo, exec_lo, s49
	v_mov_b32_e32 v5, 0
	s_and_saveexec_b32 s49, s48
.LBB348_690:
	v_mov_b32_e32 v5, v1
.LBB348_691:
	s_or_b32 exec_lo, exec_lo, s49
.LBB348_692:
	s_delay_alu instid0(SALU_CYCLE_1)
	s_or_b32 exec_lo, exec_lo, s47
	global_store_b8 v[2:3], v5, off
.LBB348_693:
	s_mov_b32 s47, -1
.LBB348_694:
	s_mov_b32 s48, 0
.LBB348_695:
	s_delay_alu instid0(SALU_CYCLE_1)
	s_and_b32 vcc_lo, exec_lo, s48
	s_cbranch_vccz .LBB348_736
; %bb.696:
	s_cmp_gt_i32 s45, 22
	s_mov_b32 s48, -1
	s_cbranch_scc0 .LBB348_728
; %bb.697:
	s_cmp_lt_i32 s45, 24
	s_mov_b32 s47, -1
	s_cbranch_scc1 .LBB348_717
; %bb.698:
	s_cmp_gt_i32 s45, 24
	s_cbranch_scc0 .LBB348_706
; %bb.699:
	s_wait_xcnt 0x0
	v_cndmask_b32_e64 v4, 0, 1.0, s43
	v_mov_b32_e32 v5, 0x80
	s_mov_b32 s47, exec_lo
	s_delay_alu instid0(VALU_DEP_2)
	v_cmpx_gt_u32_e32 0x47800000, v4
	s_cbranch_execz .LBB348_705
; %bb.700:
	s_mov_b32 s48, 0
	s_mov_b32 s49, exec_lo
                                        ; implicit-def: $vgpr1
	v_cmpx_lt_u32_e32 0x37ffffff, v4
	s_xor_b32 s49, exec_lo, s49
	s_cbranch_execz .LBB348_935
; %bb.701:
	v_bfe_u32 v1, v4, 21, 1
	s_mov_b32 s48, exec_lo
	s_delay_alu instid0(VALU_DEP_1) | instskip(NEXT) | instid1(VALU_DEP_1)
	v_add3_u32 v1, v4, v1, 0x88fffff
                                        ; implicit-def: $vgpr4
	v_lshrrev_b32_e32 v1, 21, v1
	s_and_not1_saveexec_b32 s49, s49
	s_cbranch_execnz .LBB348_936
.LBB348_702:
	s_or_b32 exec_lo, exec_lo, s49
	v_mov_b32_e32 v5, 0
	s_and_saveexec_b32 s49, s48
.LBB348_703:
	v_mov_b32_e32 v5, v1
.LBB348_704:
	s_or_b32 exec_lo, exec_lo, s49
.LBB348_705:
	s_delay_alu instid0(SALU_CYCLE_1)
	s_or_b32 exec_lo, exec_lo, s47
	s_mov_b32 s47, 0
	global_store_b8 v[2:3], v5, off
.LBB348_706:
	s_and_b32 vcc_lo, exec_lo, s47
	s_cbranch_vccz .LBB348_716
; %bb.707:
	s_wait_xcnt 0x0
	v_cndmask_b32_e64 v4, 0, 1.0, s43
	s_mov_b32 s47, exec_lo
                                        ; implicit-def: $vgpr1
	s_delay_alu instid0(VALU_DEP_1)
	v_cmpx_gt_u32_e32 0x43f00000, v4
	s_xor_b32 s47, exec_lo, s47
	s_cbranch_execz .LBB348_713
; %bb.708:
	s_mov_b32 s48, exec_lo
                                        ; implicit-def: $vgpr1
	v_cmpx_lt_u32_e32 0x3c7fffff, v4
	s_xor_b32 s48, exec_lo, s48
; %bb.709:
	v_bfe_u32 v1, v4, 20, 1
	s_delay_alu instid0(VALU_DEP_1) | instskip(NEXT) | instid1(VALU_DEP_1)
	v_add3_u32 v1, v4, v1, 0x407ffff
	v_and_b32_e32 v4, 0xff00000, v1
	v_lshrrev_b32_e32 v1, 20, v1
	s_delay_alu instid0(VALU_DEP_2) | instskip(NEXT) | instid1(VALU_DEP_2)
	v_cmp_ne_u32_e32 vcc_lo, 0x7f00000, v4
                                        ; implicit-def: $vgpr4
	v_cndmask_b32_e32 v1, 0x7e, v1, vcc_lo
; %bb.710:
	s_and_not1_saveexec_b32 s48, s48
; %bb.711:
	v_add_f32_e32 v1, 0x46800000, v4
; %bb.712:
	s_or_b32 exec_lo, exec_lo, s48
                                        ; implicit-def: $vgpr4
.LBB348_713:
	s_and_not1_saveexec_b32 s47, s47
; %bb.714:
	v_mov_b32_e32 v1, 0x7f
	v_cmp_lt_u32_e32 vcc_lo, 0x7f800000, v4
	s_delay_alu instid0(VALU_DEP_2)
	v_cndmask_b32_e32 v1, 0x7e, v1, vcc_lo
; %bb.715:
	s_or_b32 exec_lo, exec_lo, s47
	global_store_b8 v[2:3], v1, off
.LBB348_716:
	s_mov_b32 s47, 0
.LBB348_717:
	s_delay_alu instid0(SALU_CYCLE_1)
	s_and_not1_b32 vcc_lo, exec_lo, s47
	s_cbranch_vccnz .LBB348_727
; %bb.718:
	s_wait_xcnt 0x0
	v_cndmask_b32_e64 v4, 0, 1.0, s43
	s_mov_b32 s47, exec_lo
                                        ; implicit-def: $vgpr1
	s_delay_alu instid0(VALU_DEP_1)
	v_cmpx_gt_u32_e32 0x47800000, v4
	s_xor_b32 s47, exec_lo, s47
	s_cbranch_execz .LBB348_724
; %bb.719:
	s_mov_b32 s48, exec_lo
                                        ; implicit-def: $vgpr1
	v_cmpx_lt_u32_e32 0x387fffff, v4
	s_xor_b32 s48, exec_lo, s48
; %bb.720:
	v_bfe_u32 v1, v4, 21, 1
	s_delay_alu instid0(VALU_DEP_1) | instskip(NEXT) | instid1(VALU_DEP_1)
	v_add3_u32 v1, v4, v1, 0x80fffff
                                        ; implicit-def: $vgpr4
	v_lshrrev_b32_e32 v1, 21, v1
; %bb.721:
	s_and_not1_saveexec_b32 s48, s48
; %bb.722:
	v_add_f32_e32 v1, 0x43000000, v4
; %bb.723:
	s_or_b32 exec_lo, exec_lo, s48
                                        ; implicit-def: $vgpr4
.LBB348_724:
	s_and_not1_saveexec_b32 s47, s47
; %bb.725:
	v_mov_b32_e32 v1, 0x7f
	v_cmp_lt_u32_e32 vcc_lo, 0x7f800000, v4
	s_delay_alu instid0(VALU_DEP_2)
	v_cndmask_b32_e32 v1, 0x7c, v1, vcc_lo
; %bb.726:
	s_or_b32 exec_lo, exec_lo, s47
	global_store_b8 v[2:3], v1, off
.LBB348_727:
	s_mov_b32 s48, 0
	s_mov_b32 s47, -1
.LBB348_728:
	s_and_not1_b32 vcc_lo, exec_lo, s48
	s_cbranch_vccnz .LBB348_736
; %bb.729:
	s_cmp_gt_i32 s45, 14
	s_mov_b32 s48, -1
	s_cbranch_scc0 .LBB348_733
; %bb.730:
	s_cmp_eq_u32 s45, 15
	s_mov_b32 s0, -1
	s_cbranch_scc0 .LBB348_732
; %bb.731:
	s_wait_xcnt 0x0
	v_cndmask_b32_e64 v1, 0, 1.0, s43
	s_mov_b32 s47, -1
	s_mov_b32 s0, 0
	s_delay_alu instid0(VALU_DEP_1) | instskip(NEXT) | instid1(VALU_DEP_1)
	v_bfe_u32 v4, v1, 16, 1
	v_add3_u32 v1, v1, v4, 0x7fff
	global_store_d16_hi_b16 v[2:3], v1, off
.LBB348_732:
	s_mov_b32 s48, 0
.LBB348_733:
	s_delay_alu instid0(SALU_CYCLE_1)
	s_and_b32 vcc_lo, exec_lo, s48
	s_cbranch_vccz .LBB348_736
; %bb.734:
	s_cmp_eq_u32 s45, 11
	s_mov_b32 s0, -1
	s_cbranch_scc0 .LBB348_736
; %bb.735:
	s_wait_xcnt 0x0
	v_cndmask_b32_e64 v1, 0, 1, s43
	s_mov_b32 s47, -1
	s_mov_b32 s0, 0
	global_store_b8 v[2:3], v1, off
.LBB348_736:
	s_mov_b32 s45, 0
.LBB348_737:
	s_delay_alu instid0(SALU_CYCLE_1)
	s_and_b32 vcc_lo, exec_lo, s45
	s_cbranch_vccz .LBB348_776
; %bb.738:
	s_and_b32 s44, 0xffff, s44
	s_mov_b32 s45, -1
	s_cmp_lt_i32 s44, 5
	s_cbranch_scc1 .LBB348_759
; %bb.739:
	s_cmp_lt_i32 s44, 8
	s_cbranch_scc1 .LBB348_749
; %bb.740:
	;; [unrolled: 3-line block ×3, first 2 shown]
	s_cmp_gt_i32 s44, 9
	s_cbranch_scc0 .LBB348_743
; %bb.742:
	s_wait_xcnt 0x0
	v_cndmask_b32_e64 v1, 0, 1, s43
	v_mov_b32_e32 v6, 0
	s_mov_b32 s45, 0
	s_delay_alu instid0(VALU_DEP_2) | instskip(NEXT) | instid1(VALU_DEP_2)
	v_cvt_f64_u32_e32 v[4:5], v1
	v_mov_b32_e32 v7, v6
	global_store_b128 v[2:3], v[4:7], off
.LBB348_743:
	s_and_not1_b32 vcc_lo, exec_lo, s45
	s_cbranch_vccnz .LBB348_745
; %bb.744:
	s_wait_xcnt 0x0
	v_cndmask_b32_e64 v4, 0, 1.0, s43
	v_mov_b32_e32 v5, 0
	global_store_b64 v[2:3], v[4:5], off
.LBB348_745:
	s_mov_b32 s45, 0
.LBB348_746:
	s_delay_alu instid0(SALU_CYCLE_1)
	s_and_not1_b32 vcc_lo, exec_lo, s45
	s_cbranch_vccnz .LBB348_748
; %bb.747:
	s_wait_xcnt 0x0
	v_cndmask_b32_e64 v1, 0, 1.0, s43
	s_delay_alu instid0(VALU_DEP_1) | instskip(NEXT) | instid1(VALU_DEP_1)
	v_cvt_f16_f32_e32 v1, v1
	v_and_b32_e32 v1, 0xffff, v1
	global_store_b32 v[2:3], v1, off
.LBB348_748:
	s_mov_b32 s45, 0
.LBB348_749:
	s_delay_alu instid0(SALU_CYCLE_1)
	s_and_not1_b32 vcc_lo, exec_lo, s45
	s_cbranch_vccnz .LBB348_758
; %bb.750:
	s_cmp_lt_i32 s44, 6
	s_mov_b32 s45, -1
	s_cbranch_scc1 .LBB348_756
; %bb.751:
	s_cmp_gt_i32 s44, 6
	s_cbranch_scc0 .LBB348_753
; %bb.752:
	s_wait_xcnt 0x0
	v_cndmask_b32_e64 v1, 0, 1, s43
	s_mov_b32 s45, 0
	s_delay_alu instid0(VALU_DEP_1)
	v_cvt_f64_u32_e32 v[4:5], v1
	global_store_b64 v[2:3], v[4:5], off
.LBB348_753:
	s_and_not1_b32 vcc_lo, exec_lo, s45
	s_cbranch_vccnz .LBB348_755
; %bb.754:
	s_wait_xcnt 0x0
	v_cndmask_b32_e64 v1, 0, 1.0, s43
	global_store_b32 v[2:3], v1, off
.LBB348_755:
	s_mov_b32 s45, 0
.LBB348_756:
	s_delay_alu instid0(SALU_CYCLE_1)
	s_and_not1_b32 vcc_lo, exec_lo, s45
	s_cbranch_vccnz .LBB348_758
; %bb.757:
	s_wait_xcnt 0x0
	v_cndmask_b32_e64 v1, 0, 1.0, s43
	s_delay_alu instid0(VALU_DEP_1)
	v_cvt_f16_f32_e32 v1, v1
	global_store_b16 v[2:3], v1, off
.LBB348_758:
	s_mov_b32 s45, 0
.LBB348_759:
	s_delay_alu instid0(SALU_CYCLE_1)
	s_and_not1_b32 vcc_lo, exec_lo, s45
	s_cbranch_vccnz .LBB348_775
; %bb.760:
	s_cmp_lt_i32 s44, 2
	s_mov_b32 s45, -1
	s_cbranch_scc1 .LBB348_770
; %bb.761:
	s_cmp_lt_i32 s44, 3
	s_cbranch_scc1 .LBB348_767
; %bb.762:
	s_cmp_gt_i32 s44, 3
	s_cbranch_scc0 .LBB348_764
; %bb.763:
	s_mov_b32 s45, 0
	s_wait_xcnt 0x0
	v_cndmask_b32_e64 v4, 0, 1, s43
	v_mov_b32_e32 v5, s45
	global_store_b64 v[2:3], v[4:5], off
.LBB348_764:
	s_and_not1_b32 vcc_lo, exec_lo, s45
	s_cbranch_vccnz .LBB348_766
; %bb.765:
	s_wait_xcnt 0x0
	v_cndmask_b32_e64 v1, 0, 1, s43
	global_store_b32 v[2:3], v1, off
.LBB348_766:
	s_mov_b32 s45, 0
.LBB348_767:
	s_delay_alu instid0(SALU_CYCLE_1)
	s_and_not1_b32 vcc_lo, exec_lo, s45
	s_cbranch_vccnz .LBB348_769
; %bb.768:
	s_wait_xcnt 0x0
	v_cndmask_b32_e64 v1, 0, 1, s43
	global_store_b16 v[2:3], v1, off
.LBB348_769:
	s_mov_b32 s45, 0
.LBB348_770:
	s_delay_alu instid0(SALU_CYCLE_1)
	s_and_not1_b32 vcc_lo, exec_lo, s45
	s_cbranch_vccnz .LBB348_775
; %bb.771:
	s_wait_xcnt 0x0
	v_cndmask_b32_e64 v1, 0, 1, s43
	s_cmp_gt_i32 s44, 0
	s_mov_b32 s43, -1
	s_cbranch_scc0 .LBB348_773
; %bb.772:
	s_mov_b32 s43, 0
	global_store_b8 v[2:3], v1, off
.LBB348_773:
	s_and_not1_b32 vcc_lo, exec_lo, s43
	s_cbranch_vccnz .LBB348_775
; %bb.774:
	global_store_b8 v[2:3], v1, off
.LBB348_775:
	s_mov_b32 s47, -1
.LBB348_776:
	s_delay_alu instid0(SALU_CYCLE_1)
	s_and_not1_b32 vcc_lo, exec_lo, s47
	s_cbranch_vccnz .LBB348_778
; %bb.777:
	v_add_nc_u32_e32 v0, 0x80, v0
	s_mov_b32 s47, -1
	s_branch .LBB348_780
.LBB348_778:
	s_mov_b32 s47, 0
.LBB348_779:
                                        ; implicit-def: $vgpr0
.LBB348_780:
	s_and_not1_b32 s43, s39, exec_lo
	s_and_b32 s0, s0, exec_lo
	s_and_b32 s27, s27, exec_lo
	s_or_b32 s44, s43, s0
	s_and_not1_b32 s0, s40, exec_lo
	s_and_not1_b32 s43, s41, exec_lo
	s_and_b32 s26, s26, exec_lo
	s_or_b32 s45, s0, s27
	s_or_b32 s43, s43, s26
	s_or_not1_b32 s48, s47, exec_lo
.LBB348_781:
	s_wait_xcnt 0x0
	s_or_b32 exec_lo, exec_lo, s46
	s_mov_b32 s27, 0
	s_mov_b32 s47, 0
	;; [unrolled: 1-line block ×3, first 2 shown]
                                        ; implicit-def: $sgpr0
                                        ; implicit-def: $vgpr6_vgpr7
                                        ; implicit-def: $vgpr4
                                        ; implicit-def: $vgpr2
                                        ; implicit-def: $vgpr8
	s_and_saveexec_b32 s46, s48
	s_cbranch_execz .LBB348_1268
; %bb.782:
	s_mov_b32 s52, -1
	s_mov_b32 s48, s43
	s_mov_b32 s50, s45
	;; [unrolled: 1-line block ×3, first 2 shown]
	s_mov_b32 s47, exec_lo
	v_cmpx_gt_i32_e64 s37, v0
	s_cbranch_execz .LBB348_1176
; %bb.783:
	s_and_not1_b32 vcc_lo, exec_lo, s31
	s_cbranch_vccnz .LBB348_789
; %bb.784:
	s_and_not1_b32 vcc_lo, exec_lo, s38
	s_cbranch_vccnz .LBB348_790
; %bb.785:
	s_wait_loadcnt 0x0
	v_dual_mov_b32 v2, 0 :: v_dual_mov_b32 v1, v0
	v_dual_mov_b32 v6, 0 :: v_dual_mov_b32 v4, 0
	s_add_co_i32 s0, s36, 1
	s_mov_b64 s[26:27], 0xffffffffffffffe8
	s_and_b32 s0, s0, 30
	s_add_nc_u64 s[26:27], s[2:3], s[26:27]
.LBB348_786:                            ; =>This Inner Loop Header: Depth=1
	s_clause 0x1
	s_load_b128 s[48:51], s[26:27], 0x1c
	s_load_b64 s[56:57], s[26:27], 0x2c
	s_add_co_i32 s0, s0, -2
	s_delay_alu instid0(SALU_CYCLE_1) | instskip(SKIP_2) | instid1(VALU_DEP_1)
	s_cmp_eq_u32 s0, 0
	s_wait_kmcnt 0x0
	v_mul_hi_u32 v3, s49, v1
	v_add_nc_u32_e32 v3, v1, v3
	s_delay_alu instid0(VALU_DEP_1) | instskip(NEXT) | instid1(VALU_DEP_1)
	v_lshrrev_b32_e32 v3, s50, v3
	v_mul_hi_u32 v5, s56, v3
	v_mul_lo_u32 v7, v3, s48
	s_clause 0x1
	s_load_b128 s[52:55], s[26:27], 0xdc
	s_load_b64 s[48:49], s[26:27], 0xec
	s_wait_xcnt 0x0
	s_add_nc_u64 s[26:27], s[26:27], 24
	s_delay_alu instid0(VALU_DEP_1) | instskip(NEXT) | instid1(VALU_DEP_1)
	v_dual_add_nc_u32 v5, v3, v5 :: v_dual_sub_nc_u32 v7, v1, v7
	v_lshrrev_b32_e32 v1, s57, v5
	s_wait_kmcnt 0x0
	s_delay_alu instid0(VALU_DEP_2) | instskip(NEXT) | instid1(VALU_DEP_2)
	v_mad_u32 v2, v7, s52, v2
	v_mul_lo_u32 v5, v1, s51
	v_mad_u32 v4, v7, s54, v4
	v_mad_u32 v6, v7, s53, v6
	s_delay_alu instid0(VALU_DEP_3) | instskip(NEXT) | instid1(VALU_DEP_1)
	v_sub_nc_u32_e32 v3, v3, v5
	v_mad_u32 v2, v3, s55, v2
	s_delay_alu instid0(VALU_DEP_4) | instskip(NEXT) | instid1(VALU_DEP_4)
	v_mad_u32 v4, v3, s49, v4
	v_mad_u32 v6, v3, s48, v6
	s_cbranch_scc0 .LBB348_786
; %bb.787:
	s_bitcmp1_b32 s36, 0
	s_cselect_b32 s0, -1, 0
	s_delay_alu instid0(SALU_CYCLE_1)
	s_and_b32 vcc_lo, exec_lo, s0
	s_cbranch_vccnz .LBB348_791
; %bb.788:
	s_clause 0x1
	s_load_b96 s[48:50], s[26:27], 0x1c
	s_load_b96 s[52:54], s[26:27], 0xdc
	s_wait_kmcnt 0x0
	v_mul_hi_u32 v3, s49, v1
	s_delay_alu instid0(VALU_DEP_1) | instskip(NEXT) | instid1(VALU_DEP_1)
	v_add_nc_u32_e32 v3, v1, v3
	v_lshrrev_b32_e32 v3, s50, v3
	s_delay_alu instid0(VALU_DEP_1) | instskip(NEXT) | instid1(VALU_DEP_1)
	v_mul_lo_u32 v3, v3, s48
	v_sub_nc_u32_e32 v1, v1, v3
	s_delay_alu instid0(VALU_DEP_1)
	v_mad_u32 v2, v1, s52, v2
	v_mad_u32 v6, v1, s53, v6
	;; [unrolled: 1-line block ×3, first 2 shown]
	s_branch .LBB348_791
.LBB348_789:
	s_mov_b32 s0, -1
                                        ; implicit-def: $vgpr4
                                        ; implicit-def: $vgpr6
                                        ; implicit-def: $vgpr2
	s_branch .LBB348_792
.LBB348_790:
	s_wait_loadcnt 0x0
	v_dual_mov_b32 v4, 0 :: v_dual_mov_b32 v6, 0
	v_mov_b32_e32 v2, 0
.LBB348_791:
	s_mov_b32 s0, 0
.LBB348_792:
	s_delay_alu instid0(SALU_CYCLE_1)
	s_and_not1_b32 vcc_lo, exec_lo, s0
	s_cbranch_vccnz .LBB348_795
; %bb.793:
	s_wait_loadcnt 0x0
	v_mov_b32_e32 v1, 0
	s_and_not1_b32 vcc_lo, exec_lo, s35
	s_delay_alu instid0(VALU_DEP_1) | instskip(NEXT) | instid1(VALU_DEP_1)
	v_mul_u64_e32 v[2:3], s[20:21], v[0:1]
	v_add_nc_u32_e32 v2, v0, v3
	s_delay_alu instid0(VALU_DEP_1) | instskip(NEXT) | instid1(VALU_DEP_1)
	v_lshrrev_b32_e32 v8, s14, v2
	v_mul_lo_u32 v2, v8, s12
	s_delay_alu instid0(VALU_DEP_1) | instskip(NEXT) | instid1(VALU_DEP_1)
	v_sub_nc_u32_e32 v3, v0, v2
	v_mul_lo_u32 v2, v3, s16
	v_mul_lo_u32 v4, v3, s18
	;; [unrolled: 1-line block ×3, first 2 shown]
	s_cbranch_vccnz .LBB348_795
; %bb.794:
	v_mov_b32_e32 v9, v1
	s_delay_alu instid0(VALU_DEP_1) | instskip(NEXT) | instid1(VALU_DEP_1)
	v_mul_u64_e32 v[10:11], s[24:25], v[8:9]
	v_add_nc_u32_e32 v1, v8, v11
	s_delay_alu instid0(VALU_DEP_1) | instskip(NEXT) | instid1(VALU_DEP_1)
	v_lshrrev_b32_e32 v1, s1, v1
	v_mul_lo_u32 v1, v1, s15
	s_delay_alu instid0(VALU_DEP_1) | instskip(NEXT) | instid1(VALU_DEP_1)
	v_sub_nc_u32_e32 v1, v8, v1
	v_mad_u32 v2, v1, s19, v2
	v_mad_u32 v6, v1, s22, v6
	;; [unrolled: 1-line block ×3, first 2 shown]
.LBB348_795:
	v_mov_b32_e32 v7, 0
	s_and_b32 s0, s34, 0xff
	s_delay_alu instid0(SALU_CYCLE_1) | instskip(SKIP_1) | instid1(VALU_DEP_1)
	s_cmp_lt_i32 s0, 11
	s_wait_loadcnt 0x0
	v_add_nc_u64_e32 v[6:7], s[6:7], v[6:7]
	s_cbranch_scc1 .LBB348_802
; %bb.796:
	s_and_b32 s27, 0xffff, s0
	s_delay_alu instid0(SALU_CYCLE_1)
	s_cmp_gt_i32 s27, 25
	s_cbranch_scc0 .LBB348_803
; %bb.797:
	s_cmp_gt_i32 s27, 28
	s_cbranch_scc0 .LBB348_804
; %bb.798:
	;; [unrolled: 3-line block ×4, first 2 shown]
	s_cmp_eq_u32 s27, 46
	s_mov_b32 s49, 0
	s_cbranch_scc0 .LBB348_809
; %bb.801:
	global_load_b32 v1, v[6:7], off
	s_mov_b32 s48, -1
	s_mov_b32 s26, 0
	s_wait_loadcnt 0x0
	v_lshlrev_b32_e32 v1, 16, v1
	s_delay_alu instid0(VALU_DEP_1)
	v_cvt_u32_f32_e32 v1, v1
	s_branch .LBB348_811
.LBB348_802:
	s_mov_b32 s27, -1
	s_mov_b32 s48, 0
	s_mov_b32 s26, s43
                                        ; implicit-def: $vgpr1
	s_branch .LBB348_872
.LBB348_803:
	s_mov_b32 s49, -1
	s_mov_b32 s48, 0
	s_mov_b32 s26, s43
                                        ; implicit-def: $vgpr1
	s_branch .LBB348_838
.LBB348_804:
	s_mov_b32 s49, -1
	s_mov_b32 s48, 0
	s_mov_b32 s26, s43
                                        ; implicit-def: $vgpr1
	s_branch .LBB348_821
.LBB348_805:
	s_mov_b32 s49, -1
	s_mov_b32 s48, 0
	s_mov_b32 s26, s43
                                        ; implicit-def: $vgpr1
	s_branch .LBB348_816
.LBB348_806:
	s_mov_b32 s49, -1
	s_mov_b32 s48, 0
	s_mov_b32 s26, s43
	s_branch .LBB348_810
.LBB348_807:
	s_and_not1_saveexec_b32 s49, s49
	s_cbranch_execz .LBB348_689
.LBB348_808:
	v_add_f32_e32 v1, 0x46000000, v4
	s_and_not1_b32 s48, s48, exec_lo
	s_delay_alu instid0(VALU_DEP_1) | instskip(NEXT) | instid1(VALU_DEP_1)
	v_and_b32_e32 v1, 0xff, v1
	v_cmp_ne_u32_e32 vcc_lo, 0, v1
	s_and_b32 s50, vcc_lo, exec_lo
	s_delay_alu instid0(SALU_CYCLE_1)
	s_or_b32 s48, s48, s50
	s_or_b32 exec_lo, exec_lo, s49
	v_mov_b32_e32 v5, 0
	s_and_saveexec_b32 s49, s48
	s_cbranch_execnz .LBB348_690
	s_branch .LBB348_691
.LBB348_809:
	s_mov_b32 s26, -1
	s_mov_b32 s48, 0
.LBB348_810:
                                        ; implicit-def: $vgpr1
.LBB348_811:
	s_and_b32 vcc_lo, exec_lo, s49
	s_cbranch_vccz .LBB348_815
; %bb.812:
	s_cmp_eq_u32 s27, 44
	s_cbranch_scc0 .LBB348_814
; %bb.813:
	global_load_u8 v1, v[6:7], off
	s_mov_b32 s26, 0
	s_mov_b32 s48, -1
	s_wait_loadcnt 0x0
	v_lshlrev_b32_e32 v3, 23, v1
	v_cmp_ne_u32_e32 vcc_lo, 0, v1
	s_delay_alu instid0(VALU_DEP_2) | instskip(NEXT) | instid1(VALU_DEP_1)
	v_cvt_u32_f32_e32 v3, v3
	v_cndmask_b32_e32 v1, 0, v3, vcc_lo
	s_branch .LBB348_815
.LBB348_814:
	s_mov_b32 s26, -1
                                        ; implicit-def: $vgpr1
.LBB348_815:
	s_mov_b32 s49, 0
.LBB348_816:
	s_delay_alu instid0(SALU_CYCLE_1)
	s_and_b32 vcc_lo, exec_lo, s49
	s_cbranch_vccz .LBB348_820
; %bb.817:
	s_cmp_eq_u32 s27, 29
	s_cbranch_scc0 .LBB348_819
; %bb.818:
	global_load_b32 v1, v[6:7], off
	s_mov_b32 s48, -1
	s_mov_b32 s26, 0
	s_branch .LBB348_820
.LBB348_819:
	s_mov_b32 s26, -1
                                        ; implicit-def: $vgpr1
.LBB348_820:
	s_mov_b32 s49, 0
.LBB348_821:
	s_delay_alu instid0(SALU_CYCLE_1)
	s_and_b32 vcc_lo, exec_lo, s49
	s_cbranch_vccz .LBB348_837
; %bb.822:
	s_cmp_lt_i32 s27, 27
	s_cbranch_scc1 .LBB348_825
; %bb.823:
	s_cmp_gt_i32 s27, 27
	s_cbranch_scc0 .LBB348_826
; %bb.824:
	s_wait_loadcnt 0x0
	global_load_b32 v1, v[6:7], off
	s_mov_b32 s48, 0
	s_branch .LBB348_827
.LBB348_825:
	s_mov_b32 s48, -1
                                        ; implicit-def: $vgpr1
	s_branch .LBB348_830
.LBB348_826:
	s_mov_b32 s48, -1
                                        ; implicit-def: $vgpr1
.LBB348_827:
	s_delay_alu instid0(SALU_CYCLE_1)
	s_and_not1_b32 vcc_lo, exec_lo, s48
	s_cbranch_vccnz .LBB348_829
; %bb.828:
	s_wait_loadcnt 0x0
	global_load_u16 v1, v[6:7], off
.LBB348_829:
	s_mov_b32 s48, 0
.LBB348_830:
	s_delay_alu instid0(SALU_CYCLE_1)
	s_and_not1_b32 vcc_lo, exec_lo, s48
	s_cbranch_vccnz .LBB348_836
; %bb.831:
	global_load_u8 v3, v[6:7], off
	s_mov_b32 s49, 0
	s_mov_b32 s48, exec_lo
	s_wait_loadcnt 0x0
	v_cmpx_lt_i16_e32 0x7f, v3
	s_xor_b32 s48, exec_lo, s48
	s_cbranch_execz .LBB348_848
; %bb.832:
	v_cmp_ne_u16_e32 vcc_lo, 0x80, v3
	s_and_b32 s49, vcc_lo, exec_lo
	s_and_not1_saveexec_b32 s48, s48
	s_cbranch_execnz .LBB348_849
.LBB348_833:
	s_or_b32 exec_lo, exec_lo, s48
	v_mov_b32_e32 v1, 0
	s_and_saveexec_b32 s48, s49
	s_cbranch_execz .LBB348_835
.LBB348_834:
	v_and_b32_e32 v1, 0xffff, v3
	s_delay_alu instid0(VALU_DEP_1) | instskip(SKIP_1) | instid1(VALU_DEP_2)
	v_and_b32_e32 v5, 7, v1
	v_bfe_u32 v10, v1, 3, 4
	v_clz_i32_u32_e32 v8, v5
	s_delay_alu instid0(VALU_DEP_2) | instskip(NEXT) | instid1(VALU_DEP_2)
	v_cmp_eq_u32_e32 vcc_lo, 0, v10
	v_min_u32_e32 v8, 32, v8
	s_delay_alu instid0(VALU_DEP_1) | instskip(NEXT) | instid1(VALU_DEP_1)
	v_subrev_nc_u32_e32 v9, 28, v8
	v_dual_lshlrev_b32 v1, v9, v1 :: v_dual_sub_nc_u32 v8, 29, v8
	s_delay_alu instid0(VALU_DEP_1) | instskip(NEXT) | instid1(VALU_DEP_1)
	v_dual_lshlrev_b32 v3, 24, v3 :: v_dual_bitop2_b32 v1, 7, v1 bitop3:0x40
	v_dual_cndmask_b32 v8, v10, v8 :: v_dual_cndmask_b32 v1, v5, v1
	s_delay_alu instid0(VALU_DEP_2) | instskip(NEXT) | instid1(VALU_DEP_2)
	v_and_b32_e32 v3, 0x80000000, v3
	v_lshl_add_u32 v5, v8, 23, 0x3b800000
	s_delay_alu instid0(VALU_DEP_3) | instskip(NEXT) | instid1(VALU_DEP_1)
	v_lshlrev_b32_e32 v1, 20, v1
	v_or3_b32 v1, v3, v5, v1
	s_delay_alu instid0(VALU_DEP_1)
	v_cvt_u32_f32_e32 v1, v1
.LBB348_835:
	s_or_b32 exec_lo, exec_lo, s48
.LBB348_836:
	s_mov_b32 s48, -1
.LBB348_837:
	s_mov_b32 s49, 0
.LBB348_838:
	s_delay_alu instid0(SALU_CYCLE_1)
	s_and_b32 vcc_lo, exec_lo, s49
	s_cbranch_vccz .LBB348_871
; %bb.839:
	s_cmp_gt_i32 s27, 22
	s_cbranch_scc0 .LBB348_847
; %bb.840:
	s_cmp_lt_i32 s27, 24
	s_cbranch_scc1 .LBB348_850
; %bb.841:
	s_cmp_gt_i32 s27, 24
	s_cbranch_scc0 .LBB348_851
; %bb.842:
	global_load_u8 v3, v[6:7], off
	s_mov_b32 s49, 0
	s_mov_b32 s48, exec_lo
	s_wait_loadcnt 0x0
	v_cmpx_lt_i16_e32 0x7f, v3
	s_xor_b32 s48, exec_lo, s48
	s_cbranch_execz .LBB348_863
; %bb.843:
	v_cmp_ne_u16_e32 vcc_lo, 0x80, v3
	s_and_b32 s49, vcc_lo, exec_lo
	s_and_not1_saveexec_b32 s48, s48
	s_cbranch_execnz .LBB348_864
.LBB348_844:
	s_or_b32 exec_lo, exec_lo, s48
	v_mov_b32_e32 v1, 0
	s_and_saveexec_b32 s48, s49
	s_cbranch_execz .LBB348_846
.LBB348_845:
	v_and_b32_e32 v1, 0xffff, v3
	s_delay_alu instid0(VALU_DEP_1) | instskip(SKIP_1) | instid1(VALU_DEP_2)
	v_and_b32_e32 v5, 3, v1
	v_bfe_u32 v10, v1, 2, 5
	v_clz_i32_u32_e32 v8, v5
	s_delay_alu instid0(VALU_DEP_2) | instskip(NEXT) | instid1(VALU_DEP_2)
	v_cmp_eq_u32_e32 vcc_lo, 0, v10
	v_min_u32_e32 v8, 32, v8
	s_delay_alu instid0(VALU_DEP_1) | instskip(NEXT) | instid1(VALU_DEP_1)
	v_subrev_nc_u32_e32 v9, 29, v8
	v_dual_lshlrev_b32 v1, v9, v1 :: v_dual_sub_nc_u32 v8, 30, v8
	s_delay_alu instid0(VALU_DEP_1) | instskip(NEXT) | instid1(VALU_DEP_1)
	v_dual_lshlrev_b32 v3, 24, v3 :: v_dual_bitop2_b32 v1, 3, v1 bitop3:0x40
	v_dual_cndmask_b32 v8, v10, v8 :: v_dual_cndmask_b32 v1, v5, v1
	s_delay_alu instid0(VALU_DEP_2) | instskip(NEXT) | instid1(VALU_DEP_2)
	v_and_b32_e32 v3, 0x80000000, v3
	v_lshl_add_u32 v5, v8, 23, 0x37800000
	s_delay_alu instid0(VALU_DEP_3) | instskip(NEXT) | instid1(VALU_DEP_1)
	v_lshlrev_b32_e32 v1, 21, v1
	v_or3_b32 v1, v3, v5, v1
	s_delay_alu instid0(VALU_DEP_1)
	v_cvt_u32_f32_e32 v1, v1
.LBB348_846:
	s_or_b32 exec_lo, exec_lo, s48
	s_mov_b32 s48, 0
	s_branch .LBB348_852
.LBB348_847:
	s_mov_b32 s49, -1
                                        ; implicit-def: $vgpr1
	s_branch .LBB348_858
.LBB348_848:
	s_and_not1_saveexec_b32 s48, s48
	s_cbranch_execz .LBB348_833
.LBB348_849:
	v_cmp_ne_u16_e32 vcc_lo, 0, v3
	s_and_not1_b32 s49, s49, exec_lo
	s_and_b32 s50, vcc_lo, exec_lo
	s_delay_alu instid0(SALU_CYCLE_1)
	s_or_b32 s49, s49, s50
	s_or_b32 exec_lo, exec_lo, s48
	v_mov_b32_e32 v1, 0
	s_and_saveexec_b32 s48, s49
	s_cbranch_execnz .LBB348_834
	s_branch .LBB348_835
.LBB348_850:
	s_mov_b32 s48, -1
                                        ; implicit-def: $vgpr1
	s_branch .LBB348_855
.LBB348_851:
	s_mov_b32 s48, -1
                                        ; implicit-def: $vgpr1
.LBB348_852:
	s_delay_alu instid0(SALU_CYCLE_1)
	s_and_b32 vcc_lo, exec_lo, s48
	s_cbranch_vccz .LBB348_854
; %bb.853:
	s_wait_loadcnt 0x0
	global_load_u8 v1, v[6:7], off
	s_wait_loadcnt 0x0
	v_lshlrev_b32_e32 v1, 24, v1
	s_delay_alu instid0(VALU_DEP_1) | instskip(NEXT) | instid1(VALU_DEP_1)
	v_and_b32_e32 v3, 0x7f000000, v1
	v_clz_i32_u32_e32 v5, v3
	v_add_nc_u32_e32 v9, 0x1000000, v3
	v_cmp_ne_u32_e32 vcc_lo, 0, v3
	s_delay_alu instid0(VALU_DEP_3) | instskip(NEXT) | instid1(VALU_DEP_1)
	v_min_u32_e32 v5, 32, v5
	v_sub_nc_u32_e64 v5, v5, 4 clamp
	s_delay_alu instid0(VALU_DEP_1) | instskip(NEXT) | instid1(VALU_DEP_1)
	v_dual_lshlrev_b32 v8, v5, v3 :: v_dual_lshlrev_b32 v5, 23, v5
	v_lshrrev_b32_e32 v8, 4, v8
	s_delay_alu instid0(VALU_DEP_1) | instskip(SKIP_1) | instid1(VALU_DEP_2)
	v_sub_nc_u32_e32 v5, v8, v5
	v_ashrrev_i32_e32 v8, 8, v9
	v_add_nc_u32_e32 v5, 0x3c000000, v5
	s_delay_alu instid0(VALU_DEP_1) | instskip(NEXT) | instid1(VALU_DEP_1)
	v_and_or_b32 v5, 0x7f800000, v8, v5
	v_cndmask_b32_e32 v3, 0, v5, vcc_lo
	s_delay_alu instid0(VALU_DEP_1) | instskip(NEXT) | instid1(VALU_DEP_1)
	v_and_or_b32 v1, 0x80000000, v1, v3
	v_cvt_u32_f32_e32 v1, v1
.LBB348_854:
	s_mov_b32 s48, 0
.LBB348_855:
	s_delay_alu instid0(SALU_CYCLE_1)
	s_and_not1_b32 vcc_lo, exec_lo, s48
	s_cbranch_vccnz .LBB348_857
; %bb.856:
	s_wait_loadcnt 0x0
	global_load_u8 v1, v[6:7], off
	s_wait_loadcnt 0x0
	v_lshlrev_b32_e32 v3, 25, v1
	v_lshlrev_b16 v1, 8, v1
	s_delay_alu instid0(VALU_DEP_1) | instskip(SKIP_1) | instid1(VALU_DEP_2)
	v_and_or_b32 v8, 0x7f00, v1, 0.5
	v_bfe_i32 v1, v1, 0, 16
	v_dual_add_f32 v8, -0.5, v8 :: v_dual_lshrrev_b32 v5, 4, v3
	v_cmp_gt_u32_e32 vcc_lo, 0x8000000, v3
	s_delay_alu instid0(VALU_DEP_2) | instskip(NEXT) | instid1(VALU_DEP_1)
	v_or_b32_e32 v5, 0x70000000, v5
	v_mul_f32_e32 v5, 0x7800000, v5
	s_delay_alu instid0(VALU_DEP_1) | instskip(NEXT) | instid1(VALU_DEP_1)
	v_cndmask_b32_e32 v3, v5, v8, vcc_lo
	v_and_or_b32 v1, 0x80000000, v1, v3
	s_delay_alu instid0(VALU_DEP_1)
	v_cvt_u32_f32_e32 v1, v1
.LBB348_857:
	s_mov_b32 s49, 0
	s_mov_b32 s48, -1
.LBB348_858:
	s_and_not1_b32 vcc_lo, exec_lo, s49
	s_cbranch_vccnz .LBB348_871
; %bb.859:
	s_cmp_gt_i32 s27, 14
	s_cbranch_scc0 .LBB348_862
; %bb.860:
	s_cmp_eq_u32 s27, 15
	s_cbranch_scc0 .LBB348_865
; %bb.861:
	s_wait_loadcnt 0x0
	global_load_u16 v1, v[6:7], off
	s_mov_b32 s48, -1
	s_mov_b32 s26, 0
	s_wait_loadcnt 0x0
	v_lshlrev_b32_e32 v1, 16, v1
	s_delay_alu instid0(VALU_DEP_1)
	v_cvt_u32_f32_e32 v1, v1
	s_branch .LBB348_866
.LBB348_862:
	s_mov_b32 s49, -1
                                        ; implicit-def: $vgpr1
	s_branch .LBB348_867
.LBB348_863:
	s_and_not1_saveexec_b32 s48, s48
	s_cbranch_execz .LBB348_844
.LBB348_864:
	v_cmp_ne_u16_e32 vcc_lo, 0, v3
	s_and_not1_b32 s49, s49, exec_lo
	s_and_b32 s50, vcc_lo, exec_lo
	s_delay_alu instid0(SALU_CYCLE_1)
	s_or_b32 s49, s49, s50
	s_or_b32 exec_lo, exec_lo, s48
	v_mov_b32_e32 v1, 0
	s_and_saveexec_b32 s48, s49
	s_cbranch_execnz .LBB348_845
	s_branch .LBB348_846
.LBB348_865:
	s_mov_b32 s26, -1
                                        ; implicit-def: $vgpr1
.LBB348_866:
	s_mov_b32 s49, 0
.LBB348_867:
	s_delay_alu instid0(SALU_CYCLE_1)
	s_and_b32 vcc_lo, exec_lo, s49
	s_cbranch_vccz .LBB348_871
; %bb.868:
	s_cmp_eq_u32 s27, 11
	s_cbranch_scc0 .LBB348_870
; %bb.869:
	s_wait_loadcnt 0x0
	global_load_u8 v1, v[6:7], off
	s_mov_b32 s26, 0
	s_mov_b32 s48, -1
	s_wait_loadcnt 0x0
	v_cmp_ne_u16_e32 vcc_lo, 0, v1
	v_cndmask_b32_e64 v1, 0, 1, vcc_lo
	s_branch .LBB348_871
.LBB348_870:
	s_mov_b32 s26, -1
                                        ; implicit-def: $vgpr1
.LBB348_871:
	s_mov_b32 s27, 0
.LBB348_872:
	s_delay_alu instid0(SALU_CYCLE_1)
	s_and_b32 vcc_lo, exec_lo, s27
	s_cbranch_vccz .LBB348_921
; %bb.873:
	s_and_b32 s0, 0xffff, s0
	s_delay_alu instid0(SALU_CYCLE_1)
	s_cmp_lt_i32 s0, 5
	s_cbranch_scc1 .LBB348_878
; %bb.874:
	s_cmp_lt_i32 s0, 8
	s_cbranch_scc1 .LBB348_879
; %bb.875:
	s_cmp_lt_i32 s0, 9
	s_cbranch_scc1 .LBB348_880
; %bb.876:
	s_cmp_gt_i32 s0, 9
	s_cbranch_scc0 .LBB348_881
; %bb.877:
	global_load_b64 v[8:9], v[6:7], off
	s_mov_b32 s27, 0
	s_wait_loadcnt 0x0
	v_cvt_u32_f64_e32 v1, v[8:9]
	s_branch .LBB348_882
.LBB348_878:
	s_mov_b32 s27, -1
                                        ; implicit-def: $vgpr1
	s_branch .LBB348_900
.LBB348_879:
	s_mov_b32 s27, -1
                                        ; implicit-def: $vgpr1
	s_branch .LBB348_888
.LBB348_880:
	s_mov_b32 s27, -1
                                        ; implicit-def: $vgpr1
	s_branch .LBB348_885
.LBB348_881:
	s_mov_b32 s27, -1
                                        ; implicit-def: $vgpr1
.LBB348_882:
	s_delay_alu instid0(SALU_CYCLE_1)
	s_and_not1_b32 vcc_lo, exec_lo, s27
	s_cbranch_vccnz .LBB348_884
; %bb.883:
	s_wait_loadcnt 0x0
	global_load_b32 v1, v[6:7], off
	s_wait_loadcnt 0x0
	v_cvt_u32_f32_e32 v1, v1
.LBB348_884:
	s_mov_b32 s27, 0
.LBB348_885:
	s_delay_alu instid0(SALU_CYCLE_1)
	s_and_not1_b32 vcc_lo, exec_lo, s27
	s_cbranch_vccnz .LBB348_887
; %bb.886:
	s_wait_loadcnt 0x0
	global_load_b32 v1, v[6:7], off
	s_wait_loadcnt 0x0
	v_cvt_f32_f16_e32 v1, v1
	s_delay_alu instid0(VALU_DEP_1)
	v_cvt_u32_f32_e32 v1, v1
.LBB348_887:
	s_mov_b32 s27, 0
.LBB348_888:
	s_delay_alu instid0(SALU_CYCLE_1)
	s_and_not1_b32 vcc_lo, exec_lo, s27
	s_cbranch_vccnz .LBB348_899
; %bb.889:
	s_cmp_lt_i32 s0, 6
	s_cbranch_scc1 .LBB348_892
; %bb.890:
	s_cmp_gt_i32 s0, 6
	s_cbranch_scc0 .LBB348_893
; %bb.891:
	global_load_b64 v[8:9], v[6:7], off
	s_mov_b32 s27, 0
	s_wait_loadcnt 0x0
	v_cvt_u32_f64_e32 v1, v[8:9]
	s_branch .LBB348_894
.LBB348_892:
	s_mov_b32 s27, -1
                                        ; implicit-def: $vgpr1
	s_branch .LBB348_897
.LBB348_893:
	s_mov_b32 s27, -1
                                        ; implicit-def: $vgpr1
.LBB348_894:
	s_delay_alu instid0(SALU_CYCLE_1)
	s_and_not1_b32 vcc_lo, exec_lo, s27
	s_cbranch_vccnz .LBB348_896
; %bb.895:
	s_wait_loadcnt 0x0
	global_load_b32 v1, v[6:7], off
	s_wait_loadcnt 0x0
	v_cvt_u32_f32_e32 v1, v1
.LBB348_896:
	s_mov_b32 s27, 0
.LBB348_897:
	s_delay_alu instid0(SALU_CYCLE_1)
	s_and_not1_b32 vcc_lo, exec_lo, s27
	s_cbranch_vccnz .LBB348_899
; %bb.898:
	s_wait_loadcnt 0x0
	global_load_u16 v1, v[6:7], off
	s_wait_loadcnt 0x0
	v_cvt_f32_f16_e32 v1, v1
	s_delay_alu instid0(VALU_DEP_1)
	v_cvt_u32_f32_e32 v1, v1
.LBB348_899:
	s_mov_b32 s27, 0
.LBB348_900:
	s_delay_alu instid0(SALU_CYCLE_1)
	s_and_not1_b32 vcc_lo, exec_lo, s27
	s_cbranch_vccnz .LBB348_920
; %bb.901:
	s_cmp_lt_i32 s0, 2
	s_cbranch_scc1 .LBB348_905
; %bb.902:
	s_cmp_lt_i32 s0, 3
	s_cbranch_scc1 .LBB348_906
; %bb.903:
	s_cmp_gt_i32 s0, 3
	s_cbranch_scc0 .LBB348_907
; %bb.904:
	s_wait_loadcnt 0x0
	global_load_b32 v1, v[6:7], off
	s_mov_b32 s27, 0
	s_branch .LBB348_908
.LBB348_905:
	s_mov_b32 s27, -1
                                        ; implicit-def: $vgpr1
	s_branch .LBB348_914
.LBB348_906:
	s_mov_b32 s27, -1
                                        ; implicit-def: $vgpr1
	s_branch .LBB348_911
.LBB348_907:
	s_mov_b32 s27, -1
                                        ; implicit-def: $vgpr1
.LBB348_908:
	s_delay_alu instid0(SALU_CYCLE_1)
	s_and_not1_b32 vcc_lo, exec_lo, s27
	s_cbranch_vccnz .LBB348_910
; %bb.909:
	s_wait_loadcnt 0x0
	global_load_b32 v1, v[6:7], off
.LBB348_910:
	s_mov_b32 s27, 0
.LBB348_911:
	s_delay_alu instid0(SALU_CYCLE_1)
	s_and_not1_b32 vcc_lo, exec_lo, s27
	s_cbranch_vccnz .LBB348_913
; %bb.912:
	s_wait_loadcnt 0x0
	global_load_i16 v1, v[6:7], off
.LBB348_913:
	s_mov_b32 s27, 0
.LBB348_914:
	s_delay_alu instid0(SALU_CYCLE_1)
	s_and_not1_b32 vcc_lo, exec_lo, s27
	s_cbranch_vccnz .LBB348_920
; %bb.915:
	s_cmp_gt_i32 s0, 0
	s_mov_b32 s0, 0
	s_cbranch_scc0 .LBB348_917
; %bb.916:
	s_wait_loadcnt 0x0
	global_load_i8 v1, v[6:7], off
	s_branch .LBB348_918
.LBB348_917:
	s_mov_b32 s0, -1
                                        ; implicit-def: $vgpr1
.LBB348_918:
	s_delay_alu instid0(SALU_CYCLE_1)
	s_and_not1_b32 vcc_lo, exec_lo, s0
	s_cbranch_vccnz .LBB348_920
; %bb.919:
	s_wait_loadcnt 0x0
	global_load_u8 v1, v[6:7], off
.LBB348_920:
	s_mov_b32 s48, -1
.LBB348_921:
	s_delay_alu instid0(SALU_CYCLE_1)
	s_and_not1_b32 vcc_lo, exec_lo, s48
	s_cbranch_vccnz .LBB348_929
; %bb.922:
	v_mov_b32_e32 v5, 0
	s_and_b32 s0, s13, 0xff
	s_delay_alu instid0(SALU_CYCLE_1) | instskip(NEXT) | instid1(VALU_DEP_1)
	s_cmp_lt_i32 s0, 11
	v_add_nc_u64_e32 v[4:5], s[8:9], v[4:5]
	s_cbranch_scc1 .LBB348_930
; %bb.923:
	s_and_b32 s48, 0xffff, s0
	s_delay_alu instid0(SALU_CYCLE_1)
	s_cmp_gt_i32 s48, 25
	s_cbranch_scc0 .LBB348_931
; %bb.924:
	s_cmp_gt_i32 s48, 28
	s_cbranch_scc0 .LBB348_932
; %bb.925:
	;; [unrolled: 3-line block ×4, first 2 shown]
	s_cmp_eq_u32 s48, 46
	s_mov_b32 s50, 0
	s_cbranch_scc0 .LBB348_937
; %bb.928:
	global_load_b32 v3, v[4:5], off
	s_mov_b32 s49, -1
	s_mov_b32 s27, 0
	s_wait_loadcnt 0x0
	v_lshlrev_b32_e32 v3, 16, v3
	s_wait_xcnt 0x1
	s_delay_alu instid0(VALU_DEP_1)
	v_cvt_u32_f32_e32 v6, v3
	s_branch .LBB348_939
.LBB348_929:
	s_mov_b32 s51, 0
	s_mov_b32 s0, s44
	;; [unrolled: 1-line block ×3, first 2 shown]
	s_branch .LBB348_1174
.LBB348_930:
	s_mov_b32 s48, -1
	s_mov_b32 s49, 0
	s_mov_b32 s27, s45
                                        ; implicit-def: $vgpr6
	s_branch .LBB348_1000
.LBB348_931:
	s_mov_b32 s50, -1
	s_mov_b32 s49, 0
	s_mov_b32 s27, s45
                                        ; implicit-def: $vgpr6
	s_branch .LBB348_966
.LBB348_932:
	s_mov_b32 s50, -1
	s_mov_b32 s49, 0
	s_mov_b32 s27, s45
                                        ; implicit-def: $vgpr6
	s_branch .LBB348_949
.LBB348_933:
	s_mov_b32 s50, -1
	s_mov_b32 s49, 0
	s_mov_b32 s27, s45
                                        ; implicit-def: $vgpr6
	s_branch .LBB348_944
.LBB348_934:
	s_mov_b32 s50, -1
	s_mov_b32 s49, 0
	s_mov_b32 s27, s45
	s_branch .LBB348_938
.LBB348_935:
	s_and_not1_saveexec_b32 s49, s49
	s_cbranch_execz .LBB348_702
.LBB348_936:
	v_add_f32_e32 v1, 0x42800000, v4
	s_and_not1_b32 s48, s48, exec_lo
	s_delay_alu instid0(VALU_DEP_1) | instskip(NEXT) | instid1(VALU_DEP_1)
	v_and_b32_e32 v1, 0xff, v1
	v_cmp_ne_u32_e32 vcc_lo, 0, v1
	s_and_b32 s50, vcc_lo, exec_lo
	s_delay_alu instid0(SALU_CYCLE_1)
	s_or_b32 s48, s48, s50
	s_or_b32 exec_lo, exec_lo, s49
	v_mov_b32_e32 v5, 0
	s_and_saveexec_b32 s49, s48
	s_cbranch_execnz .LBB348_703
	s_branch .LBB348_704
.LBB348_937:
	s_mov_b32 s27, -1
	s_mov_b32 s49, 0
.LBB348_938:
                                        ; implicit-def: $vgpr6
.LBB348_939:
	s_and_b32 vcc_lo, exec_lo, s50
	s_cbranch_vccz .LBB348_943
; %bb.940:
	s_cmp_eq_u32 s48, 44
	s_cbranch_scc0 .LBB348_942
; %bb.941:
	global_load_u8 v3, v[4:5], off
	s_mov_b32 s27, 0
	s_mov_b32 s49, -1
	s_wait_loadcnt 0x0
	s_wait_xcnt 0x1
	v_lshlrev_b32_e32 v6, 23, v3
	v_cmp_ne_u32_e32 vcc_lo, 0, v3
	s_delay_alu instid0(VALU_DEP_2) | instskip(NEXT) | instid1(VALU_DEP_1)
	v_cvt_u32_f32_e32 v6, v6
	v_cndmask_b32_e32 v6, 0, v6, vcc_lo
	s_branch .LBB348_943
.LBB348_942:
	s_mov_b32 s27, -1
                                        ; implicit-def: $vgpr6
.LBB348_943:
	s_mov_b32 s50, 0
.LBB348_944:
	s_delay_alu instid0(SALU_CYCLE_1)
	s_and_b32 vcc_lo, exec_lo, s50
	s_cbranch_vccz .LBB348_948
; %bb.945:
	s_cmp_eq_u32 s48, 29
	s_cbranch_scc0 .LBB348_947
; %bb.946:
	global_load_b32 v6, v[4:5], off
	s_mov_b32 s49, -1
	s_mov_b32 s27, 0
	s_branch .LBB348_948
.LBB348_947:
	s_mov_b32 s27, -1
                                        ; implicit-def: $vgpr6
.LBB348_948:
	s_mov_b32 s50, 0
.LBB348_949:
	s_delay_alu instid0(SALU_CYCLE_1)
	s_and_b32 vcc_lo, exec_lo, s50
	s_cbranch_vccz .LBB348_965
; %bb.950:
	s_cmp_lt_i32 s48, 27
	s_cbranch_scc1 .LBB348_953
; %bb.951:
	s_cmp_gt_i32 s48, 27
	s_cbranch_scc0 .LBB348_954
; %bb.952:
	s_wait_loadcnt 0x0
	global_load_b32 v6, v[4:5], off
	s_mov_b32 s49, 0
	s_branch .LBB348_955
.LBB348_953:
	s_mov_b32 s49, -1
                                        ; implicit-def: $vgpr6
	s_branch .LBB348_958
.LBB348_954:
	s_mov_b32 s49, -1
                                        ; implicit-def: $vgpr6
.LBB348_955:
	s_delay_alu instid0(SALU_CYCLE_1)
	s_and_not1_b32 vcc_lo, exec_lo, s49
	s_cbranch_vccnz .LBB348_957
; %bb.956:
	s_wait_loadcnt 0x0
	global_load_u16 v6, v[4:5], off
.LBB348_957:
	s_mov_b32 s49, 0
.LBB348_958:
	s_delay_alu instid0(SALU_CYCLE_1)
	s_and_not1_b32 vcc_lo, exec_lo, s49
	s_cbranch_vccnz .LBB348_964
; %bb.959:
	global_load_u8 v3, v[4:5], off
	s_mov_b32 s50, 0
	s_mov_b32 s49, exec_lo
	s_wait_loadcnt 0x0
	v_cmpx_lt_i16_e32 0x7f, v3
	s_xor_b32 s49, exec_lo, s49
	s_cbranch_execz .LBB348_976
; %bb.960:
	v_cmp_ne_u16_e32 vcc_lo, 0x80, v3
	s_and_b32 s50, vcc_lo, exec_lo
	s_and_not1_saveexec_b32 s49, s49
	s_cbranch_execnz .LBB348_977
.LBB348_961:
	s_or_b32 exec_lo, exec_lo, s49
	v_mov_b32_e32 v6, 0
	s_and_saveexec_b32 s49, s50
	s_cbranch_execz .LBB348_963
.LBB348_962:
	v_and_b32_e32 v6, 0xffff, v3
	s_delay_alu instid0(VALU_DEP_1) | instskip(SKIP_1) | instid1(VALU_DEP_2)
	v_and_b32_e32 v7, 7, v6
	v_bfe_u32 v10, v6, 3, 4
	v_clz_i32_u32_e32 v8, v7
	s_delay_alu instid0(VALU_DEP_2) | instskip(NEXT) | instid1(VALU_DEP_2)
	v_cmp_eq_u32_e32 vcc_lo, 0, v10
	v_min_u32_e32 v8, 32, v8
	s_delay_alu instid0(VALU_DEP_1) | instskip(NEXT) | instid1(VALU_DEP_1)
	v_subrev_nc_u32_e32 v9, 28, v8
	v_dual_lshlrev_b32 v6, v9, v6 :: v_dual_sub_nc_u32 v8, 29, v8
	s_delay_alu instid0(VALU_DEP_1) | instskip(NEXT) | instid1(VALU_DEP_1)
	v_dual_lshlrev_b32 v3, 24, v3 :: v_dual_bitop2_b32 v6, 7, v6 bitop3:0x40
	v_dual_cndmask_b32 v8, v10, v8, vcc_lo :: v_dual_cndmask_b32 v6, v7, v6, vcc_lo
	s_delay_alu instid0(VALU_DEP_2) | instskip(NEXT) | instid1(VALU_DEP_2)
	v_and_b32_e32 v3, 0x80000000, v3
	v_lshl_add_u32 v7, v8, 23, 0x3b800000
	s_delay_alu instid0(VALU_DEP_3) | instskip(NEXT) | instid1(VALU_DEP_1)
	v_lshlrev_b32_e32 v6, 20, v6
	v_or3_b32 v3, v3, v7, v6
	s_delay_alu instid0(VALU_DEP_1)
	v_cvt_u32_f32_e32 v6, v3
.LBB348_963:
	s_or_b32 exec_lo, exec_lo, s49
.LBB348_964:
	s_mov_b32 s49, -1
.LBB348_965:
	s_mov_b32 s50, 0
.LBB348_966:
	s_delay_alu instid0(SALU_CYCLE_1)
	s_and_b32 vcc_lo, exec_lo, s50
	s_cbranch_vccz .LBB348_999
; %bb.967:
	s_cmp_gt_i32 s48, 22
	s_cbranch_scc0 .LBB348_975
; %bb.968:
	s_cmp_lt_i32 s48, 24
	s_cbranch_scc1 .LBB348_978
; %bb.969:
	s_cmp_gt_i32 s48, 24
	s_cbranch_scc0 .LBB348_979
; %bb.970:
	global_load_u8 v3, v[4:5], off
	s_mov_b32 s50, 0
	s_mov_b32 s49, exec_lo
	s_wait_loadcnt 0x0
	v_cmpx_lt_i16_e32 0x7f, v3
	s_xor_b32 s49, exec_lo, s49
	s_cbranch_execz .LBB348_991
; %bb.971:
	v_cmp_ne_u16_e32 vcc_lo, 0x80, v3
	s_and_b32 s50, vcc_lo, exec_lo
	s_and_not1_saveexec_b32 s49, s49
	s_cbranch_execnz .LBB348_992
.LBB348_972:
	s_or_b32 exec_lo, exec_lo, s49
	v_mov_b32_e32 v6, 0
	s_and_saveexec_b32 s49, s50
	s_cbranch_execz .LBB348_974
.LBB348_973:
	v_and_b32_e32 v6, 0xffff, v3
	s_delay_alu instid0(VALU_DEP_1) | instskip(SKIP_1) | instid1(VALU_DEP_2)
	v_and_b32_e32 v7, 3, v6
	v_bfe_u32 v10, v6, 2, 5
	v_clz_i32_u32_e32 v8, v7
	s_delay_alu instid0(VALU_DEP_2) | instskip(NEXT) | instid1(VALU_DEP_2)
	v_cmp_eq_u32_e32 vcc_lo, 0, v10
	v_min_u32_e32 v8, 32, v8
	s_delay_alu instid0(VALU_DEP_1) | instskip(NEXT) | instid1(VALU_DEP_1)
	v_subrev_nc_u32_e32 v9, 29, v8
	v_dual_lshlrev_b32 v6, v9, v6 :: v_dual_sub_nc_u32 v8, 30, v8
	s_delay_alu instid0(VALU_DEP_1) | instskip(NEXT) | instid1(VALU_DEP_1)
	v_dual_lshlrev_b32 v3, 24, v3 :: v_dual_bitop2_b32 v6, 3, v6 bitop3:0x40
	v_dual_cndmask_b32 v8, v10, v8, vcc_lo :: v_dual_cndmask_b32 v6, v7, v6, vcc_lo
	s_delay_alu instid0(VALU_DEP_2) | instskip(NEXT) | instid1(VALU_DEP_2)
	v_and_b32_e32 v3, 0x80000000, v3
	v_lshl_add_u32 v7, v8, 23, 0x37800000
	s_delay_alu instid0(VALU_DEP_3) | instskip(NEXT) | instid1(VALU_DEP_1)
	v_lshlrev_b32_e32 v6, 21, v6
	v_or3_b32 v3, v3, v7, v6
	s_delay_alu instid0(VALU_DEP_1)
	v_cvt_u32_f32_e32 v6, v3
.LBB348_974:
	s_or_b32 exec_lo, exec_lo, s49
	s_mov_b32 s49, 0
	s_branch .LBB348_980
.LBB348_975:
	s_mov_b32 s50, -1
                                        ; implicit-def: $vgpr6
	s_branch .LBB348_986
.LBB348_976:
	s_and_not1_saveexec_b32 s49, s49
	s_cbranch_execz .LBB348_961
.LBB348_977:
	v_cmp_ne_u16_e32 vcc_lo, 0, v3
	s_and_not1_b32 s50, s50, exec_lo
	s_and_b32 s51, vcc_lo, exec_lo
	s_delay_alu instid0(SALU_CYCLE_1)
	s_or_b32 s50, s50, s51
	s_or_b32 exec_lo, exec_lo, s49
	v_mov_b32_e32 v6, 0
	s_and_saveexec_b32 s49, s50
	s_cbranch_execnz .LBB348_962
	s_branch .LBB348_963
.LBB348_978:
	s_mov_b32 s49, -1
                                        ; implicit-def: $vgpr6
	s_branch .LBB348_983
.LBB348_979:
	s_mov_b32 s49, -1
                                        ; implicit-def: $vgpr6
.LBB348_980:
	s_delay_alu instid0(SALU_CYCLE_1)
	s_and_b32 vcc_lo, exec_lo, s49
	s_cbranch_vccz .LBB348_982
; %bb.981:
	global_load_u8 v3, v[4:5], off
	s_wait_loadcnt 0x0
	v_lshlrev_b32_e32 v3, 24, v3
	s_wait_xcnt 0x1
	s_delay_alu instid0(VALU_DEP_1) | instskip(NEXT) | instid1(VALU_DEP_1)
	v_and_b32_e32 v6, 0x7f000000, v3
	v_clz_i32_u32_e32 v7, v6
	v_cmp_ne_u32_e32 vcc_lo, 0, v6
	v_add_nc_u32_e32 v9, 0x1000000, v6
	s_delay_alu instid0(VALU_DEP_3) | instskip(NEXT) | instid1(VALU_DEP_1)
	v_min_u32_e32 v7, 32, v7
	v_sub_nc_u32_e64 v7, v7, 4 clamp
	s_delay_alu instid0(VALU_DEP_1) | instskip(NEXT) | instid1(VALU_DEP_1)
	v_dual_lshlrev_b32 v8, v7, v6 :: v_dual_lshlrev_b32 v7, 23, v7
	v_lshrrev_b32_e32 v8, 4, v8
	s_delay_alu instid0(VALU_DEP_1) | instskip(NEXT) | instid1(VALU_DEP_1)
	v_dual_sub_nc_u32 v7, v8, v7 :: v_dual_ashrrev_i32 v8, 8, v9
	v_add_nc_u32_e32 v7, 0x3c000000, v7
	s_delay_alu instid0(VALU_DEP_1) | instskip(NEXT) | instid1(VALU_DEP_1)
	v_and_or_b32 v7, 0x7f800000, v8, v7
	v_cndmask_b32_e32 v6, 0, v7, vcc_lo
	s_delay_alu instid0(VALU_DEP_1) | instskip(NEXT) | instid1(VALU_DEP_1)
	v_and_or_b32 v3, 0x80000000, v3, v6
	v_cvt_u32_f32_e32 v6, v3
.LBB348_982:
	s_mov_b32 s49, 0
.LBB348_983:
	s_delay_alu instid0(SALU_CYCLE_1)
	s_and_not1_b32 vcc_lo, exec_lo, s49
	s_cbranch_vccnz .LBB348_985
; %bb.984:
	global_load_u8 v3, v[4:5], off
	s_wait_loadcnt 0x0
	s_wait_xcnt 0x1
	v_lshlrev_b32_e32 v6, 25, v3
	v_lshlrev_b16 v3, 8, v3
	s_delay_alu instid0(VALU_DEP_1) | instskip(SKIP_1) | instid1(VALU_DEP_2)
	v_and_or_b32 v8, 0x7f00, v3, 0.5
	v_bfe_i32 v3, v3, 0, 16
	v_dual_add_f32 v8, -0.5, v8 :: v_dual_lshrrev_b32 v7, 4, v6
	v_cmp_gt_u32_e32 vcc_lo, 0x8000000, v6
	s_delay_alu instid0(VALU_DEP_2) | instskip(NEXT) | instid1(VALU_DEP_1)
	v_or_b32_e32 v7, 0x70000000, v7
	v_mul_f32_e32 v7, 0x7800000, v7
	s_delay_alu instid0(VALU_DEP_1) | instskip(NEXT) | instid1(VALU_DEP_1)
	v_cndmask_b32_e32 v6, v7, v8, vcc_lo
	v_and_or_b32 v3, 0x80000000, v3, v6
	s_delay_alu instid0(VALU_DEP_1)
	v_cvt_u32_f32_e32 v6, v3
.LBB348_985:
	s_mov_b32 s50, 0
	s_mov_b32 s49, -1
.LBB348_986:
	s_and_not1_b32 vcc_lo, exec_lo, s50
	s_cbranch_vccnz .LBB348_999
; %bb.987:
	s_cmp_gt_i32 s48, 14
	s_cbranch_scc0 .LBB348_990
; %bb.988:
	s_cmp_eq_u32 s48, 15
	s_cbranch_scc0 .LBB348_993
; %bb.989:
	global_load_u16 v3, v[4:5], off
	s_mov_b32 s49, -1
	s_mov_b32 s27, 0
	s_wait_loadcnt 0x0
	v_lshlrev_b32_e32 v3, 16, v3
	s_wait_xcnt 0x1
	s_delay_alu instid0(VALU_DEP_1)
	v_cvt_u32_f32_e32 v6, v3
	s_branch .LBB348_994
.LBB348_990:
	s_mov_b32 s50, -1
                                        ; implicit-def: $vgpr6
	s_branch .LBB348_995
.LBB348_991:
	s_and_not1_saveexec_b32 s49, s49
	s_cbranch_execz .LBB348_972
.LBB348_992:
	v_cmp_ne_u16_e32 vcc_lo, 0, v3
	s_and_not1_b32 s50, s50, exec_lo
	s_and_b32 s51, vcc_lo, exec_lo
	s_delay_alu instid0(SALU_CYCLE_1)
	s_or_b32 s50, s50, s51
	s_or_b32 exec_lo, exec_lo, s49
	v_mov_b32_e32 v6, 0
	s_and_saveexec_b32 s49, s50
	s_cbranch_execnz .LBB348_973
	s_branch .LBB348_974
.LBB348_993:
	s_mov_b32 s27, -1
                                        ; implicit-def: $vgpr6
.LBB348_994:
	s_mov_b32 s50, 0
.LBB348_995:
	s_delay_alu instid0(SALU_CYCLE_1)
	s_and_b32 vcc_lo, exec_lo, s50
	s_cbranch_vccz .LBB348_999
; %bb.996:
	s_cmp_eq_u32 s48, 11
	s_cbranch_scc0 .LBB348_998
; %bb.997:
	global_load_u8 v3, v[4:5], off
	s_mov_b32 s27, 0
	s_mov_b32 s49, -1
	s_wait_loadcnt 0x0
	v_cmp_ne_u16_e32 vcc_lo, 0, v3
	s_wait_xcnt 0x1
	v_cndmask_b32_e64 v6, 0, 1, vcc_lo
	s_branch .LBB348_999
.LBB348_998:
	s_mov_b32 s27, -1
                                        ; implicit-def: $vgpr6
.LBB348_999:
	s_mov_b32 s48, 0
.LBB348_1000:
	s_delay_alu instid0(SALU_CYCLE_1)
	s_and_b32 vcc_lo, exec_lo, s48
	s_cbranch_vccz .LBB348_1049
; %bb.1001:
	s_and_b32 s0, 0xffff, s0
	s_delay_alu instid0(SALU_CYCLE_1)
	s_cmp_lt_i32 s0, 5
	s_cbranch_scc1 .LBB348_1006
; %bb.1002:
	s_cmp_lt_i32 s0, 8
	s_cbranch_scc1 .LBB348_1007
; %bb.1003:
	;; [unrolled: 3-line block ×3, first 2 shown]
	s_cmp_gt_i32 s0, 9
	s_cbranch_scc0 .LBB348_1009
; %bb.1005:
	s_wait_loadcnt 0x0
	global_load_b64 v[6:7], v[4:5], off
	s_mov_b32 s48, 0
	s_wait_loadcnt 0x0
	v_cvt_u32_f64_e32 v6, v[6:7]
	s_branch .LBB348_1010
.LBB348_1006:
	s_mov_b32 s48, -1
                                        ; implicit-def: $vgpr6
	s_branch .LBB348_1028
.LBB348_1007:
	s_mov_b32 s48, -1
                                        ; implicit-def: $vgpr6
	s_branch .LBB348_1016
.LBB348_1008:
	s_mov_b32 s48, -1
                                        ; implicit-def: $vgpr6
	s_branch .LBB348_1013
.LBB348_1009:
	s_mov_b32 s48, -1
                                        ; implicit-def: $vgpr6
.LBB348_1010:
	s_delay_alu instid0(SALU_CYCLE_1)
	s_and_not1_b32 vcc_lo, exec_lo, s48
	s_cbranch_vccnz .LBB348_1012
; %bb.1011:
	global_load_b32 v3, v[4:5], off
	s_wait_loadcnt 0x0
	s_wait_xcnt 0x1
	v_cvt_u32_f32_e32 v6, v3
.LBB348_1012:
	s_mov_b32 s48, 0
.LBB348_1013:
	s_delay_alu instid0(SALU_CYCLE_1)
	s_and_not1_b32 vcc_lo, exec_lo, s48
	s_cbranch_vccnz .LBB348_1015
; %bb.1014:
	global_load_b32 v3, v[4:5], off
	s_wait_loadcnt 0x0
	v_cvt_f32_f16_e32 v3, v3
	s_wait_xcnt 0x1
	s_delay_alu instid0(VALU_DEP_1)
	v_cvt_u32_f32_e32 v6, v3
.LBB348_1015:
	s_mov_b32 s48, 0
.LBB348_1016:
	s_delay_alu instid0(SALU_CYCLE_1)
	s_and_not1_b32 vcc_lo, exec_lo, s48
	s_cbranch_vccnz .LBB348_1027
; %bb.1017:
	s_cmp_lt_i32 s0, 6
	s_cbranch_scc1 .LBB348_1020
; %bb.1018:
	s_cmp_gt_i32 s0, 6
	s_cbranch_scc0 .LBB348_1021
; %bb.1019:
	s_wait_loadcnt 0x0
	global_load_b64 v[6:7], v[4:5], off
	s_mov_b32 s48, 0
	s_wait_loadcnt 0x0
	v_cvt_u32_f64_e32 v6, v[6:7]
	s_branch .LBB348_1022
.LBB348_1020:
	s_mov_b32 s48, -1
                                        ; implicit-def: $vgpr6
	s_branch .LBB348_1025
.LBB348_1021:
	s_mov_b32 s48, -1
                                        ; implicit-def: $vgpr6
.LBB348_1022:
	s_delay_alu instid0(SALU_CYCLE_1)
	s_and_not1_b32 vcc_lo, exec_lo, s48
	s_cbranch_vccnz .LBB348_1024
; %bb.1023:
	global_load_b32 v3, v[4:5], off
	s_wait_loadcnt 0x0
	s_wait_xcnt 0x1
	v_cvt_u32_f32_e32 v6, v3
.LBB348_1024:
	s_mov_b32 s48, 0
.LBB348_1025:
	s_delay_alu instid0(SALU_CYCLE_1)
	s_and_not1_b32 vcc_lo, exec_lo, s48
	s_cbranch_vccnz .LBB348_1027
; %bb.1026:
	global_load_u16 v3, v[4:5], off
	s_wait_loadcnt 0x0
	v_cvt_f32_f16_e32 v3, v3
	s_wait_xcnt 0x1
	s_delay_alu instid0(VALU_DEP_1)
	v_cvt_u32_f32_e32 v6, v3
.LBB348_1027:
	s_mov_b32 s48, 0
.LBB348_1028:
	s_delay_alu instid0(SALU_CYCLE_1)
	s_and_not1_b32 vcc_lo, exec_lo, s48
	s_cbranch_vccnz .LBB348_1048
; %bb.1029:
	s_cmp_lt_i32 s0, 2
	s_cbranch_scc1 .LBB348_1033
; %bb.1030:
	s_cmp_lt_i32 s0, 3
	s_cbranch_scc1 .LBB348_1034
; %bb.1031:
	s_cmp_gt_i32 s0, 3
	s_cbranch_scc0 .LBB348_1035
; %bb.1032:
	s_wait_loadcnt 0x0
	global_load_b32 v6, v[4:5], off
	s_mov_b32 s48, 0
	s_branch .LBB348_1036
.LBB348_1033:
	s_mov_b32 s48, -1
                                        ; implicit-def: $vgpr6
	s_branch .LBB348_1042
.LBB348_1034:
	s_mov_b32 s48, -1
                                        ; implicit-def: $vgpr6
	s_branch .LBB348_1039
.LBB348_1035:
	s_mov_b32 s48, -1
                                        ; implicit-def: $vgpr6
.LBB348_1036:
	s_delay_alu instid0(SALU_CYCLE_1)
	s_and_not1_b32 vcc_lo, exec_lo, s48
	s_cbranch_vccnz .LBB348_1038
; %bb.1037:
	s_wait_loadcnt 0x0
	global_load_b32 v6, v[4:5], off
.LBB348_1038:
	s_mov_b32 s48, 0
.LBB348_1039:
	s_delay_alu instid0(SALU_CYCLE_1)
	s_and_not1_b32 vcc_lo, exec_lo, s48
	s_cbranch_vccnz .LBB348_1041
; %bb.1040:
	s_wait_loadcnt 0x0
	global_load_i16 v6, v[4:5], off
.LBB348_1041:
	s_mov_b32 s48, 0
.LBB348_1042:
	s_delay_alu instid0(SALU_CYCLE_1)
	s_and_not1_b32 vcc_lo, exec_lo, s48
	s_cbranch_vccnz .LBB348_1048
; %bb.1043:
	s_cmp_gt_i32 s0, 0
	s_mov_b32 s0, 0
	s_cbranch_scc0 .LBB348_1045
; %bb.1044:
	s_wait_loadcnt 0x0
	global_load_i8 v6, v[4:5], off
	s_branch .LBB348_1046
.LBB348_1045:
	s_mov_b32 s0, -1
                                        ; implicit-def: $vgpr6
.LBB348_1046:
	s_delay_alu instid0(SALU_CYCLE_1)
	s_and_not1_b32 vcc_lo, exec_lo, s0
	s_cbranch_vccnz .LBB348_1048
; %bb.1047:
	s_wait_loadcnt 0x0
	global_load_u8 v6, v[4:5], off
.LBB348_1048:
	s_mov_b32 s49, -1
.LBB348_1049:
	s_delay_alu instid0(SALU_CYCLE_1)
	s_and_not1_b32 vcc_lo, exec_lo, s49
	s_cbranch_vccnz .LBB348_1057
; %bb.1050:
	v_mov_b32_e32 v3, 0
	s_wait_loadcnt 0x0
	s_delay_alu instid0(VALU_DEP_2) | instskip(SKIP_1) | instid1(VALU_DEP_2)
	v_cmp_ne_u32_e32 vcc_lo, v1, v6
	s_and_b32 s49, s11, 0xff
	v_add_nc_u64_e32 v[2:3], s[4:5], v[2:3]
	s_xor_b32 s48, s10, vcc_lo
	s_cmp_lt_i32 s49, 11
	s_cbranch_scc1 .LBB348_1058
; %bb.1051:
	s_and_b32 s50, 0xffff, s49
	s_delay_alu instid0(SALU_CYCLE_1)
	s_cmp_gt_i32 s50, 25
	s_cbranch_scc0 .LBB348_1059
; %bb.1052:
	s_cmp_gt_i32 s50, 28
	s_cbranch_scc0 .LBB348_1060
; %bb.1053:
	;; [unrolled: 3-line block ×4, first 2 shown]
	s_mov_b32 s52, 0
	s_mov_b32 s0, -1
	s_cmp_eq_u32 s50, 46
	s_mov_b32 s51, 0
	s_cbranch_scc0 .LBB348_1063
; %bb.1056:
	v_cndmask_b32_e64 v1, 0, 1.0, s48
	s_mov_b32 s51, -1
	s_mov_b32 s0, 0
	s_wait_xcnt 0x0
	s_delay_alu instid0(VALU_DEP_1) | instskip(NEXT) | instid1(VALU_DEP_1)
	v_bfe_u32 v4, v1, 16, 1
	v_add3_u32 v1, v1, v4, 0x7fff
	s_delay_alu instid0(VALU_DEP_1)
	v_lshrrev_b32_e32 v1, 16, v1
	global_store_b32 v[2:3], v1, off
	s_branch .LBB348_1063
.LBB348_1057:
	s_mov_b32 s51, 0
	s_mov_b32 s0, s44
	s_branch .LBB348_1174
.LBB348_1058:
	s_mov_b32 s50, -1
	s_mov_b32 s51, 0
	s_mov_b32 s0, s44
	s_branch .LBB348_1132
.LBB348_1059:
	s_mov_b32 s52, -1
	s_mov_b32 s51, 0
	s_mov_b32 s0, s44
	s_branch .LBB348_1090
.LBB348_1060:
	s_mov_b32 s52, -1
	s_mov_b32 s51, 0
	s_mov_b32 s0, s44
	s_branch .LBB348_1073
.LBB348_1061:
	s_mov_b32 s52, -1
	s_mov_b32 s51, 0
	s_mov_b32 s0, s44
	s_branch .LBB348_1069
.LBB348_1062:
	s_mov_b32 s52, -1
	s_mov_b32 s51, 0
	s_mov_b32 s0, s44
.LBB348_1063:
	s_and_b32 vcc_lo, exec_lo, s52
	s_cbranch_vccz .LBB348_1068
; %bb.1064:
	s_cmp_eq_u32 s50, 44
	s_mov_b32 s0, -1
	s_cbranch_scc0 .LBB348_1068
; %bb.1065:
	s_wait_xcnt 0x0
	v_cndmask_b32_e64 v5, 0, 1.0, s48
	s_mov_b32 s51, exec_lo
	s_delay_alu instid0(VALU_DEP_1) | instskip(NEXT) | instid1(VALU_DEP_1)
	v_dual_mov_b32 v4, 0xff :: v_dual_lshrrev_b32 v1, 23, v5
	v_cmpx_ne_u32_e32 0xff, v1
; %bb.1066:
	v_and_b32_e32 v4, 0x400000, v5
	v_and_or_b32 v5, 0x3fffff, v5, v1
	s_delay_alu instid0(VALU_DEP_2) | instskip(NEXT) | instid1(VALU_DEP_2)
	v_cmp_ne_u32_e32 vcc_lo, 0, v4
	v_cmp_ne_u32_e64 s0, 0, v5
	s_and_b32 s0, vcc_lo, s0
	s_delay_alu instid0(SALU_CYCLE_1) | instskip(NEXT) | instid1(VALU_DEP_1)
	v_cndmask_b32_e64 v4, 0, 1, s0
	v_add_nc_u32_e32 v4, v1, v4
; %bb.1067:
	s_or_b32 exec_lo, exec_lo, s51
	s_mov_b32 s51, -1
	s_mov_b32 s0, 0
	global_store_b8 v[2:3], v4, off
.LBB348_1068:
	s_mov_b32 s52, 0
.LBB348_1069:
	s_delay_alu instid0(SALU_CYCLE_1)
	s_and_b32 vcc_lo, exec_lo, s52
	s_cbranch_vccz .LBB348_1072
; %bb.1070:
	s_cmp_eq_u32 s50, 29
	s_mov_b32 s0, -1
	s_cbranch_scc0 .LBB348_1072
; %bb.1071:
	s_mov_b32 s0, 0
	s_wait_xcnt 0x0
	v_cndmask_b32_e64 v4, 0, 1, s48
	v_mov_b32_e32 v5, s0
	s_mov_b32 s51, -1
	s_mov_b32 s52, 0
	global_store_b64 v[2:3], v[4:5], off
	s_branch .LBB348_1073
.LBB348_1072:
	s_mov_b32 s52, 0
.LBB348_1073:
	s_delay_alu instid0(SALU_CYCLE_1)
	s_and_b32 vcc_lo, exec_lo, s52
	s_cbranch_vccz .LBB348_1089
; %bb.1074:
	s_cmp_lt_i32 s50, 27
	s_mov_b32 s51, -1
	s_cbranch_scc1 .LBB348_1080
; %bb.1075:
	s_cmp_gt_i32 s50, 27
	s_cbranch_scc0 .LBB348_1077
; %bb.1076:
	s_wait_xcnt 0x0
	v_cndmask_b32_e64 v1, 0, 1, s48
	s_mov_b32 s51, 0
	global_store_b32 v[2:3], v1, off
.LBB348_1077:
	s_and_not1_b32 vcc_lo, exec_lo, s51
	s_cbranch_vccnz .LBB348_1079
; %bb.1078:
	s_wait_xcnt 0x0
	v_cndmask_b32_e64 v1, 0, 1, s48
	global_store_b16 v[2:3], v1, off
.LBB348_1079:
	s_mov_b32 s51, 0
.LBB348_1080:
	s_delay_alu instid0(SALU_CYCLE_1)
	s_and_not1_b32 vcc_lo, exec_lo, s51
	s_cbranch_vccnz .LBB348_1088
; %bb.1081:
	s_wait_xcnt 0x0
	v_cndmask_b32_e64 v4, 0, 1.0, s48
	v_mov_b32_e32 v5, 0x80
	s_mov_b32 s51, exec_lo
	s_delay_alu instid0(VALU_DEP_2)
	v_cmpx_gt_u32_e32 0x43800000, v4
	s_cbranch_execz .LBB348_1087
; %bb.1082:
	s_mov_b32 s52, 0
	s_mov_b32 s53, exec_lo
                                        ; implicit-def: $vgpr1
	v_cmpx_lt_u32_e32 0x3bffffff, v4
	s_xor_b32 s53, exec_lo, s53
	s_cbranch_execz .LBB348_1202
; %bb.1083:
	v_bfe_u32 v1, v4, 20, 1
	s_mov_b32 s52, exec_lo
	s_delay_alu instid0(VALU_DEP_1) | instskip(NEXT) | instid1(VALU_DEP_1)
	v_add3_u32 v1, v4, v1, 0x487ffff
                                        ; implicit-def: $vgpr4
	v_lshrrev_b32_e32 v1, 20, v1
	s_and_not1_saveexec_b32 s53, s53
	s_cbranch_execnz .LBB348_1203
.LBB348_1084:
	s_or_b32 exec_lo, exec_lo, s53
	v_mov_b32_e32 v5, 0
	s_and_saveexec_b32 s53, s52
.LBB348_1085:
	v_mov_b32_e32 v5, v1
.LBB348_1086:
	s_or_b32 exec_lo, exec_lo, s53
.LBB348_1087:
	s_delay_alu instid0(SALU_CYCLE_1)
	s_or_b32 exec_lo, exec_lo, s51
	global_store_b8 v[2:3], v5, off
.LBB348_1088:
	s_mov_b32 s51, -1
.LBB348_1089:
	s_mov_b32 s52, 0
.LBB348_1090:
	s_delay_alu instid0(SALU_CYCLE_1)
	s_and_b32 vcc_lo, exec_lo, s52
	s_cbranch_vccz .LBB348_1131
; %bb.1091:
	s_cmp_gt_i32 s50, 22
	s_mov_b32 s52, -1
	s_cbranch_scc0 .LBB348_1123
; %bb.1092:
	s_cmp_lt_i32 s50, 24
	s_mov_b32 s51, -1
	s_cbranch_scc1 .LBB348_1112
; %bb.1093:
	s_cmp_gt_i32 s50, 24
	s_cbranch_scc0 .LBB348_1101
; %bb.1094:
	s_wait_xcnt 0x0
	v_cndmask_b32_e64 v4, 0, 1.0, s48
	v_mov_b32_e32 v5, 0x80
	s_mov_b32 s51, exec_lo
	s_delay_alu instid0(VALU_DEP_2)
	v_cmpx_gt_u32_e32 0x47800000, v4
	s_cbranch_execz .LBB348_1100
; %bb.1095:
	s_mov_b32 s52, 0
	s_mov_b32 s53, exec_lo
                                        ; implicit-def: $vgpr1
	v_cmpx_lt_u32_e32 0x37ffffff, v4
	s_xor_b32 s53, exec_lo, s53
	s_cbranch_execz .LBB348_2245
; %bb.1096:
	v_bfe_u32 v1, v4, 21, 1
	s_mov_b32 s52, exec_lo
	s_delay_alu instid0(VALU_DEP_1) | instskip(NEXT) | instid1(VALU_DEP_1)
	v_add3_u32 v1, v4, v1, 0x88fffff
                                        ; implicit-def: $vgpr4
	v_lshrrev_b32_e32 v1, 21, v1
	s_and_not1_saveexec_b32 s53, s53
	s_cbranch_execnz .LBB348_2246
.LBB348_1097:
	s_or_b32 exec_lo, exec_lo, s53
	v_mov_b32_e32 v5, 0
	s_and_saveexec_b32 s53, s52
.LBB348_1098:
	v_mov_b32_e32 v5, v1
.LBB348_1099:
	s_or_b32 exec_lo, exec_lo, s53
.LBB348_1100:
	s_delay_alu instid0(SALU_CYCLE_1)
	s_or_b32 exec_lo, exec_lo, s51
	s_mov_b32 s51, 0
	global_store_b8 v[2:3], v5, off
.LBB348_1101:
	s_and_b32 vcc_lo, exec_lo, s51
	s_cbranch_vccz .LBB348_1111
; %bb.1102:
	s_wait_xcnt 0x0
	v_cndmask_b32_e64 v4, 0, 1.0, s48
	s_mov_b32 s51, exec_lo
                                        ; implicit-def: $vgpr1
	s_delay_alu instid0(VALU_DEP_1)
	v_cmpx_gt_u32_e32 0x43f00000, v4
	s_xor_b32 s51, exec_lo, s51
	s_cbranch_execz .LBB348_1108
; %bb.1103:
	s_mov_b32 s52, exec_lo
                                        ; implicit-def: $vgpr1
	v_cmpx_lt_u32_e32 0x3c7fffff, v4
	s_xor_b32 s52, exec_lo, s52
; %bb.1104:
	v_bfe_u32 v1, v4, 20, 1
	s_delay_alu instid0(VALU_DEP_1) | instskip(NEXT) | instid1(VALU_DEP_1)
	v_add3_u32 v1, v4, v1, 0x407ffff
	v_and_b32_e32 v4, 0xff00000, v1
	v_lshrrev_b32_e32 v1, 20, v1
	s_delay_alu instid0(VALU_DEP_2) | instskip(NEXT) | instid1(VALU_DEP_2)
	v_cmp_ne_u32_e32 vcc_lo, 0x7f00000, v4
                                        ; implicit-def: $vgpr4
	v_cndmask_b32_e32 v1, 0x7e, v1, vcc_lo
; %bb.1105:
	s_and_not1_saveexec_b32 s52, s52
; %bb.1106:
	v_add_f32_e32 v1, 0x46800000, v4
; %bb.1107:
	s_or_b32 exec_lo, exec_lo, s52
                                        ; implicit-def: $vgpr4
.LBB348_1108:
	s_and_not1_saveexec_b32 s51, s51
; %bb.1109:
	v_mov_b32_e32 v1, 0x7f
	v_cmp_lt_u32_e32 vcc_lo, 0x7f800000, v4
	s_delay_alu instid0(VALU_DEP_2)
	v_cndmask_b32_e32 v1, 0x7e, v1, vcc_lo
; %bb.1110:
	s_or_b32 exec_lo, exec_lo, s51
	global_store_b8 v[2:3], v1, off
.LBB348_1111:
	s_mov_b32 s51, 0
.LBB348_1112:
	s_delay_alu instid0(SALU_CYCLE_1)
	s_and_not1_b32 vcc_lo, exec_lo, s51
	s_cbranch_vccnz .LBB348_1122
; %bb.1113:
	s_wait_xcnt 0x0
	v_cndmask_b32_e64 v4, 0, 1.0, s48
	s_mov_b32 s51, exec_lo
                                        ; implicit-def: $vgpr1
	s_delay_alu instid0(VALU_DEP_1)
	v_cmpx_gt_u32_e32 0x47800000, v4
	s_xor_b32 s51, exec_lo, s51
	s_cbranch_execz .LBB348_1119
; %bb.1114:
	s_mov_b32 s52, exec_lo
                                        ; implicit-def: $vgpr1
	v_cmpx_lt_u32_e32 0x387fffff, v4
	s_xor_b32 s52, exec_lo, s52
; %bb.1115:
	v_bfe_u32 v1, v4, 21, 1
	s_delay_alu instid0(VALU_DEP_1) | instskip(NEXT) | instid1(VALU_DEP_1)
	v_add3_u32 v1, v4, v1, 0x80fffff
                                        ; implicit-def: $vgpr4
	v_lshrrev_b32_e32 v1, 21, v1
; %bb.1116:
	s_and_not1_saveexec_b32 s52, s52
; %bb.1117:
	v_add_f32_e32 v1, 0x43000000, v4
; %bb.1118:
	s_or_b32 exec_lo, exec_lo, s52
                                        ; implicit-def: $vgpr4
.LBB348_1119:
	s_and_not1_saveexec_b32 s51, s51
; %bb.1120:
	v_mov_b32_e32 v1, 0x7f
	v_cmp_lt_u32_e32 vcc_lo, 0x7f800000, v4
	s_delay_alu instid0(VALU_DEP_2)
	v_cndmask_b32_e32 v1, 0x7c, v1, vcc_lo
; %bb.1121:
	s_or_b32 exec_lo, exec_lo, s51
	global_store_b8 v[2:3], v1, off
.LBB348_1122:
	s_mov_b32 s52, 0
	s_mov_b32 s51, -1
.LBB348_1123:
	s_and_not1_b32 vcc_lo, exec_lo, s52
	s_cbranch_vccnz .LBB348_1131
; %bb.1124:
	s_cmp_gt_i32 s50, 14
	s_mov_b32 s52, -1
	s_cbranch_scc0 .LBB348_1128
; %bb.1125:
	s_cmp_eq_u32 s50, 15
	s_mov_b32 s0, -1
	s_cbranch_scc0 .LBB348_1127
; %bb.1126:
	s_wait_xcnt 0x0
	v_cndmask_b32_e64 v1, 0, 1.0, s48
	s_mov_b32 s51, -1
	s_mov_b32 s0, 0
	s_delay_alu instid0(VALU_DEP_1) | instskip(NEXT) | instid1(VALU_DEP_1)
	v_bfe_u32 v4, v1, 16, 1
	v_add3_u32 v1, v1, v4, 0x7fff
	global_store_d16_hi_b16 v[2:3], v1, off
.LBB348_1127:
	s_mov_b32 s52, 0
.LBB348_1128:
	s_delay_alu instid0(SALU_CYCLE_1)
	s_and_b32 vcc_lo, exec_lo, s52
	s_cbranch_vccz .LBB348_1131
; %bb.1129:
	s_cmp_eq_u32 s50, 11
	s_mov_b32 s0, -1
	s_cbranch_scc0 .LBB348_1131
; %bb.1130:
	s_wait_xcnt 0x0
	v_cndmask_b32_e64 v1, 0, 1, s48
	s_mov_b32 s51, -1
	s_mov_b32 s0, 0
	global_store_b8 v[2:3], v1, off
.LBB348_1131:
	s_mov_b32 s50, 0
.LBB348_1132:
	s_delay_alu instid0(SALU_CYCLE_1)
	s_and_b32 vcc_lo, exec_lo, s50
	s_cbranch_vccz .LBB348_1171
; %bb.1133:
	s_and_b32 s49, 0xffff, s49
	s_mov_b32 s50, -1
	s_cmp_lt_i32 s49, 5
	s_cbranch_scc1 .LBB348_1154
; %bb.1134:
	s_cmp_lt_i32 s49, 8
	s_cbranch_scc1 .LBB348_1144
; %bb.1135:
	s_cmp_lt_i32 s49, 9
	s_cbranch_scc1 .LBB348_1141
; %bb.1136:
	s_cmp_gt_i32 s49, 9
	s_cbranch_scc0 .LBB348_1138
; %bb.1137:
	s_wait_xcnt 0x0
	v_cndmask_b32_e64 v1, 0, 1, s48
	v_mov_b32_e32 v6, 0
	s_mov_b32 s50, 0
	s_delay_alu instid0(VALU_DEP_2) | instskip(NEXT) | instid1(VALU_DEP_2)
	v_cvt_f64_u32_e32 v[4:5], v1
	v_mov_b32_e32 v7, v6
	global_store_b128 v[2:3], v[4:7], off
.LBB348_1138:
	s_and_not1_b32 vcc_lo, exec_lo, s50
	s_cbranch_vccnz .LBB348_1140
; %bb.1139:
	s_wait_xcnt 0x0
	v_cndmask_b32_e64 v4, 0, 1.0, s48
	v_mov_b32_e32 v5, 0
	global_store_b64 v[2:3], v[4:5], off
.LBB348_1140:
	s_mov_b32 s50, 0
.LBB348_1141:
	s_delay_alu instid0(SALU_CYCLE_1)
	s_and_not1_b32 vcc_lo, exec_lo, s50
	s_cbranch_vccnz .LBB348_1143
; %bb.1142:
	s_wait_xcnt 0x0
	v_cndmask_b32_e64 v1, 0, 1.0, s48
	s_delay_alu instid0(VALU_DEP_1) | instskip(NEXT) | instid1(VALU_DEP_1)
	v_cvt_f16_f32_e32 v1, v1
	v_and_b32_e32 v1, 0xffff, v1
	global_store_b32 v[2:3], v1, off
.LBB348_1143:
	s_mov_b32 s50, 0
.LBB348_1144:
	s_delay_alu instid0(SALU_CYCLE_1)
	s_and_not1_b32 vcc_lo, exec_lo, s50
	s_cbranch_vccnz .LBB348_1153
; %bb.1145:
	s_cmp_lt_i32 s49, 6
	s_mov_b32 s50, -1
	s_cbranch_scc1 .LBB348_1151
; %bb.1146:
	s_cmp_gt_i32 s49, 6
	s_cbranch_scc0 .LBB348_1148
; %bb.1147:
	s_wait_xcnt 0x0
	v_cndmask_b32_e64 v1, 0, 1, s48
	s_mov_b32 s50, 0
	s_delay_alu instid0(VALU_DEP_1)
	v_cvt_f64_u32_e32 v[4:5], v1
	global_store_b64 v[2:3], v[4:5], off
.LBB348_1148:
	s_and_not1_b32 vcc_lo, exec_lo, s50
	s_cbranch_vccnz .LBB348_1150
; %bb.1149:
	s_wait_xcnt 0x0
	v_cndmask_b32_e64 v1, 0, 1.0, s48
	global_store_b32 v[2:3], v1, off
.LBB348_1150:
	s_mov_b32 s50, 0
.LBB348_1151:
	s_delay_alu instid0(SALU_CYCLE_1)
	s_and_not1_b32 vcc_lo, exec_lo, s50
	s_cbranch_vccnz .LBB348_1153
; %bb.1152:
	s_wait_xcnt 0x0
	v_cndmask_b32_e64 v1, 0, 1.0, s48
	s_delay_alu instid0(VALU_DEP_1)
	v_cvt_f16_f32_e32 v1, v1
	global_store_b16 v[2:3], v1, off
.LBB348_1153:
	s_mov_b32 s50, 0
.LBB348_1154:
	s_delay_alu instid0(SALU_CYCLE_1)
	s_and_not1_b32 vcc_lo, exec_lo, s50
	s_cbranch_vccnz .LBB348_1170
; %bb.1155:
	s_cmp_lt_i32 s49, 2
	s_mov_b32 s50, -1
	s_cbranch_scc1 .LBB348_1165
; %bb.1156:
	s_cmp_lt_i32 s49, 3
	s_cbranch_scc1 .LBB348_1162
; %bb.1157:
	s_cmp_gt_i32 s49, 3
	s_cbranch_scc0 .LBB348_1159
; %bb.1158:
	s_mov_b32 s50, 0
	s_wait_xcnt 0x0
	v_cndmask_b32_e64 v4, 0, 1, s48
	v_mov_b32_e32 v5, s50
	global_store_b64 v[2:3], v[4:5], off
.LBB348_1159:
	s_and_not1_b32 vcc_lo, exec_lo, s50
	s_cbranch_vccnz .LBB348_1161
; %bb.1160:
	s_wait_xcnt 0x0
	v_cndmask_b32_e64 v1, 0, 1, s48
	global_store_b32 v[2:3], v1, off
.LBB348_1161:
	s_mov_b32 s50, 0
.LBB348_1162:
	s_delay_alu instid0(SALU_CYCLE_1)
	s_and_not1_b32 vcc_lo, exec_lo, s50
	s_cbranch_vccnz .LBB348_1164
; %bb.1163:
	s_wait_xcnt 0x0
	v_cndmask_b32_e64 v1, 0, 1, s48
	global_store_b16 v[2:3], v1, off
.LBB348_1164:
	s_mov_b32 s50, 0
.LBB348_1165:
	s_delay_alu instid0(SALU_CYCLE_1)
	s_and_not1_b32 vcc_lo, exec_lo, s50
	s_cbranch_vccnz .LBB348_1170
; %bb.1166:
	s_wait_xcnt 0x0
	v_cndmask_b32_e64 v1, 0, 1, s48
	s_cmp_gt_i32 s49, 0
	s_mov_b32 s48, -1
	s_cbranch_scc0 .LBB348_1168
; %bb.1167:
	s_mov_b32 s48, 0
	global_store_b8 v[2:3], v1, off
.LBB348_1168:
	s_and_not1_b32 vcc_lo, exec_lo, s48
	s_cbranch_vccnz .LBB348_1170
; %bb.1169:
	global_store_b8 v[2:3], v1, off
.LBB348_1170:
	s_mov_b32 s51, -1
.LBB348_1171:
	s_delay_alu instid0(SALU_CYCLE_1)
	s_and_not1_b32 vcc_lo, exec_lo, s51
	s_cbranch_vccnz .LBB348_1173
; %bb.1172:
	v_add_nc_u32_e32 v0, 0x80, v0
	s_mov_b32 s51, -1
	s_branch .LBB348_1175
.LBB348_1173:
	s_mov_b32 s51, 0
.LBB348_1174:
                                        ; implicit-def: $vgpr0
.LBB348_1175:
	s_and_not1_b32 s48, s44, exec_lo
	s_and_b32 s0, s0, exec_lo
	s_and_b32 s27, s27, exec_lo
	s_or_b32 s49, s48, s0
	s_and_not1_b32 s0, s45, exec_lo
	s_and_not1_b32 s48, s43, exec_lo
	s_and_b32 s26, s26, exec_lo
	s_or_b32 s50, s0, s27
	s_or_b32 s48, s48, s26
	s_or_not1_b32 s52, s51, exec_lo
.LBB348_1176:
	s_wait_xcnt 0x0
	s_or_b32 exec_lo, exec_lo, s47
	s_mov_b32 s27, 0
	s_mov_b32 s51, 0
	;; [unrolled: 1-line block ×3, first 2 shown]
                                        ; implicit-def: $sgpr0
                                        ; implicit-def: $vgpr6_vgpr7
                                        ; implicit-def: $vgpr4
                                        ; implicit-def: $vgpr2
                                        ; implicit-def: $vgpr8
	s_and_saveexec_b32 s47, s52
	s_cbranch_execz .LBB348_1267
; %bb.1177:
	v_cmp_gt_i32_e32 vcc_lo, s37, v0
	s_mov_b32 s52, s48
                                        ; implicit-def: $sgpr0
                                        ; implicit-def: $vgpr6_vgpr7
                                        ; implicit-def: $vgpr4
                                        ; implicit-def: $vgpr2
                                        ; implicit-def: $vgpr8
	s_and_saveexec_b32 s37, vcc_lo
	s_cbranch_execz .LBB348_1266
; %bb.1178:
	s_and_not1_b32 vcc_lo, exec_lo, s31
	s_cbranch_vccnz .LBB348_1184
; %bb.1179:
	s_and_not1_b32 vcc_lo, exec_lo, s38
	s_cbranch_vccnz .LBB348_1185
; %bb.1180:
	s_wait_loadcnt 0x0
	v_dual_mov_b32 v2, 0 :: v_dual_mov_b32 v1, v0
	v_dual_mov_b32 v6, 0 :: v_dual_mov_b32 v4, 0
	s_add_co_i32 s0, s36, 1
	s_mov_b64 s[26:27], 0xffffffffffffffe8
	s_and_b32 s0, s0, 30
	s_add_nc_u64 s[26:27], s[2:3], s[26:27]
.LBB348_1181:                           ; =>This Inner Loop Header: Depth=1
	s_clause 0x1
	s_load_b128 s[52:55], s[26:27], 0x1c
	s_load_b64 s[60:61], s[26:27], 0x2c
	s_add_co_i32 s0, s0, -2
	s_delay_alu instid0(SALU_CYCLE_1) | instskip(SKIP_2) | instid1(VALU_DEP_1)
	s_cmp_eq_u32 s0, 0
	s_wait_kmcnt 0x0
	v_mul_hi_u32 v3, s53, v1
	v_add_nc_u32_e32 v3, v1, v3
	s_delay_alu instid0(VALU_DEP_1) | instskip(NEXT) | instid1(VALU_DEP_1)
	v_lshrrev_b32_e32 v3, s54, v3
	v_mul_hi_u32 v5, s60, v3
	v_mul_lo_u32 v7, v3, s52
	s_clause 0x1
	s_load_b128 s[56:59], s[26:27], 0xdc
	s_load_b64 s[52:53], s[26:27], 0xec
	s_wait_xcnt 0x0
	s_add_nc_u64 s[26:27], s[26:27], 24
	s_delay_alu instid0(VALU_DEP_1) | instskip(NEXT) | instid1(VALU_DEP_1)
	v_dual_add_nc_u32 v5, v3, v5 :: v_dual_sub_nc_u32 v7, v1, v7
	v_lshrrev_b32_e32 v1, s61, v5
	s_wait_kmcnt 0x0
	s_delay_alu instid0(VALU_DEP_2) | instskip(NEXT) | instid1(VALU_DEP_2)
	v_mad_u32 v2, v7, s56, v2
	v_mul_lo_u32 v5, v1, s55
	v_mad_u32 v4, v7, s58, v4
	v_mad_u32 v6, v7, s57, v6
	s_delay_alu instid0(VALU_DEP_3) | instskip(NEXT) | instid1(VALU_DEP_1)
	v_sub_nc_u32_e32 v3, v3, v5
	v_mad_u32 v2, v3, s59, v2
	s_delay_alu instid0(VALU_DEP_4) | instskip(NEXT) | instid1(VALU_DEP_4)
	v_mad_u32 v4, v3, s53, v4
	v_mad_u32 v6, v3, s52, v6
	s_cbranch_scc0 .LBB348_1181
; %bb.1182:
	s_bitcmp1_b32 s36, 0
	s_cselect_b32 s0, -1, 0
	s_delay_alu instid0(SALU_CYCLE_1)
	s_and_b32 vcc_lo, exec_lo, s0
	s_cbranch_vccnz .LBB348_1186
; %bb.1183:
	s_clause 0x1
	s_load_b96 s[52:54], s[26:27], 0x1c
	s_load_b96 s[56:58], s[26:27], 0xdc
	s_wait_kmcnt 0x0
	v_mul_hi_u32 v3, s53, v1
	s_delay_alu instid0(VALU_DEP_1) | instskip(NEXT) | instid1(VALU_DEP_1)
	v_add_nc_u32_e32 v3, v1, v3
	v_lshrrev_b32_e32 v3, s54, v3
	s_delay_alu instid0(VALU_DEP_1) | instskip(NEXT) | instid1(VALU_DEP_1)
	v_mul_lo_u32 v3, v3, s52
	v_sub_nc_u32_e32 v1, v1, v3
	s_delay_alu instid0(VALU_DEP_1)
	v_mad_u32 v2, v1, s56, v2
	v_mad_u32 v6, v1, s57, v6
	;; [unrolled: 1-line block ×3, first 2 shown]
	s_branch .LBB348_1186
.LBB348_1184:
	s_mov_b32 s0, -1
                                        ; implicit-def: $vgpr4
                                        ; implicit-def: $vgpr6
                                        ; implicit-def: $vgpr2
	s_branch .LBB348_1187
.LBB348_1185:
	s_wait_loadcnt 0x0
	v_dual_mov_b32 v4, 0 :: v_dual_mov_b32 v6, 0
	v_mov_b32_e32 v2, 0
.LBB348_1186:
	s_mov_b32 s0, 0
.LBB348_1187:
	s_delay_alu instid0(SALU_CYCLE_1)
	s_and_not1_b32 vcc_lo, exec_lo, s0
	s_cbranch_vccnz .LBB348_1190
; %bb.1188:
	s_wait_loadcnt 0x0
	v_mov_b32_e32 v1, 0
	s_and_not1_b32 vcc_lo, exec_lo, s35
	s_delay_alu instid0(VALU_DEP_1) | instskip(NEXT) | instid1(VALU_DEP_1)
	v_mul_u64_e32 v[2:3], s[20:21], v[0:1]
	v_add_nc_u32_e32 v2, v0, v3
	s_delay_alu instid0(VALU_DEP_1) | instskip(NEXT) | instid1(VALU_DEP_1)
	v_lshrrev_b32_e32 v8, s14, v2
	v_mul_lo_u32 v2, v8, s12
	s_delay_alu instid0(VALU_DEP_1) | instskip(NEXT) | instid1(VALU_DEP_1)
	v_sub_nc_u32_e32 v0, v0, v2
	v_mul_lo_u32 v2, v0, s16
	v_mul_lo_u32 v4, v0, s18
	;; [unrolled: 1-line block ×3, first 2 shown]
	s_cbranch_vccnz .LBB348_1190
; %bb.1189:
	v_mov_b32_e32 v9, v1
	s_delay_alu instid0(VALU_DEP_1) | instskip(NEXT) | instid1(VALU_DEP_1)
	v_mul_u64_e32 v[0:1], s[24:25], v[8:9]
	v_add_nc_u32_e32 v0, v8, v1
	s_delay_alu instid0(VALU_DEP_1) | instskip(NEXT) | instid1(VALU_DEP_1)
	v_lshrrev_b32_e32 v0, s1, v0
	v_mul_lo_u32 v0, v0, s15
	s_delay_alu instid0(VALU_DEP_1) | instskip(NEXT) | instid1(VALU_DEP_1)
	v_sub_nc_u32_e32 v0, v8, v0
	v_mad_u32 v2, v0, s19, v2
	v_mad_u32 v6, v0, s22, v6
	;; [unrolled: 1-line block ×3, first 2 shown]
.LBB348_1190:
	v_mov_b32_e32 v7, 0
	s_and_b32 s0, s34, 0xff
	s_delay_alu instid0(SALU_CYCLE_1) | instskip(SKIP_1) | instid1(VALU_DEP_1)
	s_cmp_lt_i32 s0, 11
	s_wait_loadcnt 0x0
	v_add_nc_u64_e32 v[6:7], s[6:7], v[6:7]
	s_cbranch_scc1 .LBB348_1197
; %bb.1191:
	s_and_b32 s6, 0xffff, s0
	s_mov_b32 s7, 0
	s_cmp_gt_i32 s6, 25
	s_cbranch_scc0 .LBB348_1198
; %bb.1192:
	s_cmp_gt_i32 s6, 28
	s_cbranch_scc0 .LBB348_1199
; %bb.1193:
	;; [unrolled: 3-line block ×4, first 2 shown]
	s_cmp_eq_u32 s6, 46
	s_mov_b32 s14, 0
	s_cbranch_scc0 .LBB348_1204
; %bb.1196:
	global_load_b32 v0, v[6:7], off
	s_mov_b32 s1, 0
	s_mov_b32 s12, -1
	s_wait_loadcnt 0x0
	v_lshlrev_b32_e32 v0, 16, v0
	s_delay_alu instid0(VALU_DEP_1)
	v_cvt_u32_f32_e32 v8, v0
	s_branch .LBB348_1206
.LBB348_1197:
	s_mov_b32 s6, -1
	s_mov_b32 s12, 0
	s_mov_b32 s7, 0
	;; [unrolled: 1-line block ×3, first 2 shown]
                                        ; implicit-def: $vgpr8
	s_branch .LBB348_1265
.LBB348_1198:
	s_mov_b32 s14, -1
	s_mov_b32 s12, 0
	s_mov_b32 s1, s48
                                        ; implicit-def: $vgpr8
	s_branch .LBB348_1233
.LBB348_1199:
	s_mov_b32 s14, -1
	s_mov_b32 s12, 0
	s_mov_b32 s1, s48
                                        ; implicit-def: $vgpr8
	s_branch .LBB348_1216
.LBB348_1200:
	s_mov_b32 s14, -1
	s_mov_b32 s12, 0
	s_mov_b32 s1, s48
                                        ; implicit-def: $vgpr8
	s_branch .LBB348_1211
.LBB348_1201:
	s_mov_b32 s14, -1
	s_mov_b32 s12, 0
	s_mov_b32 s1, s48
	s_branch .LBB348_1205
.LBB348_1202:
	s_and_not1_saveexec_b32 s53, s53
	s_cbranch_execz .LBB348_1084
.LBB348_1203:
	v_add_f32_e32 v1, 0x46000000, v4
	s_and_not1_b32 s52, s52, exec_lo
	s_delay_alu instid0(VALU_DEP_1) | instskip(NEXT) | instid1(VALU_DEP_1)
	v_and_b32_e32 v1, 0xff, v1
	v_cmp_ne_u32_e32 vcc_lo, 0, v1
	s_and_b32 s54, vcc_lo, exec_lo
	s_delay_alu instid0(SALU_CYCLE_1)
	s_or_b32 s52, s52, s54
	s_or_b32 exec_lo, exec_lo, s53
	v_mov_b32_e32 v5, 0
	s_and_saveexec_b32 s53, s52
	s_cbranch_execnz .LBB348_1085
	s_branch .LBB348_1086
.LBB348_1204:
	s_mov_b32 s1, -1
	s_mov_b32 s12, 0
.LBB348_1205:
                                        ; implicit-def: $vgpr8
.LBB348_1206:
	s_and_b32 vcc_lo, exec_lo, s14
	s_cbranch_vccz .LBB348_1210
; %bb.1207:
	s_cmp_eq_u32 s6, 44
	s_cbranch_scc0 .LBB348_1209
; %bb.1208:
	global_load_u8 v0, v[6:7], off
	s_mov_b32 s1, 0
	s_mov_b32 s12, -1
	s_wait_loadcnt 0x0
	v_lshlrev_b32_e32 v1, 23, v0
	v_cmp_ne_u32_e32 vcc_lo, 0, v0
	s_delay_alu instid0(VALU_DEP_2) | instskip(NEXT) | instid1(VALU_DEP_1)
	v_cvt_u32_f32_e32 v1, v1
	v_cndmask_b32_e32 v8, 0, v1, vcc_lo
	s_branch .LBB348_1210
.LBB348_1209:
	s_mov_b32 s1, -1
                                        ; implicit-def: $vgpr8
.LBB348_1210:
	s_mov_b32 s14, 0
.LBB348_1211:
	s_delay_alu instid0(SALU_CYCLE_1)
	s_and_b32 vcc_lo, exec_lo, s14
	s_cbranch_vccz .LBB348_1215
; %bb.1212:
	s_cmp_eq_u32 s6, 29
	s_cbranch_scc0 .LBB348_1214
; %bb.1213:
	global_load_b32 v8, v[6:7], off
	s_mov_b32 s1, 0
	s_mov_b32 s12, -1
	s_branch .LBB348_1215
.LBB348_1214:
	s_mov_b32 s1, -1
                                        ; implicit-def: $vgpr8
.LBB348_1215:
	s_mov_b32 s14, 0
.LBB348_1216:
	s_delay_alu instid0(SALU_CYCLE_1)
	s_and_b32 vcc_lo, exec_lo, s14
	s_cbranch_vccz .LBB348_1232
; %bb.1217:
	s_cmp_lt_i32 s6, 27
	s_cbranch_scc1 .LBB348_1220
; %bb.1218:
	s_cmp_gt_i32 s6, 27
	s_cbranch_scc0 .LBB348_1221
; %bb.1219:
	s_wait_loadcnt 0x0
	global_load_b32 v8, v[6:7], off
	s_mov_b32 s12, 0
	s_branch .LBB348_1222
.LBB348_1220:
	s_mov_b32 s12, -1
                                        ; implicit-def: $vgpr8
	s_branch .LBB348_1225
.LBB348_1221:
	s_mov_b32 s12, -1
                                        ; implicit-def: $vgpr8
.LBB348_1222:
	s_delay_alu instid0(SALU_CYCLE_1)
	s_and_not1_b32 vcc_lo, exec_lo, s12
	s_cbranch_vccnz .LBB348_1224
; %bb.1223:
	s_wait_loadcnt 0x0
	global_load_u16 v8, v[6:7], off
.LBB348_1224:
	s_mov_b32 s12, 0
.LBB348_1225:
	s_delay_alu instid0(SALU_CYCLE_1)
	s_and_not1_b32 vcc_lo, exec_lo, s12
	s_cbranch_vccnz .LBB348_1231
; %bb.1226:
	global_load_u8 v0, v[6:7], off
	s_mov_b32 s14, 0
	s_mov_b32 s12, exec_lo
	s_wait_loadcnt 0x0
	v_cmpx_lt_i16_e32 0x7f, v0
	s_xor_b32 s12, exec_lo, s12
	s_cbranch_execz .LBB348_1243
; %bb.1227:
	v_cmp_ne_u16_e32 vcc_lo, 0x80, v0
	s_and_b32 s14, vcc_lo, exec_lo
	s_and_not1_saveexec_b32 s12, s12
	s_cbranch_execnz .LBB348_1244
.LBB348_1228:
	s_or_b32 exec_lo, exec_lo, s12
	v_mov_b32_e32 v8, 0
	s_and_saveexec_b32 s12, s14
	s_cbranch_execz .LBB348_1230
.LBB348_1229:
	v_and_b32_e32 v1, 0xffff, v0
	s_delay_alu instid0(VALU_DEP_1) | instskip(SKIP_1) | instid1(VALU_DEP_2)
	v_dual_lshlrev_b32 v0, 24, v0 :: v_dual_bitop2_b32 v3, 7, v1 bitop3:0x40
	v_bfe_u32 v9, v1, 3, 4
	v_and_b32_e32 v0, 0x80000000, v0
	s_delay_alu instid0(VALU_DEP_3) | instskip(NEXT) | instid1(VALU_DEP_3)
	v_clz_i32_u32_e32 v5, v3
	v_cmp_eq_u32_e32 vcc_lo, 0, v9
	s_delay_alu instid0(VALU_DEP_2) | instskip(NEXT) | instid1(VALU_DEP_1)
	v_min_u32_e32 v5, 32, v5
	v_subrev_nc_u32_e32 v8, 28, v5
	v_sub_nc_u32_e32 v5, 29, v5
	s_delay_alu instid0(VALU_DEP_2) | instskip(NEXT) | instid1(VALU_DEP_2)
	v_lshlrev_b32_e32 v1, v8, v1
	v_cndmask_b32_e32 v5, v9, v5, vcc_lo
	s_delay_alu instid0(VALU_DEP_2) | instskip(NEXT) | instid1(VALU_DEP_1)
	v_and_b32_e32 v1, 7, v1
	v_cndmask_b32_e32 v1, v3, v1, vcc_lo
	s_delay_alu instid0(VALU_DEP_3) | instskip(NEXT) | instid1(VALU_DEP_2)
	v_lshl_add_u32 v3, v5, 23, 0x3b800000
	v_lshlrev_b32_e32 v1, 20, v1
	s_delay_alu instid0(VALU_DEP_1) | instskip(NEXT) | instid1(VALU_DEP_1)
	v_or3_b32 v0, v0, v3, v1
	v_cvt_u32_f32_e32 v8, v0
.LBB348_1230:
	s_or_b32 exec_lo, exec_lo, s12
.LBB348_1231:
	s_mov_b32 s12, -1
.LBB348_1232:
	s_mov_b32 s14, 0
.LBB348_1233:
	s_delay_alu instid0(SALU_CYCLE_1)
	s_and_b32 vcc_lo, exec_lo, s14
	s_cbranch_vccz .LBB348_1264
; %bb.1234:
	s_cmp_gt_i32 s6, 22
	s_cbranch_scc0 .LBB348_1242
; %bb.1235:
	s_cmp_lt_i32 s6, 24
	s_cbranch_scc1 .LBB348_1245
; %bb.1236:
	s_cmp_gt_i32 s6, 24
	s_cbranch_scc0 .LBB348_1246
; %bb.1237:
	global_load_u8 v0, v[6:7], off
	s_mov_b32 s12, 0
	s_mov_b32 s7, exec_lo
	s_wait_loadcnt 0x0
	v_cmpx_lt_i16_e32 0x7f, v0
	s_xor_b32 s7, exec_lo, s7
	s_cbranch_execz .LBB348_1258
; %bb.1238:
	v_cmp_ne_u16_e32 vcc_lo, 0x80, v0
	s_and_b32 s12, vcc_lo, exec_lo
	s_and_not1_saveexec_b32 s7, s7
	s_cbranch_execnz .LBB348_1259
.LBB348_1239:
	s_or_b32 exec_lo, exec_lo, s7
	v_mov_b32_e32 v8, 0
	s_and_saveexec_b32 s7, s12
	s_cbranch_execz .LBB348_1241
.LBB348_1240:
	v_and_b32_e32 v1, 0xffff, v0
	s_delay_alu instid0(VALU_DEP_1) | instskip(SKIP_1) | instid1(VALU_DEP_2)
	v_dual_lshlrev_b32 v0, 24, v0 :: v_dual_bitop2_b32 v3, 3, v1 bitop3:0x40
	v_bfe_u32 v9, v1, 2, 5
	v_and_b32_e32 v0, 0x80000000, v0
	s_delay_alu instid0(VALU_DEP_3) | instskip(NEXT) | instid1(VALU_DEP_3)
	v_clz_i32_u32_e32 v5, v3
	v_cmp_eq_u32_e32 vcc_lo, 0, v9
	s_delay_alu instid0(VALU_DEP_2) | instskip(NEXT) | instid1(VALU_DEP_1)
	v_min_u32_e32 v5, 32, v5
	v_subrev_nc_u32_e32 v8, 29, v5
	v_sub_nc_u32_e32 v5, 30, v5
	s_delay_alu instid0(VALU_DEP_2) | instskip(NEXT) | instid1(VALU_DEP_2)
	v_lshlrev_b32_e32 v1, v8, v1
	v_cndmask_b32_e32 v5, v9, v5, vcc_lo
	s_delay_alu instid0(VALU_DEP_2) | instskip(NEXT) | instid1(VALU_DEP_1)
	v_and_b32_e32 v1, 3, v1
	v_cndmask_b32_e32 v1, v3, v1, vcc_lo
	s_delay_alu instid0(VALU_DEP_3) | instskip(NEXT) | instid1(VALU_DEP_2)
	v_lshl_add_u32 v3, v5, 23, 0x37800000
	v_lshlrev_b32_e32 v1, 21, v1
	s_delay_alu instid0(VALU_DEP_1) | instskip(NEXT) | instid1(VALU_DEP_1)
	v_or3_b32 v0, v0, v3, v1
	v_cvt_u32_f32_e32 v8, v0
.LBB348_1241:
	s_or_b32 exec_lo, exec_lo, s7
	s_mov_b32 s7, 0
	s_branch .LBB348_1247
.LBB348_1242:
	s_mov_b32 s7, -1
                                        ; implicit-def: $vgpr8
	s_branch .LBB348_1253
.LBB348_1243:
	s_and_not1_saveexec_b32 s12, s12
	s_cbranch_execz .LBB348_1228
.LBB348_1244:
	v_cmp_ne_u16_e32 vcc_lo, 0, v0
	s_and_not1_b32 s14, s14, exec_lo
	s_and_b32 s15, vcc_lo, exec_lo
	s_delay_alu instid0(SALU_CYCLE_1)
	s_or_b32 s14, s14, s15
	s_or_b32 exec_lo, exec_lo, s12
	v_mov_b32_e32 v8, 0
	s_and_saveexec_b32 s12, s14
	s_cbranch_execnz .LBB348_1229
	s_branch .LBB348_1230
.LBB348_1245:
	s_mov_b32 s7, -1
                                        ; implicit-def: $vgpr8
	s_branch .LBB348_1250
.LBB348_1246:
	s_mov_b32 s7, -1
                                        ; implicit-def: $vgpr8
.LBB348_1247:
	s_delay_alu instid0(SALU_CYCLE_1)
	s_and_b32 vcc_lo, exec_lo, s7
	s_cbranch_vccz .LBB348_1249
; %bb.1248:
	global_load_u8 v0, v[6:7], off
	s_wait_loadcnt 0x0
	v_lshlrev_b32_e32 v0, 24, v0
	s_delay_alu instid0(VALU_DEP_1) | instskip(NEXT) | instid1(VALU_DEP_1)
	v_and_b32_e32 v1, 0x7f000000, v0
	v_clz_i32_u32_e32 v3, v1
	v_cmp_ne_u32_e32 vcc_lo, 0, v1
	v_add_nc_u32_e32 v8, 0x1000000, v1
	s_delay_alu instid0(VALU_DEP_3) | instskip(NEXT) | instid1(VALU_DEP_1)
	v_min_u32_e32 v3, 32, v3
	v_sub_nc_u32_e64 v3, v3, 4 clamp
	s_delay_alu instid0(VALU_DEP_1) | instskip(NEXT) | instid1(VALU_DEP_1)
	v_dual_lshlrev_b32 v5, v3, v1 :: v_dual_lshlrev_b32 v3, 23, v3
	v_lshrrev_b32_e32 v5, 4, v5
	s_delay_alu instid0(VALU_DEP_1) | instskip(NEXT) | instid1(VALU_DEP_1)
	v_dual_sub_nc_u32 v3, v5, v3 :: v_dual_ashrrev_i32 v5, 8, v8
	v_add_nc_u32_e32 v3, 0x3c000000, v3
	s_delay_alu instid0(VALU_DEP_1) | instskip(NEXT) | instid1(VALU_DEP_1)
	v_and_or_b32 v3, 0x7f800000, v5, v3
	v_cndmask_b32_e32 v1, 0, v3, vcc_lo
	s_delay_alu instid0(VALU_DEP_1) | instskip(NEXT) | instid1(VALU_DEP_1)
	v_and_or_b32 v0, 0x80000000, v0, v1
	v_cvt_u32_f32_e32 v8, v0
.LBB348_1249:
	s_mov_b32 s7, 0
.LBB348_1250:
	s_delay_alu instid0(SALU_CYCLE_1)
	s_and_not1_b32 vcc_lo, exec_lo, s7
	s_cbranch_vccnz .LBB348_1252
; %bb.1251:
	global_load_u8 v0, v[6:7], off
	s_wait_loadcnt 0x0
	v_lshlrev_b32_e32 v1, 25, v0
	v_lshlrev_b16 v0, 8, v0
	s_delay_alu instid0(VALU_DEP_1) | instskip(SKIP_1) | instid1(VALU_DEP_2)
	v_and_or_b32 v5, 0x7f00, v0, 0.5
	v_bfe_i32 v0, v0, 0, 16
	v_add_f32_e32 v5, -0.5, v5
	v_lshrrev_b32_e32 v3, 4, v1
	v_cmp_gt_u32_e32 vcc_lo, 0x8000000, v1
	s_delay_alu instid0(VALU_DEP_2) | instskip(NEXT) | instid1(VALU_DEP_1)
	v_or_b32_e32 v3, 0x70000000, v3
	v_mul_f32_e32 v3, 0x7800000, v3
	s_delay_alu instid0(VALU_DEP_1) | instskip(NEXT) | instid1(VALU_DEP_1)
	v_cndmask_b32_e32 v1, v3, v5, vcc_lo
	v_and_or_b32 v0, 0x80000000, v0, v1
	s_delay_alu instid0(VALU_DEP_1)
	v_cvt_u32_f32_e32 v8, v0
.LBB348_1252:
	s_mov_b32 s7, 0
	s_mov_b32 s12, -1
.LBB348_1253:
	s_and_not1_b32 vcc_lo, exec_lo, s7
	s_mov_b32 s7, 0
	s_cbranch_vccnz .LBB348_1264
; %bb.1254:
	s_cmp_gt_i32 s6, 14
	s_cbranch_scc0 .LBB348_1257
; %bb.1255:
	s_cmp_eq_u32 s6, 15
	s_cbranch_scc0 .LBB348_1260
; %bb.1256:
	global_load_u16 v0, v[6:7], off
	s_mov_b32 s1, 0
	s_mov_b32 s12, -1
	s_wait_loadcnt 0x0
	v_lshlrev_b32_e32 v0, 16, v0
	s_delay_alu instid0(VALU_DEP_1)
	v_cvt_u32_f32_e32 v8, v0
	s_branch .LBB348_1262
.LBB348_1257:
	s_mov_b32 s7, -1
	s_branch .LBB348_1261
.LBB348_1258:
	s_and_not1_saveexec_b32 s7, s7
	s_cbranch_execz .LBB348_1239
.LBB348_1259:
	v_cmp_ne_u16_e32 vcc_lo, 0, v0
	s_and_not1_b32 s12, s12, exec_lo
	s_and_b32 s14, vcc_lo, exec_lo
	s_delay_alu instid0(SALU_CYCLE_1)
	s_or_b32 s12, s12, s14
	s_or_b32 exec_lo, exec_lo, s7
	v_mov_b32_e32 v8, 0
	s_and_saveexec_b32 s7, s12
	s_cbranch_execnz .LBB348_1240
	s_branch .LBB348_1241
.LBB348_1260:
	s_mov_b32 s1, -1
.LBB348_1261:
                                        ; implicit-def: $vgpr8
.LBB348_1262:
	s_and_b32 vcc_lo, exec_lo, s7
	s_mov_b32 s7, 0
	s_cbranch_vccz .LBB348_1264
; %bb.1263:
	s_cmp_lg_u32 s6, 11
	s_mov_b32 s7, -1
	s_cselect_b32 s6, -1, 0
	s_and_not1_b32 s1, s1, exec_lo
	s_and_b32 s6, s6, exec_lo
	s_delay_alu instid0(SALU_CYCLE_1)
	s_or_b32 s1, s1, s6
.LBB348_1264:
	s_mov_b32 s6, 0
.LBB348_1265:
	s_delay_alu instid0(SALU_CYCLE_1)
	s_and_b32 s51, s6, exec_lo
	s_and_not1_b32 s6, s48, exec_lo
	s_and_b32 s1, s1, exec_lo
	s_and_b32 s26, s12, exec_lo
	;; [unrolled: 1-line block ×3, first 2 shown]
	s_or_b32 s52, s6, s1
.LBB348_1266:
	s_wait_xcnt 0x0
	s_or_b32 exec_lo, exec_lo, s37
	s_delay_alu instid0(SALU_CYCLE_1)
	s_and_not1_b32 s1, s48, exec_lo
	s_and_b32 s6, s52, exec_lo
	s_and_b32 s26, s26, exec_lo
	;; [unrolled: 1-line block ×4, first 2 shown]
	s_or_b32 s48, s1, s6
.LBB348_1267:
	s_or_b32 exec_lo, exec_lo, s47
	s_delay_alu instid0(SALU_CYCLE_1)
	s_and_not1_b32 s1, s44, exec_lo
	s_and_b32 s6, s49, exec_lo
	s_and_not1_b32 s7, s45, exec_lo
	s_and_b32 s12, s50, exec_lo
	s_or_b32 s44, s1, s6
	s_and_not1_b32 s1, s43, exec_lo
	s_and_b32 s6, s48, exec_lo
	s_or_b32 s45, s7, s12
	s_and_b32 s26, s26, exec_lo
	s_and_b32 s47, s51, exec_lo
	;; [unrolled: 1-line block ×3, first 2 shown]
	s_or_b32 s43, s1, s6
.LBB348_1268:
	s_or_b32 exec_lo, exec_lo, s46
	s_delay_alu instid0(SALU_CYCLE_1)
	s_and_not1_b32 s1, s39, exec_lo
	s_and_b32 s6, s44, exec_lo
	s_and_not1_b32 s7, s40, exec_lo
	s_and_b32 s12, s45, exec_lo
	s_or_b32 s39, s1, s6
	s_and_not1_b32 s1, s41, exec_lo
	s_and_b32 s6, s43, exec_lo
	s_or_b32 s40, s7, s12
	s_and_b32 s26, s26, exec_lo
	s_and_b32 s44, s47, exec_lo
	;; [unrolled: 1-line block ×3, first 2 shown]
	s_or_b32 s41, s1, s6
	s_or_b32 exec_lo, exec_lo, s42
	s_mov_b32 s1, 0
	s_and_saveexec_b32 s6, s41
	s_cbranch_execz .LBB348_394
.LBB348_1269:
	s_mov_b32 s1, exec_lo
	s_and_not1_b32 s21, s21, exec_lo
	s_trap 2
	s_or_b32 exec_lo, exec_lo, s6
	s_and_saveexec_b32 s6, s21
	s_delay_alu instid0(SALU_CYCLE_1)
	s_xor_b32 s6, exec_lo, s6
	s_cbranch_execnz .LBB348_395
.LBB348_1270:
	s_or_b32 exec_lo, exec_lo, s6
	s_and_saveexec_b32 s6, s44
	s_cbranch_execz .LBB348_1316
.LBB348_1271:
	s_sext_i32_i16 s7, s0
	s_delay_alu instid0(SALU_CYCLE_1)
	s_cmp_lt_i32 s7, 5
	s_cbranch_scc1 .LBB348_1276
; %bb.1272:
	s_cmp_lt_i32 s7, 8
	s_cbranch_scc1 .LBB348_1277
; %bb.1273:
	;; [unrolled: 3-line block ×3, first 2 shown]
	s_cmp_gt_i32 s7, 9
	s_cbranch_scc0 .LBB348_1279
; %bb.1275:
	s_wait_loadcnt 0x0
	global_load_b64 v[0:1], v[6:7], off
	s_mov_b32 s7, 0
	s_wait_loadcnt 0x0
	v_cvt_u32_f64_e32 v8, v[0:1]
	s_branch .LBB348_1280
.LBB348_1276:
                                        ; implicit-def: $vgpr8
	s_branch .LBB348_1297
.LBB348_1277:
                                        ; implicit-def: $vgpr8
	s_branch .LBB348_1286
.LBB348_1278:
	s_mov_b32 s7, -1
                                        ; implicit-def: $vgpr8
	s_branch .LBB348_1283
.LBB348_1279:
	s_mov_b32 s7, -1
                                        ; implicit-def: $vgpr8
.LBB348_1280:
	s_delay_alu instid0(SALU_CYCLE_1)
	s_and_not1_b32 vcc_lo, exec_lo, s7
	s_cbranch_vccnz .LBB348_1282
; %bb.1281:
	s_wait_loadcnt 0x0
	global_load_b32 v0, v[6:7], off
	s_wait_loadcnt 0x0
	v_cvt_u32_f32_e32 v8, v0
.LBB348_1282:
	s_mov_b32 s7, 0
.LBB348_1283:
	s_delay_alu instid0(SALU_CYCLE_1)
	s_and_not1_b32 vcc_lo, exec_lo, s7
	s_cbranch_vccnz .LBB348_1285
; %bb.1284:
	s_wait_loadcnt 0x0
	global_load_b32 v0, v[6:7], off
	s_wait_loadcnt 0x0
	v_cvt_f32_f16_e32 v0, v0
	s_delay_alu instid0(VALU_DEP_1)
	v_cvt_u32_f32_e32 v8, v0
.LBB348_1285:
	s_cbranch_execnz .LBB348_1296
.LBB348_1286:
	s_sext_i32_i16 s7, s0
	s_delay_alu instid0(SALU_CYCLE_1)
	s_cmp_lt_i32 s7, 6
	s_cbranch_scc1 .LBB348_1289
; %bb.1287:
	s_cmp_gt_i32 s7, 6
	s_cbranch_scc0 .LBB348_1290
; %bb.1288:
	s_wait_loadcnt 0x0
	global_load_b64 v[0:1], v[6:7], off
	s_mov_b32 s7, 0
	s_wait_loadcnt 0x0
	v_cvt_u32_f64_e32 v8, v[0:1]
	s_branch .LBB348_1291
.LBB348_1289:
	s_mov_b32 s7, -1
                                        ; implicit-def: $vgpr8
	s_branch .LBB348_1294
.LBB348_1290:
	s_mov_b32 s7, -1
                                        ; implicit-def: $vgpr8
.LBB348_1291:
	s_delay_alu instid0(SALU_CYCLE_1)
	s_and_not1_b32 vcc_lo, exec_lo, s7
	s_cbranch_vccnz .LBB348_1293
; %bb.1292:
	s_wait_loadcnt 0x0
	global_load_b32 v0, v[6:7], off
	s_wait_loadcnt 0x0
	v_cvt_u32_f32_e32 v8, v0
.LBB348_1293:
	s_mov_b32 s7, 0
.LBB348_1294:
	s_delay_alu instid0(SALU_CYCLE_1)
	s_and_not1_b32 vcc_lo, exec_lo, s7
	s_cbranch_vccnz .LBB348_1296
; %bb.1295:
	s_wait_loadcnt 0x0
	global_load_u16 v0, v[6:7], off
	s_wait_loadcnt 0x0
	v_cvt_f32_f16_e32 v0, v0
	s_delay_alu instid0(VALU_DEP_1)
	v_cvt_u32_f32_e32 v8, v0
.LBB348_1296:
	s_cbranch_execnz .LBB348_1315
.LBB348_1297:
	s_sext_i32_i16 s7, s0
	s_delay_alu instid0(SALU_CYCLE_1)
	s_cmp_lt_i32 s7, 2
	s_cbranch_scc1 .LBB348_1301
; %bb.1298:
	s_cmp_lt_i32 s7, 3
	s_cbranch_scc1 .LBB348_1302
; %bb.1299:
	s_cmp_gt_i32 s7, 3
	s_cbranch_scc0 .LBB348_1303
; %bb.1300:
	s_wait_loadcnt 0x0
	global_load_b32 v8, v[6:7], off
	s_mov_b32 s7, 0
	s_branch .LBB348_1304
.LBB348_1301:
                                        ; implicit-def: $vgpr8
	s_branch .LBB348_1310
.LBB348_1302:
	s_mov_b32 s7, -1
                                        ; implicit-def: $vgpr8
	s_branch .LBB348_1307
.LBB348_1303:
	s_mov_b32 s7, -1
                                        ; implicit-def: $vgpr8
.LBB348_1304:
	s_delay_alu instid0(SALU_CYCLE_1)
	s_and_not1_b32 vcc_lo, exec_lo, s7
	s_cbranch_vccnz .LBB348_1306
; %bb.1305:
	s_wait_loadcnt 0x0
	global_load_b32 v8, v[6:7], off
.LBB348_1306:
	s_mov_b32 s7, 0
.LBB348_1307:
	s_delay_alu instid0(SALU_CYCLE_1)
	s_and_not1_b32 vcc_lo, exec_lo, s7
	s_cbranch_vccnz .LBB348_1309
; %bb.1308:
	s_wait_loadcnt 0x0
	global_load_i16 v8, v[6:7], off
.LBB348_1309:
	s_cbranch_execnz .LBB348_1315
.LBB348_1310:
	s_sext_i32_i16 s0, s0
	s_delay_alu instid0(SALU_CYCLE_1)
	s_cmp_gt_i32 s0, 0
	s_mov_b32 s0, 0
	s_cbranch_scc0 .LBB348_1312
; %bb.1311:
	s_wait_loadcnt 0x0
	global_load_i8 v8, v[6:7], off
	s_branch .LBB348_1313
.LBB348_1312:
	s_mov_b32 s0, -1
                                        ; implicit-def: $vgpr8
.LBB348_1313:
	s_delay_alu instid0(SALU_CYCLE_1)
	s_and_not1_b32 vcc_lo, exec_lo, s0
	s_cbranch_vccnz .LBB348_1315
; %bb.1314:
	s_wait_loadcnt 0x0
	global_load_u8 v8, v[6:7], off
.LBB348_1315:
	s_or_b32 s26, s26, exec_lo
.LBB348_1316:
	s_wait_xcnt 0x0
	s_or_b32 exec_lo, exec_lo, s6
	s_mov_b32 s7, 0
	s_mov_b32 s14, 0
	;; [unrolled: 1-line block ×3, first 2 shown]
                                        ; implicit-def: $sgpr0
                                        ; implicit-def: $vgpr0_vgpr1
                                        ; implicit-def: $vgpr5
	s_and_saveexec_b32 s6, s26
	s_cbranch_execz .LBB348_1324
; %bb.1317:
	v_mov_b32_e32 v5, 0
	s_and_b32 s0, s13, 0xff
	s_delay_alu instid0(SALU_CYCLE_1) | instskip(SKIP_1) | instid1(VALU_DEP_1)
	s_cmp_lt_i32 s0, 11
	s_wait_loadcnt 0x0
	v_add_nc_u64_e32 v[0:1], s[8:9], v[4:5]
	s_cbranch_scc1 .LBB348_1327
; %bb.1318:
	s_and_b32 s8, 0xffff, s0
	s_mov_b32 s9, 0
	s_cmp_gt_i32 s8, 25
	s_cbranch_scc0 .LBB348_1328
; %bb.1319:
	s_cmp_gt_i32 s8, 28
	s_cbranch_scc0 .LBB348_1329
; %bb.1320:
	;; [unrolled: 3-line block ×4, first 2 shown]
	s_cmp_eq_u32 s8, 46
	s_mov_b32 s13, 0
	s_cbranch_scc0 .LBB348_1332
; %bb.1323:
	global_load_b32 v3, v[0:1], off
	s_mov_b32 s12, -1
	s_wait_loadcnt 0x0
	v_lshlrev_b32_e32 v3, 16, v3
	s_delay_alu instid0(VALU_DEP_1)
	v_cvt_u32_f32_e32 v5, v3
	s_branch .LBB348_1334
.LBB348_1324:
	s_or_b32 exec_lo, exec_lo, s6
	s_and_saveexec_b32 s6, s40
	s_cbranch_execnz .LBB348_1393
.LBB348_1325:
	s_or_b32 exec_lo, exec_lo, s6
	s_and_saveexec_b32 s6, s7
	s_delay_alu instid0(SALU_CYCLE_1)
	s_xor_b32 s6, exec_lo, s6
	s_cbranch_execz .LBB348_1394
.LBB348_1326:
	s_wait_loadcnt 0x0
	global_load_u8 v3, v[0:1], off
	s_or_b32 s12, s12, exec_lo
	s_wait_loadcnt 0x0
	v_cmp_ne_u16_e32 vcc_lo, 0, v3
	v_cndmask_b32_e64 v5, 0, 1, vcc_lo
	s_wait_xcnt 0x0
	s_or_b32 exec_lo, exec_lo, s6
	s_and_saveexec_b32 s6, s14
	s_cbranch_execz .LBB348_1440
	s_branch .LBB348_1395
.LBB348_1327:
	s_mov_b32 s8, -1
	s_mov_b32 s9, 0
	s_mov_b32 s7, s40
                                        ; implicit-def: $vgpr5
	s_branch .LBB348_1392
.LBB348_1328:
	s_mov_b32 s7, s40
                                        ; implicit-def: $vgpr5
	s_cbranch_execnz .LBB348_1361
	s_branch .LBB348_1391
.LBB348_1329:
	s_mov_b32 s13, -1
	s_mov_b32 s7, s40
                                        ; implicit-def: $vgpr5
	s_branch .LBB348_1344
.LBB348_1330:
	s_mov_b32 s13, -1
	s_mov_b32 s7, s40
                                        ; implicit-def: $vgpr5
	s_branch .LBB348_1339
.LBB348_1331:
	s_mov_b32 s13, -1
	s_mov_b32 s7, s40
	s_branch .LBB348_1333
.LBB348_1332:
	s_mov_b32 s7, -1
.LBB348_1333:
                                        ; implicit-def: $vgpr5
.LBB348_1334:
	s_and_b32 vcc_lo, exec_lo, s13
	s_cbranch_vccz .LBB348_1338
; %bb.1335:
	s_cmp_eq_u32 s8, 44
	s_cbranch_scc0 .LBB348_1337
; %bb.1336:
	global_load_u8 v3, v[0:1], off
	s_mov_b32 s7, 0
	s_mov_b32 s12, -1
	s_wait_loadcnt 0x0
	v_lshlrev_b32_e32 v4, 23, v3
	v_cmp_ne_u32_e32 vcc_lo, 0, v3
	s_delay_alu instid0(VALU_DEP_2) | instskip(NEXT) | instid1(VALU_DEP_1)
	v_cvt_u32_f32_e32 v4, v4
	v_cndmask_b32_e32 v5, 0, v4, vcc_lo
	s_branch .LBB348_1338
.LBB348_1337:
	s_mov_b32 s7, -1
                                        ; implicit-def: $vgpr5
.LBB348_1338:
	s_mov_b32 s13, 0
.LBB348_1339:
	s_delay_alu instid0(SALU_CYCLE_1)
	s_and_b32 vcc_lo, exec_lo, s13
	s_cbranch_vccz .LBB348_1343
; %bb.1340:
	s_cmp_eq_u32 s8, 29
	s_cbranch_scc0 .LBB348_1342
; %bb.1341:
	global_load_b32 v5, v[0:1], off
	s_mov_b32 s7, 0
	s_mov_b32 s12, -1
	s_branch .LBB348_1343
.LBB348_1342:
	s_mov_b32 s7, -1
                                        ; implicit-def: $vgpr5
.LBB348_1343:
	s_mov_b32 s13, 0
.LBB348_1344:
	s_delay_alu instid0(SALU_CYCLE_1)
	s_and_b32 vcc_lo, exec_lo, s13
	s_cbranch_vccz .LBB348_1360
; %bb.1345:
	s_cmp_lt_i32 s8, 27
	s_cbranch_scc1 .LBB348_1348
; %bb.1346:
	s_cmp_gt_i32 s8, 27
	s_cbranch_scc0 .LBB348_1349
; %bb.1347:
	s_wait_loadcnt 0x0
	global_load_b32 v5, v[0:1], off
	s_mov_b32 s12, 0
	s_branch .LBB348_1350
.LBB348_1348:
	s_mov_b32 s12, -1
                                        ; implicit-def: $vgpr5
	s_branch .LBB348_1353
.LBB348_1349:
	s_mov_b32 s12, -1
                                        ; implicit-def: $vgpr5
.LBB348_1350:
	s_delay_alu instid0(SALU_CYCLE_1)
	s_and_not1_b32 vcc_lo, exec_lo, s12
	s_cbranch_vccnz .LBB348_1352
; %bb.1351:
	s_wait_loadcnt 0x0
	global_load_u16 v5, v[0:1], off
.LBB348_1352:
	s_mov_b32 s12, 0
.LBB348_1353:
	s_delay_alu instid0(SALU_CYCLE_1)
	s_and_not1_b32 vcc_lo, exec_lo, s12
	s_cbranch_vccnz .LBB348_1359
; %bb.1354:
	global_load_u8 v3, v[0:1], off
	s_mov_b32 s13, 0
	s_mov_b32 s12, exec_lo
	s_wait_loadcnt 0x0
	v_cmpx_lt_i16_e32 0x7f, v3
	s_xor_b32 s12, exec_lo, s12
	s_cbranch_execz .LBB348_1370
; %bb.1355:
	v_cmp_ne_u16_e32 vcc_lo, 0x80, v3
	s_and_b32 s13, vcc_lo, exec_lo
	s_and_not1_saveexec_b32 s12, s12
	s_cbranch_execnz .LBB348_1371
.LBB348_1356:
	s_or_b32 exec_lo, exec_lo, s12
	v_mov_b32_e32 v5, 0
	s_and_saveexec_b32 s12, s13
	s_cbranch_execz .LBB348_1358
.LBB348_1357:
	v_and_b32_e32 v4, 0xffff, v3
	s_delay_alu instid0(VALU_DEP_1) | instskip(SKIP_1) | instid1(VALU_DEP_2)
	v_and_b32_e32 v5, 7, v4
	v_bfe_u32 v9, v4, 3, 4
	v_clz_i32_u32_e32 v6, v5
	s_delay_alu instid0(VALU_DEP_2) | instskip(NEXT) | instid1(VALU_DEP_2)
	v_cmp_eq_u32_e32 vcc_lo, 0, v9
	v_min_u32_e32 v6, 32, v6
	s_delay_alu instid0(VALU_DEP_1) | instskip(NEXT) | instid1(VALU_DEP_1)
	v_subrev_nc_u32_e32 v7, 28, v6
	v_dual_lshlrev_b32 v4, v7, v4 :: v_dual_sub_nc_u32 v6, 29, v6
	s_delay_alu instid0(VALU_DEP_1) | instskip(NEXT) | instid1(VALU_DEP_2)
	v_dual_lshlrev_b32 v3, 24, v3 :: v_dual_bitop2_b32 v4, 7, v4 bitop3:0x40
	v_cndmask_b32_e32 v6, v9, v6, vcc_lo
	s_delay_alu instid0(VALU_DEP_2) | instskip(NEXT) | instid1(VALU_DEP_3)
	v_cndmask_b32_e32 v4, v5, v4, vcc_lo
	v_and_b32_e32 v3, 0x80000000, v3
	s_delay_alu instid0(VALU_DEP_3) | instskip(NEXT) | instid1(VALU_DEP_3)
	v_lshl_add_u32 v5, v6, 23, 0x3b800000
	v_lshlrev_b32_e32 v4, 20, v4
	s_delay_alu instid0(VALU_DEP_1) | instskip(NEXT) | instid1(VALU_DEP_1)
	v_or3_b32 v3, v3, v5, v4
	v_cvt_u32_f32_e32 v5, v3
.LBB348_1358:
	s_or_b32 exec_lo, exec_lo, s12
.LBB348_1359:
	s_mov_b32 s12, -1
.LBB348_1360:
	s_branch .LBB348_1391
.LBB348_1361:
	s_cmp_gt_i32 s8, 22
	s_cbranch_scc0 .LBB348_1369
; %bb.1362:
	s_cmp_lt_i32 s8, 24
	s_cbranch_scc1 .LBB348_1372
; %bb.1363:
	s_cmp_gt_i32 s8, 24
	s_cbranch_scc0 .LBB348_1373
; %bb.1364:
	global_load_u8 v3, v[0:1], off
	s_mov_b32 s12, 0
	s_mov_b32 s9, exec_lo
	s_wait_loadcnt 0x0
	v_cmpx_lt_i16_e32 0x7f, v3
	s_xor_b32 s9, exec_lo, s9
	s_cbranch_execz .LBB348_1385
; %bb.1365:
	v_cmp_ne_u16_e32 vcc_lo, 0x80, v3
	s_and_b32 s12, vcc_lo, exec_lo
	s_and_not1_saveexec_b32 s9, s9
	s_cbranch_execnz .LBB348_1386
.LBB348_1366:
	s_or_b32 exec_lo, exec_lo, s9
	v_mov_b32_e32 v5, 0
	s_and_saveexec_b32 s9, s12
	s_cbranch_execz .LBB348_1368
.LBB348_1367:
	v_and_b32_e32 v4, 0xffff, v3
	s_delay_alu instid0(VALU_DEP_1) | instskip(SKIP_1) | instid1(VALU_DEP_2)
	v_and_b32_e32 v5, 3, v4
	v_bfe_u32 v9, v4, 2, 5
	v_clz_i32_u32_e32 v6, v5
	s_delay_alu instid0(VALU_DEP_2) | instskip(NEXT) | instid1(VALU_DEP_2)
	v_cmp_eq_u32_e32 vcc_lo, 0, v9
	v_min_u32_e32 v6, 32, v6
	s_delay_alu instid0(VALU_DEP_1) | instskip(NEXT) | instid1(VALU_DEP_1)
	v_subrev_nc_u32_e32 v7, 29, v6
	v_dual_lshlrev_b32 v4, v7, v4 :: v_dual_sub_nc_u32 v6, 30, v6
	s_delay_alu instid0(VALU_DEP_1) | instskip(NEXT) | instid1(VALU_DEP_2)
	v_dual_lshlrev_b32 v3, 24, v3 :: v_dual_bitop2_b32 v4, 3, v4 bitop3:0x40
	v_cndmask_b32_e32 v6, v9, v6, vcc_lo
	s_delay_alu instid0(VALU_DEP_2) | instskip(NEXT) | instid1(VALU_DEP_3)
	v_cndmask_b32_e32 v4, v5, v4, vcc_lo
	v_and_b32_e32 v3, 0x80000000, v3
	s_delay_alu instid0(VALU_DEP_3) | instskip(NEXT) | instid1(VALU_DEP_3)
	v_lshl_add_u32 v5, v6, 23, 0x37800000
	v_lshlrev_b32_e32 v4, 21, v4
	s_delay_alu instid0(VALU_DEP_1) | instskip(NEXT) | instid1(VALU_DEP_1)
	v_or3_b32 v3, v3, v5, v4
	v_cvt_u32_f32_e32 v5, v3
.LBB348_1368:
	s_or_b32 exec_lo, exec_lo, s9
	s_mov_b32 s9, 0
	s_branch .LBB348_1374
.LBB348_1369:
	s_mov_b32 s9, -1
                                        ; implicit-def: $vgpr5
	s_branch .LBB348_1380
.LBB348_1370:
	s_and_not1_saveexec_b32 s12, s12
	s_cbranch_execz .LBB348_1356
.LBB348_1371:
	v_cmp_ne_u16_e32 vcc_lo, 0, v3
	s_and_not1_b32 s13, s13, exec_lo
	s_and_b32 s14, vcc_lo, exec_lo
	s_delay_alu instid0(SALU_CYCLE_1)
	s_or_b32 s13, s13, s14
	s_or_b32 exec_lo, exec_lo, s12
	v_mov_b32_e32 v5, 0
	s_and_saveexec_b32 s12, s13
	s_cbranch_execnz .LBB348_1357
	s_branch .LBB348_1358
.LBB348_1372:
	s_mov_b32 s9, -1
                                        ; implicit-def: $vgpr5
	s_branch .LBB348_1377
.LBB348_1373:
	s_mov_b32 s9, -1
                                        ; implicit-def: $vgpr5
.LBB348_1374:
	s_delay_alu instid0(SALU_CYCLE_1)
	s_and_b32 vcc_lo, exec_lo, s9
	s_cbranch_vccz .LBB348_1376
; %bb.1375:
	global_load_u8 v3, v[0:1], off
	s_wait_loadcnt 0x0
	v_lshlrev_b32_e32 v3, 24, v3
	s_delay_alu instid0(VALU_DEP_1) | instskip(NEXT) | instid1(VALU_DEP_1)
	v_and_b32_e32 v4, 0x7f000000, v3
	v_clz_i32_u32_e32 v5, v4
	v_cmp_ne_u32_e32 vcc_lo, 0, v4
	v_add_nc_u32_e32 v7, 0x1000000, v4
	s_delay_alu instid0(VALU_DEP_3) | instskip(NEXT) | instid1(VALU_DEP_1)
	v_min_u32_e32 v5, 32, v5
	v_sub_nc_u32_e64 v5, v5, 4 clamp
	s_delay_alu instid0(VALU_DEP_1) | instskip(NEXT) | instid1(VALU_DEP_1)
	v_dual_lshlrev_b32 v6, v5, v4 :: v_dual_lshlrev_b32 v5, 23, v5
	v_lshrrev_b32_e32 v6, 4, v6
	s_delay_alu instid0(VALU_DEP_1) | instskip(NEXT) | instid1(VALU_DEP_1)
	v_dual_sub_nc_u32 v5, v6, v5 :: v_dual_ashrrev_i32 v6, 8, v7
	v_add_nc_u32_e32 v5, 0x3c000000, v5
	s_delay_alu instid0(VALU_DEP_1) | instskip(NEXT) | instid1(VALU_DEP_1)
	v_and_or_b32 v5, 0x7f800000, v6, v5
	v_cndmask_b32_e32 v4, 0, v5, vcc_lo
	s_delay_alu instid0(VALU_DEP_1) | instskip(NEXT) | instid1(VALU_DEP_1)
	v_and_or_b32 v3, 0x80000000, v3, v4
	v_cvt_u32_f32_e32 v5, v3
.LBB348_1376:
	s_mov_b32 s9, 0
.LBB348_1377:
	s_delay_alu instid0(SALU_CYCLE_1)
	s_and_not1_b32 vcc_lo, exec_lo, s9
	s_cbranch_vccnz .LBB348_1379
; %bb.1378:
	global_load_u8 v3, v[0:1], off
	s_wait_loadcnt 0x0
	v_lshlrev_b32_e32 v4, 25, v3
	v_lshlrev_b16 v3, 8, v3
	s_delay_alu instid0(VALU_DEP_1) | instskip(SKIP_1) | instid1(VALU_DEP_2)
	v_and_or_b32 v6, 0x7f00, v3, 0.5
	v_bfe_i32 v3, v3, 0, 16
	v_dual_add_f32 v6, -0.5, v6 :: v_dual_lshrrev_b32 v5, 4, v4
	v_cmp_gt_u32_e32 vcc_lo, 0x8000000, v4
	s_delay_alu instid0(VALU_DEP_2) | instskip(NEXT) | instid1(VALU_DEP_1)
	v_or_b32_e32 v5, 0x70000000, v5
	v_mul_f32_e32 v5, 0x7800000, v5
	s_delay_alu instid0(VALU_DEP_1) | instskip(NEXT) | instid1(VALU_DEP_1)
	v_cndmask_b32_e32 v4, v5, v6, vcc_lo
	v_and_or_b32 v3, 0x80000000, v3, v4
	s_delay_alu instid0(VALU_DEP_1)
	v_cvt_u32_f32_e32 v5, v3
.LBB348_1379:
	s_mov_b32 s9, 0
	s_mov_b32 s12, -1
.LBB348_1380:
	s_and_not1_b32 vcc_lo, exec_lo, s9
	s_mov_b32 s9, 0
	s_cbranch_vccnz .LBB348_1391
; %bb.1381:
	s_cmp_gt_i32 s8, 14
	s_cbranch_scc0 .LBB348_1384
; %bb.1382:
	s_cmp_eq_u32 s8, 15
	s_cbranch_scc0 .LBB348_1387
; %bb.1383:
	global_load_u16 v3, v[0:1], off
	s_mov_b32 s7, 0
	s_mov_b32 s12, -1
	s_wait_loadcnt 0x0
	v_lshlrev_b32_e32 v3, 16, v3
	s_delay_alu instid0(VALU_DEP_1)
	v_cvt_u32_f32_e32 v5, v3
	s_branch .LBB348_1389
.LBB348_1384:
	s_mov_b32 s9, -1
	s_branch .LBB348_1388
.LBB348_1385:
	s_and_not1_saveexec_b32 s9, s9
	s_cbranch_execz .LBB348_1366
.LBB348_1386:
	v_cmp_ne_u16_e32 vcc_lo, 0, v3
	s_and_not1_b32 s12, s12, exec_lo
	s_and_b32 s13, vcc_lo, exec_lo
	s_delay_alu instid0(SALU_CYCLE_1)
	s_or_b32 s12, s12, s13
	s_or_b32 exec_lo, exec_lo, s9
	v_mov_b32_e32 v5, 0
	s_and_saveexec_b32 s9, s12
	s_cbranch_execnz .LBB348_1367
	s_branch .LBB348_1368
.LBB348_1387:
	s_mov_b32 s7, -1
.LBB348_1388:
                                        ; implicit-def: $vgpr5
.LBB348_1389:
	s_and_b32 vcc_lo, exec_lo, s9
	s_mov_b32 s9, 0
	s_cbranch_vccz .LBB348_1391
; %bb.1390:
	s_cmp_lg_u32 s8, 11
	s_mov_b32 s9, -1
	s_cselect_b32 s8, -1, 0
	s_and_not1_b32 s7, s7, exec_lo
	s_and_b32 s8, s8, exec_lo
	s_delay_alu instid0(SALU_CYCLE_1)
	s_or_b32 s7, s7, s8
.LBB348_1391:
	s_mov_b32 s8, 0
.LBB348_1392:
	s_delay_alu instid0(SALU_CYCLE_1)
	s_and_b32 s14, s8, exec_lo
	s_and_not1_b32 s8, s40, exec_lo
	s_and_b32 s13, s7, exec_lo
	s_and_b32 s12, s12, exec_lo
	;; [unrolled: 1-line block ×3, first 2 shown]
	s_or_b32 s40, s8, s13
	s_wait_xcnt 0x0
	s_or_b32 exec_lo, exec_lo, s6
	s_and_saveexec_b32 s6, s40
	s_cbranch_execz .LBB348_1325
.LBB348_1393:
	s_or_b32 s1, s1, exec_lo
	s_and_not1_b32 s7, s7, exec_lo
	s_trap 2
	s_or_b32 exec_lo, exec_lo, s6
	s_and_saveexec_b32 s6, s7
	s_delay_alu instid0(SALU_CYCLE_1)
	s_xor_b32 s6, exec_lo, s6
	s_cbranch_execnz .LBB348_1326
.LBB348_1394:
	s_or_b32 exec_lo, exec_lo, s6
	s_and_saveexec_b32 s6, s14
	s_cbranch_execz .LBB348_1440
.LBB348_1395:
	s_sext_i32_i16 s7, s0
	s_delay_alu instid0(SALU_CYCLE_1)
	s_cmp_lt_i32 s7, 5
	s_cbranch_scc1 .LBB348_1400
; %bb.1396:
	s_cmp_lt_i32 s7, 8
	s_cbranch_scc1 .LBB348_1401
; %bb.1397:
	;; [unrolled: 3-line block ×3, first 2 shown]
	s_cmp_gt_i32 s7, 9
	s_cbranch_scc0 .LBB348_1403
; %bb.1399:
	s_wait_loadcnt 0x0
	global_load_b64 v[4:5], v[0:1], off
	s_mov_b32 s7, 0
	s_wait_loadcnt 0x0
	v_cvt_u32_f64_e32 v5, v[4:5]
	s_branch .LBB348_1404
.LBB348_1400:
                                        ; implicit-def: $vgpr5
	s_branch .LBB348_1421
.LBB348_1401:
                                        ; implicit-def: $vgpr5
	s_branch .LBB348_1410
.LBB348_1402:
	s_mov_b32 s7, -1
                                        ; implicit-def: $vgpr5
	s_branch .LBB348_1407
.LBB348_1403:
	s_mov_b32 s7, -1
                                        ; implicit-def: $vgpr5
.LBB348_1404:
	s_delay_alu instid0(SALU_CYCLE_1)
	s_and_not1_b32 vcc_lo, exec_lo, s7
	s_cbranch_vccnz .LBB348_1406
; %bb.1405:
	s_wait_loadcnt 0x0
	global_load_b32 v3, v[0:1], off
	s_wait_loadcnt 0x0
	v_cvt_u32_f32_e32 v5, v3
.LBB348_1406:
	s_mov_b32 s7, 0
.LBB348_1407:
	s_delay_alu instid0(SALU_CYCLE_1)
	s_and_not1_b32 vcc_lo, exec_lo, s7
	s_cbranch_vccnz .LBB348_1409
; %bb.1408:
	s_wait_loadcnt 0x0
	global_load_b32 v3, v[0:1], off
	s_wait_loadcnt 0x0
	v_cvt_f32_f16_e32 v3, v3
	s_delay_alu instid0(VALU_DEP_1)
	v_cvt_u32_f32_e32 v5, v3
.LBB348_1409:
	s_cbranch_execnz .LBB348_1420
.LBB348_1410:
	s_sext_i32_i16 s7, s0
	s_delay_alu instid0(SALU_CYCLE_1)
	s_cmp_lt_i32 s7, 6
	s_cbranch_scc1 .LBB348_1413
; %bb.1411:
	s_cmp_gt_i32 s7, 6
	s_cbranch_scc0 .LBB348_1414
; %bb.1412:
	s_wait_loadcnt 0x0
	global_load_b64 v[4:5], v[0:1], off
	s_mov_b32 s7, 0
	s_wait_loadcnt 0x0
	v_cvt_u32_f64_e32 v5, v[4:5]
	s_branch .LBB348_1415
.LBB348_1413:
	s_mov_b32 s7, -1
                                        ; implicit-def: $vgpr5
	s_branch .LBB348_1418
.LBB348_1414:
	s_mov_b32 s7, -1
                                        ; implicit-def: $vgpr5
.LBB348_1415:
	s_delay_alu instid0(SALU_CYCLE_1)
	s_and_not1_b32 vcc_lo, exec_lo, s7
	s_cbranch_vccnz .LBB348_1417
; %bb.1416:
	s_wait_loadcnt 0x0
	global_load_b32 v3, v[0:1], off
	s_wait_loadcnt 0x0
	v_cvt_u32_f32_e32 v5, v3
.LBB348_1417:
	s_mov_b32 s7, 0
.LBB348_1418:
	s_delay_alu instid0(SALU_CYCLE_1)
	s_and_not1_b32 vcc_lo, exec_lo, s7
	s_cbranch_vccnz .LBB348_1420
; %bb.1419:
	s_wait_loadcnt 0x0
	global_load_u16 v3, v[0:1], off
	s_wait_loadcnt 0x0
	v_cvt_f32_f16_e32 v3, v3
	s_delay_alu instid0(VALU_DEP_1)
	v_cvt_u32_f32_e32 v5, v3
.LBB348_1420:
	s_cbranch_execnz .LBB348_1439
.LBB348_1421:
	s_sext_i32_i16 s7, s0
	s_delay_alu instid0(SALU_CYCLE_1)
	s_cmp_lt_i32 s7, 2
	s_cbranch_scc1 .LBB348_1425
; %bb.1422:
	s_cmp_lt_i32 s7, 3
	s_cbranch_scc1 .LBB348_1426
; %bb.1423:
	s_cmp_gt_i32 s7, 3
	s_cbranch_scc0 .LBB348_1427
; %bb.1424:
	s_wait_loadcnt 0x0
	global_load_b32 v5, v[0:1], off
	s_mov_b32 s7, 0
	s_branch .LBB348_1428
.LBB348_1425:
                                        ; implicit-def: $vgpr5
	s_branch .LBB348_1434
.LBB348_1426:
	s_mov_b32 s7, -1
                                        ; implicit-def: $vgpr5
	s_branch .LBB348_1431
.LBB348_1427:
	s_mov_b32 s7, -1
                                        ; implicit-def: $vgpr5
.LBB348_1428:
	s_delay_alu instid0(SALU_CYCLE_1)
	s_and_not1_b32 vcc_lo, exec_lo, s7
	s_cbranch_vccnz .LBB348_1430
; %bb.1429:
	s_wait_loadcnt 0x0
	global_load_b32 v5, v[0:1], off
.LBB348_1430:
	s_mov_b32 s7, 0
.LBB348_1431:
	s_delay_alu instid0(SALU_CYCLE_1)
	s_and_not1_b32 vcc_lo, exec_lo, s7
	s_cbranch_vccnz .LBB348_1433
; %bb.1432:
	s_wait_loadcnt 0x0
	global_load_i16 v5, v[0:1], off
.LBB348_1433:
	s_cbranch_execnz .LBB348_1439
.LBB348_1434:
	s_sext_i32_i16 s0, s0
	s_delay_alu instid0(SALU_CYCLE_1)
	s_cmp_gt_i32 s0, 0
	s_mov_b32 s0, 0
	s_cbranch_scc0 .LBB348_1436
; %bb.1435:
	s_wait_loadcnt 0x0
	global_load_i8 v5, v[0:1], off
	s_branch .LBB348_1437
.LBB348_1436:
	s_mov_b32 s0, -1
                                        ; implicit-def: $vgpr5
.LBB348_1437:
	s_delay_alu instid0(SALU_CYCLE_1)
	s_and_not1_b32 vcc_lo, exec_lo, s0
	s_cbranch_vccnz .LBB348_1439
; %bb.1438:
	s_wait_loadcnt 0x0
	global_load_u8 v5, v[0:1], off
.LBB348_1439:
	s_or_b32 s12, s12, exec_lo
.LBB348_1440:
	s_wait_xcnt 0x0
	s_or_b32 exec_lo, exec_lo, s6
	s_mov_b32 s0, 0
	s_mov_b32 s9, 0
                                        ; implicit-def: $sgpr6
                                        ; implicit-def: $sgpr7
                                        ; implicit-def: $vgpr0_vgpr1
	s_and_saveexec_b32 s8, s12
	s_cbranch_execz .LBB348_1448
; %bb.1441:
	v_mov_b32_e32 v3, 0
	s_wait_loadcnt 0x0
	s_delay_alu instid0(VALU_DEP_2) | instskip(SKIP_1) | instid1(VALU_DEP_2)
	v_cmp_ne_u32_e32 vcc_lo, v8, v5
	s_and_b32 s7, s11, 0xff
	v_add_nc_u64_e32 v[0:1], s[4:5], v[2:3]
	s_xor_b32 s6, s10, vcc_lo
	s_cmp_lt_i32 s7, 11
	s_cbranch_scc1 .LBB348_1451
; %bb.1442:
	s_and_b32 s4, 0xffff, s7
	s_mov_b32 s5, -1
	s_cmp_gt_i32 s4, 25
	s_mov_b32 s0, s39
	s_cbranch_scc0 .LBB348_1479
; %bb.1443:
	s_cmp_gt_i32 s4, 28
	s_mov_b32 s0, s39
	s_cbranch_scc0 .LBB348_1463
; %bb.1444:
	;; [unrolled: 4-line block ×4, first 2 shown]
	s_cmp_eq_u32 s4, 46
	s_mov_b32 s0, -1
	s_cbranch_scc0 .LBB348_1452
; %bb.1447:
	v_cndmask_b32_e64 v2, 0, 1.0, s6
	s_mov_b32 s0, 0
	s_mov_b32 s5, 0
	s_delay_alu instid0(VALU_DEP_1) | instskip(NEXT) | instid1(VALU_DEP_1)
	v_bfe_u32 v3, v2, 16, 1
	v_add3_u32 v2, v2, v3, 0x7fff
	s_delay_alu instid0(VALU_DEP_1)
	v_lshrrev_b32_e32 v2, 16, v2
	global_store_b32 v[0:1], v2, off
	s_branch .LBB348_1453
.LBB348_1448:
	s_or_b32 exec_lo, exec_lo, s8
	s_and_saveexec_b32 s4, s39
	s_cbranch_execnz .LBB348_1521
.LBB348_1449:
	s_or_b32 exec_lo, exec_lo, s4
	s_and_saveexec_b32 s4, s0
	s_delay_alu instid0(SALU_CYCLE_1)
	s_xor_b32 s0, exec_lo, s4
	s_cbranch_execz .LBB348_1522
.LBB348_1450:
	v_cndmask_b32_e64 v2, 0, 1, s6
	s_wait_loadcnt 0x0
	global_store_b8 v[0:1], v2, off
	s_wait_xcnt 0x0
	s_or_b32 exec_lo, exec_lo, s0
	s_and_saveexec_b32 s0, s9
	s_delay_alu instid0(SALU_CYCLE_1)
	s_xor_b32 s0, exec_lo, s0
	s_cbranch_execz .LBB348_1560
	s_branch .LBB348_1523
.LBB348_1451:
	s_mov_b32 s10, 0
	s_mov_b32 s5, -1
	s_mov_b32 s0, s39
	s_branch .LBB348_1520
.LBB348_1452:
	s_mov_b32 s5, 0
.LBB348_1453:
	s_delay_alu instid0(SALU_CYCLE_1)
	s_and_b32 vcc_lo, exec_lo, s5
	s_cbranch_vccz .LBB348_1458
; %bb.1454:
	s_cmp_eq_u32 s4, 44
	s_mov_b32 s0, -1
	s_cbranch_scc0 .LBB348_1458
; %bb.1455:
	v_cndmask_b32_e64 v4, 0, 1.0, s6
	s_mov_b32 s5, exec_lo
	s_wait_xcnt 0x0
	s_delay_alu instid0(VALU_DEP_1) | instskip(NEXT) | instid1(VALU_DEP_1)
	v_dual_mov_b32 v3, 0xff :: v_dual_lshrrev_b32 v2, 23, v4
	v_cmpx_ne_u32_e32 0xff, v2
; %bb.1456:
	v_and_b32_e32 v3, 0x400000, v4
	v_and_or_b32 v4, 0x3fffff, v4, v2
	s_delay_alu instid0(VALU_DEP_2) | instskip(NEXT) | instid1(VALU_DEP_2)
	v_cmp_ne_u32_e32 vcc_lo, 0, v3
	v_cmp_ne_u32_e64 s0, 0, v4
	s_and_b32 s0, vcc_lo, s0
	s_delay_alu instid0(SALU_CYCLE_1) | instskip(NEXT) | instid1(VALU_DEP_1)
	v_cndmask_b32_e64 v3, 0, 1, s0
	v_add_nc_u32_e32 v3, v2, v3
; %bb.1457:
	s_or_b32 exec_lo, exec_lo, s5
	s_mov_b32 s0, 0
	global_store_b8 v[0:1], v3, off
.LBB348_1458:
	s_mov_b32 s5, 0
.LBB348_1459:
	s_delay_alu instid0(SALU_CYCLE_1)
	s_and_b32 vcc_lo, exec_lo, s5
	s_cbranch_vccz .LBB348_1462
; %bb.1460:
	s_cmp_eq_u32 s4, 29
	s_mov_b32 s0, -1
	s_cbranch_scc0 .LBB348_1462
; %bb.1461:
	s_mov_b32 s0, 0
	s_wait_xcnt 0x0
	v_cndmask_b32_e64 v2, 0, 1, s6
	v_mov_b32_e32 v3, s0
	s_mov_b32 s5, 0
	global_store_b64 v[0:1], v[2:3], off
	s_branch .LBB348_1463
.LBB348_1462:
	s_mov_b32 s5, 0
.LBB348_1463:
	s_delay_alu instid0(SALU_CYCLE_1)
	s_and_b32 vcc_lo, exec_lo, s5
	s_cbranch_vccz .LBB348_1478
; %bb.1464:
	s_cmp_lt_i32 s4, 27
	s_mov_b32 s5, -1
	s_cbranch_scc1 .LBB348_1470
; %bb.1465:
	s_cmp_gt_i32 s4, 27
	s_cbranch_scc0 .LBB348_1467
; %bb.1466:
	s_wait_xcnt 0x0
	v_cndmask_b32_e64 v2, 0, 1, s6
	s_mov_b32 s5, 0
	global_store_b32 v[0:1], v2, off
.LBB348_1467:
	s_and_not1_b32 vcc_lo, exec_lo, s5
	s_cbranch_vccnz .LBB348_1469
; %bb.1468:
	s_wait_xcnt 0x0
	v_cndmask_b32_e64 v2, 0, 1, s6
	global_store_b16 v[0:1], v2, off
.LBB348_1469:
	s_mov_b32 s5, 0
.LBB348_1470:
	s_delay_alu instid0(SALU_CYCLE_1)
	s_and_not1_b32 vcc_lo, exec_lo, s5
	s_cbranch_vccnz .LBB348_1478
; %bb.1471:
	s_wait_xcnt 0x0
	v_cndmask_b32_e64 v3, 0, 1.0, s6
	v_mov_b32_e32 v4, 0x80
	s_mov_b32 s5, exec_lo
	s_delay_alu instid0(VALU_DEP_2)
	v_cmpx_gt_u32_e32 0x43800000, v3
	s_cbranch_execz .LBB348_1477
; %bb.1472:
	s_mov_b32 s10, exec_lo
                                        ; implicit-def: $vgpr2
	v_cmpx_lt_u32_e32 0x3bffffff, v3
	s_xor_b32 s10, exec_lo, s10
	s_cbranch_execz .LBB348_1619
; %bb.1473:
	v_bfe_u32 v2, v3, 20, 1
	s_mov_b32 s9, exec_lo
	s_delay_alu instid0(VALU_DEP_1) | instskip(NEXT) | instid1(VALU_DEP_1)
	v_add3_u32 v2, v3, v2, 0x487ffff
                                        ; implicit-def: $vgpr3
	v_lshrrev_b32_e32 v2, 20, v2
	s_and_not1_saveexec_b32 s10, s10
	s_cbranch_execnz .LBB348_1620
.LBB348_1474:
	s_or_b32 exec_lo, exec_lo, s10
	v_mov_b32_e32 v4, 0
	s_and_saveexec_b32 s10, s9
.LBB348_1475:
	v_mov_b32_e32 v4, v2
.LBB348_1476:
	s_or_b32 exec_lo, exec_lo, s10
.LBB348_1477:
	s_delay_alu instid0(SALU_CYCLE_1)
	s_or_b32 exec_lo, exec_lo, s5
	global_store_b8 v[0:1], v4, off
.LBB348_1478:
	s_mov_b32 s5, 0
.LBB348_1479:
	s_delay_alu instid0(SALU_CYCLE_1)
	s_and_b32 vcc_lo, exec_lo, s5
	s_mov_b32 s5, 0
	s_cbranch_vccz .LBB348_1519
; %bb.1480:
	s_cmp_gt_i32 s4, 22
	s_mov_b32 s9, -1
	s_cbranch_scc0 .LBB348_1512
; %bb.1481:
	s_cmp_lt_i32 s4, 24
	s_cbranch_scc1 .LBB348_1501
; %bb.1482:
	s_cmp_gt_i32 s4, 24
	s_cbranch_scc0 .LBB348_1490
; %bb.1483:
	s_wait_xcnt 0x0
	v_cndmask_b32_e64 v3, 0, 1.0, s6
	v_mov_b32_e32 v4, 0x80
	s_mov_b32 s9, exec_lo
	s_delay_alu instid0(VALU_DEP_2)
	v_cmpx_gt_u32_e32 0x47800000, v3
	s_cbranch_execz .LBB348_1489
; %bb.1484:
	s_mov_b32 s10, 0
	s_mov_b32 s11, exec_lo
                                        ; implicit-def: $vgpr2
	v_cmpx_lt_u32_e32 0x37ffffff, v3
	s_xor_b32 s11, exec_lo, s11
	s_cbranch_execz .LBB348_1740
; %bb.1485:
	v_bfe_u32 v2, v3, 21, 1
	s_mov_b32 s10, exec_lo
	s_delay_alu instid0(VALU_DEP_1) | instskip(NEXT) | instid1(VALU_DEP_1)
	v_add3_u32 v2, v3, v2, 0x88fffff
                                        ; implicit-def: $vgpr3
	v_lshrrev_b32_e32 v2, 21, v2
	s_and_not1_saveexec_b32 s11, s11
	s_cbranch_execnz .LBB348_1741
.LBB348_1486:
	s_or_b32 exec_lo, exec_lo, s11
	v_mov_b32_e32 v4, 0
	s_and_saveexec_b32 s11, s10
.LBB348_1487:
	v_mov_b32_e32 v4, v2
.LBB348_1488:
	s_or_b32 exec_lo, exec_lo, s11
.LBB348_1489:
	s_delay_alu instid0(SALU_CYCLE_1)
	s_or_b32 exec_lo, exec_lo, s9
	s_mov_b32 s9, 0
	global_store_b8 v[0:1], v4, off
.LBB348_1490:
	s_and_b32 vcc_lo, exec_lo, s9
	s_cbranch_vccz .LBB348_1500
; %bb.1491:
	s_wait_xcnt 0x0
	v_cndmask_b32_e64 v3, 0, 1.0, s6
	s_mov_b32 s9, exec_lo
                                        ; implicit-def: $vgpr2
	s_delay_alu instid0(VALU_DEP_1)
	v_cmpx_gt_u32_e32 0x43f00000, v3
	s_xor_b32 s9, exec_lo, s9
	s_cbranch_execz .LBB348_1497
; %bb.1492:
	s_mov_b32 s10, exec_lo
                                        ; implicit-def: $vgpr2
	v_cmpx_lt_u32_e32 0x3c7fffff, v3
	s_xor_b32 s10, exec_lo, s10
; %bb.1493:
	v_bfe_u32 v2, v3, 20, 1
	s_delay_alu instid0(VALU_DEP_1) | instskip(NEXT) | instid1(VALU_DEP_1)
	v_add3_u32 v2, v3, v2, 0x407ffff
	v_and_b32_e32 v3, 0xff00000, v2
	v_lshrrev_b32_e32 v2, 20, v2
	s_delay_alu instid0(VALU_DEP_2) | instskip(NEXT) | instid1(VALU_DEP_2)
	v_cmp_ne_u32_e32 vcc_lo, 0x7f00000, v3
                                        ; implicit-def: $vgpr3
	v_cndmask_b32_e32 v2, 0x7e, v2, vcc_lo
; %bb.1494:
	s_and_not1_saveexec_b32 s10, s10
; %bb.1495:
	v_add_f32_e32 v2, 0x46800000, v3
; %bb.1496:
	s_or_b32 exec_lo, exec_lo, s10
                                        ; implicit-def: $vgpr3
.LBB348_1497:
	s_and_not1_saveexec_b32 s9, s9
; %bb.1498:
	v_mov_b32_e32 v2, 0x7f
	v_cmp_lt_u32_e32 vcc_lo, 0x7f800000, v3
	s_delay_alu instid0(VALU_DEP_2)
	v_cndmask_b32_e32 v2, 0x7e, v2, vcc_lo
; %bb.1499:
	s_or_b32 exec_lo, exec_lo, s9
	global_store_b8 v[0:1], v2, off
.LBB348_1500:
	s_mov_b32 s9, 0
.LBB348_1501:
	s_delay_alu instid0(SALU_CYCLE_1)
	s_and_not1_b32 vcc_lo, exec_lo, s9
	s_cbranch_vccnz .LBB348_1511
; %bb.1502:
	s_wait_xcnt 0x0
	v_cndmask_b32_e64 v3, 0, 1.0, s6
	s_mov_b32 s9, exec_lo
                                        ; implicit-def: $vgpr2
	s_delay_alu instid0(VALU_DEP_1)
	v_cmpx_gt_u32_e32 0x47800000, v3
	s_xor_b32 s9, exec_lo, s9
	s_cbranch_execz .LBB348_1508
; %bb.1503:
	s_mov_b32 s10, exec_lo
                                        ; implicit-def: $vgpr2
	v_cmpx_lt_u32_e32 0x387fffff, v3
	s_xor_b32 s10, exec_lo, s10
; %bb.1504:
	v_bfe_u32 v2, v3, 21, 1
	s_delay_alu instid0(VALU_DEP_1) | instskip(NEXT) | instid1(VALU_DEP_1)
	v_add3_u32 v2, v3, v2, 0x80fffff
                                        ; implicit-def: $vgpr3
	v_lshrrev_b32_e32 v2, 21, v2
; %bb.1505:
	s_and_not1_saveexec_b32 s10, s10
; %bb.1506:
	v_add_f32_e32 v2, 0x43000000, v3
; %bb.1507:
	s_or_b32 exec_lo, exec_lo, s10
                                        ; implicit-def: $vgpr3
.LBB348_1508:
	s_and_not1_saveexec_b32 s9, s9
; %bb.1509:
	v_mov_b32_e32 v2, 0x7f
	v_cmp_lt_u32_e32 vcc_lo, 0x7f800000, v3
	s_delay_alu instid0(VALU_DEP_2)
	v_cndmask_b32_e32 v2, 0x7c, v2, vcc_lo
; %bb.1510:
	s_or_b32 exec_lo, exec_lo, s9
	global_store_b8 v[0:1], v2, off
.LBB348_1511:
	s_mov_b32 s9, 0
.LBB348_1512:
	s_delay_alu instid0(SALU_CYCLE_1)
	s_and_not1_b32 vcc_lo, exec_lo, s9
	s_mov_b32 s10, 0
	s_cbranch_vccnz .LBB348_1520
; %bb.1513:
	s_cmp_gt_i32 s4, 14
	s_mov_b32 s9, -1
	s_cbranch_scc0 .LBB348_1517
; %bb.1514:
	s_cmp_eq_u32 s4, 15
	s_mov_b32 s0, -1
	s_cbranch_scc0 .LBB348_1516
; %bb.1515:
	s_wait_xcnt 0x0
	v_cndmask_b32_e64 v2, 0, 1.0, s6
	s_mov_b32 s0, 0
	s_delay_alu instid0(VALU_DEP_1) | instskip(NEXT) | instid1(VALU_DEP_1)
	v_bfe_u32 v3, v2, 16, 1
	v_add3_u32 v2, v2, v3, 0x7fff
	global_store_d16_hi_b16 v[0:1], v2, off
.LBB348_1516:
	s_mov_b32 s9, 0
.LBB348_1517:
	s_delay_alu instid0(SALU_CYCLE_1)
	s_and_b32 vcc_lo, exec_lo, s9
	s_cbranch_vccz .LBB348_1520
; %bb.1518:
	s_cmp_lg_u32 s4, 11
	s_mov_b32 s10, -1
	s_cselect_b32 s4, -1, 0
	s_and_not1_b32 s0, s0, exec_lo
	s_and_b32 s4, s4, exec_lo
	s_delay_alu instid0(SALU_CYCLE_1)
	s_or_b32 s0, s0, s4
	s_branch .LBB348_1520
.LBB348_1519:
	s_mov_b32 s10, 0
.LBB348_1520:
	s_and_b32 s9, s5, exec_lo
	s_and_not1_b32 s4, s39, exec_lo
	s_and_b32 s5, s0, exec_lo
	s_and_b32 s0, s10, exec_lo
	s_or_b32 s39, s4, s5
	s_wait_xcnt 0x0
	s_or_b32 exec_lo, exec_lo, s8
	s_and_saveexec_b32 s4, s39
	s_cbranch_execz .LBB348_1449
.LBB348_1521:
	s_or_b32 s1, s1, exec_lo
	s_and_not1_b32 s0, s0, exec_lo
	s_trap 2
	s_or_b32 exec_lo, exec_lo, s4
	s_and_saveexec_b32 s4, s0
	s_delay_alu instid0(SALU_CYCLE_1)
	s_xor_b32 s0, exec_lo, s4
	s_cbranch_execnz .LBB348_1450
.LBB348_1522:
	s_or_b32 exec_lo, exec_lo, s0
	s_and_saveexec_b32 s0, s9
	s_delay_alu instid0(SALU_CYCLE_1)
	s_xor_b32 s0, exec_lo, s0
	s_cbranch_execz .LBB348_1560
.LBB348_1523:
	s_sext_i32_i16 s5, s7
	s_mov_b32 s4, -1
	s_cmp_lt_i32 s5, 5
	s_cbranch_scc1 .LBB348_1544
; %bb.1524:
	s_cmp_lt_i32 s5, 8
	s_cbranch_scc1 .LBB348_1534
; %bb.1525:
	;; [unrolled: 3-line block ×3, first 2 shown]
	s_cmp_gt_i32 s5, 9
	s_cbranch_scc0 .LBB348_1528
; %bb.1527:
	v_cndmask_b32_e64 v2, 0, 1, s6
	v_mov_b32_e32 v4, 0
	s_mov_b32 s4, 0
	s_delay_alu instid0(VALU_DEP_2) | instskip(SKIP_1) | instid1(VALU_DEP_2)
	v_cvt_f64_u32_e32 v[2:3], v2
	s_wait_loadcnt 0x0
	v_mov_b32_e32 v5, v4
	global_store_b128 v[0:1], v[2:5], off
.LBB348_1528:
	s_and_not1_b32 vcc_lo, exec_lo, s4
	s_cbranch_vccnz .LBB348_1530
; %bb.1529:
	s_wait_xcnt 0x0
	v_cndmask_b32_e64 v2, 0, 1.0, s6
	v_mov_b32_e32 v3, 0
	s_wait_loadcnt 0x0
	global_store_b64 v[0:1], v[2:3], off
.LBB348_1530:
	s_mov_b32 s4, 0
.LBB348_1531:
	s_delay_alu instid0(SALU_CYCLE_1)
	s_and_not1_b32 vcc_lo, exec_lo, s4
	s_cbranch_vccnz .LBB348_1533
; %bb.1532:
	s_wait_xcnt 0x0
	v_cndmask_b32_e64 v2, 0, 1.0, s6
	s_delay_alu instid0(VALU_DEP_1) | instskip(NEXT) | instid1(VALU_DEP_1)
	v_cvt_f16_f32_e32 v2, v2
	v_and_b32_e32 v2, 0xffff, v2
	s_wait_loadcnt 0x0
	global_store_b32 v[0:1], v2, off
.LBB348_1533:
	s_mov_b32 s4, 0
.LBB348_1534:
	s_delay_alu instid0(SALU_CYCLE_1)
	s_and_not1_b32 vcc_lo, exec_lo, s4
	s_cbranch_vccnz .LBB348_1543
; %bb.1535:
	s_sext_i32_i16 s5, s7
	s_mov_b32 s4, -1
	s_cmp_lt_i32 s5, 6
	s_cbranch_scc1 .LBB348_1541
; %bb.1536:
	s_cmp_gt_i32 s5, 6
	s_cbranch_scc0 .LBB348_1538
; %bb.1537:
	s_wait_xcnt 0x0
	v_cndmask_b32_e64 v2, 0, 1, s6
	s_mov_b32 s4, 0
	s_delay_alu instid0(VALU_DEP_1)
	v_cvt_f64_u32_e32 v[2:3], v2
	s_wait_loadcnt 0x0
	global_store_b64 v[0:1], v[2:3], off
.LBB348_1538:
	s_and_not1_b32 vcc_lo, exec_lo, s4
	s_cbranch_vccnz .LBB348_1540
; %bb.1539:
	s_wait_xcnt 0x0
	v_cndmask_b32_e64 v2, 0, 1.0, s6
	s_wait_loadcnt 0x0
	global_store_b32 v[0:1], v2, off
.LBB348_1540:
	s_mov_b32 s4, 0
.LBB348_1541:
	s_delay_alu instid0(SALU_CYCLE_1)
	s_and_not1_b32 vcc_lo, exec_lo, s4
	s_cbranch_vccnz .LBB348_1543
; %bb.1542:
	s_wait_xcnt 0x0
	v_cndmask_b32_e64 v2, 0, 1.0, s6
	s_delay_alu instid0(VALU_DEP_1)
	v_cvt_f16_f32_e32 v2, v2
	s_wait_loadcnt 0x0
	global_store_b16 v[0:1], v2, off
.LBB348_1543:
	s_mov_b32 s4, 0
.LBB348_1544:
	s_delay_alu instid0(SALU_CYCLE_1)
	s_and_not1_b32 vcc_lo, exec_lo, s4
	s_cbranch_vccnz .LBB348_1560
; %bb.1545:
	s_sext_i32_i16 s5, s7
	s_mov_b32 s4, -1
	s_cmp_lt_i32 s5, 2
	s_cbranch_scc1 .LBB348_1555
; %bb.1546:
	s_cmp_lt_i32 s5, 3
	s_cbranch_scc1 .LBB348_1552
; %bb.1547:
	s_cmp_gt_i32 s5, 3
	s_cbranch_scc0 .LBB348_1549
; %bb.1548:
	s_mov_b32 s4, 0
	s_wait_xcnt 0x0
	v_cndmask_b32_e64 v2, 0, 1, s6
	v_mov_b32_e32 v3, s4
	s_wait_loadcnt 0x0
	global_store_b64 v[0:1], v[2:3], off
.LBB348_1549:
	s_and_not1_b32 vcc_lo, exec_lo, s4
	s_cbranch_vccnz .LBB348_1551
; %bb.1550:
	s_wait_xcnt 0x0
	v_cndmask_b32_e64 v2, 0, 1, s6
	s_wait_loadcnt 0x0
	global_store_b32 v[0:1], v2, off
.LBB348_1551:
	s_mov_b32 s4, 0
.LBB348_1552:
	s_delay_alu instid0(SALU_CYCLE_1)
	s_and_not1_b32 vcc_lo, exec_lo, s4
	s_cbranch_vccnz .LBB348_1554
; %bb.1553:
	s_wait_xcnt 0x0
	v_cndmask_b32_e64 v2, 0, 1, s6
	s_wait_loadcnt 0x0
	global_store_b16 v[0:1], v2, off
.LBB348_1554:
	s_mov_b32 s4, 0
.LBB348_1555:
	s_delay_alu instid0(SALU_CYCLE_1)
	s_and_not1_b32 vcc_lo, exec_lo, s4
	s_cbranch_vccnz .LBB348_1560
; %bb.1556:
	s_wait_xcnt 0x0
	v_cndmask_b32_e64 v2, 0, 1, s6
	s_sext_i32_i16 s4, s7
	s_delay_alu instid0(SALU_CYCLE_1)
	s_cmp_gt_i32 s4, 0
	s_mov_b32 s4, -1
	s_cbranch_scc0 .LBB348_1558
; %bb.1557:
	s_mov_b32 s4, 0
	s_wait_loadcnt 0x0
	global_store_b8 v[0:1], v2, off
.LBB348_1558:
	s_and_not1_b32 vcc_lo, exec_lo, s4
	s_cbranch_vccnz .LBB348_1560
; %bb.1559:
	s_wait_loadcnt 0x0
	global_store_b8 v[0:1], v2, off
.LBB348_1560:
	s_wait_xcnt 0x0
	s_or_b32 exec_lo, exec_lo, s0
	s_delay_alu instid0(SALU_CYCLE_1)
	s_and_b32 s8, s1, exec_lo
                                        ; implicit-def: $vgpr1
                                        ; implicit-def: $vgpr0
.LBB348_1561:
	s_or_saveexec_b32 s9, s33
	s_mov_b32 s0, 0
                                        ; implicit-def: $sgpr4
                                        ; implicit-def: $vgpr2_vgpr3
                                        ; implicit-def: $sgpr1
	s_xor_b32 exec_lo, exec_lo, s9
	s_cbranch_execz .LBB348_3049
; %bb.1562:
	v_cndmask_b32_e64 v3, 0, 1, s31
	s_and_not1_b32 vcc_lo, exec_lo, s31
	s_cbranch_vccnz .LBB348_1568
; %bb.1563:
	s_cmp_lg_u32 s28, 0
	s_mov_b32 s4, 0
	s_cbranch_scc0 .LBB348_1572
; %bb.1564:
	s_min_u32 s5, s29, 15
	s_wait_loadcnt 0x0
	v_dual_mov_b32 v6, 0 :: v_dual_mov_b32 v2, v0
	v_dual_mov_b32 v22, 0 :: v_dual_mov_b32 v20, 0
	s_add_co_i32 s6, s5, 1
	s_mov_b64 s[0:1], 0xffffffffffffffe8
	s_and_b32 s6, s6, 30
	s_add_nc_u64 s[0:1], s[2:3], s[0:1]
.LBB348_1565:                           ; =>This Inner Loop Header: Depth=1
	s_clause 0x1
	s_load_b128 s[12:15], s[0:1], 0x1c
	s_load_b64 s[10:11], s[0:1], 0x2c
	s_add_co_i32 s6, s6, -2
	s_delay_alu instid0(SALU_CYCLE_1) | instskip(SKIP_2) | instid1(VALU_DEP_1)
	s_cmp_lg_u32 s6, 0
	s_wait_kmcnt 0x0
	v_mul_hi_u32 v4, s13, v2
	v_add_nc_u32_e32 v4, v2, v4
	s_delay_alu instid0(VALU_DEP_1) | instskip(NEXT) | instid1(VALU_DEP_1)
	v_lshrrev_b32_e32 v4, s14, v4
	v_mul_hi_u32 v5, s10, v4
	v_mul_lo_u32 v7, v4, s12
	s_clause 0x1
	s_load_b128 s[16:19], s[0:1], 0xdc
	s_load_b64 s[12:13], s[0:1], 0xec
	s_wait_xcnt 0x0
	s_add_nc_u64 s[0:1], s[0:1], 24
	s_delay_alu instid0(VALU_DEP_1) | instskip(NEXT) | instid1(VALU_DEP_1)
	v_dual_add_nc_u32 v5, v4, v5 :: v_dual_sub_nc_u32 v7, v2, v7
	v_lshrrev_b32_e32 v2, s11, v5
	s_wait_kmcnt 0x0
	s_delay_alu instid0(VALU_DEP_2) | instskip(NEXT) | instid1(VALU_DEP_2)
	v_mad_u32 v6, v7, s16, v6
	v_mul_lo_u32 v5, v2, s15
	v_mad_u32 v8, v7, s18, v20
	v_mad_u32 v7, v7, s17, v22
	s_delay_alu instid0(VALU_DEP_3) | instskip(NEXT) | instid1(VALU_DEP_1)
	v_sub_nc_u32_e32 v4, v4, v5
	v_mad_u32 v6, v4, s19, v6
	s_delay_alu instid0(VALU_DEP_4) | instskip(NEXT) | instid1(VALU_DEP_4)
	v_mad_u32 v20, v4, s13, v8
	v_mad_u32 v22, v4, s12, v7
	s_cbranch_scc1 .LBB348_1565
; %bb.1566:
	s_bitcmp1_b32 s5, 0
	s_cselect_b32 s5, -1, 0
	s_delay_alu instid0(SALU_CYCLE_1)
	s_and_b32 vcc_lo, exec_lo, s5
	s_cbranch_vccnz .LBB348_1569
; %bb.1567:
	s_clause 0x1
	s_load_b96 s[12:14], s[0:1], 0x1c
	s_load_b96 s[16:18], s[0:1], 0xdc
	s_wait_kmcnt 0x0
	v_mul_hi_u32 v4, s13, v2
	s_delay_alu instid0(VALU_DEP_1) | instskip(NEXT) | instid1(VALU_DEP_1)
	v_add_nc_u32_e32 v4, v2, v4
	v_lshrrev_b32_e32 v4, s14, v4
	s_delay_alu instid0(VALU_DEP_1) | instskip(NEXT) | instid1(VALU_DEP_1)
	v_mul_lo_u32 v4, v4, s12
	v_sub_nc_u32_e32 v2, v2, v4
	s_delay_alu instid0(VALU_DEP_1)
	v_mad_u32 v6, v2, s16, v6
	v_mad_u32 v22, v2, s17, v22
	;; [unrolled: 1-line block ×3, first 2 shown]
	s_and_not1_b32 vcc_lo, exec_lo, s4
	s_cbranch_vccz .LBB348_1570
	s_branch .LBB348_1573
.LBB348_1568:
	s_mov_b32 s4, -1
                                        ; implicit-def: $vgpr20
                                        ; implicit-def: $vgpr22
                                        ; implicit-def: $vgpr6
.LBB348_1569:
	s_delay_alu instid0(SALU_CYCLE_1)
	s_and_not1_b32 vcc_lo, exec_lo, s4
	s_cbranch_vccnz .LBB348_1573
.LBB348_1570:
	s_clause 0x1
	s_load_b96 s[4:6], s[2:3], 0x4
	s_load_b96 s[12:14], s[2:3], 0xc4
	s_cmp_lt_u32 s28, 2
	s_wait_kmcnt 0x0
	v_mul_hi_u32 v2, s5, v0
	s_delay_alu instid0(VALU_DEP_1) | instskip(NEXT) | instid1(VALU_DEP_1)
	v_add_nc_u32_e32 v2, v0, v2
	v_lshrrev_b32_e32 v2, s6, v2
	s_delay_alu instid0(VALU_DEP_1) | instskip(NEXT) | instid1(VALU_DEP_1)
	v_mul_lo_u32 v4, v2, s4
	v_sub_nc_u32_e32 v4, v0, v4
	s_wait_loadcnt 0x0
	s_delay_alu instid0(VALU_DEP_1)
	v_mul_lo_u32 v6, v4, s12
	v_mul_lo_u32 v20, v4, s14
	;; [unrolled: 1-line block ×3, first 2 shown]
	s_cbranch_scc1 .LBB348_1573
; %bb.1571:
	s_clause 0x1
	s_load_b96 s[4:6], s[2:3], 0x10
	s_load_b96 s[12:14], s[2:3], 0xd0
	s_wait_kmcnt 0x0
	v_mul_hi_u32 v4, s5, v2
	s_delay_alu instid0(VALU_DEP_1) | instskip(NEXT) | instid1(VALU_DEP_1)
	v_add_nc_u32_e32 v4, v2, v4
	v_lshrrev_b32_e32 v4, s6, v4
	s_delay_alu instid0(VALU_DEP_1) | instskip(NEXT) | instid1(VALU_DEP_1)
	v_mul_lo_u32 v4, v4, s4
	v_sub_nc_u32_e32 v2, v2, v4
	s_delay_alu instid0(VALU_DEP_1)
	v_mad_u32 v6, v2, s12, v6
	v_mad_u32 v22, v2, s13, v22
	;; [unrolled: 1-line block ×3, first 2 shown]
	s_branch .LBB348_1573
.LBB348_1572:
	v_dual_mov_b32 v20, 0 :: v_dual_mov_b32 v22, 0
	s_wait_loadcnt 0x0
	v_mov_b32_e32 v6, 0
	s_and_not1_b32 vcc_lo, exec_lo, s4
	s_cbranch_vccz .LBB348_1570
.LBB348_1573:
	v_cmp_ne_u32_e32 vcc_lo, 1, v3
	v_add_nc_u32_e32 v2, 0x80, v0
	s_cbranch_vccnz .LBB348_1579
; %bb.1574:
	s_cmp_lg_u32 s28, 0
	s_mov_b32 s4, 0
	s_cbranch_scc0 .LBB348_1583
; %bb.1575:
	s_min_u32 s5, s29, 15
	s_wait_loadcnt 0x0
	v_dual_mov_b32 v4, 0 :: v_dual_mov_b32 v5, v2
	v_dual_mov_b32 v18, 0 :: v_dual_mov_b32 v16, 0
	s_add_co_i32 s6, s5, 1
	s_mov_b64 s[0:1], 0xffffffffffffffe8
	s_and_b32 s6, s6, 30
	s_add_nc_u64 s[0:1], s[2:3], s[0:1]
.LBB348_1576:                           ; =>This Inner Loop Header: Depth=1
	s_clause 0x1
	s_load_b128 s[12:15], s[0:1], 0x1c
	s_load_b64 s[10:11], s[0:1], 0x2c
	s_add_co_i32 s6, s6, -2
	s_delay_alu instid0(SALU_CYCLE_1) | instskip(SKIP_2) | instid1(VALU_DEP_1)
	s_cmp_lg_u32 s6, 0
	s_wait_kmcnt 0x0
	v_mul_hi_u32 v7, s13, v5
	v_add_nc_u32_e32 v7, v5, v7
	s_delay_alu instid0(VALU_DEP_1) | instskip(NEXT) | instid1(VALU_DEP_1)
	v_lshrrev_b32_e32 v7, s14, v7
	v_mul_hi_u32 v8, s10, v7
	v_mul_lo_u32 v9, v7, s12
	s_clause 0x1
	s_load_b128 s[16:19], s[0:1], 0xdc
	s_load_b64 s[12:13], s[0:1], 0xec
	s_wait_xcnt 0x0
	s_add_nc_u64 s[0:1], s[0:1], 24
	s_delay_alu instid0(VALU_DEP_1) | instskip(NEXT) | instid1(VALU_DEP_1)
	v_dual_add_nc_u32 v8, v7, v8 :: v_dual_sub_nc_u32 v9, v5, v9
	v_lshrrev_b32_e32 v5, s11, v8
	s_wait_kmcnt 0x0
	s_delay_alu instid0(VALU_DEP_2) | instskip(NEXT) | instid1(VALU_DEP_2)
	v_mad_u32 v4, v9, s16, v4
	v_mul_lo_u32 v8, v5, s15
	v_mad_u32 v10, v9, s18, v16
	v_mad_u32 v9, v9, s17, v18
	s_delay_alu instid0(VALU_DEP_3) | instskip(NEXT) | instid1(VALU_DEP_1)
	v_sub_nc_u32_e32 v7, v7, v8
	v_mad_u32 v4, v7, s19, v4
	s_delay_alu instid0(VALU_DEP_4) | instskip(NEXT) | instid1(VALU_DEP_4)
	v_mad_u32 v16, v7, s13, v10
	v_mad_u32 v18, v7, s12, v9
	s_cbranch_scc1 .LBB348_1576
; %bb.1577:
	s_bitcmp1_b32 s5, 0
	s_cselect_b32 s5, -1, 0
	s_delay_alu instid0(SALU_CYCLE_1)
	s_and_b32 vcc_lo, exec_lo, s5
	s_cbranch_vccnz .LBB348_1580
; %bb.1578:
	s_clause 0x1
	s_load_b96 s[12:14], s[0:1], 0x1c
	s_load_b96 s[16:18], s[0:1], 0xdc
	s_wait_kmcnt 0x0
	v_mul_hi_u32 v7, s13, v5
	s_delay_alu instid0(VALU_DEP_1) | instskip(NEXT) | instid1(VALU_DEP_1)
	v_add_nc_u32_e32 v7, v5, v7
	v_lshrrev_b32_e32 v7, s14, v7
	s_delay_alu instid0(VALU_DEP_1) | instskip(NEXT) | instid1(VALU_DEP_1)
	v_mul_lo_u32 v7, v7, s12
	v_sub_nc_u32_e32 v5, v5, v7
	s_delay_alu instid0(VALU_DEP_1)
	v_mad_u32 v4, v5, s16, v4
	v_mad_u32 v18, v5, s17, v18
	;; [unrolled: 1-line block ×3, first 2 shown]
	s_and_not1_b32 vcc_lo, exec_lo, s4
	s_cbranch_vccz .LBB348_1581
	s_branch .LBB348_1584
.LBB348_1579:
	s_mov_b32 s4, -1
                                        ; implicit-def: $vgpr16
                                        ; implicit-def: $vgpr18
                                        ; implicit-def: $vgpr4
.LBB348_1580:
	s_delay_alu instid0(SALU_CYCLE_1)
	s_and_not1_b32 vcc_lo, exec_lo, s4
	s_cbranch_vccnz .LBB348_1584
.LBB348_1581:
	s_clause 0x1
	s_load_b96 s[4:6], s[2:3], 0x4
	s_load_b96 s[12:14], s[2:3], 0xc4
	s_cmp_lt_u32 s28, 2
	s_wait_kmcnt 0x0
	v_mul_hi_u32 v4, s5, v2
	s_delay_alu instid0(VALU_DEP_1) | instskip(SKIP_1) | instid1(VALU_DEP_1)
	v_add_nc_u32_e32 v4, v2, v4
	s_wait_loadcnt 0x0
	v_lshrrev_b32_e32 v5, s6, v4
	s_delay_alu instid0(VALU_DEP_1) | instskip(NEXT) | instid1(VALU_DEP_1)
	v_mul_lo_u32 v4, v5, s4
	v_sub_nc_u32_e32 v2, v2, v4
	s_delay_alu instid0(VALU_DEP_1)
	v_mul_lo_u32 v4, v2, s12
	v_mul_lo_u32 v16, v2, s14
	;; [unrolled: 1-line block ×3, first 2 shown]
	s_cbranch_scc1 .LBB348_1584
; %bb.1582:
	s_clause 0x1
	s_load_b96 s[4:6], s[2:3], 0x10
	s_load_b96 s[12:14], s[2:3], 0xd0
	s_wait_kmcnt 0x0
	v_mul_hi_u32 v2, s5, v5
	s_delay_alu instid0(VALU_DEP_1) | instskip(NEXT) | instid1(VALU_DEP_1)
	v_add_nc_u32_e32 v2, v5, v2
	v_lshrrev_b32_e32 v2, s6, v2
	s_delay_alu instid0(VALU_DEP_1) | instskip(NEXT) | instid1(VALU_DEP_1)
	v_mul_lo_u32 v2, v2, s4
	v_sub_nc_u32_e32 v2, v5, v2
	s_delay_alu instid0(VALU_DEP_1)
	v_mad_u32 v4, v2, s12, v4
	v_mad_u32 v18, v2, s13, v18
	;; [unrolled: 1-line block ×3, first 2 shown]
	s_branch .LBB348_1584
.LBB348_1583:
	v_dual_mov_b32 v16, 0 :: v_dual_mov_b32 v18, 0
	v_mov_b32_e32 v4, 0
	s_and_not1_b32 vcc_lo, exec_lo, s4
	s_cbranch_vccz .LBB348_1581
.LBB348_1584:
	v_cmp_ne_u32_e32 vcc_lo, 1, v3
	v_add_nc_u32_e32 v0, 0x100, v0
	s_cbranch_vccnz .LBB348_1590
; %bb.1585:
	s_cmp_lg_u32 s28, 0
	s_mov_b32 s4, 0
	s_cbranch_scc0 .LBB348_1594
; %bb.1586:
	s_min_u32 s5, s29, 15
	s_wait_loadcnt 0x0
	v_dual_mov_b32 v2, 0 :: v_dual_mov_b32 v5, v0
	v_dual_mov_b32 v14, 0 :: v_dual_mov_b32 v12, 0
	s_add_co_i32 s6, s5, 1
	s_mov_b64 s[0:1], 0xffffffffffffffe8
	s_and_b32 s6, s6, 30
	s_add_nc_u64 s[0:1], s[2:3], s[0:1]
.LBB348_1587:                           ; =>This Inner Loop Header: Depth=1
	s_clause 0x1
	s_load_b128 s[12:15], s[0:1], 0x1c
	s_load_b64 s[10:11], s[0:1], 0x2c
	s_add_co_i32 s6, s6, -2
	s_delay_alu instid0(SALU_CYCLE_1) | instskip(SKIP_2) | instid1(VALU_DEP_1)
	s_cmp_lg_u32 s6, 0
	s_wait_kmcnt 0x0
	v_mul_hi_u32 v7, s13, v5
	v_add_nc_u32_e32 v7, v5, v7
	s_delay_alu instid0(VALU_DEP_1) | instskip(NEXT) | instid1(VALU_DEP_1)
	v_lshrrev_b32_e32 v7, s14, v7
	v_mul_hi_u32 v8, s10, v7
	v_mul_lo_u32 v9, v7, s12
	s_clause 0x1
	s_load_b128 s[16:19], s[0:1], 0xdc
	s_load_b64 s[12:13], s[0:1], 0xec
	s_wait_xcnt 0x0
	s_add_nc_u64 s[0:1], s[0:1], 24
	s_delay_alu instid0(VALU_DEP_1) | instskip(NEXT) | instid1(VALU_DEP_1)
	v_dual_add_nc_u32 v8, v7, v8 :: v_dual_sub_nc_u32 v9, v5, v9
	v_lshrrev_b32_e32 v5, s11, v8
	s_wait_kmcnt 0x0
	s_delay_alu instid0(VALU_DEP_2) | instskip(NEXT) | instid1(VALU_DEP_2)
	v_mad_u32 v2, v9, s16, v2
	v_mul_lo_u32 v8, v5, s15
	v_mad_u32 v10, v9, s18, v12
	v_mad_u32 v9, v9, s17, v14
	s_delay_alu instid0(VALU_DEP_3) | instskip(NEXT) | instid1(VALU_DEP_1)
	v_sub_nc_u32_e32 v7, v7, v8
	v_mad_u32 v2, v7, s19, v2
	s_delay_alu instid0(VALU_DEP_4) | instskip(NEXT) | instid1(VALU_DEP_4)
	v_mad_u32 v12, v7, s13, v10
	v_mad_u32 v14, v7, s12, v9
	s_cbranch_scc1 .LBB348_1587
; %bb.1588:
	s_bitcmp1_b32 s5, 0
	s_cselect_b32 s5, -1, 0
	s_delay_alu instid0(SALU_CYCLE_1)
	s_and_b32 vcc_lo, exec_lo, s5
	s_cbranch_vccnz .LBB348_1591
; %bb.1589:
	s_clause 0x1
	s_load_b96 s[12:14], s[0:1], 0x1c
	s_load_b96 s[16:18], s[0:1], 0xdc
	s_wait_kmcnt 0x0
	v_mul_hi_u32 v7, s13, v5
	s_delay_alu instid0(VALU_DEP_1) | instskip(NEXT) | instid1(VALU_DEP_1)
	v_add_nc_u32_e32 v7, v5, v7
	v_lshrrev_b32_e32 v7, s14, v7
	s_delay_alu instid0(VALU_DEP_1) | instskip(NEXT) | instid1(VALU_DEP_1)
	v_mul_lo_u32 v7, v7, s12
	v_sub_nc_u32_e32 v5, v5, v7
	s_delay_alu instid0(VALU_DEP_1)
	v_mad_u32 v2, v5, s16, v2
	v_mad_u32 v14, v5, s17, v14
	;; [unrolled: 1-line block ×3, first 2 shown]
	s_and_not1_b32 vcc_lo, exec_lo, s4
	s_cbranch_vccz .LBB348_1592
	s_branch .LBB348_1595
.LBB348_1590:
	s_mov_b32 s4, -1
                                        ; implicit-def: $vgpr12
                                        ; implicit-def: $vgpr14
                                        ; implicit-def: $vgpr2
.LBB348_1591:
	s_delay_alu instid0(SALU_CYCLE_1)
	s_and_not1_b32 vcc_lo, exec_lo, s4
	s_cbranch_vccnz .LBB348_1595
.LBB348_1592:
	s_clause 0x1
	s_load_b96 s[4:6], s[2:3], 0x4
	s_load_b96 s[12:14], s[2:3], 0xc4
	s_cmp_lt_u32 s28, 2
	s_wait_kmcnt 0x0
	v_mul_hi_u32 v2, s5, v0
	s_delay_alu instid0(VALU_DEP_1) | instskip(SKIP_1) | instid1(VALU_DEP_1)
	v_add_nc_u32_e32 v2, v0, v2
	s_wait_loadcnt 0x0
	v_lshrrev_b32_e32 v5, s6, v2
	s_delay_alu instid0(VALU_DEP_1) | instskip(NEXT) | instid1(VALU_DEP_1)
	v_mul_lo_u32 v2, v5, s4
	v_sub_nc_u32_e32 v0, v0, v2
	s_delay_alu instid0(VALU_DEP_1)
	v_mul_lo_u32 v2, v0, s12
	v_mul_lo_u32 v12, v0, s14
	;; [unrolled: 1-line block ×3, first 2 shown]
	s_cbranch_scc1 .LBB348_1595
; %bb.1593:
	s_clause 0x1
	s_load_b96 s[4:6], s[2:3], 0x10
	s_load_b96 s[12:14], s[2:3], 0xd0
	s_wait_kmcnt 0x0
	v_mul_hi_u32 v0, s5, v5
	s_delay_alu instid0(VALU_DEP_1) | instskip(NEXT) | instid1(VALU_DEP_1)
	v_add_nc_u32_e32 v0, v5, v0
	v_lshrrev_b32_e32 v0, s6, v0
	s_delay_alu instid0(VALU_DEP_1) | instskip(NEXT) | instid1(VALU_DEP_1)
	v_mul_lo_u32 v0, v0, s4
	v_sub_nc_u32_e32 v0, v5, v0
	s_delay_alu instid0(VALU_DEP_1)
	v_mad_u32 v2, v0, s12, v2
	v_mad_u32 v14, v0, s13, v14
	;; [unrolled: 1-line block ×3, first 2 shown]
	s_branch .LBB348_1595
.LBB348_1594:
	v_dual_mov_b32 v12, 0 :: v_dual_mov_b32 v14, 0
	v_mov_b32_e32 v2, 0
	s_and_not1_b32 vcc_lo, exec_lo, s4
	s_cbranch_vccz .LBB348_1592
.LBB348_1595:
	v_cmp_ne_u32_e32 vcc_lo, 1, v3
	s_cbranch_vccnz .LBB348_1601
; %bb.1596:
	s_cmp_lg_u32 s28, 0
	s_mov_b32 s4, 0
	s_cbranch_scc0 .LBB348_1605
; %bb.1597:
	s_min_u32 s5, s29, 15
	s_wait_loadcnt 0x0
	v_dual_mov_b32 v0, 0 :: v_dual_mov_b32 v3, v1
	v_dual_mov_b32 v10, 0 :: v_dual_mov_b32 v8, 0
	s_add_co_i32 s6, s5, 1
	s_mov_b64 s[0:1], 0xffffffffffffffe8
	s_and_b32 s6, s6, 30
	s_add_nc_u64 s[0:1], s[2:3], s[0:1]
.LBB348_1598:                           ; =>This Inner Loop Header: Depth=1
	s_clause 0x1
	s_load_b128 s[12:15], s[0:1], 0x1c
	s_load_b64 s[10:11], s[0:1], 0x2c
	s_add_co_i32 s6, s6, -2
	s_delay_alu instid0(SALU_CYCLE_1) | instskip(SKIP_2) | instid1(VALU_DEP_1)
	s_cmp_lg_u32 s6, 0
	s_wait_kmcnt 0x0
	v_mul_hi_u32 v5, s13, v3
	v_add_nc_u32_e32 v5, v3, v5
	s_delay_alu instid0(VALU_DEP_1) | instskip(NEXT) | instid1(VALU_DEP_1)
	v_lshrrev_b32_e32 v5, s14, v5
	v_mul_hi_u32 v7, s10, v5
	v_mul_lo_u32 v9, v5, s12
	s_clause 0x1
	s_load_b128 s[16:19], s[0:1], 0xdc
	s_load_b64 s[12:13], s[0:1], 0xec
	s_wait_xcnt 0x0
	s_add_nc_u64 s[0:1], s[0:1], 24
	s_delay_alu instid0(VALU_DEP_1) | instskip(NEXT) | instid1(VALU_DEP_1)
	v_dual_add_nc_u32 v7, v5, v7 :: v_dual_sub_nc_u32 v9, v3, v9
	v_lshrrev_b32_e32 v3, s11, v7
	s_wait_kmcnt 0x0
	s_delay_alu instid0(VALU_DEP_2) | instskip(NEXT) | instid1(VALU_DEP_2)
	v_mad_u32 v0, v9, s16, v0
	v_mul_lo_u32 v7, v3, s15
	v_mad_u32 v8, v9, s18, v8
	v_mad_u32 v9, v9, s17, v10
	s_delay_alu instid0(VALU_DEP_3) | instskip(NEXT) | instid1(VALU_DEP_1)
	v_sub_nc_u32_e32 v5, v5, v7
	v_mad_u32 v0, v5, s19, v0
	s_delay_alu instid0(VALU_DEP_4) | instskip(NEXT) | instid1(VALU_DEP_4)
	v_mad_u32 v8, v5, s13, v8
	v_mad_u32 v10, v5, s12, v9
	s_cbranch_scc1 .LBB348_1598
; %bb.1599:
	s_bitcmp1_b32 s5, 0
	s_cselect_b32 s5, -1, 0
	s_delay_alu instid0(SALU_CYCLE_1)
	s_and_b32 vcc_lo, exec_lo, s5
	s_cbranch_vccnz .LBB348_1602
; %bb.1600:
	s_clause 0x1
	s_load_b96 s[12:14], s[0:1], 0x1c
	s_load_b96 s[16:18], s[0:1], 0xdc
	s_wait_kmcnt 0x0
	v_mul_hi_u32 v5, s13, v3
	s_delay_alu instid0(VALU_DEP_1) | instskip(NEXT) | instid1(VALU_DEP_1)
	v_add_nc_u32_e32 v5, v3, v5
	v_lshrrev_b32_e32 v5, s14, v5
	s_delay_alu instid0(VALU_DEP_1) | instskip(NEXT) | instid1(VALU_DEP_1)
	v_mul_lo_u32 v5, v5, s12
	v_sub_nc_u32_e32 v3, v3, v5
	s_delay_alu instid0(VALU_DEP_1)
	v_mad_u32 v0, v3, s16, v0
	v_mad_u32 v10, v3, s17, v10
	v_mad_u32 v8, v3, s18, v8
	s_and_not1_b32 vcc_lo, exec_lo, s4
	s_cbranch_vccz .LBB348_1603
	s_branch .LBB348_1606
.LBB348_1601:
	s_mov_b32 s4, -1
                                        ; implicit-def: $vgpr8
                                        ; implicit-def: $vgpr10
                                        ; implicit-def: $vgpr0
.LBB348_1602:
	s_delay_alu instid0(SALU_CYCLE_1)
	s_and_not1_b32 vcc_lo, exec_lo, s4
	s_cbranch_vccnz .LBB348_1606
.LBB348_1603:
	s_clause 0x1
	s_load_b96 s[4:6], s[2:3], 0x4
	s_load_b96 s[12:14], s[2:3], 0xc4
	s_cmp_lt_u32 s28, 2
	s_wait_loadcnt 0x0
	s_wait_kmcnt 0x0
	v_mul_hi_u32 v0, s5, v1
	s_delay_alu instid0(VALU_DEP_1) | instskip(NEXT) | instid1(VALU_DEP_1)
	v_add_nc_u32_e32 v0, v1, v0
	v_lshrrev_b32_e32 v3, s6, v0
	s_delay_alu instid0(VALU_DEP_1) | instskip(NEXT) | instid1(VALU_DEP_1)
	v_mul_lo_u32 v0, v3, s4
	v_sub_nc_u32_e32 v1, v1, v0
	s_delay_alu instid0(VALU_DEP_1)
	v_mul_lo_u32 v0, v1, s12
	v_mul_lo_u32 v8, v1, s14
	;; [unrolled: 1-line block ×3, first 2 shown]
	s_cbranch_scc1 .LBB348_1606
; %bb.1604:
	s_clause 0x1
	s_load_b96 s[4:6], s[2:3], 0x10
	s_load_b96 s[12:14], s[2:3], 0xd0
	s_wait_kmcnt 0x0
	v_mul_hi_u32 v1, s5, v3
	s_delay_alu instid0(VALU_DEP_1) | instskip(NEXT) | instid1(VALU_DEP_1)
	v_add_nc_u32_e32 v1, v3, v1
	v_lshrrev_b32_e32 v1, s6, v1
	s_delay_alu instid0(VALU_DEP_1) | instskip(NEXT) | instid1(VALU_DEP_1)
	v_mul_lo_u32 v1, v1, s4
	v_sub_nc_u32_e32 v1, v3, v1
	s_delay_alu instid0(VALU_DEP_1)
	v_mad_u32 v0, v1, s12, v0
	v_mad_u32 v10, v1, s13, v10
	;; [unrolled: 1-line block ×3, first 2 shown]
	s_branch .LBB348_1606
.LBB348_1605:
	s_wait_loadcnt 0x0
	v_dual_mov_b32 v8, 0 :: v_dual_mov_b32 v10, 0
	v_mov_b32_e32 v0, 0
	s_and_not1_b32 vcc_lo, exec_lo, s4
	s_cbranch_vccz .LBB348_1603
.LBB348_1606:
	v_mov_b32_e32 v23, 0
	s_load_b128 s[4:7], s[2:3], 0x188
	s_wait_loadcnt 0x0
	global_load_u8 v1, v23, s[2:3] offset:421
	s_wait_kmcnt 0x0
	v_add_nc_u64_e32 v[22:23], s[6:7], v[22:23]
	s_wait_loadcnt 0x0
	v_and_b32_e32 v3, 0xffff, v1
	v_readfirstlane_b32 s11, v1
	s_delay_alu instid0(VALU_DEP_2)
	v_cmp_gt_i32_e32 vcc_lo, 11, v3
	s_cbranch_vccnz .LBB348_1613
; %bb.1607:
	s_and_b32 s0, 0xffff, s11
	s_mov_b32 s12, 0
	s_cmp_gt_i32 s0, 25
	s_cbranch_scc0 .LBB348_1615
; %bb.1608:
	s_cmp_gt_i32 s0, 28
	s_cbranch_scc0 .LBB348_1616
; %bb.1609:
	;; [unrolled: 3-line block ×4, first 2 shown]
	s_cmp_eq_u32 s0, 46
	s_mov_b32 s10, 0
	s_cbranch_scc0 .LBB348_1621
; %bb.1612:
	global_load_b32 v1, v[22:23], off
	s_mov_b32 s1, 0
	s_mov_b32 s13, -1
	s_wait_loadcnt 0x0
	v_lshlrev_b32_e32 v1, 16, v1
	s_delay_alu instid0(VALU_DEP_1)
	v_cvt_u32_f32_e32 v1, v1
	s_branch .LBB348_1623
.LBB348_1613:
	s_mov_b32 s13, 0
	s_mov_b32 s10, s8
                                        ; implicit-def: $vgpr1
	s_cbranch_execnz .LBB348_1681
.LBB348_1614:
	s_and_not1_b32 vcc_lo, exec_lo, s13
	s_cbranch_vccz .LBB348_1726
	s_branch .LBB348_3047
.LBB348_1615:
	s_mov_b32 s13, 0
	s_mov_b32 s1, 0
                                        ; implicit-def: $vgpr1
	s_cbranch_execnz .LBB348_1648
	s_branch .LBB348_1677
.LBB348_1616:
	s_mov_b32 s13, 0
	s_mov_b32 s1, 0
                                        ; implicit-def: $vgpr1
	s_cbranch_execz .LBB348_1647
	s_branch .LBB348_1632
.LBB348_1617:
	s_mov_b32 s13, 0
	s_mov_b32 s1, 0
                                        ; implicit-def: $vgpr1
	s_cbranch_execnz .LBB348_1628
	s_branch .LBB348_1631
.LBB348_1618:
	s_mov_b32 s10, -1
	s_mov_b32 s13, 0
	s_mov_b32 s1, 0
	s_branch .LBB348_1622
.LBB348_1619:
	s_and_not1_saveexec_b32 s10, s10
	s_cbranch_execz .LBB348_1474
.LBB348_1620:
	v_add_f32_e32 v2, 0x46000000, v3
	s_and_not1_b32 s9, s9, exec_lo
	s_delay_alu instid0(VALU_DEP_1) | instskip(NEXT) | instid1(VALU_DEP_1)
	v_and_b32_e32 v2, 0xff, v2
	v_cmp_ne_u32_e32 vcc_lo, 0, v2
	s_and_b32 s11, vcc_lo, exec_lo
	s_delay_alu instid0(SALU_CYCLE_1)
	s_or_b32 s9, s9, s11
	s_or_b32 exec_lo, exec_lo, s10
	v_mov_b32_e32 v4, 0
	s_and_saveexec_b32 s10, s9
	s_cbranch_execnz .LBB348_1475
	s_branch .LBB348_1476
.LBB348_1621:
	s_mov_b32 s1, -1
	s_mov_b32 s13, 0
.LBB348_1622:
                                        ; implicit-def: $vgpr1
.LBB348_1623:
	s_and_b32 vcc_lo, exec_lo, s10
	s_cbranch_vccz .LBB348_1626
; %bb.1624:
	s_cmp_eq_u32 s0, 44
	s_cbranch_scc0 .LBB348_1627
; %bb.1625:
	global_load_u8 v1, v[22:23], off
	s_mov_b32 s1, 0
	s_mov_b32 s13, -1
	s_wait_loadcnt 0x0
	v_lshlrev_b32_e32 v3, 23, v1
	v_cmp_ne_u32_e32 vcc_lo, 0, v1
	s_delay_alu instid0(VALU_DEP_2) | instskip(NEXT) | instid1(VALU_DEP_1)
	v_cvt_u32_f32_e32 v3, v3
	v_cndmask_b32_e32 v1, 0, v3, vcc_lo
.LBB348_1626:
	s_branch .LBB348_1631
.LBB348_1627:
	s_mov_b32 s1, -1
                                        ; implicit-def: $vgpr1
	s_branch .LBB348_1631
.LBB348_1628:
	s_cmp_eq_u32 s0, 29
	s_cbranch_scc0 .LBB348_1630
; %bb.1629:
	global_load_b32 v1, v[22:23], off
	s_mov_b32 s1, 0
	s_mov_b32 s13, -1
	s_branch .LBB348_1631
.LBB348_1630:
	s_mov_b32 s1, -1
                                        ; implicit-def: $vgpr1
.LBB348_1631:
	s_branch .LBB348_1647
.LBB348_1632:
	s_cmp_lt_i32 s0, 27
	s_cbranch_scc1 .LBB348_1635
; %bb.1633:
	s_cmp_gt_i32 s0, 27
	s_cbranch_scc0 .LBB348_1636
; %bb.1634:
	s_wait_loadcnt 0x0
	global_load_b32 v1, v[22:23], off
	s_mov_b32 s10, 0
	s_branch .LBB348_1637
.LBB348_1635:
	s_mov_b32 s10, -1
                                        ; implicit-def: $vgpr1
	s_branch .LBB348_1640
.LBB348_1636:
	s_mov_b32 s10, -1
                                        ; implicit-def: $vgpr1
.LBB348_1637:
	s_delay_alu instid0(SALU_CYCLE_1)
	s_and_not1_b32 vcc_lo, exec_lo, s10
	s_cbranch_vccnz .LBB348_1639
; %bb.1638:
	s_wait_loadcnt 0x0
	global_load_u16 v1, v[22:23], off
.LBB348_1639:
	s_mov_b32 s10, 0
.LBB348_1640:
	s_delay_alu instid0(SALU_CYCLE_1)
	s_and_not1_b32 vcc_lo, exec_lo, s10
	s_cbranch_vccnz .LBB348_1646
; %bb.1641:
	global_load_u8 v3, v[22:23], off
	s_mov_b32 s13, 0
	s_mov_b32 s10, exec_lo
	s_wait_loadcnt 0x0
	v_cmpx_lt_i16_e32 0x7f, v3
	s_xor_b32 s10, exec_lo, s10
	s_cbranch_execz .LBB348_1657
; %bb.1642:
	v_cmp_ne_u16_e32 vcc_lo, 0x80, v3
	s_and_b32 s13, vcc_lo, exec_lo
	s_and_not1_saveexec_b32 s10, s10
	s_cbranch_execnz .LBB348_1658
.LBB348_1643:
	s_or_b32 exec_lo, exec_lo, s10
	v_mov_b32_e32 v1, 0
	s_and_saveexec_b32 s10, s13
	s_cbranch_execz .LBB348_1645
.LBB348_1644:
	v_and_b32_e32 v1, 0xffff, v3
	s_delay_alu instid0(VALU_DEP_1) | instskip(SKIP_1) | instid1(VALU_DEP_2)
	v_and_b32_e32 v5, 7, v1
	v_bfe_u32 v11, v1, 3, 4
	v_clz_i32_u32_e32 v7, v5
	s_delay_alu instid0(VALU_DEP_2) | instskip(NEXT) | instid1(VALU_DEP_2)
	v_cmp_eq_u32_e32 vcc_lo, 0, v11
	v_min_u32_e32 v7, 32, v7
	s_delay_alu instid0(VALU_DEP_1) | instskip(NEXT) | instid1(VALU_DEP_1)
	v_subrev_nc_u32_e32 v9, 28, v7
	v_dual_lshlrev_b32 v1, v9, v1 :: v_dual_sub_nc_u32 v7, 29, v7
	s_delay_alu instid0(VALU_DEP_1) | instskip(NEXT) | instid1(VALU_DEP_1)
	v_dual_lshlrev_b32 v3, 24, v3 :: v_dual_bitop2_b32 v1, 7, v1 bitop3:0x40
	v_dual_cndmask_b32 v1, v5, v1, vcc_lo :: v_dual_cndmask_b32 v7, v11, v7, vcc_lo
	s_delay_alu instid0(VALU_DEP_2) | instskip(NEXT) | instid1(VALU_DEP_2)
	v_and_b32_e32 v3, 0x80000000, v3
	v_lshlrev_b32_e32 v1, 20, v1
	s_delay_alu instid0(VALU_DEP_3) | instskip(NEXT) | instid1(VALU_DEP_1)
	v_lshl_add_u32 v5, v7, 23, 0x3b800000
	v_or3_b32 v1, v3, v5, v1
	s_delay_alu instid0(VALU_DEP_1)
	v_cvt_u32_f32_e32 v1, v1
.LBB348_1645:
	s_or_b32 exec_lo, exec_lo, s10
.LBB348_1646:
	s_mov_b32 s13, -1
.LBB348_1647:
	s_branch .LBB348_1677
.LBB348_1648:
	s_cmp_gt_i32 s0, 22
	s_cbranch_scc0 .LBB348_1656
; %bb.1649:
	s_cmp_lt_i32 s0, 24
	s_cbranch_scc1 .LBB348_1659
; %bb.1650:
	s_cmp_gt_i32 s0, 24
	s_cbranch_scc0 .LBB348_1660
; %bb.1651:
	global_load_u8 v3, v[22:23], off
	s_mov_b32 s10, exec_lo
	s_wait_loadcnt 0x0
	v_cmpx_lt_i16_e32 0x7f, v3
	s_xor_b32 s10, exec_lo, s10
	s_cbranch_execz .LBB348_1671
; %bb.1652:
	v_cmp_ne_u16_e32 vcc_lo, 0x80, v3
	s_and_b32 s12, vcc_lo, exec_lo
	s_and_not1_saveexec_b32 s10, s10
	s_cbranch_execnz .LBB348_1672
.LBB348_1653:
	s_or_b32 exec_lo, exec_lo, s10
	v_mov_b32_e32 v1, 0
	s_and_saveexec_b32 s10, s12
	s_cbranch_execz .LBB348_1655
.LBB348_1654:
	v_and_b32_e32 v1, 0xffff, v3
	s_delay_alu instid0(VALU_DEP_1) | instskip(SKIP_1) | instid1(VALU_DEP_2)
	v_and_b32_e32 v5, 3, v1
	v_bfe_u32 v11, v1, 2, 5
	v_clz_i32_u32_e32 v7, v5
	s_delay_alu instid0(VALU_DEP_2) | instskip(NEXT) | instid1(VALU_DEP_2)
	v_cmp_eq_u32_e32 vcc_lo, 0, v11
	v_min_u32_e32 v7, 32, v7
	s_delay_alu instid0(VALU_DEP_1) | instskip(NEXT) | instid1(VALU_DEP_1)
	v_subrev_nc_u32_e32 v9, 29, v7
	v_dual_lshlrev_b32 v1, v9, v1 :: v_dual_sub_nc_u32 v7, 30, v7
	s_delay_alu instid0(VALU_DEP_1) | instskip(NEXT) | instid1(VALU_DEP_1)
	v_dual_lshlrev_b32 v3, 24, v3 :: v_dual_bitop2_b32 v1, 3, v1 bitop3:0x40
	v_dual_cndmask_b32 v1, v5, v1, vcc_lo :: v_dual_cndmask_b32 v7, v11, v7, vcc_lo
	s_delay_alu instid0(VALU_DEP_2) | instskip(NEXT) | instid1(VALU_DEP_2)
	v_and_b32_e32 v3, 0x80000000, v3
	v_lshlrev_b32_e32 v1, 21, v1
	s_delay_alu instid0(VALU_DEP_3) | instskip(NEXT) | instid1(VALU_DEP_1)
	v_lshl_add_u32 v5, v7, 23, 0x37800000
	v_or3_b32 v1, v3, v5, v1
	s_delay_alu instid0(VALU_DEP_1)
	v_cvt_u32_f32_e32 v1, v1
.LBB348_1655:
	s_or_b32 exec_lo, exec_lo, s10
	s_mov_b32 s10, 0
	s_branch .LBB348_1661
.LBB348_1656:
                                        ; implicit-def: $vgpr1
	s_mov_b32 s12, 0
	s_branch .LBB348_1667
.LBB348_1657:
	s_and_not1_saveexec_b32 s10, s10
	s_cbranch_execz .LBB348_1643
.LBB348_1658:
	v_cmp_ne_u16_e32 vcc_lo, 0, v3
	s_and_not1_b32 s13, s13, exec_lo
	s_and_b32 s14, vcc_lo, exec_lo
	s_delay_alu instid0(SALU_CYCLE_1)
	s_or_b32 s13, s13, s14
	s_or_b32 exec_lo, exec_lo, s10
	v_mov_b32_e32 v1, 0
	s_and_saveexec_b32 s10, s13
	s_cbranch_execnz .LBB348_1644
	s_branch .LBB348_1645
.LBB348_1659:
	s_mov_b32 s10, -1
                                        ; implicit-def: $vgpr1
	s_branch .LBB348_1664
.LBB348_1660:
	s_mov_b32 s10, -1
                                        ; implicit-def: $vgpr1
.LBB348_1661:
	s_delay_alu instid0(SALU_CYCLE_1)
	s_and_b32 vcc_lo, exec_lo, s10
	s_cbranch_vccz .LBB348_1663
; %bb.1662:
	s_wait_loadcnt 0x0
	global_load_u8 v1, v[22:23], off
	s_wait_loadcnt 0x0
	v_lshlrev_b32_e32 v1, 24, v1
	s_delay_alu instid0(VALU_DEP_1) | instskip(NEXT) | instid1(VALU_DEP_1)
	v_and_b32_e32 v3, 0x7f000000, v1
	v_clz_i32_u32_e32 v5, v3
	v_add_nc_u32_e32 v9, 0x1000000, v3
	v_cmp_ne_u32_e32 vcc_lo, 0, v3
	s_delay_alu instid0(VALU_DEP_3) | instskip(NEXT) | instid1(VALU_DEP_1)
	v_min_u32_e32 v5, 32, v5
	v_sub_nc_u32_e64 v5, v5, 4 clamp
	s_delay_alu instid0(VALU_DEP_1) | instskip(NEXT) | instid1(VALU_DEP_1)
	v_dual_lshlrev_b32 v7, v5, v3 :: v_dual_lshlrev_b32 v5, 23, v5
	v_lshrrev_b32_e32 v7, 4, v7
	s_delay_alu instid0(VALU_DEP_1) | instskip(SKIP_1) | instid1(VALU_DEP_2)
	v_sub_nc_u32_e32 v5, v7, v5
	v_ashrrev_i32_e32 v7, 8, v9
	v_add_nc_u32_e32 v5, 0x3c000000, v5
	s_delay_alu instid0(VALU_DEP_1) | instskip(NEXT) | instid1(VALU_DEP_1)
	v_and_or_b32 v5, 0x7f800000, v7, v5
	v_cndmask_b32_e32 v3, 0, v5, vcc_lo
	s_delay_alu instid0(VALU_DEP_1) | instskip(NEXT) | instid1(VALU_DEP_1)
	v_and_or_b32 v1, 0x80000000, v1, v3
	v_cvt_u32_f32_e32 v1, v1
.LBB348_1663:
	s_mov_b32 s10, 0
.LBB348_1664:
	s_delay_alu instid0(SALU_CYCLE_1)
	s_and_not1_b32 vcc_lo, exec_lo, s10
	s_cbranch_vccnz .LBB348_1666
; %bb.1665:
	s_wait_loadcnt 0x0
	global_load_u8 v1, v[22:23], off
	s_wait_loadcnt 0x0
	v_lshlrev_b32_e32 v3, 25, v1
	v_lshlrev_b16 v1, 8, v1
	s_delay_alu instid0(VALU_DEP_1) | instskip(SKIP_1) | instid1(VALU_DEP_2)
	v_and_or_b32 v7, 0x7f00, v1, 0.5
	v_bfe_i32 v1, v1, 0, 16
	v_add_f32_e32 v7, -0.5, v7
	v_lshrrev_b32_e32 v5, 4, v3
	v_cmp_gt_u32_e32 vcc_lo, 0x8000000, v3
	s_delay_alu instid0(VALU_DEP_2) | instskip(NEXT) | instid1(VALU_DEP_1)
	v_or_b32_e32 v5, 0x70000000, v5
	v_mul_f32_e32 v5, 0x7800000, v5
	s_delay_alu instid0(VALU_DEP_1) | instskip(NEXT) | instid1(VALU_DEP_1)
	v_cndmask_b32_e32 v3, v5, v7, vcc_lo
	v_and_or_b32 v1, 0x80000000, v1, v3
	s_delay_alu instid0(VALU_DEP_1)
	v_cvt_u32_f32_e32 v1, v1
.LBB348_1666:
	s_mov_b32 s13, -1
	s_mov_b32 s12, 0
	s_cbranch_execnz .LBB348_1677
.LBB348_1667:
	s_cmp_gt_i32 s0, 14
	s_cbranch_scc0 .LBB348_1670
; %bb.1668:
	s_cmp_eq_u32 s0, 15
	s_cbranch_scc0 .LBB348_1673
; %bb.1669:
	s_wait_loadcnt 0x0
	global_load_u16 v1, v[22:23], off
	s_mov_b32 s1, 0
	s_mov_b32 s13, -1
	s_wait_loadcnt 0x0
	v_lshlrev_b32_e32 v1, 16, v1
	s_delay_alu instid0(VALU_DEP_1)
	v_cvt_u32_f32_e32 v1, v1
	s_branch .LBB348_1674
.LBB348_1670:
	s_mov_b32 s10, -1
                                        ; implicit-def: $vgpr1
	s_branch .LBB348_1675
.LBB348_1671:
	s_and_not1_saveexec_b32 s10, s10
	s_cbranch_execz .LBB348_1653
.LBB348_1672:
	v_cmp_ne_u16_e32 vcc_lo, 0, v3
	s_and_not1_b32 s12, s12, exec_lo
	s_and_b32 s13, vcc_lo, exec_lo
	s_delay_alu instid0(SALU_CYCLE_1)
	s_or_b32 s12, s12, s13
	s_or_b32 exec_lo, exec_lo, s10
	v_mov_b32_e32 v1, 0
	s_and_saveexec_b32 s10, s12
	s_cbranch_execnz .LBB348_1654
	s_branch .LBB348_1655
.LBB348_1673:
	s_mov_b32 s1, -1
                                        ; implicit-def: $vgpr1
.LBB348_1674:
	s_mov_b32 s10, 0
.LBB348_1675:
	s_delay_alu instid0(SALU_CYCLE_1)
	s_and_b32 vcc_lo, exec_lo, s10
	s_cbranch_vccz .LBB348_1677
; %bb.1676:
	s_cmp_lg_u32 s0, 11
	s_mov_b32 s12, -1
	s_cselect_b32 s1, -1, 0
.LBB348_1677:
	s_delay_alu instid0(SALU_CYCLE_1)
	s_and_b32 vcc_lo, exec_lo, s1
	s_mov_b32 s10, s8
	s_cbranch_vccnz .LBB348_1738
; %bb.1678:
	s_and_not1_b32 vcc_lo, exec_lo, s12
	s_cbranch_vccnz .LBB348_1680
.LBB348_1679:
	s_wait_loadcnt 0x0
	global_load_u8 v1, v[22:23], off
	s_mov_b32 s13, -1
	s_wait_loadcnt 0x0
	v_cmp_ne_u16_e32 vcc_lo, 0, v1
	v_cndmask_b32_e64 v1, 0, 1, vcc_lo
.LBB348_1680:
	s_branch .LBB348_1614
.LBB348_1681:
	s_and_b32 s0, 0xffff, s11
	s_delay_alu instid0(SALU_CYCLE_1)
	s_cmp_lt_i32 s0, 5
	s_cbranch_scc1 .LBB348_1686
; %bb.1682:
	s_cmp_lt_i32 s0, 8
	s_cbranch_scc1 .LBB348_1687
; %bb.1683:
	;; [unrolled: 3-line block ×3, first 2 shown]
	s_cmp_gt_i32 s0, 9
	s_cbranch_scc0 .LBB348_1689
; %bb.1685:
	global_load_b64 v[24:25], v[22:23], off
	s_mov_b32 s1, 0
	s_wait_loadcnt 0x0
	v_cvt_u32_f64_e32 v1, v[24:25]
	s_branch .LBB348_1690
.LBB348_1686:
                                        ; implicit-def: $vgpr1
	s_branch .LBB348_1707
.LBB348_1687:
                                        ; implicit-def: $vgpr1
	s_branch .LBB348_1696
.LBB348_1688:
	s_mov_b32 s1, -1
                                        ; implicit-def: $vgpr1
	s_branch .LBB348_1693
.LBB348_1689:
	s_mov_b32 s1, -1
                                        ; implicit-def: $vgpr1
.LBB348_1690:
	s_delay_alu instid0(SALU_CYCLE_1)
	s_and_not1_b32 vcc_lo, exec_lo, s1
	s_cbranch_vccnz .LBB348_1692
; %bb.1691:
	s_wait_loadcnt 0x0
	global_load_b32 v1, v[22:23], off
	s_wait_loadcnt 0x0
	v_cvt_u32_f32_e32 v1, v1
.LBB348_1692:
	s_mov_b32 s1, 0
.LBB348_1693:
	s_delay_alu instid0(SALU_CYCLE_1)
	s_and_not1_b32 vcc_lo, exec_lo, s1
	s_cbranch_vccnz .LBB348_1695
; %bb.1694:
	s_wait_loadcnt 0x0
	global_load_b32 v1, v[22:23], off
	s_wait_loadcnt 0x0
	v_cvt_f32_f16_e32 v1, v1
	s_delay_alu instid0(VALU_DEP_1)
	v_cvt_u32_f32_e32 v1, v1
.LBB348_1695:
	s_cbranch_execnz .LBB348_1706
.LBB348_1696:
	s_cmp_lt_i32 s0, 6
	s_cbranch_scc1 .LBB348_1699
; %bb.1697:
	s_cmp_gt_i32 s0, 6
	s_cbranch_scc0 .LBB348_1700
; %bb.1698:
	global_load_b64 v[24:25], v[22:23], off
	s_mov_b32 s1, 0
	s_wait_loadcnt 0x0
	v_cvt_u32_f64_e32 v1, v[24:25]
	s_branch .LBB348_1701
.LBB348_1699:
	s_mov_b32 s1, -1
                                        ; implicit-def: $vgpr1
	s_branch .LBB348_1704
.LBB348_1700:
	s_mov_b32 s1, -1
                                        ; implicit-def: $vgpr1
.LBB348_1701:
	s_delay_alu instid0(SALU_CYCLE_1)
	s_and_not1_b32 vcc_lo, exec_lo, s1
	s_cbranch_vccnz .LBB348_1703
; %bb.1702:
	s_wait_loadcnt 0x0
	global_load_b32 v1, v[22:23], off
	s_wait_loadcnt 0x0
	v_cvt_u32_f32_e32 v1, v1
.LBB348_1703:
	s_mov_b32 s1, 0
.LBB348_1704:
	s_delay_alu instid0(SALU_CYCLE_1)
	s_and_not1_b32 vcc_lo, exec_lo, s1
	s_cbranch_vccnz .LBB348_1706
; %bb.1705:
	s_wait_loadcnt 0x0
	global_load_u16 v1, v[22:23], off
	s_wait_loadcnt 0x0
	v_cvt_f32_f16_e32 v1, v1
	s_delay_alu instid0(VALU_DEP_1)
	v_cvt_u32_f32_e32 v1, v1
.LBB348_1706:
	s_cbranch_execnz .LBB348_1725
.LBB348_1707:
	s_cmp_lt_i32 s0, 2
	s_cbranch_scc1 .LBB348_1711
; %bb.1708:
	s_cmp_lt_i32 s0, 3
	s_cbranch_scc1 .LBB348_1712
; %bb.1709:
	s_cmp_gt_i32 s0, 3
	s_cbranch_scc0 .LBB348_1713
; %bb.1710:
	s_wait_loadcnt 0x0
	global_load_b32 v1, v[22:23], off
	s_mov_b32 s1, 0
	s_branch .LBB348_1714
.LBB348_1711:
                                        ; implicit-def: $vgpr1
	s_branch .LBB348_1720
.LBB348_1712:
	s_mov_b32 s1, -1
                                        ; implicit-def: $vgpr1
	s_branch .LBB348_1717
.LBB348_1713:
	s_mov_b32 s1, -1
                                        ; implicit-def: $vgpr1
.LBB348_1714:
	s_delay_alu instid0(SALU_CYCLE_1)
	s_and_not1_b32 vcc_lo, exec_lo, s1
	s_cbranch_vccnz .LBB348_1716
; %bb.1715:
	s_wait_loadcnt 0x0
	global_load_b32 v1, v[22:23], off
.LBB348_1716:
	s_mov_b32 s1, 0
.LBB348_1717:
	s_delay_alu instid0(SALU_CYCLE_1)
	s_and_not1_b32 vcc_lo, exec_lo, s1
	s_cbranch_vccnz .LBB348_1719
; %bb.1718:
	s_wait_loadcnt 0x0
	global_load_i16 v1, v[22:23], off
.LBB348_1719:
	s_cbranch_execnz .LBB348_1725
.LBB348_1720:
	s_cmp_gt_i32 s0, 0
	s_mov_b32 s0, 0
	s_cbranch_scc0 .LBB348_1722
; %bb.1721:
	s_wait_loadcnt 0x0
	global_load_i8 v1, v[22:23], off
	s_branch .LBB348_1723
.LBB348_1722:
	s_mov_b32 s0, -1
                                        ; implicit-def: $vgpr1
.LBB348_1723:
	s_delay_alu instid0(SALU_CYCLE_1)
	s_and_not1_b32 vcc_lo, exec_lo, s0
	s_cbranch_vccnz .LBB348_1725
; %bb.1724:
	s_wait_loadcnt 0x0
	global_load_u8 v1, v[22:23], off
.LBB348_1725:
.LBB348_1726:
	v_mov_b32_e32 v21, 0
	s_load_b64 s[0:1], s[2:3], 0x198
	global_load_u8 v3, v21, s[2:3] offset:422
	s_wait_kmcnt 0x0
	v_add_nc_u64_e32 v[20:21], s[0:1], v[20:21]
	s_wait_loadcnt 0x0
	v_and_b32_e32 v5, 0xffff, v3
	v_readfirstlane_b32 s12, v3
	s_delay_alu instid0(VALU_DEP_2)
	v_cmp_gt_i32_e32 vcc_lo, 11, v5
	s_cbranch_vccnz .LBB348_1733
; %bb.1727:
	s_and_b32 s13, 0xffff, s12
	s_mov_b32 s15, 0
	s_cmp_gt_i32 s13, 25
	s_cbranch_scc0 .LBB348_1735
; %bb.1728:
	s_cmp_gt_i32 s13, 28
	s_cbranch_scc0 .LBB348_1736
; %bb.1729:
	;; [unrolled: 3-line block ×4, first 2 shown]
	s_cmp_eq_u32 s13, 46
	s_mov_b32 s17, 0
	s_cbranch_scc0 .LBB348_1742
; %bb.1732:
	global_load_b32 v3, v[20:21], off
	s_mov_b32 s14, 0
	s_mov_b32 s16, -1
	s_wait_loadcnt 0x0
	v_lshlrev_b32_e32 v3, 16, v3
	s_delay_alu instid0(VALU_DEP_1)
	v_cvt_u32_f32_e32 v5, v3
	s_branch .LBB348_1744
.LBB348_1733:
	s_mov_b32 s16, 0
                                        ; implicit-def: $vgpr5
	s_cbranch_execnz .LBB348_1805
.LBB348_1734:
	s_and_not1_b32 vcc_lo, exec_lo, s16
	s_cbranch_vccnz .LBB348_3047
	s_branch .LBB348_1852
.LBB348_1735:
	s_mov_b32 s16, 0
	s_mov_b32 s14, 0
                                        ; implicit-def: $vgpr5
	s_cbranch_execnz .LBB348_1771
	s_branch .LBB348_1801
.LBB348_1736:
	s_mov_b32 s17, -1
	s_mov_b32 s16, 0
	s_mov_b32 s14, 0
                                        ; implicit-def: $vgpr5
	s_branch .LBB348_1754
.LBB348_1737:
	s_mov_b32 s17, -1
	s_mov_b32 s16, 0
	s_mov_b32 s14, 0
                                        ; implicit-def: $vgpr5
	s_branch .LBB348_1749
.LBB348_1738:
	s_or_b32 s10, s8, exec_lo
	s_trap 2
	s_cbranch_execz .LBB348_1679
	s_branch .LBB348_1680
.LBB348_1739:
	s_mov_b32 s17, -1
	s_mov_b32 s16, 0
	s_mov_b32 s14, 0
	s_branch .LBB348_1743
.LBB348_1740:
	s_and_not1_saveexec_b32 s11, s11
	s_cbranch_execz .LBB348_1486
.LBB348_1741:
	v_add_f32_e32 v2, 0x42800000, v3
	s_and_not1_b32 s10, s10, exec_lo
	s_delay_alu instid0(VALU_DEP_1) | instskip(NEXT) | instid1(VALU_DEP_1)
	v_and_b32_e32 v2, 0xff, v2
	v_cmp_ne_u32_e32 vcc_lo, 0, v2
	s_and_b32 s12, vcc_lo, exec_lo
	s_delay_alu instid0(SALU_CYCLE_1)
	s_or_b32 s10, s10, s12
	s_or_b32 exec_lo, exec_lo, s11
	v_mov_b32_e32 v4, 0
	s_and_saveexec_b32 s11, s10
	s_cbranch_execnz .LBB348_1487
	s_branch .LBB348_1488
.LBB348_1742:
	s_mov_b32 s14, -1
	s_mov_b32 s16, 0
.LBB348_1743:
                                        ; implicit-def: $vgpr5
.LBB348_1744:
	s_and_b32 vcc_lo, exec_lo, s17
	s_cbranch_vccz .LBB348_1748
; %bb.1745:
	s_cmp_eq_u32 s13, 44
	s_cbranch_scc0 .LBB348_1747
; %bb.1746:
	global_load_u8 v3, v[20:21], off
	s_mov_b32 s14, 0
	s_mov_b32 s16, -1
	s_wait_loadcnt 0x0
	v_lshlrev_b32_e32 v5, 23, v3
	v_cmp_ne_u32_e32 vcc_lo, 0, v3
	s_delay_alu instid0(VALU_DEP_2) | instskip(NEXT) | instid1(VALU_DEP_1)
	v_cvt_u32_f32_e32 v5, v5
	v_cndmask_b32_e32 v5, 0, v5, vcc_lo
	s_branch .LBB348_1748
.LBB348_1747:
	s_mov_b32 s14, -1
                                        ; implicit-def: $vgpr5
.LBB348_1748:
	s_mov_b32 s17, 0
.LBB348_1749:
	s_delay_alu instid0(SALU_CYCLE_1)
	s_and_b32 vcc_lo, exec_lo, s17
	s_cbranch_vccz .LBB348_1753
; %bb.1750:
	s_cmp_eq_u32 s13, 29
	s_cbranch_scc0 .LBB348_1752
; %bb.1751:
	global_load_b32 v5, v[20:21], off
	s_mov_b32 s14, 0
	s_mov_b32 s16, -1
	s_branch .LBB348_1753
.LBB348_1752:
	s_mov_b32 s14, -1
                                        ; implicit-def: $vgpr5
.LBB348_1753:
	s_mov_b32 s17, 0
.LBB348_1754:
	s_delay_alu instid0(SALU_CYCLE_1)
	s_and_b32 vcc_lo, exec_lo, s17
	s_cbranch_vccz .LBB348_1770
; %bb.1755:
	s_cmp_lt_i32 s13, 27
	s_cbranch_scc1 .LBB348_1758
; %bb.1756:
	s_cmp_gt_i32 s13, 27
	s_cbranch_scc0 .LBB348_1759
; %bb.1757:
	s_wait_loadcnt 0x0
	global_load_b32 v5, v[20:21], off
	s_mov_b32 s16, 0
	s_branch .LBB348_1760
.LBB348_1758:
	s_mov_b32 s16, -1
                                        ; implicit-def: $vgpr5
	s_branch .LBB348_1763
.LBB348_1759:
	s_mov_b32 s16, -1
                                        ; implicit-def: $vgpr5
.LBB348_1760:
	s_delay_alu instid0(SALU_CYCLE_1)
	s_and_not1_b32 vcc_lo, exec_lo, s16
	s_cbranch_vccnz .LBB348_1762
; %bb.1761:
	s_wait_loadcnt 0x0
	global_load_u16 v5, v[20:21], off
.LBB348_1762:
	s_mov_b32 s16, 0
.LBB348_1763:
	s_delay_alu instid0(SALU_CYCLE_1)
	s_and_not1_b32 vcc_lo, exec_lo, s16
	s_cbranch_vccnz .LBB348_1769
; %bb.1764:
	global_load_u8 v3, v[20:21], off
	s_mov_b32 s17, 0
	s_mov_b32 s16, exec_lo
	s_wait_loadcnt 0x0
	v_cmpx_lt_i16_e32 0x7f, v3
	s_xor_b32 s16, exec_lo, s16
	s_cbranch_execz .LBB348_1780
; %bb.1765:
	v_cmp_ne_u16_e32 vcc_lo, 0x80, v3
	s_and_b32 s17, vcc_lo, exec_lo
	s_and_not1_saveexec_b32 s16, s16
	s_cbranch_execnz .LBB348_1781
.LBB348_1766:
	s_or_b32 exec_lo, exec_lo, s16
	v_mov_b32_e32 v5, 0
	s_and_saveexec_b32 s16, s17
	s_cbranch_execz .LBB348_1768
.LBB348_1767:
	v_and_b32_e32 v5, 0xffff, v3
	s_delay_alu instid0(VALU_DEP_1) | instskip(SKIP_1) | instid1(VALU_DEP_2)
	v_dual_lshlrev_b32 v3, 24, v3 :: v_dual_bitop2_b32 v7, 7, v5 bitop3:0x40
	v_bfe_u32 v13, v5, 3, 4
	v_and_b32_e32 v3, 0x80000000, v3
	s_delay_alu instid0(VALU_DEP_3) | instskip(NEXT) | instid1(VALU_DEP_3)
	v_clz_i32_u32_e32 v9, v7
	v_cmp_eq_u32_e32 vcc_lo, 0, v13
	s_delay_alu instid0(VALU_DEP_2) | instskip(NEXT) | instid1(VALU_DEP_1)
	v_min_u32_e32 v9, 32, v9
	v_subrev_nc_u32_e32 v11, 28, v9
	v_sub_nc_u32_e32 v9, 29, v9
	s_delay_alu instid0(VALU_DEP_2) | instskip(NEXT) | instid1(VALU_DEP_2)
	v_lshlrev_b32_e32 v5, v11, v5
	v_cndmask_b32_e32 v9, v13, v9, vcc_lo
	s_delay_alu instid0(VALU_DEP_2) | instskip(NEXT) | instid1(VALU_DEP_1)
	v_and_b32_e32 v5, 7, v5
	v_cndmask_b32_e32 v5, v7, v5, vcc_lo
	s_delay_alu instid0(VALU_DEP_3) | instskip(NEXT) | instid1(VALU_DEP_2)
	v_lshl_add_u32 v7, v9, 23, 0x3b800000
	v_lshlrev_b32_e32 v5, 20, v5
	s_delay_alu instid0(VALU_DEP_1) | instskip(NEXT) | instid1(VALU_DEP_1)
	v_or3_b32 v3, v3, v7, v5
	v_cvt_u32_f32_e32 v5, v3
.LBB348_1768:
	s_or_b32 exec_lo, exec_lo, s16
.LBB348_1769:
	s_mov_b32 s16, -1
.LBB348_1770:
	s_branch .LBB348_1801
.LBB348_1771:
	s_cmp_gt_i32 s13, 22
	s_cbranch_scc0 .LBB348_1779
; %bb.1772:
	s_cmp_lt_i32 s13, 24
	s_cbranch_scc1 .LBB348_1782
; %bb.1773:
	s_cmp_gt_i32 s13, 24
	s_cbranch_scc0 .LBB348_1783
; %bb.1774:
	global_load_u8 v3, v[20:21], off
	s_mov_b32 s16, 0
	s_mov_b32 s15, exec_lo
	s_wait_loadcnt 0x0
	v_cmpx_lt_i16_e32 0x7f, v3
	s_xor_b32 s15, exec_lo, s15
	s_cbranch_execz .LBB348_1795
; %bb.1775:
	v_cmp_ne_u16_e32 vcc_lo, 0x80, v3
	s_and_b32 s16, vcc_lo, exec_lo
	s_and_not1_saveexec_b32 s15, s15
	s_cbranch_execnz .LBB348_1796
.LBB348_1776:
	s_or_b32 exec_lo, exec_lo, s15
	v_mov_b32_e32 v5, 0
	s_and_saveexec_b32 s15, s16
	s_cbranch_execz .LBB348_1778
.LBB348_1777:
	v_and_b32_e32 v5, 0xffff, v3
	s_delay_alu instid0(VALU_DEP_1) | instskip(SKIP_1) | instid1(VALU_DEP_2)
	v_dual_lshlrev_b32 v3, 24, v3 :: v_dual_bitop2_b32 v7, 3, v5 bitop3:0x40
	v_bfe_u32 v13, v5, 2, 5
	v_and_b32_e32 v3, 0x80000000, v3
	s_delay_alu instid0(VALU_DEP_3) | instskip(NEXT) | instid1(VALU_DEP_3)
	v_clz_i32_u32_e32 v9, v7
	v_cmp_eq_u32_e32 vcc_lo, 0, v13
	s_delay_alu instid0(VALU_DEP_2) | instskip(NEXT) | instid1(VALU_DEP_1)
	v_min_u32_e32 v9, 32, v9
	v_subrev_nc_u32_e32 v11, 29, v9
	v_sub_nc_u32_e32 v9, 30, v9
	s_delay_alu instid0(VALU_DEP_2) | instskip(NEXT) | instid1(VALU_DEP_2)
	v_lshlrev_b32_e32 v5, v11, v5
	v_cndmask_b32_e32 v9, v13, v9, vcc_lo
	s_delay_alu instid0(VALU_DEP_2) | instskip(NEXT) | instid1(VALU_DEP_1)
	v_and_b32_e32 v5, 3, v5
	v_cndmask_b32_e32 v5, v7, v5, vcc_lo
	s_delay_alu instid0(VALU_DEP_3) | instskip(NEXT) | instid1(VALU_DEP_2)
	v_lshl_add_u32 v7, v9, 23, 0x37800000
	v_lshlrev_b32_e32 v5, 21, v5
	s_delay_alu instid0(VALU_DEP_1) | instskip(NEXT) | instid1(VALU_DEP_1)
	v_or3_b32 v3, v3, v7, v5
	v_cvt_u32_f32_e32 v5, v3
.LBB348_1778:
	s_or_b32 exec_lo, exec_lo, s15
	s_mov_b32 s15, 0
	s_branch .LBB348_1784
.LBB348_1779:
	s_mov_b32 s15, -1
                                        ; implicit-def: $vgpr5
	s_branch .LBB348_1790
.LBB348_1780:
	s_and_not1_saveexec_b32 s16, s16
	s_cbranch_execz .LBB348_1766
.LBB348_1781:
	v_cmp_ne_u16_e32 vcc_lo, 0, v3
	s_and_not1_b32 s17, s17, exec_lo
	s_and_b32 s18, vcc_lo, exec_lo
	s_delay_alu instid0(SALU_CYCLE_1)
	s_or_b32 s17, s17, s18
	s_or_b32 exec_lo, exec_lo, s16
	v_mov_b32_e32 v5, 0
	s_and_saveexec_b32 s16, s17
	s_cbranch_execnz .LBB348_1767
	s_branch .LBB348_1768
.LBB348_1782:
	s_mov_b32 s15, -1
                                        ; implicit-def: $vgpr5
	s_branch .LBB348_1787
.LBB348_1783:
	s_mov_b32 s15, -1
                                        ; implicit-def: $vgpr5
.LBB348_1784:
	s_delay_alu instid0(SALU_CYCLE_1)
	s_and_b32 vcc_lo, exec_lo, s15
	s_cbranch_vccz .LBB348_1786
; %bb.1785:
	global_load_u8 v3, v[20:21], off
	s_wait_loadcnt 0x0
	v_lshlrev_b32_e32 v3, 24, v3
	s_delay_alu instid0(VALU_DEP_1) | instskip(NEXT) | instid1(VALU_DEP_1)
	v_and_b32_e32 v5, 0x7f000000, v3
	v_clz_i32_u32_e32 v7, v5
	v_add_nc_u32_e32 v11, 0x1000000, v5
	v_cmp_ne_u32_e32 vcc_lo, 0, v5
	s_delay_alu instid0(VALU_DEP_3) | instskip(NEXT) | instid1(VALU_DEP_1)
	v_min_u32_e32 v7, 32, v7
	v_sub_nc_u32_e64 v7, v7, 4 clamp
	s_delay_alu instid0(VALU_DEP_1) | instskip(NEXT) | instid1(VALU_DEP_1)
	v_dual_lshlrev_b32 v9, v7, v5 :: v_dual_lshlrev_b32 v7, 23, v7
	v_lshrrev_b32_e32 v9, 4, v9
	s_delay_alu instid0(VALU_DEP_1) | instskip(SKIP_1) | instid1(VALU_DEP_2)
	v_sub_nc_u32_e32 v7, v9, v7
	v_ashrrev_i32_e32 v9, 8, v11
	v_add_nc_u32_e32 v7, 0x3c000000, v7
	s_delay_alu instid0(VALU_DEP_1) | instskip(NEXT) | instid1(VALU_DEP_1)
	v_and_or_b32 v7, 0x7f800000, v9, v7
	v_cndmask_b32_e32 v5, 0, v7, vcc_lo
	s_delay_alu instid0(VALU_DEP_1) | instskip(NEXT) | instid1(VALU_DEP_1)
	v_and_or_b32 v3, 0x80000000, v3, v5
	v_cvt_u32_f32_e32 v5, v3
.LBB348_1786:
	s_mov_b32 s15, 0
.LBB348_1787:
	s_delay_alu instid0(SALU_CYCLE_1)
	s_and_not1_b32 vcc_lo, exec_lo, s15
	s_cbranch_vccnz .LBB348_1789
; %bb.1788:
	global_load_u8 v3, v[20:21], off
	s_wait_loadcnt 0x0
	v_lshlrev_b32_e32 v5, 25, v3
	v_lshlrev_b16 v3, 8, v3
	s_delay_alu instid0(VALU_DEP_1) | instskip(SKIP_1) | instid1(VALU_DEP_2)
	v_and_or_b32 v9, 0x7f00, v3, 0.5
	v_bfe_i32 v3, v3, 0, 16
	v_add_f32_e32 v9, -0.5, v9
	v_lshrrev_b32_e32 v7, 4, v5
	v_cmp_gt_u32_e32 vcc_lo, 0x8000000, v5
	s_delay_alu instid0(VALU_DEP_2) | instskip(NEXT) | instid1(VALU_DEP_1)
	v_or_b32_e32 v7, 0x70000000, v7
	v_mul_f32_e32 v7, 0x7800000, v7
	s_delay_alu instid0(VALU_DEP_1) | instskip(NEXT) | instid1(VALU_DEP_1)
	v_cndmask_b32_e32 v5, v7, v9, vcc_lo
	v_and_or_b32 v3, 0x80000000, v3, v5
	s_delay_alu instid0(VALU_DEP_1)
	v_cvt_u32_f32_e32 v5, v3
.LBB348_1789:
	s_mov_b32 s15, 0
	s_mov_b32 s16, -1
.LBB348_1790:
	s_and_not1_b32 vcc_lo, exec_lo, s15
	s_mov_b32 s15, 0
	s_cbranch_vccnz .LBB348_1801
; %bb.1791:
	s_cmp_gt_i32 s13, 14
	s_cbranch_scc0 .LBB348_1794
; %bb.1792:
	s_cmp_eq_u32 s13, 15
	s_cbranch_scc0 .LBB348_1797
; %bb.1793:
	global_load_u16 v3, v[20:21], off
	s_mov_b32 s14, 0
	s_mov_b32 s16, -1
	s_wait_loadcnt 0x0
	v_lshlrev_b32_e32 v3, 16, v3
	s_delay_alu instid0(VALU_DEP_1)
	v_cvt_u32_f32_e32 v5, v3
	s_branch .LBB348_1799
.LBB348_1794:
	s_mov_b32 s15, -1
	s_branch .LBB348_1798
.LBB348_1795:
	s_and_not1_saveexec_b32 s15, s15
	s_cbranch_execz .LBB348_1776
.LBB348_1796:
	v_cmp_ne_u16_e32 vcc_lo, 0, v3
	s_and_not1_b32 s16, s16, exec_lo
	s_and_b32 s17, vcc_lo, exec_lo
	s_delay_alu instid0(SALU_CYCLE_1)
	s_or_b32 s16, s16, s17
	s_or_b32 exec_lo, exec_lo, s15
	v_mov_b32_e32 v5, 0
	s_and_saveexec_b32 s15, s16
	s_cbranch_execnz .LBB348_1777
	s_branch .LBB348_1778
.LBB348_1797:
	s_mov_b32 s14, -1
.LBB348_1798:
                                        ; implicit-def: $vgpr5
.LBB348_1799:
	s_and_b32 vcc_lo, exec_lo, s15
	s_mov_b32 s15, 0
	s_cbranch_vccz .LBB348_1801
; %bb.1800:
	s_cmp_lg_u32 s13, 11
	s_mov_b32 s15, -1
	s_cselect_b32 s14, -1, 0
.LBB348_1801:
	s_delay_alu instid0(SALU_CYCLE_1)
	s_and_b32 vcc_lo, exec_lo, s14
	s_cbranch_vccnz .LBB348_1864
; %bb.1802:
	s_and_not1_b32 vcc_lo, exec_lo, s15
	s_cbranch_vccnz .LBB348_1804
.LBB348_1803:
	global_load_u8 v3, v[20:21], off
	s_mov_b32 s16, -1
	s_wait_loadcnt 0x0
	v_cmp_ne_u16_e32 vcc_lo, 0, v3
	v_cndmask_b32_e64 v5, 0, 1, vcc_lo
.LBB348_1804:
	s_branch .LBB348_1734
.LBB348_1805:
	s_and_b32 s13, 0xffff, s12
	s_delay_alu instid0(SALU_CYCLE_1)
	s_cmp_lt_i32 s13, 5
	s_cbranch_scc1 .LBB348_1810
; %bb.1806:
	s_cmp_lt_i32 s13, 8
	s_cbranch_scc1 .LBB348_1811
; %bb.1807:
	;; [unrolled: 3-line block ×3, first 2 shown]
	s_cmp_gt_i32 s13, 9
	s_cbranch_scc0 .LBB348_1813
; %bb.1809:
	global_load_b64 v[22:23], v[20:21], off
	s_mov_b32 s14, 0
	s_wait_loadcnt 0x0
	v_cvt_u32_f64_e32 v5, v[22:23]
	s_branch .LBB348_1814
.LBB348_1810:
                                        ; implicit-def: $vgpr5
	s_branch .LBB348_1832
.LBB348_1811:
	s_mov_b32 s14, -1
                                        ; implicit-def: $vgpr5
	s_branch .LBB348_1820
.LBB348_1812:
	s_mov_b32 s14, -1
                                        ; implicit-def: $vgpr5
	s_branch .LBB348_1817
.LBB348_1813:
	s_mov_b32 s14, -1
                                        ; implicit-def: $vgpr5
.LBB348_1814:
	s_delay_alu instid0(SALU_CYCLE_1)
	s_and_not1_b32 vcc_lo, exec_lo, s14
	s_cbranch_vccnz .LBB348_1816
; %bb.1815:
	global_load_b32 v3, v[20:21], off
	s_wait_loadcnt 0x0
	v_cvt_u32_f32_e32 v5, v3
.LBB348_1816:
	s_mov_b32 s14, 0
.LBB348_1817:
	s_delay_alu instid0(SALU_CYCLE_1)
	s_and_not1_b32 vcc_lo, exec_lo, s14
	s_cbranch_vccnz .LBB348_1819
; %bb.1818:
	global_load_b32 v3, v[20:21], off
	s_wait_loadcnt 0x0
	v_cvt_f32_f16_e32 v3, v3
	s_delay_alu instid0(VALU_DEP_1)
	v_cvt_u32_f32_e32 v5, v3
.LBB348_1819:
	s_mov_b32 s14, 0
.LBB348_1820:
	s_delay_alu instid0(SALU_CYCLE_1)
	s_and_not1_b32 vcc_lo, exec_lo, s14
	s_cbranch_vccnz .LBB348_1831
; %bb.1821:
	s_cmp_lt_i32 s13, 6
	s_cbranch_scc1 .LBB348_1824
; %bb.1822:
	s_cmp_gt_i32 s13, 6
	s_cbranch_scc0 .LBB348_1825
; %bb.1823:
	global_load_b64 v[22:23], v[20:21], off
	s_mov_b32 s14, 0
	s_wait_loadcnt 0x0
	v_cvt_u32_f64_e32 v5, v[22:23]
	s_branch .LBB348_1826
.LBB348_1824:
	s_mov_b32 s14, -1
                                        ; implicit-def: $vgpr5
	s_branch .LBB348_1829
.LBB348_1825:
	s_mov_b32 s14, -1
                                        ; implicit-def: $vgpr5
.LBB348_1826:
	s_delay_alu instid0(SALU_CYCLE_1)
	s_and_not1_b32 vcc_lo, exec_lo, s14
	s_cbranch_vccnz .LBB348_1828
; %bb.1827:
	global_load_b32 v3, v[20:21], off
	s_wait_loadcnt 0x0
	v_cvt_u32_f32_e32 v5, v3
.LBB348_1828:
	s_mov_b32 s14, 0
.LBB348_1829:
	s_delay_alu instid0(SALU_CYCLE_1)
	s_and_not1_b32 vcc_lo, exec_lo, s14
	s_cbranch_vccnz .LBB348_1831
; %bb.1830:
	global_load_u16 v3, v[20:21], off
	s_wait_loadcnt 0x0
	v_cvt_f32_f16_e32 v3, v3
	s_delay_alu instid0(VALU_DEP_1)
	v_cvt_u32_f32_e32 v5, v3
.LBB348_1831:
	s_cbranch_execnz .LBB348_1851
.LBB348_1832:
	s_cmp_lt_i32 s13, 2
	s_cbranch_scc1 .LBB348_1836
; %bb.1833:
	s_cmp_lt_i32 s13, 3
	s_cbranch_scc1 .LBB348_1837
; %bb.1834:
	s_cmp_gt_i32 s13, 3
	s_cbranch_scc0 .LBB348_1838
; %bb.1835:
	s_wait_loadcnt 0x0
	global_load_b32 v5, v[20:21], off
	s_mov_b32 s14, 0
	s_branch .LBB348_1839
.LBB348_1836:
	s_mov_b32 s14, -1
                                        ; implicit-def: $vgpr5
	s_branch .LBB348_1845
.LBB348_1837:
	s_mov_b32 s14, -1
                                        ; implicit-def: $vgpr5
	s_branch .LBB348_1842
.LBB348_1838:
	s_mov_b32 s14, -1
                                        ; implicit-def: $vgpr5
.LBB348_1839:
	s_delay_alu instid0(SALU_CYCLE_1)
	s_and_not1_b32 vcc_lo, exec_lo, s14
	s_cbranch_vccnz .LBB348_1841
; %bb.1840:
	s_wait_loadcnt 0x0
	global_load_b32 v5, v[20:21], off
.LBB348_1841:
	s_mov_b32 s14, 0
.LBB348_1842:
	s_delay_alu instid0(SALU_CYCLE_1)
	s_and_not1_b32 vcc_lo, exec_lo, s14
	s_cbranch_vccnz .LBB348_1844
; %bb.1843:
	s_wait_loadcnt 0x0
	global_load_i16 v5, v[20:21], off
.LBB348_1844:
	s_mov_b32 s14, 0
.LBB348_1845:
	s_delay_alu instid0(SALU_CYCLE_1)
	s_and_not1_b32 vcc_lo, exec_lo, s14
	s_cbranch_vccnz .LBB348_1851
; %bb.1846:
	s_cmp_gt_i32 s13, 0
	s_mov_b32 s13, 0
	s_cbranch_scc0 .LBB348_1848
; %bb.1847:
	s_wait_loadcnt 0x0
	global_load_i8 v5, v[20:21], off
	s_branch .LBB348_1849
.LBB348_1848:
	s_mov_b32 s13, -1
                                        ; implicit-def: $vgpr5
.LBB348_1849:
	s_delay_alu instid0(SALU_CYCLE_1)
	s_and_not1_b32 vcc_lo, exec_lo, s13
	s_cbranch_vccnz .LBB348_1851
; %bb.1850:
	s_wait_loadcnt 0x0
	global_load_u8 v5, v[20:21], off
.LBB348_1851:
.LBB348_1852:
	v_mov_b32_e32 v19, 0
	s_and_b32 s11, 0xffff, s11
	s_delay_alu instid0(SALU_CYCLE_1) | instskip(NEXT) | instid1(VALU_DEP_1)
	s_cmp_lt_i32 s11, 11
	v_add_nc_u64_e32 v[18:19], s[6:7], v[18:19]
	s_cbranch_scc1 .LBB348_1859
; %bb.1853:
	s_cmp_gt_i32 s11, 25
	s_mov_b32 s14, 0
	s_cbranch_scc0 .LBB348_1861
; %bb.1854:
	s_cmp_gt_i32 s11, 28
	s_cbranch_scc0 .LBB348_1862
; %bb.1855:
	s_cmp_gt_i32 s11, 43
	;; [unrolled: 3-line block ×3, first 2 shown]
	s_cbranch_scc0 .LBB348_1865
; %bb.1857:
	s_cmp_eq_u32 s11, 46
	s_mov_b32 s16, 0
	s_cbranch_scc0 .LBB348_1866
; %bb.1858:
	global_load_b32 v3, v[18:19], off
	s_mov_b32 s13, 0
	s_mov_b32 s15, -1
	s_wait_loadcnt 0x0
	v_lshlrev_b32_e32 v3, 16, v3
	s_delay_alu instid0(VALU_DEP_1)
	v_cvt_u32_f32_e32 v3, v3
	s_branch .LBB348_1868
.LBB348_1859:
	s_mov_b32 s15, 0
                                        ; implicit-def: $vgpr3
	s_cbranch_execnz .LBB348_1930
.LBB348_1860:
	s_and_not1_b32 vcc_lo, exec_lo, s15
	s_cbranch_vccnz .LBB348_3047
	s_branch .LBB348_1978
.LBB348_1861:
	s_mov_b32 s16, -1
	s_mov_b32 s15, 0
	s_mov_b32 s13, 0
                                        ; implicit-def: $vgpr3
	s_branch .LBB348_1895
.LBB348_1862:
	s_mov_b32 s16, -1
	s_mov_b32 s15, 0
	s_mov_b32 s13, 0
                                        ; implicit-def: $vgpr3
	s_branch .LBB348_1878
.LBB348_1863:
	s_mov_b32 s16, -1
	s_mov_b32 s15, 0
	s_mov_b32 s13, 0
                                        ; implicit-def: $vgpr3
	s_branch .LBB348_1873
.LBB348_1864:
	s_or_b32 s10, s10, exec_lo
	s_trap 2
	s_cbranch_execz .LBB348_1803
	s_branch .LBB348_1804
.LBB348_1865:
	s_mov_b32 s16, -1
	s_mov_b32 s15, 0
	s_mov_b32 s13, 0
	s_branch .LBB348_1867
.LBB348_1866:
	s_mov_b32 s13, -1
	s_mov_b32 s15, 0
.LBB348_1867:
                                        ; implicit-def: $vgpr3
.LBB348_1868:
	s_and_b32 vcc_lo, exec_lo, s16
	s_cbranch_vccz .LBB348_1872
; %bb.1869:
	s_cmp_eq_u32 s11, 44
	s_cbranch_scc0 .LBB348_1871
; %bb.1870:
	global_load_u8 v3, v[18:19], off
	s_mov_b32 s13, 0
	s_mov_b32 s15, -1
	s_wait_loadcnt 0x0
	v_lshlrev_b32_e32 v7, 23, v3
	v_cmp_ne_u32_e32 vcc_lo, 0, v3
	s_delay_alu instid0(VALU_DEP_2) | instskip(NEXT) | instid1(VALU_DEP_1)
	v_cvt_u32_f32_e32 v7, v7
	v_cndmask_b32_e32 v3, 0, v7, vcc_lo
	s_branch .LBB348_1872
.LBB348_1871:
	s_mov_b32 s13, -1
                                        ; implicit-def: $vgpr3
.LBB348_1872:
	s_mov_b32 s16, 0
.LBB348_1873:
	s_delay_alu instid0(SALU_CYCLE_1)
	s_and_b32 vcc_lo, exec_lo, s16
	s_cbranch_vccz .LBB348_1877
; %bb.1874:
	s_cmp_eq_u32 s11, 29
	s_cbranch_scc0 .LBB348_1876
; %bb.1875:
	global_load_b32 v3, v[18:19], off
	s_mov_b32 s13, 0
	s_mov_b32 s15, -1
	s_branch .LBB348_1877
.LBB348_1876:
	s_mov_b32 s13, -1
                                        ; implicit-def: $vgpr3
.LBB348_1877:
	s_mov_b32 s16, 0
.LBB348_1878:
	s_delay_alu instid0(SALU_CYCLE_1)
	s_and_b32 vcc_lo, exec_lo, s16
	s_cbranch_vccz .LBB348_1894
; %bb.1879:
	s_cmp_lt_i32 s11, 27
	s_cbranch_scc1 .LBB348_1882
; %bb.1880:
	s_cmp_gt_i32 s11, 27
	s_cbranch_scc0 .LBB348_1883
; %bb.1881:
	s_wait_loadcnt 0x0
	global_load_b32 v3, v[18:19], off
	s_mov_b32 s15, 0
	s_branch .LBB348_1884
.LBB348_1882:
	s_mov_b32 s15, -1
                                        ; implicit-def: $vgpr3
	s_branch .LBB348_1887
.LBB348_1883:
	s_mov_b32 s15, -1
                                        ; implicit-def: $vgpr3
.LBB348_1884:
	s_delay_alu instid0(SALU_CYCLE_1)
	s_and_not1_b32 vcc_lo, exec_lo, s15
	s_cbranch_vccnz .LBB348_1886
; %bb.1885:
	s_wait_loadcnt 0x0
	global_load_u16 v3, v[18:19], off
.LBB348_1886:
	s_mov_b32 s15, 0
.LBB348_1887:
	s_delay_alu instid0(SALU_CYCLE_1)
	s_and_not1_b32 vcc_lo, exec_lo, s15
	s_cbranch_vccnz .LBB348_1893
; %bb.1888:
	global_load_u8 v7, v[18:19], off
	s_mov_b32 s16, 0
	s_mov_b32 s15, exec_lo
	s_wait_loadcnt 0x0
	v_cmpx_lt_i16_e32 0x7f, v7
	s_xor_b32 s15, exec_lo, s15
	s_cbranch_execz .LBB348_1905
; %bb.1889:
	v_cmp_ne_u16_e32 vcc_lo, 0x80, v7
	s_and_b32 s16, vcc_lo, exec_lo
	s_and_not1_saveexec_b32 s15, s15
	s_cbranch_execnz .LBB348_1906
.LBB348_1890:
	s_or_b32 exec_lo, exec_lo, s15
	v_mov_b32_e32 v3, 0
	s_and_saveexec_b32 s15, s16
	s_cbranch_execz .LBB348_1892
.LBB348_1891:
	v_and_b32_e32 v3, 0xffff, v7
	v_lshlrev_b32_e32 v7, 24, v7
	s_delay_alu instid0(VALU_DEP_2) | instskip(SKIP_1) | instid1(VALU_DEP_3)
	v_and_b32_e32 v9, 7, v3
	v_bfe_u32 v15, v3, 3, 4
	v_and_b32_e32 v7, 0x80000000, v7
	s_delay_alu instid0(VALU_DEP_3) | instskip(NEXT) | instid1(VALU_DEP_3)
	v_clz_i32_u32_e32 v11, v9
	v_cmp_eq_u32_e32 vcc_lo, 0, v15
	s_delay_alu instid0(VALU_DEP_2) | instskip(NEXT) | instid1(VALU_DEP_1)
	v_min_u32_e32 v11, 32, v11
	v_subrev_nc_u32_e32 v13, 28, v11
	v_sub_nc_u32_e32 v11, 29, v11
	s_delay_alu instid0(VALU_DEP_2) | instskip(NEXT) | instid1(VALU_DEP_2)
	v_lshlrev_b32_e32 v3, v13, v3
	v_cndmask_b32_e32 v11, v15, v11, vcc_lo
	s_delay_alu instid0(VALU_DEP_2) | instskip(NEXT) | instid1(VALU_DEP_1)
	v_and_b32_e32 v3, 7, v3
	v_cndmask_b32_e32 v3, v9, v3, vcc_lo
	s_delay_alu instid0(VALU_DEP_3) | instskip(NEXT) | instid1(VALU_DEP_2)
	v_lshl_add_u32 v9, v11, 23, 0x3b800000
	v_lshlrev_b32_e32 v3, 20, v3
	s_delay_alu instid0(VALU_DEP_1) | instskip(NEXT) | instid1(VALU_DEP_1)
	v_or3_b32 v3, v7, v9, v3
	v_cvt_u32_f32_e32 v3, v3
.LBB348_1892:
	s_or_b32 exec_lo, exec_lo, s15
.LBB348_1893:
	s_mov_b32 s15, -1
.LBB348_1894:
	s_mov_b32 s16, 0
.LBB348_1895:
	s_delay_alu instid0(SALU_CYCLE_1)
	s_and_b32 vcc_lo, exec_lo, s16
	s_cbranch_vccz .LBB348_1926
; %bb.1896:
	s_cmp_gt_i32 s11, 22
	s_cbranch_scc0 .LBB348_1904
; %bb.1897:
	s_cmp_lt_i32 s11, 24
	s_cbranch_scc1 .LBB348_1907
; %bb.1898:
	s_cmp_gt_i32 s11, 24
	s_cbranch_scc0 .LBB348_1908
; %bb.1899:
	global_load_u8 v7, v[18:19], off
	s_mov_b32 s15, 0
	s_mov_b32 s14, exec_lo
	s_wait_loadcnt 0x0
	v_cmpx_lt_i16_e32 0x7f, v7
	s_xor_b32 s14, exec_lo, s14
	s_cbranch_execz .LBB348_1920
; %bb.1900:
	v_cmp_ne_u16_e32 vcc_lo, 0x80, v7
	s_and_b32 s15, vcc_lo, exec_lo
	s_and_not1_saveexec_b32 s14, s14
	s_cbranch_execnz .LBB348_1921
.LBB348_1901:
	s_or_b32 exec_lo, exec_lo, s14
	v_mov_b32_e32 v3, 0
	s_and_saveexec_b32 s14, s15
	s_cbranch_execz .LBB348_1903
.LBB348_1902:
	v_and_b32_e32 v3, 0xffff, v7
	v_lshlrev_b32_e32 v7, 24, v7
	s_delay_alu instid0(VALU_DEP_2) | instskip(SKIP_1) | instid1(VALU_DEP_3)
	v_and_b32_e32 v9, 3, v3
	v_bfe_u32 v15, v3, 2, 5
	v_and_b32_e32 v7, 0x80000000, v7
	s_delay_alu instid0(VALU_DEP_3) | instskip(NEXT) | instid1(VALU_DEP_3)
	v_clz_i32_u32_e32 v11, v9
	v_cmp_eq_u32_e32 vcc_lo, 0, v15
	s_delay_alu instid0(VALU_DEP_2) | instskip(NEXT) | instid1(VALU_DEP_1)
	v_min_u32_e32 v11, 32, v11
	v_subrev_nc_u32_e32 v13, 29, v11
	v_sub_nc_u32_e32 v11, 30, v11
	s_delay_alu instid0(VALU_DEP_2) | instskip(NEXT) | instid1(VALU_DEP_2)
	v_lshlrev_b32_e32 v3, v13, v3
	v_cndmask_b32_e32 v11, v15, v11, vcc_lo
	s_delay_alu instid0(VALU_DEP_2) | instskip(NEXT) | instid1(VALU_DEP_1)
	v_and_b32_e32 v3, 3, v3
	v_cndmask_b32_e32 v3, v9, v3, vcc_lo
	s_delay_alu instid0(VALU_DEP_3) | instskip(NEXT) | instid1(VALU_DEP_2)
	v_lshl_add_u32 v9, v11, 23, 0x37800000
	v_lshlrev_b32_e32 v3, 21, v3
	s_delay_alu instid0(VALU_DEP_1) | instskip(NEXT) | instid1(VALU_DEP_1)
	v_or3_b32 v3, v7, v9, v3
	v_cvt_u32_f32_e32 v3, v3
.LBB348_1903:
	s_or_b32 exec_lo, exec_lo, s14
	s_mov_b32 s14, 0
	s_branch .LBB348_1909
.LBB348_1904:
	s_mov_b32 s14, -1
                                        ; implicit-def: $vgpr3
	s_branch .LBB348_1915
.LBB348_1905:
	s_and_not1_saveexec_b32 s15, s15
	s_cbranch_execz .LBB348_1890
.LBB348_1906:
	v_cmp_ne_u16_e32 vcc_lo, 0, v7
	s_and_not1_b32 s16, s16, exec_lo
	s_and_b32 s17, vcc_lo, exec_lo
	s_delay_alu instid0(SALU_CYCLE_1)
	s_or_b32 s16, s16, s17
	s_or_b32 exec_lo, exec_lo, s15
	v_mov_b32_e32 v3, 0
	s_and_saveexec_b32 s15, s16
	s_cbranch_execnz .LBB348_1891
	s_branch .LBB348_1892
.LBB348_1907:
	s_mov_b32 s14, -1
                                        ; implicit-def: $vgpr3
	s_branch .LBB348_1912
.LBB348_1908:
	s_mov_b32 s14, -1
                                        ; implicit-def: $vgpr3
.LBB348_1909:
	s_delay_alu instid0(SALU_CYCLE_1)
	s_and_b32 vcc_lo, exec_lo, s14
	s_cbranch_vccz .LBB348_1911
; %bb.1910:
	s_wait_loadcnt 0x0
	global_load_u8 v3, v[18:19], off
	s_wait_loadcnt 0x0
	v_lshlrev_b32_e32 v3, 24, v3
	s_delay_alu instid0(VALU_DEP_1) | instskip(NEXT) | instid1(VALU_DEP_1)
	v_and_b32_e32 v7, 0x7f000000, v3
	v_clz_i32_u32_e32 v9, v7
	v_cmp_ne_u32_e32 vcc_lo, 0, v7
	v_add_nc_u32_e32 v13, 0x1000000, v7
	s_delay_alu instid0(VALU_DEP_3) | instskip(NEXT) | instid1(VALU_DEP_1)
	v_min_u32_e32 v9, 32, v9
	v_sub_nc_u32_e64 v9, v9, 4 clamp
	s_delay_alu instid0(VALU_DEP_1) | instskip(NEXT) | instid1(VALU_DEP_1)
	v_dual_lshlrev_b32 v11, v9, v7 :: v_dual_lshlrev_b32 v9, 23, v9
	v_lshrrev_b32_e32 v11, 4, v11
	s_delay_alu instid0(VALU_DEP_1) | instskip(SKIP_1) | instid1(VALU_DEP_2)
	v_sub_nc_u32_e32 v9, v11, v9
	v_ashrrev_i32_e32 v11, 8, v13
	v_add_nc_u32_e32 v9, 0x3c000000, v9
	s_delay_alu instid0(VALU_DEP_1) | instskip(NEXT) | instid1(VALU_DEP_1)
	v_and_or_b32 v9, 0x7f800000, v11, v9
	v_cndmask_b32_e32 v7, 0, v9, vcc_lo
	s_delay_alu instid0(VALU_DEP_1) | instskip(NEXT) | instid1(VALU_DEP_1)
	v_and_or_b32 v3, 0x80000000, v3, v7
	v_cvt_u32_f32_e32 v3, v3
.LBB348_1911:
	s_mov_b32 s14, 0
.LBB348_1912:
	s_delay_alu instid0(SALU_CYCLE_1)
	s_and_not1_b32 vcc_lo, exec_lo, s14
	s_cbranch_vccnz .LBB348_1914
; %bb.1913:
	s_wait_loadcnt 0x0
	global_load_u8 v3, v[18:19], off
	s_wait_loadcnt 0x0
	v_lshlrev_b32_e32 v7, 25, v3
	v_lshlrev_b16 v3, 8, v3
	s_delay_alu instid0(VALU_DEP_2) | instskip(NEXT) | instid1(VALU_DEP_2)
	v_lshrrev_b32_e32 v9, 4, v7
	v_and_or_b32 v11, 0x7f00, v3, 0.5
	v_cmp_gt_u32_e32 vcc_lo, 0x8000000, v7
	v_bfe_i32 v3, v3, 0, 16
	s_delay_alu instid0(VALU_DEP_4) | instskip(NEXT) | instid1(VALU_DEP_4)
	v_or_b32_e32 v9, 0x70000000, v9
	v_add_f32_e32 v11, -0.5, v11
	s_delay_alu instid0(VALU_DEP_2) | instskip(NEXT) | instid1(VALU_DEP_1)
	v_mul_f32_e32 v9, 0x7800000, v9
	v_cndmask_b32_e32 v7, v9, v11, vcc_lo
	s_delay_alu instid0(VALU_DEP_1) | instskip(NEXT) | instid1(VALU_DEP_1)
	v_and_or_b32 v3, 0x80000000, v3, v7
	v_cvt_u32_f32_e32 v3, v3
.LBB348_1914:
	s_mov_b32 s14, 0
	s_mov_b32 s15, -1
.LBB348_1915:
	s_and_not1_b32 vcc_lo, exec_lo, s14
	s_mov_b32 s14, 0
	s_cbranch_vccnz .LBB348_1926
; %bb.1916:
	s_cmp_gt_i32 s11, 14
	s_cbranch_scc0 .LBB348_1919
; %bb.1917:
	s_cmp_eq_u32 s11, 15
	s_cbranch_scc0 .LBB348_1922
; %bb.1918:
	s_wait_loadcnt 0x0
	global_load_u16 v3, v[18:19], off
	s_mov_b32 s13, 0
	s_mov_b32 s15, -1
	s_wait_loadcnt 0x0
	v_lshlrev_b32_e32 v3, 16, v3
	s_delay_alu instid0(VALU_DEP_1)
	v_cvt_u32_f32_e32 v3, v3
	s_branch .LBB348_1924
.LBB348_1919:
	s_mov_b32 s14, -1
	s_branch .LBB348_1923
.LBB348_1920:
	s_and_not1_saveexec_b32 s14, s14
	s_cbranch_execz .LBB348_1901
.LBB348_1921:
	v_cmp_ne_u16_e32 vcc_lo, 0, v7
	s_and_not1_b32 s15, s15, exec_lo
	s_and_b32 s16, vcc_lo, exec_lo
	s_delay_alu instid0(SALU_CYCLE_1)
	s_or_b32 s15, s15, s16
	s_or_b32 exec_lo, exec_lo, s14
	v_mov_b32_e32 v3, 0
	s_and_saveexec_b32 s14, s15
	s_cbranch_execnz .LBB348_1902
	s_branch .LBB348_1903
.LBB348_1922:
	s_mov_b32 s13, -1
.LBB348_1923:
                                        ; implicit-def: $vgpr3
.LBB348_1924:
	s_and_b32 vcc_lo, exec_lo, s14
	s_mov_b32 s14, 0
	s_cbranch_vccz .LBB348_1926
; %bb.1925:
	s_cmp_lg_u32 s11, 11
	s_mov_b32 s14, -1
	s_cselect_b32 s13, -1, 0
.LBB348_1926:
	s_delay_alu instid0(SALU_CYCLE_1)
	s_and_b32 vcc_lo, exec_lo, s13
	s_cbranch_vccnz .LBB348_1989
; %bb.1927:
	s_and_not1_b32 vcc_lo, exec_lo, s14
	s_cbranch_vccnz .LBB348_1929
.LBB348_1928:
	s_wait_loadcnt 0x0
	global_load_u8 v3, v[18:19], off
	s_mov_b32 s15, -1
	s_wait_loadcnt 0x0
	v_cmp_ne_u16_e32 vcc_lo, 0, v3
	v_cndmask_b32_e64 v3, 0, 1, vcc_lo
.LBB348_1929:
	s_branch .LBB348_1860
.LBB348_1930:
	s_cmp_lt_i32 s11, 5
	s_cbranch_scc1 .LBB348_1935
; %bb.1931:
	s_cmp_lt_i32 s11, 8
	s_cbranch_scc1 .LBB348_1936
; %bb.1932:
	;; [unrolled: 3-line block ×3, first 2 shown]
	s_cmp_gt_i32 s11, 9
	s_cbranch_scc0 .LBB348_1938
; %bb.1934:
	global_load_b64 v[20:21], v[18:19], off
	s_mov_b32 s13, 0
	s_wait_loadcnt 0x0
	v_cvt_u32_f64_e32 v3, v[20:21]
	s_branch .LBB348_1939
.LBB348_1935:
	s_mov_b32 s13, -1
                                        ; implicit-def: $vgpr3
	s_branch .LBB348_1957
.LBB348_1936:
	s_mov_b32 s13, -1
                                        ; implicit-def: $vgpr3
	s_branch .LBB348_1945
.LBB348_1937:
	s_mov_b32 s13, -1
                                        ; implicit-def: $vgpr3
	s_branch .LBB348_1942
.LBB348_1938:
	s_mov_b32 s13, -1
                                        ; implicit-def: $vgpr3
.LBB348_1939:
	s_delay_alu instid0(SALU_CYCLE_1)
	s_and_not1_b32 vcc_lo, exec_lo, s13
	s_cbranch_vccnz .LBB348_1941
; %bb.1940:
	s_wait_loadcnt 0x0
	global_load_b32 v3, v[18:19], off
	s_wait_loadcnt 0x0
	v_cvt_u32_f32_e32 v3, v3
.LBB348_1941:
	s_mov_b32 s13, 0
.LBB348_1942:
	s_delay_alu instid0(SALU_CYCLE_1)
	s_and_not1_b32 vcc_lo, exec_lo, s13
	s_cbranch_vccnz .LBB348_1944
; %bb.1943:
	s_wait_loadcnt 0x0
	global_load_b32 v3, v[18:19], off
	s_wait_loadcnt 0x0
	v_cvt_f32_f16_e32 v3, v3
	s_delay_alu instid0(VALU_DEP_1)
	v_cvt_u32_f32_e32 v3, v3
.LBB348_1944:
	s_mov_b32 s13, 0
.LBB348_1945:
	s_delay_alu instid0(SALU_CYCLE_1)
	s_and_not1_b32 vcc_lo, exec_lo, s13
	s_cbranch_vccnz .LBB348_1956
; %bb.1946:
	s_cmp_lt_i32 s11, 6
	s_cbranch_scc1 .LBB348_1949
; %bb.1947:
	s_cmp_gt_i32 s11, 6
	s_cbranch_scc0 .LBB348_1950
; %bb.1948:
	global_load_b64 v[20:21], v[18:19], off
	s_mov_b32 s13, 0
	s_wait_loadcnt 0x0
	v_cvt_u32_f64_e32 v3, v[20:21]
	s_branch .LBB348_1951
.LBB348_1949:
	s_mov_b32 s13, -1
                                        ; implicit-def: $vgpr3
	s_branch .LBB348_1954
.LBB348_1950:
	s_mov_b32 s13, -1
                                        ; implicit-def: $vgpr3
.LBB348_1951:
	s_delay_alu instid0(SALU_CYCLE_1)
	s_and_not1_b32 vcc_lo, exec_lo, s13
	s_cbranch_vccnz .LBB348_1953
; %bb.1952:
	s_wait_loadcnt 0x0
	global_load_b32 v3, v[18:19], off
	s_wait_loadcnt 0x0
	v_cvt_u32_f32_e32 v3, v3
.LBB348_1953:
	s_mov_b32 s13, 0
.LBB348_1954:
	s_delay_alu instid0(SALU_CYCLE_1)
	s_and_not1_b32 vcc_lo, exec_lo, s13
	s_cbranch_vccnz .LBB348_1956
; %bb.1955:
	s_wait_loadcnt 0x0
	global_load_u16 v3, v[18:19], off
	s_wait_loadcnt 0x0
	v_cvt_f32_f16_e32 v3, v3
	s_delay_alu instid0(VALU_DEP_1)
	v_cvt_u32_f32_e32 v3, v3
.LBB348_1956:
	s_mov_b32 s13, 0
.LBB348_1957:
	s_delay_alu instid0(SALU_CYCLE_1)
	s_and_not1_b32 vcc_lo, exec_lo, s13
	s_cbranch_vccnz .LBB348_1977
; %bb.1958:
	s_cmp_lt_i32 s11, 2
	s_cbranch_scc1 .LBB348_1962
; %bb.1959:
	s_cmp_lt_i32 s11, 3
	s_cbranch_scc1 .LBB348_1963
; %bb.1960:
	s_cmp_gt_i32 s11, 3
	s_cbranch_scc0 .LBB348_1964
; %bb.1961:
	s_wait_loadcnt 0x0
	global_load_b32 v3, v[18:19], off
	s_mov_b32 s13, 0
	s_branch .LBB348_1965
.LBB348_1962:
	s_mov_b32 s13, -1
                                        ; implicit-def: $vgpr3
	s_branch .LBB348_1971
.LBB348_1963:
	s_mov_b32 s13, -1
                                        ; implicit-def: $vgpr3
	s_branch .LBB348_1968
.LBB348_1964:
	s_mov_b32 s13, -1
                                        ; implicit-def: $vgpr3
.LBB348_1965:
	s_delay_alu instid0(SALU_CYCLE_1)
	s_and_not1_b32 vcc_lo, exec_lo, s13
	s_cbranch_vccnz .LBB348_1967
; %bb.1966:
	s_wait_loadcnt 0x0
	global_load_b32 v3, v[18:19], off
.LBB348_1967:
	s_mov_b32 s13, 0
.LBB348_1968:
	s_delay_alu instid0(SALU_CYCLE_1)
	s_and_not1_b32 vcc_lo, exec_lo, s13
	s_cbranch_vccnz .LBB348_1970
; %bb.1969:
	s_wait_loadcnt 0x0
	global_load_i16 v3, v[18:19], off
.LBB348_1970:
	s_mov_b32 s13, 0
.LBB348_1971:
	s_delay_alu instid0(SALU_CYCLE_1)
	s_and_not1_b32 vcc_lo, exec_lo, s13
	s_cbranch_vccnz .LBB348_1977
; %bb.1972:
	s_cmp_gt_i32 s11, 0
	s_mov_b32 s13, 0
	s_cbranch_scc0 .LBB348_1974
; %bb.1973:
	s_wait_loadcnt 0x0
	global_load_i8 v3, v[18:19], off
	s_branch .LBB348_1975
.LBB348_1974:
	s_mov_b32 s13, -1
                                        ; implicit-def: $vgpr3
.LBB348_1975:
	s_delay_alu instid0(SALU_CYCLE_1)
	s_and_not1_b32 vcc_lo, exec_lo, s13
	s_cbranch_vccnz .LBB348_1977
; %bb.1976:
	s_wait_loadcnt 0x0
	global_load_u8 v3, v[18:19], off
.LBB348_1977:
.LBB348_1978:
	v_mov_b32_e32 v17, 0
	s_and_b32 s12, 0xffff, s12
	s_delay_alu instid0(SALU_CYCLE_1) | instskip(NEXT) | instid1(VALU_DEP_1)
	s_cmp_lt_i32 s12, 11
	v_add_nc_u64_e32 v[16:17], s[0:1], v[16:17]
	s_cbranch_scc1 .LBB348_1985
; %bb.1979:
	s_cmp_gt_i32 s12, 25
	s_mov_b32 s14, 0
	s_cbranch_scc0 .LBB348_1986
; %bb.1980:
	s_cmp_gt_i32 s12, 28
	s_cbranch_scc0 .LBB348_1987
; %bb.1981:
	s_cmp_gt_i32 s12, 43
	s_cbranch_scc0 .LBB348_1988
; %bb.1982:
	s_cmp_gt_i32 s12, 45
	s_cbranch_scc0 .LBB348_1990
; %bb.1983:
	s_cmp_eq_u32 s12, 46
	s_mov_b32 s16, 0
	s_cbranch_scc0 .LBB348_1991
; %bb.1984:
	global_load_b32 v7, v[16:17], off
	s_mov_b32 s13, 0
	s_mov_b32 s15, -1
	s_wait_loadcnt 0x0
	v_lshlrev_b32_e32 v7, 16, v7
	s_wait_xcnt 0x1
	s_delay_alu instid0(VALU_DEP_1)
	v_cvt_u32_f32_e32 v18, v7
	s_branch .LBB348_1993
.LBB348_1985:
	s_mov_b32 s13, -1
	s_mov_b32 s15, 0
                                        ; implicit-def: $vgpr18
	s_branch .LBB348_2055
.LBB348_1986:
	s_mov_b32 s16, -1
	s_mov_b32 s15, 0
	s_mov_b32 s13, 0
                                        ; implicit-def: $vgpr18
	s_branch .LBB348_2020
.LBB348_1987:
	s_mov_b32 s16, -1
	s_mov_b32 s15, 0
	s_mov_b32 s13, 0
                                        ; implicit-def: $vgpr18
	s_branch .LBB348_2003
.LBB348_1988:
	s_mov_b32 s16, -1
	s_mov_b32 s15, 0
	s_mov_b32 s13, 0
                                        ; implicit-def: $vgpr18
	s_branch .LBB348_1998
.LBB348_1989:
	s_or_b32 s10, s10, exec_lo
	s_trap 2
	s_cbranch_execz .LBB348_1928
	s_branch .LBB348_1929
.LBB348_1990:
	s_mov_b32 s16, -1
	s_mov_b32 s15, 0
	s_mov_b32 s13, 0
	s_branch .LBB348_1992
.LBB348_1991:
	s_mov_b32 s13, -1
	s_mov_b32 s15, 0
.LBB348_1992:
                                        ; implicit-def: $vgpr18
.LBB348_1993:
	s_and_b32 vcc_lo, exec_lo, s16
	s_cbranch_vccz .LBB348_1997
; %bb.1994:
	s_cmp_eq_u32 s12, 44
	s_cbranch_scc0 .LBB348_1996
; %bb.1995:
	global_load_u8 v7, v[16:17], off
	s_mov_b32 s13, 0
	s_mov_b32 s15, -1
	s_wait_loadcnt 0x0
	v_lshlrev_b32_e32 v9, 23, v7
	v_cmp_ne_u32_e32 vcc_lo, 0, v7
	s_delay_alu instid0(VALU_DEP_2) | instskip(SKIP_1) | instid1(VALU_DEP_1)
	v_cvt_u32_f32_e32 v9, v9
	s_wait_xcnt 0x1
	v_cndmask_b32_e32 v18, 0, v9, vcc_lo
	s_branch .LBB348_1997
.LBB348_1996:
	s_mov_b32 s13, -1
                                        ; implicit-def: $vgpr18
.LBB348_1997:
	s_mov_b32 s16, 0
.LBB348_1998:
	s_delay_alu instid0(SALU_CYCLE_1)
	s_and_b32 vcc_lo, exec_lo, s16
	s_cbranch_vccz .LBB348_2002
; %bb.1999:
	s_cmp_eq_u32 s12, 29
	s_cbranch_scc0 .LBB348_2001
; %bb.2000:
	global_load_b32 v18, v[16:17], off
	s_mov_b32 s13, 0
	s_mov_b32 s15, -1
	s_branch .LBB348_2002
.LBB348_2001:
	s_mov_b32 s13, -1
                                        ; implicit-def: $vgpr18
.LBB348_2002:
	s_mov_b32 s16, 0
.LBB348_2003:
	s_delay_alu instid0(SALU_CYCLE_1)
	s_and_b32 vcc_lo, exec_lo, s16
	s_cbranch_vccz .LBB348_2019
; %bb.2004:
	s_cmp_lt_i32 s12, 27
	s_cbranch_scc1 .LBB348_2007
; %bb.2005:
	s_cmp_gt_i32 s12, 27
	s_cbranch_scc0 .LBB348_2008
; %bb.2006:
	s_wait_loadcnt 0x0
	global_load_b32 v18, v[16:17], off
	s_mov_b32 s15, 0
	s_branch .LBB348_2009
.LBB348_2007:
	s_mov_b32 s15, -1
                                        ; implicit-def: $vgpr18
	s_branch .LBB348_2012
.LBB348_2008:
	s_mov_b32 s15, -1
                                        ; implicit-def: $vgpr18
.LBB348_2009:
	s_delay_alu instid0(SALU_CYCLE_1)
	s_and_not1_b32 vcc_lo, exec_lo, s15
	s_cbranch_vccnz .LBB348_2011
; %bb.2010:
	s_wait_loadcnt 0x0
	global_load_u16 v18, v[16:17], off
.LBB348_2011:
	s_mov_b32 s15, 0
.LBB348_2012:
	s_delay_alu instid0(SALU_CYCLE_1)
	s_and_not1_b32 vcc_lo, exec_lo, s15
	s_cbranch_vccnz .LBB348_2018
; %bb.2013:
	global_load_u8 v7, v[16:17], off
	s_mov_b32 s16, 0
	s_mov_b32 s15, exec_lo
	s_wait_loadcnt 0x0
	v_cmpx_lt_i16_e32 0x7f, v7
	s_xor_b32 s15, exec_lo, s15
	s_cbranch_execz .LBB348_2030
; %bb.2014:
	v_cmp_ne_u16_e32 vcc_lo, 0x80, v7
	s_and_b32 s16, vcc_lo, exec_lo
	s_and_not1_saveexec_b32 s15, s15
	s_cbranch_execnz .LBB348_2031
.LBB348_2015:
	s_or_b32 exec_lo, exec_lo, s15
	v_mov_b32_e32 v18, 0
	s_and_saveexec_b32 s15, s16
	s_cbranch_execz .LBB348_2017
.LBB348_2016:
	v_and_b32_e32 v9, 0xffff, v7
	s_delay_alu instid0(VALU_DEP_1) | instskip(SKIP_1) | instid1(VALU_DEP_2)
	v_dual_lshlrev_b32 v7, 24, v7 :: v_dual_bitop2_b32 v11, 7, v9 bitop3:0x40
	v_bfe_u32 v18, v9, 3, 4
	v_and_b32_e32 v7, 0x80000000, v7
	s_delay_alu instid0(VALU_DEP_3) | instskip(NEXT) | instid1(VALU_DEP_3)
	v_clz_i32_u32_e32 v13, v11
	v_cmp_eq_u32_e32 vcc_lo, 0, v18
	s_delay_alu instid0(VALU_DEP_2) | instskip(NEXT) | instid1(VALU_DEP_1)
	v_min_u32_e32 v13, 32, v13
	v_subrev_nc_u32_e32 v15, 28, v13
	v_sub_nc_u32_e32 v13, 29, v13
	s_delay_alu instid0(VALU_DEP_2) | instskip(NEXT) | instid1(VALU_DEP_2)
	v_lshlrev_b32_e32 v9, v15, v9
	v_cndmask_b32_e32 v13, v18, v13, vcc_lo
	s_delay_alu instid0(VALU_DEP_2) | instskip(NEXT) | instid1(VALU_DEP_1)
	v_and_b32_e32 v9, 7, v9
	v_cndmask_b32_e32 v9, v11, v9, vcc_lo
	s_delay_alu instid0(VALU_DEP_3) | instskip(NEXT) | instid1(VALU_DEP_2)
	v_lshl_add_u32 v11, v13, 23, 0x3b800000
	v_lshlrev_b32_e32 v9, 20, v9
	s_delay_alu instid0(VALU_DEP_1) | instskip(NEXT) | instid1(VALU_DEP_1)
	v_or3_b32 v7, v7, v11, v9
	v_cvt_u32_f32_e32 v18, v7
.LBB348_2017:
	s_or_b32 exec_lo, exec_lo, s15
.LBB348_2018:
	s_mov_b32 s15, -1
.LBB348_2019:
	s_mov_b32 s16, 0
.LBB348_2020:
	s_delay_alu instid0(SALU_CYCLE_1)
	s_and_b32 vcc_lo, exec_lo, s16
	s_cbranch_vccz .LBB348_2051
; %bb.2021:
	s_cmp_gt_i32 s12, 22
	s_cbranch_scc0 .LBB348_2029
; %bb.2022:
	s_cmp_lt_i32 s12, 24
	s_cbranch_scc1 .LBB348_2032
; %bb.2023:
	s_cmp_gt_i32 s12, 24
	s_cbranch_scc0 .LBB348_2033
; %bb.2024:
	global_load_u8 v7, v[16:17], off
	s_mov_b32 s15, 0
	s_mov_b32 s14, exec_lo
	s_wait_loadcnt 0x0
	v_cmpx_lt_i16_e32 0x7f, v7
	s_xor_b32 s14, exec_lo, s14
	s_cbranch_execz .LBB348_2045
; %bb.2025:
	v_cmp_ne_u16_e32 vcc_lo, 0x80, v7
	s_and_b32 s15, vcc_lo, exec_lo
	s_and_not1_saveexec_b32 s14, s14
	s_cbranch_execnz .LBB348_2046
.LBB348_2026:
	s_or_b32 exec_lo, exec_lo, s14
	v_mov_b32_e32 v18, 0
	s_and_saveexec_b32 s14, s15
	s_cbranch_execz .LBB348_2028
.LBB348_2027:
	v_and_b32_e32 v9, 0xffff, v7
	s_delay_alu instid0(VALU_DEP_1) | instskip(SKIP_1) | instid1(VALU_DEP_2)
	v_dual_lshlrev_b32 v7, 24, v7 :: v_dual_bitop2_b32 v11, 3, v9 bitop3:0x40
	v_bfe_u32 v18, v9, 2, 5
	v_and_b32_e32 v7, 0x80000000, v7
	s_delay_alu instid0(VALU_DEP_3) | instskip(NEXT) | instid1(VALU_DEP_3)
	v_clz_i32_u32_e32 v13, v11
	v_cmp_eq_u32_e32 vcc_lo, 0, v18
	s_delay_alu instid0(VALU_DEP_2) | instskip(NEXT) | instid1(VALU_DEP_1)
	v_min_u32_e32 v13, 32, v13
	v_subrev_nc_u32_e32 v15, 29, v13
	v_sub_nc_u32_e32 v13, 30, v13
	s_delay_alu instid0(VALU_DEP_2) | instskip(NEXT) | instid1(VALU_DEP_2)
	v_lshlrev_b32_e32 v9, v15, v9
	v_cndmask_b32_e32 v13, v18, v13, vcc_lo
	s_delay_alu instid0(VALU_DEP_2) | instskip(NEXT) | instid1(VALU_DEP_1)
	v_and_b32_e32 v9, 3, v9
	v_cndmask_b32_e32 v9, v11, v9, vcc_lo
	s_delay_alu instid0(VALU_DEP_3) | instskip(NEXT) | instid1(VALU_DEP_2)
	v_lshl_add_u32 v11, v13, 23, 0x37800000
	v_lshlrev_b32_e32 v9, 21, v9
	s_delay_alu instid0(VALU_DEP_1) | instskip(NEXT) | instid1(VALU_DEP_1)
	v_or3_b32 v7, v7, v11, v9
	v_cvt_u32_f32_e32 v18, v7
.LBB348_2028:
	s_or_b32 exec_lo, exec_lo, s14
	s_mov_b32 s14, 0
	s_branch .LBB348_2034
.LBB348_2029:
	s_mov_b32 s14, -1
                                        ; implicit-def: $vgpr18
	s_branch .LBB348_2040
.LBB348_2030:
	s_and_not1_saveexec_b32 s15, s15
	s_cbranch_execz .LBB348_2015
.LBB348_2031:
	v_cmp_ne_u16_e32 vcc_lo, 0, v7
	s_and_not1_b32 s16, s16, exec_lo
	s_and_b32 s17, vcc_lo, exec_lo
	s_delay_alu instid0(SALU_CYCLE_1)
	s_or_b32 s16, s16, s17
	s_or_b32 exec_lo, exec_lo, s15
	v_mov_b32_e32 v18, 0
	s_and_saveexec_b32 s15, s16
	s_cbranch_execnz .LBB348_2016
	s_branch .LBB348_2017
.LBB348_2032:
	s_mov_b32 s14, -1
                                        ; implicit-def: $vgpr18
	s_branch .LBB348_2037
.LBB348_2033:
	s_mov_b32 s14, -1
                                        ; implicit-def: $vgpr18
.LBB348_2034:
	s_delay_alu instid0(SALU_CYCLE_1)
	s_and_b32 vcc_lo, exec_lo, s14
	s_cbranch_vccz .LBB348_2036
; %bb.2035:
	global_load_u8 v7, v[16:17], off
	s_wait_loadcnt 0x0
	v_lshlrev_b32_e32 v7, 24, v7
	s_delay_alu instid0(VALU_DEP_1) | instskip(NEXT) | instid1(VALU_DEP_1)
	v_and_b32_e32 v9, 0x7f000000, v7
	v_clz_i32_u32_e32 v11, v9
	v_add_nc_u32_e32 v15, 0x1000000, v9
	v_cmp_ne_u32_e32 vcc_lo, 0, v9
	s_delay_alu instid0(VALU_DEP_3) | instskip(NEXT) | instid1(VALU_DEP_1)
	v_min_u32_e32 v11, 32, v11
	v_sub_nc_u32_e64 v11, v11, 4 clamp
	s_delay_alu instid0(VALU_DEP_1) | instskip(NEXT) | instid1(VALU_DEP_1)
	v_dual_lshlrev_b32 v13, v11, v9 :: v_dual_lshlrev_b32 v11, 23, v11
	v_lshrrev_b32_e32 v13, 4, v13
	s_delay_alu instid0(VALU_DEP_1) | instskip(SKIP_1) | instid1(VALU_DEP_2)
	v_sub_nc_u32_e32 v11, v13, v11
	v_ashrrev_i32_e32 v13, 8, v15
	v_add_nc_u32_e32 v11, 0x3c000000, v11
	s_delay_alu instid0(VALU_DEP_1) | instskip(NEXT) | instid1(VALU_DEP_1)
	v_and_or_b32 v11, 0x7f800000, v13, v11
	v_cndmask_b32_e32 v9, 0, v11, vcc_lo
	s_delay_alu instid0(VALU_DEP_1) | instskip(SKIP_1) | instid1(VALU_DEP_1)
	v_and_or_b32 v7, 0x80000000, v7, v9
	s_wait_xcnt 0x1
	v_cvt_u32_f32_e32 v18, v7
.LBB348_2036:
	s_mov_b32 s14, 0
.LBB348_2037:
	s_delay_alu instid0(SALU_CYCLE_1)
	s_and_not1_b32 vcc_lo, exec_lo, s14
	s_cbranch_vccnz .LBB348_2039
; %bb.2038:
	global_load_u8 v7, v[16:17], off
	s_wait_loadcnt 0x0
	v_lshlrev_b32_e32 v9, 25, v7
	v_lshlrev_b16 v7, 8, v7
	s_delay_alu instid0(VALU_DEP_1) | instskip(SKIP_1) | instid1(VALU_DEP_2)
	v_and_or_b32 v13, 0x7f00, v7, 0.5
	v_bfe_i32 v7, v7, 0, 16
	v_add_f32_e32 v13, -0.5, v13
	v_lshrrev_b32_e32 v11, 4, v9
	v_cmp_gt_u32_e32 vcc_lo, 0x8000000, v9
	s_delay_alu instid0(VALU_DEP_2) | instskip(NEXT) | instid1(VALU_DEP_1)
	v_or_b32_e32 v11, 0x70000000, v11
	v_mul_f32_e32 v11, 0x7800000, v11
	s_delay_alu instid0(VALU_DEP_1) | instskip(NEXT) | instid1(VALU_DEP_1)
	v_cndmask_b32_e32 v9, v11, v13, vcc_lo
	v_and_or_b32 v7, 0x80000000, v7, v9
	s_wait_xcnt 0x1
	s_delay_alu instid0(VALU_DEP_1)
	v_cvt_u32_f32_e32 v18, v7
.LBB348_2039:
	s_mov_b32 s14, 0
	s_mov_b32 s15, -1
.LBB348_2040:
	s_and_not1_b32 vcc_lo, exec_lo, s14
	s_mov_b32 s14, 0
	s_cbranch_vccnz .LBB348_2051
; %bb.2041:
	s_cmp_gt_i32 s12, 14
	s_cbranch_scc0 .LBB348_2044
; %bb.2042:
	s_cmp_eq_u32 s12, 15
	s_cbranch_scc0 .LBB348_2047
; %bb.2043:
	global_load_u16 v7, v[16:17], off
	s_mov_b32 s13, 0
	s_mov_b32 s15, -1
	s_wait_loadcnt 0x0
	v_lshlrev_b32_e32 v7, 16, v7
	s_wait_xcnt 0x1
	s_delay_alu instid0(VALU_DEP_1)
	v_cvt_u32_f32_e32 v18, v7
	s_branch .LBB348_2049
.LBB348_2044:
	s_mov_b32 s14, -1
	s_branch .LBB348_2048
.LBB348_2045:
	s_and_not1_saveexec_b32 s14, s14
	s_cbranch_execz .LBB348_2026
.LBB348_2046:
	v_cmp_ne_u16_e32 vcc_lo, 0, v7
	s_and_not1_b32 s15, s15, exec_lo
	s_and_b32 s16, vcc_lo, exec_lo
	s_delay_alu instid0(SALU_CYCLE_1)
	s_or_b32 s15, s15, s16
	s_or_b32 exec_lo, exec_lo, s14
	v_mov_b32_e32 v18, 0
	s_and_saveexec_b32 s14, s15
	s_cbranch_execnz .LBB348_2027
	s_branch .LBB348_2028
.LBB348_2047:
	s_mov_b32 s13, -1
.LBB348_2048:
                                        ; implicit-def: $vgpr18
.LBB348_2049:
	s_and_b32 vcc_lo, exec_lo, s14
	s_mov_b32 s14, 0
	s_cbranch_vccz .LBB348_2051
; %bb.2050:
	s_cmp_lg_u32 s12, 11
	s_mov_b32 s14, -1
	s_cselect_b32 s13, -1, 0
.LBB348_2051:
	s_delay_alu instid0(SALU_CYCLE_1)
	s_and_b32 vcc_lo, exec_lo, s13
	s_cbranch_vccnz .LBB348_2116
; %bb.2052:
	s_and_not1_b32 vcc_lo, exec_lo, s14
	s_cbranch_vccnz .LBB348_2054
.LBB348_2053:
	global_load_u8 v7, v[16:17], off
	s_mov_b32 s15, -1
	s_wait_loadcnt 0x0
	v_cmp_ne_u16_e32 vcc_lo, 0, v7
	s_wait_xcnt 0x1
	v_cndmask_b32_e64 v18, 0, 1, vcc_lo
.LBB348_2054:
	s_mov_b32 s13, 0
.LBB348_2055:
	s_delay_alu instid0(SALU_CYCLE_1)
	s_and_b32 vcc_lo, exec_lo, s13
	s_cbranch_vccz .LBB348_2104
; %bb.2056:
	s_cmp_lt_i32 s12, 5
	s_cbranch_scc1 .LBB348_2061
; %bb.2057:
	s_cmp_lt_i32 s12, 8
	s_cbranch_scc1 .LBB348_2062
	;; [unrolled: 3-line block ×3, first 2 shown]
; %bb.2059:
	s_cmp_gt_i32 s12, 9
	s_cbranch_scc0 .LBB348_2064
; %bb.2060:
	s_wait_loadcnt 0x0
	global_load_b64 v[18:19], v[16:17], off
	s_mov_b32 s13, 0
	s_wait_loadcnt 0x0
	v_cvt_u32_f64_e32 v18, v[18:19]
	s_branch .LBB348_2065
.LBB348_2061:
	s_mov_b32 s13, -1
                                        ; implicit-def: $vgpr18
	s_branch .LBB348_2083
.LBB348_2062:
	s_mov_b32 s13, -1
                                        ; implicit-def: $vgpr18
	s_branch .LBB348_2071
.LBB348_2063:
	s_mov_b32 s13, -1
                                        ; implicit-def: $vgpr18
	s_branch .LBB348_2068
.LBB348_2064:
	s_mov_b32 s13, -1
                                        ; implicit-def: $vgpr18
.LBB348_2065:
	s_delay_alu instid0(SALU_CYCLE_1)
	s_and_not1_b32 vcc_lo, exec_lo, s13
	s_cbranch_vccnz .LBB348_2067
; %bb.2066:
	global_load_b32 v7, v[16:17], off
	s_wait_loadcnt 0x0
	s_wait_xcnt 0x1
	v_cvt_u32_f32_e32 v18, v7
.LBB348_2067:
	s_mov_b32 s13, 0
.LBB348_2068:
	s_delay_alu instid0(SALU_CYCLE_1)
	s_and_not1_b32 vcc_lo, exec_lo, s13
	s_cbranch_vccnz .LBB348_2070
; %bb.2069:
	global_load_b32 v7, v[16:17], off
	s_wait_loadcnt 0x0
	v_cvt_f32_f16_e32 v7, v7
	s_wait_xcnt 0x1
	s_delay_alu instid0(VALU_DEP_1)
	v_cvt_u32_f32_e32 v18, v7
.LBB348_2070:
	s_mov_b32 s13, 0
.LBB348_2071:
	s_delay_alu instid0(SALU_CYCLE_1)
	s_and_not1_b32 vcc_lo, exec_lo, s13
	s_cbranch_vccnz .LBB348_2082
; %bb.2072:
	s_cmp_lt_i32 s12, 6
	s_cbranch_scc1 .LBB348_2075
; %bb.2073:
	s_cmp_gt_i32 s12, 6
	s_cbranch_scc0 .LBB348_2076
; %bb.2074:
	s_wait_loadcnt 0x0
	global_load_b64 v[18:19], v[16:17], off
	s_mov_b32 s13, 0
	s_wait_loadcnt 0x0
	v_cvt_u32_f64_e32 v18, v[18:19]
	s_branch .LBB348_2077
.LBB348_2075:
	s_mov_b32 s13, -1
                                        ; implicit-def: $vgpr18
	s_branch .LBB348_2080
.LBB348_2076:
	s_mov_b32 s13, -1
                                        ; implicit-def: $vgpr18
.LBB348_2077:
	s_delay_alu instid0(SALU_CYCLE_1)
	s_and_not1_b32 vcc_lo, exec_lo, s13
	s_cbranch_vccnz .LBB348_2079
; %bb.2078:
	global_load_b32 v7, v[16:17], off
	s_wait_loadcnt 0x0
	s_wait_xcnt 0x1
	v_cvt_u32_f32_e32 v18, v7
.LBB348_2079:
	s_mov_b32 s13, 0
.LBB348_2080:
	s_delay_alu instid0(SALU_CYCLE_1)
	s_and_not1_b32 vcc_lo, exec_lo, s13
	s_cbranch_vccnz .LBB348_2082
; %bb.2081:
	global_load_u16 v7, v[16:17], off
	s_wait_loadcnt 0x0
	v_cvt_f32_f16_e32 v7, v7
	s_wait_xcnt 0x1
	s_delay_alu instid0(VALU_DEP_1)
	v_cvt_u32_f32_e32 v18, v7
.LBB348_2082:
	s_mov_b32 s13, 0
.LBB348_2083:
	s_delay_alu instid0(SALU_CYCLE_1)
	s_and_not1_b32 vcc_lo, exec_lo, s13
	s_cbranch_vccnz .LBB348_2103
; %bb.2084:
	s_cmp_lt_i32 s12, 2
	s_cbranch_scc1 .LBB348_2088
; %bb.2085:
	s_cmp_lt_i32 s12, 3
	s_cbranch_scc1 .LBB348_2089
; %bb.2086:
	s_cmp_gt_i32 s12, 3
	s_cbranch_scc0 .LBB348_2090
; %bb.2087:
	s_wait_loadcnt 0x0
	global_load_b32 v18, v[16:17], off
	s_mov_b32 s13, 0
	s_branch .LBB348_2091
.LBB348_2088:
	s_mov_b32 s13, -1
                                        ; implicit-def: $vgpr18
	s_branch .LBB348_2097
.LBB348_2089:
	s_mov_b32 s13, -1
                                        ; implicit-def: $vgpr18
	s_branch .LBB348_2094
.LBB348_2090:
	s_mov_b32 s13, -1
                                        ; implicit-def: $vgpr18
.LBB348_2091:
	s_delay_alu instid0(SALU_CYCLE_1)
	s_and_not1_b32 vcc_lo, exec_lo, s13
	s_cbranch_vccnz .LBB348_2093
; %bb.2092:
	s_wait_loadcnt 0x0
	global_load_b32 v18, v[16:17], off
.LBB348_2093:
	s_mov_b32 s13, 0
.LBB348_2094:
	s_delay_alu instid0(SALU_CYCLE_1)
	s_and_not1_b32 vcc_lo, exec_lo, s13
	s_cbranch_vccnz .LBB348_2096
; %bb.2095:
	s_wait_loadcnt 0x0
	global_load_i16 v18, v[16:17], off
.LBB348_2096:
	s_mov_b32 s13, 0
.LBB348_2097:
	s_delay_alu instid0(SALU_CYCLE_1)
	s_and_not1_b32 vcc_lo, exec_lo, s13
	s_cbranch_vccnz .LBB348_2103
; %bb.2098:
	s_cmp_gt_i32 s12, 0
	s_mov_b32 s13, 0
	s_cbranch_scc0 .LBB348_2100
; %bb.2099:
	s_wait_loadcnt 0x0
	global_load_i8 v18, v[16:17], off
	s_branch .LBB348_2101
.LBB348_2100:
	s_mov_b32 s13, -1
                                        ; implicit-def: $vgpr18
.LBB348_2101:
	s_delay_alu instid0(SALU_CYCLE_1)
	s_and_not1_b32 vcc_lo, exec_lo, s13
	s_cbranch_vccnz .LBB348_2103
; %bb.2102:
	s_wait_loadcnt 0x0
	global_load_u8 v18, v[16:17], off
.LBB348_2103:
	s_mov_b32 s15, -1
.LBB348_2104:
	s_delay_alu instid0(SALU_CYCLE_1)
	s_and_not1_b32 vcc_lo, exec_lo, s15
	s_cbranch_vccnz .LBB348_3047
; %bb.2105:
	v_mov_b32_e32 v15, 0
	s_cmp_lt_i32 s11, 11
	s_delay_alu instid0(VALU_DEP_1)
	v_add_nc_u64_e32 v[14:15], s[6:7], v[14:15]
	s_cbranch_scc1 .LBB348_2112
; %bb.2106:
	s_cmp_gt_i32 s11, 25
	s_mov_b32 s14, 0
	s_cbranch_scc0 .LBB348_2113
; %bb.2107:
	s_cmp_gt_i32 s11, 28
	s_cbranch_scc0 .LBB348_2114
; %bb.2108:
	s_cmp_gt_i32 s11, 43
	s_cbranch_scc0 .LBB348_2115
; %bb.2109:
	s_cmp_gt_i32 s11, 45
	s_cbranch_scc0 .LBB348_2117
; %bb.2110:
	s_cmp_eq_u32 s11, 46
	s_mov_b32 s16, 0
	s_cbranch_scc0 .LBB348_2118
; %bb.2111:
	global_load_b32 v7, v[14:15], off
	s_mov_b32 s13, 0
	s_mov_b32 s15, -1
	s_wait_loadcnt 0x0
	v_lshlrev_b32_e32 v7, 16, v7
	s_wait_xcnt 0x1
	s_delay_alu instid0(VALU_DEP_1)
	v_cvt_u32_f32_e32 v16, v7
	s_branch .LBB348_2120
.LBB348_2112:
	s_mov_b32 s13, -1
	s_mov_b32 s15, 0
                                        ; implicit-def: $vgpr16
	s_branch .LBB348_2182
.LBB348_2113:
	s_mov_b32 s16, -1
	s_mov_b32 s15, 0
	s_mov_b32 s13, 0
                                        ; implicit-def: $vgpr16
	s_branch .LBB348_2147
.LBB348_2114:
	s_mov_b32 s16, -1
	s_mov_b32 s15, 0
	s_mov_b32 s13, 0
                                        ; implicit-def: $vgpr16
	s_branch .LBB348_2130
.LBB348_2115:
	s_mov_b32 s16, -1
	s_mov_b32 s15, 0
	s_mov_b32 s13, 0
                                        ; implicit-def: $vgpr16
	s_branch .LBB348_2125
.LBB348_2116:
	s_or_b32 s10, s10, exec_lo
	s_trap 2
	s_cbranch_execz .LBB348_2053
	s_branch .LBB348_2054
.LBB348_2117:
	s_mov_b32 s16, -1
	s_mov_b32 s15, 0
	s_mov_b32 s13, 0
	s_branch .LBB348_2119
.LBB348_2118:
	s_mov_b32 s13, -1
	s_mov_b32 s15, 0
.LBB348_2119:
                                        ; implicit-def: $vgpr16
.LBB348_2120:
	s_and_b32 vcc_lo, exec_lo, s16
	s_cbranch_vccz .LBB348_2124
; %bb.2121:
	s_cmp_eq_u32 s11, 44
	s_cbranch_scc0 .LBB348_2123
; %bb.2122:
	global_load_u8 v7, v[14:15], off
	s_mov_b32 s13, 0
	s_mov_b32 s15, -1
	s_wait_loadcnt 0x0
	v_lshlrev_b32_e32 v9, 23, v7
	v_cmp_ne_u32_e32 vcc_lo, 0, v7
	s_delay_alu instid0(VALU_DEP_2) | instskip(SKIP_1) | instid1(VALU_DEP_1)
	v_cvt_u32_f32_e32 v9, v9
	s_wait_xcnt 0x1
	v_cndmask_b32_e32 v16, 0, v9, vcc_lo
	s_branch .LBB348_2124
.LBB348_2123:
	s_mov_b32 s13, -1
                                        ; implicit-def: $vgpr16
.LBB348_2124:
	s_mov_b32 s16, 0
.LBB348_2125:
	s_delay_alu instid0(SALU_CYCLE_1)
	s_and_b32 vcc_lo, exec_lo, s16
	s_cbranch_vccz .LBB348_2129
; %bb.2126:
	s_cmp_eq_u32 s11, 29
	s_cbranch_scc0 .LBB348_2128
; %bb.2127:
	global_load_b32 v16, v[14:15], off
	s_mov_b32 s13, 0
	s_mov_b32 s15, -1
	s_branch .LBB348_2129
.LBB348_2128:
	s_mov_b32 s13, -1
                                        ; implicit-def: $vgpr16
.LBB348_2129:
	s_mov_b32 s16, 0
.LBB348_2130:
	s_delay_alu instid0(SALU_CYCLE_1)
	s_and_b32 vcc_lo, exec_lo, s16
	s_cbranch_vccz .LBB348_2146
; %bb.2131:
	s_cmp_lt_i32 s11, 27
	s_cbranch_scc1 .LBB348_2134
; %bb.2132:
	s_cmp_gt_i32 s11, 27
	s_cbranch_scc0 .LBB348_2135
; %bb.2133:
	s_wait_loadcnt 0x0
	global_load_b32 v16, v[14:15], off
	s_mov_b32 s15, 0
	s_branch .LBB348_2136
.LBB348_2134:
	s_mov_b32 s15, -1
                                        ; implicit-def: $vgpr16
	s_branch .LBB348_2139
.LBB348_2135:
	s_mov_b32 s15, -1
                                        ; implicit-def: $vgpr16
.LBB348_2136:
	s_delay_alu instid0(SALU_CYCLE_1)
	s_and_not1_b32 vcc_lo, exec_lo, s15
	s_cbranch_vccnz .LBB348_2138
; %bb.2137:
	s_wait_loadcnt 0x0
	global_load_u16 v16, v[14:15], off
.LBB348_2138:
	s_mov_b32 s15, 0
.LBB348_2139:
	s_delay_alu instid0(SALU_CYCLE_1)
	s_and_not1_b32 vcc_lo, exec_lo, s15
	s_cbranch_vccnz .LBB348_2145
; %bb.2140:
	global_load_u8 v7, v[14:15], off
	s_mov_b32 s16, 0
	s_mov_b32 s15, exec_lo
	s_wait_loadcnt 0x0
	v_cmpx_lt_i16_e32 0x7f, v7
	s_xor_b32 s15, exec_lo, s15
	s_cbranch_execz .LBB348_2157
; %bb.2141:
	v_cmp_ne_u16_e32 vcc_lo, 0x80, v7
	s_and_b32 s16, vcc_lo, exec_lo
	s_and_not1_saveexec_b32 s15, s15
	s_cbranch_execnz .LBB348_2158
.LBB348_2142:
	s_or_b32 exec_lo, exec_lo, s15
	v_mov_b32_e32 v16, 0
	s_and_saveexec_b32 s15, s16
	s_cbranch_execz .LBB348_2144
.LBB348_2143:
	v_and_b32_e32 v9, 0xffff, v7
	s_delay_alu instid0(VALU_DEP_1) | instskip(SKIP_1) | instid1(VALU_DEP_2)
	v_dual_lshlrev_b32 v7, 24, v7 :: v_dual_bitop2_b32 v11, 7, v9 bitop3:0x40
	v_bfe_u32 v17, v9, 3, 4
	v_and_b32_e32 v7, 0x80000000, v7
	s_delay_alu instid0(VALU_DEP_3) | instskip(NEXT) | instid1(VALU_DEP_3)
	v_clz_i32_u32_e32 v13, v11
	v_cmp_eq_u32_e32 vcc_lo, 0, v17
	s_delay_alu instid0(VALU_DEP_2) | instskip(NEXT) | instid1(VALU_DEP_1)
	v_min_u32_e32 v13, 32, v13
	v_subrev_nc_u32_e32 v16, 28, v13
	v_sub_nc_u32_e32 v13, 29, v13
	s_delay_alu instid0(VALU_DEP_2) | instskip(NEXT) | instid1(VALU_DEP_2)
	v_lshlrev_b32_e32 v9, v16, v9
	v_cndmask_b32_e32 v13, v17, v13, vcc_lo
	s_delay_alu instid0(VALU_DEP_2) | instskip(NEXT) | instid1(VALU_DEP_1)
	v_and_b32_e32 v9, 7, v9
	v_cndmask_b32_e32 v9, v11, v9, vcc_lo
	s_delay_alu instid0(VALU_DEP_3) | instskip(NEXT) | instid1(VALU_DEP_2)
	v_lshl_add_u32 v11, v13, 23, 0x3b800000
	v_lshlrev_b32_e32 v9, 20, v9
	s_delay_alu instid0(VALU_DEP_1) | instskip(NEXT) | instid1(VALU_DEP_1)
	v_or3_b32 v7, v7, v11, v9
	v_cvt_u32_f32_e32 v16, v7
.LBB348_2144:
	s_or_b32 exec_lo, exec_lo, s15
.LBB348_2145:
	s_mov_b32 s15, -1
.LBB348_2146:
	s_mov_b32 s16, 0
.LBB348_2147:
	s_delay_alu instid0(SALU_CYCLE_1)
	s_and_b32 vcc_lo, exec_lo, s16
	s_cbranch_vccz .LBB348_2178
; %bb.2148:
	s_cmp_gt_i32 s11, 22
	s_cbranch_scc0 .LBB348_2156
; %bb.2149:
	s_cmp_lt_i32 s11, 24
	s_cbranch_scc1 .LBB348_2159
; %bb.2150:
	s_cmp_gt_i32 s11, 24
	s_cbranch_scc0 .LBB348_2160
; %bb.2151:
	global_load_u8 v7, v[14:15], off
	s_mov_b32 s15, 0
	s_mov_b32 s14, exec_lo
	s_wait_loadcnt 0x0
	v_cmpx_lt_i16_e32 0x7f, v7
	s_xor_b32 s14, exec_lo, s14
	s_cbranch_execz .LBB348_2172
; %bb.2152:
	v_cmp_ne_u16_e32 vcc_lo, 0x80, v7
	s_and_b32 s15, vcc_lo, exec_lo
	s_and_not1_saveexec_b32 s14, s14
	s_cbranch_execnz .LBB348_2173
.LBB348_2153:
	s_or_b32 exec_lo, exec_lo, s14
	v_mov_b32_e32 v16, 0
	s_and_saveexec_b32 s14, s15
	s_cbranch_execz .LBB348_2155
.LBB348_2154:
	v_and_b32_e32 v9, 0xffff, v7
	s_delay_alu instid0(VALU_DEP_1) | instskip(SKIP_1) | instid1(VALU_DEP_2)
	v_dual_lshlrev_b32 v7, 24, v7 :: v_dual_bitop2_b32 v11, 3, v9 bitop3:0x40
	v_bfe_u32 v17, v9, 2, 5
	v_and_b32_e32 v7, 0x80000000, v7
	s_delay_alu instid0(VALU_DEP_3) | instskip(NEXT) | instid1(VALU_DEP_3)
	v_clz_i32_u32_e32 v13, v11
	v_cmp_eq_u32_e32 vcc_lo, 0, v17
	s_delay_alu instid0(VALU_DEP_2) | instskip(NEXT) | instid1(VALU_DEP_1)
	v_min_u32_e32 v13, 32, v13
	v_subrev_nc_u32_e32 v16, 29, v13
	v_sub_nc_u32_e32 v13, 30, v13
	s_delay_alu instid0(VALU_DEP_2) | instskip(NEXT) | instid1(VALU_DEP_2)
	v_lshlrev_b32_e32 v9, v16, v9
	v_cndmask_b32_e32 v13, v17, v13, vcc_lo
	s_delay_alu instid0(VALU_DEP_2) | instskip(NEXT) | instid1(VALU_DEP_1)
	v_and_b32_e32 v9, 3, v9
	v_cndmask_b32_e32 v9, v11, v9, vcc_lo
	s_delay_alu instid0(VALU_DEP_3) | instskip(NEXT) | instid1(VALU_DEP_2)
	v_lshl_add_u32 v11, v13, 23, 0x37800000
	v_lshlrev_b32_e32 v9, 21, v9
	s_delay_alu instid0(VALU_DEP_1) | instskip(NEXT) | instid1(VALU_DEP_1)
	v_or3_b32 v7, v7, v11, v9
	v_cvt_u32_f32_e32 v16, v7
.LBB348_2155:
	s_or_b32 exec_lo, exec_lo, s14
	s_mov_b32 s14, 0
	s_branch .LBB348_2161
.LBB348_2156:
	s_mov_b32 s14, -1
                                        ; implicit-def: $vgpr16
	s_branch .LBB348_2167
.LBB348_2157:
	s_and_not1_saveexec_b32 s15, s15
	s_cbranch_execz .LBB348_2142
.LBB348_2158:
	v_cmp_ne_u16_e32 vcc_lo, 0, v7
	s_and_not1_b32 s16, s16, exec_lo
	s_and_b32 s17, vcc_lo, exec_lo
	s_delay_alu instid0(SALU_CYCLE_1)
	s_or_b32 s16, s16, s17
	s_or_b32 exec_lo, exec_lo, s15
	v_mov_b32_e32 v16, 0
	s_and_saveexec_b32 s15, s16
	s_cbranch_execnz .LBB348_2143
	s_branch .LBB348_2144
.LBB348_2159:
	s_mov_b32 s14, -1
                                        ; implicit-def: $vgpr16
	s_branch .LBB348_2164
.LBB348_2160:
	s_mov_b32 s14, -1
                                        ; implicit-def: $vgpr16
.LBB348_2161:
	s_delay_alu instid0(SALU_CYCLE_1)
	s_and_b32 vcc_lo, exec_lo, s14
	s_cbranch_vccz .LBB348_2163
; %bb.2162:
	global_load_u8 v7, v[14:15], off
	s_wait_loadcnt 0x0
	v_lshlrev_b32_e32 v7, 24, v7
	s_delay_alu instid0(VALU_DEP_1) | instskip(NEXT) | instid1(VALU_DEP_1)
	v_and_b32_e32 v9, 0x7f000000, v7
	v_clz_i32_u32_e32 v11, v9
	v_cmp_ne_u32_e32 vcc_lo, 0, v9
	s_wait_xcnt 0x1
	v_add_nc_u32_e32 v16, 0x1000000, v9
	s_delay_alu instid0(VALU_DEP_3) | instskip(NEXT) | instid1(VALU_DEP_1)
	v_min_u32_e32 v11, 32, v11
	v_sub_nc_u32_e64 v11, v11, 4 clamp
	s_delay_alu instid0(VALU_DEP_1) | instskip(NEXT) | instid1(VALU_DEP_1)
	v_dual_lshlrev_b32 v13, v11, v9 :: v_dual_lshlrev_b32 v11, 23, v11
	v_lshrrev_b32_e32 v13, 4, v13
	s_delay_alu instid0(VALU_DEP_1) | instskip(NEXT) | instid1(VALU_DEP_1)
	v_dual_sub_nc_u32 v11, v13, v11 :: v_dual_ashrrev_i32 v13, 8, v16
	v_add_nc_u32_e32 v11, 0x3c000000, v11
	s_delay_alu instid0(VALU_DEP_1) | instskip(NEXT) | instid1(VALU_DEP_1)
	v_and_or_b32 v11, 0x7f800000, v13, v11
	v_cndmask_b32_e32 v9, 0, v11, vcc_lo
	s_delay_alu instid0(VALU_DEP_1) | instskip(NEXT) | instid1(VALU_DEP_1)
	v_and_or_b32 v7, 0x80000000, v7, v9
	v_cvt_u32_f32_e32 v16, v7
.LBB348_2163:
	s_mov_b32 s14, 0
.LBB348_2164:
	s_delay_alu instid0(SALU_CYCLE_1)
	s_and_not1_b32 vcc_lo, exec_lo, s14
	s_cbranch_vccnz .LBB348_2166
; %bb.2165:
	global_load_u8 v7, v[14:15], off
	s_wait_loadcnt 0x0
	v_lshlrev_b32_e32 v9, 25, v7
	v_lshlrev_b16 v7, 8, v7
	s_delay_alu instid0(VALU_DEP_1) | instskip(SKIP_1) | instid1(VALU_DEP_2)
	v_and_or_b32 v13, 0x7f00, v7, 0.5
	v_bfe_i32 v7, v7, 0, 16
	v_add_f32_e32 v13, -0.5, v13
	v_lshrrev_b32_e32 v11, 4, v9
	v_cmp_gt_u32_e32 vcc_lo, 0x8000000, v9
	s_delay_alu instid0(VALU_DEP_2) | instskip(NEXT) | instid1(VALU_DEP_1)
	v_or_b32_e32 v11, 0x70000000, v11
	v_mul_f32_e32 v11, 0x7800000, v11
	s_delay_alu instid0(VALU_DEP_1) | instskip(NEXT) | instid1(VALU_DEP_1)
	v_cndmask_b32_e32 v9, v11, v13, vcc_lo
	v_and_or_b32 v7, 0x80000000, v7, v9
	s_wait_xcnt 0x1
	s_delay_alu instid0(VALU_DEP_1)
	v_cvt_u32_f32_e32 v16, v7
.LBB348_2166:
	s_mov_b32 s14, 0
	s_mov_b32 s15, -1
.LBB348_2167:
	s_and_not1_b32 vcc_lo, exec_lo, s14
	s_mov_b32 s14, 0
	s_cbranch_vccnz .LBB348_2178
; %bb.2168:
	s_cmp_gt_i32 s11, 14
	s_cbranch_scc0 .LBB348_2171
; %bb.2169:
	s_cmp_eq_u32 s11, 15
	s_cbranch_scc0 .LBB348_2174
; %bb.2170:
	global_load_u16 v7, v[14:15], off
	s_mov_b32 s13, 0
	s_mov_b32 s15, -1
	s_wait_loadcnt 0x0
	v_lshlrev_b32_e32 v7, 16, v7
	s_wait_xcnt 0x1
	s_delay_alu instid0(VALU_DEP_1)
	v_cvt_u32_f32_e32 v16, v7
	s_branch .LBB348_2176
.LBB348_2171:
	s_mov_b32 s14, -1
	s_branch .LBB348_2175
.LBB348_2172:
	s_and_not1_saveexec_b32 s14, s14
	s_cbranch_execz .LBB348_2153
.LBB348_2173:
	v_cmp_ne_u16_e32 vcc_lo, 0, v7
	s_and_not1_b32 s15, s15, exec_lo
	s_and_b32 s16, vcc_lo, exec_lo
	s_delay_alu instid0(SALU_CYCLE_1)
	s_or_b32 s15, s15, s16
	s_or_b32 exec_lo, exec_lo, s14
	v_mov_b32_e32 v16, 0
	s_and_saveexec_b32 s14, s15
	s_cbranch_execnz .LBB348_2154
	s_branch .LBB348_2155
.LBB348_2174:
	s_mov_b32 s13, -1
.LBB348_2175:
                                        ; implicit-def: $vgpr16
.LBB348_2176:
	s_and_b32 vcc_lo, exec_lo, s14
	s_mov_b32 s14, 0
	s_cbranch_vccz .LBB348_2178
; %bb.2177:
	s_cmp_lg_u32 s11, 11
	s_mov_b32 s14, -1
	s_cselect_b32 s13, -1, 0
.LBB348_2178:
	s_delay_alu instid0(SALU_CYCLE_1)
	s_and_b32 vcc_lo, exec_lo, s13
	s_cbranch_vccnz .LBB348_2243
; %bb.2179:
	s_and_not1_b32 vcc_lo, exec_lo, s14
	s_cbranch_vccnz .LBB348_2181
.LBB348_2180:
	global_load_u8 v7, v[14:15], off
	s_mov_b32 s15, -1
	s_wait_loadcnt 0x0
	v_cmp_ne_u16_e32 vcc_lo, 0, v7
	s_wait_xcnt 0x1
	v_cndmask_b32_e64 v16, 0, 1, vcc_lo
.LBB348_2181:
	s_mov_b32 s13, 0
.LBB348_2182:
	s_delay_alu instid0(SALU_CYCLE_1)
	s_and_b32 vcc_lo, exec_lo, s13
	s_cbranch_vccz .LBB348_2231
; %bb.2183:
	s_cmp_lt_i32 s11, 5
	s_cbranch_scc1 .LBB348_2188
; %bb.2184:
	s_cmp_lt_i32 s11, 8
	s_cbranch_scc1 .LBB348_2189
	;; [unrolled: 3-line block ×3, first 2 shown]
; %bb.2186:
	s_cmp_gt_i32 s11, 9
	s_cbranch_scc0 .LBB348_2191
; %bb.2187:
	s_wait_loadcnt 0x0
	global_load_b64 v[16:17], v[14:15], off
	s_mov_b32 s13, 0
	s_wait_loadcnt 0x0
	v_cvt_u32_f64_e32 v16, v[16:17]
	s_branch .LBB348_2192
.LBB348_2188:
	s_mov_b32 s13, -1
                                        ; implicit-def: $vgpr16
	s_branch .LBB348_2210
.LBB348_2189:
	s_mov_b32 s13, -1
                                        ; implicit-def: $vgpr16
	s_branch .LBB348_2198
.LBB348_2190:
	s_mov_b32 s13, -1
                                        ; implicit-def: $vgpr16
	s_branch .LBB348_2195
.LBB348_2191:
	s_mov_b32 s13, -1
                                        ; implicit-def: $vgpr16
.LBB348_2192:
	s_delay_alu instid0(SALU_CYCLE_1)
	s_and_not1_b32 vcc_lo, exec_lo, s13
	s_cbranch_vccnz .LBB348_2194
; %bb.2193:
	global_load_b32 v7, v[14:15], off
	s_wait_loadcnt 0x0
	s_wait_xcnt 0x1
	v_cvt_u32_f32_e32 v16, v7
.LBB348_2194:
	s_mov_b32 s13, 0
.LBB348_2195:
	s_delay_alu instid0(SALU_CYCLE_1)
	s_and_not1_b32 vcc_lo, exec_lo, s13
	s_cbranch_vccnz .LBB348_2197
; %bb.2196:
	global_load_b32 v7, v[14:15], off
	s_wait_loadcnt 0x0
	v_cvt_f32_f16_e32 v7, v7
	s_wait_xcnt 0x1
	s_delay_alu instid0(VALU_DEP_1)
	v_cvt_u32_f32_e32 v16, v7
.LBB348_2197:
	s_mov_b32 s13, 0
.LBB348_2198:
	s_delay_alu instid0(SALU_CYCLE_1)
	s_and_not1_b32 vcc_lo, exec_lo, s13
	s_cbranch_vccnz .LBB348_2209
; %bb.2199:
	s_cmp_lt_i32 s11, 6
	s_cbranch_scc1 .LBB348_2202
; %bb.2200:
	s_cmp_gt_i32 s11, 6
	s_cbranch_scc0 .LBB348_2203
; %bb.2201:
	s_wait_loadcnt 0x0
	global_load_b64 v[16:17], v[14:15], off
	s_mov_b32 s13, 0
	s_wait_loadcnt 0x0
	v_cvt_u32_f64_e32 v16, v[16:17]
	s_branch .LBB348_2204
.LBB348_2202:
	s_mov_b32 s13, -1
                                        ; implicit-def: $vgpr16
	s_branch .LBB348_2207
.LBB348_2203:
	s_mov_b32 s13, -1
                                        ; implicit-def: $vgpr16
.LBB348_2204:
	s_delay_alu instid0(SALU_CYCLE_1)
	s_and_not1_b32 vcc_lo, exec_lo, s13
	s_cbranch_vccnz .LBB348_2206
; %bb.2205:
	global_load_b32 v7, v[14:15], off
	s_wait_loadcnt 0x0
	s_wait_xcnt 0x1
	v_cvt_u32_f32_e32 v16, v7
.LBB348_2206:
	s_mov_b32 s13, 0
.LBB348_2207:
	s_delay_alu instid0(SALU_CYCLE_1)
	s_and_not1_b32 vcc_lo, exec_lo, s13
	s_cbranch_vccnz .LBB348_2209
; %bb.2208:
	global_load_u16 v7, v[14:15], off
	s_wait_loadcnt 0x0
	v_cvt_f32_f16_e32 v7, v7
	s_wait_xcnt 0x1
	s_delay_alu instid0(VALU_DEP_1)
	v_cvt_u32_f32_e32 v16, v7
.LBB348_2209:
	s_mov_b32 s13, 0
.LBB348_2210:
	s_delay_alu instid0(SALU_CYCLE_1)
	s_and_not1_b32 vcc_lo, exec_lo, s13
	s_cbranch_vccnz .LBB348_2230
; %bb.2211:
	s_cmp_lt_i32 s11, 2
	s_cbranch_scc1 .LBB348_2215
; %bb.2212:
	s_cmp_lt_i32 s11, 3
	s_cbranch_scc1 .LBB348_2216
; %bb.2213:
	s_cmp_gt_i32 s11, 3
	s_cbranch_scc0 .LBB348_2217
; %bb.2214:
	s_wait_loadcnt 0x0
	global_load_b32 v16, v[14:15], off
	s_mov_b32 s13, 0
	s_branch .LBB348_2218
.LBB348_2215:
	s_mov_b32 s13, -1
                                        ; implicit-def: $vgpr16
	s_branch .LBB348_2224
.LBB348_2216:
	s_mov_b32 s13, -1
                                        ; implicit-def: $vgpr16
	s_branch .LBB348_2221
.LBB348_2217:
	s_mov_b32 s13, -1
                                        ; implicit-def: $vgpr16
.LBB348_2218:
	s_delay_alu instid0(SALU_CYCLE_1)
	s_and_not1_b32 vcc_lo, exec_lo, s13
	s_cbranch_vccnz .LBB348_2220
; %bb.2219:
	s_wait_loadcnt 0x0
	global_load_b32 v16, v[14:15], off
.LBB348_2220:
	s_mov_b32 s13, 0
.LBB348_2221:
	s_delay_alu instid0(SALU_CYCLE_1)
	s_and_not1_b32 vcc_lo, exec_lo, s13
	s_cbranch_vccnz .LBB348_2223
; %bb.2222:
	s_wait_loadcnt 0x0
	global_load_i16 v16, v[14:15], off
.LBB348_2223:
	s_mov_b32 s13, 0
.LBB348_2224:
	s_delay_alu instid0(SALU_CYCLE_1)
	s_and_not1_b32 vcc_lo, exec_lo, s13
	s_cbranch_vccnz .LBB348_2230
; %bb.2225:
	s_cmp_gt_i32 s11, 0
	s_mov_b32 s13, 0
	s_cbranch_scc0 .LBB348_2227
; %bb.2226:
	s_wait_loadcnt 0x0
	global_load_i8 v16, v[14:15], off
	s_branch .LBB348_2228
.LBB348_2227:
	s_mov_b32 s13, -1
                                        ; implicit-def: $vgpr16
.LBB348_2228:
	s_delay_alu instid0(SALU_CYCLE_1)
	s_and_not1_b32 vcc_lo, exec_lo, s13
	s_cbranch_vccnz .LBB348_2230
; %bb.2229:
	s_wait_loadcnt 0x0
	global_load_u8 v16, v[14:15], off
.LBB348_2230:
	s_mov_b32 s15, -1
.LBB348_2231:
	s_delay_alu instid0(SALU_CYCLE_1)
	s_and_not1_b32 vcc_lo, exec_lo, s15
	s_cbranch_vccnz .LBB348_3047
; %bb.2232:
	v_mov_b32_e32 v13, 0
	s_cmp_lt_i32 s12, 11
	s_delay_alu instid0(VALU_DEP_1)
	v_add_nc_u64_e32 v[12:13], s[0:1], v[12:13]
	s_cbranch_scc1 .LBB348_2239
; %bb.2233:
	s_cmp_gt_i32 s12, 25
	s_mov_b32 s14, 0
	s_cbranch_scc0 .LBB348_2240
; %bb.2234:
	s_cmp_gt_i32 s12, 28
	s_cbranch_scc0 .LBB348_2241
; %bb.2235:
	s_cmp_gt_i32 s12, 43
	;; [unrolled: 3-line block ×3, first 2 shown]
	s_cbranch_scc0 .LBB348_2244
; %bb.2237:
	s_cmp_eq_u32 s12, 46
	s_mov_b32 s16, 0
	s_cbranch_scc0 .LBB348_2247
; %bb.2238:
	global_load_b32 v7, v[12:13], off
	s_mov_b32 s13, 0
	s_mov_b32 s15, -1
	s_wait_loadcnt 0x0
	v_lshlrev_b32_e32 v7, 16, v7
	s_wait_xcnt 0x1
	s_delay_alu instid0(VALU_DEP_1)
	v_cvt_u32_f32_e32 v14, v7
	s_branch .LBB348_2249
.LBB348_2239:
	s_mov_b32 s13, -1
	s_mov_b32 s15, 0
                                        ; implicit-def: $vgpr14
	s_branch .LBB348_2311
.LBB348_2240:
	s_mov_b32 s16, -1
	s_mov_b32 s15, 0
	s_mov_b32 s13, 0
                                        ; implicit-def: $vgpr14
	s_branch .LBB348_2276
.LBB348_2241:
	s_mov_b32 s16, -1
	s_mov_b32 s15, 0
	s_mov_b32 s13, 0
                                        ; implicit-def: $vgpr14
	s_branch .LBB348_2259
.LBB348_2242:
	s_mov_b32 s16, -1
	s_mov_b32 s15, 0
	s_mov_b32 s13, 0
                                        ; implicit-def: $vgpr14
	s_branch .LBB348_2254
.LBB348_2243:
	s_or_b32 s10, s10, exec_lo
	s_trap 2
	s_cbranch_execz .LBB348_2180
	s_branch .LBB348_2181
.LBB348_2244:
	s_mov_b32 s16, -1
	s_mov_b32 s15, 0
	s_mov_b32 s13, 0
	s_branch .LBB348_2248
.LBB348_2245:
	s_and_not1_saveexec_b32 s53, s53
	s_cbranch_execz .LBB348_1097
.LBB348_2246:
	v_add_f32_e32 v1, 0x42800000, v4
	s_and_not1_b32 s52, s52, exec_lo
	s_delay_alu instid0(VALU_DEP_1) | instskip(NEXT) | instid1(VALU_DEP_1)
	v_and_b32_e32 v1, 0xff, v1
	v_cmp_ne_u32_e32 vcc_lo, 0, v1
	s_and_b32 s54, vcc_lo, exec_lo
	s_delay_alu instid0(SALU_CYCLE_1)
	s_or_b32 s52, s52, s54
	s_or_b32 exec_lo, exec_lo, s53
	v_mov_b32_e32 v5, 0
	s_and_saveexec_b32 s53, s52
	s_cbranch_execnz .LBB348_1098
	s_branch .LBB348_1099
.LBB348_2247:
	s_mov_b32 s13, -1
	s_mov_b32 s15, 0
.LBB348_2248:
                                        ; implicit-def: $vgpr14
.LBB348_2249:
	s_and_b32 vcc_lo, exec_lo, s16
	s_cbranch_vccz .LBB348_2253
; %bb.2250:
	s_cmp_eq_u32 s12, 44
	s_cbranch_scc0 .LBB348_2252
; %bb.2251:
	global_load_u8 v7, v[12:13], off
	s_mov_b32 s13, 0
	s_mov_b32 s15, -1
	s_wait_loadcnt 0x0
	v_lshlrev_b32_e32 v9, 23, v7
	v_cmp_ne_u32_e32 vcc_lo, 0, v7
	s_delay_alu instid0(VALU_DEP_2) | instskip(SKIP_1) | instid1(VALU_DEP_1)
	v_cvt_u32_f32_e32 v9, v9
	s_wait_xcnt 0x1
	v_cndmask_b32_e32 v14, 0, v9, vcc_lo
	s_branch .LBB348_2253
.LBB348_2252:
	s_mov_b32 s13, -1
                                        ; implicit-def: $vgpr14
.LBB348_2253:
	s_mov_b32 s16, 0
.LBB348_2254:
	s_delay_alu instid0(SALU_CYCLE_1)
	s_and_b32 vcc_lo, exec_lo, s16
	s_cbranch_vccz .LBB348_2258
; %bb.2255:
	s_cmp_eq_u32 s12, 29
	s_cbranch_scc0 .LBB348_2257
; %bb.2256:
	global_load_b32 v14, v[12:13], off
	s_mov_b32 s13, 0
	s_mov_b32 s15, -1
	s_branch .LBB348_2258
.LBB348_2257:
	s_mov_b32 s13, -1
                                        ; implicit-def: $vgpr14
.LBB348_2258:
	s_mov_b32 s16, 0
.LBB348_2259:
	s_delay_alu instid0(SALU_CYCLE_1)
	s_and_b32 vcc_lo, exec_lo, s16
	s_cbranch_vccz .LBB348_2275
; %bb.2260:
	s_cmp_lt_i32 s12, 27
	s_cbranch_scc1 .LBB348_2263
; %bb.2261:
	s_cmp_gt_i32 s12, 27
	s_cbranch_scc0 .LBB348_2264
; %bb.2262:
	s_wait_loadcnt 0x0
	global_load_b32 v14, v[12:13], off
	s_mov_b32 s15, 0
	s_branch .LBB348_2265
.LBB348_2263:
	s_mov_b32 s15, -1
                                        ; implicit-def: $vgpr14
	s_branch .LBB348_2268
.LBB348_2264:
	s_mov_b32 s15, -1
                                        ; implicit-def: $vgpr14
.LBB348_2265:
	s_delay_alu instid0(SALU_CYCLE_1)
	s_and_not1_b32 vcc_lo, exec_lo, s15
	s_cbranch_vccnz .LBB348_2267
; %bb.2266:
	s_wait_loadcnt 0x0
	global_load_u16 v14, v[12:13], off
.LBB348_2267:
	s_mov_b32 s15, 0
.LBB348_2268:
	s_delay_alu instid0(SALU_CYCLE_1)
	s_and_not1_b32 vcc_lo, exec_lo, s15
	s_cbranch_vccnz .LBB348_2274
; %bb.2269:
	global_load_u8 v7, v[12:13], off
	s_mov_b32 s16, 0
	s_mov_b32 s15, exec_lo
	s_wait_loadcnt 0x0
	v_cmpx_lt_i16_e32 0x7f, v7
	s_xor_b32 s15, exec_lo, s15
	s_cbranch_execz .LBB348_2286
; %bb.2270:
	v_cmp_ne_u16_e32 vcc_lo, 0x80, v7
	s_and_b32 s16, vcc_lo, exec_lo
	s_and_not1_saveexec_b32 s15, s15
	s_cbranch_execnz .LBB348_2287
.LBB348_2271:
	s_or_b32 exec_lo, exec_lo, s15
	v_mov_b32_e32 v14, 0
	s_and_saveexec_b32 s15, s16
	s_cbranch_execz .LBB348_2273
.LBB348_2272:
	v_and_b32_e32 v9, 0xffff, v7
	s_delay_alu instid0(VALU_DEP_1) | instskip(SKIP_1) | instid1(VALU_DEP_2)
	v_and_b32_e32 v11, 7, v9
	v_bfe_u32 v17, v9, 3, 4
	v_clz_i32_u32_e32 v14, v11
	s_delay_alu instid0(VALU_DEP_2) | instskip(NEXT) | instid1(VALU_DEP_2)
	v_cmp_eq_u32_e32 vcc_lo, 0, v17
	v_min_u32_e32 v14, 32, v14
	s_delay_alu instid0(VALU_DEP_1) | instskip(NEXT) | instid1(VALU_DEP_1)
	v_subrev_nc_u32_e32 v15, 28, v14
	v_dual_lshlrev_b32 v9, v15, v9 :: v_dual_sub_nc_u32 v14, 29, v14
	s_delay_alu instid0(VALU_DEP_1) | instskip(NEXT) | instid1(VALU_DEP_1)
	v_dual_lshlrev_b32 v7, 24, v7 :: v_dual_bitop2_b32 v9, 7, v9 bitop3:0x40
	v_dual_cndmask_b32 v14, v17, v14 :: v_dual_cndmask_b32 v9, v11, v9
	s_delay_alu instid0(VALU_DEP_2) | instskip(NEXT) | instid1(VALU_DEP_2)
	v_and_b32_e32 v7, 0x80000000, v7
	v_lshl_add_u32 v11, v14, 23, 0x3b800000
	s_delay_alu instid0(VALU_DEP_3) | instskip(NEXT) | instid1(VALU_DEP_1)
	v_lshlrev_b32_e32 v9, 20, v9
	v_or3_b32 v7, v7, v11, v9
	s_delay_alu instid0(VALU_DEP_1)
	v_cvt_u32_f32_e32 v14, v7
.LBB348_2273:
	s_or_b32 exec_lo, exec_lo, s15
.LBB348_2274:
	s_mov_b32 s15, -1
.LBB348_2275:
	s_mov_b32 s16, 0
.LBB348_2276:
	s_delay_alu instid0(SALU_CYCLE_1)
	s_and_b32 vcc_lo, exec_lo, s16
	s_cbranch_vccz .LBB348_2307
; %bb.2277:
	s_cmp_gt_i32 s12, 22
	s_cbranch_scc0 .LBB348_2285
; %bb.2278:
	s_cmp_lt_i32 s12, 24
	s_cbranch_scc1 .LBB348_2288
; %bb.2279:
	s_cmp_gt_i32 s12, 24
	s_cbranch_scc0 .LBB348_2289
; %bb.2280:
	global_load_u8 v7, v[12:13], off
	s_mov_b32 s15, 0
	s_mov_b32 s14, exec_lo
	s_wait_loadcnt 0x0
	v_cmpx_lt_i16_e32 0x7f, v7
	s_xor_b32 s14, exec_lo, s14
	s_cbranch_execz .LBB348_2301
; %bb.2281:
	v_cmp_ne_u16_e32 vcc_lo, 0x80, v7
	s_and_b32 s15, vcc_lo, exec_lo
	s_and_not1_saveexec_b32 s14, s14
	s_cbranch_execnz .LBB348_2302
.LBB348_2282:
	s_or_b32 exec_lo, exec_lo, s14
	v_mov_b32_e32 v14, 0
	s_and_saveexec_b32 s14, s15
	s_cbranch_execz .LBB348_2284
.LBB348_2283:
	v_and_b32_e32 v9, 0xffff, v7
	s_delay_alu instid0(VALU_DEP_1) | instskip(SKIP_1) | instid1(VALU_DEP_2)
	v_and_b32_e32 v11, 3, v9
	v_bfe_u32 v17, v9, 2, 5
	v_clz_i32_u32_e32 v14, v11
	s_delay_alu instid0(VALU_DEP_2) | instskip(NEXT) | instid1(VALU_DEP_2)
	v_cmp_eq_u32_e32 vcc_lo, 0, v17
	v_min_u32_e32 v14, 32, v14
	s_delay_alu instid0(VALU_DEP_1) | instskip(NEXT) | instid1(VALU_DEP_1)
	v_subrev_nc_u32_e32 v15, 29, v14
	v_dual_lshlrev_b32 v9, v15, v9 :: v_dual_sub_nc_u32 v14, 30, v14
	s_delay_alu instid0(VALU_DEP_1) | instskip(NEXT) | instid1(VALU_DEP_1)
	v_dual_lshlrev_b32 v7, 24, v7 :: v_dual_bitop2_b32 v9, 3, v9 bitop3:0x40
	v_dual_cndmask_b32 v14, v17, v14 :: v_dual_cndmask_b32 v9, v11, v9
	s_delay_alu instid0(VALU_DEP_2) | instskip(NEXT) | instid1(VALU_DEP_2)
	v_and_b32_e32 v7, 0x80000000, v7
	v_lshl_add_u32 v11, v14, 23, 0x37800000
	s_delay_alu instid0(VALU_DEP_3) | instskip(NEXT) | instid1(VALU_DEP_1)
	v_lshlrev_b32_e32 v9, 21, v9
	v_or3_b32 v7, v7, v11, v9
	s_delay_alu instid0(VALU_DEP_1)
	v_cvt_u32_f32_e32 v14, v7
.LBB348_2284:
	s_or_b32 exec_lo, exec_lo, s14
	s_mov_b32 s14, 0
	s_branch .LBB348_2290
.LBB348_2285:
	s_mov_b32 s14, -1
                                        ; implicit-def: $vgpr14
	s_branch .LBB348_2296
.LBB348_2286:
	s_and_not1_saveexec_b32 s15, s15
	s_cbranch_execz .LBB348_2271
.LBB348_2287:
	v_cmp_ne_u16_e32 vcc_lo, 0, v7
	s_and_not1_b32 s16, s16, exec_lo
	s_and_b32 s17, vcc_lo, exec_lo
	s_delay_alu instid0(SALU_CYCLE_1)
	s_or_b32 s16, s16, s17
	s_or_b32 exec_lo, exec_lo, s15
	v_mov_b32_e32 v14, 0
	s_and_saveexec_b32 s15, s16
	s_cbranch_execnz .LBB348_2272
	s_branch .LBB348_2273
.LBB348_2288:
	s_mov_b32 s14, -1
                                        ; implicit-def: $vgpr14
	s_branch .LBB348_2293
.LBB348_2289:
	s_mov_b32 s14, -1
                                        ; implicit-def: $vgpr14
.LBB348_2290:
	s_delay_alu instid0(SALU_CYCLE_1)
	s_and_b32 vcc_lo, exec_lo, s14
	s_cbranch_vccz .LBB348_2292
; %bb.2291:
	global_load_u8 v7, v[12:13], off
	s_wait_loadcnt 0x0
	v_lshlrev_b32_e32 v7, 24, v7
	s_delay_alu instid0(VALU_DEP_1) | instskip(NEXT) | instid1(VALU_DEP_1)
	v_and_b32_e32 v9, 0x7f000000, v7
	v_clz_i32_u32_e32 v11, v9
	s_wait_xcnt 0x1
	v_add_nc_u32_e32 v15, 0x1000000, v9
	v_cmp_ne_u32_e32 vcc_lo, 0, v9
	s_delay_alu instid0(VALU_DEP_3) | instskip(NEXT) | instid1(VALU_DEP_1)
	v_min_u32_e32 v11, 32, v11
	v_sub_nc_u32_e64 v11, v11, 4 clamp
	s_delay_alu instid0(VALU_DEP_1) | instskip(NEXT) | instid1(VALU_DEP_1)
	v_dual_lshlrev_b32 v14, v11, v9 :: v_dual_lshlrev_b32 v11, 23, v11
	v_lshrrev_b32_e32 v14, 4, v14
	s_delay_alu instid0(VALU_DEP_1) | instskip(SKIP_1) | instid1(VALU_DEP_2)
	v_sub_nc_u32_e32 v11, v14, v11
	v_ashrrev_i32_e32 v14, 8, v15
	v_add_nc_u32_e32 v11, 0x3c000000, v11
	s_delay_alu instid0(VALU_DEP_1) | instskip(NEXT) | instid1(VALU_DEP_1)
	v_and_or_b32 v11, 0x7f800000, v14, v11
	v_cndmask_b32_e32 v9, 0, v11, vcc_lo
	s_delay_alu instid0(VALU_DEP_1) | instskip(NEXT) | instid1(VALU_DEP_1)
	v_and_or_b32 v7, 0x80000000, v7, v9
	v_cvt_u32_f32_e32 v14, v7
.LBB348_2292:
	s_mov_b32 s14, 0
.LBB348_2293:
	s_delay_alu instid0(SALU_CYCLE_1)
	s_and_not1_b32 vcc_lo, exec_lo, s14
	s_cbranch_vccnz .LBB348_2295
; %bb.2294:
	global_load_u8 v7, v[12:13], off
	s_wait_loadcnt 0x0
	v_lshlrev_b32_e32 v9, 25, v7
	v_lshlrev_b16 v7, 8, v7
	s_wait_xcnt 0x1
	s_delay_alu instid0(VALU_DEP_1) | instskip(SKIP_1) | instid1(VALU_DEP_2)
	v_and_or_b32 v14, 0x7f00, v7, 0.5
	v_bfe_i32 v7, v7, 0, 16
	v_dual_add_f32 v14, -0.5, v14 :: v_dual_lshrrev_b32 v11, 4, v9
	v_cmp_gt_u32_e32 vcc_lo, 0x8000000, v9
	s_delay_alu instid0(VALU_DEP_2) | instskip(NEXT) | instid1(VALU_DEP_1)
	v_or_b32_e32 v11, 0x70000000, v11
	v_mul_f32_e32 v11, 0x7800000, v11
	s_delay_alu instid0(VALU_DEP_1) | instskip(NEXT) | instid1(VALU_DEP_1)
	v_cndmask_b32_e32 v9, v11, v14, vcc_lo
	v_and_or_b32 v7, 0x80000000, v7, v9
	s_delay_alu instid0(VALU_DEP_1)
	v_cvt_u32_f32_e32 v14, v7
.LBB348_2295:
	s_mov_b32 s14, 0
	s_mov_b32 s15, -1
.LBB348_2296:
	s_and_not1_b32 vcc_lo, exec_lo, s14
	s_mov_b32 s14, 0
	s_cbranch_vccnz .LBB348_2307
; %bb.2297:
	s_cmp_gt_i32 s12, 14
	s_cbranch_scc0 .LBB348_2300
; %bb.2298:
	s_cmp_eq_u32 s12, 15
	s_cbranch_scc0 .LBB348_2303
; %bb.2299:
	global_load_u16 v7, v[12:13], off
	s_mov_b32 s13, 0
	s_mov_b32 s15, -1
	s_wait_loadcnt 0x0
	v_lshlrev_b32_e32 v7, 16, v7
	s_wait_xcnt 0x1
	s_delay_alu instid0(VALU_DEP_1)
	v_cvt_u32_f32_e32 v14, v7
	s_branch .LBB348_2305
.LBB348_2300:
	s_mov_b32 s14, -1
	s_branch .LBB348_2304
.LBB348_2301:
	s_and_not1_saveexec_b32 s14, s14
	s_cbranch_execz .LBB348_2282
.LBB348_2302:
	v_cmp_ne_u16_e32 vcc_lo, 0, v7
	s_and_not1_b32 s15, s15, exec_lo
	s_and_b32 s16, vcc_lo, exec_lo
	s_delay_alu instid0(SALU_CYCLE_1)
	s_or_b32 s15, s15, s16
	s_or_b32 exec_lo, exec_lo, s14
	v_mov_b32_e32 v14, 0
	s_and_saveexec_b32 s14, s15
	s_cbranch_execnz .LBB348_2283
	s_branch .LBB348_2284
.LBB348_2303:
	s_mov_b32 s13, -1
.LBB348_2304:
                                        ; implicit-def: $vgpr14
.LBB348_2305:
	s_and_b32 vcc_lo, exec_lo, s14
	s_mov_b32 s14, 0
	s_cbranch_vccz .LBB348_2307
; %bb.2306:
	s_cmp_lg_u32 s12, 11
	s_mov_b32 s14, -1
	s_cselect_b32 s13, -1, 0
.LBB348_2307:
	s_delay_alu instid0(SALU_CYCLE_1)
	s_and_b32 vcc_lo, exec_lo, s13
	s_cbranch_vccnz .LBB348_2372
; %bb.2308:
	s_and_not1_b32 vcc_lo, exec_lo, s14
	s_cbranch_vccnz .LBB348_2310
.LBB348_2309:
	global_load_u8 v7, v[12:13], off
	s_mov_b32 s15, -1
	s_wait_loadcnt 0x0
	v_cmp_ne_u16_e32 vcc_lo, 0, v7
	s_wait_xcnt 0x1
	v_cndmask_b32_e64 v14, 0, 1, vcc_lo
.LBB348_2310:
	s_mov_b32 s13, 0
.LBB348_2311:
	s_delay_alu instid0(SALU_CYCLE_1)
	s_and_b32 vcc_lo, exec_lo, s13
	s_cbranch_vccz .LBB348_2360
; %bb.2312:
	s_cmp_lt_i32 s12, 5
	s_cbranch_scc1 .LBB348_2317
; %bb.2313:
	s_cmp_lt_i32 s12, 8
	s_cbranch_scc1 .LBB348_2318
	;; [unrolled: 3-line block ×3, first 2 shown]
; %bb.2315:
	s_cmp_gt_i32 s12, 9
	s_cbranch_scc0 .LBB348_2320
; %bb.2316:
	s_wait_loadcnt 0x0
	global_load_b64 v[14:15], v[12:13], off
	s_mov_b32 s13, 0
	s_wait_loadcnt 0x0
	v_cvt_u32_f64_e32 v14, v[14:15]
	s_branch .LBB348_2321
.LBB348_2317:
	s_mov_b32 s13, -1
                                        ; implicit-def: $vgpr14
	s_branch .LBB348_2339
.LBB348_2318:
	s_mov_b32 s13, -1
                                        ; implicit-def: $vgpr14
	s_branch .LBB348_2327
.LBB348_2319:
	s_mov_b32 s13, -1
                                        ; implicit-def: $vgpr14
	s_branch .LBB348_2324
.LBB348_2320:
	s_mov_b32 s13, -1
                                        ; implicit-def: $vgpr14
.LBB348_2321:
	s_delay_alu instid0(SALU_CYCLE_1)
	s_and_not1_b32 vcc_lo, exec_lo, s13
	s_cbranch_vccnz .LBB348_2323
; %bb.2322:
	global_load_b32 v7, v[12:13], off
	s_wait_loadcnt 0x0
	s_wait_xcnt 0x1
	v_cvt_u32_f32_e32 v14, v7
.LBB348_2323:
	s_mov_b32 s13, 0
.LBB348_2324:
	s_delay_alu instid0(SALU_CYCLE_1)
	s_and_not1_b32 vcc_lo, exec_lo, s13
	s_cbranch_vccnz .LBB348_2326
; %bb.2325:
	global_load_b32 v7, v[12:13], off
	s_wait_loadcnt 0x0
	v_cvt_f32_f16_e32 v7, v7
	s_wait_xcnt 0x1
	s_delay_alu instid0(VALU_DEP_1)
	v_cvt_u32_f32_e32 v14, v7
.LBB348_2326:
	s_mov_b32 s13, 0
.LBB348_2327:
	s_delay_alu instid0(SALU_CYCLE_1)
	s_and_not1_b32 vcc_lo, exec_lo, s13
	s_cbranch_vccnz .LBB348_2338
; %bb.2328:
	s_cmp_lt_i32 s12, 6
	s_cbranch_scc1 .LBB348_2331
; %bb.2329:
	s_cmp_gt_i32 s12, 6
	s_cbranch_scc0 .LBB348_2332
; %bb.2330:
	s_wait_loadcnt 0x0
	global_load_b64 v[14:15], v[12:13], off
	s_mov_b32 s13, 0
	s_wait_loadcnt 0x0
	v_cvt_u32_f64_e32 v14, v[14:15]
	s_branch .LBB348_2333
.LBB348_2331:
	s_mov_b32 s13, -1
                                        ; implicit-def: $vgpr14
	s_branch .LBB348_2336
.LBB348_2332:
	s_mov_b32 s13, -1
                                        ; implicit-def: $vgpr14
.LBB348_2333:
	s_delay_alu instid0(SALU_CYCLE_1)
	s_and_not1_b32 vcc_lo, exec_lo, s13
	s_cbranch_vccnz .LBB348_2335
; %bb.2334:
	global_load_b32 v7, v[12:13], off
	s_wait_loadcnt 0x0
	s_wait_xcnt 0x1
	v_cvt_u32_f32_e32 v14, v7
.LBB348_2335:
	s_mov_b32 s13, 0
.LBB348_2336:
	s_delay_alu instid0(SALU_CYCLE_1)
	s_and_not1_b32 vcc_lo, exec_lo, s13
	s_cbranch_vccnz .LBB348_2338
; %bb.2337:
	global_load_u16 v7, v[12:13], off
	s_wait_loadcnt 0x0
	v_cvt_f32_f16_e32 v7, v7
	s_wait_xcnt 0x1
	s_delay_alu instid0(VALU_DEP_1)
	v_cvt_u32_f32_e32 v14, v7
.LBB348_2338:
	s_mov_b32 s13, 0
.LBB348_2339:
	s_delay_alu instid0(SALU_CYCLE_1)
	s_and_not1_b32 vcc_lo, exec_lo, s13
	s_cbranch_vccnz .LBB348_2359
; %bb.2340:
	s_cmp_lt_i32 s12, 2
	s_cbranch_scc1 .LBB348_2344
; %bb.2341:
	s_cmp_lt_i32 s12, 3
	s_cbranch_scc1 .LBB348_2345
; %bb.2342:
	s_cmp_gt_i32 s12, 3
	s_cbranch_scc0 .LBB348_2346
; %bb.2343:
	s_wait_loadcnt 0x0
	global_load_b32 v14, v[12:13], off
	s_mov_b32 s13, 0
	s_branch .LBB348_2347
.LBB348_2344:
	s_mov_b32 s13, -1
                                        ; implicit-def: $vgpr14
	s_branch .LBB348_2353
.LBB348_2345:
	s_mov_b32 s13, -1
                                        ; implicit-def: $vgpr14
	s_branch .LBB348_2350
.LBB348_2346:
	s_mov_b32 s13, -1
                                        ; implicit-def: $vgpr14
.LBB348_2347:
	s_delay_alu instid0(SALU_CYCLE_1)
	s_and_not1_b32 vcc_lo, exec_lo, s13
	s_cbranch_vccnz .LBB348_2349
; %bb.2348:
	s_wait_loadcnt 0x0
	global_load_b32 v14, v[12:13], off
.LBB348_2349:
	s_mov_b32 s13, 0
.LBB348_2350:
	s_delay_alu instid0(SALU_CYCLE_1)
	s_and_not1_b32 vcc_lo, exec_lo, s13
	s_cbranch_vccnz .LBB348_2352
; %bb.2351:
	s_wait_loadcnt 0x0
	global_load_i16 v14, v[12:13], off
.LBB348_2352:
	s_mov_b32 s13, 0
.LBB348_2353:
	s_delay_alu instid0(SALU_CYCLE_1)
	s_and_not1_b32 vcc_lo, exec_lo, s13
	s_cbranch_vccnz .LBB348_2359
; %bb.2354:
	s_cmp_gt_i32 s12, 0
	s_mov_b32 s13, 0
	s_cbranch_scc0 .LBB348_2356
; %bb.2355:
	s_wait_loadcnt 0x0
	global_load_i8 v14, v[12:13], off
	s_branch .LBB348_2357
.LBB348_2356:
	s_mov_b32 s13, -1
                                        ; implicit-def: $vgpr14
.LBB348_2357:
	s_delay_alu instid0(SALU_CYCLE_1)
	s_and_not1_b32 vcc_lo, exec_lo, s13
	s_cbranch_vccnz .LBB348_2359
; %bb.2358:
	s_wait_loadcnt 0x0
	global_load_u8 v14, v[12:13], off
.LBB348_2359:
	s_mov_b32 s15, -1
.LBB348_2360:
	s_delay_alu instid0(SALU_CYCLE_1)
	s_and_not1_b32 vcc_lo, exec_lo, s15
	s_cbranch_vccnz .LBB348_3047
; %bb.2361:
	v_mov_b32_e32 v11, 0
	s_cmp_lt_i32 s11, 11
	s_delay_alu instid0(VALU_DEP_1)
	v_add_nc_u64_e32 v[10:11], s[6:7], v[10:11]
	s_cbranch_scc1 .LBB348_2368
; %bb.2362:
	s_cmp_gt_i32 s11, 25
	s_mov_b32 s7, 0
	s_cbranch_scc0 .LBB348_2369
; %bb.2363:
	s_cmp_gt_i32 s11, 28
	s_cbranch_scc0 .LBB348_2370
; %bb.2364:
	s_cmp_gt_i32 s11, 43
	;; [unrolled: 3-line block ×3, first 2 shown]
	s_cbranch_scc0 .LBB348_2373
; %bb.2366:
	s_cmp_eq_u32 s11, 46
	s_mov_b32 s14, 0
	s_cbranch_scc0 .LBB348_2374
; %bb.2367:
	global_load_b32 v7, v[10:11], off
	s_mov_b32 s6, 0
	s_mov_b32 s13, -1
	s_wait_loadcnt 0x0
	v_lshlrev_b32_e32 v7, 16, v7
	s_wait_xcnt 0x1
	s_delay_alu instid0(VALU_DEP_1)
	v_cvt_u32_f32_e32 v12, v7
	s_branch .LBB348_2376
.LBB348_2368:
	s_mov_b32 s6, -1
	s_mov_b32 s13, 0
                                        ; implicit-def: $vgpr12
	s_branch .LBB348_2438
.LBB348_2369:
	s_mov_b32 s14, -1
	s_mov_b32 s13, 0
	s_mov_b32 s6, 0
                                        ; implicit-def: $vgpr12
	s_branch .LBB348_2403
.LBB348_2370:
	s_mov_b32 s14, -1
	s_mov_b32 s13, 0
	s_mov_b32 s6, 0
                                        ; implicit-def: $vgpr12
	s_branch .LBB348_2386
.LBB348_2371:
	s_mov_b32 s14, -1
	s_mov_b32 s13, 0
	s_mov_b32 s6, 0
                                        ; implicit-def: $vgpr12
	s_branch .LBB348_2381
.LBB348_2372:
	s_or_b32 s10, s10, exec_lo
	s_trap 2
	s_cbranch_execz .LBB348_2309
	s_branch .LBB348_2310
.LBB348_2373:
	s_mov_b32 s14, -1
	s_mov_b32 s13, 0
	s_mov_b32 s6, 0
	s_branch .LBB348_2375
.LBB348_2374:
	s_mov_b32 s6, -1
	s_mov_b32 s13, 0
.LBB348_2375:
                                        ; implicit-def: $vgpr12
.LBB348_2376:
	s_and_b32 vcc_lo, exec_lo, s14
	s_cbranch_vccz .LBB348_2380
; %bb.2377:
	s_cmp_eq_u32 s11, 44
	s_cbranch_scc0 .LBB348_2379
; %bb.2378:
	global_load_u8 v7, v[10:11], off
	s_mov_b32 s6, 0
	s_mov_b32 s13, -1
	s_wait_loadcnt 0x0
	v_lshlrev_b32_e32 v9, 23, v7
	v_cmp_ne_u32_e32 vcc_lo, 0, v7
	s_delay_alu instid0(VALU_DEP_2) | instskip(SKIP_1) | instid1(VALU_DEP_1)
	v_cvt_u32_f32_e32 v9, v9
	s_wait_xcnt 0x1
	v_cndmask_b32_e32 v12, 0, v9, vcc_lo
	s_branch .LBB348_2380
.LBB348_2379:
	s_mov_b32 s6, -1
                                        ; implicit-def: $vgpr12
.LBB348_2380:
	s_mov_b32 s14, 0
.LBB348_2381:
	s_delay_alu instid0(SALU_CYCLE_1)
	s_and_b32 vcc_lo, exec_lo, s14
	s_cbranch_vccz .LBB348_2385
; %bb.2382:
	s_cmp_eq_u32 s11, 29
	s_cbranch_scc0 .LBB348_2384
; %bb.2383:
	global_load_b32 v12, v[10:11], off
	s_mov_b32 s6, 0
	s_mov_b32 s13, -1
	s_branch .LBB348_2385
.LBB348_2384:
	s_mov_b32 s6, -1
                                        ; implicit-def: $vgpr12
.LBB348_2385:
	s_mov_b32 s14, 0
.LBB348_2386:
	s_delay_alu instid0(SALU_CYCLE_1)
	s_and_b32 vcc_lo, exec_lo, s14
	s_cbranch_vccz .LBB348_2402
; %bb.2387:
	s_cmp_lt_i32 s11, 27
	s_cbranch_scc1 .LBB348_2390
; %bb.2388:
	s_cmp_gt_i32 s11, 27
	s_cbranch_scc0 .LBB348_2391
; %bb.2389:
	s_wait_loadcnt 0x0
	global_load_b32 v12, v[10:11], off
	s_mov_b32 s13, 0
	s_branch .LBB348_2392
.LBB348_2390:
	s_mov_b32 s13, -1
                                        ; implicit-def: $vgpr12
	s_branch .LBB348_2395
.LBB348_2391:
	s_mov_b32 s13, -1
                                        ; implicit-def: $vgpr12
.LBB348_2392:
	s_delay_alu instid0(SALU_CYCLE_1)
	s_and_not1_b32 vcc_lo, exec_lo, s13
	s_cbranch_vccnz .LBB348_2394
; %bb.2393:
	s_wait_loadcnt 0x0
	global_load_u16 v12, v[10:11], off
.LBB348_2394:
	s_mov_b32 s13, 0
.LBB348_2395:
	s_delay_alu instid0(SALU_CYCLE_1)
	s_and_not1_b32 vcc_lo, exec_lo, s13
	s_cbranch_vccnz .LBB348_2401
; %bb.2396:
	global_load_u8 v7, v[10:11], off
	s_mov_b32 s14, 0
	s_mov_b32 s13, exec_lo
	s_wait_loadcnt 0x0
	v_cmpx_lt_i16_e32 0x7f, v7
	s_xor_b32 s13, exec_lo, s13
	s_cbranch_execz .LBB348_2413
; %bb.2397:
	v_cmp_ne_u16_e32 vcc_lo, 0x80, v7
	s_and_b32 s14, vcc_lo, exec_lo
	s_and_not1_saveexec_b32 s13, s13
	s_cbranch_execnz .LBB348_2414
.LBB348_2398:
	s_or_b32 exec_lo, exec_lo, s13
	v_mov_b32_e32 v12, 0
	s_and_saveexec_b32 s13, s14
	s_cbranch_execz .LBB348_2400
.LBB348_2399:
	v_and_b32_e32 v9, 0xffff, v7
	s_delay_alu instid0(VALU_DEP_1) | instskip(SKIP_1) | instid1(VALU_DEP_2)
	v_dual_lshlrev_b32 v7, 24, v7 :: v_dual_bitop2_b32 v12, 7, v9 bitop3:0x40
	v_bfe_u32 v17, v9, 3, 4
	v_and_b32_e32 v7, 0x80000000, v7
	s_delay_alu instid0(VALU_DEP_3) | instskip(NEXT) | instid1(VALU_DEP_3)
	v_clz_i32_u32_e32 v13, v12
	v_cmp_eq_u32_e32 vcc_lo, 0, v17
	s_delay_alu instid0(VALU_DEP_2) | instskip(NEXT) | instid1(VALU_DEP_1)
	v_min_u32_e32 v13, 32, v13
	v_subrev_nc_u32_e32 v15, 28, v13
	v_sub_nc_u32_e32 v13, 29, v13
	s_delay_alu instid0(VALU_DEP_2) | instskip(NEXT) | instid1(VALU_DEP_2)
	v_lshlrev_b32_e32 v9, v15, v9
	v_cndmask_b32_e32 v13, v17, v13, vcc_lo
	s_delay_alu instid0(VALU_DEP_2) | instskip(NEXT) | instid1(VALU_DEP_1)
	v_and_b32_e32 v9, 7, v9
	v_cndmask_b32_e32 v9, v12, v9, vcc_lo
	s_delay_alu instid0(VALU_DEP_3) | instskip(NEXT) | instid1(VALU_DEP_2)
	v_lshl_add_u32 v12, v13, 23, 0x3b800000
	v_lshlrev_b32_e32 v9, 20, v9
	s_delay_alu instid0(VALU_DEP_1) | instskip(NEXT) | instid1(VALU_DEP_1)
	v_or3_b32 v7, v7, v12, v9
	v_cvt_u32_f32_e32 v12, v7
.LBB348_2400:
	s_or_b32 exec_lo, exec_lo, s13
.LBB348_2401:
	s_mov_b32 s13, -1
.LBB348_2402:
	s_mov_b32 s14, 0
.LBB348_2403:
	s_delay_alu instid0(SALU_CYCLE_1)
	s_and_b32 vcc_lo, exec_lo, s14
	s_cbranch_vccz .LBB348_2434
; %bb.2404:
	s_cmp_gt_i32 s11, 22
	s_cbranch_scc0 .LBB348_2412
; %bb.2405:
	s_cmp_lt_i32 s11, 24
	s_cbranch_scc1 .LBB348_2415
; %bb.2406:
	s_cmp_gt_i32 s11, 24
	s_cbranch_scc0 .LBB348_2416
; %bb.2407:
	global_load_u8 v7, v[10:11], off
	s_mov_b32 s13, 0
	s_mov_b32 s7, exec_lo
	s_wait_loadcnt 0x0
	v_cmpx_lt_i16_e32 0x7f, v7
	s_xor_b32 s7, exec_lo, s7
	s_cbranch_execz .LBB348_2428
; %bb.2408:
	v_cmp_ne_u16_e32 vcc_lo, 0x80, v7
	s_and_b32 s13, vcc_lo, exec_lo
	s_and_not1_saveexec_b32 s7, s7
	s_cbranch_execnz .LBB348_2429
.LBB348_2409:
	s_or_b32 exec_lo, exec_lo, s7
	v_mov_b32_e32 v12, 0
	s_and_saveexec_b32 s7, s13
	s_cbranch_execz .LBB348_2411
.LBB348_2410:
	v_and_b32_e32 v9, 0xffff, v7
	s_delay_alu instid0(VALU_DEP_1) | instskip(SKIP_1) | instid1(VALU_DEP_2)
	v_dual_lshlrev_b32 v7, 24, v7 :: v_dual_bitop2_b32 v12, 3, v9 bitop3:0x40
	v_bfe_u32 v17, v9, 2, 5
	v_and_b32_e32 v7, 0x80000000, v7
	s_delay_alu instid0(VALU_DEP_3) | instskip(NEXT) | instid1(VALU_DEP_3)
	v_clz_i32_u32_e32 v13, v12
	v_cmp_eq_u32_e32 vcc_lo, 0, v17
	s_delay_alu instid0(VALU_DEP_2) | instskip(NEXT) | instid1(VALU_DEP_1)
	v_min_u32_e32 v13, 32, v13
	v_subrev_nc_u32_e32 v15, 29, v13
	v_sub_nc_u32_e32 v13, 30, v13
	s_delay_alu instid0(VALU_DEP_2) | instskip(NEXT) | instid1(VALU_DEP_2)
	v_lshlrev_b32_e32 v9, v15, v9
	v_cndmask_b32_e32 v13, v17, v13, vcc_lo
	s_delay_alu instid0(VALU_DEP_2) | instskip(NEXT) | instid1(VALU_DEP_1)
	v_and_b32_e32 v9, 3, v9
	v_cndmask_b32_e32 v9, v12, v9, vcc_lo
	s_delay_alu instid0(VALU_DEP_3) | instskip(NEXT) | instid1(VALU_DEP_2)
	v_lshl_add_u32 v12, v13, 23, 0x37800000
	v_lshlrev_b32_e32 v9, 21, v9
	s_delay_alu instid0(VALU_DEP_1) | instskip(NEXT) | instid1(VALU_DEP_1)
	v_or3_b32 v7, v7, v12, v9
	v_cvt_u32_f32_e32 v12, v7
.LBB348_2411:
	s_or_b32 exec_lo, exec_lo, s7
	s_mov_b32 s7, 0
	s_branch .LBB348_2417
.LBB348_2412:
	s_mov_b32 s7, -1
                                        ; implicit-def: $vgpr12
	s_branch .LBB348_2423
.LBB348_2413:
	s_and_not1_saveexec_b32 s13, s13
	s_cbranch_execz .LBB348_2398
.LBB348_2414:
	v_cmp_ne_u16_e32 vcc_lo, 0, v7
	s_and_not1_b32 s14, s14, exec_lo
	s_and_b32 s15, vcc_lo, exec_lo
	s_delay_alu instid0(SALU_CYCLE_1)
	s_or_b32 s14, s14, s15
	s_or_b32 exec_lo, exec_lo, s13
	v_mov_b32_e32 v12, 0
	s_and_saveexec_b32 s13, s14
	s_cbranch_execnz .LBB348_2399
	s_branch .LBB348_2400
.LBB348_2415:
	s_mov_b32 s7, -1
                                        ; implicit-def: $vgpr12
	s_branch .LBB348_2420
.LBB348_2416:
	s_mov_b32 s7, -1
                                        ; implicit-def: $vgpr12
.LBB348_2417:
	s_delay_alu instid0(SALU_CYCLE_1)
	s_and_b32 vcc_lo, exec_lo, s7
	s_cbranch_vccz .LBB348_2419
; %bb.2418:
	global_load_u8 v7, v[10:11], off
	s_wait_loadcnt 0x0
	v_lshlrev_b32_e32 v7, 24, v7
	s_delay_alu instid0(VALU_DEP_1) | instskip(SKIP_1) | instid1(VALU_DEP_1)
	v_and_b32_e32 v9, 0x7f000000, v7
	s_wait_xcnt 0x1
	v_clz_i32_u32_e32 v12, v9
	v_add_nc_u32_e32 v15, 0x1000000, v9
	v_cmp_ne_u32_e32 vcc_lo, 0, v9
	s_delay_alu instid0(VALU_DEP_3) | instskip(NEXT) | instid1(VALU_DEP_1)
	v_min_u32_e32 v12, 32, v12
	v_sub_nc_u32_e64 v12, v12, 4 clamp
	s_delay_alu instid0(VALU_DEP_1) | instskip(NEXT) | instid1(VALU_DEP_1)
	v_dual_lshlrev_b32 v13, v12, v9 :: v_dual_lshlrev_b32 v12, 23, v12
	v_lshrrev_b32_e32 v13, 4, v13
	s_delay_alu instid0(VALU_DEP_1) | instskip(NEXT) | instid1(VALU_DEP_1)
	v_dual_sub_nc_u32 v12, v13, v12 :: v_dual_ashrrev_i32 v13, 8, v15
	v_add_nc_u32_e32 v12, 0x3c000000, v12
	s_delay_alu instid0(VALU_DEP_1) | instskip(NEXT) | instid1(VALU_DEP_1)
	v_and_or_b32 v12, 0x7f800000, v13, v12
	v_cndmask_b32_e32 v9, 0, v12, vcc_lo
	s_delay_alu instid0(VALU_DEP_1) | instskip(NEXT) | instid1(VALU_DEP_1)
	v_and_or_b32 v7, 0x80000000, v7, v9
	v_cvt_u32_f32_e32 v12, v7
.LBB348_2419:
	s_mov_b32 s7, 0
.LBB348_2420:
	s_delay_alu instid0(SALU_CYCLE_1)
	s_and_not1_b32 vcc_lo, exec_lo, s7
	s_cbranch_vccnz .LBB348_2422
; %bb.2421:
	global_load_u8 v7, v[10:11], off
	s_wait_loadcnt 0x0
	v_lshlrev_b32_e32 v9, 25, v7
	v_lshlrev_b16 v7, 8, v7
	s_wait_xcnt 0x1
	s_delay_alu instid0(VALU_DEP_1) | instskip(SKIP_1) | instid1(VALU_DEP_2)
	v_and_or_b32 v13, 0x7f00, v7, 0.5
	v_bfe_i32 v7, v7, 0, 16
	v_add_f32_e32 v13, -0.5, v13
	v_lshrrev_b32_e32 v12, 4, v9
	v_cmp_gt_u32_e32 vcc_lo, 0x8000000, v9
	s_delay_alu instid0(VALU_DEP_2) | instskip(NEXT) | instid1(VALU_DEP_1)
	v_or_b32_e32 v12, 0x70000000, v12
	v_mul_f32_e32 v12, 0x7800000, v12
	s_delay_alu instid0(VALU_DEP_1) | instskip(NEXT) | instid1(VALU_DEP_1)
	v_cndmask_b32_e32 v9, v12, v13, vcc_lo
	v_and_or_b32 v7, 0x80000000, v7, v9
	s_delay_alu instid0(VALU_DEP_1)
	v_cvt_u32_f32_e32 v12, v7
.LBB348_2422:
	s_mov_b32 s7, 0
	s_mov_b32 s13, -1
.LBB348_2423:
	s_and_not1_b32 vcc_lo, exec_lo, s7
	s_mov_b32 s7, 0
	s_cbranch_vccnz .LBB348_2434
; %bb.2424:
	s_cmp_gt_i32 s11, 14
	s_cbranch_scc0 .LBB348_2427
; %bb.2425:
	s_cmp_eq_u32 s11, 15
	s_cbranch_scc0 .LBB348_2430
; %bb.2426:
	global_load_u16 v7, v[10:11], off
	s_mov_b32 s6, 0
	s_mov_b32 s13, -1
	s_wait_loadcnt 0x0
	v_lshlrev_b32_e32 v7, 16, v7
	s_wait_xcnt 0x1
	s_delay_alu instid0(VALU_DEP_1)
	v_cvt_u32_f32_e32 v12, v7
	s_branch .LBB348_2432
.LBB348_2427:
	s_mov_b32 s7, -1
	s_branch .LBB348_2431
.LBB348_2428:
	s_and_not1_saveexec_b32 s7, s7
	s_cbranch_execz .LBB348_2409
.LBB348_2429:
	v_cmp_ne_u16_e32 vcc_lo, 0, v7
	s_and_not1_b32 s13, s13, exec_lo
	s_and_b32 s14, vcc_lo, exec_lo
	s_delay_alu instid0(SALU_CYCLE_1)
	s_or_b32 s13, s13, s14
	s_or_b32 exec_lo, exec_lo, s7
	v_mov_b32_e32 v12, 0
	s_and_saveexec_b32 s7, s13
	s_cbranch_execnz .LBB348_2410
	s_branch .LBB348_2411
.LBB348_2430:
	s_mov_b32 s6, -1
.LBB348_2431:
                                        ; implicit-def: $vgpr12
.LBB348_2432:
	s_and_b32 vcc_lo, exec_lo, s7
	s_mov_b32 s7, 0
	s_cbranch_vccz .LBB348_2434
; %bb.2433:
	s_cmp_lg_u32 s11, 11
	s_mov_b32 s7, -1
	s_cselect_b32 s6, -1, 0
.LBB348_2434:
	s_delay_alu instid0(SALU_CYCLE_1)
	s_and_b32 vcc_lo, exec_lo, s6
	s_cbranch_vccnz .LBB348_2499
; %bb.2435:
	s_and_not1_b32 vcc_lo, exec_lo, s7
	s_cbranch_vccnz .LBB348_2437
.LBB348_2436:
	global_load_u8 v7, v[10:11], off
	s_mov_b32 s13, -1
	s_wait_loadcnt 0x0
	v_cmp_ne_u16_e32 vcc_lo, 0, v7
	s_wait_xcnt 0x1
	v_cndmask_b32_e64 v12, 0, 1, vcc_lo
.LBB348_2437:
	s_mov_b32 s6, 0
.LBB348_2438:
	s_delay_alu instid0(SALU_CYCLE_1)
	s_and_b32 vcc_lo, exec_lo, s6
	s_cbranch_vccz .LBB348_2487
; %bb.2439:
	s_cmp_lt_i32 s11, 5
	s_cbranch_scc1 .LBB348_2444
; %bb.2440:
	s_cmp_lt_i32 s11, 8
	s_cbranch_scc1 .LBB348_2445
; %bb.2441:
	s_cmp_lt_i32 s11, 9
	s_cbranch_scc1 .LBB348_2446
; %bb.2442:
	s_cmp_gt_i32 s11, 9
	s_cbranch_scc0 .LBB348_2447
; %bb.2443:
	s_wait_loadcnt 0x0
	global_load_b64 v[12:13], v[10:11], off
	s_mov_b32 s6, 0
	s_wait_loadcnt 0x0
	v_cvt_u32_f64_e32 v12, v[12:13]
	s_branch .LBB348_2448
.LBB348_2444:
	s_mov_b32 s6, -1
                                        ; implicit-def: $vgpr12
	s_branch .LBB348_2466
.LBB348_2445:
	s_mov_b32 s6, -1
                                        ; implicit-def: $vgpr12
	s_branch .LBB348_2454
.LBB348_2446:
	s_mov_b32 s6, -1
                                        ; implicit-def: $vgpr12
	s_branch .LBB348_2451
.LBB348_2447:
	s_mov_b32 s6, -1
                                        ; implicit-def: $vgpr12
.LBB348_2448:
	s_delay_alu instid0(SALU_CYCLE_1)
	s_and_not1_b32 vcc_lo, exec_lo, s6
	s_cbranch_vccnz .LBB348_2450
; %bb.2449:
	global_load_b32 v7, v[10:11], off
	s_wait_loadcnt 0x0
	s_wait_xcnt 0x1
	v_cvt_u32_f32_e32 v12, v7
.LBB348_2450:
	s_mov_b32 s6, 0
.LBB348_2451:
	s_delay_alu instid0(SALU_CYCLE_1)
	s_and_not1_b32 vcc_lo, exec_lo, s6
	s_cbranch_vccnz .LBB348_2453
; %bb.2452:
	global_load_b32 v7, v[10:11], off
	s_wait_loadcnt 0x0
	v_cvt_f32_f16_e32 v7, v7
	s_wait_xcnt 0x1
	s_delay_alu instid0(VALU_DEP_1)
	v_cvt_u32_f32_e32 v12, v7
.LBB348_2453:
	s_mov_b32 s6, 0
.LBB348_2454:
	s_delay_alu instid0(SALU_CYCLE_1)
	s_and_not1_b32 vcc_lo, exec_lo, s6
	s_cbranch_vccnz .LBB348_2465
; %bb.2455:
	s_cmp_lt_i32 s11, 6
	s_cbranch_scc1 .LBB348_2458
; %bb.2456:
	s_cmp_gt_i32 s11, 6
	s_cbranch_scc0 .LBB348_2459
; %bb.2457:
	s_wait_loadcnt 0x0
	global_load_b64 v[12:13], v[10:11], off
	s_mov_b32 s6, 0
	s_wait_loadcnt 0x0
	v_cvt_u32_f64_e32 v12, v[12:13]
	s_branch .LBB348_2460
.LBB348_2458:
	s_mov_b32 s6, -1
                                        ; implicit-def: $vgpr12
	s_branch .LBB348_2463
.LBB348_2459:
	s_mov_b32 s6, -1
                                        ; implicit-def: $vgpr12
.LBB348_2460:
	s_delay_alu instid0(SALU_CYCLE_1)
	s_and_not1_b32 vcc_lo, exec_lo, s6
	s_cbranch_vccnz .LBB348_2462
; %bb.2461:
	global_load_b32 v7, v[10:11], off
	s_wait_loadcnt 0x0
	s_wait_xcnt 0x1
	v_cvt_u32_f32_e32 v12, v7
.LBB348_2462:
	s_mov_b32 s6, 0
.LBB348_2463:
	s_delay_alu instid0(SALU_CYCLE_1)
	s_and_not1_b32 vcc_lo, exec_lo, s6
	s_cbranch_vccnz .LBB348_2465
; %bb.2464:
	global_load_u16 v7, v[10:11], off
	s_wait_loadcnt 0x0
	v_cvt_f32_f16_e32 v7, v7
	s_wait_xcnt 0x1
	s_delay_alu instid0(VALU_DEP_1)
	v_cvt_u32_f32_e32 v12, v7
.LBB348_2465:
	s_mov_b32 s6, 0
.LBB348_2466:
	s_delay_alu instid0(SALU_CYCLE_1)
	s_and_not1_b32 vcc_lo, exec_lo, s6
	s_cbranch_vccnz .LBB348_2486
; %bb.2467:
	s_cmp_lt_i32 s11, 2
	s_cbranch_scc1 .LBB348_2471
; %bb.2468:
	s_cmp_lt_i32 s11, 3
	s_cbranch_scc1 .LBB348_2472
; %bb.2469:
	s_cmp_gt_i32 s11, 3
	s_cbranch_scc0 .LBB348_2473
; %bb.2470:
	s_wait_loadcnt 0x0
	global_load_b32 v12, v[10:11], off
	s_mov_b32 s6, 0
	s_branch .LBB348_2474
.LBB348_2471:
	s_mov_b32 s6, -1
                                        ; implicit-def: $vgpr12
	s_branch .LBB348_2480
.LBB348_2472:
	s_mov_b32 s6, -1
                                        ; implicit-def: $vgpr12
	s_branch .LBB348_2477
.LBB348_2473:
	s_mov_b32 s6, -1
                                        ; implicit-def: $vgpr12
.LBB348_2474:
	s_delay_alu instid0(SALU_CYCLE_1)
	s_and_not1_b32 vcc_lo, exec_lo, s6
	s_cbranch_vccnz .LBB348_2476
; %bb.2475:
	s_wait_loadcnt 0x0
	global_load_b32 v12, v[10:11], off
.LBB348_2476:
	s_mov_b32 s6, 0
.LBB348_2477:
	s_delay_alu instid0(SALU_CYCLE_1)
	s_and_not1_b32 vcc_lo, exec_lo, s6
	s_cbranch_vccnz .LBB348_2479
; %bb.2478:
	s_wait_loadcnt 0x0
	global_load_i16 v12, v[10:11], off
.LBB348_2479:
	s_mov_b32 s6, 0
.LBB348_2480:
	s_delay_alu instid0(SALU_CYCLE_1)
	s_and_not1_b32 vcc_lo, exec_lo, s6
	s_cbranch_vccnz .LBB348_2486
; %bb.2481:
	s_cmp_gt_i32 s11, 0
	s_mov_b32 s6, 0
	s_cbranch_scc0 .LBB348_2483
; %bb.2482:
	s_wait_loadcnt 0x0
	global_load_i8 v12, v[10:11], off
	s_branch .LBB348_2484
.LBB348_2483:
	s_mov_b32 s6, -1
                                        ; implicit-def: $vgpr12
.LBB348_2484:
	s_delay_alu instid0(SALU_CYCLE_1)
	s_and_not1_b32 vcc_lo, exec_lo, s6
	s_cbranch_vccnz .LBB348_2486
; %bb.2485:
	s_wait_loadcnt 0x0
	global_load_u8 v12, v[10:11], off
.LBB348_2486:
	s_mov_b32 s13, -1
.LBB348_2487:
	s_delay_alu instid0(SALU_CYCLE_1)
	s_and_not1_b32 vcc_lo, exec_lo, s13
	s_cbranch_vccnz .LBB348_3047
; %bb.2488:
	v_mov_b32_e32 v9, 0
	s_cmp_lt_i32 s12, 11
	s_delay_alu instid0(VALU_DEP_1)
	v_add_nc_u64_e32 v[8:9], s[0:1], v[8:9]
	s_cbranch_scc1 .LBB348_2495
; %bb.2489:
	s_cmp_gt_i32 s12, 25
	s_mov_b32 s1, 0
	s_cbranch_scc0 .LBB348_2496
; %bb.2490:
	s_cmp_gt_i32 s12, 28
	s_cbranch_scc0 .LBB348_2497
; %bb.2491:
	s_cmp_gt_i32 s12, 43
	;; [unrolled: 3-line block ×3, first 2 shown]
	s_cbranch_scc0 .LBB348_2500
; %bb.2493:
	s_cmp_eq_u32 s12, 46
	s_mov_b32 s7, 0
	s_cbranch_scc0 .LBB348_2501
; %bb.2494:
	global_load_b32 v7, v[8:9], off
	s_mov_b32 s0, 0
	s_mov_b32 s6, -1
	s_wait_loadcnt 0x0
	v_lshlrev_b32_e32 v7, 16, v7
	s_wait_xcnt 0x1
	s_delay_alu instid0(VALU_DEP_1)
	v_cvt_u32_f32_e32 v10, v7
	s_branch .LBB348_2503
.LBB348_2495:
	s_mov_b32 s0, -1
	s_mov_b32 s6, 0
                                        ; implicit-def: $vgpr10
	s_branch .LBB348_2565
.LBB348_2496:
	s_mov_b32 s7, -1
	s_mov_b32 s6, 0
	s_mov_b32 s0, 0
                                        ; implicit-def: $vgpr10
	s_branch .LBB348_2530
.LBB348_2497:
	s_mov_b32 s7, -1
	s_mov_b32 s6, 0
	s_mov_b32 s0, 0
                                        ; implicit-def: $vgpr10
	s_branch .LBB348_2513
.LBB348_2498:
	s_mov_b32 s7, -1
	s_mov_b32 s6, 0
	s_mov_b32 s0, 0
                                        ; implicit-def: $vgpr10
	s_branch .LBB348_2508
.LBB348_2499:
	s_or_b32 s10, s10, exec_lo
	s_trap 2
	s_cbranch_execz .LBB348_2436
	s_branch .LBB348_2437
.LBB348_2500:
	s_mov_b32 s7, -1
	s_mov_b32 s6, 0
	s_mov_b32 s0, 0
	s_branch .LBB348_2502
.LBB348_2501:
	s_mov_b32 s0, -1
	s_mov_b32 s6, 0
.LBB348_2502:
                                        ; implicit-def: $vgpr10
.LBB348_2503:
	s_and_b32 vcc_lo, exec_lo, s7
	s_cbranch_vccz .LBB348_2507
; %bb.2504:
	s_cmp_eq_u32 s12, 44
	s_cbranch_scc0 .LBB348_2506
; %bb.2505:
	global_load_u8 v7, v[8:9], off
	s_mov_b32 s0, 0
	s_mov_b32 s6, -1
	s_wait_loadcnt 0x0
	s_wait_xcnt 0x1
	v_lshlrev_b32_e32 v10, 23, v7
	v_cmp_ne_u32_e32 vcc_lo, 0, v7
	s_delay_alu instid0(VALU_DEP_2) | instskip(NEXT) | instid1(VALU_DEP_1)
	v_cvt_u32_f32_e32 v10, v10
	v_cndmask_b32_e32 v10, 0, v10, vcc_lo
	s_branch .LBB348_2507
.LBB348_2506:
	s_mov_b32 s0, -1
                                        ; implicit-def: $vgpr10
.LBB348_2507:
	s_mov_b32 s7, 0
.LBB348_2508:
	s_delay_alu instid0(SALU_CYCLE_1)
	s_and_b32 vcc_lo, exec_lo, s7
	s_cbranch_vccz .LBB348_2512
; %bb.2509:
	s_cmp_eq_u32 s12, 29
	s_cbranch_scc0 .LBB348_2511
; %bb.2510:
	global_load_b32 v10, v[8:9], off
	s_mov_b32 s0, 0
	s_mov_b32 s6, -1
	s_branch .LBB348_2512
.LBB348_2511:
	s_mov_b32 s0, -1
                                        ; implicit-def: $vgpr10
.LBB348_2512:
	s_mov_b32 s7, 0
.LBB348_2513:
	s_delay_alu instid0(SALU_CYCLE_1)
	s_and_b32 vcc_lo, exec_lo, s7
	s_cbranch_vccz .LBB348_2529
; %bb.2514:
	s_cmp_lt_i32 s12, 27
	s_cbranch_scc1 .LBB348_2517
; %bb.2515:
	s_cmp_gt_i32 s12, 27
	s_cbranch_scc0 .LBB348_2518
; %bb.2516:
	s_wait_loadcnt 0x0
	global_load_b32 v10, v[8:9], off
	s_mov_b32 s6, 0
	s_branch .LBB348_2519
.LBB348_2517:
	s_mov_b32 s6, -1
                                        ; implicit-def: $vgpr10
	s_branch .LBB348_2522
.LBB348_2518:
	s_mov_b32 s6, -1
                                        ; implicit-def: $vgpr10
.LBB348_2519:
	s_delay_alu instid0(SALU_CYCLE_1)
	s_and_not1_b32 vcc_lo, exec_lo, s6
	s_cbranch_vccnz .LBB348_2521
; %bb.2520:
	s_wait_loadcnt 0x0
	global_load_u16 v10, v[8:9], off
.LBB348_2521:
	s_mov_b32 s6, 0
.LBB348_2522:
	s_delay_alu instid0(SALU_CYCLE_1)
	s_and_not1_b32 vcc_lo, exec_lo, s6
	s_cbranch_vccnz .LBB348_2528
; %bb.2523:
	global_load_u8 v7, v[8:9], off
	s_mov_b32 s7, 0
	s_mov_b32 s6, exec_lo
	s_wait_loadcnt 0x0
	v_cmpx_lt_i16_e32 0x7f, v7
	s_xor_b32 s6, exec_lo, s6
	s_cbranch_execz .LBB348_2540
; %bb.2524:
	v_cmp_ne_u16_e32 vcc_lo, 0x80, v7
	s_and_b32 s7, vcc_lo, exec_lo
	s_and_not1_saveexec_b32 s6, s6
	s_cbranch_execnz .LBB348_2541
.LBB348_2525:
	s_or_b32 exec_lo, exec_lo, s6
	v_mov_b32_e32 v10, 0
	s_and_saveexec_b32 s6, s7
	s_cbranch_execz .LBB348_2527
.LBB348_2526:
	v_and_b32_e32 v10, 0xffff, v7
	s_delay_alu instid0(VALU_DEP_1) | instskip(SKIP_1) | instid1(VALU_DEP_2)
	v_and_b32_e32 v11, 7, v10
	v_bfe_u32 v17, v10, 3, 4
	v_clz_i32_u32_e32 v13, v11
	s_delay_alu instid0(VALU_DEP_2) | instskip(NEXT) | instid1(VALU_DEP_2)
	v_cmp_eq_u32_e32 vcc_lo, 0, v17
	v_min_u32_e32 v13, 32, v13
	s_delay_alu instid0(VALU_DEP_1) | instskip(NEXT) | instid1(VALU_DEP_1)
	v_subrev_nc_u32_e32 v15, 28, v13
	v_dual_lshlrev_b32 v10, v15, v10 :: v_dual_sub_nc_u32 v13, 29, v13
	s_delay_alu instid0(VALU_DEP_1) | instskip(NEXT) | instid1(VALU_DEP_1)
	v_dual_lshlrev_b32 v7, 24, v7 :: v_dual_bitop2_b32 v10, 7, v10 bitop3:0x40
	v_dual_cndmask_b32 v13, v17, v13 :: v_dual_cndmask_b32 v10, v11, v10
	s_delay_alu instid0(VALU_DEP_2) | instskip(NEXT) | instid1(VALU_DEP_2)
	v_and_b32_e32 v7, 0x80000000, v7
	v_lshl_add_u32 v11, v13, 23, 0x3b800000
	s_delay_alu instid0(VALU_DEP_3) | instskip(NEXT) | instid1(VALU_DEP_1)
	v_lshlrev_b32_e32 v10, 20, v10
	v_or3_b32 v7, v7, v11, v10
	s_delay_alu instid0(VALU_DEP_1)
	v_cvt_u32_f32_e32 v10, v7
.LBB348_2527:
	s_or_b32 exec_lo, exec_lo, s6
.LBB348_2528:
	s_mov_b32 s6, -1
.LBB348_2529:
	s_mov_b32 s7, 0
.LBB348_2530:
	s_delay_alu instid0(SALU_CYCLE_1)
	s_and_b32 vcc_lo, exec_lo, s7
	s_cbranch_vccz .LBB348_2561
; %bb.2531:
	s_cmp_gt_i32 s12, 22
	s_cbranch_scc0 .LBB348_2539
; %bb.2532:
	s_cmp_lt_i32 s12, 24
	s_cbranch_scc1 .LBB348_2542
; %bb.2533:
	s_cmp_gt_i32 s12, 24
	s_cbranch_scc0 .LBB348_2543
; %bb.2534:
	global_load_u8 v7, v[8:9], off
	s_mov_b32 s6, 0
	s_mov_b32 s1, exec_lo
	s_wait_loadcnt 0x0
	v_cmpx_lt_i16_e32 0x7f, v7
	s_xor_b32 s1, exec_lo, s1
	s_cbranch_execz .LBB348_2555
; %bb.2535:
	v_cmp_ne_u16_e32 vcc_lo, 0x80, v7
	s_and_b32 s6, vcc_lo, exec_lo
	s_and_not1_saveexec_b32 s1, s1
	s_cbranch_execnz .LBB348_2556
.LBB348_2536:
	s_or_b32 exec_lo, exec_lo, s1
	v_mov_b32_e32 v10, 0
	s_and_saveexec_b32 s1, s6
	s_cbranch_execz .LBB348_2538
.LBB348_2537:
	v_and_b32_e32 v10, 0xffff, v7
	s_delay_alu instid0(VALU_DEP_1) | instskip(SKIP_1) | instid1(VALU_DEP_2)
	v_and_b32_e32 v11, 3, v10
	v_bfe_u32 v17, v10, 2, 5
	v_clz_i32_u32_e32 v13, v11
	s_delay_alu instid0(VALU_DEP_2) | instskip(NEXT) | instid1(VALU_DEP_2)
	v_cmp_eq_u32_e32 vcc_lo, 0, v17
	v_min_u32_e32 v13, 32, v13
	s_delay_alu instid0(VALU_DEP_1) | instskip(NEXT) | instid1(VALU_DEP_1)
	v_subrev_nc_u32_e32 v15, 29, v13
	v_dual_lshlrev_b32 v10, v15, v10 :: v_dual_sub_nc_u32 v13, 30, v13
	s_delay_alu instid0(VALU_DEP_1) | instskip(NEXT) | instid1(VALU_DEP_1)
	v_dual_lshlrev_b32 v7, 24, v7 :: v_dual_bitop2_b32 v10, 3, v10 bitop3:0x40
	v_dual_cndmask_b32 v13, v17, v13 :: v_dual_cndmask_b32 v10, v11, v10
	s_delay_alu instid0(VALU_DEP_2) | instskip(NEXT) | instid1(VALU_DEP_2)
	v_and_b32_e32 v7, 0x80000000, v7
	v_lshl_add_u32 v11, v13, 23, 0x37800000
	s_delay_alu instid0(VALU_DEP_3) | instskip(NEXT) | instid1(VALU_DEP_1)
	v_lshlrev_b32_e32 v10, 21, v10
	v_or3_b32 v7, v7, v11, v10
	s_delay_alu instid0(VALU_DEP_1)
	v_cvt_u32_f32_e32 v10, v7
.LBB348_2538:
	s_or_b32 exec_lo, exec_lo, s1
	s_mov_b32 s1, 0
	s_branch .LBB348_2544
.LBB348_2539:
	s_mov_b32 s1, -1
                                        ; implicit-def: $vgpr10
	s_branch .LBB348_2550
.LBB348_2540:
	s_and_not1_saveexec_b32 s6, s6
	s_cbranch_execz .LBB348_2525
.LBB348_2541:
	v_cmp_ne_u16_e32 vcc_lo, 0, v7
	s_and_not1_b32 s7, s7, exec_lo
	s_and_b32 s11, vcc_lo, exec_lo
	s_delay_alu instid0(SALU_CYCLE_1)
	s_or_b32 s7, s7, s11
	s_or_b32 exec_lo, exec_lo, s6
	v_mov_b32_e32 v10, 0
	s_and_saveexec_b32 s6, s7
	s_cbranch_execnz .LBB348_2526
	s_branch .LBB348_2527
.LBB348_2542:
	s_mov_b32 s1, -1
                                        ; implicit-def: $vgpr10
	s_branch .LBB348_2547
.LBB348_2543:
	s_mov_b32 s1, -1
                                        ; implicit-def: $vgpr10
.LBB348_2544:
	s_delay_alu instid0(SALU_CYCLE_1)
	s_and_b32 vcc_lo, exec_lo, s1
	s_cbranch_vccz .LBB348_2546
; %bb.2545:
	global_load_u8 v7, v[8:9], off
	s_wait_loadcnt 0x0
	v_lshlrev_b32_e32 v7, 24, v7
	s_wait_xcnt 0x1
	s_delay_alu instid0(VALU_DEP_1) | instskip(NEXT) | instid1(VALU_DEP_1)
	v_and_b32_e32 v10, 0x7f000000, v7
	v_clz_i32_u32_e32 v11, v10
	v_cmp_ne_u32_e32 vcc_lo, 0, v10
	v_add_nc_u32_e32 v15, 0x1000000, v10
	s_delay_alu instid0(VALU_DEP_3) | instskip(NEXT) | instid1(VALU_DEP_1)
	v_min_u32_e32 v11, 32, v11
	v_sub_nc_u32_e64 v11, v11, 4 clamp
	s_delay_alu instid0(VALU_DEP_1) | instskip(NEXT) | instid1(VALU_DEP_1)
	v_dual_lshlrev_b32 v13, v11, v10 :: v_dual_lshlrev_b32 v11, 23, v11
	v_lshrrev_b32_e32 v13, 4, v13
	s_delay_alu instid0(VALU_DEP_1) | instskip(SKIP_1) | instid1(VALU_DEP_2)
	v_sub_nc_u32_e32 v11, v13, v11
	v_ashrrev_i32_e32 v13, 8, v15
	v_add_nc_u32_e32 v11, 0x3c000000, v11
	s_delay_alu instid0(VALU_DEP_1) | instskip(NEXT) | instid1(VALU_DEP_1)
	v_and_or_b32 v11, 0x7f800000, v13, v11
	v_cndmask_b32_e32 v10, 0, v11, vcc_lo
	s_delay_alu instid0(VALU_DEP_1) | instskip(NEXT) | instid1(VALU_DEP_1)
	v_and_or_b32 v7, 0x80000000, v7, v10
	v_cvt_u32_f32_e32 v10, v7
.LBB348_2546:
	s_mov_b32 s1, 0
.LBB348_2547:
	s_delay_alu instid0(SALU_CYCLE_1)
	s_and_not1_b32 vcc_lo, exec_lo, s1
	s_cbranch_vccnz .LBB348_2549
; %bb.2548:
	global_load_u8 v7, v[8:9], off
	s_wait_loadcnt 0x0
	s_wait_xcnt 0x1
	v_lshlrev_b32_e32 v10, 25, v7
	v_lshlrev_b16 v7, 8, v7
	s_delay_alu instid0(VALU_DEP_1) | instskip(SKIP_1) | instid1(VALU_DEP_2)
	v_and_or_b32 v13, 0x7f00, v7, 0.5
	v_bfe_i32 v7, v7, 0, 16
	v_dual_add_f32 v13, -0.5, v13 :: v_dual_lshrrev_b32 v11, 4, v10
	v_cmp_gt_u32_e32 vcc_lo, 0x8000000, v10
	s_delay_alu instid0(VALU_DEP_2) | instskip(NEXT) | instid1(VALU_DEP_1)
	v_or_b32_e32 v11, 0x70000000, v11
	v_mul_f32_e32 v11, 0x7800000, v11
	s_delay_alu instid0(VALU_DEP_1) | instskip(NEXT) | instid1(VALU_DEP_1)
	v_cndmask_b32_e32 v10, v11, v13, vcc_lo
	v_and_or_b32 v7, 0x80000000, v7, v10
	s_delay_alu instid0(VALU_DEP_1)
	v_cvt_u32_f32_e32 v10, v7
.LBB348_2549:
	s_mov_b32 s1, 0
	s_mov_b32 s6, -1
.LBB348_2550:
	s_and_not1_b32 vcc_lo, exec_lo, s1
	s_mov_b32 s1, 0
	s_cbranch_vccnz .LBB348_2561
; %bb.2551:
	s_cmp_gt_i32 s12, 14
	s_cbranch_scc0 .LBB348_2554
; %bb.2552:
	s_cmp_eq_u32 s12, 15
	s_cbranch_scc0 .LBB348_2557
; %bb.2553:
	global_load_u16 v7, v[8:9], off
	s_mov_b32 s0, 0
	s_mov_b32 s6, -1
	s_wait_loadcnt 0x0
	v_lshlrev_b32_e32 v7, 16, v7
	s_wait_xcnt 0x1
	s_delay_alu instid0(VALU_DEP_1)
	v_cvt_u32_f32_e32 v10, v7
	s_branch .LBB348_2559
.LBB348_2554:
	s_mov_b32 s1, -1
	s_branch .LBB348_2558
.LBB348_2555:
	s_and_not1_saveexec_b32 s1, s1
	s_cbranch_execz .LBB348_2536
.LBB348_2556:
	v_cmp_ne_u16_e32 vcc_lo, 0, v7
	s_and_not1_b32 s6, s6, exec_lo
	s_and_b32 s7, vcc_lo, exec_lo
	s_delay_alu instid0(SALU_CYCLE_1)
	s_or_b32 s6, s6, s7
	s_or_b32 exec_lo, exec_lo, s1
	v_mov_b32_e32 v10, 0
	s_and_saveexec_b32 s1, s6
	s_cbranch_execnz .LBB348_2537
	s_branch .LBB348_2538
.LBB348_2557:
	s_mov_b32 s0, -1
.LBB348_2558:
                                        ; implicit-def: $vgpr10
.LBB348_2559:
	s_and_b32 vcc_lo, exec_lo, s1
	s_mov_b32 s1, 0
	s_cbranch_vccz .LBB348_2561
; %bb.2560:
	s_cmp_lg_u32 s12, 11
	s_mov_b32 s1, -1
	s_cselect_b32 s0, -1, 0
.LBB348_2561:
	s_delay_alu instid0(SALU_CYCLE_1)
	s_and_b32 vcc_lo, exec_lo, s0
	s_cbranch_vccnz .LBB348_3093
; %bb.2562:
	s_and_not1_b32 vcc_lo, exec_lo, s1
	s_cbranch_vccnz .LBB348_2564
.LBB348_2563:
	global_load_u8 v7, v[8:9], off
	s_mov_b32 s6, -1
	s_wait_loadcnt 0x0
	v_cmp_ne_u16_e32 vcc_lo, 0, v7
	s_wait_xcnt 0x1
	v_cndmask_b32_e64 v10, 0, 1, vcc_lo
.LBB348_2564:
	s_mov_b32 s0, 0
.LBB348_2565:
	s_delay_alu instid0(SALU_CYCLE_1)
	s_and_b32 vcc_lo, exec_lo, s0
	s_cbranch_vccz .LBB348_2614
; %bb.2566:
	s_cmp_lt_i32 s12, 5
	s_cbranch_scc1 .LBB348_2571
; %bb.2567:
	s_cmp_lt_i32 s12, 8
	s_cbranch_scc1 .LBB348_2572
	;; [unrolled: 3-line block ×3, first 2 shown]
; %bb.2569:
	s_cmp_gt_i32 s12, 9
	s_cbranch_scc0 .LBB348_2574
; %bb.2570:
	s_wait_loadcnt 0x0
	global_load_b64 v[10:11], v[8:9], off
	s_mov_b32 s0, 0
	s_wait_loadcnt 0x0
	v_cvt_u32_f64_e32 v10, v[10:11]
	s_branch .LBB348_2575
.LBB348_2571:
	s_mov_b32 s0, -1
                                        ; implicit-def: $vgpr10
	s_branch .LBB348_2593
.LBB348_2572:
	s_mov_b32 s0, -1
                                        ; implicit-def: $vgpr10
	s_branch .LBB348_2581
.LBB348_2573:
	s_mov_b32 s0, -1
                                        ; implicit-def: $vgpr10
	s_branch .LBB348_2578
.LBB348_2574:
	s_mov_b32 s0, -1
                                        ; implicit-def: $vgpr10
.LBB348_2575:
	s_delay_alu instid0(SALU_CYCLE_1)
	s_and_not1_b32 vcc_lo, exec_lo, s0
	s_cbranch_vccnz .LBB348_2577
; %bb.2576:
	global_load_b32 v7, v[8:9], off
	s_wait_loadcnt 0x0
	s_wait_xcnt 0x1
	v_cvt_u32_f32_e32 v10, v7
.LBB348_2577:
	s_mov_b32 s0, 0
.LBB348_2578:
	s_delay_alu instid0(SALU_CYCLE_1)
	s_and_not1_b32 vcc_lo, exec_lo, s0
	s_cbranch_vccnz .LBB348_2580
; %bb.2579:
	global_load_b32 v7, v[8:9], off
	s_wait_loadcnt 0x0
	v_cvt_f32_f16_e32 v7, v7
	s_wait_xcnt 0x1
	s_delay_alu instid0(VALU_DEP_1)
	v_cvt_u32_f32_e32 v10, v7
.LBB348_2580:
	s_mov_b32 s0, 0
.LBB348_2581:
	s_delay_alu instid0(SALU_CYCLE_1)
	s_and_not1_b32 vcc_lo, exec_lo, s0
	s_cbranch_vccnz .LBB348_2592
; %bb.2582:
	s_cmp_lt_i32 s12, 6
	s_cbranch_scc1 .LBB348_2585
; %bb.2583:
	s_cmp_gt_i32 s12, 6
	s_cbranch_scc0 .LBB348_2586
; %bb.2584:
	s_wait_loadcnt 0x0
	global_load_b64 v[10:11], v[8:9], off
	s_mov_b32 s0, 0
	s_wait_loadcnt 0x0
	v_cvt_u32_f64_e32 v10, v[10:11]
	s_branch .LBB348_2587
.LBB348_2585:
	s_mov_b32 s0, -1
                                        ; implicit-def: $vgpr10
	s_branch .LBB348_2590
.LBB348_2586:
	s_mov_b32 s0, -1
                                        ; implicit-def: $vgpr10
.LBB348_2587:
	s_delay_alu instid0(SALU_CYCLE_1)
	s_and_not1_b32 vcc_lo, exec_lo, s0
	s_cbranch_vccnz .LBB348_2589
; %bb.2588:
	global_load_b32 v7, v[8:9], off
	s_wait_loadcnt 0x0
	s_wait_xcnt 0x1
	v_cvt_u32_f32_e32 v10, v7
.LBB348_2589:
	s_mov_b32 s0, 0
.LBB348_2590:
	s_delay_alu instid0(SALU_CYCLE_1)
	s_and_not1_b32 vcc_lo, exec_lo, s0
	s_cbranch_vccnz .LBB348_2592
; %bb.2591:
	global_load_u16 v7, v[8:9], off
	s_wait_loadcnt 0x0
	v_cvt_f32_f16_e32 v7, v7
	s_wait_xcnt 0x1
	s_delay_alu instid0(VALU_DEP_1)
	v_cvt_u32_f32_e32 v10, v7
.LBB348_2592:
	s_mov_b32 s0, 0
.LBB348_2593:
	s_delay_alu instid0(SALU_CYCLE_1)
	s_and_not1_b32 vcc_lo, exec_lo, s0
	s_cbranch_vccnz .LBB348_2613
; %bb.2594:
	s_cmp_lt_i32 s12, 2
	s_cbranch_scc1 .LBB348_2598
; %bb.2595:
	s_cmp_lt_i32 s12, 3
	s_cbranch_scc1 .LBB348_2599
; %bb.2596:
	s_cmp_gt_i32 s12, 3
	s_cbranch_scc0 .LBB348_2600
; %bb.2597:
	s_wait_loadcnt 0x0
	global_load_b32 v10, v[8:9], off
	s_mov_b32 s0, 0
	s_branch .LBB348_2601
.LBB348_2598:
	s_mov_b32 s0, -1
                                        ; implicit-def: $vgpr10
	s_branch .LBB348_2607
.LBB348_2599:
	s_mov_b32 s0, -1
                                        ; implicit-def: $vgpr10
	s_branch .LBB348_2604
.LBB348_2600:
	s_mov_b32 s0, -1
                                        ; implicit-def: $vgpr10
.LBB348_2601:
	s_delay_alu instid0(SALU_CYCLE_1)
	s_and_not1_b32 vcc_lo, exec_lo, s0
	s_cbranch_vccnz .LBB348_2603
; %bb.2602:
	s_wait_loadcnt 0x0
	global_load_b32 v10, v[8:9], off
.LBB348_2603:
	s_mov_b32 s0, 0
.LBB348_2604:
	s_delay_alu instid0(SALU_CYCLE_1)
	s_and_not1_b32 vcc_lo, exec_lo, s0
	s_cbranch_vccnz .LBB348_2606
; %bb.2605:
	s_wait_loadcnt 0x0
	global_load_i16 v10, v[8:9], off
.LBB348_2606:
	s_mov_b32 s0, 0
.LBB348_2607:
	s_delay_alu instid0(SALU_CYCLE_1)
	s_and_not1_b32 vcc_lo, exec_lo, s0
	s_cbranch_vccnz .LBB348_2613
; %bb.2608:
	s_cmp_gt_i32 s12, 0
	s_mov_b32 s0, 0
	s_cbranch_scc0 .LBB348_2610
; %bb.2609:
	s_wait_loadcnt 0x0
	global_load_i8 v10, v[8:9], off
	s_branch .LBB348_2611
.LBB348_2610:
	s_mov_b32 s0, -1
                                        ; implicit-def: $vgpr10
.LBB348_2611:
	s_delay_alu instid0(SALU_CYCLE_1)
	s_and_not1_b32 vcc_lo, exec_lo, s0
	s_cbranch_vccnz .LBB348_2613
; %bb.2612:
	s_wait_loadcnt 0x0
	global_load_u8 v10, v[8:9], off
.LBB348_2613:
	s_mov_b32 s6, -1
.LBB348_2614:
	s_delay_alu instid0(SALU_CYCLE_1)
	s_and_not1_b32 vcc_lo, exec_lo, s6
	s_cbranch_vccnz .LBB348_3047
; %bb.2615:
	s_load_b64 s[0:1], s[2:3], 0x1a0
	v_mov_b32_e32 v7, 0
	s_wait_loadcnt 0x0
	v_cmp_ne_u32_e32 vcc_lo, v1, v5
	s_mov_b32 s11, 0
	s_delay_alu instid0(VALU_DEP_2)
	v_add_nc_u64_e32 v[6:7], s[4:5], v[6:7]
	s_wait_kmcnt 0x0
	s_cmp_eq_u32 s0, 0
	s_mov_b32 s0, -1
	s_cselect_b32 s2, -1, 0
	s_and_b32 s1, s1, 0xff
	s_xor_b32 s3, s2, vcc_lo
	s_cmp_lt_i32 s1, 11
	s_cbranch_scc1 .LBB348_2694
; %bb.2616:
	s_and_b32 s6, 0xffff, s1
	s_mov_b32 s12, -1
	s_mov_b32 s7, 0
	s_cmp_gt_i32 s6, 25
	s_mov_b32 s0, 0
	s_cbranch_scc0 .LBB348_2649
; %bb.2617:
	s_cmp_gt_i32 s6, 28
	s_cbranch_scc0 .LBB348_2632
; %bb.2618:
	s_cmp_gt_i32 s6, 43
	;; [unrolled: 3-line block ×3, first 2 shown]
	s_cbranch_scc0 .LBB348_2622
; %bb.2620:
	s_mov_b32 s0, -1
	s_mov_b32 s12, 0
	s_cmp_eq_u32 s6, 46
	s_cbranch_scc0 .LBB348_2622
; %bb.2621:
	v_cndmask_b32_e64 v1, 0, 1.0, s3
	s_mov_b32 s0, 0
	s_mov_b32 s11, -1
	s_delay_alu instid0(VALU_DEP_1) | instskip(NEXT) | instid1(VALU_DEP_1)
	v_bfe_u32 v5, v1, 16, 1
	v_add3_u32 v1, v1, v5, 0x7fff
	s_delay_alu instid0(VALU_DEP_1)
	v_lshrrev_b32_e32 v1, 16, v1
	global_store_b32 v[6:7], v1, off
.LBB348_2622:
	s_and_b32 vcc_lo, exec_lo, s12
	s_cbranch_vccz .LBB348_2627
; %bb.2623:
	s_cmp_eq_u32 s6, 44
	s_mov_b32 s0, -1
	s_cbranch_scc0 .LBB348_2627
; %bb.2624:
	v_cndmask_b32_e64 v8, 0, 1.0, s3
	v_mov_b32_e32 v5, 0xff
	s_mov_b32 s11, exec_lo
	s_wait_xcnt 0x0
	s_delay_alu instid0(VALU_DEP_2) | instskip(NEXT) | instid1(VALU_DEP_1)
	v_lshrrev_b32_e32 v1, 23, v8
	v_cmpx_ne_u32_e32 0xff, v1
; %bb.2625:
	v_and_b32_e32 v5, 0x400000, v8
	v_and_or_b32 v8, 0x3fffff, v8, v1
	s_delay_alu instid0(VALU_DEP_2) | instskip(NEXT) | instid1(VALU_DEP_2)
	v_cmp_ne_u32_e32 vcc_lo, 0, v5
	v_cmp_ne_u32_e64 s0, 0, v8
	s_and_b32 s0, vcc_lo, s0
	s_delay_alu instid0(SALU_CYCLE_1) | instskip(NEXT) | instid1(VALU_DEP_1)
	v_cndmask_b32_e64 v5, 0, 1, s0
	v_add_nc_u32_e32 v5, v1, v5
; %bb.2626:
	s_or_b32 exec_lo, exec_lo, s11
	s_mov_b32 s0, 0
	s_mov_b32 s11, -1
	global_store_b8 v[6:7], v5, off
.LBB348_2627:
	s_mov_b32 s12, 0
.LBB348_2628:
	s_delay_alu instid0(SALU_CYCLE_1)
	s_and_b32 vcc_lo, exec_lo, s12
	s_cbranch_vccz .LBB348_2631
; %bb.2629:
	s_cmp_eq_u32 s6, 29
	s_mov_b32 s0, -1
	s_cbranch_scc0 .LBB348_2631
; %bb.2630:
	s_mov_b32 s0, 0
	v_cndmask_b32_e64 v8, 0, 1, s3
	v_mov_b32_e32 v9, s0
	s_mov_b32 s11, -1
	global_store_b64 v[6:7], v[8:9], off
.LBB348_2631:
	s_mov_b32 s12, 0
.LBB348_2632:
	s_delay_alu instid0(SALU_CYCLE_1)
	s_and_b32 vcc_lo, exec_lo, s12
	s_cbranch_vccz .LBB348_2648
; %bb.2633:
	s_cmp_lt_i32 s6, 27
	s_mov_b32 s11, -1
	s_cbranch_scc1 .LBB348_2639
; %bb.2634:
	s_cmp_gt_i32 s6, 27
	s_cbranch_scc0 .LBB348_2636
; %bb.2635:
	s_wait_xcnt 0x0
	v_cndmask_b32_e64 v1, 0, 1, s3
	s_mov_b32 s11, 0
	global_store_b32 v[6:7], v1, off
.LBB348_2636:
	s_and_not1_b32 vcc_lo, exec_lo, s11
	s_cbranch_vccnz .LBB348_2638
; %bb.2637:
	s_wait_xcnt 0x0
	v_cndmask_b32_e64 v1, 0, 1, s3
	global_store_b16 v[6:7], v1, off
.LBB348_2638:
	s_mov_b32 s11, 0
.LBB348_2639:
	s_delay_alu instid0(SALU_CYCLE_1)
	s_and_not1_b32 vcc_lo, exec_lo, s11
	s_cbranch_vccnz .LBB348_2647
; %bb.2640:
	s_wait_xcnt 0x0
	v_cndmask_b32_e64 v5, 0, 1.0, s3
	v_mov_b32_e32 v8, 0x80
	s_mov_b32 s11, exec_lo
	s_delay_alu instid0(VALU_DEP_2)
	v_cmpx_gt_u32_e32 0x43800000, v5
	s_cbranch_execz .LBB348_2646
; %bb.2641:
	s_mov_b32 s12, 0
	s_mov_b32 s13, exec_lo
                                        ; implicit-def: $vgpr1
	v_cmpx_lt_u32_e32 0x3bffffff, v5
	s_xor_b32 s13, exec_lo, s13
	s_cbranch_execz .LBB348_3094
; %bb.2642:
	v_bfe_u32 v1, v5, 20, 1
	s_mov_b32 s12, exec_lo
	s_delay_alu instid0(VALU_DEP_1) | instskip(NEXT) | instid1(VALU_DEP_1)
	v_add3_u32 v1, v5, v1, 0x487ffff
                                        ; implicit-def: $vgpr5
	v_lshrrev_b32_e32 v1, 20, v1
	s_and_not1_saveexec_b32 s13, s13
	s_cbranch_execnz .LBB348_3095
.LBB348_2643:
	s_or_b32 exec_lo, exec_lo, s13
	v_mov_b32_e32 v8, 0
	s_and_saveexec_b32 s13, s12
.LBB348_2644:
	v_mov_b32_e32 v8, v1
.LBB348_2645:
	s_or_b32 exec_lo, exec_lo, s13
.LBB348_2646:
	s_delay_alu instid0(SALU_CYCLE_1)
	s_or_b32 exec_lo, exec_lo, s11
	global_store_b8 v[6:7], v8, off
.LBB348_2647:
	s_mov_b32 s11, -1
.LBB348_2648:
	s_mov_b32 s12, 0
.LBB348_2649:
	s_delay_alu instid0(SALU_CYCLE_1)
	s_and_b32 vcc_lo, exec_lo, s12
	s_cbranch_vccz .LBB348_2689
; %bb.2650:
	s_cmp_gt_i32 s6, 22
	s_mov_b32 s7, -1
	s_cbranch_scc0 .LBB348_2682
; %bb.2651:
	s_cmp_lt_i32 s6, 24
	s_cbranch_scc1 .LBB348_2671
; %bb.2652:
	s_cmp_gt_i32 s6, 24
	s_cbranch_scc0 .LBB348_2660
; %bb.2653:
	s_wait_xcnt 0x0
	v_cndmask_b32_e64 v5, 0, 1.0, s3
	v_mov_b32_e32 v8, 0x80
	s_mov_b32 s7, exec_lo
	s_delay_alu instid0(VALU_DEP_2)
	v_cmpx_gt_u32_e32 0x47800000, v5
	s_cbranch_execz .LBB348_2659
; %bb.2654:
	s_mov_b32 s11, 0
	s_mov_b32 s12, exec_lo
                                        ; implicit-def: $vgpr1
	v_cmpx_lt_u32_e32 0x37ffffff, v5
	s_xor_b32 s12, exec_lo, s12
	s_cbranch_execz .LBB348_3097
; %bb.2655:
	v_bfe_u32 v1, v5, 21, 1
	s_mov_b32 s11, exec_lo
	s_delay_alu instid0(VALU_DEP_1) | instskip(NEXT) | instid1(VALU_DEP_1)
	v_add3_u32 v1, v5, v1, 0x88fffff
                                        ; implicit-def: $vgpr5
	v_lshrrev_b32_e32 v1, 21, v1
	s_and_not1_saveexec_b32 s12, s12
	s_cbranch_execnz .LBB348_3098
.LBB348_2656:
	s_or_b32 exec_lo, exec_lo, s12
	v_mov_b32_e32 v8, 0
	s_and_saveexec_b32 s12, s11
.LBB348_2657:
	v_mov_b32_e32 v8, v1
.LBB348_2658:
	s_or_b32 exec_lo, exec_lo, s12
.LBB348_2659:
	s_delay_alu instid0(SALU_CYCLE_1)
	s_or_b32 exec_lo, exec_lo, s7
	s_mov_b32 s7, 0
	global_store_b8 v[6:7], v8, off
.LBB348_2660:
	s_and_b32 vcc_lo, exec_lo, s7
	s_cbranch_vccz .LBB348_2670
; %bb.2661:
	s_wait_xcnt 0x0
	v_cndmask_b32_e64 v5, 0, 1.0, s3
	s_mov_b32 s7, exec_lo
                                        ; implicit-def: $vgpr1
	s_delay_alu instid0(VALU_DEP_1)
	v_cmpx_gt_u32_e32 0x43f00000, v5
	s_xor_b32 s7, exec_lo, s7
	s_cbranch_execz .LBB348_2667
; %bb.2662:
	s_mov_b32 s11, exec_lo
                                        ; implicit-def: $vgpr1
	v_cmpx_lt_u32_e32 0x3c7fffff, v5
	s_xor_b32 s11, exec_lo, s11
; %bb.2663:
	v_bfe_u32 v1, v5, 20, 1
	s_delay_alu instid0(VALU_DEP_1) | instskip(NEXT) | instid1(VALU_DEP_1)
	v_add3_u32 v1, v5, v1, 0x407ffff
	v_and_b32_e32 v5, 0xff00000, v1
	v_lshrrev_b32_e32 v1, 20, v1
	s_delay_alu instid0(VALU_DEP_2) | instskip(NEXT) | instid1(VALU_DEP_2)
	v_cmp_ne_u32_e32 vcc_lo, 0x7f00000, v5
                                        ; implicit-def: $vgpr5
	v_cndmask_b32_e32 v1, 0x7e, v1, vcc_lo
; %bb.2664:
	s_and_not1_saveexec_b32 s11, s11
; %bb.2665:
	v_add_f32_e32 v1, 0x46800000, v5
; %bb.2666:
	s_or_b32 exec_lo, exec_lo, s11
                                        ; implicit-def: $vgpr5
.LBB348_2667:
	s_and_not1_saveexec_b32 s7, s7
; %bb.2668:
	v_mov_b32_e32 v1, 0x7f
	v_cmp_lt_u32_e32 vcc_lo, 0x7f800000, v5
	s_delay_alu instid0(VALU_DEP_2)
	v_cndmask_b32_e32 v1, 0x7e, v1, vcc_lo
; %bb.2669:
	s_or_b32 exec_lo, exec_lo, s7
	global_store_b8 v[6:7], v1, off
.LBB348_2670:
	s_mov_b32 s7, 0
.LBB348_2671:
	s_delay_alu instid0(SALU_CYCLE_1)
	s_and_not1_b32 vcc_lo, exec_lo, s7
	s_cbranch_vccnz .LBB348_2681
; %bb.2672:
	s_wait_xcnt 0x0
	v_cndmask_b32_e64 v5, 0, 1.0, s3
	s_mov_b32 s7, exec_lo
                                        ; implicit-def: $vgpr1
	s_delay_alu instid0(VALU_DEP_1)
	v_cmpx_gt_u32_e32 0x47800000, v5
	s_xor_b32 s7, exec_lo, s7
	s_cbranch_execz .LBB348_2678
; %bb.2673:
	s_mov_b32 s11, exec_lo
                                        ; implicit-def: $vgpr1
	v_cmpx_lt_u32_e32 0x387fffff, v5
	s_xor_b32 s11, exec_lo, s11
; %bb.2674:
	v_bfe_u32 v1, v5, 21, 1
	s_delay_alu instid0(VALU_DEP_1) | instskip(NEXT) | instid1(VALU_DEP_1)
	v_add3_u32 v1, v5, v1, 0x80fffff
                                        ; implicit-def: $vgpr5
	v_lshrrev_b32_e32 v1, 21, v1
; %bb.2675:
	s_and_not1_saveexec_b32 s11, s11
; %bb.2676:
	v_add_f32_e32 v1, 0x43000000, v5
; %bb.2677:
	s_or_b32 exec_lo, exec_lo, s11
                                        ; implicit-def: $vgpr5
.LBB348_2678:
	s_and_not1_saveexec_b32 s7, s7
; %bb.2679:
	v_mov_b32_e32 v1, 0x7f
	v_cmp_lt_u32_e32 vcc_lo, 0x7f800000, v5
	s_delay_alu instid0(VALU_DEP_2)
	v_cndmask_b32_e32 v1, 0x7c, v1, vcc_lo
; %bb.2680:
	s_or_b32 exec_lo, exec_lo, s7
	global_store_b8 v[6:7], v1, off
.LBB348_2681:
	s_mov_b32 s7, 0
	s_mov_b32 s11, -1
.LBB348_2682:
	s_and_not1_b32 vcc_lo, exec_lo, s7
	s_mov_b32 s7, 0
	s_cbranch_vccnz .LBB348_2689
; %bb.2683:
	s_cmp_gt_i32 s6, 14
	s_mov_b32 s7, -1
	s_cbranch_scc0 .LBB348_2687
; %bb.2684:
	s_cmp_eq_u32 s6, 15
	s_mov_b32 s0, -1
	s_cbranch_scc0 .LBB348_2686
; %bb.2685:
	s_wait_xcnt 0x0
	v_cndmask_b32_e64 v1, 0, 1.0, s3
	s_mov_b32 s0, 0
	s_mov_b32 s11, -1
	s_delay_alu instid0(VALU_DEP_1) | instskip(NEXT) | instid1(VALU_DEP_1)
	v_bfe_u32 v5, v1, 16, 1
	v_add3_u32 v1, v1, v5, 0x7fff
	global_store_d16_hi_b16 v[6:7], v1, off
.LBB348_2686:
	s_mov_b32 s7, 0
.LBB348_2687:
	s_delay_alu instid0(SALU_CYCLE_1)
	s_and_b32 vcc_lo, exec_lo, s7
	s_mov_b32 s7, 0
	s_cbranch_vccz .LBB348_2689
; %bb.2688:
	s_cmp_lg_u32 s6, 11
	s_mov_b32 s7, -1
	s_cselect_b32 s0, -1, 0
.LBB348_2689:
	s_delay_alu instid0(SALU_CYCLE_1)
	s_and_b32 vcc_lo, exec_lo, s0
	s_cbranch_vccnz .LBB348_3096
; %bb.2690:
	s_and_not1_b32 vcc_lo, exec_lo, s7
	s_cbranch_vccnz .LBB348_2692
.LBB348_2691:
	s_wait_xcnt 0x0
	v_cndmask_b32_e64 v1, 0, 1, s3
	s_mov_b32 s11, -1
	global_store_b8 v[6:7], v1, off
.LBB348_2692:
.LBB348_2693:
	s_and_not1_b32 vcc_lo, exec_lo, s11
	s_cbranch_vccnz .LBB348_3047
	s_branch .LBB348_2733
.LBB348_2694:
	s_and_b32 vcc_lo, exec_lo, s0
	s_cbranch_vccz .LBB348_2693
; %bb.2695:
	s_and_b32 s0, 0xffff, s1
	s_mov_b32 s6, -1
	s_cmp_lt_i32 s0, 5
	s_cbranch_scc1 .LBB348_2716
; %bb.2696:
	s_cmp_lt_i32 s0, 8
	s_cbranch_scc1 .LBB348_2706
; %bb.2697:
	;; [unrolled: 3-line block ×3, first 2 shown]
	s_cmp_gt_i32 s0, 9
	s_cbranch_scc0 .LBB348_2700
; %bb.2699:
	s_wait_xcnt 0x0
	v_cndmask_b32_e64 v1, 0, 1, s3
	v_mov_b32_e32 v22, 0
	s_mov_b32 s6, 0
	s_delay_alu instid0(VALU_DEP_2) | instskip(NEXT) | instid1(VALU_DEP_2)
	v_cvt_f64_u32_e32 v[20:21], v1
	v_mov_b32_e32 v23, v22
	global_store_b128 v[6:7], v[20:23], off
.LBB348_2700:
	s_and_not1_b32 vcc_lo, exec_lo, s6
	s_cbranch_vccnz .LBB348_2702
; %bb.2701:
	s_wait_xcnt 0x0
	v_cndmask_b32_e64 v8, 0, 1.0, s3
	v_mov_b32_e32 v9, 0
	global_store_b64 v[6:7], v[8:9], off
.LBB348_2702:
	s_mov_b32 s6, 0
.LBB348_2703:
	s_delay_alu instid0(SALU_CYCLE_1)
	s_and_not1_b32 vcc_lo, exec_lo, s6
	s_cbranch_vccnz .LBB348_2705
; %bb.2704:
	s_wait_xcnt 0x0
	v_cndmask_b32_e64 v1, 0, 1.0, s3
	s_delay_alu instid0(VALU_DEP_1) | instskip(NEXT) | instid1(VALU_DEP_1)
	v_cvt_f16_f32_e32 v1, v1
	v_and_b32_e32 v1, 0xffff, v1
	global_store_b32 v[6:7], v1, off
.LBB348_2705:
	s_mov_b32 s6, 0
.LBB348_2706:
	s_delay_alu instid0(SALU_CYCLE_1)
	s_and_not1_b32 vcc_lo, exec_lo, s6
	s_cbranch_vccnz .LBB348_2715
; %bb.2707:
	s_cmp_lt_i32 s0, 6
	s_mov_b32 s6, -1
	s_cbranch_scc1 .LBB348_2713
; %bb.2708:
	s_cmp_gt_i32 s0, 6
	s_cbranch_scc0 .LBB348_2710
; %bb.2709:
	s_wait_xcnt 0x0
	v_cndmask_b32_e64 v1, 0, 1, s3
	s_mov_b32 s6, 0
	s_delay_alu instid0(VALU_DEP_1)
	v_cvt_f64_u32_e32 v[8:9], v1
	global_store_b64 v[6:7], v[8:9], off
.LBB348_2710:
	s_and_not1_b32 vcc_lo, exec_lo, s6
	s_cbranch_vccnz .LBB348_2712
; %bb.2711:
	s_wait_xcnt 0x0
	v_cndmask_b32_e64 v1, 0, 1.0, s3
	global_store_b32 v[6:7], v1, off
.LBB348_2712:
	s_mov_b32 s6, 0
.LBB348_2713:
	s_delay_alu instid0(SALU_CYCLE_1)
	s_and_not1_b32 vcc_lo, exec_lo, s6
	s_cbranch_vccnz .LBB348_2715
; %bb.2714:
	s_wait_xcnt 0x0
	v_cndmask_b32_e64 v1, 0, 1.0, s3
	s_delay_alu instid0(VALU_DEP_1)
	v_cvt_f16_f32_e32 v1, v1
	global_store_b16 v[6:7], v1, off
.LBB348_2715:
	s_mov_b32 s6, 0
.LBB348_2716:
	s_delay_alu instid0(SALU_CYCLE_1)
	s_and_not1_b32 vcc_lo, exec_lo, s6
	s_cbranch_vccnz .LBB348_2732
; %bb.2717:
	s_cmp_lt_i32 s0, 2
	s_mov_b32 s6, -1
	s_cbranch_scc1 .LBB348_2727
; %bb.2718:
	s_cmp_lt_i32 s0, 3
	s_cbranch_scc1 .LBB348_2724
; %bb.2719:
	s_cmp_gt_i32 s0, 3
	s_cbranch_scc0 .LBB348_2721
; %bb.2720:
	s_mov_b32 s6, 0
	s_wait_xcnt 0x0
	v_cndmask_b32_e64 v8, 0, 1, s3
	v_mov_b32_e32 v9, s6
	global_store_b64 v[6:7], v[8:9], off
.LBB348_2721:
	s_and_not1_b32 vcc_lo, exec_lo, s6
	s_cbranch_vccnz .LBB348_2723
; %bb.2722:
	s_wait_xcnt 0x0
	v_cndmask_b32_e64 v1, 0, 1, s3
	global_store_b32 v[6:7], v1, off
.LBB348_2723:
	s_mov_b32 s6, 0
.LBB348_2724:
	s_delay_alu instid0(SALU_CYCLE_1)
	s_and_not1_b32 vcc_lo, exec_lo, s6
	s_cbranch_vccnz .LBB348_2726
; %bb.2725:
	s_wait_xcnt 0x0
	v_cndmask_b32_e64 v1, 0, 1, s3
	global_store_b16 v[6:7], v1, off
.LBB348_2726:
	s_mov_b32 s6, 0
.LBB348_2727:
	s_delay_alu instid0(SALU_CYCLE_1)
	s_and_not1_b32 vcc_lo, exec_lo, s6
	s_cbranch_vccnz .LBB348_2732
; %bb.2728:
	s_wait_xcnt 0x0
	v_cndmask_b32_e64 v1, 0, 1, s3
	s_cmp_gt_i32 s0, 0
	s_mov_b32 s0, -1
	s_cbranch_scc0 .LBB348_2730
; %bb.2729:
	s_mov_b32 s0, 0
	global_store_b8 v[6:7], v1, off
.LBB348_2730:
	s_and_not1_b32 vcc_lo, exec_lo, s0
	s_cbranch_vccnz .LBB348_2732
; %bb.2731:
	global_store_b8 v[6:7], v1, off
.LBB348_2732:
.LBB348_2733:
	s_wait_xcnt 0x0
	v_mov_b32_e32 v5, 0
	v_cmp_ne_u32_e32 vcc_lo, v3, v18
	s_and_b32 s3, 0xffff, s1
	s_delay_alu instid0(VALU_DEP_2)
	v_add_nc_u64_e32 v[4:5], s[4:5], v[4:5]
	s_xor_b32 s6, s2, vcc_lo
	s_cmp_lt_i32 s3, 11
	s_cbranch_scc1 .LBB348_2811
; %bb.2734:
	s_mov_b32 s12, -1
	s_mov_b32 s7, 0
	s_cmp_gt_i32 s3, 25
	s_mov_b32 s11, 0
	s_mov_b32 s0, 0
	s_cbranch_scc0 .LBB348_2767
; %bb.2735:
	s_cmp_gt_i32 s3, 28
	s_cbranch_scc0 .LBB348_2750
; %bb.2736:
	s_cmp_gt_i32 s3, 43
	;; [unrolled: 3-line block ×3, first 2 shown]
	s_cbranch_scc0 .LBB348_2740
; %bb.2738:
	s_mov_b32 s0, -1
	s_mov_b32 s12, 0
	s_cmp_eq_u32 s3, 46
	s_cbranch_scc0 .LBB348_2740
; %bb.2739:
	v_cndmask_b32_e64 v1, 0, 1.0, s6
	s_mov_b32 s0, 0
	s_mov_b32 s11, -1
	s_delay_alu instid0(VALU_DEP_1) | instskip(NEXT) | instid1(VALU_DEP_1)
	v_bfe_u32 v3, v1, 16, 1
	v_add3_u32 v1, v1, v3, 0x7fff
	s_delay_alu instid0(VALU_DEP_1)
	v_lshrrev_b32_e32 v1, 16, v1
	global_store_b32 v[4:5], v1, off
.LBB348_2740:
	s_and_b32 vcc_lo, exec_lo, s12
	s_cbranch_vccz .LBB348_2745
; %bb.2741:
	s_cmp_eq_u32 s3, 44
	s_mov_b32 s0, -1
	s_cbranch_scc0 .LBB348_2745
; %bb.2742:
	v_cndmask_b32_e64 v6, 0, 1.0, s6
	v_mov_b32_e32 v3, 0xff
	s_mov_b32 s11, exec_lo
	s_wait_xcnt 0x0
	s_delay_alu instid0(VALU_DEP_2) | instskip(NEXT) | instid1(VALU_DEP_1)
	v_lshrrev_b32_e32 v1, 23, v6
	v_cmpx_ne_u32_e32 0xff, v1
; %bb.2743:
	v_and_b32_e32 v3, 0x400000, v6
	v_and_or_b32 v6, 0x3fffff, v6, v1
	s_delay_alu instid0(VALU_DEP_2) | instskip(NEXT) | instid1(VALU_DEP_2)
	v_cmp_ne_u32_e32 vcc_lo, 0, v3
	v_cmp_ne_u32_e64 s0, 0, v6
	s_and_b32 s0, vcc_lo, s0
	s_delay_alu instid0(SALU_CYCLE_1) | instskip(NEXT) | instid1(VALU_DEP_1)
	v_cndmask_b32_e64 v3, 0, 1, s0
	v_add_nc_u32_e32 v3, v1, v3
; %bb.2744:
	s_or_b32 exec_lo, exec_lo, s11
	s_mov_b32 s0, 0
	s_mov_b32 s11, -1
	global_store_b8 v[4:5], v3, off
.LBB348_2745:
	s_mov_b32 s12, 0
.LBB348_2746:
	s_delay_alu instid0(SALU_CYCLE_1)
	s_and_b32 vcc_lo, exec_lo, s12
	s_cbranch_vccz .LBB348_2749
; %bb.2747:
	s_cmp_eq_u32 s3, 29
	s_mov_b32 s0, -1
	s_cbranch_scc0 .LBB348_2749
; %bb.2748:
	s_mov_b32 s0, 0
	v_cndmask_b32_e64 v6, 0, 1, s6
	v_mov_b32_e32 v7, s0
	s_mov_b32 s11, -1
	global_store_b64 v[4:5], v[6:7], off
.LBB348_2749:
	s_mov_b32 s12, 0
.LBB348_2750:
	s_delay_alu instid0(SALU_CYCLE_1)
	s_and_b32 vcc_lo, exec_lo, s12
	s_cbranch_vccz .LBB348_2766
; %bb.2751:
	s_cmp_lt_i32 s3, 27
	s_mov_b32 s11, -1
	s_cbranch_scc1 .LBB348_2757
; %bb.2752:
	s_cmp_gt_i32 s3, 27
	s_cbranch_scc0 .LBB348_2754
; %bb.2753:
	s_wait_xcnt 0x0
	v_cndmask_b32_e64 v1, 0, 1, s6
	s_mov_b32 s11, 0
	global_store_b32 v[4:5], v1, off
.LBB348_2754:
	s_and_not1_b32 vcc_lo, exec_lo, s11
	s_cbranch_vccnz .LBB348_2756
; %bb.2755:
	s_wait_xcnt 0x0
	v_cndmask_b32_e64 v1, 0, 1, s6
	global_store_b16 v[4:5], v1, off
.LBB348_2756:
	s_mov_b32 s11, 0
.LBB348_2757:
	s_delay_alu instid0(SALU_CYCLE_1)
	s_and_not1_b32 vcc_lo, exec_lo, s11
	s_cbranch_vccnz .LBB348_2765
; %bb.2758:
	s_wait_xcnt 0x0
	v_cndmask_b32_e64 v3, 0, 1.0, s6
	v_mov_b32_e32 v6, 0x80
	s_mov_b32 s11, exec_lo
	s_delay_alu instid0(VALU_DEP_2)
	v_cmpx_gt_u32_e32 0x43800000, v3
	s_cbranch_execz .LBB348_2764
; %bb.2759:
	s_mov_b32 s12, 0
	s_mov_b32 s13, exec_lo
                                        ; implicit-def: $vgpr1
	v_cmpx_lt_u32_e32 0x3bffffff, v3
	s_xor_b32 s13, exec_lo, s13
	s_cbranch_execz .LBB348_3099
; %bb.2760:
	v_bfe_u32 v1, v3, 20, 1
	s_mov_b32 s12, exec_lo
	s_delay_alu instid0(VALU_DEP_1) | instskip(NEXT) | instid1(VALU_DEP_1)
	v_add3_u32 v1, v3, v1, 0x487ffff
                                        ; implicit-def: $vgpr3
	v_lshrrev_b32_e32 v1, 20, v1
	s_and_not1_saveexec_b32 s13, s13
	s_cbranch_execnz .LBB348_3100
.LBB348_2761:
	s_or_b32 exec_lo, exec_lo, s13
	v_mov_b32_e32 v6, 0
	s_and_saveexec_b32 s13, s12
.LBB348_2762:
	v_mov_b32_e32 v6, v1
.LBB348_2763:
	s_or_b32 exec_lo, exec_lo, s13
.LBB348_2764:
	s_delay_alu instid0(SALU_CYCLE_1)
	s_or_b32 exec_lo, exec_lo, s11
	global_store_b8 v[4:5], v6, off
.LBB348_2765:
	s_mov_b32 s11, -1
.LBB348_2766:
	s_mov_b32 s12, 0
.LBB348_2767:
	s_delay_alu instid0(SALU_CYCLE_1)
	s_and_b32 vcc_lo, exec_lo, s12
	s_cbranch_vccz .LBB348_2807
; %bb.2768:
	s_cmp_gt_i32 s3, 22
	s_mov_b32 s7, -1
	s_cbranch_scc0 .LBB348_2800
; %bb.2769:
	s_cmp_lt_i32 s3, 24
	s_cbranch_scc1 .LBB348_2789
; %bb.2770:
	s_cmp_gt_i32 s3, 24
	s_cbranch_scc0 .LBB348_2778
; %bb.2771:
	s_wait_xcnt 0x0
	v_cndmask_b32_e64 v3, 0, 1.0, s6
	v_mov_b32_e32 v6, 0x80
	s_mov_b32 s7, exec_lo
	s_delay_alu instid0(VALU_DEP_2)
	v_cmpx_gt_u32_e32 0x47800000, v3
	s_cbranch_execz .LBB348_2777
; %bb.2772:
	s_mov_b32 s11, 0
	s_mov_b32 s12, exec_lo
                                        ; implicit-def: $vgpr1
	v_cmpx_lt_u32_e32 0x37ffffff, v3
	s_xor_b32 s12, exec_lo, s12
	s_cbranch_execz .LBB348_3102
; %bb.2773:
	v_bfe_u32 v1, v3, 21, 1
	s_mov_b32 s11, exec_lo
	s_delay_alu instid0(VALU_DEP_1) | instskip(NEXT) | instid1(VALU_DEP_1)
	v_add3_u32 v1, v3, v1, 0x88fffff
                                        ; implicit-def: $vgpr3
	v_lshrrev_b32_e32 v1, 21, v1
	s_and_not1_saveexec_b32 s12, s12
	s_cbranch_execnz .LBB348_3103
.LBB348_2774:
	s_or_b32 exec_lo, exec_lo, s12
	v_mov_b32_e32 v6, 0
	s_and_saveexec_b32 s12, s11
.LBB348_2775:
	v_mov_b32_e32 v6, v1
.LBB348_2776:
	s_or_b32 exec_lo, exec_lo, s12
.LBB348_2777:
	s_delay_alu instid0(SALU_CYCLE_1)
	s_or_b32 exec_lo, exec_lo, s7
	s_mov_b32 s7, 0
	global_store_b8 v[4:5], v6, off
.LBB348_2778:
	s_and_b32 vcc_lo, exec_lo, s7
	s_cbranch_vccz .LBB348_2788
; %bb.2779:
	s_wait_xcnt 0x0
	v_cndmask_b32_e64 v3, 0, 1.0, s6
	s_mov_b32 s7, exec_lo
                                        ; implicit-def: $vgpr1
	s_delay_alu instid0(VALU_DEP_1)
	v_cmpx_gt_u32_e32 0x43f00000, v3
	s_xor_b32 s7, exec_lo, s7
	s_cbranch_execz .LBB348_2785
; %bb.2780:
	s_mov_b32 s11, exec_lo
                                        ; implicit-def: $vgpr1
	v_cmpx_lt_u32_e32 0x3c7fffff, v3
	s_xor_b32 s11, exec_lo, s11
; %bb.2781:
	v_bfe_u32 v1, v3, 20, 1
	s_delay_alu instid0(VALU_DEP_1) | instskip(NEXT) | instid1(VALU_DEP_1)
	v_add3_u32 v1, v3, v1, 0x407ffff
	v_and_b32_e32 v3, 0xff00000, v1
	v_lshrrev_b32_e32 v1, 20, v1
	s_delay_alu instid0(VALU_DEP_2) | instskip(NEXT) | instid1(VALU_DEP_2)
	v_cmp_ne_u32_e32 vcc_lo, 0x7f00000, v3
                                        ; implicit-def: $vgpr3
	v_cndmask_b32_e32 v1, 0x7e, v1, vcc_lo
; %bb.2782:
	s_and_not1_saveexec_b32 s11, s11
; %bb.2783:
	v_add_f32_e32 v1, 0x46800000, v3
; %bb.2784:
	s_or_b32 exec_lo, exec_lo, s11
                                        ; implicit-def: $vgpr3
.LBB348_2785:
	s_and_not1_saveexec_b32 s7, s7
; %bb.2786:
	v_mov_b32_e32 v1, 0x7f
	v_cmp_lt_u32_e32 vcc_lo, 0x7f800000, v3
	s_delay_alu instid0(VALU_DEP_2)
	v_cndmask_b32_e32 v1, 0x7e, v1, vcc_lo
; %bb.2787:
	s_or_b32 exec_lo, exec_lo, s7
	global_store_b8 v[4:5], v1, off
.LBB348_2788:
	s_mov_b32 s7, 0
.LBB348_2789:
	s_delay_alu instid0(SALU_CYCLE_1)
	s_and_not1_b32 vcc_lo, exec_lo, s7
	s_cbranch_vccnz .LBB348_2799
; %bb.2790:
	s_wait_xcnt 0x0
	v_cndmask_b32_e64 v3, 0, 1.0, s6
	s_mov_b32 s7, exec_lo
                                        ; implicit-def: $vgpr1
	s_delay_alu instid0(VALU_DEP_1)
	v_cmpx_gt_u32_e32 0x47800000, v3
	s_xor_b32 s7, exec_lo, s7
	s_cbranch_execz .LBB348_2796
; %bb.2791:
	s_mov_b32 s11, exec_lo
                                        ; implicit-def: $vgpr1
	v_cmpx_lt_u32_e32 0x387fffff, v3
	s_xor_b32 s11, exec_lo, s11
; %bb.2792:
	v_bfe_u32 v1, v3, 21, 1
	s_delay_alu instid0(VALU_DEP_1) | instskip(NEXT) | instid1(VALU_DEP_1)
	v_add3_u32 v1, v3, v1, 0x80fffff
                                        ; implicit-def: $vgpr3
	v_lshrrev_b32_e32 v1, 21, v1
; %bb.2793:
	s_and_not1_saveexec_b32 s11, s11
; %bb.2794:
	v_add_f32_e32 v1, 0x43000000, v3
; %bb.2795:
	s_or_b32 exec_lo, exec_lo, s11
                                        ; implicit-def: $vgpr3
.LBB348_2796:
	s_and_not1_saveexec_b32 s7, s7
; %bb.2797:
	v_mov_b32_e32 v1, 0x7f
	v_cmp_lt_u32_e32 vcc_lo, 0x7f800000, v3
	s_delay_alu instid0(VALU_DEP_2)
	v_cndmask_b32_e32 v1, 0x7c, v1, vcc_lo
; %bb.2798:
	s_or_b32 exec_lo, exec_lo, s7
	global_store_b8 v[4:5], v1, off
.LBB348_2799:
	s_mov_b32 s7, 0
	s_mov_b32 s11, -1
.LBB348_2800:
	s_and_not1_b32 vcc_lo, exec_lo, s7
	s_mov_b32 s7, 0
	s_cbranch_vccnz .LBB348_2807
; %bb.2801:
	s_cmp_gt_i32 s3, 14
	s_mov_b32 s7, -1
	s_cbranch_scc0 .LBB348_2805
; %bb.2802:
	s_cmp_eq_u32 s3, 15
	s_mov_b32 s0, -1
	s_cbranch_scc0 .LBB348_2804
; %bb.2803:
	s_wait_xcnt 0x0
	v_cndmask_b32_e64 v1, 0, 1.0, s6
	s_mov_b32 s0, 0
	s_mov_b32 s11, -1
	s_delay_alu instid0(VALU_DEP_1) | instskip(NEXT) | instid1(VALU_DEP_1)
	v_bfe_u32 v3, v1, 16, 1
	v_add3_u32 v1, v1, v3, 0x7fff
	global_store_d16_hi_b16 v[4:5], v1, off
.LBB348_2804:
	s_mov_b32 s7, 0
.LBB348_2805:
	s_delay_alu instid0(SALU_CYCLE_1)
	s_and_b32 vcc_lo, exec_lo, s7
	s_mov_b32 s7, 0
	s_cbranch_vccz .LBB348_2807
; %bb.2806:
	s_cmp_lg_u32 s3, 11
	s_mov_b32 s7, -1
	s_cselect_b32 s0, -1, 0
.LBB348_2807:
	s_delay_alu instid0(SALU_CYCLE_1)
	s_and_b32 vcc_lo, exec_lo, s0
	s_cbranch_vccnz .LBB348_3101
; %bb.2808:
	s_and_not1_b32 vcc_lo, exec_lo, s7
	s_cbranch_vccnz .LBB348_2810
.LBB348_2809:
	s_wait_xcnt 0x0
	v_cndmask_b32_e64 v1, 0, 1, s6
	s_mov_b32 s11, -1
	global_store_b8 v[4:5], v1, off
.LBB348_2810:
	s_mov_b32 s0, 0
	s_branch .LBB348_2812
.LBB348_2811:
	s_mov_b32 s0, -1
	s_mov_b32 s11, 0
.LBB348_2812:
	s_and_b32 vcc_lo, exec_lo, s0
	s_cbranch_vccz .LBB348_2851
; %bb.2813:
	s_cmp_lt_i32 s3, 5
	s_mov_b32 s0, -1
	s_cbranch_scc1 .LBB348_2834
; %bb.2814:
	s_cmp_lt_i32 s3, 8
	s_cbranch_scc1 .LBB348_2824
; %bb.2815:
	s_cmp_lt_i32 s3, 9
	s_cbranch_scc1 .LBB348_2821
; %bb.2816:
	s_cmp_gt_i32 s3, 9
	s_cbranch_scc0 .LBB348_2818
; %bb.2817:
	s_wait_xcnt 0x0
	v_cndmask_b32_e64 v1, 0, 1, s6
	v_mov_b32_e32 v8, 0
	s_mov_b32 s0, 0
	s_delay_alu instid0(VALU_DEP_2) | instskip(NEXT) | instid1(VALU_DEP_2)
	v_cvt_f64_u32_e32 v[6:7], v1
	v_mov_b32_e32 v9, v8
	global_store_b128 v[4:5], v[6:9], off
.LBB348_2818:
	s_and_not1_b32 vcc_lo, exec_lo, s0
	s_cbranch_vccnz .LBB348_2820
; %bb.2819:
	s_wait_xcnt 0x0
	v_cndmask_b32_e64 v6, 0, 1.0, s6
	v_mov_b32_e32 v7, 0
	global_store_b64 v[4:5], v[6:7], off
.LBB348_2820:
	s_mov_b32 s0, 0
.LBB348_2821:
	s_delay_alu instid0(SALU_CYCLE_1)
	s_and_not1_b32 vcc_lo, exec_lo, s0
	s_cbranch_vccnz .LBB348_2823
; %bb.2822:
	s_wait_xcnt 0x0
	v_cndmask_b32_e64 v1, 0, 1.0, s6
	s_delay_alu instid0(VALU_DEP_1) | instskip(NEXT) | instid1(VALU_DEP_1)
	v_cvt_f16_f32_e32 v1, v1
	v_and_b32_e32 v1, 0xffff, v1
	global_store_b32 v[4:5], v1, off
.LBB348_2823:
	s_mov_b32 s0, 0
.LBB348_2824:
	s_delay_alu instid0(SALU_CYCLE_1)
	s_and_not1_b32 vcc_lo, exec_lo, s0
	s_cbranch_vccnz .LBB348_2833
; %bb.2825:
	s_cmp_lt_i32 s3, 6
	s_mov_b32 s0, -1
	s_cbranch_scc1 .LBB348_2831
; %bb.2826:
	s_cmp_gt_i32 s3, 6
	s_cbranch_scc0 .LBB348_2828
; %bb.2827:
	s_wait_xcnt 0x0
	v_cndmask_b32_e64 v1, 0, 1, s6
	s_mov_b32 s0, 0
	s_delay_alu instid0(VALU_DEP_1)
	v_cvt_f64_u32_e32 v[6:7], v1
	global_store_b64 v[4:5], v[6:7], off
.LBB348_2828:
	s_and_not1_b32 vcc_lo, exec_lo, s0
	s_cbranch_vccnz .LBB348_2830
; %bb.2829:
	s_wait_xcnt 0x0
	v_cndmask_b32_e64 v1, 0, 1.0, s6
	global_store_b32 v[4:5], v1, off
.LBB348_2830:
	s_mov_b32 s0, 0
.LBB348_2831:
	s_delay_alu instid0(SALU_CYCLE_1)
	s_and_not1_b32 vcc_lo, exec_lo, s0
	s_cbranch_vccnz .LBB348_2833
; %bb.2832:
	s_wait_xcnt 0x0
	v_cndmask_b32_e64 v1, 0, 1.0, s6
	s_delay_alu instid0(VALU_DEP_1)
	v_cvt_f16_f32_e32 v1, v1
	global_store_b16 v[4:5], v1, off
.LBB348_2833:
	s_mov_b32 s0, 0
.LBB348_2834:
	s_delay_alu instid0(SALU_CYCLE_1)
	s_and_not1_b32 vcc_lo, exec_lo, s0
	s_cbranch_vccnz .LBB348_2850
; %bb.2835:
	s_cmp_lt_i32 s3, 2
	s_mov_b32 s0, -1
	s_cbranch_scc1 .LBB348_2845
; %bb.2836:
	s_cmp_lt_i32 s3, 3
	s_cbranch_scc1 .LBB348_2842
; %bb.2837:
	s_cmp_gt_i32 s3, 3
	s_cbranch_scc0 .LBB348_2839
; %bb.2838:
	s_mov_b32 s0, 0
	s_wait_xcnt 0x0
	v_cndmask_b32_e64 v6, 0, 1, s6
	v_mov_b32_e32 v7, s0
	global_store_b64 v[4:5], v[6:7], off
.LBB348_2839:
	s_and_not1_b32 vcc_lo, exec_lo, s0
	s_cbranch_vccnz .LBB348_2841
; %bb.2840:
	s_wait_xcnt 0x0
	v_cndmask_b32_e64 v1, 0, 1, s6
	global_store_b32 v[4:5], v1, off
.LBB348_2841:
	s_mov_b32 s0, 0
.LBB348_2842:
	s_delay_alu instid0(SALU_CYCLE_1)
	s_and_not1_b32 vcc_lo, exec_lo, s0
	s_cbranch_vccnz .LBB348_2844
; %bb.2843:
	s_wait_xcnt 0x0
	v_cndmask_b32_e64 v1, 0, 1, s6
	global_store_b16 v[4:5], v1, off
.LBB348_2844:
	s_mov_b32 s0, 0
.LBB348_2845:
	s_delay_alu instid0(SALU_CYCLE_1)
	s_and_not1_b32 vcc_lo, exec_lo, s0
	s_cbranch_vccnz .LBB348_2850
; %bb.2846:
	s_wait_xcnt 0x0
	v_cndmask_b32_e64 v1, 0, 1, s6
	s_cmp_gt_i32 s3, 0
	s_mov_b32 s0, -1
	s_cbranch_scc0 .LBB348_2848
; %bb.2847:
	s_mov_b32 s0, 0
	global_store_b8 v[4:5], v1, off
.LBB348_2848:
	s_and_not1_b32 vcc_lo, exec_lo, s0
	s_cbranch_vccnz .LBB348_2850
; %bb.2849:
	global_store_b8 v[4:5], v1, off
.LBB348_2850:
	s_mov_b32 s11, -1
.LBB348_2851:
	s_delay_alu instid0(SALU_CYCLE_1)
	s_and_not1_b32 vcc_lo, exec_lo, s11
	s_cbranch_vccnz .LBB348_3047
; %bb.2852:
	s_wait_xcnt 0x0
	v_mov_b32_e32 v3, 0
	v_cmp_ne_u32_e32 vcc_lo, v16, v14
	s_delay_alu instid0(VALU_DEP_2)
	v_add_nc_u64_e32 v[2:3], s[4:5], v[2:3]
	s_xor_b32 s6, s2, vcc_lo
	s_cmp_lt_i32 s3, 11
	s_cbranch_scc1 .LBB348_2930
; %bb.2853:
	s_mov_b32 s12, -1
	s_mov_b32 s7, 0
	s_cmp_gt_i32 s3, 25
	s_mov_b32 s11, 0
	s_mov_b32 s0, 0
	s_cbranch_scc0 .LBB348_2886
; %bb.2854:
	s_cmp_gt_i32 s3, 28
	s_cbranch_scc0 .LBB348_2869
; %bb.2855:
	s_cmp_gt_i32 s3, 43
	;; [unrolled: 3-line block ×3, first 2 shown]
	s_cbranch_scc0 .LBB348_2859
; %bb.2857:
	s_mov_b32 s0, -1
	s_mov_b32 s12, 0
	s_cmp_eq_u32 s3, 46
	s_cbranch_scc0 .LBB348_2859
; %bb.2858:
	v_cndmask_b32_e64 v1, 0, 1.0, s6
	s_mov_b32 s0, 0
	s_mov_b32 s11, -1
	s_delay_alu instid0(VALU_DEP_1) | instskip(NEXT) | instid1(VALU_DEP_1)
	v_bfe_u32 v4, v1, 16, 1
	v_add3_u32 v1, v1, v4, 0x7fff
	s_delay_alu instid0(VALU_DEP_1)
	v_lshrrev_b32_e32 v1, 16, v1
	global_store_b32 v[2:3], v1, off
.LBB348_2859:
	s_and_b32 vcc_lo, exec_lo, s12
	s_cbranch_vccz .LBB348_2864
; %bb.2860:
	s_cmp_eq_u32 s3, 44
	s_mov_b32 s0, -1
	s_cbranch_scc0 .LBB348_2864
; %bb.2861:
	v_cndmask_b32_e64 v5, 0, 1.0, s6
	s_mov_b32 s11, exec_lo
	s_wait_xcnt 0x0
	s_delay_alu instid0(VALU_DEP_1) | instskip(NEXT) | instid1(VALU_DEP_1)
	v_dual_mov_b32 v4, 0xff :: v_dual_lshrrev_b32 v1, 23, v5
	v_cmpx_ne_u32_e32 0xff, v1
; %bb.2862:
	v_and_b32_e32 v4, 0x400000, v5
	v_and_or_b32 v5, 0x3fffff, v5, v1
	s_delay_alu instid0(VALU_DEP_2) | instskip(NEXT) | instid1(VALU_DEP_2)
	v_cmp_ne_u32_e32 vcc_lo, 0, v4
	v_cmp_ne_u32_e64 s0, 0, v5
	s_and_b32 s0, vcc_lo, s0
	s_delay_alu instid0(SALU_CYCLE_1) | instskip(NEXT) | instid1(VALU_DEP_1)
	v_cndmask_b32_e64 v4, 0, 1, s0
	v_add_nc_u32_e32 v4, v1, v4
; %bb.2863:
	s_or_b32 exec_lo, exec_lo, s11
	s_mov_b32 s0, 0
	s_mov_b32 s11, -1
	global_store_b8 v[2:3], v4, off
.LBB348_2864:
	s_mov_b32 s12, 0
.LBB348_2865:
	s_delay_alu instid0(SALU_CYCLE_1)
	s_and_b32 vcc_lo, exec_lo, s12
	s_cbranch_vccz .LBB348_2868
; %bb.2866:
	s_cmp_eq_u32 s3, 29
	s_mov_b32 s0, -1
	s_cbranch_scc0 .LBB348_2868
; %bb.2867:
	s_mov_b32 s0, 0
	s_wait_xcnt 0x0
	v_cndmask_b32_e64 v4, 0, 1, s6
	v_mov_b32_e32 v5, s0
	s_mov_b32 s11, -1
	global_store_b64 v[2:3], v[4:5], off
.LBB348_2868:
	s_mov_b32 s12, 0
.LBB348_2869:
	s_delay_alu instid0(SALU_CYCLE_1)
	s_and_b32 vcc_lo, exec_lo, s12
	s_cbranch_vccz .LBB348_2885
; %bb.2870:
	s_cmp_lt_i32 s3, 27
	s_mov_b32 s11, -1
	s_cbranch_scc1 .LBB348_2876
; %bb.2871:
	s_cmp_gt_i32 s3, 27
	s_cbranch_scc0 .LBB348_2873
; %bb.2872:
	s_wait_xcnt 0x0
	v_cndmask_b32_e64 v1, 0, 1, s6
	s_mov_b32 s11, 0
	global_store_b32 v[2:3], v1, off
.LBB348_2873:
	s_and_not1_b32 vcc_lo, exec_lo, s11
	s_cbranch_vccnz .LBB348_2875
; %bb.2874:
	s_wait_xcnt 0x0
	v_cndmask_b32_e64 v1, 0, 1, s6
	global_store_b16 v[2:3], v1, off
.LBB348_2875:
	s_mov_b32 s11, 0
.LBB348_2876:
	s_delay_alu instid0(SALU_CYCLE_1)
	s_and_not1_b32 vcc_lo, exec_lo, s11
	s_cbranch_vccnz .LBB348_2884
; %bb.2877:
	s_wait_xcnt 0x0
	v_cndmask_b32_e64 v4, 0, 1.0, s6
	v_mov_b32_e32 v5, 0x80
	s_mov_b32 s11, exec_lo
	s_delay_alu instid0(VALU_DEP_2)
	v_cmpx_gt_u32_e32 0x43800000, v4
	s_cbranch_execz .LBB348_2883
; %bb.2878:
	s_mov_b32 s12, 0
	s_mov_b32 s13, exec_lo
                                        ; implicit-def: $vgpr1
	v_cmpx_lt_u32_e32 0x3bffffff, v4
	s_xor_b32 s13, exec_lo, s13
	s_cbranch_execz .LBB348_3104
; %bb.2879:
	v_bfe_u32 v1, v4, 20, 1
	s_mov_b32 s12, exec_lo
	s_delay_alu instid0(VALU_DEP_1) | instskip(NEXT) | instid1(VALU_DEP_1)
	v_add3_u32 v1, v4, v1, 0x487ffff
                                        ; implicit-def: $vgpr4
	v_lshrrev_b32_e32 v1, 20, v1
	s_and_not1_saveexec_b32 s13, s13
	s_cbranch_execnz .LBB348_3105
.LBB348_2880:
	s_or_b32 exec_lo, exec_lo, s13
	v_mov_b32_e32 v5, 0
	s_and_saveexec_b32 s13, s12
.LBB348_2881:
	v_mov_b32_e32 v5, v1
.LBB348_2882:
	s_or_b32 exec_lo, exec_lo, s13
.LBB348_2883:
	s_delay_alu instid0(SALU_CYCLE_1)
	s_or_b32 exec_lo, exec_lo, s11
	global_store_b8 v[2:3], v5, off
.LBB348_2884:
	s_mov_b32 s11, -1
.LBB348_2885:
	s_mov_b32 s12, 0
.LBB348_2886:
	s_delay_alu instid0(SALU_CYCLE_1)
	s_and_b32 vcc_lo, exec_lo, s12
	s_cbranch_vccz .LBB348_2926
; %bb.2887:
	s_cmp_gt_i32 s3, 22
	s_mov_b32 s7, -1
	s_cbranch_scc0 .LBB348_2919
; %bb.2888:
	s_cmp_lt_i32 s3, 24
	s_cbranch_scc1 .LBB348_2908
; %bb.2889:
	s_cmp_gt_i32 s3, 24
	s_cbranch_scc0 .LBB348_2897
; %bb.2890:
	s_wait_xcnt 0x0
	v_cndmask_b32_e64 v4, 0, 1.0, s6
	v_mov_b32_e32 v5, 0x80
	s_mov_b32 s7, exec_lo
	s_delay_alu instid0(VALU_DEP_2)
	v_cmpx_gt_u32_e32 0x47800000, v4
	s_cbranch_execz .LBB348_2896
; %bb.2891:
	s_mov_b32 s11, 0
	s_mov_b32 s12, exec_lo
                                        ; implicit-def: $vgpr1
	v_cmpx_lt_u32_e32 0x37ffffff, v4
	s_xor_b32 s12, exec_lo, s12
	s_cbranch_execz .LBB348_3107
; %bb.2892:
	v_bfe_u32 v1, v4, 21, 1
	s_mov_b32 s11, exec_lo
	s_delay_alu instid0(VALU_DEP_1) | instskip(NEXT) | instid1(VALU_DEP_1)
	v_add3_u32 v1, v4, v1, 0x88fffff
                                        ; implicit-def: $vgpr4
	v_lshrrev_b32_e32 v1, 21, v1
	s_and_not1_saveexec_b32 s12, s12
	s_cbranch_execnz .LBB348_3108
.LBB348_2893:
	s_or_b32 exec_lo, exec_lo, s12
	v_mov_b32_e32 v5, 0
	s_and_saveexec_b32 s12, s11
.LBB348_2894:
	v_mov_b32_e32 v5, v1
.LBB348_2895:
	s_or_b32 exec_lo, exec_lo, s12
.LBB348_2896:
	s_delay_alu instid0(SALU_CYCLE_1)
	s_or_b32 exec_lo, exec_lo, s7
	s_mov_b32 s7, 0
	global_store_b8 v[2:3], v5, off
.LBB348_2897:
	s_and_b32 vcc_lo, exec_lo, s7
	s_cbranch_vccz .LBB348_2907
; %bb.2898:
	s_wait_xcnt 0x0
	v_cndmask_b32_e64 v4, 0, 1.0, s6
	s_mov_b32 s7, exec_lo
                                        ; implicit-def: $vgpr1
	s_delay_alu instid0(VALU_DEP_1)
	v_cmpx_gt_u32_e32 0x43f00000, v4
	s_xor_b32 s7, exec_lo, s7
	s_cbranch_execz .LBB348_2904
; %bb.2899:
	s_mov_b32 s11, exec_lo
                                        ; implicit-def: $vgpr1
	v_cmpx_lt_u32_e32 0x3c7fffff, v4
	s_xor_b32 s11, exec_lo, s11
; %bb.2900:
	v_bfe_u32 v1, v4, 20, 1
	s_delay_alu instid0(VALU_DEP_1) | instskip(NEXT) | instid1(VALU_DEP_1)
	v_add3_u32 v1, v4, v1, 0x407ffff
	v_and_b32_e32 v4, 0xff00000, v1
	v_lshrrev_b32_e32 v1, 20, v1
	s_delay_alu instid0(VALU_DEP_2) | instskip(NEXT) | instid1(VALU_DEP_2)
	v_cmp_ne_u32_e32 vcc_lo, 0x7f00000, v4
                                        ; implicit-def: $vgpr4
	v_cndmask_b32_e32 v1, 0x7e, v1, vcc_lo
; %bb.2901:
	s_and_not1_saveexec_b32 s11, s11
; %bb.2902:
	v_add_f32_e32 v1, 0x46800000, v4
; %bb.2903:
	s_or_b32 exec_lo, exec_lo, s11
                                        ; implicit-def: $vgpr4
.LBB348_2904:
	s_and_not1_saveexec_b32 s7, s7
; %bb.2905:
	v_mov_b32_e32 v1, 0x7f
	v_cmp_lt_u32_e32 vcc_lo, 0x7f800000, v4
	s_delay_alu instid0(VALU_DEP_2)
	v_cndmask_b32_e32 v1, 0x7e, v1, vcc_lo
; %bb.2906:
	s_or_b32 exec_lo, exec_lo, s7
	global_store_b8 v[2:3], v1, off
.LBB348_2907:
	s_mov_b32 s7, 0
.LBB348_2908:
	s_delay_alu instid0(SALU_CYCLE_1)
	s_and_not1_b32 vcc_lo, exec_lo, s7
	s_cbranch_vccnz .LBB348_2918
; %bb.2909:
	s_wait_xcnt 0x0
	v_cndmask_b32_e64 v4, 0, 1.0, s6
	s_mov_b32 s7, exec_lo
                                        ; implicit-def: $vgpr1
	s_delay_alu instid0(VALU_DEP_1)
	v_cmpx_gt_u32_e32 0x47800000, v4
	s_xor_b32 s7, exec_lo, s7
	s_cbranch_execz .LBB348_2915
; %bb.2910:
	s_mov_b32 s11, exec_lo
                                        ; implicit-def: $vgpr1
	v_cmpx_lt_u32_e32 0x387fffff, v4
	s_xor_b32 s11, exec_lo, s11
; %bb.2911:
	v_bfe_u32 v1, v4, 21, 1
	s_delay_alu instid0(VALU_DEP_1) | instskip(NEXT) | instid1(VALU_DEP_1)
	v_add3_u32 v1, v4, v1, 0x80fffff
                                        ; implicit-def: $vgpr4
	v_lshrrev_b32_e32 v1, 21, v1
; %bb.2912:
	s_and_not1_saveexec_b32 s11, s11
; %bb.2913:
	v_add_f32_e32 v1, 0x43000000, v4
; %bb.2914:
	s_or_b32 exec_lo, exec_lo, s11
                                        ; implicit-def: $vgpr4
.LBB348_2915:
	s_and_not1_saveexec_b32 s7, s7
; %bb.2916:
	v_mov_b32_e32 v1, 0x7f
	v_cmp_lt_u32_e32 vcc_lo, 0x7f800000, v4
	s_delay_alu instid0(VALU_DEP_2)
	v_cndmask_b32_e32 v1, 0x7c, v1, vcc_lo
; %bb.2917:
	s_or_b32 exec_lo, exec_lo, s7
	global_store_b8 v[2:3], v1, off
.LBB348_2918:
	s_mov_b32 s7, 0
	s_mov_b32 s11, -1
.LBB348_2919:
	s_and_not1_b32 vcc_lo, exec_lo, s7
	s_mov_b32 s7, 0
	s_cbranch_vccnz .LBB348_2926
; %bb.2920:
	s_cmp_gt_i32 s3, 14
	s_mov_b32 s7, -1
	s_cbranch_scc0 .LBB348_2924
; %bb.2921:
	s_cmp_eq_u32 s3, 15
	s_mov_b32 s0, -1
	s_cbranch_scc0 .LBB348_2923
; %bb.2922:
	s_wait_xcnt 0x0
	v_cndmask_b32_e64 v1, 0, 1.0, s6
	s_mov_b32 s0, 0
	s_mov_b32 s11, -1
	s_delay_alu instid0(VALU_DEP_1) | instskip(NEXT) | instid1(VALU_DEP_1)
	v_bfe_u32 v4, v1, 16, 1
	v_add3_u32 v1, v1, v4, 0x7fff
	global_store_d16_hi_b16 v[2:3], v1, off
.LBB348_2923:
	s_mov_b32 s7, 0
.LBB348_2924:
	s_delay_alu instid0(SALU_CYCLE_1)
	s_and_b32 vcc_lo, exec_lo, s7
	s_mov_b32 s7, 0
	s_cbranch_vccz .LBB348_2926
; %bb.2925:
	s_cmp_lg_u32 s3, 11
	s_mov_b32 s7, -1
	s_cselect_b32 s0, -1, 0
.LBB348_2926:
	s_delay_alu instid0(SALU_CYCLE_1)
	s_and_b32 vcc_lo, exec_lo, s0
	s_cbranch_vccnz .LBB348_3106
; %bb.2927:
	s_and_not1_b32 vcc_lo, exec_lo, s7
	s_cbranch_vccnz .LBB348_2929
.LBB348_2928:
	s_wait_xcnt 0x0
	v_cndmask_b32_e64 v1, 0, 1, s6
	s_mov_b32 s11, -1
	global_store_b8 v[2:3], v1, off
.LBB348_2929:
	s_mov_b32 s0, 0
	s_branch .LBB348_2931
.LBB348_2930:
	s_mov_b32 s0, -1
	s_mov_b32 s11, 0
.LBB348_2931:
	s_and_b32 vcc_lo, exec_lo, s0
	s_cbranch_vccz .LBB348_2970
; %bb.2932:
	s_cmp_lt_i32 s3, 5
	s_mov_b32 s0, -1
	s_cbranch_scc1 .LBB348_2953
; %bb.2933:
	s_cmp_lt_i32 s3, 8
	s_cbranch_scc1 .LBB348_2943
; %bb.2934:
	s_cmp_lt_i32 s3, 9
	s_cbranch_scc1 .LBB348_2940
; %bb.2935:
	s_cmp_gt_i32 s3, 9
	s_cbranch_scc0 .LBB348_2937
; %bb.2936:
	s_wait_xcnt 0x0
	v_cndmask_b32_e64 v1, 0, 1, s6
	v_mov_b32_e32 v6, 0
	s_mov_b32 s0, 0
	s_delay_alu instid0(VALU_DEP_2) | instskip(NEXT) | instid1(VALU_DEP_2)
	v_cvt_f64_u32_e32 v[4:5], v1
	v_mov_b32_e32 v7, v6
	global_store_b128 v[2:3], v[4:7], off
.LBB348_2937:
	s_and_not1_b32 vcc_lo, exec_lo, s0
	s_cbranch_vccnz .LBB348_2939
; %bb.2938:
	s_wait_xcnt 0x0
	v_cndmask_b32_e64 v4, 0, 1.0, s6
	v_mov_b32_e32 v5, 0
	global_store_b64 v[2:3], v[4:5], off
.LBB348_2939:
	s_mov_b32 s0, 0
.LBB348_2940:
	s_delay_alu instid0(SALU_CYCLE_1)
	s_and_not1_b32 vcc_lo, exec_lo, s0
	s_cbranch_vccnz .LBB348_2942
; %bb.2941:
	s_wait_xcnt 0x0
	v_cndmask_b32_e64 v1, 0, 1.0, s6
	s_delay_alu instid0(VALU_DEP_1) | instskip(NEXT) | instid1(VALU_DEP_1)
	v_cvt_f16_f32_e32 v1, v1
	v_and_b32_e32 v1, 0xffff, v1
	global_store_b32 v[2:3], v1, off
.LBB348_2942:
	s_mov_b32 s0, 0
.LBB348_2943:
	s_delay_alu instid0(SALU_CYCLE_1)
	s_and_not1_b32 vcc_lo, exec_lo, s0
	s_cbranch_vccnz .LBB348_2952
; %bb.2944:
	s_cmp_lt_i32 s3, 6
	s_mov_b32 s0, -1
	s_cbranch_scc1 .LBB348_2950
; %bb.2945:
	s_cmp_gt_i32 s3, 6
	s_cbranch_scc0 .LBB348_2947
; %bb.2946:
	s_wait_xcnt 0x0
	v_cndmask_b32_e64 v1, 0, 1, s6
	s_mov_b32 s0, 0
	s_delay_alu instid0(VALU_DEP_1)
	v_cvt_f64_u32_e32 v[4:5], v1
	global_store_b64 v[2:3], v[4:5], off
.LBB348_2947:
	s_and_not1_b32 vcc_lo, exec_lo, s0
	s_cbranch_vccnz .LBB348_2949
; %bb.2948:
	s_wait_xcnt 0x0
	v_cndmask_b32_e64 v1, 0, 1.0, s6
	global_store_b32 v[2:3], v1, off
.LBB348_2949:
	s_mov_b32 s0, 0
.LBB348_2950:
	s_delay_alu instid0(SALU_CYCLE_1)
	s_and_not1_b32 vcc_lo, exec_lo, s0
	s_cbranch_vccnz .LBB348_2952
; %bb.2951:
	s_wait_xcnt 0x0
	v_cndmask_b32_e64 v1, 0, 1.0, s6
	s_delay_alu instid0(VALU_DEP_1)
	v_cvt_f16_f32_e32 v1, v1
	global_store_b16 v[2:3], v1, off
.LBB348_2952:
	s_mov_b32 s0, 0
.LBB348_2953:
	s_delay_alu instid0(SALU_CYCLE_1)
	s_and_not1_b32 vcc_lo, exec_lo, s0
	s_cbranch_vccnz .LBB348_2969
; %bb.2954:
	s_cmp_lt_i32 s3, 2
	s_mov_b32 s0, -1
	s_cbranch_scc1 .LBB348_2964
; %bb.2955:
	s_cmp_lt_i32 s3, 3
	s_cbranch_scc1 .LBB348_2961
; %bb.2956:
	s_cmp_gt_i32 s3, 3
	s_cbranch_scc0 .LBB348_2958
; %bb.2957:
	s_mov_b32 s0, 0
	s_wait_xcnt 0x0
	v_cndmask_b32_e64 v4, 0, 1, s6
	v_mov_b32_e32 v5, s0
	global_store_b64 v[2:3], v[4:5], off
.LBB348_2958:
	s_and_not1_b32 vcc_lo, exec_lo, s0
	s_cbranch_vccnz .LBB348_2960
; %bb.2959:
	s_wait_xcnt 0x0
	v_cndmask_b32_e64 v1, 0, 1, s6
	global_store_b32 v[2:3], v1, off
.LBB348_2960:
	s_mov_b32 s0, 0
.LBB348_2961:
	s_delay_alu instid0(SALU_CYCLE_1)
	s_and_not1_b32 vcc_lo, exec_lo, s0
	s_cbranch_vccnz .LBB348_2963
; %bb.2962:
	s_wait_xcnt 0x0
	v_cndmask_b32_e64 v1, 0, 1, s6
	global_store_b16 v[2:3], v1, off
.LBB348_2963:
	s_mov_b32 s0, 0
.LBB348_2964:
	s_delay_alu instid0(SALU_CYCLE_1)
	s_and_not1_b32 vcc_lo, exec_lo, s0
	s_cbranch_vccnz .LBB348_2969
; %bb.2965:
	s_cmp_gt_i32 s3, 0
	s_mov_b32 s0, -1
	s_cbranch_scc0 .LBB348_2967
; %bb.2966:
	s_wait_xcnt 0x0
	v_cndmask_b32_e64 v1, 0, 1, s6
	s_mov_b32 s0, 0
	global_store_b8 v[2:3], v1, off
.LBB348_2967:
	s_and_not1_b32 vcc_lo, exec_lo, s0
	s_cbranch_vccnz .LBB348_2969
; %bb.2968:
	s_wait_xcnt 0x0
	v_cndmask_b32_e64 v1, 0, 1, s6
	global_store_b8 v[2:3], v1, off
.LBB348_2969:
	s_mov_b32 s11, -1
.LBB348_2970:
	s_delay_alu instid0(SALU_CYCLE_1)
	s_and_not1_b32 vcc_lo, exec_lo, s11
	s_cbranch_vccnz .LBB348_3047
; %bb.2971:
	s_wait_xcnt 0x0
	v_mov_b32_e32 v1, 0
	v_cmp_ne_u32_e32 vcc_lo, v12, v10
	s_delay_alu instid0(VALU_DEP_2)
	v_add_nc_u64_e32 v[2:3], s[4:5], v[0:1]
	s_xor_b32 s4, s2, vcc_lo
	s_cmp_lt_i32 s3, 11
	s_cbranch_scc1 .LBB348_3092
; %bb.2972:
	s_mov_b32 s5, -1
	s_mov_b32 s2, 0
	s_cmp_gt_i32 s3, 25
	s_mov_b32 s0, 0
	s_cbranch_scc0 .LBB348_3005
; %bb.2973:
	s_cmp_gt_i32 s3, 28
	s_cbranch_scc0 .LBB348_2989
; %bb.2974:
	s_cmp_gt_i32 s3, 43
	;; [unrolled: 3-line block ×3, first 2 shown]
	s_cbranch_scc0 .LBB348_2979
; %bb.2976:
	s_cmp_eq_u32 s3, 46
	s_mov_b32 s0, -1
	s_cbranch_scc0 .LBB348_2978
; %bb.2977:
	v_cndmask_b32_e64 v0, 0, 1.0, s4
	s_mov_b32 s0, 0
	s_delay_alu instid0(VALU_DEP_1) | instskip(NEXT) | instid1(VALU_DEP_1)
	v_bfe_u32 v1, v0, 16, 1
	v_add3_u32 v0, v0, v1, 0x7fff
	s_delay_alu instid0(VALU_DEP_1)
	v_lshrrev_b32_e32 v0, 16, v0
	global_store_b32 v[2:3], v0, off
.LBB348_2978:
	s_mov_b32 s5, 0
.LBB348_2979:
	s_delay_alu instid0(SALU_CYCLE_1)
	s_and_b32 vcc_lo, exec_lo, s5
	s_cbranch_vccz .LBB348_2984
; %bb.2980:
	s_cmp_eq_u32 s3, 44
	s_mov_b32 s0, -1
	s_cbranch_scc0 .LBB348_2984
; %bb.2981:
	v_cndmask_b32_e64 v4, 0, 1.0, s4
	s_mov_b32 s5, exec_lo
	s_wait_xcnt 0x0
	s_delay_alu instid0(VALU_DEP_1) | instskip(NEXT) | instid1(VALU_DEP_1)
	v_dual_mov_b32 v1, 0xff :: v_dual_lshrrev_b32 v0, 23, v4
	v_cmpx_ne_u32_e32 0xff, v0
; %bb.2982:
	v_and_b32_e32 v1, 0x400000, v4
	v_and_or_b32 v4, 0x3fffff, v4, v0
	s_delay_alu instid0(VALU_DEP_2) | instskip(NEXT) | instid1(VALU_DEP_2)
	v_cmp_ne_u32_e32 vcc_lo, 0, v1
	v_cmp_ne_u32_e64 s0, 0, v4
	s_and_b32 s0, vcc_lo, s0
	s_delay_alu instid0(SALU_CYCLE_1) | instskip(NEXT) | instid1(VALU_DEP_1)
	v_cndmask_b32_e64 v1, 0, 1, s0
	v_add_nc_u32_e32 v1, v0, v1
; %bb.2983:
	s_or_b32 exec_lo, exec_lo, s5
	s_mov_b32 s0, 0
	global_store_b8 v[2:3], v1, off
.LBB348_2984:
	s_mov_b32 s5, 0
.LBB348_2985:
	s_delay_alu instid0(SALU_CYCLE_1)
	s_and_b32 vcc_lo, exec_lo, s5
	s_cbranch_vccz .LBB348_2988
; %bb.2986:
	s_cmp_eq_u32 s3, 29
	s_mov_b32 s0, -1
	s_cbranch_scc0 .LBB348_2988
; %bb.2987:
	s_mov_b32 s0, 0
	s_wait_xcnt 0x0
	v_cndmask_b32_e64 v0, 0, 1, s4
	v_mov_b32_e32 v1, s0
	global_store_b64 v[2:3], v[0:1], off
.LBB348_2988:
	s_mov_b32 s5, 0
.LBB348_2989:
	s_delay_alu instid0(SALU_CYCLE_1)
	s_and_b32 vcc_lo, exec_lo, s5
	s_cbranch_vccz .LBB348_3004
; %bb.2990:
	s_cmp_lt_i32 s3, 27
	s_mov_b32 s5, -1
	s_cbranch_scc1 .LBB348_2996
; %bb.2991:
	s_wait_xcnt 0x0
	v_cndmask_b32_e64 v0, 0, 1, s4
	s_cmp_gt_i32 s3, 27
	s_cbranch_scc0 .LBB348_2993
; %bb.2992:
	s_mov_b32 s5, 0
	global_store_b32 v[2:3], v0, off
.LBB348_2993:
	s_and_not1_b32 vcc_lo, exec_lo, s5
	s_cbranch_vccnz .LBB348_2995
; %bb.2994:
	global_store_b16 v[2:3], v0, off
.LBB348_2995:
	s_mov_b32 s5, 0
.LBB348_2996:
	s_delay_alu instid0(SALU_CYCLE_1)
	s_and_not1_b32 vcc_lo, exec_lo, s5
	s_cbranch_vccnz .LBB348_3004
; %bb.2997:
	s_wait_xcnt 0x0
	v_cndmask_b32_e64 v1, 0, 1.0, s4
	v_mov_b32_e32 v4, 0x80
	s_mov_b32 s5, exec_lo
	s_delay_alu instid0(VALU_DEP_2)
	v_cmpx_gt_u32_e32 0x43800000, v1
	s_cbranch_execz .LBB348_3003
; %bb.2998:
	s_mov_b32 s6, 0
	s_mov_b32 s7, exec_lo
                                        ; implicit-def: $vgpr0
	v_cmpx_lt_u32_e32 0x3bffffff, v1
	s_xor_b32 s7, exec_lo, s7
	s_cbranch_execz .LBB348_3109
; %bb.2999:
	v_bfe_u32 v0, v1, 20, 1
	s_mov_b32 s6, exec_lo
	s_delay_alu instid0(VALU_DEP_1) | instskip(NEXT) | instid1(VALU_DEP_1)
	v_add3_u32 v0, v1, v0, 0x487ffff
                                        ; implicit-def: $vgpr1
	v_lshrrev_b32_e32 v0, 20, v0
	s_and_not1_saveexec_b32 s7, s7
	s_cbranch_execnz .LBB348_3110
.LBB348_3000:
	s_or_b32 exec_lo, exec_lo, s7
	v_mov_b32_e32 v4, 0
	s_and_saveexec_b32 s7, s6
.LBB348_3001:
	v_mov_b32_e32 v4, v0
.LBB348_3002:
	s_or_b32 exec_lo, exec_lo, s7
.LBB348_3003:
	s_delay_alu instid0(SALU_CYCLE_1)
	s_or_b32 exec_lo, exec_lo, s5
	global_store_b8 v[2:3], v4, off
.LBB348_3004:
	s_mov_b32 s5, 0
.LBB348_3005:
	s_delay_alu instid0(SALU_CYCLE_1)
	s_and_b32 vcc_lo, exec_lo, s5
	s_cbranch_vccz .LBB348_3045
; %bb.3006:
	s_cmp_gt_i32 s3, 22
	s_mov_b32 s2, -1
	s_cbranch_scc0 .LBB348_3038
; %bb.3007:
	s_cmp_lt_i32 s3, 24
	s_cbranch_scc1 .LBB348_3027
; %bb.3008:
	s_cmp_gt_i32 s3, 24
	s_cbranch_scc0 .LBB348_3016
; %bb.3009:
	s_wait_xcnt 0x0
	v_cndmask_b32_e64 v1, 0, 1.0, s4
	v_mov_b32_e32 v4, 0x80
	s_mov_b32 s2, exec_lo
	s_delay_alu instid0(VALU_DEP_2)
	v_cmpx_gt_u32_e32 0x47800000, v1
	s_cbranch_execz .LBB348_3015
; %bb.3010:
	s_mov_b32 s5, 0
	s_mov_b32 s6, exec_lo
                                        ; implicit-def: $vgpr0
	v_cmpx_lt_u32_e32 0x37ffffff, v1
	s_xor_b32 s6, exec_lo, s6
	s_cbranch_execz .LBB348_3112
; %bb.3011:
	v_bfe_u32 v0, v1, 21, 1
	s_mov_b32 s5, exec_lo
	s_delay_alu instid0(VALU_DEP_1) | instskip(NEXT) | instid1(VALU_DEP_1)
	v_add3_u32 v0, v1, v0, 0x88fffff
                                        ; implicit-def: $vgpr1
	v_lshrrev_b32_e32 v0, 21, v0
	s_and_not1_saveexec_b32 s6, s6
	s_cbranch_execnz .LBB348_3113
.LBB348_3012:
	s_or_b32 exec_lo, exec_lo, s6
	v_mov_b32_e32 v4, 0
	s_and_saveexec_b32 s6, s5
.LBB348_3013:
	v_mov_b32_e32 v4, v0
.LBB348_3014:
	s_or_b32 exec_lo, exec_lo, s6
.LBB348_3015:
	s_delay_alu instid0(SALU_CYCLE_1)
	s_or_b32 exec_lo, exec_lo, s2
	s_mov_b32 s2, 0
	global_store_b8 v[2:3], v4, off
.LBB348_3016:
	s_and_b32 vcc_lo, exec_lo, s2
	s_cbranch_vccz .LBB348_3026
; %bb.3017:
	s_wait_xcnt 0x0
	v_cndmask_b32_e64 v1, 0, 1.0, s4
	s_mov_b32 s2, exec_lo
                                        ; implicit-def: $vgpr0
	s_delay_alu instid0(VALU_DEP_1)
	v_cmpx_gt_u32_e32 0x43f00000, v1
	s_xor_b32 s2, exec_lo, s2
	s_cbranch_execz .LBB348_3023
; %bb.3018:
	s_mov_b32 s5, exec_lo
                                        ; implicit-def: $vgpr0
	v_cmpx_lt_u32_e32 0x3c7fffff, v1
	s_xor_b32 s5, exec_lo, s5
; %bb.3019:
	v_bfe_u32 v0, v1, 20, 1
	s_delay_alu instid0(VALU_DEP_1) | instskip(NEXT) | instid1(VALU_DEP_1)
	v_add3_u32 v0, v1, v0, 0x407ffff
	v_and_b32_e32 v1, 0xff00000, v0
	v_lshrrev_b32_e32 v0, 20, v0
	s_delay_alu instid0(VALU_DEP_2) | instskip(NEXT) | instid1(VALU_DEP_2)
	v_cmp_ne_u32_e32 vcc_lo, 0x7f00000, v1
                                        ; implicit-def: $vgpr1
	v_cndmask_b32_e32 v0, 0x7e, v0, vcc_lo
; %bb.3020:
	s_and_not1_saveexec_b32 s5, s5
; %bb.3021:
	v_add_f32_e32 v0, 0x46800000, v1
; %bb.3022:
	s_or_b32 exec_lo, exec_lo, s5
                                        ; implicit-def: $vgpr1
.LBB348_3023:
	s_and_not1_saveexec_b32 s2, s2
; %bb.3024:
	v_mov_b32_e32 v0, 0x7f
	v_cmp_lt_u32_e32 vcc_lo, 0x7f800000, v1
	s_delay_alu instid0(VALU_DEP_2)
	v_cndmask_b32_e32 v0, 0x7e, v0, vcc_lo
; %bb.3025:
	s_or_b32 exec_lo, exec_lo, s2
	global_store_b8 v[2:3], v0, off
.LBB348_3026:
	s_mov_b32 s2, 0
.LBB348_3027:
	s_delay_alu instid0(SALU_CYCLE_1)
	s_and_not1_b32 vcc_lo, exec_lo, s2
	s_cbranch_vccnz .LBB348_3037
; %bb.3028:
	s_wait_xcnt 0x0
	v_cndmask_b32_e64 v1, 0, 1.0, s4
	s_mov_b32 s2, exec_lo
                                        ; implicit-def: $vgpr0
	s_delay_alu instid0(VALU_DEP_1)
	v_cmpx_gt_u32_e32 0x47800000, v1
	s_xor_b32 s2, exec_lo, s2
	s_cbranch_execz .LBB348_3034
; %bb.3029:
	s_mov_b32 s5, exec_lo
                                        ; implicit-def: $vgpr0
	v_cmpx_lt_u32_e32 0x387fffff, v1
	s_xor_b32 s5, exec_lo, s5
; %bb.3030:
	v_bfe_u32 v0, v1, 21, 1
	s_delay_alu instid0(VALU_DEP_1) | instskip(NEXT) | instid1(VALU_DEP_1)
	v_add3_u32 v0, v1, v0, 0x80fffff
                                        ; implicit-def: $vgpr1
	v_lshrrev_b32_e32 v0, 21, v0
; %bb.3031:
	s_and_not1_saveexec_b32 s5, s5
; %bb.3032:
	v_add_f32_e32 v0, 0x43000000, v1
; %bb.3033:
	s_or_b32 exec_lo, exec_lo, s5
                                        ; implicit-def: $vgpr1
.LBB348_3034:
	s_and_not1_saveexec_b32 s2, s2
; %bb.3035:
	v_mov_b32_e32 v0, 0x7f
	v_cmp_lt_u32_e32 vcc_lo, 0x7f800000, v1
	s_delay_alu instid0(VALU_DEP_2)
	v_cndmask_b32_e32 v0, 0x7c, v0, vcc_lo
; %bb.3036:
	s_or_b32 exec_lo, exec_lo, s2
	global_store_b8 v[2:3], v0, off
.LBB348_3037:
	s_mov_b32 s2, 0
.LBB348_3038:
	s_delay_alu instid0(SALU_CYCLE_1)
	s_and_not1_b32 vcc_lo, exec_lo, s2
	s_mov_b32 s2, 0
	s_cbranch_vccnz .LBB348_3045
; %bb.3039:
	s_cmp_gt_i32 s3, 14
	s_mov_b32 s2, -1
	s_cbranch_scc0 .LBB348_3043
; %bb.3040:
	s_cmp_eq_u32 s3, 15
	s_mov_b32 s0, -1
	s_cbranch_scc0 .LBB348_3042
; %bb.3041:
	s_wait_xcnt 0x0
	v_cndmask_b32_e64 v0, 0, 1.0, s4
	s_mov_b32 s0, 0
	s_delay_alu instid0(VALU_DEP_1) | instskip(NEXT) | instid1(VALU_DEP_1)
	v_bfe_u32 v1, v0, 16, 1
	v_add3_u32 v0, v0, v1, 0x7fff
	global_store_d16_hi_b16 v[2:3], v0, off
.LBB348_3042:
	s_mov_b32 s2, 0
.LBB348_3043:
	s_delay_alu instid0(SALU_CYCLE_1)
	s_and_b32 vcc_lo, exec_lo, s2
	s_mov_b32 s2, 0
	s_cbranch_vccz .LBB348_3045
; %bb.3044:
	s_cmp_lg_u32 s3, 11
	s_mov_b32 s2, -1
	s_cselect_b32 s0, -1, 0
.LBB348_3045:
	s_delay_alu instid0(SALU_CYCLE_1)
	s_and_b32 vcc_lo, exec_lo, s0
	s_cbranch_vccnz .LBB348_3111
.LBB348_3046:
	s_mov_b32 s0, 0
	s_branch .LBB348_3048
.LBB348_3047:
	s_mov_b32 s0, 0
	s_mov_b32 s2, 0
                                        ; implicit-def: $sgpr4
                                        ; implicit-def: $vgpr2_vgpr3
                                        ; implicit-def: $sgpr1
.LBB348_3048:
	s_and_not1_b32 s3, s8, exec_lo
	s_and_b32 s5, s10, exec_lo
	s_and_b32 s0, s0, exec_lo
	;; [unrolled: 1-line block ×3, first 2 shown]
	s_or_b32 s8, s3, s5
.LBB348_3049:
	s_wait_xcnt 0x0
	s_or_b32 exec_lo, exec_lo, s9
	s_and_saveexec_b32 s2, s8
	s_cbranch_execz .LBB348_3052
; %bb.3050:
	; divergent unreachable
	s_or_b32 exec_lo, exec_lo, s2
	s_and_saveexec_b32 s2, s30
	s_delay_alu instid0(SALU_CYCLE_1)
	s_xor_b32 s2, exec_lo, s2
	s_cbranch_execnz .LBB348_3053
.LBB348_3051:
	s_or_b32 exec_lo, exec_lo, s2
	s_and_saveexec_b32 s2, s0
	s_cbranch_execnz .LBB348_3054
	s_branch .LBB348_3091
.LBB348_3052:
	s_or_b32 exec_lo, exec_lo, s2
	s_and_saveexec_b32 s2, s30
	s_delay_alu instid0(SALU_CYCLE_1)
	s_xor_b32 s2, exec_lo, s2
	s_cbranch_execz .LBB348_3051
.LBB348_3053:
	v_cndmask_b32_e64 v0, 0, 1, s4
	s_wait_loadcnt 0x0
	global_store_b8 v[2:3], v0, off
	s_wait_xcnt 0x0
	s_or_b32 exec_lo, exec_lo, s2
	s_and_saveexec_b32 s2, s0
	s_cbranch_execz .LBB348_3091
.LBB348_3054:
	s_sext_i32_i16 s2, s1
	s_mov_b32 s0, -1
	s_cmp_lt_i32 s2, 5
	s_cbranch_scc1 .LBB348_3075
; %bb.3055:
	s_cmp_lt_i32 s2, 8
	s_cbranch_scc1 .LBB348_3065
; %bb.3056:
	;; [unrolled: 3-line block ×3, first 2 shown]
	s_cmp_gt_i32 s2, 9
	s_cbranch_scc0 .LBB348_3059
; %bb.3058:
	v_cndmask_b32_e64 v0, 0, 1, s4
	s_wait_loadcnt 0x0
	v_mov_b32_e32 v6, 0
	s_mov_b32 s0, 0
	s_delay_alu instid0(VALU_DEP_2) | instskip(NEXT) | instid1(VALU_DEP_2)
	v_cvt_f64_u32_e32 v[4:5], v0
	v_mov_b32_e32 v7, v6
	global_store_b128 v[2:3], v[4:7], off
.LBB348_3059:
	s_and_not1_b32 vcc_lo, exec_lo, s0
	s_cbranch_vccnz .LBB348_3061
; %bb.3060:
	v_cndmask_b32_e64 v0, 0, 1.0, s4
	s_wait_loadcnt 0x0
	v_mov_b32_e32 v1, 0
	global_store_b64 v[2:3], v[0:1], off
.LBB348_3061:
	s_mov_b32 s0, 0
.LBB348_3062:
	s_delay_alu instid0(SALU_CYCLE_1)
	s_and_not1_b32 vcc_lo, exec_lo, s0
	s_cbranch_vccnz .LBB348_3064
; %bb.3063:
	s_wait_xcnt 0x0
	v_cndmask_b32_e64 v0, 0, 1.0, s4
	s_delay_alu instid0(VALU_DEP_1) | instskip(NEXT) | instid1(VALU_DEP_1)
	v_cvt_f16_f32_e32 v0, v0
	v_and_b32_e32 v0, 0xffff, v0
	s_wait_loadcnt 0x0
	global_store_b32 v[2:3], v0, off
.LBB348_3064:
	s_mov_b32 s0, 0
.LBB348_3065:
	s_delay_alu instid0(SALU_CYCLE_1)
	s_and_not1_b32 vcc_lo, exec_lo, s0
	s_cbranch_vccnz .LBB348_3074
; %bb.3066:
	s_sext_i32_i16 s2, s1
	s_mov_b32 s0, -1
	s_cmp_lt_i32 s2, 6
	s_cbranch_scc1 .LBB348_3072
; %bb.3067:
	s_cmp_gt_i32 s2, 6
	s_cbranch_scc0 .LBB348_3069
; %bb.3068:
	s_wait_xcnt 0x0
	v_cndmask_b32_e64 v0, 0, 1, s4
	s_mov_b32 s0, 0
	s_wait_loadcnt 0x0
	s_delay_alu instid0(VALU_DEP_1)
	v_cvt_f64_u32_e32 v[0:1], v0
	global_store_b64 v[2:3], v[0:1], off
.LBB348_3069:
	s_and_not1_b32 vcc_lo, exec_lo, s0
	s_cbranch_vccnz .LBB348_3071
; %bb.3070:
	s_wait_xcnt 0x0
	v_cndmask_b32_e64 v0, 0, 1.0, s4
	s_wait_loadcnt 0x0
	global_store_b32 v[2:3], v0, off
.LBB348_3071:
	s_mov_b32 s0, 0
.LBB348_3072:
	s_delay_alu instid0(SALU_CYCLE_1)
	s_and_not1_b32 vcc_lo, exec_lo, s0
	s_cbranch_vccnz .LBB348_3074
; %bb.3073:
	s_wait_xcnt 0x0
	v_cndmask_b32_e64 v0, 0, 1.0, s4
	s_delay_alu instid0(VALU_DEP_1)
	v_cvt_f16_f32_e32 v0, v0
	s_wait_loadcnt 0x0
	global_store_b16 v[2:3], v0, off
.LBB348_3074:
	s_mov_b32 s0, 0
.LBB348_3075:
	s_delay_alu instid0(SALU_CYCLE_1)
	s_and_not1_b32 vcc_lo, exec_lo, s0
	s_cbranch_vccnz .LBB348_3091
; %bb.3076:
	s_sext_i32_i16 s2, s1
	s_mov_b32 s0, -1
	s_cmp_lt_i32 s2, 2
	s_cbranch_scc1 .LBB348_3086
; %bb.3077:
	s_cmp_lt_i32 s2, 3
	s_cbranch_scc1 .LBB348_3083
; %bb.3078:
	s_cmp_gt_i32 s2, 3
	s_cbranch_scc0 .LBB348_3080
; %bb.3079:
	s_mov_b32 s0, 0
	s_wait_xcnt 0x0
	v_cndmask_b32_e64 v0, 0, 1, s4
	s_wait_loadcnt 0x0
	v_mov_b32_e32 v1, s0
	global_store_b64 v[2:3], v[0:1], off
.LBB348_3080:
	s_and_not1_b32 vcc_lo, exec_lo, s0
	s_cbranch_vccnz .LBB348_3082
; %bb.3081:
	s_wait_xcnt 0x0
	v_cndmask_b32_e64 v0, 0, 1, s4
	s_wait_loadcnt 0x0
	global_store_b32 v[2:3], v0, off
.LBB348_3082:
	s_mov_b32 s0, 0
.LBB348_3083:
	s_delay_alu instid0(SALU_CYCLE_1)
	s_and_not1_b32 vcc_lo, exec_lo, s0
	s_cbranch_vccnz .LBB348_3085
; %bb.3084:
	s_wait_xcnt 0x0
	v_cndmask_b32_e64 v0, 0, 1, s4
	s_wait_loadcnt 0x0
	global_store_b16 v[2:3], v0, off
.LBB348_3085:
	s_mov_b32 s0, 0
.LBB348_3086:
	s_delay_alu instid0(SALU_CYCLE_1)
	s_and_not1_b32 vcc_lo, exec_lo, s0
	s_cbranch_vccnz .LBB348_3091
; %bb.3087:
	s_sext_i32_i16 s0, s1
	s_delay_alu instid0(SALU_CYCLE_1)
	s_cmp_gt_i32 s0, 0
	s_mov_b32 s0, -1
	s_cbranch_scc0 .LBB348_3089
; %bb.3088:
	s_wait_xcnt 0x0
	v_cndmask_b32_e64 v0, 0, 1, s4
	s_mov_b32 s0, 0
	s_wait_loadcnt 0x0
	global_store_b8 v[2:3], v0, off
.LBB348_3089:
	s_and_not1_b32 vcc_lo, exec_lo, s0
	s_cbranch_vccnz .LBB348_3091
; %bb.3090:
	s_wait_xcnt 0x0
	v_cndmask_b32_e64 v0, 0, 1, s4
	s_wait_loadcnt 0x0
	global_store_b8 v[2:3], v0, off
	s_endpgm
.LBB348_3091:
	s_endpgm
.LBB348_3092:
	s_mov_b32 s2, 0
	s_mov_b32 s0, -1
	s_branch .LBB348_3048
.LBB348_3093:
	s_or_b32 s10, s10, exec_lo
	s_trap 2
	s_cbranch_execz .LBB348_2563
	s_branch .LBB348_2564
.LBB348_3094:
	s_and_not1_saveexec_b32 s13, s13
	s_cbranch_execz .LBB348_2643
.LBB348_3095:
	v_add_f32_e32 v1, 0x46000000, v5
	s_and_not1_b32 s12, s12, exec_lo
	s_delay_alu instid0(VALU_DEP_1) | instskip(NEXT) | instid1(VALU_DEP_1)
	v_and_b32_e32 v1, 0xff, v1
	v_cmp_ne_u32_e32 vcc_lo, 0, v1
	s_and_b32 s14, vcc_lo, exec_lo
	s_delay_alu instid0(SALU_CYCLE_1)
	s_or_b32 s12, s12, s14
	s_or_b32 exec_lo, exec_lo, s13
	v_mov_b32_e32 v8, 0
	s_and_saveexec_b32 s13, s12
	s_cbranch_execnz .LBB348_2644
	s_branch .LBB348_2645
.LBB348_3096:
	s_or_b32 s10, s10, exec_lo
	s_trap 2
	s_cbranch_execz .LBB348_2691
	s_branch .LBB348_2692
.LBB348_3097:
	s_and_not1_saveexec_b32 s12, s12
	s_cbranch_execz .LBB348_2656
.LBB348_3098:
	v_add_f32_e32 v1, 0x42800000, v5
	s_and_not1_b32 s11, s11, exec_lo
	s_delay_alu instid0(VALU_DEP_1) | instskip(NEXT) | instid1(VALU_DEP_1)
	v_and_b32_e32 v1, 0xff, v1
	v_cmp_ne_u32_e32 vcc_lo, 0, v1
	s_and_b32 s13, vcc_lo, exec_lo
	s_delay_alu instid0(SALU_CYCLE_1)
	s_or_b32 s11, s11, s13
	s_or_b32 exec_lo, exec_lo, s12
	v_mov_b32_e32 v8, 0
	s_and_saveexec_b32 s12, s11
	s_cbranch_execnz .LBB348_2657
	s_branch .LBB348_2658
.LBB348_3099:
	s_and_not1_saveexec_b32 s13, s13
	s_cbranch_execz .LBB348_2761
.LBB348_3100:
	v_add_f32_e32 v1, 0x46000000, v3
	s_and_not1_b32 s12, s12, exec_lo
	s_delay_alu instid0(VALU_DEP_1) | instskip(NEXT) | instid1(VALU_DEP_1)
	v_and_b32_e32 v1, 0xff, v1
	v_cmp_ne_u32_e32 vcc_lo, 0, v1
	s_and_b32 s14, vcc_lo, exec_lo
	s_delay_alu instid0(SALU_CYCLE_1)
	s_or_b32 s12, s12, s14
	s_or_b32 exec_lo, exec_lo, s13
	v_mov_b32_e32 v6, 0
	s_and_saveexec_b32 s13, s12
	s_cbranch_execnz .LBB348_2762
	s_branch .LBB348_2763
.LBB348_3101:
	s_or_b32 s10, s10, exec_lo
	s_trap 2
	s_cbranch_execz .LBB348_2809
	s_branch .LBB348_2810
.LBB348_3102:
	s_and_not1_saveexec_b32 s12, s12
	s_cbranch_execz .LBB348_2774
.LBB348_3103:
	v_add_f32_e32 v1, 0x42800000, v3
	s_and_not1_b32 s11, s11, exec_lo
	s_delay_alu instid0(VALU_DEP_1) | instskip(NEXT) | instid1(VALU_DEP_1)
	v_and_b32_e32 v1, 0xff, v1
	v_cmp_ne_u32_e32 vcc_lo, 0, v1
	s_and_b32 s13, vcc_lo, exec_lo
	s_delay_alu instid0(SALU_CYCLE_1)
	s_or_b32 s11, s11, s13
	s_or_b32 exec_lo, exec_lo, s12
	v_mov_b32_e32 v6, 0
	s_and_saveexec_b32 s12, s11
	s_cbranch_execnz .LBB348_2775
	s_branch .LBB348_2776
.LBB348_3104:
	s_and_not1_saveexec_b32 s13, s13
	s_cbranch_execz .LBB348_2880
.LBB348_3105:
	v_add_f32_e32 v1, 0x46000000, v4
	s_and_not1_b32 s12, s12, exec_lo
	s_delay_alu instid0(VALU_DEP_1) | instskip(NEXT) | instid1(VALU_DEP_1)
	v_and_b32_e32 v1, 0xff, v1
	v_cmp_ne_u32_e32 vcc_lo, 0, v1
	s_and_b32 s14, vcc_lo, exec_lo
	s_delay_alu instid0(SALU_CYCLE_1)
	s_or_b32 s12, s12, s14
	s_or_b32 exec_lo, exec_lo, s13
	v_mov_b32_e32 v5, 0
	s_and_saveexec_b32 s13, s12
	s_cbranch_execnz .LBB348_2881
	s_branch .LBB348_2882
.LBB348_3106:
	s_or_b32 s10, s10, exec_lo
	s_trap 2
	s_cbranch_execz .LBB348_2928
	s_branch .LBB348_2929
.LBB348_3107:
	s_and_not1_saveexec_b32 s12, s12
	s_cbranch_execz .LBB348_2893
.LBB348_3108:
	v_add_f32_e32 v1, 0x42800000, v4
	s_and_not1_b32 s11, s11, exec_lo
	s_delay_alu instid0(VALU_DEP_1) | instskip(NEXT) | instid1(VALU_DEP_1)
	v_and_b32_e32 v1, 0xff, v1
	v_cmp_ne_u32_e32 vcc_lo, 0, v1
	s_and_b32 s13, vcc_lo, exec_lo
	s_delay_alu instid0(SALU_CYCLE_1)
	s_or_b32 s11, s11, s13
	s_or_b32 exec_lo, exec_lo, s12
	v_mov_b32_e32 v5, 0
	s_and_saveexec_b32 s12, s11
	s_cbranch_execnz .LBB348_2894
	s_branch .LBB348_2895
.LBB348_3109:
	s_and_not1_saveexec_b32 s7, s7
	s_cbranch_execz .LBB348_3000
.LBB348_3110:
	v_add_f32_e32 v0, 0x46000000, v1
	s_and_not1_b32 s6, s6, exec_lo
	s_delay_alu instid0(VALU_DEP_1) | instskip(NEXT) | instid1(VALU_DEP_1)
	v_and_b32_e32 v0, 0xff, v0
	v_cmp_ne_u32_e32 vcc_lo, 0, v0
	s_and_b32 s11, vcc_lo, exec_lo
	s_delay_alu instid0(SALU_CYCLE_1)
	s_or_b32 s6, s6, s11
	s_or_b32 exec_lo, exec_lo, s7
	v_mov_b32_e32 v4, 0
	s_and_saveexec_b32 s7, s6
	s_cbranch_execnz .LBB348_3001
	s_branch .LBB348_3002
.LBB348_3111:
	s_mov_b32 s2, 0
	s_or_b32 s10, s10, exec_lo
	s_trap 2
	s_branch .LBB348_3046
.LBB348_3112:
	s_and_not1_saveexec_b32 s6, s6
	s_cbranch_execz .LBB348_3012
.LBB348_3113:
	v_add_f32_e32 v0, 0x42800000, v1
	s_and_not1_b32 s5, s5, exec_lo
	s_delay_alu instid0(VALU_DEP_1) | instskip(NEXT) | instid1(VALU_DEP_1)
	v_and_b32_e32 v0, 0xff, v0
	v_cmp_ne_u32_e32 vcc_lo, 0, v0
	s_and_b32 s7, vcc_lo, exec_lo
	s_delay_alu instid0(SALU_CYCLE_1)
	s_or_b32 s5, s5, s7
	s_or_b32 exec_lo, exec_lo, s6
	v_mov_b32_e32 v4, 0
	s_and_saveexec_b32 s6, s5
	s_cbranch_execnz .LBB348_3013
	s_branch .LBB348_3014
	.section	.rodata,"a",@progbits
	.p2align	6, 0x0
	.amdhsa_kernel _ZN2at6native32elementwise_kernel_manual_unrollILi128ELi4EZNS0_15gpu_kernel_implINS0_13BinaryFunctorIjjbNS0_12_GLOBAL__N_116CompareEqFunctorIjEEEEEEvRNS_18TensorIteratorBaseERKT_EUlibE0_EEviT1_
		.amdhsa_group_segment_fixed_size 0
		.amdhsa_private_segment_fixed_size 0
		.amdhsa_kernarg_size 432
		.amdhsa_user_sgpr_count 2
		.amdhsa_user_sgpr_dispatch_ptr 0
		.amdhsa_user_sgpr_queue_ptr 0
		.amdhsa_user_sgpr_kernarg_segment_ptr 1
		.amdhsa_user_sgpr_dispatch_id 0
		.amdhsa_user_sgpr_kernarg_preload_length 0
		.amdhsa_user_sgpr_kernarg_preload_offset 0
		.amdhsa_user_sgpr_private_segment_size 0
		.amdhsa_wavefront_size32 1
		.amdhsa_uses_dynamic_stack 0
		.amdhsa_enable_private_segment 0
		.amdhsa_system_sgpr_workgroup_id_x 1
		.amdhsa_system_sgpr_workgroup_id_y 0
		.amdhsa_system_sgpr_workgroup_id_z 0
		.amdhsa_system_sgpr_workgroup_info 0
		.amdhsa_system_vgpr_workitem_id 0
		.amdhsa_next_free_vgpr 26
		.amdhsa_next_free_sgpr 62
		.amdhsa_named_barrier_count 0
		.amdhsa_reserve_vcc 1
		.amdhsa_float_round_mode_32 0
		.amdhsa_float_round_mode_16_64 0
		.amdhsa_float_denorm_mode_32 3
		.amdhsa_float_denorm_mode_16_64 3
		.amdhsa_fp16_overflow 0
		.amdhsa_memory_ordered 1
		.amdhsa_forward_progress 1
		.amdhsa_inst_pref_size 255
		.amdhsa_round_robin_scheduling 0
		.amdhsa_exception_fp_ieee_invalid_op 0
		.amdhsa_exception_fp_denorm_src 0
		.amdhsa_exception_fp_ieee_div_zero 0
		.amdhsa_exception_fp_ieee_overflow 0
		.amdhsa_exception_fp_ieee_underflow 0
		.amdhsa_exception_fp_ieee_inexact 0
		.amdhsa_exception_int_div_zero 0
	.end_amdhsa_kernel
	.section	.text._ZN2at6native32elementwise_kernel_manual_unrollILi128ELi4EZNS0_15gpu_kernel_implINS0_13BinaryFunctorIjjbNS0_12_GLOBAL__N_116CompareEqFunctorIjEEEEEEvRNS_18TensorIteratorBaseERKT_EUlibE0_EEviT1_,"axG",@progbits,_ZN2at6native32elementwise_kernel_manual_unrollILi128ELi4EZNS0_15gpu_kernel_implINS0_13BinaryFunctorIjjbNS0_12_GLOBAL__N_116CompareEqFunctorIjEEEEEEvRNS_18TensorIteratorBaseERKT_EUlibE0_EEviT1_,comdat
.Lfunc_end348:
	.size	_ZN2at6native32elementwise_kernel_manual_unrollILi128ELi4EZNS0_15gpu_kernel_implINS0_13BinaryFunctorIjjbNS0_12_GLOBAL__N_116CompareEqFunctorIjEEEEEEvRNS_18TensorIteratorBaseERKT_EUlibE0_EEviT1_, .Lfunc_end348-_ZN2at6native32elementwise_kernel_manual_unrollILi128ELi4EZNS0_15gpu_kernel_implINS0_13BinaryFunctorIjjbNS0_12_GLOBAL__N_116CompareEqFunctorIjEEEEEEvRNS_18TensorIteratorBaseERKT_EUlibE0_EEviT1_
                                        ; -- End function
	.set _ZN2at6native32elementwise_kernel_manual_unrollILi128ELi4EZNS0_15gpu_kernel_implINS0_13BinaryFunctorIjjbNS0_12_GLOBAL__N_116CompareEqFunctorIjEEEEEEvRNS_18TensorIteratorBaseERKT_EUlibE0_EEviT1_.num_vgpr, 26
	.set _ZN2at6native32elementwise_kernel_manual_unrollILi128ELi4EZNS0_15gpu_kernel_implINS0_13BinaryFunctorIjjbNS0_12_GLOBAL__N_116CompareEqFunctorIjEEEEEEvRNS_18TensorIteratorBaseERKT_EUlibE0_EEviT1_.num_agpr, 0
	.set _ZN2at6native32elementwise_kernel_manual_unrollILi128ELi4EZNS0_15gpu_kernel_implINS0_13BinaryFunctorIjjbNS0_12_GLOBAL__N_116CompareEqFunctorIjEEEEEEvRNS_18TensorIteratorBaseERKT_EUlibE0_EEviT1_.numbered_sgpr, 62
	.set _ZN2at6native32elementwise_kernel_manual_unrollILi128ELi4EZNS0_15gpu_kernel_implINS0_13BinaryFunctorIjjbNS0_12_GLOBAL__N_116CompareEqFunctorIjEEEEEEvRNS_18TensorIteratorBaseERKT_EUlibE0_EEviT1_.num_named_barrier, 0
	.set _ZN2at6native32elementwise_kernel_manual_unrollILi128ELi4EZNS0_15gpu_kernel_implINS0_13BinaryFunctorIjjbNS0_12_GLOBAL__N_116CompareEqFunctorIjEEEEEEvRNS_18TensorIteratorBaseERKT_EUlibE0_EEviT1_.private_seg_size, 0
	.set _ZN2at6native32elementwise_kernel_manual_unrollILi128ELi4EZNS0_15gpu_kernel_implINS0_13BinaryFunctorIjjbNS0_12_GLOBAL__N_116CompareEqFunctorIjEEEEEEvRNS_18TensorIteratorBaseERKT_EUlibE0_EEviT1_.uses_vcc, 1
	.set _ZN2at6native32elementwise_kernel_manual_unrollILi128ELi4EZNS0_15gpu_kernel_implINS0_13BinaryFunctorIjjbNS0_12_GLOBAL__N_116CompareEqFunctorIjEEEEEEvRNS_18TensorIteratorBaseERKT_EUlibE0_EEviT1_.uses_flat_scratch, 0
	.set _ZN2at6native32elementwise_kernel_manual_unrollILi128ELi4EZNS0_15gpu_kernel_implINS0_13BinaryFunctorIjjbNS0_12_GLOBAL__N_116CompareEqFunctorIjEEEEEEvRNS_18TensorIteratorBaseERKT_EUlibE0_EEviT1_.has_dyn_sized_stack, 0
	.set _ZN2at6native32elementwise_kernel_manual_unrollILi128ELi4EZNS0_15gpu_kernel_implINS0_13BinaryFunctorIjjbNS0_12_GLOBAL__N_116CompareEqFunctorIjEEEEEEvRNS_18TensorIteratorBaseERKT_EUlibE0_EEviT1_.has_recursion, 0
	.set _ZN2at6native32elementwise_kernel_manual_unrollILi128ELi4EZNS0_15gpu_kernel_implINS0_13BinaryFunctorIjjbNS0_12_GLOBAL__N_116CompareEqFunctorIjEEEEEEvRNS_18TensorIteratorBaseERKT_EUlibE0_EEviT1_.has_indirect_call, 0
	.section	.AMDGPU.csdata,"",@progbits
; Kernel info:
; codeLenInByte = 56192
; TotalNumSgprs: 64
; NumVgprs: 26
; ScratchSize: 0
; MemoryBound: 1
; FloatMode: 240
; IeeeMode: 1
; LDSByteSize: 0 bytes/workgroup (compile time only)
; SGPRBlocks: 0
; VGPRBlocks: 1
; NumSGPRsForWavesPerEU: 64
; NumVGPRsForWavesPerEU: 26
; NamedBarCnt: 0
; Occupancy: 16
; WaveLimiterHint : 1
; COMPUTE_PGM_RSRC2:SCRATCH_EN: 0
; COMPUTE_PGM_RSRC2:USER_SGPR: 2
; COMPUTE_PGM_RSRC2:TRAP_HANDLER: 0
; COMPUTE_PGM_RSRC2:TGID_X_EN: 1
; COMPUTE_PGM_RSRC2:TGID_Y_EN: 0
; COMPUTE_PGM_RSRC2:TGID_Z_EN: 0
; COMPUTE_PGM_RSRC2:TIDIG_COMP_CNT: 0
	.section	.text._ZN2at6native29vectorized_elementwise_kernelILi16ENS0_13AUnaryFunctorIjjbNS0_12_GLOBAL__N_116CompareEqFunctorIjEEEESt5arrayIPcLm2EEEEviT0_T1_,"axG",@progbits,_ZN2at6native29vectorized_elementwise_kernelILi16ENS0_13AUnaryFunctorIjjbNS0_12_GLOBAL__N_116CompareEqFunctorIjEEEESt5arrayIPcLm2EEEEviT0_T1_,comdat
	.globl	_ZN2at6native29vectorized_elementwise_kernelILi16ENS0_13AUnaryFunctorIjjbNS0_12_GLOBAL__N_116CompareEqFunctorIjEEEESt5arrayIPcLm2EEEEviT0_T1_ ; -- Begin function _ZN2at6native29vectorized_elementwise_kernelILi16ENS0_13AUnaryFunctorIjjbNS0_12_GLOBAL__N_116CompareEqFunctorIjEEEESt5arrayIPcLm2EEEEviT0_T1_
	.p2align	8
	.type	_ZN2at6native29vectorized_elementwise_kernelILi16ENS0_13AUnaryFunctorIjjbNS0_12_GLOBAL__N_116CompareEqFunctorIjEEEESt5arrayIPcLm2EEEEviT0_T1_,@function
_ZN2at6native29vectorized_elementwise_kernelILi16ENS0_13AUnaryFunctorIjjbNS0_12_GLOBAL__N_116CompareEqFunctorIjEEEESt5arrayIPcLm2EEEEviT0_T1_: ; @_ZN2at6native29vectorized_elementwise_kernelILi16ENS0_13AUnaryFunctorIjjbNS0_12_GLOBAL__N_116CompareEqFunctorIjEEEESt5arrayIPcLm2EEEEviT0_T1_
; %bb.0:
	s_clause 0x1
	s_load_b96 s[20:22], s[0:1], 0x0
	s_load_b128 s[16:19], s[0:1], 0x10
	s_wait_xcnt 0x0
	s_bfe_u32 s0, ttmp6, 0x4000c
	s_and_b32 s1, ttmp6, 15
	s_add_co_i32 s0, s0, 1
	s_getreg_b32 s2, hwreg(HW_REG_IB_STS2, 6, 4)
	s_mul_i32 s0, ttmp9, s0
	s_delay_alu instid0(SALU_CYCLE_1) | instskip(SKIP_2) | instid1(SALU_CYCLE_1)
	s_add_co_i32 s1, s1, s0
	s_cmp_eq_u32 s2, 0
	s_cselect_b32 s0, ttmp9, s1
	s_lshl_b32 s24, s0, 12
	s_mov_b32 s0, -1
	s_wait_kmcnt 0x0
	s_sub_co_i32 s15, s20, s24
	s_delay_alu instid0(SALU_CYCLE_1)
	s_cmp_gt_i32 s15, 0xfff
	s_cbranch_scc0 .LBB349_2
; %bb.1:
	s_ashr_i32 s25, s24, 31
	v_lshlrev_b32_e32 v1, 6, v0
	s_lshl_b64 s[0:1], s[24:25], 2
	s_cmp_eq_u32 s21, 0
	s_add_nc_u64 s[0:1], s[18:19], s[0:1]
	s_cselect_b32 s20, -1, 0
	s_clause 0x3
	global_load_b128 v[2:5], v1, s[0:1] offset:16
	global_load_b128 v[6:9], v1, s[0:1]
	global_load_b128 v[10:13], v1, s[0:1] offset:48
	global_load_b128 v[14:17], v1, s[0:1] offset:32
	s_wait_loadcnt 0x3
	s_wait_xcnt 0x0
	v_cmp_ne_u32_e64 s0, s22, v2
	v_cmp_ne_u32_e64 s1, s22, v5
	;; [unrolled: 1-line block ×3, first 2 shown]
	s_wait_loadcnt 0x2
	v_cmp_ne_u32_e64 s3, s22, v7
	v_cmp_ne_u32_e64 s4, s22, v6
	s_xor_b32 s0, s20, s0
	v_cmp_ne_u32_e32 vcc_lo, s22, v3
	v_cndmask_b32_e64 v2, 0, 1, s0
	s_xor_b32 s0, s20, s1
	v_cmp_ne_u32_e64 s5, s22, v9
	v_cndmask_b32_e64 v3, 0, 1, s0
	s_xor_b32 s0, s20, s2
	v_cmp_ne_u32_e64 s6, s22, v8
	v_cndmask_b32_e64 v4, 0, 1, s0
	s_xor_b32 s0, s20, s3
	s_wait_loadcnt 0x1
	v_cmp_ne_u32_e64 s7, s22, v11
	v_cndmask_b32_e64 v5, 0, 1, s0
	s_xor_b32 s0, s20, s4
	v_cmp_ne_u32_e64 s8, s22, v10
	v_cndmask_b32_e64 v6, 0, 1, s0
	s_xor_b32 s0, s20, s5
	;; [unrolled: 3-line block ×4, first 2 shown]
	s_wait_loadcnt 0x0
	v_cmp_ne_u32_e64 s11, s22, v15
	v_cndmask_b32_e64 v9, 0, 1, s0
	s_xor_b32 s0, s20, s8
	v_cmp_ne_u32_e64 s12, s22, v14
	v_cndmask_b32_e64 v10, 0, 1, s0
	s_xor_b32 s0, s20, s9
	v_cmp_ne_u32_e64 s13, s22, v17
	v_cndmask_b32_e64 v11, 0, 1, s0
	s_xor_b32 s0, s20, s10
	v_cmp_ne_u32_e64 s14, s22, v16
	v_cndmask_b32_e64 v12, 0, 1, s0
	s_xor_b32 s0, s20, s11
	s_xor_b32 s23, s20, vcc_lo
	v_cndmask_b32_e64 v13, 0, 1, s0
	s_xor_b32 s0, s20, s12
	v_cndmask_b32_e64 v1, 0, 1, s23
	v_cndmask_b32_e64 v14, 0, 1, s0
	s_xor_b32 s0, s20, s13
	v_lshlrev_b16 v3, 8, v3
	v_cndmask_b32_e64 v15, 0, 1, s0
	s_xor_b32 s0, s20, s14
	v_lshlrev_b16 v1, 8, v1
	v_cndmask_b32_e64 v16, 0, 1, s0
	v_lshlrev_b16 v5, 8, v5
	v_lshlrev_b16 v7, 8, v7
	;; [unrolled: 1-line block ×6, first 2 shown]
	v_or_b32_e32 v1, v2, v1
	v_or_b32_e32 v2, v4, v3
	v_or_b32_e32 v4, v8, v7
	v_or_b32_e32 v3, v6, v5
	v_or_b32_e32 v6, v12, v11
	v_or_b32_e32 v7, v14, v13
	v_or_b32_e32 v8, v16, v15
	v_dual_lshlrev_b32 v2, 16, v2 :: v_dual_bitop2_b32 v5, v10, v9 bitop3:0x54
	v_and_b32_e32 v1, 0xffff, v1
	v_dual_lshlrev_b32 v6, 16, v6 :: v_dual_lshlrev_b32 v4, 16, v4
	v_and_b32_e32 v9, 0xffff, v3
	v_and_b32_e32 v7, 0xffff, v7
	v_lshlrev_b32_e32 v8, 16, v8
	v_and_b32_e32 v5, 0xffff, v5
	v_or_b32_e32 v3, v1, v2
	v_or_b32_e32 v2, v9, v4
	s_add_nc_u64 s[2:3], s[16:17], s[24:25]
	v_or_b32_e32 v4, v7, v8
	v_or_b32_e32 v5, v5, v6
	s_mov_b32 s0, 0
	global_store_b128 v0, v[2:5], s[2:3] scale_offset
.LBB349_2:
	s_and_not1_b32 vcc_lo, exec_lo, s0
	s_cbranch_vccnz .LBB349_52
; %bb.3:
	v_cmp_gt_i32_e32 vcc_lo, s15, v0
	v_or_b32_e32 v17, 0x100, v0
	v_dual_mov_b32 v1, 0 :: v_dual_bitop2_b32 v18, s24, v0 bitop3:0x54
	v_dual_mov_b32 v7, 0 :: v_dual_mov_b32 v6, 0
	v_dual_mov_b32 v8, 0 :: v_dual_mov_b32 v9, 0
	;; [unrolled: 1-line block ×5, first 2 shown]
	s_wait_xcnt 0x0
	v_dual_mov_b32 v16, 0 :: v_dual_mov_b32 v4, 0
	v_dual_mov_b32 v3, 0 :: v_dual_mov_b32 v19, 0
	v_mov_b32_e32 v20, 0
	s_and_saveexec_b32 s1, vcc_lo
	s_cbranch_execz .LBB349_35
; %bb.4:
	global_load_b32 v20, v18, s[18:19] scale_offset
	v_dual_mov_b32 v19, 0 :: v_dual_mov_b32 v3, 0
	v_dual_mov_b32 v4, 0 :: v_dual_mov_b32 v16, 0
	;; [unrolled: 1-line block ×7, first 2 shown]
	v_mov_b32_e32 v1, 0
	s_mov_b32 s2, exec_lo
	s_wait_xcnt 0x0
	v_cmpx_gt_u32_e64 s15, v17
	s_cbranch_execz .LBB349_34
; %bb.5:
	v_dual_mov_b32 v3, 0 :: v_dual_add_nc_u32 v2, s24, v0
	v_or_b32_e32 v1, 0x200, v0
	v_dual_mov_b32 v4, 0 :: v_dual_mov_b32 v16, 0
	global_load_b32 v19, v2, s[18:19] offset:1024 scale_offset
	v_dual_mov_b32 v15, 0 :: v_dual_mov_b32 v14, 0
	v_cmp_gt_u32_e64 s0, s15, v1
	v_dual_mov_b32 v13, 0 :: v_dual_mov_b32 v12, 0
	v_dual_mov_b32 v11, 0 :: v_dual_mov_b32 v10, 0
	;; [unrolled: 1-line block ×4, first 2 shown]
	v_mov_b32_e32 v1, 0
	s_wait_xcnt 0x0
	s_and_saveexec_b32 s3, s0
	s_cbranch_execz .LBB349_33
; %bb.6:
	v_lshl_add_u64 v[4:5], v[2:3], 2, s[18:19]
	v_or_b32_e32 v1, 0x300, v0
	v_dual_mov_b32 v16, 0 :: v_dual_mov_b32 v15, 0
	v_dual_mov_b32 v14, 0 :: v_dual_mov_b32 v13, 0
	global_load_b32 v2, v[4:5], off offset:2048
	v_cmp_gt_u32_e64 s0, s15, v1
	v_dual_mov_b32 v12, 0 :: v_dual_mov_b32 v11, 0
	v_dual_mov_b32 v10, 0 :: v_dual_mov_b32 v9, 0
	;; [unrolled: 1-line block ×4, first 2 shown]
	s_wait_xcnt 0x0
	s_and_saveexec_b32 s4, s0
	s_cbranch_execz .LBB349_32
; %bb.7:
	global_load_b32 v3, v[4:5], off offset:3072
	v_or_b32_e32 v1, 0x400, v0
	v_dual_mov_b32 v16, 0 :: v_dual_mov_b32 v15, 0
	v_dual_mov_b32 v14, 0 :: v_dual_mov_b32 v13, 0
	s_delay_alu instid0(VALU_DEP_3)
	v_cmp_gt_u32_e64 s0, s15, v1
	v_dual_mov_b32 v12, 0 :: v_dual_mov_b32 v11, 0
	v_dual_mov_b32 v10, 0 :: v_dual_mov_b32 v9, 0
	;; [unrolled: 1-line block ×4, first 2 shown]
	s_wait_xcnt 0x0
	s_and_saveexec_b32 s5, s0
	s_cbranch_execz .LBB349_31
; %bb.8:
	global_load_b32 v16, v[4:5], off offset:4096
	v_or_b32_e32 v1, 0x500, v0
	v_dual_mov_b32 v15, 0 :: v_dual_mov_b32 v14, 0
	v_dual_mov_b32 v13, 0 :: v_dual_mov_b32 v12, 0
	s_delay_alu instid0(VALU_DEP_3)
	v_cmp_gt_u32_e64 s0, s15, v1
	v_dual_mov_b32 v11, 0 :: v_dual_mov_b32 v10, 0
	v_dual_mov_b32 v9, 0 :: v_dual_mov_b32 v8, 0
	v_dual_mov_b32 v6, 0 :: v_dual_mov_b32 v7, 0
	v_mov_b32_e32 v1, 0
	s_wait_xcnt 0x0
	s_and_saveexec_b32 s6, s0
	s_cbranch_execz .LBB349_30
; %bb.9:
	global_load_b32 v15, v[4:5], off offset:5120
	v_or_b32_e32 v1, 0x600, v0
	v_dual_mov_b32 v14, 0 :: v_dual_mov_b32 v13, 0
	v_dual_mov_b32 v12, 0 :: v_dual_mov_b32 v11, 0
	s_delay_alu instid0(VALU_DEP_3)
	v_cmp_gt_u32_e64 s0, s15, v1
	v_dual_mov_b32 v10, 0 :: v_dual_mov_b32 v9, 0
	v_dual_mov_b32 v8, 0 :: v_dual_mov_b32 v6, 0
	;; [unrolled: 1-line block ×3, first 2 shown]
	s_wait_xcnt 0x0
	s_and_saveexec_b32 s7, s0
	s_cbranch_execz .LBB349_29
; %bb.10:
	global_load_b32 v14, v[4:5], off offset:6144
	v_or_b32_e32 v1, 0x700, v0
	v_dual_mov_b32 v13, 0 :: v_dual_mov_b32 v12, 0
	v_dual_mov_b32 v11, 0 :: v_dual_mov_b32 v10, 0
	s_delay_alu instid0(VALU_DEP_3)
	v_cmp_gt_u32_e64 s0, s15, v1
	v_dual_mov_b32 v9, 0 :: v_dual_mov_b32 v8, 0
	v_dual_mov_b32 v6, 0 :: v_dual_mov_b32 v7, 0
	v_mov_b32_e32 v1, 0
	s_wait_xcnt 0x0
	s_and_saveexec_b32 s8, s0
	s_cbranch_execz .LBB349_28
; %bb.11:
	global_load_b32 v13, v[4:5], off offset:7168
	v_or_b32_e32 v1, 0x800, v0
	v_dual_mov_b32 v12, 0 :: v_dual_mov_b32 v11, 0
	v_dual_mov_b32 v10, 0 :: v_dual_mov_b32 v9, 0
	s_delay_alu instid0(VALU_DEP_3)
	v_cmp_gt_u32_e64 s0, s15, v1
	v_dual_mov_b32 v8, 0 :: v_dual_mov_b32 v6, 0
	v_dual_mov_b32 v7, 0 :: v_dual_mov_b32 v1, 0
	s_wait_xcnt 0x0
	s_and_saveexec_b32 s9, s0
	s_cbranch_execz .LBB349_27
; %bb.12:
	global_load_b32 v12, v[4:5], off offset:8192
	v_or_b32_e32 v1, 0x900, v0
	v_dual_mov_b32 v11, 0 :: v_dual_mov_b32 v10, 0
	v_dual_mov_b32 v9, 0 :: v_dual_mov_b32 v8, 0
	s_delay_alu instid0(VALU_DEP_3)
	v_cmp_gt_u32_e64 s0, s15, v1
	v_dual_mov_b32 v6, 0 :: v_dual_mov_b32 v7, 0
	v_mov_b32_e32 v1, 0
	s_wait_xcnt 0x0
	s_and_saveexec_b32 s10, s0
	s_cbranch_execz .LBB349_26
; %bb.13:
	global_load_b32 v11, v[4:5], off offset:9216
	v_or_b32_e32 v1, 0xa00, v0
	v_dual_mov_b32 v10, 0 :: v_dual_mov_b32 v9, 0
	v_dual_mov_b32 v8, 0 :: v_dual_mov_b32 v6, 0
	s_delay_alu instid0(VALU_DEP_3)
	v_cmp_gt_u32_e64 s0, s15, v1
	v_dual_mov_b32 v7, 0 :: v_dual_mov_b32 v1, 0
	s_wait_xcnt 0x0
	s_and_saveexec_b32 s11, s0
	s_cbranch_execz .LBB349_25
; %bb.14:
	global_load_b32 v10, v[4:5], off offset:10240
	v_or_b32_e32 v1, 0xb00, v0
	v_dual_mov_b32 v9, 0 :: v_dual_mov_b32 v8, 0
	v_dual_mov_b32 v6, 0 :: v_dual_mov_b32 v7, 0
	s_delay_alu instid0(VALU_DEP_3)
	v_cmp_gt_u32_e64 s0, s15, v1
	v_mov_b32_e32 v1, 0
	s_wait_xcnt 0x0
	s_and_saveexec_b32 s12, s0
	s_cbranch_execz .LBB349_24
; %bb.15:
	global_load_b32 v9, v[4:5], off offset:11264
	v_or_b32_e32 v1, 0xc00, v0
	v_dual_mov_b32 v8, 0 :: v_dual_mov_b32 v6, 0
	v_mov_b32_e32 v7, 0
	s_delay_alu instid0(VALU_DEP_3)
	v_cmp_gt_u32_e64 s0, s15, v1
	v_mov_b32_e32 v1, 0
	s_wait_xcnt 0x0
	s_and_saveexec_b32 s13, s0
	s_cbranch_execz .LBB349_23
; %bb.16:
	global_load_b32 v8, v[4:5], off offset:12288
	v_or_b32_e32 v1, 0xd00, v0
	v_dual_mov_b32 v6, 0 :: v_dual_mov_b32 v7, 0
	s_delay_alu instid0(VALU_DEP_2)
	v_cmp_gt_u32_e64 s0, s15, v1
	v_mov_b32_e32 v1, 0
	s_wait_xcnt 0x0
	s_and_saveexec_b32 s14, s0
	s_cbranch_execz .LBB349_22
; %bb.17:
	global_load_b32 v6, v[4:5], off offset:13312
	v_or_b32_e32 v1, 0xe00, v0
	v_mov_b32_e32 v7, 0
	s_delay_alu instid0(VALU_DEP_2)
	v_cmp_gt_u32_e64 s0, s15, v1
	v_mov_b32_e32 v1, 0
	s_wait_xcnt 0x0
	s_and_saveexec_b32 s18, s0
	s_cbranch_execz .LBB349_21
; %bb.18:
	global_load_b32 v7, v[4:5], off offset:14336
	v_or_b32_e32 v1, 0xf00, v0
	s_delay_alu instid0(VALU_DEP_1)
	v_cmp_gt_u32_e64 s0, s15, v1
	v_mov_b32_e32 v1, 0
	s_wait_xcnt 0x0
	s_and_saveexec_b32 s19, s0
	s_cbranch_execz .LBB349_20
; %bb.19:
	global_load_b32 v1, v[4:5], off offset:15360
.LBB349_20:
	s_wait_xcnt 0x0
	s_or_b32 exec_lo, exec_lo, s19
.LBB349_21:
	s_delay_alu instid0(SALU_CYCLE_1)
	s_or_b32 exec_lo, exec_lo, s18
.LBB349_22:
	s_delay_alu instid0(SALU_CYCLE_1)
	s_or_b32 exec_lo, exec_lo, s14
.LBB349_23:
	s_delay_alu instid0(SALU_CYCLE_1)
	s_or_b32 exec_lo, exec_lo, s13
.LBB349_24:
	s_delay_alu instid0(SALU_CYCLE_1)
	s_or_b32 exec_lo, exec_lo, s12
.LBB349_25:
	s_delay_alu instid0(SALU_CYCLE_1)
	s_or_b32 exec_lo, exec_lo, s11
.LBB349_26:
	s_delay_alu instid0(SALU_CYCLE_1)
	s_or_b32 exec_lo, exec_lo, s10
.LBB349_27:
	s_delay_alu instid0(SALU_CYCLE_1)
	s_or_b32 exec_lo, exec_lo, s9
.LBB349_28:
	s_delay_alu instid0(SALU_CYCLE_1)
	s_or_b32 exec_lo, exec_lo, s8
.LBB349_29:
	s_delay_alu instid0(SALU_CYCLE_1)
	s_or_b32 exec_lo, exec_lo, s7
.LBB349_30:
	s_delay_alu instid0(SALU_CYCLE_1)
	s_or_b32 exec_lo, exec_lo, s6
.LBB349_31:
	s_delay_alu instid0(SALU_CYCLE_1)
	s_or_b32 exec_lo, exec_lo, s5
.LBB349_32:
	s_delay_alu instid0(SALU_CYCLE_1)
	s_or_b32 exec_lo, exec_lo, s4
	s_wait_loadcnt 0x0
	v_dual_mov_b32 v4, v3 :: v_dual_mov_b32 v3, v2
.LBB349_33:
	s_or_b32 exec_lo, exec_lo, s3
.LBB349_34:
	s_delay_alu instid0(SALU_CYCLE_1)
	s_or_b32 exec_lo, exec_lo, s2
.LBB349_35:
	s_delay_alu instid0(SALU_CYCLE_1)
	s_or_b32 exec_lo, exec_lo, s1
	s_cmp_eq_u32 s21, 0
	s_cselect_b32 s0, -1, 0
	s_and_saveexec_b32 s1, vcc_lo
	s_cbranch_execnz .LBB349_53
; %bb.36:
	s_or_b32 exec_lo, exec_lo, s1
	s_delay_alu instid0(SALU_CYCLE_1)
	s_mov_b32 s1, exec_lo
	v_cmpx_gt_i32_e64 s15, v0
	s_cbranch_execnz .LBB349_54
.LBB349_37:
	s_or_b32 exec_lo, exec_lo, s1
	s_delay_alu instid0(SALU_CYCLE_1)
	s_mov_b32 s1, exec_lo
	v_cmpx_gt_i32_e64 s15, v0
	s_cbranch_execnz .LBB349_55
.LBB349_38:
	s_or_b32 exec_lo, exec_lo, s1
	s_delay_alu instid0(SALU_CYCLE_1)
	s_mov_b32 s1, exec_lo
	v_cmpx_gt_i32_e64 s15, v0
	s_cbranch_execnz .LBB349_56
.LBB349_39:
	s_or_b32 exec_lo, exec_lo, s1
	s_delay_alu instid0(SALU_CYCLE_1)
	s_mov_b32 s1, exec_lo
	v_cmpx_gt_i32_e64 s15, v0
	s_cbranch_execnz .LBB349_57
.LBB349_40:
	s_or_b32 exec_lo, exec_lo, s1
	s_delay_alu instid0(SALU_CYCLE_1)
	s_mov_b32 s1, exec_lo
	v_cmpx_gt_i32_e64 s15, v0
	s_cbranch_execnz .LBB349_58
.LBB349_41:
	s_or_b32 exec_lo, exec_lo, s1
	s_delay_alu instid0(SALU_CYCLE_1)
	s_mov_b32 s1, exec_lo
	v_cmpx_gt_i32_e64 s15, v0
	s_cbranch_execnz .LBB349_59
.LBB349_42:
	s_or_b32 exec_lo, exec_lo, s1
	s_delay_alu instid0(SALU_CYCLE_1)
	s_mov_b32 s1, exec_lo
	v_cmpx_gt_i32_e64 s15, v0
	s_cbranch_execnz .LBB349_60
.LBB349_43:
	s_or_b32 exec_lo, exec_lo, s1
	s_delay_alu instid0(SALU_CYCLE_1)
	s_mov_b32 s1, exec_lo
	v_cmpx_gt_i32_e64 s15, v0
	s_cbranch_execnz .LBB349_61
.LBB349_44:
	s_or_b32 exec_lo, exec_lo, s1
	s_delay_alu instid0(SALU_CYCLE_1)
	s_mov_b32 s1, exec_lo
	v_cmpx_gt_i32_e64 s15, v0
	s_cbranch_execnz .LBB349_62
.LBB349_45:
	s_or_b32 exec_lo, exec_lo, s1
	s_delay_alu instid0(SALU_CYCLE_1)
	s_mov_b32 s1, exec_lo
	v_cmpx_gt_i32_e64 s15, v0
	s_cbranch_execnz .LBB349_63
.LBB349_46:
	s_or_b32 exec_lo, exec_lo, s1
	s_delay_alu instid0(SALU_CYCLE_1)
	s_mov_b32 s1, exec_lo
	v_cmpx_gt_i32_e64 s15, v0
	s_cbranch_execnz .LBB349_64
.LBB349_47:
	s_or_b32 exec_lo, exec_lo, s1
	s_delay_alu instid0(SALU_CYCLE_1)
	s_mov_b32 s1, exec_lo
	v_cmpx_gt_i32_e64 s15, v0
	s_cbranch_execnz .LBB349_65
.LBB349_48:
	s_or_b32 exec_lo, exec_lo, s1
	s_delay_alu instid0(SALU_CYCLE_1)
	s_mov_b32 s1, exec_lo
	v_cmpx_gt_i32_e64 s15, v0
	s_cbranch_execnz .LBB349_66
.LBB349_49:
	s_or_b32 exec_lo, exec_lo, s1
	s_delay_alu instid0(SALU_CYCLE_1)
	s_mov_b32 s1, exec_lo
	v_cmpx_gt_i32_e64 s15, v0
	s_cbranch_execnz .LBB349_67
.LBB349_50:
	s_or_b32 exec_lo, exec_lo, s1
	s_delay_alu instid0(SALU_CYCLE_1)
	s_mov_b32 s1, exec_lo
	v_cmpx_gt_i32_e64 s15, v0
	s_cbranch_execz .LBB349_52
.LBB349_51:
	v_cmp_ne_u32_e32 vcc_lo, s22, v1
	v_add_nc_u32_e32 v0, s24, v0
	s_xor_b32 s0, s0, vcc_lo
	s_delay_alu instid0(SALU_CYCLE_1)
	v_cndmask_b32_e64 v1, 0, 1, s0
	global_store_b8 v0, v1, s[16:17]
.LBB349_52:
	s_endpgm
.LBB349_53:
	s_wait_loadcnt 0x0
	v_cmp_ne_u32_e32 vcc_lo, s22, v20
	v_mov_b32_e32 v0, v17
	s_xor_b32 s2, s0, vcc_lo
	s_delay_alu instid0(SALU_CYCLE_1) | instskip(SKIP_3) | instid1(SALU_CYCLE_1)
	v_cndmask_b32_e64 v2, 0, 1, s2
	global_store_b8 v18, v2, s[16:17]
	s_wait_xcnt 0x0
	s_or_b32 exec_lo, exec_lo, s1
	s_mov_b32 s1, exec_lo
	v_cmpx_gt_i32_e64 s15, v0
	s_cbranch_execz .LBB349_37
.LBB349_54:
	s_wait_loadcnt 0x0
	v_cmp_ne_u32_e32 vcc_lo, s22, v19
	v_add_nc_u32_e32 v5, s24, v0
	v_add_nc_u32_e32 v0, 0x100, v0
	s_xor_b32 s2, s0, vcc_lo
	s_delay_alu instid0(SALU_CYCLE_1) | instskip(SKIP_3) | instid1(SALU_CYCLE_1)
	v_cndmask_b32_e64 v2, 0, 1, s2
	global_store_b8 v5, v2, s[16:17]
	s_wait_xcnt 0x0
	s_or_b32 exec_lo, exec_lo, s1
	s_mov_b32 s1, exec_lo
	v_cmpx_gt_i32_e64 s15, v0
	s_cbranch_execz .LBB349_38
.LBB349_55:
	v_cmp_ne_u32_e32 vcc_lo, s22, v3
	v_add_nc_u32_e32 v3, s24, v0
	v_add_nc_u32_e32 v0, 0x100, v0
	s_xor_b32 s2, s0, vcc_lo
	s_delay_alu instid0(SALU_CYCLE_1) | instskip(SKIP_3) | instid1(SALU_CYCLE_1)
	v_cndmask_b32_e64 v2, 0, 1, s2
	global_store_b8 v3, v2, s[16:17]
	s_wait_xcnt 0x0
	s_or_b32 exec_lo, exec_lo, s1
	s_mov_b32 s1, exec_lo
	v_cmpx_gt_i32_e64 s15, v0
	s_cbranch_execz .LBB349_39
.LBB349_56:
	v_cmp_ne_u32_e32 vcc_lo, s22, v4
	v_add_nc_u32_e32 v3, s24, v0
	v_add_nc_u32_e32 v0, 0x100, v0
	s_xor_b32 s2, s0, vcc_lo
	s_delay_alu instid0(SALU_CYCLE_1) | instskip(SKIP_3) | instid1(SALU_CYCLE_1)
	v_cndmask_b32_e64 v2, 0, 1, s2
	global_store_b8 v3, v2, s[16:17]
	s_wait_xcnt 0x0
	s_or_b32 exec_lo, exec_lo, s1
	s_mov_b32 s1, exec_lo
	v_cmpx_gt_i32_e64 s15, v0
	s_cbranch_execz .LBB349_40
.LBB349_57:
	v_cmp_ne_u32_e32 vcc_lo, s22, v16
	v_add_nc_u32_e32 v3, s24, v0
	v_add_nc_u32_e32 v0, 0x100, v0
	s_xor_b32 s2, s0, vcc_lo
	s_delay_alu instid0(SALU_CYCLE_1) | instskip(SKIP_3) | instid1(SALU_CYCLE_1)
	v_cndmask_b32_e64 v2, 0, 1, s2
	global_store_b8 v3, v2, s[16:17]
	s_wait_xcnt 0x0
	s_or_b32 exec_lo, exec_lo, s1
	s_mov_b32 s1, exec_lo
	v_cmpx_gt_i32_e64 s15, v0
	s_cbranch_execz .LBB349_41
.LBB349_58:
	v_cmp_ne_u32_e32 vcc_lo, s22, v15
	v_add_nc_u32_e32 v3, s24, v0
	v_add_nc_u32_e32 v0, 0x100, v0
	s_xor_b32 s2, s0, vcc_lo
	s_delay_alu instid0(SALU_CYCLE_1) | instskip(SKIP_3) | instid1(SALU_CYCLE_1)
	v_cndmask_b32_e64 v2, 0, 1, s2
	global_store_b8 v3, v2, s[16:17]
	s_wait_xcnt 0x0
	s_or_b32 exec_lo, exec_lo, s1
	s_mov_b32 s1, exec_lo
	v_cmpx_gt_i32_e64 s15, v0
	s_cbranch_execz .LBB349_42
.LBB349_59:
	v_cmp_ne_u32_e32 vcc_lo, s22, v14
	v_add_nc_u32_e32 v3, s24, v0
	v_add_nc_u32_e32 v0, 0x100, v0
	s_xor_b32 s2, s0, vcc_lo
	s_delay_alu instid0(SALU_CYCLE_1) | instskip(SKIP_3) | instid1(SALU_CYCLE_1)
	v_cndmask_b32_e64 v2, 0, 1, s2
	global_store_b8 v3, v2, s[16:17]
	s_wait_xcnt 0x0
	s_or_b32 exec_lo, exec_lo, s1
	s_mov_b32 s1, exec_lo
	v_cmpx_gt_i32_e64 s15, v0
	s_cbranch_execz .LBB349_43
.LBB349_60:
	v_cmp_ne_u32_e32 vcc_lo, s22, v13
	v_add_nc_u32_e32 v3, s24, v0
	v_add_nc_u32_e32 v0, 0x100, v0
	s_xor_b32 s2, s0, vcc_lo
	s_delay_alu instid0(SALU_CYCLE_1) | instskip(SKIP_3) | instid1(SALU_CYCLE_1)
	v_cndmask_b32_e64 v2, 0, 1, s2
	global_store_b8 v3, v2, s[16:17]
	s_wait_xcnt 0x0
	s_or_b32 exec_lo, exec_lo, s1
	s_mov_b32 s1, exec_lo
	v_cmpx_gt_i32_e64 s15, v0
	s_cbranch_execz .LBB349_44
.LBB349_61:
	v_cmp_ne_u32_e32 vcc_lo, s22, v12
	v_add_nc_u32_e32 v3, s24, v0
	v_add_nc_u32_e32 v0, 0x100, v0
	s_xor_b32 s2, s0, vcc_lo
	s_delay_alu instid0(SALU_CYCLE_1) | instskip(SKIP_3) | instid1(SALU_CYCLE_1)
	v_cndmask_b32_e64 v2, 0, 1, s2
	global_store_b8 v3, v2, s[16:17]
	s_wait_xcnt 0x0
	s_or_b32 exec_lo, exec_lo, s1
	s_mov_b32 s1, exec_lo
	v_cmpx_gt_i32_e64 s15, v0
	s_cbranch_execz .LBB349_45
.LBB349_62:
	v_cmp_ne_u32_e32 vcc_lo, s22, v11
	v_add_nc_u32_e32 v3, s24, v0
	v_add_nc_u32_e32 v0, 0x100, v0
	s_xor_b32 s2, s0, vcc_lo
	s_delay_alu instid0(SALU_CYCLE_1) | instskip(SKIP_3) | instid1(SALU_CYCLE_1)
	v_cndmask_b32_e64 v2, 0, 1, s2
	global_store_b8 v3, v2, s[16:17]
	s_wait_xcnt 0x0
	s_or_b32 exec_lo, exec_lo, s1
	s_mov_b32 s1, exec_lo
	v_cmpx_gt_i32_e64 s15, v0
	s_cbranch_execz .LBB349_46
.LBB349_63:
	v_cmp_ne_u32_e32 vcc_lo, s22, v10
	v_add_nc_u32_e32 v3, s24, v0
	v_add_nc_u32_e32 v0, 0x100, v0
	s_xor_b32 s2, s0, vcc_lo
	s_delay_alu instid0(SALU_CYCLE_1) | instskip(SKIP_3) | instid1(SALU_CYCLE_1)
	v_cndmask_b32_e64 v2, 0, 1, s2
	global_store_b8 v3, v2, s[16:17]
	s_wait_xcnt 0x0
	s_or_b32 exec_lo, exec_lo, s1
	s_mov_b32 s1, exec_lo
	v_cmpx_gt_i32_e64 s15, v0
	s_cbranch_execz .LBB349_47
.LBB349_64:
	v_cmp_ne_u32_e32 vcc_lo, s22, v9
	v_add_nc_u32_e32 v3, s24, v0
	v_add_nc_u32_e32 v0, 0x100, v0
	s_xor_b32 s2, s0, vcc_lo
	s_delay_alu instid0(SALU_CYCLE_1) | instskip(SKIP_3) | instid1(SALU_CYCLE_1)
	v_cndmask_b32_e64 v2, 0, 1, s2
	global_store_b8 v3, v2, s[16:17]
	s_wait_xcnt 0x0
	s_or_b32 exec_lo, exec_lo, s1
	s_mov_b32 s1, exec_lo
	v_cmpx_gt_i32_e64 s15, v0
	s_cbranch_execz .LBB349_48
.LBB349_65:
	v_cmp_ne_u32_e32 vcc_lo, s22, v8
	v_add_nc_u32_e32 v3, s24, v0
	v_add_nc_u32_e32 v0, 0x100, v0
	s_xor_b32 s2, s0, vcc_lo
	s_delay_alu instid0(SALU_CYCLE_1) | instskip(SKIP_3) | instid1(SALU_CYCLE_1)
	v_cndmask_b32_e64 v2, 0, 1, s2
	global_store_b8 v3, v2, s[16:17]
	s_wait_xcnt 0x0
	s_or_b32 exec_lo, exec_lo, s1
	s_mov_b32 s1, exec_lo
	v_cmpx_gt_i32_e64 s15, v0
	s_cbranch_execz .LBB349_49
.LBB349_66:
	v_cmp_ne_u32_e32 vcc_lo, s22, v6
	v_add_nc_u32_e32 v3, s24, v0
	v_add_nc_u32_e32 v0, 0x100, v0
	s_xor_b32 s2, s0, vcc_lo
	s_delay_alu instid0(SALU_CYCLE_1) | instskip(SKIP_3) | instid1(SALU_CYCLE_1)
	v_cndmask_b32_e64 v2, 0, 1, s2
	global_store_b8 v3, v2, s[16:17]
	s_wait_xcnt 0x0
	s_or_b32 exec_lo, exec_lo, s1
	s_mov_b32 s1, exec_lo
	v_cmpx_gt_i32_e64 s15, v0
	s_cbranch_execz .LBB349_50
.LBB349_67:
	v_cmp_ne_u32_e32 vcc_lo, s22, v7
	v_add_nc_u32_e32 v3, s24, v0
	v_add_nc_u32_e32 v0, 0x100, v0
	s_xor_b32 s2, s0, vcc_lo
	s_delay_alu instid0(SALU_CYCLE_1) | instskip(SKIP_3) | instid1(SALU_CYCLE_1)
	v_cndmask_b32_e64 v2, 0, 1, s2
	global_store_b8 v3, v2, s[16:17]
	s_wait_xcnt 0x0
	s_or_b32 exec_lo, exec_lo, s1
	s_mov_b32 s1, exec_lo
	v_cmpx_gt_i32_e64 s15, v0
	s_cbranch_execnz .LBB349_51
	s_branch .LBB349_52
	.section	.rodata,"a",@progbits
	.p2align	6, 0x0
	.amdhsa_kernel _ZN2at6native29vectorized_elementwise_kernelILi16ENS0_13AUnaryFunctorIjjbNS0_12_GLOBAL__N_116CompareEqFunctorIjEEEESt5arrayIPcLm2EEEEviT0_T1_
		.amdhsa_group_segment_fixed_size 0
		.amdhsa_private_segment_fixed_size 0
		.amdhsa_kernarg_size 32
		.amdhsa_user_sgpr_count 2
		.amdhsa_user_sgpr_dispatch_ptr 0
		.amdhsa_user_sgpr_queue_ptr 0
		.amdhsa_user_sgpr_kernarg_segment_ptr 1
		.amdhsa_user_sgpr_dispatch_id 0
		.amdhsa_user_sgpr_kernarg_preload_length 0
		.amdhsa_user_sgpr_kernarg_preload_offset 0
		.amdhsa_user_sgpr_private_segment_size 0
		.amdhsa_wavefront_size32 1
		.amdhsa_uses_dynamic_stack 0
		.amdhsa_enable_private_segment 0
		.amdhsa_system_sgpr_workgroup_id_x 1
		.amdhsa_system_sgpr_workgroup_id_y 0
		.amdhsa_system_sgpr_workgroup_id_z 0
		.amdhsa_system_sgpr_workgroup_info 0
		.amdhsa_system_vgpr_workitem_id 0
		.amdhsa_next_free_vgpr 21
		.amdhsa_next_free_sgpr 26
		.amdhsa_named_barrier_count 0
		.amdhsa_reserve_vcc 1
		.amdhsa_float_round_mode_32 0
		.amdhsa_float_round_mode_16_64 0
		.amdhsa_float_denorm_mode_32 3
		.amdhsa_float_denorm_mode_16_64 3
		.amdhsa_fp16_overflow 0
		.amdhsa_memory_ordered 1
		.amdhsa_forward_progress 1
		.amdhsa_inst_pref_size 28
		.amdhsa_round_robin_scheduling 0
		.amdhsa_exception_fp_ieee_invalid_op 0
		.amdhsa_exception_fp_denorm_src 0
		.amdhsa_exception_fp_ieee_div_zero 0
		.amdhsa_exception_fp_ieee_overflow 0
		.amdhsa_exception_fp_ieee_underflow 0
		.amdhsa_exception_fp_ieee_inexact 0
		.amdhsa_exception_int_div_zero 0
	.end_amdhsa_kernel
	.section	.text._ZN2at6native29vectorized_elementwise_kernelILi16ENS0_13AUnaryFunctorIjjbNS0_12_GLOBAL__N_116CompareEqFunctorIjEEEESt5arrayIPcLm2EEEEviT0_T1_,"axG",@progbits,_ZN2at6native29vectorized_elementwise_kernelILi16ENS0_13AUnaryFunctorIjjbNS0_12_GLOBAL__N_116CompareEqFunctorIjEEEESt5arrayIPcLm2EEEEviT0_T1_,comdat
.Lfunc_end349:
	.size	_ZN2at6native29vectorized_elementwise_kernelILi16ENS0_13AUnaryFunctorIjjbNS0_12_GLOBAL__N_116CompareEqFunctorIjEEEESt5arrayIPcLm2EEEEviT0_T1_, .Lfunc_end349-_ZN2at6native29vectorized_elementwise_kernelILi16ENS0_13AUnaryFunctorIjjbNS0_12_GLOBAL__N_116CompareEqFunctorIjEEEESt5arrayIPcLm2EEEEviT0_T1_
                                        ; -- End function
	.set _ZN2at6native29vectorized_elementwise_kernelILi16ENS0_13AUnaryFunctorIjjbNS0_12_GLOBAL__N_116CompareEqFunctorIjEEEESt5arrayIPcLm2EEEEviT0_T1_.num_vgpr, 21
	.set _ZN2at6native29vectorized_elementwise_kernelILi16ENS0_13AUnaryFunctorIjjbNS0_12_GLOBAL__N_116CompareEqFunctorIjEEEESt5arrayIPcLm2EEEEviT0_T1_.num_agpr, 0
	.set _ZN2at6native29vectorized_elementwise_kernelILi16ENS0_13AUnaryFunctorIjjbNS0_12_GLOBAL__N_116CompareEqFunctorIjEEEESt5arrayIPcLm2EEEEviT0_T1_.numbered_sgpr, 26
	.set _ZN2at6native29vectorized_elementwise_kernelILi16ENS0_13AUnaryFunctorIjjbNS0_12_GLOBAL__N_116CompareEqFunctorIjEEEESt5arrayIPcLm2EEEEviT0_T1_.num_named_barrier, 0
	.set _ZN2at6native29vectorized_elementwise_kernelILi16ENS0_13AUnaryFunctorIjjbNS0_12_GLOBAL__N_116CompareEqFunctorIjEEEESt5arrayIPcLm2EEEEviT0_T1_.private_seg_size, 0
	.set _ZN2at6native29vectorized_elementwise_kernelILi16ENS0_13AUnaryFunctorIjjbNS0_12_GLOBAL__N_116CompareEqFunctorIjEEEESt5arrayIPcLm2EEEEviT0_T1_.uses_vcc, 1
	.set _ZN2at6native29vectorized_elementwise_kernelILi16ENS0_13AUnaryFunctorIjjbNS0_12_GLOBAL__N_116CompareEqFunctorIjEEEESt5arrayIPcLm2EEEEviT0_T1_.uses_flat_scratch, 0
	.set _ZN2at6native29vectorized_elementwise_kernelILi16ENS0_13AUnaryFunctorIjjbNS0_12_GLOBAL__N_116CompareEqFunctorIjEEEESt5arrayIPcLm2EEEEviT0_T1_.has_dyn_sized_stack, 0
	.set _ZN2at6native29vectorized_elementwise_kernelILi16ENS0_13AUnaryFunctorIjjbNS0_12_GLOBAL__N_116CompareEqFunctorIjEEEESt5arrayIPcLm2EEEEviT0_T1_.has_recursion, 0
	.set _ZN2at6native29vectorized_elementwise_kernelILi16ENS0_13AUnaryFunctorIjjbNS0_12_GLOBAL__N_116CompareEqFunctorIjEEEESt5arrayIPcLm2EEEEviT0_T1_.has_indirect_call, 0
	.section	.AMDGPU.csdata,"",@progbits
; Kernel info:
; codeLenInByte = 3580
; TotalNumSgprs: 28
; NumVgprs: 21
; ScratchSize: 0
; MemoryBound: 0
; FloatMode: 240
; IeeeMode: 1
; LDSByteSize: 0 bytes/workgroup (compile time only)
; SGPRBlocks: 0
; VGPRBlocks: 1
; NumSGPRsForWavesPerEU: 28
; NumVGPRsForWavesPerEU: 21
; NamedBarCnt: 0
; Occupancy: 16
; WaveLimiterHint : 0
; COMPUTE_PGM_RSRC2:SCRATCH_EN: 0
; COMPUTE_PGM_RSRC2:USER_SGPR: 2
; COMPUTE_PGM_RSRC2:TRAP_HANDLER: 0
; COMPUTE_PGM_RSRC2:TGID_X_EN: 1
; COMPUTE_PGM_RSRC2:TGID_Y_EN: 0
; COMPUTE_PGM_RSRC2:TGID_Z_EN: 0
; COMPUTE_PGM_RSRC2:TIDIG_COMP_CNT: 0
	.section	.text._ZN2at6native29vectorized_elementwise_kernelILi8ENS0_13AUnaryFunctorIjjbNS0_12_GLOBAL__N_116CompareEqFunctorIjEEEESt5arrayIPcLm2EEEEviT0_T1_,"axG",@progbits,_ZN2at6native29vectorized_elementwise_kernelILi8ENS0_13AUnaryFunctorIjjbNS0_12_GLOBAL__N_116CompareEqFunctorIjEEEESt5arrayIPcLm2EEEEviT0_T1_,comdat
	.globl	_ZN2at6native29vectorized_elementwise_kernelILi8ENS0_13AUnaryFunctorIjjbNS0_12_GLOBAL__N_116CompareEqFunctorIjEEEESt5arrayIPcLm2EEEEviT0_T1_ ; -- Begin function _ZN2at6native29vectorized_elementwise_kernelILi8ENS0_13AUnaryFunctorIjjbNS0_12_GLOBAL__N_116CompareEqFunctorIjEEEESt5arrayIPcLm2EEEEviT0_T1_
	.p2align	8
	.type	_ZN2at6native29vectorized_elementwise_kernelILi8ENS0_13AUnaryFunctorIjjbNS0_12_GLOBAL__N_116CompareEqFunctorIjEEEESt5arrayIPcLm2EEEEviT0_T1_,@function
_ZN2at6native29vectorized_elementwise_kernelILi8ENS0_13AUnaryFunctorIjjbNS0_12_GLOBAL__N_116CompareEqFunctorIjEEEESt5arrayIPcLm2EEEEviT0_T1_: ; @_ZN2at6native29vectorized_elementwise_kernelILi8ENS0_13AUnaryFunctorIjjbNS0_12_GLOBAL__N_116CompareEqFunctorIjEEEESt5arrayIPcLm2EEEEviT0_T1_
; %bb.0:
	s_clause 0x1
	s_load_b96 s[20:22], s[0:1], 0x0
	s_load_b128 s[16:19], s[0:1], 0x10
	s_wait_xcnt 0x0
	s_bfe_u32 s0, ttmp6, 0x4000c
	s_and_b32 s1, ttmp6, 15
	s_add_co_i32 s0, s0, 1
	s_getreg_b32 s2, hwreg(HW_REG_IB_STS2, 6, 4)
	s_mul_i32 s0, ttmp9, s0
	s_delay_alu instid0(SALU_CYCLE_1) | instskip(SKIP_2) | instid1(SALU_CYCLE_1)
	s_add_co_i32 s1, s1, s0
	s_cmp_eq_u32 s2, 0
	s_cselect_b32 s0, ttmp9, s1
	s_lshl_b32 s24, s0, 12
	s_mov_b32 s0, -1
	s_wait_kmcnt 0x0
	s_sub_co_i32 s15, s20, s24
	s_delay_alu instid0(SALU_CYCLE_1)
	s_cmp_gt_i32 s15, 0xfff
	s_cbranch_scc0 .LBB350_2
; %bb.1:
	s_ashr_i32 s25, s24, 31
	v_lshlrev_b32_e32 v1, 5, v0
	s_lshl_b64 s[0:1], s[24:25], 2
	s_cmp_eq_u32 s21, 0
	s_add_nc_u64 s[0:1], s[18:19], s[0:1]
	s_cselect_b32 s20, -1, 0
	s_clause 0x3
	global_load_b128 v[2:5], v1, s[0:1]
	global_load_b128 v[6:9], v1, s[0:1] offset:16
	global_load_b128 v[10:13], v1, s[0:1] offset:8192
	;; [unrolled: 1-line block ×3, first 2 shown]
	s_wait_xcnt 0x0
	v_or3_b32 v1, 0, 0, 0
	s_wait_loadcnt 0x3
	v_cmp_ne_u32_e64 s0, s22, v3
	v_cmp_ne_u32_e64 s1, s22, v4
	;; [unrolled: 1-line block ×3, first 2 shown]
	s_wait_loadcnt 0x2
	v_cmp_ne_u32_e64 s3, s22, v6
	v_cmp_ne_u32_e64 s4, s22, v7
	s_xor_b32 s0, s20, s0
	v_cmp_ne_u32_e64 s5, s22, v8
	v_cndmask_b32_e64 v3, 0, 0x100, s0
	s_xor_b32 s0, s20, s1
	v_cmp_ne_u32_e64 s6, s22, v9
	v_cndmask_b32_e64 v4, 0, 0x10000, s0
	s_xor_b32 s0, s20, s2
	s_wait_loadcnt 0x1
	v_cmp_ne_u32_e64 s7, s22, v10
	v_cndmask_b32_e64 v5, 0, 0x1000000, s0
	s_xor_b32 s0, s20, s3
	v_cmp_ne_u32_e32 vcc_lo, s22, v2
	v_cndmask_b32_e64 v6, 0, 1, s0
	s_xor_b32 s0, s20, s4
	v_cmp_ne_u32_e64 s8, s22, v11
	v_cndmask_b32_e64 v7, 0, 0x100, s0
	s_xor_b32 s0, s20, s5
	v_cmp_ne_u32_e64 s9, s22, v12
	v_cndmask_b32_e64 v8, 0, 0x10000, s0
	s_xor_b32 s0, s20, s6
	s_xor_b32 s23, s20, vcc_lo
	v_cndmask_b32_e64 v9, 0, 0x1000000, s0
	s_xor_b32 s0, s20, s7
	v_cmp_ne_u32_e64 s10, s22, v13
	v_cndmask_b32_e64 v10, 0, 1, s0
	s_xor_b32 s0, s20, s8
	v_cndmask_b32_e64 v2, 0, 1, s23
	v_cndmask_b32_e64 v11, 0, 0x100, s0
	s_wait_loadcnt 0x0
	v_cmp_ne_u32_e64 s11, s22, v14
	s_xor_b32 s0, s20, s9
	v_cmp_ne_u32_e64 s12, s22, v15
	v_cndmask_b32_e64 v12, 0, 0x10000, s0
	s_xor_b32 s0, s20, s10
	v_or_b32_e32 v2, v3, v2
	v_cndmask_b32_e64 v13, 0, 0x1000000, s0
	v_or_b32_e32 v3, v11, v10
	v_cmp_ne_u32_e64 s13, s22, v16
	s_xor_b32 s0, s20, s11
	v_cmp_ne_u32_e64 s14, s22, v17
	v_cndmask_b32_e64 v14, 0, 1, s0
	s_xor_b32 s0, s20, s12
	v_or3_b32 v2, v2, v4, v5
	v_cndmask_b32_e64 v10, 0, 0x100, s0
	v_or3_b32 v3, v3, v12, v13
	s_xor_b32 s0, s20, s13
	v_or3_b32 v5, v1, v6, v7
	v_cndmask_b32_e64 v11, 0, 0x10000, s0
	s_xor_b32 s0, s20, s14
	v_or3_b32 v2, v2, 0, 0
	v_cndmask_b32_e64 v4, 0, 0x1000000, s0
	v_or3_b32 v1, v1, v14, v10
	v_or3_b32 v6, v3, 0, 0
	;; [unrolled: 1-line block ×4, first 2 shown]
	s_add_nc_u64 s[2:3], s[16:17], s[24:25]
	v_or3_b32 v5, v1, v11, v4
	v_or3_b32 v4, v6, 0, 0
	s_mov_b32 s0, 0
	s_clause 0x1
	global_store_b64 v0, v[2:3], s[2:3] scale_offset
	global_store_b64 v0, v[4:5], s[2:3] offset:2048 scale_offset
.LBB350_2:
	s_and_not1_b32 vcc_lo, exec_lo, s0
	s_cbranch_vccnz .LBB350_52
; %bb.3:
	v_cmp_gt_i32_e32 vcc_lo, s15, v0
	v_or_b32_e32 v17, 0x100, v0
	v_dual_mov_b32 v1, 0 :: v_dual_bitop2_b32 v18, s24, v0 bitop3:0x54
	v_dual_mov_b32 v7, 0 :: v_dual_mov_b32 v6, 0
	v_dual_mov_b32 v8, 0 :: v_dual_mov_b32 v9, 0
	;; [unrolled: 1-line block ×5, first 2 shown]
	s_wait_xcnt 0x0
	v_dual_mov_b32 v16, 0 :: v_dual_mov_b32 v4, 0
	v_dual_mov_b32 v3, 0 :: v_dual_mov_b32 v19, 0
	v_mov_b32_e32 v20, 0
	s_and_saveexec_b32 s1, vcc_lo
	s_cbranch_execz .LBB350_35
; %bb.4:
	global_load_b32 v20, v18, s[18:19] scale_offset
	v_dual_mov_b32 v19, 0 :: v_dual_mov_b32 v3, 0
	v_dual_mov_b32 v4, 0 :: v_dual_mov_b32 v16, 0
	;; [unrolled: 1-line block ×7, first 2 shown]
	v_mov_b32_e32 v1, 0
	s_mov_b32 s2, exec_lo
	s_wait_xcnt 0x0
	v_cmpx_gt_u32_e64 s15, v17
	s_cbranch_execz .LBB350_34
; %bb.5:
	v_dual_mov_b32 v3, 0 :: v_dual_add_nc_u32 v2, s24, v0
	v_or_b32_e32 v1, 0x200, v0
	v_dual_mov_b32 v4, 0 :: v_dual_mov_b32 v16, 0
	global_load_b32 v19, v2, s[18:19] offset:1024 scale_offset
	v_dual_mov_b32 v15, 0 :: v_dual_mov_b32 v14, 0
	v_cmp_gt_u32_e64 s0, s15, v1
	v_dual_mov_b32 v13, 0 :: v_dual_mov_b32 v12, 0
	v_dual_mov_b32 v11, 0 :: v_dual_mov_b32 v10, 0
	;; [unrolled: 1-line block ×4, first 2 shown]
	v_mov_b32_e32 v1, 0
	s_wait_xcnt 0x0
	s_and_saveexec_b32 s3, s0
	s_cbranch_execz .LBB350_33
; %bb.6:
	v_lshl_add_u64 v[4:5], v[2:3], 2, s[18:19]
	v_or_b32_e32 v1, 0x300, v0
	v_dual_mov_b32 v16, 0 :: v_dual_mov_b32 v15, 0
	v_dual_mov_b32 v14, 0 :: v_dual_mov_b32 v13, 0
	global_load_b32 v2, v[4:5], off offset:2048
	v_cmp_gt_u32_e64 s0, s15, v1
	v_dual_mov_b32 v12, 0 :: v_dual_mov_b32 v11, 0
	v_dual_mov_b32 v10, 0 :: v_dual_mov_b32 v9, 0
	v_dual_mov_b32 v8, 0 :: v_dual_mov_b32 v6, 0
	v_dual_mov_b32 v7, 0 :: v_dual_mov_b32 v1, 0
	s_wait_xcnt 0x0
	s_and_saveexec_b32 s4, s0
	s_cbranch_execz .LBB350_32
; %bb.7:
	global_load_b32 v3, v[4:5], off offset:3072
	v_or_b32_e32 v1, 0x400, v0
	v_dual_mov_b32 v16, 0 :: v_dual_mov_b32 v15, 0
	v_dual_mov_b32 v14, 0 :: v_dual_mov_b32 v13, 0
	s_delay_alu instid0(VALU_DEP_3)
	v_cmp_gt_u32_e64 s0, s15, v1
	v_dual_mov_b32 v12, 0 :: v_dual_mov_b32 v11, 0
	v_dual_mov_b32 v10, 0 :: v_dual_mov_b32 v9, 0
	;; [unrolled: 1-line block ×4, first 2 shown]
	s_wait_xcnt 0x0
	s_and_saveexec_b32 s5, s0
	s_cbranch_execz .LBB350_31
; %bb.8:
	global_load_b32 v16, v[4:5], off offset:4096
	v_or_b32_e32 v1, 0x500, v0
	v_dual_mov_b32 v15, 0 :: v_dual_mov_b32 v14, 0
	v_dual_mov_b32 v13, 0 :: v_dual_mov_b32 v12, 0
	s_delay_alu instid0(VALU_DEP_3)
	v_cmp_gt_u32_e64 s0, s15, v1
	v_dual_mov_b32 v11, 0 :: v_dual_mov_b32 v10, 0
	v_dual_mov_b32 v9, 0 :: v_dual_mov_b32 v8, 0
	;; [unrolled: 1-line block ×3, first 2 shown]
	v_mov_b32_e32 v1, 0
	s_wait_xcnt 0x0
	s_and_saveexec_b32 s6, s0
	s_cbranch_execz .LBB350_30
; %bb.9:
	global_load_b32 v15, v[4:5], off offset:5120
	v_or_b32_e32 v1, 0x600, v0
	v_dual_mov_b32 v14, 0 :: v_dual_mov_b32 v13, 0
	v_dual_mov_b32 v12, 0 :: v_dual_mov_b32 v11, 0
	s_delay_alu instid0(VALU_DEP_3)
	v_cmp_gt_u32_e64 s0, s15, v1
	v_dual_mov_b32 v10, 0 :: v_dual_mov_b32 v9, 0
	v_dual_mov_b32 v8, 0 :: v_dual_mov_b32 v6, 0
	;; [unrolled: 1-line block ×3, first 2 shown]
	s_wait_xcnt 0x0
	s_and_saveexec_b32 s7, s0
	s_cbranch_execz .LBB350_29
; %bb.10:
	global_load_b32 v14, v[4:5], off offset:6144
	v_or_b32_e32 v1, 0x700, v0
	v_dual_mov_b32 v13, 0 :: v_dual_mov_b32 v12, 0
	v_dual_mov_b32 v11, 0 :: v_dual_mov_b32 v10, 0
	s_delay_alu instid0(VALU_DEP_3)
	v_cmp_gt_u32_e64 s0, s15, v1
	v_dual_mov_b32 v9, 0 :: v_dual_mov_b32 v8, 0
	v_dual_mov_b32 v6, 0 :: v_dual_mov_b32 v7, 0
	v_mov_b32_e32 v1, 0
	s_wait_xcnt 0x0
	s_and_saveexec_b32 s8, s0
	s_cbranch_execz .LBB350_28
; %bb.11:
	global_load_b32 v13, v[4:5], off offset:7168
	v_or_b32_e32 v1, 0x800, v0
	v_dual_mov_b32 v12, 0 :: v_dual_mov_b32 v11, 0
	v_dual_mov_b32 v10, 0 :: v_dual_mov_b32 v9, 0
	s_delay_alu instid0(VALU_DEP_3)
	v_cmp_gt_u32_e64 s0, s15, v1
	v_dual_mov_b32 v8, 0 :: v_dual_mov_b32 v6, 0
	v_dual_mov_b32 v7, 0 :: v_dual_mov_b32 v1, 0
	s_wait_xcnt 0x0
	s_and_saveexec_b32 s9, s0
	s_cbranch_execz .LBB350_27
; %bb.12:
	global_load_b32 v12, v[4:5], off offset:8192
	v_or_b32_e32 v1, 0x900, v0
	v_dual_mov_b32 v11, 0 :: v_dual_mov_b32 v10, 0
	v_dual_mov_b32 v9, 0 :: v_dual_mov_b32 v8, 0
	s_delay_alu instid0(VALU_DEP_3)
	v_cmp_gt_u32_e64 s0, s15, v1
	v_dual_mov_b32 v6, 0 :: v_dual_mov_b32 v7, 0
	v_mov_b32_e32 v1, 0
	s_wait_xcnt 0x0
	s_and_saveexec_b32 s10, s0
	s_cbranch_execz .LBB350_26
; %bb.13:
	global_load_b32 v11, v[4:5], off offset:9216
	v_or_b32_e32 v1, 0xa00, v0
	v_dual_mov_b32 v10, 0 :: v_dual_mov_b32 v9, 0
	v_dual_mov_b32 v8, 0 :: v_dual_mov_b32 v6, 0
	s_delay_alu instid0(VALU_DEP_3)
	v_cmp_gt_u32_e64 s0, s15, v1
	v_dual_mov_b32 v7, 0 :: v_dual_mov_b32 v1, 0
	s_wait_xcnt 0x0
	s_and_saveexec_b32 s11, s0
	s_cbranch_execz .LBB350_25
; %bb.14:
	global_load_b32 v10, v[4:5], off offset:10240
	v_or_b32_e32 v1, 0xb00, v0
	v_dual_mov_b32 v9, 0 :: v_dual_mov_b32 v8, 0
	v_dual_mov_b32 v6, 0 :: v_dual_mov_b32 v7, 0
	s_delay_alu instid0(VALU_DEP_3)
	v_cmp_gt_u32_e64 s0, s15, v1
	v_mov_b32_e32 v1, 0
	s_wait_xcnt 0x0
	s_and_saveexec_b32 s12, s0
	s_cbranch_execz .LBB350_24
; %bb.15:
	global_load_b32 v9, v[4:5], off offset:11264
	v_or_b32_e32 v1, 0xc00, v0
	v_dual_mov_b32 v8, 0 :: v_dual_mov_b32 v6, 0
	v_mov_b32_e32 v7, 0
	s_delay_alu instid0(VALU_DEP_3)
	v_cmp_gt_u32_e64 s0, s15, v1
	v_mov_b32_e32 v1, 0
	s_wait_xcnt 0x0
	s_and_saveexec_b32 s13, s0
	s_cbranch_execz .LBB350_23
; %bb.16:
	global_load_b32 v8, v[4:5], off offset:12288
	v_or_b32_e32 v1, 0xd00, v0
	v_dual_mov_b32 v6, 0 :: v_dual_mov_b32 v7, 0
	s_delay_alu instid0(VALU_DEP_2)
	v_cmp_gt_u32_e64 s0, s15, v1
	v_mov_b32_e32 v1, 0
	s_wait_xcnt 0x0
	s_and_saveexec_b32 s14, s0
	s_cbranch_execz .LBB350_22
; %bb.17:
	global_load_b32 v6, v[4:5], off offset:13312
	v_or_b32_e32 v1, 0xe00, v0
	v_mov_b32_e32 v7, 0
	s_delay_alu instid0(VALU_DEP_2)
	v_cmp_gt_u32_e64 s0, s15, v1
	v_mov_b32_e32 v1, 0
	s_wait_xcnt 0x0
	s_and_saveexec_b32 s18, s0
	s_cbranch_execz .LBB350_21
; %bb.18:
	global_load_b32 v7, v[4:5], off offset:14336
	v_or_b32_e32 v1, 0xf00, v0
	s_delay_alu instid0(VALU_DEP_1)
	v_cmp_gt_u32_e64 s0, s15, v1
	v_mov_b32_e32 v1, 0
	s_wait_xcnt 0x0
	s_and_saveexec_b32 s19, s0
	s_cbranch_execz .LBB350_20
; %bb.19:
	global_load_b32 v1, v[4:5], off offset:15360
.LBB350_20:
	s_wait_xcnt 0x0
	s_or_b32 exec_lo, exec_lo, s19
.LBB350_21:
	s_delay_alu instid0(SALU_CYCLE_1)
	s_or_b32 exec_lo, exec_lo, s18
.LBB350_22:
	s_delay_alu instid0(SALU_CYCLE_1)
	s_or_b32 exec_lo, exec_lo, s14
.LBB350_23:
	s_delay_alu instid0(SALU_CYCLE_1)
	s_or_b32 exec_lo, exec_lo, s13
.LBB350_24:
	s_delay_alu instid0(SALU_CYCLE_1)
	s_or_b32 exec_lo, exec_lo, s12
.LBB350_25:
	s_delay_alu instid0(SALU_CYCLE_1)
	s_or_b32 exec_lo, exec_lo, s11
.LBB350_26:
	s_delay_alu instid0(SALU_CYCLE_1)
	s_or_b32 exec_lo, exec_lo, s10
.LBB350_27:
	s_delay_alu instid0(SALU_CYCLE_1)
	s_or_b32 exec_lo, exec_lo, s9
.LBB350_28:
	s_delay_alu instid0(SALU_CYCLE_1)
	s_or_b32 exec_lo, exec_lo, s8
.LBB350_29:
	s_delay_alu instid0(SALU_CYCLE_1)
	s_or_b32 exec_lo, exec_lo, s7
.LBB350_30:
	s_delay_alu instid0(SALU_CYCLE_1)
	s_or_b32 exec_lo, exec_lo, s6
.LBB350_31:
	s_delay_alu instid0(SALU_CYCLE_1)
	s_or_b32 exec_lo, exec_lo, s5
.LBB350_32:
	s_delay_alu instid0(SALU_CYCLE_1)
	s_or_b32 exec_lo, exec_lo, s4
	s_wait_loadcnt 0x0
	v_dual_mov_b32 v4, v3 :: v_dual_mov_b32 v3, v2
.LBB350_33:
	s_or_b32 exec_lo, exec_lo, s3
.LBB350_34:
	s_delay_alu instid0(SALU_CYCLE_1)
	s_or_b32 exec_lo, exec_lo, s2
.LBB350_35:
	s_delay_alu instid0(SALU_CYCLE_1)
	s_or_b32 exec_lo, exec_lo, s1
	s_cmp_eq_u32 s21, 0
	s_cselect_b32 s0, -1, 0
	s_and_saveexec_b32 s1, vcc_lo
	s_cbranch_execnz .LBB350_53
; %bb.36:
	s_or_b32 exec_lo, exec_lo, s1
	s_delay_alu instid0(SALU_CYCLE_1)
	s_mov_b32 s1, exec_lo
	v_cmpx_gt_i32_e64 s15, v0
	s_cbranch_execnz .LBB350_54
.LBB350_37:
	s_or_b32 exec_lo, exec_lo, s1
	s_delay_alu instid0(SALU_CYCLE_1)
	s_mov_b32 s1, exec_lo
	v_cmpx_gt_i32_e64 s15, v0
	s_cbranch_execnz .LBB350_55
.LBB350_38:
	s_or_b32 exec_lo, exec_lo, s1
	s_delay_alu instid0(SALU_CYCLE_1)
	s_mov_b32 s1, exec_lo
	v_cmpx_gt_i32_e64 s15, v0
	s_cbranch_execnz .LBB350_56
.LBB350_39:
	s_or_b32 exec_lo, exec_lo, s1
	s_delay_alu instid0(SALU_CYCLE_1)
	s_mov_b32 s1, exec_lo
	v_cmpx_gt_i32_e64 s15, v0
	s_cbranch_execnz .LBB350_57
.LBB350_40:
	s_or_b32 exec_lo, exec_lo, s1
	s_delay_alu instid0(SALU_CYCLE_1)
	s_mov_b32 s1, exec_lo
	v_cmpx_gt_i32_e64 s15, v0
	s_cbranch_execnz .LBB350_58
.LBB350_41:
	s_or_b32 exec_lo, exec_lo, s1
	s_delay_alu instid0(SALU_CYCLE_1)
	s_mov_b32 s1, exec_lo
	v_cmpx_gt_i32_e64 s15, v0
	s_cbranch_execnz .LBB350_59
.LBB350_42:
	s_or_b32 exec_lo, exec_lo, s1
	s_delay_alu instid0(SALU_CYCLE_1)
	s_mov_b32 s1, exec_lo
	v_cmpx_gt_i32_e64 s15, v0
	s_cbranch_execnz .LBB350_60
.LBB350_43:
	s_or_b32 exec_lo, exec_lo, s1
	s_delay_alu instid0(SALU_CYCLE_1)
	s_mov_b32 s1, exec_lo
	v_cmpx_gt_i32_e64 s15, v0
	s_cbranch_execnz .LBB350_61
.LBB350_44:
	s_or_b32 exec_lo, exec_lo, s1
	s_delay_alu instid0(SALU_CYCLE_1)
	s_mov_b32 s1, exec_lo
	v_cmpx_gt_i32_e64 s15, v0
	s_cbranch_execnz .LBB350_62
.LBB350_45:
	s_or_b32 exec_lo, exec_lo, s1
	s_delay_alu instid0(SALU_CYCLE_1)
	s_mov_b32 s1, exec_lo
	v_cmpx_gt_i32_e64 s15, v0
	s_cbranch_execnz .LBB350_63
.LBB350_46:
	s_or_b32 exec_lo, exec_lo, s1
	s_delay_alu instid0(SALU_CYCLE_1)
	s_mov_b32 s1, exec_lo
	v_cmpx_gt_i32_e64 s15, v0
	s_cbranch_execnz .LBB350_64
.LBB350_47:
	s_or_b32 exec_lo, exec_lo, s1
	s_delay_alu instid0(SALU_CYCLE_1)
	s_mov_b32 s1, exec_lo
	v_cmpx_gt_i32_e64 s15, v0
	s_cbranch_execnz .LBB350_65
.LBB350_48:
	s_or_b32 exec_lo, exec_lo, s1
	s_delay_alu instid0(SALU_CYCLE_1)
	s_mov_b32 s1, exec_lo
	v_cmpx_gt_i32_e64 s15, v0
	s_cbranch_execnz .LBB350_66
.LBB350_49:
	s_or_b32 exec_lo, exec_lo, s1
	s_delay_alu instid0(SALU_CYCLE_1)
	s_mov_b32 s1, exec_lo
	v_cmpx_gt_i32_e64 s15, v0
	s_cbranch_execnz .LBB350_67
.LBB350_50:
	s_or_b32 exec_lo, exec_lo, s1
	s_delay_alu instid0(SALU_CYCLE_1)
	s_mov_b32 s1, exec_lo
	v_cmpx_gt_i32_e64 s15, v0
	s_cbranch_execz .LBB350_52
.LBB350_51:
	v_cmp_ne_u32_e32 vcc_lo, s22, v1
	v_add_nc_u32_e32 v0, s24, v0
	s_xor_b32 s0, s0, vcc_lo
	s_delay_alu instid0(SALU_CYCLE_1)
	v_cndmask_b32_e64 v1, 0, 1, s0
	global_store_b8 v0, v1, s[16:17]
.LBB350_52:
	s_endpgm
.LBB350_53:
	s_wait_loadcnt 0x0
	v_cmp_ne_u32_e32 vcc_lo, s22, v20
	v_mov_b32_e32 v0, v17
	s_xor_b32 s2, s0, vcc_lo
	s_delay_alu instid0(SALU_CYCLE_1) | instskip(SKIP_3) | instid1(SALU_CYCLE_1)
	v_cndmask_b32_e64 v2, 0, 1, s2
	global_store_b8 v18, v2, s[16:17]
	s_wait_xcnt 0x0
	s_or_b32 exec_lo, exec_lo, s1
	s_mov_b32 s1, exec_lo
	v_cmpx_gt_i32_e64 s15, v0
	s_cbranch_execz .LBB350_37
.LBB350_54:
	s_wait_loadcnt 0x0
	v_cmp_ne_u32_e32 vcc_lo, s22, v19
	v_add_nc_u32_e32 v5, s24, v0
	v_add_nc_u32_e32 v0, 0x100, v0
	s_xor_b32 s2, s0, vcc_lo
	s_delay_alu instid0(SALU_CYCLE_1) | instskip(SKIP_3) | instid1(SALU_CYCLE_1)
	v_cndmask_b32_e64 v2, 0, 1, s2
	global_store_b8 v5, v2, s[16:17]
	s_wait_xcnt 0x0
	s_or_b32 exec_lo, exec_lo, s1
	s_mov_b32 s1, exec_lo
	v_cmpx_gt_i32_e64 s15, v0
	s_cbranch_execz .LBB350_38
.LBB350_55:
	v_cmp_ne_u32_e32 vcc_lo, s22, v3
	v_add_nc_u32_e32 v3, s24, v0
	v_add_nc_u32_e32 v0, 0x100, v0
	s_xor_b32 s2, s0, vcc_lo
	s_delay_alu instid0(SALU_CYCLE_1) | instskip(SKIP_3) | instid1(SALU_CYCLE_1)
	v_cndmask_b32_e64 v2, 0, 1, s2
	global_store_b8 v3, v2, s[16:17]
	s_wait_xcnt 0x0
	s_or_b32 exec_lo, exec_lo, s1
	s_mov_b32 s1, exec_lo
	v_cmpx_gt_i32_e64 s15, v0
	s_cbranch_execz .LBB350_39
.LBB350_56:
	v_cmp_ne_u32_e32 vcc_lo, s22, v4
	v_add_nc_u32_e32 v3, s24, v0
	v_add_nc_u32_e32 v0, 0x100, v0
	s_xor_b32 s2, s0, vcc_lo
	s_delay_alu instid0(SALU_CYCLE_1) | instskip(SKIP_3) | instid1(SALU_CYCLE_1)
	v_cndmask_b32_e64 v2, 0, 1, s2
	global_store_b8 v3, v2, s[16:17]
	s_wait_xcnt 0x0
	s_or_b32 exec_lo, exec_lo, s1
	s_mov_b32 s1, exec_lo
	v_cmpx_gt_i32_e64 s15, v0
	s_cbranch_execz .LBB350_40
.LBB350_57:
	v_cmp_ne_u32_e32 vcc_lo, s22, v16
	v_add_nc_u32_e32 v3, s24, v0
	v_add_nc_u32_e32 v0, 0x100, v0
	s_xor_b32 s2, s0, vcc_lo
	s_delay_alu instid0(SALU_CYCLE_1) | instskip(SKIP_3) | instid1(SALU_CYCLE_1)
	v_cndmask_b32_e64 v2, 0, 1, s2
	global_store_b8 v3, v2, s[16:17]
	s_wait_xcnt 0x0
	s_or_b32 exec_lo, exec_lo, s1
	s_mov_b32 s1, exec_lo
	v_cmpx_gt_i32_e64 s15, v0
	s_cbranch_execz .LBB350_41
.LBB350_58:
	v_cmp_ne_u32_e32 vcc_lo, s22, v15
	v_add_nc_u32_e32 v3, s24, v0
	v_add_nc_u32_e32 v0, 0x100, v0
	s_xor_b32 s2, s0, vcc_lo
	s_delay_alu instid0(SALU_CYCLE_1) | instskip(SKIP_3) | instid1(SALU_CYCLE_1)
	v_cndmask_b32_e64 v2, 0, 1, s2
	global_store_b8 v3, v2, s[16:17]
	s_wait_xcnt 0x0
	s_or_b32 exec_lo, exec_lo, s1
	s_mov_b32 s1, exec_lo
	v_cmpx_gt_i32_e64 s15, v0
	s_cbranch_execz .LBB350_42
.LBB350_59:
	v_cmp_ne_u32_e32 vcc_lo, s22, v14
	v_add_nc_u32_e32 v3, s24, v0
	v_add_nc_u32_e32 v0, 0x100, v0
	s_xor_b32 s2, s0, vcc_lo
	s_delay_alu instid0(SALU_CYCLE_1) | instskip(SKIP_3) | instid1(SALU_CYCLE_1)
	v_cndmask_b32_e64 v2, 0, 1, s2
	global_store_b8 v3, v2, s[16:17]
	s_wait_xcnt 0x0
	s_or_b32 exec_lo, exec_lo, s1
	s_mov_b32 s1, exec_lo
	v_cmpx_gt_i32_e64 s15, v0
	s_cbranch_execz .LBB350_43
.LBB350_60:
	v_cmp_ne_u32_e32 vcc_lo, s22, v13
	v_add_nc_u32_e32 v3, s24, v0
	v_add_nc_u32_e32 v0, 0x100, v0
	s_xor_b32 s2, s0, vcc_lo
	s_delay_alu instid0(SALU_CYCLE_1) | instskip(SKIP_3) | instid1(SALU_CYCLE_1)
	v_cndmask_b32_e64 v2, 0, 1, s2
	global_store_b8 v3, v2, s[16:17]
	s_wait_xcnt 0x0
	s_or_b32 exec_lo, exec_lo, s1
	s_mov_b32 s1, exec_lo
	v_cmpx_gt_i32_e64 s15, v0
	s_cbranch_execz .LBB350_44
.LBB350_61:
	v_cmp_ne_u32_e32 vcc_lo, s22, v12
	v_add_nc_u32_e32 v3, s24, v0
	v_add_nc_u32_e32 v0, 0x100, v0
	s_xor_b32 s2, s0, vcc_lo
	s_delay_alu instid0(SALU_CYCLE_1) | instskip(SKIP_3) | instid1(SALU_CYCLE_1)
	v_cndmask_b32_e64 v2, 0, 1, s2
	global_store_b8 v3, v2, s[16:17]
	s_wait_xcnt 0x0
	s_or_b32 exec_lo, exec_lo, s1
	s_mov_b32 s1, exec_lo
	v_cmpx_gt_i32_e64 s15, v0
	s_cbranch_execz .LBB350_45
.LBB350_62:
	v_cmp_ne_u32_e32 vcc_lo, s22, v11
	v_add_nc_u32_e32 v3, s24, v0
	v_add_nc_u32_e32 v0, 0x100, v0
	s_xor_b32 s2, s0, vcc_lo
	s_delay_alu instid0(SALU_CYCLE_1) | instskip(SKIP_3) | instid1(SALU_CYCLE_1)
	v_cndmask_b32_e64 v2, 0, 1, s2
	global_store_b8 v3, v2, s[16:17]
	s_wait_xcnt 0x0
	s_or_b32 exec_lo, exec_lo, s1
	s_mov_b32 s1, exec_lo
	v_cmpx_gt_i32_e64 s15, v0
	s_cbranch_execz .LBB350_46
.LBB350_63:
	v_cmp_ne_u32_e32 vcc_lo, s22, v10
	v_add_nc_u32_e32 v3, s24, v0
	v_add_nc_u32_e32 v0, 0x100, v0
	s_xor_b32 s2, s0, vcc_lo
	s_delay_alu instid0(SALU_CYCLE_1) | instskip(SKIP_3) | instid1(SALU_CYCLE_1)
	v_cndmask_b32_e64 v2, 0, 1, s2
	global_store_b8 v3, v2, s[16:17]
	s_wait_xcnt 0x0
	s_or_b32 exec_lo, exec_lo, s1
	s_mov_b32 s1, exec_lo
	v_cmpx_gt_i32_e64 s15, v0
	s_cbranch_execz .LBB350_47
.LBB350_64:
	v_cmp_ne_u32_e32 vcc_lo, s22, v9
	v_add_nc_u32_e32 v3, s24, v0
	v_add_nc_u32_e32 v0, 0x100, v0
	s_xor_b32 s2, s0, vcc_lo
	s_delay_alu instid0(SALU_CYCLE_1) | instskip(SKIP_3) | instid1(SALU_CYCLE_1)
	v_cndmask_b32_e64 v2, 0, 1, s2
	global_store_b8 v3, v2, s[16:17]
	s_wait_xcnt 0x0
	s_or_b32 exec_lo, exec_lo, s1
	s_mov_b32 s1, exec_lo
	v_cmpx_gt_i32_e64 s15, v0
	s_cbranch_execz .LBB350_48
.LBB350_65:
	v_cmp_ne_u32_e32 vcc_lo, s22, v8
	v_add_nc_u32_e32 v3, s24, v0
	v_add_nc_u32_e32 v0, 0x100, v0
	s_xor_b32 s2, s0, vcc_lo
	s_delay_alu instid0(SALU_CYCLE_1) | instskip(SKIP_3) | instid1(SALU_CYCLE_1)
	v_cndmask_b32_e64 v2, 0, 1, s2
	global_store_b8 v3, v2, s[16:17]
	s_wait_xcnt 0x0
	s_or_b32 exec_lo, exec_lo, s1
	s_mov_b32 s1, exec_lo
	v_cmpx_gt_i32_e64 s15, v0
	s_cbranch_execz .LBB350_49
.LBB350_66:
	v_cmp_ne_u32_e32 vcc_lo, s22, v6
	v_add_nc_u32_e32 v3, s24, v0
	v_add_nc_u32_e32 v0, 0x100, v0
	s_xor_b32 s2, s0, vcc_lo
	s_delay_alu instid0(SALU_CYCLE_1) | instskip(SKIP_3) | instid1(SALU_CYCLE_1)
	v_cndmask_b32_e64 v2, 0, 1, s2
	global_store_b8 v3, v2, s[16:17]
	s_wait_xcnt 0x0
	s_or_b32 exec_lo, exec_lo, s1
	s_mov_b32 s1, exec_lo
	v_cmpx_gt_i32_e64 s15, v0
	s_cbranch_execz .LBB350_50
.LBB350_67:
	v_cmp_ne_u32_e32 vcc_lo, s22, v7
	v_add_nc_u32_e32 v3, s24, v0
	v_add_nc_u32_e32 v0, 0x100, v0
	s_xor_b32 s2, s0, vcc_lo
	s_delay_alu instid0(SALU_CYCLE_1) | instskip(SKIP_3) | instid1(SALU_CYCLE_1)
	v_cndmask_b32_e64 v2, 0, 1, s2
	global_store_b8 v3, v2, s[16:17]
	s_wait_xcnt 0x0
	s_or_b32 exec_lo, exec_lo, s1
	s_mov_b32 s1, exec_lo
	v_cmpx_gt_i32_e64 s15, v0
	s_cbranch_execnz .LBB350_51
	s_branch .LBB350_52
	.section	.rodata,"a",@progbits
	.p2align	6, 0x0
	.amdhsa_kernel _ZN2at6native29vectorized_elementwise_kernelILi8ENS0_13AUnaryFunctorIjjbNS0_12_GLOBAL__N_116CompareEqFunctorIjEEEESt5arrayIPcLm2EEEEviT0_T1_
		.amdhsa_group_segment_fixed_size 0
		.amdhsa_private_segment_fixed_size 0
		.amdhsa_kernarg_size 32
		.amdhsa_user_sgpr_count 2
		.amdhsa_user_sgpr_dispatch_ptr 0
		.amdhsa_user_sgpr_queue_ptr 0
		.amdhsa_user_sgpr_kernarg_segment_ptr 1
		.amdhsa_user_sgpr_dispatch_id 0
		.amdhsa_user_sgpr_kernarg_preload_length 0
		.amdhsa_user_sgpr_kernarg_preload_offset 0
		.amdhsa_user_sgpr_private_segment_size 0
		.amdhsa_wavefront_size32 1
		.amdhsa_uses_dynamic_stack 0
		.amdhsa_enable_private_segment 0
		.amdhsa_system_sgpr_workgroup_id_x 1
		.amdhsa_system_sgpr_workgroup_id_y 0
		.amdhsa_system_sgpr_workgroup_id_z 0
		.amdhsa_system_sgpr_workgroup_info 0
		.amdhsa_system_vgpr_workitem_id 0
		.amdhsa_next_free_vgpr 21
		.amdhsa_next_free_sgpr 26
		.amdhsa_named_barrier_count 0
		.amdhsa_reserve_vcc 1
		.amdhsa_float_round_mode_32 0
		.amdhsa_float_round_mode_16_64 0
		.amdhsa_float_denorm_mode_32 3
		.amdhsa_float_denorm_mode_16_64 3
		.amdhsa_fp16_overflow 0
		.amdhsa_memory_ordered 1
		.amdhsa_forward_progress 1
		.amdhsa_inst_pref_size 28
		.amdhsa_round_robin_scheduling 0
		.amdhsa_exception_fp_ieee_invalid_op 0
		.amdhsa_exception_fp_denorm_src 0
		.amdhsa_exception_fp_ieee_div_zero 0
		.amdhsa_exception_fp_ieee_overflow 0
		.amdhsa_exception_fp_ieee_underflow 0
		.amdhsa_exception_fp_ieee_inexact 0
		.amdhsa_exception_int_div_zero 0
	.end_amdhsa_kernel
	.section	.text._ZN2at6native29vectorized_elementwise_kernelILi8ENS0_13AUnaryFunctorIjjbNS0_12_GLOBAL__N_116CompareEqFunctorIjEEEESt5arrayIPcLm2EEEEviT0_T1_,"axG",@progbits,_ZN2at6native29vectorized_elementwise_kernelILi8ENS0_13AUnaryFunctorIjjbNS0_12_GLOBAL__N_116CompareEqFunctorIjEEEESt5arrayIPcLm2EEEEviT0_T1_,comdat
.Lfunc_end350:
	.size	_ZN2at6native29vectorized_elementwise_kernelILi8ENS0_13AUnaryFunctorIjjbNS0_12_GLOBAL__N_116CompareEqFunctorIjEEEESt5arrayIPcLm2EEEEviT0_T1_, .Lfunc_end350-_ZN2at6native29vectorized_elementwise_kernelILi8ENS0_13AUnaryFunctorIjjbNS0_12_GLOBAL__N_116CompareEqFunctorIjEEEESt5arrayIPcLm2EEEEviT0_T1_
                                        ; -- End function
	.set _ZN2at6native29vectorized_elementwise_kernelILi8ENS0_13AUnaryFunctorIjjbNS0_12_GLOBAL__N_116CompareEqFunctorIjEEEESt5arrayIPcLm2EEEEviT0_T1_.num_vgpr, 21
	.set _ZN2at6native29vectorized_elementwise_kernelILi8ENS0_13AUnaryFunctorIjjbNS0_12_GLOBAL__N_116CompareEqFunctorIjEEEESt5arrayIPcLm2EEEEviT0_T1_.num_agpr, 0
	.set _ZN2at6native29vectorized_elementwise_kernelILi8ENS0_13AUnaryFunctorIjjbNS0_12_GLOBAL__N_116CompareEqFunctorIjEEEESt5arrayIPcLm2EEEEviT0_T1_.numbered_sgpr, 26
	.set _ZN2at6native29vectorized_elementwise_kernelILi8ENS0_13AUnaryFunctorIjjbNS0_12_GLOBAL__N_116CompareEqFunctorIjEEEESt5arrayIPcLm2EEEEviT0_T1_.num_named_barrier, 0
	.set _ZN2at6native29vectorized_elementwise_kernelILi8ENS0_13AUnaryFunctorIjjbNS0_12_GLOBAL__N_116CompareEqFunctorIjEEEESt5arrayIPcLm2EEEEviT0_T1_.private_seg_size, 0
	.set _ZN2at6native29vectorized_elementwise_kernelILi8ENS0_13AUnaryFunctorIjjbNS0_12_GLOBAL__N_116CompareEqFunctorIjEEEESt5arrayIPcLm2EEEEviT0_T1_.uses_vcc, 1
	.set _ZN2at6native29vectorized_elementwise_kernelILi8ENS0_13AUnaryFunctorIjjbNS0_12_GLOBAL__N_116CompareEqFunctorIjEEEESt5arrayIPcLm2EEEEviT0_T1_.uses_flat_scratch, 0
	.set _ZN2at6native29vectorized_elementwise_kernelILi8ENS0_13AUnaryFunctorIjjbNS0_12_GLOBAL__N_116CompareEqFunctorIjEEEESt5arrayIPcLm2EEEEviT0_T1_.has_dyn_sized_stack, 0
	.set _ZN2at6native29vectorized_elementwise_kernelILi8ENS0_13AUnaryFunctorIjjbNS0_12_GLOBAL__N_116CompareEqFunctorIjEEEESt5arrayIPcLm2EEEEviT0_T1_.has_recursion, 0
	.set _ZN2at6native29vectorized_elementwise_kernelILi8ENS0_13AUnaryFunctorIjjbNS0_12_GLOBAL__N_116CompareEqFunctorIjEEEESt5arrayIPcLm2EEEEviT0_T1_.has_indirect_call, 0
	.section	.AMDGPU.csdata,"",@progbits
; Kernel info:
; codeLenInByte = 3572
; TotalNumSgprs: 28
; NumVgprs: 21
; ScratchSize: 0
; MemoryBound: 0
; FloatMode: 240
; IeeeMode: 1
; LDSByteSize: 0 bytes/workgroup (compile time only)
; SGPRBlocks: 0
; VGPRBlocks: 1
; NumSGPRsForWavesPerEU: 28
; NumVGPRsForWavesPerEU: 21
; NamedBarCnt: 0
; Occupancy: 16
; WaveLimiterHint : 1
; COMPUTE_PGM_RSRC2:SCRATCH_EN: 0
; COMPUTE_PGM_RSRC2:USER_SGPR: 2
; COMPUTE_PGM_RSRC2:TRAP_HANDLER: 0
; COMPUTE_PGM_RSRC2:TGID_X_EN: 1
; COMPUTE_PGM_RSRC2:TGID_Y_EN: 0
; COMPUTE_PGM_RSRC2:TGID_Z_EN: 0
; COMPUTE_PGM_RSRC2:TIDIG_COMP_CNT: 0
	.section	.text._ZN2at6native29vectorized_elementwise_kernelILi4ENS0_13AUnaryFunctorIjjbNS0_12_GLOBAL__N_116CompareEqFunctorIjEEEESt5arrayIPcLm2EEEEviT0_T1_,"axG",@progbits,_ZN2at6native29vectorized_elementwise_kernelILi4ENS0_13AUnaryFunctorIjjbNS0_12_GLOBAL__N_116CompareEqFunctorIjEEEESt5arrayIPcLm2EEEEviT0_T1_,comdat
	.globl	_ZN2at6native29vectorized_elementwise_kernelILi4ENS0_13AUnaryFunctorIjjbNS0_12_GLOBAL__N_116CompareEqFunctorIjEEEESt5arrayIPcLm2EEEEviT0_T1_ ; -- Begin function _ZN2at6native29vectorized_elementwise_kernelILi4ENS0_13AUnaryFunctorIjjbNS0_12_GLOBAL__N_116CompareEqFunctorIjEEEESt5arrayIPcLm2EEEEviT0_T1_
	.p2align	8
	.type	_ZN2at6native29vectorized_elementwise_kernelILi4ENS0_13AUnaryFunctorIjjbNS0_12_GLOBAL__N_116CompareEqFunctorIjEEEESt5arrayIPcLm2EEEEviT0_T1_,@function
_ZN2at6native29vectorized_elementwise_kernelILi4ENS0_13AUnaryFunctorIjjbNS0_12_GLOBAL__N_116CompareEqFunctorIjEEEESt5arrayIPcLm2EEEEviT0_T1_: ; @_ZN2at6native29vectorized_elementwise_kernelILi4ENS0_13AUnaryFunctorIjjbNS0_12_GLOBAL__N_116CompareEqFunctorIjEEEESt5arrayIPcLm2EEEEviT0_T1_
; %bb.0:
	s_clause 0x1
	s_load_b96 s[20:22], s[0:1], 0x0
	s_load_b128 s[16:19], s[0:1], 0x10
	s_wait_xcnt 0x0
	s_bfe_u32 s0, ttmp6, 0x4000c
	s_and_b32 s1, ttmp6, 15
	s_add_co_i32 s0, s0, 1
	s_getreg_b32 s2, hwreg(HW_REG_IB_STS2, 6, 4)
	s_mul_i32 s0, ttmp9, s0
	s_delay_alu instid0(SALU_CYCLE_1) | instskip(SKIP_2) | instid1(SALU_CYCLE_1)
	s_add_co_i32 s1, s1, s0
	s_cmp_eq_u32 s2, 0
	s_cselect_b32 s0, ttmp9, s1
	s_lshl_b32 s24, s0, 12
	s_mov_b32 s0, -1
	s_wait_kmcnt 0x0
	s_sub_co_i32 s15, s20, s24
	s_delay_alu instid0(SALU_CYCLE_1)
	s_cmp_gt_i32 s15, 0xfff
	s_cbranch_scc0 .LBB351_2
; %bb.1:
	s_ashr_i32 s25, s24, 31
	s_delay_alu instid0(SALU_CYCLE_1)
	s_lshl_b64 s[0:1], s[24:25], 2
	s_cmp_eq_u32 s21, 0
	s_add_nc_u64 s[0:1], s[18:19], s[0:1]
	s_cselect_b32 s20, -1, 0
	s_clause 0x3
	global_load_b128 v[2:5], v0, s[0:1] scale_offset
	global_load_b128 v[6:9], v0, s[0:1] offset:4096 scale_offset
	global_load_b128 v[10:13], v0, s[0:1] offset:8192 scale_offset
	;; [unrolled: 1-line block ×3, first 2 shown]
	s_wait_loadcnt 0x3
	s_wait_xcnt 0x0
	v_cmp_ne_u32_e64 s0, s22, v3
	v_cmp_ne_u32_e64 s1, s22, v4
	;; [unrolled: 1-line block ×3, first 2 shown]
	s_wait_loadcnt 0x2
	v_cmp_ne_u32_e64 s3, s22, v6
	v_cmp_ne_u32_e32 vcc_lo, s22, v2
	s_xor_b32 s0, s20, s0
	v_cmp_ne_u32_e64 s4, s22, v7
	v_cndmask_b32_e64 v2, 0, 0x100, s0
	s_xor_b32 s0, s20, s1
	v_cmp_ne_u32_e64 s5, s22, v8
	v_cndmask_b32_e64 v3, 0, 0x10000, s0
	;; [unrolled: 3-line block ×3, first 2 shown]
	s_xor_b32 s0, s20, s3
	s_wait_loadcnt 0x1
	v_cmp_ne_u32_e64 s7, s22, v10
	v_cndmask_b32_e64 v5, 0, 1, s0
	s_xor_b32 s0, s20, s4
	v_cmp_ne_u32_e64 s8, s22, v11
	v_cndmask_b32_e64 v6, 0, 0x100, s0
	s_xor_b32 s0, s20, s5
	;; [unrolled: 3-line block ×4, first 2 shown]
	s_wait_loadcnt 0x0
	v_cmp_ne_u32_e64 s11, s22, v14
	v_cndmask_b32_e64 v9, 0, 1, s0
	s_xor_b32 s0, s20, s8
	v_cmp_ne_u32_e64 s12, s22, v15
	v_cndmask_b32_e64 v10, 0, 0x100, s0
	s_xor_b32 s0, s20, s9
	s_xor_b32 s23, s20, vcc_lo
	v_cndmask_b32_e64 v11, 0, 0x10000, s0
	s_xor_b32 s0, s20, s10
	v_cmp_ne_u32_e64 s13, s22, v16
	v_cndmask_b32_e64 v12, 0, 0x1000000, s0
	s_xor_b32 s0, s20, s11
	v_cndmask_b32_e64 v1, 0, 1, s23
	v_cmp_ne_u32_e64 s14, s22, v17
	v_cndmask_b32_e64 v13, 0, 1, s0
	s_xor_b32 s0, s20, s12
	s_add_nc_u64 s[2:3], s[16:17], s[24:25]
	v_cndmask_b32_e64 v14, 0, 0x100, s0
	s_xor_b32 s0, s20, s13
	v_or_b32_e32 v1, v2, v1
	v_cndmask_b32_e64 v15, 0, 0x10000, s0
	s_xor_b32 s0, s20, s14
	v_or_b32_e32 v2, v6, v5
	v_or_b32_e32 v5, v10, v9
	v_cndmask_b32_e64 v16, 0, 0x1000000, s0
	v_or_b32_e32 v6, v14, v13
	v_or3_b32 v1, v1, v3, v4
	v_or3_b32 v2, v2, v7, v8
	;; [unrolled: 1-line block ×3, first 2 shown]
	s_mov_b32 s0, 0
	v_or3_b32 v4, v6, v15, v16
	s_clause 0x3
	global_store_b32 v0, v1, s[2:3] scale_offset
	global_store_b32 v0, v2, s[2:3] offset:1024 scale_offset
	global_store_b32 v0, v3, s[2:3] offset:2048 scale_offset
	;; [unrolled: 1-line block ×3, first 2 shown]
.LBB351_2:
	s_and_not1_b32 vcc_lo, exec_lo, s0
	s_cbranch_vccnz .LBB351_52
; %bb.3:
	v_cmp_gt_i32_e32 vcc_lo, s15, v0
	v_or_b32_e32 v17, 0x100, v0
	s_wait_xcnt 0x3
	v_dual_mov_b32 v1, 0 :: v_dual_bitop2_b32 v18, s24, v0 bitop3:0x54
	v_dual_mov_b32 v7, 0 :: v_dual_mov_b32 v6, 0
	v_dual_mov_b32 v8, 0 :: v_dual_mov_b32 v9, 0
	;; [unrolled: 1-line block ×5, first 2 shown]
	s_wait_xcnt 0x0
	v_dual_mov_b32 v16, 0 :: v_dual_mov_b32 v4, 0
	v_dual_mov_b32 v3, 0 :: v_dual_mov_b32 v19, 0
	v_mov_b32_e32 v20, 0
	s_and_saveexec_b32 s1, vcc_lo
	s_cbranch_execz .LBB351_35
; %bb.4:
	global_load_b32 v20, v18, s[18:19] scale_offset
	v_dual_mov_b32 v19, 0 :: v_dual_mov_b32 v3, 0
	v_dual_mov_b32 v4, 0 :: v_dual_mov_b32 v16, 0
	;; [unrolled: 1-line block ×7, first 2 shown]
	v_mov_b32_e32 v1, 0
	s_mov_b32 s2, exec_lo
	s_wait_xcnt 0x0
	v_cmpx_gt_u32_e64 s15, v17
	s_cbranch_execz .LBB351_34
; %bb.5:
	v_dual_mov_b32 v3, 0 :: v_dual_add_nc_u32 v2, s24, v0
	v_or_b32_e32 v1, 0x200, v0
	v_dual_mov_b32 v4, 0 :: v_dual_mov_b32 v16, 0
	global_load_b32 v19, v2, s[18:19] offset:1024 scale_offset
	v_dual_mov_b32 v15, 0 :: v_dual_mov_b32 v14, 0
	v_cmp_gt_u32_e64 s0, s15, v1
	v_dual_mov_b32 v13, 0 :: v_dual_mov_b32 v12, 0
	v_dual_mov_b32 v11, 0 :: v_dual_mov_b32 v10, 0
	;; [unrolled: 1-line block ×4, first 2 shown]
	v_mov_b32_e32 v1, 0
	s_wait_xcnt 0x0
	s_and_saveexec_b32 s3, s0
	s_cbranch_execz .LBB351_33
; %bb.6:
	v_lshl_add_u64 v[4:5], v[2:3], 2, s[18:19]
	v_or_b32_e32 v1, 0x300, v0
	v_dual_mov_b32 v16, 0 :: v_dual_mov_b32 v15, 0
	v_dual_mov_b32 v14, 0 :: v_dual_mov_b32 v13, 0
	global_load_b32 v2, v[4:5], off offset:2048
	v_cmp_gt_u32_e64 s0, s15, v1
	v_dual_mov_b32 v12, 0 :: v_dual_mov_b32 v11, 0
	v_dual_mov_b32 v10, 0 :: v_dual_mov_b32 v9, 0
	;; [unrolled: 1-line block ×4, first 2 shown]
	s_wait_xcnt 0x0
	s_and_saveexec_b32 s4, s0
	s_cbranch_execz .LBB351_32
; %bb.7:
	global_load_b32 v3, v[4:5], off offset:3072
	v_or_b32_e32 v1, 0x400, v0
	v_dual_mov_b32 v16, 0 :: v_dual_mov_b32 v15, 0
	v_dual_mov_b32 v14, 0 :: v_dual_mov_b32 v13, 0
	s_delay_alu instid0(VALU_DEP_3)
	v_cmp_gt_u32_e64 s0, s15, v1
	v_dual_mov_b32 v12, 0 :: v_dual_mov_b32 v11, 0
	v_dual_mov_b32 v10, 0 :: v_dual_mov_b32 v9, 0
	;; [unrolled: 1-line block ×4, first 2 shown]
	s_wait_xcnt 0x0
	s_and_saveexec_b32 s5, s0
	s_cbranch_execz .LBB351_31
; %bb.8:
	global_load_b32 v16, v[4:5], off offset:4096
	v_or_b32_e32 v1, 0x500, v0
	v_dual_mov_b32 v15, 0 :: v_dual_mov_b32 v14, 0
	v_dual_mov_b32 v13, 0 :: v_dual_mov_b32 v12, 0
	s_delay_alu instid0(VALU_DEP_3)
	v_cmp_gt_u32_e64 s0, s15, v1
	v_dual_mov_b32 v11, 0 :: v_dual_mov_b32 v10, 0
	v_dual_mov_b32 v9, 0 :: v_dual_mov_b32 v8, 0
	;; [unrolled: 1-line block ×3, first 2 shown]
	v_mov_b32_e32 v1, 0
	s_wait_xcnt 0x0
	s_and_saveexec_b32 s6, s0
	s_cbranch_execz .LBB351_30
; %bb.9:
	global_load_b32 v15, v[4:5], off offset:5120
	v_or_b32_e32 v1, 0x600, v0
	v_dual_mov_b32 v14, 0 :: v_dual_mov_b32 v13, 0
	v_dual_mov_b32 v12, 0 :: v_dual_mov_b32 v11, 0
	s_delay_alu instid0(VALU_DEP_3)
	v_cmp_gt_u32_e64 s0, s15, v1
	v_dual_mov_b32 v10, 0 :: v_dual_mov_b32 v9, 0
	v_dual_mov_b32 v8, 0 :: v_dual_mov_b32 v6, 0
	v_dual_mov_b32 v7, 0 :: v_dual_mov_b32 v1, 0
	s_wait_xcnt 0x0
	s_and_saveexec_b32 s7, s0
	s_cbranch_execz .LBB351_29
; %bb.10:
	global_load_b32 v14, v[4:5], off offset:6144
	v_or_b32_e32 v1, 0x700, v0
	v_dual_mov_b32 v13, 0 :: v_dual_mov_b32 v12, 0
	v_dual_mov_b32 v11, 0 :: v_dual_mov_b32 v10, 0
	s_delay_alu instid0(VALU_DEP_3)
	v_cmp_gt_u32_e64 s0, s15, v1
	v_dual_mov_b32 v9, 0 :: v_dual_mov_b32 v8, 0
	v_dual_mov_b32 v6, 0 :: v_dual_mov_b32 v7, 0
	v_mov_b32_e32 v1, 0
	s_wait_xcnt 0x0
	s_and_saveexec_b32 s8, s0
	s_cbranch_execz .LBB351_28
; %bb.11:
	global_load_b32 v13, v[4:5], off offset:7168
	v_or_b32_e32 v1, 0x800, v0
	v_dual_mov_b32 v12, 0 :: v_dual_mov_b32 v11, 0
	v_dual_mov_b32 v10, 0 :: v_dual_mov_b32 v9, 0
	s_delay_alu instid0(VALU_DEP_3)
	v_cmp_gt_u32_e64 s0, s15, v1
	v_dual_mov_b32 v8, 0 :: v_dual_mov_b32 v6, 0
	v_dual_mov_b32 v7, 0 :: v_dual_mov_b32 v1, 0
	s_wait_xcnt 0x0
	s_and_saveexec_b32 s9, s0
	s_cbranch_execz .LBB351_27
; %bb.12:
	global_load_b32 v12, v[4:5], off offset:8192
	v_or_b32_e32 v1, 0x900, v0
	v_dual_mov_b32 v11, 0 :: v_dual_mov_b32 v10, 0
	v_dual_mov_b32 v9, 0 :: v_dual_mov_b32 v8, 0
	s_delay_alu instid0(VALU_DEP_3)
	v_cmp_gt_u32_e64 s0, s15, v1
	v_dual_mov_b32 v6, 0 :: v_dual_mov_b32 v7, 0
	v_mov_b32_e32 v1, 0
	s_wait_xcnt 0x0
	s_and_saveexec_b32 s10, s0
	s_cbranch_execz .LBB351_26
; %bb.13:
	global_load_b32 v11, v[4:5], off offset:9216
	v_or_b32_e32 v1, 0xa00, v0
	v_dual_mov_b32 v10, 0 :: v_dual_mov_b32 v9, 0
	v_dual_mov_b32 v8, 0 :: v_dual_mov_b32 v6, 0
	s_delay_alu instid0(VALU_DEP_3)
	v_cmp_gt_u32_e64 s0, s15, v1
	v_dual_mov_b32 v7, 0 :: v_dual_mov_b32 v1, 0
	s_wait_xcnt 0x0
	s_and_saveexec_b32 s11, s0
	s_cbranch_execz .LBB351_25
; %bb.14:
	global_load_b32 v10, v[4:5], off offset:10240
	v_or_b32_e32 v1, 0xb00, v0
	v_dual_mov_b32 v9, 0 :: v_dual_mov_b32 v8, 0
	v_dual_mov_b32 v6, 0 :: v_dual_mov_b32 v7, 0
	s_delay_alu instid0(VALU_DEP_3)
	v_cmp_gt_u32_e64 s0, s15, v1
	v_mov_b32_e32 v1, 0
	s_wait_xcnt 0x0
	s_and_saveexec_b32 s12, s0
	s_cbranch_execz .LBB351_24
; %bb.15:
	global_load_b32 v9, v[4:5], off offset:11264
	v_or_b32_e32 v1, 0xc00, v0
	v_dual_mov_b32 v8, 0 :: v_dual_mov_b32 v6, 0
	v_mov_b32_e32 v7, 0
	s_delay_alu instid0(VALU_DEP_3)
	v_cmp_gt_u32_e64 s0, s15, v1
	v_mov_b32_e32 v1, 0
	s_wait_xcnt 0x0
	s_and_saveexec_b32 s13, s0
	s_cbranch_execz .LBB351_23
; %bb.16:
	global_load_b32 v8, v[4:5], off offset:12288
	v_or_b32_e32 v1, 0xd00, v0
	v_dual_mov_b32 v6, 0 :: v_dual_mov_b32 v7, 0
	s_delay_alu instid0(VALU_DEP_2)
	v_cmp_gt_u32_e64 s0, s15, v1
	v_mov_b32_e32 v1, 0
	s_wait_xcnt 0x0
	s_and_saveexec_b32 s14, s0
	s_cbranch_execz .LBB351_22
; %bb.17:
	global_load_b32 v6, v[4:5], off offset:13312
	v_or_b32_e32 v1, 0xe00, v0
	v_mov_b32_e32 v7, 0
	s_delay_alu instid0(VALU_DEP_2)
	v_cmp_gt_u32_e64 s0, s15, v1
	v_mov_b32_e32 v1, 0
	s_wait_xcnt 0x0
	s_and_saveexec_b32 s18, s0
	s_cbranch_execz .LBB351_21
; %bb.18:
	global_load_b32 v7, v[4:5], off offset:14336
	v_or_b32_e32 v1, 0xf00, v0
	s_delay_alu instid0(VALU_DEP_1)
	v_cmp_gt_u32_e64 s0, s15, v1
	v_mov_b32_e32 v1, 0
	s_wait_xcnt 0x0
	s_and_saveexec_b32 s19, s0
	s_cbranch_execz .LBB351_20
; %bb.19:
	global_load_b32 v1, v[4:5], off offset:15360
.LBB351_20:
	s_wait_xcnt 0x0
	s_or_b32 exec_lo, exec_lo, s19
.LBB351_21:
	s_delay_alu instid0(SALU_CYCLE_1)
	s_or_b32 exec_lo, exec_lo, s18
.LBB351_22:
	s_delay_alu instid0(SALU_CYCLE_1)
	s_or_b32 exec_lo, exec_lo, s14
.LBB351_23:
	s_delay_alu instid0(SALU_CYCLE_1)
	s_or_b32 exec_lo, exec_lo, s13
.LBB351_24:
	s_delay_alu instid0(SALU_CYCLE_1)
	s_or_b32 exec_lo, exec_lo, s12
.LBB351_25:
	s_delay_alu instid0(SALU_CYCLE_1)
	s_or_b32 exec_lo, exec_lo, s11
.LBB351_26:
	s_delay_alu instid0(SALU_CYCLE_1)
	s_or_b32 exec_lo, exec_lo, s10
.LBB351_27:
	s_delay_alu instid0(SALU_CYCLE_1)
	s_or_b32 exec_lo, exec_lo, s9
.LBB351_28:
	s_delay_alu instid0(SALU_CYCLE_1)
	s_or_b32 exec_lo, exec_lo, s8
.LBB351_29:
	s_delay_alu instid0(SALU_CYCLE_1)
	s_or_b32 exec_lo, exec_lo, s7
.LBB351_30:
	s_delay_alu instid0(SALU_CYCLE_1)
	s_or_b32 exec_lo, exec_lo, s6
.LBB351_31:
	s_delay_alu instid0(SALU_CYCLE_1)
	s_or_b32 exec_lo, exec_lo, s5
.LBB351_32:
	s_delay_alu instid0(SALU_CYCLE_1)
	s_or_b32 exec_lo, exec_lo, s4
	s_wait_loadcnt 0x0
	v_dual_mov_b32 v4, v3 :: v_dual_mov_b32 v3, v2
.LBB351_33:
	s_or_b32 exec_lo, exec_lo, s3
.LBB351_34:
	s_delay_alu instid0(SALU_CYCLE_1)
	s_or_b32 exec_lo, exec_lo, s2
.LBB351_35:
	s_delay_alu instid0(SALU_CYCLE_1)
	s_or_b32 exec_lo, exec_lo, s1
	s_cmp_eq_u32 s21, 0
	s_cselect_b32 s0, -1, 0
	s_and_saveexec_b32 s1, vcc_lo
	s_cbranch_execnz .LBB351_53
; %bb.36:
	s_or_b32 exec_lo, exec_lo, s1
	s_delay_alu instid0(SALU_CYCLE_1)
	s_mov_b32 s1, exec_lo
	v_cmpx_gt_i32_e64 s15, v0
	s_cbranch_execnz .LBB351_54
.LBB351_37:
	s_or_b32 exec_lo, exec_lo, s1
	s_delay_alu instid0(SALU_CYCLE_1)
	s_mov_b32 s1, exec_lo
	v_cmpx_gt_i32_e64 s15, v0
	s_cbranch_execnz .LBB351_55
.LBB351_38:
	s_or_b32 exec_lo, exec_lo, s1
	s_delay_alu instid0(SALU_CYCLE_1)
	s_mov_b32 s1, exec_lo
	v_cmpx_gt_i32_e64 s15, v0
	s_cbranch_execnz .LBB351_56
.LBB351_39:
	s_or_b32 exec_lo, exec_lo, s1
	s_delay_alu instid0(SALU_CYCLE_1)
	s_mov_b32 s1, exec_lo
	v_cmpx_gt_i32_e64 s15, v0
	s_cbranch_execnz .LBB351_57
.LBB351_40:
	s_or_b32 exec_lo, exec_lo, s1
	s_delay_alu instid0(SALU_CYCLE_1)
	s_mov_b32 s1, exec_lo
	v_cmpx_gt_i32_e64 s15, v0
	s_cbranch_execnz .LBB351_58
.LBB351_41:
	s_or_b32 exec_lo, exec_lo, s1
	s_delay_alu instid0(SALU_CYCLE_1)
	s_mov_b32 s1, exec_lo
	v_cmpx_gt_i32_e64 s15, v0
	s_cbranch_execnz .LBB351_59
.LBB351_42:
	s_or_b32 exec_lo, exec_lo, s1
	s_delay_alu instid0(SALU_CYCLE_1)
	s_mov_b32 s1, exec_lo
	v_cmpx_gt_i32_e64 s15, v0
	s_cbranch_execnz .LBB351_60
.LBB351_43:
	s_or_b32 exec_lo, exec_lo, s1
	s_delay_alu instid0(SALU_CYCLE_1)
	s_mov_b32 s1, exec_lo
	v_cmpx_gt_i32_e64 s15, v0
	s_cbranch_execnz .LBB351_61
.LBB351_44:
	s_or_b32 exec_lo, exec_lo, s1
	s_delay_alu instid0(SALU_CYCLE_1)
	s_mov_b32 s1, exec_lo
	v_cmpx_gt_i32_e64 s15, v0
	s_cbranch_execnz .LBB351_62
.LBB351_45:
	s_or_b32 exec_lo, exec_lo, s1
	s_delay_alu instid0(SALU_CYCLE_1)
	s_mov_b32 s1, exec_lo
	v_cmpx_gt_i32_e64 s15, v0
	s_cbranch_execnz .LBB351_63
.LBB351_46:
	s_or_b32 exec_lo, exec_lo, s1
	s_delay_alu instid0(SALU_CYCLE_1)
	s_mov_b32 s1, exec_lo
	v_cmpx_gt_i32_e64 s15, v0
	s_cbranch_execnz .LBB351_64
.LBB351_47:
	s_or_b32 exec_lo, exec_lo, s1
	s_delay_alu instid0(SALU_CYCLE_1)
	s_mov_b32 s1, exec_lo
	v_cmpx_gt_i32_e64 s15, v0
	s_cbranch_execnz .LBB351_65
.LBB351_48:
	s_or_b32 exec_lo, exec_lo, s1
	s_delay_alu instid0(SALU_CYCLE_1)
	s_mov_b32 s1, exec_lo
	v_cmpx_gt_i32_e64 s15, v0
	s_cbranch_execnz .LBB351_66
.LBB351_49:
	s_or_b32 exec_lo, exec_lo, s1
	s_delay_alu instid0(SALU_CYCLE_1)
	s_mov_b32 s1, exec_lo
	v_cmpx_gt_i32_e64 s15, v0
	s_cbranch_execnz .LBB351_67
.LBB351_50:
	s_or_b32 exec_lo, exec_lo, s1
	s_delay_alu instid0(SALU_CYCLE_1)
	s_mov_b32 s1, exec_lo
	v_cmpx_gt_i32_e64 s15, v0
	s_cbranch_execz .LBB351_52
.LBB351_51:
	v_cmp_ne_u32_e32 vcc_lo, s22, v1
	v_add_nc_u32_e32 v0, s24, v0
	s_xor_b32 s0, s0, vcc_lo
	s_delay_alu instid0(SALU_CYCLE_1)
	v_cndmask_b32_e64 v1, 0, 1, s0
	global_store_b8 v0, v1, s[16:17]
.LBB351_52:
	s_endpgm
.LBB351_53:
	s_wait_loadcnt 0x0
	v_cmp_ne_u32_e32 vcc_lo, s22, v20
	v_mov_b32_e32 v0, v17
	s_xor_b32 s2, s0, vcc_lo
	s_delay_alu instid0(SALU_CYCLE_1) | instskip(SKIP_3) | instid1(SALU_CYCLE_1)
	v_cndmask_b32_e64 v2, 0, 1, s2
	global_store_b8 v18, v2, s[16:17]
	s_wait_xcnt 0x0
	s_or_b32 exec_lo, exec_lo, s1
	s_mov_b32 s1, exec_lo
	v_cmpx_gt_i32_e64 s15, v0
	s_cbranch_execz .LBB351_37
.LBB351_54:
	s_wait_loadcnt 0x0
	v_cmp_ne_u32_e32 vcc_lo, s22, v19
	v_add_nc_u32_e32 v5, s24, v0
	v_add_nc_u32_e32 v0, 0x100, v0
	s_xor_b32 s2, s0, vcc_lo
	s_delay_alu instid0(SALU_CYCLE_1) | instskip(SKIP_3) | instid1(SALU_CYCLE_1)
	v_cndmask_b32_e64 v2, 0, 1, s2
	global_store_b8 v5, v2, s[16:17]
	s_wait_xcnt 0x0
	s_or_b32 exec_lo, exec_lo, s1
	s_mov_b32 s1, exec_lo
	v_cmpx_gt_i32_e64 s15, v0
	s_cbranch_execz .LBB351_38
.LBB351_55:
	v_cmp_ne_u32_e32 vcc_lo, s22, v3
	v_add_nc_u32_e32 v3, s24, v0
	v_add_nc_u32_e32 v0, 0x100, v0
	s_xor_b32 s2, s0, vcc_lo
	s_delay_alu instid0(SALU_CYCLE_1) | instskip(SKIP_3) | instid1(SALU_CYCLE_1)
	v_cndmask_b32_e64 v2, 0, 1, s2
	global_store_b8 v3, v2, s[16:17]
	s_wait_xcnt 0x0
	s_or_b32 exec_lo, exec_lo, s1
	s_mov_b32 s1, exec_lo
	v_cmpx_gt_i32_e64 s15, v0
	s_cbranch_execz .LBB351_39
.LBB351_56:
	v_cmp_ne_u32_e32 vcc_lo, s22, v4
	v_add_nc_u32_e32 v3, s24, v0
	v_add_nc_u32_e32 v0, 0x100, v0
	s_xor_b32 s2, s0, vcc_lo
	s_delay_alu instid0(SALU_CYCLE_1) | instskip(SKIP_3) | instid1(SALU_CYCLE_1)
	v_cndmask_b32_e64 v2, 0, 1, s2
	global_store_b8 v3, v2, s[16:17]
	s_wait_xcnt 0x0
	s_or_b32 exec_lo, exec_lo, s1
	s_mov_b32 s1, exec_lo
	v_cmpx_gt_i32_e64 s15, v0
	s_cbranch_execz .LBB351_40
.LBB351_57:
	v_cmp_ne_u32_e32 vcc_lo, s22, v16
	v_add_nc_u32_e32 v3, s24, v0
	v_add_nc_u32_e32 v0, 0x100, v0
	s_xor_b32 s2, s0, vcc_lo
	s_delay_alu instid0(SALU_CYCLE_1) | instskip(SKIP_3) | instid1(SALU_CYCLE_1)
	v_cndmask_b32_e64 v2, 0, 1, s2
	global_store_b8 v3, v2, s[16:17]
	s_wait_xcnt 0x0
	s_or_b32 exec_lo, exec_lo, s1
	s_mov_b32 s1, exec_lo
	v_cmpx_gt_i32_e64 s15, v0
	s_cbranch_execz .LBB351_41
.LBB351_58:
	v_cmp_ne_u32_e32 vcc_lo, s22, v15
	v_add_nc_u32_e32 v3, s24, v0
	v_add_nc_u32_e32 v0, 0x100, v0
	s_xor_b32 s2, s0, vcc_lo
	s_delay_alu instid0(SALU_CYCLE_1) | instskip(SKIP_3) | instid1(SALU_CYCLE_1)
	v_cndmask_b32_e64 v2, 0, 1, s2
	global_store_b8 v3, v2, s[16:17]
	s_wait_xcnt 0x0
	s_or_b32 exec_lo, exec_lo, s1
	s_mov_b32 s1, exec_lo
	v_cmpx_gt_i32_e64 s15, v0
	s_cbranch_execz .LBB351_42
.LBB351_59:
	v_cmp_ne_u32_e32 vcc_lo, s22, v14
	v_add_nc_u32_e32 v3, s24, v0
	v_add_nc_u32_e32 v0, 0x100, v0
	s_xor_b32 s2, s0, vcc_lo
	s_delay_alu instid0(SALU_CYCLE_1) | instskip(SKIP_3) | instid1(SALU_CYCLE_1)
	v_cndmask_b32_e64 v2, 0, 1, s2
	global_store_b8 v3, v2, s[16:17]
	s_wait_xcnt 0x0
	s_or_b32 exec_lo, exec_lo, s1
	s_mov_b32 s1, exec_lo
	v_cmpx_gt_i32_e64 s15, v0
	s_cbranch_execz .LBB351_43
.LBB351_60:
	v_cmp_ne_u32_e32 vcc_lo, s22, v13
	v_add_nc_u32_e32 v3, s24, v0
	v_add_nc_u32_e32 v0, 0x100, v0
	s_xor_b32 s2, s0, vcc_lo
	s_delay_alu instid0(SALU_CYCLE_1) | instskip(SKIP_3) | instid1(SALU_CYCLE_1)
	v_cndmask_b32_e64 v2, 0, 1, s2
	global_store_b8 v3, v2, s[16:17]
	s_wait_xcnt 0x0
	s_or_b32 exec_lo, exec_lo, s1
	s_mov_b32 s1, exec_lo
	v_cmpx_gt_i32_e64 s15, v0
	s_cbranch_execz .LBB351_44
.LBB351_61:
	v_cmp_ne_u32_e32 vcc_lo, s22, v12
	v_add_nc_u32_e32 v3, s24, v0
	v_add_nc_u32_e32 v0, 0x100, v0
	s_xor_b32 s2, s0, vcc_lo
	s_delay_alu instid0(SALU_CYCLE_1) | instskip(SKIP_3) | instid1(SALU_CYCLE_1)
	v_cndmask_b32_e64 v2, 0, 1, s2
	global_store_b8 v3, v2, s[16:17]
	s_wait_xcnt 0x0
	s_or_b32 exec_lo, exec_lo, s1
	s_mov_b32 s1, exec_lo
	v_cmpx_gt_i32_e64 s15, v0
	s_cbranch_execz .LBB351_45
.LBB351_62:
	v_cmp_ne_u32_e32 vcc_lo, s22, v11
	v_add_nc_u32_e32 v3, s24, v0
	v_add_nc_u32_e32 v0, 0x100, v0
	s_xor_b32 s2, s0, vcc_lo
	s_delay_alu instid0(SALU_CYCLE_1) | instskip(SKIP_3) | instid1(SALU_CYCLE_1)
	v_cndmask_b32_e64 v2, 0, 1, s2
	global_store_b8 v3, v2, s[16:17]
	s_wait_xcnt 0x0
	s_or_b32 exec_lo, exec_lo, s1
	s_mov_b32 s1, exec_lo
	v_cmpx_gt_i32_e64 s15, v0
	s_cbranch_execz .LBB351_46
.LBB351_63:
	v_cmp_ne_u32_e32 vcc_lo, s22, v10
	v_add_nc_u32_e32 v3, s24, v0
	v_add_nc_u32_e32 v0, 0x100, v0
	s_xor_b32 s2, s0, vcc_lo
	s_delay_alu instid0(SALU_CYCLE_1) | instskip(SKIP_3) | instid1(SALU_CYCLE_1)
	v_cndmask_b32_e64 v2, 0, 1, s2
	global_store_b8 v3, v2, s[16:17]
	s_wait_xcnt 0x0
	s_or_b32 exec_lo, exec_lo, s1
	s_mov_b32 s1, exec_lo
	v_cmpx_gt_i32_e64 s15, v0
	s_cbranch_execz .LBB351_47
.LBB351_64:
	v_cmp_ne_u32_e32 vcc_lo, s22, v9
	v_add_nc_u32_e32 v3, s24, v0
	v_add_nc_u32_e32 v0, 0x100, v0
	s_xor_b32 s2, s0, vcc_lo
	s_delay_alu instid0(SALU_CYCLE_1) | instskip(SKIP_3) | instid1(SALU_CYCLE_1)
	v_cndmask_b32_e64 v2, 0, 1, s2
	global_store_b8 v3, v2, s[16:17]
	s_wait_xcnt 0x0
	s_or_b32 exec_lo, exec_lo, s1
	s_mov_b32 s1, exec_lo
	v_cmpx_gt_i32_e64 s15, v0
	s_cbranch_execz .LBB351_48
.LBB351_65:
	v_cmp_ne_u32_e32 vcc_lo, s22, v8
	v_add_nc_u32_e32 v3, s24, v0
	v_add_nc_u32_e32 v0, 0x100, v0
	s_xor_b32 s2, s0, vcc_lo
	s_delay_alu instid0(SALU_CYCLE_1) | instskip(SKIP_3) | instid1(SALU_CYCLE_1)
	v_cndmask_b32_e64 v2, 0, 1, s2
	global_store_b8 v3, v2, s[16:17]
	s_wait_xcnt 0x0
	s_or_b32 exec_lo, exec_lo, s1
	s_mov_b32 s1, exec_lo
	v_cmpx_gt_i32_e64 s15, v0
	s_cbranch_execz .LBB351_49
.LBB351_66:
	v_cmp_ne_u32_e32 vcc_lo, s22, v6
	v_add_nc_u32_e32 v3, s24, v0
	v_add_nc_u32_e32 v0, 0x100, v0
	s_xor_b32 s2, s0, vcc_lo
	s_delay_alu instid0(SALU_CYCLE_1) | instskip(SKIP_3) | instid1(SALU_CYCLE_1)
	v_cndmask_b32_e64 v2, 0, 1, s2
	global_store_b8 v3, v2, s[16:17]
	s_wait_xcnt 0x0
	s_or_b32 exec_lo, exec_lo, s1
	s_mov_b32 s1, exec_lo
	v_cmpx_gt_i32_e64 s15, v0
	s_cbranch_execz .LBB351_50
.LBB351_67:
	v_cmp_ne_u32_e32 vcc_lo, s22, v7
	v_add_nc_u32_e32 v3, s24, v0
	v_add_nc_u32_e32 v0, 0x100, v0
	s_xor_b32 s2, s0, vcc_lo
	s_delay_alu instid0(SALU_CYCLE_1) | instskip(SKIP_3) | instid1(SALU_CYCLE_1)
	v_cndmask_b32_e64 v2, 0, 1, s2
	global_store_b8 v3, v2, s[16:17]
	s_wait_xcnt 0x0
	s_or_b32 exec_lo, exec_lo, s1
	s_mov_b32 s1, exec_lo
	v_cmpx_gt_i32_e64 s15, v0
	s_cbranch_execnz .LBB351_51
	s_branch .LBB351_52
	.section	.rodata,"a",@progbits
	.p2align	6, 0x0
	.amdhsa_kernel _ZN2at6native29vectorized_elementwise_kernelILi4ENS0_13AUnaryFunctorIjjbNS0_12_GLOBAL__N_116CompareEqFunctorIjEEEESt5arrayIPcLm2EEEEviT0_T1_
		.amdhsa_group_segment_fixed_size 0
		.amdhsa_private_segment_fixed_size 0
		.amdhsa_kernarg_size 32
		.amdhsa_user_sgpr_count 2
		.amdhsa_user_sgpr_dispatch_ptr 0
		.amdhsa_user_sgpr_queue_ptr 0
		.amdhsa_user_sgpr_kernarg_segment_ptr 1
		.amdhsa_user_sgpr_dispatch_id 0
		.amdhsa_user_sgpr_kernarg_preload_length 0
		.amdhsa_user_sgpr_kernarg_preload_offset 0
		.amdhsa_user_sgpr_private_segment_size 0
		.amdhsa_wavefront_size32 1
		.amdhsa_uses_dynamic_stack 0
		.amdhsa_enable_private_segment 0
		.amdhsa_system_sgpr_workgroup_id_x 1
		.amdhsa_system_sgpr_workgroup_id_y 0
		.amdhsa_system_sgpr_workgroup_id_z 0
		.amdhsa_system_sgpr_workgroup_info 0
		.amdhsa_system_vgpr_workitem_id 0
		.amdhsa_next_free_vgpr 21
		.amdhsa_next_free_sgpr 26
		.amdhsa_named_barrier_count 0
		.amdhsa_reserve_vcc 1
		.amdhsa_float_round_mode_32 0
		.amdhsa_float_round_mode_16_64 0
		.amdhsa_float_denorm_mode_32 3
		.amdhsa_float_denorm_mode_16_64 3
		.amdhsa_fp16_overflow 0
		.amdhsa_memory_ordered 1
		.amdhsa_forward_progress 1
		.amdhsa_inst_pref_size 28
		.amdhsa_round_robin_scheduling 0
		.amdhsa_exception_fp_ieee_invalid_op 0
		.amdhsa_exception_fp_denorm_src 0
		.amdhsa_exception_fp_ieee_div_zero 0
		.amdhsa_exception_fp_ieee_overflow 0
		.amdhsa_exception_fp_ieee_underflow 0
		.amdhsa_exception_fp_ieee_inexact 0
		.amdhsa_exception_int_div_zero 0
	.end_amdhsa_kernel
	.section	.text._ZN2at6native29vectorized_elementwise_kernelILi4ENS0_13AUnaryFunctorIjjbNS0_12_GLOBAL__N_116CompareEqFunctorIjEEEESt5arrayIPcLm2EEEEviT0_T1_,"axG",@progbits,_ZN2at6native29vectorized_elementwise_kernelILi4ENS0_13AUnaryFunctorIjjbNS0_12_GLOBAL__N_116CompareEqFunctorIjEEEESt5arrayIPcLm2EEEEviT0_T1_,comdat
.Lfunc_end351:
	.size	_ZN2at6native29vectorized_elementwise_kernelILi4ENS0_13AUnaryFunctorIjjbNS0_12_GLOBAL__N_116CompareEqFunctorIjEEEESt5arrayIPcLm2EEEEviT0_T1_, .Lfunc_end351-_ZN2at6native29vectorized_elementwise_kernelILi4ENS0_13AUnaryFunctorIjjbNS0_12_GLOBAL__N_116CompareEqFunctorIjEEEESt5arrayIPcLm2EEEEviT0_T1_
                                        ; -- End function
	.set _ZN2at6native29vectorized_elementwise_kernelILi4ENS0_13AUnaryFunctorIjjbNS0_12_GLOBAL__N_116CompareEqFunctorIjEEEESt5arrayIPcLm2EEEEviT0_T1_.num_vgpr, 21
	.set _ZN2at6native29vectorized_elementwise_kernelILi4ENS0_13AUnaryFunctorIjjbNS0_12_GLOBAL__N_116CompareEqFunctorIjEEEESt5arrayIPcLm2EEEEviT0_T1_.num_agpr, 0
	.set _ZN2at6native29vectorized_elementwise_kernelILi4ENS0_13AUnaryFunctorIjjbNS0_12_GLOBAL__N_116CompareEqFunctorIjEEEESt5arrayIPcLm2EEEEviT0_T1_.numbered_sgpr, 26
	.set _ZN2at6native29vectorized_elementwise_kernelILi4ENS0_13AUnaryFunctorIjjbNS0_12_GLOBAL__N_116CompareEqFunctorIjEEEESt5arrayIPcLm2EEEEviT0_T1_.num_named_barrier, 0
	.set _ZN2at6native29vectorized_elementwise_kernelILi4ENS0_13AUnaryFunctorIjjbNS0_12_GLOBAL__N_116CompareEqFunctorIjEEEESt5arrayIPcLm2EEEEviT0_T1_.private_seg_size, 0
	.set _ZN2at6native29vectorized_elementwise_kernelILi4ENS0_13AUnaryFunctorIjjbNS0_12_GLOBAL__N_116CompareEqFunctorIjEEEESt5arrayIPcLm2EEEEviT0_T1_.uses_vcc, 1
	.set _ZN2at6native29vectorized_elementwise_kernelILi4ENS0_13AUnaryFunctorIjjbNS0_12_GLOBAL__N_116CompareEqFunctorIjEEEESt5arrayIPcLm2EEEEviT0_T1_.uses_flat_scratch, 0
	.set _ZN2at6native29vectorized_elementwise_kernelILi4ENS0_13AUnaryFunctorIjjbNS0_12_GLOBAL__N_116CompareEqFunctorIjEEEESt5arrayIPcLm2EEEEviT0_T1_.has_dyn_sized_stack, 0
	.set _ZN2at6native29vectorized_elementwise_kernelILi4ENS0_13AUnaryFunctorIjjbNS0_12_GLOBAL__N_116CompareEqFunctorIjEEEESt5arrayIPcLm2EEEEviT0_T1_.has_recursion, 0
	.set _ZN2at6native29vectorized_elementwise_kernelILi4ENS0_13AUnaryFunctorIjjbNS0_12_GLOBAL__N_116CompareEqFunctorIjEEEESt5arrayIPcLm2EEEEviT0_T1_.has_indirect_call, 0
	.section	.AMDGPU.csdata,"",@progbits
; Kernel info:
; codeLenInByte = 3552
; TotalNumSgprs: 28
; NumVgprs: 21
; ScratchSize: 0
; MemoryBound: 0
; FloatMode: 240
; IeeeMode: 1
; LDSByteSize: 0 bytes/workgroup (compile time only)
; SGPRBlocks: 0
; VGPRBlocks: 1
; NumSGPRsForWavesPerEU: 28
; NumVGPRsForWavesPerEU: 21
; NamedBarCnt: 0
; Occupancy: 16
; WaveLimiterHint : 1
; COMPUTE_PGM_RSRC2:SCRATCH_EN: 0
; COMPUTE_PGM_RSRC2:USER_SGPR: 2
; COMPUTE_PGM_RSRC2:TRAP_HANDLER: 0
; COMPUTE_PGM_RSRC2:TGID_X_EN: 1
; COMPUTE_PGM_RSRC2:TGID_Y_EN: 0
; COMPUTE_PGM_RSRC2:TGID_Z_EN: 0
; COMPUTE_PGM_RSRC2:TIDIG_COMP_CNT: 0
	.section	.text._ZN2at6native29vectorized_elementwise_kernelILi2ENS0_13AUnaryFunctorIjjbNS0_12_GLOBAL__N_116CompareEqFunctorIjEEEESt5arrayIPcLm2EEEEviT0_T1_,"axG",@progbits,_ZN2at6native29vectorized_elementwise_kernelILi2ENS0_13AUnaryFunctorIjjbNS0_12_GLOBAL__N_116CompareEqFunctorIjEEEESt5arrayIPcLm2EEEEviT0_T1_,comdat
	.globl	_ZN2at6native29vectorized_elementwise_kernelILi2ENS0_13AUnaryFunctorIjjbNS0_12_GLOBAL__N_116CompareEqFunctorIjEEEESt5arrayIPcLm2EEEEviT0_T1_ ; -- Begin function _ZN2at6native29vectorized_elementwise_kernelILi2ENS0_13AUnaryFunctorIjjbNS0_12_GLOBAL__N_116CompareEqFunctorIjEEEESt5arrayIPcLm2EEEEviT0_T1_
	.p2align	8
	.type	_ZN2at6native29vectorized_elementwise_kernelILi2ENS0_13AUnaryFunctorIjjbNS0_12_GLOBAL__N_116CompareEqFunctorIjEEEESt5arrayIPcLm2EEEEviT0_T1_,@function
_ZN2at6native29vectorized_elementwise_kernelILi2ENS0_13AUnaryFunctorIjjbNS0_12_GLOBAL__N_116CompareEqFunctorIjEEEESt5arrayIPcLm2EEEEviT0_T1_: ; @_ZN2at6native29vectorized_elementwise_kernelILi2ENS0_13AUnaryFunctorIjjbNS0_12_GLOBAL__N_116CompareEqFunctorIjEEEESt5arrayIPcLm2EEEEviT0_T1_
; %bb.0:
	s_clause 0x1
	s_load_b96 s[20:22], s[0:1], 0x0
	s_load_b128 s[16:19], s[0:1], 0x10
	s_wait_xcnt 0x0
	s_bfe_u32 s0, ttmp6, 0x4000c
	s_and_b32 s1, ttmp6, 15
	s_add_co_i32 s0, s0, 1
	s_getreg_b32 s2, hwreg(HW_REG_IB_STS2, 6, 4)
	s_mul_i32 s0, ttmp9, s0
	s_delay_alu instid0(SALU_CYCLE_1) | instskip(SKIP_2) | instid1(SALU_CYCLE_1)
	s_add_co_i32 s1, s1, s0
	s_cmp_eq_u32 s2, 0
	s_cselect_b32 s0, ttmp9, s1
	s_lshl_b32 s24, s0, 12
	s_wait_kmcnt 0x0
	s_sub_co_i32 s15, s20, s24
	s_mov_b32 s20, -1
	s_cmp_gt_i32 s15, 0xfff
	s_cbranch_scc0 .LBB352_2
; %bb.1:
	s_ashr_i32 s25, s24, 31
	s_mov_b32 s20, 0
	s_lshl_b64 s[0:1], s[24:25], 2
	s_cmp_eq_u32 s21, 0
	s_add_nc_u64 s[0:1], s[18:19], s[0:1]
	s_cselect_b32 s23, -1, 0
	s_clause 0x7
	global_load_b64 v[2:3], v0, s[0:1] scale_offset
	global_load_b64 v[4:5], v0, s[0:1] offset:2048 scale_offset
	global_load_b64 v[6:7], v0, s[0:1] offset:4096 scale_offset
	;; [unrolled: 1-line block ×7, first 2 shown]
	s_add_nc_u64 s[26:27], s[16:17], s[24:25]
	s_wait_loadcnt 0x7
	s_wait_xcnt 0x0
	v_cmp_ne_u32_e64 s0, s22, v3
	s_wait_loadcnt 0x6
	v_cmp_ne_u32_e64 s1, s22, v4
	v_cmp_ne_u32_e64 s2, s22, v5
	s_wait_loadcnt 0x5
	v_cmp_ne_u32_e64 s3, s22, v6
	v_cmp_ne_u32_e32 vcc_lo, s22, v2
	s_xor_b32 s0, s23, s0
	v_cmp_ne_u32_e64 s4, s22, v7
	v_cndmask_b32_e64 v2, 0, 0x100, s0
	s_xor_b32 s0, s23, s1
	s_wait_loadcnt 0x4
	v_cmp_ne_u32_e64 s5, s22, v8
	v_cndmask_b32_e64 v3, 0, 1, s0
	s_xor_b32 s0, s23, s2
	v_cmp_ne_u32_e64 s6, s22, v9
	v_cndmask_b32_e64 v4, 0, 0x100, s0
	s_xor_b32 s0, s23, s3
	s_wait_loadcnt 0x3
	v_cmp_ne_u32_e64 s7, s22, v10
	v_cndmask_b32_e64 v5, 0, 1, s0
	;; [unrolled: 7-line block ×5, first 2 shown]
	s_xor_b32 s0, s23, s10
	v_cmp_ne_u32_e64 s14, s22, v17
	v_cndmask_b32_e64 v12, 0, 0x100, s0
	s_xor_b32 s0, s23, s11
	s_xor_b32 s25, s23, vcc_lo
	v_cndmask_b32_e64 v13, 0, 1, s0
	s_xor_b32 s0, s23, s12
	v_cndmask_b32_e64 v1, 0, 1, s25
	v_cndmask_b32_e64 v14, 0, 0x100, s0
	s_xor_b32 s0, s23, s13
	s_delay_alu instid0(SALU_CYCLE_1)
	v_cndmask_b32_e64 v15, 0, 1, s0
	s_xor_b32 s0, s23, s14
	v_or_b32_e32 v1, v2, v1
	v_cndmask_b32_e64 v16, 0, 0x100, s0
	v_or_b32_e32 v2, v4, v3
	v_or_b32_e32 v3, v6, v5
	v_or_b32_e32 v4, v8, v7
	v_or_b32_e32 v5, v10, v9
	v_or_b32_e32 v6, v12, v11
	v_or_b32_e32 v7, v14, v13
	v_or_b32_e32 v8, v16, v15
	s_clause 0x7
	global_store_b16 v0, v1, s[26:27] scale_offset
	global_store_b16 v0, v2, s[26:27] offset:512 scale_offset
	global_store_b16 v0, v3, s[26:27] offset:1024 scale_offset
	;; [unrolled: 1-line block ×7, first 2 shown]
.LBB352_2:
	s_and_not1_b32 vcc_lo, exec_lo, s20
	s_cbranch_vccnz .LBB352_52
; %bb.3:
	v_cmp_gt_i32_e32 vcc_lo, s15, v0
	v_or_b32_e32 v17, 0x100, v0
	s_wait_xcnt 0x7
	v_dual_mov_b32 v1, 0 :: v_dual_bitop2_b32 v18, s24, v0 bitop3:0x54
	s_wait_xcnt 0x1
	v_dual_mov_b32 v7, 0 :: v_dual_mov_b32 v6, 0
	s_wait_xcnt 0x0
	v_dual_mov_b32 v8, 0 :: v_dual_mov_b32 v9, 0
	v_dual_mov_b32 v10, 0 :: v_dual_mov_b32 v11, 0
	;; [unrolled: 1-line block ×6, first 2 shown]
	v_mov_b32_e32 v20, 0
	s_and_saveexec_b32 s1, vcc_lo
	s_cbranch_execz .LBB352_35
; %bb.4:
	global_load_b32 v20, v18, s[18:19] scale_offset
	v_dual_mov_b32 v19, 0 :: v_dual_mov_b32 v3, 0
	v_dual_mov_b32 v4, 0 :: v_dual_mov_b32 v16, 0
	;; [unrolled: 1-line block ×7, first 2 shown]
	v_mov_b32_e32 v1, 0
	s_mov_b32 s2, exec_lo
	s_wait_xcnt 0x0
	v_cmpx_gt_u32_e64 s15, v17
	s_cbranch_execz .LBB352_34
; %bb.5:
	v_dual_mov_b32 v3, 0 :: v_dual_add_nc_u32 v2, s24, v0
	v_or_b32_e32 v1, 0x200, v0
	v_dual_mov_b32 v4, 0 :: v_dual_mov_b32 v16, 0
	global_load_b32 v19, v2, s[18:19] offset:1024 scale_offset
	v_dual_mov_b32 v15, 0 :: v_dual_mov_b32 v14, 0
	v_cmp_gt_u32_e64 s0, s15, v1
	v_dual_mov_b32 v13, 0 :: v_dual_mov_b32 v12, 0
	v_dual_mov_b32 v11, 0 :: v_dual_mov_b32 v10, 0
	;; [unrolled: 1-line block ×4, first 2 shown]
	v_mov_b32_e32 v1, 0
	s_wait_xcnt 0x0
	s_and_saveexec_b32 s3, s0
	s_cbranch_execz .LBB352_33
; %bb.6:
	v_lshl_add_u64 v[4:5], v[2:3], 2, s[18:19]
	v_or_b32_e32 v1, 0x300, v0
	v_dual_mov_b32 v16, 0 :: v_dual_mov_b32 v15, 0
	v_dual_mov_b32 v14, 0 :: v_dual_mov_b32 v13, 0
	global_load_b32 v2, v[4:5], off offset:2048
	v_cmp_gt_u32_e64 s0, s15, v1
	v_dual_mov_b32 v12, 0 :: v_dual_mov_b32 v11, 0
	v_dual_mov_b32 v10, 0 :: v_dual_mov_b32 v9, 0
	;; [unrolled: 1-line block ×4, first 2 shown]
	s_wait_xcnt 0x0
	s_and_saveexec_b32 s4, s0
	s_cbranch_execz .LBB352_32
; %bb.7:
	global_load_b32 v3, v[4:5], off offset:3072
	v_or_b32_e32 v1, 0x400, v0
	v_dual_mov_b32 v16, 0 :: v_dual_mov_b32 v15, 0
	v_dual_mov_b32 v14, 0 :: v_dual_mov_b32 v13, 0
	s_delay_alu instid0(VALU_DEP_3)
	v_cmp_gt_u32_e64 s0, s15, v1
	v_dual_mov_b32 v12, 0 :: v_dual_mov_b32 v11, 0
	v_dual_mov_b32 v10, 0 :: v_dual_mov_b32 v9, 0
	;; [unrolled: 1-line block ×4, first 2 shown]
	s_wait_xcnt 0x0
	s_and_saveexec_b32 s5, s0
	s_cbranch_execz .LBB352_31
; %bb.8:
	global_load_b32 v16, v[4:5], off offset:4096
	v_or_b32_e32 v1, 0x500, v0
	v_dual_mov_b32 v15, 0 :: v_dual_mov_b32 v14, 0
	v_dual_mov_b32 v13, 0 :: v_dual_mov_b32 v12, 0
	s_delay_alu instid0(VALU_DEP_3)
	v_cmp_gt_u32_e64 s0, s15, v1
	v_dual_mov_b32 v11, 0 :: v_dual_mov_b32 v10, 0
	v_dual_mov_b32 v9, 0 :: v_dual_mov_b32 v8, 0
	;; [unrolled: 1-line block ×3, first 2 shown]
	v_mov_b32_e32 v1, 0
	s_wait_xcnt 0x0
	s_and_saveexec_b32 s6, s0
	s_cbranch_execz .LBB352_30
; %bb.9:
	global_load_b32 v15, v[4:5], off offset:5120
	v_or_b32_e32 v1, 0x600, v0
	v_dual_mov_b32 v14, 0 :: v_dual_mov_b32 v13, 0
	v_dual_mov_b32 v12, 0 :: v_dual_mov_b32 v11, 0
	s_delay_alu instid0(VALU_DEP_3)
	v_cmp_gt_u32_e64 s0, s15, v1
	v_dual_mov_b32 v10, 0 :: v_dual_mov_b32 v9, 0
	v_dual_mov_b32 v8, 0 :: v_dual_mov_b32 v6, 0
	;; [unrolled: 1-line block ×3, first 2 shown]
	s_wait_xcnt 0x0
	s_and_saveexec_b32 s7, s0
	s_cbranch_execz .LBB352_29
; %bb.10:
	global_load_b32 v14, v[4:5], off offset:6144
	v_or_b32_e32 v1, 0x700, v0
	v_dual_mov_b32 v13, 0 :: v_dual_mov_b32 v12, 0
	v_dual_mov_b32 v11, 0 :: v_dual_mov_b32 v10, 0
	s_delay_alu instid0(VALU_DEP_3)
	v_cmp_gt_u32_e64 s0, s15, v1
	v_dual_mov_b32 v9, 0 :: v_dual_mov_b32 v8, 0
	v_dual_mov_b32 v6, 0 :: v_dual_mov_b32 v7, 0
	v_mov_b32_e32 v1, 0
	s_wait_xcnt 0x0
	s_and_saveexec_b32 s8, s0
	s_cbranch_execz .LBB352_28
; %bb.11:
	global_load_b32 v13, v[4:5], off offset:7168
	v_or_b32_e32 v1, 0x800, v0
	v_dual_mov_b32 v12, 0 :: v_dual_mov_b32 v11, 0
	v_dual_mov_b32 v10, 0 :: v_dual_mov_b32 v9, 0
	s_delay_alu instid0(VALU_DEP_3)
	v_cmp_gt_u32_e64 s0, s15, v1
	v_dual_mov_b32 v8, 0 :: v_dual_mov_b32 v6, 0
	v_dual_mov_b32 v7, 0 :: v_dual_mov_b32 v1, 0
	s_wait_xcnt 0x0
	s_and_saveexec_b32 s9, s0
	s_cbranch_execz .LBB352_27
; %bb.12:
	global_load_b32 v12, v[4:5], off offset:8192
	v_or_b32_e32 v1, 0x900, v0
	v_dual_mov_b32 v11, 0 :: v_dual_mov_b32 v10, 0
	v_dual_mov_b32 v9, 0 :: v_dual_mov_b32 v8, 0
	s_delay_alu instid0(VALU_DEP_3)
	v_cmp_gt_u32_e64 s0, s15, v1
	v_dual_mov_b32 v6, 0 :: v_dual_mov_b32 v7, 0
	v_mov_b32_e32 v1, 0
	s_wait_xcnt 0x0
	s_and_saveexec_b32 s10, s0
	s_cbranch_execz .LBB352_26
; %bb.13:
	global_load_b32 v11, v[4:5], off offset:9216
	v_or_b32_e32 v1, 0xa00, v0
	v_dual_mov_b32 v10, 0 :: v_dual_mov_b32 v9, 0
	v_dual_mov_b32 v8, 0 :: v_dual_mov_b32 v6, 0
	s_delay_alu instid0(VALU_DEP_3)
	v_cmp_gt_u32_e64 s0, s15, v1
	v_dual_mov_b32 v7, 0 :: v_dual_mov_b32 v1, 0
	s_wait_xcnt 0x0
	s_and_saveexec_b32 s11, s0
	s_cbranch_execz .LBB352_25
; %bb.14:
	global_load_b32 v10, v[4:5], off offset:10240
	v_or_b32_e32 v1, 0xb00, v0
	v_dual_mov_b32 v9, 0 :: v_dual_mov_b32 v8, 0
	v_dual_mov_b32 v6, 0 :: v_dual_mov_b32 v7, 0
	s_delay_alu instid0(VALU_DEP_3)
	v_cmp_gt_u32_e64 s0, s15, v1
	v_mov_b32_e32 v1, 0
	s_wait_xcnt 0x0
	s_and_saveexec_b32 s12, s0
	s_cbranch_execz .LBB352_24
; %bb.15:
	global_load_b32 v9, v[4:5], off offset:11264
	v_or_b32_e32 v1, 0xc00, v0
	v_dual_mov_b32 v8, 0 :: v_dual_mov_b32 v6, 0
	v_mov_b32_e32 v7, 0
	s_delay_alu instid0(VALU_DEP_3)
	v_cmp_gt_u32_e64 s0, s15, v1
	v_mov_b32_e32 v1, 0
	s_wait_xcnt 0x0
	s_and_saveexec_b32 s13, s0
	s_cbranch_execz .LBB352_23
; %bb.16:
	global_load_b32 v8, v[4:5], off offset:12288
	v_or_b32_e32 v1, 0xd00, v0
	v_dual_mov_b32 v6, 0 :: v_dual_mov_b32 v7, 0
	s_delay_alu instid0(VALU_DEP_2)
	v_cmp_gt_u32_e64 s0, s15, v1
	v_mov_b32_e32 v1, 0
	s_wait_xcnt 0x0
	s_and_saveexec_b32 s14, s0
	s_cbranch_execz .LBB352_22
; %bb.17:
	global_load_b32 v6, v[4:5], off offset:13312
	v_or_b32_e32 v1, 0xe00, v0
	v_mov_b32_e32 v7, 0
	s_delay_alu instid0(VALU_DEP_2)
	v_cmp_gt_u32_e64 s0, s15, v1
	v_mov_b32_e32 v1, 0
	s_wait_xcnt 0x0
	s_and_saveexec_b32 s18, s0
	s_cbranch_execz .LBB352_21
; %bb.18:
	global_load_b32 v7, v[4:5], off offset:14336
	v_or_b32_e32 v1, 0xf00, v0
	s_delay_alu instid0(VALU_DEP_1)
	v_cmp_gt_u32_e64 s0, s15, v1
	v_mov_b32_e32 v1, 0
	s_wait_xcnt 0x0
	s_and_saveexec_b32 s19, s0
	s_cbranch_execz .LBB352_20
; %bb.19:
	global_load_b32 v1, v[4:5], off offset:15360
.LBB352_20:
	s_wait_xcnt 0x0
	s_or_b32 exec_lo, exec_lo, s19
.LBB352_21:
	s_delay_alu instid0(SALU_CYCLE_1)
	s_or_b32 exec_lo, exec_lo, s18
.LBB352_22:
	s_delay_alu instid0(SALU_CYCLE_1)
	s_or_b32 exec_lo, exec_lo, s14
.LBB352_23:
	s_delay_alu instid0(SALU_CYCLE_1)
	s_or_b32 exec_lo, exec_lo, s13
.LBB352_24:
	s_delay_alu instid0(SALU_CYCLE_1)
	s_or_b32 exec_lo, exec_lo, s12
.LBB352_25:
	s_delay_alu instid0(SALU_CYCLE_1)
	s_or_b32 exec_lo, exec_lo, s11
.LBB352_26:
	s_delay_alu instid0(SALU_CYCLE_1)
	s_or_b32 exec_lo, exec_lo, s10
.LBB352_27:
	s_delay_alu instid0(SALU_CYCLE_1)
	s_or_b32 exec_lo, exec_lo, s9
.LBB352_28:
	s_delay_alu instid0(SALU_CYCLE_1)
	s_or_b32 exec_lo, exec_lo, s8
.LBB352_29:
	s_delay_alu instid0(SALU_CYCLE_1)
	s_or_b32 exec_lo, exec_lo, s7
.LBB352_30:
	s_delay_alu instid0(SALU_CYCLE_1)
	s_or_b32 exec_lo, exec_lo, s6
.LBB352_31:
	s_delay_alu instid0(SALU_CYCLE_1)
	s_or_b32 exec_lo, exec_lo, s5
.LBB352_32:
	s_delay_alu instid0(SALU_CYCLE_1)
	s_or_b32 exec_lo, exec_lo, s4
	s_wait_loadcnt 0x0
	v_dual_mov_b32 v4, v3 :: v_dual_mov_b32 v3, v2
.LBB352_33:
	s_or_b32 exec_lo, exec_lo, s3
.LBB352_34:
	s_delay_alu instid0(SALU_CYCLE_1)
	s_or_b32 exec_lo, exec_lo, s2
.LBB352_35:
	s_delay_alu instid0(SALU_CYCLE_1)
	s_or_b32 exec_lo, exec_lo, s1
	s_cmp_eq_u32 s21, 0
	s_cselect_b32 s0, -1, 0
	s_and_saveexec_b32 s1, vcc_lo
	s_cbranch_execnz .LBB352_53
; %bb.36:
	s_or_b32 exec_lo, exec_lo, s1
	s_delay_alu instid0(SALU_CYCLE_1)
	s_mov_b32 s1, exec_lo
	v_cmpx_gt_i32_e64 s15, v0
	s_cbranch_execnz .LBB352_54
.LBB352_37:
	s_or_b32 exec_lo, exec_lo, s1
	s_delay_alu instid0(SALU_CYCLE_1)
	s_mov_b32 s1, exec_lo
	v_cmpx_gt_i32_e64 s15, v0
	s_cbranch_execnz .LBB352_55
.LBB352_38:
	s_or_b32 exec_lo, exec_lo, s1
	s_delay_alu instid0(SALU_CYCLE_1)
	s_mov_b32 s1, exec_lo
	v_cmpx_gt_i32_e64 s15, v0
	s_cbranch_execnz .LBB352_56
.LBB352_39:
	s_or_b32 exec_lo, exec_lo, s1
	s_delay_alu instid0(SALU_CYCLE_1)
	s_mov_b32 s1, exec_lo
	v_cmpx_gt_i32_e64 s15, v0
	s_cbranch_execnz .LBB352_57
.LBB352_40:
	s_or_b32 exec_lo, exec_lo, s1
	s_delay_alu instid0(SALU_CYCLE_1)
	s_mov_b32 s1, exec_lo
	v_cmpx_gt_i32_e64 s15, v0
	s_cbranch_execnz .LBB352_58
.LBB352_41:
	s_or_b32 exec_lo, exec_lo, s1
	s_delay_alu instid0(SALU_CYCLE_1)
	s_mov_b32 s1, exec_lo
	v_cmpx_gt_i32_e64 s15, v0
	s_cbranch_execnz .LBB352_59
.LBB352_42:
	s_or_b32 exec_lo, exec_lo, s1
	s_delay_alu instid0(SALU_CYCLE_1)
	s_mov_b32 s1, exec_lo
	v_cmpx_gt_i32_e64 s15, v0
	s_cbranch_execnz .LBB352_60
.LBB352_43:
	s_or_b32 exec_lo, exec_lo, s1
	s_delay_alu instid0(SALU_CYCLE_1)
	s_mov_b32 s1, exec_lo
	v_cmpx_gt_i32_e64 s15, v0
	s_cbranch_execnz .LBB352_61
.LBB352_44:
	s_or_b32 exec_lo, exec_lo, s1
	s_delay_alu instid0(SALU_CYCLE_1)
	s_mov_b32 s1, exec_lo
	v_cmpx_gt_i32_e64 s15, v0
	s_cbranch_execnz .LBB352_62
.LBB352_45:
	s_or_b32 exec_lo, exec_lo, s1
	s_delay_alu instid0(SALU_CYCLE_1)
	s_mov_b32 s1, exec_lo
	v_cmpx_gt_i32_e64 s15, v0
	s_cbranch_execnz .LBB352_63
.LBB352_46:
	s_or_b32 exec_lo, exec_lo, s1
	s_delay_alu instid0(SALU_CYCLE_1)
	s_mov_b32 s1, exec_lo
	v_cmpx_gt_i32_e64 s15, v0
	s_cbranch_execnz .LBB352_64
.LBB352_47:
	s_or_b32 exec_lo, exec_lo, s1
	s_delay_alu instid0(SALU_CYCLE_1)
	s_mov_b32 s1, exec_lo
	v_cmpx_gt_i32_e64 s15, v0
	s_cbranch_execnz .LBB352_65
.LBB352_48:
	s_or_b32 exec_lo, exec_lo, s1
	s_delay_alu instid0(SALU_CYCLE_1)
	s_mov_b32 s1, exec_lo
	v_cmpx_gt_i32_e64 s15, v0
	s_cbranch_execnz .LBB352_66
.LBB352_49:
	s_or_b32 exec_lo, exec_lo, s1
	s_delay_alu instid0(SALU_CYCLE_1)
	s_mov_b32 s1, exec_lo
	v_cmpx_gt_i32_e64 s15, v0
	s_cbranch_execnz .LBB352_67
.LBB352_50:
	s_or_b32 exec_lo, exec_lo, s1
	s_delay_alu instid0(SALU_CYCLE_1)
	s_mov_b32 s1, exec_lo
	v_cmpx_gt_i32_e64 s15, v0
	s_cbranch_execz .LBB352_52
.LBB352_51:
	v_cmp_ne_u32_e32 vcc_lo, s22, v1
	v_add_nc_u32_e32 v0, s24, v0
	s_xor_b32 s0, s0, vcc_lo
	s_delay_alu instid0(SALU_CYCLE_1)
	v_cndmask_b32_e64 v1, 0, 1, s0
	global_store_b8 v0, v1, s[16:17]
.LBB352_52:
	s_endpgm
.LBB352_53:
	s_wait_loadcnt 0x0
	v_cmp_ne_u32_e32 vcc_lo, s22, v20
	v_mov_b32_e32 v0, v17
	s_xor_b32 s2, s0, vcc_lo
	s_delay_alu instid0(SALU_CYCLE_1) | instskip(SKIP_3) | instid1(SALU_CYCLE_1)
	v_cndmask_b32_e64 v2, 0, 1, s2
	global_store_b8 v18, v2, s[16:17]
	s_wait_xcnt 0x0
	s_or_b32 exec_lo, exec_lo, s1
	s_mov_b32 s1, exec_lo
	v_cmpx_gt_i32_e64 s15, v0
	s_cbranch_execz .LBB352_37
.LBB352_54:
	s_wait_loadcnt 0x0
	v_cmp_ne_u32_e32 vcc_lo, s22, v19
	v_add_nc_u32_e32 v5, s24, v0
	v_add_nc_u32_e32 v0, 0x100, v0
	s_xor_b32 s2, s0, vcc_lo
	s_delay_alu instid0(SALU_CYCLE_1) | instskip(SKIP_3) | instid1(SALU_CYCLE_1)
	v_cndmask_b32_e64 v2, 0, 1, s2
	global_store_b8 v5, v2, s[16:17]
	s_wait_xcnt 0x0
	s_or_b32 exec_lo, exec_lo, s1
	s_mov_b32 s1, exec_lo
	v_cmpx_gt_i32_e64 s15, v0
	s_cbranch_execz .LBB352_38
.LBB352_55:
	v_cmp_ne_u32_e32 vcc_lo, s22, v3
	v_add_nc_u32_e32 v3, s24, v0
	v_add_nc_u32_e32 v0, 0x100, v0
	s_xor_b32 s2, s0, vcc_lo
	s_delay_alu instid0(SALU_CYCLE_1) | instskip(SKIP_3) | instid1(SALU_CYCLE_1)
	v_cndmask_b32_e64 v2, 0, 1, s2
	global_store_b8 v3, v2, s[16:17]
	s_wait_xcnt 0x0
	s_or_b32 exec_lo, exec_lo, s1
	s_mov_b32 s1, exec_lo
	v_cmpx_gt_i32_e64 s15, v0
	s_cbranch_execz .LBB352_39
.LBB352_56:
	v_cmp_ne_u32_e32 vcc_lo, s22, v4
	v_add_nc_u32_e32 v3, s24, v0
	v_add_nc_u32_e32 v0, 0x100, v0
	s_xor_b32 s2, s0, vcc_lo
	s_delay_alu instid0(SALU_CYCLE_1) | instskip(SKIP_3) | instid1(SALU_CYCLE_1)
	v_cndmask_b32_e64 v2, 0, 1, s2
	global_store_b8 v3, v2, s[16:17]
	s_wait_xcnt 0x0
	s_or_b32 exec_lo, exec_lo, s1
	s_mov_b32 s1, exec_lo
	v_cmpx_gt_i32_e64 s15, v0
	s_cbranch_execz .LBB352_40
.LBB352_57:
	v_cmp_ne_u32_e32 vcc_lo, s22, v16
	v_add_nc_u32_e32 v3, s24, v0
	v_add_nc_u32_e32 v0, 0x100, v0
	s_xor_b32 s2, s0, vcc_lo
	s_delay_alu instid0(SALU_CYCLE_1) | instskip(SKIP_3) | instid1(SALU_CYCLE_1)
	v_cndmask_b32_e64 v2, 0, 1, s2
	global_store_b8 v3, v2, s[16:17]
	s_wait_xcnt 0x0
	s_or_b32 exec_lo, exec_lo, s1
	s_mov_b32 s1, exec_lo
	v_cmpx_gt_i32_e64 s15, v0
	s_cbranch_execz .LBB352_41
.LBB352_58:
	v_cmp_ne_u32_e32 vcc_lo, s22, v15
	v_add_nc_u32_e32 v3, s24, v0
	v_add_nc_u32_e32 v0, 0x100, v0
	s_xor_b32 s2, s0, vcc_lo
	s_delay_alu instid0(SALU_CYCLE_1) | instskip(SKIP_3) | instid1(SALU_CYCLE_1)
	v_cndmask_b32_e64 v2, 0, 1, s2
	global_store_b8 v3, v2, s[16:17]
	s_wait_xcnt 0x0
	s_or_b32 exec_lo, exec_lo, s1
	s_mov_b32 s1, exec_lo
	v_cmpx_gt_i32_e64 s15, v0
	s_cbranch_execz .LBB352_42
.LBB352_59:
	v_cmp_ne_u32_e32 vcc_lo, s22, v14
	v_add_nc_u32_e32 v3, s24, v0
	v_add_nc_u32_e32 v0, 0x100, v0
	s_xor_b32 s2, s0, vcc_lo
	s_delay_alu instid0(SALU_CYCLE_1) | instskip(SKIP_3) | instid1(SALU_CYCLE_1)
	v_cndmask_b32_e64 v2, 0, 1, s2
	global_store_b8 v3, v2, s[16:17]
	s_wait_xcnt 0x0
	s_or_b32 exec_lo, exec_lo, s1
	s_mov_b32 s1, exec_lo
	v_cmpx_gt_i32_e64 s15, v0
	s_cbranch_execz .LBB352_43
.LBB352_60:
	v_cmp_ne_u32_e32 vcc_lo, s22, v13
	v_add_nc_u32_e32 v3, s24, v0
	v_add_nc_u32_e32 v0, 0x100, v0
	s_xor_b32 s2, s0, vcc_lo
	s_delay_alu instid0(SALU_CYCLE_1) | instskip(SKIP_3) | instid1(SALU_CYCLE_1)
	v_cndmask_b32_e64 v2, 0, 1, s2
	global_store_b8 v3, v2, s[16:17]
	s_wait_xcnt 0x0
	s_or_b32 exec_lo, exec_lo, s1
	s_mov_b32 s1, exec_lo
	v_cmpx_gt_i32_e64 s15, v0
	s_cbranch_execz .LBB352_44
.LBB352_61:
	v_cmp_ne_u32_e32 vcc_lo, s22, v12
	v_add_nc_u32_e32 v3, s24, v0
	v_add_nc_u32_e32 v0, 0x100, v0
	s_xor_b32 s2, s0, vcc_lo
	s_delay_alu instid0(SALU_CYCLE_1) | instskip(SKIP_3) | instid1(SALU_CYCLE_1)
	v_cndmask_b32_e64 v2, 0, 1, s2
	global_store_b8 v3, v2, s[16:17]
	s_wait_xcnt 0x0
	s_or_b32 exec_lo, exec_lo, s1
	s_mov_b32 s1, exec_lo
	v_cmpx_gt_i32_e64 s15, v0
	s_cbranch_execz .LBB352_45
.LBB352_62:
	v_cmp_ne_u32_e32 vcc_lo, s22, v11
	v_add_nc_u32_e32 v3, s24, v0
	v_add_nc_u32_e32 v0, 0x100, v0
	s_xor_b32 s2, s0, vcc_lo
	s_delay_alu instid0(SALU_CYCLE_1) | instskip(SKIP_3) | instid1(SALU_CYCLE_1)
	v_cndmask_b32_e64 v2, 0, 1, s2
	global_store_b8 v3, v2, s[16:17]
	s_wait_xcnt 0x0
	s_or_b32 exec_lo, exec_lo, s1
	s_mov_b32 s1, exec_lo
	v_cmpx_gt_i32_e64 s15, v0
	s_cbranch_execz .LBB352_46
.LBB352_63:
	v_cmp_ne_u32_e32 vcc_lo, s22, v10
	v_add_nc_u32_e32 v3, s24, v0
	v_add_nc_u32_e32 v0, 0x100, v0
	s_xor_b32 s2, s0, vcc_lo
	s_delay_alu instid0(SALU_CYCLE_1) | instskip(SKIP_3) | instid1(SALU_CYCLE_1)
	v_cndmask_b32_e64 v2, 0, 1, s2
	global_store_b8 v3, v2, s[16:17]
	s_wait_xcnt 0x0
	s_or_b32 exec_lo, exec_lo, s1
	s_mov_b32 s1, exec_lo
	v_cmpx_gt_i32_e64 s15, v0
	s_cbranch_execz .LBB352_47
.LBB352_64:
	v_cmp_ne_u32_e32 vcc_lo, s22, v9
	v_add_nc_u32_e32 v3, s24, v0
	v_add_nc_u32_e32 v0, 0x100, v0
	s_xor_b32 s2, s0, vcc_lo
	s_delay_alu instid0(SALU_CYCLE_1) | instskip(SKIP_3) | instid1(SALU_CYCLE_1)
	v_cndmask_b32_e64 v2, 0, 1, s2
	global_store_b8 v3, v2, s[16:17]
	s_wait_xcnt 0x0
	s_or_b32 exec_lo, exec_lo, s1
	s_mov_b32 s1, exec_lo
	v_cmpx_gt_i32_e64 s15, v0
	s_cbranch_execz .LBB352_48
.LBB352_65:
	v_cmp_ne_u32_e32 vcc_lo, s22, v8
	v_add_nc_u32_e32 v3, s24, v0
	v_add_nc_u32_e32 v0, 0x100, v0
	s_xor_b32 s2, s0, vcc_lo
	s_delay_alu instid0(SALU_CYCLE_1) | instskip(SKIP_3) | instid1(SALU_CYCLE_1)
	v_cndmask_b32_e64 v2, 0, 1, s2
	global_store_b8 v3, v2, s[16:17]
	s_wait_xcnt 0x0
	s_or_b32 exec_lo, exec_lo, s1
	s_mov_b32 s1, exec_lo
	v_cmpx_gt_i32_e64 s15, v0
	s_cbranch_execz .LBB352_49
.LBB352_66:
	v_cmp_ne_u32_e32 vcc_lo, s22, v6
	v_add_nc_u32_e32 v3, s24, v0
	v_add_nc_u32_e32 v0, 0x100, v0
	s_xor_b32 s2, s0, vcc_lo
	s_delay_alu instid0(SALU_CYCLE_1) | instskip(SKIP_3) | instid1(SALU_CYCLE_1)
	v_cndmask_b32_e64 v2, 0, 1, s2
	global_store_b8 v3, v2, s[16:17]
	s_wait_xcnt 0x0
	s_or_b32 exec_lo, exec_lo, s1
	s_mov_b32 s1, exec_lo
	v_cmpx_gt_i32_e64 s15, v0
	s_cbranch_execz .LBB352_50
.LBB352_67:
	v_cmp_ne_u32_e32 vcc_lo, s22, v7
	v_add_nc_u32_e32 v3, s24, v0
	v_add_nc_u32_e32 v0, 0x100, v0
	s_xor_b32 s2, s0, vcc_lo
	s_delay_alu instid0(SALU_CYCLE_1) | instskip(SKIP_3) | instid1(SALU_CYCLE_1)
	v_cndmask_b32_e64 v2, 0, 1, s2
	global_store_b8 v3, v2, s[16:17]
	s_wait_xcnt 0x0
	s_or_b32 exec_lo, exec_lo, s1
	s_mov_b32 s1, exec_lo
	v_cmpx_gt_i32_e64 s15, v0
	s_cbranch_execnz .LBB352_51
	s_branch .LBB352_52
	.section	.rodata,"a",@progbits
	.p2align	6, 0x0
	.amdhsa_kernel _ZN2at6native29vectorized_elementwise_kernelILi2ENS0_13AUnaryFunctorIjjbNS0_12_GLOBAL__N_116CompareEqFunctorIjEEEESt5arrayIPcLm2EEEEviT0_T1_
		.amdhsa_group_segment_fixed_size 0
		.amdhsa_private_segment_fixed_size 0
		.amdhsa_kernarg_size 32
		.amdhsa_user_sgpr_count 2
		.amdhsa_user_sgpr_dispatch_ptr 0
		.amdhsa_user_sgpr_queue_ptr 0
		.amdhsa_user_sgpr_kernarg_segment_ptr 1
		.amdhsa_user_sgpr_dispatch_id 0
		.amdhsa_user_sgpr_kernarg_preload_length 0
		.amdhsa_user_sgpr_kernarg_preload_offset 0
		.amdhsa_user_sgpr_private_segment_size 0
		.amdhsa_wavefront_size32 1
		.amdhsa_uses_dynamic_stack 0
		.amdhsa_enable_private_segment 0
		.amdhsa_system_sgpr_workgroup_id_x 1
		.amdhsa_system_sgpr_workgroup_id_y 0
		.amdhsa_system_sgpr_workgroup_id_z 0
		.amdhsa_system_sgpr_workgroup_info 0
		.amdhsa_system_vgpr_workitem_id 0
		.amdhsa_next_free_vgpr 21
		.amdhsa_next_free_sgpr 28
		.amdhsa_named_barrier_count 0
		.amdhsa_reserve_vcc 1
		.amdhsa_float_round_mode_32 0
		.amdhsa_float_round_mode_16_64 0
		.amdhsa_float_denorm_mode_32 3
		.amdhsa_float_denorm_mode_16_64 3
		.amdhsa_fp16_overflow 0
		.amdhsa_memory_ordered 1
		.amdhsa_forward_progress 1
		.amdhsa_inst_pref_size 29
		.amdhsa_round_robin_scheduling 0
		.amdhsa_exception_fp_ieee_invalid_op 0
		.amdhsa_exception_fp_denorm_src 0
		.amdhsa_exception_fp_ieee_div_zero 0
		.amdhsa_exception_fp_ieee_overflow 0
		.amdhsa_exception_fp_ieee_underflow 0
		.amdhsa_exception_fp_ieee_inexact 0
		.amdhsa_exception_int_div_zero 0
	.end_amdhsa_kernel
	.section	.text._ZN2at6native29vectorized_elementwise_kernelILi2ENS0_13AUnaryFunctorIjjbNS0_12_GLOBAL__N_116CompareEqFunctorIjEEEESt5arrayIPcLm2EEEEviT0_T1_,"axG",@progbits,_ZN2at6native29vectorized_elementwise_kernelILi2ENS0_13AUnaryFunctorIjjbNS0_12_GLOBAL__N_116CompareEqFunctorIjEEEESt5arrayIPcLm2EEEEviT0_T1_,comdat
.Lfunc_end352:
	.size	_ZN2at6native29vectorized_elementwise_kernelILi2ENS0_13AUnaryFunctorIjjbNS0_12_GLOBAL__N_116CompareEqFunctorIjEEEESt5arrayIPcLm2EEEEviT0_T1_, .Lfunc_end352-_ZN2at6native29vectorized_elementwise_kernelILi2ENS0_13AUnaryFunctorIjjbNS0_12_GLOBAL__N_116CompareEqFunctorIjEEEESt5arrayIPcLm2EEEEviT0_T1_
                                        ; -- End function
	.set _ZN2at6native29vectorized_elementwise_kernelILi2ENS0_13AUnaryFunctorIjjbNS0_12_GLOBAL__N_116CompareEqFunctorIjEEEESt5arrayIPcLm2EEEEviT0_T1_.num_vgpr, 21
	.set _ZN2at6native29vectorized_elementwise_kernelILi2ENS0_13AUnaryFunctorIjjbNS0_12_GLOBAL__N_116CompareEqFunctorIjEEEESt5arrayIPcLm2EEEEviT0_T1_.num_agpr, 0
	.set _ZN2at6native29vectorized_elementwise_kernelILi2ENS0_13AUnaryFunctorIjjbNS0_12_GLOBAL__N_116CompareEqFunctorIjEEEESt5arrayIPcLm2EEEEviT0_T1_.numbered_sgpr, 28
	.set _ZN2at6native29vectorized_elementwise_kernelILi2ENS0_13AUnaryFunctorIjjbNS0_12_GLOBAL__N_116CompareEqFunctorIjEEEESt5arrayIPcLm2EEEEviT0_T1_.num_named_barrier, 0
	.set _ZN2at6native29vectorized_elementwise_kernelILi2ENS0_13AUnaryFunctorIjjbNS0_12_GLOBAL__N_116CompareEqFunctorIjEEEESt5arrayIPcLm2EEEEviT0_T1_.private_seg_size, 0
	.set _ZN2at6native29vectorized_elementwise_kernelILi2ENS0_13AUnaryFunctorIjjbNS0_12_GLOBAL__N_116CompareEqFunctorIjEEEESt5arrayIPcLm2EEEEviT0_T1_.uses_vcc, 1
	.set _ZN2at6native29vectorized_elementwise_kernelILi2ENS0_13AUnaryFunctorIjjbNS0_12_GLOBAL__N_116CompareEqFunctorIjEEEESt5arrayIPcLm2EEEEviT0_T1_.uses_flat_scratch, 0
	.set _ZN2at6native29vectorized_elementwise_kernelILi2ENS0_13AUnaryFunctorIjjbNS0_12_GLOBAL__N_116CompareEqFunctorIjEEEESt5arrayIPcLm2EEEEviT0_T1_.has_dyn_sized_stack, 0
	.set _ZN2at6native29vectorized_elementwise_kernelILi2ENS0_13AUnaryFunctorIjjbNS0_12_GLOBAL__N_116CompareEqFunctorIjEEEESt5arrayIPcLm2EEEEviT0_T1_.has_recursion, 0
	.set _ZN2at6native29vectorized_elementwise_kernelILi2ENS0_13AUnaryFunctorIjjbNS0_12_GLOBAL__N_116CompareEqFunctorIjEEEESt5arrayIPcLm2EEEEviT0_T1_.has_indirect_call, 0
	.section	.AMDGPU.csdata,"",@progbits
; Kernel info:
; codeLenInByte = 3632
; TotalNumSgprs: 30
; NumVgprs: 21
; ScratchSize: 0
; MemoryBound: 0
; FloatMode: 240
; IeeeMode: 1
; LDSByteSize: 0 bytes/workgroup (compile time only)
; SGPRBlocks: 0
; VGPRBlocks: 1
; NumSGPRsForWavesPerEU: 30
; NumVGPRsForWavesPerEU: 21
; NamedBarCnt: 0
; Occupancy: 16
; WaveLimiterHint : 1
; COMPUTE_PGM_RSRC2:SCRATCH_EN: 0
; COMPUTE_PGM_RSRC2:USER_SGPR: 2
; COMPUTE_PGM_RSRC2:TRAP_HANDLER: 0
; COMPUTE_PGM_RSRC2:TGID_X_EN: 1
; COMPUTE_PGM_RSRC2:TGID_Y_EN: 0
; COMPUTE_PGM_RSRC2:TGID_Z_EN: 0
; COMPUTE_PGM_RSRC2:TIDIG_COMP_CNT: 0
	.section	.text._ZN2at6native27unrolled_elementwise_kernelINS0_13AUnaryFunctorIjjbNS0_12_GLOBAL__N_116CompareEqFunctorIjEEEESt5arrayIPcLm2EELi4E23TrivialOffsetCalculatorILi1EjESB_NS0_6memory15LoadWithoutCastENSC_16StoreWithoutCastEEEviT_T0_T2_T3_T4_T5_,"axG",@progbits,_ZN2at6native27unrolled_elementwise_kernelINS0_13AUnaryFunctorIjjbNS0_12_GLOBAL__N_116CompareEqFunctorIjEEEESt5arrayIPcLm2EELi4E23TrivialOffsetCalculatorILi1EjESB_NS0_6memory15LoadWithoutCastENSC_16StoreWithoutCastEEEviT_T0_T2_T3_T4_T5_,comdat
	.globl	_ZN2at6native27unrolled_elementwise_kernelINS0_13AUnaryFunctorIjjbNS0_12_GLOBAL__N_116CompareEqFunctorIjEEEESt5arrayIPcLm2EELi4E23TrivialOffsetCalculatorILi1EjESB_NS0_6memory15LoadWithoutCastENSC_16StoreWithoutCastEEEviT_T0_T2_T3_T4_T5_ ; -- Begin function _ZN2at6native27unrolled_elementwise_kernelINS0_13AUnaryFunctorIjjbNS0_12_GLOBAL__N_116CompareEqFunctorIjEEEESt5arrayIPcLm2EELi4E23TrivialOffsetCalculatorILi1EjESB_NS0_6memory15LoadWithoutCastENSC_16StoreWithoutCastEEEviT_T0_T2_T3_T4_T5_
	.p2align	8
	.type	_ZN2at6native27unrolled_elementwise_kernelINS0_13AUnaryFunctorIjjbNS0_12_GLOBAL__N_116CompareEqFunctorIjEEEESt5arrayIPcLm2EELi4E23TrivialOffsetCalculatorILi1EjESB_NS0_6memory15LoadWithoutCastENSC_16StoreWithoutCastEEEviT_T0_T2_T3_T4_T5_,@function
_ZN2at6native27unrolled_elementwise_kernelINS0_13AUnaryFunctorIjjbNS0_12_GLOBAL__N_116CompareEqFunctorIjEEEESt5arrayIPcLm2EELi4E23TrivialOffsetCalculatorILi1EjESB_NS0_6memory15LoadWithoutCastENSC_16StoreWithoutCastEEEviT_T0_T2_T3_T4_T5_: ; @_ZN2at6native27unrolled_elementwise_kernelINS0_13AUnaryFunctorIjjbNS0_12_GLOBAL__N_116CompareEqFunctorIjEEEESt5arrayIPcLm2EELi4E23TrivialOffsetCalculatorILi1EjESB_NS0_6memory15LoadWithoutCastENSC_16StoreWithoutCastEEEviT_T0_T2_T3_T4_T5_
; %bb.0:
	s_clause 0x1
	s_load_b96 s[8:10], s[0:1], 0x0
	s_load_b128 s[4:7], s[0:1], 0x10
	s_bfe_u32 s3, ttmp6, 0x4000c
	s_and_b32 s2, ttmp6, 15
	s_add_co_i32 s3, s3, 1
	s_wait_xcnt 0x0
	s_getreg_b32 s0, hwreg(HW_REG_IB_STS2, 6, 4)
	s_mul_i32 s1, ttmp9, s3
	v_dual_mov_b32 v3, 0 :: v_dual_mov_b32 v4, 0
	s_add_co_i32 s2, s2, s1
	s_cmp_eq_u32 s0, 0
	v_or_b32_e32 v1, 0x100, v0
	s_cselect_b32 s0, ttmp9, s2
	v_mov_b32_e32 v6, 0
	s_lshl_b32 s2, s0, 10
	s_delay_alu instid0(SALU_CYCLE_1) | instskip(SKIP_2) | instid1(SALU_CYCLE_1)
	v_dual_mov_b32 v5, 0 :: v_dual_bitop2_b32 v2, s2, v0 bitop3:0x54
	s_wait_kmcnt 0x0
	s_sub_co_i32 s3, s8, s2
	v_cmp_gt_i32_e32 vcc_lo, s3, v0
	s_and_saveexec_b32 s1, vcc_lo
	s_cbranch_execz .LBB353_8
; %bb.1:
	global_load_b32 v6, v2, s[6:7] scale_offset
	v_dual_mov_b32 v5, 0 :: v_dual_mov_b32 v4, 0
	v_mov_b32_e32 v3, 0
	s_mov_b32 s8, exec_lo
	s_wait_xcnt 0x0
	v_cmpx_gt_u32_e64 s3, v1
	s_cbranch_execz .LBB353_7
; %bb.2:
	v_dual_mov_b32 v4, 0 :: v_dual_add_nc_u32 v3, s2, v1
	v_or_b32_e32 v7, 0x200, v0
	s_mov_b32 s11, exec_lo
	global_load_b32 v5, v3, s[6:7] scale_offset
	s_wait_xcnt 0x0
	v_mov_b32_e32 v3, 0
	v_cmpx_gt_u32_e64 s3, v7
	s_cbranch_execz .LBB353_6
; %bb.3:
	v_add_nc_u32_e32 v3, s2, v7
	v_or_b32_e32 v7, 0x300, v0
	s_mov_b32 s12, exec_lo
	global_load_b32 v4, v3, s[6:7] scale_offset
	s_wait_xcnt 0x0
	v_mov_b32_e32 v3, 0
	v_cmpx_gt_u32_e64 s3, v7
	s_cbranch_execz .LBB353_5
; %bb.4:
	v_add_nc_u32_e32 v3, s2, v7
	global_load_b32 v3, v3, s[6:7] scale_offset
.LBB353_5:
	s_wait_xcnt 0x0
	s_or_b32 exec_lo, exec_lo, s12
.LBB353_6:
	s_delay_alu instid0(SALU_CYCLE_1)
	s_or_b32 exec_lo, exec_lo, s11
.LBB353_7:
	s_delay_alu instid0(SALU_CYCLE_1)
	s_or_b32 exec_lo, exec_lo, s8
.LBB353_8:
	s_delay_alu instid0(SALU_CYCLE_1)
	s_or_b32 exec_lo, exec_lo, s1
	s_wait_loadcnt 0x0
	v_cmp_ne_u32_e64 s0, s10, v6
	s_cmp_eq_u32 s9, 0
	v_cmp_ne_u32_e64 s1, s10, v5
	s_cselect_b32 s6, -1, 0
	s_delay_alu instid0(SALU_CYCLE_1) | instskip(NEXT) | instid1(SALU_CYCLE_1)
	s_xor_b32 s0, s6, s0
	v_cndmask_b32_e64 v5, 0, 1, s0
	s_xor_b32 s0, s6, s1
	s_delay_alu instid0(SALU_CYCLE_1) | instskip(SKIP_1) | instid1(VALU_DEP_3)
	v_cndmask_b32_e64 v6, 0, 1, s0
	v_cmp_ne_u32_e64 s0, s10, v4
	v_cndmask_b32_e32 v5, 0, v5, vcc_lo
	s_delay_alu instid0(VALU_DEP_3) | instskip(SKIP_1) | instid1(VALU_DEP_1)
	v_lshlrev_b16 v6, 8, v6
	s_xor_b32 s0, s6, s0
	v_or_b32_e32 v4, v5, v6
	v_cndmask_b32_e64 v6, 0, 1, s0
	v_cmp_gt_i32_e64 s0, s3, v1
	s_delay_alu instid0(VALU_DEP_3) | instskip(NEXT) | instid1(VALU_DEP_1)
	v_and_b32_e32 v4, 0xffff, v4
	v_dual_lshlrev_b32 v6, 16, v6 :: v_dual_cndmask_b32 v4, v5, v4, s0
	v_or_b32_e32 v5, 0x200, v0
	v_cmp_ne_u32_e64 s0, s10, v3
	s_delay_alu instid0(VALU_DEP_3) | instskip(NEXT) | instid1(VALU_DEP_3)
	v_or_b32_e32 v6, v4, v6
	v_cmp_gt_i32_e64 s1, s3, v5
	s_xor_b32 s0, s6, s0
	v_cndmask_b32_e64 v3, v4, v6, s1
	v_cndmask_b32_e64 v4, 0, 1, s0
	s_delay_alu instid0(VALU_DEP_2) | instskip(NEXT) | instid1(VALU_DEP_2)
	v_lshrrev_b32_e32 v5, 16, v3
	v_lshlrev_b16 v4, 8, v4
	s_delay_alu instid0(VALU_DEP_1) | instskip(SKIP_1) | instid1(VALU_DEP_2)
	v_bitop3_b16 v4, v5, v4, 0xff bitop3:0xec
	v_or_b32_e32 v5, 0x300, v0
	v_lshlrev_b32_e32 v4, 16, v4
	s_delay_alu instid0(VALU_DEP_2) | instskip(NEXT) | instid1(VALU_DEP_2)
	v_cmp_gt_i32_e64 s0, s3, v5
	v_and_or_b32 v4, 0xffff, v3, v4
	s_delay_alu instid0(VALU_DEP_1)
	v_cndmask_b32_e64 v3, v3, v4, s0
	s_and_saveexec_b32 s0, vcc_lo
	s_cbranch_execnz .LBB353_13
; %bb.9:
	s_or_b32 exec_lo, exec_lo, s0
	s_delay_alu instid0(SALU_CYCLE_1)
	s_mov_b32 s0, exec_lo
	v_cmpx_gt_i32_e64 s3, v0
	s_cbranch_execnz .LBB353_14
.LBB353_10:
	s_or_b32 exec_lo, exec_lo, s0
	s_delay_alu instid0(SALU_CYCLE_1)
	s_mov_b32 s0, exec_lo
	v_cmpx_gt_i32_e64 s3, v0
	s_cbranch_execnz .LBB353_15
.LBB353_11:
	s_or_b32 exec_lo, exec_lo, s0
	s_delay_alu instid0(SALU_CYCLE_1)
	s_mov_b32 s0, exec_lo
	v_cmpx_gt_i32_e64 s3, v0
	s_cbranch_execnz .LBB353_16
.LBB353_12:
	s_endpgm
.LBB353_13:
	v_mov_b32_e32 v0, v1
	global_store_b8 v2, v3, s[4:5]
	s_wait_xcnt 0x0
	s_or_b32 exec_lo, exec_lo, s0
	s_delay_alu instid0(SALU_CYCLE_1)
	s_mov_b32 s0, exec_lo
	v_cmpx_gt_i32_e64 s3, v0
	s_cbranch_execz .LBB353_10
.LBB353_14:
	v_add_nc_u32_e32 v1, 0x100, v0
	v_dual_add_nc_u32 v2, s2, v0 :: v_dual_lshrrev_b32 v4, 8, v3
	s_delay_alu instid0(VALU_DEP_2) | instskip(SKIP_3) | instid1(SALU_CYCLE_1)
	v_mov_b32_e32 v0, v1
	global_store_b8 v2, v4, s[4:5]
	s_wait_xcnt 0x0
	s_or_b32 exec_lo, exec_lo, s0
	s_mov_b32 s0, exec_lo
	v_cmpx_gt_i32_e64 s3, v0
	s_cbranch_execz .LBB353_11
.LBB353_15:
	v_add_nc_u32_e32 v1, 0x100, v0
	s_delay_alu instid0(VALU_DEP_1) | instskip(SKIP_3) | instid1(SALU_CYCLE_1)
	v_dual_add_nc_u32 v2, s2, v0 :: v_dual_mov_b32 v0, v1
	global_store_d16_hi_b8 v2, v3, s[4:5]
	s_wait_xcnt 0x0
	s_or_b32 exec_lo, exec_lo, s0
	s_mov_b32 s0, exec_lo
	v_cmpx_gt_i32_e64 s3, v0
	s_cbranch_execz .LBB353_12
.LBB353_16:
	v_dual_add_nc_u32 v0, s2, v0 :: v_dual_lshrrev_b32 v1, 24, v3
	global_store_b8 v0, v1, s[4:5]
	s_endpgm
	.section	.rodata,"a",@progbits
	.p2align	6, 0x0
	.amdhsa_kernel _ZN2at6native27unrolled_elementwise_kernelINS0_13AUnaryFunctorIjjbNS0_12_GLOBAL__N_116CompareEqFunctorIjEEEESt5arrayIPcLm2EELi4E23TrivialOffsetCalculatorILi1EjESB_NS0_6memory15LoadWithoutCastENSC_16StoreWithoutCastEEEviT_T0_T2_T3_T4_T5_
		.amdhsa_group_segment_fixed_size 0
		.amdhsa_private_segment_fixed_size 0
		.amdhsa_kernarg_size 36
		.amdhsa_user_sgpr_count 2
		.amdhsa_user_sgpr_dispatch_ptr 0
		.amdhsa_user_sgpr_queue_ptr 0
		.amdhsa_user_sgpr_kernarg_segment_ptr 1
		.amdhsa_user_sgpr_dispatch_id 0
		.amdhsa_user_sgpr_kernarg_preload_length 0
		.amdhsa_user_sgpr_kernarg_preload_offset 0
		.amdhsa_user_sgpr_private_segment_size 0
		.amdhsa_wavefront_size32 1
		.amdhsa_uses_dynamic_stack 0
		.amdhsa_enable_private_segment 0
		.amdhsa_system_sgpr_workgroup_id_x 1
		.amdhsa_system_sgpr_workgroup_id_y 0
		.amdhsa_system_sgpr_workgroup_id_z 0
		.amdhsa_system_sgpr_workgroup_info 0
		.amdhsa_system_vgpr_workitem_id 0
		.amdhsa_next_free_vgpr 8
		.amdhsa_next_free_sgpr 13
		.amdhsa_named_barrier_count 0
		.amdhsa_reserve_vcc 1
		.amdhsa_float_round_mode_32 0
		.amdhsa_float_round_mode_16_64 0
		.amdhsa_float_denorm_mode_32 3
		.amdhsa_float_denorm_mode_16_64 3
		.amdhsa_fp16_overflow 0
		.amdhsa_memory_ordered 1
		.amdhsa_forward_progress 1
		.amdhsa_inst_pref_size 7
		.amdhsa_round_robin_scheduling 0
		.amdhsa_exception_fp_ieee_invalid_op 0
		.amdhsa_exception_fp_denorm_src 0
		.amdhsa_exception_fp_ieee_div_zero 0
		.amdhsa_exception_fp_ieee_overflow 0
		.amdhsa_exception_fp_ieee_underflow 0
		.amdhsa_exception_fp_ieee_inexact 0
		.amdhsa_exception_int_div_zero 0
	.end_amdhsa_kernel
	.section	.text._ZN2at6native27unrolled_elementwise_kernelINS0_13AUnaryFunctorIjjbNS0_12_GLOBAL__N_116CompareEqFunctorIjEEEESt5arrayIPcLm2EELi4E23TrivialOffsetCalculatorILi1EjESB_NS0_6memory15LoadWithoutCastENSC_16StoreWithoutCastEEEviT_T0_T2_T3_T4_T5_,"axG",@progbits,_ZN2at6native27unrolled_elementwise_kernelINS0_13AUnaryFunctorIjjbNS0_12_GLOBAL__N_116CompareEqFunctorIjEEEESt5arrayIPcLm2EELi4E23TrivialOffsetCalculatorILi1EjESB_NS0_6memory15LoadWithoutCastENSC_16StoreWithoutCastEEEviT_T0_T2_T3_T4_T5_,comdat
.Lfunc_end353:
	.size	_ZN2at6native27unrolled_elementwise_kernelINS0_13AUnaryFunctorIjjbNS0_12_GLOBAL__N_116CompareEqFunctorIjEEEESt5arrayIPcLm2EELi4E23TrivialOffsetCalculatorILi1EjESB_NS0_6memory15LoadWithoutCastENSC_16StoreWithoutCastEEEviT_T0_T2_T3_T4_T5_, .Lfunc_end353-_ZN2at6native27unrolled_elementwise_kernelINS0_13AUnaryFunctorIjjbNS0_12_GLOBAL__N_116CompareEqFunctorIjEEEESt5arrayIPcLm2EELi4E23TrivialOffsetCalculatorILi1EjESB_NS0_6memory15LoadWithoutCastENSC_16StoreWithoutCastEEEviT_T0_T2_T3_T4_T5_
                                        ; -- End function
	.set _ZN2at6native27unrolled_elementwise_kernelINS0_13AUnaryFunctorIjjbNS0_12_GLOBAL__N_116CompareEqFunctorIjEEEESt5arrayIPcLm2EELi4E23TrivialOffsetCalculatorILi1EjESB_NS0_6memory15LoadWithoutCastENSC_16StoreWithoutCastEEEviT_T0_T2_T3_T4_T5_.num_vgpr, 8
	.set _ZN2at6native27unrolled_elementwise_kernelINS0_13AUnaryFunctorIjjbNS0_12_GLOBAL__N_116CompareEqFunctorIjEEEESt5arrayIPcLm2EELi4E23TrivialOffsetCalculatorILi1EjESB_NS0_6memory15LoadWithoutCastENSC_16StoreWithoutCastEEEviT_T0_T2_T3_T4_T5_.num_agpr, 0
	.set _ZN2at6native27unrolled_elementwise_kernelINS0_13AUnaryFunctorIjjbNS0_12_GLOBAL__N_116CompareEqFunctorIjEEEESt5arrayIPcLm2EELi4E23TrivialOffsetCalculatorILi1EjESB_NS0_6memory15LoadWithoutCastENSC_16StoreWithoutCastEEEviT_T0_T2_T3_T4_T5_.numbered_sgpr, 13
	.set _ZN2at6native27unrolled_elementwise_kernelINS0_13AUnaryFunctorIjjbNS0_12_GLOBAL__N_116CompareEqFunctorIjEEEESt5arrayIPcLm2EELi4E23TrivialOffsetCalculatorILi1EjESB_NS0_6memory15LoadWithoutCastENSC_16StoreWithoutCastEEEviT_T0_T2_T3_T4_T5_.num_named_barrier, 0
	.set _ZN2at6native27unrolled_elementwise_kernelINS0_13AUnaryFunctorIjjbNS0_12_GLOBAL__N_116CompareEqFunctorIjEEEESt5arrayIPcLm2EELi4E23TrivialOffsetCalculatorILi1EjESB_NS0_6memory15LoadWithoutCastENSC_16StoreWithoutCastEEEviT_T0_T2_T3_T4_T5_.private_seg_size, 0
	.set _ZN2at6native27unrolled_elementwise_kernelINS0_13AUnaryFunctorIjjbNS0_12_GLOBAL__N_116CompareEqFunctorIjEEEESt5arrayIPcLm2EELi4E23TrivialOffsetCalculatorILi1EjESB_NS0_6memory15LoadWithoutCastENSC_16StoreWithoutCastEEEviT_T0_T2_T3_T4_T5_.uses_vcc, 1
	.set _ZN2at6native27unrolled_elementwise_kernelINS0_13AUnaryFunctorIjjbNS0_12_GLOBAL__N_116CompareEqFunctorIjEEEESt5arrayIPcLm2EELi4E23TrivialOffsetCalculatorILi1EjESB_NS0_6memory15LoadWithoutCastENSC_16StoreWithoutCastEEEviT_T0_T2_T3_T4_T5_.uses_flat_scratch, 0
	.set _ZN2at6native27unrolled_elementwise_kernelINS0_13AUnaryFunctorIjjbNS0_12_GLOBAL__N_116CompareEqFunctorIjEEEESt5arrayIPcLm2EELi4E23TrivialOffsetCalculatorILi1EjESB_NS0_6memory15LoadWithoutCastENSC_16StoreWithoutCastEEEviT_T0_T2_T3_T4_T5_.has_dyn_sized_stack, 0
	.set _ZN2at6native27unrolled_elementwise_kernelINS0_13AUnaryFunctorIjjbNS0_12_GLOBAL__N_116CompareEqFunctorIjEEEESt5arrayIPcLm2EELi4E23TrivialOffsetCalculatorILi1EjESB_NS0_6memory15LoadWithoutCastENSC_16StoreWithoutCastEEEviT_T0_T2_T3_T4_T5_.has_recursion, 0
	.set _ZN2at6native27unrolled_elementwise_kernelINS0_13AUnaryFunctorIjjbNS0_12_GLOBAL__N_116CompareEqFunctorIjEEEESt5arrayIPcLm2EELi4E23TrivialOffsetCalculatorILi1EjESB_NS0_6memory15LoadWithoutCastENSC_16StoreWithoutCastEEEviT_T0_T2_T3_T4_T5_.has_indirect_call, 0
	.section	.AMDGPU.csdata,"",@progbits
; Kernel info:
; codeLenInByte = 856
; TotalNumSgprs: 15
; NumVgprs: 8
; ScratchSize: 0
; MemoryBound: 0
; FloatMode: 240
; IeeeMode: 1
; LDSByteSize: 0 bytes/workgroup (compile time only)
; SGPRBlocks: 0
; VGPRBlocks: 0
; NumSGPRsForWavesPerEU: 15
; NumVGPRsForWavesPerEU: 8
; NamedBarCnt: 0
; Occupancy: 16
; WaveLimiterHint : 0
; COMPUTE_PGM_RSRC2:SCRATCH_EN: 0
; COMPUTE_PGM_RSRC2:USER_SGPR: 2
; COMPUTE_PGM_RSRC2:TRAP_HANDLER: 0
; COMPUTE_PGM_RSRC2:TGID_X_EN: 1
; COMPUTE_PGM_RSRC2:TGID_Y_EN: 0
; COMPUTE_PGM_RSRC2:TGID_Z_EN: 0
; COMPUTE_PGM_RSRC2:TIDIG_COMP_CNT: 0
	.section	.text._ZN2at6native32elementwise_kernel_manual_unrollILi128ELi8EZNS0_22gpu_kernel_impl_nocastINS0_13AUnaryFunctorIjjbNS0_12_GLOBAL__N_116CompareEqFunctorIjEEEEEEvRNS_18TensorIteratorBaseERKT_EUlibE_EEviT1_,"axG",@progbits,_ZN2at6native32elementwise_kernel_manual_unrollILi128ELi8EZNS0_22gpu_kernel_impl_nocastINS0_13AUnaryFunctorIjjbNS0_12_GLOBAL__N_116CompareEqFunctorIjEEEEEEvRNS_18TensorIteratorBaseERKT_EUlibE_EEviT1_,comdat
	.globl	_ZN2at6native32elementwise_kernel_manual_unrollILi128ELi8EZNS0_22gpu_kernel_impl_nocastINS0_13AUnaryFunctorIjjbNS0_12_GLOBAL__N_116CompareEqFunctorIjEEEEEEvRNS_18TensorIteratorBaseERKT_EUlibE_EEviT1_ ; -- Begin function _ZN2at6native32elementwise_kernel_manual_unrollILi128ELi8EZNS0_22gpu_kernel_impl_nocastINS0_13AUnaryFunctorIjjbNS0_12_GLOBAL__N_116CompareEqFunctorIjEEEEEEvRNS_18TensorIteratorBaseERKT_EUlibE_EEviT1_
	.p2align	8
	.type	_ZN2at6native32elementwise_kernel_manual_unrollILi128ELi8EZNS0_22gpu_kernel_impl_nocastINS0_13AUnaryFunctorIjjbNS0_12_GLOBAL__N_116CompareEqFunctorIjEEEEEEvRNS_18TensorIteratorBaseERKT_EUlibE_EEviT1_,@function
_ZN2at6native32elementwise_kernel_manual_unrollILi128ELi8EZNS0_22gpu_kernel_impl_nocastINS0_13AUnaryFunctorIjjbNS0_12_GLOBAL__N_116CompareEqFunctorIjEEEEEEvRNS_18TensorIteratorBaseERKT_EUlibE_EEviT1_: ; @_ZN2at6native32elementwise_kernel_manual_unrollILi128ELi8EZNS0_22gpu_kernel_impl_nocastINS0_13AUnaryFunctorIjjbNS0_12_GLOBAL__N_116CompareEqFunctorIjEEEEEEvRNS_18TensorIteratorBaseERKT_EUlibE_EEviT1_
; %bb.0:
	s_clause 0x1
	s_load_b32 s30, s[0:1], 0x8
	s_load_b32 s36, s[0:1], 0x0
	s_bfe_u32 s2, ttmp6, 0x4000c
	s_and_b32 s3, ttmp6, 15
	s_add_co_i32 s2, s2, 1
	s_getreg_b32 s4, hwreg(HW_REG_IB_STS2, 6, 4)
	s_mul_i32 s2, ttmp9, s2
	s_add_nc_u64 s[12:13], s[0:1], 8
	s_add_co_i32 s3, s3, s2
	s_cmp_eq_u32 s4, 0
	s_mov_b32 s19, 0
	s_cselect_b32 s2, ttmp9, s3
	s_wait_xcnt 0x0
	s_mov_b32 s0, exec_lo
	v_lshl_or_b32 v0, s2, 10, v0
	s_delay_alu instid0(VALU_DEP_1) | instskip(SKIP_2) | instid1(SALU_CYCLE_1)
	v_or_b32_e32 v16, 0x380, v0
	s_wait_kmcnt 0x0
	s_add_co_i32 s31, s30, -1
	s_cmp_gt_u32 s31, 1
	s_cselect_b32 s33, -1, 0
	v_cmpx_le_i32_e64 s36, v16
	s_xor_b32 s34, exec_lo, s0
	s_cbranch_execz .LBB354_7
; %bb.1:
	s_clause 0x4
	s_load_b128 s[4:7], s[12:13], 0x4
	s_load_b64 s[16:17], s[12:13], 0x14
	s_load_b64 s[14:15], s[12:13], 0x158
	s_load_b128 s[8:11], s[12:13], 0xc4
	s_load_b128 s[0:3], s[12:13], 0x148
	s_cmp_lg_u32 s30, 0
	s_add_nc_u64 s[22:23], s[12:13], 0xc4
	s_cselect_b32 s38, -1, 0
	s_min_u32 s37, s31, 15
	s_cmp_gt_u32 s30, 1
	s_mov_b32 s21, s19
	s_cselect_b32 s35, -1, 0
	s_wait_kmcnt 0x0
	s_mov_b32 s18, s5
	s_mov_b32 s20, s16
	s_cmp_eq_u32 s14, 0
	s_mov_b32 s14, exec_lo
	s_cselect_b32 s5, -1, 0
	v_cmpx_gt_i32_e64 s36, v0
	s_cbranch_execz .LBB354_14
; %bb.2:
	s_and_not1_b32 vcc_lo, exec_lo, s33
	s_cbranch_vccnz .LBB354_21
; %bb.3:
	s_and_not1_b32 vcc_lo, exec_lo, s38
	s_cbranch_vccnz .LBB354_129
; %bb.4:
	s_add_co_i32 s16, s37, 1
	s_cmp_eq_u32 s31, 2
	s_cbranch_scc1 .LBB354_131
; %bb.5:
	v_dual_mov_b32 v2, 0 :: v_dual_mov_b32 v3, 0
	v_mov_b32_e32 v1, v0
	s_and_b32 s24, s16, 28
	s_mov_b32 s25, 0
	s_mov_b64 s[26:27], s[12:13]
	s_mov_b64 s[28:29], s[22:23]
.LBB354_6:                              ; =>This Inner Loop Header: Depth=1
	s_clause 0x1
	s_load_b256 s[40:47], s[26:27], 0x4
	s_load_b128 s[56:59], s[26:27], 0x24
	s_load_b256 s[48:55], s[28:29], 0x0
	s_add_co_i32 s25, s25, 4
	s_wait_xcnt 0x0
	s_add_nc_u64 s[26:27], s[26:27], 48
	s_cmp_lg_u32 s24, s25
	s_add_nc_u64 s[28:29], s[28:29], 32
	s_wait_kmcnt 0x0
	v_mul_hi_u32 v4, s41, v1
	s_delay_alu instid0(VALU_DEP_1) | instskip(NEXT) | instid1(VALU_DEP_1)
	v_add_nc_u32_e32 v4, v1, v4
	v_lshrrev_b32_e32 v4, s42, v4
	s_delay_alu instid0(VALU_DEP_1) | instskip(NEXT) | instid1(VALU_DEP_1)
	v_mul_hi_u32 v5, s44, v4
	v_add_nc_u32_e32 v5, v4, v5
	s_delay_alu instid0(VALU_DEP_1) | instskip(NEXT) | instid1(VALU_DEP_1)
	v_lshrrev_b32_e32 v5, s45, v5
	v_mul_hi_u32 v6, s47, v5
	s_delay_alu instid0(VALU_DEP_1) | instskip(SKIP_1) | instid1(VALU_DEP_1)
	v_add_nc_u32_e32 v6, v5, v6
	v_mul_lo_u32 v7, v4, s40
	v_sub_nc_u32_e32 v1, v1, v7
	v_mul_lo_u32 v7, v5, s43
	s_delay_alu instid0(VALU_DEP_4) | instskip(NEXT) | instid1(VALU_DEP_3)
	v_lshrrev_b32_e32 v6, s56, v6
	v_mad_u32 v3, v1, s49, v3
	v_mad_u32 v1, v1, s48, v2
	s_delay_alu instid0(VALU_DEP_4) | instskip(NEXT) | instid1(VALU_DEP_4)
	v_sub_nc_u32_e32 v2, v4, v7
	v_mul_hi_u32 v8, s58, v6
	v_mul_lo_u32 v4, v6, s46
	s_delay_alu instid0(VALU_DEP_3) | instskip(SKIP_1) | instid1(VALU_DEP_4)
	v_mad_u32 v3, v2, s51, v3
	v_mad_u32 v2, v2, s50, v1
	v_add_nc_u32_e32 v7, v6, v8
	s_delay_alu instid0(VALU_DEP_1) | instskip(NEXT) | instid1(VALU_DEP_1)
	v_dual_sub_nc_u32 v4, v5, v4 :: v_dual_lshrrev_b32 v1, s59, v7
	v_mad_u32 v3, v4, s53, v3
	s_delay_alu instid0(VALU_DEP_4) | instskip(NEXT) | instid1(VALU_DEP_3)
	v_mad_u32 v2, v4, s52, v2
	v_mul_lo_u32 v5, v1, s57
	s_delay_alu instid0(VALU_DEP_1) | instskip(NEXT) | instid1(VALU_DEP_1)
	v_sub_nc_u32_e32 v4, v6, v5
	v_mad_u32 v3, v4, s55, v3
	s_delay_alu instid0(VALU_DEP_4)
	v_mad_u32 v2, v4, s54, v2
	s_cbranch_scc1 .LBB354_6
	s_branch .LBB354_132
.LBB354_7:
	s_and_not1_saveexec_b32 s0, s34
	s_cbranch_execz .LBB354_221
.LBB354_8:
	v_cndmask_b32_e64 v14, 0, 1, s33
	s_and_not1_b32 vcc_lo, exec_lo, s33
	s_cbranch_vccnz .LBB354_20
; %bb.9:
	s_cmp_lg_u32 s30, 0
	s_mov_b32 s6, 0
	s_cbranch_scc0 .LBB354_23
; %bb.10:
	s_min_u32 s1, s31, 15
	s_delay_alu instid0(SALU_CYCLE_1)
	s_add_co_i32 s1, s1, 1
	s_cmp_eq_u32 s31, 2
	s_cbranch_scc1 .LBB354_24
; %bb.11:
	v_dual_mov_b32 v2, 0 :: v_dual_mov_b32 v3, 0
	v_mov_b32_e32 v1, v0
	s_and_b32 s0, s1, 28
	s_add_nc_u64 s[2:3], s[12:13], 0xc4
	s_mov_b32 s7, 0
	s_mov_b64 s[4:5], s[12:13]
.LBB354_12:                             ; =>This Inner Loop Header: Depth=1
	s_clause 0x1
	s_load_b256 s[16:23], s[4:5], 0x4
	s_load_b128 s[8:11], s[4:5], 0x24
	s_load_b256 s[36:43], s[2:3], 0x0
	s_add_co_i32 s7, s7, 4
	s_wait_xcnt 0x0
	s_add_nc_u64 s[4:5], s[4:5], 48
	s_cmp_lg_u32 s0, s7
	s_add_nc_u64 s[2:3], s[2:3], 32
	s_wait_kmcnt 0x0
	v_mul_hi_u32 v4, s17, v1
	s_delay_alu instid0(VALU_DEP_1) | instskip(NEXT) | instid1(VALU_DEP_1)
	v_add_nc_u32_e32 v4, v1, v4
	v_lshrrev_b32_e32 v4, s18, v4
	s_delay_alu instid0(VALU_DEP_1) | instskip(NEXT) | instid1(VALU_DEP_1)
	v_mul_hi_u32 v5, s20, v4
	v_add_nc_u32_e32 v5, v4, v5
	s_delay_alu instid0(VALU_DEP_1) | instskip(NEXT) | instid1(VALU_DEP_1)
	v_lshrrev_b32_e32 v5, s21, v5
	v_mul_hi_u32 v6, s23, v5
	s_delay_alu instid0(VALU_DEP_1) | instskip(SKIP_1) | instid1(VALU_DEP_1)
	v_add_nc_u32_e32 v6, v5, v6
	v_mul_lo_u32 v7, v4, s16
	v_sub_nc_u32_e32 v1, v1, v7
	v_mul_lo_u32 v7, v5, s19
	s_delay_alu instid0(VALU_DEP_4) | instskip(NEXT) | instid1(VALU_DEP_3)
	v_lshrrev_b32_e32 v6, s8, v6
	v_mad_u32 v3, v1, s37, v3
	v_mad_u32 v1, v1, s36, v2
	s_delay_alu instid0(VALU_DEP_4) | instskip(NEXT) | instid1(VALU_DEP_4)
	v_sub_nc_u32_e32 v2, v4, v7
	v_mul_hi_u32 v8, s10, v6
	v_mul_lo_u32 v4, v6, s22
	s_delay_alu instid0(VALU_DEP_3) | instskip(SKIP_1) | instid1(VALU_DEP_4)
	v_mad_u32 v3, v2, s39, v3
	v_mad_u32 v2, v2, s38, v1
	v_add_nc_u32_e32 v7, v6, v8
	s_delay_alu instid0(VALU_DEP_1) | instskip(NEXT) | instid1(VALU_DEP_1)
	v_dual_sub_nc_u32 v4, v5, v4 :: v_dual_lshrrev_b32 v1, s11, v7
	v_mad_u32 v3, v4, s41, v3
	s_delay_alu instid0(VALU_DEP_4) | instskip(NEXT) | instid1(VALU_DEP_3)
	v_mad_u32 v2, v4, s40, v2
	v_mul_lo_u32 v5, v1, s9
	s_delay_alu instid0(VALU_DEP_1) | instskip(NEXT) | instid1(VALU_DEP_1)
	v_sub_nc_u32_e32 v4, v6, v5
	v_mad_u32 v3, v4, s43, v3
	s_delay_alu instid0(VALU_DEP_4)
	v_mad_u32 v2, v4, s42, v2
	s_cbranch_scc1 .LBB354_12
; %bb.13:
	s_and_b32 s4, s1, 3
	s_mov_b32 s1, 0
	s_cmp_eq_u32 s4, 0
	s_cbranch_scc0 .LBB354_25
	s_branch .LBB354_27
.LBB354_14:
	s_or_b32 exec_lo, exec_lo, s14
	s_delay_alu instid0(SALU_CYCLE_1)
	s_mov_b32 s14, exec_lo
	v_cmpx_gt_i32_e64 s36, v0
	s_cbranch_execz .LBB354_139
.LBB354_15:
	s_and_not1_b32 vcc_lo, exec_lo, s33
	s_cbranch_vccnz .LBB354_22
; %bb.16:
	s_and_not1_b32 vcc_lo, exec_lo, s38
	s_cbranch_vccnz .LBB354_130
; %bb.17:
	s_add_co_i32 s16, s37, 1
	s_cmp_eq_u32 s31, 2
	s_cbranch_scc1 .LBB354_147
; %bb.18:
	v_dual_mov_b32 v2, 0 :: v_dual_mov_b32 v3, 0
	v_mov_b32_e32 v1, v0
	s_and_b32 s24, s16, 28
	s_mov_b32 s25, 0
	s_mov_b64 s[26:27], s[12:13]
	s_mov_b64 s[28:29], s[22:23]
.LBB354_19:                             ; =>This Inner Loop Header: Depth=1
	s_clause 0x1
	s_load_b256 s[40:47], s[26:27], 0x4
	s_load_b128 s[56:59], s[26:27], 0x24
	s_load_b256 s[48:55], s[28:29], 0x0
	s_add_co_i32 s25, s25, 4
	s_wait_xcnt 0x0
	s_add_nc_u64 s[26:27], s[26:27], 48
	s_cmp_eq_u32 s24, s25
	s_add_nc_u64 s[28:29], s[28:29], 32
	s_wait_kmcnt 0x0
	v_mul_hi_u32 v4, s41, v1
	s_delay_alu instid0(VALU_DEP_1) | instskip(NEXT) | instid1(VALU_DEP_1)
	v_add_nc_u32_e32 v4, v1, v4
	v_lshrrev_b32_e32 v4, s42, v4
	s_delay_alu instid0(VALU_DEP_1) | instskip(NEXT) | instid1(VALU_DEP_1)
	v_mul_hi_u32 v5, s44, v4
	v_add_nc_u32_e32 v5, v4, v5
	s_delay_alu instid0(VALU_DEP_1) | instskip(NEXT) | instid1(VALU_DEP_1)
	v_lshrrev_b32_e32 v5, s45, v5
	v_mul_hi_u32 v6, s47, v5
	s_delay_alu instid0(VALU_DEP_1) | instskip(SKIP_1) | instid1(VALU_DEP_1)
	v_add_nc_u32_e32 v6, v5, v6
	v_mul_lo_u32 v7, v4, s40
	v_sub_nc_u32_e32 v1, v1, v7
	v_mul_lo_u32 v7, v5, s43
	s_delay_alu instid0(VALU_DEP_4) | instskip(NEXT) | instid1(VALU_DEP_3)
	v_lshrrev_b32_e32 v6, s56, v6
	v_mad_u32 v3, v1, s49, v3
	v_mad_u32 v1, v1, s48, v2
	s_delay_alu instid0(VALU_DEP_4) | instskip(NEXT) | instid1(VALU_DEP_4)
	v_sub_nc_u32_e32 v2, v4, v7
	v_mul_hi_u32 v8, s58, v6
	v_mul_lo_u32 v4, v6, s46
	s_delay_alu instid0(VALU_DEP_3) | instskip(SKIP_1) | instid1(VALU_DEP_4)
	v_mad_u32 v3, v2, s51, v3
	v_mad_u32 v2, v2, s50, v1
	v_add_nc_u32_e32 v7, v6, v8
	s_delay_alu instid0(VALU_DEP_1) | instskip(NEXT) | instid1(VALU_DEP_1)
	v_dual_sub_nc_u32 v4, v5, v4 :: v_dual_lshrrev_b32 v1, s59, v7
	v_mad_u32 v3, v4, s53, v3
	s_delay_alu instid0(VALU_DEP_4) | instskip(NEXT) | instid1(VALU_DEP_3)
	v_mad_u32 v2, v4, s52, v2
	v_mul_lo_u32 v5, v1, s57
	s_delay_alu instid0(VALU_DEP_1) | instskip(NEXT) | instid1(VALU_DEP_1)
	v_sub_nc_u32_e32 v4, v6, v5
	v_mad_u32 v3, v4, s55, v3
	s_delay_alu instid0(VALU_DEP_4)
	v_mad_u32 v2, v4, s54, v2
	s_cbranch_scc0 .LBB354_19
	s_branch .LBB354_148
.LBB354_20:
	s_mov_b32 s6, -1
                                        ; implicit-def: $vgpr3
	s_branch .LBB354_27
.LBB354_21:
                                        ; implicit-def: $vgpr3
	s_branch .LBB354_136
.LBB354_22:
                                        ; implicit-def: $vgpr3
	s_branch .LBB354_152
.LBB354_23:
	v_dual_mov_b32 v3, 0 :: v_dual_mov_b32 v2, 0
	s_branch .LBB354_27
.LBB354_24:
	v_mov_b64_e32 v[2:3], 0
	v_mov_b32_e32 v1, v0
	s_mov_b32 s0, 0
	s_and_b32 s4, s1, 3
	s_mov_b32 s1, 0
	s_cmp_eq_u32 s4, 0
	s_cbranch_scc1 .LBB354_27
.LBB354_25:
	s_lshl_b32 s2, s0, 3
	s_mov_b32 s3, s1
	s_mul_u64 s[8:9], s[0:1], 12
	s_add_nc_u64 s[2:3], s[12:13], s[2:3]
	s_delay_alu instid0(SALU_CYCLE_1)
	s_add_nc_u64 s[0:1], s[2:3], 0xc4
	s_add_nc_u64 s[2:3], s[12:13], s[8:9]
.LBB354_26:                             ; =>This Inner Loop Header: Depth=1
	s_load_b96 s[8:10], s[2:3], 0x4
	s_add_co_i32 s4, s4, -1
	s_wait_xcnt 0x0
	s_add_nc_u64 s[2:3], s[2:3], 12
	s_cmp_lg_u32 s4, 0
	s_wait_kmcnt 0x0
	v_mul_hi_u32 v4, s9, v1
	s_delay_alu instid0(VALU_DEP_1) | instskip(NEXT) | instid1(VALU_DEP_1)
	v_add_nc_u32_e32 v4, v1, v4
	v_lshrrev_b32_e32 v4, s10, v4
	s_load_b64 s[10:11], s[0:1], 0x0
	s_wait_xcnt 0x0
	s_add_nc_u64 s[0:1], s[0:1], 8
	s_delay_alu instid0(VALU_DEP_1) | instskip(NEXT) | instid1(VALU_DEP_1)
	v_mul_lo_u32 v5, v4, s8
	v_sub_nc_u32_e32 v1, v1, v5
	s_wait_kmcnt 0x0
	s_delay_alu instid0(VALU_DEP_1)
	v_mad_u32 v3, v1, s11, v3
	v_mad_u32 v2, v1, s10, v2
	v_mov_b32_e32 v1, v4
	s_cbranch_scc1 .LBB354_26
.LBB354_27:
	s_and_not1_b32 vcc_lo, exec_lo, s6
	s_cbranch_vccnz .LBB354_30
; %bb.28:
	s_clause 0x1
	s_load_b96 s[0:2], s[12:13], 0x4
	s_load_b64 s[4:5], s[12:13], 0xc4
	s_cmp_lt_u32 s30, 2
	s_wait_kmcnt 0x0
	v_mul_hi_u32 v1, s1, v0
	s_delay_alu instid0(VALU_DEP_1) | instskip(NEXT) | instid1(VALU_DEP_1)
	v_add_nc_u32_e32 v1, v0, v1
	v_lshrrev_b32_e32 v1, s2, v1
	s_delay_alu instid0(VALU_DEP_1) | instskip(NEXT) | instid1(VALU_DEP_1)
	v_mul_lo_u32 v2, v1, s0
	v_sub_nc_u32_e32 v2, v0, v2
	s_delay_alu instid0(VALU_DEP_1)
	v_mul_lo_u32 v3, v2, s5
	v_mul_lo_u32 v2, v2, s4
	s_cbranch_scc1 .LBB354_30
; %bb.29:
	s_clause 0x1
	s_load_b96 s[0:2], s[12:13], 0x10
	s_load_b64 s[4:5], s[12:13], 0xcc
	s_wait_kmcnt 0x0
	v_mul_hi_u32 v4, s1, v1
	s_delay_alu instid0(VALU_DEP_1) | instskip(NEXT) | instid1(VALU_DEP_1)
	v_add_nc_u32_e32 v4, v1, v4
	v_lshrrev_b32_e32 v4, s2, v4
	s_delay_alu instid0(VALU_DEP_1) | instskip(NEXT) | instid1(VALU_DEP_1)
	v_mul_lo_u32 v4, v4, s0
	v_sub_nc_u32_e32 v1, v1, v4
	s_delay_alu instid0(VALU_DEP_1)
	v_mad_u32 v2, v1, s4, v2
	v_mad_u32 v3, v1, s5, v3
.LBB354_30:
	v_cmp_ne_u32_e32 vcc_lo, 1, v14
	v_add_nc_u32_e32 v1, 0x80, v0
	s_cbranch_vccnz .LBB354_36
; %bb.31:
	s_cmp_lg_u32 s30, 0
	s_mov_b32 s6, 0
	s_cbranch_scc0 .LBB354_37
; %bb.32:
	s_min_u32 s1, s31, 15
	s_delay_alu instid0(SALU_CYCLE_1)
	s_add_co_i32 s1, s1, 1
	s_cmp_eq_u32 s31, 2
	s_cbranch_scc1 .LBB354_38
; %bb.33:
	v_dual_mov_b32 v4, 0 :: v_dual_mov_b32 v5, 0
	v_mov_b32_e32 v6, v1
	s_and_b32 s0, s1, 28
	s_add_nc_u64 s[2:3], s[12:13], 0xc4
	s_mov_b32 s7, 0
	s_mov_b64 s[4:5], s[12:13]
.LBB354_34:                             ; =>This Inner Loop Header: Depth=1
	s_clause 0x1
	s_load_b256 s[16:23], s[4:5], 0x4
	s_load_b128 s[8:11], s[4:5], 0x24
	s_load_b256 s[36:43], s[2:3], 0x0
	s_add_co_i32 s7, s7, 4
	s_wait_xcnt 0x0
	s_add_nc_u64 s[4:5], s[4:5], 48
	s_cmp_lg_u32 s0, s7
	s_add_nc_u64 s[2:3], s[2:3], 32
	s_wait_kmcnt 0x0
	v_mul_hi_u32 v7, s17, v6
	s_delay_alu instid0(VALU_DEP_1) | instskip(NEXT) | instid1(VALU_DEP_1)
	v_add_nc_u32_e32 v7, v6, v7
	v_lshrrev_b32_e32 v7, s18, v7
	s_delay_alu instid0(VALU_DEP_1) | instskip(NEXT) | instid1(VALU_DEP_1)
	v_mul_hi_u32 v8, s20, v7
	v_add_nc_u32_e32 v8, v7, v8
	s_delay_alu instid0(VALU_DEP_1) | instskip(NEXT) | instid1(VALU_DEP_1)
	v_lshrrev_b32_e32 v8, s21, v8
	v_mul_hi_u32 v9, s23, v8
	s_delay_alu instid0(VALU_DEP_1) | instskip(SKIP_1) | instid1(VALU_DEP_1)
	v_add_nc_u32_e32 v9, v8, v9
	v_mul_lo_u32 v10, v7, s16
	v_sub_nc_u32_e32 v6, v6, v10
	v_mul_lo_u32 v10, v8, s19
	s_delay_alu instid0(VALU_DEP_4) | instskip(NEXT) | instid1(VALU_DEP_3)
	v_lshrrev_b32_e32 v9, s8, v9
	v_mad_u32 v5, v6, s37, v5
	v_mad_u32 v4, v6, s36, v4
	s_delay_alu instid0(VALU_DEP_4) | instskip(NEXT) | instid1(VALU_DEP_4)
	v_sub_nc_u32_e32 v6, v7, v10
	v_mul_hi_u32 v11, s10, v9
	v_mul_lo_u32 v7, v9, s22
	s_delay_alu instid0(VALU_DEP_3) | instskip(SKIP_1) | instid1(VALU_DEP_4)
	v_mad_u32 v5, v6, s39, v5
	v_mad_u32 v4, v6, s38, v4
	v_add_nc_u32_e32 v10, v9, v11
	s_delay_alu instid0(VALU_DEP_1) | instskip(NEXT) | instid1(VALU_DEP_1)
	v_dual_sub_nc_u32 v7, v8, v7 :: v_dual_lshrrev_b32 v6, s11, v10
	v_mad_u32 v5, v7, s41, v5
	s_delay_alu instid0(VALU_DEP_4) | instskip(NEXT) | instid1(VALU_DEP_3)
	v_mad_u32 v4, v7, s40, v4
	v_mul_lo_u32 v8, v6, s9
	s_delay_alu instid0(VALU_DEP_1) | instskip(NEXT) | instid1(VALU_DEP_1)
	v_sub_nc_u32_e32 v7, v9, v8
	v_mad_u32 v5, v7, s43, v5
	s_delay_alu instid0(VALU_DEP_4)
	v_mad_u32 v4, v7, s42, v4
	s_cbranch_scc1 .LBB354_34
; %bb.35:
	s_and_b32 s4, s1, 3
	s_mov_b32 s1, 0
	s_cmp_eq_u32 s4, 0
	s_cbranch_scc0 .LBB354_39
	s_branch .LBB354_41
.LBB354_36:
	s_mov_b32 s6, -1
                                        ; implicit-def: $vgpr5
	s_branch .LBB354_41
.LBB354_37:
	v_dual_mov_b32 v5, 0 :: v_dual_mov_b32 v4, 0
	s_branch .LBB354_41
.LBB354_38:
	v_mov_b64_e32 v[4:5], 0
	v_mov_b32_e32 v6, v1
	s_mov_b32 s0, 0
	s_and_b32 s4, s1, 3
	s_mov_b32 s1, 0
	s_cmp_eq_u32 s4, 0
	s_cbranch_scc1 .LBB354_41
.LBB354_39:
	s_lshl_b32 s2, s0, 3
	s_mov_b32 s3, s1
	s_mul_u64 s[8:9], s[0:1], 12
	s_add_nc_u64 s[2:3], s[12:13], s[2:3]
	s_delay_alu instid0(SALU_CYCLE_1)
	s_add_nc_u64 s[0:1], s[2:3], 0xc4
	s_add_nc_u64 s[2:3], s[12:13], s[8:9]
.LBB354_40:                             ; =>This Inner Loop Header: Depth=1
	s_load_b96 s[8:10], s[2:3], 0x4
	s_add_co_i32 s4, s4, -1
	s_wait_xcnt 0x0
	s_add_nc_u64 s[2:3], s[2:3], 12
	s_cmp_lg_u32 s4, 0
	s_wait_kmcnt 0x0
	v_mul_hi_u32 v7, s9, v6
	s_delay_alu instid0(VALU_DEP_1) | instskip(NEXT) | instid1(VALU_DEP_1)
	v_add_nc_u32_e32 v7, v6, v7
	v_lshrrev_b32_e32 v7, s10, v7
	s_load_b64 s[10:11], s[0:1], 0x0
	s_wait_xcnt 0x0
	s_add_nc_u64 s[0:1], s[0:1], 8
	s_delay_alu instid0(VALU_DEP_1) | instskip(NEXT) | instid1(VALU_DEP_1)
	v_mul_lo_u32 v8, v7, s8
	v_sub_nc_u32_e32 v6, v6, v8
	s_wait_kmcnt 0x0
	s_delay_alu instid0(VALU_DEP_1)
	v_mad_u32 v5, v6, s11, v5
	v_mad_u32 v4, v6, s10, v4
	v_mov_b32_e32 v6, v7
	s_cbranch_scc1 .LBB354_40
.LBB354_41:
	s_and_not1_b32 vcc_lo, exec_lo, s6
	s_cbranch_vccnz .LBB354_44
; %bb.42:
	s_clause 0x1
	s_load_b96 s[0:2], s[12:13], 0x4
	s_load_b64 s[4:5], s[12:13], 0xc4
	s_cmp_lt_u32 s30, 2
	s_wait_kmcnt 0x0
	v_mul_hi_u32 v4, s1, v1
	s_delay_alu instid0(VALU_DEP_1) | instskip(NEXT) | instid1(VALU_DEP_1)
	v_add_nc_u32_e32 v4, v1, v4
	v_lshrrev_b32_e32 v6, s2, v4
	s_delay_alu instid0(VALU_DEP_1) | instskip(NEXT) | instid1(VALU_DEP_1)
	v_mul_lo_u32 v4, v6, s0
	v_sub_nc_u32_e32 v1, v1, v4
	s_delay_alu instid0(VALU_DEP_1)
	v_mul_lo_u32 v5, v1, s5
	v_mul_lo_u32 v4, v1, s4
	s_cbranch_scc1 .LBB354_44
; %bb.43:
	s_clause 0x1
	s_load_b96 s[0:2], s[12:13], 0x10
	s_load_b64 s[4:5], s[12:13], 0xcc
	s_wait_kmcnt 0x0
	v_mul_hi_u32 v1, s1, v6
	s_delay_alu instid0(VALU_DEP_1) | instskip(NEXT) | instid1(VALU_DEP_1)
	v_add_nc_u32_e32 v1, v6, v1
	v_lshrrev_b32_e32 v1, s2, v1
	s_delay_alu instid0(VALU_DEP_1) | instskip(NEXT) | instid1(VALU_DEP_1)
	v_mul_lo_u32 v1, v1, s0
	v_sub_nc_u32_e32 v1, v6, v1
	s_delay_alu instid0(VALU_DEP_1)
	v_mad_u32 v4, v1, s4, v4
	v_mad_u32 v5, v1, s5, v5
.LBB354_44:
	v_cmp_ne_u32_e32 vcc_lo, 1, v14
	v_add_nc_u32_e32 v1, 0x100, v0
	s_cbranch_vccnz .LBB354_50
; %bb.45:
	s_cmp_lg_u32 s30, 0
	s_mov_b32 s6, 0
	s_cbranch_scc0 .LBB354_51
; %bb.46:
	s_min_u32 s1, s31, 15
	s_delay_alu instid0(SALU_CYCLE_1)
	s_add_co_i32 s1, s1, 1
	s_cmp_eq_u32 s31, 2
	s_cbranch_scc1 .LBB354_52
; %bb.47:
	v_dual_mov_b32 v6, 0 :: v_dual_mov_b32 v7, 0
	v_mov_b32_e32 v8, v1
	s_and_b32 s0, s1, 28
	s_add_nc_u64 s[2:3], s[12:13], 0xc4
	s_mov_b32 s7, 0
	s_mov_b64 s[4:5], s[12:13]
.LBB354_48:                             ; =>This Inner Loop Header: Depth=1
	s_clause 0x1
	s_load_b256 s[16:23], s[4:5], 0x4
	s_load_b128 s[8:11], s[4:5], 0x24
	s_load_b256 s[36:43], s[2:3], 0x0
	s_add_co_i32 s7, s7, 4
	s_wait_xcnt 0x0
	s_add_nc_u64 s[4:5], s[4:5], 48
	s_cmp_lg_u32 s0, s7
	s_add_nc_u64 s[2:3], s[2:3], 32
	s_wait_kmcnt 0x0
	v_mul_hi_u32 v9, s17, v8
	s_delay_alu instid0(VALU_DEP_1) | instskip(NEXT) | instid1(VALU_DEP_1)
	v_add_nc_u32_e32 v9, v8, v9
	v_lshrrev_b32_e32 v9, s18, v9
	s_delay_alu instid0(VALU_DEP_1) | instskip(NEXT) | instid1(VALU_DEP_1)
	v_mul_hi_u32 v10, s20, v9
	v_add_nc_u32_e32 v10, v9, v10
	s_delay_alu instid0(VALU_DEP_1) | instskip(NEXT) | instid1(VALU_DEP_1)
	v_lshrrev_b32_e32 v10, s21, v10
	v_mul_hi_u32 v11, s23, v10
	s_delay_alu instid0(VALU_DEP_1) | instskip(SKIP_1) | instid1(VALU_DEP_1)
	v_add_nc_u32_e32 v11, v10, v11
	v_mul_lo_u32 v12, v9, s16
	v_sub_nc_u32_e32 v8, v8, v12
	v_mul_lo_u32 v12, v10, s19
	s_delay_alu instid0(VALU_DEP_4) | instskip(NEXT) | instid1(VALU_DEP_3)
	v_lshrrev_b32_e32 v11, s8, v11
	v_mad_u32 v7, v8, s37, v7
	v_mad_u32 v6, v8, s36, v6
	s_delay_alu instid0(VALU_DEP_4) | instskip(NEXT) | instid1(VALU_DEP_4)
	v_sub_nc_u32_e32 v8, v9, v12
	v_mul_hi_u32 v13, s10, v11
	v_mul_lo_u32 v9, v11, s22
	s_delay_alu instid0(VALU_DEP_3) | instskip(SKIP_1) | instid1(VALU_DEP_4)
	v_mad_u32 v7, v8, s39, v7
	v_mad_u32 v6, v8, s38, v6
	v_add_nc_u32_e32 v12, v11, v13
	s_delay_alu instid0(VALU_DEP_1) | instskip(NEXT) | instid1(VALU_DEP_1)
	v_dual_sub_nc_u32 v9, v10, v9 :: v_dual_lshrrev_b32 v8, s11, v12
	v_mad_u32 v7, v9, s41, v7
	s_delay_alu instid0(VALU_DEP_4) | instskip(NEXT) | instid1(VALU_DEP_3)
	v_mad_u32 v6, v9, s40, v6
	v_mul_lo_u32 v10, v8, s9
	s_delay_alu instid0(VALU_DEP_1) | instskip(NEXT) | instid1(VALU_DEP_1)
	v_sub_nc_u32_e32 v9, v11, v10
	v_mad_u32 v7, v9, s43, v7
	s_delay_alu instid0(VALU_DEP_4)
	v_mad_u32 v6, v9, s42, v6
	s_cbranch_scc1 .LBB354_48
; %bb.49:
	s_and_b32 s4, s1, 3
	s_mov_b32 s1, 0
	s_cmp_eq_u32 s4, 0
	s_cbranch_scc0 .LBB354_53
	s_branch .LBB354_55
.LBB354_50:
	s_mov_b32 s6, -1
                                        ; implicit-def: $vgpr7
	s_branch .LBB354_55
.LBB354_51:
	v_dual_mov_b32 v7, 0 :: v_dual_mov_b32 v6, 0
	s_branch .LBB354_55
.LBB354_52:
	v_mov_b64_e32 v[6:7], 0
	v_mov_b32_e32 v8, v1
	s_mov_b32 s0, 0
	s_and_b32 s4, s1, 3
	s_mov_b32 s1, 0
	s_cmp_eq_u32 s4, 0
	s_cbranch_scc1 .LBB354_55
.LBB354_53:
	s_lshl_b32 s2, s0, 3
	s_mov_b32 s3, s1
	s_mul_u64 s[8:9], s[0:1], 12
	s_add_nc_u64 s[2:3], s[12:13], s[2:3]
	s_delay_alu instid0(SALU_CYCLE_1)
	s_add_nc_u64 s[0:1], s[2:3], 0xc4
	s_add_nc_u64 s[2:3], s[12:13], s[8:9]
.LBB354_54:                             ; =>This Inner Loop Header: Depth=1
	s_load_b96 s[8:10], s[2:3], 0x4
	s_add_co_i32 s4, s4, -1
	s_wait_xcnt 0x0
	s_add_nc_u64 s[2:3], s[2:3], 12
	s_cmp_lg_u32 s4, 0
	s_wait_kmcnt 0x0
	v_mul_hi_u32 v9, s9, v8
	s_delay_alu instid0(VALU_DEP_1) | instskip(NEXT) | instid1(VALU_DEP_1)
	v_add_nc_u32_e32 v9, v8, v9
	v_lshrrev_b32_e32 v9, s10, v9
	s_load_b64 s[10:11], s[0:1], 0x0
	s_wait_xcnt 0x0
	s_add_nc_u64 s[0:1], s[0:1], 8
	s_delay_alu instid0(VALU_DEP_1) | instskip(NEXT) | instid1(VALU_DEP_1)
	v_mul_lo_u32 v10, v9, s8
	v_sub_nc_u32_e32 v8, v8, v10
	s_wait_kmcnt 0x0
	s_delay_alu instid0(VALU_DEP_1)
	v_mad_u32 v7, v8, s11, v7
	v_mad_u32 v6, v8, s10, v6
	v_mov_b32_e32 v8, v9
	s_cbranch_scc1 .LBB354_54
.LBB354_55:
	s_and_not1_b32 vcc_lo, exec_lo, s6
	s_cbranch_vccnz .LBB354_58
; %bb.56:
	s_clause 0x1
	s_load_b96 s[0:2], s[12:13], 0x4
	s_load_b64 s[4:5], s[12:13], 0xc4
	s_cmp_lt_u32 s30, 2
	s_wait_kmcnt 0x0
	v_mul_hi_u32 v6, s1, v1
	s_delay_alu instid0(VALU_DEP_1) | instskip(NEXT) | instid1(VALU_DEP_1)
	v_add_nc_u32_e32 v6, v1, v6
	v_lshrrev_b32_e32 v8, s2, v6
	s_delay_alu instid0(VALU_DEP_1) | instskip(NEXT) | instid1(VALU_DEP_1)
	v_mul_lo_u32 v6, v8, s0
	v_sub_nc_u32_e32 v1, v1, v6
	s_delay_alu instid0(VALU_DEP_1)
	v_mul_lo_u32 v7, v1, s5
	v_mul_lo_u32 v6, v1, s4
	s_cbranch_scc1 .LBB354_58
; %bb.57:
	s_clause 0x1
	s_load_b96 s[0:2], s[12:13], 0x10
	s_load_b64 s[4:5], s[12:13], 0xcc
	s_wait_kmcnt 0x0
	v_mul_hi_u32 v1, s1, v8
	s_delay_alu instid0(VALU_DEP_1) | instskip(NEXT) | instid1(VALU_DEP_1)
	v_add_nc_u32_e32 v1, v8, v1
	v_lshrrev_b32_e32 v1, s2, v1
	s_delay_alu instid0(VALU_DEP_1) | instskip(NEXT) | instid1(VALU_DEP_1)
	v_mul_lo_u32 v1, v1, s0
	v_sub_nc_u32_e32 v1, v8, v1
	s_delay_alu instid0(VALU_DEP_1)
	v_mad_u32 v6, v1, s4, v6
	v_mad_u32 v7, v1, s5, v7
.LBB354_58:
	v_cmp_ne_u32_e32 vcc_lo, 1, v14
	v_add_nc_u32_e32 v1, 0x180, v0
	s_cbranch_vccnz .LBB354_64
; %bb.59:
	s_cmp_lg_u32 s30, 0
	s_mov_b32 s6, 0
	s_cbranch_scc0 .LBB354_65
; %bb.60:
	s_min_u32 s1, s31, 15
	s_delay_alu instid0(SALU_CYCLE_1)
	s_add_co_i32 s1, s1, 1
	s_cmp_eq_u32 s31, 2
	s_cbranch_scc1 .LBB354_66
; %bb.61:
	v_dual_mov_b32 v8, 0 :: v_dual_mov_b32 v9, 0
	v_mov_b32_e32 v10, v1
	s_and_b32 s0, s1, 28
	s_add_nc_u64 s[2:3], s[12:13], 0xc4
	s_mov_b32 s7, 0
	s_mov_b64 s[4:5], s[12:13]
.LBB354_62:                             ; =>This Inner Loop Header: Depth=1
	s_clause 0x1
	s_load_b256 s[16:23], s[4:5], 0x4
	s_load_b128 s[8:11], s[4:5], 0x24
	s_load_b256 s[36:43], s[2:3], 0x0
	s_add_co_i32 s7, s7, 4
	s_wait_xcnt 0x0
	s_add_nc_u64 s[4:5], s[4:5], 48
	s_cmp_lg_u32 s0, s7
	s_add_nc_u64 s[2:3], s[2:3], 32
	s_wait_kmcnt 0x0
	v_mul_hi_u32 v11, s17, v10
	s_delay_alu instid0(VALU_DEP_1) | instskip(NEXT) | instid1(VALU_DEP_1)
	v_add_nc_u32_e32 v11, v10, v11
	v_lshrrev_b32_e32 v11, s18, v11
	s_delay_alu instid0(VALU_DEP_1) | instskip(NEXT) | instid1(VALU_DEP_1)
	v_mul_hi_u32 v12, s20, v11
	v_add_nc_u32_e32 v12, v11, v12
	s_delay_alu instid0(VALU_DEP_1) | instskip(NEXT) | instid1(VALU_DEP_1)
	v_lshrrev_b32_e32 v12, s21, v12
	v_mul_hi_u32 v13, s23, v12
	s_delay_alu instid0(VALU_DEP_1) | instskip(SKIP_1) | instid1(VALU_DEP_1)
	v_add_nc_u32_e32 v13, v12, v13
	v_mul_lo_u32 v15, v11, s16
	v_sub_nc_u32_e32 v10, v10, v15
	v_mul_lo_u32 v15, v12, s19
	s_delay_alu instid0(VALU_DEP_4) | instskip(NEXT) | instid1(VALU_DEP_3)
	v_lshrrev_b32_e32 v13, s8, v13
	v_mad_u32 v9, v10, s37, v9
	v_mad_u32 v8, v10, s36, v8
	s_delay_alu instid0(VALU_DEP_4) | instskip(NEXT) | instid1(VALU_DEP_4)
	v_sub_nc_u32_e32 v10, v11, v15
	v_mul_hi_u32 v17, s10, v13
	v_mul_lo_u32 v11, v13, s22
	s_delay_alu instid0(VALU_DEP_3) | instskip(SKIP_1) | instid1(VALU_DEP_3)
	v_mad_u32 v9, v10, s39, v9
	v_mad_u32 v8, v10, s38, v8
	v_dual_add_nc_u32 v15, v13, v17 :: v_dual_sub_nc_u32 v11, v12, v11
	s_delay_alu instid0(VALU_DEP_1) | instskip(NEXT) | instid1(VALU_DEP_2)
	v_lshrrev_b32_e32 v10, s11, v15
	v_mad_u32 v9, v11, s41, v9
	s_delay_alu instid0(VALU_DEP_4) | instskip(NEXT) | instid1(VALU_DEP_3)
	v_mad_u32 v8, v11, s40, v8
	v_mul_lo_u32 v12, v10, s9
	s_delay_alu instid0(VALU_DEP_1) | instskip(NEXT) | instid1(VALU_DEP_1)
	v_sub_nc_u32_e32 v11, v13, v12
	v_mad_u32 v9, v11, s43, v9
	s_delay_alu instid0(VALU_DEP_4)
	v_mad_u32 v8, v11, s42, v8
	s_cbranch_scc1 .LBB354_62
; %bb.63:
	s_and_b32 s4, s1, 3
	s_mov_b32 s1, 0
	s_cmp_eq_u32 s4, 0
	s_cbranch_scc0 .LBB354_67
	s_branch .LBB354_69
.LBB354_64:
	s_mov_b32 s6, -1
                                        ; implicit-def: $vgpr9
	s_branch .LBB354_69
.LBB354_65:
	v_dual_mov_b32 v9, 0 :: v_dual_mov_b32 v8, 0
	s_branch .LBB354_69
.LBB354_66:
	v_mov_b64_e32 v[8:9], 0
	v_mov_b32_e32 v10, v1
	s_mov_b32 s0, 0
	s_and_b32 s4, s1, 3
	s_mov_b32 s1, 0
	s_cmp_eq_u32 s4, 0
	s_cbranch_scc1 .LBB354_69
.LBB354_67:
	s_lshl_b32 s2, s0, 3
	s_mov_b32 s3, s1
	s_mul_u64 s[8:9], s[0:1], 12
	s_add_nc_u64 s[2:3], s[12:13], s[2:3]
	s_delay_alu instid0(SALU_CYCLE_1)
	s_add_nc_u64 s[0:1], s[2:3], 0xc4
	s_add_nc_u64 s[2:3], s[12:13], s[8:9]
.LBB354_68:                             ; =>This Inner Loop Header: Depth=1
	s_load_b96 s[8:10], s[2:3], 0x4
	s_add_co_i32 s4, s4, -1
	s_wait_xcnt 0x0
	s_add_nc_u64 s[2:3], s[2:3], 12
	s_cmp_lg_u32 s4, 0
	s_wait_kmcnt 0x0
	v_mul_hi_u32 v11, s9, v10
	s_delay_alu instid0(VALU_DEP_1) | instskip(NEXT) | instid1(VALU_DEP_1)
	v_add_nc_u32_e32 v11, v10, v11
	v_lshrrev_b32_e32 v11, s10, v11
	s_load_b64 s[10:11], s[0:1], 0x0
	s_wait_xcnt 0x0
	s_add_nc_u64 s[0:1], s[0:1], 8
	s_delay_alu instid0(VALU_DEP_1) | instskip(NEXT) | instid1(VALU_DEP_1)
	v_mul_lo_u32 v12, v11, s8
	v_sub_nc_u32_e32 v10, v10, v12
	s_wait_kmcnt 0x0
	s_delay_alu instid0(VALU_DEP_1)
	v_mad_u32 v9, v10, s11, v9
	v_mad_u32 v8, v10, s10, v8
	v_mov_b32_e32 v10, v11
	s_cbranch_scc1 .LBB354_68
.LBB354_69:
	s_and_not1_b32 vcc_lo, exec_lo, s6
	s_cbranch_vccnz .LBB354_72
; %bb.70:
	s_clause 0x1
	s_load_b96 s[0:2], s[12:13], 0x4
	s_load_b64 s[4:5], s[12:13], 0xc4
	s_cmp_lt_u32 s30, 2
	s_wait_kmcnt 0x0
	v_mul_hi_u32 v8, s1, v1
	s_delay_alu instid0(VALU_DEP_1) | instskip(NEXT) | instid1(VALU_DEP_1)
	v_add_nc_u32_e32 v8, v1, v8
	v_lshrrev_b32_e32 v10, s2, v8
	s_delay_alu instid0(VALU_DEP_1) | instskip(NEXT) | instid1(VALU_DEP_1)
	v_mul_lo_u32 v8, v10, s0
	v_sub_nc_u32_e32 v1, v1, v8
	s_delay_alu instid0(VALU_DEP_1)
	v_mul_lo_u32 v9, v1, s5
	v_mul_lo_u32 v8, v1, s4
	s_cbranch_scc1 .LBB354_72
; %bb.71:
	s_clause 0x1
	s_load_b96 s[0:2], s[12:13], 0x10
	s_load_b64 s[4:5], s[12:13], 0xcc
	s_wait_kmcnt 0x0
	v_mul_hi_u32 v1, s1, v10
	s_delay_alu instid0(VALU_DEP_1) | instskip(NEXT) | instid1(VALU_DEP_1)
	v_add_nc_u32_e32 v1, v10, v1
	v_lshrrev_b32_e32 v1, s2, v1
	s_delay_alu instid0(VALU_DEP_1) | instskip(NEXT) | instid1(VALU_DEP_1)
	v_mul_lo_u32 v1, v1, s0
	v_sub_nc_u32_e32 v1, v10, v1
	s_delay_alu instid0(VALU_DEP_1)
	v_mad_u32 v8, v1, s4, v8
	v_mad_u32 v9, v1, s5, v9
.LBB354_72:
	v_cmp_ne_u32_e32 vcc_lo, 1, v14
	v_add_nc_u32_e32 v1, 0x200, v0
	s_cbranch_vccnz .LBB354_78
; %bb.73:
	s_cmp_lg_u32 s30, 0
	s_mov_b32 s6, 0
	s_cbranch_scc0 .LBB354_79
; %bb.74:
	s_min_u32 s1, s31, 15
	s_delay_alu instid0(SALU_CYCLE_1)
	s_add_co_i32 s1, s1, 1
	s_cmp_eq_u32 s31, 2
	s_cbranch_scc1 .LBB354_80
; %bb.75:
	v_dual_mov_b32 v10, 0 :: v_dual_mov_b32 v11, 0
	v_mov_b32_e32 v12, v1
	s_and_b32 s0, s1, 28
	s_add_nc_u64 s[2:3], s[12:13], 0xc4
	s_mov_b32 s7, 0
	s_mov_b64 s[4:5], s[12:13]
.LBB354_76:                             ; =>This Inner Loop Header: Depth=1
	s_clause 0x1
	s_load_b256 s[16:23], s[4:5], 0x4
	s_load_b128 s[8:11], s[4:5], 0x24
	s_load_b256 s[36:43], s[2:3], 0x0
	s_add_co_i32 s7, s7, 4
	s_wait_xcnt 0x0
	s_add_nc_u64 s[4:5], s[4:5], 48
	s_cmp_lg_u32 s0, s7
	s_add_nc_u64 s[2:3], s[2:3], 32
	s_wait_kmcnt 0x0
	v_mul_hi_u32 v13, s17, v12
	s_delay_alu instid0(VALU_DEP_1) | instskip(NEXT) | instid1(VALU_DEP_1)
	v_add_nc_u32_e32 v13, v12, v13
	v_lshrrev_b32_e32 v13, s18, v13
	s_delay_alu instid0(VALU_DEP_1) | instskip(NEXT) | instid1(VALU_DEP_1)
	v_mul_lo_u32 v18, v13, s16
	v_sub_nc_u32_e32 v12, v12, v18
	v_mul_hi_u32 v15, s20, v13
	s_delay_alu instid0(VALU_DEP_2) | instskip(SKIP_1) | instid1(VALU_DEP_3)
	v_mad_u32 v11, v12, s37, v11
	v_mad_u32 v10, v12, s36, v10
	v_add_nc_u32_e32 v15, v13, v15
	s_delay_alu instid0(VALU_DEP_1) | instskip(NEXT) | instid1(VALU_DEP_1)
	v_lshrrev_b32_e32 v15, s21, v15
	v_mul_hi_u32 v17, s23, v15
	v_mul_lo_u32 v18, v15, s19
	s_delay_alu instid0(VALU_DEP_1) | instskip(NEXT) | instid1(VALU_DEP_1)
	v_dual_add_nc_u32 v17, v15, v17 :: v_dual_sub_nc_u32 v12, v13, v18
	v_lshrrev_b32_e32 v17, s8, v17
	s_delay_alu instid0(VALU_DEP_2) | instskip(SKIP_1) | instid1(VALU_DEP_3)
	v_mad_u32 v11, v12, s39, v11
	v_mad_u32 v10, v12, s38, v10
	v_mul_hi_u32 v19, s10, v17
	v_mul_lo_u32 v13, v17, s22
	s_delay_alu instid0(VALU_DEP_1) | instskip(NEXT) | instid1(VALU_DEP_1)
	v_dual_add_nc_u32 v18, v17, v19 :: v_dual_sub_nc_u32 v13, v15, v13
	v_lshrrev_b32_e32 v12, s11, v18
	s_delay_alu instid0(VALU_DEP_2) | instskip(SKIP_1) | instid1(VALU_DEP_3)
	v_mad_u32 v11, v13, s41, v11
	v_mad_u32 v10, v13, s40, v10
	v_mul_lo_u32 v15, v12, s9
	s_delay_alu instid0(VALU_DEP_1) | instskip(NEXT) | instid1(VALU_DEP_1)
	v_sub_nc_u32_e32 v13, v17, v15
	v_mad_u32 v11, v13, s43, v11
	s_delay_alu instid0(VALU_DEP_4)
	v_mad_u32 v10, v13, s42, v10
	s_cbranch_scc1 .LBB354_76
; %bb.77:
	s_and_b32 s4, s1, 3
	s_mov_b32 s1, 0
	s_cmp_eq_u32 s4, 0
	s_cbranch_scc0 .LBB354_81
	s_branch .LBB354_83
.LBB354_78:
	s_mov_b32 s6, -1
                                        ; implicit-def: $vgpr11
	s_branch .LBB354_83
.LBB354_79:
	v_dual_mov_b32 v11, 0 :: v_dual_mov_b32 v10, 0
	s_branch .LBB354_83
.LBB354_80:
	v_mov_b64_e32 v[10:11], 0
	v_mov_b32_e32 v12, v1
	s_mov_b32 s0, 0
	s_and_b32 s4, s1, 3
	s_mov_b32 s1, 0
	s_cmp_eq_u32 s4, 0
	s_cbranch_scc1 .LBB354_83
.LBB354_81:
	s_lshl_b32 s2, s0, 3
	s_mov_b32 s3, s1
	s_mul_u64 s[8:9], s[0:1], 12
	s_add_nc_u64 s[2:3], s[12:13], s[2:3]
	s_delay_alu instid0(SALU_CYCLE_1)
	s_add_nc_u64 s[0:1], s[2:3], 0xc4
	s_add_nc_u64 s[2:3], s[12:13], s[8:9]
.LBB354_82:                             ; =>This Inner Loop Header: Depth=1
	s_load_b96 s[8:10], s[2:3], 0x4
	s_add_co_i32 s4, s4, -1
	s_wait_xcnt 0x0
	s_add_nc_u64 s[2:3], s[2:3], 12
	s_cmp_lg_u32 s4, 0
	s_wait_kmcnt 0x0
	v_mul_hi_u32 v13, s9, v12
	s_delay_alu instid0(VALU_DEP_1) | instskip(NEXT) | instid1(VALU_DEP_1)
	v_add_nc_u32_e32 v13, v12, v13
	v_lshrrev_b32_e32 v13, s10, v13
	s_load_b64 s[10:11], s[0:1], 0x0
	s_wait_xcnt 0x0
	s_add_nc_u64 s[0:1], s[0:1], 8
	s_delay_alu instid0(VALU_DEP_1) | instskip(NEXT) | instid1(VALU_DEP_1)
	v_mul_lo_u32 v15, v13, s8
	v_sub_nc_u32_e32 v12, v12, v15
	s_wait_kmcnt 0x0
	s_delay_alu instid0(VALU_DEP_1)
	v_mad_u32 v11, v12, s11, v11
	v_mad_u32 v10, v12, s10, v10
	v_mov_b32_e32 v12, v13
	s_cbranch_scc1 .LBB354_82
.LBB354_83:
	s_and_not1_b32 vcc_lo, exec_lo, s6
	s_cbranch_vccnz .LBB354_86
; %bb.84:
	s_clause 0x1
	s_load_b96 s[0:2], s[12:13], 0x4
	s_load_b64 s[4:5], s[12:13], 0xc4
	s_cmp_lt_u32 s30, 2
	s_wait_kmcnt 0x0
	v_mul_hi_u32 v10, s1, v1
	s_delay_alu instid0(VALU_DEP_1) | instskip(NEXT) | instid1(VALU_DEP_1)
	v_add_nc_u32_e32 v10, v1, v10
	v_lshrrev_b32_e32 v12, s2, v10
	s_delay_alu instid0(VALU_DEP_1) | instskip(NEXT) | instid1(VALU_DEP_1)
	v_mul_lo_u32 v10, v12, s0
	v_sub_nc_u32_e32 v1, v1, v10
	s_delay_alu instid0(VALU_DEP_1)
	v_mul_lo_u32 v11, v1, s5
	v_mul_lo_u32 v10, v1, s4
	s_cbranch_scc1 .LBB354_86
; %bb.85:
	s_clause 0x1
	s_load_b96 s[0:2], s[12:13], 0x10
	s_load_b64 s[4:5], s[12:13], 0xcc
	s_wait_kmcnt 0x0
	v_mul_hi_u32 v1, s1, v12
	s_delay_alu instid0(VALU_DEP_1) | instskip(NEXT) | instid1(VALU_DEP_1)
	v_add_nc_u32_e32 v1, v12, v1
	v_lshrrev_b32_e32 v1, s2, v1
	s_delay_alu instid0(VALU_DEP_1) | instskip(NEXT) | instid1(VALU_DEP_1)
	v_mul_lo_u32 v1, v1, s0
	v_sub_nc_u32_e32 v1, v12, v1
	s_delay_alu instid0(VALU_DEP_1)
	v_mad_u32 v10, v1, s4, v10
	v_mad_u32 v11, v1, s5, v11
.LBB354_86:
	v_cmp_ne_u32_e32 vcc_lo, 1, v14
	v_add_nc_u32_e32 v1, 0x280, v0
	s_cbranch_vccnz .LBB354_92
; %bb.87:
	s_cmp_lg_u32 s30, 0
	s_mov_b32 s6, 0
	s_cbranch_scc0 .LBB354_93
; %bb.88:
	s_min_u32 s1, s31, 15
	s_delay_alu instid0(SALU_CYCLE_1)
	s_add_co_i32 s1, s1, 1
	s_cmp_eq_u32 s31, 2
	s_cbranch_scc1 .LBB354_94
; %bb.89:
	v_dual_mov_b32 v12, 0 :: v_dual_mov_b32 v13, 0
	v_mov_b32_e32 v15, v1
	s_and_b32 s0, s1, 28
	s_add_nc_u64 s[2:3], s[12:13], 0xc4
	s_mov_b32 s7, 0
	s_mov_b64 s[4:5], s[12:13]
.LBB354_90:                             ; =>This Inner Loop Header: Depth=1
	s_clause 0x1
	s_load_b256 s[16:23], s[4:5], 0x4
	s_load_b128 s[8:11], s[4:5], 0x24
	s_load_b256 s[36:43], s[2:3], 0x0
	s_add_co_i32 s7, s7, 4
	s_wait_xcnt 0x0
	s_add_nc_u64 s[4:5], s[4:5], 48
	s_cmp_lg_u32 s0, s7
	s_add_nc_u64 s[2:3], s[2:3], 32
	s_wait_kmcnt 0x0
	v_mul_hi_u32 v17, s17, v15
	s_delay_alu instid0(VALU_DEP_1) | instskip(NEXT) | instid1(VALU_DEP_1)
	v_add_nc_u32_e32 v17, v15, v17
	v_lshrrev_b32_e32 v17, s18, v17
	s_delay_alu instid0(VALU_DEP_1) | instskip(NEXT) | instid1(VALU_DEP_1)
	v_mul_hi_u32 v18, s20, v17
	v_add_nc_u32_e32 v18, v17, v18
	s_delay_alu instid0(VALU_DEP_1) | instskip(NEXT) | instid1(VALU_DEP_1)
	v_lshrrev_b32_e32 v18, s21, v18
	v_mul_hi_u32 v19, s23, v18
	s_delay_alu instid0(VALU_DEP_1) | instskip(SKIP_1) | instid1(VALU_DEP_1)
	v_add_nc_u32_e32 v19, v18, v19
	v_mul_lo_u32 v20, v17, s16
	v_sub_nc_u32_e32 v15, v15, v20
	v_mul_lo_u32 v20, v18, s19
	s_delay_alu instid0(VALU_DEP_4) | instskip(NEXT) | instid1(VALU_DEP_3)
	v_lshrrev_b32_e32 v19, s8, v19
	v_mad_u32 v13, v15, s37, v13
	v_mad_u32 v12, v15, s36, v12
	s_delay_alu instid0(VALU_DEP_4) | instskip(NEXT) | instid1(VALU_DEP_4)
	v_sub_nc_u32_e32 v15, v17, v20
	v_mul_hi_u32 v21, s10, v19
	v_mul_lo_u32 v17, v19, s22
	s_delay_alu instid0(VALU_DEP_3) | instskip(SKIP_1) | instid1(VALU_DEP_4)
	v_mad_u32 v13, v15, s39, v13
	v_mad_u32 v12, v15, s38, v12
	v_add_nc_u32_e32 v20, v19, v21
	s_delay_alu instid0(VALU_DEP_1) | instskip(NEXT) | instid1(VALU_DEP_1)
	v_dual_sub_nc_u32 v17, v18, v17 :: v_dual_lshrrev_b32 v15, s11, v20
	v_mad_u32 v13, v17, s41, v13
	s_delay_alu instid0(VALU_DEP_4) | instskip(NEXT) | instid1(VALU_DEP_3)
	v_mad_u32 v12, v17, s40, v12
	v_mul_lo_u32 v18, v15, s9
	s_delay_alu instid0(VALU_DEP_1) | instskip(NEXT) | instid1(VALU_DEP_1)
	v_sub_nc_u32_e32 v17, v19, v18
	v_mad_u32 v13, v17, s43, v13
	s_delay_alu instid0(VALU_DEP_4)
	v_mad_u32 v12, v17, s42, v12
	s_cbranch_scc1 .LBB354_90
; %bb.91:
	s_and_b32 s4, s1, 3
	s_mov_b32 s1, 0
	s_cmp_eq_u32 s4, 0
	s_cbranch_scc0 .LBB354_95
	s_branch .LBB354_97
.LBB354_92:
	s_mov_b32 s6, -1
                                        ; implicit-def: $vgpr13
	s_branch .LBB354_97
.LBB354_93:
	v_dual_mov_b32 v13, 0 :: v_dual_mov_b32 v12, 0
	s_branch .LBB354_97
.LBB354_94:
	v_mov_b64_e32 v[12:13], 0
	v_mov_b32_e32 v15, v1
	s_mov_b32 s0, 0
	s_and_b32 s4, s1, 3
	s_mov_b32 s1, 0
	s_cmp_eq_u32 s4, 0
	s_cbranch_scc1 .LBB354_97
.LBB354_95:
	s_lshl_b32 s2, s0, 3
	s_mov_b32 s3, s1
	s_mul_u64 s[8:9], s[0:1], 12
	s_add_nc_u64 s[2:3], s[12:13], s[2:3]
	s_delay_alu instid0(SALU_CYCLE_1)
	s_add_nc_u64 s[0:1], s[2:3], 0xc4
	s_add_nc_u64 s[2:3], s[12:13], s[8:9]
.LBB354_96:                             ; =>This Inner Loop Header: Depth=1
	s_load_b96 s[8:10], s[2:3], 0x4
	s_add_co_i32 s4, s4, -1
	s_wait_xcnt 0x0
	s_add_nc_u64 s[2:3], s[2:3], 12
	s_cmp_lg_u32 s4, 0
	s_wait_kmcnt 0x0
	v_mul_hi_u32 v17, s9, v15
	s_delay_alu instid0(VALU_DEP_1) | instskip(NEXT) | instid1(VALU_DEP_1)
	v_add_nc_u32_e32 v17, v15, v17
	v_lshrrev_b32_e32 v17, s10, v17
	s_load_b64 s[10:11], s[0:1], 0x0
	s_wait_xcnt 0x0
	s_add_nc_u64 s[0:1], s[0:1], 8
	s_delay_alu instid0(VALU_DEP_1) | instskip(NEXT) | instid1(VALU_DEP_1)
	v_mul_lo_u32 v18, v17, s8
	v_sub_nc_u32_e32 v15, v15, v18
	s_wait_kmcnt 0x0
	s_delay_alu instid0(VALU_DEP_1)
	v_mad_u32 v13, v15, s11, v13
	v_mad_u32 v12, v15, s10, v12
	v_mov_b32_e32 v15, v17
	s_cbranch_scc1 .LBB354_96
.LBB354_97:
	s_and_not1_b32 vcc_lo, exec_lo, s6
	s_cbranch_vccnz .LBB354_100
; %bb.98:
	s_clause 0x1
	s_load_b96 s[0:2], s[12:13], 0x4
	s_load_b64 s[4:5], s[12:13], 0xc4
	s_cmp_lt_u32 s30, 2
	s_wait_kmcnt 0x0
	v_mul_hi_u32 v12, s1, v1
	s_delay_alu instid0(VALU_DEP_1) | instskip(NEXT) | instid1(VALU_DEP_1)
	v_add_nc_u32_e32 v12, v1, v12
	v_lshrrev_b32_e32 v15, s2, v12
	s_delay_alu instid0(VALU_DEP_1) | instskip(NEXT) | instid1(VALU_DEP_1)
	v_mul_lo_u32 v12, v15, s0
	v_sub_nc_u32_e32 v1, v1, v12
	s_delay_alu instid0(VALU_DEP_1)
	v_mul_lo_u32 v13, v1, s5
	v_mul_lo_u32 v12, v1, s4
	s_cbranch_scc1 .LBB354_100
; %bb.99:
	s_clause 0x1
	s_load_b96 s[0:2], s[12:13], 0x10
	s_load_b64 s[4:5], s[12:13], 0xcc
	s_wait_kmcnt 0x0
	v_mul_hi_u32 v1, s1, v15
	s_delay_alu instid0(VALU_DEP_1) | instskip(NEXT) | instid1(VALU_DEP_1)
	v_add_nc_u32_e32 v1, v15, v1
	v_lshrrev_b32_e32 v1, s2, v1
	s_delay_alu instid0(VALU_DEP_1) | instskip(NEXT) | instid1(VALU_DEP_1)
	v_mul_lo_u32 v1, v1, s0
	v_sub_nc_u32_e32 v1, v15, v1
	s_delay_alu instid0(VALU_DEP_1)
	v_mad_u32 v12, v1, s4, v12
	v_mad_u32 v13, v1, s5, v13
.LBB354_100:
	v_cmp_ne_u32_e32 vcc_lo, 1, v14
	v_add_nc_u32_e32 v15, 0x300, v0
	s_cbranch_vccnz .LBB354_106
; %bb.101:
	s_cmp_lg_u32 s30, 0
	s_mov_b32 s6, 0
	s_cbranch_scc0 .LBB354_107
; %bb.102:
	s_min_u32 s1, s31, 15
	s_delay_alu instid0(SALU_CYCLE_1)
	s_add_co_i32 s1, s1, 1
	s_cmp_eq_u32 s31, 2
	s_cbranch_scc1 .LBB354_108
; %bb.103:
	v_dual_mov_b32 v0, 0 :: v_dual_mov_b32 v1, 0
	v_mov_b32_e32 v17, v15
	s_and_b32 s0, s1, 28
	s_add_nc_u64 s[2:3], s[12:13], 0xc4
	s_mov_b32 s7, 0
	s_mov_b64 s[4:5], s[12:13]
.LBB354_104:                            ; =>This Inner Loop Header: Depth=1
	s_clause 0x1
	s_load_b256 s[16:23], s[4:5], 0x4
	s_load_b128 s[8:11], s[4:5], 0x24
	s_load_b256 s[36:43], s[2:3], 0x0
	s_add_co_i32 s7, s7, 4
	s_wait_xcnt 0x0
	s_add_nc_u64 s[4:5], s[4:5], 48
	s_cmp_lg_u32 s0, s7
	s_add_nc_u64 s[2:3], s[2:3], 32
	s_wait_kmcnt 0x0
	v_mul_hi_u32 v18, s17, v17
	s_delay_alu instid0(VALU_DEP_1) | instskip(NEXT) | instid1(VALU_DEP_1)
	v_add_nc_u32_e32 v18, v17, v18
	v_lshrrev_b32_e32 v18, s18, v18
	s_delay_alu instid0(VALU_DEP_1) | instskip(NEXT) | instid1(VALU_DEP_1)
	v_mul_hi_u32 v19, s20, v18
	v_add_nc_u32_e32 v19, v18, v19
	s_delay_alu instid0(VALU_DEP_1) | instskip(NEXT) | instid1(VALU_DEP_1)
	v_lshrrev_b32_e32 v19, s21, v19
	v_mul_hi_u32 v20, s23, v19
	s_delay_alu instid0(VALU_DEP_1) | instskip(SKIP_1) | instid1(VALU_DEP_1)
	v_add_nc_u32_e32 v20, v19, v20
	v_mul_lo_u32 v21, v18, s16
	v_sub_nc_u32_e32 v17, v17, v21
	v_mul_lo_u32 v21, v19, s19
	s_delay_alu instid0(VALU_DEP_4) | instskip(NEXT) | instid1(VALU_DEP_3)
	v_lshrrev_b32_e32 v20, s8, v20
	v_mad_u32 v1, v17, s37, v1
	v_mad_u32 v0, v17, s36, v0
	s_delay_alu instid0(VALU_DEP_4) | instskip(NEXT) | instid1(VALU_DEP_4)
	v_sub_nc_u32_e32 v17, v18, v21
	v_mul_hi_u32 v22, s10, v20
	v_mul_lo_u32 v18, v20, s22
	s_delay_alu instid0(VALU_DEP_3) | instskip(SKIP_1) | instid1(VALU_DEP_4)
	v_mad_u32 v1, v17, s39, v1
	v_mad_u32 v0, v17, s38, v0
	v_add_nc_u32_e32 v21, v20, v22
	s_delay_alu instid0(VALU_DEP_1) | instskip(NEXT) | instid1(VALU_DEP_1)
	v_dual_sub_nc_u32 v18, v19, v18 :: v_dual_lshrrev_b32 v17, s11, v21
	v_mad_u32 v1, v18, s41, v1
	s_delay_alu instid0(VALU_DEP_4) | instskip(NEXT) | instid1(VALU_DEP_3)
	v_mad_u32 v0, v18, s40, v0
	v_mul_lo_u32 v19, v17, s9
	s_delay_alu instid0(VALU_DEP_1) | instskip(NEXT) | instid1(VALU_DEP_1)
	v_sub_nc_u32_e32 v18, v20, v19
	v_mad_u32 v1, v18, s43, v1
	s_delay_alu instid0(VALU_DEP_4)
	v_mad_u32 v0, v18, s42, v0
	s_cbranch_scc1 .LBB354_104
; %bb.105:
	s_and_b32 s4, s1, 3
	s_mov_b32 s1, 0
	s_cmp_eq_u32 s4, 0
	s_cbranch_scc0 .LBB354_109
	s_branch .LBB354_111
.LBB354_106:
	s_mov_b32 s6, -1
                                        ; implicit-def: $vgpr1
	s_branch .LBB354_111
.LBB354_107:
	v_dual_mov_b32 v1, 0 :: v_dual_mov_b32 v0, 0
	s_branch .LBB354_111
.LBB354_108:
	v_mov_b64_e32 v[0:1], 0
	v_mov_b32_e32 v17, v15
	s_mov_b32 s0, 0
	s_and_b32 s4, s1, 3
	s_mov_b32 s1, 0
	s_cmp_eq_u32 s4, 0
	s_cbranch_scc1 .LBB354_111
.LBB354_109:
	s_lshl_b32 s2, s0, 3
	s_mov_b32 s3, s1
	s_mul_u64 s[8:9], s[0:1], 12
	s_add_nc_u64 s[2:3], s[12:13], s[2:3]
	s_delay_alu instid0(SALU_CYCLE_1)
	s_add_nc_u64 s[0:1], s[2:3], 0xc4
	s_add_nc_u64 s[2:3], s[12:13], s[8:9]
.LBB354_110:                            ; =>This Inner Loop Header: Depth=1
	s_load_b96 s[8:10], s[2:3], 0x4
	s_add_co_i32 s4, s4, -1
	s_wait_xcnt 0x0
	s_add_nc_u64 s[2:3], s[2:3], 12
	s_cmp_lg_u32 s4, 0
	s_wait_kmcnt 0x0
	v_mul_hi_u32 v18, s9, v17
	s_delay_alu instid0(VALU_DEP_1) | instskip(NEXT) | instid1(VALU_DEP_1)
	v_add_nc_u32_e32 v18, v17, v18
	v_lshrrev_b32_e32 v18, s10, v18
	s_load_b64 s[10:11], s[0:1], 0x0
	s_wait_xcnt 0x0
	s_add_nc_u64 s[0:1], s[0:1], 8
	s_delay_alu instid0(VALU_DEP_1) | instskip(NEXT) | instid1(VALU_DEP_1)
	v_mul_lo_u32 v19, v18, s8
	v_sub_nc_u32_e32 v17, v17, v19
	s_wait_kmcnt 0x0
	s_delay_alu instid0(VALU_DEP_1)
	v_mad_u32 v1, v17, s11, v1
	v_mad_u32 v0, v17, s10, v0
	v_mov_b32_e32 v17, v18
	s_cbranch_scc1 .LBB354_110
.LBB354_111:
	s_and_not1_b32 vcc_lo, exec_lo, s6
	s_cbranch_vccnz .LBB354_114
; %bb.112:
	s_clause 0x1
	s_load_b96 s[0:2], s[12:13], 0x4
	s_load_b64 s[4:5], s[12:13], 0xc4
	s_cmp_lt_u32 s30, 2
	s_wait_kmcnt 0x0
	v_mul_hi_u32 v0, s1, v15
	s_delay_alu instid0(VALU_DEP_1) | instskip(NEXT) | instid1(VALU_DEP_1)
	v_add_nc_u32_e32 v0, v15, v0
	v_lshrrev_b32_e32 v17, s2, v0
	s_delay_alu instid0(VALU_DEP_1) | instskip(NEXT) | instid1(VALU_DEP_1)
	v_mul_lo_u32 v0, v17, s0
	v_sub_nc_u32_e32 v0, v15, v0
	s_delay_alu instid0(VALU_DEP_1)
	v_mul_lo_u32 v1, v0, s5
	v_mul_lo_u32 v0, v0, s4
	s_cbranch_scc1 .LBB354_114
; %bb.113:
	s_clause 0x1
	s_load_b96 s[0:2], s[12:13], 0x10
	s_load_b64 s[4:5], s[12:13], 0xcc
	s_wait_kmcnt 0x0
	v_mul_hi_u32 v15, s1, v17
	s_delay_alu instid0(VALU_DEP_1) | instskip(NEXT) | instid1(VALU_DEP_1)
	v_add_nc_u32_e32 v15, v17, v15
	v_lshrrev_b32_e32 v15, s2, v15
	s_delay_alu instid0(VALU_DEP_1) | instskip(NEXT) | instid1(VALU_DEP_1)
	v_mul_lo_u32 v15, v15, s0
	v_sub_nc_u32_e32 v15, v17, v15
	s_delay_alu instid0(VALU_DEP_1)
	v_mad_u32 v0, v15, s4, v0
	v_mad_u32 v1, v15, s5, v1
.LBB354_114:
	v_cmp_ne_u32_e32 vcc_lo, 1, v14
	s_cbranch_vccnz .LBB354_120
; %bb.115:
	s_cmp_lg_u32 s30, 0
	s_mov_b32 s6, 0
	s_cbranch_scc0 .LBB354_121
; %bb.116:
	s_min_u32 s1, s31, 15
	s_delay_alu instid0(SALU_CYCLE_1)
	s_add_co_i32 s1, s1, 1
	s_cmp_eq_u32 s31, 2
	s_cbranch_scc1 .LBB354_122
; %bb.117:
	v_dual_mov_b32 v14, 0 :: v_dual_mov_b32 v15, 0
	v_mov_b32_e32 v17, v16
	s_and_b32 s0, s1, 28
	s_add_nc_u64 s[2:3], s[12:13], 0xc4
	s_mov_b32 s7, 0
	s_mov_b64 s[4:5], s[12:13]
.LBB354_118:                            ; =>This Inner Loop Header: Depth=1
	s_clause 0x1
	s_load_b256 s[16:23], s[4:5], 0x4
	s_load_b128 s[8:11], s[4:5], 0x24
	s_load_b256 s[36:43], s[2:3], 0x0
	s_add_co_i32 s7, s7, 4
	s_wait_xcnt 0x0
	s_add_nc_u64 s[4:5], s[4:5], 48
	s_cmp_lg_u32 s0, s7
	s_add_nc_u64 s[2:3], s[2:3], 32
	s_wait_kmcnt 0x0
	v_mul_hi_u32 v18, s17, v17
	s_delay_alu instid0(VALU_DEP_1) | instskip(NEXT) | instid1(VALU_DEP_1)
	v_add_nc_u32_e32 v18, v17, v18
	v_lshrrev_b32_e32 v18, s18, v18
	s_delay_alu instid0(VALU_DEP_1) | instskip(NEXT) | instid1(VALU_DEP_1)
	v_mul_hi_u32 v19, s20, v18
	v_add_nc_u32_e32 v19, v18, v19
	s_delay_alu instid0(VALU_DEP_1) | instskip(NEXT) | instid1(VALU_DEP_1)
	v_lshrrev_b32_e32 v19, s21, v19
	v_mul_hi_u32 v20, s23, v19
	s_delay_alu instid0(VALU_DEP_1) | instskip(SKIP_1) | instid1(VALU_DEP_1)
	v_add_nc_u32_e32 v20, v19, v20
	v_mul_lo_u32 v21, v18, s16
	v_sub_nc_u32_e32 v17, v17, v21
	v_mul_lo_u32 v21, v19, s19
	s_delay_alu instid0(VALU_DEP_4) | instskip(NEXT) | instid1(VALU_DEP_3)
	v_lshrrev_b32_e32 v20, s8, v20
	v_mad_u32 v15, v17, s37, v15
	v_mad_u32 v14, v17, s36, v14
	s_delay_alu instid0(VALU_DEP_4) | instskip(NEXT) | instid1(VALU_DEP_4)
	v_sub_nc_u32_e32 v17, v18, v21
	v_mul_hi_u32 v22, s10, v20
	v_mul_lo_u32 v18, v20, s22
	s_delay_alu instid0(VALU_DEP_3) | instskip(SKIP_1) | instid1(VALU_DEP_4)
	v_mad_u32 v15, v17, s39, v15
	v_mad_u32 v14, v17, s38, v14
	v_add_nc_u32_e32 v21, v20, v22
	s_delay_alu instid0(VALU_DEP_1) | instskip(NEXT) | instid1(VALU_DEP_1)
	v_dual_sub_nc_u32 v18, v19, v18 :: v_dual_lshrrev_b32 v17, s11, v21
	v_mad_u32 v15, v18, s41, v15
	s_delay_alu instid0(VALU_DEP_4) | instskip(NEXT) | instid1(VALU_DEP_3)
	v_mad_u32 v14, v18, s40, v14
	v_mul_lo_u32 v19, v17, s9
	s_delay_alu instid0(VALU_DEP_1) | instskip(NEXT) | instid1(VALU_DEP_1)
	v_sub_nc_u32_e32 v18, v20, v19
	v_mad_u32 v15, v18, s43, v15
	s_delay_alu instid0(VALU_DEP_4)
	v_mad_u32 v14, v18, s42, v14
	s_cbranch_scc1 .LBB354_118
; %bb.119:
	s_and_b32 s4, s1, 3
	s_mov_b32 s1, 0
	s_cmp_eq_u32 s4, 0
	s_cbranch_scc0 .LBB354_123
	s_branch .LBB354_125
.LBB354_120:
	s_mov_b32 s6, -1
                                        ; implicit-def: $vgpr15
	s_branch .LBB354_125
.LBB354_121:
	v_dual_mov_b32 v15, 0 :: v_dual_mov_b32 v14, 0
	s_branch .LBB354_125
.LBB354_122:
	v_mov_b64_e32 v[14:15], 0
	v_mov_b32_e32 v17, v16
	s_mov_b32 s0, 0
	s_and_b32 s4, s1, 3
	s_mov_b32 s1, 0
	s_cmp_eq_u32 s4, 0
	s_cbranch_scc1 .LBB354_125
.LBB354_123:
	s_lshl_b32 s2, s0, 3
	s_mov_b32 s3, s1
	s_mul_u64 s[8:9], s[0:1], 12
	s_add_nc_u64 s[2:3], s[12:13], s[2:3]
	s_delay_alu instid0(SALU_CYCLE_1)
	s_add_nc_u64 s[0:1], s[2:3], 0xc4
	s_add_nc_u64 s[2:3], s[12:13], s[8:9]
.LBB354_124:                            ; =>This Inner Loop Header: Depth=1
	s_load_b96 s[8:10], s[2:3], 0x4
	s_add_co_i32 s4, s4, -1
	s_wait_xcnt 0x0
	s_add_nc_u64 s[2:3], s[2:3], 12
	s_cmp_lg_u32 s4, 0
	s_wait_kmcnt 0x0
	v_mul_hi_u32 v18, s9, v17
	s_delay_alu instid0(VALU_DEP_1) | instskip(NEXT) | instid1(VALU_DEP_1)
	v_add_nc_u32_e32 v18, v17, v18
	v_lshrrev_b32_e32 v18, s10, v18
	s_load_b64 s[10:11], s[0:1], 0x0
	s_wait_xcnt 0x0
	s_add_nc_u64 s[0:1], s[0:1], 8
	s_delay_alu instid0(VALU_DEP_1) | instskip(NEXT) | instid1(VALU_DEP_1)
	v_mul_lo_u32 v19, v18, s8
	v_sub_nc_u32_e32 v17, v17, v19
	s_wait_kmcnt 0x0
	s_delay_alu instid0(VALU_DEP_1)
	v_mad_u32 v15, v17, s11, v15
	v_mad_u32 v14, v17, s10, v14
	v_mov_b32_e32 v17, v18
	s_cbranch_scc1 .LBB354_124
.LBB354_125:
	s_and_not1_b32 vcc_lo, exec_lo, s6
	s_cbranch_vccnz .LBB354_128
; %bb.126:
	s_clause 0x1
	s_load_b96 s[0:2], s[12:13], 0x4
	s_load_b64 s[4:5], s[12:13], 0xc4
	s_cmp_lt_u32 s30, 2
	s_wait_kmcnt 0x0
	v_mul_hi_u32 v14, s1, v16
	s_delay_alu instid0(VALU_DEP_1) | instskip(NEXT) | instid1(VALU_DEP_1)
	v_add_nc_u32_e32 v14, v16, v14
	v_lshrrev_b32_e32 v17, s2, v14
	s_delay_alu instid0(VALU_DEP_1) | instskip(NEXT) | instid1(VALU_DEP_1)
	v_mul_lo_u32 v14, v17, s0
	v_sub_nc_u32_e32 v14, v16, v14
	s_delay_alu instid0(VALU_DEP_1)
	v_mul_lo_u32 v15, v14, s5
	v_mul_lo_u32 v14, v14, s4
	s_cbranch_scc1 .LBB354_128
; %bb.127:
	s_clause 0x1
	s_load_b96 s[0:2], s[12:13], 0x10
	s_load_b64 s[4:5], s[12:13], 0xcc
	s_wait_kmcnt 0x0
	v_mul_hi_u32 v16, s1, v17
	s_delay_alu instid0(VALU_DEP_1) | instskip(NEXT) | instid1(VALU_DEP_1)
	v_add_nc_u32_e32 v16, v17, v16
	v_lshrrev_b32_e32 v16, s2, v16
	s_delay_alu instid0(VALU_DEP_1) | instskip(NEXT) | instid1(VALU_DEP_1)
	v_mul_lo_u32 v16, v16, s0
	v_sub_nc_u32_e32 v16, v17, v16
	s_delay_alu instid0(VALU_DEP_1)
	v_mad_u32 v14, v16, s4, v14
	v_mad_u32 v15, v16, s5, v15
.LBB354_128:
	s_clause 0x1
	s_load_b128 s[8:11], s[12:13], 0x148
	s_load_b64 s[6:7], s[12:13], 0x158
	s_wait_kmcnt 0x0
	s_clause 0x7
	global_load_b32 v16, v3, s[10:11]
	global_load_b32 v17, v5, s[10:11]
	;; [unrolled: 1-line block ×8, first 2 shown]
	s_cmp_eq_u32 s6, 0
	s_wait_xcnt 0x0
	s_cselect_b32 s10, -1, 0
	s_wait_loadcnt 0x7
	v_cmp_ne_u32_e32 vcc_lo, s7, v16
	s_wait_loadcnt 0x6
	v_cmp_ne_u32_e64 s0, s7, v17
	s_wait_loadcnt 0x5
	v_cmp_ne_u32_e64 s1, s7, v18
	;; [unrolled: 2-line block ×5, first 2 shown]
	s_xor_b32 s0, s10, s0
	s_wait_loadcnt 0x1
	v_cmp_ne_u32_e64 s5, s7, v22
	v_cndmask_b32_e64 v3, 0, 1, s0
	s_xor_b32 s0, s10, s1
	s_wait_loadcnt 0x0
	v_cmp_ne_u32_e64 s6, s7, v23
	v_cndmask_b32_e64 v5, 0, 1, s0
	s_xor_b32 s0, s10, s2
	s_xor_b32 s7, s10, vcc_lo
	v_cndmask_b32_e64 v7, 0, 1, s0
	s_xor_b32 s0, s10, s3
	v_cndmask_b32_e64 v1, 0, 1, s7
	v_cndmask_b32_e64 v9, 0, 1, s0
	s_xor_b32 s0, s10, s4
	s_delay_alu instid0(SALU_CYCLE_1) | instskip(SKIP_1) | instid1(SALU_CYCLE_1)
	v_cndmask_b32_e64 v11, 0, 1, s0
	s_xor_b32 s0, s10, s5
	v_cndmask_b32_e64 v13, 0, 1, s0
	s_xor_b32 s0, s10, s6
	s_delay_alu instid0(SALU_CYCLE_1)
	v_cndmask_b32_e64 v15, 0, 1, s0
	s_clause 0x7
	global_store_b8 v2, v1, s[8:9]
	global_store_b8 v4, v3, s[8:9]
	;; [unrolled: 1-line block ×8, first 2 shown]
	s_endpgm
.LBB354_129:
	v_dual_mov_b32 v3, 0 :: v_dual_mov_b32 v2, 0
	s_branch .LBB354_135
.LBB354_130:
	v_dual_mov_b32 v3, 0 :: v_dual_mov_b32 v2, 0
	s_branch .LBB354_151
.LBB354_131:
	v_mov_b64_e32 v[2:3], 0
	v_mov_b32_e32 v1, v0
	s_mov_b32 s24, 0
.LBB354_132:
	s_and_b32 s16, s16, 3
	s_mov_b32 s25, 0
	s_cmp_eq_u32 s16, 0
	s_cbranch_scc1 .LBB354_135
; %bb.133:
	s_lshl_b32 s26, s24, 3
	s_mov_b32 s27, s25
	s_mul_u64 s[28:29], s[24:25], 12
	s_add_nc_u64 s[26:27], s[12:13], s[26:27]
	s_delay_alu instid0(SALU_CYCLE_1)
	s_add_nc_u64 s[24:25], s[26:27], 0xc4
	s_add_nc_u64 s[26:27], s[12:13], s[28:29]
.LBB354_134:                            ; =>This Inner Loop Header: Depth=1
	s_load_b96 s[40:42], s[26:27], 0x4
	s_load_b64 s[28:29], s[24:25], 0x0
	s_add_co_i32 s16, s16, -1
	s_wait_xcnt 0x0
	s_add_nc_u64 s[26:27], s[26:27], 12
	s_cmp_lg_u32 s16, 0
	s_add_nc_u64 s[24:25], s[24:25], 8
	s_wait_kmcnt 0x0
	v_mul_hi_u32 v4, s41, v1
	s_delay_alu instid0(VALU_DEP_1) | instskip(NEXT) | instid1(VALU_DEP_1)
	v_add_nc_u32_e32 v4, v1, v4
	v_lshrrev_b32_e32 v4, s42, v4
	s_delay_alu instid0(VALU_DEP_1) | instskip(NEXT) | instid1(VALU_DEP_1)
	v_mul_lo_u32 v5, v4, s40
	v_sub_nc_u32_e32 v1, v1, v5
	s_delay_alu instid0(VALU_DEP_1)
	v_mad_u32 v3, v1, s29, v3
	v_mad_u32 v2, v1, s28, v2
	v_mov_b32_e32 v1, v4
	s_cbranch_scc1 .LBB354_134
.LBB354_135:
	s_cbranch_execnz .LBB354_138
.LBB354_136:
	v_mov_b32_e32 v1, 0
	s_and_not1_b32 vcc_lo, exec_lo, s35
	s_delay_alu instid0(VALU_DEP_1) | instskip(NEXT) | instid1(VALU_DEP_1)
	v_mul_u64_e32 v[2:3], s[18:19], v[0:1]
	v_add_nc_u32_e32 v2, v0, v3
	s_delay_alu instid0(VALU_DEP_1) | instskip(NEXT) | instid1(VALU_DEP_1)
	v_lshrrev_b32_e32 v4, s6, v2
	v_mul_lo_u32 v2, v4, s4
	s_delay_alu instid0(VALU_DEP_1) | instskip(NEXT) | instid1(VALU_DEP_1)
	v_sub_nc_u32_e32 v2, v0, v2
	v_mul_lo_u32 v3, v2, s9
	v_mul_lo_u32 v2, v2, s8
	s_cbranch_vccnz .LBB354_138
; %bb.137:
	v_mov_b32_e32 v5, v1
	s_delay_alu instid0(VALU_DEP_1) | instskip(NEXT) | instid1(VALU_DEP_1)
	v_mul_u64_e32 v[6:7], s[20:21], v[4:5]
	v_add_nc_u32_e32 v1, v4, v7
	s_delay_alu instid0(VALU_DEP_1) | instskip(NEXT) | instid1(VALU_DEP_1)
	v_lshrrev_b32_e32 v1, s17, v1
	v_mul_lo_u32 v1, v1, s7
	s_delay_alu instid0(VALU_DEP_1) | instskip(NEXT) | instid1(VALU_DEP_1)
	v_sub_nc_u32_e32 v1, v4, v1
	v_mad_u32 v2, v1, s10, v2
	v_mad_u32 v3, v1, s11, v3
.LBB354_138:
	global_load_b32 v1, v3, s[2:3]
	v_add_nc_u32_e32 v0, 0x80, v0
	s_wait_loadcnt 0x0
	v_cmp_ne_u32_e32 vcc_lo, s15, v1
	s_xor_b32 s16, s5, vcc_lo
	s_delay_alu instid0(SALU_CYCLE_1) | instskip(SKIP_3) | instid1(SALU_CYCLE_1)
	v_cndmask_b32_e64 v1, 0, 1, s16
	global_store_b8 v2, v1, s[0:1]
	s_wait_xcnt 0x0
	s_or_b32 exec_lo, exec_lo, s14
	s_mov_b32 s14, exec_lo
	v_cmpx_gt_i32_e64 s36, v0
	s_cbranch_execnz .LBB354_15
.LBB354_139:
	s_or_b32 exec_lo, exec_lo, s14
	s_delay_alu instid0(SALU_CYCLE_1)
	s_mov_b32 s14, exec_lo
	v_cmpx_gt_i32_e64 s36, v0
	s_cbranch_execz .LBB354_155
.LBB354_140:
	s_and_not1_b32 vcc_lo, exec_lo, s33
	s_cbranch_vccnz .LBB354_145
; %bb.141:
	s_and_not1_b32 vcc_lo, exec_lo, s38
	s_cbranch_vccnz .LBB354_146
; %bb.142:
	s_add_co_i32 s16, s37, 1
	s_cmp_eq_u32 s31, 2
	s_cbranch_scc1 .LBB354_163
; %bb.143:
	v_dual_mov_b32 v2, 0 :: v_dual_mov_b32 v3, 0
	v_mov_b32_e32 v1, v0
	s_and_b32 s24, s16, 28
	s_mov_b32 s25, 0
	s_mov_b64 s[26:27], s[12:13]
	s_mov_b64 s[28:29], s[22:23]
.LBB354_144:                            ; =>This Inner Loop Header: Depth=1
	s_clause 0x1
	s_load_b256 s[40:47], s[26:27], 0x4
	s_load_b128 s[56:59], s[26:27], 0x24
	s_load_b256 s[48:55], s[28:29], 0x0
	s_add_co_i32 s25, s25, 4
	s_wait_xcnt 0x0
	s_add_nc_u64 s[26:27], s[26:27], 48
	s_cmp_eq_u32 s24, s25
	s_add_nc_u64 s[28:29], s[28:29], 32
	s_wait_kmcnt 0x0
	v_mul_hi_u32 v4, s41, v1
	s_delay_alu instid0(VALU_DEP_1) | instskip(NEXT) | instid1(VALU_DEP_1)
	v_add_nc_u32_e32 v4, v1, v4
	v_lshrrev_b32_e32 v4, s42, v4
	s_delay_alu instid0(VALU_DEP_1) | instskip(NEXT) | instid1(VALU_DEP_1)
	v_mul_hi_u32 v5, s44, v4
	v_add_nc_u32_e32 v5, v4, v5
	s_delay_alu instid0(VALU_DEP_1) | instskip(NEXT) | instid1(VALU_DEP_1)
	v_lshrrev_b32_e32 v5, s45, v5
	v_mul_hi_u32 v6, s47, v5
	s_delay_alu instid0(VALU_DEP_1) | instskip(SKIP_1) | instid1(VALU_DEP_1)
	v_add_nc_u32_e32 v6, v5, v6
	v_mul_lo_u32 v7, v4, s40
	v_sub_nc_u32_e32 v1, v1, v7
	v_mul_lo_u32 v7, v5, s43
	s_delay_alu instid0(VALU_DEP_4) | instskip(NEXT) | instid1(VALU_DEP_3)
	v_lshrrev_b32_e32 v6, s56, v6
	v_mad_u32 v3, v1, s49, v3
	v_mad_u32 v1, v1, s48, v2
	s_delay_alu instid0(VALU_DEP_4) | instskip(NEXT) | instid1(VALU_DEP_4)
	v_sub_nc_u32_e32 v2, v4, v7
	v_mul_hi_u32 v8, s58, v6
	v_mul_lo_u32 v4, v6, s46
	s_delay_alu instid0(VALU_DEP_3) | instskip(SKIP_1) | instid1(VALU_DEP_4)
	v_mad_u32 v3, v2, s51, v3
	v_mad_u32 v2, v2, s50, v1
	v_add_nc_u32_e32 v7, v6, v8
	s_delay_alu instid0(VALU_DEP_1) | instskip(NEXT) | instid1(VALU_DEP_1)
	v_dual_sub_nc_u32 v4, v5, v4 :: v_dual_lshrrev_b32 v1, s59, v7
	v_mad_u32 v3, v4, s53, v3
	s_delay_alu instid0(VALU_DEP_4) | instskip(NEXT) | instid1(VALU_DEP_3)
	v_mad_u32 v2, v4, s52, v2
	v_mul_lo_u32 v5, v1, s57
	s_delay_alu instid0(VALU_DEP_1) | instskip(NEXT) | instid1(VALU_DEP_1)
	v_sub_nc_u32_e32 v4, v6, v5
	v_mad_u32 v3, v4, s55, v3
	s_delay_alu instid0(VALU_DEP_4)
	v_mad_u32 v2, v4, s54, v2
	s_cbranch_scc0 .LBB354_144
	s_branch .LBB354_164
.LBB354_145:
                                        ; implicit-def: $vgpr3
	s_branch .LBB354_168
.LBB354_146:
	v_dual_mov_b32 v3, 0 :: v_dual_mov_b32 v2, 0
	s_branch .LBB354_167
.LBB354_147:
	v_mov_b64_e32 v[2:3], 0
	v_mov_b32_e32 v1, v0
	s_mov_b32 s24, 0
.LBB354_148:
	s_and_b32 s16, s16, 3
	s_mov_b32 s25, 0
	s_cmp_eq_u32 s16, 0
	s_cbranch_scc1 .LBB354_151
; %bb.149:
	s_lshl_b32 s26, s24, 3
	s_mov_b32 s27, s25
	s_mul_u64 s[28:29], s[24:25], 12
	s_add_nc_u64 s[26:27], s[12:13], s[26:27]
	s_delay_alu instid0(SALU_CYCLE_1)
	s_add_nc_u64 s[24:25], s[26:27], 0xc4
	s_add_nc_u64 s[26:27], s[12:13], s[28:29]
.LBB354_150:                            ; =>This Inner Loop Header: Depth=1
	s_load_b96 s[40:42], s[26:27], 0x4
	s_load_b64 s[28:29], s[24:25], 0x0
	s_add_co_i32 s16, s16, -1
	s_wait_xcnt 0x0
	s_add_nc_u64 s[26:27], s[26:27], 12
	s_cmp_lg_u32 s16, 0
	s_add_nc_u64 s[24:25], s[24:25], 8
	s_wait_kmcnt 0x0
	v_mul_hi_u32 v4, s41, v1
	s_delay_alu instid0(VALU_DEP_1) | instskip(NEXT) | instid1(VALU_DEP_1)
	v_add_nc_u32_e32 v4, v1, v4
	v_lshrrev_b32_e32 v4, s42, v4
	s_delay_alu instid0(VALU_DEP_1) | instskip(NEXT) | instid1(VALU_DEP_1)
	v_mul_lo_u32 v5, v4, s40
	v_sub_nc_u32_e32 v1, v1, v5
	s_delay_alu instid0(VALU_DEP_1)
	v_mad_u32 v3, v1, s29, v3
	v_mad_u32 v2, v1, s28, v2
	v_mov_b32_e32 v1, v4
	s_cbranch_scc1 .LBB354_150
.LBB354_151:
	s_cbranch_execnz .LBB354_154
.LBB354_152:
	v_mov_b32_e32 v1, 0
	s_and_not1_b32 vcc_lo, exec_lo, s35
	s_delay_alu instid0(VALU_DEP_1) | instskip(NEXT) | instid1(VALU_DEP_1)
	v_mul_u64_e32 v[2:3], s[18:19], v[0:1]
	v_add_nc_u32_e32 v2, v0, v3
	s_delay_alu instid0(VALU_DEP_1) | instskip(NEXT) | instid1(VALU_DEP_1)
	v_lshrrev_b32_e32 v4, s6, v2
	v_mul_lo_u32 v2, v4, s4
	s_delay_alu instid0(VALU_DEP_1) | instskip(NEXT) | instid1(VALU_DEP_1)
	v_sub_nc_u32_e32 v2, v0, v2
	v_mul_lo_u32 v3, v2, s9
	v_mul_lo_u32 v2, v2, s8
	s_cbranch_vccnz .LBB354_154
; %bb.153:
	v_mov_b32_e32 v5, v1
	s_delay_alu instid0(VALU_DEP_1) | instskip(NEXT) | instid1(VALU_DEP_1)
	v_mul_u64_e32 v[6:7], s[20:21], v[4:5]
	v_add_nc_u32_e32 v1, v4, v7
	s_delay_alu instid0(VALU_DEP_1) | instskip(NEXT) | instid1(VALU_DEP_1)
	v_lshrrev_b32_e32 v1, s17, v1
	v_mul_lo_u32 v1, v1, s7
	s_delay_alu instid0(VALU_DEP_1) | instskip(NEXT) | instid1(VALU_DEP_1)
	v_sub_nc_u32_e32 v1, v4, v1
	v_mad_u32 v2, v1, s10, v2
	v_mad_u32 v3, v1, s11, v3
.LBB354_154:
	global_load_b32 v1, v3, s[2:3]
	v_add_nc_u32_e32 v0, 0x80, v0
	s_wait_loadcnt 0x0
	v_cmp_ne_u32_e32 vcc_lo, s15, v1
	s_xor_b32 s16, s5, vcc_lo
	s_delay_alu instid0(SALU_CYCLE_1) | instskip(SKIP_3) | instid1(SALU_CYCLE_1)
	v_cndmask_b32_e64 v1, 0, 1, s16
	global_store_b8 v2, v1, s[0:1]
	s_wait_xcnt 0x0
	s_or_b32 exec_lo, exec_lo, s14
	s_mov_b32 s14, exec_lo
	v_cmpx_gt_i32_e64 s36, v0
	s_cbranch_execnz .LBB354_140
.LBB354_155:
	s_or_b32 exec_lo, exec_lo, s14
	s_delay_alu instid0(SALU_CYCLE_1)
	s_mov_b32 s14, exec_lo
	v_cmpx_gt_i32_e64 s36, v0
	s_cbranch_execz .LBB354_171
.LBB354_156:
	s_and_not1_b32 vcc_lo, exec_lo, s33
	s_cbranch_vccnz .LBB354_161
; %bb.157:
	s_and_not1_b32 vcc_lo, exec_lo, s38
	s_cbranch_vccnz .LBB354_162
; %bb.158:
	s_add_co_i32 s16, s37, 1
	s_cmp_eq_u32 s31, 2
	s_cbranch_scc1 .LBB354_179
; %bb.159:
	v_dual_mov_b32 v2, 0 :: v_dual_mov_b32 v3, 0
	v_mov_b32_e32 v1, v0
	s_and_b32 s24, s16, 28
	s_mov_b32 s25, 0
	s_mov_b64 s[26:27], s[12:13]
	s_mov_b64 s[28:29], s[22:23]
.LBB354_160:                            ; =>This Inner Loop Header: Depth=1
	s_clause 0x1
	s_load_b256 s[40:47], s[26:27], 0x4
	s_load_b128 s[56:59], s[26:27], 0x24
	s_load_b256 s[48:55], s[28:29], 0x0
	s_add_co_i32 s25, s25, 4
	s_wait_xcnt 0x0
	s_add_nc_u64 s[26:27], s[26:27], 48
	s_cmp_eq_u32 s24, s25
	s_add_nc_u64 s[28:29], s[28:29], 32
	s_wait_kmcnt 0x0
	v_mul_hi_u32 v4, s41, v1
	s_delay_alu instid0(VALU_DEP_1) | instskip(NEXT) | instid1(VALU_DEP_1)
	v_add_nc_u32_e32 v4, v1, v4
	v_lshrrev_b32_e32 v4, s42, v4
	s_delay_alu instid0(VALU_DEP_1) | instskip(NEXT) | instid1(VALU_DEP_1)
	v_mul_hi_u32 v5, s44, v4
	v_add_nc_u32_e32 v5, v4, v5
	s_delay_alu instid0(VALU_DEP_1) | instskip(NEXT) | instid1(VALU_DEP_1)
	v_lshrrev_b32_e32 v5, s45, v5
	v_mul_hi_u32 v6, s47, v5
	s_delay_alu instid0(VALU_DEP_1) | instskip(SKIP_1) | instid1(VALU_DEP_1)
	v_add_nc_u32_e32 v6, v5, v6
	v_mul_lo_u32 v7, v4, s40
	v_sub_nc_u32_e32 v1, v1, v7
	v_mul_lo_u32 v7, v5, s43
	s_delay_alu instid0(VALU_DEP_4) | instskip(NEXT) | instid1(VALU_DEP_3)
	v_lshrrev_b32_e32 v6, s56, v6
	v_mad_u32 v3, v1, s49, v3
	v_mad_u32 v1, v1, s48, v2
	s_delay_alu instid0(VALU_DEP_4) | instskip(NEXT) | instid1(VALU_DEP_4)
	v_sub_nc_u32_e32 v2, v4, v7
	v_mul_hi_u32 v8, s58, v6
	v_mul_lo_u32 v4, v6, s46
	s_delay_alu instid0(VALU_DEP_3) | instskip(SKIP_1) | instid1(VALU_DEP_4)
	v_mad_u32 v3, v2, s51, v3
	v_mad_u32 v2, v2, s50, v1
	v_add_nc_u32_e32 v7, v6, v8
	s_delay_alu instid0(VALU_DEP_1) | instskip(NEXT) | instid1(VALU_DEP_1)
	v_dual_sub_nc_u32 v4, v5, v4 :: v_dual_lshrrev_b32 v1, s59, v7
	v_mad_u32 v3, v4, s53, v3
	s_delay_alu instid0(VALU_DEP_4) | instskip(NEXT) | instid1(VALU_DEP_3)
	v_mad_u32 v2, v4, s52, v2
	v_mul_lo_u32 v5, v1, s57
	s_delay_alu instid0(VALU_DEP_1) | instskip(NEXT) | instid1(VALU_DEP_1)
	v_sub_nc_u32_e32 v4, v6, v5
	v_mad_u32 v3, v4, s55, v3
	s_delay_alu instid0(VALU_DEP_4)
	v_mad_u32 v2, v4, s54, v2
	s_cbranch_scc0 .LBB354_160
	s_branch .LBB354_180
.LBB354_161:
                                        ; implicit-def: $vgpr3
	s_branch .LBB354_184
.LBB354_162:
	v_dual_mov_b32 v3, 0 :: v_dual_mov_b32 v2, 0
	s_branch .LBB354_183
.LBB354_163:
	v_mov_b64_e32 v[2:3], 0
	v_mov_b32_e32 v1, v0
	s_mov_b32 s24, 0
.LBB354_164:
	s_and_b32 s16, s16, 3
	s_mov_b32 s25, 0
	s_cmp_eq_u32 s16, 0
	s_cbranch_scc1 .LBB354_167
; %bb.165:
	s_lshl_b32 s26, s24, 3
	s_mov_b32 s27, s25
	s_mul_u64 s[28:29], s[24:25], 12
	s_add_nc_u64 s[26:27], s[12:13], s[26:27]
	s_delay_alu instid0(SALU_CYCLE_1)
	s_add_nc_u64 s[24:25], s[26:27], 0xc4
	s_add_nc_u64 s[26:27], s[12:13], s[28:29]
.LBB354_166:                            ; =>This Inner Loop Header: Depth=1
	s_load_b96 s[40:42], s[26:27], 0x4
	s_load_b64 s[28:29], s[24:25], 0x0
	s_add_co_i32 s16, s16, -1
	s_wait_xcnt 0x0
	s_add_nc_u64 s[26:27], s[26:27], 12
	s_cmp_lg_u32 s16, 0
	s_add_nc_u64 s[24:25], s[24:25], 8
	s_wait_kmcnt 0x0
	v_mul_hi_u32 v4, s41, v1
	s_delay_alu instid0(VALU_DEP_1) | instskip(NEXT) | instid1(VALU_DEP_1)
	v_add_nc_u32_e32 v4, v1, v4
	v_lshrrev_b32_e32 v4, s42, v4
	s_delay_alu instid0(VALU_DEP_1) | instskip(NEXT) | instid1(VALU_DEP_1)
	v_mul_lo_u32 v5, v4, s40
	v_sub_nc_u32_e32 v1, v1, v5
	s_delay_alu instid0(VALU_DEP_1)
	v_mad_u32 v3, v1, s29, v3
	v_mad_u32 v2, v1, s28, v2
	v_mov_b32_e32 v1, v4
	s_cbranch_scc1 .LBB354_166
.LBB354_167:
	s_cbranch_execnz .LBB354_170
.LBB354_168:
	v_mov_b32_e32 v1, 0
	s_and_not1_b32 vcc_lo, exec_lo, s35
	s_delay_alu instid0(VALU_DEP_1) | instskip(NEXT) | instid1(VALU_DEP_1)
	v_mul_u64_e32 v[2:3], s[18:19], v[0:1]
	v_add_nc_u32_e32 v2, v0, v3
	s_delay_alu instid0(VALU_DEP_1) | instskip(NEXT) | instid1(VALU_DEP_1)
	v_lshrrev_b32_e32 v4, s6, v2
	v_mul_lo_u32 v2, v4, s4
	s_delay_alu instid0(VALU_DEP_1) | instskip(NEXT) | instid1(VALU_DEP_1)
	v_sub_nc_u32_e32 v2, v0, v2
	v_mul_lo_u32 v3, v2, s9
	v_mul_lo_u32 v2, v2, s8
	s_cbranch_vccnz .LBB354_170
; %bb.169:
	v_mov_b32_e32 v5, v1
	s_delay_alu instid0(VALU_DEP_1) | instskip(NEXT) | instid1(VALU_DEP_1)
	v_mul_u64_e32 v[6:7], s[20:21], v[4:5]
	v_add_nc_u32_e32 v1, v4, v7
	s_delay_alu instid0(VALU_DEP_1) | instskip(NEXT) | instid1(VALU_DEP_1)
	v_lshrrev_b32_e32 v1, s17, v1
	v_mul_lo_u32 v1, v1, s7
	s_delay_alu instid0(VALU_DEP_1) | instskip(NEXT) | instid1(VALU_DEP_1)
	v_sub_nc_u32_e32 v1, v4, v1
	v_mad_u32 v2, v1, s10, v2
	v_mad_u32 v3, v1, s11, v3
.LBB354_170:
	global_load_b32 v1, v3, s[2:3]
	v_add_nc_u32_e32 v0, 0x80, v0
	s_wait_loadcnt 0x0
	v_cmp_ne_u32_e32 vcc_lo, s15, v1
	s_xor_b32 s16, s5, vcc_lo
	s_delay_alu instid0(SALU_CYCLE_1) | instskip(SKIP_3) | instid1(SALU_CYCLE_1)
	v_cndmask_b32_e64 v1, 0, 1, s16
	global_store_b8 v2, v1, s[0:1]
	s_wait_xcnt 0x0
	s_or_b32 exec_lo, exec_lo, s14
	s_mov_b32 s14, exec_lo
	v_cmpx_gt_i32_e64 s36, v0
	s_cbranch_execnz .LBB354_156
.LBB354_171:
	s_or_b32 exec_lo, exec_lo, s14
	s_delay_alu instid0(SALU_CYCLE_1)
	s_mov_b32 s14, exec_lo
	v_cmpx_gt_i32_e64 s36, v0
	s_cbranch_execz .LBB354_187
.LBB354_172:
	s_and_not1_b32 vcc_lo, exec_lo, s33
	s_cbranch_vccnz .LBB354_177
; %bb.173:
	s_and_not1_b32 vcc_lo, exec_lo, s38
	s_cbranch_vccnz .LBB354_178
; %bb.174:
	s_add_co_i32 s16, s37, 1
	s_cmp_eq_u32 s31, 2
	s_cbranch_scc1 .LBB354_195
; %bb.175:
	v_dual_mov_b32 v2, 0 :: v_dual_mov_b32 v3, 0
	v_mov_b32_e32 v1, v0
	s_and_b32 s24, s16, 28
	s_mov_b32 s25, 0
	s_mov_b64 s[26:27], s[12:13]
	s_mov_b64 s[28:29], s[22:23]
.LBB354_176:                            ; =>This Inner Loop Header: Depth=1
	s_clause 0x1
	s_load_b256 s[40:47], s[26:27], 0x4
	s_load_b128 s[56:59], s[26:27], 0x24
	s_load_b256 s[48:55], s[28:29], 0x0
	s_add_co_i32 s25, s25, 4
	s_wait_xcnt 0x0
	s_add_nc_u64 s[26:27], s[26:27], 48
	s_cmp_eq_u32 s24, s25
	s_add_nc_u64 s[28:29], s[28:29], 32
	s_wait_kmcnt 0x0
	v_mul_hi_u32 v4, s41, v1
	s_delay_alu instid0(VALU_DEP_1) | instskip(NEXT) | instid1(VALU_DEP_1)
	v_add_nc_u32_e32 v4, v1, v4
	v_lshrrev_b32_e32 v4, s42, v4
	s_delay_alu instid0(VALU_DEP_1) | instskip(NEXT) | instid1(VALU_DEP_1)
	v_mul_hi_u32 v5, s44, v4
	v_add_nc_u32_e32 v5, v4, v5
	s_delay_alu instid0(VALU_DEP_1) | instskip(NEXT) | instid1(VALU_DEP_1)
	v_lshrrev_b32_e32 v5, s45, v5
	v_mul_hi_u32 v6, s47, v5
	s_delay_alu instid0(VALU_DEP_1) | instskip(SKIP_1) | instid1(VALU_DEP_1)
	v_add_nc_u32_e32 v6, v5, v6
	v_mul_lo_u32 v7, v4, s40
	v_sub_nc_u32_e32 v1, v1, v7
	v_mul_lo_u32 v7, v5, s43
	s_delay_alu instid0(VALU_DEP_4) | instskip(NEXT) | instid1(VALU_DEP_3)
	v_lshrrev_b32_e32 v6, s56, v6
	v_mad_u32 v3, v1, s49, v3
	v_mad_u32 v1, v1, s48, v2
	s_delay_alu instid0(VALU_DEP_4) | instskip(NEXT) | instid1(VALU_DEP_4)
	v_sub_nc_u32_e32 v2, v4, v7
	v_mul_hi_u32 v8, s58, v6
	v_mul_lo_u32 v4, v6, s46
	s_delay_alu instid0(VALU_DEP_3) | instskip(SKIP_1) | instid1(VALU_DEP_4)
	v_mad_u32 v3, v2, s51, v3
	v_mad_u32 v2, v2, s50, v1
	v_add_nc_u32_e32 v7, v6, v8
	s_delay_alu instid0(VALU_DEP_1) | instskip(NEXT) | instid1(VALU_DEP_1)
	v_dual_sub_nc_u32 v4, v5, v4 :: v_dual_lshrrev_b32 v1, s59, v7
	v_mad_u32 v3, v4, s53, v3
	s_delay_alu instid0(VALU_DEP_4) | instskip(NEXT) | instid1(VALU_DEP_3)
	v_mad_u32 v2, v4, s52, v2
	v_mul_lo_u32 v5, v1, s57
	s_delay_alu instid0(VALU_DEP_1) | instskip(NEXT) | instid1(VALU_DEP_1)
	v_sub_nc_u32_e32 v4, v6, v5
	v_mad_u32 v3, v4, s55, v3
	s_delay_alu instid0(VALU_DEP_4)
	v_mad_u32 v2, v4, s54, v2
	s_cbranch_scc0 .LBB354_176
	s_branch .LBB354_196
.LBB354_177:
                                        ; implicit-def: $vgpr3
	s_branch .LBB354_200
.LBB354_178:
	v_dual_mov_b32 v3, 0 :: v_dual_mov_b32 v2, 0
	s_branch .LBB354_199
.LBB354_179:
	v_mov_b64_e32 v[2:3], 0
	v_mov_b32_e32 v1, v0
	s_mov_b32 s24, 0
.LBB354_180:
	s_and_b32 s16, s16, 3
	s_mov_b32 s25, 0
	s_cmp_eq_u32 s16, 0
	s_cbranch_scc1 .LBB354_183
; %bb.181:
	s_lshl_b32 s26, s24, 3
	s_mov_b32 s27, s25
	s_mul_u64 s[28:29], s[24:25], 12
	s_add_nc_u64 s[26:27], s[12:13], s[26:27]
	s_delay_alu instid0(SALU_CYCLE_1)
	s_add_nc_u64 s[24:25], s[26:27], 0xc4
	s_add_nc_u64 s[26:27], s[12:13], s[28:29]
.LBB354_182:                            ; =>This Inner Loop Header: Depth=1
	s_load_b96 s[40:42], s[26:27], 0x4
	s_load_b64 s[28:29], s[24:25], 0x0
	s_add_co_i32 s16, s16, -1
	s_wait_xcnt 0x0
	s_add_nc_u64 s[26:27], s[26:27], 12
	s_cmp_lg_u32 s16, 0
	s_add_nc_u64 s[24:25], s[24:25], 8
	s_wait_kmcnt 0x0
	v_mul_hi_u32 v4, s41, v1
	s_delay_alu instid0(VALU_DEP_1) | instskip(NEXT) | instid1(VALU_DEP_1)
	v_add_nc_u32_e32 v4, v1, v4
	v_lshrrev_b32_e32 v4, s42, v4
	s_delay_alu instid0(VALU_DEP_1) | instskip(NEXT) | instid1(VALU_DEP_1)
	v_mul_lo_u32 v5, v4, s40
	v_sub_nc_u32_e32 v1, v1, v5
	s_delay_alu instid0(VALU_DEP_1)
	v_mad_u32 v3, v1, s29, v3
	v_mad_u32 v2, v1, s28, v2
	v_mov_b32_e32 v1, v4
	s_cbranch_scc1 .LBB354_182
.LBB354_183:
	s_cbranch_execnz .LBB354_186
.LBB354_184:
	v_mov_b32_e32 v1, 0
	s_and_not1_b32 vcc_lo, exec_lo, s35
	s_delay_alu instid0(VALU_DEP_1) | instskip(NEXT) | instid1(VALU_DEP_1)
	v_mul_u64_e32 v[2:3], s[18:19], v[0:1]
	v_add_nc_u32_e32 v2, v0, v3
	s_delay_alu instid0(VALU_DEP_1) | instskip(NEXT) | instid1(VALU_DEP_1)
	v_lshrrev_b32_e32 v4, s6, v2
	v_mul_lo_u32 v2, v4, s4
	s_delay_alu instid0(VALU_DEP_1) | instskip(NEXT) | instid1(VALU_DEP_1)
	v_sub_nc_u32_e32 v2, v0, v2
	v_mul_lo_u32 v3, v2, s9
	v_mul_lo_u32 v2, v2, s8
	s_cbranch_vccnz .LBB354_186
; %bb.185:
	v_mov_b32_e32 v5, v1
	s_delay_alu instid0(VALU_DEP_1) | instskip(NEXT) | instid1(VALU_DEP_1)
	v_mul_u64_e32 v[6:7], s[20:21], v[4:5]
	v_add_nc_u32_e32 v1, v4, v7
	s_delay_alu instid0(VALU_DEP_1) | instskip(NEXT) | instid1(VALU_DEP_1)
	v_lshrrev_b32_e32 v1, s17, v1
	v_mul_lo_u32 v1, v1, s7
	s_delay_alu instid0(VALU_DEP_1) | instskip(NEXT) | instid1(VALU_DEP_1)
	v_sub_nc_u32_e32 v1, v4, v1
	v_mad_u32 v2, v1, s10, v2
	v_mad_u32 v3, v1, s11, v3
.LBB354_186:
	global_load_b32 v1, v3, s[2:3]
	v_add_nc_u32_e32 v0, 0x80, v0
	s_wait_loadcnt 0x0
	v_cmp_ne_u32_e32 vcc_lo, s15, v1
	s_xor_b32 s16, s5, vcc_lo
	s_delay_alu instid0(SALU_CYCLE_1) | instskip(SKIP_3) | instid1(SALU_CYCLE_1)
	v_cndmask_b32_e64 v1, 0, 1, s16
	global_store_b8 v2, v1, s[0:1]
	s_wait_xcnt 0x0
	s_or_b32 exec_lo, exec_lo, s14
	s_mov_b32 s14, exec_lo
	v_cmpx_gt_i32_e64 s36, v0
	s_cbranch_execnz .LBB354_172
.LBB354_187:
	s_or_b32 exec_lo, exec_lo, s14
	s_delay_alu instid0(SALU_CYCLE_1)
	s_mov_b32 s14, exec_lo
	v_cmpx_gt_i32_e64 s36, v0
	s_cbranch_execz .LBB354_203
.LBB354_188:
	s_and_not1_b32 vcc_lo, exec_lo, s33
	s_cbranch_vccnz .LBB354_193
; %bb.189:
	s_and_not1_b32 vcc_lo, exec_lo, s38
	s_cbranch_vccnz .LBB354_194
; %bb.190:
	s_add_co_i32 s16, s37, 1
	s_cmp_eq_u32 s31, 2
	s_cbranch_scc1 .LBB354_211
; %bb.191:
	v_dual_mov_b32 v2, 0 :: v_dual_mov_b32 v3, 0
	v_mov_b32_e32 v1, v0
	s_and_b32 s24, s16, 28
	s_mov_b32 s25, 0
	s_mov_b64 s[26:27], s[12:13]
	s_mov_b64 s[28:29], s[22:23]
.LBB354_192:                            ; =>This Inner Loop Header: Depth=1
	s_clause 0x1
	s_load_b256 s[40:47], s[26:27], 0x4
	s_load_b128 s[56:59], s[26:27], 0x24
	s_load_b256 s[48:55], s[28:29], 0x0
	s_add_co_i32 s25, s25, 4
	s_wait_xcnt 0x0
	s_add_nc_u64 s[26:27], s[26:27], 48
	s_cmp_eq_u32 s24, s25
	s_add_nc_u64 s[28:29], s[28:29], 32
	s_wait_kmcnt 0x0
	v_mul_hi_u32 v4, s41, v1
	s_delay_alu instid0(VALU_DEP_1) | instskip(NEXT) | instid1(VALU_DEP_1)
	v_add_nc_u32_e32 v4, v1, v4
	v_lshrrev_b32_e32 v4, s42, v4
	s_delay_alu instid0(VALU_DEP_1) | instskip(NEXT) | instid1(VALU_DEP_1)
	v_mul_hi_u32 v5, s44, v4
	v_add_nc_u32_e32 v5, v4, v5
	s_delay_alu instid0(VALU_DEP_1) | instskip(NEXT) | instid1(VALU_DEP_1)
	v_lshrrev_b32_e32 v5, s45, v5
	v_mul_hi_u32 v6, s47, v5
	s_delay_alu instid0(VALU_DEP_1) | instskip(SKIP_1) | instid1(VALU_DEP_1)
	v_add_nc_u32_e32 v6, v5, v6
	v_mul_lo_u32 v7, v4, s40
	v_sub_nc_u32_e32 v1, v1, v7
	v_mul_lo_u32 v7, v5, s43
	s_delay_alu instid0(VALU_DEP_4) | instskip(NEXT) | instid1(VALU_DEP_3)
	v_lshrrev_b32_e32 v6, s56, v6
	v_mad_u32 v3, v1, s49, v3
	v_mad_u32 v1, v1, s48, v2
	s_delay_alu instid0(VALU_DEP_4) | instskip(NEXT) | instid1(VALU_DEP_4)
	v_sub_nc_u32_e32 v2, v4, v7
	v_mul_hi_u32 v8, s58, v6
	v_mul_lo_u32 v4, v6, s46
	s_delay_alu instid0(VALU_DEP_3) | instskip(SKIP_1) | instid1(VALU_DEP_4)
	v_mad_u32 v3, v2, s51, v3
	v_mad_u32 v2, v2, s50, v1
	v_add_nc_u32_e32 v7, v6, v8
	s_delay_alu instid0(VALU_DEP_1) | instskip(NEXT) | instid1(VALU_DEP_1)
	v_dual_sub_nc_u32 v4, v5, v4 :: v_dual_lshrrev_b32 v1, s59, v7
	v_mad_u32 v3, v4, s53, v3
	s_delay_alu instid0(VALU_DEP_4) | instskip(NEXT) | instid1(VALU_DEP_3)
	v_mad_u32 v2, v4, s52, v2
	v_mul_lo_u32 v5, v1, s57
	s_delay_alu instid0(VALU_DEP_1) | instskip(NEXT) | instid1(VALU_DEP_1)
	v_sub_nc_u32_e32 v4, v6, v5
	v_mad_u32 v3, v4, s55, v3
	s_delay_alu instid0(VALU_DEP_4)
	v_mad_u32 v2, v4, s54, v2
	s_cbranch_scc0 .LBB354_192
	s_branch .LBB354_212
.LBB354_193:
                                        ; implicit-def: $vgpr3
	s_branch .LBB354_216
.LBB354_194:
	v_dual_mov_b32 v3, 0 :: v_dual_mov_b32 v2, 0
	s_branch .LBB354_215
.LBB354_195:
	v_mov_b64_e32 v[2:3], 0
	v_mov_b32_e32 v1, v0
	s_mov_b32 s24, 0
.LBB354_196:
	s_and_b32 s16, s16, 3
	s_mov_b32 s25, 0
	s_cmp_eq_u32 s16, 0
	s_cbranch_scc1 .LBB354_199
; %bb.197:
	s_lshl_b32 s26, s24, 3
	s_mov_b32 s27, s25
	s_mul_u64 s[28:29], s[24:25], 12
	s_add_nc_u64 s[26:27], s[12:13], s[26:27]
	s_delay_alu instid0(SALU_CYCLE_1)
	s_add_nc_u64 s[24:25], s[26:27], 0xc4
	s_add_nc_u64 s[26:27], s[12:13], s[28:29]
.LBB354_198:                            ; =>This Inner Loop Header: Depth=1
	s_load_b96 s[40:42], s[26:27], 0x4
	s_load_b64 s[28:29], s[24:25], 0x0
	s_add_co_i32 s16, s16, -1
	s_wait_xcnt 0x0
	s_add_nc_u64 s[26:27], s[26:27], 12
	s_cmp_lg_u32 s16, 0
	s_add_nc_u64 s[24:25], s[24:25], 8
	s_wait_kmcnt 0x0
	v_mul_hi_u32 v4, s41, v1
	s_delay_alu instid0(VALU_DEP_1) | instskip(NEXT) | instid1(VALU_DEP_1)
	v_add_nc_u32_e32 v4, v1, v4
	v_lshrrev_b32_e32 v4, s42, v4
	s_delay_alu instid0(VALU_DEP_1) | instskip(NEXT) | instid1(VALU_DEP_1)
	v_mul_lo_u32 v5, v4, s40
	v_sub_nc_u32_e32 v1, v1, v5
	s_delay_alu instid0(VALU_DEP_1)
	v_mad_u32 v3, v1, s29, v3
	v_mad_u32 v2, v1, s28, v2
	v_mov_b32_e32 v1, v4
	s_cbranch_scc1 .LBB354_198
.LBB354_199:
	s_cbranch_execnz .LBB354_202
.LBB354_200:
	v_mov_b32_e32 v1, 0
	s_and_not1_b32 vcc_lo, exec_lo, s35
	s_delay_alu instid0(VALU_DEP_1) | instskip(NEXT) | instid1(VALU_DEP_1)
	v_mul_u64_e32 v[2:3], s[18:19], v[0:1]
	v_add_nc_u32_e32 v2, v0, v3
	s_delay_alu instid0(VALU_DEP_1) | instskip(NEXT) | instid1(VALU_DEP_1)
	v_lshrrev_b32_e32 v4, s6, v2
	v_mul_lo_u32 v2, v4, s4
	s_delay_alu instid0(VALU_DEP_1) | instskip(NEXT) | instid1(VALU_DEP_1)
	v_sub_nc_u32_e32 v2, v0, v2
	v_mul_lo_u32 v3, v2, s9
	v_mul_lo_u32 v2, v2, s8
	s_cbranch_vccnz .LBB354_202
; %bb.201:
	v_mov_b32_e32 v5, v1
	s_delay_alu instid0(VALU_DEP_1) | instskip(NEXT) | instid1(VALU_DEP_1)
	v_mul_u64_e32 v[6:7], s[20:21], v[4:5]
	v_add_nc_u32_e32 v1, v4, v7
	s_delay_alu instid0(VALU_DEP_1) | instskip(NEXT) | instid1(VALU_DEP_1)
	v_lshrrev_b32_e32 v1, s17, v1
	v_mul_lo_u32 v1, v1, s7
	s_delay_alu instid0(VALU_DEP_1) | instskip(NEXT) | instid1(VALU_DEP_1)
	v_sub_nc_u32_e32 v1, v4, v1
	v_mad_u32 v2, v1, s10, v2
	v_mad_u32 v3, v1, s11, v3
.LBB354_202:
	global_load_b32 v1, v3, s[2:3]
	v_add_nc_u32_e32 v0, 0x80, v0
	s_wait_loadcnt 0x0
	v_cmp_ne_u32_e32 vcc_lo, s15, v1
	s_xor_b32 s16, s5, vcc_lo
	s_delay_alu instid0(SALU_CYCLE_1) | instskip(SKIP_3) | instid1(SALU_CYCLE_1)
	v_cndmask_b32_e64 v1, 0, 1, s16
	global_store_b8 v2, v1, s[0:1]
	s_wait_xcnt 0x0
	s_or_b32 exec_lo, exec_lo, s14
	s_mov_b32 s14, exec_lo
	v_cmpx_gt_i32_e64 s36, v0
	s_cbranch_execnz .LBB354_188
.LBB354_203:
	s_or_b32 exec_lo, exec_lo, s14
	s_delay_alu instid0(SALU_CYCLE_1)
	s_mov_b32 s14, exec_lo
	v_cmpx_gt_i32_e64 s36, v0
	s_cbranch_execz .LBB354_219
.LBB354_204:
	s_and_not1_b32 vcc_lo, exec_lo, s33
	s_cbranch_vccnz .LBB354_209
; %bb.205:
	s_and_not1_b32 vcc_lo, exec_lo, s38
	s_cbranch_vccnz .LBB354_210
; %bb.206:
	s_add_co_i32 s16, s37, 1
	s_cmp_eq_u32 s31, 2
	s_cbranch_scc1 .LBB354_222
; %bb.207:
	v_dual_mov_b32 v2, 0 :: v_dual_mov_b32 v3, 0
	v_mov_b32_e32 v1, v0
	s_and_b32 s24, s16, 28
	s_mov_b32 s25, 0
	s_mov_b64 s[26:27], s[12:13]
	s_mov_b64 s[28:29], s[22:23]
.LBB354_208:                            ; =>This Inner Loop Header: Depth=1
	s_clause 0x1
	s_load_b256 s[40:47], s[26:27], 0x4
	s_load_b128 s[56:59], s[26:27], 0x24
	s_load_b256 s[48:55], s[28:29], 0x0
	s_add_co_i32 s25, s25, 4
	s_wait_xcnt 0x0
	s_add_nc_u64 s[26:27], s[26:27], 48
	s_cmp_eq_u32 s24, s25
	s_add_nc_u64 s[28:29], s[28:29], 32
	s_wait_kmcnt 0x0
	v_mul_hi_u32 v4, s41, v1
	s_delay_alu instid0(VALU_DEP_1) | instskip(NEXT) | instid1(VALU_DEP_1)
	v_add_nc_u32_e32 v4, v1, v4
	v_lshrrev_b32_e32 v4, s42, v4
	s_delay_alu instid0(VALU_DEP_1) | instskip(NEXT) | instid1(VALU_DEP_1)
	v_mul_hi_u32 v5, s44, v4
	v_add_nc_u32_e32 v5, v4, v5
	s_delay_alu instid0(VALU_DEP_1) | instskip(NEXT) | instid1(VALU_DEP_1)
	v_lshrrev_b32_e32 v5, s45, v5
	v_mul_hi_u32 v6, s47, v5
	s_delay_alu instid0(VALU_DEP_1) | instskip(SKIP_1) | instid1(VALU_DEP_1)
	v_add_nc_u32_e32 v6, v5, v6
	v_mul_lo_u32 v7, v4, s40
	v_sub_nc_u32_e32 v1, v1, v7
	v_mul_lo_u32 v7, v5, s43
	s_delay_alu instid0(VALU_DEP_4) | instskip(NEXT) | instid1(VALU_DEP_3)
	v_lshrrev_b32_e32 v6, s56, v6
	v_mad_u32 v3, v1, s49, v3
	v_mad_u32 v1, v1, s48, v2
	s_delay_alu instid0(VALU_DEP_4) | instskip(NEXT) | instid1(VALU_DEP_4)
	v_sub_nc_u32_e32 v2, v4, v7
	v_mul_hi_u32 v8, s58, v6
	v_mul_lo_u32 v4, v6, s46
	s_delay_alu instid0(VALU_DEP_3) | instskip(SKIP_1) | instid1(VALU_DEP_4)
	v_mad_u32 v3, v2, s51, v3
	v_mad_u32 v2, v2, s50, v1
	v_add_nc_u32_e32 v7, v6, v8
	s_delay_alu instid0(VALU_DEP_1) | instskip(NEXT) | instid1(VALU_DEP_1)
	v_dual_sub_nc_u32 v4, v5, v4 :: v_dual_lshrrev_b32 v1, s59, v7
	v_mad_u32 v3, v4, s53, v3
	s_delay_alu instid0(VALU_DEP_4) | instskip(NEXT) | instid1(VALU_DEP_3)
	v_mad_u32 v2, v4, s52, v2
	v_mul_lo_u32 v5, v1, s57
	s_delay_alu instid0(VALU_DEP_1) | instskip(NEXT) | instid1(VALU_DEP_1)
	v_sub_nc_u32_e32 v4, v6, v5
	v_mad_u32 v3, v4, s55, v3
	s_delay_alu instid0(VALU_DEP_4)
	v_mad_u32 v2, v4, s54, v2
	s_cbranch_scc0 .LBB354_208
	s_branch .LBB354_223
.LBB354_209:
                                        ; implicit-def: $vgpr3
	s_branch .LBB354_227
.LBB354_210:
	v_dual_mov_b32 v3, 0 :: v_dual_mov_b32 v2, 0
	s_branch .LBB354_226
.LBB354_211:
	v_mov_b64_e32 v[2:3], 0
	v_mov_b32_e32 v1, v0
	s_mov_b32 s24, 0
.LBB354_212:
	s_and_b32 s16, s16, 3
	s_mov_b32 s25, 0
	s_cmp_eq_u32 s16, 0
	s_cbranch_scc1 .LBB354_215
; %bb.213:
	s_lshl_b32 s26, s24, 3
	s_mov_b32 s27, s25
	s_mul_u64 s[28:29], s[24:25], 12
	s_add_nc_u64 s[26:27], s[12:13], s[26:27]
	s_delay_alu instid0(SALU_CYCLE_1)
	s_add_nc_u64 s[24:25], s[26:27], 0xc4
	s_add_nc_u64 s[26:27], s[12:13], s[28:29]
.LBB354_214:                            ; =>This Inner Loop Header: Depth=1
	s_load_b96 s[40:42], s[26:27], 0x4
	s_load_b64 s[28:29], s[24:25], 0x0
	s_add_co_i32 s16, s16, -1
	s_wait_xcnt 0x0
	s_add_nc_u64 s[26:27], s[26:27], 12
	s_cmp_lg_u32 s16, 0
	s_add_nc_u64 s[24:25], s[24:25], 8
	s_wait_kmcnt 0x0
	v_mul_hi_u32 v4, s41, v1
	s_delay_alu instid0(VALU_DEP_1) | instskip(NEXT) | instid1(VALU_DEP_1)
	v_add_nc_u32_e32 v4, v1, v4
	v_lshrrev_b32_e32 v4, s42, v4
	s_delay_alu instid0(VALU_DEP_1) | instskip(NEXT) | instid1(VALU_DEP_1)
	v_mul_lo_u32 v5, v4, s40
	v_sub_nc_u32_e32 v1, v1, v5
	s_delay_alu instid0(VALU_DEP_1)
	v_mad_u32 v3, v1, s29, v3
	v_mad_u32 v2, v1, s28, v2
	v_mov_b32_e32 v1, v4
	s_cbranch_scc1 .LBB354_214
.LBB354_215:
	s_cbranch_execnz .LBB354_218
.LBB354_216:
	v_mov_b32_e32 v1, 0
	s_and_not1_b32 vcc_lo, exec_lo, s35
	s_delay_alu instid0(VALU_DEP_1) | instskip(NEXT) | instid1(VALU_DEP_1)
	v_mul_u64_e32 v[2:3], s[18:19], v[0:1]
	v_add_nc_u32_e32 v2, v0, v3
	s_delay_alu instid0(VALU_DEP_1) | instskip(NEXT) | instid1(VALU_DEP_1)
	v_lshrrev_b32_e32 v4, s6, v2
	v_mul_lo_u32 v2, v4, s4
	s_delay_alu instid0(VALU_DEP_1) | instskip(NEXT) | instid1(VALU_DEP_1)
	v_sub_nc_u32_e32 v2, v0, v2
	v_mul_lo_u32 v3, v2, s9
	v_mul_lo_u32 v2, v2, s8
	s_cbranch_vccnz .LBB354_218
; %bb.217:
	v_mov_b32_e32 v5, v1
	s_delay_alu instid0(VALU_DEP_1) | instskip(NEXT) | instid1(VALU_DEP_1)
	v_mul_u64_e32 v[6:7], s[20:21], v[4:5]
	v_add_nc_u32_e32 v1, v4, v7
	s_delay_alu instid0(VALU_DEP_1) | instskip(NEXT) | instid1(VALU_DEP_1)
	v_lshrrev_b32_e32 v1, s17, v1
	v_mul_lo_u32 v1, v1, s7
	s_delay_alu instid0(VALU_DEP_1) | instskip(NEXT) | instid1(VALU_DEP_1)
	v_sub_nc_u32_e32 v1, v4, v1
	v_mad_u32 v2, v1, s10, v2
	v_mad_u32 v3, v1, s11, v3
.LBB354_218:
	global_load_b32 v1, v3, s[2:3]
	v_add_nc_u32_e32 v0, 0x80, v0
	s_wait_loadcnt 0x0
	v_cmp_ne_u32_e32 vcc_lo, s15, v1
	s_xor_b32 s16, s5, vcc_lo
	s_delay_alu instid0(SALU_CYCLE_1) | instskip(SKIP_3) | instid1(SALU_CYCLE_1)
	v_cndmask_b32_e64 v1, 0, 1, s16
	global_store_b8 v2, v1, s[0:1]
	s_wait_xcnt 0x0
	s_or_b32 exec_lo, exec_lo, s14
	s_mov_b32 s14, exec_lo
	v_cmpx_gt_i32_e64 s36, v0
	s_cbranch_execnz .LBB354_204
.LBB354_219:
	s_or_b32 exec_lo, exec_lo, s14
	s_delay_alu instid0(SALU_CYCLE_1)
	s_mov_b32 s14, exec_lo
	v_cmpx_gt_i32_e64 s36, v0
	s_cbranch_execnz .LBB354_230
.LBB354_220:
	s_or_b32 exec_lo, exec_lo, s14
                                        ; implicit-def: $vgpr16
                                        ; implicit-def: $vgpr0
	s_and_not1_saveexec_b32 s0, s34
	s_cbranch_execnz .LBB354_8
.LBB354_221:
	s_endpgm
.LBB354_222:
	v_mov_b64_e32 v[2:3], 0
	v_mov_b32_e32 v1, v0
	s_mov_b32 s24, 0
.LBB354_223:
	s_and_b32 s16, s16, 3
	s_mov_b32 s25, 0
	s_cmp_eq_u32 s16, 0
	s_cbranch_scc1 .LBB354_226
; %bb.224:
	s_lshl_b32 s26, s24, 3
	s_mov_b32 s27, s25
	s_mul_u64 s[28:29], s[24:25], 12
	s_add_nc_u64 s[26:27], s[12:13], s[26:27]
	s_delay_alu instid0(SALU_CYCLE_1)
	s_add_nc_u64 s[24:25], s[26:27], 0xc4
	s_add_nc_u64 s[26:27], s[12:13], s[28:29]
.LBB354_225:                            ; =>This Inner Loop Header: Depth=1
	s_load_b96 s[40:42], s[26:27], 0x4
	s_load_b64 s[28:29], s[24:25], 0x0
	s_add_co_i32 s16, s16, -1
	s_wait_xcnt 0x0
	s_add_nc_u64 s[26:27], s[26:27], 12
	s_cmp_lg_u32 s16, 0
	s_add_nc_u64 s[24:25], s[24:25], 8
	s_wait_kmcnt 0x0
	v_mul_hi_u32 v4, s41, v1
	s_delay_alu instid0(VALU_DEP_1) | instskip(NEXT) | instid1(VALU_DEP_1)
	v_add_nc_u32_e32 v4, v1, v4
	v_lshrrev_b32_e32 v4, s42, v4
	s_delay_alu instid0(VALU_DEP_1) | instskip(NEXT) | instid1(VALU_DEP_1)
	v_mul_lo_u32 v5, v4, s40
	v_sub_nc_u32_e32 v1, v1, v5
	s_delay_alu instid0(VALU_DEP_1)
	v_mad_u32 v3, v1, s29, v3
	v_mad_u32 v2, v1, s28, v2
	v_mov_b32_e32 v1, v4
	s_cbranch_scc1 .LBB354_225
.LBB354_226:
	s_cbranch_execnz .LBB354_229
.LBB354_227:
	v_mov_b32_e32 v1, 0
	s_and_not1_b32 vcc_lo, exec_lo, s35
	s_delay_alu instid0(VALU_DEP_1) | instskip(NEXT) | instid1(VALU_DEP_1)
	v_mul_u64_e32 v[2:3], s[18:19], v[0:1]
	v_add_nc_u32_e32 v2, v0, v3
	s_delay_alu instid0(VALU_DEP_1) | instskip(NEXT) | instid1(VALU_DEP_1)
	v_lshrrev_b32_e32 v4, s6, v2
	v_mul_lo_u32 v2, v4, s4
	s_delay_alu instid0(VALU_DEP_1) | instskip(NEXT) | instid1(VALU_DEP_1)
	v_sub_nc_u32_e32 v2, v0, v2
	v_mul_lo_u32 v3, v2, s9
	v_mul_lo_u32 v2, v2, s8
	s_cbranch_vccnz .LBB354_229
; %bb.228:
	v_mov_b32_e32 v5, v1
	s_delay_alu instid0(VALU_DEP_1) | instskip(NEXT) | instid1(VALU_DEP_1)
	v_mul_u64_e32 v[6:7], s[20:21], v[4:5]
	v_add_nc_u32_e32 v1, v4, v7
	s_delay_alu instid0(VALU_DEP_1) | instskip(NEXT) | instid1(VALU_DEP_1)
	v_lshrrev_b32_e32 v1, s17, v1
	v_mul_lo_u32 v1, v1, s7
	s_delay_alu instid0(VALU_DEP_1) | instskip(NEXT) | instid1(VALU_DEP_1)
	v_sub_nc_u32_e32 v1, v4, v1
	v_mad_u32 v2, v1, s10, v2
	v_mad_u32 v3, v1, s11, v3
.LBB354_229:
	global_load_b32 v1, v3, s[2:3]
	v_add_nc_u32_e32 v0, 0x80, v0
	s_wait_loadcnt 0x0
	v_cmp_ne_u32_e32 vcc_lo, s15, v1
	s_xor_b32 s16, s5, vcc_lo
	s_delay_alu instid0(SALU_CYCLE_1) | instskip(SKIP_3) | instid1(SALU_CYCLE_1)
	v_cndmask_b32_e64 v1, 0, 1, s16
	global_store_b8 v2, v1, s[0:1]
	s_wait_xcnt 0x0
	s_or_b32 exec_lo, exec_lo, s14
	s_mov_b32 s14, exec_lo
	v_cmpx_gt_i32_e64 s36, v0
	s_cbranch_execz .LBB354_220
.LBB354_230:
	s_and_not1_b32 vcc_lo, exec_lo, s33
	s_cbranch_vccnz .LBB354_235
; %bb.231:
	s_and_not1_b32 vcc_lo, exec_lo, s38
	s_cbranch_vccnz .LBB354_236
; %bb.232:
	s_add_co_i32 s37, s37, 1
	s_cmp_eq_u32 s31, 2
	s_cbranch_scc1 .LBB354_237
; %bb.233:
	v_dual_mov_b32 v2, 0 :: v_dual_mov_b32 v3, 0
	v_mov_b32_e32 v1, v0
	s_and_b32 s24, s37, 28
	s_mov_b32 s16, 0
	s_mov_b64 s[26:27], s[12:13]
.LBB354_234:                            ; =>This Inner Loop Header: Depth=1
	s_clause 0x1
	s_load_b256 s[40:47], s[26:27], 0x4
	s_load_b128 s[56:59], s[26:27], 0x24
	s_load_b256 s[48:55], s[22:23], 0x0
	s_add_co_i32 s16, s16, 4
	s_wait_xcnt 0x0
	s_add_nc_u64 s[26:27], s[26:27], 48
	s_cmp_eq_u32 s24, s16
	s_add_nc_u64 s[22:23], s[22:23], 32
	s_wait_kmcnt 0x0
	v_mul_hi_u32 v4, s41, v1
	s_delay_alu instid0(VALU_DEP_1) | instskip(NEXT) | instid1(VALU_DEP_1)
	v_add_nc_u32_e32 v4, v1, v4
	v_lshrrev_b32_e32 v4, s42, v4
	s_delay_alu instid0(VALU_DEP_1) | instskip(NEXT) | instid1(VALU_DEP_1)
	v_mul_hi_u32 v5, s44, v4
	v_add_nc_u32_e32 v5, v4, v5
	s_delay_alu instid0(VALU_DEP_1) | instskip(NEXT) | instid1(VALU_DEP_1)
	v_lshrrev_b32_e32 v5, s45, v5
	v_mul_hi_u32 v6, s47, v5
	s_delay_alu instid0(VALU_DEP_1) | instskip(SKIP_1) | instid1(VALU_DEP_1)
	v_add_nc_u32_e32 v6, v5, v6
	v_mul_lo_u32 v7, v4, s40
	v_sub_nc_u32_e32 v1, v1, v7
	v_mul_lo_u32 v7, v5, s43
	s_delay_alu instid0(VALU_DEP_4) | instskip(NEXT) | instid1(VALU_DEP_3)
	v_lshrrev_b32_e32 v6, s56, v6
	v_mad_u32 v3, v1, s49, v3
	v_mad_u32 v1, v1, s48, v2
	s_delay_alu instid0(VALU_DEP_4) | instskip(NEXT) | instid1(VALU_DEP_4)
	v_sub_nc_u32_e32 v2, v4, v7
	v_mul_hi_u32 v8, s58, v6
	v_mul_lo_u32 v4, v6, s46
	s_delay_alu instid0(VALU_DEP_3) | instskip(SKIP_1) | instid1(VALU_DEP_4)
	v_mad_u32 v3, v2, s51, v3
	v_mad_u32 v2, v2, s50, v1
	v_add_nc_u32_e32 v7, v6, v8
	s_delay_alu instid0(VALU_DEP_1) | instskip(NEXT) | instid1(VALU_DEP_1)
	v_dual_sub_nc_u32 v4, v5, v4 :: v_dual_lshrrev_b32 v1, s59, v7
	v_mad_u32 v3, v4, s53, v3
	s_delay_alu instid0(VALU_DEP_4) | instskip(NEXT) | instid1(VALU_DEP_3)
	v_mad_u32 v2, v4, s52, v2
	v_mul_lo_u32 v5, v1, s57
	s_delay_alu instid0(VALU_DEP_1) | instskip(NEXT) | instid1(VALU_DEP_1)
	v_sub_nc_u32_e32 v4, v6, v5
	v_mad_u32 v3, v4, s55, v3
	s_delay_alu instid0(VALU_DEP_4)
	v_mad_u32 v2, v4, s54, v2
	s_cbranch_scc0 .LBB354_234
	s_branch .LBB354_238
.LBB354_235:
                                        ; implicit-def: $vgpr3
	s_branch .LBB354_242
.LBB354_236:
	v_dual_mov_b32 v3, 0 :: v_dual_mov_b32 v2, 0
	s_branch .LBB354_241
.LBB354_237:
	v_mov_b64_e32 v[2:3], 0
	v_mov_b32_e32 v1, v0
	s_mov_b32 s24, 0
.LBB354_238:
	s_and_b32 s16, s37, 3
	s_mov_b32 s25, 0
	s_cmp_eq_u32 s16, 0
	s_cbranch_scc1 .LBB354_241
; %bb.239:
	s_lshl_b32 s22, s24, 3
	s_mov_b32 s23, s25
	s_mul_u64 s[24:25], s[24:25], 12
	s_add_nc_u64 s[22:23], s[12:13], s[22:23]
	s_add_nc_u64 s[24:25], s[12:13], s[24:25]
	;; [unrolled: 1-line block ×3, first 2 shown]
.LBB354_240:                            ; =>This Inner Loop Header: Depth=1
	s_load_b96 s[36:38], s[24:25], 0x4
	s_load_b64 s[26:27], s[22:23], 0x0
	s_add_co_i32 s16, s16, -1
	s_wait_xcnt 0x0
	s_add_nc_u64 s[24:25], s[24:25], 12
	s_cmp_lg_u32 s16, 0
	s_add_nc_u64 s[22:23], s[22:23], 8
	s_wait_kmcnt 0x0
	v_mul_hi_u32 v4, s37, v1
	s_delay_alu instid0(VALU_DEP_1) | instskip(NEXT) | instid1(VALU_DEP_1)
	v_add_nc_u32_e32 v4, v1, v4
	v_lshrrev_b32_e32 v4, s38, v4
	s_delay_alu instid0(VALU_DEP_1) | instskip(NEXT) | instid1(VALU_DEP_1)
	v_mul_lo_u32 v5, v4, s36
	v_sub_nc_u32_e32 v1, v1, v5
	s_delay_alu instid0(VALU_DEP_1)
	v_mad_u32 v3, v1, s27, v3
	v_mad_u32 v2, v1, s26, v2
	v_mov_b32_e32 v1, v4
	s_cbranch_scc1 .LBB354_240
.LBB354_241:
	s_cbranch_execnz .LBB354_244
.LBB354_242:
	v_mov_b32_e32 v1, 0
	s_and_not1_b32 vcc_lo, exec_lo, s35
	s_delay_alu instid0(VALU_DEP_1) | instskip(NEXT) | instid1(VALU_DEP_1)
	v_mul_u64_e32 v[2:3], s[18:19], v[0:1]
	v_add_nc_u32_e32 v2, v0, v3
	s_delay_alu instid0(VALU_DEP_1) | instskip(NEXT) | instid1(VALU_DEP_1)
	v_lshrrev_b32_e32 v4, s6, v2
	v_mul_lo_u32 v2, v4, s4
	s_delay_alu instid0(VALU_DEP_1) | instskip(NEXT) | instid1(VALU_DEP_1)
	v_sub_nc_u32_e32 v0, v0, v2
	v_mul_lo_u32 v3, v0, s9
	v_mul_lo_u32 v2, v0, s8
	s_cbranch_vccnz .LBB354_244
; %bb.243:
	v_mov_b32_e32 v5, v1
	s_delay_alu instid0(VALU_DEP_1) | instskip(NEXT) | instid1(VALU_DEP_1)
	v_mul_u64_e32 v[0:1], s[20:21], v[4:5]
	v_add_nc_u32_e32 v0, v4, v1
	s_delay_alu instid0(VALU_DEP_1) | instskip(NEXT) | instid1(VALU_DEP_1)
	v_lshrrev_b32_e32 v0, s17, v0
	v_mul_lo_u32 v0, v0, s7
	s_delay_alu instid0(VALU_DEP_1) | instskip(NEXT) | instid1(VALU_DEP_1)
	v_sub_nc_u32_e32 v0, v4, v0
	v_mad_u32 v2, v0, s10, v2
	v_mad_u32 v3, v0, s11, v3
.LBB354_244:
	global_load_b32 v0, v3, s[2:3]
	s_wait_loadcnt 0x0
	v_cmp_ne_u32_e32 vcc_lo, s15, v0
	s_wait_xcnt 0x0
	s_xor_b32 s2, s5, vcc_lo
	s_delay_alu instid0(SALU_CYCLE_1)
	v_cndmask_b32_e64 v0, 0, 1, s2
	global_store_b8 v2, v0, s[0:1]
	s_wait_xcnt 0x0
	s_or_b32 exec_lo, exec_lo, s14
                                        ; implicit-def: $vgpr16
                                        ; implicit-def: $vgpr0
	s_and_not1_saveexec_b32 s0, s34
	s_cbranch_execz .LBB354_221
	s_branch .LBB354_8
	.section	.rodata,"a",@progbits
	.p2align	6, 0x0
	.amdhsa_kernel _ZN2at6native32elementwise_kernel_manual_unrollILi128ELi8EZNS0_22gpu_kernel_impl_nocastINS0_13AUnaryFunctorIjjbNS0_12_GLOBAL__N_116CompareEqFunctorIjEEEEEEvRNS_18TensorIteratorBaseERKT_EUlibE_EEviT1_
		.amdhsa_group_segment_fixed_size 0
		.amdhsa_private_segment_fixed_size 0
		.amdhsa_kernarg_size 360
		.amdhsa_user_sgpr_count 2
		.amdhsa_user_sgpr_dispatch_ptr 0
		.amdhsa_user_sgpr_queue_ptr 0
		.amdhsa_user_sgpr_kernarg_segment_ptr 1
		.amdhsa_user_sgpr_dispatch_id 0
		.amdhsa_user_sgpr_kernarg_preload_length 0
		.amdhsa_user_sgpr_kernarg_preload_offset 0
		.amdhsa_user_sgpr_private_segment_size 0
		.amdhsa_wavefront_size32 1
		.amdhsa_uses_dynamic_stack 0
		.amdhsa_enable_private_segment 0
		.amdhsa_system_sgpr_workgroup_id_x 1
		.amdhsa_system_sgpr_workgroup_id_y 0
		.amdhsa_system_sgpr_workgroup_id_z 0
		.amdhsa_system_sgpr_workgroup_info 0
		.amdhsa_system_vgpr_workitem_id 0
		.amdhsa_next_free_vgpr 24
		.amdhsa_next_free_sgpr 60
		.amdhsa_named_barrier_count 0
		.amdhsa_reserve_vcc 1
		.amdhsa_float_round_mode_32 0
		.amdhsa_float_round_mode_16_64 0
		.amdhsa_float_denorm_mode_32 3
		.amdhsa_float_denorm_mode_16_64 3
		.amdhsa_fp16_overflow 0
		.amdhsa_memory_ordered 1
		.amdhsa_forward_progress 1
		.amdhsa_inst_pref_size 99
		.amdhsa_round_robin_scheduling 0
		.amdhsa_exception_fp_ieee_invalid_op 0
		.amdhsa_exception_fp_denorm_src 0
		.amdhsa_exception_fp_ieee_div_zero 0
		.amdhsa_exception_fp_ieee_overflow 0
		.amdhsa_exception_fp_ieee_underflow 0
		.amdhsa_exception_fp_ieee_inexact 0
		.amdhsa_exception_int_div_zero 0
	.end_amdhsa_kernel
	.section	.text._ZN2at6native32elementwise_kernel_manual_unrollILi128ELi8EZNS0_22gpu_kernel_impl_nocastINS0_13AUnaryFunctorIjjbNS0_12_GLOBAL__N_116CompareEqFunctorIjEEEEEEvRNS_18TensorIteratorBaseERKT_EUlibE_EEviT1_,"axG",@progbits,_ZN2at6native32elementwise_kernel_manual_unrollILi128ELi8EZNS0_22gpu_kernel_impl_nocastINS0_13AUnaryFunctorIjjbNS0_12_GLOBAL__N_116CompareEqFunctorIjEEEEEEvRNS_18TensorIteratorBaseERKT_EUlibE_EEviT1_,comdat
.Lfunc_end354:
	.size	_ZN2at6native32elementwise_kernel_manual_unrollILi128ELi8EZNS0_22gpu_kernel_impl_nocastINS0_13AUnaryFunctorIjjbNS0_12_GLOBAL__N_116CompareEqFunctorIjEEEEEEvRNS_18TensorIteratorBaseERKT_EUlibE_EEviT1_, .Lfunc_end354-_ZN2at6native32elementwise_kernel_manual_unrollILi128ELi8EZNS0_22gpu_kernel_impl_nocastINS0_13AUnaryFunctorIjjbNS0_12_GLOBAL__N_116CompareEqFunctorIjEEEEEEvRNS_18TensorIteratorBaseERKT_EUlibE_EEviT1_
                                        ; -- End function
	.set _ZN2at6native32elementwise_kernel_manual_unrollILi128ELi8EZNS0_22gpu_kernel_impl_nocastINS0_13AUnaryFunctorIjjbNS0_12_GLOBAL__N_116CompareEqFunctorIjEEEEEEvRNS_18TensorIteratorBaseERKT_EUlibE_EEviT1_.num_vgpr, 24
	.set _ZN2at6native32elementwise_kernel_manual_unrollILi128ELi8EZNS0_22gpu_kernel_impl_nocastINS0_13AUnaryFunctorIjjbNS0_12_GLOBAL__N_116CompareEqFunctorIjEEEEEEvRNS_18TensorIteratorBaseERKT_EUlibE_EEviT1_.num_agpr, 0
	.set _ZN2at6native32elementwise_kernel_manual_unrollILi128ELi8EZNS0_22gpu_kernel_impl_nocastINS0_13AUnaryFunctorIjjbNS0_12_GLOBAL__N_116CompareEqFunctorIjEEEEEEvRNS_18TensorIteratorBaseERKT_EUlibE_EEviT1_.numbered_sgpr, 60
	.set _ZN2at6native32elementwise_kernel_manual_unrollILi128ELi8EZNS0_22gpu_kernel_impl_nocastINS0_13AUnaryFunctorIjjbNS0_12_GLOBAL__N_116CompareEqFunctorIjEEEEEEvRNS_18TensorIteratorBaseERKT_EUlibE_EEviT1_.num_named_barrier, 0
	.set _ZN2at6native32elementwise_kernel_manual_unrollILi128ELi8EZNS0_22gpu_kernel_impl_nocastINS0_13AUnaryFunctorIjjbNS0_12_GLOBAL__N_116CompareEqFunctorIjEEEEEEvRNS_18TensorIteratorBaseERKT_EUlibE_EEviT1_.private_seg_size, 0
	.set _ZN2at6native32elementwise_kernel_manual_unrollILi128ELi8EZNS0_22gpu_kernel_impl_nocastINS0_13AUnaryFunctorIjjbNS0_12_GLOBAL__N_116CompareEqFunctorIjEEEEEEvRNS_18TensorIteratorBaseERKT_EUlibE_EEviT1_.uses_vcc, 1
	.set _ZN2at6native32elementwise_kernel_manual_unrollILi128ELi8EZNS0_22gpu_kernel_impl_nocastINS0_13AUnaryFunctorIjjbNS0_12_GLOBAL__N_116CompareEqFunctorIjEEEEEEvRNS_18TensorIteratorBaseERKT_EUlibE_EEviT1_.uses_flat_scratch, 0
	.set _ZN2at6native32elementwise_kernel_manual_unrollILi128ELi8EZNS0_22gpu_kernel_impl_nocastINS0_13AUnaryFunctorIjjbNS0_12_GLOBAL__N_116CompareEqFunctorIjEEEEEEvRNS_18TensorIteratorBaseERKT_EUlibE_EEviT1_.has_dyn_sized_stack, 0
	.set _ZN2at6native32elementwise_kernel_manual_unrollILi128ELi8EZNS0_22gpu_kernel_impl_nocastINS0_13AUnaryFunctorIjjbNS0_12_GLOBAL__N_116CompareEqFunctorIjEEEEEEvRNS_18TensorIteratorBaseERKT_EUlibE_EEviT1_.has_recursion, 0
	.set _ZN2at6native32elementwise_kernel_manual_unrollILi128ELi8EZNS0_22gpu_kernel_impl_nocastINS0_13AUnaryFunctorIjjbNS0_12_GLOBAL__N_116CompareEqFunctorIjEEEEEEvRNS_18TensorIteratorBaseERKT_EUlibE_EEviT1_.has_indirect_call, 0
	.section	.AMDGPU.csdata,"",@progbits
; Kernel info:
; codeLenInByte = 12616
; TotalNumSgprs: 62
; NumVgprs: 24
; ScratchSize: 0
; MemoryBound: 0
; FloatMode: 240
; IeeeMode: 1
; LDSByteSize: 0 bytes/workgroup (compile time only)
; SGPRBlocks: 0
; VGPRBlocks: 1
; NumSGPRsForWavesPerEU: 62
; NumVGPRsForWavesPerEU: 24
; NamedBarCnt: 0
; Occupancy: 16
; WaveLimiterHint : 1
; COMPUTE_PGM_RSRC2:SCRATCH_EN: 0
; COMPUTE_PGM_RSRC2:USER_SGPR: 2
; COMPUTE_PGM_RSRC2:TRAP_HANDLER: 0
; COMPUTE_PGM_RSRC2:TGID_X_EN: 1
; COMPUTE_PGM_RSRC2:TGID_Y_EN: 0
; COMPUTE_PGM_RSRC2:TGID_Z_EN: 0
; COMPUTE_PGM_RSRC2:TIDIG_COMP_CNT: 0
	.section	.text._ZN2at6native32elementwise_kernel_manual_unrollILi128ELi4EZNS0_15gpu_kernel_implINS0_13AUnaryFunctorIjjbNS0_12_GLOBAL__N_116CompareEqFunctorIjEEEEEEvRNS_18TensorIteratorBaseERKT_EUlibE_EEviT1_,"axG",@progbits,_ZN2at6native32elementwise_kernel_manual_unrollILi128ELi4EZNS0_15gpu_kernel_implINS0_13AUnaryFunctorIjjbNS0_12_GLOBAL__N_116CompareEqFunctorIjEEEEEEvRNS_18TensorIteratorBaseERKT_EUlibE_EEviT1_,comdat
	.globl	_ZN2at6native32elementwise_kernel_manual_unrollILi128ELi4EZNS0_15gpu_kernel_implINS0_13AUnaryFunctorIjjbNS0_12_GLOBAL__N_116CompareEqFunctorIjEEEEEEvRNS_18TensorIteratorBaseERKT_EUlibE_EEviT1_ ; -- Begin function _ZN2at6native32elementwise_kernel_manual_unrollILi128ELi4EZNS0_15gpu_kernel_implINS0_13AUnaryFunctorIjjbNS0_12_GLOBAL__N_116CompareEqFunctorIjEEEEEEvRNS_18TensorIteratorBaseERKT_EUlibE_EEviT1_
	.p2align	8
	.type	_ZN2at6native32elementwise_kernel_manual_unrollILi128ELi4EZNS0_15gpu_kernel_implINS0_13AUnaryFunctorIjjbNS0_12_GLOBAL__N_116CompareEqFunctorIjEEEEEEvRNS_18TensorIteratorBaseERKT_EUlibE_EEviT1_,@function
_ZN2at6native32elementwise_kernel_manual_unrollILi128ELi4EZNS0_15gpu_kernel_implINS0_13AUnaryFunctorIjjbNS0_12_GLOBAL__N_116CompareEqFunctorIjEEEEEEvRNS_18TensorIteratorBaseERKT_EUlibE_EEviT1_: ; @_ZN2at6native32elementwise_kernel_manual_unrollILi128ELi4EZNS0_15gpu_kernel_implINS0_13AUnaryFunctorIjjbNS0_12_GLOBAL__N_116CompareEqFunctorIjEEEEEEvRNS_18TensorIteratorBaseERKT_EUlibE_EEviT1_
; %bb.0:
	s_load_b32 s2, s[0:1], 0x28
	s_bfe_u32 s3, ttmp6, 0x4000c
	s_clause 0x1
	s_load_b32 s14, s[0:1], 0x0
	s_load_b256 s[4:11], s[0:1], 0x8
	s_add_co_i32 s3, s3, 1
	s_and_b32 s12, ttmp6, 15
	s_wait_xcnt 0x0
	s_mul_i32 s0, ttmp9, s3
	s_getreg_b32 s13, hwreg(HW_REG_IB_STS2, 6, 4)
	s_add_co_i32 s12, s12, s0
	s_mov_b32 s1, 0
	s_wait_kmcnt 0x0
	s_bfe_u32 s3, s2, 0x80008
	s_cmp_eq_u32 s13, 0
	s_mov_b32 s13, 0
	s_cselect_b32 s0, ttmp9, s12
	s_delay_alu instid0(SALU_CYCLE_1) | instskip(SKIP_1) | instid1(VALU_DEP_1)
	v_lshl_or_b32 v4, s0, 9, v0
	s_mov_b32 s0, exec_lo
	v_or_b32_e32 v0, 0x180, v4
	s_delay_alu instid0(VALU_DEP_1)
	v_cmpx_le_i32_e64 s14, v0
	s_xor_b32 s12, exec_lo, s0
	s_cbranch_execz .LBB355_1015
; %bb.1:
	s_cmp_eq_u32 s10, 0
	s_mov_b32 s18, 0
	s_cselect_b32 s13, -1, 0
	s_mov_b32 s20, -1
	s_mov_b32 s16, 0
	s_mov_b32 s15, 0
	s_mov_b32 s17, exec_lo
	v_cmpx_gt_i32_e64 s14, v4
	s_cbranch_execz .LBB355_248
; %bb.2:
	v_mul_lo_u32 v0, v4, s9
	s_and_b32 s0, 0xffff, s3
	s_delay_alu instid0(SALU_CYCLE_1) | instskip(NEXT) | instid1(VALU_DEP_1)
	s_cmp_lt_i32 s0, 11
	v_ashrrev_i32_e32 v1, 31, v0
	s_delay_alu instid0(VALU_DEP_1)
	v_add_nc_u64_e32 v[0:1], s[6:7], v[0:1]
	s_cbranch_scc1 .LBB355_9
; %bb.3:
	s_cmp_gt_i32 s0, 25
	s_cbranch_scc0 .LBB355_18
; %bb.4:
	s_cmp_gt_i32 s0, 28
	s_cbranch_scc0 .LBB355_21
	;; [unrolled: 3-line block ×4, first 2 shown]
; %bb.7:
	s_cmp_eq_u32 s0, 46
	s_mov_b32 s19, 0
	s_cbranch_scc0 .LBB355_27
; %bb.8:
	global_load_b32 v2, v[0:1], off
	s_mov_b32 s15, -1
	s_wait_loadcnt 0x0
	v_lshlrev_b32_e32 v2, 16, v2
	s_delay_alu instid0(VALU_DEP_1)
	v_cvt_u32_f32_e32 v2, v2
	s_branch .LBB355_29
.LBB355_9:
                                        ; implicit-def: $vgpr2
	s_cbranch_execnz .LBB355_198
.LBB355_10:
	s_and_not1_b32 vcc_lo, exec_lo, s15
	s_cbranch_vccnz .LBB355_245
.LBB355_11:
	s_wait_xcnt 0x0
	v_mul_lo_u32 v0, v4, s8
	s_wait_loadcnt 0x0
	s_delay_alu instid0(VALU_DEP_2) | instskip(SKIP_3) | instid1(VALU_DEP_2)
	v_cmp_ne_u32_e32 vcc_lo, s11, v2
	s_and_b32 s19, s2, 0xff
	s_xor_b32 s15, s13, vcc_lo
	s_cmp_lt_i32 s19, 11
	v_ashrrev_i32_e32 v1, 31, v0
	s_delay_alu instid0(VALU_DEP_1)
	v_add_nc_u64_e32 v[0:1], s[4:5], v[0:1]
	s_cbranch_scc1 .LBB355_19
; %bb.12:
	s_and_b32 s20, 0xffff, s19
	s_delay_alu instid0(SALU_CYCLE_1)
	s_cmp_gt_i32 s20, 25
	s_cbranch_scc0 .LBB355_22
; %bb.13:
	s_cmp_gt_i32 s20, 28
	s_cbranch_scc0 .LBB355_24
; %bb.14:
	s_cmp_gt_i32 s20, 43
	s_cbranch_scc0 .LBB355_26
; %bb.15:
	s_cmp_gt_i32 s20, 45
	s_cbranch_scc0 .LBB355_32
; %bb.16:
	s_mov_b32 s22, 0
	s_mov_b32 s0, -1
	s_cmp_eq_u32 s20, 46
	s_mov_b32 s21, 0
	s_cbranch_scc0 .LBB355_33
; %bb.17:
	v_cndmask_b32_e64 v2, 0, 1.0, s15
	s_mov_b32 s21, -1
	s_mov_b32 s0, 0
	s_delay_alu instid0(VALU_DEP_1) | instskip(NEXT) | instid1(VALU_DEP_1)
	v_bfe_u32 v3, v2, 16, 1
	v_add3_u32 v2, v2, v3, 0x7fff
	s_delay_alu instid0(VALU_DEP_1)
	v_lshrrev_b32_e32 v2, 16, v2
	global_store_b32 v[0:1], v2, off
	s_branch .LBB355_33
.LBB355_18:
                                        ; implicit-def: $vgpr2
	s_cbranch_execnz .LBB355_165
	s_branch .LBB355_197
.LBB355_19:
	s_mov_b32 s0, 0
	s_mov_b32 s21, 0
	s_cbranch_execnz .LBB355_102
.LBB355_20:
	s_and_not1_b32 vcc_lo, exec_lo, s21
	s_cbranch_vccnz .LBB355_246
	s_branch .LBB355_140
.LBB355_21:
	s_mov_b32 s19, -1
                                        ; implicit-def: $vgpr2
	s_branch .LBB355_148
.LBB355_22:
	s_mov_b32 s22, -1
	s_mov_b32 s0, 0
	s_mov_b32 s21, 0
	s_branch .LBB355_60
.LBB355_23:
	s_mov_b32 s19, -1
                                        ; implicit-def: $vgpr2
	s_branch .LBB355_143
.LBB355_24:
	s_mov_b32 s22, -1
	s_mov_b32 s0, 0
	s_mov_b32 s21, 0
	s_branch .LBB355_43
.LBB355_25:
	s_mov_b32 s19, -1
	s_branch .LBB355_28
.LBB355_26:
	s_mov_b32 s22, -1
	s_mov_b32 s0, 0
	s_mov_b32 s21, 0
	s_branch .LBB355_39
.LBB355_27:
	s_mov_b32 s16, -1
.LBB355_28:
                                        ; implicit-def: $vgpr2
.LBB355_29:
	s_and_b32 vcc_lo, exec_lo, s19
	s_cbranch_vccz .LBB355_142
; %bb.30:
	s_cmp_eq_u32 s0, 44
	s_cbranch_scc0 .LBB355_141
; %bb.31:
	global_load_u8 v2, v[0:1], off
	s_mov_b32 s16, 0
	s_mov_b32 s15, -1
	s_wait_loadcnt 0x0
	v_lshlrev_b32_e32 v3, 23, v2
	v_cmp_ne_u32_e32 vcc_lo, 0, v2
	s_delay_alu instid0(VALU_DEP_2) | instskip(NEXT) | instid1(VALU_DEP_1)
	v_cvt_u32_f32_e32 v3, v3
	v_cndmask_b32_e32 v2, 0, v3, vcc_lo
	s_branch .LBB355_142
.LBB355_32:
	s_mov_b32 s22, -1
	s_mov_b32 s0, 0
	s_mov_b32 s21, 0
.LBB355_33:
	s_and_b32 vcc_lo, exec_lo, s22
	s_cbranch_vccz .LBB355_38
; %bb.34:
	s_cmp_eq_u32 s20, 44
	s_mov_b32 s0, -1
	s_cbranch_scc0 .LBB355_38
; %bb.35:
	v_cndmask_b32_e64 v5, 0, 1.0, s15
	s_mov_b32 s21, exec_lo
	s_wait_xcnt 0x0
	s_delay_alu instid0(VALU_DEP_1) | instskip(NEXT) | instid1(VALU_DEP_1)
	v_dual_mov_b32 v3, 0xff :: v_dual_lshrrev_b32 v2, 23, v5
	v_cmpx_ne_u32_e32 0xff, v2
; %bb.36:
	v_and_b32_e32 v3, 0x400000, v5
	v_and_or_b32 v5, 0x3fffff, v5, v2
	s_delay_alu instid0(VALU_DEP_2) | instskip(NEXT) | instid1(VALU_DEP_2)
	v_cmp_ne_u32_e32 vcc_lo, 0, v3
	v_cmp_ne_u32_e64 s0, 0, v5
	s_and_b32 s0, vcc_lo, s0
	s_delay_alu instid0(SALU_CYCLE_1) | instskip(NEXT) | instid1(VALU_DEP_1)
	v_cndmask_b32_e64 v3, 0, 1, s0
	v_add_nc_u32_e32 v3, v2, v3
; %bb.37:
	s_or_b32 exec_lo, exec_lo, s21
	s_mov_b32 s21, -1
	s_mov_b32 s0, 0
	global_store_b8 v[0:1], v3, off
.LBB355_38:
	s_mov_b32 s22, 0
.LBB355_39:
	s_delay_alu instid0(SALU_CYCLE_1)
	s_and_b32 vcc_lo, exec_lo, s22
	s_cbranch_vccz .LBB355_42
; %bb.40:
	s_cmp_eq_u32 s20, 29
	s_mov_b32 s0, -1
	s_cbranch_scc0 .LBB355_42
; %bb.41:
	s_mov_b32 s0, 0
	s_wait_xcnt 0x0
	v_cndmask_b32_e64 v2, 0, 1, s15
	v_mov_b32_e32 v3, s0
	s_mov_b32 s21, -1
	s_mov_b32 s22, 0
	global_store_b64 v[0:1], v[2:3], off
	s_branch .LBB355_43
.LBB355_42:
	s_mov_b32 s22, 0
.LBB355_43:
	s_delay_alu instid0(SALU_CYCLE_1)
	s_and_b32 vcc_lo, exec_lo, s22
	s_cbranch_vccz .LBB355_59
; %bb.44:
	s_cmp_lt_i32 s20, 27
	s_mov_b32 s21, -1
	s_cbranch_scc1 .LBB355_50
; %bb.45:
	s_cmp_gt_i32 s20, 27
	s_cbranch_scc0 .LBB355_47
; %bb.46:
	s_wait_xcnt 0x0
	v_cndmask_b32_e64 v2, 0, 1, s15
	s_mov_b32 s21, 0
	global_store_b32 v[0:1], v2, off
.LBB355_47:
	s_and_not1_b32 vcc_lo, exec_lo, s21
	s_cbranch_vccnz .LBB355_49
; %bb.48:
	s_wait_xcnt 0x0
	v_cndmask_b32_e64 v2, 0, 1, s15
	global_store_b16 v[0:1], v2, off
.LBB355_49:
	s_mov_b32 s21, 0
.LBB355_50:
	s_delay_alu instid0(SALU_CYCLE_1)
	s_and_not1_b32 vcc_lo, exec_lo, s21
	s_cbranch_vccnz .LBB355_58
; %bb.51:
	s_wait_xcnt 0x0
	v_cndmask_b32_e64 v3, 0, 1.0, s15
	v_mov_b32_e32 v5, 0x80
	s_mov_b32 s21, exec_lo
	s_delay_alu instid0(VALU_DEP_2)
	v_cmpx_gt_u32_e32 0x43800000, v3
	s_cbranch_execz .LBB355_57
; %bb.52:
	s_mov_b32 s22, 0
	s_mov_b32 s23, exec_lo
                                        ; implicit-def: $vgpr2
	v_cmpx_lt_u32_e32 0x3bffffff, v3
	s_xor_b32 s23, exec_lo, s23
	s_cbranch_execz .LBB355_275
; %bb.53:
	v_bfe_u32 v2, v3, 20, 1
	s_mov_b32 s22, exec_lo
	s_delay_alu instid0(VALU_DEP_1) | instskip(NEXT) | instid1(VALU_DEP_1)
	v_add3_u32 v2, v3, v2, 0x487ffff
                                        ; implicit-def: $vgpr3
	v_lshrrev_b32_e32 v2, 20, v2
	s_and_not1_saveexec_b32 s23, s23
	s_cbranch_execnz .LBB355_276
.LBB355_54:
	s_or_b32 exec_lo, exec_lo, s23
	v_mov_b32_e32 v5, 0
	s_and_saveexec_b32 s23, s22
.LBB355_55:
	v_mov_b32_e32 v5, v2
.LBB355_56:
	s_or_b32 exec_lo, exec_lo, s23
.LBB355_57:
	s_delay_alu instid0(SALU_CYCLE_1)
	s_or_b32 exec_lo, exec_lo, s21
	global_store_b8 v[0:1], v5, off
.LBB355_58:
	s_mov_b32 s21, -1
.LBB355_59:
	s_mov_b32 s22, 0
.LBB355_60:
	s_delay_alu instid0(SALU_CYCLE_1)
	s_and_b32 vcc_lo, exec_lo, s22
	s_cbranch_vccz .LBB355_101
; %bb.61:
	s_cmp_gt_i32 s20, 22
	s_mov_b32 s22, -1
	s_cbranch_scc0 .LBB355_93
; %bb.62:
	s_cmp_lt_i32 s20, 24
	s_mov_b32 s21, -1
	s_cbranch_scc1 .LBB355_82
; %bb.63:
	s_cmp_gt_i32 s20, 24
	s_cbranch_scc0 .LBB355_71
; %bb.64:
	s_wait_xcnt 0x0
	v_cndmask_b32_e64 v3, 0, 1.0, s15
	v_mov_b32_e32 v5, 0x80
	s_mov_b32 s21, exec_lo
	s_delay_alu instid0(VALU_DEP_2)
	v_cmpx_gt_u32_e32 0x47800000, v3
	s_cbranch_execz .LBB355_70
; %bb.65:
	s_mov_b32 s22, 0
	s_mov_b32 s23, exec_lo
                                        ; implicit-def: $vgpr2
	v_cmpx_lt_u32_e32 0x37ffffff, v3
	s_xor_b32 s23, exec_lo, s23
	s_cbranch_execz .LBB355_279
; %bb.66:
	v_bfe_u32 v2, v3, 21, 1
	s_mov_b32 s22, exec_lo
	s_delay_alu instid0(VALU_DEP_1) | instskip(NEXT) | instid1(VALU_DEP_1)
	v_add3_u32 v2, v3, v2, 0x88fffff
                                        ; implicit-def: $vgpr3
	v_lshrrev_b32_e32 v2, 21, v2
	s_and_not1_saveexec_b32 s23, s23
	s_cbranch_execnz .LBB355_280
.LBB355_67:
	s_or_b32 exec_lo, exec_lo, s23
	v_mov_b32_e32 v5, 0
	s_and_saveexec_b32 s23, s22
.LBB355_68:
	v_mov_b32_e32 v5, v2
.LBB355_69:
	s_or_b32 exec_lo, exec_lo, s23
.LBB355_70:
	s_delay_alu instid0(SALU_CYCLE_1)
	s_or_b32 exec_lo, exec_lo, s21
	s_mov_b32 s21, 0
	global_store_b8 v[0:1], v5, off
.LBB355_71:
	s_and_b32 vcc_lo, exec_lo, s21
	s_cbranch_vccz .LBB355_81
; %bb.72:
	s_wait_xcnt 0x0
	v_cndmask_b32_e64 v3, 0, 1.0, s15
	s_mov_b32 s21, exec_lo
                                        ; implicit-def: $vgpr2
	s_delay_alu instid0(VALU_DEP_1)
	v_cmpx_gt_u32_e32 0x43f00000, v3
	s_xor_b32 s21, exec_lo, s21
	s_cbranch_execz .LBB355_78
; %bb.73:
	s_mov_b32 s22, exec_lo
                                        ; implicit-def: $vgpr2
	v_cmpx_lt_u32_e32 0x3c7fffff, v3
	s_xor_b32 s22, exec_lo, s22
; %bb.74:
	v_bfe_u32 v2, v3, 20, 1
	s_delay_alu instid0(VALU_DEP_1) | instskip(NEXT) | instid1(VALU_DEP_1)
	v_add3_u32 v2, v3, v2, 0x407ffff
	v_and_b32_e32 v3, 0xff00000, v2
	v_lshrrev_b32_e32 v2, 20, v2
	s_delay_alu instid0(VALU_DEP_2) | instskip(NEXT) | instid1(VALU_DEP_2)
	v_cmp_ne_u32_e32 vcc_lo, 0x7f00000, v3
                                        ; implicit-def: $vgpr3
	v_cndmask_b32_e32 v2, 0x7e, v2, vcc_lo
; %bb.75:
	s_and_not1_saveexec_b32 s22, s22
; %bb.76:
	v_add_f32_e32 v2, 0x46800000, v3
; %bb.77:
	s_or_b32 exec_lo, exec_lo, s22
                                        ; implicit-def: $vgpr3
.LBB355_78:
	s_and_not1_saveexec_b32 s21, s21
; %bb.79:
	v_mov_b32_e32 v2, 0x7f
	v_cmp_lt_u32_e32 vcc_lo, 0x7f800000, v3
	s_delay_alu instid0(VALU_DEP_2)
	v_cndmask_b32_e32 v2, 0x7e, v2, vcc_lo
; %bb.80:
	s_or_b32 exec_lo, exec_lo, s21
	global_store_b8 v[0:1], v2, off
.LBB355_81:
	s_mov_b32 s21, 0
.LBB355_82:
	s_delay_alu instid0(SALU_CYCLE_1)
	s_and_not1_b32 vcc_lo, exec_lo, s21
	s_cbranch_vccnz .LBB355_92
; %bb.83:
	s_wait_xcnt 0x0
	v_cndmask_b32_e64 v3, 0, 1.0, s15
	s_mov_b32 s21, exec_lo
                                        ; implicit-def: $vgpr2
	s_delay_alu instid0(VALU_DEP_1)
	v_cmpx_gt_u32_e32 0x47800000, v3
	s_xor_b32 s21, exec_lo, s21
	s_cbranch_execz .LBB355_89
; %bb.84:
	s_mov_b32 s22, exec_lo
                                        ; implicit-def: $vgpr2
	v_cmpx_lt_u32_e32 0x387fffff, v3
	s_xor_b32 s22, exec_lo, s22
; %bb.85:
	v_bfe_u32 v2, v3, 21, 1
	s_delay_alu instid0(VALU_DEP_1) | instskip(NEXT) | instid1(VALU_DEP_1)
	v_add3_u32 v2, v3, v2, 0x80fffff
                                        ; implicit-def: $vgpr3
	v_lshrrev_b32_e32 v2, 21, v2
; %bb.86:
	s_and_not1_saveexec_b32 s22, s22
; %bb.87:
	v_add_f32_e32 v2, 0x43000000, v3
; %bb.88:
	s_or_b32 exec_lo, exec_lo, s22
                                        ; implicit-def: $vgpr3
.LBB355_89:
	s_and_not1_saveexec_b32 s21, s21
; %bb.90:
	v_mov_b32_e32 v2, 0x7f
	v_cmp_lt_u32_e32 vcc_lo, 0x7f800000, v3
	s_delay_alu instid0(VALU_DEP_2)
	v_cndmask_b32_e32 v2, 0x7c, v2, vcc_lo
; %bb.91:
	s_or_b32 exec_lo, exec_lo, s21
	global_store_b8 v[0:1], v2, off
.LBB355_92:
	s_mov_b32 s22, 0
	s_mov_b32 s21, -1
.LBB355_93:
	s_and_not1_b32 vcc_lo, exec_lo, s22
	s_cbranch_vccnz .LBB355_101
; %bb.94:
	s_cmp_gt_i32 s20, 14
	s_mov_b32 s22, -1
	s_cbranch_scc0 .LBB355_98
; %bb.95:
	s_cmp_eq_u32 s20, 15
	s_mov_b32 s0, -1
	s_cbranch_scc0 .LBB355_97
; %bb.96:
	s_wait_xcnt 0x0
	v_cndmask_b32_e64 v2, 0, 1.0, s15
	s_mov_b32 s21, -1
	s_mov_b32 s0, 0
	s_delay_alu instid0(VALU_DEP_1) | instskip(NEXT) | instid1(VALU_DEP_1)
	v_bfe_u32 v3, v2, 16, 1
	v_add3_u32 v2, v2, v3, 0x7fff
	global_store_d16_hi_b16 v[0:1], v2, off
.LBB355_97:
	s_mov_b32 s22, 0
.LBB355_98:
	s_delay_alu instid0(SALU_CYCLE_1)
	s_and_b32 vcc_lo, exec_lo, s22
	s_cbranch_vccz .LBB355_101
; %bb.99:
	s_cmp_eq_u32 s20, 11
	s_mov_b32 s0, -1
	s_cbranch_scc0 .LBB355_101
; %bb.100:
	s_wait_xcnt 0x0
	v_cndmask_b32_e64 v2, 0, 1, s15
	s_mov_b32 s21, -1
	s_mov_b32 s0, 0
	global_store_b8 v[0:1], v2, off
.LBB355_101:
	s_branch .LBB355_20
.LBB355_102:
	s_and_b32 s19, 0xffff, s19
	s_mov_b32 s20, -1
	s_cmp_lt_i32 s19, 5
	s_cbranch_scc1 .LBB355_123
; %bb.103:
	s_cmp_lt_i32 s19, 8
	s_cbranch_scc1 .LBB355_113
; %bb.104:
	;; [unrolled: 3-line block ×3, first 2 shown]
	s_cmp_gt_i32 s19, 9
	s_cbranch_scc0 .LBB355_107
; %bb.106:
	s_wait_xcnt 0x0
	v_cndmask_b32_e64 v2, 0, 1, s15
	v_mov_b32_e32 v8, 0
	s_mov_b32 s20, 0
	s_delay_alu instid0(VALU_DEP_2) | instskip(NEXT) | instid1(VALU_DEP_2)
	v_cvt_f64_u32_e32 v[6:7], v2
	v_mov_b32_e32 v9, v8
	global_store_b128 v[0:1], v[6:9], off
.LBB355_107:
	s_and_not1_b32 vcc_lo, exec_lo, s20
	s_cbranch_vccnz .LBB355_109
; %bb.108:
	s_wait_xcnt 0x0
	v_cndmask_b32_e64 v2, 0, 1.0, s15
	v_mov_b32_e32 v3, 0
	global_store_b64 v[0:1], v[2:3], off
.LBB355_109:
	s_mov_b32 s20, 0
.LBB355_110:
	s_delay_alu instid0(SALU_CYCLE_1)
	s_and_not1_b32 vcc_lo, exec_lo, s20
	s_cbranch_vccnz .LBB355_112
; %bb.111:
	s_wait_xcnt 0x0
	v_cndmask_b32_e64 v2, 0, 1.0, s15
	s_delay_alu instid0(VALU_DEP_1) | instskip(NEXT) | instid1(VALU_DEP_1)
	v_cvt_f16_f32_e32 v2, v2
	v_and_b32_e32 v2, 0xffff, v2
	global_store_b32 v[0:1], v2, off
.LBB355_112:
	s_mov_b32 s20, 0
.LBB355_113:
	s_delay_alu instid0(SALU_CYCLE_1)
	s_and_not1_b32 vcc_lo, exec_lo, s20
	s_cbranch_vccnz .LBB355_122
; %bb.114:
	s_cmp_lt_i32 s19, 6
	s_mov_b32 s20, -1
	s_cbranch_scc1 .LBB355_120
; %bb.115:
	s_cmp_gt_i32 s19, 6
	s_cbranch_scc0 .LBB355_117
; %bb.116:
	s_wait_xcnt 0x0
	v_cndmask_b32_e64 v2, 0, 1, s15
	s_mov_b32 s20, 0
	s_delay_alu instid0(VALU_DEP_1)
	v_cvt_f64_u32_e32 v[2:3], v2
	global_store_b64 v[0:1], v[2:3], off
.LBB355_117:
	s_and_not1_b32 vcc_lo, exec_lo, s20
	s_cbranch_vccnz .LBB355_119
; %bb.118:
	s_wait_xcnt 0x0
	v_cndmask_b32_e64 v2, 0, 1.0, s15
	global_store_b32 v[0:1], v2, off
.LBB355_119:
	s_mov_b32 s20, 0
.LBB355_120:
	s_delay_alu instid0(SALU_CYCLE_1)
	s_and_not1_b32 vcc_lo, exec_lo, s20
	s_cbranch_vccnz .LBB355_122
; %bb.121:
	s_wait_xcnt 0x0
	v_cndmask_b32_e64 v2, 0, 1.0, s15
	s_delay_alu instid0(VALU_DEP_1)
	v_cvt_f16_f32_e32 v2, v2
	global_store_b16 v[0:1], v2, off
.LBB355_122:
	s_mov_b32 s20, 0
.LBB355_123:
	s_delay_alu instid0(SALU_CYCLE_1)
	s_and_not1_b32 vcc_lo, exec_lo, s20
	s_cbranch_vccnz .LBB355_139
; %bb.124:
	s_cmp_lt_i32 s19, 2
	s_mov_b32 s20, -1
	s_cbranch_scc1 .LBB355_134
; %bb.125:
	s_cmp_lt_i32 s19, 3
	s_cbranch_scc1 .LBB355_131
; %bb.126:
	s_cmp_gt_i32 s19, 3
	s_cbranch_scc0 .LBB355_128
; %bb.127:
	s_mov_b32 s20, 0
	s_wait_xcnt 0x0
	v_cndmask_b32_e64 v2, 0, 1, s15
	v_mov_b32_e32 v3, s20
	global_store_b64 v[0:1], v[2:3], off
.LBB355_128:
	s_and_not1_b32 vcc_lo, exec_lo, s20
	s_cbranch_vccnz .LBB355_130
; %bb.129:
	s_wait_xcnt 0x0
	v_cndmask_b32_e64 v2, 0, 1, s15
	global_store_b32 v[0:1], v2, off
.LBB355_130:
	s_mov_b32 s20, 0
.LBB355_131:
	s_delay_alu instid0(SALU_CYCLE_1)
	s_and_not1_b32 vcc_lo, exec_lo, s20
	s_cbranch_vccnz .LBB355_133
; %bb.132:
	s_wait_xcnt 0x0
	v_cndmask_b32_e64 v2, 0, 1, s15
	global_store_b16 v[0:1], v2, off
.LBB355_133:
	s_mov_b32 s20, 0
.LBB355_134:
	s_delay_alu instid0(SALU_CYCLE_1)
	s_and_not1_b32 vcc_lo, exec_lo, s20
	s_cbranch_vccnz .LBB355_139
; %bb.135:
	s_wait_xcnt 0x0
	v_cndmask_b32_e64 v2, 0, 1, s15
	s_cmp_gt_i32 s19, 0
	s_mov_b32 s15, -1
	s_cbranch_scc0 .LBB355_137
; %bb.136:
	s_mov_b32 s15, 0
	global_store_b8 v[0:1], v2, off
.LBB355_137:
	s_and_not1_b32 vcc_lo, exec_lo, s15
	s_cbranch_vccnz .LBB355_139
; %bb.138:
	global_store_b8 v[0:1], v2, off
.LBB355_139:
.LBB355_140:
	v_add_nc_u32_e32 v4, 0x80, v4
	s_mov_b32 s19, -1
	s_branch .LBB355_247
.LBB355_141:
	s_mov_b32 s16, -1
                                        ; implicit-def: $vgpr2
.LBB355_142:
	s_mov_b32 s19, 0
.LBB355_143:
	s_delay_alu instid0(SALU_CYCLE_1)
	s_and_b32 vcc_lo, exec_lo, s19
	s_cbranch_vccz .LBB355_147
; %bb.144:
	s_cmp_eq_u32 s0, 29
	s_cbranch_scc0 .LBB355_146
; %bb.145:
	global_load_b32 v2, v[0:1], off
	s_mov_b32 s15, -1
	s_mov_b32 s16, 0
	s_branch .LBB355_147
.LBB355_146:
	s_mov_b32 s16, -1
                                        ; implicit-def: $vgpr2
.LBB355_147:
	s_mov_b32 s19, 0
.LBB355_148:
	s_delay_alu instid0(SALU_CYCLE_1)
	s_and_b32 vcc_lo, exec_lo, s19
	s_cbranch_vccz .LBB355_164
; %bb.149:
	s_cmp_lt_i32 s0, 27
	s_cbranch_scc1 .LBB355_152
; %bb.150:
	s_cmp_gt_i32 s0, 27
	s_cbranch_scc0 .LBB355_153
; %bb.151:
	s_wait_loadcnt 0x0
	global_load_b32 v2, v[0:1], off
	s_mov_b32 s15, 0
	s_branch .LBB355_154
.LBB355_152:
	s_mov_b32 s15, -1
                                        ; implicit-def: $vgpr2
	s_branch .LBB355_157
.LBB355_153:
	s_mov_b32 s15, -1
                                        ; implicit-def: $vgpr2
.LBB355_154:
	s_delay_alu instid0(SALU_CYCLE_1)
	s_and_not1_b32 vcc_lo, exec_lo, s15
	s_cbranch_vccnz .LBB355_156
; %bb.155:
	s_wait_loadcnt 0x0
	global_load_u16 v2, v[0:1], off
.LBB355_156:
	s_mov_b32 s15, 0
.LBB355_157:
	s_delay_alu instid0(SALU_CYCLE_1)
	s_and_not1_b32 vcc_lo, exec_lo, s15
	s_cbranch_vccnz .LBB355_163
; %bb.158:
	global_load_u8 v3, v[0:1], off
	s_mov_b32 s19, 0
	s_mov_b32 s15, exec_lo
	s_wait_loadcnt 0x0
	v_cmpx_lt_i16_e32 0x7f, v3
	s_xor_b32 s15, exec_lo, s15
	s_cbranch_execz .LBB355_174
; %bb.159:
	v_cmp_ne_u16_e32 vcc_lo, 0x80, v3
	s_and_b32 s19, vcc_lo, exec_lo
	s_and_not1_saveexec_b32 s15, s15
	s_cbranch_execnz .LBB355_175
.LBB355_160:
	s_or_b32 exec_lo, exec_lo, s15
	v_mov_b32_e32 v2, 0
	s_and_saveexec_b32 s15, s19
	s_cbranch_execz .LBB355_162
.LBB355_161:
	v_and_b32_e32 v2, 0xffff, v3
	s_delay_alu instid0(VALU_DEP_1) | instskip(SKIP_1) | instid1(VALU_DEP_2)
	v_dual_lshlrev_b32 v3, 24, v3 :: v_dual_bitop2_b32 v5, 7, v2 bitop3:0x40
	v_bfe_u32 v8, v2, 3, 4
	v_and_b32_e32 v3, 0x80000000, v3
	s_delay_alu instid0(VALU_DEP_3) | instskip(NEXT) | instid1(VALU_DEP_3)
	v_clz_i32_u32_e32 v6, v5
	v_cmp_eq_u32_e32 vcc_lo, 0, v8
	s_delay_alu instid0(VALU_DEP_2) | instskip(NEXT) | instid1(VALU_DEP_1)
	v_min_u32_e32 v6, 32, v6
	v_subrev_nc_u32_e32 v7, 28, v6
	v_sub_nc_u32_e32 v6, 29, v6
	s_delay_alu instid0(VALU_DEP_2) | instskip(NEXT) | instid1(VALU_DEP_2)
	v_lshlrev_b32_e32 v2, v7, v2
	v_cndmask_b32_e32 v6, v8, v6, vcc_lo
	s_delay_alu instid0(VALU_DEP_2) | instskip(NEXT) | instid1(VALU_DEP_1)
	v_and_b32_e32 v2, 7, v2
	v_cndmask_b32_e32 v2, v5, v2, vcc_lo
	s_delay_alu instid0(VALU_DEP_3) | instskip(NEXT) | instid1(VALU_DEP_2)
	v_lshl_add_u32 v5, v6, 23, 0x3b800000
	v_lshlrev_b32_e32 v2, 20, v2
	s_delay_alu instid0(VALU_DEP_1) | instskip(NEXT) | instid1(VALU_DEP_1)
	v_or3_b32 v2, v3, v5, v2
	v_cvt_u32_f32_e32 v2, v2
.LBB355_162:
	s_or_b32 exec_lo, exec_lo, s15
.LBB355_163:
	s_mov_b32 s15, -1
.LBB355_164:
	s_branch .LBB355_197
.LBB355_165:
	s_cmp_gt_i32 s0, 22
	s_cbranch_scc0 .LBB355_173
; %bb.166:
	s_cmp_lt_i32 s0, 24
	s_cbranch_scc1 .LBB355_176
; %bb.167:
	s_cmp_gt_i32 s0, 24
	s_cbranch_scc0 .LBB355_177
; %bb.168:
	global_load_u8 v3, v[0:1], off
	s_mov_b32 s19, 0
	s_mov_b32 s15, exec_lo
	s_wait_loadcnt 0x0
	v_cmpx_lt_i16_e32 0x7f, v3
	s_xor_b32 s15, exec_lo, s15
	s_cbranch_execz .LBB355_189
; %bb.169:
	v_cmp_ne_u16_e32 vcc_lo, 0x80, v3
	s_and_b32 s19, vcc_lo, exec_lo
	s_and_not1_saveexec_b32 s15, s15
	s_cbranch_execnz .LBB355_190
.LBB355_170:
	s_or_b32 exec_lo, exec_lo, s15
	v_mov_b32_e32 v2, 0
	s_and_saveexec_b32 s15, s19
	s_cbranch_execz .LBB355_172
.LBB355_171:
	v_and_b32_e32 v2, 0xffff, v3
	s_delay_alu instid0(VALU_DEP_1) | instskip(SKIP_1) | instid1(VALU_DEP_2)
	v_dual_lshlrev_b32 v3, 24, v3 :: v_dual_bitop2_b32 v5, 3, v2 bitop3:0x40
	v_bfe_u32 v8, v2, 2, 5
	v_and_b32_e32 v3, 0x80000000, v3
	s_delay_alu instid0(VALU_DEP_3) | instskip(NEXT) | instid1(VALU_DEP_3)
	v_clz_i32_u32_e32 v6, v5
	v_cmp_eq_u32_e32 vcc_lo, 0, v8
	s_delay_alu instid0(VALU_DEP_2) | instskip(NEXT) | instid1(VALU_DEP_1)
	v_min_u32_e32 v6, 32, v6
	v_subrev_nc_u32_e32 v7, 29, v6
	v_sub_nc_u32_e32 v6, 30, v6
	s_delay_alu instid0(VALU_DEP_2) | instskip(NEXT) | instid1(VALU_DEP_2)
	v_lshlrev_b32_e32 v2, v7, v2
	v_cndmask_b32_e32 v6, v8, v6, vcc_lo
	s_delay_alu instid0(VALU_DEP_2) | instskip(NEXT) | instid1(VALU_DEP_1)
	v_and_b32_e32 v2, 3, v2
	v_cndmask_b32_e32 v2, v5, v2, vcc_lo
	s_delay_alu instid0(VALU_DEP_3) | instskip(NEXT) | instid1(VALU_DEP_2)
	v_lshl_add_u32 v5, v6, 23, 0x37800000
	v_lshlrev_b32_e32 v2, 21, v2
	s_delay_alu instid0(VALU_DEP_1) | instskip(NEXT) | instid1(VALU_DEP_1)
	v_or3_b32 v2, v3, v5, v2
	v_cvt_u32_f32_e32 v2, v2
.LBB355_172:
	s_or_b32 exec_lo, exec_lo, s15
	s_mov_b32 s15, 0
	s_branch .LBB355_178
.LBB355_173:
	s_mov_b32 s19, -1
                                        ; implicit-def: $vgpr2
	s_branch .LBB355_184
.LBB355_174:
	s_and_not1_saveexec_b32 s15, s15
	s_cbranch_execz .LBB355_160
.LBB355_175:
	v_cmp_ne_u16_e32 vcc_lo, 0, v3
	s_and_not1_b32 s19, s19, exec_lo
	s_and_b32 s20, vcc_lo, exec_lo
	s_delay_alu instid0(SALU_CYCLE_1)
	s_or_b32 s19, s19, s20
	s_or_b32 exec_lo, exec_lo, s15
	v_mov_b32_e32 v2, 0
	s_and_saveexec_b32 s15, s19
	s_cbranch_execnz .LBB355_161
	s_branch .LBB355_162
.LBB355_176:
	s_mov_b32 s15, -1
                                        ; implicit-def: $vgpr2
	s_branch .LBB355_181
.LBB355_177:
	s_mov_b32 s15, -1
                                        ; implicit-def: $vgpr2
.LBB355_178:
	s_delay_alu instid0(SALU_CYCLE_1)
	s_and_b32 vcc_lo, exec_lo, s15
	s_cbranch_vccz .LBB355_180
; %bb.179:
	s_wait_loadcnt 0x0
	global_load_u8 v2, v[0:1], off
	s_wait_loadcnt 0x0
	v_lshlrev_b32_e32 v2, 24, v2
	s_delay_alu instid0(VALU_DEP_1) | instskip(NEXT) | instid1(VALU_DEP_1)
	v_and_b32_e32 v3, 0x7f000000, v2
	v_clz_i32_u32_e32 v5, v3
	v_add_nc_u32_e32 v7, 0x1000000, v3
	v_cmp_ne_u32_e32 vcc_lo, 0, v3
	s_delay_alu instid0(VALU_DEP_3) | instskip(NEXT) | instid1(VALU_DEP_1)
	v_min_u32_e32 v5, 32, v5
	v_sub_nc_u32_e64 v5, v5, 4 clamp
	s_delay_alu instid0(VALU_DEP_1) | instskip(NEXT) | instid1(VALU_DEP_1)
	v_dual_lshlrev_b32 v6, v5, v3 :: v_dual_lshlrev_b32 v5, 23, v5
	v_lshrrev_b32_e32 v6, 4, v6
	s_delay_alu instid0(VALU_DEP_1) | instskip(NEXT) | instid1(VALU_DEP_1)
	v_dual_sub_nc_u32 v5, v6, v5 :: v_dual_ashrrev_i32 v6, 8, v7
	v_add_nc_u32_e32 v5, 0x3c000000, v5
	s_delay_alu instid0(VALU_DEP_1) | instskip(NEXT) | instid1(VALU_DEP_1)
	v_and_or_b32 v5, 0x7f800000, v6, v5
	v_cndmask_b32_e32 v3, 0, v5, vcc_lo
	s_delay_alu instid0(VALU_DEP_1) | instskip(NEXT) | instid1(VALU_DEP_1)
	v_and_or_b32 v2, 0x80000000, v2, v3
	v_cvt_u32_f32_e32 v2, v2
.LBB355_180:
	s_mov_b32 s15, 0
.LBB355_181:
	s_delay_alu instid0(SALU_CYCLE_1)
	s_and_not1_b32 vcc_lo, exec_lo, s15
	s_cbranch_vccnz .LBB355_183
; %bb.182:
	s_wait_loadcnt 0x0
	global_load_u8 v2, v[0:1], off
	s_wait_loadcnt 0x0
	v_lshlrev_b32_e32 v3, 25, v2
	v_lshlrev_b16 v2, 8, v2
	s_delay_alu instid0(VALU_DEP_2) | instskip(NEXT) | instid1(VALU_DEP_2)
	v_cmp_gt_u32_e32 vcc_lo, 0x8000000, v3
	v_and_or_b32 v6, 0x7f00, v2, 0.5
	v_lshrrev_b32_e32 v5, 4, v3
	v_bfe_i32 v2, v2, 0, 16
	s_delay_alu instid0(VALU_DEP_3) | instskip(NEXT) | instid1(VALU_DEP_3)
	v_add_f32_e32 v6, -0.5, v6
	v_or_b32_e32 v5, 0x70000000, v5
	s_delay_alu instid0(VALU_DEP_1) | instskip(NEXT) | instid1(VALU_DEP_1)
	v_mul_f32_e32 v5, 0x7800000, v5
	v_cndmask_b32_e32 v3, v5, v6, vcc_lo
	s_delay_alu instid0(VALU_DEP_1) | instskip(NEXT) | instid1(VALU_DEP_1)
	v_and_or_b32 v2, 0x80000000, v2, v3
	v_cvt_u32_f32_e32 v2, v2
.LBB355_183:
	s_mov_b32 s19, 0
	s_mov_b32 s15, -1
.LBB355_184:
	s_and_not1_b32 vcc_lo, exec_lo, s19
	s_cbranch_vccnz .LBB355_197
; %bb.185:
	s_cmp_gt_i32 s0, 14
	s_cbranch_scc0 .LBB355_188
; %bb.186:
	s_cmp_eq_u32 s0, 15
	s_cbranch_scc0 .LBB355_191
; %bb.187:
	s_wait_loadcnt 0x0
	global_load_u16 v2, v[0:1], off
	s_mov_b32 s15, -1
	s_mov_b32 s16, 0
	s_wait_loadcnt 0x0
	v_lshlrev_b32_e32 v2, 16, v2
	s_delay_alu instid0(VALU_DEP_1)
	v_cvt_u32_f32_e32 v2, v2
	s_branch .LBB355_192
.LBB355_188:
	s_mov_b32 s19, -1
                                        ; implicit-def: $vgpr2
	s_branch .LBB355_193
.LBB355_189:
	s_and_not1_saveexec_b32 s15, s15
	s_cbranch_execz .LBB355_170
.LBB355_190:
	v_cmp_ne_u16_e32 vcc_lo, 0, v3
	s_and_not1_b32 s19, s19, exec_lo
	s_and_b32 s20, vcc_lo, exec_lo
	s_delay_alu instid0(SALU_CYCLE_1)
	s_or_b32 s19, s19, s20
	s_or_b32 exec_lo, exec_lo, s15
	v_mov_b32_e32 v2, 0
	s_and_saveexec_b32 s15, s19
	s_cbranch_execnz .LBB355_171
	s_branch .LBB355_172
.LBB355_191:
	s_mov_b32 s16, -1
                                        ; implicit-def: $vgpr2
.LBB355_192:
	s_mov_b32 s19, 0
.LBB355_193:
	s_delay_alu instid0(SALU_CYCLE_1)
	s_and_b32 vcc_lo, exec_lo, s19
	s_cbranch_vccz .LBB355_197
; %bb.194:
	s_cmp_eq_u32 s0, 11
	s_cbranch_scc0 .LBB355_196
; %bb.195:
	s_wait_loadcnt 0x0
	global_load_u8 v2, v[0:1], off
	s_mov_b32 s16, 0
	s_mov_b32 s15, -1
	s_wait_loadcnt 0x0
	v_cmp_ne_u16_e32 vcc_lo, 0, v2
	v_cndmask_b32_e64 v2, 0, 1, vcc_lo
	s_branch .LBB355_197
.LBB355_196:
	s_mov_b32 s16, -1
                                        ; implicit-def: $vgpr2
.LBB355_197:
	s_branch .LBB355_10
.LBB355_198:
	s_cmp_lt_i32 s0, 5
	s_cbranch_scc1 .LBB355_203
; %bb.199:
	s_cmp_lt_i32 s0, 8
	s_cbranch_scc1 .LBB355_204
; %bb.200:
	;; [unrolled: 3-line block ×3, first 2 shown]
	s_cmp_gt_i32 s0, 9
	s_cbranch_scc0 .LBB355_206
; %bb.202:
	s_wait_loadcnt 0x0
	global_load_b64 v[2:3], v[0:1], off
	s_mov_b32 s15, 0
	s_wait_loadcnt 0x0
	v_cvt_u32_f64_e32 v2, v[2:3]
	s_branch .LBB355_207
.LBB355_203:
                                        ; implicit-def: $vgpr2
	s_branch .LBB355_225
.LBB355_204:
	s_mov_b32 s15, -1
                                        ; implicit-def: $vgpr2
	s_branch .LBB355_213
.LBB355_205:
	s_mov_b32 s15, -1
                                        ; implicit-def: $vgpr2
	s_branch .LBB355_210
.LBB355_206:
	s_mov_b32 s15, -1
                                        ; implicit-def: $vgpr2
.LBB355_207:
	s_delay_alu instid0(SALU_CYCLE_1)
	s_and_not1_b32 vcc_lo, exec_lo, s15
	s_cbranch_vccnz .LBB355_209
; %bb.208:
	s_wait_loadcnt 0x0
	global_load_b32 v2, v[0:1], off
	s_wait_loadcnt 0x0
	v_cvt_u32_f32_e32 v2, v2
.LBB355_209:
	s_mov_b32 s15, 0
.LBB355_210:
	s_delay_alu instid0(SALU_CYCLE_1)
	s_and_not1_b32 vcc_lo, exec_lo, s15
	s_cbranch_vccnz .LBB355_212
; %bb.211:
	s_wait_loadcnt 0x0
	global_load_b32 v2, v[0:1], off
	s_wait_loadcnt 0x0
	v_cvt_f32_f16_e32 v2, v2
	s_delay_alu instid0(VALU_DEP_1)
	v_cvt_u32_f32_e32 v2, v2
.LBB355_212:
	s_mov_b32 s15, 0
.LBB355_213:
	s_delay_alu instid0(SALU_CYCLE_1)
	s_and_not1_b32 vcc_lo, exec_lo, s15
	s_cbranch_vccnz .LBB355_224
; %bb.214:
	s_cmp_lt_i32 s0, 6
	s_cbranch_scc1 .LBB355_217
; %bb.215:
	s_cmp_gt_i32 s0, 6
	s_cbranch_scc0 .LBB355_218
; %bb.216:
	s_wait_loadcnt 0x0
	global_load_b64 v[2:3], v[0:1], off
	s_mov_b32 s15, 0
	s_wait_loadcnt 0x0
	v_cvt_u32_f64_e32 v2, v[2:3]
	s_branch .LBB355_219
.LBB355_217:
	s_mov_b32 s15, -1
                                        ; implicit-def: $vgpr2
	s_branch .LBB355_222
.LBB355_218:
	s_mov_b32 s15, -1
                                        ; implicit-def: $vgpr2
.LBB355_219:
	s_delay_alu instid0(SALU_CYCLE_1)
	s_and_not1_b32 vcc_lo, exec_lo, s15
	s_cbranch_vccnz .LBB355_221
; %bb.220:
	s_wait_loadcnt 0x0
	global_load_b32 v2, v[0:1], off
	s_wait_loadcnt 0x0
	v_cvt_u32_f32_e32 v2, v2
.LBB355_221:
	s_mov_b32 s15, 0
.LBB355_222:
	s_delay_alu instid0(SALU_CYCLE_1)
	s_and_not1_b32 vcc_lo, exec_lo, s15
	s_cbranch_vccnz .LBB355_224
; %bb.223:
	s_wait_loadcnt 0x0
	global_load_u16 v2, v[0:1], off
	s_wait_loadcnt 0x0
	v_cvt_f32_f16_e32 v2, v2
	s_delay_alu instid0(VALU_DEP_1)
	v_cvt_u32_f32_e32 v2, v2
.LBB355_224:
	s_cbranch_execnz .LBB355_244
.LBB355_225:
	s_cmp_lt_i32 s0, 2
	s_cbranch_scc1 .LBB355_229
; %bb.226:
	s_cmp_lt_i32 s0, 3
	s_cbranch_scc1 .LBB355_230
; %bb.227:
	s_cmp_gt_i32 s0, 3
	s_cbranch_scc0 .LBB355_231
; %bb.228:
	s_wait_loadcnt 0x0
	global_load_b32 v2, v[0:1], off
	s_mov_b32 s15, 0
	s_branch .LBB355_232
.LBB355_229:
	s_mov_b32 s15, -1
                                        ; implicit-def: $vgpr2
	s_branch .LBB355_238
.LBB355_230:
	s_mov_b32 s15, -1
                                        ; implicit-def: $vgpr2
	s_branch .LBB355_235
.LBB355_231:
	s_mov_b32 s15, -1
                                        ; implicit-def: $vgpr2
.LBB355_232:
	s_delay_alu instid0(SALU_CYCLE_1)
	s_and_not1_b32 vcc_lo, exec_lo, s15
	s_cbranch_vccnz .LBB355_234
; %bb.233:
	s_wait_loadcnt 0x0
	global_load_b32 v2, v[0:1], off
.LBB355_234:
	s_mov_b32 s15, 0
.LBB355_235:
	s_delay_alu instid0(SALU_CYCLE_1)
	s_and_not1_b32 vcc_lo, exec_lo, s15
	s_cbranch_vccnz .LBB355_237
; %bb.236:
	s_wait_loadcnt 0x0
	global_load_i16 v2, v[0:1], off
.LBB355_237:
	s_mov_b32 s15, 0
.LBB355_238:
	s_delay_alu instid0(SALU_CYCLE_1)
	s_and_not1_b32 vcc_lo, exec_lo, s15
	s_cbranch_vccnz .LBB355_244
; %bb.239:
	s_cmp_gt_i32 s0, 0
	s_mov_b32 s0, 0
	s_cbranch_scc0 .LBB355_241
; %bb.240:
	s_wait_loadcnt 0x0
	global_load_i8 v2, v[0:1], off
	s_branch .LBB355_242
.LBB355_241:
	s_mov_b32 s0, -1
                                        ; implicit-def: $vgpr2
.LBB355_242:
	s_delay_alu instid0(SALU_CYCLE_1)
	s_and_not1_b32 vcc_lo, exec_lo, s0
	s_cbranch_vccnz .LBB355_244
; %bb.243:
	s_wait_loadcnt 0x0
	global_load_u8 v2, v[0:1], off
.LBB355_244:
	s_branch .LBB355_11
.LBB355_245:
	s_mov_b32 s0, 0
.LBB355_246:
	s_mov_b32 s19, 0
                                        ; implicit-def: $vgpr4
.LBB355_247:
	s_and_b32 s15, s0, exec_lo
	s_and_b32 s16, s16, exec_lo
	s_or_not1_b32 s20, s19, exec_lo
.LBB355_248:
	s_wait_xcnt 0x0
	s_or_b32 exec_lo, exec_lo, s17
	s_mov_b32 s19, 0
	s_mov_b32 s0, 0
                                        ; implicit-def: $vgpr0_vgpr1
                                        ; implicit-def: $vgpr2
	s_and_saveexec_b32 s17, s20
	s_cbranch_execz .LBB355_257
; %bb.249:
	s_mov_b32 s0, -1
	s_mov_b32 s18, s16
	s_mov_b32 s19, s15
	s_mov_b32 s20, exec_lo
	v_cmpx_gt_i32_e64 s14, v4
	s_cbranch_execz .LBB355_507
; %bb.250:
	v_mul_lo_u32 v0, v4, s9
	s_and_b32 s0, 0xffff, s3
	s_delay_alu instid0(SALU_CYCLE_1) | instskip(NEXT) | instid1(VALU_DEP_1)
	s_cmp_lt_i32 s0, 11
	v_ashrrev_i32_e32 v1, 31, v0
	s_delay_alu instid0(VALU_DEP_1)
	v_add_nc_u64_e32 v[0:1], s[6:7], v[0:1]
	s_cbranch_scc1 .LBB355_260
; %bb.251:
	s_cmp_gt_i32 s0, 25
	s_cbranch_scc0 .LBB355_269
; %bb.252:
	s_cmp_gt_i32 s0, 28
	s_cbranch_scc0 .LBB355_271
	;; [unrolled: 3-line block ×4, first 2 shown]
; %bb.255:
	s_cmp_eq_u32 s0, 46
	s_mov_b32 s21, 0
	s_cbranch_scc0 .LBB355_281
; %bb.256:
	s_wait_loadcnt 0x0
	global_load_b32 v2, v[0:1], off
	s_mov_b32 s19, -1
	s_mov_b32 s18, 0
	s_wait_loadcnt 0x0
	v_lshlrev_b32_e32 v2, 16, v2
	s_delay_alu instid0(VALU_DEP_1)
	v_cvt_u32_f32_e32 v2, v2
	s_branch .LBB355_283
.LBB355_257:
	s_or_b32 exec_lo, exec_lo, s17
	s_mov_b32 s14, 0
	s_and_saveexec_b32 s17, s16
	s_cbranch_execnz .LBB355_847
.LBB355_258:
	s_or_b32 exec_lo, exec_lo, s17
	s_and_saveexec_b32 s16, s18
	s_delay_alu instid0(SALU_CYCLE_1)
	s_xor_b32 s16, exec_lo, s16
	s_cbranch_execz .LBB355_848
.LBB355_259:
	s_wait_loadcnt 0x0
	global_load_u8 v2, v[0:1], off
	s_or_b32 s0, s0, exec_lo
	s_wait_loadcnt 0x0
	v_cmp_ne_u16_e32 vcc_lo, 0, v2
	v_cndmask_b32_e64 v2, 0, 1, vcc_lo
	s_wait_xcnt 0x0
	s_or_b32 exec_lo, exec_lo, s16
	s_and_saveexec_b32 s16, s19
	s_cbranch_execz .LBB355_894
	s_branch .LBB355_849
.LBB355_260:
	s_mov_b32 s19, 0
	s_mov_b32 s18, s16
                                        ; implicit-def: $vgpr2
	s_cbranch_execnz .LBB355_456
.LBB355_261:
	s_and_not1_b32 vcc_lo, exec_lo, s19
	s_cbranch_vccnz .LBB355_504
.LBB355_262:
	s_wait_xcnt 0x0
	v_mul_lo_u32 v0, v4, s8
	s_wait_loadcnt 0x0
	s_delay_alu instid0(VALU_DEP_2) | instskip(SKIP_3) | instid1(VALU_DEP_2)
	v_cmp_ne_u32_e32 vcc_lo, s11, v2
	s_and_b32 s21, s2, 0xff
	s_xor_b32 s19, s13, vcc_lo
	s_cmp_lt_i32 s21, 11
	v_ashrrev_i32_e32 v1, 31, v0
	s_delay_alu instid0(VALU_DEP_1)
	v_add_nc_u64_e32 v[0:1], s[4:5], v[0:1]
	s_cbranch_scc1 .LBB355_270
; %bb.263:
	s_and_b32 s22, 0xffff, s21
	s_delay_alu instid0(SALU_CYCLE_1)
	s_cmp_gt_i32 s22, 25
	s_cbranch_scc0 .LBB355_272
; %bb.264:
	s_cmp_gt_i32 s22, 28
	s_cbranch_scc0 .LBB355_274
; %bb.265:
	;; [unrolled: 3-line block ×4, first 2 shown]
	s_mov_b32 s24, 0
	s_mov_b32 s0, -1
	s_cmp_eq_u32 s22, 46
	s_mov_b32 s23, 0
	s_cbranch_scc0 .LBB355_287
; %bb.268:
	v_cndmask_b32_e64 v2, 0, 1.0, s19
	s_mov_b32 s23, -1
	s_mov_b32 s0, 0
	s_delay_alu instid0(VALU_DEP_1) | instskip(NEXT) | instid1(VALU_DEP_1)
	v_bfe_u32 v3, v2, 16, 1
	v_add3_u32 v2, v2, v3, 0x7fff
	s_delay_alu instid0(VALU_DEP_1)
	v_lshrrev_b32_e32 v2, 16, v2
	global_store_b32 v[0:1], v2, off
	s_branch .LBB355_287
.LBB355_269:
	s_mov_b32 s21, -1
	s_mov_b32 s19, 0
	s_mov_b32 s18, s16
                                        ; implicit-def: $vgpr2
	s_branch .LBB355_422
.LBB355_270:
	s_mov_b32 s22, -1
	s_mov_b32 s23, 0
	s_mov_b32 s0, s15
	s_branch .LBB355_356
.LBB355_271:
	s_mov_b32 s21, -1
	s_mov_b32 s19, 0
	s_mov_b32 s18, s16
                                        ; implicit-def: $vgpr2
	s_branch .LBB355_405
.LBB355_272:
	s_mov_b32 s24, -1
	s_mov_b32 s23, 0
	s_mov_b32 s0, s15
	s_branch .LBB355_314
.LBB355_273:
	s_mov_b32 s21, -1
	s_mov_b32 s19, 0
	s_mov_b32 s18, s16
                                        ; implicit-def: $vgpr2
	s_branch .LBB355_400
.LBB355_274:
	s_mov_b32 s24, -1
	s_mov_b32 s23, 0
	s_mov_b32 s0, s15
	s_branch .LBB355_297
.LBB355_275:
	s_and_not1_saveexec_b32 s23, s23
	s_cbranch_execz .LBB355_54
.LBB355_276:
	v_add_f32_e32 v2, 0x46000000, v3
	s_and_not1_b32 s22, s22, exec_lo
	s_delay_alu instid0(VALU_DEP_1) | instskip(NEXT) | instid1(VALU_DEP_1)
	v_and_b32_e32 v2, 0xff, v2
	v_cmp_ne_u32_e32 vcc_lo, 0, v2
	s_and_b32 s24, vcc_lo, exec_lo
	s_delay_alu instid0(SALU_CYCLE_1)
	s_or_b32 s22, s22, s24
	s_or_b32 exec_lo, exec_lo, s23
	v_mov_b32_e32 v5, 0
	s_and_saveexec_b32 s23, s22
	s_cbranch_execnz .LBB355_55
	s_branch .LBB355_56
.LBB355_277:
	s_mov_b32 s21, -1
	s_mov_b32 s19, 0
	s_mov_b32 s18, s16
	s_branch .LBB355_282
.LBB355_278:
	s_mov_b32 s24, -1
	s_mov_b32 s23, 0
	s_mov_b32 s0, s15
	s_branch .LBB355_293
.LBB355_279:
	s_and_not1_saveexec_b32 s23, s23
	s_cbranch_execz .LBB355_67
.LBB355_280:
	v_add_f32_e32 v2, 0x42800000, v3
	s_and_not1_b32 s22, s22, exec_lo
	s_delay_alu instid0(VALU_DEP_1) | instskip(NEXT) | instid1(VALU_DEP_1)
	v_and_b32_e32 v2, 0xff, v2
	v_cmp_ne_u32_e32 vcc_lo, 0, v2
	s_and_b32 s24, vcc_lo, exec_lo
	s_delay_alu instid0(SALU_CYCLE_1)
	s_or_b32 s22, s22, s24
	s_or_b32 exec_lo, exec_lo, s23
	v_mov_b32_e32 v5, 0
	s_and_saveexec_b32 s23, s22
	s_cbranch_execnz .LBB355_68
	s_branch .LBB355_69
.LBB355_281:
	s_mov_b32 s18, -1
	s_mov_b32 s19, 0
.LBB355_282:
                                        ; implicit-def: $vgpr2
.LBB355_283:
	s_and_b32 vcc_lo, exec_lo, s21
	s_cbranch_vccz .LBB355_399
; %bb.284:
	s_cmp_eq_u32 s0, 44
	s_cbranch_scc0 .LBB355_398
; %bb.285:
	s_wait_loadcnt 0x0
	global_load_u8 v2, v[0:1], off
	s_mov_b32 s18, 0
	s_mov_b32 s19, -1
	s_wait_loadcnt 0x0
	v_lshlrev_b32_e32 v3, 23, v2
	v_cmp_ne_u32_e32 vcc_lo, 0, v2
	s_delay_alu instid0(VALU_DEP_2) | instskip(NEXT) | instid1(VALU_DEP_1)
	v_cvt_u32_f32_e32 v3, v3
	v_cndmask_b32_e32 v2, 0, v3, vcc_lo
	s_branch .LBB355_399
.LBB355_286:
	s_mov_b32 s24, -1
	s_mov_b32 s23, 0
	s_mov_b32 s0, s15
.LBB355_287:
	s_and_b32 vcc_lo, exec_lo, s24
	s_cbranch_vccz .LBB355_292
; %bb.288:
	s_cmp_eq_u32 s22, 44
	s_mov_b32 s0, -1
	s_cbranch_scc0 .LBB355_292
; %bb.289:
	v_cndmask_b32_e64 v5, 0, 1.0, s19
	s_mov_b32 s23, exec_lo
	s_wait_xcnt 0x0
	s_delay_alu instid0(VALU_DEP_1) | instskip(NEXT) | instid1(VALU_DEP_1)
	v_dual_mov_b32 v3, 0xff :: v_dual_lshrrev_b32 v2, 23, v5
	v_cmpx_ne_u32_e32 0xff, v2
; %bb.290:
	v_and_b32_e32 v3, 0x400000, v5
	v_and_or_b32 v5, 0x3fffff, v5, v2
	s_delay_alu instid0(VALU_DEP_2) | instskip(NEXT) | instid1(VALU_DEP_2)
	v_cmp_ne_u32_e32 vcc_lo, 0, v3
	v_cmp_ne_u32_e64 s0, 0, v5
	s_and_b32 s0, vcc_lo, s0
	s_delay_alu instid0(SALU_CYCLE_1) | instskip(NEXT) | instid1(VALU_DEP_1)
	v_cndmask_b32_e64 v3, 0, 1, s0
	v_add_nc_u32_e32 v3, v2, v3
; %bb.291:
	s_or_b32 exec_lo, exec_lo, s23
	s_mov_b32 s23, -1
	s_mov_b32 s0, 0
	global_store_b8 v[0:1], v3, off
.LBB355_292:
	s_mov_b32 s24, 0
.LBB355_293:
	s_delay_alu instid0(SALU_CYCLE_1)
	s_and_b32 vcc_lo, exec_lo, s24
	s_cbranch_vccz .LBB355_296
; %bb.294:
	s_cmp_eq_u32 s22, 29
	s_mov_b32 s0, -1
	s_cbranch_scc0 .LBB355_296
; %bb.295:
	s_mov_b32 s0, 0
	s_wait_xcnt 0x0
	v_cndmask_b32_e64 v2, 0, 1, s19
	v_mov_b32_e32 v3, s0
	s_mov_b32 s23, -1
	s_mov_b32 s24, 0
	global_store_b64 v[0:1], v[2:3], off
	s_branch .LBB355_297
.LBB355_296:
	s_mov_b32 s24, 0
.LBB355_297:
	s_delay_alu instid0(SALU_CYCLE_1)
	s_and_b32 vcc_lo, exec_lo, s24
	s_cbranch_vccz .LBB355_313
; %bb.298:
	s_cmp_lt_i32 s22, 27
	s_mov_b32 s23, -1
	s_cbranch_scc1 .LBB355_304
; %bb.299:
	s_cmp_gt_i32 s22, 27
	s_cbranch_scc0 .LBB355_301
; %bb.300:
	s_wait_xcnt 0x0
	v_cndmask_b32_e64 v2, 0, 1, s19
	s_mov_b32 s23, 0
	global_store_b32 v[0:1], v2, off
.LBB355_301:
	s_and_not1_b32 vcc_lo, exec_lo, s23
	s_cbranch_vccnz .LBB355_303
; %bb.302:
	s_wait_xcnt 0x0
	v_cndmask_b32_e64 v2, 0, 1, s19
	global_store_b16 v[0:1], v2, off
.LBB355_303:
	s_mov_b32 s23, 0
.LBB355_304:
	s_delay_alu instid0(SALU_CYCLE_1)
	s_and_not1_b32 vcc_lo, exec_lo, s23
	s_cbranch_vccnz .LBB355_312
; %bb.305:
	s_wait_xcnt 0x0
	v_cndmask_b32_e64 v3, 0, 1.0, s19
	v_mov_b32_e32 v5, 0x80
	s_mov_b32 s23, exec_lo
	s_delay_alu instid0(VALU_DEP_2)
	v_cmpx_gt_u32_e32 0x43800000, v3
	s_cbranch_execz .LBB355_311
; %bb.306:
	s_mov_b32 s24, 0
	s_mov_b32 s25, exec_lo
                                        ; implicit-def: $vgpr2
	v_cmpx_lt_u32_e32 0x3bffffff, v3
	s_xor_b32 s25, exec_lo, s25
	s_cbranch_execz .LBB355_520
; %bb.307:
	v_bfe_u32 v2, v3, 20, 1
	s_mov_b32 s24, exec_lo
	s_delay_alu instid0(VALU_DEP_1) | instskip(NEXT) | instid1(VALU_DEP_1)
	v_add3_u32 v2, v3, v2, 0x487ffff
                                        ; implicit-def: $vgpr3
	v_lshrrev_b32_e32 v2, 20, v2
	s_and_not1_saveexec_b32 s25, s25
	s_cbranch_execnz .LBB355_521
.LBB355_308:
	s_or_b32 exec_lo, exec_lo, s25
	v_mov_b32_e32 v5, 0
	s_and_saveexec_b32 s25, s24
.LBB355_309:
	v_mov_b32_e32 v5, v2
.LBB355_310:
	s_or_b32 exec_lo, exec_lo, s25
.LBB355_311:
	s_delay_alu instid0(SALU_CYCLE_1)
	s_or_b32 exec_lo, exec_lo, s23
	global_store_b8 v[0:1], v5, off
.LBB355_312:
	s_mov_b32 s23, -1
.LBB355_313:
	s_mov_b32 s24, 0
.LBB355_314:
	s_delay_alu instid0(SALU_CYCLE_1)
	s_and_b32 vcc_lo, exec_lo, s24
	s_cbranch_vccz .LBB355_355
; %bb.315:
	s_cmp_gt_i32 s22, 22
	s_mov_b32 s24, -1
	s_cbranch_scc0 .LBB355_347
; %bb.316:
	s_cmp_lt_i32 s22, 24
	s_mov_b32 s23, -1
	s_cbranch_scc1 .LBB355_336
; %bb.317:
	s_cmp_gt_i32 s22, 24
	s_cbranch_scc0 .LBB355_325
; %bb.318:
	s_wait_xcnt 0x0
	v_cndmask_b32_e64 v3, 0, 1.0, s19
	v_mov_b32_e32 v5, 0x80
	s_mov_b32 s23, exec_lo
	s_delay_alu instid0(VALU_DEP_2)
	v_cmpx_gt_u32_e32 0x47800000, v3
	s_cbranch_execz .LBB355_324
; %bb.319:
	s_mov_b32 s24, 0
	s_mov_b32 s25, exec_lo
                                        ; implicit-def: $vgpr2
	v_cmpx_lt_u32_e32 0x37ffffff, v3
	s_xor_b32 s25, exec_lo, s25
	s_cbranch_execz .LBB355_523
; %bb.320:
	v_bfe_u32 v2, v3, 21, 1
	s_mov_b32 s24, exec_lo
	s_delay_alu instid0(VALU_DEP_1) | instskip(NEXT) | instid1(VALU_DEP_1)
	v_add3_u32 v2, v3, v2, 0x88fffff
                                        ; implicit-def: $vgpr3
	v_lshrrev_b32_e32 v2, 21, v2
	s_and_not1_saveexec_b32 s25, s25
	s_cbranch_execnz .LBB355_524
.LBB355_321:
	s_or_b32 exec_lo, exec_lo, s25
	v_mov_b32_e32 v5, 0
	s_and_saveexec_b32 s25, s24
.LBB355_322:
	v_mov_b32_e32 v5, v2
.LBB355_323:
	s_or_b32 exec_lo, exec_lo, s25
.LBB355_324:
	s_delay_alu instid0(SALU_CYCLE_1)
	s_or_b32 exec_lo, exec_lo, s23
	s_mov_b32 s23, 0
	global_store_b8 v[0:1], v5, off
.LBB355_325:
	s_and_b32 vcc_lo, exec_lo, s23
	s_cbranch_vccz .LBB355_335
; %bb.326:
	s_wait_xcnt 0x0
	v_cndmask_b32_e64 v3, 0, 1.0, s19
	s_mov_b32 s23, exec_lo
                                        ; implicit-def: $vgpr2
	s_delay_alu instid0(VALU_DEP_1)
	v_cmpx_gt_u32_e32 0x43f00000, v3
	s_xor_b32 s23, exec_lo, s23
	s_cbranch_execz .LBB355_332
; %bb.327:
	s_mov_b32 s24, exec_lo
                                        ; implicit-def: $vgpr2
	v_cmpx_lt_u32_e32 0x3c7fffff, v3
	s_xor_b32 s24, exec_lo, s24
; %bb.328:
	v_bfe_u32 v2, v3, 20, 1
	s_delay_alu instid0(VALU_DEP_1) | instskip(NEXT) | instid1(VALU_DEP_1)
	v_add3_u32 v2, v3, v2, 0x407ffff
	v_and_b32_e32 v3, 0xff00000, v2
	v_lshrrev_b32_e32 v2, 20, v2
	s_delay_alu instid0(VALU_DEP_2) | instskip(NEXT) | instid1(VALU_DEP_2)
	v_cmp_ne_u32_e32 vcc_lo, 0x7f00000, v3
                                        ; implicit-def: $vgpr3
	v_cndmask_b32_e32 v2, 0x7e, v2, vcc_lo
; %bb.329:
	s_and_not1_saveexec_b32 s24, s24
; %bb.330:
	v_add_f32_e32 v2, 0x46800000, v3
; %bb.331:
	s_or_b32 exec_lo, exec_lo, s24
                                        ; implicit-def: $vgpr3
.LBB355_332:
	s_and_not1_saveexec_b32 s23, s23
; %bb.333:
	v_mov_b32_e32 v2, 0x7f
	v_cmp_lt_u32_e32 vcc_lo, 0x7f800000, v3
	s_delay_alu instid0(VALU_DEP_2)
	v_cndmask_b32_e32 v2, 0x7e, v2, vcc_lo
; %bb.334:
	s_or_b32 exec_lo, exec_lo, s23
	global_store_b8 v[0:1], v2, off
.LBB355_335:
	s_mov_b32 s23, 0
.LBB355_336:
	s_delay_alu instid0(SALU_CYCLE_1)
	s_and_not1_b32 vcc_lo, exec_lo, s23
	s_cbranch_vccnz .LBB355_346
; %bb.337:
	s_wait_xcnt 0x0
	v_cndmask_b32_e64 v3, 0, 1.0, s19
	s_mov_b32 s23, exec_lo
                                        ; implicit-def: $vgpr2
	s_delay_alu instid0(VALU_DEP_1)
	v_cmpx_gt_u32_e32 0x47800000, v3
	s_xor_b32 s23, exec_lo, s23
	s_cbranch_execz .LBB355_343
; %bb.338:
	s_mov_b32 s24, exec_lo
                                        ; implicit-def: $vgpr2
	v_cmpx_lt_u32_e32 0x387fffff, v3
	s_xor_b32 s24, exec_lo, s24
; %bb.339:
	v_bfe_u32 v2, v3, 21, 1
	s_delay_alu instid0(VALU_DEP_1) | instskip(NEXT) | instid1(VALU_DEP_1)
	v_add3_u32 v2, v3, v2, 0x80fffff
                                        ; implicit-def: $vgpr3
	v_lshrrev_b32_e32 v2, 21, v2
; %bb.340:
	s_and_not1_saveexec_b32 s24, s24
; %bb.341:
	v_add_f32_e32 v2, 0x43000000, v3
; %bb.342:
	s_or_b32 exec_lo, exec_lo, s24
                                        ; implicit-def: $vgpr3
.LBB355_343:
	s_and_not1_saveexec_b32 s23, s23
; %bb.344:
	v_mov_b32_e32 v2, 0x7f
	v_cmp_lt_u32_e32 vcc_lo, 0x7f800000, v3
	s_delay_alu instid0(VALU_DEP_2)
	v_cndmask_b32_e32 v2, 0x7c, v2, vcc_lo
; %bb.345:
	s_or_b32 exec_lo, exec_lo, s23
	global_store_b8 v[0:1], v2, off
.LBB355_346:
	s_mov_b32 s24, 0
	s_mov_b32 s23, -1
.LBB355_347:
	s_and_not1_b32 vcc_lo, exec_lo, s24
	s_cbranch_vccnz .LBB355_355
; %bb.348:
	s_cmp_gt_i32 s22, 14
	s_mov_b32 s24, -1
	s_cbranch_scc0 .LBB355_352
; %bb.349:
	s_cmp_eq_u32 s22, 15
	s_mov_b32 s0, -1
	s_cbranch_scc0 .LBB355_351
; %bb.350:
	s_wait_xcnt 0x0
	v_cndmask_b32_e64 v2, 0, 1.0, s19
	s_mov_b32 s23, -1
	s_mov_b32 s0, 0
	s_delay_alu instid0(VALU_DEP_1) | instskip(NEXT) | instid1(VALU_DEP_1)
	v_bfe_u32 v3, v2, 16, 1
	v_add3_u32 v2, v2, v3, 0x7fff
	global_store_d16_hi_b16 v[0:1], v2, off
.LBB355_351:
	s_mov_b32 s24, 0
.LBB355_352:
	s_delay_alu instid0(SALU_CYCLE_1)
	s_and_b32 vcc_lo, exec_lo, s24
	s_cbranch_vccz .LBB355_355
; %bb.353:
	s_cmp_eq_u32 s22, 11
	s_mov_b32 s0, -1
	s_cbranch_scc0 .LBB355_355
; %bb.354:
	s_wait_xcnt 0x0
	v_cndmask_b32_e64 v2, 0, 1, s19
	s_mov_b32 s23, -1
	s_mov_b32 s0, 0
	global_store_b8 v[0:1], v2, off
.LBB355_355:
	s_mov_b32 s22, 0
.LBB355_356:
	s_delay_alu instid0(SALU_CYCLE_1)
	s_and_b32 vcc_lo, exec_lo, s22
	s_cbranch_vccz .LBB355_395
; %bb.357:
	s_and_b32 s21, 0xffff, s21
	s_mov_b32 s22, -1
	s_cmp_lt_i32 s21, 5
	s_cbranch_scc1 .LBB355_378
; %bb.358:
	s_cmp_lt_i32 s21, 8
	s_cbranch_scc1 .LBB355_368
; %bb.359:
	;; [unrolled: 3-line block ×3, first 2 shown]
	s_cmp_gt_i32 s21, 9
	s_cbranch_scc0 .LBB355_362
; %bb.361:
	s_wait_xcnt 0x0
	v_cndmask_b32_e64 v2, 0, 1, s19
	v_mov_b32_e32 v8, 0
	s_mov_b32 s22, 0
	s_delay_alu instid0(VALU_DEP_2) | instskip(NEXT) | instid1(VALU_DEP_2)
	v_cvt_f64_u32_e32 v[6:7], v2
	v_mov_b32_e32 v9, v8
	global_store_b128 v[0:1], v[6:9], off
.LBB355_362:
	s_and_not1_b32 vcc_lo, exec_lo, s22
	s_cbranch_vccnz .LBB355_364
; %bb.363:
	s_wait_xcnt 0x0
	v_cndmask_b32_e64 v2, 0, 1.0, s19
	v_mov_b32_e32 v3, 0
	global_store_b64 v[0:1], v[2:3], off
.LBB355_364:
	s_mov_b32 s22, 0
.LBB355_365:
	s_delay_alu instid0(SALU_CYCLE_1)
	s_and_not1_b32 vcc_lo, exec_lo, s22
	s_cbranch_vccnz .LBB355_367
; %bb.366:
	s_wait_xcnt 0x0
	v_cndmask_b32_e64 v2, 0, 1.0, s19
	s_delay_alu instid0(VALU_DEP_1) | instskip(NEXT) | instid1(VALU_DEP_1)
	v_cvt_f16_f32_e32 v2, v2
	v_and_b32_e32 v2, 0xffff, v2
	global_store_b32 v[0:1], v2, off
.LBB355_367:
	s_mov_b32 s22, 0
.LBB355_368:
	s_delay_alu instid0(SALU_CYCLE_1)
	s_and_not1_b32 vcc_lo, exec_lo, s22
	s_cbranch_vccnz .LBB355_377
; %bb.369:
	s_cmp_lt_i32 s21, 6
	s_mov_b32 s22, -1
	s_cbranch_scc1 .LBB355_375
; %bb.370:
	s_cmp_gt_i32 s21, 6
	s_cbranch_scc0 .LBB355_372
; %bb.371:
	s_wait_xcnt 0x0
	v_cndmask_b32_e64 v2, 0, 1, s19
	s_mov_b32 s22, 0
	s_delay_alu instid0(VALU_DEP_1)
	v_cvt_f64_u32_e32 v[2:3], v2
	global_store_b64 v[0:1], v[2:3], off
.LBB355_372:
	s_and_not1_b32 vcc_lo, exec_lo, s22
	s_cbranch_vccnz .LBB355_374
; %bb.373:
	s_wait_xcnt 0x0
	v_cndmask_b32_e64 v2, 0, 1.0, s19
	global_store_b32 v[0:1], v2, off
.LBB355_374:
	s_mov_b32 s22, 0
.LBB355_375:
	s_delay_alu instid0(SALU_CYCLE_1)
	s_and_not1_b32 vcc_lo, exec_lo, s22
	s_cbranch_vccnz .LBB355_377
; %bb.376:
	s_wait_xcnt 0x0
	v_cndmask_b32_e64 v2, 0, 1.0, s19
	s_delay_alu instid0(VALU_DEP_1)
	v_cvt_f16_f32_e32 v2, v2
	global_store_b16 v[0:1], v2, off
.LBB355_377:
	s_mov_b32 s22, 0
.LBB355_378:
	s_delay_alu instid0(SALU_CYCLE_1)
	s_and_not1_b32 vcc_lo, exec_lo, s22
	s_cbranch_vccnz .LBB355_394
; %bb.379:
	s_cmp_lt_i32 s21, 2
	s_mov_b32 s22, -1
	s_cbranch_scc1 .LBB355_389
; %bb.380:
	s_cmp_lt_i32 s21, 3
	s_cbranch_scc1 .LBB355_386
; %bb.381:
	s_cmp_gt_i32 s21, 3
	s_cbranch_scc0 .LBB355_383
; %bb.382:
	s_mov_b32 s22, 0
	s_wait_xcnt 0x0
	v_cndmask_b32_e64 v2, 0, 1, s19
	v_mov_b32_e32 v3, s22
	global_store_b64 v[0:1], v[2:3], off
.LBB355_383:
	s_and_not1_b32 vcc_lo, exec_lo, s22
	s_cbranch_vccnz .LBB355_385
; %bb.384:
	s_wait_xcnt 0x0
	v_cndmask_b32_e64 v2, 0, 1, s19
	global_store_b32 v[0:1], v2, off
.LBB355_385:
	s_mov_b32 s22, 0
.LBB355_386:
	s_delay_alu instid0(SALU_CYCLE_1)
	s_and_not1_b32 vcc_lo, exec_lo, s22
	s_cbranch_vccnz .LBB355_388
; %bb.387:
	s_wait_xcnt 0x0
	v_cndmask_b32_e64 v2, 0, 1, s19
	global_store_b16 v[0:1], v2, off
.LBB355_388:
	s_mov_b32 s22, 0
.LBB355_389:
	s_delay_alu instid0(SALU_CYCLE_1)
	s_and_not1_b32 vcc_lo, exec_lo, s22
	s_cbranch_vccnz .LBB355_394
; %bb.390:
	s_wait_xcnt 0x0
	v_cndmask_b32_e64 v2, 0, 1, s19
	s_cmp_gt_i32 s21, 0
	s_mov_b32 s19, -1
	s_cbranch_scc0 .LBB355_392
; %bb.391:
	s_mov_b32 s19, 0
	global_store_b8 v[0:1], v2, off
.LBB355_392:
	s_and_not1_b32 vcc_lo, exec_lo, s19
	s_cbranch_vccnz .LBB355_394
; %bb.393:
	global_store_b8 v[0:1], v2, off
.LBB355_394:
	s_mov_b32 s23, -1
.LBB355_395:
	s_delay_alu instid0(SALU_CYCLE_1)
	s_and_not1_b32 vcc_lo, exec_lo, s23
	s_cbranch_vccnz .LBB355_397
; %bb.396:
	v_add_nc_u32_e32 v4, 0x80, v4
	s_mov_b32 s21, -1
	s_branch .LBB355_506
.LBB355_397:
	s_mov_b32 s21, 0
	s_branch .LBB355_505
.LBB355_398:
	s_mov_b32 s18, -1
                                        ; implicit-def: $vgpr2
.LBB355_399:
	s_mov_b32 s21, 0
.LBB355_400:
	s_delay_alu instid0(SALU_CYCLE_1)
	s_and_b32 vcc_lo, exec_lo, s21
	s_cbranch_vccz .LBB355_404
; %bb.401:
	s_cmp_eq_u32 s0, 29
	s_cbranch_scc0 .LBB355_403
; %bb.402:
	s_wait_loadcnt 0x0
	global_load_b32 v2, v[0:1], off
	s_mov_b32 s19, -1
	s_mov_b32 s18, 0
	s_branch .LBB355_404
.LBB355_403:
	s_mov_b32 s18, -1
                                        ; implicit-def: $vgpr2
.LBB355_404:
	s_mov_b32 s21, 0
.LBB355_405:
	s_delay_alu instid0(SALU_CYCLE_1)
	s_and_b32 vcc_lo, exec_lo, s21
	s_cbranch_vccz .LBB355_421
; %bb.406:
	s_cmp_lt_i32 s0, 27
	s_cbranch_scc1 .LBB355_409
; %bb.407:
	s_cmp_gt_i32 s0, 27
	s_cbranch_scc0 .LBB355_410
; %bb.408:
	s_wait_loadcnt 0x0
	global_load_b32 v2, v[0:1], off
	s_mov_b32 s19, 0
	s_branch .LBB355_411
.LBB355_409:
	s_mov_b32 s19, -1
                                        ; implicit-def: $vgpr2
	s_branch .LBB355_414
.LBB355_410:
	s_mov_b32 s19, -1
                                        ; implicit-def: $vgpr2
.LBB355_411:
	s_delay_alu instid0(SALU_CYCLE_1)
	s_and_not1_b32 vcc_lo, exec_lo, s19
	s_cbranch_vccnz .LBB355_413
; %bb.412:
	s_wait_loadcnt 0x0
	global_load_u16 v2, v[0:1], off
.LBB355_413:
	s_mov_b32 s19, 0
.LBB355_414:
	s_delay_alu instid0(SALU_CYCLE_1)
	s_and_not1_b32 vcc_lo, exec_lo, s19
	s_cbranch_vccnz .LBB355_420
; %bb.415:
	global_load_u8 v3, v[0:1], off
	s_mov_b32 s21, 0
	s_mov_b32 s19, exec_lo
	s_wait_loadcnt 0x0
	v_cmpx_lt_i16_e32 0x7f, v3
	s_xor_b32 s19, exec_lo, s19
	s_cbranch_execz .LBB355_432
; %bb.416:
	v_cmp_ne_u16_e32 vcc_lo, 0x80, v3
	s_and_b32 s21, vcc_lo, exec_lo
	s_and_not1_saveexec_b32 s19, s19
	s_cbranch_execnz .LBB355_433
.LBB355_417:
	s_or_b32 exec_lo, exec_lo, s19
	v_mov_b32_e32 v2, 0
	s_and_saveexec_b32 s19, s21
	s_cbranch_execz .LBB355_419
.LBB355_418:
	v_and_b32_e32 v2, 0xffff, v3
	s_delay_alu instid0(VALU_DEP_1) | instskip(SKIP_1) | instid1(VALU_DEP_2)
	v_dual_lshlrev_b32 v3, 24, v3 :: v_dual_bitop2_b32 v5, 7, v2 bitop3:0x40
	v_bfe_u32 v8, v2, 3, 4
	v_and_b32_e32 v3, 0x80000000, v3
	s_delay_alu instid0(VALU_DEP_3) | instskip(NEXT) | instid1(VALU_DEP_3)
	v_clz_i32_u32_e32 v6, v5
	v_cmp_eq_u32_e32 vcc_lo, 0, v8
	s_delay_alu instid0(VALU_DEP_2) | instskip(NEXT) | instid1(VALU_DEP_1)
	v_min_u32_e32 v6, 32, v6
	v_subrev_nc_u32_e32 v7, 28, v6
	v_sub_nc_u32_e32 v6, 29, v6
	s_delay_alu instid0(VALU_DEP_2) | instskip(NEXT) | instid1(VALU_DEP_2)
	v_lshlrev_b32_e32 v2, v7, v2
	v_cndmask_b32_e32 v6, v8, v6, vcc_lo
	s_delay_alu instid0(VALU_DEP_2) | instskip(NEXT) | instid1(VALU_DEP_1)
	v_and_b32_e32 v2, 7, v2
	v_cndmask_b32_e32 v2, v5, v2, vcc_lo
	s_delay_alu instid0(VALU_DEP_3) | instskip(NEXT) | instid1(VALU_DEP_2)
	v_lshl_add_u32 v5, v6, 23, 0x3b800000
	v_lshlrev_b32_e32 v2, 20, v2
	s_delay_alu instid0(VALU_DEP_1) | instskip(NEXT) | instid1(VALU_DEP_1)
	v_or3_b32 v2, v3, v5, v2
	v_cvt_u32_f32_e32 v2, v2
.LBB355_419:
	s_or_b32 exec_lo, exec_lo, s19
.LBB355_420:
	s_mov_b32 s19, -1
.LBB355_421:
	s_mov_b32 s21, 0
.LBB355_422:
	s_delay_alu instid0(SALU_CYCLE_1)
	s_and_b32 vcc_lo, exec_lo, s21
	s_cbranch_vccz .LBB355_455
; %bb.423:
	s_cmp_gt_i32 s0, 22
	s_cbranch_scc0 .LBB355_431
; %bb.424:
	s_cmp_lt_i32 s0, 24
	s_cbranch_scc1 .LBB355_434
; %bb.425:
	s_cmp_gt_i32 s0, 24
	s_cbranch_scc0 .LBB355_435
; %bb.426:
	global_load_u8 v3, v[0:1], off
	s_mov_b32 s21, 0
	s_mov_b32 s19, exec_lo
	s_wait_loadcnt 0x0
	v_cmpx_lt_i16_e32 0x7f, v3
	s_xor_b32 s19, exec_lo, s19
	s_cbranch_execz .LBB355_447
; %bb.427:
	v_cmp_ne_u16_e32 vcc_lo, 0x80, v3
	s_and_b32 s21, vcc_lo, exec_lo
	s_and_not1_saveexec_b32 s19, s19
	s_cbranch_execnz .LBB355_448
.LBB355_428:
	s_or_b32 exec_lo, exec_lo, s19
	v_mov_b32_e32 v2, 0
	s_and_saveexec_b32 s19, s21
	s_cbranch_execz .LBB355_430
.LBB355_429:
	v_and_b32_e32 v2, 0xffff, v3
	s_delay_alu instid0(VALU_DEP_1) | instskip(SKIP_1) | instid1(VALU_DEP_2)
	v_dual_lshlrev_b32 v3, 24, v3 :: v_dual_bitop2_b32 v5, 3, v2 bitop3:0x40
	v_bfe_u32 v8, v2, 2, 5
	v_and_b32_e32 v3, 0x80000000, v3
	s_delay_alu instid0(VALU_DEP_3) | instskip(NEXT) | instid1(VALU_DEP_3)
	v_clz_i32_u32_e32 v6, v5
	v_cmp_eq_u32_e32 vcc_lo, 0, v8
	s_delay_alu instid0(VALU_DEP_2) | instskip(NEXT) | instid1(VALU_DEP_1)
	v_min_u32_e32 v6, 32, v6
	v_subrev_nc_u32_e32 v7, 29, v6
	v_sub_nc_u32_e32 v6, 30, v6
	s_delay_alu instid0(VALU_DEP_2) | instskip(NEXT) | instid1(VALU_DEP_2)
	v_lshlrev_b32_e32 v2, v7, v2
	v_cndmask_b32_e32 v6, v8, v6, vcc_lo
	s_delay_alu instid0(VALU_DEP_2) | instskip(NEXT) | instid1(VALU_DEP_1)
	v_and_b32_e32 v2, 3, v2
	v_cndmask_b32_e32 v2, v5, v2, vcc_lo
	s_delay_alu instid0(VALU_DEP_3) | instskip(NEXT) | instid1(VALU_DEP_2)
	v_lshl_add_u32 v5, v6, 23, 0x37800000
	v_lshlrev_b32_e32 v2, 21, v2
	s_delay_alu instid0(VALU_DEP_1) | instskip(NEXT) | instid1(VALU_DEP_1)
	v_or3_b32 v2, v3, v5, v2
	v_cvt_u32_f32_e32 v2, v2
.LBB355_430:
	s_or_b32 exec_lo, exec_lo, s19
	s_mov_b32 s19, 0
	s_branch .LBB355_436
.LBB355_431:
	s_mov_b32 s21, -1
                                        ; implicit-def: $vgpr2
	s_branch .LBB355_442
.LBB355_432:
	s_and_not1_saveexec_b32 s19, s19
	s_cbranch_execz .LBB355_417
.LBB355_433:
	v_cmp_ne_u16_e32 vcc_lo, 0, v3
	s_and_not1_b32 s21, s21, exec_lo
	s_and_b32 s22, vcc_lo, exec_lo
	s_delay_alu instid0(SALU_CYCLE_1)
	s_or_b32 s21, s21, s22
	s_or_b32 exec_lo, exec_lo, s19
	v_mov_b32_e32 v2, 0
	s_and_saveexec_b32 s19, s21
	s_cbranch_execnz .LBB355_418
	s_branch .LBB355_419
.LBB355_434:
	s_mov_b32 s19, -1
                                        ; implicit-def: $vgpr2
	s_branch .LBB355_439
.LBB355_435:
	s_mov_b32 s19, -1
                                        ; implicit-def: $vgpr2
.LBB355_436:
	s_delay_alu instid0(SALU_CYCLE_1)
	s_and_b32 vcc_lo, exec_lo, s19
	s_cbranch_vccz .LBB355_438
; %bb.437:
	s_wait_loadcnt 0x0
	global_load_u8 v2, v[0:1], off
	s_wait_loadcnt 0x0
	v_lshlrev_b32_e32 v2, 24, v2
	s_delay_alu instid0(VALU_DEP_1) | instskip(NEXT) | instid1(VALU_DEP_1)
	v_and_b32_e32 v3, 0x7f000000, v2
	v_clz_i32_u32_e32 v5, v3
	v_add_nc_u32_e32 v7, 0x1000000, v3
	v_cmp_ne_u32_e32 vcc_lo, 0, v3
	s_delay_alu instid0(VALU_DEP_3) | instskip(NEXT) | instid1(VALU_DEP_1)
	v_min_u32_e32 v5, 32, v5
	v_sub_nc_u32_e64 v5, v5, 4 clamp
	s_delay_alu instid0(VALU_DEP_1) | instskip(NEXT) | instid1(VALU_DEP_1)
	v_dual_lshlrev_b32 v6, v5, v3 :: v_dual_lshlrev_b32 v5, 23, v5
	v_lshrrev_b32_e32 v6, 4, v6
	s_delay_alu instid0(VALU_DEP_1) | instskip(NEXT) | instid1(VALU_DEP_1)
	v_dual_sub_nc_u32 v5, v6, v5 :: v_dual_ashrrev_i32 v6, 8, v7
	v_add_nc_u32_e32 v5, 0x3c000000, v5
	s_delay_alu instid0(VALU_DEP_1) | instskip(NEXT) | instid1(VALU_DEP_1)
	v_and_or_b32 v5, 0x7f800000, v6, v5
	v_cndmask_b32_e32 v3, 0, v5, vcc_lo
	s_delay_alu instid0(VALU_DEP_1) | instskip(NEXT) | instid1(VALU_DEP_1)
	v_and_or_b32 v2, 0x80000000, v2, v3
	v_cvt_u32_f32_e32 v2, v2
.LBB355_438:
	s_mov_b32 s19, 0
.LBB355_439:
	s_delay_alu instid0(SALU_CYCLE_1)
	s_and_not1_b32 vcc_lo, exec_lo, s19
	s_cbranch_vccnz .LBB355_441
; %bb.440:
	s_wait_loadcnt 0x0
	global_load_u8 v2, v[0:1], off
	s_wait_loadcnt 0x0
	v_lshlrev_b32_e32 v3, 25, v2
	v_lshlrev_b16 v2, 8, v2
	s_delay_alu instid0(VALU_DEP_2) | instskip(NEXT) | instid1(VALU_DEP_2)
	v_cmp_gt_u32_e32 vcc_lo, 0x8000000, v3
	v_and_or_b32 v6, 0x7f00, v2, 0.5
	v_lshrrev_b32_e32 v5, 4, v3
	v_bfe_i32 v2, v2, 0, 16
	s_delay_alu instid0(VALU_DEP_3) | instskip(NEXT) | instid1(VALU_DEP_3)
	v_add_f32_e32 v6, -0.5, v6
	v_or_b32_e32 v5, 0x70000000, v5
	s_delay_alu instid0(VALU_DEP_1) | instskip(NEXT) | instid1(VALU_DEP_1)
	v_mul_f32_e32 v5, 0x7800000, v5
	v_cndmask_b32_e32 v3, v5, v6, vcc_lo
	s_delay_alu instid0(VALU_DEP_1) | instskip(NEXT) | instid1(VALU_DEP_1)
	v_and_or_b32 v2, 0x80000000, v2, v3
	v_cvt_u32_f32_e32 v2, v2
.LBB355_441:
	s_mov_b32 s21, 0
	s_mov_b32 s19, -1
.LBB355_442:
	s_and_not1_b32 vcc_lo, exec_lo, s21
	s_cbranch_vccnz .LBB355_455
; %bb.443:
	s_cmp_gt_i32 s0, 14
	s_cbranch_scc0 .LBB355_446
; %bb.444:
	s_cmp_eq_u32 s0, 15
	s_cbranch_scc0 .LBB355_449
; %bb.445:
	s_wait_loadcnt 0x0
	global_load_u16 v2, v[0:1], off
	s_mov_b32 s19, -1
	s_mov_b32 s18, 0
	s_wait_loadcnt 0x0
	v_lshlrev_b32_e32 v2, 16, v2
	s_delay_alu instid0(VALU_DEP_1)
	v_cvt_u32_f32_e32 v2, v2
	s_branch .LBB355_450
.LBB355_446:
	s_mov_b32 s21, -1
                                        ; implicit-def: $vgpr2
	s_branch .LBB355_451
.LBB355_447:
	s_and_not1_saveexec_b32 s19, s19
	s_cbranch_execz .LBB355_428
.LBB355_448:
	v_cmp_ne_u16_e32 vcc_lo, 0, v3
	s_and_not1_b32 s21, s21, exec_lo
	s_and_b32 s22, vcc_lo, exec_lo
	s_delay_alu instid0(SALU_CYCLE_1)
	s_or_b32 s21, s21, s22
	s_or_b32 exec_lo, exec_lo, s19
	v_mov_b32_e32 v2, 0
	s_and_saveexec_b32 s19, s21
	s_cbranch_execnz .LBB355_429
	s_branch .LBB355_430
.LBB355_449:
	s_mov_b32 s18, -1
                                        ; implicit-def: $vgpr2
.LBB355_450:
	s_mov_b32 s21, 0
.LBB355_451:
	s_delay_alu instid0(SALU_CYCLE_1)
	s_and_b32 vcc_lo, exec_lo, s21
	s_cbranch_vccz .LBB355_455
; %bb.452:
	s_cmp_eq_u32 s0, 11
	s_cbranch_scc0 .LBB355_454
; %bb.453:
	s_wait_loadcnt 0x0
	global_load_u8 v2, v[0:1], off
	s_mov_b32 s18, 0
	s_mov_b32 s19, -1
	s_wait_loadcnt 0x0
	v_cmp_ne_u16_e32 vcc_lo, 0, v2
	v_cndmask_b32_e64 v2, 0, 1, vcc_lo
	s_branch .LBB355_455
.LBB355_454:
	s_mov_b32 s18, -1
                                        ; implicit-def: $vgpr2
.LBB355_455:
	s_branch .LBB355_261
.LBB355_456:
	s_cmp_lt_i32 s0, 5
	s_cbranch_scc1 .LBB355_461
; %bb.457:
	s_cmp_lt_i32 s0, 8
	s_cbranch_scc1 .LBB355_462
; %bb.458:
	s_cmp_lt_i32 s0, 9
	s_cbranch_scc1 .LBB355_463
; %bb.459:
	s_cmp_gt_i32 s0, 9
	s_cbranch_scc0 .LBB355_464
; %bb.460:
	s_wait_loadcnt 0x0
	global_load_b64 v[2:3], v[0:1], off
	s_mov_b32 s19, 0
	s_wait_loadcnt 0x0
	v_cvt_u32_f64_e32 v2, v[2:3]
	s_branch .LBB355_465
.LBB355_461:
	s_mov_b32 s19, -1
                                        ; implicit-def: $vgpr2
	s_branch .LBB355_483
.LBB355_462:
	s_mov_b32 s19, -1
                                        ; implicit-def: $vgpr2
	s_branch .LBB355_471
.LBB355_463:
	s_mov_b32 s19, -1
                                        ; implicit-def: $vgpr2
	s_branch .LBB355_468
.LBB355_464:
	s_mov_b32 s19, -1
                                        ; implicit-def: $vgpr2
.LBB355_465:
	s_delay_alu instid0(SALU_CYCLE_1)
	s_and_not1_b32 vcc_lo, exec_lo, s19
	s_cbranch_vccnz .LBB355_467
; %bb.466:
	s_wait_loadcnt 0x0
	global_load_b32 v2, v[0:1], off
	s_wait_loadcnt 0x0
	v_cvt_u32_f32_e32 v2, v2
.LBB355_467:
	s_mov_b32 s19, 0
.LBB355_468:
	s_delay_alu instid0(SALU_CYCLE_1)
	s_and_not1_b32 vcc_lo, exec_lo, s19
	s_cbranch_vccnz .LBB355_470
; %bb.469:
	s_wait_loadcnt 0x0
	global_load_b32 v2, v[0:1], off
	s_wait_loadcnt 0x0
	v_cvt_f32_f16_e32 v2, v2
	s_delay_alu instid0(VALU_DEP_1)
	v_cvt_u32_f32_e32 v2, v2
.LBB355_470:
	s_mov_b32 s19, 0
.LBB355_471:
	s_delay_alu instid0(SALU_CYCLE_1)
	s_and_not1_b32 vcc_lo, exec_lo, s19
	s_cbranch_vccnz .LBB355_482
; %bb.472:
	s_cmp_lt_i32 s0, 6
	s_cbranch_scc1 .LBB355_475
; %bb.473:
	s_cmp_gt_i32 s0, 6
	s_cbranch_scc0 .LBB355_476
; %bb.474:
	s_wait_loadcnt 0x0
	global_load_b64 v[2:3], v[0:1], off
	s_mov_b32 s19, 0
	s_wait_loadcnt 0x0
	v_cvt_u32_f64_e32 v2, v[2:3]
	s_branch .LBB355_477
.LBB355_475:
	s_mov_b32 s19, -1
                                        ; implicit-def: $vgpr2
	s_branch .LBB355_480
.LBB355_476:
	s_mov_b32 s19, -1
                                        ; implicit-def: $vgpr2
.LBB355_477:
	s_delay_alu instid0(SALU_CYCLE_1)
	s_and_not1_b32 vcc_lo, exec_lo, s19
	s_cbranch_vccnz .LBB355_479
; %bb.478:
	s_wait_loadcnt 0x0
	global_load_b32 v2, v[0:1], off
	s_wait_loadcnt 0x0
	v_cvt_u32_f32_e32 v2, v2
.LBB355_479:
	s_mov_b32 s19, 0
.LBB355_480:
	s_delay_alu instid0(SALU_CYCLE_1)
	s_and_not1_b32 vcc_lo, exec_lo, s19
	s_cbranch_vccnz .LBB355_482
; %bb.481:
	s_wait_loadcnt 0x0
	global_load_u16 v2, v[0:1], off
	s_wait_loadcnt 0x0
	v_cvt_f32_f16_e32 v2, v2
	s_delay_alu instid0(VALU_DEP_1)
	v_cvt_u32_f32_e32 v2, v2
.LBB355_482:
	s_mov_b32 s19, 0
.LBB355_483:
	s_delay_alu instid0(SALU_CYCLE_1)
	s_and_not1_b32 vcc_lo, exec_lo, s19
	s_cbranch_vccnz .LBB355_503
; %bb.484:
	s_cmp_lt_i32 s0, 2
	s_cbranch_scc1 .LBB355_488
; %bb.485:
	s_cmp_lt_i32 s0, 3
	s_cbranch_scc1 .LBB355_489
; %bb.486:
	s_cmp_gt_i32 s0, 3
	s_cbranch_scc0 .LBB355_490
; %bb.487:
	s_wait_loadcnt 0x0
	global_load_b32 v2, v[0:1], off
	s_mov_b32 s19, 0
	s_branch .LBB355_491
.LBB355_488:
	s_mov_b32 s19, -1
                                        ; implicit-def: $vgpr2
	s_branch .LBB355_497
.LBB355_489:
	s_mov_b32 s19, -1
                                        ; implicit-def: $vgpr2
	s_branch .LBB355_494
.LBB355_490:
	s_mov_b32 s19, -1
                                        ; implicit-def: $vgpr2
.LBB355_491:
	s_delay_alu instid0(SALU_CYCLE_1)
	s_and_not1_b32 vcc_lo, exec_lo, s19
	s_cbranch_vccnz .LBB355_493
; %bb.492:
	s_wait_loadcnt 0x0
	global_load_b32 v2, v[0:1], off
.LBB355_493:
	s_mov_b32 s19, 0
.LBB355_494:
	s_delay_alu instid0(SALU_CYCLE_1)
	s_and_not1_b32 vcc_lo, exec_lo, s19
	s_cbranch_vccnz .LBB355_496
; %bb.495:
	s_wait_loadcnt 0x0
	global_load_i16 v2, v[0:1], off
.LBB355_496:
	s_mov_b32 s19, 0
.LBB355_497:
	s_delay_alu instid0(SALU_CYCLE_1)
	s_and_not1_b32 vcc_lo, exec_lo, s19
	s_cbranch_vccnz .LBB355_503
; %bb.498:
	s_cmp_gt_i32 s0, 0
	s_mov_b32 s0, 0
	s_cbranch_scc0 .LBB355_500
; %bb.499:
	s_wait_loadcnt 0x0
	global_load_i8 v2, v[0:1], off
	s_branch .LBB355_501
.LBB355_500:
	s_mov_b32 s0, -1
                                        ; implicit-def: $vgpr2
.LBB355_501:
	s_delay_alu instid0(SALU_CYCLE_1)
	s_and_not1_b32 vcc_lo, exec_lo, s0
	s_cbranch_vccnz .LBB355_503
; %bb.502:
	s_wait_loadcnt 0x0
	global_load_u8 v2, v[0:1], off
.LBB355_503:
	s_branch .LBB355_262
.LBB355_504:
	s_mov_b32 s21, 0
	s_mov_b32 s0, s15
.LBB355_505:
                                        ; implicit-def: $vgpr4
.LBB355_506:
	s_and_not1_b32 s19, s15, exec_lo
	s_and_b32 s0, s0, exec_lo
	s_and_not1_b32 s22, s16, exec_lo
	s_and_b32 s18, s18, exec_lo
	s_or_b32 s19, s19, s0
	s_or_b32 s18, s22, s18
	s_or_not1_b32 s0, s21, exec_lo
.LBB355_507:
	s_wait_xcnt 0x0
	s_or_b32 exec_lo, exec_lo, s20
	s_mov_b32 s21, 0
	s_mov_b32 s22, 0
	s_mov_b32 s23, 0
                                        ; implicit-def: $vgpr0_vgpr1
                                        ; implicit-def: $vgpr2
	s_and_saveexec_b32 s20, s0
	s_cbranch_execz .LBB355_846
; %bb.508:
	s_mov_b32 s23, -1
	s_mov_b32 s0, s18
	s_mov_b32 s22, s19
	s_mov_b32 s21, exec_lo
	v_cmpx_gt_i32_e64 s14, v4
	s_cbranch_execz .LBB355_764
; %bb.509:
	v_mul_lo_u32 v0, v4, s9
	s_and_b32 s0, 0xffff, s3
	s_delay_alu instid0(SALU_CYCLE_1) | instskip(NEXT) | instid1(VALU_DEP_1)
	s_cmp_lt_i32 s0, 11
	v_ashrrev_i32_e32 v1, 31, v0
	s_delay_alu instid0(VALU_DEP_1)
	v_add_nc_u64_e32 v[0:1], s[6:7], v[0:1]
	s_cbranch_scc1 .LBB355_516
; %bb.510:
	s_cmp_gt_i32 s0, 25
	s_cbranch_scc0 .LBB355_517
; %bb.511:
	s_cmp_gt_i32 s0, 28
	s_cbranch_scc0 .LBB355_518
	;; [unrolled: 3-line block ×4, first 2 shown]
; %bb.514:
	s_cmp_eq_u32 s0, 46
	s_mov_b32 s24, 0
	s_cbranch_scc0 .LBB355_525
; %bb.515:
	s_wait_loadcnt 0x0
	global_load_b32 v2, v[0:1], off
	s_mov_b32 s22, 0
	s_wait_loadcnt 0x0
	v_lshlrev_b32_e32 v2, 16, v2
	s_delay_alu instid0(VALU_DEP_1)
	v_cvt_u32_f32_e32 v2, v2
	s_branch .LBB355_527
.LBB355_516:
	s_mov_b32 s24, -1
	s_mov_b32 s23, 0
	s_mov_b32 s22, s18
                                        ; implicit-def: $vgpr2
	s_branch .LBB355_588
.LBB355_517:
	s_mov_b32 s24, -1
	s_mov_b32 s23, 0
	s_mov_b32 s22, s18
                                        ; implicit-def: $vgpr2
	s_branch .LBB355_554
.LBB355_518:
	s_mov_b32 s24, -1
	s_mov_b32 s23, 0
	s_mov_b32 s22, s18
                                        ; implicit-def: $vgpr2
	s_branch .LBB355_537
.LBB355_519:
	s_mov_b32 s24, -1
	s_mov_b32 s23, 0
	s_mov_b32 s22, s18
                                        ; implicit-def: $vgpr2
	s_branch .LBB355_532
.LBB355_520:
	s_and_not1_saveexec_b32 s25, s25
	s_cbranch_execz .LBB355_308
.LBB355_521:
	v_add_f32_e32 v2, 0x46000000, v3
	s_and_not1_b32 s24, s24, exec_lo
	s_delay_alu instid0(VALU_DEP_1) | instskip(NEXT) | instid1(VALU_DEP_1)
	v_and_b32_e32 v2, 0xff, v2
	v_cmp_ne_u32_e32 vcc_lo, 0, v2
	s_and_b32 s26, vcc_lo, exec_lo
	s_delay_alu instid0(SALU_CYCLE_1)
	s_or_b32 s24, s24, s26
	s_or_b32 exec_lo, exec_lo, s25
	v_mov_b32_e32 v5, 0
	s_and_saveexec_b32 s25, s24
	s_cbranch_execnz .LBB355_309
	s_branch .LBB355_310
.LBB355_522:
	s_mov_b32 s24, -1
	s_mov_b32 s23, 0
	s_mov_b32 s22, s18
	s_branch .LBB355_526
.LBB355_523:
	s_and_not1_saveexec_b32 s25, s25
	s_cbranch_execz .LBB355_321
.LBB355_524:
	v_add_f32_e32 v2, 0x42800000, v3
	s_and_not1_b32 s24, s24, exec_lo
	s_delay_alu instid0(VALU_DEP_1) | instskip(NEXT) | instid1(VALU_DEP_1)
	v_and_b32_e32 v2, 0xff, v2
	v_cmp_ne_u32_e32 vcc_lo, 0, v2
	s_and_b32 s26, vcc_lo, exec_lo
	s_delay_alu instid0(SALU_CYCLE_1)
	s_or_b32 s24, s24, s26
	s_or_b32 exec_lo, exec_lo, s25
	v_mov_b32_e32 v5, 0
	s_and_saveexec_b32 s25, s24
	s_cbranch_execnz .LBB355_322
	s_branch .LBB355_323
.LBB355_525:
	s_mov_b32 s22, -1
	s_mov_b32 s23, 0
.LBB355_526:
                                        ; implicit-def: $vgpr2
.LBB355_527:
	s_and_b32 vcc_lo, exec_lo, s24
	s_cbranch_vccz .LBB355_531
; %bb.528:
	s_cmp_eq_u32 s0, 44
	s_cbranch_scc0 .LBB355_530
; %bb.529:
	s_wait_loadcnt 0x0
	global_load_u8 v2, v[0:1], off
	s_mov_b32 s22, 0
	s_mov_b32 s23, -1
	s_wait_loadcnt 0x0
	v_lshlrev_b32_e32 v3, 23, v2
	v_cmp_ne_u32_e32 vcc_lo, 0, v2
	s_delay_alu instid0(VALU_DEP_2) | instskip(NEXT) | instid1(VALU_DEP_1)
	v_cvt_u32_f32_e32 v3, v3
	v_cndmask_b32_e32 v2, 0, v3, vcc_lo
	s_branch .LBB355_531
.LBB355_530:
	s_mov_b32 s22, -1
                                        ; implicit-def: $vgpr2
.LBB355_531:
	s_mov_b32 s24, 0
.LBB355_532:
	s_delay_alu instid0(SALU_CYCLE_1)
	s_and_b32 vcc_lo, exec_lo, s24
	s_cbranch_vccz .LBB355_536
; %bb.533:
	s_cmp_eq_u32 s0, 29
	s_cbranch_scc0 .LBB355_535
; %bb.534:
	s_wait_loadcnt 0x0
	global_load_b32 v2, v[0:1], off
	s_mov_b32 s23, -1
	s_mov_b32 s22, 0
	s_branch .LBB355_536
.LBB355_535:
	s_mov_b32 s22, -1
                                        ; implicit-def: $vgpr2
.LBB355_536:
	s_mov_b32 s24, 0
.LBB355_537:
	s_delay_alu instid0(SALU_CYCLE_1)
	s_and_b32 vcc_lo, exec_lo, s24
	s_cbranch_vccz .LBB355_553
; %bb.538:
	s_cmp_lt_i32 s0, 27
	s_cbranch_scc1 .LBB355_541
; %bb.539:
	s_cmp_gt_i32 s0, 27
	s_cbranch_scc0 .LBB355_542
; %bb.540:
	s_wait_loadcnt 0x0
	global_load_b32 v2, v[0:1], off
	s_mov_b32 s23, 0
	s_branch .LBB355_543
.LBB355_541:
	s_mov_b32 s23, -1
                                        ; implicit-def: $vgpr2
	s_branch .LBB355_546
.LBB355_542:
	s_mov_b32 s23, -1
                                        ; implicit-def: $vgpr2
.LBB355_543:
	s_delay_alu instid0(SALU_CYCLE_1)
	s_and_not1_b32 vcc_lo, exec_lo, s23
	s_cbranch_vccnz .LBB355_545
; %bb.544:
	s_wait_loadcnt 0x0
	global_load_u16 v2, v[0:1], off
.LBB355_545:
	s_mov_b32 s23, 0
.LBB355_546:
	s_delay_alu instid0(SALU_CYCLE_1)
	s_and_not1_b32 vcc_lo, exec_lo, s23
	s_cbranch_vccnz .LBB355_552
; %bb.547:
	global_load_u8 v3, v[0:1], off
	s_mov_b32 s24, 0
	s_mov_b32 s23, exec_lo
	s_wait_loadcnt 0x0
	v_cmpx_lt_i16_e32 0x7f, v3
	s_xor_b32 s23, exec_lo, s23
	s_cbranch_execz .LBB355_564
; %bb.548:
	v_cmp_ne_u16_e32 vcc_lo, 0x80, v3
	s_and_b32 s24, vcc_lo, exec_lo
	s_and_not1_saveexec_b32 s23, s23
	s_cbranch_execnz .LBB355_565
.LBB355_549:
	s_or_b32 exec_lo, exec_lo, s23
	v_mov_b32_e32 v2, 0
	s_and_saveexec_b32 s23, s24
	s_cbranch_execz .LBB355_551
.LBB355_550:
	v_and_b32_e32 v2, 0xffff, v3
	s_delay_alu instid0(VALU_DEP_1) | instskip(SKIP_1) | instid1(VALU_DEP_2)
	v_dual_lshlrev_b32 v3, 24, v3 :: v_dual_bitop2_b32 v5, 7, v2 bitop3:0x40
	v_bfe_u32 v8, v2, 3, 4
	v_and_b32_e32 v3, 0x80000000, v3
	s_delay_alu instid0(VALU_DEP_3) | instskip(NEXT) | instid1(VALU_DEP_3)
	v_clz_i32_u32_e32 v6, v5
	v_cmp_eq_u32_e32 vcc_lo, 0, v8
	s_delay_alu instid0(VALU_DEP_2) | instskip(NEXT) | instid1(VALU_DEP_1)
	v_min_u32_e32 v6, 32, v6
	v_subrev_nc_u32_e32 v7, 28, v6
	v_sub_nc_u32_e32 v6, 29, v6
	s_delay_alu instid0(VALU_DEP_2) | instskip(NEXT) | instid1(VALU_DEP_2)
	v_lshlrev_b32_e32 v2, v7, v2
	v_cndmask_b32_e32 v6, v8, v6, vcc_lo
	s_delay_alu instid0(VALU_DEP_2) | instskip(NEXT) | instid1(VALU_DEP_1)
	v_and_b32_e32 v2, 7, v2
	v_cndmask_b32_e32 v2, v5, v2, vcc_lo
	s_delay_alu instid0(VALU_DEP_3) | instskip(NEXT) | instid1(VALU_DEP_2)
	v_lshl_add_u32 v5, v6, 23, 0x3b800000
	v_lshlrev_b32_e32 v2, 20, v2
	s_delay_alu instid0(VALU_DEP_1) | instskip(NEXT) | instid1(VALU_DEP_1)
	v_or3_b32 v2, v3, v5, v2
	v_cvt_u32_f32_e32 v2, v2
.LBB355_551:
	s_or_b32 exec_lo, exec_lo, s23
.LBB355_552:
	s_mov_b32 s23, -1
.LBB355_553:
	s_mov_b32 s24, 0
.LBB355_554:
	s_delay_alu instid0(SALU_CYCLE_1)
	s_and_b32 vcc_lo, exec_lo, s24
	s_cbranch_vccz .LBB355_587
; %bb.555:
	s_cmp_gt_i32 s0, 22
	s_cbranch_scc0 .LBB355_563
; %bb.556:
	s_cmp_lt_i32 s0, 24
	s_cbranch_scc1 .LBB355_566
; %bb.557:
	s_cmp_gt_i32 s0, 24
	s_cbranch_scc0 .LBB355_567
; %bb.558:
	global_load_u8 v3, v[0:1], off
	s_mov_b32 s24, 0
	s_mov_b32 s23, exec_lo
	s_wait_loadcnt 0x0
	v_cmpx_lt_i16_e32 0x7f, v3
	s_xor_b32 s23, exec_lo, s23
	s_cbranch_execz .LBB355_579
; %bb.559:
	v_cmp_ne_u16_e32 vcc_lo, 0x80, v3
	s_and_b32 s24, vcc_lo, exec_lo
	s_and_not1_saveexec_b32 s23, s23
	s_cbranch_execnz .LBB355_580
.LBB355_560:
	s_or_b32 exec_lo, exec_lo, s23
	v_mov_b32_e32 v2, 0
	s_and_saveexec_b32 s23, s24
	s_cbranch_execz .LBB355_562
.LBB355_561:
	v_and_b32_e32 v2, 0xffff, v3
	s_delay_alu instid0(VALU_DEP_1) | instskip(SKIP_1) | instid1(VALU_DEP_2)
	v_dual_lshlrev_b32 v3, 24, v3 :: v_dual_bitop2_b32 v5, 3, v2 bitop3:0x40
	v_bfe_u32 v8, v2, 2, 5
	v_and_b32_e32 v3, 0x80000000, v3
	s_delay_alu instid0(VALU_DEP_3) | instskip(NEXT) | instid1(VALU_DEP_3)
	v_clz_i32_u32_e32 v6, v5
	v_cmp_eq_u32_e32 vcc_lo, 0, v8
	s_delay_alu instid0(VALU_DEP_2) | instskip(NEXT) | instid1(VALU_DEP_1)
	v_min_u32_e32 v6, 32, v6
	v_subrev_nc_u32_e32 v7, 29, v6
	v_sub_nc_u32_e32 v6, 30, v6
	s_delay_alu instid0(VALU_DEP_2) | instskip(NEXT) | instid1(VALU_DEP_2)
	v_lshlrev_b32_e32 v2, v7, v2
	v_cndmask_b32_e32 v6, v8, v6, vcc_lo
	s_delay_alu instid0(VALU_DEP_2) | instskip(NEXT) | instid1(VALU_DEP_1)
	v_and_b32_e32 v2, 3, v2
	v_cndmask_b32_e32 v2, v5, v2, vcc_lo
	s_delay_alu instid0(VALU_DEP_3) | instskip(NEXT) | instid1(VALU_DEP_2)
	v_lshl_add_u32 v5, v6, 23, 0x37800000
	v_lshlrev_b32_e32 v2, 21, v2
	s_delay_alu instid0(VALU_DEP_1) | instskip(NEXT) | instid1(VALU_DEP_1)
	v_or3_b32 v2, v3, v5, v2
	v_cvt_u32_f32_e32 v2, v2
.LBB355_562:
	s_or_b32 exec_lo, exec_lo, s23
	s_mov_b32 s23, 0
	s_branch .LBB355_568
.LBB355_563:
	s_mov_b32 s24, -1
                                        ; implicit-def: $vgpr2
	s_branch .LBB355_574
.LBB355_564:
	s_and_not1_saveexec_b32 s23, s23
	s_cbranch_execz .LBB355_549
.LBB355_565:
	v_cmp_ne_u16_e32 vcc_lo, 0, v3
	s_and_not1_b32 s24, s24, exec_lo
	s_and_b32 s25, vcc_lo, exec_lo
	s_delay_alu instid0(SALU_CYCLE_1)
	s_or_b32 s24, s24, s25
	s_or_b32 exec_lo, exec_lo, s23
	v_mov_b32_e32 v2, 0
	s_and_saveexec_b32 s23, s24
	s_cbranch_execnz .LBB355_550
	s_branch .LBB355_551
.LBB355_566:
	s_mov_b32 s23, -1
                                        ; implicit-def: $vgpr2
	s_branch .LBB355_571
.LBB355_567:
	s_mov_b32 s23, -1
                                        ; implicit-def: $vgpr2
.LBB355_568:
	s_delay_alu instid0(SALU_CYCLE_1)
	s_and_b32 vcc_lo, exec_lo, s23
	s_cbranch_vccz .LBB355_570
; %bb.569:
	s_wait_loadcnt 0x0
	global_load_u8 v2, v[0:1], off
	s_wait_loadcnt 0x0
	v_lshlrev_b32_e32 v2, 24, v2
	s_delay_alu instid0(VALU_DEP_1) | instskip(NEXT) | instid1(VALU_DEP_1)
	v_and_b32_e32 v3, 0x7f000000, v2
	v_clz_i32_u32_e32 v5, v3
	v_add_nc_u32_e32 v7, 0x1000000, v3
	v_cmp_ne_u32_e32 vcc_lo, 0, v3
	s_delay_alu instid0(VALU_DEP_3) | instskip(NEXT) | instid1(VALU_DEP_1)
	v_min_u32_e32 v5, 32, v5
	v_sub_nc_u32_e64 v5, v5, 4 clamp
	s_delay_alu instid0(VALU_DEP_1) | instskip(NEXT) | instid1(VALU_DEP_1)
	v_dual_lshlrev_b32 v6, v5, v3 :: v_dual_lshlrev_b32 v5, 23, v5
	v_lshrrev_b32_e32 v6, 4, v6
	s_delay_alu instid0(VALU_DEP_1) | instskip(NEXT) | instid1(VALU_DEP_1)
	v_dual_sub_nc_u32 v5, v6, v5 :: v_dual_ashrrev_i32 v6, 8, v7
	v_add_nc_u32_e32 v5, 0x3c000000, v5
	s_delay_alu instid0(VALU_DEP_1) | instskip(NEXT) | instid1(VALU_DEP_1)
	v_and_or_b32 v5, 0x7f800000, v6, v5
	v_cndmask_b32_e32 v3, 0, v5, vcc_lo
	s_delay_alu instid0(VALU_DEP_1) | instskip(NEXT) | instid1(VALU_DEP_1)
	v_and_or_b32 v2, 0x80000000, v2, v3
	v_cvt_u32_f32_e32 v2, v2
.LBB355_570:
	s_mov_b32 s23, 0
.LBB355_571:
	s_delay_alu instid0(SALU_CYCLE_1)
	s_and_not1_b32 vcc_lo, exec_lo, s23
	s_cbranch_vccnz .LBB355_573
; %bb.572:
	s_wait_loadcnt 0x0
	global_load_u8 v2, v[0:1], off
	s_wait_loadcnt 0x0
	v_lshlrev_b32_e32 v3, 25, v2
	v_lshlrev_b16 v2, 8, v2
	s_delay_alu instid0(VALU_DEP_2) | instskip(NEXT) | instid1(VALU_DEP_2)
	v_cmp_gt_u32_e32 vcc_lo, 0x8000000, v3
	v_and_or_b32 v6, 0x7f00, v2, 0.5
	v_lshrrev_b32_e32 v5, 4, v3
	v_bfe_i32 v2, v2, 0, 16
	s_delay_alu instid0(VALU_DEP_3) | instskip(NEXT) | instid1(VALU_DEP_3)
	v_add_f32_e32 v6, -0.5, v6
	v_or_b32_e32 v5, 0x70000000, v5
	s_delay_alu instid0(VALU_DEP_1) | instskip(NEXT) | instid1(VALU_DEP_1)
	v_mul_f32_e32 v5, 0x7800000, v5
	v_cndmask_b32_e32 v3, v5, v6, vcc_lo
	s_delay_alu instid0(VALU_DEP_1) | instskip(NEXT) | instid1(VALU_DEP_1)
	v_and_or_b32 v2, 0x80000000, v2, v3
	v_cvt_u32_f32_e32 v2, v2
.LBB355_573:
	s_mov_b32 s24, 0
	s_mov_b32 s23, -1
.LBB355_574:
	s_and_not1_b32 vcc_lo, exec_lo, s24
	s_cbranch_vccnz .LBB355_587
; %bb.575:
	s_cmp_gt_i32 s0, 14
	s_cbranch_scc0 .LBB355_578
; %bb.576:
	s_cmp_eq_u32 s0, 15
	s_cbranch_scc0 .LBB355_581
; %bb.577:
	s_wait_loadcnt 0x0
	global_load_u16 v2, v[0:1], off
	s_mov_b32 s23, -1
	s_mov_b32 s22, 0
	s_wait_loadcnt 0x0
	v_lshlrev_b32_e32 v2, 16, v2
	s_delay_alu instid0(VALU_DEP_1)
	v_cvt_u32_f32_e32 v2, v2
	s_branch .LBB355_582
.LBB355_578:
	s_mov_b32 s24, -1
                                        ; implicit-def: $vgpr2
	s_branch .LBB355_583
.LBB355_579:
	s_and_not1_saveexec_b32 s23, s23
	s_cbranch_execz .LBB355_560
.LBB355_580:
	v_cmp_ne_u16_e32 vcc_lo, 0, v3
	s_and_not1_b32 s24, s24, exec_lo
	s_and_b32 s25, vcc_lo, exec_lo
	s_delay_alu instid0(SALU_CYCLE_1)
	s_or_b32 s24, s24, s25
	s_or_b32 exec_lo, exec_lo, s23
	v_mov_b32_e32 v2, 0
	s_and_saveexec_b32 s23, s24
	s_cbranch_execnz .LBB355_561
	s_branch .LBB355_562
.LBB355_581:
	s_mov_b32 s22, -1
                                        ; implicit-def: $vgpr2
.LBB355_582:
	s_mov_b32 s24, 0
.LBB355_583:
	s_delay_alu instid0(SALU_CYCLE_1)
	s_and_b32 vcc_lo, exec_lo, s24
	s_cbranch_vccz .LBB355_587
; %bb.584:
	s_cmp_eq_u32 s0, 11
	s_cbranch_scc0 .LBB355_586
; %bb.585:
	s_wait_loadcnt 0x0
	global_load_u8 v2, v[0:1], off
	s_mov_b32 s22, 0
	s_mov_b32 s23, -1
	s_wait_loadcnt 0x0
	v_cmp_ne_u16_e32 vcc_lo, 0, v2
	v_cndmask_b32_e64 v2, 0, 1, vcc_lo
	s_branch .LBB355_587
.LBB355_586:
	s_mov_b32 s22, -1
                                        ; implicit-def: $vgpr2
.LBB355_587:
	s_mov_b32 s24, 0
.LBB355_588:
	s_delay_alu instid0(SALU_CYCLE_1)
	s_and_b32 vcc_lo, exec_lo, s24
	s_cbranch_vccz .LBB355_637
; %bb.589:
	s_cmp_lt_i32 s0, 5
	s_cbranch_scc1 .LBB355_594
; %bb.590:
	s_cmp_lt_i32 s0, 8
	s_cbranch_scc1 .LBB355_595
	;; [unrolled: 3-line block ×3, first 2 shown]
; %bb.592:
	s_cmp_gt_i32 s0, 9
	s_cbranch_scc0 .LBB355_597
; %bb.593:
	s_wait_loadcnt 0x0
	global_load_b64 v[2:3], v[0:1], off
	s_mov_b32 s23, 0
	s_wait_loadcnt 0x0
	v_cvt_u32_f64_e32 v2, v[2:3]
	s_branch .LBB355_598
.LBB355_594:
	s_mov_b32 s23, -1
                                        ; implicit-def: $vgpr2
	s_branch .LBB355_616
.LBB355_595:
	s_mov_b32 s23, -1
                                        ; implicit-def: $vgpr2
	s_branch .LBB355_604
.LBB355_596:
	s_mov_b32 s23, -1
                                        ; implicit-def: $vgpr2
	s_branch .LBB355_601
.LBB355_597:
	s_mov_b32 s23, -1
                                        ; implicit-def: $vgpr2
.LBB355_598:
	s_delay_alu instid0(SALU_CYCLE_1)
	s_and_not1_b32 vcc_lo, exec_lo, s23
	s_cbranch_vccnz .LBB355_600
; %bb.599:
	s_wait_loadcnt 0x0
	global_load_b32 v2, v[0:1], off
	s_wait_loadcnt 0x0
	v_cvt_u32_f32_e32 v2, v2
.LBB355_600:
	s_mov_b32 s23, 0
.LBB355_601:
	s_delay_alu instid0(SALU_CYCLE_1)
	s_and_not1_b32 vcc_lo, exec_lo, s23
	s_cbranch_vccnz .LBB355_603
; %bb.602:
	s_wait_loadcnt 0x0
	global_load_b32 v2, v[0:1], off
	s_wait_loadcnt 0x0
	v_cvt_f32_f16_e32 v2, v2
	s_delay_alu instid0(VALU_DEP_1)
	v_cvt_u32_f32_e32 v2, v2
.LBB355_603:
	s_mov_b32 s23, 0
.LBB355_604:
	s_delay_alu instid0(SALU_CYCLE_1)
	s_and_not1_b32 vcc_lo, exec_lo, s23
	s_cbranch_vccnz .LBB355_615
; %bb.605:
	s_cmp_lt_i32 s0, 6
	s_cbranch_scc1 .LBB355_608
; %bb.606:
	s_cmp_gt_i32 s0, 6
	s_cbranch_scc0 .LBB355_609
; %bb.607:
	s_wait_loadcnt 0x0
	global_load_b64 v[2:3], v[0:1], off
	s_mov_b32 s23, 0
	s_wait_loadcnt 0x0
	v_cvt_u32_f64_e32 v2, v[2:3]
	s_branch .LBB355_610
.LBB355_608:
	s_mov_b32 s23, -1
                                        ; implicit-def: $vgpr2
	s_branch .LBB355_613
.LBB355_609:
	s_mov_b32 s23, -1
                                        ; implicit-def: $vgpr2
.LBB355_610:
	s_delay_alu instid0(SALU_CYCLE_1)
	s_and_not1_b32 vcc_lo, exec_lo, s23
	s_cbranch_vccnz .LBB355_612
; %bb.611:
	s_wait_loadcnt 0x0
	global_load_b32 v2, v[0:1], off
	s_wait_loadcnt 0x0
	v_cvt_u32_f32_e32 v2, v2
.LBB355_612:
	s_mov_b32 s23, 0
.LBB355_613:
	s_delay_alu instid0(SALU_CYCLE_1)
	s_and_not1_b32 vcc_lo, exec_lo, s23
	s_cbranch_vccnz .LBB355_615
; %bb.614:
	s_wait_loadcnt 0x0
	global_load_u16 v2, v[0:1], off
	s_wait_loadcnt 0x0
	v_cvt_f32_f16_e32 v2, v2
	s_delay_alu instid0(VALU_DEP_1)
	v_cvt_u32_f32_e32 v2, v2
.LBB355_615:
	s_mov_b32 s23, 0
.LBB355_616:
	s_delay_alu instid0(SALU_CYCLE_1)
	s_and_not1_b32 vcc_lo, exec_lo, s23
	s_cbranch_vccnz .LBB355_636
; %bb.617:
	s_cmp_lt_i32 s0, 2
	s_cbranch_scc1 .LBB355_621
; %bb.618:
	s_cmp_lt_i32 s0, 3
	s_cbranch_scc1 .LBB355_622
; %bb.619:
	s_cmp_gt_i32 s0, 3
	s_cbranch_scc0 .LBB355_623
; %bb.620:
	s_wait_loadcnt 0x0
	global_load_b32 v2, v[0:1], off
	s_mov_b32 s23, 0
	s_branch .LBB355_624
.LBB355_621:
	s_mov_b32 s23, -1
                                        ; implicit-def: $vgpr2
	s_branch .LBB355_630
.LBB355_622:
	s_mov_b32 s23, -1
                                        ; implicit-def: $vgpr2
	s_branch .LBB355_627
.LBB355_623:
	s_mov_b32 s23, -1
                                        ; implicit-def: $vgpr2
.LBB355_624:
	s_delay_alu instid0(SALU_CYCLE_1)
	s_and_not1_b32 vcc_lo, exec_lo, s23
	s_cbranch_vccnz .LBB355_626
; %bb.625:
	s_wait_loadcnt 0x0
	global_load_b32 v2, v[0:1], off
.LBB355_626:
	s_mov_b32 s23, 0
.LBB355_627:
	s_delay_alu instid0(SALU_CYCLE_1)
	s_and_not1_b32 vcc_lo, exec_lo, s23
	s_cbranch_vccnz .LBB355_629
; %bb.628:
	s_wait_loadcnt 0x0
	global_load_i16 v2, v[0:1], off
.LBB355_629:
	s_mov_b32 s23, 0
.LBB355_630:
	s_delay_alu instid0(SALU_CYCLE_1)
	s_and_not1_b32 vcc_lo, exec_lo, s23
	s_cbranch_vccnz .LBB355_636
; %bb.631:
	s_cmp_gt_i32 s0, 0
	s_mov_b32 s0, 0
	s_cbranch_scc0 .LBB355_633
; %bb.632:
	s_wait_loadcnt 0x0
	global_load_i8 v2, v[0:1], off
	s_branch .LBB355_634
.LBB355_633:
	s_mov_b32 s0, -1
                                        ; implicit-def: $vgpr2
.LBB355_634:
	s_delay_alu instid0(SALU_CYCLE_1)
	s_and_not1_b32 vcc_lo, exec_lo, s0
	s_cbranch_vccnz .LBB355_636
; %bb.635:
	s_wait_loadcnt 0x0
	global_load_u8 v2, v[0:1], off
.LBB355_636:
	s_mov_b32 s23, -1
.LBB355_637:
	s_delay_alu instid0(SALU_CYCLE_1)
	s_and_not1_b32 vcc_lo, exec_lo, s23
	s_cbranch_vccnz .LBB355_645
; %bb.638:
	s_wait_xcnt 0x0
	v_mul_lo_u32 v0, v4, s8
	s_wait_loadcnt 0x0
	s_delay_alu instid0(VALU_DEP_2) | instskip(SKIP_3) | instid1(VALU_DEP_2)
	v_cmp_ne_u32_e32 vcc_lo, s11, v2
	s_and_b32 s24, s2, 0xff
	s_xor_b32 s23, s13, vcc_lo
	s_cmp_lt_i32 s24, 11
	v_ashrrev_i32_e32 v1, 31, v0
	s_delay_alu instid0(VALU_DEP_1)
	v_add_nc_u64_e32 v[0:1], s[4:5], v[0:1]
	s_cbranch_scc1 .LBB355_646
; %bb.639:
	s_and_b32 s25, 0xffff, s24
	s_delay_alu instid0(SALU_CYCLE_1)
	s_cmp_gt_i32 s25, 25
	s_cbranch_scc0 .LBB355_647
; %bb.640:
	s_cmp_gt_i32 s25, 28
	s_cbranch_scc0 .LBB355_648
; %bb.641:
	;; [unrolled: 3-line block ×4, first 2 shown]
	s_mov_b32 s27, 0
	s_mov_b32 s0, -1
	s_cmp_eq_u32 s25, 46
	s_mov_b32 s26, 0
	s_cbranch_scc0 .LBB355_651
; %bb.644:
	v_cndmask_b32_e64 v2, 0, 1.0, s23
	s_mov_b32 s26, -1
	s_mov_b32 s0, 0
	s_delay_alu instid0(VALU_DEP_1) | instskip(NEXT) | instid1(VALU_DEP_1)
	v_bfe_u32 v3, v2, 16, 1
	v_add3_u32 v2, v2, v3, 0x7fff
	s_delay_alu instid0(VALU_DEP_1)
	v_lshrrev_b32_e32 v2, 16, v2
	global_store_b32 v[0:1], v2, off
	s_branch .LBB355_651
.LBB355_645:
	s_mov_b32 s23, 0
	s_mov_b32 s0, s19
	s_branch .LBB355_762
.LBB355_646:
	s_mov_b32 s25, -1
	s_mov_b32 s26, 0
	s_mov_b32 s0, s19
	s_branch .LBB355_720
.LBB355_647:
	s_mov_b32 s27, -1
	s_mov_b32 s26, 0
	s_mov_b32 s0, s19
	s_branch .LBB355_678
.LBB355_648:
	s_mov_b32 s27, -1
	s_mov_b32 s26, 0
	s_mov_b32 s0, s19
	s_branch .LBB355_661
.LBB355_649:
	s_mov_b32 s27, -1
	s_mov_b32 s26, 0
	s_mov_b32 s0, s19
	s_branch .LBB355_657
.LBB355_650:
	s_mov_b32 s27, -1
	s_mov_b32 s26, 0
	s_mov_b32 s0, s19
.LBB355_651:
	s_and_b32 vcc_lo, exec_lo, s27
	s_cbranch_vccz .LBB355_656
; %bb.652:
	s_cmp_eq_u32 s25, 44
	s_mov_b32 s0, -1
	s_cbranch_scc0 .LBB355_656
; %bb.653:
	v_cndmask_b32_e64 v5, 0, 1.0, s23
	s_mov_b32 s26, exec_lo
	s_wait_xcnt 0x0
	s_delay_alu instid0(VALU_DEP_1) | instskip(NEXT) | instid1(VALU_DEP_1)
	v_dual_mov_b32 v3, 0xff :: v_dual_lshrrev_b32 v2, 23, v5
	v_cmpx_ne_u32_e32 0xff, v2
; %bb.654:
	v_and_b32_e32 v3, 0x400000, v5
	v_and_or_b32 v5, 0x3fffff, v5, v2
	s_delay_alu instid0(VALU_DEP_2) | instskip(NEXT) | instid1(VALU_DEP_2)
	v_cmp_ne_u32_e32 vcc_lo, 0, v3
	v_cmp_ne_u32_e64 s0, 0, v5
	s_and_b32 s0, vcc_lo, s0
	s_delay_alu instid0(SALU_CYCLE_1) | instskip(NEXT) | instid1(VALU_DEP_1)
	v_cndmask_b32_e64 v3, 0, 1, s0
	v_add_nc_u32_e32 v3, v2, v3
; %bb.655:
	s_or_b32 exec_lo, exec_lo, s26
	s_mov_b32 s26, -1
	s_mov_b32 s0, 0
	global_store_b8 v[0:1], v3, off
.LBB355_656:
	s_mov_b32 s27, 0
.LBB355_657:
	s_delay_alu instid0(SALU_CYCLE_1)
	s_and_b32 vcc_lo, exec_lo, s27
	s_cbranch_vccz .LBB355_660
; %bb.658:
	s_cmp_eq_u32 s25, 29
	s_mov_b32 s0, -1
	s_cbranch_scc0 .LBB355_660
; %bb.659:
	s_mov_b32 s0, 0
	s_wait_xcnt 0x0
	v_cndmask_b32_e64 v2, 0, 1, s23
	v_mov_b32_e32 v3, s0
	s_mov_b32 s26, -1
	s_mov_b32 s27, 0
	global_store_b64 v[0:1], v[2:3], off
	s_branch .LBB355_661
.LBB355_660:
	s_mov_b32 s27, 0
.LBB355_661:
	s_delay_alu instid0(SALU_CYCLE_1)
	s_and_b32 vcc_lo, exec_lo, s27
	s_cbranch_vccz .LBB355_677
; %bb.662:
	s_cmp_lt_i32 s25, 27
	s_mov_b32 s26, -1
	s_cbranch_scc1 .LBB355_668
; %bb.663:
	s_cmp_gt_i32 s25, 27
	s_cbranch_scc0 .LBB355_665
; %bb.664:
	s_wait_xcnt 0x0
	v_cndmask_b32_e64 v2, 0, 1, s23
	s_mov_b32 s26, 0
	global_store_b32 v[0:1], v2, off
.LBB355_665:
	s_and_not1_b32 vcc_lo, exec_lo, s26
	s_cbranch_vccnz .LBB355_667
; %bb.666:
	s_wait_xcnt 0x0
	v_cndmask_b32_e64 v2, 0, 1, s23
	global_store_b16 v[0:1], v2, off
.LBB355_667:
	s_mov_b32 s26, 0
.LBB355_668:
	s_delay_alu instid0(SALU_CYCLE_1)
	s_and_not1_b32 vcc_lo, exec_lo, s26
	s_cbranch_vccnz .LBB355_676
; %bb.669:
	s_wait_xcnt 0x0
	v_cndmask_b32_e64 v3, 0, 1.0, s23
	v_mov_b32_e32 v5, 0x80
	s_mov_b32 s26, exec_lo
	s_delay_alu instid0(VALU_DEP_2)
	v_cmpx_gt_u32_e32 0x43800000, v3
	s_cbranch_execz .LBB355_675
; %bb.670:
	s_mov_b32 s27, 0
	s_mov_b32 s28, exec_lo
                                        ; implicit-def: $vgpr2
	v_cmpx_lt_u32_e32 0x3bffffff, v3
	s_xor_b32 s28, exec_lo, s28
	s_cbranch_execz .LBB355_777
; %bb.671:
	v_bfe_u32 v2, v3, 20, 1
	s_mov_b32 s27, exec_lo
	s_delay_alu instid0(VALU_DEP_1) | instskip(NEXT) | instid1(VALU_DEP_1)
	v_add3_u32 v2, v3, v2, 0x487ffff
                                        ; implicit-def: $vgpr3
	v_lshrrev_b32_e32 v2, 20, v2
	s_and_not1_saveexec_b32 s28, s28
	s_cbranch_execnz .LBB355_778
.LBB355_672:
	s_or_b32 exec_lo, exec_lo, s28
	v_mov_b32_e32 v5, 0
	s_and_saveexec_b32 s28, s27
.LBB355_673:
	v_mov_b32_e32 v5, v2
.LBB355_674:
	s_or_b32 exec_lo, exec_lo, s28
.LBB355_675:
	s_delay_alu instid0(SALU_CYCLE_1)
	s_or_b32 exec_lo, exec_lo, s26
	global_store_b8 v[0:1], v5, off
.LBB355_676:
	s_mov_b32 s26, -1
.LBB355_677:
	s_mov_b32 s27, 0
.LBB355_678:
	s_delay_alu instid0(SALU_CYCLE_1)
	s_and_b32 vcc_lo, exec_lo, s27
	s_cbranch_vccz .LBB355_719
; %bb.679:
	s_cmp_gt_i32 s25, 22
	s_mov_b32 s27, -1
	s_cbranch_scc0 .LBB355_711
; %bb.680:
	s_cmp_lt_i32 s25, 24
	s_mov_b32 s26, -1
	s_cbranch_scc1 .LBB355_700
; %bb.681:
	s_cmp_gt_i32 s25, 24
	s_cbranch_scc0 .LBB355_689
; %bb.682:
	s_wait_xcnt 0x0
	v_cndmask_b32_e64 v3, 0, 1.0, s23
	v_mov_b32_e32 v5, 0x80
	s_mov_b32 s26, exec_lo
	s_delay_alu instid0(VALU_DEP_2)
	v_cmpx_gt_u32_e32 0x47800000, v3
	s_cbranch_execz .LBB355_688
; %bb.683:
	s_mov_b32 s27, 0
	s_mov_b32 s28, exec_lo
                                        ; implicit-def: $vgpr2
	v_cmpx_lt_u32_e32 0x37ffffff, v3
	s_xor_b32 s28, exec_lo, s28
	s_cbranch_execz .LBB355_780
; %bb.684:
	v_bfe_u32 v2, v3, 21, 1
	s_mov_b32 s27, exec_lo
	s_delay_alu instid0(VALU_DEP_1) | instskip(NEXT) | instid1(VALU_DEP_1)
	v_add3_u32 v2, v3, v2, 0x88fffff
                                        ; implicit-def: $vgpr3
	v_lshrrev_b32_e32 v2, 21, v2
	s_and_not1_saveexec_b32 s28, s28
	s_cbranch_execnz .LBB355_781
.LBB355_685:
	s_or_b32 exec_lo, exec_lo, s28
	v_mov_b32_e32 v5, 0
	s_and_saveexec_b32 s28, s27
.LBB355_686:
	v_mov_b32_e32 v5, v2
.LBB355_687:
	s_or_b32 exec_lo, exec_lo, s28
.LBB355_688:
	s_delay_alu instid0(SALU_CYCLE_1)
	s_or_b32 exec_lo, exec_lo, s26
	s_mov_b32 s26, 0
	global_store_b8 v[0:1], v5, off
.LBB355_689:
	s_and_b32 vcc_lo, exec_lo, s26
	s_cbranch_vccz .LBB355_699
; %bb.690:
	s_wait_xcnt 0x0
	v_cndmask_b32_e64 v3, 0, 1.0, s23
	s_mov_b32 s26, exec_lo
                                        ; implicit-def: $vgpr2
	s_delay_alu instid0(VALU_DEP_1)
	v_cmpx_gt_u32_e32 0x43f00000, v3
	s_xor_b32 s26, exec_lo, s26
	s_cbranch_execz .LBB355_696
; %bb.691:
	s_mov_b32 s27, exec_lo
                                        ; implicit-def: $vgpr2
	v_cmpx_lt_u32_e32 0x3c7fffff, v3
	s_xor_b32 s27, exec_lo, s27
; %bb.692:
	v_bfe_u32 v2, v3, 20, 1
	s_delay_alu instid0(VALU_DEP_1) | instskip(NEXT) | instid1(VALU_DEP_1)
	v_add3_u32 v2, v3, v2, 0x407ffff
	v_and_b32_e32 v3, 0xff00000, v2
	v_lshrrev_b32_e32 v2, 20, v2
	s_delay_alu instid0(VALU_DEP_2) | instskip(NEXT) | instid1(VALU_DEP_2)
	v_cmp_ne_u32_e32 vcc_lo, 0x7f00000, v3
                                        ; implicit-def: $vgpr3
	v_cndmask_b32_e32 v2, 0x7e, v2, vcc_lo
; %bb.693:
	s_and_not1_saveexec_b32 s27, s27
; %bb.694:
	v_add_f32_e32 v2, 0x46800000, v3
; %bb.695:
	s_or_b32 exec_lo, exec_lo, s27
                                        ; implicit-def: $vgpr3
.LBB355_696:
	s_and_not1_saveexec_b32 s26, s26
; %bb.697:
	v_mov_b32_e32 v2, 0x7f
	v_cmp_lt_u32_e32 vcc_lo, 0x7f800000, v3
	s_delay_alu instid0(VALU_DEP_2)
	v_cndmask_b32_e32 v2, 0x7e, v2, vcc_lo
; %bb.698:
	s_or_b32 exec_lo, exec_lo, s26
	global_store_b8 v[0:1], v2, off
.LBB355_699:
	s_mov_b32 s26, 0
.LBB355_700:
	s_delay_alu instid0(SALU_CYCLE_1)
	s_and_not1_b32 vcc_lo, exec_lo, s26
	s_cbranch_vccnz .LBB355_710
; %bb.701:
	s_wait_xcnt 0x0
	v_cndmask_b32_e64 v3, 0, 1.0, s23
	s_mov_b32 s26, exec_lo
                                        ; implicit-def: $vgpr2
	s_delay_alu instid0(VALU_DEP_1)
	v_cmpx_gt_u32_e32 0x47800000, v3
	s_xor_b32 s26, exec_lo, s26
	s_cbranch_execz .LBB355_707
; %bb.702:
	s_mov_b32 s27, exec_lo
                                        ; implicit-def: $vgpr2
	v_cmpx_lt_u32_e32 0x387fffff, v3
	s_xor_b32 s27, exec_lo, s27
; %bb.703:
	v_bfe_u32 v2, v3, 21, 1
	s_delay_alu instid0(VALU_DEP_1) | instskip(NEXT) | instid1(VALU_DEP_1)
	v_add3_u32 v2, v3, v2, 0x80fffff
                                        ; implicit-def: $vgpr3
	v_lshrrev_b32_e32 v2, 21, v2
; %bb.704:
	s_and_not1_saveexec_b32 s27, s27
; %bb.705:
	v_add_f32_e32 v2, 0x43000000, v3
; %bb.706:
	s_or_b32 exec_lo, exec_lo, s27
                                        ; implicit-def: $vgpr3
.LBB355_707:
	s_and_not1_saveexec_b32 s26, s26
; %bb.708:
	v_mov_b32_e32 v2, 0x7f
	v_cmp_lt_u32_e32 vcc_lo, 0x7f800000, v3
	s_delay_alu instid0(VALU_DEP_2)
	v_cndmask_b32_e32 v2, 0x7c, v2, vcc_lo
; %bb.709:
	s_or_b32 exec_lo, exec_lo, s26
	global_store_b8 v[0:1], v2, off
.LBB355_710:
	s_mov_b32 s27, 0
	s_mov_b32 s26, -1
.LBB355_711:
	s_and_not1_b32 vcc_lo, exec_lo, s27
	s_cbranch_vccnz .LBB355_719
; %bb.712:
	s_cmp_gt_i32 s25, 14
	s_mov_b32 s27, -1
	s_cbranch_scc0 .LBB355_716
; %bb.713:
	s_cmp_eq_u32 s25, 15
	s_mov_b32 s0, -1
	s_cbranch_scc0 .LBB355_715
; %bb.714:
	s_wait_xcnt 0x0
	v_cndmask_b32_e64 v2, 0, 1.0, s23
	s_mov_b32 s26, -1
	s_mov_b32 s0, 0
	s_delay_alu instid0(VALU_DEP_1) | instskip(NEXT) | instid1(VALU_DEP_1)
	v_bfe_u32 v3, v2, 16, 1
	v_add3_u32 v2, v2, v3, 0x7fff
	global_store_d16_hi_b16 v[0:1], v2, off
.LBB355_715:
	s_mov_b32 s27, 0
.LBB355_716:
	s_delay_alu instid0(SALU_CYCLE_1)
	s_and_b32 vcc_lo, exec_lo, s27
	s_cbranch_vccz .LBB355_719
; %bb.717:
	s_cmp_eq_u32 s25, 11
	s_mov_b32 s0, -1
	s_cbranch_scc0 .LBB355_719
; %bb.718:
	s_wait_xcnt 0x0
	v_cndmask_b32_e64 v2, 0, 1, s23
	s_mov_b32 s26, -1
	s_mov_b32 s0, 0
	global_store_b8 v[0:1], v2, off
.LBB355_719:
	s_mov_b32 s25, 0
.LBB355_720:
	s_delay_alu instid0(SALU_CYCLE_1)
	s_and_b32 vcc_lo, exec_lo, s25
	s_cbranch_vccz .LBB355_759
; %bb.721:
	s_and_b32 s24, 0xffff, s24
	s_mov_b32 s25, -1
	s_cmp_lt_i32 s24, 5
	s_cbranch_scc1 .LBB355_742
; %bb.722:
	s_cmp_lt_i32 s24, 8
	s_cbranch_scc1 .LBB355_732
; %bb.723:
	;; [unrolled: 3-line block ×3, first 2 shown]
	s_cmp_gt_i32 s24, 9
	s_cbranch_scc0 .LBB355_726
; %bb.725:
	s_wait_xcnt 0x0
	v_cndmask_b32_e64 v2, 0, 1, s23
	v_mov_b32_e32 v8, 0
	s_mov_b32 s25, 0
	s_delay_alu instid0(VALU_DEP_2) | instskip(NEXT) | instid1(VALU_DEP_2)
	v_cvt_f64_u32_e32 v[6:7], v2
	v_mov_b32_e32 v9, v8
	global_store_b128 v[0:1], v[6:9], off
.LBB355_726:
	s_and_not1_b32 vcc_lo, exec_lo, s25
	s_cbranch_vccnz .LBB355_728
; %bb.727:
	s_wait_xcnt 0x0
	v_cndmask_b32_e64 v2, 0, 1.0, s23
	v_mov_b32_e32 v3, 0
	global_store_b64 v[0:1], v[2:3], off
.LBB355_728:
	s_mov_b32 s25, 0
.LBB355_729:
	s_delay_alu instid0(SALU_CYCLE_1)
	s_and_not1_b32 vcc_lo, exec_lo, s25
	s_cbranch_vccnz .LBB355_731
; %bb.730:
	s_wait_xcnt 0x0
	v_cndmask_b32_e64 v2, 0, 1.0, s23
	s_delay_alu instid0(VALU_DEP_1) | instskip(NEXT) | instid1(VALU_DEP_1)
	v_cvt_f16_f32_e32 v2, v2
	v_and_b32_e32 v2, 0xffff, v2
	global_store_b32 v[0:1], v2, off
.LBB355_731:
	s_mov_b32 s25, 0
.LBB355_732:
	s_delay_alu instid0(SALU_CYCLE_1)
	s_and_not1_b32 vcc_lo, exec_lo, s25
	s_cbranch_vccnz .LBB355_741
; %bb.733:
	s_cmp_lt_i32 s24, 6
	s_mov_b32 s25, -1
	s_cbranch_scc1 .LBB355_739
; %bb.734:
	s_cmp_gt_i32 s24, 6
	s_cbranch_scc0 .LBB355_736
; %bb.735:
	s_wait_xcnt 0x0
	v_cndmask_b32_e64 v2, 0, 1, s23
	s_mov_b32 s25, 0
	s_delay_alu instid0(VALU_DEP_1)
	v_cvt_f64_u32_e32 v[2:3], v2
	global_store_b64 v[0:1], v[2:3], off
.LBB355_736:
	s_and_not1_b32 vcc_lo, exec_lo, s25
	s_cbranch_vccnz .LBB355_738
; %bb.737:
	s_wait_xcnt 0x0
	v_cndmask_b32_e64 v2, 0, 1.0, s23
	global_store_b32 v[0:1], v2, off
.LBB355_738:
	s_mov_b32 s25, 0
.LBB355_739:
	s_delay_alu instid0(SALU_CYCLE_1)
	s_and_not1_b32 vcc_lo, exec_lo, s25
	s_cbranch_vccnz .LBB355_741
; %bb.740:
	s_wait_xcnt 0x0
	v_cndmask_b32_e64 v2, 0, 1.0, s23
	s_delay_alu instid0(VALU_DEP_1)
	v_cvt_f16_f32_e32 v2, v2
	global_store_b16 v[0:1], v2, off
.LBB355_741:
	s_mov_b32 s25, 0
.LBB355_742:
	s_delay_alu instid0(SALU_CYCLE_1)
	s_and_not1_b32 vcc_lo, exec_lo, s25
	s_cbranch_vccnz .LBB355_758
; %bb.743:
	s_cmp_lt_i32 s24, 2
	s_mov_b32 s25, -1
	s_cbranch_scc1 .LBB355_753
; %bb.744:
	s_cmp_lt_i32 s24, 3
	s_cbranch_scc1 .LBB355_750
; %bb.745:
	s_cmp_gt_i32 s24, 3
	s_cbranch_scc0 .LBB355_747
; %bb.746:
	s_mov_b32 s25, 0
	s_wait_xcnt 0x0
	v_cndmask_b32_e64 v2, 0, 1, s23
	v_mov_b32_e32 v3, s25
	global_store_b64 v[0:1], v[2:3], off
.LBB355_747:
	s_and_not1_b32 vcc_lo, exec_lo, s25
	s_cbranch_vccnz .LBB355_749
; %bb.748:
	s_wait_xcnt 0x0
	v_cndmask_b32_e64 v2, 0, 1, s23
	global_store_b32 v[0:1], v2, off
.LBB355_749:
	s_mov_b32 s25, 0
.LBB355_750:
	s_delay_alu instid0(SALU_CYCLE_1)
	s_and_not1_b32 vcc_lo, exec_lo, s25
	s_cbranch_vccnz .LBB355_752
; %bb.751:
	s_wait_xcnt 0x0
	v_cndmask_b32_e64 v2, 0, 1, s23
	global_store_b16 v[0:1], v2, off
.LBB355_752:
	s_mov_b32 s25, 0
.LBB355_753:
	s_delay_alu instid0(SALU_CYCLE_1)
	s_and_not1_b32 vcc_lo, exec_lo, s25
	s_cbranch_vccnz .LBB355_758
; %bb.754:
	s_wait_xcnt 0x0
	v_cndmask_b32_e64 v2, 0, 1, s23
	s_cmp_gt_i32 s24, 0
	s_mov_b32 s23, -1
	s_cbranch_scc0 .LBB355_756
; %bb.755:
	s_mov_b32 s23, 0
	global_store_b8 v[0:1], v2, off
.LBB355_756:
	s_and_not1_b32 vcc_lo, exec_lo, s23
	s_cbranch_vccnz .LBB355_758
; %bb.757:
	global_store_b8 v[0:1], v2, off
.LBB355_758:
	s_mov_b32 s26, -1
.LBB355_759:
	s_delay_alu instid0(SALU_CYCLE_1)
	s_and_not1_b32 vcc_lo, exec_lo, s26
	s_cbranch_vccnz .LBB355_761
; %bb.760:
	v_add_nc_u32_e32 v4, 0x80, v4
	s_mov_b32 s23, -1
	s_branch .LBB355_763
.LBB355_761:
	s_mov_b32 s23, 0
.LBB355_762:
                                        ; implicit-def: $vgpr4
.LBB355_763:
	s_and_not1_b32 s24, s19, exec_lo
	s_and_b32 s0, s0, exec_lo
	s_and_not1_b32 s25, s18, exec_lo
	s_and_b32 s26, s22, exec_lo
	s_or_b32 s22, s24, s0
	s_or_b32 s0, s25, s26
	s_or_not1_b32 s23, s23, exec_lo
.LBB355_764:
	s_wait_xcnt 0x0
	s_or_b32 exec_lo, exec_lo, s21
	s_mov_b32 s24, 0
	s_mov_b32 s25, 0
	;; [unrolled: 1-line block ×3, first 2 shown]
                                        ; implicit-def: $vgpr0_vgpr1
                                        ; implicit-def: $vgpr2
	s_and_saveexec_b32 s21, s23
	s_cbranch_execz .LBB355_845
; %bb.765:
	v_cmp_gt_i32_e32 vcc_lo, s14, v4
	s_mov_b32 s23, 0
	s_mov_b32 s24, s0
	;; [unrolled: 1-line block ×3, first 2 shown]
                                        ; implicit-def: $vgpr0_vgpr1
                                        ; implicit-def: $vgpr2
	s_and_saveexec_b32 s14, vcc_lo
	s_cbranch_execz .LBB355_844
; %bb.766:
	v_mul_lo_u32 v0, v4, s9
	s_and_b32 s23, 0xffff, s3
	s_delay_alu instid0(SALU_CYCLE_1) | instskip(NEXT) | instid1(VALU_DEP_1)
	s_cmp_lt_i32 s23, 11
	v_ashrrev_i32_e32 v1, 31, v0
	s_delay_alu instid0(VALU_DEP_1)
	v_add_nc_u64_e32 v[0:1], s[6:7], v[0:1]
	s_cbranch_scc1 .LBB355_773
; %bb.767:
	s_cmp_gt_i32 s23, 25
	s_cbranch_scc0 .LBB355_774
; %bb.768:
	s_cmp_gt_i32 s23, 28
	s_cbranch_scc0 .LBB355_775
	;; [unrolled: 3-line block ×4, first 2 shown]
; %bb.771:
	s_cmp_eq_u32 s23, 46
	s_cbranch_scc0 .LBB355_782
; %bb.772:
	s_wait_loadcnt 0x0
	global_load_b32 v2, v[0:1], off
	s_mov_b32 s24, 0
	s_mov_b32 s26, -1
	s_wait_loadcnt 0x0
	v_lshlrev_b32_e32 v2, 16, v2
	s_delay_alu instid0(VALU_DEP_1)
	v_cvt_u32_f32_e32 v2, v2
	s_branch .LBB355_784
.LBB355_773:
	s_mov_b32 s23, -1
	s_mov_b32 s24, s0
                                        ; implicit-def: $vgpr2
	s_branch .LBB355_843
.LBB355_774:
	s_mov_b32 s27, -1
	s_mov_b32 s24, s0
                                        ; implicit-def: $vgpr2
	s_branch .LBB355_811
.LBB355_775:
	s_mov_b32 s27, -1
	s_mov_b32 s24, s0
                                        ; implicit-def: $vgpr2
	s_branch .LBB355_794
.LBB355_776:
	s_mov_b32 s27, -1
	s_mov_b32 s24, s0
                                        ; implicit-def: $vgpr2
	s_branch .LBB355_789
.LBB355_777:
	s_and_not1_saveexec_b32 s28, s28
	s_cbranch_execz .LBB355_672
.LBB355_778:
	v_add_f32_e32 v2, 0x46000000, v3
	s_and_not1_b32 s27, s27, exec_lo
	s_delay_alu instid0(VALU_DEP_1) | instskip(NEXT) | instid1(VALU_DEP_1)
	v_and_b32_e32 v2, 0xff, v2
	v_cmp_ne_u32_e32 vcc_lo, 0, v2
	s_and_b32 s29, vcc_lo, exec_lo
	s_delay_alu instid0(SALU_CYCLE_1)
	s_or_b32 s27, s27, s29
	s_or_b32 exec_lo, exec_lo, s28
	v_mov_b32_e32 v5, 0
	s_and_saveexec_b32 s28, s27
	s_cbranch_execnz .LBB355_673
	s_branch .LBB355_674
.LBB355_779:
	s_mov_b32 s27, -1
	s_mov_b32 s24, s0
	s_branch .LBB355_783
.LBB355_780:
	s_and_not1_saveexec_b32 s28, s28
	s_cbranch_execz .LBB355_685
.LBB355_781:
	v_add_f32_e32 v2, 0x42800000, v3
	s_and_not1_b32 s27, s27, exec_lo
	s_delay_alu instid0(VALU_DEP_1) | instskip(NEXT) | instid1(VALU_DEP_1)
	v_and_b32_e32 v2, 0xff, v2
	v_cmp_ne_u32_e32 vcc_lo, 0, v2
	s_and_b32 s29, vcc_lo, exec_lo
	s_delay_alu instid0(SALU_CYCLE_1)
	s_or_b32 s27, s27, s29
	s_or_b32 exec_lo, exec_lo, s28
	v_mov_b32_e32 v5, 0
	s_and_saveexec_b32 s28, s27
	s_cbranch_execnz .LBB355_686
	s_branch .LBB355_687
.LBB355_782:
	s_mov_b32 s24, -1
.LBB355_783:
                                        ; implicit-def: $vgpr2
.LBB355_784:
	s_and_b32 vcc_lo, exec_lo, s27
	s_cbranch_vccz .LBB355_788
; %bb.785:
	s_cmp_eq_u32 s23, 44
	s_cbranch_scc0 .LBB355_787
; %bb.786:
	s_wait_loadcnt 0x0
	global_load_u8 v2, v[0:1], off
	s_mov_b32 s24, 0
	s_mov_b32 s26, -1
	s_wait_loadcnt 0x0
	v_lshlrev_b32_e32 v3, 23, v2
	v_cmp_ne_u32_e32 vcc_lo, 0, v2
	s_delay_alu instid0(VALU_DEP_2) | instskip(NEXT) | instid1(VALU_DEP_1)
	v_cvt_u32_f32_e32 v3, v3
	v_cndmask_b32_e32 v2, 0, v3, vcc_lo
	s_branch .LBB355_788
.LBB355_787:
	s_mov_b32 s24, -1
                                        ; implicit-def: $vgpr2
.LBB355_788:
	s_mov_b32 s27, 0
.LBB355_789:
	s_delay_alu instid0(SALU_CYCLE_1)
	s_and_b32 vcc_lo, exec_lo, s27
	s_cbranch_vccz .LBB355_793
; %bb.790:
	s_cmp_eq_u32 s23, 29
	s_cbranch_scc0 .LBB355_792
; %bb.791:
	s_wait_loadcnt 0x0
	global_load_b32 v2, v[0:1], off
	s_mov_b32 s24, 0
	s_mov_b32 s26, -1
	s_branch .LBB355_793
.LBB355_792:
	s_mov_b32 s24, -1
                                        ; implicit-def: $vgpr2
.LBB355_793:
	s_mov_b32 s27, 0
.LBB355_794:
	s_delay_alu instid0(SALU_CYCLE_1)
	s_and_b32 vcc_lo, exec_lo, s27
	s_cbranch_vccz .LBB355_810
; %bb.795:
	s_cmp_lt_i32 s23, 27
	s_cbranch_scc1 .LBB355_798
; %bb.796:
	s_cmp_gt_i32 s23, 27
	s_cbranch_scc0 .LBB355_799
; %bb.797:
	s_wait_loadcnt 0x0
	global_load_b32 v2, v[0:1], off
	s_mov_b32 s26, 0
	s_branch .LBB355_800
.LBB355_798:
	s_mov_b32 s26, -1
                                        ; implicit-def: $vgpr2
	s_branch .LBB355_803
.LBB355_799:
	s_mov_b32 s26, -1
                                        ; implicit-def: $vgpr2
.LBB355_800:
	s_delay_alu instid0(SALU_CYCLE_1)
	s_and_not1_b32 vcc_lo, exec_lo, s26
	s_cbranch_vccnz .LBB355_802
; %bb.801:
	s_wait_loadcnt 0x0
	global_load_u16 v2, v[0:1], off
.LBB355_802:
	s_mov_b32 s26, 0
.LBB355_803:
	s_delay_alu instid0(SALU_CYCLE_1)
	s_and_not1_b32 vcc_lo, exec_lo, s26
	s_cbranch_vccnz .LBB355_809
; %bb.804:
	global_load_u8 v3, v[0:1], off
	s_mov_b32 s27, 0
	s_mov_b32 s26, exec_lo
	s_wait_loadcnt 0x0
	v_cmpx_lt_i16_e32 0x7f, v3
	s_xor_b32 s26, exec_lo, s26
	s_cbranch_execz .LBB355_821
; %bb.805:
	v_cmp_ne_u16_e32 vcc_lo, 0x80, v3
	s_and_b32 s27, vcc_lo, exec_lo
	s_and_not1_saveexec_b32 s26, s26
	s_cbranch_execnz .LBB355_822
.LBB355_806:
	s_or_b32 exec_lo, exec_lo, s26
	v_mov_b32_e32 v2, 0
	s_and_saveexec_b32 s26, s27
	s_cbranch_execz .LBB355_808
.LBB355_807:
	v_and_b32_e32 v2, 0xffff, v3
	s_delay_alu instid0(VALU_DEP_1) | instskip(SKIP_1) | instid1(VALU_DEP_2)
	v_dual_lshlrev_b32 v3, 24, v3 :: v_dual_bitop2_b32 v5, 7, v2 bitop3:0x40
	v_bfe_u32 v8, v2, 3, 4
	v_and_b32_e32 v3, 0x80000000, v3
	s_delay_alu instid0(VALU_DEP_3) | instskip(NEXT) | instid1(VALU_DEP_3)
	v_clz_i32_u32_e32 v6, v5
	v_cmp_eq_u32_e32 vcc_lo, 0, v8
	s_delay_alu instid0(VALU_DEP_2) | instskip(NEXT) | instid1(VALU_DEP_1)
	v_min_u32_e32 v6, 32, v6
	v_subrev_nc_u32_e32 v7, 28, v6
	v_sub_nc_u32_e32 v6, 29, v6
	s_delay_alu instid0(VALU_DEP_2) | instskip(NEXT) | instid1(VALU_DEP_2)
	v_lshlrev_b32_e32 v2, v7, v2
	v_cndmask_b32_e32 v6, v8, v6, vcc_lo
	s_delay_alu instid0(VALU_DEP_2) | instskip(NEXT) | instid1(VALU_DEP_1)
	v_and_b32_e32 v2, 7, v2
	v_cndmask_b32_e32 v2, v5, v2, vcc_lo
	s_delay_alu instid0(VALU_DEP_3) | instskip(NEXT) | instid1(VALU_DEP_2)
	v_lshl_add_u32 v5, v6, 23, 0x3b800000
	v_lshlrev_b32_e32 v2, 20, v2
	s_delay_alu instid0(VALU_DEP_1) | instskip(NEXT) | instid1(VALU_DEP_1)
	v_or3_b32 v2, v3, v5, v2
	v_cvt_u32_f32_e32 v2, v2
.LBB355_808:
	s_or_b32 exec_lo, exec_lo, s26
.LBB355_809:
	s_mov_b32 s26, -1
.LBB355_810:
	s_mov_b32 s27, 0
.LBB355_811:
	s_delay_alu instid0(SALU_CYCLE_1)
	s_and_b32 vcc_lo, exec_lo, s27
	s_cbranch_vccz .LBB355_842
; %bb.812:
	s_cmp_gt_i32 s23, 22
	s_cbranch_scc0 .LBB355_820
; %bb.813:
	s_cmp_lt_i32 s23, 24
	s_cbranch_scc1 .LBB355_823
; %bb.814:
	s_cmp_gt_i32 s23, 24
	s_cbranch_scc0 .LBB355_824
; %bb.815:
	global_load_u8 v3, v[0:1], off
	s_mov_b32 s26, 0
	s_mov_b32 s25, exec_lo
	s_wait_loadcnt 0x0
	v_cmpx_lt_i16_e32 0x7f, v3
	s_xor_b32 s25, exec_lo, s25
	s_cbranch_execz .LBB355_836
; %bb.816:
	v_cmp_ne_u16_e32 vcc_lo, 0x80, v3
	s_and_b32 s26, vcc_lo, exec_lo
	s_and_not1_saveexec_b32 s25, s25
	s_cbranch_execnz .LBB355_837
.LBB355_817:
	s_or_b32 exec_lo, exec_lo, s25
	v_mov_b32_e32 v2, 0
	s_and_saveexec_b32 s25, s26
	s_cbranch_execz .LBB355_819
.LBB355_818:
	v_and_b32_e32 v2, 0xffff, v3
	s_delay_alu instid0(VALU_DEP_1) | instskip(SKIP_1) | instid1(VALU_DEP_2)
	v_dual_lshlrev_b32 v3, 24, v3 :: v_dual_bitop2_b32 v5, 3, v2 bitop3:0x40
	v_bfe_u32 v8, v2, 2, 5
	v_and_b32_e32 v3, 0x80000000, v3
	s_delay_alu instid0(VALU_DEP_3) | instskip(NEXT) | instid1(VALU_DEP_3)
	v_clz_i32_u32_e32 v6, v5
	v_cmp_eq_u32_e32 vcc_lo, 0, v8
	s_delay_alu instid0(VALU_DEP_2) | instskip(NEXT) | instid1(VALU_DEP_1)
	v_min_u32_e32 v6, 32, v6
	v_subrev_nc_u32_e32 v7, 29, v6
	v_sub_nc_u32_e32 v6, 30, v6
	s_delay_alu instid0(VALU_DEP_2) | instskip(NEXT) | instid1(VALU_DEP_2)
	v_lshlrev_b32_e32 v2, v7, v2
	v_cndmask_b32_e32 v6, v8, v6, vcc_lo
	s_delay_alu instid0(VALU_DEP_2) | instskip(NEXT) | instid1(VALU_DEP_1)
	v_and_b32_e32 v2, 3, v2
	v_cndmask_b32_e32 v2, v5, v2, vcc_lo
	s_delay_alu instid0(VALU_DEP_3) | instskip(NEXT) | instid1(VALU_DEP_2)
	v_lshl_add_u32 v5, v6, 23, 0x37800000
	v_lshlrev_b32_e32 v2, 21, v2
	s_delay_alu instid0(VALU_DEP_1) | instskip(NEXT) | instid1(VALU_DEP_1)
	v_or3_b32 v2, v3, v5, v2
	v_cvt_u32_f32_e32 v2, v2
.LBB355_819:
	s_or_b32 exec_lo, exec_lo, s25
	s_mov_b32 s25, 0
	s_branch .LBB355_825
.LBB355_820:
	s_mov_b32 s25, -1
                                        ; implicit-def: $vgpr2
	s_branch .LBB355_831
.LBB355_821:
	s_and_not1_saveexec_b32 s26, s26
	s_cbranch_execz .LBB355_806
.LBB355_822:
	v_cmp_ne_u16_e32 vcc_lo, 0, v3
	s_and_not1_b32 s27, s27, exec_lo
	s_and_b32 s28, vcc_lo, exec_lo
	s_delay_alu instid0(SALU_CYCLE_1)
	s_or_b32 s27, s27, s28
	s_or_b32 exec_lo, exec_lo, s26
	v_mov_b32_e32 v2, 0
	s_and_saveexec_b32 s26, s27
	s_cbranch_execnz .LBB355_807
	s_branch .LBB355_808
.LBB355_823:
	s_mov_b32 s25, -1
                                        ; implicit-def: $vgpr2
	s_branch .LBB355_828
.LBB355_824:
	s_mov_b32 s25, -1
                                        ; implicit-def: $vgpr2
.LBB355_825:
	s_delay_alu instid0(SALU_CYCLE_1)
	s_and_b32 vcc_lo, exec_lo, s25
	s_cbranch_vccz .LBB355_827
; %bb.826:
	s_wait_loadcnt 0x0
	global_load_u8 v2, v[0:1], off
	s_wait_loadcnt 0x0
	v_lshlrev_b32_e32 v2, 24, v2
	s_delay_alu instid0(VALU_DEP_1) | instskip(NEXT) | instid1(VALU_DEP_1)
	v_and_b32_e32 v3, 0x7f000000, v2
	v_clz_i32_u32_e32 v5, v3
	v_add_nc_u32_e32 v7, 0x1000000, v3
	v_cmp_ne_u32_e32 vcc_lo, 0, v3
	s_delay_alu instid0(VALU_DEP_3) | instskip(NEXT) | instid1(VALU_DEP_1)
	v_min_u32_e32 v5, 32, v5
	v_sub_nc_u32_e64 v5, v5, 4 clamp
	s_delay_alu instid0(VALU_DEP_1) | instskip(NEXT) | instid1(VALU_DEP_1)
	v_dual_lshlrev_b32 v6, v5, v3 :: v_dual_lshlrev_b32 v5, 23, v5
	v_lshrrev_b32_e32 v6, 4, v6
	s_delay_alu instid0(VALU_DEP_1) | instskip(NEXT) | instid1(VALU_DEP_1)
	v_dual_sub_nc_u32 v5, v6, v5 :: v_dual_ashrrev_i32 v6, 8, v7
	v_add_nc_u32_e32 v5, 0x3c000000, v5
	s_delay_alu instid0(VALU_DEP_1) | instskip(NEXT) | instid1(VALU_DEP_1)
	v_and_or_b32 v5, 0x7f800000, v6, v5
	v_cndmask_b32_e32 v3, 0, v5, vcc_lo
	s_delay_alu instid0(VALU_DEP_1) | instskip(NEXT) | instid1(VALU_DEP_1)
	v_and_or_b32 v2, 0x80000000, v2, v3
	v_cvt_u32_f32_e32 v2, v2
.LBB355_827:
	s_mov_b32 s25, 0
.LBB355_828:
	s_delay_alu instid0(SALU_CYCLE_1)
	s_and_not1_b32 vcc_lo, exec_lo, s25
	s_cbranch_vccnz .LBB355_830
; %bb.829:
	s_wait_loadcnt 0x0
	global_load_u8 v2, v[0:1], off
	s_wait_loadcnt 0x0
	v_lshlrev_b32_e32 v3, 25, v2
	v_lshlrev_b16 v2, 8, v2
	s_delay_alu instid0(VALU_DEP_2) | instskip(NEXT) | instid1(VALU_DEP_2)
	v_cmp_gt_u32_e32 vcc_lo, 0x8000000, v3
	v_and_or_b32 v6, 0x7f00, v2, 0.5
	v_lshrrev_b32_e32 v5, 4, v3
	v_bfe_i32 v2, v2, 0, 16
	s_delay_alu instid0(VALU_DEP_3) | instskip(NEXT) | instid1(VALU_DEP_3)
	v_add_f32_e32 v6, -0.5, v6
	v_or_b32_e32 v5, 0x70000000, v5
	s_delay_alu instid0(VALU_DEP_1) | instskip(NEXT) | instid1(VALU_DEP_1)
	v_mul_f32_e32 v5, 0x7800000, v5
	v_cndmask_b32_e32 v3, v5, v6, vcc_lo
	s_delay_alu instid0(VALU_DEP_1) | instskip(NEXT) | instid1(VALU_DEP_1)
	v_and_or_b32 v2, 0x80000000, v2, v3
	v_cvt_u32_f32_e32 v2, v2
.LBB355_830:
	s_mov_b32 s25, 0
	s_mov_b32 s26, -1
.LBB355_831:
	s_and_not1_b32 vcc_lo, exec_lo, s25
	s_mov_b32 s25, 0
	s_cbranch_vccnz .LBB355_842
; %bb.832:
	s_cmp_gt_i32 s23, 14
	s_cbranch_scc0 .LBB355_835
; %bb.833:
	s_cmp_eq_u32 s23, 15
	s_cbranch_scc0 .LBB355_838
; %bb.834:
	s_wait_loadcnt 0x0
	global_load_u16 v2, v[0:1], off
	s_mov_b32 s24, 0
	s_mov_b32 s26, -1
	s_wait_loadcnt 0x0
	v_lshlrev_b32_e32 v2, 16, v2
	s_delay_alu instid0(VALU_DEP_1)
	v_cvt_u32_f32_e32 v2, v2
	s_branch .LBB355_840
.LBB355_835:
	s_mov_b32 s25, -1
	s_branch .LBB355_839
.LBB355_836:
	s_and_not1_saveexec_b32 s25, s25
	s_cbranch_execz .LBB355_817
.LBB355_837:
	v_cmp_ne_u16_e32 vcc_lo, 0, v3
	s_and_not1_b32 s26, s26, exec_lo
	s_and_b32 s27, vcc_lo, exec_lo
	s_delay_alu instid0(SALU_CYCLE_1)
	s_or_b32 s26, s26, s27
	s_or_b32 exec_lo, exec_lo, s25
	v_mov_b32_e32 v2, 0
	s_and_saveexec_b32 s25, s26
	s_cbranch_execnz .LBB355_818
	s_branch .LBB355_819
.LBB355_838:
	s_mov_b32 s24, -1
.LBB355_839:
                                        ; implicit-def: $vgpr2
.LBB355_840:
	s_and_b32 vcc_lo, exec_lo, s25
	s_mov_b32 s25, 0
	s_cbranch_vccz .LBB355_842
; %bb.841:
	s_cmp_lg_u32 s23, 11
	s_mov_b32 s25, -1
	s_cselect_b32 s23, -1, 0
	s_and_not1_b32 s24, s24, exec_lo
	s_and_b32 s23, s23, exec_lo
	s_delay_alu instid0(SALU_CYCLE_1)
	s_or_b32 s24, s24, s23
.LBB355_842:
	s_mov_b32 s23, 0
.LBB355_843:
	s_and_not1_b32 s28, s0, exec_lo
	s_and_b32 s24, s24, exec_lo
	s_and_b32 s26, s26, exec_lo
	;; [unrolled: 1-line block ×4, first 2 shown]
	s_or_b32 s24, s28, s24
.LBB355_844:
	s_wait_xcnt 0x0
	s_or_b32 exec_lo, exec_lo, s14
	s_delay_alu instid0(SALU_CYCLE_1)
	s_and_not1_b32 s0, s0, exec_lo
	s_and_b32 s14, s24, exec_lo
	s_and_b32 s26, s26, exec_lo
	;; [unrolled: 1-line block ×4, first 2 shown]
	s_or_b32 s0, s0, s14
.LBB355_845:
	s_or_b32 exec_lo, exec_lo, s21
	s_delay_alu instid0(SALU_CYCLE_1)
	s_and_not1_b32 s14, s19, exec_lo
	s_and_b32 s19, s22, exec_lo
	s_and_b32 s0, s0, exec_lo
	s_or_b32 s19, s14, s19
	s_and_not1_b32 s14, s18, exec_lo
	s_and_b32 s23, s26, exec_lo
	s_and_b32 s22, s25, exec_lo
	;; [unrolled: 1-line block ×3, first 2 shown]
	s_or_b32 s18, s14, s0
.LBB355_846:
	s_or_b32 exec_lo, exec_lo, s20
	s_delay_alu instid0(SALU_CYCLE_1)
	s_and_not1_b32 s0, s15, exec_lo
	s_and_b32 s14, s19, exec_lo
	s_and_b32 s19, s22, exec_lo
	s_or_b32 s15, s0, s14
	s_and_not1_b32 s14, s16, exec_lo
	s_and_b32 s16, s18, exec_lo
	s_and_b32 s0, s23, exec_lo
	;; [unrolled: 1-line block ×3, first 2 shown]
	s_or_b32 s16, s14, s16
	s_or_b32 exec_lo, exec_lo, s17
	s_mov_b32 s14, 0
	s_and_saveexec_b32 s17, s16
	s_cbranch_execz .LBB355_258
.LBB355_847:
	s_mov_b32 s14, exec_lo
	s_and_not1_b32 s18, s18, exec_lo
	s_trap 2
	s_or_b32 exec_lo, exec_lo, s17
	s_and_saveexec_b32 s16, s18
	s_delay_alu instid0(SALU_CYCLE_1)
	s_xor_b32 s16, exec_lo, s16
	s_cbranch_execnz .LBB355_259
.LBB355_848:
	s_or_b32 exec_lo, exec_lo, s16
	s_and_saveexec_b32 s16, s19
	s_cbranch_execz .LBB355_894
.LBB355_849:
	s_sext_i32_i16 s17, s3
	s_delay_alu instid0(SALU_CYCLE_1)
	s_cmp_lt_i32 s17, 5
	s_cbranch_scc1 .LBB355_854
; %bb.850:
	s_cmp_lt_i32 s17, 8
	s_cbranch_scc1 .LBB355_855
; %bb.851:
	;; [unrolled: 3-line block ×3, first 2 shown]
	s_cmp_gt_i32 s17, 9
	s_cbranch_scc0 .LBB355_857
; %bb.853:
	s_wait_loadcnt 0x0
	global_load_b64 v[2:3], v[0:1], off
	s_mov_b32 s17, 0
	s_wait_loadcnt 0x0
	v_cvt_u32_f64_e32 v2, v[2:3]
	s_branch .LBB355_858
.LBB355_854:
                                        ; implicit-def: $vgpr2
	s_branch .LBB355_875
.LBB355_855:
                                        ; implicit-def: $vgpr2
	s_branch .LBB355_864
.LBB355_856:
	s_mov_b32 s17, -1
                                        ; implicit-def: $vgpr2
	s_branch .LBB355_861
.LBB355_857:
	s_mov_b32 s17, -1
                                        ; implicit-def: $vgpr2
.LBB355_858:
	s_delay_alu instid0(SALU_CYCLE_1)
	s_and_not1_b32 vcc_lo, exec_lo, s17
	s_cbranch_vccnz .LBB355_860
; %bb.859:
	s_wait_loadcnt 0x0
	global_load_b32 v2, v[0:1], off
	s_wait_loadcnt 0x0
	v_cvt_u32_f32_e32 v2, v2
.LBB355_860:
	s_mov_b32 s17, 0
.LBB355_861:
	s_delay_alu instid0(SALU_CYCLE_1)
	s_and_not1_b32 vcc_lo, exec_lo, s17
	s_cbranch_vccnz .LBB355_863
; %bb.862:
	s_wait_loadcnt 0x0
	global_load_b32 v2, v[0:1], off
	s_wait_loadcnt 0x0
	v_cvt_f32_f16_e32 v2, v2
	s_delay_alu instid0(VALU_DEP_1)
	v_cvt_u32_f32_e32 v2, v2
.LBB355_863:
	s_cbranch_execnz .LBB355_874
.LBB355_864:
	s_sext_i32_i16 s17, s3
	s_delay_alu instid0(SALU_CYCLE_1)
	s_cmp_lt_i32 s17, 6
	s_cbranch_scc1 .LBB355_867
; %bb.865:
	s_cmp_gt_i32 s17, 6
	s_cbranch_scc0 .LBB355_868
; %bb.866:
	s_wait_loadcnt 0x0
	global_load_b64 v[2:3], v[0:1], off
	s_mov_b32 s17, 0
	s_wait_loadcnt 0x0
	v_cvt_u32_f64_e32 v2, v[2:3]
	s_branch .LBB355_869
.LBB355_867:
	s_mov_b32 s17, -1
                                        ; implicit-def: $vgpr2
	s_branch .LBB355_872
.LBB355_868:
	s_mov_b32 s17, -1
                                        ; implicit-def: $vgpr2
.LBB355_869:
	s_delay_alu instid0(SALU_CYCLE_1)
	s_and_not1_b32 vcc_lo, exec_lo, s17
	s_cbranch_vccnz .LBB355_871
; %bb.870:
	s_wait_loadcnt 0x0
	global_load_b32 v2, v[0:1], off
	s_wait_loadcnt 0x0
	v_cvt_u32_f32_e32 v2, v2
.LBB355_871:
	s_mov_b32 s17, 0
.LBB355_872:
	s_delay_alu instid0(SALU_CYCLE_1)
	s_and_not1_b32 vcc_lo, exec_lo, s17
	s_cbranch_vccnz .LBB355_874
; %bb.873:
	s_wait_loadcnt 0x0
	global_load_u16 v2, v[0:1], off
	s_wait_loadcnt 0x0
	v_cvt_f32_f16_e32 v2, v2
	s_delay_alu instid0(VALU_DEP_1)
	v_cvt_u32_f32_e32 v2, v2
.LBB355_874:
	s_cbranch_execnz .LBB355_893
.LBB355_875:
	s_sext_i32_i16 s17, s3
	s_delay_alu instid0(SALU_CYCLE_1)
	s_cmp_lt_i32 s17, 2
	s_cbranch_scc1 .LBB355_879
; %bb.876:
	s_cmp_lt_i32 s17, 3
	s_cbranch_scc1 .LBB355_880
; %bb.877:
	s_cmp_gt_i32 s17, 3
	s_cbranch_scc0 .LBB355_881
; %bb.878:
	s_wait_loadcnt 0x0
	global_load_b32 v2, v[0:1], off
	s_mov_b32 s17, 0
	s_branch .LBB355_882
.LBB355_879:
                                        ; implicit-def: $vgpr2
	s_branch .LBB355_888
.LBB355_880:
	s_mov_b32 s17, -1
                                        ; implicit-def: $vgpr2
	s_branch .LBB355_885
.LBB355_881:
	s_mov_b32 s17, -1
                                        ; implicit-def: $vgpr2
.LBB355_882:
	s_delay_alu instid0(SALU_CYCLE_1)
	s_and_not1_b32 vcc_lo, exec_lo, s17
	s_cbranch_vccnz .LBB355_884
; %bb.883:
	s_wait_loadcnt 0x0
	global_load_b32 v2, v[0:1], off
.LBB355_884:
	s_mov_b32 s17, 0
.LBB355_885:
	s_delay_alu instid0(SALU_CYCLE_1)
	s_and_not1_b32 vcc_lo, exec_lo, s17
	s_cbranch_vccnz .LBB355_887
; %bb.886:
	s_wait_loadcnt 0x0
	global_load_i16 v2, v[0:1], off
.LBB355_887:
	s_cbranch_execnz .LBB355_893
.LBB355_888:
	s_sext_i32_i16 s17, s3
	s_delay_alu instid0(SALU_CYCLE_1)
	s_cmp_gt_i32 s17, 0
	s_mov_b32 s17, 0
	s_cbranch_scc0 .LBB355_890
; %bb.889:
	s_wait_loadcnt 0x0
	global_load_i8 v2, v[0:1], off
	s_branch .LBB355_891
.LBB355_890:
	s_mov_b32 s17, -1
                                        ; implicit-def: $vgpr2
.LBB355_891:
	s_delay_alu instid0(SALU_CYCLE_1)
	s_and_not1_b32 vcc_lo, exec_lo, s17
	s_cbranch_vccnz .LBB355_893
; %bb.892:
	s_wait_loadcnt 0x0
	global_load_u8 v2, v[0:1], off
.LBB355_893:
	s_or_b32 s0, s0, exec_lo
.LBB355_894:
	s_wait_xcnt 0x0
	s_or_b32 exec_lo, exec_lo, s16
	s_mov_b32 s20, 0
	s_mov_b32 s19, 0
                                        ; implicit-def: $sgpr16
                                        ; implicit-def: $sgpr17
                                        ; implicit-def: $vgpr0_vgpr1
	s_and_saveexec_b32 s18, s0
	s_cbranch_execz .LBB355_902
; %bb.895:
	v_mul_lo_u32 v0, v4, s8
	s_wait_loadcnt 0x0
	s_delay_alu instid0(VALU_DEP_2) | instskip(SKIP_3) | instid1(VALU_DEP_2)
	v_cmp_ne_u32_e32 vcc_lo, s11, v2
	s_and_b32 s17, s2, 0xff
	s_xor_b32 s16, s13, vcc_lo
	s_cmp_lt_i32 s17, 11
	v_ashrrev_i32_e32 v1, 31, v0
	s_delay_alu instid0(VALU_DEP_1)
	v_add_nc_u64_e32 v[0:1], s[4:5], v[0:1]
	s_cbranch_scc1 .LBB355_905
; %bb.896:
	s_and_b32 s13, 0xffff, s17
	s_mov_b32 s19, -1
	s_cmp_gt_i32 s13, 25
	s_mov_b32 s0, s15
	s_cbranch_scc0 .LBB355_933
; %bb.897:
	s_cmp_gt_i32 s13, 28
	s_mov_b32 s0, s15
	s_cbranch_scc0 .LBB355_917
; %bb.898:
	;; [unrolled: 4-line block ×4, first 2 shown]
	s_cmp_eq_u32 s13, 46
	s_mov_b32 s0, -1
	s_cbranch_scc0 .LBB355_906
; %bb.901:
	v_cndmask_b32_e64 v2, 0, 1.0, s16
	s_mov_b32 s0, 0
	s_mov_b32 s19, 0
	s_delay_alu instid0(VALU_DEP_1) | instskip(NEXT) | instid1(VALU_DEP_1)
	v_bfe_u32 v3, v2, 16, 1
	v_add3_u32 v2, v2, v3, 0x7fff
	s_delay_alu instid0(VALU_DEP_1)
	v_lshrrev_b32_e32 v2, 16, v2
	global_store_b32 v[0:1], v2, off
	s_branch .LBB355_907
.LBB355_902:
	s_or_b32 exec_lo, exec_lo, s18
	s_and_saveexec_b32 s0, s15
	s_cbranch_execnz .LBB355_975
.LBB355_903:
	s_or_b32 exec_lo, exec_lo, s0
	s_and_saveexec_b32 s0, s20
	s_delay_alu instid0(SALU_CYCLE_1)
	s_xor_b32 s0, exec_lo, s0
	s_cbranch_execz .LBB355_976
.LBB355_904:
	s_wait_loadcnt 0x0
	v_cndmask_b32_e64 v2, 0, 1, s16
	global_store_b8 v[0:1], v2, off
	s_wait_xcnt 0x0
	s_or_b32 exec_lo, exec_lo, s0
	s_and_saveexec_b32 s0, s19
	s_delay_alu instid0(SALU_CYCLE_1)
	s_xor_b32 s0, exec_lo, s0
	s_cbranch_execz .LBB355_1014
	s_branch .LBB355_977
.LBB355_905:
	s_mov_b32 s19, -1
	s_mov_b32 s0, s15
	s_branch .LBB355_974
.LBB355_906:
	s_mov_b32 s19, 0
.LBB355_907:
	s_delay_alu instid0(SALU_CYCLE_1)
	s_and_b32 vcc_lo, exec_lo, s19
	s_cbranch_vccz .LBB355_912
; %bb.908:
	s_cmp_eq_u32 s13, 44
	s_mov_b32 s0, -1
	s_cbranch_scc0 .LBB355_912
; %bb.909:
	v_cndmask_b32_e64 v4, 0, 1.0, s16
	s_mov_b32 s19, exec_lo
	s_wait_xcnt 0x0
	s_delay_alu instid0(VALU_DEP_1) | instskip(NEXT) | instid1(VALU_DEP_1)
	v_dual_mov_b32 v3, 0xff :: v_dual_lshrrev_b32 v2, 23, v4
	v_cmpx_ne_u32_e32 0xff, v2
; %bb.910:
	v_and_b32_e32 v3, 0x400000, v4
	v_and_or_b32 v4, 0x3fffff, v4, v2
	s_delay_alu instid0(VALU_DEP_2) | instskip(NEXT) | instid1(VALU_DEP_2)
	v_cmp_ne_u32_e32 vcc_lo, 0, v3
	v_cmp_ne_u32_e64 s0, 0, v4
	s_and_b32 s0, vcc_lo, s0
	s_delay_alu instid0(SALU_CYCLE_1) | instskip(NEXT) | instid1(VALU_DEP_1)
	v_cndmask_b32_e64 v3, 0, 1, s0
	v_add_nc_u32_e32 v3, v2, v3
; %bb.911:
	s_or_b32 exec_lo, exec_lo, s19
	s_mov_b32 s0, 0
	global_store_b8 v[0:1], v3, off
.LBB355_912:
	s_mov_b32 s19, 0
.LBB355_913:
	s_delay_alu instid0(SALU_CYCLE_1)
	s_and_b32 vcc_lo, exec_lo, s19
	s_cbranch_vccz .LBB355_916
; %bb.914:
	s_cmp_eq_u32 s13, 29
	s_mov_b32 s0, -1
	s_cbranch_scc0 .LBB355_916
; %bb.915:
	s_mov_b32 s0, 0
	s_wait_xcnt 0x0
	v_cndmask_b32_e64 v2, 0, 1, s16
	v_mov_b32_e32 v3, s0
	s_mov_b32 s19, 0
	global_store_b64 v[0:1], v[2:3], off
	s_branch .LBB355_917
.LBB355_916:
	s_mov_b32 s19, 0
.LBB355_917:
	s_delay_alu instid0(SALU_CYCLE_1)
	s_and_b32 vcc_lo, exec_lo, s19
	s_cbranch_vccz .LBB355_932
; %bb.918:
	s_cmp_lt_i32 s13, 27
	s_mov_b32 s19, -1
	s_cbranch_scc1 .LBB355_924
; %bb.919:
	s_wait_xcnt 0x0
	v_cndmask_b32_e64 v2, 0, 1, s16
	s_cmp_gt_i32 s13, 27
	s_cbranch_scc0 .LBB355_921
; %bb.920:
	s_mov_b32 s19, 0
	global_store_b32 v[0:1], v2, off
.LBB355_921:
	s_and_not1_b32 vcc_lo, exec_lo, s19
	s_cbranch_vccnz .LBB355_923
; %bb.922:
	global_store_b16 v[0:1], v2, off
.LBB355_923:
	s_mov_b32 s19, 0
.LBB355_924:
	s_delay_alu instid0(SALU_CYCLE_1)
	s_and_not1_b32 vcc_lo, exec_lo, s19
	s_cbranch_vccnz .LBB355_932
; %bb.925:
	s_wait_xcnt 0x0
	v_cndmask_b32_e64 v3, 0, 1.0, s16
	v_mov_b32_e32 v4, 0x80
	s_mov_b32 s19, exec_lo
	s_delay_alu instid0(VALU_DEP_2)
	v_cmpx_gt_u32_e32 0x43800000, v3
	s_cbranch_execz .LBB355_931
; %bb.926:
	s_mov_b32 s21, exec_lo
                                        ; implicit-def: $vgpr2
	v_cmpx_lt_u32_e32 0x3bffffff, v3
	s_xor_b32 s21, exec_lo, s21
	s_cbranch_execz .LBB355_1029
; %bb.927:
	v_bfe_u32 v2, v3, 20, 1
	s_mov_b32 s20, exec_lo
	s_delay_alu instid0(VALU_DEP_1) | instskip(NEXT) | instid1(VALU_DEP_1)
	v_add3_u32 v2, v3, v2, 0x487ffff
                                        ; implicit-def: $vgpr3
	v_lshrrev_b32_e32 v2, 20, v2
	s_and_not1_saveexec_b32 s21, s21
	s_cbranch_execnz .LBB355_1030
.LBB355_928:
	s_or_b32 exec_lo, exec_lo, s21
	v_mov_b32_e32 v4, 0
	s_and_saveexec_b32 s21, s20
.LBB355_929:
	v_mov_b32_e32 v4, v2
.LBB355_930:
	s_or_b32 exec_lo, exec_lo, s21
.LBB355_931:
	s_delay_alu instid0(SALU_CYCLE_1)
	s_or_b32 exec_lo, exec_lo, s19
	global_store_b8 v[0:1], v4, off
.LBB355_932:
	s_mov_b32 s19, 0
.LBB355_933:
	s_delay_alu instid0(SALU_CYCLE_1)
	s_and_b32 vcc_lo, exec_lo, s19
	s_mov_b32 s19, 0
	s_cbranch_vccz .LBB355_973
; %bb.934:
	s_cmp_gt_i32 s13, 22
	s_mov_b32 s20, -1
	s_cbranch_scc0 .LBB355_966
; %bb.935:
	s_cmp_lt_i32 s13, 24
	s_cbranch_scc1 .LBB355_955
; %bb.936:
	s_cmp_gt_i32 s13, 24
	s_cbranch_scc0 .LBB355_944
; %bb.937:
	s_wait_xcnt 0x0
	v_cndmask_b32_e64 v3, 0, 1.0, s16
	v_mov_b32_e32 v4, 0x80
	s_mov_b32 s20, exec_lo
	s_delay_alu instid0(VALU_DEP_2)
	v_cmpx_gt_u32_e32 0x47800000, v3
	s_cbranch_execz .LBB355_943
; %bb.938:
	s_mov_b32 s21, 0
	s_mov_b32 s22, exec_lo
                                        ; implicit-def: $vgpr2
	v_cmpx_lt_u32_e32 0x37ffffff, v3
	s_xor_b32 s22, exec_lo, s22
	s_cbranch_execz .LBB355_1150
; %bb.939:
	v_bfe_u32 v2, v3, 21, 1
	s_mov_b32 s21, exec_lo
	s_delay_alu instid0(VALU_DEP_1) | instskip(NEXT) | instid1(VALU_DEP_1)
	v_add3_u32 v2, v3, v2, 0x88fffff
                                        ; implicit-def: $vgpr3
	v_lshrrev_b32_e32 v2, 21, v2
	s_and_not1_saveexec_b32 s22, s22
	s_cbranch_execnz .LBB355_1151
.LBB355_940:
	s_or_b32 exec_lo, exec_lo, s22
	v_mov_b32_e32 v4, 0
	s_and_saveexec_b32 s22, s21
.LBB355_941:
	v_mov_b32_e32 v4, v2
.LBB355_942:
	s_or_b32 exec_lo, exec_lo, s22
.LBB355_943:
	s_delay_alu instid0(SALU_CYCLE_1)
	s_or_b32 exec_lo, exec_lo, s20
	s_mov_b32 s20, 0
	global_store_b8 v[0:1], v4, off
.LBB355_944:
	s_and_b32 vcc_lo, exec_lo, s20
	s_cbranch_vccz .LBB355_954
; %bb.945:
	s_wait_xcnt 0x0
	v_cndmask_b32_e64 v3, 0, 1.0, s16
	s_mov_b32 s20, exec_lo
                                        ; implicit-def: $vgpr2
	s_delay_alu instid0(VALU_DEP_1)
	v_cmpx_gt_u32_e32 0x43f00000, v3
	s_xor_b32 s20, exec_lo, s20
	s_cbranch_execz .LBB355_951
; %bb.946:
	s_mov_b32 s21, exec_lo
                                        ; implicit-def: $vgpr2
	v_cmpx_lt_u32_e32 0x3c7fffff, v3
	s_xor_b32 s21, exec_lo, s21
; %bb.947:
	v_bfe_u32 v2, v3, 20, 1
	s_delay_alu instid0(VALU_DEP_1) | instskip(NEXT) | instid1(VALU_DEP_1)
	v_add3_u32 v2, v3, v2, 0x407ffff
	v_and_b32_e32 v3, 0xff00000, v2
	v_lshrrev_b32_e32 v2, 20, v2
	s_delay_alu instid0(VALU_DEP_2) | instskip(NEXT) | instid1(VALU_DEP_2)
	v_cmp_ne_u32_e32 vcc_lo, 0x7f00000, v3
                                        ; implicit-def: $vgpr3
	v_cndmask_b32_e32 v2, 0x7e, v2, vcc_lo
; %bb.948:
	s_and_not1_saveexec_b32 s21, s21
; %bb.949:
	v_add_f32_e32 v2, 0x46800000, v3
; %bb.950:
	s_or_b32 exec_lo, exec_lo, s21
                                        ; implicit-def: $vgpr3
.LBB355_951:
	s_and_not1_saveexec_b32 s20, s20
; %bb.952:
	v_mov_b32_e32 v2, 0x7f
	v_cmp_lt_u32_e32 vcc_lo, 0x7f800000, v3
	s_delay_alu instid0(VALU_DEP_2)
	v_cndmask_b32_e32 v2, 0x7e, v2, vcc_lo
; %bb.953:
	s_or_b32 exec_lo, exec_lo, s20
	global_store_b8 v[0:1], v2, off
.LBB355_954:
	s_mov_b32 s20, 0
.LBB355_955:
	s_delay_alu instid0(SALU_CYCLE_1)
	s_and_not1_b32 vcc_lo, exec_lo, s20
	s_cbranch_vccnz .LBB355_965
; %bb.956:
	s_wait_xcnt 0x0
	v_cndmask_b32_e64 v3, 0, 1.0, s16
	s_mov_b32 s20, exec_lo
                                        ; implicit-def: $vgpr2
	s_delay_alu instid0(VALU_DEP_1)
	v_cmpx_gt_u32_e32 0x47800000, v3
	s_xor_b32 s20, exec_lo, s20
	s_cbranch_execz .LBB355_962
; %bb.957:
	s_mov_b32 s21, exec_lo
                                        ; implicit-def: $vgpr2
	v_cmpx_lt_u32_e32 0x387fffff, v3
	s_xor_b32 s21, exec_lo, s21
; %bb.958:
	v_bfe_u32 v2, v3, 21, 1
	s_delay_alu instid0(VALU_DEP_1) | instskip(NEXT) | instid1(VALU_DEP_1)
	v_add3_u32 v2, v3, v2, 0x80fffff
                                        ; implicit-def: $vgpr3
	v_lshrrev_b32_e32 v2, 21, v2
; %bb.959:
	s_and_not1_saveexec_b32 s21, s21
; %bb.960:
	v_add_f32_e32 v2, 0x43000000, v3
; %bb.961:
	s_or_b32 exec_lo, exec_lo, s21
                                        ; implicit-def: $vgpr3
.LBB355_962:
	s_and_not1_saveexec_b32 s20, s20
; %bb.963:
	v_mov_b32_e32 v2, 0x7f
	v_cmp_lt_u32_e32 vcc_lo, 0x7f800000, v3
	s_delay_alu instid0(VALU_DEP_2)
	v_cndmask_b32_e32 v2, 0x7c, v2, vcc_lo
; %bb.964:
	s_or_b32 exec_lo, exec_lo, s20
	global_store_b8 v[0:1], v2, off
.LBB355_965:
	s_mov_b32 s20, 0
.LBB355_966:
	s_delay_alu instid0(SALU_CYCLE_1)
	s_and_not1_b32 vcc_lo, exec_lo, s20
	s_mov_b32 s20, 0
	s_cbranch_vccnz .LBB355_974
; %bb.967:
	s_cmp_gt_i32 s13, 14
	s_mov_b32 s20, -1
	s_cbranch_scc0 .LBB355_971
; %bb.968:
	s_cmp_eq_u32 s13, 15
	s_mov_b32 s0, -1
	s_cbranch_scc0 .LBB355_970
; %bb.969:
	s_wait_xcnt 0x0
	v_cndmask_b32_e64 v2, 0, 1.0, s16
	s_mov_b32 s0, 0
	s_delay_alu instid0(VALU_DEP_1) | instskip(NEXT) | instid1(VALU_DEP_1)
	v_bfe_u32 v3, v2, 16, 1
	v_add3_u32 v2, v2, v3, 0x7fff
	global_store_d16_hi_b16 v[0:1], v2, off
.LBB355_970:
	s_mov_b32 s20, 0
.LBB355_971:
	s_delay_alu instid0(SALU_CYCLE_1)
	s_and_b32 vcc_lo, exec_lo, s20
	s_mov_b32 s20, 0
	s_cbranch_vccz .LBB355_974
; %bb.972:
	s_cmp_lg_u32 s13, 11
	s_mov_b32 s20, -1
	s_cselect_b32 s13, -1, 0
	s_and_not1_b32 s0, s0, exec_lo
	s_and_b32 s13, s13, exec_lo
	s_delay_alu instid0(SALU_CYCLE_1)
	s_or_b32 s0, s0, s13
	s_branch .LBB355_974
.LBB355_973:
	s_mov_b32 s20, 0
.LBB355_974:
	s_and_not1_b32 s13, s15, exec_lo
	s_and_b32 s0, s0, exec_lo
	s_and_b32 s19, s19, exec_lo
	;; [unrolled: 1-line block ×3, first 2 shown]
	s_or_b32 s15, s13, s0
	s_wait_xcnt 0x0
	s_or_b32 exec_lo, exec_lo, s18
	s_and_saveexec_b32 s0, s15
	s_cbranch_execz .LBB355_903
.LBB355_975:
	s_or_b32 s14, s14, exec_lo
	s_and_not1_b32 s20, s20, exec_lo
	s_trap 2
	s_or_b32 exec_lo, exec_lo, s0
	s_and_saveexec_b32 s0, s20
	s_delay_alu instid0(SALU_CYCLE_1)
	s_xor_b32 s0, exec_lo, s0
	s_cbranch_execnz .LBB355_904
.LBB355_976:
	s_or_b32 exec_lo, exec_lo, s0
	s_and_saveexec_b32 s0, s19
	s_delay_alu instid0(SALU_CYCLE_1)
	s_xor_b32 s0, exec_lo, s0
	s_cbranch_execz .LBB355_1014
.LBB355_977:
	s_sext_i32_i16 s15, s17
	s_mov_b32 s13, -1
	s_cmp_lt_i32 s15, 5
	s_cbranch_scc1 .LBB355_998
; %bb.978:
	s_cmp_lt_i32 s15, 8
	s_cbranch_scc1 .LBB355_988
; %bb.979:
	;; [unrolled: 3-line block ×3, first 2 shown]
	s_cmp_gt_i32 s15, 9
	s_cbranch_scc0 .LBB355_982
; %bb.981:
	s_wait_loadcnt 0x0
	v_cndmask_b32_e64 v2, 0, 1, s16
	v_mov_b32_e32 v4, 0
	s_mov_b32 s13, 0
	s_delay_alu instid0(VALU_DEP_2) | instskip(NEXT) | instid1(VALU_DEP_2)
	v_cvt_f64_u32_e32 v[2:3], v2
	v_mov_b32_e32 v5, v4
	global_store_b128 v[0:1], v[2:5], off
.LBB355_982:
	s_and_not1_b32 vcc_lo, exec_lo, s13
	s_cbranch_vccnz .LBB355_984
; %bb.983:
	s_wait_loadcnt 0x0
	v_cndmask_b32_e64 v2, 0, 1.0, s16
	v_mov_b32_e32 v3, 0
	global_store_b64 v[0:1], v[2:3], off
.LBB355_984:
	s_mov_b32 s13, 0
.LBB355_985:
	s_delay_alu instid0(SALU_CYCLE_1)
	s_and_not1_b32 vcc_lo, exec_lo, s13
	s_cbranch_vccnz .LBB355_987
; %bb.986:
	s_wait_loadcnt 0x0
	v_cndmask_b32_e64 v2, 0, 1.0, s16
	s_delay_alu instid0(VALU_DEP_1) | instskip(NEXT) | instid1(VALU_DEP_1)
	v_cvt_f16_f32_e32 v2, v2
	v_and_b32_e32 v2, 0xffff, v2
	global_store_b32 v[0:1], v2, off
.LBB355_987:
	s_mov_b32 s13, 0
.LBB355_988:
	s_delay_alu instid0(SALU_CYCLE_1)
	s_and_not1_b32 vcc_lo, exec_lo, s13
	s_cbranch_vccnz .LBB355_997
; %bb.989:
	s_sext_i32_i16 s15, s17
	s_mov_b32 s13, -1
	s_cmp_lt_i32 s15, 6
	s_cbranch_scc1 .LBB355_995
; %bb.990:
	s_cmp_gt_i32 s15, 6
	s_cbranch_scc0 .LBB355_992
; %bb.991:
	s_wait_loadcnt 0x0
	v_cndmask_b32_e64 v2, 0, 1, s16
	s_mov_b32 s13, 0
	s_delay_alu instid0(VALU_DEP_1)
	v_cvt_f64_u32_e32 v[2:3], v2
	global_store_b64 v[0:1], v[2:3], off
.LBB355_992:
	s_and_not1_b32 vcc_lo, exec_lo, s13
	s_cbranch_vccnz .LBB355_994
; %bb.993:
	s_wait_loadcnt 0x0
	v_cndmask_b32_e64 v2, 0, 1.0, s16
	global_store_b32 v[0:1], v2, off
.LBB355_994:
	s_mov_b32 s13, 0
.LBB355_995:
	s_delay_alu instid0(SALU_CYCLE_1)
	s_and_not1_b32 vcc_lo, exec_lo, s13
	s_cbranch_vccnz .LBB355_997
; %bb.996:
	s_wait_loadcnt 0x0
	v_cndmask_b32_e64 v2, 0, 1.0, s16
	s_delay_alu instid0(VALU_DEP_1)
	v_cvt_f16_f32_e32 v2, v2
	global_store_b16 v[0:1], v2, off
.LBB355_997:
	s_mov_b32 s13, 0
.LBB355_998:
	s_delay_alu instid0(SALU_CYCLE_1)
	s_and_not1_b32 vcc_lo, exec_lo, s13
	s_cbranch_vccnz .LBB355_1014
; %bb.999:
	s_sext_i32_i16 s15, s17
	s_mov_b32 s13, -1
	s_cmp_lt_i32 s15, 2
	s_cbranch_scc1 .LBB355_1009
; %bb.1000:
	s_cmp_lt_i32 s15, 3
	s_cbranch_scc1 .LBB355_1006
; %bb.1001:
	s_cmp_gt_i32 s15, 3
	s_cbranch_scc0 .LBB355_1003
; %bb.1002:
	s_mov_b32 s13, 0
	s_wait_loadcnt 0x0
	v_cndmask_b32_e64 v2, 0, 1, s16
	v_mov_b32_e32 v3, s13
	global_store_b64 v[0:1], v[2:3], off
.LBB355_1003:
	s_and_not1_b32 vcc_lo, exec_lo, s13
	s_cbranch_vccnz .LBB355_1005
; %bb.1004:
	s_wait_loadcnt 0x0
	v_cndmask_b32_e64 v2, 0, 1, s16
	global_store_b32 v[0:1], v2, off
.LBB355_1005:
	s_mov_b32 s13, 0
.LBB355_1006:
	s_delay_alu instid0(SALU_CYCLE_1)
	s_and_not1_b32 vcc_lo, exec_lo, s13
	s_cbranch_vccnz .LBB355_1008
; %bb.1007:
	s_wait_loadcnt 0x0
	v_cndmask_b32_e64 v2, 0, 1, s16
	global_store_b16 v[0:1], v2, off
.LBB355_1008:
	s_mov_b32 s13, 0
.LBB355_1009:
	s_delay_alu instid0(SALU_CYCLE_1)
	s_and_not1_b32 vcc_lo, exec_lo, s13
	s_cbranch_vccnz .LBB355_1014
; %bb.1010:
	s_wait_loadcnt 0x0
	v_cndmask_b32_e64 v2, 0, 1, s16
	s_sext_i32_i16 s13, s17
	s_delay_alu instid0(SALU_CYCLE_1)
	s_cmp_gt_i32 s13, 0
	s_mov_b32 s13, -1
	s_cbranch_scc0 .LBB355_1012
; %bb.1011:
	s_mov_b32 s13, 0
	global_store_b8 v[0:1], v2, off
.LBB355_1012:
	s_and_not1_b32 vcc_lo, exec_lo, s13
	s_cbranch_vccnz .LBB355_1014
; %bb.1013:
	global_store_b8 v[0:1], v2, off
.LBB355_1014:
	s_wait_xcnt 0x0
	s_or_b32 exec_lo, exec_lo, s0
	s_delay_alu instid0(SALU_CYCLE_1)
	s_and_b32 s13, s14, exec_lo
                                        ; implicit-def: $vgpr4
.LBB355_1015:
	s_or_saveexec_b32 s12, s12
	s_mov_b32 s0, 0
                                        ; implicit-def: $sgpr15
                                        ; implicit-def: $sgpr14
                                        ; implicit-def: $vgpr0_vgpr1
	s_xor_b32 exec_lo, exec_lo, s12
	s_cbranch_execz .LBB355_1949
; %bb.1016:
	v_mul_lo_u32 v0, s9, v4
	s_and_b32 s0, 0xffff, s3
	s_delay_alu instid0(SALU_CYCLE_1) | instskip(NEXT) | instid1(VALU_DEP_1)
	s_cmp_lt_i32 s0, 11
	v_ashrrev_i32_e32 v1, 31, v0
	s_wait_loadcnt 0x0
	s_delay_alu instid0(VALU_DEP_1)
	v_add_nc_u64_e32 v[2:3], s[6:7], v[0:1]
	s_cbranch_scc1 .LBB355_1023
; %bb.1017:
	s_cmp_gt_i32 s0, 25
	s_mov_b32 s3, 0
	s_cbranch_scc0 .LBB355_1025
; %bb.1018:
	s_cmp_gt_i32 s0, 28
	s_cbranch_scc0 .LBB355_1026
; %bb.1019:
	s_cmp_gt_i32 s0, 43
	;; [unrolled: 3-line block ×3, first 2 shown]
	s_cbranch_scc0 .LBB355_1028
; %bb.1021:
	s_cmp_eq_u32 s0, 46
	s_mov_b32 s15, 0
	s_cbranch_scc0 .LBB355_1031
; %bb.1022:
	global_load_b32 v1, v[2:3], off
	s_mov_b32 s14, -1
	s_wait_loadcnt 0x0
	v_lshlrev_b32_e32 v1, 16, v1
	s_delay_alu instid0(VALU_DEP_1)
	v_cvt_u32_f32_e32 v8, v1
	s_branch .LBB355_1033
.LBB355_1023:
	s_mov_b32 s14, 0
	s_mov_b32 s1, s13
                                        ; implicit-def: $vgpr8
	s_cbranch_execnz .LBB355_1091
.LBB355_1024:
	s_and_not1_b32 vcc_lo, exec_lo, s14
	s_cbranch_vccz .LBB355_1136
	s_branch .LBB355_1947
.LBB355_1025:
	s_mov_b32 s14, 0
                                        ; implicit-def: $vgpr8
	s_cbranch_execnz .LBB355_1058
	s_branch .LBB355_1087
.LBB355_1026:
	s_mov_b32 s14, 0
                                        ; implicit-def: $vgpr8
	s_cbranch_execz .LBB355_1057
	s_branch .LBB355_1042
.LBB355_1027:
	s_mov_b32 s14, 0
                                        ; implicit-def: $vgpr8
	s_cbranch_execnz .LBB355_1038
	s_branch .LBB355_1041
.LBB355_1028:
	s_mov_b32 s15, -1
	s_branch .LBB355_1032
.LBB355_1029:
	s_and_not1_saveexec_b32 s21, s21
	s_cbranch_execz .LBB355_928
.LBB355_1030:
	v_add_f32_e32 v2, 0x46000000, v3
	s_and_not1_b32 s20, s20, exec_lo
	s_delay_alu instid0(VALU_DEP_1) | instskip(NEXT) | instid1(VALU_DEP_1)
	v_and_b32_e32 v2, 0xff, v2
	v_cmp_ne_u32_e32 vcc_lo, 0, v2
	s_and_b32 s22, vcc_lo, exec_lo
	s_delay_alu instid0(SALU_CYCLE_1)
	s_or_b32 s20, s20, s22
	s_or_b32 exec_lo, exec_lo, s21
	v_mov_b32_e32 v4, 0
	s_and_saveexec_b32 s21, s20
	s_cbranch_execnz .LBB355_929
	s_branch .LBB355_930
.LBB355_1031:
	s_mov_b32 s1, -1
.LBB355_1032:
	s_mov_b32 s14, 0
                                        ; implicit-def: $vgpr8
.LBB355_1033:
	s_and_b32 vcc_lo, exec_lo, s15
	s_cbranch_vccz .LBB355_1036
; %bb.1034:
	s_cmp_eq_u32 s0, 44
	s_cbranch_scc0 .LBB355_1037
; %bb.1035:
	global_load_u8 v1, v[2:3], off
	s_mov_b32 s1, 0
	s_mov_b32 s14, -1
	s_wait_loadcnt 0x0
	v_lshlrev_b32_e32 v5, 23, v1
	v_cmp_ne_u32_e32 vcc_lo, 0, v1
	s_delay_alu instid0(VALU_DEP_2) | instskip(NEXT) | instid1(VALU_DEP_1)
	v_cvt_u32_f32_e32 v5, v5
	v_cndmask_b32_e32 v8, 0, v5, vcc_lo
.LBB355_1036:
	s_branch .LBB355_1041
.LBB355_1037:
	s_mov_b32 s1, -1
                                        ; implicit-def: $vgpr8
	s_branch .LBB355_1041
.LBB355_1038:
	s_cmp_eq_u32 s0, 29
	s_cbranch_scc0 .LBB355_1040
; %bb.1039:
	global_load_b32 v8, v[2:3], off
	s_mov_b32 s1, 0
	s_mov_b32 s14, -1
	s_branch .LBB355_1041
.LBB355_1040:
	s_mov_b32 s1, -1
                                        ; implicit-def: $vgpr8
.LBB355_1041:
	s_branch .LBB355_1057
.LBB355_1042:
	s_cmp_lt_i32 s0, 27
	s_cbranch_scc1 .LBB355_1045
; %bb.1043:
	s_cmp_gt_i32 s0, 27
	s_cbranch_scc0 .LBB355_1046
; %bb.1044:
	s_wait_loadcnt 0x0
	global_load_b32 v8, v[2:3], off
	s_mov_b32 s14, 0
	s_branch .LBB355_1047
.LBB355_1045:
	s_mov_b32 s14, -1
                                        ; implicit-def: $vgpr8
	s_branch .LBB355_1050
.LBB355_1046:
	s_mov_b32 s14, -1
                                        ; implicit-def: $vgpr8
.LBB355_1047:
	s_delay_alu instid0(SALU_CYCLE_1)
	s_and_not1_b32 vcc_lo, exec_lo, s14
	s_cbranch_vccnz .LBB355_1049
; %bb.1048:
	s_wait_loadcnt 0x0
	global_load_u16 v8, v[2:3], off
.LBB355_1049:
	s_mov_b32 s14, 0
.LBB355_1050:
	s_delay_alu instid0(SALU_CYCLE_1)
	s_and_not1_b32 vcc_lo, exec_lo, s14
	s_cbranch_vccnz .LBB355_1056
; %bb.1051:
	global_load_u8 v1, v[2:3], off
	s_mov_b32 s15, 0
	s_mov_b32 s14, exec_lo
	s_wait_loadcnt 0x0
	v_cmpx_lt_i16_e32 0x7f, v1
	s_xor_b32 s14, exec_lo, s14
	s_cbranch_execz .LBB355_1067
; %bb.1052:
	v_cmp_ne_u16_e32 vcc_lo, 0x80, v1
	s_and_b32 s15, vcc_lo, exec_lo
	s_and_not1_saveexec_b32 s14, s14
	s_cbranch_execnz .LBB355_1068
.LBB355_1053:
	s_or_b32 exec_lo, exec_lo, s14
	v_mov_b32_e32 v8, 0
	s_and_saveexec_b32 s14, s15
	s_cbranch_execz .LBB355_1055
.LBB355_1054:
	v_and_b32_e32 v5, 0xffff, v1
	s_delay_alu instid0(VALU_DEP_1) | instskip(SKIP_1) | instid1(VALU_DEP_2)
	v_and_b32_e32 v6, 7, v5
	v_bfe_u32 v9, v5, 3, 4
	v_clz_i32_u32_e32 v7, v6
	s_delay_alu instid0(VALU_DEP_2) | instskip(NEXT) | instid1(VALU_DEP_2)
	v_cmp_eq_u32_e32 vcc_lo, 0, v9
	v_min_u32_e32 v7, 32, v7
	s_delay_alu instid0(VALU_DEP_1) | instskip(NEXT) | instid1(VALU_DEP_1)
	v_subrev_nc_u32_e32 v8, 28, v7
	v_dual_lshlrev_b32 v5, v8, v5 :: v_dual_sub_nc_u32 v7, 29, v7
	s_delay_alu instid0(VALU_DEP_1) | instskip(NEXT) | instid1(VALU_DEP_2)
	v_and_b32_e32 v5, 7, v5
	v_dual_lshlrev_b32 v1, 24, v1 :: v_dual_cndmask_b32 v7, v9, v7, vcc_lo
	s_delay_alu instid0(VALU_DEP_2) | instskip(NEXT) | instid1(VALU_DEP_2)
	v_cndmask_b32_e32 v5, v6, v5, vcc_lo
	v_and_b32_e32 v1, 0x80000000, v1
	s_delay_alu instid0(VALU_DEP_3) | instskip(NEXT) | instid1(VALU_DEP_3)
	v_lshl_add_u32 v6, v7, 23, 0x3b800000
	v_lshlrev_b32_e32 v5, 20, v5
	s_delay_alu instid0(VALU_DEP_1) | instskip(NEXT) | instid1(VALU_DEP_1)
	v_or3_b32 v1, v1, v6, v5
	v_cvt_u32_f32_e32 v8, v1
.LBB355_1055:
	s_or_b32 exec_lo, exec_lo, s14
.LBB355_1056:
	s_mov_b32 s14, -1
.LBB355_1057:
	s_branch .LBB355_1087
.LBB355_1058:
	s_cmp_gt_i32 s0, 22
	s_cbranch_scc0 .LBB355_1066
; %bb.1059:
	s_cmp_lt_i32 s0, 24
	s_cbranch_scc1 .LBB355_1069
; %bb.1060:
	s_cmp_gt_i32 s0, 24
	s_cbranch_scc0 .LBB355_1070
; %bb.1061:
	global_load_u8 v1, v[2:3], off
	s_mov_b32 s14, 0
	s_mov_b32 s3, exec_lo
	s_wait_loadcnt 0x0
	v_cmpx_lt_i16_e32 0x7f, v1
	s_xor_b32 s3, exec_lo, s3
	s_cbranch_execz .LBB355_1081
; %bb.1062:
	v_cmp_ne_u16_e32 vcc_lo, 0x80, v1
	s_and_b32 s14, vcc_lo, exec_lo
	s_and_not1_saveexec_b32 s3, s3
	s_cbranch_execnz .LBB355_1082
.LBB355_1063:
	s_or_b32 exec_lo, exec_lo, s3
	v_mov_b32_e32 v8, 0
	s_and_saveexec_b32 s3, s14
	s_cbranch_execz .LBB355_1065
.LBB355_1064:
	v_and_b32_e32 v5, 0xffff, v1
	s_delay_alu instid0(VALU_DEP_1) | instskip(SKIP_1) | instid1(VALU_DEP_2)
	v_and_b32_e32 v6, 3, v5
	v_bfe_u32 v9, v5, 2, 5
	v_clz_i32_u32_e32 v7, v6
	s_delay_alu instid0(VALU_DEP_2) | instskip(NEXT) | instid1(VALU_DEP_2)
	v_cmp_eq_u32_e32 vcc_lo, 0, v9
	v_min_u32_e32 v7, 32, v7
	s_delay_alu instid0(VALU_DEP_1) | instskip(NEXT) | instid1(VALU_DEP_1)
	v_subrev_nc_u32_e32 v8, 29, v7
	v_dual_lshlrev_b32 v5, v8, v5 :: v_dual_sub_nc_u32 v7, 30, v7
	s_delay_alu instid0(VALU_DEP_1) | instskip(NEXT) | instid1(VALU_DEP_2)
	v_and_b32_e32 v5, 3, v5
	v_dual_lshlrev_b32 v1, 24, v1 :: v_dual_cndmask_b32 v7, v9, v7, vcc_lo
	s_delay_alu instid0(VALU_DEP_2) | instskip(NEXT) | instid1(VALU_DEP_2)
	v_cndmask_b32_e32 v5, v6, v5, vcc_lo
	v_and_b32_e32 v1, 0x80000000, v1
	s_delay_alu instid0(VALU_DEP_3) | instskip(NEXT) | instid1(VALU_DEP_3)
	v_lshl_add_u32 v6, v7, 23, 0x37800000
	v_lshlrev_b32_e32 v5, 21, v5
	s_delay_alu instid0(VALU_DEP_1) | instskip(NEXT) | instid1(VALU_DEP_1)
	v_or3_b32 v1, v1, v6, v5
	v_cvt_u32_f32_e32 v8, v1
.LBB355_1065:
	s_or_b32 exec_lo, exec_lo, s3
	s_mov_b32 s3, 0
	s_branch .LBB355_1071
.LBB355_1066:
                                        ; implicit-def: $vgpr8
	s_mov_b32 s3, 0
	s_branch .LBB355_1077
.LBB355_1067:
	s_and_not1_saveexec_b32 s14, s14
	s_cbranch_execz .LBB355_1053
.LBB355_1068:
	v_cmp_ne_u16_e32 vcc_lo, 0, v1
	s_and_not1_b32 s15, s15, exec_lo
	s_and_b32 s16, vcc_lo, exec_lo
	s_delay_alu instid0(SALU_CYCLE_1)
	s_or_b32 s15, s15, s16
	s_or_b32 exec_lo, exec_lo, s14
	v_mov_b32_e32 v8, 0
	s_and_saveexec_b32 s14, s15
	s_cbranch_execnz .LBB355_1054
	s_branch .LBB355_1055
.LBB355_1069:
	s_mov_b32 s3, -1
                                        ; implicit-def: $vgpr8
	s_branch .LBB355_1074
.LBB355_1070:
	s_mov_b32 s3, -1
                                        ; implicit-def: $vgpr8
.LBB355_1071:
	s_delay_alu instid0(SALU_CYCLE_1)
	s_and_b32 vcc_lo, exec_lo, s3
	s_cbranch_vccz .LBB355_1073
; %bb.1072:
	global_load_u8 v1, v[2:3], off
	s_wait_loadcnt 0x0
	v_lshlrev_b32_e32 v1, 24, v1
	s_delay_alu instid0(VALU_DEP_1) | instskip(NEXT) | instid1(VALU_DEP_1)
	v_and_b32_e32 v5, 0x7f000000, v1
	v_clz_i32_u32_e32 v6, v5
	v_cmp_ne_u32_e32 vcc_lo, 0, v5
	v_add_nc_u32_e32 v8, 0x1000000, v5
	s_delay_alu instid0(VALU_DEP_3) | instskip(NEXT) | instid1(VALU_DEP_1)
	v_min_u32_e32 v6, 32, v6
	v_sub_nc_u32_e64 v6, v6, 4 clamp
	s_delay_alu instid0(VALU_DEP_1) | instskip(NEXT) | instid1(VALU_DEP_1)
	v_dual_lshlrev_b32 v7, v6, v5 :: v_dual_lshlrev_b32 v6, 23, v6
	v_lshrrev_b32_e32 v7, 4, v7
	s_delay_alu instid0(VALU_DEP_1) | instskip(NEXT) | instid1(VALU_DEP_1)
	v_dual_sub_nc_u32 v6, v7, v6 :: v_dual_ashrrev_i32 v7, 8, v8
	v_add_nc_u32_e32 v6, 0x3c000000, v6
	s_delay_alu instid0(VALU_DEP_1) | instskip(NEXT) | instid1(VALU_DEP_1)
	v_and_or_b32 v6, 0x7f800000, v7, v6
	v_cndmask_b32_e32 v5, 0, v6, vcc_lo
	s_delay_alu instid0(VALU_DEP_1) | instskip(NEXT) | instid1(VALU_DEP_1)
	v_and_or_b32 v1, 0x80000000, v1, v5
	v_cvt_u32_f32_e32 v8, v1
.LBB355_1073:
	s_mov_b32 s3, 0
.LBB355_1074:
	s_delay_alu instid0(SALU_CYCLE_1)
	s_and_not1_b32 vcc_lo, exec_lo, s3
	s_cbranch_vccnz .LBB355_1076
; %bb.1075:
	global_load_u8 v1, v[2:3], off
	s_wait_loadcnt 0x0
	v_lshlrev_b32_e32 v5, 25, v1
	v_lshlrev_b16 v1, 8, v1
	s_delay_alu instid0(VALU_DEP_1) | instskip(SKIP_1) | instid1(VALU_DEP_2)
	v_and_or_b32 v7, 0x7f00, v1, 0.5
	v_bfe_i32 v1, v1, 0, 16
	v_dual_add_f32 v7, -0.5, v7 :: v_dual_lshrrev_b32 v6, 4, v5
	v_cmp_gt_u32_e32 vcc_lo, 0x8000000, v5
	s_delay_alu instid0(VALU_DEP_2) | instskip(NEXT) | instid1(VALU_DEP_1)
	v_or_b32_e32 v6, 0x70000000, v6
	v_mul_f32_e32 v6, 0x7800000, v6
	s_delay_alu instid0(VALU_DEP_1) | instskip(NEXT) | instid1(VALU_DEP_1)
	v_cndmask_b32_e32 v5, v6, v7, vcc_lo
	v_and_or_b32 v1, 0x80000000, v1, v5
	s_delay_alu instid0(VALU_DEP_1)
	v_cvt_u32_f32_e32 v8, v1
.LBB355_1076:
	s_mov_b32 s14, -1
	s_mov_b32 s3, 0
	s_cbranch_execnz .LBB355_1087
.LBB355_1077:
	s_cmp_gt_i32 s0, 14
	s_cbranch_scc0 .LBB355_1080
; %bb.1078:
	s_cmp_eq_u32 s0, 15
	s_cbranch_scc0 .LBB355_1083
; %bb.1079:
	global_load_u16 v1, v[2:3], off
	s_mov_b32 s1, 0
	s_mov_b32 s14, -1
	s_wait_loadcnt 0x0
	v_lshlrev_b32_e32 v1, 16, v1
	s_delay_alu instid0(VALU_DEP_1)
	v_cvt_u32_f32_e32 v8, v1
	s_branch .LBB355_1085
.LBB355_1080:
	s_mov_b32 s3, -1
	s_branch .LBB355_1084
.LBB355_1081:
	s_and_not1_saveexec_b32 s3, s3
	s_cbranch_execz .LBB355_1063
.LBB355_1082:
	v_cmp_ne_u16_e32 vcc_lo, 0, v1
	s_and_not1_b32 s14, s14, exec_lo
	s_and_b32 s15, vcc_lo, exec_lo
	s_delay_alu instid0(SALU_CYCLE_1)
	s_or_b32 s14, s14, s15
	s_or_b32 exec_lo, exec_lo, s3
	v_mov_b32_e32 v8, 0
	s_and_saveexec_b32 s3, s14
	s_cbranch_execnz .LBB355_1064
	s_branch .LBB355_1065
.LBB355_1083:
	s_mov_b32 s1, -1
.LBB355_1084:
                                        ; implicit-def: $vgpr8
.LBB355_1085:
	s_and_b32 vcc_lo, exec_lo, s3
	s_mov_b32 s3, 0
	s_cbranch_vccz .LBB355_1087
; %bb.1086:
	s_cmp_lg_u32 s0, 11
	s_mov_b32 s3, -1
	s_cselect_b32 s1, -1, 0
.LBB355_1087:
	s_delay_alu instid0(SALU_CYCLE_1)
	s_and_b32 vcc_lo, exec_lo, s1
	s_mov_b32 s1, s13
	s_cbranch_vccnz .LBB355_1148
; %bb.1088:
	s_and_not1_b32 vcc_lo, exec_lo, s3
	s_cbranch_vccnz .LBB355_1090
.LBB355_1089:
	global_load_u8 v1, v[2:3], off
	s_mov_b32 s14, -1
	s_wait_loadcnt 0x0
	v_cmp_ne_u16_e32 vcc_lo, 0, v1
	v_cndmask_b32_e64 v8, 0, 1, vcc_lo
.LBB355_1090:
	s_branch .LBB355_1024
.LBB355_1091:
	s_cmp_lt_i32 s0, 5
	s_cbranch_scc1 .LBB355_1096
; %bb.1092:
	s_cmp_lt_i32 s0, 8
	s_cbranch_scc1 .LBB355_1097
; %bb.1093:
	s_cmp_lt_i32 s0, 9
	s_cbranch_scc1 .LBB355_1098
; %bb.1094:
	s_cmp_gt_i32 s0, 9
	s_cbranch_scc0 .LBB355_1099
; %bb.1095:
	global_load_b64 v[6:7], v[2:3], off
	s_mov_b32 s3, 0
	s_wait_loadcnt 0x0
	v_cvt_u32_f64_e32 v8, v[6:7]
	s_branch .LBB355_1100
.LBB355_1096:
                                        ; implicit-def: $vgpr8
	s_branch .LBB355_1117
.LBB355_1097:
                                        ; implicit-def: $vgpr8
	s_branch .LBB355_1106
.LBB355_1098:
	s_mov_b32 s3, -1
                                        ; implicit-def: $vgpr8
	s_branch .LBB355_1103
.LBB355_1099:
	s_mov_b32 s3, -1
                                        ; implicit-def: $vgpr8
.LBB355_1100:
	s_delay_alu instid0(SALU_CYCLE_1)
	s_and_not1_b32 vcc_lo, exec_lo, s3
	s_cbranch_vccnz .LBB355_1102
; %bb.1101:
	global_load_b32 v1, v[2:3], off
	s_wait_loadcnt 0x0
	v_cvt_u32_f32_e32 v8, v1
.LBB355_1102:
	s_mov_b32 s3, 0
.LBB355_1103:
	s_delay_alu instid0(SALU_CYCLE_1)
	s_and_not1_b32 vcc_lo, exec_lo, s3
	s_cbranch_vccnz .LBB355_1105
; %bb.1104:
	global_load_b32 v1, v[2:3], off
	s_wait_loadcnt 0x0
	v_cvt_f32_f16_e32 v1, v1
	s_delay_alu instid0(VALU_DEP_1)
	v_cvt_u32_f32_e32 v8, v1
.LBB355_1105:
	s_cbranch_execnz .LBB355_1116
.LBB355_1106:
	s_cmp_lt_i32 s0, 6
	s_cbranch_scc1 .LBB355_1109
; %bb.1107:
	s_cmp_gt_i32 s0, 6
	s_cbranch_scc0 .LBB355_1110
; %bb.1108:
	global_load_b64 v[6:7], v[2:3], off
	s_mov_b32 s3, 0
	s_wait_loadcnt 0x0
	v_cvt_u32_f64_e32 v8, v[6:7]
	s_branch .LBB355_1111
.LBB355_1109:
	s_mov_b32 s3, -1
                                        ; implicit-def: $vgpr8
	s_branch .LBB355_1114
.LBB355_1110:
	s_mov_b32 s3, -1
                                        ; implicit-def: $vgpr8
.LBB355_1111:
	s_delay_alu instid0(SALU_CYCLE_1)
	s_and_not1_b32 vcc_lo, exec_lo, s3
	s_cbranch_vccnz .LBB355_1113
; %bb.1112:
	global_load_b32 v1, v[2:3], off
	s_wait_loadcnt 0x0
	v_cvt_u32_f32_e32 v8, v1
.LBB355_1113:
	s_mov_b32 s3, 0
.LBB355_1114:
	s_delay_alu instid0(SALU_CYCLE_1)
	s_and_not1_b32 vcc_lo, exec_lo, s3
	s_cbranch_vccnz .LBB355_1116
; %bb.1115:
	global_load_u16 v1, v[2:3], off
	s_wait_loadcnt 0x0
	v_cvt_f32_f16_e32 v1, v1
	s_delay_alu instid0(VALU_DEP_1)
	v_cvt_u32_f32_e32 v8, v1
.LBB355_1116:
	s_cbranch_execnz .LBB355_1135
.LBB355_1117:
	s_cmp_lt_i32 s0, 2
	s_cbranch_scc1 .LBB355_1121
; %bb.1118:
	s_cmp_lt_i32 s0, 3
	s_cbranch_scc1 .LBB355_1122
; %bb.1119:
	s_cmp_gt_i32 s0, 3
	s_cbranch_scc0 .LBB355_1123
; %bb.1120:
	s_wait_loadcnt 0x0
	global_load_b32 v8, v[2:3], off
	s_mov_b32 s3, 0
	s_branch .LBB355_1124
.LBB355_1121:
                                        ; implicit-def: $vgpr8
	s_branch .LBB355_1130
.LBB355_1122:
	s_mov_b32 s3, -1
                                        ; implicit-def: $vgpr8
	s_branch .LBB355_1127
.LBB355_1123:
	s_mov_b32 s3, -1
                                        ; implicit-def: $vgpr8
.LBB355_1124:
	s_delay_alu instid0(SALU_CYCLE_1)
	s_and_not1_b32 vcc_lo, exec_lo, s3
	s_cbranch_vccnz .LBB355_1126
; %bb.1125:
	s_wait_loadcnt 0x0
	global_load_b32 v8, v[2:3], off
.LBB355_1126:
	s_mov_b32 s3, 0
.LBB355_1127:
	s_delay_alu instid0(SALU_CYCLE_1)
	s_and_not1_b32 vcc_lo, exec_lo, s3
	s_cbranch_vccnz .LBB355_1129
; %bb.1128:
	s_wait_loadcnt 0x0
	global_load_i16 v8, v[2:3], off
.LBB355_1129:
	s_cbranch_execnz .LBB355_1135
.LBB355_1130:
	s_cmp_gt_i32 s0, 0
	s_mov_b32 s3, 0
	s_cbranch_scc0 .LBB355_1132
; %bb.1131:
	s_wait_loadcnt 0x0
	global_load_i8 v8, v[2:3], off
	s_branch .LBB355_1133
.LBB355_1132:
	s_mov_b32 s3, -1
                                        ; implicit-def: $vgpr8
.LBB355_1133:
	s_delay_alu instid0(SALU_CYCLE_1)
	s_and_not1_b32 vcc_lo, exec_lo, s3
	s_cbranch_vccnz .LBB355_1135
; %bb.1134:
	s_wait_loadcnt 0x0
	global_load_u8 v8, v[2:3], off
.LBB355_1135:
.LBB355_1136:
	s_lshl_b32 s3, s9, 7
	s_cmp_lt_i32 s0, 11
	v_add_nc_u32_e32 v0, s3, v0
	s_delay_alu instid0(VALU_DEP_1) | instskip(SKIP_1) | instid1(VALU_DEP_1)
	v_ashrrev_i32_e32 v1, 31, v0
	s_wait_xcnt 0x0
	v_add_nc_u64_e32 v[2:3], s[6:7], v[0:1]
	s_cbranch_scc1 .LBB355_1143
; %bb.1137:
	s_cmp_gt_i32 s0, 25
	s_mov_b32 s14, 0
	s_cbranch_scc0 .LBB355_1145
; %bb.1138:
	s_cmp_gt_i32 s0, 28
	s_cbranch_scc0 .LBB355_1146
; %bb.1139:
	s_cmp_gt_i32 s0, 43
	;; [unrolled: 3-line block ×3, first 2 shown]
	s_cbranch_scc0 .LBB355_1149
; %bb.1141:
	s_cmp_eq_u32 s0, 46
	s_mov_b32 s16, 0
	s_cbranch_scc0 .LBB355_1152
; %bb.1142:
	global_load_b32 v1, v[2:3], off
	s_mov_b32 s9, 0
	s_mov_b32 s15, -1
	s_wait_loadcnt 0x0
	v_lshlrev_b32_e32 v1, 16, v1
	s_delay_alu instid0(VALU_DEP_1)
	v_cvt_u32_f32_e32 v7, v1
	s_branch .LBB355_1154
.LBB355_1143:
	s_mov_b32 s15, 0
                                        ; implicit-def: $vgpr7
	s_cbranch_execnz .LBB355_1215
.LBB355_1144:
	s_and_not1_b32 vcc_lo, exec_lo, s15
	s_cbranch_vccnz .LBB355_1947
	s_branch .LBB355_1262
.LBB355_1145:
	s_mov_b32 s15, 0
	s_mov_b32 s9, 0
                                        ; implicit-def: $vgpr7
	s_cbranch_execnz .LBB355_1181
	s_branch .LBB355_1211
.LBB355_1146:
	s_mov_b32 s16, -1
	s_mov_b32 s15, 0
	s_mov_b32 s9, 0
                                        ; implicit-def: $vgpr7
	s_branch .LBB355_1164
.LBB355_1147:
	s_mov_b32 s16, -1
	s_mov_b32 s15, 0
	s_mov_b32 s9, 0
                                        ; implicit-def: $vgpr7
	s_branch .LBB355_1159
.LBB355_1148:
	s_or_b32 s1, s13, exec_lo
	s_trap 2
	s_cbranch_execz .LBB355_1089
	s_branch .LBB355_1090
.LBB355_1149:
	s_mov_b32 s16, -1
	s_mov_b32 s15, 0
	s_mov_b32 s9, 0
	s_branch .LBB355_1153
.LBB355_1150:
	s_and_not1_saveexec_b32 s22, s22
	s_cbranch_execz .LBB355_940
.LBB355_1151:
	v_add_f32_e32 v2, 0x42800000, v3
	s_and_not1_b32 s21, s21, exec_lo
	s_delay_alu instid0(VALU_DEP_1) | instskip(NEXT) | instid1(VALU_DEP_1)
	v_and_b32_e32 v2, 0xff, v2
	v_cmp_ne_u32_e32 vcc_lo, 0, v2
	s_and_b32 s23, vcc_lo, exec_lo
	s_delay_alu instid0(SALU_CYCLE_1)
	s_or_b32 s21, s21, s23
	s_or_b32 exec_lo, exec_lo, s22
	v_mov_b32_e32 v4, 0
	s_and_saveexec_b32 s22, s21
	s_cbranch_execnz .LBB355_941
	s_branch .LBB355_942
.LBB355_1152:
	s_mov_b32 s9, -1
	s_mov_b32 s15, 0
.LBB355_1153:
                                        ; implicit-def: $vgpr7
.LBB355_1154:
	s_and_b32 vcc_lo, exec_lo, s16
	s_cbranch_vccz .LBB355_1158
; %bb.1155:
	s_cmp_eq_u32 s0, 44
	s_cbranch_scc0 .LBB355_1157
; %bb.1156:
	global_load_u8 v1, v[2:3], off
	s_mov_b32 s9, 0
	s_mov_b32 s15, -1
	s_wait_loadcnt 0x0
	v_lshlrev_b32_e32 v5, 23, v1
	v_cmp_ne_u32_e32 vcc_lo, 0, v1
	s_delay_alu instid0(VALU_DEP_2) | instskip(NEXT) | instid1(VALU_DEP_1)
	v_cvt_u32_f32_e32 v5, v5
	v_cndmask_b32_e32 v7, 0, v5, vcc_lo
	s_branch .LBB355_1158
.LBB355_1157:
	s_mov_b32 s9, -1
                                        ; implicit-def: $vgpr7
.LBB355_1158:
	s_mov_b32 s16, 0
.LBB355_1159:
	s_delay_alu instid0(SALU_CYCLE_1)
	s_and_b32 vcc_lo, exec_lo, s16
	s_cbranch_vccz .LBB355_1163
; %bb.1160:
	s_cmp_eq_u32 s0, 29
	s_cbranch_scc0 .LBB355_1162
; %bb.1161:
	global_load_b32 v7, v[2:3], off
	s_mov_b32 s9, 0
	s_mov_b32 s15, -1
	s_branch .LBB355_1163
.LBB355_1162:
	s_mov_b32 s9, -1
                                        ; implicit-def: $vgpr7
.LBB355_1163:
	s_mov_b32 s16, 0
.LBB355_1164:
	s_delay_alu instid0(SALU_CYCLE_1)
	s_and_b32 vcc_lo, exec_lo, s16
	s_cbranch_vccz .LBB355_1180
; %bb.1165:
	s_cmp_lt_i32 s0, 27
	s_cbranch_scc1 .LBB355_1168
; %bb.1166:
	s_cmp_gt_i32 s0, 27
	s_cbranch_scc0 .LBB355_1169
; %bb.1167:
	s_wait_loadcnt 0x0
	global_load_b32 v7, v[2:3], off
	s_mov_b32 s15, 0
	s_branch .LBB355_1170
.LBB355_1168:
	s_mov_b32 s15, -1
                                        ; implicit-def: $vgpr7
	s_branch .LBB355_1173
.LBB355_1169:
	s_mov_b32 s15, -1
                                        ; implicit-def: $vgpr7
.LBB355_1170:
	s_delay_alu instid0(SALU_CYCLE_1)
	s_and_not1_b32 vcc_lo, exec_lo, s15
	s_cbranch_vccnz .LBB355_1172
; %bb.1171:
	s_wait_loadcnt 0x0
	global_load_u16 v7, v[2:3], off
.LBB355_1172:
	s_mov_b32 s15, 0
.LBB355_1173:
	s_delay_alu instid0(SALU_CYCLE_1)
	s_and_not1_b32 vcc_lo, exec_lo, s15
	s_cbranch_vccnz .LBB355_1179
; %bb.1174:
	global_load_u8 v1, v[2:3], off
	s_mov_b32 s16, 0
	s_mov_b32 s15, exec_lo
	s_wait_loadcnt 0x0
	v_cmpx_lt_i16_e32 0x7f, v1
	s_xor_b32 s15, exec_lo, s15
	s_cbranch_execz .LBB355_1190
; %bb.1175:
	v_cmp_ne_u16_e32 vcc_lo, 0x80, v1
	s_and_b32 s16, vcc_lo, exec_lo
	s_and_not1_saveexec_b32 s15, s15
	s_cbranch_execnz .LBB355_1191
.LBB355_1176:
	s_or_b32 exec_lo, exec_lo, s15
	v_mov_b32_e32 v7, 0
	s_and_saveexec_b32 s15, s16
	s_cbranch_execz .LBB355_1178
.LBB355_1177:
	v_and_b32_e32 v5, 0xffff, v1
	s_delay_alu instid0(VALU_DEP_1) | instskip(SKIP_1) | instid1(VALU_DEP_2)
	v_and_b32_e32 v6, 7, v5
	v_bfe_u32 v10, v5, 3, 4
	v_clz_i32_u32_e32 v7, v6
	s_delay_alu instid0(VALU_DEP_2) | instskip(NEXT) | instid1(VALU_DEP_2)
	v_cmp_eq_u32_e32 vcc_lo, 0, v10
	v_min_u32_e32 v7, 32, v7
	s_delay_alu instid0(VALU_DEP_1) | instskip(NEXT) | instid1(VALU_DEP_1)
	v_subrev_nc_u32_e32 v9, 28, v7
	v_dual_lshlrev_b32 v5, v9, v5 :: v_dual_sub_nc_u32 v7, 29, v7
	s_delay_alu instid0(VALU_DEP_1) | instskip(NEXT) | instid1(VALU_DEP_2)
	v_and_b32_e32 v5, 7, v5
	v_dual_lshlrev_b32 v1, 24, v1 :: v_dual_cndmask_b32 v7, v10, v7, vcc_lo
	s_delay_alu instid0(VALU_DEP_2) | instskip(NEXT) | instid1(VALU_DEP_2)
	v_cndmask_b32_e32 v5, v6, v5, vcc_lo
	v_and_b32_e32 v1, 0x80000000, v1
	s_delay_alu instid0(VALU_DEP_3) | instskip(NEXT) | instid1(VALU_DEP_3)
	v_lshl_add_u32 v6, v7, 23, 0x3b800000
	v_lshlrev_b32_e32 v5, 20, v5
	s_delay_alu instid0(VALU_DEP_1) | instskip(NEXT) | instid1(VALU_DEP_1)
	v_or3_b32 v1, v1, v6, v5
	v_cvt_u32_f32_e32 v7, v1
.LBB355_1178:
	s_or_b32 exec_lo, exec_lo, s15
.LBB355_1179:
	s_mov_b32 s15, -1
.LBB355_1180:
	s_branch .LBB355_1211
.LBB355_1181:
	s_cmp_gt_i32 s0, 22
	s_cbranch_scc0 .LBB355_1189
; %bb.1182:
	s_cmp_lt_i32 s0, 24
	s_cbranch_scc1 .LBB355_1192
; %bb.1183:
	s_cmp_gt_i32 s0, 24
	s_cbranch_scc0 .LBB355_1193
; %bb.1184:
	global_load_u8 v1, v[2:3], off
	s_mov_b32 s15, 0
	s_mov_b32 s14, exec_lo
	s_wait_loadcnt 0x0
	v_cmpx_lt_i16_e32 0x7f, v1
	s_xor_b32 s14, exec_lo, s14
	s_cbranch_execz .LBB355_1205
; %bb.1185:
	v_cmp_ne_u16_e32 vcc_lo, 0x80, v1
	s_and_b32 s15, vcc_lo, exec_lo
	s_and_not1_saveexec_b32 s14, s14
	s_cbranch_execnz .LBB355_1206
.LBB355_1186:
	s_or_b32 exec_lo, exec_lo, s14
	v_mov_b32_e32 v7, 0
	s_and_saveexec_b32 s14, s15
	s_cbranch_execz .LBB355_1188
.LBB355_1187:
	v_and_b32_e32 v5, 0xffff, v1
	s_delay_alu instid0(VALU_DEP_1) | instskip(SKIP_1) | instid1(VALU_DEP_2)
	v_and_b32_e32 v6, 3, v5
	v_bfe_u32 v10, v5, 2, 5
	v_clz_i32_u32_e32 v7, v6
	s_delay_alu instid0(VALU_DEP_2) | instskip(NEXT) | instid1(VALU_DEP_2)
	v_cmp_eq_u32_e32 vcc_lo, 0, v10
	v_min_u32_e32 v7, 32, v7
	s_delay_alu instid0(VALU_DEP_1) | instskip(NEXT) | instid1(VALU_DEP_1)
	v_subrev_nc_u32_e32 v9, 29, v7
	v_dual_lshlrev_b32 v5, v9, v5 :: v_dual_sub_nc_u32 v7, 30, v7
	s_delay_alu instid0(VALU_DEP_1) | instskip(NEXT) | instid1(VALU_DEP_2)
	v_and_b32_e32 v5, 3, v5
	v_dual_lshlrev_b32 v1, 24, v1 :: v_dual_cndmask_b32 v7, v10, v7, vcc_lo
	s_delay_alu instid0(VALU_DEP_2) | instskip(NEXT) | instid1(VALU_DEP_2)
	v_cndmask_b32_e32 v5, v6, v5, vcc_lo
	v_and_b32_e32 v1, 0x80000000, v1
	s_delay_alu instid0(VALU_DEP_3) | instskip(NEXT) | instid1(VALU_DEP_3)
	v_lshl_add_u32 v6, v7, 23, 0x37800000
	v_lshlrev_b32_e32 v5, 21, v5
	s_delay_alu instid0(VALU_DEP_1) | instskip(NEXT) | instid1(VALU_DEP_1)
	v_or3_b32 v1, v1, v6, v5
	v_cvt_u32_f32_e32 v7, v1
.LBB355_1188:
	s_or_b32 exec_lo, exec_lo, s14
	s_mov_b32 s14, 0
	s_branch .LBB355_1194
.LBB355_1189:
	s_mov_b32 s14, -1
                                        ; implicit-def: $vgpr7
	s_branch .LBB355_1200
.LBB355_1190:
	s_and_not1_saveexec_b32 s15, s15
	s_cbranch_execz .LBB355_1176
.LBB355_1191:
	v_cmp_ne_u16_e32 vcc_lo, 0, v1
	s_and_not1_b32 s16, s16, exec_lo
	s_and_b32 s17, vcc_lo, exec_lo
	s_delay_alu instid0(SALU_CYCLE_1)
	s_or_b32 s16, s16, s17
	s_or_b32 exec_lo, exec_lo, s15
	v_mov_b32_e32 v7, 0
	s_and_saveexec_b32 s15, s16
	s_cbranch_execnz .LBB355_1177
	s_branch .LBB355_1178
.LBB355_1192:
	s_mov_b32 s14, -1
                                        ; implicit-def: $vgpr7
	s_branch .LBB355_1197
.LBB355_1193:
	s_mov_b32 s14, -1
                                        ; implicit-def: $vgpr7
.LBB355_1194:
	s_delay_alu instid0(SALU_CYCLE_1)
	s_and_b32 vcc_lo, exec_lo, s14
	s_cbranch_vccz .LBB355_1196
; %bb.1195:
	global_load_u8 v1, v[2:3], off
	s_wait_loadcnt 0x0
	v_lshlrev_b32_e32 v1, 24, v1
	s_delay_alu instid0(VALU_DEP_1) | instskip(NEXT) | instid1(VALU_DEP_1)
	v_and_b32_e32 v5, 0x7f000000, v1
	v_clz_i32_u32_e32 v6, v5
	v_add_nc_u32_e32 v9, 0x1000000, v5
	v_cmp_ne_u32_e32 vcc_lo, 0, v5
	s_delay_alu instid0(VALU_DEP_3) | instskip(NEXT) | instid1(VALU_DEP_1)
	v_min_u32_e32 v6, 32, v6
	v_sub_nc_u32_e64 v6, v6, 4 clamp
	s_delay_alu instid0(VALU_DEP_1) | instskip(NEXT) | instid1(VALU_DEP_1)
	v_dual_lshlrev_b32 v7, v6, v5 :: v_dual_lshlrev_b32 v6, 23, v6
	v_lshrrev_b32_e32 v7, 4, v7
	s_delay_alu instid0(VALU_DEP_1) | instskip(NEXT) | instid1(VALU_DEP_1)
	v_dual_sub_nc_u32 v6, v7, v6 :: v_dual_ashrrev_i32 v7, 8, v9
	v_add_nc_u32_e32 v6, 0x3c000000, v6
	s_delay_alu instid0(VALU_DEP_1) | instskip(NEXT) | instid1(VALU_DEP_1)
	v_and_or_b32 v6, 0x7f800000, v7, v6
	v_cndmask_b32_e32 v5, 0, v6, vcc_lo
	s_delay_alu instid0(VALU_DEP_1) | instskip(NEXT) | instid1(VALU_DEP_1)
	v_and_or_b32 v1, 0x80000000, v1, v5
	v_cvt_u32_f32_e32 v7, v1
.LBB355_1196:
	s_mov_b32 s14, 0
.LBB355_1197:
	s_delay_alu instid0(SALU_CYCLE_1)
	s_and_not1_b32 vcc_lo, exec_lo, s14
	s_cbranch_vccnz .LBB355_1199
; %bb.1198:
	global_load_u8 v1, v[2:3], off
	s_wait_loadcnt 0x0
	v_lshlrev_b32_e32 v5, 25, v1
	v_lshlrev_b16 v1, 8, v1
	s_delay_alu instid0(VALU_DEP_1) | instskip(SKIP_1) | instid1(VALU_DEP_2)
	v_and_or_b32 v7, 0x7f00, v1, 0.5
	v_bfe_i32 v1, v1, 0, 16
	v_dual_add_f32 v7, -0.5, v7 :: v_dual_lshrrev_b32 v6, 4, v5
	v_cmp_gt_u32_e32 vcc_lo, 0x8000000, v5
	s_delay_alu instid0(VALU_DEP_2) | instskip(NEXT) | instid1(VALU_DEP_1)
	v_or_b32_e32 v6, 0x70000000, v6
	v_mul_f32_e32 v6, 0x7800000, v6
	s_delay_alu instid0(VALU_DEP_1) | instskip(NEXT) | instid1(VALU_DEP_1)
	v_cndmask_b32_e32 v5, v6, v7, vcc_lo
	v_and_or_b32 v1, 0x80000000, v1, v5
	s_delay_alu instid0(VALU_DEP_1)
	v_cvt_u32_f32_e32 v7, v1
.LBB355_1199:
	s_mov_b32 s14, 0
	s_mov_b32 s15, -1
.LBB355_1200:
	s_and_not1_b32 vcc_lo, exec_lo, s14
	s_mov_b32 s14, 0
	s_cbranch_vccnz .LBB355_1211
; %bb.1201:
	s_cmp_gt_i32 s0, 14
	s_cbranch_scc0 .LBB355_1204
; %bb.1202:
	s_cmp_eq_u32 s0, 15
	s_cbranch_scc0 .LBB355_1207
; %bb.1203:
	global_load_u16 v1, v[2:3], off
	s_mov_b32 s9, 0
	s_mov_b32 s15, -1
	s_wait_loadcnt 0x0
	v_lshlrev_b32_e32 v1, 16, v1
	s_delay_alu instid0(VALU_DEP_1)
	v_cvt_u32_f32_e32 v7, v1
	s_branch .LBB355_1209
.LBB355_1204:
	s_mov_b32 s14, -1
	s_branch .LBB355_1208
.LBB355_1205:
	s_and_not1_saveexec_b32 s14, s14
	s_cbranch_execz .LBB355_1186
.LBB355_1206:
	v_cmp_ne_u16_e32 vcc_lo, 0, v1
	s_and_not1_b32 s15, s15, exec_lo
	s_and_b32 s16, vcc_lo, exec_lo
	s_delay_alu instid0(SALU_CYCLE_1)
	s_or_b32 s15, s15, s16
	s_or_b32 exec_lo, exec_lo, s14
	v_mov_b32_e32 v7, 0
	s_and_saveexec_b32 s14, s15
	s_cbranch_execnz .LBB355_1187
	s_branch .LBB355_1188
.LBB355_1207:
	s_mov_b32 s9, -1
.LBB355_1208:
                                        ; implicit-def: $vgpr7
.LBB355_1209:
	s_and_b32 vcc_lo, exec_lo, s14
	s_mov_b32 s14, 0
	s_cbranch_vccz .LBB355_1211
; %bb.1210:
	s_cmp_lg_u32 s0, 11
	s_mov_b32 s14, -1
	s_cselect_b32 s9, -1, 0
.LBB355_1211:
	s_delay_alu instid0(SALU_CYCLE_1)
	s_and_b32 vcc_lo, exec_lo, s9
	s_cbranch_vccnz .LBB355_1274
; %bb.1212:
	s_and_not1_b32 vcc_lo, exec_lo, s14
	s_cbranch_vccnz .LBB355_1214
.LBB355_1213:
	global_load_u8 v1, v[2:3], off
	s_mov_b32 s15, -1
	s_wait_loadcnt 0x0
	v_cmp_ne_u16_e32 vcc_lo, 0, v1
	v_cndmask_b32_e64 v7, 0, 1, vcc_lo
.LBB355_1214:
	s_branch .LBB355_1144
.LBB355_1215:
	s_cmp_lt_i32 s0, 5
	s_cbranch_scc1 .LBB355_1220
; %bb.1216:
	s_cmp_lt_i32 s0, 8
	s_cbranch_scc1 .LBB355_1221
; %bb.1217:
	;; [unrolled: 3-line block ×3, first 2 shown]
	s_cmp_gt_i32 s0, 9
	s_cbranch_scc0 .LBB355_1223
; %bb.1219:
	s_wait_loadcnt 0x0
	global_load_b64 v[6:7], v[2:3], off
	s_mov_b32 s9, 0
	s_wait_loadcnt 0x0
	v_cvt_u32_f64_e32 v7, v[6:7]
	s_branch .LBB355_1224
.LBB355_1220:
                                        ; implicit-def: $vgpr7
	s_branch .LBB355_1242
.LBB355_1221:
	s_mov_b32 s9, -1
                                        ; implicit-def: $vgpr7
	s_branch .LBB355_1230
.LBB355_1222:
	s_mov_b32 s9, -1
                                        ; implicit-def: $vgpr7
	s_branch .LBB355_1227
.LBB355_1223:
	s_mov_b32 s9, -1
                                        ; implicit-def: $vgpr7
.LBB355_1224:
	s_delay_alu instid0(SALU_CYCLE_1)
	s_and_not1_b32 vcc_lo, exec_lo, s9
	s_cbranch_vccnz .LBB355_1226
; %bb.1225:
	global_load_b32 v1, v[2:3], off
	s_wait_loadcnt 0x0
	v_cvt_u32_f32_e32 v7, v1
.LBB355_1226:
	s_mov_b32 s9, 0
.LBB355_1227:
	s_delay_alu instid0(SALU_CYCLE_1)
	s_and_not1_b32 vcc_lo, exec_lo, s9
	s_cbranch_vccnz .LBB355_1229
; %bb.1228:
	global_load_b32 v1, v[2:3], off
	s_wait_loadcnt 0x0
	v_cvt_f32_f16_e32 v1, v1
	s_delay_alu instid0(VALU_DEP_1)
	v_cvt_u32_f32_e32 v7, v1
.LBB355_1229:
	s_mov_b32 s9, 0
.LBB355_1230:
	s_delay_alu instid0(SALU_CYCLE_1)
	s_and_not1_b32 vcc_lo, exec_lo, s9
	s_cbranch_vccnz .LBB355_1241
; %bb.1231:
	s_cmp_lt_i32 s0, 6
	s_cbranch_scc1 .LBB355_1234
; %bb.1232:
	s_cmp_gt_i32 s0, 6
	s_cbranch_scc0 .LBB355_1235
; %bb.1233:
	s_wait_loadcnt 0x0
	global_load_b64 v[6:7], v[2:3], off
	s_mov_b32 s9, 0
	s_wait_loadcnt 0x0
	v_cvt_u32_f64_e32 v7, v[6:7]
	s_branch .LBB355_1236
.LBB355_1234:
	s_mov_b32 s9, -1
                                        ; implicit-def: $vgpr7
	s_branch .LBB355_1239
.LBB355_1235:
	s_mov_b32 s9, -1
                                        ; implicit-def: $vgpr7
.LBB355_1236:
	s_delay_alu instid0(SALU_CYCLE_1)
	s_and_not1_b32 vcc_lo, exec_lo, s9
	s_cbranch_vccnz .LBB355_1238
; %bb.1237:
	global_load_b32 v1, v[2:3], off
	s_wait_loadcnt 0x0
	v_cvt_u32_f32_e32 v7, v1
.LBB355_1238:
	s_mov_b32 s9, 0
.LBB355_1239:
	s_delay_alu instid0(SALU_CYCLE_1)
	s_and_not1_b32 vcc_lo, exec_lo, s9
	s_cbranch_vccnz .LBB355_1241
; %bb.1240:
	global_load_u16 v1, v[2:3], off
	s_wait_loadcnt 0x0
	v_cvt_f32_f16_e32 v1, v1
	s_delay_alu instid0(VALU_DEP_1)
	v_cvt_u32_f32_e32 v7, v1
.LBB355_1241:
	s_cbranch_execnz .LBB355_1261
.LBB355_1242:
	s_cmp_lt_i32 s0, 2
	s_cbranch_scc1 .LBB355_1246
; %bb.1243:
	s_cmp_lt_i32 s0, 3
	s_cbranch_scc1 .LBB355_1247
; %bb.1244:
	s_cmp_gt_i32 s0, 3
	s_cbranch_scc0 .LBB355_1248
; %bb.1245:
	s_wait_loadcnt 0x0
	global_load_b32 v7, v[2:3], off
	s_mov_b32 s9, 0
	s_branch .LBB355_1249
.LBB355_1246:
	s_mov_b32 s9, -1
                                        ; implicit-def: $vgpr7
	s_branch .LBB355_1255
.LBB355_1247:
	s_mov_b32 s9, -1
                                        ; implicit-def: $vgpr7
	s_branch .LBB355_1252
.LBB355_1248:
	s_mov_b32 s9, -1
                                        ; implicit-def: $vgpr7
.LBB355_1249:
	s_delay_alu instid0(SALU_CYCLE_1)
	s_and_not1_b32 vcc_lo, exec_lo, s9
	s_cbranch_vccnz .LBB355_1251
; %bb.1250:
	s_wait_loadcnt 0x0
	global_load_b32 v7, v[2:3], off
.LBB355_1251:
	s_mov_b32 s9, 0
.LBB355_1252:
	s_delay_alu instid0(SALU_CYCLE_1)
	s_and_not1_b32 vcc_lo, exec_lo, s9
	s_cbranch_vccnz .LBB355_1254
; %bb.1253:
	s_wait_loadcnt 0x0
	global_load_i16 v7, v[2:3], off
.LBB355_1254:
	s_mov_b32 s9, 0
.LBB355_1255:
	s_delay_alu instid0(SALU_CYCLE_1)
	s_and_not1_b32 vcc_lo, exec_lo, s9
	s_cbranch_vccnz .LBB355_1261
; %bb.1256:
	s_cmp_gt_i32 s0, 0
	s_mov_b32 s9, 0
	s_cbranch_scc0 .LBB355_1258
; %bb.1257:
	s_wait_loadcnt 0x0
	global_load_i8 v7, v[2:3], off
	s_branch .LBB355_1259
.LBB355_1258:
	s_mov_b32 s9, -1
                                        ; implicit-def: $vgpr7
.LBB355_1259:
	s_delay_alu instid0(SALU_CYCLE_1)
	s_and_not1_b32 vcc_lo, exec_lo, s9
	s_cbranch_vccnz .LBB355_1261
; %bb.1260:
	s_wait_loadcnt 0x0
	global_load_u8 v7, v[2:3], off
.LBB355_1261:
.LBB355_1262:
	v_add_nc_u32_e32 v0, s3, v0
	s_cmp_lt_i32 s0, 11
	s_delay_alu instid0(VALU_DEP_1) | instskip(SKIP_1) | instid1(VALU_DEP_1)
	v_ashrrev_i32_e32 v1, 31, v0
	s_wait_xcnt 0x0
	v_add_nc_u64_e32 v[2:3], s[6:7], v[0:1]
	s_cbranch_scc1 .LBB355_1269
; %bb.1263:
	s_cmp_gt_i32 s0, 25
	s_mov_b32 s14, 0
	s_cbranch_scc0 .LBB355_1271
; %bb.1264:
	s_cmp_gt_i32 s0, 28
	s_cbranch_scc0 .LBB355_1272
; %bb.1265:
	s_cmp_gt_i32 s0, 43
	;; [unrolled: 3-line block ×3, first 2 shown]
	s_cbranch_scc0 .LBB355_1275
; %bb.1267:
	s_cmp_eq_u32 s0, 46
	s_mov_b32 s16, 0
	s_cbranch_scc0 .LBB355_1276
; %bb.1268:
	global_load_b32 v1, v[2:3], off
	s_mov_b32 s9, 0
	s_mov_b32 s15, -1
	s_wait_loadcnt 0x0
	v_lshlrev_b32_e32 v1, 16, v1
	s_delay_alu instid0(VALU_DEP_1)
	v_cvt_u32_f32_e32 v6, v1
	s_branch .LBB355_1278
.LBB355_1269:
	s_mov_b32 s15, 0
                                        ; implicit-def: $vgpr6
	s_cbranch_execnz .LBB355_1340
.LBB355_1270:
	s_and_not1_b32 vcc_lo, exec_lo, s15
	s_cbranch_vccnz .LBB355_1947
	s_branch .LBB355_1388
.LBB355_1271:
	s_mov_b32 s16, -1
	s_mov_b32 s15, 0
	s_mov_b32 s9, 0
                                        ; implicit-def: $vgpr6
	s_branch .LBB355_1305
.LBB355_1272:
	s_mov_b32 s16, -1
	s_mov_b32 s15, 0
	s_mov_b32 s9, 0
                                        ; implicit-def: $vgpr6
	s_branch .LBB355_1288
.LBB355_1273:
	s_mov_b32 s16, -1
	s_mov_b32 s15, 0
	s_mov_b32 s9, 0
                                        ; implicit-def: $vgpr6
	s_branch .LBB355_1283
.LBB355_1274:
	s_or_b32 s1, s1, exec_lo
	s_trap 2
	s_cbranch_execz .LBB355_1213
	s_branch .LBB355_1214
.LBB355_1275:
	s_mov_b32 s16, -1
	s_mov_b32 s15, 0
	s_mov_b32 s9, 0
	s_branch .LBB355_1277
.LBB355_1276:
	s_mov_b32 s9, -1
	s_mov_b32 s15, 0
.LBB355_1277:
                                        ; implicit-def: $vgpr6
.LBB355_1278:
	s_and_b32 vcc_lo, exec_lo, s16
	s_cbranch_vccz .LBB355_1282
; %bb.1279:
	s_cmp_eq_u32 s0, 44
	s_cbranch_scc0 .LBB355_1281
; %bb.1280:
	global_load_u8 v1, v[2:3], off
	s_mov_b32 s9, 0
	s_mov_b32 s15, -1
	s_wait_loadcnt 0x0
	v_lshlrev_b32_e32 v5, 23, v1
	v_cmp_ne_u32_e32 vcc_lo, 0, v1
	s_delay_alu instid0(VALU_DEP_2) | instskip(NEXT) | instid1(VALU_DEP_1)
	v_cvt_u32_f32_e32 v5, v5
	v_cndmask_b32_e32 v6, 0, v5, vcc_lo
	s_branch .LBB355_1282
.LBB355_1281:
	s_mov_b32 s9, -1
                                        ; implicit-def: $vgpr6
.LBB355_1282:
	s_mov_b32 s16, 0
.LBB355_1283:
	s_delay_alu instid0(SALU_CYCLE_1)
	s_and_b32 vcc_lo, exec_lo, s16
	s_cbranch_vccz .LBB355_1287
; %bb.1284:
	s_cmp_eq_u32 s0, 29
	s_cbranch_scc0 .LBB355_1286
; %bb.1285:
	global_load_b32 v6, v[2:3], off
	s_mov_b32 s9, 0
	s_mov_b32 s15, -1
	s_branch .LBB355_1287
.LBB355_1286:
	s_mov_b32 s9, -1
                                        ; implicit-def: $vgpr6
.LBB355_1287:
	s_mov_b32 s16, 0
.LBB355_1288:
	s_delay_alu instid0(SALU_CYCLE_1)
	s_and_b32 vcc_lo, exec_lo, s16
	s_cbranch_vccz .LBB355_1304
; %bb.1289:
	s_cmp_lt_i32 s0, 27
	s_cbranch_scc1 .LBB355_1292
; %bb.1290:
	s_cmp_gt_i32 s0, 27
	s_cbranch_scc0 .LBB355_1293
; %bb.1291:
	s_wait_loadcnt 0x0
	global_load_b32 v6, v[2:3], off
	s_mov_b32 s15, 0
	s_branch .LBB355_1294
.LBB355_1292:
	s_mov_b32 s15, -1
                                        ; implicit-def: $vgpr6
	s_branch .LBB355_1297
.LBB355_1293:
	s_mov_b32 s15, -1
                                        ; implicit-def: $vgpr6
.LBB355_1294:
	s_delay_alu instid0(SALU_CYCLE_1)
	s_and_not1_b32 vcc_lo, exec_lo, s15
	s_cbranch_vccnz .LBB355_1296
; %bb.1295:
	s_wait_loadcnt 0x0
	global_load_u16 v6, v[2:3], off
.LBB355_1296:
	s_mov_b32 s15, 0
.LBB355_1297:
	s_delay_alu instid0(SALU_CYCLE_1)
	s_and_not1_b32 vcc_lo, exec_lo, s15
	s_cbranch_vccnz .LBB355_1303
; %bb.1298:
	global_load_u8 v1, v[2:3], off
	s_mov_b32 s16, 0
	s_mov_b32 s15, exec_lo
	s_wait_loadcnt 0x0
	v_cmpx_lt_i16_e32 0x7f, v1
	s_xor_b32 s15, exec_lo, s15
	s_cbranch_execz .LBB355_1315
; %bb.1299:
	v_cmp_ne_u16_e32 vcc_lo, 0x80, v1
	s_and_b32 s16, vcc_lo, exec_lo
	s_and_not1_saveexec_b32 s15, s15
	s_cbranch_execnz .LBB355_1316
.LBB355_1300:
	s_or_b32 exec_lo, exec_lo, s15
	v_mov_b32_e32 v6, 0
	s_and_saveexec_b32 s15, s16
	s_cbranch_execz .LBB355_1302
.LBB355_1301:
	v_and_b32_e32 v5, 0xffff, v1
	v_lshlrev_b32_e32 v1, 24, v1
	s_delay_alu instid0(VALU_DEP_2) | instskip(SKIP_1) | instid1(VALU_DEP_3)
	v_and_b32_e32 v6, 7, v5
	v_bfe_u32 v11, v5, 3, 4
	v_and_b32_e32 v1, 0x80000000, v1
	s_delay_alu instid0(VALU_DEP_3) | instskip(NEXT) | instid1(VALU_DEP_3)
	v_clz_i32_u32_e32 v9, v6
	v_cmp_eq_u32_e32 vcc_lo, 0, v11
	s_delay_alu instid0(VALU_DEP_2) | instskip(NEXT) | instid1(VALU_DEP_1)
	v_min_u32_e32 v9, 32, v9
	v_subrev_nc_u32_e32 v10, 28, v9
	v_sub_nc_u32_e32 v9, 29, v9
	s_delay_alu instid0(VALU_DEP_2) | instskip(NEXT) | instid1(VALU_DEP_2)
	v_lshlrev_b32_e32 v5, v10, v5
	v_cndmask_b32_e32 v9, v11, v9, vcc_lo
	s_delay_alu instid0(VALU_DEP_2) | instskip(NEXT) | instid1(VALU_DEP_1)
	v_and_b32_e32 v5, 7, v5
	v_cndmask_b32_e32 v5, v6, v5, vcc_lo
	s_delay_alu instid0(VALU_DEP_3) | instskip(NEXT) | instid1(VALU_DEP_2)
	v_lshl_add_u32 v6, v9, 23, 0x3b800000
	v_lshlrev_b32_e32 v5, 20, v5
	s_delay_alu instid0(VALU_DEP_1) | instskip(NEXT) | instid1(VALU_DEP_1)
	v_or3_b32 v1, v1, v6, v5
	v_cvt_u32_f32_e32 v6, v1
.LBB355_1302:
	s_or_b32 exec_lo, exec_lo, s15
.LBB355_1303:
	s_mov_b32 s15, -1
.LBB355_1304:
	s_mov_b32 s16, 0
.LBB355_1305:
	s_delay_alu instid0(SALU_CYCLE_1)
	s_and_b32 vcc_lo, exec_lo, s16
	s_cbranch_vccz .LBB355_1336
; %bb.1306:
	s_cmp_gt_i32 s0, 22
	s_cbranch_scc0 .LBB355_1314
; %bb.1307:
	s_cmp_lt_i32 s0, 24
	s_cbranch_scc1 .LBB355_1317
; %bb.1308:
	s_cmp_gt_i32 s0, 24
	s_cbranch_scc0 .LBB355_1318
; %bb.1309:
	global_load_u8 v1, v[2:3], off
	s_mov_b32 s15, 0
	s_mov_b32 s14, exec_lo
	s_wait_loadcnt 0x0
	v_cmpx_lt_i16_e32 0x7f, v1
	s_xor_b32 s14, exec_lo, s14
	s_cbranch_execz .LBB355_1330
; %bb.1310:
	v_cmp_ne_u16_e32 vcc_lo, 0x80, v1
	s_and_b32 s15, vcc_lo, exec_lo
	s_and_not1_saveexec_b32 s14, s14
	s_cbranch_execnz .LBB355_1331
.LBB355_1311:
	s_or_b32 exec_lo, exec_lo, s14
	v_mov_b32_e32 v6, 0
	s_and_saveexec_b32 s14, s15
	s_cbranch_execz .LBB355_1313
.LBB355_1312:
	v_and_b32_e32 v5, 0xffff, v1
	v_lshlrev_b32_e32 v1, 24, v1
	s_delay_alu instid0(VALU_DEP_2) | instskip(SKIP_1) | instid1(VALU_DEP_3)
	v_and_b32_e32 v6, 3, v5
	v_bfe_u32 v11, v5, 2, 5
	v_and_b32_e32 v1, 0x80000000, v1
	s_delay_alu instid0(VALU_DEP_3) | instskip(NEXT) | instid1(VALU_DEP_3)
	v_clz_i32_u32_e32 v9, v6
	v_cmp_eq_u32_e32 vcc_lo, 0, v11
	s_delay_alu instid0(VALU_DEP_2) | instskip(NEXT) | instid1(VALU_DEP_1)
	v_min_u32_e32 v9, 32, v9
	v_subrev_nc_u32_e32 v10, 29, v9
	v_sub_nc_u32_e32 v9, 30, v9
	s_delay_alu instid0(VALU_DEP_2) | instskip(NEXT) | instid1(VALU_DEP_2)
	v_lshlrev_b32_e32 v5, v10, v5
	v_cndmask_b32_e32 v9, v11, v9, vcc_lo
	s_delay_alu instid0(VALU_DEP_2) | instskip(NEXT) | instid1(VALU_DEP_1)
	v_and_b32_e32 v5, 3, v5
	v_cndmask_b32_e32 v5, v6, v5, vcc_lo
	s_delay_alu instid0(VALU_DEP_3) | instskip(NEXT) | instid1(VALU_DEP_2)
	v_lshl_add_u32 v6, v9, 23, 0x37800000
	v_lshlrev_b32_e32 v5, 21, v5
	s_delay_alu instid0(VALU_DEP_1) | instskip(NEXT) | instid1(VALU_DEP_1)
	v_or3_b32 v1, v1, v6, v5
	v_cvt_u32_f32_e32 v6, v1
.LBB355_1313:
	s_or_b32 exec_lo, exec_lo, s14
	s_mov_b32 s14, 0
	s_branch .LBB355_1319
.LBB355_1314:
	s_mov_b32 s14, -1
                                        ; implicit-def: $vgpr6
	s_branch .LBB355_1325
.LBB355_1315:
	s_and_not1_saveexec_b32 s15, s15
	s_cbranch_execz .LBB355_1300
.LBB355_1316:
	v_cmp_ne_u16_e32 vcc_lo, 0, v1
	s_and_not1_b32 s16, s16, exec_lo
	s_and_b32 s17, vcc_lo, exec_lo
	s_delay_alu instid0(SALU_CYCLE_1)
	s_or_b32 s16, s16, s17
	s_or_b32 exec_lo, exec_lo, s15
	v_mov_b32_e32 v6, 0
	s_and_saveexec_b32 s15, s16
	s_cbranch_execnz .LBB355_1301
	s_branch .LBB355_1302
.LBB355_1317:
	s_mov_b32 s14, -1
                                        ; implicit-def: $vgpr6
	s_branch .LBB355_1322
.LBB355_1318:
	s_mov_b32 s14, -1
                                        ; implicit-def: $vgpr6
.LBB355_1319:
	s_delay_alu instid0(SALU_CYCLE_1)
	s_and_b32 vcc_lo, exec_lo, s14
	s_cbranch_vccz .LBB355_1321
; %bb.1320:
	global_load_u8 v1, v[2:3], off
	s_wait_loadcnt 0x0
	v_lshlrev_b32_e32 v1, 24, v1
	s_delay_alu instid0(VALU_DEP_1) | instskip(NEXT) | instid1(VALU_DEP_1)
	v_and_b32_e32 v5, 0x7f000000, v1
	v_clz_i32_u32_e32 v6, v5
	v_cmp_ne_u32_e32 vcc_lo, 0, v5
	v_add_nc_u32_e32 v10, 0x1000000, v5
	s_delay_alu instid0(VALU_DEP_3) | instskip(NEXT) | instid1(VALU_DEP_1)
	v_min_u32_e32 v6, 32, v6
	v_sub_nc_u32_e64 v6, v6, 4 clamp
	s_delay_alu instid0(VALU_DEP_1) | instskip(NEXT) | instid1(VALU_DEP_1)
	v_dual_lshlrev_b32 v9, v6, v5 :: v_dual_lshlrev_b32 v6, 23, v6
	v_lshrrev_b32_e32 v9, 4, v9
	s_delay_alu instid0(VALU_DEP_1) | instskip(SKIP_1) | instid1(VALU_DEP_2)
	v_sub_nc_u32_e32 v6, v9, v6
	v_ashrrev_i32_e32 v9, 8, v10
	v_add_nc_u32_e32 v6, 0x3c000000, v6
	s_delay_alu instid0(VALU_DEP_1) | instskip(NEXT) | instid1(VALU_DEP_1)
	v_and_or_b32 v6, 0x7f800000, v9, v6
	v_cndmask_b32_e32 v5, 0, v6, vcc_lo
	s_delay_alu instid0(VALU_DEP_1) | instskip(NEXT) | instid1(VALU_DEP_1)
	v_and_or_b32 v1, 0x80000000, v1, v5
	v_cvt_u32_f32_e32 v6, v1
.LBB355_1321:
	s_mov_b32 s14, 0
.LBB355_1322:
	s_delay_alu instid0(SALU_CYCLE_1)
	s_and_not1_b32 vcc_lo, exec_lo, s14
	s_cbranch_vccnz .LBB355_1324
; %bb.1323:
	global_load_u8 v1, v[2:3], off
	s_wait_loadcnt 0x0
	v_lshlrev_b32_e32 v5, 25, v1
	v_lshlrev_b16 v1, 8, v1
	s_delay_alu instid0(VALU_DEP_2) | instskip(NEXT) | instid1(VALU_DEP_2)
	v_lshrrev_b32_e32 v6, 4, v5
	v_and_or_b32 v9, 0x7f00, v1, 0.5
	v_bfe_i32 v1, v1, 0, 16
	s_delay_alu instid0(VALU_DEP_3) | instskip(NEXT) | instid1(VALU_DEP_1)
	v_or_b32_e32 v6, 0x70000000, v6
	v_dual_add_f32 v9, -0.5, v9 :: v_dual_mul_f32 v6, 0x7800000, v6
	v_cmp_gt_u32_e32 vcc_lo, 0x8000000, v5
	s_delay_alu instid0(VALU_DEP_2) | instskip(NEXT) | instid1(VALU_DEP_1)
	v_cndmask_b32_e32 v5, v6, v9, vcc_lo
	v_and_or_b32 v1, 0x80000000, v1, v5
	s_delay_alu instid0(VALU_DEP_1)
	v_cvt_u32_f32_e32 v6, v1
.LBB355_1324:
	s_mov_b32 s14, 0
	s_mov_b32 s15, -1
.LBB355_1325:
	s_and_not1_b32 vcc_lo, exec_lo, s14
	s_mov_b32 s14, 0
	s_cbranch_vccnz .LBB355_1336
; %bb.1326:
	s_cmp_gt_i32 s0, 14
	s_cbranch_scc0 .LBB355_1329
; %bb.1327:
	s_cmp_eq_u32 s0, 15
	s_cbranch_scc0 .LBB355_1332
; %bb.1328:
	global_load_u16 v1, v[2:3], off
	s_mov_b32 s9, 0
	s_mov_b32 s15, -1
	s_wait_loadcnt 0x0
	v_lshlrev_b32_e32 v1, 16, v1
	s_delay_alu instid0(VALU_DEP_1)
	v_cvt_u32_f32_e32 v6, v1
	s_branch .LBB355_1334
.LBB355_1329:
	s_mov_b32 s14, -1
	s_branch .LBB355_1333
.LBB355_1330:
	s_and_not1_saveexec_b32 s14, s14
	s_cbranch_execz .LBB355_1311
.LBB355_1331:
	v_cmp_ne_u16_e32 vcc_lo, 0, v1
	s_and_not1_b32 s15, s15, exec_lo
	s_and_b32 s16, vcc_lo, exec_lo
	s_delay_alu instid0(SALU_CYCLE_1)
	s_or_b32 s15, s15, s16
	s_or_b32 exec_lo, exec_lo, s14
	v_mov_b32_e32 v6, 0
	s_and_saveexec_b32 s14, s15
	s_cbranch_execnz .LBB355_1312
	s_branch .LBB355_1313
.LBB355_1332:
	s_mov_b32 s9, -1
.LBB355_1333:
                                        ; implicit-def: $vgpr6
.LBB355_1334:
	s_and_b32 vcc_lo, exec_lo, s14
	s_mov_b32 s14, 0
	s_cbranch_vccz .LBB355_1336
; %bb.1335:
	s_cmp_lg_u32 s0, 11
	s_mov_b32 s14, -1
	s_cselect_b32 s9, -1, 0
.LBB355_1336:
	s_delay_alu instid0(SALU_CYCLE_1)
	s_and_b32 vcc_lo, exec_lo, s9
	s_cbranch_vccnz .LBB355_1399
; %bb.1337:
	s_and_not1_b32 vcc_lo, exec_lo, s14
	s_cbranch_vccnz .LBB355_1339
.LBB355_1338:
	global_load_u8 v1, v[2:3], off
	s_mov_b32 s15, -1
	s_wait_loadcnt 0x0
	v_cmp_ne_u16_e32 vcc_lo, 0, v1
	v_cndmask_b32_e64 v6, 0, 1, vcc_lo
.LBB355_1339:
	s_branch .LBB355_1270
.LBB355_1340:
	s_cmp_lt_i32 s0, 5
	s_cbranch_scc1 .LBB355_1345
; %bb.1341:
	s_cmp_lt_i32 s0, 8
	s_cbranch_scc1 .LBB355_1346
; %bb.1342:
	;; [unrolled: 3-line block ×3, first 2 shown]
	s_cmp_gt_i32 s0, 9
	s_cbranch_scc0 .LBB355_1348
; %bb.1344:
	global_load_b64 v[10:11], v[2:3], off
	s_mov_b32 s9, 0
	s_wait_loadcnt 0x0
	v_cvt_u32_f64_e32 v6, v[10:11]
	s_branch .LBB355_1349
.LBB355_1345:
	s_mov_b32 s9, -1
                                        ; implicit-def: $vgpr6
	s_branch .LBB355_1367
.LBB355_1346:
	s_mov_b32 s9, -1
                                        ; implicit-def: $vgpr6
	s_branch .LBB355_1355
.LBB355_1347:
	s_mov_b32 s9, -1
                                        ; implicit-def: $vgpr6
	s_branch .LBB355_1352
.LBB355_1348:
	s_mov_b32 s9, -1
                                        ; implicit-def: $vgpr6
.LBB355_1349:
	s_delay_alu instid0(SALU_CYCLE_1)
	s_and_not1_b32 vcc_lo, exec_lo, s9
	s_cbranch_vccnz .LBB355_1351
; %bb.1350:
	global_load_b32 v1, v[2:3], off
	s_wait_loadcnt 0x0
	v_cvt_u32_f32_e32 v6, v1
.LBB355_1351:
	s_mov_b32 s9, 0
.LBB355_1352:
	s_delay_alu instid0(SALU_CYCLE_1)
	s_and_not1_b32 vcc_lo, exec_lo, s9
	s_cbranch_vccnz .LBB355_1354
; %bb.1353:
	global_load_b32 v1, v[2:3], off
	s_wait_loadcnt 0x0
	v_cvt_f32_f16_e32 v1, v1
	s_delay_alu instid0(VALU_DEP_1)
	v_cvt_u32_f32_e32 v6, v1
.LBB355_1354:
	s_mov_b32 s9, 0
.LBB355_1355:
	s_delay_alu instid0(SALU_CYCLE_1)
	s_and_not1_b32 vcc_lo, exec_lo, s9
	s_cbranch_vccnz .LBB355_1366
; %bb.1356:
	s_cmp_lt_i32 s0, 6
	s_cbranch_scc1 .LBB355_1359
; %bb.1357:
	s_cmp_gt_i32 s0, 6
	s_cbranch_scc0 .LBB355_1360
; %bb.1358:
	global_load_b64 v[10:11], v[2:3], off
	s_mov_b32 s9, 0
	s_wait_loadcnt 0x0
	v_cvt_u32_f64_e32 v6, v[10:11]
	s_branch .LBB355_1361
.LBB355_1359:
	s_mov_b32 s9, -1
                                        ; implicit-def: $vgpr6
	s_branch .LBB355_1364
.LBB355_1360:
	s_mov_b32 s9, -1
                                        ; implicit-def: $vgpr6
.LBB355_1361:
	s_delay_alu instid0(SALU_CYCLE_1)
	s_and_not1_b32 vcc_lo, exec_lo, s9
	s_cbranch_vccnz .LBB355_1363
; %bb.1362:
	global_load_b32 v1, v[2:3], off
	s_wait_loadcnt 0x0
	v_cvt_u32_f32_e32 v6, v1
.LBB355_1363:
	s_mov_b32 s9, 0
.LBB355_1364:
	s_delay_alu instid0(SALU_CYCLE_1)
	s_and_not1_b32 vcc_lo, exec_lo, s9
	s_cbranch_vccnz .LBB355_1366
; %bb.1365:
	global_load_u16 v1, v[2:3], off
	s_wait_loadcnt 0x0
	v_cvt_f32_f16_e32 v1, v1
	s_delay_alu instid0(VALU_DEP_1)
	v_cvt_u32_f32_e32 v6, v1
.LBB355_1366:
	s_mov_b32 s9, 0
.LBB355_1367:
	s_delay_alu instid0(SALU_CYCLE_1)
	s_and_not1_b32 vcc_lo, exec_lo, s9
	s_cbranch_vccnz .LBB355_1387
; %bb.1368:
	s_cmp_lt_i32 s0, 2
	s_cbranch_scc1 .LBB355_1372
; %bb.1369:
	s_cmp_lt_i32 s0, 3
	s_cbranch_scc1 .LBB355_1373
; %bb.1370:
	s_cmp_gt_i32 s0, 3
	s_cbranch_scc0 .LBB355_1374
; %bb.1371:
	s_wait_loadcnt 0x0
	global_load_b32 v6, v[2:3], off
	s_mov_b32 s9, 0
	s_branch .LBB355_1375
.LBB355_1372:
	s_mov_b32 s9, -1
                                        ; implicit-def: $vgpr6
	s_branch .LBB355_1381
.LBB355_1373:
	s_mov_b32 s9, -1
                                        ; implicit-def: $vgpr6
	s_branch .LBB355_1378
.LBB355_1374:
	s_mov_b32 s9, -1
                                        ; implicit-def: $vgpr6
.LBB355_1375:
	s_delay_alu instid0(SALU_CYCLE_1)
	s_and_not1_b32 vcc_lo, exec_lo, s9
	s_cbranch_vccnz .LBB355_1377
; %bb.1376:
	s_wait_loadcnt 0x0
	global_load_b32 v6, v[2:3], off
.LBB355_1377:
	s_mov_b32 s9, 0
.LBB355_1378:
	s_delay_alu instid0(SALU_CYCLE_1)
	s_and_not1_b32 vcc_lo, exec_lo, s9
	s_cbranch_vccnz .LBB355_1380
; %bb.1379:
	s_wait_loadcnt 0x0
	global_load_i16 v6, v[2:3], off
.LBB355_1380:
	s_mov_b32 s9, 0
.LBB355_1381:
	s_delay_alu instid0(SALU_CYCLE_1)
	s_and_not1_b32 vcc_lo, exec_lo, s9
	s_cbranch_vccnz .LBB355_1387
; %bb.1382:
	s_cmp_gt_i32 s0, 0
	s_mov_b32 s9, 0
	s_cbranch_scc0 .LBB355_1384
; %bb.1383:
	s_wait_loadcnt 0x0
	global_load_i8 v6, v[2:3], off
	s_branch .LBB355_1385
.LBB355_1384:
	s_mov_b32 s9, -1
                                        ; implicit-def: $vgpr6
.LBB355_1385:
	s_delay_alu instid0(SALU_CYCLE_1)
	s_and_not1_b32 vcc_lo, exec_lo, s9
	s_cbranch_vccnz .LBB355_1387
; %bb.1386:
	s_wait_loadcnt 0x0
	global_load_u8 v6, v[2:3], off
.LBB355_1387:
.LBB355_1388:
	v_add_nc_u32_e32 v0, s3, v0
	s_cmp_lt_i32 s0, 11
	s_delay_alu instid0(VALU_DEP_1) | instskip(NEXT) | instid1(VALU_DEP_1)
	v_ashrrev_i32_e32 v1, 31, v0
	v_add_nc_u64_e32 v[0:1], s[6:7], v[0:1]
	s_cbranch_scc1 .LBB355_1395
; %bb.1389:
	s_cmp_gt_i32 s0, 25
	s_mov_b32 s6, 0
	s_cbranch_scc0 .LBB355_1396
; %bb.1390:
	s_cmp_gt_i32 s0, 28
	s_cbranch_scc0 .LBB355_1397
; %bb.1391:
	s_cmp_gt_i32 s0, 43
	;; [unrolled: 3-line block ×3, first 2 shown]
	s_cbranch_scc0 .LBB355_1400
; %bb.1393:
	s_cmp_eq_u32 s0, 46
	s_mov_b32 s9, 0
	s_cbranch_scc0 .LBB355_1401
; %bb.1394:
	global_load_b32 v2, v[0:1], off
	s_mov_b32 s3, 0
	s_mov_b32 s7, -1
	s_wait_loadcnt 0x0
	v_lshlrev_b32_e32 v2, 16, v2
	s_delay_alu instid0(VALU_DEP_1)
	v_cvt_u32_f32_e32 v5, v2
	s_branch .LBB355_1403
.LBB355_1395:
	s_mov_b32 s3, -1
	s_mov_b32 s7, 0
                                        ; implicit-def: $vgpr5
	s_branch .LBB355_1465
.LBB355_1396:
	s_mov_b32 s9, -1
	s_mov_b32 s7, 0
	s_mov_b32 s3, 0
                                        ; implicit-def: $vgpr5
	s_branch .LBB355_1430
.LBB355_1397:
	s_mov_b32 s9, -1
	s_mov_b32 s7, 0
	s_mov_b32 s3, 0
                                        ; implicit-def: $vgpr5
	s_branch .LBB355_1413
.LBB355_1398:
	s_mov_b32 s9, -1
	s_mov_b32 s7, 0
	s_mov_b32 s3, 0
                                        ; implicit-def: $vgpr5
	s_branch .LBB355_1408
.LBB355_1399:
	s_or_b32 s1, s1, exec_lo
	s_trap 2
	s_cbranch_execz .LBB355_1338
	s_branch .LBB355_1339
.LBB355_1400:
	s_mov_b32 s9, -1
	s_mov_b32 s7, 0
	s_mov_b32 s3, 0
	s_branch .LBB355_1402
.LBB355_1401:
	s_mov_b32 s3, -1
	s_mov_b32 s7, 0
.LBB355_1402:
                                        ; implicit-def: $vgpr5
.LBB355_1403:
	s_and_b32 vcc_lo, exec_lo, s9
	s_cbranch_vccz .LBB355_1407
; %bb.1404:
	s_cmp_eq_u32 s0, 44
	s_cbranch_scc0 .LBB355_1406
; %bb.1405:
	global_load_u8 v2, v[0:1], off
	s_mov_b32 s3, 0
	s_mov_b32 s7, -1
	s_wait_loadcnt 0x0
	v_lshlrev_b32_e32 v3, 23, v2
	v_cmp_ne_u32_e32 vcc_lo, 0, v2
	s_delay_alu instid0(VALU_DEP_2) | instskip(NEXT) | instid1(VALU_DEP_1)
	v_cvt_u32_f32_e32 v3, v3
	v_cndmask_b32_e32 v5, 0, v3, vcc_lo
	s_branch .LBB355_1407
.LBB355_1406:
	s_mov_b32 s3, -1
                                        ; implicit-def: $vgpr5
.LBB355_1407:
	s_mov_b32 s9, 0
.LBB355_1408:
	s_delay_alu instid0(SALU_CYCLE_1)
	s_and_b32 vcc_lo, exec_lo, s9
	s_cbranch_vccz .LBB355_1412
; %bb.1409:
	s_cmp_eq_u32 s0, 29
	s_cbranch_scc0 .LBB355_1411
; %bb.1410:
	global_load_b32 v5, v[0:1], off
	s_mov_b32 s3, 0
	s_mov_b32 s7, -1
	s_branch .LBB355_1412
.LBB355_1411:
	s_mov_b32 s3, -1
                                        ; implicit-def: $vgpr5
.LBB355_1412:
	s_mov_b32 s9, 0
.LBB355_1413:
	s_delay_alu instid0(SALU_CYCLE_1)
	s_and_b32 vcc_lo, exec_lo, s9
	s_cbranch_vccz .LBB355_1429
; %bb.1414:
	s_cmp_lt_i32 s0, 27
	s_cbranch_scc1 .LBB355_1417
; %bb.1415:
	s_cmp_gt_i32 s0, 27
	s_cbranch_scc0 .LBB355_1418
; %bb.1416:
	s_wait_loadcnt 0x0
	global_load_b32 v5, v[0:1], off
	s_mov_b32 s7, 0
	s_branch .LBB355_1419
.LBB355_1417:
	s_mov_b32 s7, -1
                                        ; implicit-def: $vgpr5
	s_branch .LBB355_1422
.LBB355_1418:
	s_mov_b32 s7, -1
                                        ; implicit-def: $vgpr5
.LBB355_1419:
	s_delay_alu instid0(SALU_CYCLE_1)
	s_and_not1_b32 vcc_lo, exec_lo, s7
	s_cbranch_vccnz .LBB355_1421
; %bb.1420:
	s_wait_loadcnt 0x0
	global_load_u16 v5, v[0:1], off
.LBB355_1421:
	s_mov_b32 s7, 0
.LBB355_1422:
	s_delay_alu instid0(SALU_CYCLE_1)
	s_and_not1_b32 vcc_lo, exec_lo, s7
	s_cbranch_vccnz .LBB355_1428
; %bb.1423:
	global_load_u8 v2, v[0:1], off
	s_mov_b32 s9, 0
	s_mov_b32 s7, exec_lo
	s_wait_loadcnt 0x0
	v_cmpx_lt_i16_e32 0x7f, v2
	s_xor_b32 s7, exec_lo, s7
	s_cbranch_execz .LBB355_1440
; %bb.1424:
	v_cmp_ne_u16_e32 vcc_lo, 0x80, v2
	s_and_b32 s9, vcc_lo, exec_lo
	s_and_not1_saveexec_b32 s7, s7
	s_cbranch_execnz .LBB355_1441
.LBB355_1425:
	s_or_b32 exec_lo, exec_lo, s7
	v_mov_b32_e32 v5, 0
	s_and_saveexec_b32 s7, s9
	s_cbranch_execz .LBB355_1427
.LBB355_1426:
	v_and_b32_e32 v3, 0xffff, v2
	s_delay_alu instid0(VALU_DEP_1) | instskip(SKIP_1) | instid1(VALU_DEP_2)
	v_and_b32_e32 v5, 7, v3
	v_bfe_u32 v11, v3, 3, 4
	v_clz_i32_u32_e32 v9, v5
	s_delay_alu instid0(VALU_DEP_2) | instskip(NEXT) | instid1(VALU_DEP_2)
	v_cmp_eq_u32_e32 vcc_lo, 0, v11
	v_min_u32_e32 v9, 32, v9
	s_delay_alu instid0(VALU_DEP_1) | instskip(NEXT) | instid1(VALU_DEP_1)
	v_subrev_nc_u32_e32 v10, 28, v9
	v_dual_lshlrev_b32 v3, v10, v3 :: v_dual_sub_nc_u32 v9, 29, v9
	s_delay_alu instid0(VALU_DEP_1) | instskip(NEXT) | instid1(VALU_DEP_1)
	v_dual_lshlrev_b32 v2, 24, v2 :: v_dual_bitop2_b32 v3, 7, v3 bitop3:0x40
	v_dual_cndmask_b32 v9, v11, v9, vcc_lo :: v_dual_cndmask_b32 v3, v5, v3, vcc_lo
	s_delay_alu instid0(VALU_DEP_2) | instskip(NEXT) | instid1(VALU_DEP_2)
	v_and_b32_e32 v2, 0x80000000, v2
	v_lshl_add_u32 v5, v9, 23, 0x3b800000
	s_delay_alu instid0(VALU_DEP_3) | instskip(NEXT) | instid1(VALU_DEP_1)
	v_lshlrev_b32_e32 v3, 20, v3
	v_or3_b32 v2, v2, v5, v3
	s_delay_alu instid0(VALU_DEP_1)
	v_cvt_u32_f32_e32 v5, v2
.LBB355_1427:
	s_or_b32 exec_lo, exec_lo, s7
.LBB355_1428:
	s_mov_b32 s7, -1
.LBB355_1429:
	s_mov_b32 s9, 0
.LBB355_1430:
	s_delay_alu instid0(SALU_CYCLE_1)
	s_and_b32 vcc_lo, exec_lo, s9
	s_cbranch_vccz .LBB355_1461
; %bb.1431:
	s_cmp_gt_i32 s0, 22
	s_cbranch_scc0 .LBB355_1439
; %bb.1432:
	s_cmp_lt_i32 s0, 24
	s_cbranch_scc1 .LBB355_1442
; %bb.1433:
	s_cmp_gt_i32 s0, 24
	s_cbranch_scc0 .LBB355_1443
; %bb.1434:
	global_load_u8 v2, v[0:1], off
	s_mov_b32 s7, 0
	s_mov_b32 s6, exec_lo
	s_wait_loadcnt 0x0
	v_cmpx_lt_i16_e32 0x7f, v2
	s_xor_b32 s6, exec_lo, s6
	s_cbranch_execz .LBB355_1455
; %bb.1435:
	v_cmp_ne_u16_e32 vcc_lo, 0x80, v2
	s_and_b32 s7, vcc_lo, exec_lo
	s_and_not1_saveexec_b32 s6, s6
	s_cbranch_execnz .LBB355_1456
.LBB355_1436:
	s_or_b32 exec_lo, exec_lo, s6
	v_mov_b32_e32 v5, 0
	s_and_saveexec_b32 s6, s7
	s_cbranch_execz .LBB355_1438
.LBB355_1437:
	v_and_b32_e32 v3, 0xffff, v2
	s_delay_alu instid0(VALU_DEP_1) | instskip(SKIP_1) | instid1(VALU_DEP_2)
	v_and_b32_e32 v5, 3, v3
	v_bfe_u32 v11, v3, 2, 5
	v_clz_i32_u32_e32 v9, v5
	s_delay_alu instid0(VALU_DEP_2) | instskip(NEXT) | instid1(VALU_DEP_2)
	v_cmp_eq_u32_e32 vcc_lo, 0, v11
	v_min_u32_e32 v9, 32, v9
	s_delay_alu instid0(VALU_DEP_1) | instskip(NEXT) | instid1(VALU_DEP_1)
	v_subrev_nc_u32_e32 v10, 29, v9
	v_dual_lshlrev_b32 v3, v10, v3 :: v_dual_sub_nc_u32 v9, 30, v9
	s_delay_alu instid0(VALU_DEP_1) | instskip(NEXT) | instid1(VALU_DEP_1)
	v_dual_lshlrev_b32 v2, 24, v2 :: v_dual_bitop2_b32 v3, 3, v3 bitop3:0x40
	v_dual_cndmask_b32 v9, v11, v9, vcc_lo :: v_dual_cndmask_b32 v3, v5, v3, vcc_lo
	s_delay_alu instid0(VALU_DEP_2) | instskip(NEXT) | instid1(VALU_DEP_2)
	v_and_b32_e32 v2, 0x80000000, v2
	v_lshl_add_u32 v5, v9, 23, 0x37800000
	s_delay_alu instid0(VALU_DEP_3) | instskip(NEXT) | instid1(VALU_DEP_1)
	v_lshlrev_b32_e32 v3, 21, v3
	v_or3_b32 v2, v2, v5, v3
	s_delay_alu instid0(VALU_DEP_1)
	v_cvt_u32_f32_e32 v5, v2
.LBB355_1438:
	s_or_b32 exec_lo, exec_lo, s6
	s_mov_b32 s6, 0
	s_branch .LBB355_1444
.LBB355_1439:
	s_mov_b32 s6, -1
                                        ; implicit-def: $vgpr5
	s_branch .LBB355_1450
.LBB355_1440:
	s_and_not1_saveexec_b32 s7, s7
	s_cbranch_execz .LBB355_1425
.LBB355_1441:
	v_cmp_ne_u16_e32 vcc_lo, 0, v2
	s_and_not1_b32 s9, s9, exec_lo
	s_and_b32 s14, vcc_lo, exec_lo
	s_delay_alu instid0(SALU_CYCLE_1)
	s_or_b32 s9, s9, s14
	s_or_b32 exec_lo, exec_lo, s7
	v_mov_b32_e32 v5, 0
	s_and_saveexec_b32 s7, s9
	s_cbranch_execnz .LBB355_1426
	s_branch .LBB355_1427
.LBB355_1442:
	s_mov_b32 s6, -1
                                        ; implicit-def: $vgpr5
	s_branch .LBB355_1447
.LBB355_1443:
	s_mov_b32 s6, -1
                                        ; implicit-def: $vgpr5
.LBB355_1444:
	s_delay_alu instid0(SALU_CYCLE_1)
	s_and_b32 vcc_lo, exec_lo, s6
	s_cbranch_vccz .LBB355_1446
; %bb.1445:
	global_load_u8 v2, v[0:1], off
	s_wait_loadcnt 0x0
	v_lshlrev_b32_e32 v2, 24, v2
	s_delay_alu instid0(VALU_DEP_1) | instskip(NEXT) | instid1(VALU_DEP_1)
	v_and_b32_e32 v3, 0x7f000000, v2
	v_clz_i32_u32_e32 v5, v3
	v_cmp_ne_u32_e32 vcc_lo, 0, v3
	v_add_nc_u32_e32 v10, 0x1000000, v3
	s_delay_alu instid0(VALU_DEP_3) | instskip(NEXT) | instid1(VALU_DEP_1)
	v_min_u32_e32 v5, 32, v5
	v_sub_nc_u32_e64 v5, v5, 4 clamp
	s_delay_alu instid0(VALU_DEP_1) | instskip(NEXT) | instid1(VALU_DEP_1)
	v_dual_lshlrev_b32 v9, v5, v3 :: v_dual_lshlrev_b32 v5, 23, v5
	v_lshrrev_b32_e32 v9, 4, v9
	s_delay_alu instid0(VALU_DEP_1) | instskip(NEXT) | instid1(VALU_DEP_1)
	v_dual_sub_nc_u32 v5, v9, v5 :: v_dual_ashrrev_i32 v9, 8, v10
	v_add_nc_u32_e32 v5, 0x3c000000, v5
	s_delay_alu instid0(VALU_DEP_1) | instskip(NEXT) | instid1(VALU_DEP_1)
	v_and_or_b32 v5, 0x7f800000, v9, v5
	v_cndmask_b32_e32 v3, 0, v5, vcc_lo
	s_delay_alu instid0(VALU_DEP_1) | instskip(NEXT) | instid1(VALU_DEP_1)
	v_and_or_b32 v2, 0x80000000, v2, v3
	v_cvt_u32_f32_e32 v5, v2
.LBB355_1446:
	s_mov_b32 s6, 0
.LBB355_1447:
	s_delay_alu instid0(SALU_CYCLE_1)
	s_and_not1_b32 vcc_lo, exec_lo, s6
	s_cbranch_vccnz .LBB355_1449
; %bb.1448:
	global_load_u8 v2, v[0:1], off
	s_wait_loadcnt 0x0
	v_lshlrev_b32_e32 v3, 25, v2
	v_lshlrev_b16 v2, 8, v2
	s_delay_alu instid0(VALU_DEP_1) | instskip(SKIP_1) | instid1(VALU_DEP_2)
	v_and_or_b32 v9, 0x7f00, v2, 0.5
	v_bfe_i32 v2, v2, 0, 16
	v_dual_add_f32 v9, -0.5, v9 :: v_dual_lshrrev_b32 v5, 4, v3
	v_cmp_gt_u32_e32 vcc_lo, 0x8000000, v3
	s_delay_alu instid0(VALU_DEP_2) | instskip(NEXT) | instid1(VALU_DEP_1)
	v_or_b32_e32 v5, 0x70000000, v5
	v_mul_f32_e32 v5, 0x7800000, v5
	s_delay_alu instid0(VALU_DEP_1) | instskip(NEXT) | instid1(VALU_DEP_1)
	v_cndmask_b32_e32 v3, v5, v9, vcc_lo
	v_and_or_b32 v2, 0x80000000, v2, v3
	s_delay_alu instid0(VALU_DEP_1)
	v_cvt_u32_f32_e32 v5, v2
.LBB355_1449:
	s_mov_b32 s6, 0
	s_mov_b32 s7, -1
.LBB355_1450:
	s_and_not1_b32 vcc_lo, exec_lo, s6
	s_mov_b32 s6, 0
	s_cbranch_vccnz .LBB355_1461
; %bb.1451:
	s_cmp_gt_i32 s0, 14
	s_cbranch_scc0 .LBB355_1454
; %bb.1452:
	s_cmp_eq_u32 s0, 15
	s_cbranch_scc0 .LBB355_1457
; %bb.1453:
	global_load_u16 v2, v[0:1], off
	s_mov_b32 s3, 0
	s_mov_b32 s7, -1
	s_wait_loadcnt 0x0
	v_lshlrev_b32_e32 v2, 16, v2
	s_delay_alu instid0(VALU_DEP_1)
	v_cvt_u32_f32_e32 v5, v2
	s_branch .LBB355_1459
.LBB355_1454:
	s_mov_b32 s6, -1
	s_branch .LBB355_1458
.LBB355_1455:
	s_and_not1_saveexec_b32 s6, s6
	s_cbranch_execz .LBB355_1436
.LBB355_1456:
	v_cmp_ne_u16_e32 vcc_lo, 0, v2
	s_and_not1_b32 s7, s7, exec_lo
	s_and_b32 s9, vcc_lo, exec_lo
	s_delay_alu instid0(SALU_CYCLE_1)
	s_or_b32 s7, s7, s9
	s_or_b32 exec_lo, exec_lo, s6
	v_mov_b32_e32 v5, 0
	s_and_saveexec_b32 s6, s7
	s_cbranch_execnz .LBB355_1437
	s_branch .LBB355_1438
.LBB355_1457:
	s_mov_b32 s3, -1
.LBB355_1458:
                                        ; implicit-def: $vgpr5
.LBB355_1459:
	s_and_b32 vcc_lo, exec_lo, s6
	s_mov_b32 s6, 0
	s_cbranch_vccz .LBB355_1461
; %bb.1460:
	s_cmp_lg_u32 s0, 11
	s_mov_b32 s6, -1
	s_cselect_b32 s3, -1, 0
.LBB355_1461:
	s_delay_alu instid0(SALU_CYCLE_1)
	s_and_b32 vcc_lo, exec_lo, s3
	s_cbranch_vccnz .LBB355_1993
; %bb.1462:
	s_and_not1_b32 vcc_lo, exec_lo, s6
	s_cbranch_vccnz .LBB355_1464
.LBB355_1463:
	global_load_u8 v2, v[0:1], off
	s_mov_b32 s7, -1
	s_wait_loadcnt 0x0
	v_cmp_ne_u16_e32 vcc_lo, 0, v2
	v_cndmask_b32_e64 v5, 0, 1, vcc_lo
.LBB355_1464:
	s_mov_b32 s3, 0
.LBB355_1465:
	s_delay_alu instid0(SALU_CYCLE_1)
	s_and_b32 vcc_lo, exec_lo, s3
	s_cbranch_vccz .LBB355_1514
; %bb.1466:
	s_cmp_lt_i32 s0, 5
	s_cbranch_scc1 .LBB355_1471
; %bb.1467:
	s_cmp_lt_i32 s0, 8
	s_cbranch_scc1 .LBB355_1472
	;; [unrolled: 3-line block ×3, first 2 shown]
; %bb.1469:
	s_cmp_gt_i32 s0, 9
	s_cbranch_scc0 .LBB355_1474
; %bb.1470:
	global_load_b64 v[2:3], v[0:1], off
	s_mov_b32 s3, 0
	s_wait_loadcnt 0x0
	v_cvt_u32_f64_e32 v5, v[2:3]
	s_branch .LBB355_1475
.LBB355_1471:
	s_mov_b32 s3, -1
                                        ; implicit-def: $vgpr5
	s_branch .LBB355_1493
.LBB355_1472:
	s_mov_b32 s3, -1
                                        ; implicit-def: $vgpr5
	s_branch .LBB355_1481
.LBB355_1473:
	s_mov_b32 s3, -1
                                        ; implicit-def: $vgpr5
	s_branch .LBB355_1478
.LBB355_1474:
	s_mov_b32 s3, -1
                                        ; implicit-def: $vgpr5
.LBB355_1475:
	s_delay_alu instid0(SALU_CYCLE_1)
	s_and_not1_b32 vcc_lo, exec_lo, s3
	s_cbranch_vccnz .LBB355_1477
; %bb.1476:
	global_load_b32 v2, v[0:1], off
	s_wait_loadcnt 0x0
	v_cvt_u32_f32_e32 v5, v2
.LBB355_1477:
	s_mov_b32 s3, 0
.LBB355_1478:
	s_delay_alu instid0(SALU_CYCLE_1)
	s_and_not1_b32 vcc_lo, exec_lo, s3
	s_cbranch_vccnz .LBB355_1480
; %bb.1479:
	global_load_b32 v2, v[0:1], off
	s_wait_loadcnt 0x0
	v_cvt_f32_f16_e32 v2, v2
	s_delay_alu instid0(VALU_DEP_1)
	v_cvt_u32_f32_e32 v5, v2
.LBB355_1480:
	s_mov_b32 s3, 0
.LBB355_1481:
	s_delay_alu instid0(SALU_CYCLE_1)
	s_and_not1_b32 vcc_lo, exec_lo, s3
	s_cbranch_vccnz .LBB355_1492
; %bb.1482:
	s_cmp_lt_i32 s0, 6
	s_cbranch_scc1 .LBB355_1485
; %bb.1483:
	s_cmp_gt_i32 s0, 6
	s_cbranch_scc0 .LBB355_1486
; %bb.1484:
	global_load_b64 v[2:3], v[0:1], off
	s_mov_b32 s3, 0
	s_wait_loadcnt 0x0
	v_cvt_u32_f64_e32 v5, v[2:3]
	s_branch .LBB355_1487
.LBB355_1485:
	s_mov_b32 s3, -1
                                        ; implicit-def: $vgpr5
	s_branch .LBB355_1490
.LBB355_1486:
	s_mov_b32 s3, -1
                                        ; implicit-def: $vgpr5
.LBB355_1487:
	s_delay_alu instid0(SALU_CYCLE_1)
	s_and_not1_b32 vcc_lo, exec_lo, s3
	s_cbranch_vccnz .LBB355_1489
; %bb.1488:
	global_load_b32 v2, v[0:1], off
	s_wait_loadcnt 0x0
	v_cvt_u32_f32_e32 v5, v2
.LBB355_1489:
	s_mov_b32 s3, 0
.LBB355_1490:
	s_delay_alu instid0(SALU_CYCLE_1)
	s_and_not1_b32 vcc_lo, exec_lo, s3
	s_cbranch_vccnz .LBB355_1492
; %bb.1491:
	global_load_u16 v2, v[0:1], off
	s_wait_loadcnt 0x0
	v_cvt_f32_f16_e32 v2, v2
	s_delay_alu instid0(VALU_DEP_1)
	v_cvt_u32_f32_e32 v5, v2
.LBB355_1492:
	s_mov_b32 s3, 0
.LBB355_1493:
	s_delay_alu instid0(SALU_CYCLE_1)
	s_and_not1_b32 vcc_lo, exec_lo, s3
	s_cbranch_vccnz .LBB355_1513
; %bb.1494:
	s_cmp_lt_i32 s0, 2
	s_cbranch_scc1 .LBB355_1498
; %bb.1495:
	s_cmp_lt_i32 s0, 3
	s_cbranch_scc1 .LBB355_1499
; %bb.1496:
	s_cmp_gt_i32 s0, 3
	s_cbranch_scc0 .LBB355_1500
; %bb.1497:
	s_wait_loadcnt 0x0
	global_load_b32 v5, v[0:1], off
	s_mov_b32 s3, 0
	s_branch .LBB355_1501
.LBB355_1498:
	s_mov_b32 s3, -1
                                        ; implicit-def: $vgpr5
	s_branch .LBB355_1507
.LBB355_1499:
	s_mov_b32 s3, -1
                                        ; implicit-def: $vgpr5
	s_branch .LBB355_1504
.LBB355_1500:
	s_mov_b32 s3, -1
                                        ; implicit-def: $vgpr5
.LBB355_1501:
	s_delay_alu instid0(SALU_CYCLE_1)
	s_and_not1_b32 vcc_lo, exec_lo, s3
	s_cbranch_vccnz .LBB355_1503
; %bb.1502:
	s_wait_loadcnt 0x0
	global_load_b32 v5, v[0:1], off
.LBB355_1503:
	s_mov_b32 s3, 0
.LBB355_1504:
	s_delay_alu instid0(SALU_CYCLE_1)
	s_and_not1_b32 vcc_lo, exec_lo, s3
	s_cbranch_vccnz .LBB355_1506
; %bb.1505:
	s_wait_loadcnt 0x0
	global_load_i16 v5, v[0:1], off
.LBB355_1506:
	s_mov_b32 s3, 0
.LBB355_1507:
	s_delay_alu instid0(SALU_CYCLE_1)
	s_and_not1_b32 vcc_lo, exec_lo, s3
	s_cbranch_vccnz .LBB355_1513
; %bb.1508:
	s_cmp_gt_i32 s0, 0
	s_mov_b32 s0, 0
	s_cbranch_scc0 .LBB355_1510
; %bb.1509:
	s_wait_loadcnt 0x0
	global_load_i8 v5, v[0:1], off
	s_branch .LBB355_1511
.LBB355_1510:
	s_mov_b32 s0, -1
                                        ; implicit-def: $vgpr5
.LBB355_1511:
	s_delay_alu instid0(SALU_CYCLE_1)
	s_and_not1_b32 vcc_lo, exec_lo, s0
	s_cbranch_vccnz .LBB355_1513
; %bb.1512:
	s_wait_loadcnt 0x0
	global_load_u8 v5, v[0:1], off
.LBB355_1513:
	s_mov_b32 s7, -1
.LBB355_1514:
	s_delay_alu instid0(SALU_CYCLE_1)
	s_and_not1_b32 vcc_lo, exec_lo, s7
	s_cbranch_vccnz .LBB355_1947
; %bb.1515:
	s_wait_xcnt 0x0
	v_mul_lo_u32 v0, s8, v4
	s_wait_loadcnt 0x0
	v_cmp_ne_u32_e32 vcc_lo, s11, v8
	s_cmp_eq_u32 s10, 0
	s_mov_b32 s9, 0
	s_cselect_b32 s3, -1, 0
	s_and_b32 s14, s2, 0xff
	s_xor_b32 s2, s3, vcc_lo
	s_cmp_lt_i32 s14, 11
	s_mov_b32 s0, -1
	s_delay_alu instid0(VALU_DEP_2) | instskip(NEXT) | instid1(VALU_DEP_1)
	v_ashrrev_i32_e32 v1, 31, v0
	v_add_nc_u64_e32 v[2:3], s[4:5], v[0:1]
	s_cbranch_scc1 .LBB355_1594
; %bb.1516:
	s_and_b32 s6, 0xffff, s14
	s_mov_b32 s10, -1
	s_mov_b32 s7, 0
	s_cmp_gt_i32 s6, 25
	s_mov_b32 s0, 0
	s_cbranch_scc0 .LBB355_1549
; %bb.1517:
	s_cmp_gt_i32 s6, 28
	s_cbranch_scc0 .LBB355_1532
; %bb.1518:
	s_cmp_gt_i32 s6, 43
	;; [unrolled: 3-line block ×3, first 2 shown]
	s_cbranch_scc0 .LBB355_1522
; %bb.1520:
	s_mov_b32 s0, -1
	s_mov_b32 s10, 0
	s_cmp_eq_u32 s6, 46
	s_cbranch_scc0 .LBB355_1522
; %bb.1521:
	v_cndmask_b32_e64 v1, 0, 1.0, s2
	s_mov_b32 s0, 0
	s_mov_b32 s9, -1
	s_delay_alu instid0(VALU_DEP_1) | instskip(NEXT) | instid1(VALU_DEP_1)
	v_bfe_u32 v4, v1, 16, 1
	v_add3_u32 v1, v1, v4, 0x7fff
	s_delay_alu instid0(VALU_DEP_1)
	v_lshrrev_b32_e32 v1, 16, v1
	global_store_b32 v[2:3], v1, off
.LBB355_1522:
	s_and_b32 vcc_lo, exec_lo, s10
	s_cbranch_vccz .LBB355_1527
; %bb.1523:
	s_cmp_eq_u32 s6, 44
	s_mov_b32 s0, -1
	s_cbranch_scc0 .LBB355_1527
; %bb.1524:
	v_cndmask_b32_e64 v8, 0, 1.0, s2
	s_mov_b32 s9, exec_lo
	s_wait_xcnt 0x0
	s_delay_alu instid0(VALU_DEP_1) | instskip(NEXT) | instid1(VALU_DEP_1)
	v_dual_mov_b32 v4, 0xff :: v_dual_lshrrev_b32 v1, 23, v8
	v_cmpx_ne_u32_e32 0xff, v1
; %bb.1525:
	v_and_b32_e32 v4, 0x400000, v8
	v_and_or_b32 v8, 0x3fffff, v8, v1
	s_delay_alu instid0(VALU_DEP_2) | instskip(NEXT) | instid1(VALU_DEP_2)
	v_cmp_ne_u32_e32 vcc_lo, 0, v4
	v_cmp_ne_u32_e64 s0, 0, v8
	s_and_b32 s0, vcc_lo, s0
	s_delay_alu instid0(SALU_CYCLE_1) | instskip(NEXT) | instid1(VALU_DEP_1)
	v_cndmask_b32_e64 v4, 0, 1, s0
	v_add_nc_u32_e32 v4, v1, v4
; %bb.1526:
	s_or_b32 exec_lo, exec_lo, s9
	s_mov_b32 s0, 0
	s_mov_b32 s9, -1
	global_store_b8 v[2:3], v4, off
.LBB355_1527:
	s_mov_b32 s10, 0
.LBB355_1528:
	s_delay_alu instid0(SALU_CYCLE_1)
	s_and_b32 vcc_lo, exec_lo, s10
	s_cbranch_vccz .LBB355_1531
; %bb.1529:
	s_cmp_eq_u32 s6, 29
	s_mov_b32 s0, -1
	s_cbranch_scc0 .LBB355_1531
; %bb.1530:
	s_mov_b32 s0, 0
	v_cndmask_b32_e64 v8, 0, 1, s2
	v_mov_b32_e32 v9, s0
	s_mov_b32 s9, -1
	global_store_b64 v[2:3], v[8:9], off
.LBB355_1531:
	s_mov_b32 s10, 0
.LBB355_1532:
	s_delay_alu instid0(SALU_CYCLE_1)
	s_and_b32 vcc_lo, exec_lo, s10
	s_cbranch_vccz .LBB355_1548
; %bb.1533:
	s_cmp_lt_i32 s6, 27
	s_mov_b32 s9, -1
	s_cbranch_scc1 .LBB355_1539
; %bb.1534:
	s_cmp_gt_i32 s6, 27
	s_cbranch_scc0 .LBB355_1536
; %bb.1535:
	s_wait_xcnt 0x0
	v_cndmask_b32_e64 v1, 0, 1, s2
	s_mov_b32 s9, 0
	global_store_b32 v[2:3], v1, off
.LBB355_1536:
	s_and_not1_b32 vcc_lo, exec_lo, s9
	s_cbranch_vccnz .LBB355_1538
; %bb.1537:
	s_wait_xcnt 0x0
	v_cndmask_b32_e64 v1, 0, 1, s2
	global_store_b16 v[2:3], v1, off
.LBB355_1538:
	s_mov_b32 s9, 0
.LBB355_1539:
	s_delay_alu instid0(SALU_CYCLE_1)
	s_and_not1_b32 vcc_lo, exec_lo, s9
	s_cbranch_vccnz .LBB355_1547
; %bb.1540:
	s_wait_xcnt 0x0
	v_cndmask_b32_e64 v4, 0, 1.0, s2
	v_mov_b32_e32 v8, 0x80
	s_mov_b32 s9, exec_lo
	s_delay_alu instid0(VALU_DEP_2)
	v_cmpx_gt_u32_e32 0x43800000, v4
	s_cbranch_execz .LBB355_1546
; %bb.1541:
	s_mov_b32 s10, 0
	s_mov_b32 s15, exec_lo
                                        ; implicit-def: $vgpr1
	v_cmpx_lt_u32_e32 0x3bffffff, v4
	s_xor_b32 s15, exec_lo, s15
	s_cbranch_execz .LBB355_1994
; %bb.1542:
	v_bfe_u32 v1, v4, 20, 1
	s_mov_b32 s10, exec_lo
	s_delay_alu instid0(VALU_DEP_1) | instskip(NEXT) | instid1(VALU_DEP_1)
	v_add3_u32 v1, v4, v1, 0x487ffff
                                        ; implicit-def: $vgpr4
	v_lshrrev_b32_e32 v1, 20, v1
	s_and_not1_saveexec_b32 s15, s15
	s_cbranch_execnz .LBB355_1995
.LBB355_1543:
	s_or_b32 exec_lo, exec_lo, s15
	v_mov_b32_e32 v8, 0
	s_and_saveexec_b32 s15, s10
.LBB355_1544:
	v_mov_b32_e32 v8, v1
.LBB355_1545:
	s_or_b32 exec_lo, exec_lo, s15
.LBB355_1546:
	s_delay_alu instid0(SALU_CYCLE_1)
	s_or_b32 exec_lo, exec_lo, s9
	global_store_b8 v[2:3], v8, off
.LBB355_1547:
	s_mov_b32 s9, -1
.LBB355_1548:
	s_mov_b32 s10, 0
.LBB355_1549:
	s_delay_alu instid0(SALU_CYCLE_1)
	s_and_b32 vcc_lo, exec_lo, s10
	s_cbranch_vccz .LBB355_1589
; %bb.1550:
	s_cmp_gt_i32 s6, 22
	s_mov_b32 s7, -1
	s_cbranch_scc0 .LBB355_1582
; %bb.1551:
	s_cmp_lt_i32 s6, 24
	s_cbranch_scc1 .LBB355_1571
; %bb.1552:
	s_cmp_gt_i32 s6, 24
	s_cbranch_scc0 .LBB355_1560
; %bb.1553:
	s_wait_xcnt 0x0
	v_cndmask_b32_e64 v4, 0, 1.0, s2
	v_mov_b32_e32 v8, 0x80
	s_mov_b32 s7, exec_lo
	s_delay_alu instid0(VALU_DEP_2)
	v_cmpx_gt_u32_e32 0x47800000, v4
	s_cbranch_execz .LBB355_1559
; %bb.1554:
	s_mov_b32 s9, 0
	s_mov_b32 s10, exec_lo
                                        ; implicit-def: $vgpr1
	v_cmpx_lt_u32_e32 0x37ffffff, v4
	s_xor_b32 s10, exec_lo, s10
	s_cbranch_execz .LBB355_1997
; %bb.1555:
	v_bfe_u32 v1, v4, 21, 1
	s_mov_b32 s9, exec_lo
	s_delay_alu instid0(VALU_DEP_1) | instskip(NEXT) | instid1(VALU_DEP_1)
	v_add3_u32 v1, v4, v1, 0x88fffff
                                        ; implicit-def: $vgpr4
	v_lshrrev_b32_e32 v1, 21, v1
	s_and_not1_saveexec_b32 s10, s10
	s_cbranch_execnz .LBB355_1998
.LBB355_1556:
	s_or_b32 exec_lo, exec_lo, s10
	v_mov_b32_e32 v8, 0
	s_and_saveexec_b32 s10, s9
.LBB355_1557:
	v_mov_b32_e32 v8, v1
.LBB355_1558:
	s_or_b32 exec_lo, exec_lo, s10
.LBB355_1559:
	s_delay_alu instid0(SALU_CYCLE_1)
	s_or_b32 exec_lo, exec_lo, s7
	s_mov_b32 s7, 0
	global_store_b8 v[2:3], v8, off
.LBB355_1560:
	s_and_b32 vcc_lo, exec_lo, s7
	s_cbranch_vccz .LBB355_1570
; %bb.1561:
	s_wait_xcnt 0x0
	v_cndmask_b32_e64 v4, 0, 1.0, s2
	s_mov_b32 s7, exec_lo
                                        ; implicit-def: $vgpr1
	s_delay_alu instid0(VALU_DEP_1)
	v_cmpx_gt_u32_e32 0x43f00000, v4
	s_xor_b32 s7, exec_lo, s7
	s_cbranch_execz .LBB355_1567
; %bb.1562:
	s_mov_b32 s9, exec_lo
                                        ; implicit-def: $vgpr1
	v_cmpx_lt_u32_e32 0x3c7fffff, v4
	s_xor_b32 s9, exec_lo, s9
; %bb.1563:
	v_bfe_u32 v1, v4, 20, 1
	s_delay_alu instid0(VALU_DEP_1) | instskip(NEXT) | instid1(VALU_DEP_1)
	v_add3_u32 v1, v4, v1, 0x407ffff
	v_and_b32_e32 v4, 0xff00000, v1
	v_lshrrev_b32_e32 v1, 20, v1
	s_delay_alu instid0(VALU_DEP_2) | instskip(NEXT) | instid1(VALU_DEP_2)
	v_cmp_ne_u32_e32 vcc_lo, 0x7f00000, v4
                                        ; implicit-def: $vgpr4
	v_cndmask_b32_e32 v1, 0x7e, v1, vcc_lo
; %bb.1564:
	s_and_not1_saveexec_b32 s9, s9
; %bb.1565:
	v_add_f32_e32 v1, 0x46800000, v4
; %bb.1566:
	s_or_b32 exec_lo, exec_lo, s9
                                        ; implicit-def: $vgpr4
.LBB355_1567:
	s_and_not1_saveexec_b32 s7, s7
; %bb.1568:
	v_mov_b32_e32 v1, 0x7f
	v_cmp_lt_u32_e32 vcc_lo, 0x7f800000, v4
	s_delay_alu instid0(VALU_DEP_2)
	v_cndmask_b32_e32 v1, 0x7e, v1, vcc_lo
; %bb.1569:
	s_or_b32 exec_lo, exec_lo, s7
	global_store_b8 v[2:3], v1, off
.LBB355_1570:
	s_mov_b32 s7, 0
.LBB355_1571:
	s_delay_alu instid0(SALU_CYCLE_1)
	s_and_not1_b32 vcc_lo, exec_lo, s7
	s_cbranch_vccnz .LBB355_1581
; %bb.1572:
	s_wait_xcnt 0x0
	v_cndmask_b32_e64 v4, 0, 1.0, s2
	s_mov_b32 s7, exec_lo
                                        ; implicit-def: $vgpr1
	s_delay_alu instid0(VALU_DEP_1)
	v_cmpx_gt_u32_e32 0x47800000, v4
	s_xor_b32 s7, exec_lo, s7
	s_cbranch_execz .LBB355_1578
; %bb.1573:
	s_mov_b32 s9, exec_lo
                                        ; implicit-def: $vgpr1
	v_cmpx_lt_u32_e32 0x387fffff, v4
	s_xor_b32 s9, exec_lo, s9
; %bb.1574:
	v_bfe_u32 v1, v4, 21, 1
	s_delay_alu instid0(VALU_DEP_1) | instskip(NEXT) | instid1(VALU_DEP_1)
	v_add3_u32 v1, v4, v1, 0x80fffff
                                        ; implicit-def: $vgpr4
	v_lshrrev_b32_e32 v1, 21, v1
; %bb.1575:
	s_and_not1_saveexec_b32 s9, s9
; %bb.1576:
	v_add_f32_e32 v1, 0x43000000, v4
; %bb.1577:
	s_or_b32 exec_lo, exec_lo, s9
                                        ; implicit-def: $vgpr4
.LBB355_1578:
	s_and_not1_saveexec_b32 s7, s7
; %bb.1579:
	v_mov_b32_e32 v1, 0x7f
	v_cmp_lt_u32_e32 vcc_lo, 0x7f800000, v4
	s_delay_alu instid0(VALU_DEP_2)
	v_cndmask_b32_e32 v1, 0x7c, v1, vcc_lo
; %bb.1580:
	s_or_b32 exec_lo, exec_lo, s7
	global_store_b8 v[2:3], v1, off
.LBB355_1581:
	s_mov_b32 s7, 0
	s_mov_b32 s9, -1
.LBB355_1582:
	s_and_not1_b32 vcc_lo, exec_lo, s7
	s_mov_b32 s7, 0
	s_cbranch_vccnz .LBB355_1589
; %bb.1583:
	s_cmp_gt_i32 s6, 14
	s_mov_b32 s7, -1
	s_cbranch_scc0 .LBB355_1587
; %bb.1584:
	s_cmp_eq_u32 s6, 15
	s_mov_b32 s0, -1
	s_cbranch_scc0 .LBB355_1586
; %bb.1585:
	s_wait_xcnt 0x0
	v_cndmask_b32_e64 v1, 0, 1.0, s2
	s_mov_b32 s0, 0
	s_mov_b32 s9, -1
	s_delay_alu instid0(VALU_DEP_1) | instskip(NEXT) | instid1(VALU_DEP_1)
	v_bfe_u32 v4, v1, 16, 1
	v_add3_u32 v1, v1, v4, 0x7fff
	global_store_d16_hi_b16 v[2:3], v1, off
.LBB355_1586:
	s_mov_b32 s7, 0
.LBB355_1587:
	s_delay_alu instid0(SALU_CYCLE_1)
	s_and_b32 vcc_lo, exec_lo, s7
	s_mov_b32 s7, 0
	s_cbranch_vccz .LBB355_1589
; %bb.1588:
	s_cmp_lg_u32 s6, 11
	s_mov_b32 s7, -1
	s_cselect_b32 s0, -1, 0
.LBB355_1589:
	s_delay_alu instid0(SALU_CYCLE_1)
	s_and_b32 vcc_lo, exec_lo, s0
	s_cbranch_vccnz .LBB355_1996
; %bb.1590:
	s_and_not1_b32 vcc_lo, exec_lo, s7
	s_cbranch_vccnz .LBB355_1592
.LBB355_1591:
	s_wait_xcnt 0x0
	v_cndmask_b32_e64 v1, 0, 1, s2
	s_mov_b32 s9, -1
	global_store_b8 v[2:3], v1, off
.LBB355_1592:
.LBB355_1593:
	s_and_not1_b32 vcc_lo, exec_lo, s9
	s_cbranch_vccnz .LBB355_1947
	s_branch .LBB355_1633
.LBB355_1594:
	s_and_b32 vcc_lo, exec_lo, s0
	s_cbranch_vccz .LBB355_1593
; %bb.1595:
	s_and_b32 s0, 0xffff, s14
	s_mov_b32 s6, -1
	s_cmp_lt_i32 s0, 5
	s_cbranch_scc1 .LBB355_1616
; %bb.1596:
	s_cmp_lt_i32 s0, 8
	s_cbranch_scc1 .LBB355_1606
; %bb.1597:
	;; [unrolled: 3-line block ×3, first 2 shown]
	s_cmp_gt_i32 s0, 9
	s_cbranch_scc0 .LBB355_1600
; %bb.1599:
	s_wait_xcnt 0x0
	v_cndmask_b32_e64 v1, 0, 1, s2
	v_mov_b32_e32 v10, 0
	s_mov_b32 s6, 0
	s_delay_alu instid0(VALU_DEP_2) | instskip(NEXT) | instid1(VALU_DEP_2)
	v_cvt_f64_u32_e32 v[8:9], v1
	v_mov_b32_e32 v11, v10
	global_store_b128 v[2:3], v[8:11], off
.LBB355_1600:
	s_and_not1_b32 vcc_lo, exec_lo, s6
	s_cbranch_vccnz .LBB355_1602
; %bb.1601:
	s_wait_xcnt 0x0
	v_cndmask_b32_e64 v8, 0, 1.0, s2
	v_mov_b32_e32 v9, 0
	global_store_b64 v[2:3], v[8:9], off
.LBB355_1602:
	s_mov_b32 s6, 0
.LBB355_1603:
	s_delay_alu instid0(SALU_CYCLE_1)
	s_and_not1_b32 vcc_lo, exec_lo, s6
	s_cbranch_vccnz .LBB355_1605
; %bb.1604:
	s_wait_xcnt 0x0
	v_cndmask_b32_e64 v1, 0, 1.0, s2
	s_delay_alu instid0(VALU_DEP_1) | instskip(NEXT) | instid1(VALU_DEP_1)
	v_cvt_f16_f32_e32 v1, v1
	v_and_b32_e32 v1, 0xffff, v1
	global_store_b32 v[2:3], v1, off
.LBB355_1605:
	s_mov_b32 s6, 0
.LBB355_1606:
	s_delay_alu instid0(SALU_CYCLE_1)
	s_and_not1_b32 vcc_lo, exec_lo, s6
	s_cbranch_vccnz .LBB355_1615
; %bb.1607:
	s_cmp_lt_i32 s0, 6
	s_mov_b32 s6, -1
	s_cbranch_scc1 .LBB355_1613
; %bb.1608:
	s_cmp_gt_i32 s0, 6
	s_cbranch_scc0 .LBB355_1610
; %bb.1609:
	s_wait_xcnt 0x0
	v_cndmask_b32_e64 v1, 0, 1, s2
	s_mov_b32 s6, 0
	s_delay_alu instid0(VALU_DEP_1)
	v_cvt_f64_u32_e32 v[8:9], v1
	global_store_b64 v[2:3], v[8:9], off
.LBB355_1610:
	s_and_not1_b32 vcc_lo, exec_lo, s6
	s_cbranch_vccnz .LBB355_1612
; %bb.1611:
	s_wait_xcnt 0x0
	v_cndmask_b32_e64 v1, 0, 1.0, s2
	global_store_b32 v[2:3], v1, off
.LBB355_1612:
	s_mov_b32 s6, 0
.LBB355_1613:
	s_delay_alu instid0(SALU_CYCLE_1)
	s_and_not1_b32 vcc_lo, exec_lo, s6
	s_cbranch_vccnz .LBB355_1615
; %bb.1614:
	s_wait_xcnt 0x0
	v_cndmask_b32_e64 v1, 0, 1.0, s2
	s_delay_alu instid0(VALU_DEP_1)
	v_cvt_f16_f32_e32 v1, v1
	global_store_b16 v[2:3], v1, off
.LBB355_1615:
	s_mov_b32 s6, 0
.LBB355_1616:
	s_delay_alu instid0(SALU_CYCLE_1)
	s_and_not1_b32 vcc_lo, exec_lo, s6
	s_cbranch_vccnz .LBB355_1632
; %bb.1617:
	s_cmp_lt_i32 s0, 2
	s_mov_b32 s6, -1
	s_cbranch_scc1 .LBB355_1627
; %bb.1618:
	s_cmp_lt_i32 s0, 3
	s_cbranch_scc1 .LBB355_1624
; %bb.1619:
	s_cmp_gt_i32 s0, 3
	s_cbranch_scc0 .LBB355_1621
; %bb.1620:
	s_mov_b32 s6, 0
	s_wait_xcnt 0x0
	v_cndmask_b32_e64 v8, 0, 1, s2
	v_mov_b32_e32 v9, s6
	global_store_b64 v[2:3], v[8:9], off
.LBB355_1621:
	s_and_not1_b32 vcc_lo, exec_lo, s6
	s_cbranch_vccnz .LBB355_1623
; %bb.1622:
	s_wait_xcnt 0x0
	v_cndmask_b32_e64 v1, 0, 1, s2
	global_store_b32 v[2:3], v1, off
.LBB355_1623:
	s_mov_b32 s6, 0
.LBB355_1624:
	s_delay_alu instid0(SALU_CYCLE_1)
	s_and_not1_b32 vcc_lo, exec_lo, s6
	s_cbranch_vccnz .LBB355_1626
; %bb.1625:
	s_wait_xcnt 0x0
	v_cndmask_b32_e64 v1, 0, 1, s2
	global_store_b16 v[2:3], v1, off
.LBB355_1626:
	s_mov_b32 s6, 0
.LBB355_1627:
	s_delay_alu instid0(SALU_CYCLE_1)
	s_and_not1_b32 vcc_lo, exec_lo, s6
	s_cbranch_vccnz .LBB355_1632
; %bb.1628:
	s_wait_xcnt 0x0
	v_cndmask_b32_e64 v1, 0, 1, s2
	s_cmp_gt_i32 s0, 0
	s_mov_b32 s0, -1
	s_cbranch_scc0 .LBB355_1630
; %bb.1629:
	s_mov_b32 s0, 0
	global_store_b8 v[2:3], v1, off
.LBB355_1630:
	s_and_not1_b32 vcc_lo, exec_lo, s0
	s_cbranch_vccnz .LBB355_1632
; %bb.1631:
	global_store_b8 v[2:3], v1, off
.LBB355_1632:
.LBB355_1633:
	s_lshl_b32 s2, s8, 7
	v_cmp_ne_u32_e32 vcc_lo, s11, v7
	v_add_nc_u32_e32 v0, s2, v0
	s_xor_b32 s6, s3, vcc_lo
	s_wait_xcnt 0x0
	s_delay_alu instid0(VALU_DEP_1) | instskip(SKIP_1) | instid1(VALU_DEP_1)
	v_ashrrev_i32_e32 v1, 31, v0
	s_cmp_lt_i32 s14, 11
	v_add_nc_u64_e32 v[2:3], s[4:5], v[0:1]
	s_cbranch_scc1 .LBB355_1711
; %bb.1634:
	s_and_b32 s7, 0xffff, s14
	s_mov_b32 s10, -1
	s_mov_b32 s8, 0
	s_cmp_gt_i32 s7, 25
	s_mov_b32 s9, 0
	s_mov_b32 s0, 0
	s_cbranch_scc0 .LBB355_1667
; %bb.1635:
	s_cmp_gt_i32 s7, 28
	s_cbranch_scc0 .LBB355_1650
; %bb.1636:
	s_cmp_gt_i32 s7, 43
	;; [unrolled: 3-line block ×3, first 2 shown]
	s_cbranch_scc0 .LBB355_1640
; %bb.1638:
	s_mov_b32 s0, -1
	s_mov_b32 s10, 0
	s_cmp_eq_u32 s7, 46
	s_cbranch_scc0 .LBB355_1640
; %bb.1639:
	v_cndmask_b32_e64 v1, 0, 1.0, s6
	s_mov_b32 s0, 0
	s_mov_b32 s9, -1
	s_delay_alu instid0(VALU_DEP_1) | instskip(NEXT) | instid1(VALU_DEP_1)
	v_bfe_u32 v4, v1, 16, 1
	v_add3_u32 v1, v1, v4, 0x7fff
	s_delay_alu instid0(VALU_DEP_1)
	v_lshrrev_b32_e32 v1, 16, v1
	global_store_b32 v[2:3], v1, off
.LBB355_1640:
	s_and_b32 vcc_lo, exec_lo, s10
	s_cbranch_vccz .LBB355_1645
; %bb.1641:
	s_cmp_eq_u32 s7, 44
	s_mov_b32 s0, -1
	s_cbranch_scc0 .LBB355_1645
; %bb.1642:
	v_cndmask_b32_e64 v7, 0, 1.0, s6
	s_mov_b32 s9, exec_lo
	s_wait_xcnt 0x0
	s_delay_alu instid0(VALU_DEP_1) | instskip(NEXT) | instid1(VALU_DEP_1)
	v_dual_mov_b32 v4, 0xff :: v_dual_lshrrev_b32 v1, 23, v7
	v_cmpx_ne_u32_e32 0xff, v1
; %bb.1643:
	v_and_b32_e32 v4, 0x400000, v7
	v_and_or_b32 v7, 0x3fffff, v7, v1
	s_delay_alu instid0(VALU_DEP_2) | instskip(NEXT) | instid1(VALU_DEP_2)
	v_cmp_ne_u32_e32 vcc_lo, 0, v4
	v_cmp_ne_u32_e64 s0, 0, v7
	s_and_b32 s0, vcc_lo, s0
	s_delay_alu instid0(SALU_CYCLE_1) | instskip(NEXT) | instid1(VALU_DEP_1)
	v_cndmask_b32_e64 v4, 0, 1, s0
	v_add_nc_u32_e32 v4, v1, v4
; %bb.1644:
	s_or_b32 exec_lo, exec_lo, s9
	s_mov_b32 s0, 0
	s_mov_b32 s9, -1
	global_store_b8 v[2:3], v4, off
.LBB355_1645:
	s_mov_b32 s10, 0
.LBB355_1646:
	s_delay_alu instid0(SALU_CYCLE_1)
	s_and_b32 vcc_lo, exec_lo, s10
	s_cbranch_vccz .LBB355_1649
; %bb.1647:
	s_cmp_eq_u32 s7, 29
	s_mov_b32 s0, -1
	s_cbranch_scc0 .LBB355_1649
; %bb.1648:
	s_mov_b32 s0, 0
	v_cndmask_b32_e64 v8, 0, 1, s6
	v_mov_b32_e32 v9, s0
	s_mov_b32 s9, -1
	global_store_b64 v[2:3], v[8:9], off
.LBB355_1649:
	s_mov_b32 s10, 0
.LBB355_1650:
	s_delay_alu instid0(SALU_CYCLE_1)
	s_and_b32 vcc_lo, exec_lo, s10
	s_cbranch_vccz .LBB355_1666
; %bb.1651:
	s_cmp_lt_i32 s7, 27
	s_mov_b32 s9, -1
	s_cbranch_scc1 .LBB355_1657
; %bb.1652:
	s_cmp_gt_i32 s7, 27
	s_cbranch_scc0 .LBB355_1654
; %bb.1653:
	s_wait_xcnt 0x0
	v_cndmask_b32_e64 v1, 0, 1, s6
	s_mov_b32 s9, 0
	global_store_b32 v[2:3], v1, off
.LBB355_1654:
	s_and_not1_b32 vcc_lo, exec_lo, s9
	s_cbranch_vccnz .LBB355_1656
; %bb.1655:
	s_wait_xcnt 0x0
	v_cndmask_b32_e64 v1, 0, 1, s6
	global_store_b16 v[2:3], v1, off
.LBB355_1656:
	s_mov_b32 s9, 0
.LBB355_1657:
	s_delay_alu instid0(SALU_CYCLE_1)
	s_and_not1_b32 vcc_lo, exec_lo, s9
	s_cbranch_vccnz .LBB355_1665
; %bb.1658:
	s_wait_xcnt 0x0
	v_cndmask_b32_e64 v4, 0, 1.0, s6
	v_mov_b32_e32 v7, 0x80
	s_mov_b32 s9, exec_lo
	s_delay_alu instid0(VALU_DEP_2)
	v_cmpx_gt_u32_e32 0x43800000, v4
	s_cbranch_execz .LBB355_1664
; %bb.1659:
	s_mov_b32 s10, 0
	s_mov_b32 s15, exec_lo
                                        ; implicit-def: $vgpr1
	v_cmpx_lt_u32_e32 0x3bffffff, v4
	s_xor_b32 s15, exec_lo, s15
	s_cbranch_execz .LBB355_1999
; %bb.1660:
	v_bfe_u32 v1, v4, 20, 1
	s_mov_b32 s10, exec_lo
	s_delay_alu instid0(VALU_DEP_1) | instskip(NEXT) | instid1(VALU_DEP_1)
	v_add3_u32 v1, v4, v1, 0x487ffff
                                        ; implicit-def: $vgpr4
	v_lshrrev_b32_e32 v1, 20, v1
	s_and_not1_saveexec_b32 s15, s15
	s_cbranch_execnz .LBB355_2000
.LBB355_1661:
	s_or_b32 exec_lo, exec_lo, s15
	v_mov_b32_e32 v7, 0
	s_and_saveexec_b32 s15, s10
.LBB355_1662:
	v_mov_b32_e32 v7, v1
.LBB355_1663:
	s_or_b32 exec_lo, exec_lo, s15
.LBB355_1664:
	s_delay_alu instid0(SALU_CYCLE_1)
	s_or_b32 exec_lo, exec_lo, s9
	global_store_b8 v[2:3], v7, off
.LBB355_1665:
	s_mov_b32 s9, -1
.LBB355_1666:
	s_mov_b32 s10, 0
.LBB355_1667:
	s_delay_alu instid0(SALU_CYCLE_1)
	s_and_b32 vcc_lo, exec_lo, s10
	s_cbranch_vccz .LBB355_1707
; %bb.1668:
	s_cmp_gt_i32 s7, 22
	s_mov_b32 s8, -1
	s_cbranch_scc0 .LBB355_1700
; %bb.1669:
	s_cmp_lt_i32 s7, 24
	s_cbranch_scc1 .LBB355_1689
; %bb.1670:
	s_cmp_gt_i32 s7, 24
	s_cbranch_scc0 .LBB355_1678
; %bb.1671:
	s_wait_xcnt 0x0
	v_cndmask_b32_e64 v4, 0, 1.0, s6
	v_mov_b32_e32 v7, 0x80
	s_mov_b32 s8, exec_lo
	s_delay_alu instid0(VALU_DEP_2)
	v_cmpx_gt_u32_e32 0x47800000, v4
	s_cbranch_execz .LBB355_1677
; %bb.1672:
	s_mov_b32 s9, 0
	s_mov_b32 s10, exec_lo
                                        ; implicit-def: $vgpr1
	v_cmpx_lt_u32_e32 0x37ffffff, v4
	s_xor_b32 s10, exec_lo, s10
	s_cbranch_execz .LBB355_2002
; %bb.1673:
	v_bfe_u32 v1, v4, 21, 1
	s_mov_b32 s9, exec_lo
	s_delay_alu instid0(VALU_DEP_1) | instskip(NEXT) | instid1(VALU_DEP_1)
	v_add3_u32 v1, v4, v1, 0x88fffff
                                        ; implicit-def: $vgpr4
	v_lshrrev_b32_e32 v1, 21, v1
	s_and_not1_saveexec_b32 s10, s10
	s_cbranch_execnz .LBB355_2003
.LBB355_1674:
	s_or_b32 exec_lo, exec_lo, s10
	v_mov_b32_e32 v7, 0
	s_and_saveexec_b32 s10, s9
.LBB355_1675:
	v_mov_b32_e32 v7, v1
.LBB355_1676:
	s_or_b32 exec_lo, exec_lo, s10
.LBB355_1677:
	s_delay_alu instid0(SALU_CYCLE_1)
	s_or_b32 exec_lo, exec_lo, s8
	s_mov_b32 s8, 0
	global_store_b8 v[2:3], v7, off
.LBB355_1678:
	s_and_b32 vcc_lo, exec_lo, s8
	s_cbranch_vccz .LBB355_1688
; %bb.1679:
	s_wait_xcnt 0x0
	v_cndmask_b32_e64 v4, 0, 1.0, s6
	s_mov_b32 s8, exec_lo
                                        ; implicit-def: $vgpr1
	s_delay_alu instid0(VALU_DEP_1)
	v_cmpx_gt_u32_e32 0x43f00000, v4
	s_xor_b32 s8, exec_lo, s8
	s_cbranch_execz .LBB355_1685
; %bb.1680:
	s_mov_b32 s9, exec_lo
                                        ; implicit-def: $vgpr1
	v_cmpx_lt_u32_e32 0x3c7fffff, v4
	s_xor_b32 s9, exec_lo, s9
; %bb.1681:
	v_bfe_u32 v1, v4, 20, 1
	s_delay_alu instid0(VALU_DEP_1) | instskip(NEXT) | instid1(VALU_DEP_1)
	v_add3_u32 v1, v4, v1, 0x407ffff
	v_and_b32_e32 v4, 0xff00000, v1
	v_lshrrev_b32_e32 v1, 20, v1
	s_delay_alu instid0(VALU_DEP_2) | instskip(NEXT) | instid1(VALU_DEP_2)
	v_cmp_ne_u32_e32 vcc_lo, 0x7f00000, v4
                                        ; implicit-def: $vgpr4
	v_cndmask_b32_e32 v1, 0x7e, v1, vcc_lo
; %bb.1682:
	s_and_not1_saveexec_b32 s9, s9
; %bb.1683:
	v_add_f32_e32 v1, 0x46800000, v4
; %bb.1684:
	s_or_b32 exec_lo, exec_lo, s9
                                        ; implicit-def: $vgpr4
.LBB355_1685:
	s_and_not1_saveexec_b32 s8, s8
; %bb.1686:
	v_mov_b32_e32 v1, 0x7f
	v_cmp_lt_u32_e32 vcc_lo, 0x7f800000, v4
	s_delay_alu instid0(VALU_DEP_2)
	v_cndmask_b32_e32 v1, 0x7e, v1, vcc_lo
; %bb.1687:
	s_or_b32 exec_lo, exec_lo, s8
	global_store_b8 v[2:3], v1, off
.LBB355_1688:
	s_mov_b32 s8, 0
.LBB355_1689:
	s_delay_alu instid0(SALU_CYCLE_1)
	s_and_not1_b32 vcc_lo, exec_lo, s8
	s_cbranch_vccnz .LBB355_1699
; %bb.1690:
	s_wait_xcnt 0x0
	v_cndmask_b32_e64 v4, 0, 1.0, s6
	s_mov_b32 s8, exec_lo
                                        ; implicit-def: $vgpr1
	s_delay_alu instid0(VALU_DEP_1)
	v_cmpx_gt_u32_e32 0x47800000, v4
	s_xor_b32 s8, exec_lo, s8
	s_cbranch_execz .LBB355_1696
; %bb.1691:
	s_mov_b32 s9, exec_lo
                                        ; implicit-def: $vgpr1
	v_cmpx_lt_u32_e32 0x387fffff, v4
	s_xor_b32 s9, exec_lo, s9
; %bb.1692:
	v_bfe_u32 v1, v4, 21, 1
	s_delay_alu instid0(VALU_DEP_1) | instskip(NEXT) | instid1(VALU_DEP_1)
	v_add3_u32 v1, v4, v1, 0x80fffff
                                        ; implicit-def: $vgpr4
	v_lshrrev_b32_e32 v1, 21, v1
; %bb.1693:
	s_and_not1_saveexec_b32 s9, s9
; %bb.1694:
	v_add_f32_e32 v1, 0x43000000, v4
; %bb.1695:
	s_or_b32 exec_lo, exec_lo, s9
                                        ; implicit-def: $vgpr4
.LBB355_1696:
	s_and_not1_saveexec_b32 s8, s8
; %bb.1697:
	v_mov_b32_e32 v1, 0x7f
	v_cmp_lt_u32_e32 vcc_lo, 0x7f800000, v4
	s_delay_alu instid0(VALU_DEP_2)
	v_cndmask_b32_e32 v1, 0x7c, v1, vcc_lo
; %bb.1698:
	s_or_b32 exec_lo, exec_lo, s8
	global_store_b8 v[2:3], v1, off
.LBB355_1699:
	s_mov_b32 s8, 0
	s_mov_b32 s9, -1
.LBB355_1700:
	s_and_not1_b32 vcc_lo, exec_lo, s8
	s_mov_b32 s8, 0
	s_cbranch_vccnz .LBB355_1707
; %bb.1701:
	s_cmp_gt_i32 s7, 14
	s_mov_b32 s8, -1
	s_cbranch_scc0 .LBB355_1705
; %bb.1702:
	s_cmp_eq_u32 s7, 15
	s_mov_b32 s0, -1
	s_cbranch_scc0 .LBB355_1704
; %bb.1703:
	s_wait_xcnt 0x0
	v_cndmask_b32_e64 v1, 0, 1.0, s6
	s_mov_b32 s0, 0
	s_mov_b32 s9, -1
	s_delay_alu instid0(VALU_DEP_1) | instskip(NEXT) | instid1(VALU_DEP_1)
	v_bfe_u32 v4, v1, 16, 1
	v_add3_u32 v1, v1, v4, 0x7fff
	global_store_d16_hi_b16 v[2:3], v1, off
.LBB355_1704:
	s_mov_b32 s8, 0
.LBB355_1705:
	s_delay_alu instid0(SALU_CYCLE_1)
	s_and_b32 vcc_lo, exec_lo, s8
	s_mov_b32 s8, 0
	s_cbranch_vccz .LBB355_1707
; %bb.1706:
	s_cmp_lg_u32 s7, 11
	s_mov_b32 s8, -1
	s_cselect_b32 s0, -1, 0
.LBB355_1707:
	s_delay_alu instid0(SALU_CYCLE_1)
	s_and_b32 vcc_lo, exec_lo, s0
	s_cbranch_vccnz .LBB355_2001
; %bb.1708:
	s_and_not1_b32 vcc_lo, exec_lo, s8
	s_cbranch_vccnz .LBB355_1710
.LBB355_1709:
	s_wait_xcnt 0x0
	v_cndmask_b32_e64 v1, 0, 1, s6
	s_mov_b32 s9, -1
	global_store_b8 v[2:3], v1, off
.LBB355_1710:
	s_mov_b32 s0, 0
	s_branch .LBB355_1712
.LBB355_1711:
	s_mov_b32 s0, -1
	s_mov_b32 s9, 0
.LBB355_1712:
	s_and_b32 vcc_lo, exec_lo, s0
	s_cbranch_vccz .LBB355_1751
; %bb.1713:
	s_and_b32 s0, 0xffff, s14
	s_mov_b32 s7, -1
	s_cmp_lt_i32 s0, 5
	s_cbranch_scc1 .LBB355_1734
; %bb.1714:
	s_cmp_lt_i32 s0, 8
	s_cbranch_scc1 .LBB355_1724
; %bb.1715:
	;; [unrolled: 3-line block ×3, first 2 shown]
	s_cmp_gt_i32 s0, 9
	s_cbranch_scc0 .LBB355_1718
; %bb.1717:
	s_wait_xcnt 0x0
	v_cndmask_b32_e64 v1, 0, 1, s6
	v_mov_b32_e32 v10, 0
	s_mov_b32 s7, 0
	s_delay_alu instid0(VALU_DEP_2) | instskip(NEXT) | instid1(VALU_DEP_2)
	v_cvt_f64_u32_e32 v[8:9], v1
	v_mov_b32_e32 v11, v10
	global_store_b128 v[2:3], v[8:11], off
.LBB355_1718:
	s_and_not1_b32 vcc_lo, exec_lo, s7
	s_cbranch_vccnz .LBB355_1720
; %bb.1719:
	s_wait_xcnt 0x0
	v_cndmask_b32_e64 v8, 0, 1.0, s6
	v_mov_b32_e32 v9, 0
	global_store_b64 v[2:3], v[8:9], off
.LBB355_1720:
	s_mov_b32 s7, 0
.LBB355_1721:
	s_delay_alu instid0(SALU_CYCLE_1)
	s_and_not1_b32 vcc_lo, exec_lo, s7
	s_cbranch_vccnz .LBB355_1723
; %bb.1722:
	s_wait_xcnt 0x0
	v_cndmask_b32_e64 v1, 0, 1.0, s6
	s_delay_alu instid0(VALU_DEP_1) | instskip(NEXT) | instid1(VALU_DEP_1)
	v_cvt_f16_f32_e32 v1, v1
	v_and_b32_e32 v1, 0xffff, v1
	global_store_b32 v[2:3], v1, off
.LBB355_1723:
	s_mov_b32 s7, 0
.LBB355_1724:
	s_delay_alu instid0(SALU_CYCLE_1)
	s_and_not1_b32 vcc_lo, exec_lo, s7
	s_cbranch_vccnz .LBB355_1733
; %bb.1725:
	s_cmp_lt_i32 s0, 6
	s_mov_b32 s7, -1
	s_cbranch_scc1 .LBB355_1731
; %bb.1726:
	s_cmp_gt_i32 s0, 6
	s_cbranch_scc0 .LBB355_1728
; %bb.1727:
	s_wait_xcnt 0x0
	v_cndmask_b32_e64 v1, 0, 1, s6
	s_mov_b32 s7, 0
	s_delay_alu instid0(VALU_DEP_1)
	v_cvt_f64_u32_e32 v[8:9], v1
	global_store_b64 v[2:3], v[8:9], off
.LBB355_1728:
	s_and_not1_b32 vcc_lo, exec_lo, s7
	s_cbranch_vccnz .LBB355_1730
; %bb.1729:
	s_wait_xcnt 0x0
	v_cndmask_b32_e64 v1, 0, 1.0, s6
	global_store_b32 v[2:3], v1, off
.LBB355_1730:
	s_mov_b32 s7, 0
.LBB355_1731:
	s_delay_alu instid0(SALU_CYCLE_1)
	s_and_not1_b32 vcc_lo, exec_lo, s7
	s_cbranch_vccnz .LBB355_1733
; %bb.1732:
	s_wait_xcnt 0x0
	v_cndmask_b32_e64 v1, 0, 1.0, s6
	s_delay_alu instid0(VALU_DEP_1)
	v_cvt_f16_f32_e32 v1, v1
	global_store_b16 v[2:3], v1, off
.LBB355_1733:
	s_mov_b32 s7, 0
.LBB355_1734:
	s_delay_alu instid0(SALU_CYCLE_1)
	s_and_not1_b32 vcc_lo, exec_lo, s7
	s_cbranch_vccnz .LBB355_1750
; %bb.1735:
	s_cmp_lt_i32 s0, 2
	s_mov_b32 s7, -1
	s_cbranch_scc1 .LBB355_1745
; %bb.1736:
	s_cmp_lt_i32 s0, 3
	s_cbranch_scc1 .LBB355_1742
; %bb.1737:
	s_cmp_gt_i32 s0, 3
	s_cbranch_scc0 .LBB355_1739
; %bb.1738:
	s_mov_b32 s7, 0
	s_wait_xcnt 0x0
	v_cndmask_b32_e64 v8, 0, 1, s6
	v_mov_b32_e32 v9, s7
	global_store_b64 v[2:3], v[8:9], off
.LBB355_1739:
	s_and_not1_b32 vcc_lo, exec_lo, s7
	s_cbranch_vccnz .LBB355_1741
; %bb.1740:
	s_wait_xcnt 0x0
	v_cndmask_b32_e64 v1, 0, 1, s6
	global_store_b32 v[2:3], v1, off
.LBB355_1741:
	s_mov_b32 s7, 0
.LBB355_1742:
	s_delay_alu instid0(SALU_CYCLE_1)
	s_and_not1_b32 vcc_lo, exec_lo, s7
	s_cbranch_vccnz .LBB355_1744
; %bb.1743:
	s_wait_xcnt 0x0
	v_cndmask_b32_e64 v1, 0, 1, s6
	global_store_b16 v[2:3], v1, off
.LBB355_1744:
	s_mov_b32 s7, 0
.LBB355_1745:
	s_delay_alu instid0(SALU_CYCLE_1)
	s_and_not1_b32 vcc_lo, exec_lo, s7
	s_cbranch_vccnz .LBB355_1750
; %bb.1746:
	s_wait_xcnt 0x0
	v_cndmask_b32_e64 v1, 0, 1, s6
	s_cmp_gt_i32 s0, 0
	s_mov_b32 s0, -1
	s_cbranch_scc0 .LBB355_1748
; %bb.1747:
	s_mov_b32 s0, 0
	global_store_b8 v[2:3], v1, off
.LBB355_1748:
	s_and_not1_b32 vcc_lo, exec_lo, s0
	s_cbranch_vccnz .LBB355_1750
; %bb.1749:
	global_store_b8 v[2:3], v1, off
.LBB355_1750:
	s_mov_b32 s9, -1
.LBB355_1751:
	s_delay_alu instid0(SALU_CYCLE_1)
	s_and_not1_b32 vcc_lo, exec_lo, s9
	s_cbranch_vccnz .LBB355_1947
; %bb.1752:
	v_add_nc_u32_e32 v0, s2, v0
	v_cmp_ne_u32_e32 vcc_lo, s11, v6
	s_wait_xcnt 0x0
	s_delay_alu instid0(VALU_DEP_2) | instskip(SKIP_2) | instid1(VALU_DEP_1)
	v_ashrrev_i32_e32 v1, 31, v0
	s_xor_b32 s6, s3, vcc_lo
	s_cmp_lt_i32 s14, 11
	v_add_nc_u64_e32 v[2:3], s[4:5], v[0:1]
	s_cbranch_scc1 .LBB355_1830
; %bb.1753:
	s_and_b32 s7, 0xffff, s14
	s_mov_b32 s10, -1
	s_mov_b32 s8, 0
	s_cmp_gt_i32 s7, 25
	s_mov_b32 s9, 0
	s_mov_b32 s0, 0
	s_cbranch_scc0 .LBB355_1786
; %bb.1754:
	s_cmp_gt_i32 s7, 28
	s_cbranch_scc0 .LBB355_1769
; %bb.1755:
	s_cmp_gt_i32 s7, 43
	;; [unrolled: 3-line block ×3, first 2 shown]
	s_cbranch_scc0 .LBB355_1759
; %bb.1757:
	s_mov_b32 s0, -1
	s_mov_b32 s10, 0
	s_cmp_eq_u32 s7, 46
	s_cbranch_scc0 .LBB355_1759
; %bb.1758:
	v_cndmask_b32_e64 v1, 0, 1.0, s6
	s_mov_b32 s0, 0
	s_mov_b32 s9, -1
	s_delay_alu instid0(VALU_DEP_1) | instskip(NEXT) | instid1(VALU_DEP_1)
	v_bfe_u32 v4, v1, 16, 1
	v_add3_u32 v1, v1, v4, 0x7fff
	s_delay_alu instid0(VALU_DEP_1)
	v_lshrrev_b32_e32 v1, 16, v1
	global_store_b32 v[2:3], v1, off
.LBB355_1759:
	s_and_b32 vcc_lo, exec_lo, s10
	s_cbranch_vccz .LBB355_1764
; %bb.1760:
	s_cmp_eq_u32 s7, 44
	s_mov_b32 s0, -1
	s_cbranch_scc0 .LBB355_1764
; %bb.1761:
	v_cndmask_b32_e64 v6, 0, 1.0, s6
	s_mov_b32 s9, exec_lo
	s_wait_xcnt 0x0
	s_delay_alu instid0(VALU_DEP_1) | instskip(NEXT) | instid1(VALU_DEP_1)
	v_dual_mov_b32 v4, 0xff :: v_dual_lshrrev_b32 v1, 23, v6
	v_cmpx_ne_u32_e32 0xff, v1
; %bb.1762:
	v_and_b32_e32 v4, 0x400000, v6
	v_and_or_b32 v6, 0x3fffff, v6, v1
	s_delay_alu instid0(VALU_DEP_2) | instskip(NEXT) | instid1(VALU_DEP_2)
	v_cmp_ne_u32_e32 vcc_lo, 0, v4
	v_cmp_ne_u32_e64 s0, 0, v6
	s_and_b32 s0, vcc_lo, s0
	s_delay_alu instid0(SALU_CYCLE_1) | instskip(NEXT) | instid1(VALU_DEP_1)
	v_cndmask_b32_e64 v4, 0, 1, s0
	v_add_nc_u32_e32 v4, v1, v4
; %bb.1763:
	s_or_b32 exec_lo, exec_lo, s9
	s_mov_b32 s0, 0
	s_mov_b32 s9, -1
	global_store_b8 v[2:3], v4, off
.LBB355_1764:
	s_mov_b32 s10, 0
.LBB355_1765:
	s_delay_alu instid0(SALU_CYCLE_1)
	s_and_b32 vcc_lo, exec_lo, s10
	s_cbranch_vccz .LBB355_1768
; %bb.1766:
	s_cmp_eq_u32 s7, 29
	s_mov_b32 s0, -1
	s_cbranch_scc0 .LBB355_1768
; %bb.1767:
	s_mov_b32 s0, 0
	v_cndmask_b32_e64 v6, 0, 1, s6
	v_mov_b32_e32 v7, s0
	s_mov_b32 s9, -1
	global_store_b64 v[2:3], v[6:7], off
.LBB355_1768:
	s_mov_b32 s10, 0
.LBB355_1769:
	s_delay_alu instid0(SALU_CYCLE_1)
	s_and_b32 vcc_lo, exec_lo, s10
	s_cbranch_vccz .LBB355_1785
; %bb.1770:
	s_cmp_lt_i32 s7, 27
	s_mov_b32 s9, -1
	s_cbranch_scc1 .LBB355_1776
; %bb.1771:
	s_cmp_gt_i32 s7, 27
	s_cbranch_scc0 .LBB355_1773
; %bb.1772:
	s_wait_xcnt 0x0
	v_cndmask_b32_e64 v1, 0, 1, s6
	s_mov_b32 s9, 0
	global_store_b32 v[2:3], v1, off
.LBB355_1773:
	s_and_not1_b32 vcc_lo, exec_lo, s9
	s_cbranch_vccnz .LBB355_1775
; %bb.1774:
	s_wait_xcnt 0x0
	v_cndmask_b32_e64 v1, 0, 1, s6
	global_store_b16 v[2:3], v1, off
.LBB355_1775:
	s_mov_b32 s9, 0
.LBB355_1776:
	s_delay_alu instid0(SALU_CYCLE_1)
	s_and_not1_b32 vcc_lo, exec_lo, s9
	s_cbranch_vccnz .LBB355_1784
; %bb.1777:
	s_wait_xcnt 0x0
	v_cndmask_b32_e64 v4, 0, 1.0, s6
	v_mov_b32_e32 v6, 0x80
	s_mov_b32 s9, exec_lo
	s_delay_alu instid0(VALU_DEP_2)
	v_cmpx_gt_u32_e32 0x43800000, v4
	s_cbranch_execz .LBB355_1783
; %bb.1778:
	s_mov_b32 s10, 0
	s_mov_b32 s15, exec_lo
                                        ; implicit-def: $vgpr1
	v_cmpx_lt_u32_e32 0x3bffffff, v4
	s_xor_b32 s15, exec_lo, s15
	s_cbranch_execz .LBB355_2004
; %bb.1779:
	v_bfe_u32 v1, v4, 20, 1
	s_mov_b32 s10, exec_lo
	s_delay_alu instid0(VALU_DEP_1) | instskip(NEXT) | instid1(VALU_DEP_1)
	v_add3_u32 v1, v4, v1, 0x487ffff
                                        ; implicit-def: $vgpr4
	v_lshrrev_b32_e32 v1, 20, v1
	s_and_not1_saveexec_b32 s15, s15
	s_cbranch_execnz .LBB355_2005
.LBB355_1780:
	s_or_b32 exec_lo, exec_lo, s15
	v_mov_b32_e32 v6, 0
	s_and_saveexec_b32 s15, s10
.LBB355_1781:
	v_mov_b32_e32 v6, v1
.LBB355_1782:
	s_or_b32 exec_lo, exec_lo, s15
.LBB355_1783:
	s_delay_alu instid0(SALU_CYCLE_1)
	s_or_b32 exec_lo, exec_lo, s9
	global_store_b8 v[2:3], v6, off
.LBB355_1784:
	s_mov_b32 s9, -1
.LBB355_1785:
	s_mov_b32 s10, 0
.LBB355_1786:
	s_delay_alu instid0(SALU_CYCLE_1)
	s_and_b32 vcc_lo, exec_lo, s10
	s_cbranch_vccz .LBB355_1826
; %bb.1787:
	s_cmp_gt_i32 s7, 22
	s_mov_b32 s8, -1
	s_cbranch_scc0 .LBB355_1819
; %bb.1788:
	s_cmp_lt_i32 s7, 24
	s_cbranch_scc1 .LBB355_1808
; %bb.1789:
	s_cmp_gt_i32 s7, 24
	s_cbranch_scc0 .LBB355_1797
; %bb.1790:
	s_wait_xcnt 0x0
	v_cndmask_b32_e64 v4, 0, 1.0, s6
	v_mov_b32_e32 v6, 0x80
	s_mov_b32 s8, exec_lo
	s_delay_alu instid0(VALU_DEP_2)
	v_cmpx_gt_u32_e32 0x47800000, v4
	s_cbranch_execz .LBB355_1796
; %bb.1791:
	s_mov_b32 s9, 0
	s_mov_b32 s10, exec_lo
                                        ; implicit-def: $vgpr1
	v_cmpx_lt_u32_e32 0x37ffffff, v4
	s_xor_b32 s10, exec_lo, s10
	s_cbranch_execz .LBB355_2007
; %bb.1792:
	v_bfe_u32 v1, v4, 21, 1
	s_mov_b32 s9, exec_lo
	s_delay_alu instid0(VALU_DEP_1) | instskip(NEXT) | instid1(VALU_DEP_1)
	v_add3_u32 v1, v4, v1, 0x88fffff
                                        ; implicit-def: $vgpr4
	v_lshrrev_b32_e32 v1, 21, v1
	s_and_not1_saveexec_b32 s10, s10
	s_cbranch_execnz .LBB355_2008
.LBB355_1793:
	s_or_b32 exec_lo, exec_lo, s10
	v_mov_b32_e32 v6, 0
	s_and_saveexec_b32 s10, s9
.LBB355_1794:
	v_mov_b32_e32 v6, v1
.LBB355_1795:
	s_or_b32 exec_lo, exec_lo, s10
.LBB355_1796:
	s_delay_alu instid0(SALU_CYCLE_1)
	s_or_b32 exec_lo, exec_lo, s8
	s_mov_b32 s8, 0
	global_store_b8 v[2:3], v6, off
.LBB355_1797:
	s_and_b32 vcc_lo, exec_lo, s8
	s_cbranch_vccz .LBB355_1807
; %bb.1798:
	s_wait_xcnt 0x0
	v_cndmask_b32_e64 v4, 0, 1.0, s6
	s_mov_b32 s8, exec_lo
                                        ; implicit-def: $vgpr1
	s_delay_alu instid0(VALU_DEP_1)
	v_cmpx_gt_u32_e32 0x43f00000, v4
	s_xor_b32 s8, exec_lo, s8
	s_cbranch_execz .LBB355_1804
; %bb.1799:
	s_mov_b32 s9, exec_lo
                                        ; implicit-def: $vgpr1
	v_cmpx_lt_u32_e32 0x3c7fffff, v4
	s_xor_b32 s9, exec_lo, s9
; %bb.1800:
	v_bfe_u32 v1, v4, 20, 1
	s_delay_alu instid0(VALU_DEP_1) | instskip(NEXT) | instid1(VALU_DEP_1)
	v_add3_u32 v1, v4, v1, 0x407ffff
	v_and_b32_e32 v4, 0xff00000, v1
	v_lshrrev_b32_e32 v1, 20, v1
	s_delay_alu instid0(VALU_DEP_2) | instskip(NEXT) | instid1(VALU_DEP_2)
	v_cmp_ne_u32_e32 vcc_lo, 0x7f00000, v4
                                        ; implicit-def: $vgpr4
	v_cndmask_b32_e32 v1, 0x7e, v1, vcc_lo
; %bb.1801:
	s_and_not1_saveexec_b32 s9, s9
; %bb.1802:
	v_add_f32_e32 v1, 0x46800000, v4
; %bb.1803:
	s_or_b32 exec_lo, exec_lo, s9
                                        ; implicit-def: $vgpr4
.LBB355_1804:
	s_and_not1_saveexec_b32 s8, s8
; %bb.1805:
	v_mov_b32_e32 v1, 0x7f
	v_cmp_lt_u32_e32 vcc_lo, 0x7f800000, v4
	s_delay_alu instid0(VALU_DEP_2)
	v_cndmask_b32_e32 v1, 0x7e, v1, vcc_lo
; %bb.1806:
	s_or_b32 exec_lo, exec_lo, s8
	global_store_b8 v[2:3], v1, off
.LBB355_1807:
	s_mov_b32 s8, 0
.LBB355_1808:
	s_delay_alu instid0(SALU_CYCLE_1)
	s_and_not1_b32 vcc_lo, exec_lo, s8
	s_cbranch_vccnz .LBB355_1818
; %bb.1809:
	s_wait_xcnt 0x0
	v_cndmask_b32_e64 v4, 0, 1.0, s6
	s_mov_b32 s8, exec_lo
                                        ; implicit-def: $vgpr1
	s_delay_alu instid0(VALU_DEP_1)
	v_cmpx_gt_u32_e32 0x47800000, v4
	s_xor_b32 s8, exec_lo, s8
	s_cbranch_execz .LBB355_1815
; %bb.1810:
	s_mov_b32 s9, exec_lo
                                        ; implicit-def: $vgpr1
	v_cmpx_lt_u32_e32 0x387fffff, v4
	s_xor_b32 s9, exec_lo, s9
; %bb.1811:
	v_bfe_u32 v1, v4, 21, 1
	s_delay_alu instid0(VALU_DEP_1) | instskip(NEXT) | instid1(VALU_DEP_1)
	v_add3_u32 v1, v4, v1, 0x80fffff
                                        ; implicit-def: $vgpr4
	v_lshrrev_b32_e32 v1, 21, v1
; %bb.1812:
	s_and_not1_saveexec_b32 s9, s9
; %bb.1813:
	v_add_f32_e32 v1, 0x43000000, v4
; %bb.1814:
	s_or_b32 exec_lo, exec_lo, s9
                                        ; implicit-def: $vgpr4
.LBB355_1815:
	s_and_not1_saveexec_b32 s8, s8
; %bb.1816:
	v_mov_b32_e32 v1, 0x7f
	v_cmp_lt_u32_e32 vcc_lo, 0x7f800000, v4
	s_delay_alu instid0(VALU_DEP_2)
	v_cndmask_b32_e32 v1, 0x7c, v1, vcc_lo
; %bb.1817:
	s_or_b32 exec_lo, exec_lo, s8
	global_store_b8 v[2:3], v1, off
.LBB355_1818:
	s_mov_b32 s8, 0
	s_mov_b32 s9, -1
.LBB355_1819:
	s_and_not1_b32 vcc_lo, exec_lo, s8
	s_mov_b32 s8, 0
	s_cbranch_vccnz .LBB355_1826
; %bb.1820:
	s_cmp_gt_i32 s7, 14
	s_mov_b32 s8, -1
	s_cbranch_scc0 .LBB355_1824
; %bb.1821:
	s_cmp_eq_u32 s7, 15
	s_mov_b32 s0, -1
	s_cbranch_scc0 .LBB355_1823
; %bb.1822:
	s_wait_xcnt 0x0
	v_cndmask_b32_e64 v1, 0, 1.0, s6
	s_mov_b32 s0, 0
	s_mov_b32 s9, -1
	s_delay_alu instid0(VALU_DEP_1) | instskip(NEXT) | instid1(VALU_DEP_1)
	v_bfe_u32 v4, v1, 16, 1
	v_add3_u32 v1, v1, v4, 0x7fff
	global_store_d16_hi_b16 v[2:3], v1, off
.LBB355_1823:
	s_mov_b32 s8, 0
.LBB355_1824:
	s_delay_alu instid0(SALU_CYCLE_1)
	s_and_b32 vcc_lo, exec_lo, s8
	s_mov_b32 s8, 0
	s_cbranch_vccz .LBB355_1826
; %bb.1825:
	s_cmp_lg_u32 s7, 11
	s_mov_b32 s8, -1
	s_cselect_b32 s0, -1, 0
.LBB355_1826:
	s_delay_alu instid0(SALU_CYCLE_1)
	s_and_b32 vcc_lo, exec_lo, s0
	s_cbranch_vccnz .LBB355_2006
; %bb.1827:
	s_and_not1_b32 vcc_lo, exec_lo, s8
	s_cbranch_vccnz .LBB355_1829
.LBB355_1828:
	s_wait_xcnt 0x0
	v_cndmask_b32_e64 v1, 0, 1, s6
	s_mov_b32 s9, -1
	global_store_b8 v[2:3], v1, off
.LBB355_1829:
	s_mov_b32 s0, 0
	s_branch .LBB355_1831
.LBB355_1830:
	s_mov_b32 s0, -1
	s_mov_b32 s9, 0
.LBB355_1831:
	s_and_b32 vcc_lo, exec_lo, s0
	s_cbranch_vccz .LBB355_1870
; %bb.1832:
	s_and_b32 s0, 0xffff, s14
	s_mov_b32 s7, -1
	s_cmp_lt_i32 s0, 5
	s_cbranch_scc1 .LBB355_1853
; %bb.1833:
	s_cmp_lt_i32 s0, 8
	s_cbranch_scc1 .LBB355_1843
; %bb.1834:
	;; [unrolled: 3-line block ×3, first 2 shown]
	s_cmp_gt_i32 s0, 9
	s_cbranch_scc0 .LBB355_1837
; %bb.1836:
	s_wait_xcnt 0x0
	v_cndmask_b32_e64 v1, 0, 1, s6
	v_mov_b32_e32 v8, 0
	s_mov_b32 s7, 0
	s_delay_alu instid0(VALU_DEP_2) | instskip(NEXT) | instid1(VALU_DEP_2)
	v_cvt_f64_u32_e32 v[6:7], v1
	v_mov_b32_e32 v9, v8
	global_store_b128 v[2:3], v[6:9], off
.LBB355_1837:
	s_and_not1_b32 vcc_lo, exec_lo, s7
	s_cbranch_vccnz .LBB355_1839
; %bb.1838:
	s_wait_xcnt 0x0
	v_cndmask_b32_e64 v6, 0, 1.0, s6
	v_mov_b32_e32 v7, 0
	global_store_b64 v[2:3], v[6:7], off
.LBB355_1839:
	s_mov_b32 s7, 0
.LBB355_1840:
	s_delay_alu instid0(SALU_CYCLE_1)
	s_and_not1_b32 vcc_lo, exec_lo, s7
	s_cbranch_vccnz .LBB355_1842
; %bb.1841:
	s_wait_xcnt 0x0
	v_cndmask_b32_e64 v1, 0, 1.0, s6
	s_delay_alu instid0(VALU_DEP_1) | instskip(NEXT) | instid1(VALU_DEP_1)
	v_cvt_f16_f32_e32 v1, v1
	v_and_b32_e32 v1, 0xffff, v1
	global_store_b32 v[2:3], v1, off
.LBB355_1842:
	s_mov_b32 s7, 0
.LBB355_1843:
	s_delay_alu instid0(SALU_CYCLE_1)
	s_and_not1_b32 vcc_lo, exec_lo, s7
	s_cbranch_vccnz .LBB355_1852
; %bb.1844:
	s_cmp_lt_i32 s0, 6
	s_mov_b32 s7, -1
	s_cbranch_scc1 .LBB355_1850
; %bb.1845:
	s_cmp_gt_i32 s0, 6
	s_cbranch_scc0 .LBB355_1847
; %bb.1846:
	s_wait_xcnt 0x0
	v_cndmask_b32_e64 v1, 0, 1, s6
	s_mov_b32 s7, 0
	s_delay_alu instid0(VALU_DEP_1)
	v_cvt_f64_u32_e32 v[6:7], v1
	global_store_b64 v[2:3], v[6:7], off
.LBB355_1847:
	s_and_not1_b32 vcc_lo, exec_lo, s7
	s_cbranch_vccnz .LBB355_1849
; %bb.1848:
	s_wait_xcnt 0x0
	v_cndmask_b32_e64 v1, 0, 1.0, s6
	global_store_b32 v[2:3], v1, off
.LBB355_1849:
	s_mov_b32 s7, 0
.LBB355_1850:
	s_delay_alu instid0(SALU_CYCLE_1)
	s_and_not1_b32 vcc_lo, exec_lo, s7
	s_cbranch_vccnz .LBB355_1852
; %bb.1851:
	s_wait_xcnt 0x0
	v_cndmask_b32_e64 v1, 0, 1.0, s6
	s_delay_alu instid0(VALU_DEP_1)
	v_cvt_f16_f32_e32 v1, v1
	global_store_b16 v[2:3], v1, off
.LBB355_1852:
	s_mov_b32 s7, 0
.LBB355_1853:
	s_delay_alu instid0(SALU_CYCLE_1)
	s_and_not1_b32 vcc_lo, exec_lo, s7
	s_cbranch_vccnz .LBB355_1869
; %bb.1854:
	s_cmp_lt_i32 s0, 2
	s_mov_b32 s7, -1
	s_cbranch_scc1 .LBB355_1864
; %bb.1855:
	s_cmp_lt_i32 s0, 3
	s_cbranch_scc1 .LBB355_1861
; %bb.1856:
	s_cmp_gt_i32 s0, 3
	s_cbranch_scc0 .LBB355_1858
; %bb.1857:
	s_mov_b32 s7, 0
	s_wait_xcnt 0x0
	v_cndmask_b32_e64 v6, 0, 1, s6
	v_mov_b32_e32 v7, s7
	global_store_b64 v[2:3], v[6:7], off
.LBB355_1858:
	s_and_not1_b32 vcc_lo, exec_lo, s7
	s_cbranch_vccnz .LBB355_1860
; %bb.1859:
	s_wait_xcnt 0x0
	v_cndmask_b32_e64 v1, 0, 1, s6
	global_store_b32 v[2:3], v1, off
.LBB355_1860:
	s_mov_b32 s7, 0
.LBB355_1861:
	s_delay_alu instid0(SALU_CYCLE_1)
	s_and_not1_b32 vcc_lo, exec_lo, s7
	s_cbranch_vccnz .LBB355_1863
; %bb.1862:
	s_wait_xcnt 0x0
	v_cndmask_b32_e64 v1, 0, 1, s6
	global_store_b16 v[2:3], v1, off
.LBB355_1863:
	s_mov_b32 s7, 0
.LBB355_1864:
	s_delay_alu instid0(SALU_CYCLE_1)
	s_and_not1_b32 vcc_lo, exec_lo, s7
	s_cbranch_vccnz .LBB355_1869
; %bb.1865:
	s_wait_xcnt 0x0
	v_cndmask_b32_e64 v1, 0, 1, s6
	s_cmp_gt_i32 s0, 0
	s_mov_b32 s0, -1
	s_cbranch_scc0 .LBB355_1867
; %bb.1866:
	s_mov_b32 s0, 0
	global_store_b8 v[2:3], v1, off
.LBB355_1867:
	s_and_not1_b32 vcc_lo, exec_lo, s0
	s_cbranch_vccnz .LBB355_1869
; %bb.1868:
	global_store_b8 v[2:3], v1, off
.LBB355_1869:
	s_mov_b32 s9, -1
.LBB355_1870:
	s_delay_alu instid0(SALU_CYCLE_1)
	s_and_not1_b32 vcc_lo, exec_lo, s9
	s_cbranch_vccnz .LBB355_1947
; %bb.1871:
	v_add_nc_u32_e32 v0, s2, v0
	v_cmp_ne_u32_e32 vcc_lo, s11, v5
	s_wait_xcnt 0x0
	s_delay_alu instid0(VALU_DEP_2) | instskip(SKIP_2) | instid1(VALU_DEP_1)
	v_ashrrev_i32_e32 v1, 31, v0
	s_xor_b32 s15, s3, vcc_lo
	s_cmp_lt_i32 s14, 11
	v_add_nc_u64_e32 v[0:1], s[4:5], v[0:1]
	s_cbranch_scc1 .LBB355_1992
; %bb.1872:
	s_and_b32 s2, 0xffff, s14
	s_mov_b32 s4, -1
	s_mov_b32 s3, 0
	s_cmp_gt_i32 s2, 25
	s_mov_b32 s0, 0
	s_cbranch_scc0 .LBB355_1905
; %bb.1873:
	s_cmp_gt_i32 s2, 28
	s_cbranch_scc0 .LBB355_1889
; %bb.1874:
	s_cmp_gt_i32 s2, 43
	;; [unrolled: 3-line block ×3, first 2 shown]
	s_cbranch_scc0 .LBB355_1879
; %bb.1876:
	s_cmp_eq_u32 s2, 46
	s_mov_b32 s0, -1
	s_cbranch_scc0 .LBB355_1878
; %bb.1877:
	v_cndmask_b32_e64 v2, 0, 1.0, s15
	s_mov_b32 s0, 0
	s_delay_alu instid0(VALU_DEP_1) | instskip(NEXT) | instid1(VALU_DEP_1)
	v_bfe_u32 v3, v2, 16, 1
	v_add3_u32 v2, v2, v3, 0x7fff
	s_delay_alu instid0(VALU_DEP_1)
	v_lshrrev_b32_e32 v2, 16, v2
	global_store_b32 v[0:1], v2, off
.LBB355_1878:
	s_mov_b32 s4, 0
.LBB355_1879:
	s_delay_alu instid0(SALU_CYCLE_1)
	s_and_b32 vcc_lo, exec_lo, s4
	s_cbranch_vccz .LBB355_1884
; %bb.1880:
	s_cmp_eq_u32 s2, 44
	s_mov_b32 s0, -1
	s_cbranch_scc0 .LBB355_1884
; %bb.1881:
	v_cndmask_b32_e64 v4, 0, 1.0, s15
	s_mov_b32 s4, exec_lo
	s_wait_xcnt 0x0
	s_delay_alu instid0(VALU_DEP_1) | instskip(NEXT) | instid1(VALU_DEP_1)
	v_dual_mov_b32 v3, 0xff :: v_dual_lshrrev_b32 v2, 23, v4
	v_cmpx_ne_u32_e32 0xff, v2
; %bb.1882:
	v_and_b32_e32 v3, 0x400000, v4
	v_and_or_b32 v4, 0x3fffff, v4, v2
	s_delay_alu instid0(VALU_DEP_2) | instskip(NEXT) | instid1(VALU_DEP_2)
	v_cmp_ne_u32_e32 vcc_lo, 0, v3
	v_cmp_ne_u32_e64 s0, 0, v4
	s_and_b32 s0, vcc_lo, s0
	s_delay_alu instid0(SALU_CYCLE_1) | instskip(NEXT) | instid1(VALU_DEP_1)
	v_cndmask_b32_e64 v3, 0, 1, s0
	v_add_nc_u32_e32 v3, v2, v3
; %bb.1883:
	s_or_b32 exec_lo, exec_lo, s4
	s_mov_b32 s0, 0
	global_store_b8 v[0:1], v3, off
.LBB355_1884:
	s_mov_b32 s4, 0
.LBB355_1885:
	s_delay_alu instid0(SALU_CYCLE_1)
	s_and_b32 vcc_lo, exec_lo, s4
	s_cbranch_vccz .LBB355_1888
; %bb.1886:
	s_cmp_eq_u32 s2, 29
	s_mov_b32 s0, -1
	s_cbranch_scc0 .LBB355_1888
; %bb.1887:
	s_mov_b32 s0, 0
	s_wait_xcnt 0x0
	v_cndmask_b32_e64 v2, 0, 1, s15
	v_mov_b32_e32 v3, s0
	global_store_b64 v[0:1], v[2:3], off
.LBB355_1888:
	s_mov_b32 s4, 0
.LBB355_1889:
	s_delay_alu instid0(SALU_CYCLE_1)
	s_and_b32 vcc_lo, exec_lo, s4
	s_cbranch_vccz .LBB355_1904
; %bb.1890:
	s_cmp_lt_i32 s2, 27
	s_mov_b32 s4, -1
	s_cbranch_scc1 .LBB355_1896
; %bb.1891:
	s_wait_xcnt 0x0
	v_cndmask_b32_e64 v2, 0, 1, s15
	s_cmp_gt_i32 s2, 27
	s_cbranch_scc0 .LBB355_1893
; %bb.1892:
	s_mov_b32 s4, 0
	global_store_b32 v[0:1], v2, off
.LBB355_1893:
	s_and_not1_b32 vcc_lo, exec_lo, s4
	s_cbranch_vccnz .LBB355_1895
; %bb.1894:
	global_store_b16 v[0:1], v2, off
.LBB355_1895:
	s_mov_b32 s4, 0
.LBB355_1896:
	s_delay_alu instid0(SALU_CYCLE_1)
	s_and_not1_b32 vcc_lo, exec_lo, s4
	s_cbranch_vccnz .LBB355_1904
; %bb.1897:
	s_wait_xcnt 0x0
	v_cndmask_b32_e64 v3, 0, 1.0, s15
	v_mov_b32_e32 v4, 0x80
	s_mov_b32 s4, exec_lo
	s_delay_alu instid0(VALU_DEP_2)
	v_cmpx_gt_u32_e32 0x43800000, v3
	s_cbranch_execz .LBB355_1903
; %bb.1898:
	s_mov_b32 s5, 0
	s_mov_b32 s6, exec_lo
                                        ; implicit-def: $vgpr2
	v_cmpx_lt_u32_e32 0x3bffffff, v3
	s_xor_b32 s6, exec_lo, s6
	s_cbranch_execz .LBB355_2009
; %bb.1899:
	v_bfe_u32 v2, v3, 20, 1
	s_mov_b32 s5, exec_lo
	s_delay_alu instid0(VALU_DEP_1) | instskip(NEXT) | instid1(VALU_DEP_1)
	v_add3_u32 v2, v3, v2, 0x487ffff
                                        ; implicit-def: $vgpr3
	v_lshrrev_b32_e32 v2, 20, v2
	s_and_not1_saveexec_b32 s6, s6
	s_cbranch_execnz .LBB355_2010
.LBB355_1900:
	s_or_b32 exec_lo, exec_lo, s6
	v_mov_b32_e32 v4, 0
	s_and_saveexec_b32 s6, s5
.LBB355_1901:
	v_mov_b32_e32 v4, v2
.LBB355_1902:
	s_or_b32 exec_lo, exec_lo, s6
.LBB355_1903:
	s_delay_alu instid0(SALU_CYCLE_1)
	s_or_b32 exec_lo, exec_lo, s4
	global_store_b8 v[0:1], v4, off
.LBB355_1904:
	s_mov_b32 s4, 0
.LBB355_1905:
	s_delay_alu instid0(SALU_CYCLE_1)
	s_and_b32 vcc_lo, exec_lo, s4
	s_cbranch_vccz .LBB355_1945
; %bb.1906:
	s_cmp_gt_i32 s2, 22
	s_mov_b32 s3, -1
	s_cbranch_scc0 .LBB355_1938
; %bb.1907:
	s_cmp_lt_i32 s2, 24
	s_cbranch_scc1 .LBB355_1927
; %bb.1908:
	s_cmp_gt_i32 s2, 24
	s_cbranch_scc0 .LBB355_1916
; %bb.1909:
	s_wait_xcnt 0x0
	v_cndmask_b32_e64 v3, 0, 1.0, s15
	v_mov_b32_e32 v4, 0x80
	s_mov_b32 s3, exec_lo
	s_delay_alu instid0(VALU_DEP_2)
	v_cmpx_gt_u32_e32 0x47800000, v3
	s_cbranch_execz .LBB355_1915
; %bb.1910:
	s_mov_b32 s4, 0
	s_mov_b32 s5, exec_lo
                                        ; implicit-def: $vgpr2
	v_cmpx_lt_u32_e32 0x37ffffff, v3
	s_xor_b32 s5, exec_lo, s5
	s_cbranch_execz .LBB355_2012
; %bb.1911:
	v_bfe_u32 v2, v3, 21, 1
	s_mov_b32 s4, exec_lo
	s_delay_alu instid0(VALU_DEP_1) | instskip(NEXT) | instid1(VALU_DEP_1)
	v_add3_u32 v2, v3, v2, 0x88fffff
                                        ; implicit-def: $vgpr3
	v_lshrrev_b32_e32 v2, 21, v2
	s_and_not1_saveexec_b32 s5, s5
	s_cbranch_execnz .LBB355_2013
.LBB355_1912:
	s_or_b32 exec_lo, exec_lo, s5
	v_mov_b32_e32 v4, 0
	s_and_saveexec_b32 s5, s4
.LBB355_1913:
	v_mov_b32_e32 v4, v2
.LBB355_1914:
	s_or_b32 exec_lo, exec_lo, s5
.LBB355_1915:
	s_delay_alu instid0(SALU_CYCLE_1)
	s_or_b32 exec_lo, exec_lo, s3
	s_mov_b32 s3, 0
	global_store_b8 v[0:1], v4, off
.LBB355_1916:
	s_and_b32 vcc_lo, exec_lo, s3
	s_cbranch_vccz .LBB355_1926
; %bb.1917:
	s_wait_xcnt 0x0
	v_cndmask_b32_e64 v3, 0, 1.0, s15
	s_mov_b32 s3, exec_lo
                                        ; implicit-def: $vgpr2
	s_delay_alu instid0(VALU_DEP_1)
	v_cmpx_gt_u32_e32 0x43f00000, v3
	s_xor_b32 s3, exec_lo, s3
	s_cbranch_execz .LBB355_1923
; %bb.1918:
	s_mov_b32 s4, exec_lo
                                        ; implicit-def: $vgpr2
	v_cmpx_lt_u32_e32 0x3c7fffff, v3
	s_xor_b32 s4, exec_lo, s4
; %bb.1919:
	v_bfe_u32 v2, v3, 20, 1
	s_delay_alu instid0(VALU_DEP_1) | instskip(NEXT) | instid1(VALU_DEP_1)
	v_add3_u32 v2, v3, v2, 0x407ffff
	v_and_b32_e32 v3, 0xff00000, v2
	v_lshrrev_b32_e32 v2, 20, v2
	s_delay_alu instid0(VALU_DEP_2) | instskip(NEXT) | instid1(VALU_DEP_2)
	v_cmp_ne_u32_e32 vcc_lo, 0x7f00000, v3
                                        ; implicit-def: $vgpr3
	v_cndmask_b32_e32 v2, 0x7e, v2, vcc_lo
; %bb.1920:
	s_and_not1_saveexec_b32 s4, s4
; %bb.1921:
	v_add_f32_e32 v2, 0x46800000, v3
; %bb.1922:
	s_or_b32 exec_lo, exec_lo, s4
                                        ; implicit-def: $vgpr3
.LBB355_1923:
	s_and_not1_saveexec_b32 s3, s3
; %bb.1924:
	v_mov_b32_e32 v2, 0x7f
	v_cmp_lt_u32_e32 vcc_lo, 0x7f800000, v3
	s_delay_alu instid0(VALU_DEP_2)
	v_cndmask_b32_e32 v2, 0x7e, v2, vcc_lo
; %bb.1925:
	s_or_b32 exec_lo, exec_lo, s3
	global_store_b8 v[0:1], v2, off
.LBB355_1926:
	s_mov_b32 s3, 0
.LBB355_1927:
	s_delay_alu instid0(SALU_CYCLE_1)
	s_and_not1_b32 vcc_lo, exec_lo, s3
	s_cbranch_vccnz .LBB355_1937
; %bb.1928:
	s_wait_xcnt 0x0
	v_cndmask_b32_e64 v3, 0, 1.0, s15
	s_mov_b32 s3, exec_lo
                                        ; implicit-def: $vgpr2
	s_delay_alu instid0(VALU_DEP_1)
	v_cmpx_gt_u32_e32 0x47800000, v3
	s_xor_b32 s3, exec_lo, s3
	s_cbranch_execz .LBB355_1934
; %bb.1929:
	s_mov_b32 s4, exec_lo
                                        ; implicit-def: $vgpr2
	v_cmpx_lt_u32_e32 0x387fffff, v3
	s_xor_b32 s4, exec_lo, s4
; %bb.1930:
	v_bfe_u32 v2, v3, 21, 1
	s_delay_alu instid0(VALU_DEP_1) | instskip(NEXT) | instid1(VALU_DEP_1)
	v_add3_u32 v2, v3, v2, 0x80fffff
                                        ; implicit-def: $vgpr3
	v_lshrrev_b32_e32 v2, 21, v2
; %bb.1931:
	s_and_not1_saveexec_b32 s4, s4
; %bb.1932:
	v_add_f32_e32 v2, 0x43000000, v3
; %bb.1933:
	s_or_b32 exec_lo, exec_lo, s4
                                        ; implicit-def: $vgpr3
.LBB355_1934:
	s_and_not1_saveexec_b32 s3, s3
; %bb.1935:
	v_mov_b32_e32 v2, 0x7f
	v_cmp_lt_u32_e32 vcc_lo, 0x7f800000, v3
	s_delay_alu instid0(VALU_DEP_2)
	v_cndmask_b32_e32 v2, 0x7c, v2, vcc_lo
; %bb.1936:
	s_or_b32 exec_lo, exec_lo, s3
	global_store_b8 v[0:1], v2, off
.LBB355_1937:
	s_mov_b32 s3, 0
.LBB355_1938:
	s_delay_alu instid0(SALU_CYCLE_1)
	s_and_not1_b32 vcc_lo, exec_lo, s3
	s_mov_b32 s3, 0
	s_cbranch_vccnz .LBB355_1945
; %bb.1939:
	s_cmp_gt_i32 s2, 14
	s_mov_b32 s3, -1
	s_cbranch_scc0 .LBB355_1943
; %bb.1940:
	s_cmp_eq_u32 s2, 15
	s_mov_b32 s0, -1
	s_cbranch_scc0 .LBB355_1942
; %bb.1941:
	s_wait_xcnt 0x0
	v_cndmask_b32_e64 v2, 0, 1.0, s15
	s_mov_b32 s0, 0
	s_delay_alu instid0(VALU_DEP_1) | instskip(NEXT) | instid1(VALU_DEP_1)
	v_bfe_u32 v3, v2, 16, 1
	v_add3_u32 v2, v2, v3, 0x7fff
	global_store_d16_hi_b16 v[0:1], v2, off
.LBB355_1942:
	s_mov_b32 s3, 0
.LBB355_1943:
	s_delay_alu instid0(SALU_CYCLE_1)
	s_and_b32 vcc_lo, exec_lo, s3
	s_mov_b32 s3, 0
	s_cbranch_vccz .LBB355_1945
; %bb.1944:
	s_cmp_lg_u32 s2, 11
	s_mov_b32 s3, -1
	s_cselect_b32 s0, -1, 0
.LBB355_1945:
	s_delay_alu instid0(SALU_CYCLE_1)
	s_and_b32 vcc_lo, exec_lo, s0
	s_cbranch_vccnz .LBB355_2011
.LBB355_1946:
	s_mov_b32 s0, 0
	s_branch .LBB355_1948
.LBB355_1947:
	s_mov_b32 s0, 0
	s_mov_b32 s3, 0
                                        ; implicit-def: $sgpr15
                                        ; implicit-def: $sgpr14
                                        ; implicit-def: $vgpr0_vgpr1
.LBB355_1948:
	s_and_not1_b32 s2, s13, exec_lo
	s_and_b32 s4, s1, exec_lo
	s_and_b32 s0, s0, exec_lo
	;; [unrolled: 1-line block ×3, first 2 shown]
	s_or_b32 s13, s2, s4
.LBB355_1949:
	s_wait_xcnt 0x0
	s_or_b32 exec_lo, exec_lo, s12
	s_and_saveexec_b32 s2, s13
	s_cbranch_execz .LBB355_1952
; %bb.1950:
	; divergent unreachable
	s_or_b32 exec_lo, exec_lo, s2
	s_and_saveexec_b32 s2, s1
	s_delay_alu instid0(SALU_CYCLE_1)
	s_xor_b32 s1, exec_lo, s2
	s_cbranch_execnz .LBB355_1953
.LBB355_1951:
	s_or_b32 exec_lo, exec_lo, s1
	s_and_saveexec_b32 s1, s0
	s_cbranch_execnz .LBB355_1954
	s_branch .LBB355_1991
.LBB355_1952:
	s_or_b32 exec_lo, exec_lo, s2
	s_and_saveexec_b32 s2, s1
	s_delay_alu instid0(SALU_CYCLE_1)
	s_xor_b32 s1, exec_lo, s2
	s_cbranch_execz .LBB355_1951
.LBB355_1953:
	s_wait_loadcnt 0x0
	v_cndmask_b32_e64 v2, 0, 1, s15
	global_store_b8 v[0:1], v2, off
	s_wait_xcnt 0x0
	s_or_b32 exec_lo, exec_lo, s1
	s_and_saveexec_b32 s1, s0
	s_cbranch_execz .LBB355_1991
.LBB355_1954:
	s_sext_i32_i16 s1, s14
	s_mov_b32 s0, -1
	s_cmp_lt_i32 s1, 5
	s_cbranch_scc1 .LBB355_1975
; %bb.1955:
	s_cmp_lt_i32 s1, 8
	s_cbranch_scc1 .LBB355_1965
; %bb.1956:
	;; [unrolled: 3-line block ×3, first 2 shown]
	s_cmp_gt_i32 s1, 9
	s_cbranch_scc0 .LBB355_1959
; %bb.1958:
	s_wait_loadcnt 0x0
	v_cndmask_b32_e64 v2, 0, 1, s15
	v_mov_b32_e32 v4, 0
	s_mov_b32 s0, 0
	s_delay_alu instid0(VALU_DEP_2) | instskip(NEXT) | instid1(VALU_DEP_2)
	v_cvt_f64_u32_e32 v[2:3], v2
	v_mov_b32_e32 v5, v4
	global_store_b128 v[0:1], v[2:5], off
.LBB355_1959:
	s_and_not1_b32 vcc_lo, exec_lo, s0
	s_cbranch_vccnz .LBB355_1961
; %bb.1960:
	s_wait_loadcnt 0x0
	v_cndmask_b32_e64 v2, 0, 1.0, s15
	v_mov_b32_e32 v3, 0
	global_store_b64 v[0:1], v[2:3], off
.LBB355_1961:
	s_mov_b32 s0, 0
.LBB355_1962:
	s_delay_alu instid0(SALU_CYCLE_1)
	s_and_not1_b32 vcc_lo, exec_lo, s0
	s_cbranch_vccnz .LBB355_1964
; %bb.1963:
	s_wait_loadcnt 0x0
	v_cndmask_b32_e64 v2, 0, 1.0, s15
	s_delay_alu instid0(VALU_DEP_1) | instskip(NEXT) | instid1(VALU_DEP_1)
	v_cvt_f16_f32_e32 v2, v2
	v_and_b32_e32 v2, 0xffff, v2
	global_store_b32 v[0:1], v2, off
.LBB355_1964:
	s_mov_b32 s0, 0
.LBB355_1965:
	s_delay_alu instid0(SALU_CYCLE_1)
	s_and_not1_b32 vcc_lo, exec_lo, s0
	s_cbranch_vccnz .LBB355_1974
; %bb.1966:
	s_sext_i32_i16 s1, s14
	s_mov_b32 s0, -1
	s_cmp_lt_i32 s1, 6
	s_cbranch_scc1 .LBB355_1972
; %bb.1967:
	s_cmp_gt_i32 s1, 6
	s_cbranch_scc0 .LBB355_1969
; %bb.1968:
	s_wait_loadcnt 0x0
	v_cndmask_b32_e64 v2, 0, 1, s15
	s_mov_b32 s0, 0
	s_delay_alu instid0(VALU_DEP_1)
	v_cvt_f64_u32_e32 v[2:3], v2
	global_store_b64 v[0:1], v[2:3], off
.LBB355_1969:
	s_and_not1_b32 vcc_lo, exec_lo, s0
	s_cbranch_vccnz .LBB355_1971
; %bb.1970:
	s_wait_loadcnt 0x0
	v_cndmask_b32_e64 v2, 0, 1.0, s15
	global_store_b32 v[0:1], v2, off
.LBB355_1971:
	s_mov_b32 s0, 0
.LBB355_1972:
	s_delay_alu instid0(SALU_CYCLE_1)
	s_and_not1_b32 vcc_lo, exec_lo, s0
	s_cbranch_vccnz .LBB355_1974
; %bb.1973:
	s_wait_loadcnt 0x0
	v_cndmask_b32_e64 v2, 0, 1.0, s15
	s_delay_alu instid0(VALU_DEP_1)
	v_cvt_f16_f32_e32 v2, v2
	global_store_b16 v[0:1], v2, off
.LBB355_1974:
	s_mov_b32 s0, 0
.LBB355_1975:
	s_delay_alu instid0(SALU_CYCLE_1)
	s_and_not1_b32 vcc_lo, exec_lo, s0
	s_cbranch_vccnz .LBB355_1991
; %bb.1976:
	s_sext_i32_i16 s1, s14
	s_mov_b32 s0, -1
	s_cmp_lt_i32 s1, 2
	s_cbranch_scc1 .LBB355_1986
; %bb.1977:
	s_cmp_lt_i32 s1, 3
	s_cbranch_scc1 .LBB355_1983
; %bb.1978:
	s_cmp_gt_i32 s1, 3
	s_cbranch_scc0 .LBB355_1980
; %bb.1979:
	s_mov_b32 s0, 0
	s_wait_loadcnt 0x0
	v_cndmask_b32_e64 v2, 0, 1, s15
	v_mov_b32_e32 v3, s0
	global_store_b64 v[0:1], v[2:3], off
.LBB355_1980:
	s_and_not1_b32 vcc_lo, exec_lo, s0
	s_cbranch_vccnz .LBB355_1982
; %bb.1981:
	s_wait_loadcnt 0x0
	v_cndmask_b32_e64 v2, 0, 1, s15
	global_store_b32 v[0:1], v2, off
.LBB355_1982:
	s_mov_b32 s0, 0
.LBB355_1983:
	s_delay_alu instid0(SALU_CYCLE_1)
	s_and_not1_b32 vcc_lo, exec_lo, s0
	s_cbranch_vccnz .LBB355_1985
; %bb.1984:
	s_wait_loadcnt 0x0
	v_cndmask_b32_e64 v2, 0, 1, s15
	global_store_b16 v[0:1], v2, off
.LBB355_1985:
	s_mov_b32 s0, 0
.LBB355_1986:
	s_delay_alu instid0(SALU_CYCLE_1)
	s_and_not1_b32 vcc_lo, exec_lo, s0
	s_cbranch_vccnz .LBB355_1991
; %bb.1987:
	s_wait_loadcnt 0x0
	v_cndmask_b32_e64 v2, 0, 1, s15
	s_sext_i32_i16 s0, s14
	s_delay_alu instid0(SALU_CYCLE_1)
	s_cmp_gt_i32 s0, 0
	s_mov_b32 s0, -1
	s_cbranch_scc0 .LBB355_1989
; %bb.1988:
	s_mov_b32 s0, 0
	global_store_b8 v[0:1], v2, off
.LBB355_1989:
	s_and_not1_b32 vcc_lo, exec_lo, s0
	s_cbranch_vccnz .LBB355_1991
; %bb.1990:
	global_store_b8 v[0:1], v2, off
	s_endpgm
.LBB355_1991:
	s_endpgm
.LBB355_1992:
	s_mov_b32 s3, 0
	s_mov_b32 s0, -1
	s_branch .LBB355_1948
.LBB355_1993:
	s_or_b32 s1, s1, exec_lo
	s_trap 2
	s_cbranch_execz .LBB355_1463
	s_branch .LBB355_1464
.LBB355_1994:
	s_and_not1_saveexec_b32 s15, s15
	s_cbranch_execz .LBB355_1543
.LBB355_1995:
	v_add_f32_e32 v1, 0x46000000, v4
	s_and_not1_b32 s10, s10, exec_lo
	s_delay_alu instid0(VALU_DEP_1) | instskip(NEXT) | instid1(VALU_DEP_1)
	v_and_b32_e32 v1, 0xff, v1
	v_cmp_ne_u32_e32 vcc_lo, 0, v1
	s_and_b32 s16, vcc_lo, exec_lo
	s_delay_alu instid0(SALU_CYCLE_1)
	s_or_b32 s10, s10, s16
	s_or_b32 exec_lo, exec_lo, s15
	v_mov_b32_e32 v8, 0
	s_and_saveexec_b32 s15, s10
	s_cbranch_execnz .LBB355_1544
	s_branch .LBB355_1545
.LBB355_1996:
	s_or_b32 s1, s1, exec_lo
	s_trap 2
	s_cbranch_execz .LBB355_1591
	s_branch .LBB355_1592
.LBB355_1997:
	s_and_not1_saveexec_b32 s10, s10
	s_cbranch_execz .LBB355_1556
.LBB355_1998:
	v_add_f32_e32 v1, 0x42800000, v4
	s_and_not1_b32 s9, s9, exec_lo
	s_delay_alu instid0(VALU_DEP_1) | instskip(NEXT) | instid1(VALU_DEP_1)
	v_and_b32_e32 v1, 0xff, v1
	v_cmp_ne_u32_e32 vcc_lo, 0, v1
	s_and_b32 s15, vcc_lo, exec_lo
	s_delay_alu instid0(SALU_CYCLE_1)
	s_or_b32 s9, s9, s15
	s_or_b32 exec_lo, exec_lo, s10
	v_mov_b32_e32 v8, 0
	s_and_saveexec_b32 s10, s9
	s_cbranch_execnz .LBB355_1557
	s_branch .LBB355_1558
.LBB355_1999:
	s_and_not1_saveexec_b32 s15, s15
	s_cbranch_execz .LBB355_1661
.LBB355_2000:
	v_add_f32_e32 v1, 0x46000000, v4
	s_and_not1_b32 s10, s10, exec_lo
	s_delay_alu instid0(VALU_DEP_1) | instskip(NEXT) | instid1(VALU_DEP_1)
	v_and_b32_e32 v1, 0xff, v1
	v_cmp_ne_u32_e32 vcc_lo, 0, v1
	s_and_b32 s16, vcc_lo, exec_lo
	s_delay_alu instid0(SALU_CYCLE_1)
	s_or_b32 s10, s10, s16
	s_or_b32 exec_lo, exec_lo, s15
	v_mov_b32_e32 v7, 0
	s_and_saveexec_b32 s15, s10
	s_cbranch_execnz .LBB355_1662
	s_branch .LBB355_1663
.LBB355_2001:
	s_or_b32 s1, s1, exec_lo
	s_trap 2
	s_cbranch_execz .LBB355_1709
	s_branch .LBB355_1710
.LBB355_2002:
	s_and_not1_saveexec_b32 s10, s10
	s_cbranch_execz .LBB355_1674
.LBB355_2003:
	v_add_f32_e32 v1, 0x42800000, v4
	s_and_not1_b32 s9, s9, exec_lo
	s_delay_alu instid0(VALU_DEP_1) | instskip(NEXT) | instid1(VALU_DEP_1)
	v_and_b32_e32 v1, 0xff, v1
	v_cmp_ne_u32_e32 vcc_lo, 0, v1
	s_and_b32 s15, vcc_lo, exec_lo
	s_delay_alu instid0(SALU_CYCLE_1)
	s_or_b32 s9, s9, s15
	s_or_b32 exec_lo, exec_lo, s10
	v_mov_b32_e32 v7, 0
	s_and_saveexec_b32 s10, s9
	s_cbranch_execnz .LBB355_1675
	s_branch .LBB355_1676
.LBB355_2004:
	s_and_not1_saveexec_b32 s15, s15
	s_cbranch_execz .LBB355_1780
.LBB355_2005:
	v_add_f32_e32 v1, 0x46000000, v4
	s_and_not1_b32 s10, s10, exec_lo
	s_delay_alu instid0(VALU_DEP_1) | instskip(NEXT) | instid1(VALU_DEP_1)
	v_and_b32_e32 v1, 0xff, v1
	v_cmp_ne_u32_e32 vcc_lo, 0, v1
	s_and_b32 s16, vcc_lo, exec_lo
	s_delay_alu instid0(SALU_CYCLE_1)
	s_or_b32 s10, s10, s16
	s_or_b32 exec_lo, exec_lo, s15
	v_mov_b32_e32 v6, 0
	s_and_saveexec_b32 s15, s10
	s_cbranch_execnz .LBB355_1781
	s_branch .LBB355_1782
.LBB355_2006:
	s_or_b32 s1, s1, exec_lo
	s_trap 2
	s_cbranch_execz .LBB355_1828
	s_branch .LBB355_1829
.LBB355_2007:
	s_and_not1_saveexec_b32 s10, s10
	s_cbranch_execz .LBB355_1793
.LBB355_2008:
	v_add_f32_e32 v1, 0x42800000, v4
	s_and_not1_b32 s9, s9, exec_lo
	s_delay_alu instid0(VALU_DEP_1) | instskip(NEXT) | instid1(VALU_DEP_1)
	v_and_b32_e32 v1, 0xff, v1
	v_cmp_ne_u32_e32 vcc_lo, 0, v1
	s_and_b32 s15, vcc_lo, exec_lo
	s_delay_alu instid0(SALU_CYCLE_1)
	s_or_b32 s9, s9, s15
	s_or_b32 exec_lo, exec_lo, s10
	v_mov_b32_e32 v6, 0
	s_and_saveexec_b32 s10, s9
	s_cbranch_execnz .LBB355_1794
	s_branch .LBB355_1795
.LBB355_2009:
	s_and_not1_saveexec_b32 s6, s6
	s_cbranch_execz .LBB355_1900
.LBB355_2010:
	v_add_f32_e32 v2, 0x46000000, v3
	s_and_not1_b32 s5, s5, exec_lo
	s_delay_alu instid0(VALU_DEP_1) | instskip(NEXT) | instid1(VALU_DEP_1)
	v_and_b32_e32 v2, 0xff, v2
	v_cmp_ne_u32_e32 vcc_lo, 0, v2
	s_and_b32 s7, vcc_lo, exec_lo
	s_delay_alu instid0(SALU_CYCLE_1)
	s_or_b32 s5, s5, s7
	s_or_b32 exec_lo, exec_lo, s6
	v_mov_b32_e32 v4, 0
	s_and_saveexec_b32 s6, s5
	s_cbranch_execnz .LBB355_1901
	s_branch .LBB355_1902
.LBB355_2011:
	s_mov_b32 s3, 0
	s_or_b32 s1, s1, exec_lo
	s_trap 2
	s_branch .LBB355_1946
.LBB355_2012:
	s_and_not1_saveexec_b32 s5, s5
	s_cbranch_execz .LBB355_1912
.LBB355_2013:
	v_add_f32_e32 v2, 0x42800000, v3
	s_and_not1_b32 s4, s4, exec_lo
	s_delay_alu instid0(VALU_DEP_1) | instskip(NEXT) | instid1(VALU_DEP_1)
	v_and_b32_e32 v2, 0xff, v2
	v_cmp_ne_u32_e32 vcc_lo, 0, v2
	s_and_b32 s6, vcc_lo, exec_lo
	s_delay_alu instid0(SALU_CYCLE_1)
	s_or_b32 s4, s4, s6
	s_or_b32 exec_lo, exec_lo, s5
	v_mov_b32_e32 v4, 0
	s_and_saveexec_b32 s5, s4
	s_cbranch_execnz .LBB355_1913
	s_branch .LBB355_1914
	.section	.rodata,"a",@progbits
	.p2align	6, 0x0
	.amdhsa_kernel _ZN2at6native32elementwise_kernel_manual_unrollILi128ELi4EZNS0_15gpu_kernel_implINS0_13AUnaryFunctorIjjbNS0_12_GLOBAL__N_116CompareEqFunctorIjEEEEEEvRNS_18TensorIteratorBaseERKT_EUlibE_EEviT1_
		.amdhsa_group_segment_fixed_size 0
		.amdhsa_private_segment_fixed_size 0
		.amdhsa_kernarg_size 48
		.amdhsa_user_sgpr_count 2
		.amdhsa_user_sgpr_dispatch_ptr 0
		.amdhsa_user_sgpr_queue_ptr 0
		.amdhsa_user_sgpr_kernarg_segment_ptr 1
		.amdhsa_user_sgpr_dispatch_id 0
		.amdhsa_user_sgpr_kernarg_preload_length 0
		.amdhsa_user_sgpr_kernarg_preload_offset 0
		.amdhsa_user_sgpr_private_segment_size 0
		.amdhsa_wavefront_size32 1
		.amdhsa_uses_dynamic_stack 0
		.amdhsa_enable_private_segment 0
		.amdhsa_system_sgpr_workgroup_id_x 1
		.amdhsa_system_sgpr_workgroup_id_y 0
		.amdhsa_system_sgpr_workgroup_id_z 0
		.amdhsa_system_sgpr_workgroup_info 0
		.amdhsa_system_vgpr_workitem_id 0
		.amdhsa_next_free_vgpr 12
		.amdhsa_next_free_sgpr 30
		.amdhsa_named_barrier_count 0
		.amdhsa_reserve_vcc 1
		.amdhsa_float_round_mode_32 0
		.amdhsa_float_round_mode_16_64 0
		.amdhsa_float_denorm_mode_32 3
		.amdhsa_float_denorm_mode_16_64 3
		.amdhsa_fp16_overflow 0
		.amdhsa_memory_ordered 1
		.amdhsa_forward_progress 1
		.amdhsa_inst_pref_size 255
		.amdhsa_round_robin_scheduling 0
		.amdhsa_exception_fp_ieee_invalid_op 0
		.amdhsa_exception_fp_denorm_src 0
		.amdhsa_exception_fp_ieee_div_zero 0
		.amdhsa_exception_fp_ieee_overflow 0
		.amdhsa_exception_fp_ieee_underflow 0
		.amdhsa_exception_fp_ieee_inexact 0
		.amdhsa_exception_int_div_zero 0
	.end_amdhsa_kernel
	.section	.text._ZN2at6native32elementwise_kernel_manual_unrollILi128ELi4EZNS0_15gpu_kernel_implINS0_13AUnaryFunctorIjjbNS0_12_GLOBAL__N_116CompareEqFunctorIjEEEEEEvRNS_18TensorIteratorBaseERKT_EUlibE_EEviT1_,"axG",@progbits,_ZN2at6native32elementwise_kernel_manual_unrollILi128ELi4EZNS0_15gpu_kernel_implINS0_13AUnaryFunctorIjjbNS0_12_GLOBAL__N_116CompareEqFunctorIjEEEEEEvRNS_18TensorIteratorBaseERKT_EUlibE_EEviT1_,comdat
.Lfunc_end355:
	.size	_ZN2at6native32elementwise_kernel_manual_unrollILi128ELi4EZNS0_15gpu_kernel_implINS0_13AUnaryFunctorIjjbNS0_12_GLOBAL__N_116CompareEqFunctorIjEEEEEEvRNS_18TensorIteratorBaseERKT_EUlibE_EEviT1_, .Lfunc_end355-_ZN2at6native32elementwise_kernel_manual_unrollILi128ELi4EZNS0_15gpu_kernel_implINS0_13AUnaryFunctorIjjbNS0_12_GLOBAL__N_116CompareEqFunctorIjEEEEEEvRNS_18TensorIteratorBaseERKT_EUlibE_EEviT1_
                                        ; -- End function
	.set _ZN2at6native32elementwise_kernel_manual_unrollILi128ELi4EZNS0_15gpu_kernel_implINS0_13AUnaryFunctorIjjbNS0_12_GLOBAL__N_116CompareEqFunctorIjEEEEEEvRNS_18TensorIteratorBaseERKT_EUlibE_EEviT1_.num_vgpr, 12
	.set _ZN2at6native32elementwise_kernel_manual_unrollILi128ELi4EZNS0_15gpu_kernel_implINS0_13AUnaryFunctorIjjbNS0_12_GLOBAL__N_116CompareEqFunctorIjEEEEEEvRNS_18TensorIteratorBaseERKT_EUlibE_EEviT1_.num_agpr, 0
	.set _ZN2at6native32elementwise_kernel_manual_unrollILi128ELi4EZNS0_15gpu_kernel_implINS0_13AUnaryFunctorIjjbNS0_12_GLOBAL__N_116CompareEqFunctorIjEEEEEEvRNS_18TensorIteratorBaseERKT_EUlibE_EEviT1_.numbered_sgpr, 30
	.set _ZN2at6native32elementwise_kernel_manual_unrollILi128ELi4EZNS0_15gpu_kernel_implINS0_13AUnaryFunctorIjjbNS0_12_GLOBAL__N_116CompareEqFunctorIjEEEEEEvRNS_18TensorIteratorBaseERKT_EUlibE_EEviT1_.num_named_barrier, 0
	.set _ZN2at6native32elementwise_kernel_manual_unrollILi128ELi4EZNS0_15gpu_kernel_implINS0_13AUnaryFunctorIjjbNS0_12_GLOBAL__N_116CompareEqFunctorIjEEEEEEvRNS_18TensorIteratorBaseERKT_EUlibE_EEviT1_.private_seg_size, 0
	.set _ZN2at6native32elementwise_kernel_manual_unrollILi128ELi4EZNS0_15gpu_kernel_implINS0_13AUnaryFunctorIjjbNS0_12_GLOBAL__N_116CompareEqFunctorIjEEEEEEvRNS_18TensorIteratorBaseERKT_EUlibE_EEviT1_.uses_vcc, 1
	.set _ZN2at6native32elementwise_kernel_manual_unrollILi128ELi4EZNS0_15gpu_kernel_implINS0_13AUnaryFunctorIjjbNS0_12_GLOBAL__N_116CompareEqFunctorIjEEEEEEvRNS_18TensorIteratorBaseERKT_EUlibE_EEviT1_.uses_flat_scratch, 0
	.set _ZN2at6native32elementwise_kernel_manual_unrollILi128ELi4EZNS0_15gpu_kernel_implINS0_13AUnaryFunctorIjjbNS0_12_GLOBAL__N_116CompareEqFunctorIjEEEEEEvRNS_18TensorIteratorBaseERKT_EUlibE_EEviT1_.has_dyn_sized_stack, 0
	.set _ZN2at6native32elementwise_kernel_manual_unrollILi128ELi4EZNS0_15gpu_kernel_implINS0_13AUnaryFunctorIjjbNS0_12_GLOBAL__N_116CompareEqFunctorIjEEEEEEvRNS_18TensorIteratorBaseERKT_EUlibE_EEviT1_.has_recursion, 0
	.set _ZN2at6native32elementwise_kernel_manual_unrollILi128ELi4EZNS0_15gpu_kernel_implINS0_13AUnaryFunctorIjjbNS0_12_GLOBAL__N_116CompareEqFunctorIjEEEEEEvRNS_18TensorIteratorBaseERKT_EUlibE_EEviT1_.has_indirect_call, 0
	.section	.AMDGPU.csdata,"",@progbits
; Kernel info:
; codeLenInByte = 34140
; TotalNumSgprs: 32
; NumVgprs: 12
; ScratchSize: 0
; MemoryBound: 1
; FloatMode: 240
; IeeeMode: 1
; LDSByteSize: 0 bytes/workgroup (compile time only)
; SGPRBlocks: 0
; VGPRBlocks: 0
; NumSGPRsForWavesPerEU: 32
; NumVGPRsForWavesPerEU: 12
; NamedBarCnt: 0
; Occupancy: 16
; WaveLimiterHint : 0
; COMPUTE_PGM_RSRC2:SCRATCH_EN: 0
; COMPUTE_PGM_RSRC2:USER_SGPR: 2
; COMPUTE_PGM_RSRC2:TRAP_HANDLER: 0
; COMPUTE_PGM_RSRC2:TGID_X_EN: 1
; COMPUTE_PGM_RSRC2:TGID_Y_EN: 0
; COMPUTE_PGM_RSRC2:TGID_Z_EN: 0
; COMPUTE_PGM_RSRC2:TIDIG_COMP_CNT: 0
	.section	.text._ZN2at6native32elementwise_kernel_manual_unrollILi128ELi4EZNS0_15gpu_kernel_implINS0_13AUnaryFunctorIjjbNS0_12_GLOBAL__N_116CompareEqFunctorIjEEEEEEvRNS_18TensorIteratorBaseERKT_EUlibE0_EEviT1_,"axG",@progbits,_ZN2at6native32elementwise_kernel_manual_unrollILi128ELi4EZNS0_15gpu_kernel_implINS0_13AUnaryFunctorIjjbNS0_12_GLOBAL__N_116CompareEqFunctorIjEEEEEEvRNS_18TensorIteratorBaseERKT_EUlibE0_EEviT1_,comdat
	.globl	_ZN2at6native32elementwise_kernel_manual_unrollILi128ELi4EZNS0_15gpu_kernel_implINS0_13AUnaryFunctorIjjbNS0_12_GLOBAL__N_116CompareEqFunctorIjEEEEEEvRNS_18TensorIteratorBaseERKT_EUlibE0_EEviT1_ ; -- Begin function _ZN2at6native32elementwise_kernel_manual_unrollILi128ELi4EZNS0_15gpu_kernel_implINS0_13AUnaryFunctorIjjbNS0_12_GLOBAL__N_116CompareEqFunctorIjEEEEEEvRNS_18TensorIteratorBaseERKT_EUlibE0_EEviT1_
	.p2align	8
	.type	_ZN2at6native32elementwise_kernel_manual_unrollILi128ELi4EZNS0_15gpu_kernel_implINS0_13AUnaryFunctorIjjbNS0_12_GLOBAL__N_116CompareEqFunctorIjEEEEEEvRNS_18TensorIteratorBaseERKT_EUlibE0_EEviT1_,@function
_ZN2at6native32elementwise_kernel_manual_unrollILi128ELi4EZNS0_15gpu_kernel_implINS0_13AUnaryFunctorIjjbNS0_12_GLOBAL__N_116CompareEqFunctorIjEEEEEEvRNS_18TensorIteratorBaseERKT_EUlibE0_EEviT1_: ; @_ZN2at6native32elementwise_kernel_manual_unrollILi128ELi4EZNS0_15gpu_kernel_implINS0_13AUnaryFunctorIjjbNS0_12_GLOBAL__N_116CompareEqFunctorIjEEEEEEvRNS_18TensorIteratorBaseERKT_EUlibE0_EEviT1_
; %bb.0:
	s_clause 0x1
	s_load_b32 s33, s[0:1], 0x8
	s_load_b32 s39, s[0:1], 0x0
	s_bfe_u32 s2, ttmp6, 0x4000c
	s_and_b32 s3, ttmp6, 15
	s_add_co_i32 s2, s2, 1
	s_getreg_b32 s4, hwreg(HW_REG_IB_STS2, 6, 4)
	s_mul_i32 s2, ttmp9, s2
	s_mov_b32 s26, -1
	s_add_co_i32 s3, s3, s2
	s_cmp_eq_u32 s4, 0
	s_add_nc_u64 s[16:17], s[0:1], 8
	s_cselect_b32 s2, ttmp9, s3
	s_mov_b32 s3, 0
	v_lshl_or_b32 v0, s2, 9, v0
	s_mov_b32 s8, 0
	s_wait_xcnt 0x0
	s_mov_b32 s0, exec_lo
	s_delay_alu instid0(VALU_DEP_1) | instskip(SKIP_2) | instid1(SALU_CYCLE_1)
	v_or_b32_e32 v9, 0x180, v0
	s_wait_kmcnt 0x0
	s_add_co_i32 s34, s33, -1
	s_cmp_gt_u32 s34, 1
	s_cselect_b32 s35, -1, 0
	v_cmpx_le_i32_e64 s39, v9
	s_xor_b32 s36, exec_lo, s0
	s_cbranch_execz .LBB356_1080
; %bb.1:
	s_clause 0x4
	s_load_b128 s[8:11], s[16:17], 0x4
	s_load_b96 s[0:2], s[16:17], 0x158
	s_load_b64 s[20:21], s[16:17], 0x14
	s_load_b128 s[12:15], s[16:17], 0xc4
	s_load_b128 s[4:7], s[16:17], 0x148
	s_cmp_lg_u32 s33, 0
	s_mov_b32 s19, 0
	s_cselect_b32 s41, -1, 0
	s_min_u32 s40, s34, 15
	s_cmp_gt_u32 s33, 1
	s_add_nc_u64 s[24:25], s[16:17], 0xc4
	s_cselect_b32 s38, -1, 0
	s_mov_b32 s23, s19
	s_mov_b32 s42, s19
	s_mov_b32 s43, exec_lo
	s_wait_kmcnt 0x0
	s_mov_b32 s18, s9
	s_bfe_u32 s37, s2, 0x80008
	s_cmp_eq_u32 s0, 0
	s_mov_b32 s22, s20
	s_cselect_b32 s9, -1, 0
	s_mov_b32 s20, s19
	v_cmpx_gt_i32_e64 s39, v0
	s_cbranch_execz .LBB356_263
; %bb.2:
	s_and_not1_b32 vcc_lo, exec_lo, s35
	s_cbranch_vccnz .LBB356_8
; %bb.3:
	s_and_not1_b32 vcc_lo, exec_lo, s41
	s_cbranch_vccnz .LBB356_9
; %bb.4:
	s_add_co_i32 s0, s40, 1
	s_cmp_eq_u32 s34, 2
	s_cbranch_scc1 .LBB356_10
; %bb.5:
	v_dual_mov_b32 v2, 0 :: v_dual_mov_b32 v4, 0
	v_mov_b32_e32 v1, v0
	s_and_b32 s26, s0, 28
	s_mov_b32 s20, 0
	s_mov_b64 s[28:29], s[16:17]
	s_mov_b64 s[30:31], s[24:25]
.LBB356_6:                              ; =>This Inner Loop Header: Depth=1
	s_clause 0x1
	s_load_b256 s[44:51], s[28:29], 0x4
	s_load_b128 s[60:63], s[28:29], 0x24
	s_load_b256 s[52:59], s[30:31], 0x0
	s_add_co_i32 s20, s20, 4
	s_wait_xcnt 0x0
	s_add_nc_u64 s[28:29], s[28:29], 48
	s_cmp_lg_u32 s26, s20
	s_add_nc_u64 s[30:31], s[30:31], 32
	s_wait_kmcnt 0x0
	v_mul_hi_u32 v3, s45, v1
	s_delay_alu instid0(VALU_DEP_1) | instskip(NEXT) | instid1(VALU_DEP_1)
	v_add_nc_u32_e32 v3, v1, v3
	v_lshrrev_b32_e32 v3, s46, v3
	s_delay_alu instid0(VALU_DEP_1) | instskip(NEXT) | instid1(VALU_DEP_1)
	v_mul_hi_u32 v5, s48, v3
	v_add_nc_u32_e32 v5, v3, v5
	s_delay_alu instid0(VALU_DEP_1) | instskip(NEXT) | instid1(VALU_DEP_1)
	v_lshrrev_b32_e32 v5, s49, v5
	v_mul_hi_u32 v6, s51, v5
	s_delay_alu instid0(VALU_DEP_1) | instskip(SKIP_1) | instid1(VALU_DEP_1)
	v_add_nc_u32_e32 v6, v5, v6
	v_mul_lo_u32 v7, v3, s44
	v_sub_nc_u32_e32 v1, v1, v7
	v_mul_lo_u32 v7, v5, s47
	s_delay_alu instid0(VALU_DEP_4) | instskip(NEXT) | instid1(VALU_DEP_3)
	v_lshrrev_b32_e32 v6, s60, v6
	v_mad_u32 v4, v1, s53, v4
	v_mad_u32 v1, v1, s52, v2
	s_delay_alu instid0(VALU_DEP_4) | instskip(NEXT) | instid1(VALU_DEP_4)
	v_sub_nc_u32_e32 v2, v3, v7
	v_mul_hi_u32 v8, s62, v6
	v_mul_lo_u32 v3, v6, s50
	s_delay_alu instid0(VALU_DEP_3) | instskip(SKIP_1) | instid1(VALU_DEP_3)
	v_mad_u32 v4, v2, s55, v4
	v_mad_u32 v2, v2, s54, v1
	v_dual_add_nc_u32 v7, v6, v8 :: v_dual_sub_nc_u32 v3, v5, v3
	s_delay_alu instid0(VALU_DEP_1) | instskip(NEXT) | instid1(VALU_DEP_2)
	v_lshrrev_b32_e32 v1, s63, v7
	v_mad_u32 v4, v3, s57, v4
	s_delay_alu instid0(VALU_DEP_4) | instskip(NEXT) | instid1(VALU_DEP_3)
	v_mad_u32 v2, v3, s56, v2
	v_mul_lo_u32 v5, v1, s61
	s_delay_alu instid0(VALU_DEP_1) | instskip(NEXT) | instid1(VALU_DEP_1)
	v_sub_nc_u32_e32 v3, v6, v5
	v_mad_u32 v4, v3, s59, v4
	s_delay_alu instid0(VALU_DEP_4)
	v_mad_u32 v2, v3, s58, v2
	s_cbranch_scc1 .LBB356_6
; %bb.7:
	s_delay_alu instid0(VALU_DEP_2)
	v_mov_b32_e32 v3, v4
	s_and_b32 s0, s0, 3
	s_mov_b32 s27, 0
	s_cmp_eq_u32 s0, 0
	s_cbranch_scc0 .LBB356_11
	s_branch .LBB356_14
.LBB356_8:
                                        ; implicit-def: $vgpr4
                                        ; implicit-def: $vgpr2
	s_branch .LBB356_15
.LBB356_9:
	v_dual_mov_b32 v4, 0 :: v_dual_mov_b32 v2, 0
	s_branch .LBB356_14
.LBB356_10:
	v_mov_b64_e32 v[2:3], 0
	v_mov_b32_e32 v1, v0
	s_mov_b32 s26, 0
                                        ; implicit-def: $vgpr4
	s_and_b32 s0, s0, 3
	s_mov_b32 s27, 0
	s_cmp_eq_u32 s0, 0
	s_cbranch_scc1 .LBB356_14
.LBB356_11:
	s_lshl_b32 s28, s26, 3
	s_mov_b32 s29, s27
	s_mul_u64 s[30:31], s[26:27], 12
	s_add_nc_u64 s[28:29], s[16:17], s[28:29]
	s_delay_alu instid0(SALU_CYCLE_1)
	s_add_nc_u64 s[26:27], s[28:29], 0xc4
	s_add_nc_u64 s[28:29], s[16:17], s[30:31]
.LBB356_12:                             ; =>This Inner Loop Header: Depth=1
	s_load_b96 s[44:46], s[28:29], 0x4
	s_load_b64 s[30:31], s[26:27], 0x0
	s_add_co_i32 s0, s0, -1
	s_wait_xcnt 0x0
	s_add_nc_u64 s[28:29], s[28:29], 12
	s_cmp_lg_u32 s0, 0
	s_add_nc_u64 s[26:27], s[26:27], 8
	s_wait_kmcnt 0x0
	v_mul_hi_u32 v4, s45, v1
	s_delay_alu instid0(VALU_DEP_1) | instskip(NEXT) | instid1(VALU_DEP_1)
	v_add_nc_u32_e32 v4, v1, v4
	v_lshrrev_b32_e32 v4, s46, v4
	s_delay_alu instid0(VALU_DEP_1) | instskip(NEXT) | instid1(VALU_DEP_1)
	v_mul_lo_u32 v5, v4, s44
	v_sub_nc_u32_e32 v1, v1, v5
	s_delay_alu instid0(VALU_DEP_1)
	v_mad_u32 v3, v1, s31, v3
	v_mad_u32 v2, v1, s30, v2
	v_mov_b32_e32 v1, v4
	s_cbranch_scc1 .LBB356_12
; %bb.13:
	s_delay_alu instid0(VALU_DEP_3)
	v_mov_b32_e32 v4, v3
.LBB356_14:
	s_cbranch_execnz .LBB356_17
.LBB356_15:
	v_mov_b32_e32 v1, 0
	s_and_not1_b32 vcc_lo, exec_lo, s38
	s_delay_alu instid0(VALU_DEP_1) | instskip(NEXT) | instid1(VALU_DEP_1)
	v_mul_u64_e32 v[2:3], s[18:19], v[0:1]
	v_add_nc_u32_e32 v2, v0, v3
	s_delay_alu instid0(VALU_DEP_1) | instskip(NEXT) | instid1(VALU_DEP_1)
	v_lshrrev_b32_e32 v6, s10, v2
	v_mul_lo_u32 v2, v6, s8
	s_delay_alu instid0(VALU_DEP_1) | instskip(NEXT) | instid1(VALU_DEP_1)
	v_sub_nc_u32_e32 v2, v0, v2
	v_mul_lo_u32 v4, v2, s13
	v_mul_lo_u32 v2, v2, s12
	s_cbranch_vccnz .LBB356_17
; %bb.16:
	v_mov_b32_e32 v7, v1
	s_delay_alu instid0(VALU_DEP_1) | instskip(NEXT) | instid1(VALU_DEP_1)
	v_mul_u64_e32 v[8:9], s[22:23], v[6:7]
	v_add_nc_u32_e32 v1, v6, v9
	s_delay_alu instid0(VALU_DEP_1) | instskip(NEXT) | instid1(VALU_DEP_1)
	v_lshrrev_b32_e32 v1, s21, v1
	v_mul_lo_u32 v1, v1, s11
	s_delay_alu instid0(VALU_DEP_1) | instskip(NEXT) | instid1(VALU_DEP_1)
	v_sub_nc_u32_e32 v1, v6, v1
	v_mad_u32 v2, v1, s14, v2
	v_mad_u32 v4, v1, s15, v4
.LBB356_17:
	v_mov_b32_e32 v5, 0
	s_and_b32 s0, 0xffff, s37
	s_delay_alu instid0(SALU_CYCLE_1) | instskip(NEXT) | instid1(VALU_DEP_1)
	s_cmp_lt_i32 s0, 11
	v_add_nc_u64_e32 v[4:5], s[6:7], v[4:5]
	s_cbranch_scc1 .LBB356_24
; %bb.18:
	s_cmp_gt_i32 s0, 25
	s_cbranch_scc0 .LBB356_33
; %bb.19:
	s_cmp_gt_i32 s0, 28
	s_cbranch_scc0 .LBB356_36
	;; [unrolled: 3-line block ×4, first 2 shown]
; %bb.22:
	s_cmp_eq_u32 s0, 46
	s_mov_b32 s27, 0
	s_cbranch_scc0 .LBB356_42
; %bb.23:
	global_load_b32 v1, v[4:5], off
	s_mov_b32 s20, -1
	s_mov_b32 s26, 0
	s_wait_loadcnt 0x0
	v_lshlrev_b32_e32 v1, 16, v1
	s_delay_alu instid0(VALU_DEP_1)
	v_cvt_u32_f32_e32 v1, v1
	s_branch .LBB356_44
.LBB356_24:
	s_mov_b32 s26, 0
	s_mov_b32 s20, 0
                                        ; implicit-def: $vgpr1
	s_cbranch_execnz .LBB356_213
.LBB356_25:
	s_and_not1_b32 vcc_lo, exec_lo, s20
	s_cbranch_vccnz .LBB356_260
.LBB356_26:
	v_mov_b32_e32 v3, 0
	s_wait_loadcnt 0x0
	s_delay_alu instid0(VALU_DEP_2) | instskip(SKIP_1) | instid1(VALU_DEP_2)
	v_cmp_ne_u32_e32 vcc_lo, s1, v1
	s_and_b32 s27, s2, 0xff
	v_add_nc_u64_e32 v[2:3], s[4:5], v[2:3]
	s_xor_b32 s20, s9, vcc_lo
	s_cmp_lt_i32 s27, 11
	s_cbranch_scc1 .LBB356_34
; %bb.27:
	s_and_b32 s28, 0xffff, s27
	s_delay_alu instid0(SALU_CYCLE_1)
	s_cmp_gt_i32 s28, 25
	s_cbranch_scc0 .LBB356_37
; %bb.28:
	s_cmp_gt_i32 s28, 28
	s_cbranch_scc0 .LBB356_39
; %bb.29:
	;; [unrolled: 3-line block ×4, first 2 shown]
	s_mov_b32 s30, 0
	s_mov_b32 s0, -1
	s_cmp_eq_u32 s28, 46
	s_mov_b32 s29, 0
	s_cbranch_scc0 .LBB356_48
; %bb.32:
	v_cndmask_b32_e64 v1, 0, 1.0, s20
	s_mov_b32 s29, -1
	s_mov_b32 s0, 0
	s_delay_alu instid0(VALU_DEP_1) | instskip(NEXT) | instid1(VALU_DEP_1)
	v_bfe_u32 v4, v1, 16, 1
	v_add3_u32 v1, v1, v4, 0x7fff
	s_delay_alu instid0(VALU_DEP_1)
	v_lshrrev_b32_e32 v1, 16, v1
	global_store_b32 v[2:3], v1, off
	s_branch .LBB356_48
.LBB356_33:
	s_mov_b32 s26, 0
	s_mov_b32 s20, 0
                                        ; implicit-def: $vgpr1
	s_cbranch_execnz .LBB356_180
	s_branch .LBB356_212
.LBB356_34:
	s_mov_b32 s0, 0
	s_mov_b32 s29, 0
	s_cbranch_execnz .LBB356_117
.LBB356_35:
	s_and_not1_b32 vcc_lo, exec_lo, s29
	s_cbranch_vccz .LBB356_155
	s_branch .LBB356_261
.LBB356_36:
	s_mov_b32 s27, -1
	s_mov_b32 s26, 0
	s_mov_b32 s20, 0
                                        ; implicit-def: $vgpr1
	s_branch .LBB356_163
.LBB356_37:
	s_mov_b32 s30, -1
	s_mov_b32 s0, 0
	s_mov_b32 s29, 0
	s_branch .LBB356_75
.LBB356_38:
	s_mov_b32 s27, -1
	s_mov_b32 s26, 0
	s_mov_b32 s20, 0
                                        ; implicit-def: $vgpr1
	s_branch .LBB356_158
.LBB356_39:
	s_mov_b32 s30, -1
	s_mov_b32 s0, 0
	s_mov_b32 s29, 0
	s_branch .LBB356_58
.LBB356_40:
	s_mov_b32 s27, -1
	s_mov_b32 s26, 0
	s_branch .LBB356_43
.LBB356_41:
	s_mov_b32 s30, -1
	s_mov_b32 s0, 0
	s_mov_b32 s29, 0
	s_branch .LBB356_54
.LBB356_42:
	s_mov_b32 s26, -1
.LBB356_43:
	s_mov_b32 s20, 0
                                        ; implicit-def: $vgpr1
.LBB356_44:
	s_and_b32 vcc_lo, exec_lo, s27
	s_cbranch_vccz .LBB356_157
; %bb.45:
	s_cmp_eq_u32 s0, 44
	s_cbranch_scc0 .LBB356_156
; %bb.46:
	global_load_u8 v1, v[4:5], off
	s_mov_b32 s26, 0
	s_mov_b32 s20, -1
	s_wait_loadcnt 0x0
	v_lshlrev_b32_e32 v3, 23, v1
	v_cmp_ne_u32_e32 vcc_lo, 0, v1
	s_delay_alu instid0(VALU_DEP_2) | instskip(NEXT) | instid1(VALU_DEP_1)
	v_cvt_u32_f32_e32 v3, v3
	v_cndmask_b32_e32 v1, 0, v3, vcc_lo
	s_branch .LBB356_157
.LBB356_47:
	s_mov_b32 s30, -1
	s_mov_b32 s0, 0
	s_mov_b32 s29, 0
.LBB356_48:
	s_and_b32 vcc_lo, exec_lo, s30
	s_cbranch_vccz .LBB356_53
; %bb.49:
	s_cmp_eq_u32 s28, 44
	s_mov_b32 s0, -1
	s_cbranch_scc0 .LBB356_53
; %bb.50:
	v_cndmask_b32_e64 v5, 0, 1.0, s20
	s_mov_b32 s29, exec_lo
	s_wait_xcnt 0x0
	s_delay_alu instid0(VALU_DEP_1) | instskip(NEXT) | instid1(VALU_DEP_1)
	v_dual_mov_b32 v4, 0xff :: v_dual_lshrrev_b32 v1, 23, v5
	v_cmpx_ne_u32_e32 0xff, v1
; %bb.51:
	v_and_b32_e32 v4, 0x400000, v5
	v_and_or_b32 v5, 0x3fffff, v5, v1
	s_delay_alu instid0(VALU_DEP_2) | instskip(NEXT) | instid1(VALU_DEP_2)
	v_cmp_ne_u32_e32 vcc_lo, 0, v4
	v_cmp_ne_u32_e64 s0, 0, v5
	s_and_b32 s0, vcc_lo, s0
	s_delay_alu instid0(SALU_CYCLE_1) | instskip(NEXT) | instid1(VALU_DEP_1)
	v_cndmask_b32_e64 v4, 0, 1, s0
	v_add_nc_u32_e32 v4, v1, v4
; %bb.52:
	s_or_b32 exec_lo, exec_lo, s29
	s_mov_b32 s29, -1
	s_mov_b32 s0, 0
	global_store_b8 v[2:3], v4, off
.LBB356_53:
	s_mov_b32 s30, 0
.LBB356_54:
	s_delay_alu instid0(SALU_CYCLE_1)
	s_and_b32 vcc_lo, exec_lo, s30
	s_cbranch_vccz .LBB356_57
; %bb.55:
	s_cmp_eq_u32 s28, 29
	s_mov_b32 s0, -1
	s_cbranch_scc0 .LBB356_57
; %bb.56:
	s_mov_b32 s0, 0
	s_wait_xcnt 0x0
	v_cndmask_b32_e64 v4, 0, 1, s20
	v_mov_b32_e32 v5, s0
	s_mov_b32 s29, -1
	s_mov_b32 s30, 0
	global_store_b64 v[2:3], v[4:5], off
	s_branch .LBB356_58
.LBB356_57:
	s_mov_b32 s30, 0
.LBB356_58:
	s_delay_alu instid0(SALU_CYCLE_1)
	s_and_b32 vcc_lo, exec_lo, s30
	s_cbranch_vccz .LBB356_74
; %bb.59:
	s_cmp_lt_i32 s28, 27
	s_mov_b32 s29, -1
	s_cbranch_scc1 .LBB356_65
; %bb.60:
	s_cmp_gt_i32 s28, 27
	s_cbranch_scc0 .LBB356_62
; %bb.61:
	s_wait_xcnt 0x0
	v_cndmask_b32_e64 v1, 0, 1, s20
	s_mov_b32 s29, 0
	global_store_b32 v[2:3], v1, off
.LBB356_62:
	s_and_not1_b32 vcc_lo, exec_lo, s29
	s_cbranch_vccnz .LBB356_64
; %bb.63:
	s_wait_xcnt 0x0
	v_cndmask_b32_e64 v1, 0, 1, s20
	global_store_b16 v[2:3], v1, off
.LBB356_64:
	s_mov_b32 s29, 0
.LBB356_65:
	s_delay_alu instid0(SALU_CYCLE_1)
	s_and_not1_b32 vcc_lo, exec_lo, s29
	s_cbranch_vccnz .LBB356_73
; %bb.66:
	s_wait_xcnt 0x0
	v_cndmask_b32_e64 v4, 0, 1.0, s20
	v_mov_b32_e32 v5, 0x80
	s_mov_b32 s29, exec_lo
	s_delay_alu instid0(VALU_DEP_2)
	v_cmpx_gt_u32_e32 0x43800000, v4
	s_cbranch_execz .LBB356_72
; %bb.67:
	s_mov_b32 s30, 0
	s_mov_b32 s31, exec_lo
                                        ; implicit-def: $vgpr1
	v_cmpx_lt_u32_e32 0x3bffffff, v4
	s_xor_b32 s31, exec_lo, s31
	s_cbranch_execz .LBB356_306
; %bb.68:
	v_bfe_u32 v1, v4, 20, 1
	s_mov_b32 s30, exec_lo
	s_delay_alu instid0(VALU_DEP_1) | instskip(NEXT) | instid1(VALU_DEP_1)
	v_add3_u32 v1, v4, v1, 0x487ffff
                                        ; implicit-def: $vgpr4
	v_lshrrev_b32_e32 v1, 20, v1
	s_and_not1_saveexec_b32 s31, s31
	s_cbranch_execnz .LBB356_307
.LBB356_69:
	s_or_b32 exec_lo, exec_lo, s31
	v_mov_b32_e32 v5, 0
	s_and_saveexec_b32 s31, s30
.LBB356_70:
	v_mov_b32_e32 v5, v1
.LBB356_71:
	s_or_b32 exec_lo, exec_lo, s31
.LBB356_72:
	s_delay_alu instid0(SALU_CYCLE_1)
	s_or_b32 exec_lo, exec_lo, s29
	global_store_b8 v[2:3], v5, off
.LBB356_73:
	s_mov_b32 s29, -1
.LBB356_74:
	s_mov_b32 s30, 0
.LBB356_75:
	s_delay_alu instid0(SALU_CYCLE_1)
	s_and_b32 vcc_lo, exec_lo, s30
	s_cbranch_vccz .LBB356_116
; %bb.76:
	s_cmp_gt_i32 s28, 22
	s_mov_b32 s30, -1
	s_cbranch_scc0 .LBB356_108
; %bb.77:
	s_cmp_lt_i32 s28, 24
	s_mov_b32 s29, -1
	s_cbranch_scc1 .LBB356_97
; %bb.78:
	s_cmp_gt_i32 s28, 24
	s_cbranch_scc0 .LBB356_86
; %bb.79:
	s_wait_xcnt 0x0
	v_cndmask_b32_e64 v4, 0, 1.0, s20
	v_mov_b32_e32 v5, 0x80
	s_mov_b32 s29, exec_lo
	s_delay_alu instid0(VALU_DEP_2)
	v_cmpx_gt_u32_e32 0x47800000, v4
	s_cbranch_execz .LBB356_85
; %bb.80:
	s_mov_b32 s30, 0
	s_mov_b32 s31, exec_lo
                                        ; implicit-def: $vgpr1
	v_cmpx_lt_u32_e32 0x37ffffff, v4
	s_xor_b32 s31, exec_lo, s31
	s_cbranch_execz .LBB356_310
; %bb.81:
	v_bfe_u32 v1, v4, 21, 1
	s_mov_b32 s30, exec_lo
	s_delay_alu instid0(VALU_DEP_1) | instskip(NEXT) | instid1(VALU_DEP_1)
	v_add3_u32 v1, v4, v1, 0x88fffff
                                        ; implicit-def: $vgpr4
	v_lshrrev_b32_e32 v1, 21, v1
	s_and_not1_saveexec_b32 s31, s31
	s_cbranch_execnz .LBB356_311
.LBB356_82:
	s_or_b32 exec_lo, exec_lo, s31
	v_mov_b32_e32 v5, 0
	s_and_saveexec_b32 s31, s30
.LBB356_83:
	v_mov_b32_e32 v5, v1
.LBB356_84:
	s_or_b32 exec_lo, exec_lo, s31
.LBB356_85:
	s_delay_alu instid0(SALU_CYCLE_1)
	s_or_b32 exec_lo, exec_lo, s29
	s_mov_b32 s29, 0
	global_store_b8 v[2:3], v5, off
.LBB356_86:
	s_and_b32 vcc_lo, exec_lo, s29
	s_cbranch_vccz .LBB356_96
; %bb.87:
	s_wait_xcnt 0x0
	v_cndmask_b32_e64 v4, 0, 1.0, s20
	s_mov_b32 s29, exec_lo
                                        ; implicit-def: $vgpr1
	s_delay_alu instid0(VALU_DEP_1)
	v_cmpx_gt_u32_e32 0x43f00000, v4
	s_xor_b32 s29, exec_lo, s29
	s_cbranch_execz .LBB356_93
; %bb.88:
	s_mov_b32 s30, exec_lo
                                        ; implicit-def: $vgpr1
	v_cmpx_lt_u32_e32 0x3c7fffff, v4
	s_xor_b32 s30, exec_lo, s30
; %bb.89:
	v_bfe_u32 v1, v4, 20, 1
	s_delay_alu instid0(VALU_DEP_1) | instskip(NEXT) | instid1(VALU_DEP_1)
	v_add3_u32 v1, v4, v1, 0x407ffff
	v_and_b32_e32 v4, 0xff00000, v1
	v_lshrrev_b32_e32 v1, 20, v1
	s_delay_alu instid0(VALU_DEP_2) | instskip(NEXT) | instid1(VALU_DEP_2)
	v_cmp_ne_u32_e32 vcc_lo, 0x7f00000, v4
                                        ; implicit-def: $vgpr4
	v_cndmask_b32_e32 v1, 0x7e, v1, vcc_lo
; %bb.90:
	s_and_not1_saveexec_b32 s30, s30
; %bb.91:
	v_add_f32_e32 v1, 0x46800000, v4
; %bb.92:
	s_or_b32 exec_lo, exec_lo, s30
                                        ; implicit-def: $vgpr4
.LBB356_93:
	s_and_not1_saveexec_b32 s29, s29
; %bb.94:
	v_mov_b32_e32 v1, 0x7f
	v_cmp_lt_u32_e32 vcc_lo, 0x7f800000, v4
	s_delay_alu instid0(VALU_DEP_2)
	v_cndmask_b32_e32 v1, 0x7e, v1, vcc_lo
; %bb.95:
	s_or_b32 exec_lo, exec_lo, s29
	global_store_b8 v[2:3], v1, off
.LBB356_96:
	s_mov_b32 s29, 0
.LBB356_97:
	s_delay_alu instid0(SALU_CYCLE_1)
	s_and_not1_b32 vcc_lo, exec_lo, s29
	s_cbranch_vccnz .LBB356_107
; %bb.98:
	s_wait_xcnt 0x0
	v_cndmask_b32_e64 v4, 0, 1.0, s20
	s_mov_b32 s29, exec_lo
                                        ; implicit-def: $vgpr1
	s_delay_alu instid0(VALU_DEP_1)
	v_cmpx_gt_u32_e32 0x47800000, v4
	s_xor_b32 s29, exec_lo, s29
	s_cbranch_execz .LBB356_104
; %bb.99:
	s_mov_b32 s30, exec_lo
                                        ; implicit-def: $vgpr1
	v_cmpx_lt_u32_e32 0x387fffff, v4
	s_xor_b32 s30, exec_lo, s30
; %bb.100:
	v_bfe_u32 v1, v4, 21, 1
	s_delay_alu instid0(VALU_DEP_1) | instskip(NEXT) | instid1(VALU_DEP_1)
	v_add3_u32 v1, v4, v1, 0x80fffff
                                        ; implicit-def: $vgpr4
	v_lshrrev_b32_e32 v1, 21, v1
; %bb.101:
	s_and_not1_saveexec_b32 s30, s30
; %bb.102:
	v_add_f32_e32 v1, 0x43000000, v4
; %bb.103:
	s_or_b32 exec_lo, exec_lo, s30
                                        ; implicit-def: $vgpr4
.LBB356_104:
	s_and_not1_saveexec_b32 s29, s29
; %bb.105:
	v_mov_b32_e32 v1, 0x7f
	v_cmp_lt_u32_e32 vcc_lo, 0x7f800000, v4
	s_delay_alu instid0(VALU_DEP_2)
	v_cndmask_b32_e32 v1, 0x7c, v1, vcc_lo
; %bb.106:
	s_or_b32 exec_lo, exec_lo, s29
	global_store_b8 v[2:3], v1, off
.LBB356_107:
	s_mov_b32 s30, 0
	s_mov_b32 s29, -1
.LBB356_108:
	s_and_not1_b32 vcc_lo, exec_lo, s30
	s_cbranch_vccnz .LBB356_116
; %bb.109:
	s_cmp_gt_i32 s28, 14
	s_mov_b32 s30, -1
	s_cbranch_scc0 .LBB356_113
; %bb.110:
	s_cmp_eq_u32 s28, 15
	s_mov_b32 s0, -1
	s_cbranch_scc0 .LBB356_112
; %bb.111:
	s_wait_xcnt 0x0
	v_cndmask_b32_e64 v1, 0, 1.0, s20
	s_mov_b32 s29, -1
	s_mov_b32 s0, 0
	s_delay_alu instid0(VALU_DEP_1) | instskip(NEXT) | instid1(VALU_DEP_1)
	v_bfe_u32 v4, v1, 16, 1
	v_add3_u32 v1, v1, v4, 0x7fff
	global_store_d16_hi_b16 v[2:3], v1, off
.LBB356_112:
	s_mov_b32 s30, 0
.LBB356_113:
	s_delay_alu instid0(SALU_CYCLE_1)
	s_and_b32 vcc_lo, exec_lo, s30
	s_cbranch_vccz .LBB356_116
; %bb.114:
	s_cmp_eq_u32 s28, 11
	s_mov_b32 s0, -1
	s_cbranch_scc0 .LBB356_116
; %bb.115:
	s_wait_xcnt 0x0
	v_cndmask_b32_e64 v1, 0, 1, s20
	s_mov_b32 s29, -1
	s_mov_b32 s0, 0
	global_store_b8 v[2:3], v1, off
.LBB356_116:
	s_branch .LBB356_35
.LBB356_117:
	s_and_b32 s27, 0xffff, s27
	s_mov_b32 s28, -1
	s_cmp_lt_i32 s27, 5
	s_cbranch_scc1 .LBB356_138
; %bb.118:
	s_cmp_lt_i32 s27, 8
	s_cbranch_scc1 .LBB356_128
; %bb.119:
	;; [unrolled: 3-line block ×3, first 2 shown]
	s_cmp_gt_i32 s27, 9
	s_cbranch_scc0 .LBB356_122
; %bb.121:
	s_wait_xcnt 0x0
	v_cndmask_b32_e64 v1, 0, 1, s20
	v_mov_b32_e32 v6, 0
	s_mov_b32 s28, 0
	s_delay_alu instid0(VALU_DEP_2) | instskip(NEXT) | instid1(VALU_DEP_2)
	v_cvt_f64_u32_e32 v[4:5], v1
	v_mov_b32_e32 v7, v6
	global_store_b128 v[2:3], v[4:7], off
.LBB356_122:
	s_and_not1_b32 vcc_lo, exec_lo, s28
	s_cbranch_vccnz .LBB356_124
; %bb.123:
	s_wait_xcnt 0x0
	v_cndmask_b32_e64 v4, 0, 1.0, s20
	v_mov_b32_e32 v5, 0
	global_store_b64 v[2:3], v[4:5], off
.LBB356_124:
	s_mov_b32 s28, 0
.LBB356_125:
	s_delay_alu instid0(SALU_CYCLE_1)
	s_and_not1_b32 vcc_lo, exec_lo, s28
	s_cbranch_vccnz .LBB356_127
; %bb.126:
	s_wait_xcnt 0x0
	v_cndmask_b32_e64 v1, 0, 1.0, s20
	s_delay_alu instid0(VALU_DEP_1) | instskip(NEXT) | instid1(VALU_DEP_1)
	v_cvt_f16_f32_e32 v1, v1
	v_and_b32_e32 v1, 0xffff, v1
	global_store_b32 v[2:3], v1, off
.LBB356_127:
	s_mov_b32 s28, 0
.LBB356_128:
	s_delay_alu instid0(SALU_CYCLE_1)
	s_and_not1_b32 vcc_lo, exec_lo, s28
	s_cbranch_vccnz .LBB356_137
; %bb.129:
	s_cmp_lt_i32 s27, 6
	s_mov_b32 s28, -1
	s_cbranch_scc1 .LBB356_135
; %bb.130:
	s_cmp_gt_i32 s27, 6
	s_cbranch_scc0 .LBB356_132
; %bb.131:
	s_wait_xcnt 0x0
	v_cndmask_b32_e64 v1, 0, 1, s20
	s_mov_b32 s28, 0
	s_delay_alu instid0(VALU_DEP_1)
	v_cvt_f64_u32_e32 v[4:5], v1
	global_store_b64 v[2:3], v[4:5], off
.LBB356_132:
	s_and_not1_b32 vcc_lo, exec_lo, s28
	s_cbranch_vccnz .LBB356_134
; %bb.133:
	s_wait_xcnt 0x0
	v_cndmask_b32_e64 v1, 0, 1.0, s20
	global_store_b32 v[2:3], v1, off
.LBB356_134:
	s_mov_b32 s28, 0
.LBB356_135:
	s_delay_alu instid0(SALU_CYCLE_1)
	s_and_not1_b32 vcc_lo, exec_lo, s28
	s_cbranch_vccnz .LBB356_137
; %bb.136:
	s_wait_xcnt 0x0
	v_cndmask_b32_e64 v1, 0, 1.0, s20
	s_delay_alu instid0(VALU_DEP_1)
	v_cvt_f16_f32_e32 v1, v1
	global_store_b16 v[2:3], v1, off
.LBB356_137:
	s_mov_b32 s28, 0
.LBB356_138:
	s_delay_alu instid0(SALU_CYCLE_1)
	s_and_not1_b32 vcc_lo, exec_lo, s28
	s_cbranch_vccnz .LBB356_154
; %bb.139:
	s_cmp_lt_i32 s27, 2
	s_mov_b32 s28, -1
	s_cbranch_scc1 .LBB356_149
; %bb.140:
	s_cmp_lt_i32 s27, 3
	s_cbranch_scc1 .LBB356_146
; %bb.141:
	s_cmp_gt_i32 s27, 3
	s_cbranch_scc0 .LBB356_143
; %bb.142:
	s_mov_b32 s28, 0
	s_wait_xcnt 0x0
	v_cndmask_b32_e64 v4, 0, 1, s20
	v_mov_b32_e32 v5, s28
	global_store_b64 v[2:3], v[4:5], off
.LBB356_143:
	s_and_not1_b32 vcc_lo, exec_lo, s28
	s_cbranch_vccnz .LBB356_145
; %bb.144:
	s_wait_xcnt 0x0
	v_cndmask_b32_e64 v1, 0, 1, s20
	global_store_b32 v[2:3], v1, off
.LBB356_145:
	s_mov_b32 s28, 0
.LBB356_146:
	s_delay_alu instid0(SALU_CYCLE_1)
	s_and_not1_b32 vcc_lo, exec_lo, s28
	s_cbranch_vccnz .LBB356_148
; %bb.147:
	s_wait_xcnt 0x0
	v_cndmask_b32_e64 v1, 0, 1, s20
	global_store_b16 v[2:3], v1, off
.LBB356_148:
	s_mov_b32 s28, 0
.LBB356_149:
	s_delay_alu instid0(SALU_CYCLE_1)
	s_and_not1_b32 vcc_lo, exec_lo, s28
	s_cbranch_vccnz .LBB356_154
; %bb.150:
	s_cmp_gt_i32 s27, 0
	s_mov_b32 s27, -1
	s_cbranch_scc0 .LBB356_152
; %bb.151:
	s_wait_xcnt 0x0
	v_cndmask_b32_e64 v1, 0, 1, s20
	s_mov_b32 s27, 0
	global_store_b8 v[2:3], v1, off
.LBB356_152:
	s_and_not1_b32 vcc_lo, exec_lo, s27
	s_cbranch_vccnz .LBB356_154
; %bb.153:
	s_wait_xcnt 0x0
	v_cndmask_b32_e64 v1, 0, 1, s20
	global_store_b8 v[2:3], v1, off
.LBB356_154:
.LBB356_155:
	v_add_nc_u32_e32 v0, 0x80, v0
	s_mov_b32 s27, -1
	s_branch .LBB356_262
.LBB356_156:
	s_mov_b32 s26, -1
                                        ; implicit-def: $vgpr1
.LBB356_157:
	s_mov_b32 s27, 0
.LBB356_158:
	s_delay_alu instid0(SALU_CYCLE_1)
	s_and_b32 vcc_lo, exec_lo, s27
	s_cbranch_vccz .LBB356_162
; %bb.159:
	s_cmp_eq_u32 s0, 29
	s_cbranch_scc0 .LBB356_161
; %bb.160:
	global_load_b32 v1, v[4:5], off
	s_mov_b32 s20, -1
	s_mov_b32 s26, 0
	s_branch .LBB356_162
.LBB356_161:
	s_mov_b32 s26, -1
                                        ; implicit-def: $vgpr1
.LBB356_162:
	s_mov_b32 s27, 0
.LBB356_163:
	s_delay_alu instid0(SALU_CYCLE_1)
	s_and_b32 vcc_lo, exec_lo, s27
	s_cbranch_vccz .LBB356_179
; %bb.164:
	s_cmp_lt_i32 s0, 27
	s_cbranch_scc1 .LBB356_167
; %bb.165:
	s_cmp_gt_i32 s0, 27
	s_cbranch_scc0 .LBB356_168
; %bb.166:
	s_wait_loadcnt 0x0
	global_load_b32 v1, v[4:5], off
	s_mov_b32 s20, 0
	s_branch .LBB356_169
.LBB356_167:
	s_mov_b32 s20, -1
                                        ; implicit-def: $vgpr1
	s_branch .LBB356_172
.LBB356_168:
	s_mov_b32 s20, -1
                                        ; implicit-def: $vgpr1
.LBB356_169:
	s_delay_alu instid0(SALU_CYCLE_1)
	s_and_not1_b32 vcc_lo, exec_lo, s20
	s_cbranch_vccnz .LBB356_171
; %bb.170:
	s_wait_loadcnt 0x0
	global_load_u16 v1, v[4:5], off
.LBB356_171:
	s_mov_b32 s20, 0
.LBB356_172:
	s_delay_alu instid0(SALU_CYCLE_1)
	s_and_not1_b32 vcc_lo, exec_lo, s20
	s_cbranch_vccnz .LBB356_178
; %bb.173:
	global_load_u8 v3, v[4:5], off
	s_mov_b32 s27, 0
	s_mov_b32 s20, exec_lo
	s_wait_loadcnt 0x0
	v_cmpx_lt_i16_e32 0x7f, v3
	s_xor_b32 s20, exec_lo, s20
	s_cbranch_execz .LBB356_189
; %bb.174:
	v_cmp_ne_u16_e32 vcc_lo, 0x80, v3
	s_and_b32 s27, vcc_lo, exec_lo
	s_and_not1_saveexec_b32 s20, s20
	s_cbranch_execnz .LBB356_190
.LBB356_175:
	s_or_b32 exec_lo, exec_lo, s20
	v_mov_b32_e32 v1, 0
	s_and_saveexec_b32 s20, s27
	s_cbranch_execz .LBB356_177
.LBB356_176:
	v_and_b32_e32 v1, 0xffff, v3
	s_delay_alu instid0(VALU_DEP_1) | instskip(SKIP_1) | instid1(VALU_DEP_2)
	v_and_b32_e32 v6, 7, v1
	v_bfe_u32 v9, v1, 3, 4
	v_clz_i32_u32_e32 v7, v6
	s_delay_alu instid0(VALU_DEP_2) | instskip(NEXT) | instid1(VALU_DEP_2)
	v_cmp_eq_u32_e32 vcc_lo, 0, v9
	v_min_u32_e32 v7, 32, v7
	s_delay_alu instid0(VALU_DEP_1) | instskip(NEXT) | instid1(VALU_DEP_1)
	v_subrev_nc_u32_e32 v8, 28, v7
	v_dual_lshlrev_b32 v1, v8, v1 :: v_dual_sub_nc_u32 v7, 29, v7
	s_delay_alu instid0(VALU_DEP_1) | instskip(NEXT) | instid1(VALU_DEP_1)
	v_dual_lshlrev_b32 v3, 24, v3 :: v_dual_bitop2_b32 v1, 7, v1 bitop3:0x40
	v_dual_cndmask_b32 v1, v6, v1, vcc_lo :: v_dual_cndmask_b32 v7, v9, v7, vcc_lo
	s_delay_alu instid0(VALU_DEP_2) | instskip(NEXT) | instid1(VALU_DEP_2)
	v_and_b32_e32 v3, 0x80000000, v3
	v_lshlrev_b32_e32 v1, 20, v1
	s_delay_alu instid0(VALU_DEP_3) | instskip(NEXT) | instid1(VALU_DEP_1)
	v_lshl_add_u32 v6, v7, 23, 0x3b800000
	v_or3_b32 v1, v3, v6, v1
	s_delay_alu instid0(VALU_DEP_1)
	v_cvt_u32_f32_e32 v1, v1
.LBB356_177:
	s_or_b32 exec_lo, exec_lo, s20
.LBB356_178:
	s_mov_b32 s20, -1
.LBB356_179:
	s_branch .LBB356_212
.LBB356_180:
	s_cmp_gt_i32 s0, 22
	s_cbranch_scc0 .LBB356_188
; %bb.181:
	s_cmp_lt_i32 s0, 24
	s_cbranch_scc1 .LBB356_191
; %bb.182:
	s_cmp_gt_i32 s0, 24
	s_cbranch_scc0 .LBB356_192
; %bb.183:
	global_load_u8 v3, v[4:5], off
	s_mov_b32 s27, 0
	s_mov_b32 s20, exec_lo
	s_wait_loadcnt 0x0
	v_cmpx_lt_i16_e32 0x7f, v3
	s_xor_b32 s20, exec_lo, s20
	s_cbranch_execz .LBB356_204
; %bb.184:
	v_cmp_ne_u16_e32 vcc_lo, 0x80, v3
	s_and_b32 s27, vcc_lo, exec_lo
	s_and_not1_saveexec_b32 s20, s20
	s_cbranch_execnz .LBB356_205
.LBB356_185:
	s_or_b32 exec_lo, exec_lo, s20
	v_mov_b32_e32 v1, 0
	s_and_saveexec_b32 s20, s27
	s_cbranch_execz .LBB356_187
.LBB356_186:
	v_and_b32_e32 v1, 0xffff, v3
	s_delay_alu instid0(VALU_DEP_1) | instskip(SKIP_1) | instid1(VALU_DEP_2)
	v_and_b32_e32 v6, 3, v1
	v_bfe_u32 v9, v1, 2, 5
	v_clz_i32_u32_e32 v7, v6
	s_delay_alu instid0(VALU_DEP_2) | instskip(NEXT) | instid1(VALU_DEP_2)
	v_cmp_eq_u32_e32 vcc_lo, 0, v9
	v_min_u32_e32 v7, 32, v7
	s_delay_alu instid0(VALU_DEP_1) | instskip(NEXT) | instid1(VALU_DEP_1)
	v_subrev_nc_u32_e32 v8, 29, v7
	v_dual_lshlrev_b32 v1, v8, v1 :: v_dual_sub_nc_u32 v7, 30, v7
	s_delay_alu instid0(VALU_DEP_1) | instskip(NEXT) | instid1(VALU_DEP_1)
	v_dual_lshlrev_b32 v3, 24, v3 :: v_dual_bitop2_b32 v1, 3, v1 bitop3:0x40
	v_dual_cndmask_b32 v1, v6, v1, vcc_lo :: v_dual_cndmask_b32 v7, v9, v7, vcc_lo
	s_delay_alu instid0(VALU_DEP_2) | instskip(NEXT) | instid1(VALU_DEP_2)
	v_and_b32_e32 v3, 0x80000000, v3
	v_lshlrev_b32_e32 v1, 21, v1
	s_delay_alu instid0(VALU_DEP_3) | instskip(NEXT) | instid1(VALU_DEP_1)
	v_lshl_add_u32 v6, v7, 23, 0x37800000
	v_or3_b32 v1, v3, v6, v1
	s_delay_alu instid0(VALU_DEP_1)
	v_cvt_u32_f32_e32 v1, v1
.LBB356_187:
	s_or_b32 exec_lo, exec_lo, s20
	s_mov_b32 s20, 0
	s_branch .LBB356_193
.LBB356_188:
	s_mov_b32 s27, -1
                                        ; implicit-def: $vgpr1
	s_branch .LBB356_199
.LBB356_189:
	s_and_not1_saveexec_b32 s20, s20
	s_cbranch_execz .LBB356_175
.LBB356_190:
	v_cmp_ne_u16_e32 vcc_lo, 0, v3
	s_and_not1_b32 s27, s27, exec_lo
	s_and_b32 s28, vcc_lo, exec_lo
	s_delay_alu instid0(SALU_CYCLE_1)
	s_or_b32 s27, s27, s28
	s_or_b32 exec_lo, exec_lo, s20
	v_mov_b32_e32 v1, 0
	s_and_saveexec_b32 s20, s27
	s_cbranch_execnz .LBB356_176
	s_branch .LBB356_177
.LBB356_191:
	s_mov_b32 s20, -1
                                        ; implicit-def: $vgpr1
	s_branch .LBB356_196
.LBB356_192:
	s_mov_b32 s20, -1
                                        ; implicit-def: $vgpr1
.LBB356_193:
	s_delay_alu instid0(SALU_CYCLE_1)
	s_and_b32 vcc_lo, exec_lo, s20
	s_cbranch_vccz .LBB356_195
; %bb.194:
	s_wait_loadcnt 0x0
	global_load_u8 v1, v[4:5], off
	s_wait_loadcnt 0x0
	v_lshlrev_b32_e32 v1, 24, v1
	s_delay_alu instid0(VALU_DEP_1) | instskip(NEXT) | instid1(VALU_DEP_1)
	v_and_b32_e32 v3, 0x7f000000, v1
	v_clz_i32_u32_e32 v6, v3
	v_cmp_ne_u32_e32 vcc_lo, 0, v3
	v_add_nc_u32_e32 v8, 0x1000000, v3
	s_delay_alu instid0(VALU_DEP_3) | instskip(NEXT) | instid1(VALU_DEP_1)
	v_min_u32_e32 v6, 32, v6
	v_sub_nc_u32_e64 v6, v6, 4 clamp
	s_delay_alu instid0(VALU_DEP_1) | instskip(NEXT) | instid1(VALU_DEP_1)
	v_dual_lshlrev_b32 v7, v6, v3 :: v_dual_lshlrev_b32 v6, 23, v6
	v_lshrrev_b32_e32 v7, 4, v7
	s_delay_alu instid0(VALU_DEP_1) | instskip(NEXT) | instid1(VALU_DEP_1)
	v_dual_sub_nc_u32 v6, v7, v6 :: v_dual_ashrrev_i32 v7, 8, v8
	v_add_nc_u32_e32 v6, 0x3c000000, v6
	s_delay_alu instid0(VALU_DEP_1) | instskip(NEXT) | instid1(VALU_DEP_1)
	v_and_or_b32 v6, 0x7f800000, v7, v6
	v_cndmask_b32_e32 v3, 0, v6, vcc_lo
	s_delay_alu instid0(VALU_DEP_1) | instskip(NEXT) | instid1(VALU_DEP_1)
	v_and_or_b32 v1, 0x80000000, v1, v3
	v_cvt_u32_f32_e32 v1, v1
.LBB356_195:
	s_mov_b32 s20, 0
.LBB356_196:
	s_delay_alu instid0(SALU_CYCLE_1)
	s_and_not1_b32 vcc_lo, exec_lo, s20
	s_cbranch_vccnz .LBB356_198
; %bb.197:
	s_wait_loadcnt 0x0
	global_load_u8 v1, v[4:5], off
	s_wait_loadcnt 0x0
	v_lshlrev_b32_e32 v3, 25, v1
	v_lshlrev_b16 v1, 8, v1
	s_delay_alu instid0(VALU_DEP_1) | instskip(SKIP_1) | instid1(VALU_DEP_2)
	v_and_or_b32 v7, 0x7f00, v1, 0.5
	v_bfe_i32 v1, v1, 0, 16
	v_add_f32_e32 v7, -0.5, v7
	v_lshrrev_b32_e32 v6, 4, v3
	v_cmp_gt_u32_e32 vcc_lo, 0x8000000, v3
	s_delay_alu instid0(VALU_DEP_2) | instskip(NEXT) | instid1(VALU_DEP_1)
	v_or_b32_e32 v6, 0x70000000, v6
	v_mul_f32_e32 v6, 0x7800000, v6
	s_delay_alu instid0(VALU_DEP_1) | instskip(NEXT) | instid1(VALU_DEP_1)
	v_cndmask_b32_e32 v3, v6, v7, vcc_lo
	v_and_or_b32 v1, 0x80000000, v1, v3
	s_delay_alu instid0(VALU_DEP_1)
	v_cvt_u32_f32_e32 v1, v1
.LBB356_198:
	s_mov_b32 s27, 0
	s_mov_b32 s20, -1
.LBB356_199:
	s_and_not1_b32 vcc_lo, exec_lo, s27
	s_cbranch_vccnz .LBB356_212
; %bb.200:
	s_cmp_gt_i32 s0, 14
	s_cbranch_scc0 .LBB356_203
; %bb.201:
	s_cmp_eq_u32 s0, 15
	s_cbranch_scc0 .LBB356_206
; %bb.202:
	s_wait_loadcnt 0x0
	global_load_u16 v1, v[4:5], off
	s_mov_b32 s20, -1
	s_mov_b32 s26, 0
	s_wait_loadcnt 0x0
	v_lshlrev_b32_e32 v1, 16, v1
	s_delay_alu instid0(VALU_DEP_1)
	v_cvt_u32_f32_e32 v1, v1
	s_branch .LBB356_207
.LBB356_203:
	s_mov_b32 s27, -1
                                        ; implicit-def: $vgpr1
	s_branch .LBB356_208
.LBB356_204:
	s_and_not1_saveexec_b32 s20, s20
	s_cbranch_execz .LBB356_185
.LBB356_205:
	v_cmp_ne_u16_e32 vcc_lo, 0, v3
	s_and_not1_b32 s27, s27, exec_lo
	s_and_b32 s28, vcc_lo, exec_lo
	s_delay_alu instid0(SALU_CYCLE_1)
	s_or_b32 s27, s27, s28
	s_or_b32 exec_lo, exec_lo, s20
	v_mov_b32_e32 v1, 0
	s_and_saveexec_b32 s20, s27
	s_cbranch_execnz .LBB356_186
	s_branch .LBB356_187
.LBB356_206:
	s_mov_b32 s26, -1
                                        ; implicit-def: $vgpr1
.LBB356_207:
	s_mov_b32 s27, 0
.LBB356_208:
	s_delay_alu instid0(SALU_CYCLE_1)
	s_and_b32 vcc_lo, exec_lo, s27
	s_cbranch_vccz .LBB356_212
; %bb.209:
	s_cmp_eq_u32 s0, 11
	s_cbranch_scc0 .LBB356_211
; %bb.210:
	s_wait_loadcnt 0x0
	global_load_u8 v1, v[4:5], off
	s_mov_b32 s26, 0
	s_mov_b32 s20, -1
	s_wait_loadcnt 0x0
	v_cmp_ne_u16_e32 vcc_lo, 0, v1
	v_cndmask_b32_e64 v1, 0, 1, vcc_lo
	s_branch .LBB356_212
.LBB356_211:
	s_mov_b32 s26, -1
                                        ; implicit-def: $vgpr1
.LBB356_212:
	s_branch .LBB356_25
.LBB356_213:
	s_cmp_lt_i32 s0, 5
	s_cbranch_scc1 .LBB356_218
; %bb.214:
	s_cmp_lt_i32 s0, 8
	s_cbranch_scc1 .LBB356_219
; %bb.215:
	;; [unrolled: 3-line block ×3, first 2 shown]
	s_cmp_gt_i32 s0, 9
	s_cbranch_scc0 .LBB356_221
; %bb.217:
	global_load_b64 v[6:7], v[4:5], off
	s_mov_b32 s20, 0
	s_wait_loadcnt 0x0
	v_cvt_u32_f64_e32 v1, v[6:7]
	s_branch .LBB356_222
.LBB356_218:
                                        ; implicit-def: $vgpr1
	s_branch .LBB356_240
.LBB356_219:
	s_mov_b32 s20, -1
                                        ; implicit-def: $vgpr1
	s_branch .LBB356_228
.LBB356_220:
	s_mov_b32 s20, -1
                                        ; implicit-def: $vgpr1
	s_branch .LBB356_225
.LBB356_221:
	s_mov_b32 s20, -1
                                        ; implicit-def: $vgpr1
.LBB356_222:
	s_delay_alu instid0(SALU_CYCLE_1)
	s_and_not1_b32 vcc_lo, exec_lo, s20
	s_cbranch_vccnz .LBB356_224
; %bb.223:
	s_wait_loadcnt 0x0
	global_load_b32 v1, v[4:5], off
	s_wait_loadcnt 0x0
	v_cvt_u32_f32_e32 v1, v1
.LBB356_224:
	s_mov_b32 s20, 0
.LBB356_225:
	s_delay_alu instid0(SALU_CYCLE_1)
	s_and_not1_b32 vcc_lo, exec_lo, s20
	s_cbranch_vccnz .LBB356_227
; %bb.226:
	s_wait_loadcnt 0x0
	global_load_b32 v1, v[4:5], off
	s_wait_loadcnt 0x0
	v_cvt_f32_f16_e32 v1, v1
	s_delay_alu instid0(VALU_DEP_1)
	v_cvt_u32_f32_e32 v1, v1
.LBB356_227:
	s_mov_b32 s20, 0
.LBB356_228:
	s_delay_alu instid0(SALU_CYCLE_1)
	s_and_not1_b32 vcc_lo, exec_lo, s20
	s_cbranch_vccnz .LBB356_239
; %bb.229:
	s_cmp_lt_i32 s0, 6
	s_cbranch_scc1 .LBB356_232
; %bb.230:
	s_cmp_gt_i32 s0, 6
	s_cbranch_scc0 .LBB356_233
; %bb.231:
	global_load_b64 v[6:7], v[4:5], off
	s_mov_b32 s20, 0
	s_wait_loadcnt 0x0
	v_cvt_u32_f64_e32 v1, v[6:7]
	s_branch .LBB356_234
.LBB356_232:
	s_mov_b32 s20, -1
                                        ; implicit-def: $vgpr1
	s_branch .LBB356_237
.LBB356_233:
	s_mov_b32 s20, -1
                                        ; implicit-def: $vgpr1
.LBB356_234:
	s_delay_alu instid0(SALU_CYCLE_1)
	s_and_not1_b32 vcc_lo, exec_lo, s20
	s_cbranch_vccnz .LBB356_236
; %bb.235:
	s_wait_loadcnt 0x0
	global_load_b32 v1, v[4:5], off
	s_wait_loadcnt 0x0
	v_cvt_u32_f32_e32 v1, v1
.LBB356_236:
	s_mov_b32 s20, 0
.LBB356_237:
	s_delay_alu instid0(SALU_CYCLE_1)
	s_and_not1_b32 vcc_lo, exec_lo, s20
	s_cbranch_vccnz .LBB356_239
; %bb.238:
	s_wait_loadcnt 0x0
	global_load_u16 v1, v[4:5], off
	s_wait_loadcnt 0x0
	v_cvt_f32_f16_e32 v1, v1
	s_delay_alu instid0(VALU_DEP_1)
	v_cvt_u32_f32_e32 v1, v1
.LBB356_239:
	s_cbranch_execnz .LBB356_259
.LBB356_240:
	s_cmp_lt_i32 s0, 2
	s_cbranch_scc1 .LBB356_244
; %bb.241:
	s_cmp_lt_i32 s0, 3
	s_cbranch_scc1 .LBB356_245
; %bb.242:
	s_cmp_gt_i32 s0, 3
	s_cbranch_scc0 .LBB356_246
; %bb.243:
	s_wait_loadcnt 0x0
	global_load_b32 v1, v[4:5], off
	s_mov_b32 s20, 0
	s_branch .LBB356_247
.LBB356_244:
	s_mov_b32 s20, -1
                                        ; implicit-def: $vgpr1
	s_branch .LBB356_253
.LBB356_245:
	s_mov_b32 s20, -1
                                        ; implicit-def: $vgpr1
	s_branch .LBB356_250
.LBB356_246:
	s_mov_b32 s20, -1
                                        ; implicit-def: $vgpr1
.LBB356_247:
	s_delay_alu instid0(SALU_CYCLE_1)
	s_and_not1_b32 vcc_lo, exec_lo, s20
	s_cbranch_vccnz .LBB356_249
; %bb.248:
	s_wait_loadcnt 0x0
	global_load_b32 v1, v[4:5], off
.LBB356_249:
	s_mov_b32 s20, 0
.LBB356_250:
	s_delay_alu instid0(SALU_CYCLE_1)
	s_and_not1_b32 vcc_lo, exec_lo, s20
	s_cbranch_vccnz .LBB356_252
; %bb.251:
	s_wait_loadcnt 0x0
	global_load_i16 v1, v[4:5], off
.LBB356_252:
	s_mov_b32 s20, 0
.LBB356_253:
	s_delay_alu instid0(SALU_CYCLE_1)
	s_and_not1_b32 vcc_lo, exec_lo, s20
	s_cbranch_vccnz .LBB356_259
; %bb.254:
	s_cmp_gt_i32 s0, 0
	s_mov_b32 s0, 0
	s_cbranch_scc0 .LBB356_256
; %bb.255:
	s_wait_loadcnt 0x0
	global_load_i8 v1, v[4:5], off
	s_branch .LBB356_257
.LBB356_256:
	s_mov_b32 s0, -1
                                        ; implicit-def: $vgpr1
.LBB356_257:
	s_delay_alu instid0(SALU_CYCLE_1)
	s_and_not1_b32 vcc_lo, exec_lo, s0
	s_cbranch_vccnz .LBB356_259
; %bb.258:
	s_wait_loadcnt 0x0
	global_load_u8 v1, v[4:5], off
.LBB356_259:
	s_branch .LBB356_26
.LBB356_260:
	s_mov_b32 s0, 0
.LBB356_261:
	s_mov_b32 s27, 0
                                        ; implicit-def: $vgpr0
.LBB356_262:
	s_and_b32 s20, s0, exec_lo
	s_and_b32 s42, s26, exec_lo
	s_or_not1_b32 s26, s27, exec_lo
.LBB356_263:
	s_wait_xcnt 0x0
	s_or_b32 exec_lo, exec_lo, s43
	s_mov_b32 s27, 0
	s_mov_b32 s0, 0
                                        ; implicit-def: $vgpr4_vgpr5
                                        ; implicit-def: $vgpr2
                                        ; implicit-def: $vgpr6
	s_and_saveexec_b32 s43, s26
	s_cbranch_execz .LBB356_271
; %bb.264:
	s_mov_b32 s0, -1
	s_mov_b32 s44, s42
	s_mov_b32 s45, s20
	s_mov_b32 s46, exec_lo
	v_cmpx_gt_i32_e64 s39, v0
	s_cbranch_execz .LBB356_538
; %bb.265:
	s_and_not1_b32 vcc_lo, exec_lo, s35
	s_cbranch_vccnz .LBB356_274
; %bb.266:
	s_and_not1_b32 vcc_lo, exec_lo, s41
	s_cbranch_vccnz .LBB356_275
; %bb.267:
	s_add_co_i32 s0, s40, 1
	s_cmp_eq_u32 s34, 2
	s_cbranch_scc1 .LBB356_276
; %bb.268:
	v_dual_mov_b32 v2, 0 :: v_dual_mov_b32 v4, 0
	s_wait_loadcnt 0x0
	v_mov_b32_e32 v1, v0
	s_and_b32 s26, s0, 28
	s_mov_b64 s[28:29], s[16:17]
	s_mov_b64 s[30:31], s[24:25]
.LBB356_269:                            ; =>This Inner Loop Header: Depth=1
	s_clause 0x1
	s_load_b256 s[48:55], s[28:29], 0x4
	s_load_b128 s[64:67], s[28:29], 0x24
	s_load_b256 s[56:63], s[30:31], 0x0
	s_add_co_i32 s27, s27, 4
	s_wait_xcnt 0x0
	s_add_nc_u64 s[28:29], s[28:29], 48
	s_cmp_eq_u32 s26, s27
	s_add_nc_u64 s[30:31], s[30:31], 32
	s_wait_kmcnt 0x0
	v_mul_hi_u32 v3, s49, v1
	s_delay_alu instid0(VALU_DEP_1) | instskip(NEXT) | instid1(VALU_DEP_1)
	v_add_nc_u32_e32 v3, v1, v3
	v_lshrrev_b32_e32 v3, s50, v3
	s_delay_alu instid0(VALU_DEP_1) | instskip(NEXT) | instid1(VALU_DEP_1)
	v_mul_hi_u32 v5, s52, v3
	v_add_nc_u32_e32 v5, v3, v5
	s_delay_alu instid0(VALU_DEP_1) | instskip(NEXT) | instid1(VALU_DEP_1)
	v_lshrrev_b32_e32 v5, s53, v5
	v_mul_hi_u32 v6, s55, v5
	s_delay_alu instid0(VALU_DEP_1) | instskip(SKIP_1) | instid1(VALU_DEP_1)
	v_add_nc_u32_e32 v6, v5, v6
	v_mul_lo_u32 v7, v3, s48
	v_sub_nc_u32_e32 v1, v1, v7
	v_mul_lo_u32 v7, v5, s51
	s_delay_alu instid0(VALU_DEP_4) | instskip(NEXT) | instid1(VALU_DEP_3)
	v_lshrrev_b32_e32 v6, s64, v6
	v_mad_u32 v4, v1, s57, v4
	v_mad_u32 v1, v1, s56, v2
	s_delay_alu instid0(VALU_DEP_4) | instskip(NEXT) | instid1(VALU_DEP_4)
	v_sub_nc_u32_e32 v2, v3, v7
	v_mul_hi_u32 v8, s66, v6
	v_mul_lo_u32 v3, v6, s54
	s_delay_alu instid0(VALU_DEP_3) | instskip(SKIP_1) | instid1(VALU_DEP_3)
	v_mad_u32 v4, v2, s59, v4
	v_mad_u32 v2, v2, s58, v1
	v_dual_add_nc_u32 v7, v6, v8 :: v_dual_sub_nc_u32 v3, v5, v3
	s_delay_alu instid0(VALU_DEP_1) | instskip(NEXT) | instid1(VALU_DEP_2)
	v_lshrrev_b32_e32 v1, s67, v7
	v_mad_u32 v4, v3, s61, v4
	s_delay_alu instid0(VALU_DEP_4) | instskip(NEXT) | instid1(VALU_DEP_3)
	v_mad_u32 v2, v3, s60, v2
	v_mul_lo_u32 v5, v1, s65
	s_delay_alu instid0(VALU_DEP_1) | instskip(NEXT) | instid1(VALU_DEP_1)
	v_sub_nc_u32_e32 v3, v6, v5
	v_mad_u32 v4, v3, s63, v4
	s_delay_alu instid0(VALU_DEP_4)
	v_mad_u32 v2, v3, s62, v2
	s_cbranch_scc0 .LBB356_269
; %bb.270:
	s_delay_alu instid0(VALU_DEP_2)
	v_mov_b32_e32 v3, v4
	s_branch .LBB356_277
.LBB356_271:
	s_or_b32 exec_lo, exec_lo, s43
	s_mov_b32 s6, 0
	s_and_saveexec_b32 s7, s42
	s_cbranch_execnz .LBB356_912
.LBB356_272:
	s_or_b32 exec_lo, exec_lo, s7
	s_and_saveexec_b32 s7, s19
	s_delay_alu instid0(SALU_CYCLE_1)
	s_xor_b32 s7, exec_lo, s7
	s_cbranch_execz .LBB356_913
.LBB356_273:
	global_load_u8 v0, v[4:5], off
	s_or_b32 s0, s0, exec_lo
	s_wait_loadcnt 0x0
	v_cmp_ne_u16_e32 vcc_lo, 0, v0
	v_cndmask_b32_e64 v6, 0, 1, vcc_lo
	s_wait_xcnt 0x0
	s_or_b32 exec_lo, exec_lo, s7
	s_and_saveexec_b32 s7, s27
	s_cbranch_execz .LBB356_959
	s_branch .LBB356_914
.LBB356_274:
                                        ; implicit-def: $vgpr4
                                        ; implicit-def: $vgpr2
	s_and_not1_b32 vcc_lo, exec_lo, s0
	s_cbranch_vccnz .LBB356_284
	s_branch .LBB356_282
.LBB356_275:
	v_dual_mov_b32 v4, 0 :: v_dual_mov_b32 v2, 0
	s_branch .LBB356_281
.LBB356_276:
	v_mov_b64_e32 v[2:3], 0
	s_wait_loadcnt 0x0
	v_mov_b32_e32 v1, v0
	s_mov_b32 s26, 0
                                        ; implicit-def: $vgpr4
.LBB356_277:
	s_and_b32 s0, s0, 3
	s_mov_b32 s27, 0
	s_cmp_eq_u32 s0, 0
	s_cbranch_scc1 .LBB356_281
; %bb.278:
	s_lshl_b32 s28, s26, 3
	s_mov_b32 s29, s27
	s_mul_u64 s[30:31], s[26:27], 12
	s_add_nc_u64 s[28:29], s[16:17], s[28:29]
	s_delay_alu instid0(SALU_CYCLE_1)
	s_add_nc_u64 s[26:27], s[28:29], 0xc4
	s_add_nc_u64 s[28:29], s[16:17], s[30:31]
.LBB356_279:                            ; =>This Inner Loop Header: Depth=1
	s_load_b96 s[48:50], s[28:29], 0x4
	s_load_b64 s[30:31], s[26:27], 0x0
	s_add_co_i32 s0, s0, -1
	s_wait_xcnt 0x0
	s_add_nc_u64 s[28:29], s[28:29], 12
	s_cmp_lg_u32 s0, 0
	s_add_nc_u64 s[26:27], s[26:27], 8
	s_wait_kmcnt 0x0
	v_mul_hi_u32 v4, s49, v1
	s_delay_alu instid0(VALU_DEP_1) | instskip(NEXT) | instid1(VALU_DEP_1)
	v_add_nc_u32_e32 v4, v1, v4
	v_lshrrev_b32_e32 v4, s50, v4
	s_delay_alu instid0(VALU_DEP_1) | instskip(NEXT) | instid1(VALU_DEP_1)
	v_mul_lo_u32 v5, v4, s48
	v_sub_nc_u32_e32 v1, v1, v5
	s_delay_alu instid0(VALU_DEP_1)
	v_mad_u32 v3, v1, s31, v3
	v_mad_u32 v2, v1, s30, v2
	v_mov_b32_e32 v1, v4
	s_cbranch_scc1 .LBB356_279
; %bb.280:
	s_delay_alu instid0(VALU_DEP_3)
	v_mov_b32_e32 v4, v3
.LBB356_281:
	s_cbranch_execnz .LBB356_284
.LBB356_282:
	s_wait_loadcnt 0x0
	v_mov_b32_e32 v1, 0
	s_and_not1_b32 vcc_lo, exec_lo, s38
	s_delay_alu instid0(VALU_DEP_1) | instskip(NEXT) | instid1(VALU_DEP_1)
	v_mul_u64_e32 v[2:3], s[18:19], v[0:1]
	v_add_nc_u32_e32 v2, v0, v3
	s_delay_alu instid0(VALU_DEP_1) | instskip(NEXT) | instid1(VALU_DEP_1)
	v_lshrrev_b32_e32 v6, s10, v2
	v_mul_lo_u32 v2, v6, s8
	s_delay_alu instid0(VALU_DEP_1) | instskip(NEXT) | instid1(VALU_DEP_1)
	v_sub_nc_u32_e32 v2, v0, v2
	v_mul_lo_u32 v4, v2, s13
	v_mul_lo_u32 v2, v2, s12
	s_cbranch_vccnz .LBB356_284
; %bb.283:
	v_mov_b32_e32 v7, v1
	s_delay_alu instid0(VALU_DEP_1) | instskip(NEXT) | instid1(VALU_DEP_1)
	v_mul_u64_e32 v[8:9], s[22:23], v[6:7]
	v_add_nc_u32_e32 v1, v6, v9
	s_delay_alu instid0(VALU_DEP_1) | instskip(NEXT) | instid1(VALU_DEP_1)
	v_lshrrev_b32_e32 v1, s21, v1
	v_mul_lo_u32 v1, v1, s11
	s_delay_alu instid0(VALU_DEP_1) | instskip(NEXT) | instid1(VALU_DEP_1)
	v_sub_nc_u32_e32 v1, v6, v1
	v_mad_u32 v2, v1, s14, v2
	v_mad_u32 v4, v1, s15, v4
.LBB356_284:
	v_mov_b32_e32 v5, 0
	s_and_b32 s0, 0xffff, s37
	s_delay_alu instid0(SALU_CYCLE_1) | instskip(NEXT) | instid1(VALU_DEP_1)
	s_cmp_lt_i32 s0, 11
	v_add_nc_u64_e32 v[4:5], s[6:7], v[4:5]
	s_cbranch_scc1 .LBB356_291
; %bb.285:
	s_cmp_gt_i32 s0, 25
	s_cbranch_scc0 .LBB356_300
; %bb.286:
	s_cmp_gt_i32 s0, 28
	s_cbranch_scc0 .LBB356_302
	;; [unrolled: 3-line block ×4, first 2 shown]
; %bb.289:
	s_cmp_eq_u32 s0, 46
	s_mov_b32 s28, 0
	s_cbranch_scc0 .LBB356_312
; %bb.290:
	s_wait_loadcnt 0x0
	global_load_b32 v1, v[4:5], off
	s_mov_b32 s27, -1
	s_mov_b32 s26, 0
	s_wait_loadcnt 0x0
	v_lshlrev_b32_e32 v1, 16, v1
	s_delay_alu instid0(VALU_DEP_1)
	v_cvt_u32_f32_e32 v1, v1
	s_branch .LBB356_314
.LBB356_291:
	s_mov_b32 s27, 0
	s_mov_b32 s26, s42
                                        ; implicit-def: $vgpr1
	s_cbranch_execnz .LBB356_487
.LBB356_292:
	s_and_not1_b32 vcc_lo, exec_lo, s27
	s_cbranch_vccnz .LBB356_535
.LBB356_293:
	v_mov_b32_e32 v3, 0
	s_wait_loadcnt 0x0
	s_delay_alu instid0(VALU_DEP_2) | instskip(SKIP_1) | instid1(VALU_DEP_2)
	v_cmp_ne_u32_e32 vcc_lo, s1, v1
	s_and_b32 s28, s2, 0xff
	v_add_nc_u64_e32 v[2:3], s[4:5], v[2:3]
	s_xor_b32 s27, s9, vcc_lo
	s_cmp_lt_i32 s28, 11
	s_cbranch_scc1 .LBB356_301
; %bb.294:
	s_and_b32 s29, 0xffff, s28
	s_delay_alu instid0(SALU_CYCLE_1)
	s_cmp_gt_i32 s29, 25
	s_cbranch_scc0 .LBB356_303
; %bb.295:
	s_cmp_gt_i32 s29, 28
	s_cbranch_scc0 .LBB356_305
; %bb.296:
	;; [unrolled: 3-line block ×4, first 2 shown]
	s_mov_b32 s31, 0
	s_mov_b32 s0, -1
	s_cmp_eq_u32 s29, 46
	s_mov_b32 s30, 0
	s_cbranch_scc0 .LBB356_318
; %bb.299:
	v_cndmask_b32_e64 v1, 0, 1.0, s27
	s_mov_b32 s30, -1
	s_mov_b32 s0, 0
	s_wait_xcnt 0x0
	s_delay_alu instid0(VALU_DEP_1) | instskip(NEXT) | instid1(VALU_DEP_1)
	v_bfe_u32 v4, v1, 16, 1
	v_add3_u32 v1, v1, v4, 0x7fff
	s_delay_alu instid0(VALU_DEP_1)
	v_lshrrev_b32_e32 v1, 16, v1
	global_store_b32 v[2:3], v1, off
	s_branch .LBB356_318
.LBB356_300:
	s_mov_b32 s28, -1
	s_mov_b32 s27, 0
	s_mov_b32 s26, s42
                                        ; implicit-def: $vgpr1
	s_branch .LBB356_453
.LBB356_301:
	s_mov_b32 s29, -1
	s_mov_b32 s30, 0
	s_mov_b32 s0, s20
	s_branch .LBB356_387
.LBB356_302:
	s_mov_b32 s28, -1
	s_mov_b32 s27, 0
	s_mov_b32 s26, s42
                                        ; implicit-def: $vgpr1
	s_branch .LBB356_436
.LBB356_303:
	s_mov_b32 s31, -1
	s_mov_b32 s30, 0
	s_mov_b32 s0, s20
	s_branch .LBB356_345
.LBB356_304:
	s_mov_b32 s28, -1
	s_mov_b32 s27, 0
	s_mov_b32 s26, s42
                                        ; implicit-def: $vgpr1
	s_branch .LBB356_431
.LBB356_305:
	s_mov_b32 s31, -1
	s_mov_b32 s30, 0
	s_mov_b32 s0, s20
	s_branch .LBB356_328
.LBB356_306:
	s_and_not1_saveexec_b32 s31, s31
	s_cbranch_execz .LBB356_69
.LBB356_307:
	v_add_f32_e32 v1, 0x46000000, v4
	s_and_not1_b32 s30, s30, exec_lo
	s_delay_alu instid0(VALU_DEP_1) | instskip(NEXT) | instid1(VALU_DEP_1)
	v_and_b32_e32 v1, 0xff, v1
	v_cmp_ne_u32_e32 vcc_lo, 0, v1
	s_and_b32 s42, vcc_lo, exec_lo
	s_delay_alu instid0(SALU_CYCLE_1)
	s_or_b32 s30, s30, s42
	s_or_b32 exec_lo, exec_lo, s31
	v_mov_b32_e32 v5, 0
	s_and_saveexec_b32 s31, s30
	s_cbranch_execnz .LBB356_70
	s_branch .LBB356_71
.LBB356_308:
	s_mov_b32 s28, -1
	s_mov_b32 s27, 0
	s_mov_b32 s26, s42
	s_branch .LBB356_313
.LBB356_309:
	s_mov_b32 s31, -1
	s_mov_b32 s30, 0
	s_mov_b32 s0, s20
	s_branch .LBB356_324
.LBB356_310:
	s_and_not1_saveexec_b32 s31, s31
	s_cbranch_execz .LBB356_82
.LBB356_311:
	v_add_f32_e32 v1, 0x42800000, v4
	s_and_not1_b32 s30, s30, exec_lo
	s_delay_alu instid0(VALU_DEP_1) | instskip(NEXT) | instid1(VALU_DEP_1)
	v_and_b32_e32 v1, 0xff, v1
	v_cmp_ne_u32_e32 vcc_lo, 0, v1
	s_and_b32 s42, vcc_lo, exec_lo
	s_delay_alu instid0(SALU_CYCLE_1)
	s_or_b32 s30, s30, s42
	s_or_b32 exec_lo, exec_lo, s31
	v_mov_b32_e32 v5, 0
	s_and_saveexec_b32 s31, s30
	s_cbranch_execnz .LBB356_83
	s_branch .LBB356_84
.LBB356_312:
	s_mov_b32 s26, -1
	s_mov_b32 s27, 0
.LBB356_313:
                                        ; implicit-def: $vgpr1
.LBB356_314:
	s_and_b32 vcc_lo, exec_lo, s28
	s_cbranch_vccz .LBB356_430
; %bb.315:
	s_cmp_eq_u32 s0, 44
	s_cbranch_scc0 .LBB356_429
; %bb.316:
	s_wait_loadcnt 0x0
	global_load_u8 v1, v[4:5], off
	s_mov_b32 s26, 0
	s_mov_b32 s27, -1
	s_wait_loadcnt 0x0
	v_lshlrev_b32_e32 v3, 23, v1
	v_cmp_ne_u32_e32 vcc_lo, 0, v1
	s_delay_alu instid0(VALU_DEP_2) | instskip(NEXT) | instid1(VALU_DEP_1)
	v_cvt_u32_f32_e32 v3, v3
	v_cndmask_b32_e32 v1, 0, v3, vcc_lo
	s_branch .LBB356_430
.LBB356_317:
	s_mov_b32 s31, -1
	s_mov_b32 s30, 0
	s_mov_b32 s0, s20
.LBB356_318:
	s_and_b32 vcc_lo, exec_lo, s31
	s_cbranch_vccz .LBB356_323
; %bb.319:
	s_cmp_eq_u32 s29, 44
	s_mov_b32 s0, -1
	s_cbranch_scc0 .LBB356_323
; %bb.320:
	s_wait_xcnt 0x0
	v_cndmask_b32_e64 v5, 0, 1.0, s27
	s_mov_b32 s30, exec_lo
	s_delay_alu instid0(VALU_DEP_1) | instskip(NEXT) | instid1(VALU_DEP_1)
	v_dual_mov_b32 v4, 0xff :: v_dual_lshrrev_b32 v1, 23, v5
	v_cmpx_ne_u32_e32 0xff, v1
; %bb.321:
	v_and_b32_e32 v4, 0x400000, v5
	v_and_or_b32 v5, 0x3fffff, v5, v1
	s_delay_alu instid0(VALU_DEP_2) | instskip(NEXT) | instid1(VALU_DEP_2)
	v_cmp_ne_u32_e32 vcc_lo, 0, v4
	v_cmp_ne_u32_e64 s0, 0, v5
	s_and_b32 s0, vcc_lo, s0
	s_delay_alu instid0(SALU_CYCLE_1) | instskip(NEXT) | instid1(VALU_DEP_1)
	v_cndmask_b32_e64 v4, 0, 1, s0
	v_add_nc_u32_e32 v4, v1, v4
; %bb.322:
	s_or_b32 exec_lo, exec_lo, s30
	s_mov_b32 s30, -1
	s_mov_b32 s0, 0
	global_store_b8 v[2:3], v4, off
.LBB356_323:
	s_mov_b32 s31, 0
.LBB356_324:
	s_delay_alu instid0(SALU_CYCLE_1)
	s_and_b32 vcc_lo, exec_lo, s31
	s_cbranch_vccz .LBB356_327
; %bb.325:
	s_cmp_eq_u32 s29, 29
	s_mov_b32 s0, -1
	s_cbranch_scc0 .LBB356_327
; %bb.326:
	s_mov_b32 s0, 0
	s_wait_xcnt 0x0
	v_cndmask_b32_e64 v4, 0, 1, s27
	v_mov_b32_e32 v5, s0
	s_mov_b32 s30, -1
	s_mov_b32 s31, 0
	global_store_b64 v[2:3], v[4:5], off
	s_branch .LBB356_328
.LBB356_327:
	s_mov_b32 s31, 0
.LBB356_328:
	s_delay_alu instid0(SALU_CYCLE_1)
	s_and_b32 vcc_lo, exec_lo, s31
	s_cbranch_vccz .LBB356_344
; %bb.329:
	s_cmp_lt_i32 s29, 27
	s_mov_b32 s30, -1
	s_cbranch_scc1 .LBB356_335
; %bb.330:
	s_cmp_gt_i32 s29, 27
	s_cbranch_scc0 .LBB356_332
; %bb.331:
	s_wait_xcnt 0x0
	v_cndmask_b32_e64 v1, 0, 1, s27
	s_mov_b32 s30, 0
	global_store_b32 v[2:3], v1, off
.LBB356_332:
	s_and_not1_b32 vcc_lo, exec_lo, s30
	s_cbranch_vccnz .LBB356_334
; %bb.333:
	s_wait_xcnt 0x0
	v_cndmask_b32_e64 v1, 0, 1, s27
	global_store_b16 v[2:3], v1, off
.LBB356_334:
	s_mov_b32 s30, 0
.LBB356_335:
	s_delay_alu instid0(SALU_CYCLE_1)
	s_and_not1_b32 vcc_lo, exec_lo, s30
	s_cbranch_vccnz .LBB356_343
; %bb.336:
	s_wait_xcnt 0x0
	v_cndmask_b32_e64 v4, 0, 1.0, s27
	v_mov_b32_e32 v5, 0x80
	s_mov_b32 s30, exec_lo
	s_delay_alu instid0(VALU_DEP_2)
	v_cmpx_gt_u32_e32 0x43800000, v4
	s_cbranch_execz .LBB356_342
; %bb.337:
	s_mov_b32 s31, 0
	s_mov_b32 s44, exec_lo
                                        ; implicit-def: $vgpr1
	v_cmpx_lt_u32_e32 0x3bffffff, v4
	s_xor_b32 s44, exec_lo, s44
	s_cbranch_execz .LBB356_568
; %bb.338:
	v_bfe_u32 v1, v4, 20, 1
	s_mov_b32 s31, exec_lo
	s_delay_alu instid0(VALU_DEP_1) | instskip(NEXT) | instid1(VALU_DEP_1)
	v_add3_u32 v1, v4, v1, 0x487ffff
                                        ; implicit-def: $vgpr4
	v_lshrrev_b32_e32 v1, 20, v1
	s_and_not1_saveexec_b32 s44, s44
	s_cbranch_execnz .LBB356_569
.LBB356_339:
	s_or_b32 exec_lo, exec_lo, s44
	v_mov_b32_e32 v5, 0
	s_and_saveexec_b32 s44, s31
.LBB356_340:
	v_mov_b32_e32 v5, v1
.LBB356_341:
	s_or_b32 exec_lo, exec_lo, s44
.LBB356_342:
	s_delay_alu instid0(SALU_CYCLE_1)
	s_or_b32 exec_lo, exec_lo, s30
	global_store_b8 v[2:3], v5, off
.LBB356_343:
	s_mov_b32 s30, -1
.LBB356_344:
	s_mov_b32 s31, 0
.LBB356_345:
	s_delay_alu instid0(SALU_CYCLE_1)
	s_and_b32 vcc_lo, exec_lo, s31
	s_cbranch_vccz .LBB356_386
; %bb.346:
	s_cmp_gt_i32 s29, 22
	s_mov_b32 s31, -1
	s_cbranch_scc0 .LBB356_378
; %bb.347:
	s_cmp_lt_i32 s29, 24
	s_mov_b32 s30, -1
	s_cbranch_scc1 .LBB356_367
; %bb.348:
	s_cmp_gt_i32 s29, 24
	s_cbranch_scc0 .LBB356_356
; %bb.349:
	s_wait_xcnt 0x0
	v_cndmask_b32_e64 v4, 0, 1.0, s27
	v_mov_b32_e32 v5, 0x80
	s_mov_b32 s30, exec_lo
	s_delay_alu instid0(VALU_DEP_2)
	v_cmpx_gt_u32_e32 0x47800000, v4
	s_cbranch_execz .LBB356_355
; %bb.350:
	s_mov_b32 s31, 0
	s_mov_b32 s44, exec_lo
                                        ; implicit-def: $vgpr1
	v_cmpx_lt_u32_e32 0x37ffffff, v4
	s_xor_b32 s44, exec_lo, s44
	s_cbranch_execz .LBB356_571
; %bb.351:
	v_bfe_u32 v1, v4, 21, 1
	s_mov_b32 s31, exec_lo
	s_delay_alu instid0(VALU_DEP_1) | instskip(NEXT) | instid1(VALU_DEP_1)
	v_add3_u32 v1, v4, v1, 0x88fffff
                                        ; implicit-def: $vgpr4
	v_lshrrev_b32_e32 v1, 21, v1
	s_and_not1_saveexec_b32 s44, s44
	s_cbranch_execnz .LBB356_572
.LBB356_352:
	s_or_b32 exec_lo, exec_lo, s44
	v_mov_b32_e32 v5, 0
	s_and_saveexec_b32 s44, s31
.LBB356_353:
	v_mov_b32_e32 v5, v1
.LBB356_354:
	s_or_b32 exec_lo, exec_lo, s44
.LBB356_355:
	s_delay_alu instid0(SALU_CYCLE_1)
	s_or_b32 exec_lo, exec_lo, s30
	s_mov_b32 s30, 0
	global_store_b8 v[2:3], v5, off
.LBB356_356:
	s_and_b32 vcc_lo, exec_lo, s30
	s_cbranch_vccz .LBB356_366
; %bb.357:
	s_wait_xcnt 0x0
	v_cndmask_b32_e64 v4, 0, 1.0, s27
	s_mov_b32 s30, exec_lo
                                        ; implicit-def: $vgpr1
	s_delay_alu instid0(VALU_DEP_1)
	v_cmpx_gt_u32_e32 0x43f00000, v4
	s_xor_b32 s30, exec_lo, s30
	s_cbranch_execz .LBB356_363
; %bb.358:
	s_mov_b32 s31, exec_lo
                                        ; implicit-def: $vgpr1
	v_cmpx_lt_u32_e32 0x3c7fffff, v4
	s_xor_b32 s31, exec_lo, s31
; %bb.359:
	v_bfe_u32 v1, v4, 20, 1
	s_delay_alu instid0(VALU_DEP_1) | instskip(NEXT) | instid1(VALU_DEP_1)
	v_add3_u32 v1, v4, v1, 0x407ffff
	v_and_b32_e32 v4, 0xff00000, v1
	v_lshrrev_b32_e32 v1, 20, v1
	s_delay_alu instid0(VALU_DEP_2) | instskip(NEXT) | instid1(VALU_DEP_2)
	v_cmp_ne_u32_e32 vcc_lo, 0x7f00000, v4
                                        ; implicit-def: $vgpr4
	v_cndmask_b32_e32 v1, 0x7e, v1, vcc_lo
; %bb.360:
	s_and_not1_saveexec_b32 s31, s31
; %bb.361:
	v_add_f32_e32 v1, 0x46800000, v4
; %bb.362:
	s_or_b32 exec_lo, exec_lo, s31
                                        ; implicit-def: $vgpr4
.LBB356_363:
	s_and_not1_saveexec_b32 s30, s30
; %bb.364:
	v_mov_b32_e32 v1, 0x7f
	v_cmp_lt_u32_e32 vcc_lo, 0x7f800000, v4
	s_delay_alu instid0(VALU_DEP_2)
	v_cndmask_b32_e32 v1, 0x7e, v1, vcc_lo
; %bb.365:
	s_or_b32 exec_lo, exec_lo, s30
	global_store_b8 v[2:3], v1, off
.LBB356_366:
	s_mov_b32 s30, 0
.LBB356_367:
	s_delay_alu instid0(SALU_CYCLE_1)
	s_and_not1_b32 vcc_lo, exec_lo, s30
	s_cbranch_vccnz .LBB356_377
; %bb.368:
	s_wait_xcnt 0x0
	v_cndmask_b32_e64 v4, 0, 1.0, s27
	s_mov_b32 s30, exec_lo
                                        ; implicit-def: $vgpr1
	s_delay_alu instid0(VALU_DEP_1)
	v_cmpx_gt_u32_e32 0x47800000, v4
	s_xor_b32 s30, exec_lo, s30
	s_cbranch_execz .LBB356_374
; %bb.369:
	s_mov_b32 s31, exec_lo
                                        ; implicit-def: $vgpr1
	v_cmpx_lt_u32_e32 0x387fffff, v4
	s_xor_b32 s31, exec_lo, s31
; %bb.370:
	v_bfe_u32 v1, v4, 21, 1
	s_delay_alu instid0(VALU_DEP_1) | instskip(NEXT) | instid1(VALU_DEP_1)
	v_add3_u32 v1, v4, v1, 0x80fffff
                                        ; implicit-def: $vgpr4
	v_lshrrev_b32_e32 v1, 21, v1
; %bb.371:
	s_and_not1_saveexec_b32 s31, s31
; %bb.372:
	v_add_f32_e32 v1, 0x43000000, v4
; %bb.373:
	s_or_b32 exec_lo, exec_lo, s31
                                        ; implicit-def: $vgpr4
.LBB356_374:
	s_and_not1_saveexec_b32 s30, s30
; %bb.375:
	v_mov_b32_e32 v1, 0x7f
	v_cmp_lt_u32_e32 vcc_lo, 0x7f800000, v4
	s_delay_alu instid0(VALU_DEP_2)
	v_cndmask_b32_e32 v1, 0x7c, v1, vcc_lo
; %bb.376:
	s_or_b32 exec_lo, exec_lo, s30
	global_store_b8 v[2:3], v1, off
.LBB356_377:
	s_mov_b32 s31, 0
	s_mov_b32 s30, -1
.LBB356_378:
	s_and_not1_b32 vcc_lo, exec_lo, s31
	s_cbranch_vccnz .LBB356_386
; %bb.379:
	s_cmp_gt_i32 s29, 14
	s_mov_b32 s31, -1
	s_cbranch_scc0 .LBB356_383
; %bb.380:
	s_cmp_eq_u32 s29, 15
	s_mov_b32 s0, -1
	s_cbranch_scc0 .LBB356_382
; %bb.381:
	s_wait_xcnt 0x0
	v_cndmask_b32_e64 v1, 0, 1.0, s27
	s_mov_b32 s30, -1
	s_mov_b32 s0, 0
	s_delay_alu instid0(VALU_DEP_1) | instskip(NEXT) | instid1(VALU_DEP_1)
	v_bfe_u32 v4, v1, 16, 1
	v_add3_u32 v1, v1, v4, 0x7fff
	global_store_d16_hi_b16 v[2:3], v1, off
.LBB356_382:
	s_mov_b32 s31, 0
.LBB356_383:
	s_delay_alu instid0(SALU_CYCLE_1)
	s_and_b32 vcc_lo, exec_lo, s31
	s_cbranch_vccz .LBB356_386
; %bb.384:
	s_cmp_eq_u32 s29, 11
	s_mov_b32 s0, -1
	s_cbranch_scc0 .LBB356_386
; %bb.385:
	s_wait_xcnt 0x0
	v_cndmask_b32_e64 v1, 0, 1, s27
	s_mov_b32 s30, -1
	s_mov_b32 s0, 0
	global_store_b8 v[2:3], v1, off
.LBB356_386:
	s_mov_b32 s29, 0
.LBB356_387:
	s_delay_alu instid0(SALU_CYCLE_1)
	s_and_b32 vcc_lo, exec_lo, s29
	s_cbranch_vccz .LBB356_426
; %bb.388:
	s_and_b32 s28, 0xffff, s28
	s_mov_b32 s29, -1
	s_cmp_lt_i32 s28, 5
	s_cbranch_scc1 .LBB356_409
; %bb.389:
	s_cmp_lt_i32 s28, 8
	s_cbranch_scc1 .LBB356_399
; %bb.390:
	;; [unrolled: 3-line block ×3, first 2 shown]
	s_cmp_gt_i32 s28, 9
	s_cbranch_scc0 .LBB356_393
; %bb.392:
	s_wait_xcnt 0x0
	v_cndmask_b32_e64 v1, 0, 1, s27
	v_mov_b32_e32 v6, 0
	s_mov_b32 s29, 0
	s_delay_alu instid0(VALU_DEP_2) | instskip(NEXT) | instid1(VALU_DEP_2)
	v_cvt_f64_u32_e32 v[4:5], v1
	v_mov_b32_e32 v7, v6
	global_store_b128 v[2:3], v[4:7], off
.LBB356_393:
	s_and_not1_b32 vcc_lo, exec_lo, s29
	s_cbranch_vccnz .LBB356_395
; %bb.394:
	s_wait_xcnt 0x0
	v_cndmask_b32_e64 v4, 0, 1.0, s27
	v_mov_b32_e32 v5, 0
	global_store_b64 v[2:3], v[4:5], off
.LBB356_395:
	s_mov_b32 s29, 0
.LBB356_396:
	s_delay_alu instid0(SALU_CYCLE_1)
	s_and_not1_b32 vcc_lo, exec_lo, s29
	s_cbranch_vccnz .LBB356_398
; %bb.397:
	s_wait_xcnt 0x0
	v_cndmask_b32_e64 v1, 0, 1.0, s27
	s_delay_alu instid0(VALU_DEP_1) | instskip(NEXT) | instid1(VALU_DEP_1)
	v_cvt_f16_f32_e32 v1, v1
	v_and_b32_e32 v1, 0xffff, v1
	global_store_b32 v[2:3], v1, off
.LBB356_398:
	s_mov_b32 s29, 0
.LBB356_399:
	s_delay_alu instid0(SALU_CYCLE_1)
	s_and_not1_b32 vcc_lo, exec_lo, s29
	s_cbranch_vccnz .LBB356_408
; %bb.400:
	s_cmp_lt_i32 s28, 6
	s_mov_b32 s29, -1
	s_cbranch_scc1 .LBB356_406
; %bb.401:
	s_cmp_gt_i32 s28, 6
	s_cbranch_scc0 .LBB356_403
; %bb.402:
	s_wait_xcnt 0x0
	v_cndmask_b32_e64 v1, 0, 1, s27
	s_mov_b32 s29, 0
	s_delay_alu instid0(VALU_DEP_1)
	v_cvt_f64_u32_e32 v[4:5], v1
	global_store_b64 v[2:3], v[4:5], off
.LBB356_403:
	s_and_not1_b32 vcc_lo, exec_lo, s29
	s_cbranch_vccnz .LBB356_405
; %bb.404:
	s_wait_xcnt 0x0
	v_cndmask_b32_e64 v1, 0, 1.0, s27
	global_store_b32 v[2:3], v1, off
.LBB356_405:
	s_mov_b32 s29, 0
.LBB356_406:
	s_delay_alu instid0(SALU_CYCLE_1)
	s_and_not1_b32 vcc_lo, exec_lo, s29
	s_cbranch_vccnz .LBB356_408
; %bb.407:
	s_wait_xcnt 0x0
	v_cndmask_b32_e64 v1, 0, 1.0, s27
	s_delay_alu instid0(VALU_DEP_1)
	v_cvt_f16_f32_e32 v1, v1
	global_store_b16 v[2:3], v1, off
.LBB356_408:
	s_mov_b32 s29, 0
.LBB356_409:
	s_delay_alu instid0(SALU_CYCLE_1)
	s_and_not1_b32 vcc_lo, exec_lo, s29
	s_cbranch_vccnz .LBB356_425
; %bb.410:
	s_cmp_lt_i32 s28, 2
	s_mov_b32 s29, -1
	s_cbranch_scc1 .LBB356_420
; %bb.411:
	s_cmp_lt_i32 s28, 3
	s_cbranch_scc1 .LBB356_417
; %bb.412:
	s_cmp_gt_i32 s28, 3
	s_cbranch_scc0 .LBB356_414
; %bb.413:
	s_mov_b32 s29, 0
	s_wait_xcnt 0x0
	v_cndmask_b32_e64 v4, 0, 1, s27
	v_mov_b32_e32 v5, s29
	global_store_b64 v[2:3], v[4:5], off
.LBB356_414:
	s_and_not1_b32 vcc_lo, exec_lo, s29
	s_cbranch_vccnz .LBB356_416
; %bb.415:
	s_wait_xcnt 0x0
	v_cndmask_b32_e64 v1, 0, 1, s27
	global_store_b32 v[2:3], v1, off
.LBB356_416:
	s_mov_b32 s29, 0
.LBB356_417:
	s_delay_alu instid0(SALU_CYCLE_1)
	s_and_not1_b32 vcc_lo, exec_lo, s29
	s_cbranch_vccnz .LBB356_419
; %bb.418:
	s_wait_xcnt 0x0
	v_cndmask_b32_e64 v1, 0, 1, s27
	global_store_b16 v[2:3], v1, off
.LBB356_419:
	s_mov_b32 s29, 0
.LBB356_420:
	s_delay_alu instid0(SALU_CYCLE_1)
	s_and_not1_b32 vcc_lo, exec_lo, s29
	s_cbranch_vccnz .LBB356_425
; %bb.421:
	s_wait_xcnt 0x0
	v_cndmask_b32_e64 v1, 0, 1, s27
	s_cmp_gt_i32 s28, 0
	s_mov_b32 s27, -1
	s_cbranch_scc0 .LBB356_423
; %bb.422:
	s_mov_b32 s27, 0
	global_store_b8 v[2:3], v1, off
.LBB356_423:
	s_and_not1_b32 vcc_lo, exec_lo, s27
	s_cbranch_vccnz .LBB356_425
; %bb.424:
	global_store_b8 v[2:3], v1, off
.LBB356_425:
	s_mov_b32 s30, -1
.LBB356_426:
	s_delay_alu instid0(SALU_CYCLE_1)
	s_and_not1_b32 vcc_lo, exec_lo, s30
	s_cbranch_vccnz .LBB356_428
; %bb.427:
	v_add_nc_u32_e32 v0, 0x80, v0
	s_mov_b32 s27, -1
	s_branch .LBB356_537
.LBB356_428:
	s_mov_b32 s27, 0
	s_branch .LBB356_536
.LBB356_429:
	s_mov_b32 s26, -1
                                        ; implicit-def: $vgpr1
.LBB356_430:
	s_mov_b32 s28, 0
.LBB356_431:
	s_delay_alu instid0(SALU_CYCLE_1)
	s_and_b32 vcc_lo, exec_lo, s28
	s_cbranch_vccz .LBB356_435
; %bb.432:
	s_cmp_eq_u32 s0, 29
	s_cbranch_scc0 .LBB356_434
; %bb.433:
	s_wait_loadcnt 0x0
	global_load_b32 v1, v[4:5], off
	s_mov_b32 s27, -1
	s_mov_b32 s26, 0
	s_branch .LBB356_435
.LBB356_434:
	s_mov_b32 s26, -1
                                        ; implicit-def: $vgpr1
.LBB356_435:
	s_mov_b32 s28, 0
.LBB356_436:
	s_delay_alu instid0(SALU_CYCLE_1)
	s_and_b32 vcc_lo, exec_lo, s28
	s_cbranch_vccz .LBB356_452
; %bb.437:
	s_cmp_lt_i32 s0, 27
	s_cbranch_scc1 .LBB356_440
; %bb.438:
	s_cmp_gt_i32 s0, 27
	s_cbranch_scc0 .LBB356_441
; %bb.439:
	s_wait_loadcnt 0x0
	global_load_b32 v1, v[4:5], off
	s_mov_b32 s27, 0
	s_branch .LBB356_442
.LBB356_440:
	s_mov_b32 s27, -1
                                        ; implicit-def: $vgpr1
	s_branch .LBB356_445
.LBB356_441:
	s_mov_b32 s27, -1
                                        ; implicit-def: $vgpr1
.LBB356_442:
	s_delay_alu instid0(SALU_CYCLE_1)
	s_and_not1_b32 vcc_lo, exec_lo, s27
	s_cbranch_vccnz .LBB356_444
; %bb.443:
	s_wait_loadcnt 0x0
	global_load_u16 v1, v[4:5], off
.LBB356_444:
	s_mov_b32 s27, 0
.LBB356_445:
	s_delay_alu instid0(SALU_CYCLE_1)
	s_and_not1_b32 vcc_lo, exec_lo, s27
	s_cbranch_vccnz .LBB356_451
; %bb.446:
	global_load_u8 v3, v[4:5], off
	s_mov_b32 s28, 0
	s_mov_b32 s27, exec_lo
	s_wait_loadcnt 0x0
	v_cmpx_lt_i16_e32 0x7f, v3
	s_xor_b32 s27, exec_lo, s27
	s_cbranch_execz .LBB356_463
; %bb.447:
	v_cmp_ne_u16_e32 vcc_lo, 0x80, v3
	s_and_b32 s28, vcc_lo, exec_lo
	s_and_not1_saveexec_b32 s27, s27
	s_cbranch_execnz .LBB356_464
.LBB356_448:
	s_or_b32 exec_lo, exec_lo, s27
	v_mov_b32_e32 v1, 0
	s_and_saveexec_b32 s27, s28
	s_cbranch_execz .LBB356_450
.LBB356_449:
	v_and_b32_e32 v1, 0xffff, v3
	s_delay_alu instid0(VALU_DEP_1) | instskip(SKIP_1) | instid1(VALU_DEP_2)
	v_and_b32_e32 v6, 7, v1
	v_bfe_u32 v9, v1, 3, 4
	v_clz_i32_u32_e32 v7, v6
	s_delay_alu instid0(VALU_DEP_2) | instskip(NEXT) | instid1(VALU_DEP_2)
	v_cmp_eq_u32_e32 vcc_lo, 0, v9
	v_min_u32_e32 v7, 32, v7
	s_delay_alu instid0(VALU_DEP_1) | instskip(NEXT) | instid1(VALU_DEP_1)
	v_subrev_nc_u32_e32 v8, 28, v7
	v_dual_lshlrev_b32 v1, v8, v1 :: v_dual_sub_nc_u32 v7, 29, v7
	s_delay_alu instid0(VALU_DEP_1) | instskip(NEXT) | instid1(VALU_DEP_1)
	v_dual_lshlrev_b32 v3, 24, v3 :: v_dual_bitop2_b32 v1, 7, v1 bitop3:0x40
	v_dual_cndmask_b32 v1, v6, v1, vcc_lo :: v_dual_cndmask_b32 v7, v9, v7, vcc_lo
	s_delay_alu instid0(VALU_DEP_2) | instskip(NEXT) | instid1(VALU_DEP_2)
	v_and_b32_e32 v3, 0x80000000, v3
	v_lshlrev_b32_e32 v1, 20, v1
	s_delay_alu instid0(VALU_DEP_3) | instskip(NEXT) | instid1(VALU_DEP_1)
	v_lshl_add_u32 v6, v7, 23, 0x3b800000
	v_or3_b32 v1, v3, v6, v1
	s_delay_alu instid0(VALU_DEP_1)
	v_cvt_u32_f32_e32 v1, v1
.LBB356_450:
	s_or_b32 exec_lo, exec_lo, s27
.LBB356_451:
	s_mov_b32 s27, -1
.LBB356_452:
	s_mov_b32 s28, 0
.LBB356_453:
	s_delay_alu instid0(SALU_CYCLE_1)
	s_and_b32 vcc_lo, exec_lo, s28
	s_cbranch_vccz .LBB356_486
; %bb.454:
	s_cmp_gt_i32 s0, 22
	s_cbranch_scc0 .LBB356_462
; %bb.455:
	s_cmp_lt_i32 s0, 24
	s_cbranch_scc1 .LBB356_465
; %bb.456:
	s_cmp_gt_i32 s0, 24
	s_cbranch_scc0 .LBB356_466
; %bb.457:
	global_load_u8 v3, v[4:5], off
	s_mov_b32 s28, 0
	s_mov_b32 s27, exec_lo
	s_wait_loadcnt 0x0
	v_cmpx_lt_i16_e32 0x7f, v3
	s_xor_b32 s27, exec_lo, s27
	s_cbranch_execz .LBB356_478
; %bb.458:
	v_cmp_ne_u16_e32 vcc_lo, 0x80, v3
	s_and_b32 s28, vcc_lo, exec_lo
	s_and_not1_saveexec_b32 s27, s27
	s_cbranch_execnz .LBB356_479
.LBB356_459:
	s_or_b32 exec_lo, exec_lo, s27
	v_mov_b32_e32 v1, 0
	s_and_saveexec_b32 s27, s28
	s_cbranch_execz .LBB356_461
.LBB356_460:
	v_and_b32_e32 v1, 0xffff, v3
	s_delay_alu instid0(VALU_DEP_1) | instskip(SKIP_1) | instid1(VALU_DEP_2)
	v_and_b32_e32 v6, 3, v1
	v_bfe_u32 v9, v1, 2, 5
	v_clz_i32_u32_e32 v7, v6
	s_delay_alu instid0(VALU_DEP_2) | instskip(NEXT) | instid1(VALU_DEP_2)
	v_cmp_eq_u32_e32 vcc_lo, 0, v9
	v_min_u32_e32 v7, 32, v7
	s_delay_alu instid0(VALU_DEP_1) | instskip(NEXT) | instid1(VALU_DEP_1)
	v_subrev_nc_u32_e32 v8, 29, v7
	v_dual_lshlrev_b32 v1, v8, v1 :: v_dual_sub_nc_u32 v7, 30, v7
	s_delay_alu instid0(VALU_DEP_1) | instskip(NEXT) | instid1(VALU_DEP_1)
	v_dual_lshlrev_b32 v3, 24, v3 :: v_dual_bitop2_b32 v1, 3, v1 bitop3:0x40
	v_dual_cndmask_b32 v1, v6, v1, vcc_lo :: v_dual_cndmask_b32 v7, v9, v7, vcc_lo
	s_delay_alu instid0(VALU_DEP_2) | instskip(NEXT) | instid1(VALU_DEP_2)
	v_and_b32_e32 v3, 0x80000000, v3
	v_lshlrev_b32_e32 v1, 21, v1
	s_delay_alu instid0(VALU_DEP_3) | instskip(NEXT) | instid1(VALU_DEP_1)
	v_lshl_add_u32 v6, v7, 23, 0x37800000
	v_or3_b32 v1, v3, v6, v1
	s_delay_alu instid0(VALU_DEP_1)
	v_cvt_u32_f32_e32 v1, v1
.LBB356_461:
	s_or_b32 exec_lo, exec_lo, s27
	s_mov_b32 s27, 0
	s_branch .LBB356_467
.LBB356_462:
	s_mov_b32 s28, -1
                                        ; implicit-def: $vgpr1
	s_branch .LBB356_473
.LBB356_463:
	s_and_not1_saveexec_b32 s27, s27
	s_cbranch_execz .LBB356_448
.LBB356_464:
	v_cmp_ne_u16_e32 vcc_lo, 0, v3
	s_and_not1_b32 s28, s28, exec_lo
	s_and_b32 s29, vcc_lo, exec_lo
	s_delay_alu instid0(SALU_CYCLE_1)
	s_or_b32 s28, s28, s29
	s_or_b32 exec_lo, exec_lo, s27
	v_mov_b32_e32 v1, 0
	s_and_saveexec_b32 s27, s28
	s_cbranch_execnz .LBB356_449
	s_branch .LBB356_450
.LBB356_465:
	s_mov_b32 s27, -1
                                        ; implicit-def: $vgpr1
	s_branch .LBB356_470
.LBB356_466:
	s_mov_b32 s27, -1
                                        ; implicit-def: $vgpr1
.LBB356_467:
	s_delay_alu instid0(SALU_CYCLE_1)
	s_and_b32 vcc_lo, exec_lo, s27
	s_cbranch_vccz .LBB356_469
; %bb.468:
	s_wait_loadcnt 0x0
	global_load_u8 v1, v[4:5], off
	s_wait_loadcnt 0x0
	v_lshlrev_b32_e32 v1, 24, v1
	s_delay_alu instid0(VALU_DEP_1) | instskip(NEXT) | instid1(VALU_DEP_1)
	v_and_b32_e32 v3, 0x7f000000, v1
	v_clz_i32_u32_e32 v6, v3
	v_cmp_ne_u32_e32 vcc_lo, 0, v3
	v_add_nc_u32_e32 v8, 0x1000000, v3
	s_delay_alu instid0(VALU_DEP_3) | instskip(NEXT) | instid1(VALU_DEP_1)
	v_min_u32_e32 v6, 32, v6
	v_sub_nc_u32_e64 v6, v6, 4 clamp
	s_delay_alu instid0(VALU_DEP_1) | instskip(NEXT) | instid1(VALU_DEP_1)
	v_dual_lshlrev_b32 v7, v6, v3 :: v_dual_lshlrev_b32 v6, 23, v6
	v_lshrrev_b32_e32 v7, 4, v7
	s_delay_alu instid0(VALU_DEP_1) | instskip(NEXT) | instid1(VALU_DEP_1)
	v_dual_sub_nc_u32 v6, v7, v6 :: v_dual_ashrrev_i32 v7, 8, v8
	v_add_nc_u32_e32 v6, 0x3c000000, v6
	s_delay_alu instid0(VALU_DEP_1) | instskip(NEXT) | instid1(VALU_DEP_1)
	v_and_or_b32 v6, 0x7f800000, v7, v6
	v_cndmask_b32_e32 v3, 0, v6, vcc_lo
	s_delay_alu instid0(VALU_DEP_1) | instskip(NEXT) | instid1(VALU_DEP_1)
	v_and_or_b32 v1, 0x80000000, v1, v3
	v_cvt_u32_f32_e32 v1, v1
.LBB356_469:
	s_mov_b32 s27, 0
.LBB356_470:
	s_delay_alu instid0(SALU_CYCLE_1)
	s_and_not1_b32 vcc_lo, exec_lo, s27
	s_cbranch_vccnz .LBB356_472
; %bb.471:
	s_wait_loadcnt 0x0
	global_load_u8 v1, v[4:5], off
	s_wait_loadcnt 0x0
	v_lshlrev_b32_e32 v3, 25, v1
	v_lshlrev_b16 v1, 8, v1
	s_delay_alu instid0(VALU_DEP_1) | instskip(SKIP_1) | instid1(VALU_DEP_2)
	v_and_or_b32 v7, 0x7f00, v1, 0.5
	v_bfe_i32 v1, v1, 0, 16
	v_add_f32_e32 v7, -0.5, v7
	v_lshrrev_b32_e32 v6, 4, v3
	v_cmp_gt_u32_e32 vcc_lo, 0x8000000, v3
	s_delay_alu instid0(VALU_DEP_2) | instskip(NEXT) | instid1(VALU_DEP_1)
	v_or_b32_e32 v6, 0x70000000, v6
	v_mul_f32_e32 v6, 0x7800000, v6
	s_delay_alu instid0(VALU_DEP_1) | instskip(NEXT) | instid1(VALU_DEP_1)
	v_cndmask_b32_e32 v3, v6, v7, vcc_lo
	v_and_or_b32 v1, 0x80000000, v1, v3
	s_delay_alu instid0(VALU_DEP_1)
	v_cvt_u32_f32_e32 v1, v1
.LBB356_472:
	s_mov_b32 s28, 0
	s_mov_b32 s27, -1
.LBB356_473:
	s_and_not1_b32 vcc_lo, exec_lo, s28
	s_cbranch_vccnz .LBB356_486
; %bb.474:
	s_cmp_gt_i32 s0, 14
	s_cbranch_scc0 .LBB356_477
; %bb.475:
	s_cmp_eq_u32 s0, 15
	s_cbranch_scc0 .LBB356_480
; %bb.476:
	s_wait_loadcnt 0x0
	global_load_u16 v1, v[4:5], off
	s_mov_b32 s27, -1
	s_mov_b32 s26, 0
	s_wait_loadcnt 0x0
	v_lshlrev_b32_e32 v1, 16, v1
	s_delay_alu instid0(VALU_DEP_1)
	v_cvt_u32_f32_e32 v1, v1
	s_branch .LBB356_481
.LBB356_477:
	s_mov_b32 s28, -1
                                        ; implicit-def: $vgpr1
	s_branch .LBB356_482
.LBB356_478:
	s_and_not1_saveexec_b32 s27, s27
	s_cbranch_execz .LBB356_459
.LBB356_479:
	v_cmp_ne_u16_e32 vcc_lo, 0, v3
	s_and_not1_b32 s28, s28, exec_lo
	s_and_b32 s29, vcc_lo, exec_lo
	s_delay_alu instid0(SALU_CYCLE_1)
	s_or_b32 s28, s28, s29
	s_or_b32 exec_lo, exec_lo, s27
	v_mov_b32_e32 v1, 0
	s_and_saveexec_b32 s27, s28
	s_cbranch_execnz .LBB356_460
	s_branch .LBB356_461
.LBB356_480:
	s_mov_b32 s26, -1
                                        ; implicit-def: $vgpr1
.LBB356_481:
	s_mov_b32 s28, 0
.LBB356_482:
	s_delay_alu instid0(SALU_CYCLE_1)
	s_and_b32 vcc_lo, exec_lo, s28
	s_cbranch_vccz .LBB356_486
; %bb.483:
	s_cmp_eq_u32 s0, 11
	s_cbranch_scc0 .LBB356_485
; %bb.484:
	s_wait_loadcnt 0x0
	global_load_u8 v1, v[4:5], off
	s_mov_b32 s26, 0
	s_mov_b32 s27, -1
	s_wait_loadcnt 0x0
	v_cmp_ne_u16_e32 vcc_lo, 0, v1
	v_cndmask_b32_e64 v1, 0, 1, vcc_lo
	s_branch .LBB356_486
.LBB356_485:
	s_mov_b32 s26, -1
                                        ; implicit-def: $vgpr1
.LBB356_486:
	s_branch .LBB356_292
.LBB356_487:
	s_cmp_lt_i32 s0, 5
	s_cbranch_scc1 .LBB356_492
; %bb.488:
	s_cmp_lt_i32 s0, 8
	s_cbranch_scc1 .LBB356_493
; %bb.489:
	;; [unrolled: 3-line block ×3, first 2 shown]
	s_cmp_gt_i32 s0, 9
	s_cbranch_scc0 .LBB356_495
; %bb.491:
	global_load_b64 v[6:7], v[4:5], off
	s_mov_b32 s27, 0
	s_wait_loadcnt 0x0
	v_cvt_u32_f64_e32 v1, v[6:7]
	s_branch .LBB356_496
.LBB356_492:
	s_mov_b32 s27, -1
                                        ; implicit-def: $vgpr1
	s_branch .LBB356_514
.LBB356_493:
	s_mov_b32 s27, -1
                                        ; implicit-def: $vgpr1
	s_branch .LBB356_502
.LBB356_494:
	s_mov_b32 s27, -1
                                        ; implicit-def: $vgpr1
	s_branch .LBB356_499
.LBB356_495:
	s_mov_b32 s27, -1
                                        ; implicit-def: $vgpr1
.LBB356_496:
	s_delay_alu instid0(SALU_CYCLE_1)
	s_and_not1_b32 vcc_lo, exec_lo, s27
	s_cbranch_vccnz .LBB356_498
; %bb.497:
	s_wait_loadcnt 0x0
	global_load_b32 v1, v[4:5], off
	s_wait_loadcnt 0x0
	v_cvt_u32_f32_e32 v1, v1
.LBB356_498:
	s_mov_b32 s27, 0
.LBB356_499:
	s_delay_alu instid0(SALU_CYCLE_1)
	s_and_not1_b32 vcc_lo, exec_lo, s27
	s_cbranch_vccnz .LBB356_501
; %bb.500:
	s_wait_loadcnt 0x0
	global_load_b32 v1, v[4:5], off
	s_wait_loadcnt 0x0
	v_cvt_f32_f16_e32 v1, v1
	s_delay_alu instid0(VALU_DEP_1)
	v_cvt_u32_f32_e32 v1, v1
.LBB356_501:
	s_mov_b32 s27, 0
.LBB356_502:
	s_delay_alu instid0(SALU_CYCLE_1)
	s_and_not1_b32 vcc_lo, exec_lo, s27
	s_cbranch_vccnz .LBB356_513
; %bb.503:
	s_cmp_lt_i32 s0, 6
	s_cbranch_scc1 .LBB356_506
; %bb.504:
	s_cmp_gt_i32 s0, 6
	s_cbranch_scc0 .LBB356_507
; %bb.505:
	global_load_b64 v[6:7], v[4:5], off
	s_mov_b32 s27, 0
	s_wait_loadcnt 0x0
	v_cvt_u32_f64_e32 v1, v[6:7]
	s_branch .LBB356_508
.LBB356_506:
	s_mov_b32 s27, -1
                                        ; implicit-def: $vgpr1
	s_branch .LBB356_511
.LBB356_507:
	s_mov_b32 s27, -1
                                        ; implicit-def: $vgpr1
.LBB356_508:
	s_delay_alu instid0(SALU_CYCLE_1)
	s_and_not1_b32 vcc_lo, exec_lo, s27
	s_cbranch_vccnz .LBB356_510
; %bb.509:
	s_wait_loadcnt 0x0
	global_load_b32 v1, v[4:5], off
	s_wait_loadcnt 0x0
	v_cvt_u32_f32_e32 v1, v1
.LBB356_510:
	s_mov_b32 s27, 0
.LBB356_511:
	s_delay_alu instid0(SALU_CYCLE_1)
	s_and_not1_b32 vcc_lo, exec_lo, s27
	s_cbranch_vccnz .LBB356_513
; %bb.512:
	s_wait_loadcnt 0x0
	global_load_u16 v1, v[4:5], off
	s_wait_loadcnt 0x0
	v_cvt_f32_f16_e32 v1, v1
	s_delay_alu instid0(VALU_DEP_1)
	v_cvt_u32_f32_e32 v1, v1
.LBB356_513:
	s_mov_b32 s27, 0
.LBB356_514:
	s_delay_alu instid0(SALU_CYCLE_1)
	s_and_not1_b32 vcc_lo, exec_lo, s27
	s_cbranch_vccnz .LBB356_534
; %bb.515:
	s_cmp_lt_i32 s0, 2
	s_cbranch_scc1 .LBB356_519
; %bb.516:
	s_cmp_lt_i32 s0, 3
	s_cbranch_scc1 .LBB356_520
; %bb.517:
	s_cmp_gt_i32 s0, 3
	s_cbranch_scc0 .LBB356_521
; %bb.518:
	s_wait_loadcnt 0x0
	global_load_b32 v1, v[4:5], off
	s_mov_b32 s27, 0
	s_branch .LBB356_522
.LBB356_519:
	s_mov_b32 s27, -1
                                        ; implicit-def: $vgpr1
	s_branch .LBB356_528
.LBB356_520:
	s_mov_b32 s27, -1
                                        ; implicit-def: $vgpr1
	s_branch .LBB356_525
.LBB356_521:
	s_mov_b32 s27, -1
                                        ; implicit-def: $vgpr1
.LBB356_522:
	s_delay_alu instid0(SALU_CYCLE_1)
	s_and_not1_b32 vcc_lo, exec_lo, s27
	s_cbranch_vccnz .LBB356_524
; %bb.523:
	s_wait_loadcnt 0x0
	global_load_b32 v1, v[4:5], off
.LBB356_524:
	s_mov_b32 s27, 0
.LBB356_525:
	s_delay_alu instid0(SALU_CYCLE_1)
	s_and_not1_b32 vcc_lo, exec_lo, s27
	s_cbranch_vccnz .LBB356_527
; %bb.526:
	s_wait_loadcnt 0x0
	global_load_i16 v1, v[4:5], off
.LBB356_527:
	s_mov_b32 s27, 0
.LBB356_528:
	s_delay_alu instid0(SALU_CYCLE_1)
	s_and_not1_b32 vcc_lo, exec_lo, s27
	s_cbranch_vccnz .LBB356_534
; %bb.529:
	s_cmp_gt_i32 s0, 0
	s_mov_b32 s0, 0
	s_cbranch_scc0 .LBB356_531
; %bb.530:
	s_wait_loadcnt 0x0
	global_load_i8 v1, v[4:5], off
	s_branch .LBB356_532
.LBB356_531:
	s_mov_b32 s0, -1
                                        ; implicit-def: $vgpr1
.LBB356_532:
	s_delay_alu instid0(SALU_CYCLE_1)
	s_and_not1_b32 vcc_lo, exec_lo, s0
	s_cbranch_vccnz .LBB356_534
; %bb.533:
	s_wait_loadcnt 0x0
	global_load_u8 v1, v[4:5], off
.LBB356_534:
	s_branch .LBB356_293
.LBB356_535:
	s_mov_b32 s27, 0
	s_mov_b32 s0, s20
.LBB356_536:
                                        ; implicit-def: $vgpr0
.LBB356_537:
	s_and_not1_b32 s28, s20, exec_lo
	s_and_b32 s0, s0, exec_lo
	s_and_not1_b32 s29, s42, exec_lo
	s_and_b32 s26, s26, exec_lo
	s_or_b32 s45, s28, s0
	s_or_b32 s44, s29, s26
	s_or_not1_b32 s0, s27, exec_lo
.LBB356_538:
	s_wait_xcnt 0x0
	s_or_b32 exec_lo, exec_lo, s46
	s_mov_b32 s26, 0
	s_mov_b32 s27, 0
	s_mov_b32 s28, 0
                                        ; implicit-def: $vgpr4_vgpr5
                                        ; implicit-def: $vgpr2
                                        ; implicit-def: $vgpr6
	s_and_saveexec_b32 s46, s0
	s_cbranch_execz .LBB356_911
; %bb.539:
	s_mov_b32 s29, -1
	s_mov_b32 s0, s44
	s_mov_b32 s30, s45
	s_mov_b32 s47, exec_lo
	v_cmpx_gt_i32_e64 s39, v0
	s_cbranch_execz .LBB356_812
; %bb.540:
	s_and_not1_b32 vcc_lo, exec_lo, s35
	s_cbranch_vccnz .LBB356_546
; %bb.541:
	s_and_not1_b32 vcc_lo, exec_lo, s41
	s_cbranch_vccnz .LBB356_547
; %bb.542:
	s_add_co_i32 s0, s40, 1
	s_cmp_eq_u32 s34, 2
	s_cbranch_scc1 .LBB356_548
; %bb.543:
	v_dual_mov_b32 v2, 0 :: v_dual_mov_b32 v4, 0
	s_wait_loadcnt 0x0
	v_mov_b32_e32 v1, v0
	s_and_b32 s26, s0, 28
	s_mov_b64 s[28:29], s[16:17]
	s_mov_b64 s[30:31], s[24:25]
.LBB356_544:                            ; =>This Inner Loop Header: Depth=1
	s_clause 0x1
	s_load_b256 s[48:55], s[28:29], 0x4
	s_load_b128 s[64:67], s[28:29], 0x24
	s_load_b256 s[56:63], s[30:31], 0x0
	s_add_co_i32 s27, s27, 4
	s_wait_xcnt 0x0
	s_add_nc_u64 s[28:29], s[28:29], 48
	s_cmp_eq_u32 s26, s27
	s_add_nc_u64 s[30:31], s[30:31], 32
	s_wait_kmcnt 0x0
	v_mul_hi_u32 v3, s49, v1
	s_delay_alu instid0(VALU_DEP_1) | instskip(NEXT) | instid1(VALU_DEP_1)
	v_add_nc_u32_e32 v3, v1, v3
	v_lshrrev_b32_e32 v3, s50, v3
	s_delay_alu instid0(VALU_DEP_1) | instskip(NEXT) | instid1(VALU_DEP_1)
	v_mul_hi_u32 v5, s52, v3
	v_add_nc_u32_e32 v5, v3, v5
	s_delay_alu instid0(VALU_DEP_1) | instskip(NEXT) | instid1(VALU_DEP_1)
	v_lshrrev_b32_e32 v5, s53, v5
	v_mul_hi_u32 v6, s55, v5
	s_delay_alu instid0(VALU_DEP_1) | instskip(SKIP_1) | instid1(VALU_DEP_1)
	v_add_nc_u32_e32 v6, v5, v6
	v_mul_lo_u32 v7, v3, s48
	v_sub_nc_u32_e32 v1, v1, v7
	v_mul_lo_u32 v7, v5, s51
	s_delay_alu instid0(VALU_DEP_4) | instskip(NEXT) | instid1(VALU_DEP_3)
	v_lshrrev_b32_e32 v6, s64, v6
	v_mad_u32 v4, v1, s57, v4
	v_mad_u32 v1, v1, s56, v2
	s_delay_alu instid0(VALU_DEP_4) | instskip(NEXT) | instid1(VALU_DEP_4)
	v_sub_nc_u32_e32 v2, v3, v7
	v_mul_hi_u32 v8, s66, v6
	v_mul_lo_u32 v3, v6, s54
	s_delay_alu instid0(VALU_DEP_3) | instskip(SKIP_1) | instid1(VALU_DEP_3)
	v_mad_u32 v4, v2, s59, v4
	v_mad_u32 v2, v2, s58, v1
	v_dual_add_nc_u32 v7, v6, v8 :: v_dual_sub_nc_u32 v3, v5, v3
	s_delay_alu instid0(VALU_DEP_1) | instskip(NEXT) | instid1(VALU_DEP_2)
	v_lshrrev_b32_e32 v1, s67, v7
	v_mad_u32 v4, v3, s61, v4
	s_delay_alu instid0(VALU_DEP_4) | instskip(NEXT) | instid1(VALU_DEP_3)
	v_mad_u32 v2, v3, s60, v2
	v_mul_lo_u32 v5, v1, s65
	s_delay_alu instid0(VALU_DEP_1) | instskip(NEXT) | instid1(VALU_DEP_1)
	v_sub_nc_u32_e32 v3, v6, v5
	v_mad_u32 v4, v3, s63, v4
	s_delay_alu instid0(VALU_DEP_4)
	v_mad_u32 v2, v3, s62, v2
	s_cbranch_scc0 .LBB356_544
; %bb.545:
	s_delay_alu instid0(VALU_DEP_2)
	v_mov_b32_e32 v3, v4
	s_branch .LBB356_549
.LBB356_546:
	s_mov_b32 s0, -1
                                        ; implicit-def: $vgpr4
                                        ; implicit-def: $vgpr2
	s_branch .LBB356_554
.LBB356_547:
	v_dual_mov_b32 v4, 0 :: v_dual_mov_b32 v2, 0
	s_branch .LBB356_553
.LBB356_548:
	v_mov_b64_e32 v[2:3], 0
	s_wait_loadcnt 0x0
	v_mov_b32_e32 v1, v0
                                        ; implicit-def: $vgpr4
.LBB356_549:
	s_and_b32 s0, s0, 3
	s_mov_b32 s27, 0
	s_cmp_eq_u32 s0, 0
	s_cbranch_scc1 .LBB356_553
; %bb.550:
	s_lshl_b32 s28, s26, 3
	s_mov_b32 s29, s27
	s_mul_u64 s[30:31], s[26:27], 12
	s_add_nc_u64 s[28:29], s[16:17], s[28:29]
	s_delay_alu instid0(SALU_CYCLE_1)
	s_add_nc_u64 s[26:27], s[28:29], 0xc4
	s_add_nc_u64 s[28:29], s[16:17], s[30:31]
.LBB356_551:                            ; =>This Inner Loop Header: Depth=1
	s_load_b96 s[48:50], s[28:29], 0x4
	s_load_b64 s[30:31], s[26:27], 0x0
	s_add_co_i32 s0, s0, -1
	s_wait_xcnt 0x0
	s_add_nc_u64 s[28:29], s[28:29], 12
	s_cmp_lg_u32 s0, 0
	s_add_nc_u64 s[26:27], s[26:27], 8
	s_wait_kmcnt 0x0
	v_mul_hi_u32 v4, s49, v1
	s_delay_alu instid0(VALU_DEP_1) | instskip(NEXT) | instid1(VALU_DEP_1)
	v_add_nc_u32_e32 v4, v1, v4
	v_lshrrev_b32_e32 v4, s50, v4
	s_delay_alu instid0(VALU_DEP_1) | instskip(NEXT) | instid1(VALU_DEP_1)
	v_mul_lo_u32 v5, v4, s48
	v_sub_nc_u32_e32 v1, v1, v5
	s_delay_alu instid0(VALU_DEP_1)
	v_mad_u32 v3, v1, s31, v3
	v_mad_u32 v2, v1, s30, v2
	v_mov_b32_e32 v1, v4
	s_cbranch_scc1 .LBB356_551
; %bb.552:
	s_delay_alu instid0(VALU_DEP_3)
	v_mov_b32_e32 v4, v3
.LBB356_553:
	s_mov_b32 s0, 0
.LBB356_554:
	s_delay_alu instid0(SALU_CYCLE_1)
	s_and_not1_b32 vcc_lo, exec_lo, s0
	s_cbranch_vccnz .LBB356_557
; %bb.555:
	s_wait_loadcnt 0x0
	v_mov_b32_e32 v1, 0
	s_and_not1_b32 vcc_lo, exec_lo, s38
	s_delay_alu instid0(VALU_DEP_1) | instskip(NEXT) | instid1(VALU_DEP_1)
	v_mul_u64_e32 v[2:3], s[18:19], v[0:1]
	v_add_nc_u32_e32 v2, v0, v3
	s_delay_alu instid0(VALU_DEP_1) | instskip(NEXT) | instid1(VALU_DEP_1)
	v_lshrrev_b32_e32 v6, s10, v2
	v_mul_lo_u32 v2, v6, s8
	s_delay_alu instid0(VALU_DEP_1) | instskip(NEXT) | instid1(VALU_DEP_1)
	v_sub_nc_u32_e32 v2, v0, v2
	v_mul_lo_u32 v4, v2, s13
	v_mul_lo_u32 v2, v2, s12
	s_cbranch_vccnz .LBB356_557
; %bb.556:
	v_mov_b32_e32 v7, v1
	s_delay_alu instid0(VALU_DEP_1) | instskip(NEXT) | instid1(VALU_DEP_1)
	v_mul_u64_e32 v[8:9], s[22:23], v[6:7]
	v_add_nc_u32_e32 v1, v6, v9
	s_delay_alu instid0(VALU_DEP_1) | instskip(NEXT) | instid1(VALU_DEP_1)
	v_lshrrev_b32_e32 v1, s21, v1
	v_mul_lo_u32 v1, v1, s11
	s_delay_alu instid0(VALU_DEP_1) | instskip(NEXT) | instid1(VALU_DEP_1)
	v_sub_nc_u32_e32 v1, v6, v1
	v_mad_u32 v2, v1, s14, v2
	v_mad_u32 v4, v1, s15, v4
.LBB356_557:
	v_mov_b32_e32 v5, 0
	s_and_b32 s0, 0xffff, s37
	s_delay_alu instid0(SALU_CYCLE_1) | instskip(NEXT) | instid1(VALU_DEP_1)
	s_cmp_lt_i32 s0, 11
	v_add_nc_u64_e32 v[4:5], s[6:7], v[4:5]
	s_cbranch_scc1 .LBB356_564
; %bb.558:
	s_cmp_gt_i32 s0, 25
	s_cbranch_scc0 .LBB356_565
; %bb.559:
	s_cmp_gt_i32 s0, 28
	s_cbranch_scc0 .LBB356_566
	;; [unrolled: 3-line block ×4, first 2 shown]
; %bb.562:
	s_cmp_eq_u32 s0, 46
	s_mov_b32 s28, 0
	s_cbranch_scc0 .LBB356_573
; %bb.563:
	s_wait_loadcnt 0x0
	global_load_b32 v1, v[4:5], off
	s_mov_b32 s27, -1
	s_mov_b32 s26, 0
	s_wait_loadcnt 0x0
	v_lshlrev_b32_e32 v1, 16, v1
	s_delay_alu instid0(VALU_DEP_1)
	v_cvt_u32_f32_e32 v1, v1
	s_branch .LBB356_575
.LBB356_564:
	s_mov_b32 s28, -1
	s_mov_b32 s27, 0
	s_mov_b32 s26, s44
                                        ; implicit-def: $vgpr1
	s_branch .LBB356_636
.LBB356_565:
	s_mov_b32 s28, -1
	s_mov_b32 s27, 0
	s_mov_b32 s26, s44
                                        ; implicit-def: $vgpr1
	s_branch .LBB356_602
.LBB356_566:
	s_mov_b32 s28, -1
	s_mov_b32 s27, 0
	s_mov_b32 s26, s44
                                        ; implicit-def: $vgpr1
	s_branch .LBB356_585
.LBB356_567:
	s_mov_b32 s28, -1
	s_mov_b32 s27, 0
	s_mov_b32 s26, s44
                                        ; implicit-def: $vgpr1
	s_branch .LBB356_580
.LBB356_568:
	s_and_not1_saveexec_b32 s44, s44
	s_cbranch_execz .LBB356_339
.LBB356_569:
	v_add_f32_e32 v1, 0x46000000, v4
	s_and_not1_b32 s31, s31, exec_lo
	s_delay_alu instid0(VALU_DEP_1) | instskip(NEXT) | instid1(VALU_DEP_1)
	v_and_b32_e32 v1, 0xff, v1
	v_cmp_ne_u32_e32 vcc_lo, 0, v1
	s_and_b32 s45, vcc_lo, exec_lo
	s_delay_alu instid0(SALU_CYCLE_1)
	s_or_b32 s31, s31, s45
	s_or_b32 exec_lo, exec_lo, s44
	v_mov_b32_e32 v5, 0
	s_and_saveexec_b32 s44, s31
	s_cbranch_execnz .LBB356_340
	s_branch .LBB356_341
.LBB356_570:
	s_mov_b32 s28, -1
	s_mov_b32 s27, 0
	s_mov_b32 s26, s44
	s_branch .LBB356_574
.LBB356_571:
	s_and_not1_saveexec_b32 s44, s44
	s_cbranch_execz .LBB356_352
.LBB356_572:
	v_add_f32_e32 v1, 0x42800000, v4
	s_and_not1_b32 s31, s31, exec_lo
	s_delay_alu instid0(VALU_DEP_1) | instskip(NEXT) | instid1(VALU_DEP_1)
	v_and_b32_e32 v1, 0xff, v1
	v_cmp_ne_u32_e32 vcc_lo, 0, v1
	s_and_b32 s45, vcc_lo, exec_lo
	s_delay_alu instid0(SALU_CYCLE_1)
	s_or_b32 s31, s31, s45
	s_or_b32 exec_lo, exec_lo, s44
	v_mov_b32_e32 v5, 0
	s_and_saveexec_b32 s44, s31
	s_cbranch_execnz .LBB356_353
	s_branch .LBB356_354
.LBB356_573:
	s_mov_b32 s26, -1
	s_mov_b32 s27, 0
.LBB356_574:
                                        ; implicit-def: $vgpr1
.LBB356_575:
	s_and_b32 vcc_lo, exec_lo, s28
	s_cbranch_vccz .LBB356_579
; %bb.576:
	s_cmp_eq_u32 s0, 44
	s_cbranch_scc0 .LBB356_578
; %bb.577:
	s_wait_loadcnt 0x0
	global_load_u8 v1, v[4:5], off
	s_mov_b32 s26, 0
	s_mov_b32 s27, -1
	s_wait_loadcnt 0x0
	v_lshlrev_b32_e32 v3, 23, v1
	v_cmp_ne_u32_e32 vcc_lo, 0, v1
	s_delay_alu instid0(VALU_DEP_2) | instskip(NEXT) | instid1(VALU_DEP_1)
	v_cvt_u32_f32_e32 v3, v3
	v_cndmask_b32_e32 v1, 0, v3, vcc_lo
	s_branch .LBB356_579
.LBB356_578:
	s_mov_b32 s26, -1
                                        ; implicit-def: $vgpr1
.LBB356_579:
	s_mov_b32 s28, 0
.LBB356_580:
	s_delay_alu instid0(SALU_CYCLE_1)
	s_and_b32 vcc_lo, exec_lo, s28
	s_cbranch_vccz .LBB356_584
; %bb.581:
	s_cmp_eq_u32 s0, 29
	s_cbranch_scc0 .LBB356_583
; %bb.582:
	s_wait_loadcnt 0x0
	global_load_b32 v1, v[4:5], off
	s_mov_b32 s27, -1
	s_mov_b32 s26, 0
	s_branch .LBB356_584
.LBB356_583:
	s_mov_b32 s26, -1
                                        ; implicit-def: $vgpr1
.LBB356_584:
	s_mov_b32 s28, 0
.LBB356_585:
	s_delay_alu instid0(SALU_CYCLE_1)
	s_and_b32 vcc_lo, exec_lo, s28
	s_cbranch_vccz .LBB356_601
; %bb.586:
	s_cmp_lt_i32 s0, 27
	s_cbranch_scc1 .LBB356_589
; %bb.587:
	s_cmp_gt_i32 s0, 27
	s_cbranch_scc0 .LBB356_590
; %bb.588:
	s_wait_loadcnt 0x0
	global_load_b32 v1, v[4:5], off
	s_mov_b32 s27, 0
	s_branch .LBB356_591
.LBB356_589:
	s_mov_b32 s27, -1
                                        ; implicit-def: $vgpr1
	s_branch .LBB356_594
.LBB356_590:
	s_mov_b32 s27, -1
                                        ; implicit-def: $vgpr1
.LBB356_591:
	s_delay_alu instid0(SALU_CYCLE_1)
	s_and_not1_b32 vcc_lo, exec_lo, s27
	s_cbranch_vccnz .LBB356_593
; %bb.592:
	s_wait_loadcnt 0x0
	global_load_u16 v1, v[4:5], off
.LBB356_593:
	s_mov_b32 s27, 0
.LBB356_594:
	s_delay_alu instid0(SALU_CYCLE_1)
	s_and_not1_b32 vcc_lo, exec_lo, s27
	s_cbranch_vccnz .LBB356_600
; %bb.595:
	global_load_u8 v3, v[4:5], off
	s_mov_b32 s28, 0
	s_mov_b32 s27, exec_lo
	s_wait_loadcnt 0x0
	v_cmpx_lt_i16_e32 0x7f, v3
	s_xor_b32 s27, exec_lo, s27
	s_cbranch_execz .LBB356_612
; %bb.596:
	v_cmp_ne_u16_e32 vcc_lo, 0x80, v3
	s_and_b32 s28, vcc_lo, exec_lo
	s_and_not1_saveexec_b32 s27, s27
	s_cbranch_execnz .LBB356_613
.LBB356_597:
	s_or_b32 exec_lo, exec_lo, s27
	v_mov_b32_e32 v1, 0
	s_and_saveexec_b32 s27, s28
	s_cbranch_execz .LBB356_599
.LBB356_598:
	v_and_b32_e32 v1, 0xffff, v3
	s_delay_alu instid0(VALU_DEP_1) | instskip(SKIP_1) | instid1(VALU_DEP_2)
	v_and_b32_e32 v6, 7, v1
	v_bfe_u32 v9, v1, 3, 4
	v_clz_i32_u32_e32 v7, v6
	s_delay_alu instid0(VALU_DEP_2) | instskip(NEXT) | instid1(VALU_DEP_2)
	v_cmp_eq_u32_e32 vcc_lo, 0, v9
	v_min_u32_e32 v7, 32, v7
	s_delay_alu instid0(VALU_DEP_1) | instskip(NEXT) | instid1(VALU_DEP_1)
	v_subrev_nc_u32_e32 v8, 28, v7
	v_dual_lshlrev_b32 v1, v8, v1 :: v_dual_sub_nc_u32 v7, 29, v7
	s_delay_alu instid0(VALU_DEP_1) | instskip(NEXT) | instid1(VALU_DEP_1)
	v_dual_lshlrev_b32 v3, 24, v3 :: v_dual_bitop2_b32 v1, 7, v1 bitop3:0x40
	v_dual_cndmask_b32 v1, v6, v1, vcc_lo :: v_dual_cndmask_b32 v7, v9, v7, vcc_lo
	s_delay_alu instid0(VALU_DEP_2) | instskip(NEXT) | instid1(VALU_DEP_2)
	v_and_b32_e32 v3, 0x80000000, v3
	v_lshlrev_b32_e32 v1, 20, v1
	s_delay_alu instid0(VALU_DEP_3) | instskip(NEXT) | instid1(VALU_DEP_1)
	v_lshl_add_u32 v6, v7, 23, 0x3b800000
	v_or3_b32 v1, v3, v6, v1
	s_delay_alu instid0(VALU_DEP_1)
	v_cvt_u32_f32_e32 v1, v1
.LBB356_599:
	s_or_b32 exec_lo, exec_lo, s27
.LBB356_600:
	s_mov_b32 s27, -1
.LBB356_601:
	s_mov_b32 s28, 0
.LBB356_602:
	s_delay_alu instid0(SALU_CYCLE_1)
	s_and_b32 vcc_lo, exec_lo, s28
	s_cbranch_vccz .LBB356_635
; %bb.603:
	s_cmp_gt_i32 s0, 22
	s_cbranch_scc0 .LBB356_611
; %bb.604:
	s_cmp_lt_i32 s0, 24
	s_cbranch_scc1 .LBB356_614
; %bb.605:
	s_cmp_gt_i32 s0, 24
	s_cbranch_scc0 .LBB356_615
; %bb.606:
	global_load_u8 v3, v[4:5], off
	s_mov_b32 s28, 0
	s_mov_b32 s27, exec_lo
	s_wait_loadcnt 0x0
	v_cmpx_lt_i16_e32 0x7f, v3
	s_xor_b32 s27, exec_lo, s27
	s_cbranch_execz .LBB356_627
; %bb.607:
	v_cmp_ne_u16_e32 vcc_lo, 0x80, v3
	s_and_b32 s28, vcc_lo, exec_lo
	s_and_not1_saveexec_b32 s27, s27
	s_cbranch_execnz .LBB356_628
.LBB356_608:
	s_or_b32 exec_lo, exec_lo, s27
	v_mov_b32_e32 v1, 0
	s_and_saveexec_b32 s27, s28
	s_cbranch_execz .LBB356_610
.LBB356_609:
	v_and_b32_e32 v1, 0xffff, v3
	s_delay_alu instid0(VALU_DEP_1) | instskip(SKIP_1) | instid1(VALU_DEP_2)
	v_and_b32_e32 v6, 3, v1
	v_bfe_u32 v9, v1, 2, 5
	v_clz_i32_u32_e32 v7, v6
	s_delay_alu instid0(VALU_DEP_2) | instskip(NEXT) | instid1(VALU_DEP_2)
	v_cmp_eq_u32_e32 vcc_lo, 0, v9
	v_min_u32_e32 v7, 32, v7
	s_delay_alu instid0(VALU_DEP_1) | instskip(NEXT) | instid1(VALU_DEP_1)
	v_subrev_nc_u32_e32 v8, 29, v7
	v_dual_lshlrev_b32 v1, v8, v1 :: v_dual_sub_nc_u32 v7, 30, v7
	s_delay_alu instid0(VALU_DEP_1) | instskip(NEXT) | instid1(VALU_DEP_1)
	v_dual_lshlrev_b32 v3, 24, v3 :: v_dual_bitop2_b32 v1, 3, v1 bitop3:0x40
	v_dual_cndmask_b32 v1, v6, v1, vcc_lo :: v_dual_cndmask_b32 v7, v9, v7, vcc_lo
	s_delay_alu instid0(VALU_DEP_2) | instskip(NEXT) | instid1(VALU_DEP_2)
	v_and_b32_e32 v3, 0x80000000, v3
	v_lshlrev_b32_e32 v1, 21, v1
	s_delay_alu instid0(VALU_DEP_3) | instskip(NEXT) | instid1(VALU_DEP_1)
	v_lshl_add_u32 v6, v7, 23, 0x37800000
	v_or3_b32 v1, v3, v6, v1
	s_delay_alu instid0(VALU_DEP_1)
	v_cvt_u32_f32_e32 v1, v1
.LBB356_610:
	s_or_b32 exec_lo, exec_lo, s27
	s_mov_b32 s27, 0
	s_branch .LBB356_616
.LBB356_611:
	s_mov_b32 s28, -1
                                        ; implicit-def: $vgpr1
	s_branch .LBB356_622
.LBB356_612:
	s_and_not1_saveexec_b32 s27, s27
	s_cbranch_execz .LBB356_597
.LBB356_613:
	v_cmp_ne_u16_e32 vcc_lo, 0, v3
	s_and_not1_b32 s28, s28, exec_lo
	s_and_b32 s29, vcc_lo, exec_lo
	s_delay_alu instid0(SALU_CYCLE_1)
	s_or_b32 s28, s28, s29
	s_or_b32 exec_lo, exec_lo, s27
	v_mov_b32_e32 v1, 0
	s_and_saveexec_b32 s27, s28
	s_cbranch_execnz .LBB356_598
	s_branch .LBB356_599
.LBB356_614:
	s_mov_b32 s27, -1
                                        ; implicit-def: $vgpr1
	s_branch .LBB356_619
.LBB356_615:
	s_mov_b32 s27, -1
                                        ; implicit-def: $vgpr1
.LBB356_616:
	s_delay_alu instid0(SALU_CYCLE_1)
	s_and_b32 vcc_lo, exec_lo, s27
	s_cbranch_vccz .LBB356_618
; %bb.617:
	s_wait_loadcnt 0x0
	global_load_u8 v1, v[4:5], off
	s_wait_loadcnt 0x0
	v_lshlrev_b32_e32 v1, 24, v1
	s_delay_alu instid0(VALU_DEP_1) | instskip(NEXT) | instid1(VALU_DEP_1)
	v_and_b32_e32 v3, 0x7f000000, v1
	v_clz_i32_u32_e32 v6, v3
	v_cmp_ne_u32_e32 vcc_lo, 0, v3
	v_add_nc_u32_e32 v8, 0x1000000, v3
	s_delay_alu instid0(VALU_DEP_3) | instskip(NEXT) | instid1(VALU_DEP_1)
	v_min_u32_e32 v6, 32, v6
	v_sub_nc_u32_e64 v6, v6, 4 clamp
	s_delay_alu instid0(VALU_DEP_1) | instskip(NEXT) | instid1(VALU_DEP_1)
	v_dual_lshlrev_b32 v7, v6, v3 :: v_dual_lshlrev_b32 v6, 23, v6
	v_lshrrev_b32_e32 v7, 4, v7
	s_delay_alu instid0(VALU_DEP_1) | instskip(NEXT) | instid1(VALU_DEP_1)
	v_dual_sub_nc_u32 v6, v7, v6 :: v_dual_ashrrev_i32 v7, 8, v8
	v_add_nc_u32_e32 v6, 0x3c000000, v6
	s_delay_alu instid0(VALU_DEP_1) | instskip(NEXT) | instid1(VALU_DEP_1)
	v_and_or_b32 v6, 0x7f800000, v7, v6
	v_cndmask_b32_e32 v3, 0, v6, vcc_lo
	s_delay_alu instid0(VALU_DEP_1) | instskip(NEXT) | instid1(VALU_DEP_1)
	v_and_or_b32 v1, 0x80000000, v1, v3
	v_cvt_u32_f32_e32 v1, v1
.LBB356_618:
	s_mov_b32 s27, 0
.LBB356_619:
	s_delay_alu instid0(SALU_CYCLE_1)
	s_and_not1_b32 vcc_lo, exec_lo, s27
	s_cbranch_vccnz .LBB356_621
; %bb.620:
	s_wait_loadcnt 0x0
	global_load_u8 v1, v[4:5], off
	s_wait_loadcnt 0x0
	v_lshlrev_b32_e32 v3, 25, v1
	v_lshlrev_b16 v1, 8, v1
	s_delay_alu instid0(VALU_DEP_1) | instskip(SKIP_1) | instid1(VALU_DEP_2)
	v_and_or_b32 v7, 0x7f00, v1, 0.5
	v_bfe_i32 v1, v1, 0, 16
	v_add_f32_e32 v7, -0.5, v7
	v_lshrrev_b32_e32 v6, 4, v3
	v_cmp_gt_u32_e32 vcc_lo, 0x8000000, v3
	s_delay_alu instid0(VALU_DEP_2) | instskip(NEXT) | instid1(VALU_DEP_1)
	v_or_b32_e32 v6, 0x70000000, v6
	v_mul_f32_e32 v6, 0x7800000, v6
	s_delay_alu instid0(VALU_DEP_1) | instskip(NEXT) | instid1(VALU_DEP_1)
	v_cndmask_b32_e32 v3, v6, v7, vcc_lo
	v_and_or_b32 v1, 0x80000000, v1, v3
	s_delay_alu instid0(VALU_DEP_1)
	v_cvt_u32_f32_e32 v1, v1
.LBB356_621:
	s_mov_b32 s28, 0
	s_mov_b32 s27, -1
.LBB356_622:
	s_and_not1_b32 vcc_lo, exec_lo, s28
	s_cbranch_vccnz .LBB356_635
; %bb.623:
	s_cmp_gt_i32 s0, 14
	s_cbranch_scc0 .LBB356_626
; %bb.624:
	s_cmp_eq_u32 s0, 15
	s_cbranch_scc0 .LBB356_629
; %bb.625:
	s_wait_loadcnt 0x0
	global_load_u16 v1, v[4:5], off
	s_mov_b32 s27, -1
	s_mov_b32 s26, 0
	s_wait_loadcnt 0x0
	v_lshlrev_b32_e32 v1, 16, v1
	s_delay_alu instid0(VALU_DEP_1)
	v_cvt_u32_f32_e32 v1, v1
	s_branch .LBB356_630
.LBB356_626:
	s_mov_b32 s28, -1
                                        ; implicit-def: $vgpr1
	s_branch .LBB356_631
.LBB356_627:
	s_and_not1_saveexec_b32 s27, s27
	s_cbranch_execz .LBB356_608
.LBB356_628:
	v_cmp_ne_u16_e32 vcc_lo, 0, v3
	s_and_not1_b32 s28, s28, exec_lo
	s_and_b32 s29, vcc_lo, exec_lo
	s_delay_alu instid0(SALU_CYCLE_1)
	s_or_b32 s28, s28, s29
	s_or_b32 exec_lo, exec_lo, s27
	v_mov_b32_e32 v1, 0
	s_and_saveexec_b32 s27, s28
	s_cbranch_execnz .LBB356_609
	s_branch .LBB356_610
.LBB356_629:
	s_mov_b32 s26, -1
                                        ; implicit-def: $vgpr1
.LBB356_630:
	s_mov_b32 s28, 0
.LBB356_631:
	s_delay_alu instid0(SALU_CYCLE_1)
	s_and_b32 vcc_lo, exec_lo, s28
	s_cbranch_vccz .LBB356_635
; %bb.632:
	s_cmp_eq_u32 s0, 11
	s_cbranch_scc0 .LBB356_634
; %bb.633:
	s_wait_loadcnt 0x0
	global_load_u8 v1, v[4:5], off
	s_mov_b32 s26, 0
	s_mov_b32 s27, -1
	s_wait_loadcnt 0x0
	v_cmp_ne_u16_e32 vcc_lo, 0, v1
	v_cndmask_b32_e64 v1, 0, 1, vcc_lo
	s_branch .LBB356_635
.LBB356_634:
	s_mov_b32 s26, -1
                                        ; implicit-def: $vgpr1
.LBB356_635:
	s_mov_b32 s28, 0
.LBB356_636:
	s_delay_alu instid0(SALU_CYCLE_1)
	s_and_b32 vcc_lo, exec_lo, s28
	s_cbranch_vccz .LBB356_685
; %bb.637:
	s_cmp_lt_i32 s0, 5
	s_cbranch_scc1 .LBB356_642
; %bb.638:
	s_cmp_lt_i32 s0, 8
	s_cbranch_scc1 .LBB356_643
	;; [unrolled: 3-line block ×3, first 2 shown]
; %bb.640:
	s_cmp_gt_i32 s0, 9
	s_cbranch_scc0 .LBB356_645
; %bb.641:
	global_load_b64 v[6:7], v[4:5], off
	s_mov_b32 s27, 0
	s_wait_loadcnt 0x0
	v_cvt_u32_f64_e32 v1, v[6:7]
	s_branch .LBB356_646
.LBB356_642:
	s_mov_b32 s27, -1
                                        ; implicit-def: $vgpr1
	s_branch .LBB356_664
.LBB356_643:
	s_mov_b32 s27, -1
                                        ; implicit-def: $vgpr1
	s_branch .LBB356_652
.LBB356_644:
	s_mov_b32 s27, -1
                                        ; implicit-def: $vgpr1
	s_branch .LBB356_649
.LBB356_645:
	s_mov_b32 s27, -1
                                        ; implicit-def: $vgpr1
.LBB356_646:
	s_delay_alu instid0(SALU_CYCLE_1)
	s_and_not1_b32 vcc_lo, exec_lo, s27
	s_cbranch_vccnz .LBB356_648
; %bb.647:
	s_wait_loadcnt 0x0
	global_load_b32 v1, v[4:5], off
	s_wait_loadcnt 0x0
	v_cvt_u32_f32_e32 v1, v1
.LBB356_648:
	s_mov_b32 s27, 0
.LBB356_649:
	s_delay_alu instid0(SALU_CYCLE_1)
	s_and_not1_b32 vcc_lo, exec_lo, s27
	s_cbranch_vccnz .LBB356_651
; %bb.650:
	s_wait_loadcnt 0x0
	global_load_b32 v1, v[4:5], off
	s_wait_loadcnt 0x0
	v_cvt_f32_f16_e32 v1, v1
	s_delay_alu instid0(VALU_DEP_1)
	v_cvt_u32_f32_e32 v1, v1
.LBB356_651:
	s_mov_b32 s27, 0
.LBB356_652:
	s_delay_alu instid0(SALU_CYCLE_1)
	s_and_not1_b32 vcc_lo, exec_lo, s27
	s_cbranch_vccnz .LBB356_663
; %bb.653:
	s_cmp_lt_i32 s0, 6
	s_cbranch_scc1 .LBB356_656
; %bb.654:
	s_cmp_gt_i32 s0, 6
	s_cbranch_scc0 .LBB356_657
; %bb.655:
	global_load_b64 v[6:7], v[4:5], off
	s_mov_b32 s27, 0
	s_wait_loadcnt 0x0
	v_cvt_u32_f64_e32 v1, v[6:7]
	s_branch .LBB356_658
.LBB356_656:
	s_mov_b32 s27, -1
                                        ; implicit-def: $vgpr1
	s_branch .LBB356_661
.LBB356_657:
	s_mov_b32 s27, -1
                                        ; implicit-def: $vgpr1
.LBB356_658:
	s_delay_alu instid0(SALU_CYCLE_1)
	s_and_not1_b32 vcc_lo, exec_lo, s27
	s_cbranch_vccnz .LBB356_660
; %bb.659:
	s_wait_loadcnt 0x0
	global_load_b32 v1, v[4:5], off
	s_wait_loadcnt 0x0
	v_cvt_u32_f32_e32 v1, v1
.LBB356_660:
	s_mov_b32 s27, 0
.LBB356_661:
	s_delay_alu instid0(SALU_CYCLE_1)
	s_and_not1_b32 vcc_lo, exec_lo, s27
	s_cbranch_vccnz .LBB356_663
; %bb.662:
	s_wait_loadcnt 0x0
	global_load_u16 v1, v[4:5], off
	s_wait_loadcnt 0x0
	v_cvt_f32_f16_e32 v1, v1
	s_delay_alu instid0(VALU_DEP_1)
	v_cvt_u32_f32_e32 v1, v1
.LBB356_663:
	s_mov_b32 s27, 0
.LBB356_664:
	s_delay_alu instid0(SALU_CYCLE_1)
	s_and_not1_b32 vcc_lo, exec_lo, s27
	s_cbranch_vccnz .LBB356_684
; %bb.665:
	s_cmp_lt_i32 s0, 2
	s_cbranch_scc1 .LBB356_669
; %bb.666:
	s_cmp_lt_i32 s0, 3
	s_cbranch_scc1 .LBB356_670
; %bb.667:
	s_cmp_gt_i32 s0, 3
	s_cbranch_scc0 .LBB356_671
; %bb.668:
	s_wait_loadcnt 0x0
	global_load_b32 v1, v[4:5], off
	s_mov_b32 s27, 0
	s_branch .LBB356_672
.LBB356_669:
	s_mov_b32 s27, -1
                                        ; implicit-def: $vgpr1
	s_branch .LBB356_678
.LBB356_670:
	s_mov_b32 s27, -1
                                        ; implicit-def: $vgpr1
	s_branch .LBB356_675
.LBB356_671:
	s_mov_b32 s27, -1
                                        ; implicit-def: $vgpr1
.LBB356_672:
	s_delay_alu instid0(SALU_CYCLE_1)
	s_and_not1_b32 vcc_lo, exec_lo, s27
	s_cbranch_vccnz .LBB356_674
; %bb.673:
	s_wait_loadcnt 0x0
	global_load_b32 v1, v[4:5], off
.LBB356_674:
	s_mov_b32 s27, 0
.LBB356_675:
	s_delay_alu instid0(SALU_CYCLE_1)
	s_and_not1_b32 vcc_lo, exec_lo, s27
	s_cbranch_vccnz .LBB356_677
; %bb.676:
	s_wait_loadcnt 0x0
	global_load_i16 v1, v[4:5], off
.LBB356_677:
	s_mov_b32 s27, 0
.LBB356_678:
	s_delay_alu instid0(SALU_CYCLE_1)
	s_and_not1_b32 vcc_lo, exec_lo, s27
	s_cbranch_vccnz .LBB356_684
; %bb.679:
	s_cmp_gt_i32 s0, 0
	s_mov_b32 s0, 0
	s_cbranch_scc0 .LBB356_681
; %bb.680:
	s_wait_loadcnt 0x0
	global_load_i8 v1, v[4:5], off
	s_branch .LBB356_682
.LBB356_681:
	s_mov_b32 s0, -1
                                        ; implicit-def: $vgpr1
.LBB356_682:
	s_delay_alu instid0(SALU_CYCLE_1)
	s_and_not1_b32 vcc_lo, exec_lo, s0
	s_cbranch_vccnz .LBB356_684
; %bb.683:
	s_wait_loadcnt 0x0
	global_load_u8 v1, v[4:5], off
.LBB356_684:
	s_mov_b32 s27, -1
.LBB356_685:
	s_delay_alu instid0(SALU_CYCLE_1)
	s_and_not1_b32 vcc_lo, exec_lo, s27
	s_cbranch_vccnz .LBB356_693
; %bb.686:
	v_mov_b32_e32 v3, 0
	s_wait_loadcnt 0x0
	s_delay_alu instid0(VALU_DEP_2) | instskip(SKIP_1) | instid1(VALU_DEP_2)
	v_cmp_ne_u32_e32 vcc_lo, s1, v1
	s_and_b32 s28, s2, 0xff
	v_add_nc_u64_e32 v[2:3], s[4:5], v[2:3]
	s_xor_b32 s27, s9, vcc_lo
	s_cmp_lt_i32 s28, 11
	s_cbranch_scc1 .LBB356_694
; %bb.687:
	s_and_b32 s29, 0xffff, s28
	s_delay_alu instid0(SALU_CYCLE_1)
	s_cmp_gt_i32 s29, 25
	s_cbranch_scc0 .LBB356_695
; %bb.688:
	s_cmp_gt_i32 s29, 28
	s_cbranch_scc0 .LBB356_696
; %bb.689:
	;; [unrolled: 3-line block ×4, first 2 shown]
	s_mov_b32 s31, 0
	s_mov_b32 s0, -1
	s_cmp_eq_u32 s29, 46
	s_mov_b32 s30, 0
	s_cbranch_scc0 .LBB356_699
; %bb.692:
	v_cndmask_b32_e64 v1, 0, 1.0, s27
	s_mov_b32 s30, -1
	s_mov_b32 s0, 0
	s_wait_xcnt 0x0
	s_delay_alu instid0(VALU_DEP_1) | instskip(NEXT) | instid1(VALU_DEP_1)
	v_bfe_u32 v4, v1, 16, 1
	v_add3_u32 v1, v1, v4, 0x7fff
	s_delay_alu instid0(VALU_DEP_1)
	v_lshrrev_b32_e32 v1, 16, v1
	global_store_b32 v[2:3], v1, off
	s_branch .LBB356_699
.LBB356_693:
	s_mov_b32 s27, 0
	s_mov_b32 s0, s45
	s_branch .LBB356_810
.LBB356_694:
	s_mov_b32 s29, -1
	s_mov_b32 s30, 0
	s_mov_b32 s0, s45
	s_branch .LBB356_768
.LBB356_695:
	s_mov_b32 s31, -1
	s_mov_b32 s30, 0
	s_mov_b32 s0, s45
	s_branch .LBB356_726
.LBB356_696:
	s_mov_b32 s31, -1
	s_mov_b32 s30, 0
	s_mov_b32 s0, s45
	s_branch .LBB356_709
.LBB356_697:
	s_mov_b32 s31, -1
	s_mov_b32 s30, 0
	s_mov_b32 s0, s45
	s_branch .LBB356_705
.LBB356_698:
	s_mov_b32 s31, -1
	s_mov_b32 s30, 0
	s_mov_b32 s0, s45
.LBB356_699:
	s_and_b32 vcc_lo, exec_lo, s31
	s_cbranch_vccz .LBB356_704
; %bb.700:
	s_cmp_eq_u32 s29, 44
	s_mov_b32 s0, -1
	s_cbranch_scc0 .LBB356_704
; %bb.701:
	s_wait_xcnt 0x0
	v_cndmask_b32_e64 v5, 0, 1.0, s27
	s_mov_b32 s30, exec_lo
	s_delay_alu instid0(VALU_DEP_1) | instskip(NEXT) | instid1(VALU_DEP_1)
	v_dual_mov_b32 v4, 0xff :: v_dual_lshrrev_b32 v1, 23, v5
	v_cmpx_ne_u32_e32 0xff, v1
; %bb.702:
	v_and_b32_e32 v4, 0x400000, v5
	v_and_or_b32 v5, 0x3fffff, v5, v1
	s_delay_alu instid0(VALU_DEP_2) | instskip(NEXT) | instid1(VALU_DEP_2)
	v_cmp_ne_u32_e32 vcc_lo, 0, v4
	v_cmp_ne_u32_e64 s0, 0, v5
	s_and_b32 s0, vcc_lo, s0
	s_delay_alu instid0(SALU_CYCLE_1) | instskip(NEXT) | instid1(VALU_DEP_1)
	v_cndmask_b32_e64 v4, 0, 1, s0
	v_add_nc_u32_e32 v4, v1, v4
; %bb.703:
	s_or_b32 exec_lo, exec_lo, s30
	s_mov_b32 s30, -1
	s_mov_b32 s0, 0
	global_store_b8 v[2:3], v4, off
.LBB356_704:
	s_mov_b32 s31, 0
.LBB356_705:
	s_delay_alu instid0(SALU_CYCLE_1)
	s_and_b32 vcc_lo, exec_lo, s31
	s_cbranch_vccz .LBB356_708
; %bb.706:
	s_cmp_eq_u32 s29, 29
	s_mov_b32 s0, -1
	s_cbranch_scc0 .LBB356_708
; %bb.707:
	s_mov_b32 s0, 0
	s_wait_xcnt 0x0
	v_cndmask_b32_e64 v4, 0, 1, s27
	v_mov_b32_e32 v5, s0
	s_mov_b32 s30, -1
	s_mov_b32 s31, 0
	global_store_b64 v[2:3], v[4:5], off
	s_branch .LBB356_709
.LBB356_708:
	s_mov_b32 s31, 0
.LBB356_709:
	s_delay_alu instid0(SALU_CYCLE_1)
	s_and_b32 vcc_lo, exec_lo, s31
	s_cbranch_vccz .LBB356_725
; %bb.710:
	s_cmp_lt_i32 s29, 27
	s_mov_b32 s30, -1
	s_cbranch_scc1 .LBB356_716
; %bb.711:
	s_cmp_gt_i32 s29, 27
	s_cbranch_scc0 .LBB356_713
; %bb.712:
	s_wait_xcnt 0x0
	v_cndmask_b32_e64 v1, 0, 1, s27
	s_mov_b32 s30, 0
	global_store_b32 v[2:3], v1, off
.LBB356_713:
	s_and_not1_b32 vcc_lo, exec_lo, s30
	s_cbranch_vccnz .LBB356_715
; %bb.714:
	s_wait_xcnt 0x0
	v_cndmask_b32_e64 v1, 0, 1, s27
	global_store_b16 v[2:3], v1, off
.LBB356_715:
	s_mov_b32 s30, 0
.LBB356_716:
	s_delay_alu instid0(SALU_CYCLE_1)
	s_and_not1_b32 vcc_lo, exec_lo, s30
	s_cbranch_vccnz .LBB356_724
; %bb.717:
	s_wait_xcnt 0x0
	v_cndmask_b32_e64 v4, 0, 1.0, s27
	v_mov_b32_e32 v5, 0x80
	s_mov_b32 s30, exec_lo
	s_delay_alu instid0(VALU_DEP_2)
	v_cmpx_gt_u32_e32 0x43800000, v4
	s_cbranch_execz .LBB356_723
; %bb.718:
	s_mov_b32 s31, 0
	s_mov_b32 s48, exec_lo
                                        ; implicit-def: $vgpr1
	v_cmpx_lt_u32_e32 0x3bffffff, v4
	s_xor_b32 s48, exec_lo, s48
	s_cbranch_execz .LBB356_842
; %bb.719:
	v_bfe_u32 v1, v4, 20, 1
	s_mov_b32 s31, exec_lo
	s_delay_alu instid0(VALU_DEP_1) | instskip(NEXT) | instid1(VALU_DEP_1)
	v_add3_u32 v1, v4, v1, 0x487ffff
                                        ; implicit-def: $vgpr4
	v_lshrrev_b32_e32 v1, 20, v1
	s_and_not1_saveexec_b32 s48, s48
	s_cbranch_execnz .LBB356_843
.LBB356_720:
	s_or_b32 exec_lo, exec_lo, s48
	v_mov_b32_e32 v5, 0
	s_and_saveexec_b32 s48, s31
.LBB356_721:
	v_mov_b32_e32 v5, v1
.LBB356_722:
	s_or_b32 exec_lo, exec_lo, s48
.LBB356_723:
	s_delay_alu instid0(SALU_CYCLE_1)
	s_or_b32 exec_lo, exec_lo, s30
	global_store_b8 v[2:3], v5, off
.LBB356_724:
	s_mov_b32 s30, -1
.LBB356_725:
	s_mov_b32 s31, 0
.LBB356_726:
	s_delay_alu instid0(SALU_CYCLE_1)
	s_and_b32 vcc_lo, exec_lo, s31
	s_cbranch_vccz .LBB356_767
; %bb.727:
	s_cmp_gt_i32 s29, 22
	s_mov_b32 s31, -1
	s_cbranch_scc0 .LBB356_759
; %bb.728:
	s_cmp_lt_i32 s29, 24
	s_mov_b32 s30, -1
	s_cbranch_scc1 .LBB356_748
; %bb.729:
	s_cmp_gt_i32 s29, 24
	s_cbranch_scc0 .LBB356_737
; %bb.730:
	s_wait_xcnt 0x0
	v_cndmask_b32_e64 v4, 0, 1.0, s27
	v_mov_b32_e32 v5, 0x80
	s_mov_b32 s30, exec_lo
	s_delay_alu instid0(VALU_DEP_2)
	v_cmpx_gt_u32_e32 0x47800000, v4
	s_cbranch_execz .LBB356_736
; %bb.731:
	s_mov_b32 s31, 0
	s_mov_b32 s48, exec_lo
                                        ; implicit-def: $vgpr1
	v_cmpx_lt_u32_e32 0x37ffffff, v4
	s_xor_b32 s48, exec_lo, s48
	s_cbranch_execz .LBB356_845
; %bb.732:
	v_bfe_u32 v1, v4, 21, 1
	s_mov_b32 s31, exec_lo
	s_delay_alu instid0(VALU_DEP_1) | instskip(NEXT) | instid1(VALU_DEP_1)
	v_add3_u32 v1, v4, v1, 0x88fffff
                                        ; implicit-def: $vgpr4
	v_lshrrev_b32_e32 v1, 21, v1
	s_and_not1_saveexec_b32 s48, s48
	s_cbranch_execnz .LBB356_846
.LBB356_733:
	s_or_b32 exec_lo, exec_lo, s48
	v_mov_b32_e32 v5, 0
	s_and_saveexec_b32 s48, s31
.LBB356_734:
	v_mov_b32_e32 v5, v1
.LBB356_735:
	s_or_b32 exec_lo, exec_lo, s48
.LBB356_736:
	s_delay_alu instid0(SALU_CYCLE_1)
	s_or_b32 exec_lo, exec_lo, s30
	s_mov_b32 s30, 0
	global_store_b8 v[2:3], v5, off
.LBB356_737:
	s_and_b32 vcc_lo, exec_lo, s30
	s_cbranch_vccz .LBB356_747
; %bb.738:
	s_wait_xcnt 0x0
	v_cndmask_b32_e64 v4, 0, 1.0, s27
	s_mov_b32 s30, exec_lo
                                        ; implicit-def: $vgpr1
	s_delay_alu instid0(VALU_DEP_1)
	v_cmpx_gt_u32_e32 0x43f00000, v4
	s_xor_b32 s30, exec_lo, s30
	s_cbranch_execz .LBB356_744
; %bb.739:
	s_mov_b32 s31, exec_lo
                                        ; implicit-def: $vgpr1
	v_cmpx_lt_u32_e32 0x3c7fffff, v4
	s_xor_b32 s31, exec_lo, s31
; %bb.740:
	v_bfe_u32 v1, v4, 20, 1
	s_delay_alu instid0(VALU_DEP_1) | instskip(NEXT) | instid1(VALU_DEP_1)
	v_add3_u32 v1, v4, v1, 0x407ffff
	v_and_b32_e32 v4, 0xff00000, v1
	v_lshrrev_b32_e32 v1, 20, v1
	s_delay_alu instid0(VALU_DEP_2) | instskip(NEXT) | instid1(VALU_DEP_2)
	v_cmp_ne_u32_e32 vcc_lo, 0x7f00000, v4
                                        ; implicit-def: $vgpr4
	v_cndmask_b32_e32 v1, 0x7e, v1, vcc_lo
; %bb.741:
	s_and_not1_saveexec_b32 s31, s31
; %bb.742:
	v_add_f32_e32 v1, 0x46800000, v4
; %bb.743:
	s_or_b32 exec_lo, exec_lo, s31
                                        ; implicit-def: $vgpr4
.LBB356_744:
	s_and_not1_saveexec_b32 s30, s30
; %bb.745:
	v_mov_b32_e32 v1, 0x7f
	v_cmp_lt_u32_e32 vcc_lo, 0x7f800000, v4
	s_delay_alu instid0(VALU_DEP_2)
	v_cndmask_b32_e32 v1, 0x7e, v1, vcc_lo
; %bb.746:
	s_or_b32 exec_lo, exec_lo, s30
	global_store_b8 v[2:3], v1, off
.LBB356_747:
	s_mov_b32 s30, 0
.LBB356_748:
	s_delay_alu instid0(SALU_CYCLE_1)
	s_and_not1_b32 vcc_lo, exec_lo, s30
	s_cbranch_vccnz .LBB356_758
; %bb.749:
	s_wait_xcnt 0x0
	v_cndmask_b32_e64 v4, 0, 1.0, s27
	s_mov_b32 s30, exec_lo
                                        ; implicit-def: $vgpr1
	s_delay_alu instid0(VALU_DEP_1)
	v_cmpx_gt_u32_e32 0x47800000, v4
	s_xor_b32 s30, exec_lo, s30
	s_cbranch_execz .LBB356_755
; %bb.750:
	s_mov_b32 s31, exec_lo
                                        ; implicit-def: $vgpr1
	v_cmpx_lt_u32_e32 0x387fffff, v4
	s_xor_b32 s31, exec_lo, s31
; %bb.751:
	v_bfe_u32 v1, v4, 21, 1
	s_delay_alu instid0(VALU_DEP_1) | instskip(NEXT) | instid1(VALU_DEP_1)
	v_add3_u32 v1, v4, v1, 0x80fffff
                                        ; implicit-def: $vgpr4
	v_lshrrev_b32_e32 v1, 21, v1
; %bb.752:
	s_and_not1_saveexec_b32 s31, s31
; %bb.753:
	v_add_f32_e32 v1, 0x43000000, v4
; %bb.754:
	s_or_b32 exec_lo, exec_lo, s31
                                        ; implicit-def: $vgpr4
.LBB356_755:
	s_and_not1_saveexec_b32 s30, s30
; %bb.756:
	v_mov_b32_e32 v1, 0x7f
	v_cmp_lt_u32_e32 vcc_lo, 0x7f800000, v4
	s_delay_alu instid0(VALU_DEP_2)
	v_cndmask_b32_e32 v1, 0x7c, v1, vcc_lo
; %bb.757:
	s_or_b32 exec_lo, exec_lo, s30
	global_store_b8 v[2:3], v1, off
.LBB356_758:
	s_mov_b32 s31, 0
	s_mov_b32 s30, -1
.LBB356_759:
	s_and_not1_b32 vcc_lo, exec_lo, s31
	s_cbranch_vccnz .LBB356_767
; %bb.760:
	s_cmp_gt_i32 s29, 14
	s_mov_b32 s31, -1
	s_cbranch_scc0 .LBB356_764
; %bb.761:
	s_cmp_eq_u32 s29, 15
	s_mov_b32 s0, -1
	s_cbranch_scc0 .LBB356_763
; %bb.762:
	s_wait_xcnt 0x0
	v_cndmask_b32_e64 v1, 0, 1.0, s27
	s_mov_b32 s30, -1
	s_mov_b32 s0, 0
	s_delay_alu instid0(VALU_DEP_1) | instskip(NEXT) | instid1(VALU_DEP_1)
	v_bfe_u32 v4, v1, 16, 1
	v_add3_u32 v1, v1, v4, 0x7fff
	global_store_d16_hi_b16 v[2:3], v1, off
.LBB356_763:
	s_mov_b32 s31, 0
.LBB356_764:
	s_delay_alu instid0(SALU_CYCLE_1)
	s_and_b32 vcc_lo, exec_lo, s31
	s_cbranch_vccz .LBB356_767
; %bb.765:
	s_cmp_eq_u32 s29, 11
	s_mov_b32 s0, -1
	s_cbranch_scc0 .LBB356_767
; %bb.766:
	s_wait_xcnt 0x0
	v_cndmask_b32_e64 v1, 0, 1, s27
	s_mov_b32 s30, -1
	s_mov_b32 s0, 0
	global_store_b8 v[2:3], v1, off
.LBB356_767:
	s_mov_b32 s29, 0
.LBB356_768:
	s_delay_alu instid0(SALU_CYCLE_1)
	s_and_b32 vcc_lo, exec_lo, s29
	s_cbranch_vccz .LBB356_807
; %bb.769:
	s_and_b32 s28, 0xffff, s28
	s_mov_b32 s29, -1
	s_cmp_lt_i32 s28, 5
	s_cbranch_scc1 .LBB356_790
; %bb.770:
	s_cmp_lt_i32 s28, 8
	s_cbranch_scc1 .LBB356_780
; %bb.771:
	;; [unrolled: 3-line block ×3, first 2 shown]
	s_cmp_gt_i32 s28, 9
	s_cbranch_scc0 .LBB356_774
; %bb.773:
	s_wait_xcnt 0x0
	v_cndmask_b32_e64 v1, 0, 1, s27
	v_mov_b32_e32 v6, 0
	s_mov_b32 s29, 0
	s_delay_alu instid0(VALU_DEP_2) | instskip(NEXT) | instid1(VALU_DEP_2)
	v_cvt_f64_u32_e32 v[4:5], v1
	v_mov_b32_e32 v7, v6
	global_store_b128 v[2:3], v[4:7], off
.LBB356_774:
	s_and_not1_b32 vcc_lo, exec_lo, s29
	s_cbranch_vccnz .LBB356_776
; %bb.775:
	s_wait_xcnt 0x0
	v_cndmask_b32_e64 v4, 0, 1.0, s27
	v_mov_b32_e32 v5, 0
	global_store_b64 v[2:3], v[4:5], off
.LBB356_776:
	s_mov_b32 s29, 0
.LBB356_777:
	s_delay_alu instid0(SALU_CYCLE_1)
	s_and_not1_b32 vcc_lo, exec_lo, s29
	s_cbranch_vccnz .LBB356_779
; %bb.778:
	s_wait_xcnt 0x0
	v_cndmask_b32_e64 v1, 0, 1.0, s27
	s_delay_alu instid0(VALU_DEP_1) | instskip(NEXT) | instid1(VALU_DEP_1)
	v_cvt_f16_f32_e32 v1, v1
	v_and_b32_e32 v1, 0xffff, v1
	global_store_b32 v[2:3], v1, off
.LBB356_779:
	s_mov_b32 s29, 0
.LBB356_780:
	s_delay_alu instid0(SALU_CYCLE_1)
	s_and_not1_b32 vcc_lo, exec_lo, s29
	s_cbranch_vccnz .LBB356_789
; %bb.781:
	s_cmp_lt_i32 s28, 6
	s_mov_b32 s29, -1
	s_cbranch_scc1 .LBB356_787
; %bb.782:
	s_cmp_gt_i32 s28, 6
	s_cbranch_scc0 .LBB356_784
; %bb.783:
	s_wait_xcnt 0x0
	v_cndmask_b32_e64 v1, 0, 1, s27
	s_mov_b32 s29, 0
	s_delay_alu instid0(VALU_DEP_1)
	v_cvt_f64_u32_e32 v[4:5], v1
	global_store_b64 v[2:3], v[4:5], off
.LBB356_784:
	s_and_not1_b32 vcc_lo, exec_lo, s29
	s_cbranch_vccnz .LBB356_786
; %bb.785:
	s_wait_xcnt 0x0
	v_cndmask_b32_e64 v1, 0, 1.0, s27
	global_store_b32 v[2:3], v1, off
.LBB356_786:
	s_mov_b32 s29, 0
.LBB356_787:
	s_delay_alu instid0(SALU_CYCLE_1)
	s_and_not1_b32 vcc_lo, exec_lo, s29
	s_cbranch_vccnz .LBB356_789
; %bb.788:
	s_wait_xcnt 0x0
	v_cndmask_b32_e64 v1, 0, 1.0, s27
	s_delay_alu instid0(VALU_DEP_1)
	v_cvt_f16_f32_e32 v1, v1
	global_store_b16 v[2:3], v1, off
.LBB356_789:
	s_mov_b32 s29, 0
.LBB356_790:
	s_delay_alu instid0(SALU_CYCLE_1)
	s_and_not1_b32 vcc_lo, exec_lo, s29
	s_cbranch_vccnz .LBB356_806
; %bb.791:
	s_cmp_lt_i32 s28, 2
	s_mov_b32 s29, -1
	s_cbranch_scc1 .LBB356_801
; %bb.792:
	s_cmp_lt_i32 s28, 3
	s_cbranch_scc1 .LBB356_798
; %bb.793:
	s_cmp_gt_i32 s28, 3
	s_cbranch_scc0 .LBB356_795
; %bb.794:
	s_mov_b32 s29, 0
	s_wait_xcnt 0x0
	v_cndmask_b32_e64 v4, 0, 1, s27
	v_mov_b32_e32 v5, s29
	global_store_b64 v[2:3], v[4:5], off
.LBB356_795:
	s_and_not1_b32 vcc_lo, exec_lo, s29
	s_cbranch_vccnz .LBB356_797
; %bb.796:
	s_wait_xcnt 0x0
	v_cndmask_b32_e64 v1, 0, 1, s27
	global_store_b32 v[2:3], v1, off
.LBB356_797:
	s_mov_b32 s29, 0
.LBB356_798:
	s_delay_alu instid0(SALU_CYCLE_1)
	s_and_not1_b32 vcc_lo, exec_lo, s29
	s_cbranch_vccnz .LBB356_800
; %bb.799:
	s_wait_xcnt 0x0
	v_cndmask_b32_e64 v1, 0, 1, s27
	global_store_b16 v[2:3], v1, off
.LBB356_800:
	s_mov_b32 s29, 0
.LBB356_801:
	s_delay_alu instid0(SALU_CYCLE_1)
	s_and_not1_b32 vcc_lo, exec_lo, s29
	s_cbranch_vccnz .LBB356_806
; %bb.802:
	s_wait_xcnt 0x0
	v_cndmask_b32_e64 v1, 0, 1, s27
	s_cmp_gt_i32 s28, 0
	s_mov_b32 s27, -1
	s_cbranch_scc0 .LBB356_804
; %bb.803:
	s_mov_b32 s27, 0
	global_store_b8 v[2:3], v1, off
.LBB356_804:
	s_and_not1_b32 vcc_lo, exec_lo, s27
	s_cbranch_vccnz .LBB356_806
; %bb.805:
	global_store_b8 v[2:3], v1, off
.LBB356_806:
	s_mov_b32 s30, -1
.LBB356_807:
	s_delay_alu instid0(SALU_CYCLE_1)
	s_and_not1_b32 vcc_lo, exec_lo, s30
	s_cbranch_vccnz .LBB356_809
; %bb.808:
	v_add_nc_u32_e32 v0, 0x80, v0
	s_mov_b32 s27, -1
	s_branch .LBB356_811
.LBB356_809:
	s_mov_b32 s27, 0
.LBB356_810:
                                        ; implicit-def: $vgpr0
.LBB356_811:
	s_and_not1_b32 s28, s45, exec_lo
	s_and_b32 s0, s0, exec_lo
	s_and_not1_b32 s29, s44, exec_lo
	s_and_b32 s26, s26, exec_lo
	s_or_b32 s30, s28, s0
	s_or_b32 s0, s29, s26
	s_or_not1_b32 s29, s27, exec_lo
.LBB356_812:
	s_wait_xcnt 0x0
	s_or_b32 exec_lo, exec_lo, s47
	s_mov_b32 s26, 0
	s_mov_b32 s27, 0
	;; [unrolled: 1-line block ×3, first 2 shown]
                                        ; implicit-def: $vgpr4_vgpr5
                                        ; implicit-def: $vgpr2
                                        ; implicit-def: $vgpr6
	s_and_saveexec_b32 s31, s29
	s_cbranch_execz .LBB356_910
; %bb.813:
	v_cmp_gt_i32_e32 vcc_lo, s39, v0
	s_mov_b32 s29, s0
                                        ; implicit-def: $vgpr4_vgpr5
                                        ; implicit-def: $vgpr2
                                        ; implicit-def: $vgpr6
	s_and_saveexec_b32 s39, vcc_lo
	s_cbranch_execz .LBB356_909
; %bb.814:
	s_and_not1_b32 vcc_lo, exec_lo, s35
	s_cbranch_vccnz .LBB356_820
; %bb.815:
	s_and_not1_b32 vcc_lo, exec_lo, s41
	s_cbranch_vccnz .LBB356_821
; %bb.816:
	s_add_co_i32 s40, s40, 1
	s_cmp_eq_u32 s34, 2
	s_cbranch_scc1 .LBB356_822
; %bb.817:
	v_dual_mov_b32 v2, 0 :: v_dual_mov_b32 v4, 0
	s_wait_loadcnt 0x0
	v_mov_b32_e32 v1, v0
	s_and_b32 s26, s40, 28
	s_mov_b64 s[28:29], s[16:17]
.LBB356_818:                            ; =>This Inner Loop Header: Depth=1
	s_clause 0x1
	s_load_b256 s[48:55], s[28:29], 0x4
	s_load_b128 s[64:67], s[28:29], 0x24
	s_load_b256 s[56:63], s[24:25], 0x0
	s_add_co_i32 s27, s27, 4
	s_wait_xcnt 0x0
	s_add_nc_u64 s[28:29], s[28:29], 48
	s_cmp_eq_u32 s26, s27
	s_add_nc_u64 s[24:25], s[24:25], 32
	s_wait_kmcnt 0x0
	v_mul_hi_u32 v3, s49, v1
	s_delay_alu instid0(VALU_DEP_1) | instskip(NEXT) | instid1(VALU_DEP_1)
	v_add_nc_u32_e32 v3, v1, v3
	v_lshrrev_b32_e32 v3, s50, v3
	s_delay_alu instid0(VALU_DEP_1) | instskip(NEXT) | instid1(VALU_DEP_1)
	v_mul_hi_u32 v5, s52, v3
	v_add_nc_u32_e32 v5, v3, v5
	s_delay_alu instid0(VALU_DEP_1) | instskip(NEXT) | instid1(VALU_DEP_1)
	v_lshrrev_b32_e32 v5, s53, v5
	v_mul_hi_u32 v6, s55, v5
	s_delay_alu instid0(VALU_DEP_1) | instskip(SKIP_1) | instid1(VALU_DEP_1)
	v_add_nc_u32_e32 v6, v5, v6
	v_mul_lo_u32 v7, v3, s48
	v_sub_nc_u32_e32 v1, v1, v7
	v_mul_lo_u32 v7, v5, s51
	s_delay_alu instid0(VALU_DEP_4) | instskip(NEXT) | instid1(VALU_DEP_3)
	v_lshrrev_b32_e32 v6, s64, v6
	v_mad_u32 v4, v1, s57, v4
	v_mad_u32 v1, v1, s56, v2
	s_delay_alu instid0(VALU_DEP_4) | instskip(NEXT) | instid1(VALU_DEP_4)
	v_sub_nc_u32_e32 v2, v3, v7
	v_mul_hi_u32 v8, s66, v6
	v_mul_lo_u32 v3, v6, s54
	s_delay_alu instid0(VALU_DEP_3) | instskip(SKIP_1) | instid1(VALU_DEP_3)
	v_mad_u32 v4, v2, s59, v4
	v_mad_u32 v2, v2, s58, v1
	v_dual_add_nc_u32 v7, v6, v8 :: v_dual_sub_nc_u32 v3, v5, v3
	s_delay_alu instid0(VALU_DEP_1) | instskip(NEXT) | instid1(VALU_DEP_2)
	v_lshrrev_b32_e32 v1, s67, v7
	v_mad_u32 v4, v3, s61, v4
	s_delay_alu instid0(VALU_DEP_4) | instskip(NEXT) | instid1(VALU_DEP_3)
	v_mad_u32 v2, v3, s60, v2
	v_mul_lo_u32 v5, v1, s65
	s_delay_alu instid0(VALU_DEP_1) | instskip(NEXT) | instid1(VALU_DEP_1)
	v_sub_nc_u32_e32 v3, v6, v5
	v_mad_u32 v4, v3, s63, v4
	s_delay_alu instid0(VALU_DEP_4)
	v_mad_u32 v2, v3, s62, v2
	s_cbranch_scc0 .LBB356_818
; %bb.819:
	s_delay_alu instid0(VALU_DEP_2)
	v_mov_b32_e32 v3, v4
	s_branch .LBB356_823
.LBB356_820:
	s_mov_b32 s24, -1
                                        ; implicit-def: $vgpr4
                                        ; implicit-def: $vgpr2
	s_branch .LBB356_828
.LBB356_821:
	v_dual_mov_b32 v4, 0 :: v_dual_mov_b32 v2, 0
	s_branch .LBB356_827
.LBB356_822:
	v_mov_b64_e32 v[2:3], 0
	s_wait_loadcnt 0x0
	v_mov_b32_e32 v1, v0
                                        ; implicit-def: $vgpr4
.LBB356_823:
	s_and_b32 s28, s40, 3
	s_mov_b32 s27, 0
	s_cmp_eq_u32 s28, 0
	s_cbranch_scc1 .LBB356_827
; %bb.824:
	s_lshl_b32 s24, s26, 3
	s_mov_b32 s25, s27
	s_mul_u64 s[26:27], s[26:27], 12
	s_add_nc_u64 s[24:25], s[16:17], s[24:25]
	s_add_nc_u64 s[26:27], s[16:17], s[26:27]
	;; [unrolled: 1-line block ×3, first 2 shown]
.LBB356_825:                            ; =>This Inner Loop Header: Depth=1
	s_load_b96 s[48:50], s[26:27], 0x4
	s_load_b64 s[40:41], s[24:25], 0x0
	s_add_co_i32 s28, s28, -1
	s_wait_xcnt 0x0
	s_add_nc_u64 s[26:27], s[26:27], 12
	s_cmp_lg_u32 s28, 0
	s_add_nc_u64 s[24:25], s[24:25], 8
	s_wait_kmcnt 0x0
	v_mul_hi_u32 v4, s49, v1
	s_delay_alu instid0(VALU_DEP_1) | instskip(NEXT) | instid1(VALU_DEP_1)
	v_add_nc_u32_e32 v4, v1, v4
	v_lshrrev_b32_e32 v4, s50, v4
	s_delay_alu instid0(VALU_DEP_1) | instskip(NEXT) | instid1(VALU_DEP_1)
	v_mul_lo_u32 v5, v4, s48
	v_sub_nc_u32_e32 v1, v1, v5
	s_delay_alu instid0(VALU_DEP_1)
	v_mad_u32 v3, v1, s41, v3
	v_mad_u32 v2, v1, s40, v2
	v_mov_b32_e32 v1, v4
	s_cbranch_scc1 .LBB356_825
; %bb.826:
	s_delay_alu instid0(VALU_DEP_3)
	v_mov_b32_e32 v4, v3
.LBB356_827:
	s_mov_b32 s24, 0
.LBB356_828:
	s_delay_alu instid0(SALU_CYCLE_1)
	s_and_not1_b32 vcc_lo, exec_lo, s24
	s_cbranch_vccnz .LBB356_831
; %bb.829:
	s_wait_loadcnt 0x0
	v_mov_b32_e32 v1, 0
	s_and_not1_b32 vcc_lo, exec_lo, s38
	s_delay_alu instid0(VALU_DEP_1) | instskip(NEXT) | instid1(VALU_DEP_1)
	v_mul_u64_e32 v[2:3], s[18:19], v[0:1]
	v_add_nc_u32_e32 v2, v0, v3
	s_delay_alu instid0(VALU_DEP_1) | instskip(NEXT) | instid1(VALU_DEP_1)
	v_lshrrev_b32_e32 v6, s10, v2
	v_mul_lo_u32 v2, v6, s8
	s_delay_alu instid0(VALU_DEP_1) | instskip(NEXT) | instid1(VALU_DEP_1)
	v_sub_nc_u32_e32 v0, v0, v2
	v_mul_lo_u32 v4, v0, s13
	v_mul_lo_u32 v2, v0, s12
	s_cbranch_vccnz .LBB356_831
; %bb.830:
	v_mov_b32_e32 v7, v1
	s_delay_alu instid0(VALU_DEP_1) | instskip(NEXT) | instid1(VALU_DEP_1)
	v_mul_u64_e32 v[0:1], s[22:23], v[6:7]
	v_add_nc_u32_e32 v0, v6, v1
	s_delay_alu instid0(VALU_DEP_1) | instskip(NEXT) | instid1(VALU_DEP_1)
	v_lshrrev_b32_e32 v0, s21, v0
	v_mul_lo_u32 v0, v0, s11
	s_delay_alu instid0(VALU_DEP_1) | instskip(NEXT) | instid1(VALU_DEP_1)
	v_sub_nc_u32_e32 v0, v6, v0
	v_mad_u32 v2, v0, s14, v2
	v_mad_u32 v4, v0, s15, v4
.LBB356_831:
	v_mov_b32_e32 v5, 0
	s_delay_alu instid0(VALU_DEP_1) | instskip(SKIP_1) | instid1(SALU_CYCLE_1)
	v_add_nc_u64_e32 v[4:5], s[6:7], v[4:5]
	s_and_b32 s6, 0xffff, s37
	s_cmp_lt_i32 s6, 11
	s_cbranch_scc1 .LBB356_838
; %bb.832:
	s_cmp_gt_i32 s6, 25
	s_mov_b32 s8, 0
	s_cbranch_scc0 .LBB356_839
; %bb.833:
	s_cmp_gt_i32 s6, 28
	s_cbranch_scc0 .LBB356_840
; %bb.834:
	s_cmp_gt_i32 s6, 43
	s_cbranch_scc0 .LBB356_841
; %bb.835:
	s_cmp_gt_i32 s6, 45
	s_cbranch_scc0 .LBB356_844
; %bb.836:
	s_cmp_eq_u32 s6, 46
	s_mov_b32 s11, 0
	s_cbranch_scc0 .LBB356_847
; %bb.837:
	global_load_b32 v0, v[4:5], off
	s_mov_b32 s7, 0
	s_mov_b32 s10, -1
	s_wait_loadcnt 0x0
	v_lshlrev_b32_e32 v0, 16, v0
	s_delay_alu instid0(VALU_DEP_1)
	v_cvt_u32_f32_e32 v6, v0
	s_branch .LBB356_849
.LBB356_838:
	s_mov_b32 s6, -1
	s_mov_b32 s10, 0
	s_mov_b32 s8, 0
	s_mov_b32 s7, s0
                                        ; implicit-def: $vgpr6
	s_branch .LBB356_908
.LBB356_839:
	s_mov_b32 s11, -1
	s_mov_b32 s10, 0
	s_mov_b32 s7, s0
                                        ; implicit-def: $vgpr6
	s_branch .LBB356_876
.LBB356_840:
	s_mov_b32 s11, -1
	s_mov_b32 s10, 0
	s_mov_b32 s7, s0
                                        ; implicit-def: $vgpr6
	s_branch .LBB356_859
.LBB356_841:
	s_mov_b32 s11, -1
	s_mov_b32 s10, 0
	s_mov_b32 s7, s0
                                        ; implicit-def: $vgpr6
	s_branch .LBB356_854
.LBB356_842:
	s_and_not1_saveexec_b32 s48, s48
	s_cbranch_execz .LBB356_720
.LBB356_843:
	v_add_f32_e32 v1, 0x46000000, v4
	s_and_not1_b32 s31, s31, exec_lo
	s_delay_alu instid0(VALU_DEP_1) | instskip(NEXT) | instid1(VALU_DEP_1)
	v_and_b32_e32 v1, 0xff, v1
	v_cmp_ne_u32_e32 vcc_lo, 0, v1
	s_and_b32 s49, vcc_lo, exec_lo
	s_delay_alu instid0(SALU_CYCLE_1)
	s_or_b32 s31, s31, s49
	s_or_b32 exec_lo, exec_lo, s48
	v_mov_b32_e32 v5, 0
	s_and_saveexec_b32 s48, s31
	s_cbranch_execnz .LBB356_721
	s_branch .LBB356_722
.LBB356_844:
	s_mov_b32 s11, -1
	s_mov_b32 s10, 0
	s_mov_b32 s7, s0
	s_branch .LBB356_848
.LBB356_845:
	s_and_not1_saveexec_b32 s48, s48
	s_cbranch_execz .LBB356_733
.LBB356_846:
	v_add_f32_e32 v1, 0x42800000, v4
	s_and_not1_b32 s31, s31, exec_lo
	s_delay_alu instid0(VALU_DEP_1) | instskip(NEXT) | instid1(VALU_DEP_1)
	v_and_b32_e32 v1, 0xff, v1
	v_cmp_ne_u32_e32 vcc_lo, 0, v1
	s_and_b32 s49, vcc_lo, exec_lo
	s_delay_alu instid0(SALU_CYCLE_1)
	s_or_b32 s31, s31, s49
	s_or_b32 exec_lo, exec_lo, s48
	v_mov_b32_e32 v5, 0
	s_and_saveexec_b32 s48, s31
	s_cbranch_execnz .LBB356_734
	s_branch .LBB356_735
.LBB356_847:
	s_mov_b32 s7, -1
	s_mov_b32 s10, 0
.LBB356_848:
                                        ; implicit-def: $vgpr6
.LBB356_849:
	s_and_b32 vcc_lo, exec_lo, s11
	s_cbranch_vccz .LBB356_853
; %bb.850:
	s_cmp_eq_u32 s6, 44
	s_cbranch_scc0 .LBB356_852
; %bb.851:
	global_load_u8 v0, v[4:5], off
	s_mov_b32 s7, 0
	s_mov_b32 s10, -1
	s_wait_loadcnt 0x0
	v_lshlrev_b32_e32 v1, 23, v0
	v_cmp_ne_u32_e32 vcc_lo, 0, v0
	s_delay_alu instid0(VALU_DEP_2) | instskip(NEXT) | instid1(VALU_DEP_1)
	v_cvt_u32_f32_e32 v1, v1
	v_cndmask_b32_e32 v6, 0, v1, vcc_lo
	s_branch .LBB356_853
.LBB356_852:
	s_mov_b32 s7, -1
                                        ; implicit-def: $vgpr6
.LBB356_853:
	s_mov_b32 s11, 0
.LBB356_854:
	s_delay_alu instid0(SALU_CYCLE_1)
	s_and_b32 vcc_lo, exec_lo, s11
	s_cbranch_vccz .LBB356_858
; %bb.855:
	s_cmp_eq_u32 s6, 29
	s_cbranch_scc0 .LBB356_857
; %bb.856:
	global_load_b32 v6, v[4:5], off
	s_mov_b32 s7, 0
	s_mov_b32 s10, -1
	s_branch .LBB356_858
.LBB356_857:
	s_mov_b32 s7, -1
                                        ; implicit-def: $vgpr6
.LBB356_858:
	s_mov_b32 s11, 0
.LBB356_859:
	s_delay_alu instid0(SALU_CYCLE_1)
	s_and_b32 vcc_lo, exec_lo, s11
	s_cbranch_vccz .LBB356_875
; %bb.860:
	s_cmp_lt_i32 s6, 27
	s_cbranch_scc1 .LBB356_863
; %bb.861:
	s_cmp_gt_i32 s6, 27
	s_cbranch_scc0 .LBB356_864
; %bb.862:
	s_wait_loadcnt 0x0
	global_load_b32 v6, v[4:5], off
	s_mov_b32 s10, 0
	s_branch .LBB356_865
.LBB356_863:
	s_mov_b32 s10, -1
                                        ; implicit-def: $vgpr6
	s_branch .LBB356_868
.LBB356_864:
	s_mov_b32 s10, -1
                                        ; implicit-def: $vgpr6
.LBB356_865:
	s_delay_alu instid0(SALU_CYCLE_1)
	s_and_not1_b32 vcc_lo, exec_lo, s10
	s_cbranch_vccnz .LBB356_867
; %bb.866:
	s_wait_loadcnt 0x0
	global_load_u16 v6, v[4:5], off
.LBB356_867:
	s_mov_b32 s10, 0
.LBB356_868:
	s_delay_alu instid0(SALU_CYCLE_1)
	s_and_not1_b32 vcc_lo, exec_lo, s10
	s_cbranch_vccnz .LBB356_874
; %bb.869:
	global_load_u8 v0, v[4:5], off
	s_mov_b32 s11, 0
	s_mov_b32 s10, exec_lo
	s_wait_loadcnt 0x0
	v_cmpx_lt_i16_e32 0x7f, v0
	s_xor_b32 s10, exec_lo, s10
	s_cbranch_execz .LBB356_886
; %bb.870:
	v_cmp_ne_u16_e32 vcc_lo, 0x80, v0
	s_and_b32 s11, vcc_lo, exec_lo
	s_and_not1_saveexec_b32 s10, s10
	s_cbranch_execnz .LBB356_887
.LBB356_871:
	s_or_b32 exec_lo, exec_lo, s10
	v_mov_b32_e32 v6, 0
	s_and_saveexec_b32 s10, s11
	s_cbranch_execz .LBB356_873
.LBB356_872:
	v_and_b32_e32 v1, 0xffff, v0
	s_delay_alu instid0(VALU_DEP_1) | instskip(SKIP_1) | instid1(VALU_DEP_2)
	v_and_b32_e32 v3, 7, v1
	v_bfe_u32 v8, v1, 3, 4
	v_clz_i32_u32_e32 v6, v3
	s_delay_alu instid0(VALU_DEP_2) | instskip(NEXT) | instid1(VALU_DEP_2)
	v_cmp_eq_u32_e32 vcc_lo, 0, v8
	v_min_u32_e32 v6, 32, v6
	s_delay_alu instid0(VALU_DEP_1) | instskip(NEXT) | instid1(VALU_DEP_1)
	v_subrev_nc_u32_e32 v7, 28, v6
	v_dual_lshlrev_b32 v1, v7, v1 :: v_dual_sub_nc_u32 v6, 29, v6
	s_delay_alu instid0(VALU_DEP_1) | instskip(NEXT) | instid1(VALU_DEP_1)
	v_dual_lshlrev_b32 v0, 24, v0 :: v_dual_bitop2_b32 v1, 7, v1 bitop3:0x40
	v_dual_cndmask_b32 v6, v8, v6 :: v_dual_cndmask_b32 v1, v3, v1
	s_delay_alu instid0(VALU_DEP_2) | instskip(NEXT) | instid1(VALU_DEP_2)
	v_and_b32_e32 v0, 0x80000000, v0
	v_lshl_add_u32 v3, v6, 23, 0x3b800000
	s_delay_alu instid0(VALU_DEP_3) | instskip(NEXT) | instid1(VALU_DEP_1)
	v_lshlrev_b32_e32 v1, 20, v1
	v_or3_b32 v0, v0, v3, v1
	s_delay_alu instid0(VALU_DEP_1)
	v_cvt_u32_f32_e32 v6, v0
.LBB356_873:
	s_or_b32 exec_lo, exec_lo, s10
.LBB356_874:
	s_mov_b32 s10, -1
.LBB356_875:
	s_mov_b32 s11, 0
.LBB356_876:
	s_delay_alu instid0(SALU_CYCLE_1)
	s_and_b32 vcc_lo, exec_lo, s11
	s_cbranch_vccz .LBB356_907
; %bb.877:
	s_cmp_gt_i32 s6, 22
	s_cbranch_scc0 .LBB356_885
; %bb.878:
	s_cmp_lt_i32 s6, 24
	s_cbranch_scc1 .LBB356_888
; %bb.879:
	s_cmp_gt_i32 s6, 24
	s_cbranch_scc0 .LBB356_889
; %bb.880:
	global_load_u8 v0, v[4:5], off
	s_mov_b32 s10, 0
	s_mov_b32 s8, exec_lo
	s_wait_loadcnt 0x0
	v_cmpx_lt_i16_e32 0x7f, v0
	s_xor_b32 s8, exec_lo, s8
	s_cbranch_execz .LBB356_901
; %bb.881:
	v_cmp_ne_u16_e32 vcc_lo, 0x80, v0
	s_and_b32 s10, vcc_lo, exec_lo
	s_and_not1_saveexec_b32 s8, s8
	s_cbranch_execnz .LBB356_902
.LBB356_882:
	s_or_b32 exec_lo, exec_lo, s8
	v_mov_b32_e32 v6, 0
	s_and_saveexec_b32 s8, s10
	s_cbranch_execz .LBB356_884
.LBB356_883:
	v_and_b32_e32 v1, 0xffff, v0
	s_delay_alu instid0(VALU_DEP_1) | instskip(SKIP_1) | instid1(VALU_DEP_2)
	v_and_b32_e32 v3, 3, v1
	v_bfe_u32 v8, v1, 2, 5
	v_clz_i32_u32_e32 v6, v3
	s_delay_alu instid0(VALU_DEP_2) | instskip(NEXT) | instid1(VALU_DEP_2)
	v_cmp_eq_u32_e32 vcc_lo, 0, v8
	v_min_u32_e32 v6, 32, v6
	s_delay_alu instid0(VALU_DEP_1) | instskip(NEXT) | instid1(VALU_DEP_1)
	v_subrev_nc_u32_e32 v7, 29, v6
	v_dual_lshlrev_b32 v1, v7, v1 :: v_dual_sub_nc_u32 v6, 30, v6
	s_delay_alu instid0(VALU_DEP_1) | instskip(NEXT) | instid1(VALU_DEP_1)
	v_dual_lshlrev_b32 v0, 24, v0 :: v_dual_bitop2_b32 v1, 3, v1 bitop3:0x40
	v_dual_cndmask_b32 v6, v8, v6 :: v_dual_cndmask_b32 v1, v3, v1
	s_delay_alu instid0(VALU_DEP_2) | instskip(NEXT) | instid1(VALU_DEP_2)
	v_and_b32_e32 v0, 0x80000000, v0
	v_lshl_add_u32 v3, v6, 23, 0x37800000
	s_delay_alu instid0(VALU_DEP_3) | instskip(NEXT) | instid1(VALU_DEP_1)
	v_lshlrev_b32_e32 v1, 21, v1
	v_or3_b32 v0, v0, v3, v1
	s_delay_alu instid0(VALU_DEP_1)
	v_cvt_u32_f32_e32 v6, v0
.LBB356_884:
	s_or_b32 exec_lo, exec_lo, s8
	s_mov_b32 s8, 0
	s_branch .LBB356_890
.LBB356_885:
	s_mov_b32 s8, -1
                                        ; implicit-def: $vgpr6
	s_branch .LBB356_896
.LBB356_886:
	s_and_not1_saveexec_b32 s10, s10
	s_cbranch_execz .LBB356_871
.LBB356_887:
	v_cmp_ne_u16_e32 vcc_lo, 0, v0
	s_and_not1_b32 s11, s11, exec_lo
	s_and_b32 s12, vcc_lo, exec_lo
	s_delay_alu instid0(SALU_CYCLE_1)
	s_or_b32 s11, s11, s12
	s_or_b32 exec_lo, exec_lo, s10
	v_mov_b32_e32 v6, 0
	s_and_saveexec_b32 s10, s11
	s_cbranch_execnz .LBB356_872
	s_branch .LBB356_873
.LBB356_888:
	s_mov_b32 s8, -1
                                        ; implicit-def: $vgpr6
	s_branch .LBB356_893
.LBB356_889:
	s_mov_b32 s8, -1
                                        ; implicit-def: $vgpr6
.LBB356_890:
	s_delay_alu instid0(SALU_CYCLE_1)
	s_and_b32 vcc_lo, exec_lo, s8
	s_cbranch_vccz .LBB356_892
; %bb.891:
	global_load_u8 v0, v[4:5], off
	s_wait_loadcnt 0x0
	v_lshlrev_b32_e32 v0, 24, v0
	s_delay_alu instid0(VALU_DEP_1) | instskip(NEXT) | instid1(VALU_DEP_1)
	v_and_b32_e32 v1, 0x7f000000, v0
	v_clz_i32_u32_e32 v3, v1
	v_add_nc_u32_e32 v7, 0x1000000, v1
	v_cmp_ne_u32_e32 vcc_lo, 0, v1
	s_delay_alu instid0(VALU_DEP_3) | instskip(NEXT) | instid1(VALU_DEP_1)
	v_min_u32_e32 v3, 32, v3
	v_sub_nc_u32_e64 v3, v3, 4 clamp
	s_delay_alu instid0(VALU_DEP_1) | instskip(NEXT) | instid1(VALU_DEP_1)
	v_dual_lshlrev_b32 v6, v3, v1 :: v_dual_lshlrev_b32 v3, 23, v3
	v_lshrrev_b32_e32 v6, 4, v6
	s_delay_alu instid0(VALU_DEP_1) | instskip(SKIP_1) | instid1(VALU_DEP_2)
	v_sub_nc_u32_e32 v3, v6, v3
	v_ashrrev_i32_e32 v6, 8, v7
	v_add_nc_u32_e32 v3, 0x3c000000, v3
	s_delay_alu instid0(VALU_DEP_1) | instskip(NEXT) | instid1(VALU_DEP_1)
	v_and_or_b32 v3, 0x7f800000, v6, v3
	v_cndmask_b32_e32 v1, 0, v3, vcc_lo
	s_delay_alu instid0(VALU_DEP_1) | instskip(NEXT) | instid1(VALU_DEP_1)
	v_and_or_b32 v0, 0x80000000, v0, v1
	v_cvt_u32_f32_e32 v6, v0
.LBB356_892:
	s_mov_b32 s8, 0
.LBB356_893:
	s_delay_alu instid0(SALU_CYCLE_1)
	s_and_not1_b32 vcc_lo, exec_lo, s8
	s_cbranch_vccnz .LBB356_895
; %bb.894:
	global_load_u8 v0, v[4:5], off
	s_wait_loadcnt 0x0
	v_lshlrev_b32_e32 v1, 25, v0
	v_lshlrev_b16 v0, 8, v0
	s_delay_alu instid0(VALU_DEP_1) | instskip(SKIP_1) | instid1(VALU_DEP_2)
	v_and_or_b32 v6, 0x7f00, v0, 0.5
	v_bfe_i32 v0, v0, 0, 16
	v_dual_add_f32 v6, -0.5, v6 :: v_dual_lshrrev_b32 v3, 4, v1
	v_cmp_gt_u32_e32 vcc_lo, 0x8000000, v1
	s_delay_alu instid0(VALU_DEP_2) | instskip(NEXT) | instid1(VALU_DEP_1)
	v_or_b32_e32 v3, 0x70000000, v3
	v_mul_f32_e32 v3, 0x7800000, v3
	s_delay_alu instid0(VALU_DEP_1) | instskip(NEXT) | instid1(VALU_DEP_1)
	v_cndmask_b32_e32 v1, v3, v6, vcc_lo
	v_and_or_b32 v0, 0x80000000, v0, v1
	s_delay_alu instid0(VALU_DEP_1)
	v_cvt_u32_f32_e32 v6, v0
.LBB356_895:
	s_mov_b32 s8, 0
	s_mov_b32 s10, -1
.LBB356_896:
	s_and_not1_b32 vcc_lo, exec_lo, s8
	s_mov_b32 s8, 0
	s_cbranch_vccnz .LBB356_907
; %bb.897:
	s_cmp_gt_i32 s6, 14
	s_cbranch_scc0 .LBB356_900
; %bb.898:
	s_cmp_eq_u32 s6, 15
	s_cbranch_scc0 .LBB356_903
; %bb.899:
	global_load_u16 v0, v[4:5], off
	s_mov_b32 s7, 0
	s_mov_b32 s10, -1
	s_wait_loadcnt 0x0
	v_lshlrev_b32_e32 v0, 16, v0
	s_delay_alu instid0(VALU_DEP_1)
	v_cvt_u32_f32_e32 v6, v0
	s_branch .LBB356_905
.LBB356_900:
	s_mov_b32 s8, -1
	s_branch .LBB356_904
.LBB356_901:
	s_and_not1_saveexec_b32 s8, s8
	s_cbranch_execz .LBB356_882
.LBB356_902:
	v_cmp_ne_u16_e32 vcc_lo, 0, v0
	s_and_not1_b32 s10, s10, exec_lo
	s_and_b32 s11, vcc_lo, exec_lo
	s_delay_alu instid0(SALU_CYCLE_1)
	s_or_b32 s10, s10, s11
	s_or_b32 exec_lo, exec_lo, s8
	v_mov_b32_e32 v6, 0
	s_and_saveexec_b32 s8, s10
	s_cbranch_execnz .LBB356_883
	s_branch .LBB356_884
.LBB356_903:
	s_mov_b32 s7, -1
.LBB356_904:
                                        ; implicit-def: $vgpr6
.LBB356_905:
	s_and_b32 vcc_lo, exec_lo, s8
	s_mov_b32 s8, 0
	s_cbranch_vccz .LBB356_907
; %bb.906:
	s_cmp_lg_u32 s6, 11
	s_mov_b32 s8, -1
	s_cselect_b32 s6, -1, 0
	s_and_not1_b32 s7, s7, exec_lo
	s_and_b32 s6, s6, exec_lo
	s_delay_alu instid0(SALU_CYCLE_1)
	s_or_b32 s7, s7, s6
.LBB356_907:
	s_mov_b32 s6, 0
.LBB356_908:
	s_delay_alu instid0(SALU_CYCLE_1)
	s_and_b32 s27, s6, exec_lo
	s_and_not1_b32 s6, s0, exec_lo
	s_and_b32 s7, s7, exec_lo
	s_and_b32 s28, s10, exec_lo
	s_and_b32 s26, s8, exec_lo
	s_or_b32 s29, s6, s7
.LBB356_909:
	s_wait_xcnt 0x0
	s_or_b32 exec_lo, exec_lo, s39
	s_delay_alu instid0(SALU_CYCLE_1)
	s_and_not1_b32 s0, s0, exec_lo
	s_and_b32 s6, s29, exec_lo
	s_and_b32 s28, s28, exec_lo
	;; [unrolled: 1-line block ×4, first 2 shown]
	s_or_b32 s0, s0, s6
.LBB356_910:
	s_or_b32 exec_lo, exec_lo, s31
	s_delay_alu instid0(SALU_CYCLE_1)
	s_and_not1_b32 s6, s45, exec_lo
	s_and_b32 s7, s30, exec_lo
	s_and_b32 s0, s0, exec_lo
	s_or_b32 s45, s6, s7
	s_and_not1_b32 s6, s44, exec_lo
	s_and_b32 s28, s28, exec_lo
	s_and_b32 s27, s27, exec_lo
	;; [unrolled: 1-line block ×3, first 2 shown]
	s_or_b32 s44, s6, s0
.LBB356_911:
	s_or_b32 exec_lo, exec_lo, s46
	s_delay_alu instid0(SALU_CYCLE_1)
	s_and_not1_b32 s0, s20, exec_lo
	s_and_b32 s6, s45, exec_lo
	s_and_b32 s7, s44, exec_lo
	s_or_b32 s20, s0, s6
	s_and_not1_b32 s6, s42, exec_lo
	s_and_b32 s0, s28, exec_lo
	s_and_b32 s27, s27, exec_lo
	;; [unrolled: 1-line block ×3, first 2 shown]
	s_or_b32 s42, s6, s7
	s_or_b32 exec_lo, exec_lo, s43
	s_mov_b32 s6, 0
	s_and_saveexec_b32 s7, s42
	s_cbranch_execz .LBB356_272
.LBB356_912:
	s_mov_b32 s6, exec_lo
	s_and_not1_b32 s19, s19, exec_lo
	s_trap 2
	s_or_b32 exec_lo, exec_lo, s7
	s_and_saveexec_b32 s7, s19
	s_delay_alu instid0(SALU_CYCLE_1)
	s_xor_b32 s7, exec_lo, s7
	s_cbranch_execnz .LBB356_273
.LBB356_913:
	s_or_b32 exec_lo, exec_lo, s7
	s_and_saveexec_b32 s7, s27
	s_cbranch_execz .LBB356_959
.LBB356_914:
	s_sext_i32_i16 s8, s37
	s_delay_alu instid0(SALU_CYCLE_1)
	s_cmp_lt_i32 s8, 5
	s_cbranch_scc1 .LBB356_919
; %bb.915:
	s_cmp_lt_i32 s8, 8
	s_cbranch_scc1 .LBB356_920
; %bb.916:
	;; [unrolled: 3-line block ×3, first 2 shown]
	s_cmp_gt_i32 s8, 9
	s_cbranch_scc0 .LBB356_922
; %bb.918:
	s_wait_loadcnt 0x0
	global_load_b64 v[0:1], v[4:5], off
	s_mov_b32 s8, 0
	s_wait_loadcnt 0x0
	v_cvt_u32_f64_e32 v6, v[0:1]
	s_branch .LBB356_923
.LBB356_919:
                                        ; implicit-def: $vgpr6
	s_branch .LBB356_940
.LBB356_920:
                                        ; implicit-def: $vgpr6
	s_branch .LBB356_929
.LBB356_921:
	s_mov_b32 s8, -1
                                        ; implicit-def: $vgpr6
	s_branch .LBB356_926
.LBB356_922:
	s_mov_b32 s8, -1
                                        ; implicit-def: $vgpr6
.LBB356_923:
	s_delay_alu instid0(SALU_CYCLE_1)
	s_and_not1_b32 vcc_lo, exec_lo, s8
	s_cbranch_vccnz .LBB356_925
; %bb.924:
	global_load_b32 v0, v[4:5], off
	s_wait_loadcnt 0x0
	v_cvt_u32_f32_e32 v6, v0
.LBB356_925:
	s_mov_b32 s8, 0
.LBB356_926:
	s_delay_alu instid0(SALU_CYCLE_1)
	s_and_not1_b32 vcc_lo, exec_lo, s8
	s_cbranch_vccnz .LBB356_928
; %bb.927:
	global_load_b32 v0, v[4:5], off
	s_wait_loadcnt 0x0
	v_cvt_f32_f16_e32 v0, v0
	s_delay_alu instid0(VALU_DEP_1)
	v_cvt_u32_f32_e32 v6, v0
.LBB356_928:
	s_cbranch_execnz .LBB356_939
.LBB356_929:
	s_sext_i32_i16 s8, s37
	s_delay_alu instid0(SALU_CYCLE_1)
	s_cmp_lt_i32 s8, 6
	s_cbranch_scc1 .LBB356_932
; %bb.930:
	s_cmp_gt_i32 s8, 6
	s_cbranch_scc0 .LBB356_933
; %bb.931:
	s_wait_loadcnt 0x0
	global_load_b64 v[0:1], v[4:5], off
	s_mov_b32 s8, 0
	s_wait_loadcnt 0x0
	v_cvt_u32_f64_e32 v6, v[0:1]
	s_branch .LBB356_934
.LBB356_932:
	s_mov_b32 s8, -1
                                        ; implicit-def: $vgpr6
	s_branch .LBB356_937
.LBB356_933:
	s_mov_b32 s8, -1
                                        ; implicit-def: $vgpr6
.LBB356_934:
	s_delay_alu instid0(SALU_CYCLE_1)
	s_and_not1_b32 vcc_lo, exec_lo, s8
	s_cbranch_vccnz .LBB356_936
; %bb.935:
	global_load_b32 v0, v[4:5], off
	s_wait_loadcnt 0x0
	v_cvt_u32_f32_e32 v6, v0
.LBB356_936:
	s_mov_b32 s8, 0
.LBB356_937:
	s_delay_alu instid0(SALU_CYCLE_1)
	s_and_not1_b32 vcc_lo, exec_lo, s8
	s_cbranch_vccnz .LBB356_939
; %bb.938:
	global_load_u16 v0, v[4:5], off
	s_wait_loadcnt 0x0
	v_cvt_f32_f16_e32 v0, v0
	s_delay_alu instid0(VALU_DEP_1)
	v_cvt_u32_f32_e32 v6, v0
.LBB356_939:
	s_cbranch_execnz .LBB356_958
.LBB356_940:
	s_sext_i32_i16 s8, s37
	s_delay_alu instid0(SALU_CYCLE_1)
	s_cmp_lt_i32 s8, 2
	s_cbranch_scc1 .LBB356_944
; %bb.941:
	s_cmp_lt_i32 s8, 3
	s_cbranch_scc1 .LBB356_945
; %bb.942:
	s_cmp_gt_i32 s8, 3
	s_cbranch_scc0 .LBB356_946
; %bb.943:
	s_wait_loadcnt 0x0
	global_load_b32 v6, v[4:5], off
	s_mov_b32 s8, 0
	s_branch .LBB356_947
.LBB356_944:
                                        ; implicit-def: $vgpr6
	s_branch .LBB356_953
.LBB356_945:
	s_mov_b32 s8, -1
                                        ; implicit-def: $vgpr6
	s_branch .LBB356_950
.LBB356_946:
	s_mov_b32 s8, -1
                                        ; implicit-def: $vgpr6
.LBB356_947:
	s_delay_alu instid0(SALU_CYCLE_1)
	s_and_not1_b32 vcc_lo, exec_lo, s8
	s_cbranch_vccnz .LBB356_949
; %bb.948:
	s_wait_loadcnt 0x0
	global_load_b32 v6, v[4:5], off
.LBB356_949:
	s_mov_b32 s8, 0
.LBB356_950:
	s_delay_alu instid0(SALU_CYCLE_1)
	s_and_not1_b32 vcc_lo, exec_lo, s8
	s_cbranch_vccnz .LBB356_952
; %bb.951:
	s_wait_loadcnt 0x0
	global_load_i16 v6, v[4:5], off
.LBB356_952:
	s_cbranch_execnz .LBB356_958
.LBB356_953:
	s_sext_i32_i16 s8, s37
	s_delay_alu instid0(SALU_CYCLE_1)
	s_cmp_gt_i32 s8, 0
	s_mov_b32 s8, 0
	s_cbranch_scc0 .LBB356_955
; %bb.954:
	s_wait_loadcnt 0x0
	global_load_i8 v6, v[4:5], off
	s_branch .LBB356_956
.LBB356_955:
	s_mov_b32 s8, -1
                                        ; implicit-def: $vgpr6
.LBB356_956:
	s_delay_alu instid0(SALU_CYCLE_1)
	s_and_not1_b32 vcc_lo, exec_lo, s8
	s_cbranch_vccnz .LBB356_958
; %bb.957:
	s_wait_loadcnt 0x0
	global_load_u8 v6, v[4:5], off
.LBB356_958:
	s_or_b32 s0, s0, exec_lo
.LBB356_959:
	s_wait_xcnt 0x0
	s_or_b32 exec_lo, exec_lo, s7
	s_mov_b32 s12, 0
	s_mov_b32 s11, 0
                                        ; implicit-def: $sgpr7
                                        ; implicit-def: $sgpr8
                                        ; implicit-def: $vgpr0_vgpr1
	s_and_saveexec_b32 s10, s0
	s_cbranch_execz .LBB356_967
; %bb.960:
	v_mov_b32_e32 v3, 0
	s_wait_loadcnt 0x0
	s_delay_alu instid0(VALU_DEP_2) | instskip(SKIP_1) | instid1(VALU_DEP_2)
	v_cmp_ne_u32_e32 vcc_lo, s1, v6
	s_and_b32 s8, s2, 0xff
	v_add_nc_u64_e32 v[0:1], s[4:5], v[2:3]
	s_xor_b32 s7, s9, vcc_lo
	s_cmp_lt_i32 s8, 11
	s_cbranch_scc1 .LBB356_970
; %bb.961:
	s_and_b32 s1, 0xffff, s8
	s_mov_b32 s2, -1
	s_cmp_gt_i32 s1, 25
	s_mov_b32 s0, s20
	s_cbranch_scc0 .LBB356_998
; %bb.962:
	s_cmp_gt_i32 s1, 28
	s_mov_b32 s0, s20
	s_cbranch_scc0 .LBB356_982
; %bb.963:
	;; [unrolled: 4-line block ×4, first 2 shown]
	s_cmp_eq_u32 s1, 46
	s_mov_b32 s0, -1
	s_cbranch_scc0 .LBB356_971
; %bb.966:
	v_cndmask_b32_e64 v2, 0, 1.0, s7
	s_mov_b32 s0, 0
	s_mov_b32 s2, 0
	s_delay_alu instid0(VALU_DEP_1) | instskip(NEXT) | instid1(VALU_DEP_1)
	v_bfe_u32 v3, v2, 16, 1
	v_add3_u32 v2, v2, v3, 0x7fff
	s_delay_alu instid0(VALU_DEP_1)
	v_lshrrev_b32_e32 v2, 16, v2
	global_store_b32 v[0:1], v2, off
	s_branch .LBB356_972
.LBB356_967:
	s_or_b32 exec_lo, exec_lo, s10
	s_and_saveexec_b32 s0, s20
	s_cbranch_execnz .LBB356_1040
.LBB356_968:
	s_or_b32 exec_lo, exec_lo, s0
	s_and_saveexec_b32 s0, s12
	s_delay_alu instid0(SALU_CYCLE_1)
	s_xor_b32 s0, exec_lo, s0
	s_cbranch_execz .LBB356_1041
.LBB356_969:
	v_cndmask_b32_e64 v2, 0, 1, s7
	s_wait_loadcnt 0x0
	global_store_b8 v[0:1], v2, off
	s_wait_xcnt 0x0
	s_or_b32 exec_lo, exec_lo, s0
	s_and_saveexec_b32 s0, s11
	s_delay_alu instid0(SALU_CYCLE_1)
	s_xor_b32 s0, exec_lo, s0
	s_cbranch_execz .LBB356_1079
	s_branch .LBB356_1042
.LBB356_970:
	s_mov_b32 s4, 0
	s_mov_b32 s2, -1
	s_mov_b32 s0, s20
	s_branch .LBB356_1039
.LBB356_971:
	s_mov_b32 s2, 0
.LBB356_972:
	s_delay_alu instid0(SALU_CYCLE_1)
	s_and_b32 vcc_lo, exec_lo, s2
	s_cbranch_vccz .LBB356_977
; %bb.973:
	s_cmp_eq_u32 s1, 44
	s_mov_b32 s0, -1
	s_cbranch_scc0 .LBB356_977
; %bb.974:
	v_cndmask_b32_e64 v4, 0, 1.0, s7
	s_mov_b32 s2, exec_lo
	s_wait_xcnt 0x0
	s_delay_alu instid0(VALU_DEP_1) | instskip(NEXT) | instid1(VALU_DEP_1)
	v_dual_mov_b32 v3, 0xff :: v_dual_lshrrev_b32 v2, 23, v4
	v_cmpx_ne_u32_e32 0xff, v2
; %bb.975:
	v_and_b32_e32 v3, 0x400000, v4
	v_and_or_b32 v4, 0x3fffff, v4, v2
	s_delay_alu instid0(VALU_DEP_2) | instskip(NEXT) | instid1(VALU_DEP_2)
	v_cmp_ne_u32_e32 vcc_lo, 0, v3
	v_cmp_ne_u32_e64 s0, 0, v4
	s_and_b32 s0, vcc_lo, s0
	s_delay_alu instid0(SALU_CYCLE_1) | instskip(NEXT) | instid1(VALU_DEP_1)
	v_cndmask_b32_e64 v3, 0, 1, s0
	v_add_nc_u32_e32 v3, v2, v3
; %bb.976:
	s_or_b32 exec_lo, exec_lo, s2
	s_mov_b32 s0, 0
	global_store_b8 v[0:1], v3, off
.LBB356_977:
	s_mov_b32 s2, 0
.LBB356_978:
	s_delay_alu instid0(SALU_CYCLE_1)
	s_and_b32 vcc_lo, exec_lo, s2
	s_cbranch_vccz .LBB356_981
; %bb.979:
	s_cmp_eq_u32 s1, 29
	s_mov_b32 s0, -1
	s_cbranch_scc0 .LBB356_981
; %bb.980:
	s_mov_b32 s0, 0
	s_wait_xcnt 0x0
	v_cndmask_b32_e64 v2, 0, 1, s7
	v_mov_b32_e32 v3, s0
	s_mov_b32 s2, 0
	global_store_b64 v[0:1], v[2:3], off
	s_branch .LBB356_982
.LBB356_981:
	s_mov_b32 s2, 0
.LBB356_982:
	s_delay_alu instid0(SALU_CYCLE_1)
	s_and_b32 vcc_lo, exec_lo, s2
	s_cbranch_vccz .LBB356_997
; %bb.983:
	s_cmp_lt_i32 s1, 27
	s_mov_b32 s2, -1
	s_cbranch_scc1 .LBB356_989
; %bb.984:
	s_cmp_gt_i32 s1, 27
	s_cbranch_scc0 .LBB356_986
; %bb.985:
	s_wait_xcnt 0x0
	v_cndmask_b32_e64 v2, 0, 1, s7
	s_mov_b32 s2, 0
	global_store_b32 v[0:1], v2, off
.LBB356_986:
	s_and_not1_b32 vcc_lo, exec_lo, s2
	s_cbranch_vccnz .LBB356_988
; %bb.987:
	s_wait_xcnt 0x0
	v_cndmask_b32_e64 v2, 0, 1, s7
	global_store_b16 v[0:1], v2, off
.LBB356_988:
	s_mov_b32 s2, 0
.LBB356_989:
	s_delay_alu instid0(SALU_CYCLE_1)
	s_and_not1_b32 vcc_lo, exec_lo, s2
	s_cbranch_vccnz .LBB356_997
; %bb.990:
	s_wait_xcnt 0x0
	v_cndmask_b32_e64 v3, 0, 1.0, s7
	v_mov_b32_e32 v4, 0x80
	s_mov_b32 s2, exec_lo
	s_delay_alu instid0(VALU_DEP_2)
	v_cmpx_gt_u32_e32 0x43800000, v3
	s_cbranch_execz .LBB356_996
; %bb.991:
	s_mov_b32 s4, 0
	s_mov_b32 s5, exec_lo
                                        ; implicit-def: $vgpr2
	v_cmpx_lt_u32_e32 0x3bffffff, v3
	s_xor_b32 s5, exec_lo, s5
	s_cbranch_execz .LBB356_1154
; %bb.992:
	v_bfe_u32 v2, v3, 20, 1
	s_mov_b32 s4, exec_lo
	s_delay_alu instid0(VALU_DEP_1) | instskip(NEXT) | instid1(VALU_DEP_1)
	v_add3_u32 v2, v3, v2, 0x487ffff
                                        ; implicit-def: $vgpr3
	v_lshrrev_b32_e32 v2, 20, v2
	s_and_not1_saveexec_b32 s5, s5
	s_cbranch_execnz .LBB356_1155
.LBB356_993:
	s_or_b32 exec_lo, exec_lo, s5
	v_mov_b32_e32 v4, 0
	s_and_saveexec_b32 s5, s4
.LBB356_994:
	v_mov_b32_e32 v4, v2
.LBB356_995:
	s_or_b32 exec_lo, exec_lo, s5
.LBB356_996:
	s_delay_alu instid0(SALU_CYCLE_1)
	s_or_b32 exec_lo, exec_lo, s2
	global_store_b8 v[0:1], v4, off
.LBB356_997:
	s_mov_b32 s2, 0
.LBB356_998:
	s_delay_alu instid0(SALU_CYCLE_1)
	s_and_b32 vcc_lo, exec_lo, s2
	s_mov_b32 s2, 0
	s_cbranch_vccz .LBB356_1038
; %bb.999:
	s_cmp_gt_i32 s1, 22
	s_mov_b32 s4, -1
	s_cbranch_scc0 .LBB356_1031
; %bb.1000:
	s_cmp_lt_i32 s1, 24
	s_cbranch_scc1 .LBB356_1020
; %bb.1001:
	s_cmp_gt_i32 s1, 24
	s_cbranch_scc0 .LBB356_1009
; %bb.1002:
	s_wait_xcnt 0x0
	v_cndmask_b32_e64 v3, 0, 1.0, s7
	v_mov_b32_e32 v4, 0x80
	s_mov_b32 s4, exec_lo
	s_delay_alu instid0(VALU_DEP_2)
	v_cmpx_gt_u32_e32 0x47800000, v3
	s_cbranch_execz .LBB356_1008
; %bb.1003:
	s_mov_b32 s5, 0
	s_mov_b32 s9, exec_lo
                                        ; implicit-def: $vgpr2
	v_cmpx_lt_u32_e32 0x37ffffff, v3
	s_xor_b32 s9, exec_lo, s9
	s_cbranch_execz .LBB356_1275
; %bb.1004:
	v_bfe_u32 v2, v3, 21, 1
	s_mov_b32 s5, exec_lo
	s_delay_alu instid0(VALU_DEP_1) | instskip(NEXT) | instid1(VALU_DEP_1)
	v_add3_u32 v2, v3, v2, 0x88fffff
                                        ; implicit-def: $vgpr3
	v_lshrrev_b32_e32 v2, 21, v2
	s_and_not1_saveexec_b32 s9, s9
	s_cbranch_execnz .LBB356_1276
.LBB356_1005:
	s_or_b32 exec_lo, exec_lo, s9
	v_mov_b32_e32 v4, 0
	s_and_saveexec_b32 s9, s5
.LBB356_1006:
	v_mov_b32_e32 v4, v2
.LBB356_1007:
	s_or_b32 exec_lo, exec_lo, s9
.LBB356_1008:
	s_delay_alu instid0(SALU_CYCLE_1)
	s_or_b32 exec_lo, exec_lo, s4
	s_mov_b32 s4, 0
	global_store_b8 v[0:1], v4, off
.LBB356_1009:
	s_and_b32 vcc_lo, exec_lo, s4
	s_cbranch_vccz .LBB356_1019
; %bb.1010:
	s_wait_xcnt 0x0
	v_cndmask_b32_e64 v3, 0, 1.0, s7
	s_mov_b32 s4, exec_lo
                                        ; implicit-def: $vgpr2
	s_delay_alu instid0(VALU_DEP_1)
	v_cmpx_gt_u32_e32 0x43f00000, v3
	s_xor_b32 s4, exec_lo, s4
	s_cbranch_execz .LBB356_1016
; %bb.1011:
	s_mov_b32 s5, exec_lo
                                        ; implicit-def: $vgpr2
	v_cmpx_lt_u32_e32 0x3c7fffff, v3
	s_xor_b32 s5, exec_lo, s5
; %bb.1012:
	v_bfe_u32 v2, v3, 20, 1
	s_delay_alu instid0(VALU_DEP_1) | instskip(NEXT) | instid1(VALU_DEP_1)
	v_add3_u32 v2, v3, v2, 0x407ffff
	v_and_b32_e32 v3, 0xff00000, v2
	v_lshrrev_b32_e32 v2, 20, v2
	s_delay_alu instid0(VALU_DEP_2) | instskip(NEXT) | instid1(VALU_DEP_2)
	v_cmp_ne_u32_e32 vcc_lo, 0x7f00000, v3
                                        ; implicit-def: $vgpr3
	v_cndmask_b32_e32 v2, 0x7e, v2, vcc_lo
; %bb.1013:
	s_and_not1_saveexec_b32 s5, s5
; %bb.1014:
	v_add_f32_e32 v2, 0x46800000, v3
; %bb.1015:
	s_or_b32 exec_lo, exec_lo, s5
                                        ; implicit-def: $vgpr3
.LBB356_1016:
	s_and_not1_saveexec_b32 s4, s4
; %bb.1017:
	v_mov_b32_e32 v2, 0x7f
	v_cmp_lt_u32_e32 vcc_lo, 0x7f800000, v3
	s_delay_alu instid0(VALU_DEP_2)
	v_cndmask_b32_e32 v2, 0x7e, v2, vcc_lo
; %bb.1018:
	s_or_b32 exec_lo, exec_lo, s4
	global_store_b8 v[0:1], v2, off
.LBB356_1019:
	s_mov_b32 s4, 0
.LBB356_1020:
	s_delay_alu instid0(SALU_CYCLE_1)
	s_and_not1_b32 vcc_lo, exec_lo, s4
	s_cbranch_vccnz .LBB356_1030
; %bb.1021:
	s_wait_xcnt 0x0
	v_cndmask_b32_e64 v3, 0, 1.0, s7
	s_mov_b32 s4, exec_lo
                                        ; implicit-def: $vgpr2
	s_delay_alu instid0(VALU_DEP_1)
	v_cmpx_gt_u32_e32 0x47800000, v3
	s_xor_b32 s4, exec_lo, s4
	s_cbranch_execz .LBB356_1027
; %bb.1022:
	s_mov_b32 s5, exec_lo
                                        ; implicit-def: $vgpr2
	v_cmpx_lt_u32_e32 0x387fffff, v3
	s_xor_b32 s5, exec_lo, s5
; %bb.1023:
	v_bfe_u32 v2, v3, 21, 1
	s_delay_alu instid0(VALU_DEP_1) | instskip(NEXT) | instid1(VALU_DEP_1)
	v_add3_u32 v2, v3, v2, 0x80fffff
                                        ; implicit-def: $vgpr3
	v_lshrrev_b32_e32 v2, 21, v2
; %bb.1024:
	s_and_not1_saveexec_b32 s5, s5
; %bb.1025:
	v_add_f32_e32 v2, 0x43000000, v3
; %bb.1026:
	s_or_b32 exec_lo, exec_lo, s5
                                        ; implicit-def: $vgpr3
.LBB356_1027:
	s_and_not1_saveexec_b32 s4, s4
; %bb.1028:
	v_mov_b32_e32 v2, 0x7f
	v_cmp_lt_u32_e32 vcc_lo, 0x7f800000, v3
	s_delay_alu instid0(VALU_DEP_2)
	v_cndmask_b32_e32 v2, 0x7c, v2, vcc_lo
; %bb.1029:
	s_or_b32 exec_lo, exec_lo, s4
	global_store_b8 v[0:1], v2, off
.LBB356_1030:
	s_mov_b32 s4, 0
.LBB356_1031:
	s_delay_alu instid0(SALU_CYCLE_1)
	s_and_not1_b32 vcc_lo, exec_lo, s4
	s_mov_b32 s4, 0
	s_cbranch_vccnz .LBB356_1039
; %bb.1032:
	s_cmp_gt_i32 s1, 14
	s_mov_b32 s4, -1
	s_cbranch_scc0 .LBB356_1036
; %bb.1033:
	s_cmp_eq_u32 s1, 15
	s_mov_b32 s0, -1
	s_cbranch_scc0 .LBB356_1035
; %bb.1034:
	s_wait_xcnt 0x0
	v_cndmask_b32_e64 v2, 0, 1.0, s7
	s_mov_b32 s0, 0
	s_delay_alu instid0(VALU_DEP_1) | instskip(NEXT) | instid1(VALU_DEP_1)
	v_bfe_u32 v3, v2, 16, 1
	v_add3_u32 v2, v2, v3, 0x7fff
	global_store_d16_hi_b16 v[0:1], v2, off
.LBB356_1035:
	s_mov_b32 s4, 0
.LBB356_1036:
	s_delay_alu instid0(SALU_CYCLE_1)
	s_and_b32 vcc_lo, exec_lo, s4
	s_mov_b32 s4, 0
	s_cbranch_vccz .LBB356_1039
; %bb.1037:
	s_cmp_lg_u32 s1, 11
	s_mov_b32 s4, -1
	s_cselect_b32 s1, -1, 0
	s_and_not1_b32 s0, s0, exec_lo
	s_and_b32 s1, s1, exec_lo
	s_delay_alu instid0(SALU_CYCLE_1)
	s_or_b32 s0, s0, s1
	s_branch .LBB356_1039
.LBB356_1038:
	s_mov_b32 s4, 0
.LBB356_1039:
	s_and_not1_b32 s1, s20, exec_lo
	s_and_b32 s0, s0, exec_lo
	s_and_b32 s11, s2, exec_lo
	;; [unrolled: 1-line block ×3, first 2 shown]
	s_or_b32 s20, s1, s0
	s_wait_xcnt 0x0
	s_or_b32 exec_lo, exec_lo, s10
	s_and_saveexec_b32 s0, s20
	s_cbranch_execz .LBB356_968
.LBB356_1040:
	s_or_b32 s6, s6, exec_lo
	s_and_not1_b32 s12, s12, exec_lo
	s_trap 2
	s_or_b32 exec_lo, exec_lo, s0
	s_and_saveexec_b32 s0, s12
	s_delay_alu instid0(SALU_CYCLE_1)
	s_xor_b32 s0, exec_lo, s0
	s_cbranch_execnz .LBB356_969
.LBB356_1041:
	s_or_b32 exec_lo, exec_lo, s0
	s_and_saveexec_b32 s0, s11
	s_delay_alu instid0(SALU_CYCLE_1)
	s_xor_b32 s0, exec_lo, s0
	s_cbranch_execz .LBB356_1079
.LBB356_1042:
	s_sext_i32_i16 s2, s8
	s_mov_b32 s1, -1
	s_cmp_lt_i32 s2, 5
	s_cbranch_scc1 .LBB356_1063
; %bb.1043:
	s_cmp_lt_i32 s2, 8
	s_cbranch_scc1 .LBB356_1053
; %bb.1044:
	;; [unrolled: 3-line block ×3, first 2 shown]
	s_cmp_gt_i32 s2, 9
	s_cbranch_scc0 .LBB356_1047
; %bb.1046:
	v_cndmask_b32_e64 v2, 0, 1, s7
	v_mov_b32_e32 v4, 0
	s_mov_b32 s1, 0
	s_delay_alu instid0(VALU_DEP_2) | instskip(NEXT) | instid1(VALU_DEP_2)
	v_cvt_f64_u32_e32 v[2:3], v2
	v_mov_b32_e32 v5, v4
	s_wait_loadcnt 0x0
	global_store_b128 v[0:1], v[2:5], off
.LBB356_1047:
	s_and_not1_b32 vcc_lo, exec_lo, s1
	s_cbranch_vccnz .LBB356_1049
; %bb.1048:
	s_wait_xcnt 0x0
	v_cndmask_b32_e64 v2, 0, 1.0, s7
	v_mov_b32_e32 v3, 0
	s_wait_loadcnt 0x0
	global_store_b64 v[0:1], v[2:3], off
.LBB356_1049:
	s_mov_b32 s1, 0
.LBB356_1050:
	s_delay_alu instid0(SALU_CYCLE_1)
	s_and_not1_b32 vcc_lo, exec_lo, s1
	s_cbranch_vccnz .LBB356_1052
; %bb.1051:
	s_wait_xcnt 0x0
	v_cndmask_b32_e64 v2, 0, 1.0, s7
	s_delay_alu instid0(VALU_DEP_1) | instskip(NEXT) | instid1(VALU_DEP_1)
	v_cvt_f16_f32_e32 v2, v2
	v_and_b32_e32 v2, 0xffff, v2
	s_wait_loadcnt 0x0
	global_store_b32 v[0:1], v2, off
.LBB356_1052:
	s_mov_b32 s1, 0
.LBB356_1053:
	s_delay_alu instid0(SALU_CYCLE_1)
	s_and_not1_b32 vcc_lo, exec_lo, s1
	s_cbranch_vccnz .LBB356_1062
; %bb.1054:
	s_sext_i32_i16 s2, s8
	s_mov_b32 s1, -1
	s_cmp_lt_i32 s2, 6
	s_cbranch_scc1 .LBB356_1060
; %bb.1055:
	s_cmp_gt_i32 s2, 6
	s_cbranch_scc0 .LBB356_1057
; %bb.1056:
	s_wait_xcnt 0x0
	v_cndmask_b32_e64 v2, 0, 1, s7
	s_mov_b32 s1, 0
	s_delay_alu instid0(VALU_DEP_1)
	v_cvt_f64_u32_e32 v[2:3], v2
	s_wait_loadcnt 0x0
	global_store_b64 v[0:1], v[2:3], off
.LBB356_1057:
	s_and_not1_b32 vcc_lo, exec_lo, s1
	s_cbranch_vccnz .LBB356_1059
; %bb.1058:
	s_wait_xcnt 0x0
	v_cndmask_b32_e64 v2, 0, 1.0, s7
	s_wait_loadcnt 0x0
	global_store_b32 v[0:1], v2, off
.LBB356_1059:
	s_mov_b32 s1, 0
.LBB356_1060:
	s_delay_alu instid0(SALU_CYCLE_1)
	s_and_not1_b32 vcc_lo, exec_lo, s1
	s_cbranch_vccnz .LBB356_1062
; %bb.1061:
	s_wait_xcnt 0x0
	v_cndmask_b32_e64 v2, 0, 1.0, s7
	s_delay_alu instid0(VALU_DEP_1)
	v_cvt_f16_f32_e32 v2, v2
	s_wait_loadcnt 0x0
	global_store_b16 v[0:1], v2, off
.LBB356_1062:
	s_mov_b32 s1, 0
.LBB356_1063:
	s_delay_alu instid0(SALU_CYCLE_1)
	s_and_not1_b32 vcc_lo, exec_lo, s1
	s_cbranch_vccnz .LBB356_1079
; %bb.1064:
	s_sext_i32_i16 s2, s8
	s_mov_b32 s1, -1
	s_cmp_lt_i32 s2, 2
	s_cbranch_scc1 .LBB356_1074
; %bb.1065:
	s_cmp_lt_i32 s2, 3
	s_cbranch_scc1 .LBB356_1071
; %bb.1066:
	s_cmp_gt_i32 s2, 3
	s_cbranch_scc0 .LBB356_1068
; %bb.1067:
	s_mov_b32 s1, 0
	s_wait_xcnt 0x0
	v_cndmask_b32_e64 v2, 0, 1, s7
	v_mov_b32_e32 v3, s1
	s_wait_loadcnt 0x0
	global_store_b64 v[0:1], v[2:3], off
.LBB356_1068:
	s_and_not1_b32 vcc_lo, exec_lo, s1
	s_cbranch_vccnz .LBB356_1070
; %bb.1069:
	s_wait_xcnt 0x0
	v_cndmask_b32_e64 v2, 0, 1, s7
	s_wait_loadcnt 0x0
	global_store_b32 v[0:1], v2, off
.LBB356_1070:
	s_mov_b32 s1, 0
.LBB356_1071:
	s_delay_alu instid0(SALU_CYCLE_1)
	s_and_not1_b32 vcc_lo, exec_lo, s1
	s_cbranch_vccnz .LBB356_1073
; %bb.1072:
	s_wait_xcnt 0x0
	v_cndmask_b32_e64 v2, 0, 1, s7
	s_wait_loadcnt 0x0
	global_store_b16 v[0:1], v2, off
.LBB356_1073:
	s_mov_b32 s1, 0
.LBB356_1074:
	s_delay_alu instid0(SALU_CYCLE_1)
	s_and_not1_b32 vcc_lo, exec_lo, s1
	s_cbranch_vccnz .LBB356_1079
; %bb.1075:
	s_sext_i32_i16 s1, s8
	s_delay_alu instid0(SALU_CYCLE_1)
	s_cmp_gt_i32 s1, 0
	s_mov_b32 s1, -1
	s_cbranch_scc0 .LBB356_1077
; %bb.1076:
	s_wait_xcnt 0x0
	v_cndmask_b32_e64 v2, 0, 1, s7
	s_mov_b32 s1, 0
	s_wait_loadcnt 0x0
	global_store_b8 v[0:1], v2, off
.LBB356_1077:
	s_and_not1_b32 vcc_lo, exec_lo, s1
	s_cbranch_vccnz .LBB356_1079
; %bb.1078:
	s_wait_xcnt 0x0
	v_cndmask_b32_e64 v2, 0, 1, s7
	s_wait_loadcnt 0x0
	global_store_b8 v[0:1], v2, off
.LBB356_1079:
	s_wait_xcnt 0x0
	s_or_b32 exec_lo, exec_lo, s0
	s_delay_alu instid0(SALU_CYCLE_1)
	s_and_b32 s8, s6, exec_lo
                                        ; implicit-def: $vgpr9
                                        ; implicit-def: $vgpr0
.LBB356_1080:
	s_or_saveexec_b32 s9, s36
	s_mov_b32 s0, 0
                                        ; implicit-def: $sgpr1
                                        ; implicit-def: $vgpr2_vgpr3
                                        ; implicit-def: $sgpr2
	s_xor_b32 exec_lo, exec_lo, s9
	s_cbranch_execz .LBB356_2074
; %bb.1081:
	s_wait_loadcnt 0x0
	v_cndmask_b32_e64 v1, 0, 1, s35
	s_and_not1_b32 vcc_lo, exec_lo, s35
	s_cbranch_vccnz .LBB356_1087
; %bb.1082:
	s_cmp_lg_u32 s33, 0
	s_mov_b32 s6, 0
	s_cbranch_scc0 .LBB356_1088
; %bb.1083:
	s_min_u32 s1, s34, 15
	s_delay_alu instid0(SALU_CYCLE_1)
	s_add_co_i32 s1, s1, 1
	s_cmp_eq_u32 s34, 2
	s_cbranch_scc1 .LBB356_1089
; %bb.1084:
	v_dual_mov_b32 v6, 0 :: v_dual_mov_b32 v14, 0
	v_mov_b32_e32 v2, v0
	s_and_b32 s0, s1, 28
	s_add_nc_u64 s[2:3], s[16:17], 0xc4
	s_mov_b32 s7, 0
	s_mov_b64 s[4:5], s[16:17]
.LBB356_1085:                           ; =>This Inner Loop Header: Depth=1
	s_clause 0x1
	s_load_b256 s[20:27], s[4:5], 0x4
	s_load_b128 s[12:15], s[4:5], 0x24
	s_load_b256 s[36:43], s[2:3], 0x0
	s_add_co_i32 s7, s7, 4
	s_wait_xcnt 0x0
	s_add_nc_u64 s[4:5], s[4:5], 48
	s_cmp_lg_u32 s0, s7
	s_add_nc_u64 s[2:3], s[2:3], 32
	s_wait_kmcnt 0x0
	v_mul_hi_u32 v3, s21, v2
	s_delay_alu instid0(VALU_DEP_1) | instskip(NEXT) | instid1(VALU_DEP_1)
	v_add_nc_u32_e32 v3, v2, v3
	v_lshrrev_b32_e32 v3, s22, v3
	s_delay_alu instid0(VALU_DEP_1) | instskip(NEXT) | instid1(VALU_DEP_1)
	v_mul_hi_u32 v4, s24, v3
	v_add_nc_u32_e32 v4, v3, v4
	s_delay_alu instid0(VALU_DEP_1) | instskip(NEXT) | instid1(VALU_DEP_1)
	v_lshrrev_b32_e32 v4, s25, v4
	v_mul_hi_u32 v5, s27, v4
	s_delay_alu instid0(VALU_DEP_1) | instskip(SKIP_1) | instid1(VALU_DEP_1)
	v_add_nc_u32_e32 v5, v4, v5
	v_mul_lo_u32 v7, v3, s20
	v_sub_nc_u32_e32 v2, v2, v7
	v_mul_lo_u32 v7, v4, s23
	s_delay_alu instid0(VALU_DEP_4) | instskip(NEXT) | instid1(VALU_DEP_3)
	v_lshrrev_b32_e32 v5, s12, v5
	v_mad_u32 v10, v2, s37, v14
	v_mad_u32 v2, v2, s36, v6
	s_delay_alu instid0(VALU_DEP_4) | instskip(NEXT) | instid1(VALU_DEP_4)
	v_sub_nc_u32_e32 v3, v3, v7
	v_mul_hi_u32 v8, s14, v5
	v_mul_lo_u32 v6, v5, s26
	s_delay_alu instid0(VALU_DEP_1) | instskip(NEXT) | instid1(VALU_DEP_4)
	v_dual_add_nc_u32 v7, v5, v8 :: v_dual_sub_nc_u32 v4, v4, v6
	v_mad_u32 v8, v3, s39, v10
	v_mad_u32 v3, v3, s38, v2
	s_delay_alu instid0(VALU_DEP_3) | instskip(NEXT) | instid1(VALU_DEP_1)
	v_lshrrev_b32_e32 v2, s15, v7
	v_mul_lo_u32 v6, v2, s13
	s_delay_alu instid0(VALU_DEP_4) | instskip(NEXT) | instid1(VALU_DEP_4)
	v_mad_u32 v7, v4, s41, v8
	v_mad_u32 v3, v4, s40, v3
	s_delay_alu instid0(VALU_DEP_3) | instskip(NEXT) | instid1(VALU_DEP_1)
	v_sub_nc_u32_e32 v4, v5, v6
	v_mad_u32 v14, v4, s43, v7
	s_delay_alu instid0(VALU_DEP_3)
	v_mad_u32 v6, v4, s42, v3
	s_cbranch_scc1 .LBB356_1085
; %bb.1086:
	s_delay_alu instid0(VALU_DEP_2)
	v_mov_b32_e32 v7, v14
	s_and_b32 s4, s1, 3
	s_mov_b32 s1, 0
	s_cmp_eq_u32 s4, 0
	s_cbranch_scc0 .LBB356_1090
	s_branch .LBB356_1093
.LBB356_1087:
	s_mov_b32 s6, -1
                                        ; implicit-def: $vgpr14
                                        ; implicit-def: $vgpr6
	s_branch .LBB356_1093
.LBB356_1088:
	v_dual_mov_b32 v14, 0 :: v_dual_mov_b32 v6, 0
	s_branch .LBB356_1093
.LBB356_1089:
	v_mov_b64_e32 v[6:7], 0
	v_mov_b32_e32 v2, v0
                                        ; implicit-def: $vgpr14
	s_and_b32 s4, s1, 3
	s_mov_b32 s1, 0
	s_cmp_eq_u32 s4, 0
	s_cbranch_scc1 .LBB356_1093
.LBB356_1090:
	s_lshl_b32 s2, s0, 3
	s_mov_b32 s3, s1
	s_mul_u64 s[10:11], s[0:1], 12
	s_add_nc_u64 s[2:3], s[16:17], s[2:3]
	s_delay_alu instid0(SALU_CYCLE_1)
	s_add_nc_u64 s[0:1], s[2:3], 0xc4
	s_add_nc_u64 s[2:3], s[16:17], s[10:11]
.LBB356_1091:                           ; =>This Inner Loop Header: Depth=1
	s_load_b96 s[12:14], s[2:3], 0x4
	s_load_b64 s[10:11], s[0:1], 0x0
	s_add_co_i32 s4, s4, -1
	s_wait_xcnt 0x0
	s_add_nc_u64 s[2:3], s[2:3], 12
	s_cmp_lg_u32 s4, 0
	s_add_nc_u64 s[0:1], s[0:1], 8
	s_wait_kmcnt 0x0
	v_mul_hi_u32 v3, s13, v2
	s_delay_alu instid0(VALU_DEP_1) | instskip(NEXT) | instid1(VALU_DEP_1)
	v_add_nc_u32_e32 v3, v2, v3
	v_lshrrev_b32_e32 v3, s14, v3
	s_delay_alu instid0(VALU_DEP_1) | instskip(NEXT) | instid1(VALU_DEP_1)
	v_mul_lo_u32 v4, v3, s12
	v_sub_nc_u32_e32 v2, v2, v4
	s_delay_alu instid0(VALU_DEP_1)
	v_mad_u32 v7, v2, s11, v7
	v_mad_u32 v6, v2, s10, v6
	v_mov_b32_e32 v2, v3
	s_cbranch_scc1 .LBB356_1091
; %bb.1092:
	s_delay_alu instid0(VALU_DEP_3)
	v_mov_b32_e32 v14, v7
.LBB356_1093:
	s_and_not1_b32 vcc_lo, exec_lo, s6
	s_cbranch_vccnz .LBB356_1096
; %bb.1094:
	s_clause 0x1
	s_load_b96 s[0:2], s[16:17], 0x4
	s_load_b64 s[4:5], s[16:17], 0xc4
	s_cmp_lt_u32 s33, 2
	s_wait_kmcnt 0x0
	v_mul_hi_u32 v2, s1, v0
	s_delay_alu instid0(VALU_DEP_1) | instskip(NEXT) | instid1(VALU_DEP_1)
	v_add_nc_u32_e32 v2, v0, v2
	v_lshrrev_b32_e32 v2, s2, v2
	s_delay_alu instid0(VALU_DEP_1) | instskip(NEXT) | instid1(VALU_DEP_1)
	v_mul_lo_u32 v3, v2, s0
	v_sub_nc_u32_e32 v3, v0, v3
	s_delay_alu instid0(VALU_DEP_1)
	v_mul_lo_u32 v14, v3, s5
	v_mul_lo_u32 v6, v3, s4
	s_cbranch_scc1 .LBB356_1096
; %bb.1095:
	s_clause 0x1
	s_load_b96 s[0:2], s[16:17], 0x10
	s_load_b64 s[4:5], s[16:17], 0xcc
	s_wait_kmcnt 0x0
	v_mul_hi_u32 v3, s1, v2
	s_delay_alu instid0(VALU_DEP_1) | instskip(NEXT) | instid1(VALU_DEP_1)
	v_add_nc_u32_e32 v3, v2, v3
	v_lshrrev_b32_e32 v3, s2, v3
	s_delay_alu instid0(VALU_DEP_1) | instskip(NEXT) | instid1(VALU_DEP_1)
	v_mul_lo_u32 v3, v3, s0
	v_sub_nc_u32_e32 v2, v2, v3
	s_delay_alu instid0(VALU_DEP_1)
	v_mad_u32 v6, v2, s4, v6
	v_mad_u32 v14, v2, s5, v14
.LBB356_1096:
	v_cmp_ne_u32_e32 vcc_lo, 1, v1
	v_add_nc_u32_e32 v2, 0x80, v0
	s_cbranch_vccnz .LBB356_1102
; %bb.1097:
	s_cmp_lg_u32 s33, 0
	s_mov_b32 s6, 0
	s_cbranch_scc0 .LBB356_1103
; %bb.1098:
	s_min_u32 s1, s34, 15
	s_delay_alu instid0(SALU_CYCLE_1)
	s_add_co_i32 s1, s1, 1
	s_cmp_eq_u32 s34, 2
	s_cbranch_scc1 .LBB356_1104
; %bb.1099:
	v_dual_mov_b32 v4, 0 :: v_dual_mov_b32 v12, 0
	v_mov_b32_e32 v3, v2
	s_and_b32 s0, s1, 28
	s_add_nc_u64 s[2:3], s[16:17], 0xc4
	s_mov_b32 s7, 0
	s_mov_b64 s[4:5], s[16:17]
.LBB356_1100:                           ; =>This Inner Loop Header: Depth=1
	s_clause 0x1
	s_load_b256 s[20:27], s[4:5], 0x4
	s_load_b128 s[12:15], s[4:5], 0x24
	s_load_b256 s[36:43], s[2:3], 0x0
	s_add_co_i32 s7, s7, 4
	s_wait_xcnt 0x0
	s_add_nc_u64 s[4:5], s[4:5], 48
	s_cmp_lg_u32 s0, s7
	s_add_nc_u64 s[2:3], s[2:3], 32
	s_wait_kmcnt 0x0
	v_mul_hi_u32 v5, s21, v3
	s_delay_alu instid0(VALU_DEP_1) | instskip(NEXT) | instid1(VALU_DEP_1)
	v_add_nc_u32_e32 v5, v3, v5
	v_lshrrev_b32_e32 v5, s22, v5
	s_delay_alu instid0(VALU_DEP_1) | instskip(NEXT) | instid1(VALU_DEP_1)
	v_mul_hi_u32 v7, s24, v5
	v_add_nc_u32_e32 v7, v5, v7
	s_delay_alu instid0(VALU_DEP_1) | instskip(NEXT) | instid1(VALU_DEP_1)
	v_lshrrev_b32_e32 v7, s25, v7
	v_mul_hi_u32 v8, s27, v7
	s_delay_alu instid0(VALU_DEP_1) | instskip(SKIP_1) | instid1(VALU_DEP_1)
	v_add_nc_u32_e32 v8, v7, v8
	v_mul_lo_u32 v10, v5, s20
	v_sub_nc_u32_e32 v3, v3, v10
	v_mul_lo_u32 v10, v7, s23
	s_delay_alu instid0(VALU_DEP_4) | instskip(NEXT) | instid1(VALU_DEP_3)
	v_lshrrev_b32_e32 v8, s12, v8
	v_mad_u32 v12, v3, s37, v12
	v_mad_u32 v3, v3, s36, v4
	s_delay_alu instid0(VALU_DEP_4) | instskip(NEXT) | instid1(VALU_DEP_4)
	v_sub_nc_u32_e32 v4, v5, v10
	v_mul_hi_u32 v11, s14, v8
	v_mul_lo_u32 v5, v8, s26
	s_delay_alu instid0(VALU_DEP_1) | instskip(NEXT) | instid1(VALU_DEP_4)
	v_dual_add_nc_u32 v10, v8, v11 :: v_dual_sub_nc_u32 v5, v7, v5
	v_mad_u32 v11, v4, s39, v12
	v_mad_u32 v4, v4, s38, v3
	s_delay_alu instid0(VALU_DEP_3) | instskip(NEXT) | instid1(VALU_DEP_1)
	v_lshrrev_b32_e32 v3, s15, v10
	v_mul_lo_u32 v7, v3, s13
	s_delay_alu instid0(VALU_DEP_4) | instskip(NEXT) | instid1(VALU_DEP_4)
	v_mad_u32 v10, v5, s41, v11
	v_mad_u32 v4, v5, s40, v4
	s_delay_alu instid0(VALU_DEP_3) | instskip(NEXT) | instid1(VALU_DEP_1)
	v_sub_nc_u32_e32 v5, v8, v7
	v_mad_u32 v12, v5, s43, v10
	s_delay_alu instid0(VALU_DEP_3)
	v_mad_u32 v4, v5, s42, v4
	s_cbranch_scc1 .LBB356_1100
; %bb.1101:
	s_delay_alu instid0(VALU_DEP_2)
	v_mov_b32_e32 v5, v12
	s_and_b32 s4, s1, 3
	s_mov_b32 s1, 0
	s_cmp_eq_u32 s4, 0
	s_cbranch_scc0 .LBB356_1105
	s_branch .LBB356_1108
.LBB356_1102:
	s_mov_b32 s6, -1
                                        ; implicit-def: $vgpr12
                                        ; implicit-def: $vgpr4
	s_branch .LBB356_1108
.LBB356_1103:
	v_dual_mov_b32 v12, 0 :: v_dual_mov_b32 v4, 0
	s_branch .LBB356_1108
.LBB356_1104:
	v_mov_b64_e32 v[4:5], 0
	v_mov_b32_e32 v3, v2
	s_mov_b32 s0, 0
                                        ; implicit-def: $vgpr12
	s_and_b32 s4, s1, 3
	s_mov_b32 s1, 0
	s_cmp_eq_u32 s4, 0
	s_cbranch_scc1 .LBB356_1108
.LBB356_1105:
	s_lshl_b32 s2, s0, 3
	s_mov_b32 s3, s1
	s_mul_u64 s[10:11], s[0:1], 12
	s_add_nc_u64 s[2:3], s[16:17], s[2:3]
	s_delay_alu instid0(SALU_CYCLE_1)
	s_add_nc_u64 s[0:1], s[2:3], 0xc4
	s_add_nc_u64 s[2:3], s[16:17], s[10:11]
.LBB356_1106:                           ; =>This Inner Loop Header: Depth=1
	s_load_b96 s[12:14], s[2:3], 0x4
	s_load_b64 s[10:11], s[0:1], 0x0
	s_add_co_i32 s4, s4, -1
	s_wait_xcnt 0x0
	s_add_nc_u64 s[2:3], s[2:3], 12
	s_cmp_lg_u32 s4, 0
	s_add_nc_u64 s[0:1], s[0:1], 8
	s_wait_kmcnt 0x0
	v_mul_hi_u32 v7, s13, v3
	s_delay_alu instid0(VALU_DEP_1) | instskip(NEXT) | instid1(VALU_DEP_1)
	v_add_nc_u32_e32 v7, v3, v7
	v_lshrrev_b32_e32 v7, s14, v7
	s_delay_alu instid0(VALU_DEP_1) | instskip(NEXT) | instid1(VALU_DEP_1)
	v_mul_lo_u32 v8, v7, s12
	v_sub_nc_u32_e32 v3, v3, v8
	s_delay_alu instid0(VALU_DEP_1)
	v_mad_u32 v5, v3, s11, v5
	v_mad_u32 v4, v3, s10, v4
	v_mov_b32_e32 v3, v7
	s_cbranch_scc1 .LBB356_1106
; %bb.1107:
	s_delay_alu instid0(VALU_DEP_3)
	v_mov_b32_e32 v12, v5
.LBB356_1108:
	s_and_not1_b32 vcc_lo, exec_lo, s6
	s_cbranch_vccnz .LBB356_1111
; %bb.1109:
	s_clause 0x1
	s_load_b96 s[0:2], s[16:17], 0x4
	s_load_b64 s[4:5], s[16:17], 0xc4
	s_cmp_lt_u32 s33, 2
	s_wait_kmcnt 0x0
	v_mul_hi_u32 v3, s1, v2
	s_delay_alu instid0(VALU_DEP_1) | instskip(NEXT) | instid1(VALU_DEP_1)
	v_add_nc_u32_e32 v3, v2, v3
	v_lshrrev_b32_e32 v3, s2, v3
	s_delay_alu instid0(VALU_DEP_1) | instskip(NEXT) | instid1(VALU_DEP_1)
	v_mul_lo_u32 v4, v3, s0
	v_sub_nc_u32_e32 v2, v2, v4
	s_delay_alu instid0(VALU_DEP_1)
	v_mul_lo_u32 v12, v2, s5
	v_mul_lo_u32 v4, v2, s4
	s_cbranch_scc1 .LBB356_1111
; %bb.1110:
	s_clause 0x1
	s_load_b96 s[0:2], s[16:17], 0x10
	s_load_b64 s[4:5], s[16:17], 0xcc
	s_wait_kmcnt 0x0
	v_mul_hi_u32 v2, s1, v3
	s_delay_alu instid0(VALU_DEP_1) | instskip(NEXT) | instid1(VALU_DEP_1)
	v_add_nc_u32_e32 v2, v3, v2
	v_lshrrev_b32_e32 v2, s2, v2
	s_delay_alu instid0(VALU_DEP_1) | instskip(NEXT) | instid1(VALU_DEP_1)
	v_mul_lo_u32 v2, v2, s0
	v_sub_nc_u32_e32 v2, v3, v2
	s_delay_alu instid0(VALU_DEP_1)
	v_mad_u32 v4, v2, s4, v4
	v_mad_u32 v12, v2, s5, v12
.LBB356_1111:
	v_cmp_ne_u32_e32 vcc_lo, 1, v1
	v_add_nc_u32_e32 v0, 0x100, v0
	s_cbranch_vccnz .LBB356_1117
; %bb.1112:
	s_cmp_lg_u32 s33, 0
	s_mov_b32 s6, 0
	s_cbranch_scc0 .LBB356_1118
; %bb.1113:
	s_min_u32 s1, s34, 15
	s_delay_alu instid0(SALU_CYCLE_1)
	s_add_co_i32 s1, s1, 1
	s_cmp_eq_u32 s34, 2
	s_cbranch_scc1 .LBB356_1119
; %bb.1114:
	v_dual_mov_b32 v2, 0 :: v_dual_mov_b32 v10, 0
	v_mov_b32_e32 v5, v0
	s_and_b32 s0, s1, 28
	s_add_nc_u64 s[2:3], s[16:17], 0xc4
	s_mov_b32 s7, 0
	s_mov_b64 s[4:5], s[16:17]
.LBB356_1115:                           ; =>This Inner Loop Header: Depth=1
	s_clause 0x1
	s_load_b256 s[20:27], s[4:5], 0x4
	s_load_b128 s[12:15], s[4:5], 0x24
	s_load_b256 s[36:43], s[2:3], 0x0
	s_add_co_i32 s7, s7, 4
	s_wait_xcnt 0x0
	s_add_nc_u64 s[4:5], s[4:5], 48
	s_cmp_lg_u32 s0, s7
	s_add_nc_u64 s[2:3], s[2:3], 32
	s_wait_kmcnt 0x0
	v_mul_hi_u32 v3, s21, v5
	s_delay_alu instid0(VALU_DEP_1) | instskip(NEXT) | instid1(VALU_DEP_1)
	v_add_nc_u32_e32 v3, v5, v3
	v_lshrrev_b32_e32 v3, s22, v3
	s_delay_alu instid0(VALU_DEP_1) | instskip(NEXT) | instid1(VALU_DEP_1)
	v_mul_hi_u32 v7, s24, v3
	v_add_nc_u32_e32 v7, v3, v7
	s_delay_alu instid0(VALU_DEP_1) | instskip(NEXT) | instid1(VALU_DEP_1)
	v_lshrrev_b32_e32 v7, s25, v7
	v_mul_hi_u32 v8, s27, v7
	s_delay_alu instid0(VALU_DEP_1) | instskip(NEXT) | instid1(VALU_DEP_1)
	v_add_nc_u32_e32 v8, v7, v8
	v_lshrrev_b32_e32 v8, s12, v8
	v_mul_lo_u32 v11, v3, s20
	s_delay_alu instid0(VALU_DEP_2) | instskip(NEXT) | instid1(VALU_DEP_2)
	v_mul_hi_u32 v13, s14, v8
	v_sub_nc_u32_e32 v5, v5, v11
	s_delay_alu instid0(VALU_DEP_1) | instskip(SKIP_1) | instid1(VALU_DEP_4)
	v_mad_u32 v10, v5, s37, v10
	v_mad_u32 v2, v5, s36, v2
	v_add_nc_u32_e32 v5, v8, v13
	s_delay_alu instid0(VALU_DEP_1) | instskip(SKIP_1) | instid1(VALU_DEP_1)
	v_lshrrev_b32_e32 v5, s15, v5
	v_mul_lo_u32 v11, v7, s23
	v_sub_nc_u32_e32 v3, v3, v11
	v_mul_lo_u32 v11, v8, s26
	s_delay_alu instid0(VALU_DEP_2) | instskip(SKIP_1) | instid1(VALU_DEP_3)
	v_mad_u32 v10, v3, s39, v10
	v_mad_u32 v2, v3, s38, v2
	v_sub_nc_u32_e32 v3, v7, v11
	v_mul_lo_u32 v7, v5, s13
	s_delay_alu instid0(VALU_DEP_2) | instskip(NEXT) | instid1(VALU_DEP_4)
	v_mad_u32 v10, v3, s41, v10
	v_mad_u32 v2, v3, s40, v2
	s_delay_alu instid0(VALU_DEP_3) | instskip(NEXT) | instid1(VALU_DEP_1)
	v_sub_nc_u32_e32 v3, v8, v7
	v_mad_u32 v10, v3, s43, v10
	s_delay_alu instid0(VALU_DEP_3)
	v_mad_u32 v2, v3, s42, v2
	s_cbranch_scc1 .LBB356_1115
; %bb.1116:
	s_delay_alu instid0(VALU_DEP_2)
	v_mov_b32_e32 v3, v10
	s_and_b32 s4, s1, 3
	s_mov_b32 s1, 0
	s_cmp_eq_u32 s4, 0
	s_cbranch_scc0 .LBB356_1120
	s_branch .LBB356_1123
.LBB356_1117:
	s_mov_b32 s6, -1
                                        ; implicit-def: $vgpr10
                                        ; implicit-def: $vgpr2
	s_branch .LBB356_1123
.LBB356_1118:
	v_dual_mov_b32 v10, 0 :: v_dual_mov_b32 v2, 0
	s_branch .LBB356_1123
.LBB356_1119:
	v_mov_b64_e32 v[2:3], 0
	v_mov_b32_e32 v5, v0
	s_mov_b32 s0, 0
                                        ; implicit-def: $vgpr10
	s_and_b32 s4, s1, 3
	s_mov_b32 s1, 0
	s_cmp_eq_u32 s4, 0
	s_cbranch_scc1 .LBB356_1123
.LBB356_1120:
	s_lshl_b32 s2, s0, 3
	s_mov_b32 s3, s1
	s_mul_u64 s[10:11], s[0:1], 12
	s_add_nc_u64 s[2:3], s[16:17], s[2:3]
	s_delay_alu instid0(SALU_CYCLE_1)
	s_add_nc_u64 s[0:1], s[2:3], 0xc4
	s_add_nc_u64 s[2:3], s[16:17], s[10:11]
.LBB356_1121:                           ; =>This Inner Loop Header: Depth=1
	s_load_b96 s[12:14], s[2:3], 0x4
	s_load_b64 s[10:11], s[0:1], 0x0
	s_add_co_i32 s4, s4, -1
	s_wait_xcnt 0x0
	s_add_nc_u64 s[2:3], s[2:3], 12
	s_cmp_lg_u32 s4, 0
	s_add_nc_u64 s[0:1], s[0:1], 8
	s_wait_kmcnt 0x0
	v_mul_hi_u32 v7, s13, v5
	s_delay_alu instid0(VALU_DEP_1) | instskip(NEXT) | instid1(VALU_DEP_1)
	v_add_nc_u32_e32 v7, v5, v7
	v_lshrrev_b32_e32 v7, s14, v7
	s_delay_alu instid0(VALU_DEP_1) | instskip(NEXT) | instid1(VALU_DEP_1)
	v_mul_lo_u32 v8, v7, s12
	v_sub_nc_u32_e32 v5, v5, v8
	s_delay_alu instid0(VALU_DEP_1)
	v_mad_u32 v3, v5, s11, v3
	v_mad_u32 v2, v5, s10, v2
	v_mov_b32_e32 v5, v7
	s_cbranch_scc1 .LBB356_1121
; %bb.1122:
	s_delay_alu instid0(VALU_DEP_3)
	v_mov_b32_e32 v10, v3
.LBB356_1123:
	s_and_not1_b32 vcc_lo, exec_lo, s6
	s_cbranch_vccnz .LBB356_1126
; %bb.1124:
	s_clause 0x1
	s_load_b96 s[0:2], s[16:17], 0x4
	s_load_b64 s[4:5], s[16:17], 0xc4
	s_cmp_lt_u32 s33, 2
	s_wait_kmcnt 0x0
	v_mul_hi_u32 v2, s1, v0
	s_delay_alu instid0(VALU_DEP_1) | instskip(NEXT) | instid1(VALU_DEP_1)
	v_add_nc_u32_e32 v2, v0, v2
	v_lshrrev_b32_e32 v3, s2, v2
	s_delay_alu instid0(VALU_DEP_1) | instskip(NEXT) | instid1(VALU_DEP_1)
	v_mul_lo_u32 v2, v3, s0
	v_sub_nc_u32_e32 v0, v0, v2
	s_delay_alu instid0(VALU_DEP_1)
	v_mul_lo_u32 v10, v0, s5
	v_mul_lo_u32 v2, v0, s4
	s_cbranch_scc1 .LBB356_1126
; %bb.1125:
	s_clause 0x1
	s_load_b96 s[0:2], s[16:17], 0x10
	s_load_b64 s[4:5], s[16:17], 0xcc
	s_wait_kmcnt 0x0
	v_mul_hi_u32 v0, s1, v3
	s_delay_alu instid0(VALU_DEP_1) | instskip(NEXT) | instid1(VALU_DEP_1)
	v_add_nc_u32_e32 v0, v3, v0
	v_lshrrev_b32_e32 v0, s2, v0
	s_delay_alu instid0(VALU_DEP_1) | instskip(NEXT) | instid1(VALU_DEP_1)
	v_mul_lo_u32 v0, v0, s0
	v_sub_nc_u32_e32 v0, v3, v0
	s_delay_alu instid0(VALU_DEP_1)
	v_mad_u32 v2, v0, s4, v2
	v_mad_u32 v10, v0, s5, v10
.LBB356_1126:
	v_cmp_ne_u32_e32 vcc_lo, 1, v1
	s_cbranch_vccnz .LBB356_1132
; %bb.1127:
	s_cmp_lg_u32 s33, 0
	s_mov_b32 s6, 0
	s_cbranch_scc0 .LBB356_1133
; %bb.1128:
	s_min_u32 s1, s34, 15
	s_delay_alu instid0(SALU_CYCLE_1)
	s_add_co_i32 s1, s1, 1
	s_cmp_eq_u32 s34, 2
	s_cbranch_scc1 .LBB356_1134
; %bb.1129:
	v_dual_mov_b32 v0, 0 :: v_dual_mov_b32 v8, 0
	v_mov_b32_e32 v3, v9
	s_and_b32 s0, s1, 28
	s_add_nc_u64 s[2:3], s[16:17], 0xc4
	s_mov_b32 s7, 0
	s_mov_b64 s[4:5], s[16:17]
.LBB356_1130:                           ; =>This Inner Loop Header: Depth=1
	s_clause 0x1
	s_load_b256 s[20:27], s[4:5], 0x4
	s_load_b128 s[12:15], s[4:5], 0x24
	s_load_b256 s[36:43], s[2:3], 0x0
	s_add_co_i32 s7, s7, 4
	s_wait_xcnt 0x0
	s_add_nc_u64 s[4:5], s[4:5], 48
	s_cmp_lg_u32 s0, s7
	s_add_nc_u64 s[2:3], s[2:3], 32
	s_wait_kmcnt 0x0
	v_mul_hi_u32 v1, s21, v3
	s_delay_alu instid0(VALU_DEP_1) | instskip(NEXT) | instid1(VALU_DEP_1)
	v_add_nc_u32_e32 v1, v3, v1
	v_lshrrev_b32_e32 v1, s22, v1
	s_delay_alu instid0(VALU_DEP_1) | instskip(NEXT) | instid1(VALU_DEP_1)
	v_mul_lo_u32 v11, v1, s20
	v_sub_nc_u32_e32 v3, v3, v11
	v_mul_hi_u32 v5, s24, v1
	s_delay_alu instid0(VALU_DEP_2) | instskip(SKIP_1) | instid1(VALU_DEP_3)
	v_mad_u32 v8, v3, s37, v8
	v_mad_u32 v0, v3, s36, v0
	v_add_nc_u32_e32 v5, v1, v5
	s_delay_alu instid0(VALU_DEP_1) | instskip(NEXT) | instid1(VALU_DEP_1)
	v_lshrrev_b32_e32 v5, s25, v5
	v_mul_lo_u32 v11, v5, s23
	s_delay_alu instid0(VALU_DEP_1) | instskip(SKIP_1) | instid1(VALU_DEP_2)
	v_sub_nc_u32_e32 v1, v1, v11
	v_mul_hi_u32 v7, s27, v5
	v_mad_u32 v8, v1, s39, v8
	v_mad_u32 v0, v1, s38, v0
	s_delay_alu instid0(VALU_DEP_3) | instskip(NEXT) | instid1(VALU_DEP_1)
	v_add_nc_u32_e32 v7, v5, v7
	v_lshrrev_b32_e32 v7, s12, v7
	s_delay_alu instid0(VALU_DEP_1) | instskip(SKIP_1) | instid1(VALU_DEP_1)
	v_mul_hi_u32 v13, s14, v7
	v_mul_lo_u32 v11, v7, s26
	v_dual_add_nc_u32 v3, v7, v13 :: v_dual_sub_nc_u32 v1, v5, v11
	s_delay_alu instid0(VALU_DEP_1) | instskip(NEXT) | instid1(VALU_DEP_2)
	v_lshrrev_b32_e32 v3, s15, v3
	v_mad_u32 v8, v1, s41, v8
	v_mad_u32 v0, v1, s40, v0
	s_delay_alu instid0(VALU_DEP_3) | instskip(NEXT) | instid1(VALU_DEP_1)
	v_mul_lo_u32 v5, v3, s13
	v_sub_nc_u32_e32 v1, v7, v5
	s_delay_alu instid0(VALU_DEP_1) | instskip(NEXT) | instid1(VALU_DEP_4)
	v_mad_u32 v8, v1, s43, v8
	v_mad_u32 v0, v1, s42, v0
	s_cbranch_scc1 .LBB356_1130
; %bb.1131:
	s_delay_alu instid0(VALU_DEP_2)
	v_mov_b32_e32 v1, v8
	s_and_b32 s4, s1, 3
	s_mov_b32 s1, 0
	s_cmp_eq_u32 s4, 0
	s_cbranch_scc0 .LBB356_1135
	s_branch .LBB356_1138
.LBB356_1132:
	s_mov_b32 s6, -1
                                        ; implicit-def: $vgpr8
                                        ; implicit-def: $vgpr0
	s_branch .LBB356_1138
.LBB356_1133:
	v_dual_mov_b32 v8, 0 :: v_dual_mov_b32 v0, 0
	s_branch .LBB356_1138
.LBB356_1134:
	v_mov_b64_e32 v[0:1], 0
	v_mov_b32_e32 v3, v9
	s_mov_b32 s0, 0
                                        ; implicit-def: $vgpr8
	s_and_b32 s4, s1, 3
	s_mov_b32 s1, 0
	s_cmp_eq_u32 s4, 0
	s_cbranch_scc1 .LBB356_1138
.LBB356_1135:
	s_lshl_b32 s2, s0, 3
	s_mov_b32 s3, s1
	s_mul_u64 s[10:11], s[0:1], 12
	s_add_nc_u64 s[2:3], s[16:17], s[2:3]
	s_delay_alu instid0(SALU_CYCLE_1)
	s_add_nc_u64 s[0:1], s[2:3], 0xc4
	s_add_nc_u64 s[2:3], s[16:17], s[10:11]
.LBB356_1136:                           ; =>This Inner Loop Header: Depth=1
	s_load_b96 s[12:14], s[2:3], 0x4
	s_load_b64 s[10:11], s[0:1], 0x0
	s_add_co_i32 s4, s4, -1
	s_wait_xcnt 0x0
	s_add_nc_u64 s[2:3], s[2:3], 12
	s_cmp_lg_u32 s4, 0
	s_add_nc_u64 s[0:1], s[0:1], 8
	s_wait_kmcnt 0x0
	v_mul_hi_u32 v5, s13, v3
	s_delay_alu instid0(VALU_DEP_1) | instskip(NEXT) | instid1(VALU_DEP_1)
	v_add_nc_u32_e32 v5, v3, v5
	v_lshrrev_b32_e32 v5, s14, v5
	s_delay_alu instid0(VALU_DEP_1) | instskip(NEXT) | instid1(VALU_DEP_1)
	v_mul_lo_u32 v7, v5, s12
	v_sub_nc_u32_e32 v3, v3, v7
	s_delay_alu instid0(VALU_DEP_1)
	v_mad_u32 v1, v3, s11, v1
	v_mad_u32 v0, v3, s10, v0
	v_mov_b32_e32 v3, v5
	s_cbranch_scc1 .LBB356_1136
; %bb.1137:
	s_delay_alu instid0(VALU_DEP_3)
	v_mov_b32_e32 v8, v1
.LBB356_1138:
	s_and_not1_b32 vcc_lo, exec_lo, s6
	s_cbranch_vccnz .LBB356_1141
; %bb.1139:
	s_clause 0x1
	s_load_b96 s[0:2], s[16:17], 0x4
	s_load_b64 s[4:5], s[16:17], 0xc4
	s_cmp_lt_u32 s33, 2
	s_wait_kmcnt 0x0
	v_mul_hi_u32 v0, s1, v9
	s_delay_alu instid0(VALU_DEP_1) | instskip(NEXT) | instid1(VALU_DEP_1)
	v_add_nc_u32_e32 v0, v9, v0
	v_lshrrev_b32_e32 v1, s2, v0
	s_delay_alu instid0(VALU_DEP_1) | instskip(NEXT) | instid1(VALU_DEP_1)
	v_mul_lo_u32 v0, v1, s0
	v_sub_nc_u32_e32 v0, v9, v0
	s_delay_alu instid0(VALU_DEP_1)
	v_mul_lo_u32 v8, v0, s5
	v_mul_lo_u32 v0, v0, s4
	s_cbranch_scc1 .LBB356_1141
; %bb.1140:
	s_clause 0x1
	s_load_b96 s[0:2], s[16:17], 0x10
	s_load_b64 s[4:5], s[16:17], 0xcc
	s_wait_kmcnt 0x0
	v_mul_hi_u32 v3, s1, v1
	s_delay_alu instid0(VALU_DEP_1) | instskip(NEXT) | instid1(VALU_DEP_1)
	v_add_nc_u32_e32 v3, v1, v3
	v_lshrrev_b32_e32 v3, s2, v3
	s_delay_alu instid0(VALU_DEP_1) | instskip(NEXT) | instid1(VALU_DEP_1)
	v_mul_lo_u32 v3, v3, s0
	v_sub_nc_u32_e32 v1, v1, v3
	s_delay_alu instid0(VALU_DEP_1)
	v_mad_u32 v0, v1, s4, v0
	v_mad_u32 v8, v1, s5, v8
.LBB356_1141:
	v_mov_b32_e32 v15, 0
	s_load_b128 s[4:7], s[16:17], 0x148
	global_load_u8 v1, v15, s[16:17] offset:353
	s_wait_kmcnt 0x0
	v_add_nc_u64_e32 v[14:15], s[6:7], v[14:15]
	s_wait_loadcnt 0x0
	v_and_b32_e32 v3, 0xffff, v1
	v_readfirstlane_b32 s0, v1
	s_delay_alu instid0(VALU_DEP_2)
	v_cmp_gt_i32_e32 vcc_lo, 11, v3
	s_cbranch_vccnz .LBB356_1148
; %bb.1142:
	s_and_b32 s1, 0xffff, s0
	s_mov_b32 s10, 0
	s_cmp_gt_i32 s1, 25
	s_cbranch_scc0 .LBB356_1150
; %bb.1143:
	s_cmp_gt_i32 s1, 28
	s_cbranch_scc0 .LBB356_1151
; %bb.1144:
	;; [unrolled: 3-line block ×4, first 2 shown]
	s_cmp_eq_u32 s1, 46
	s_mov_b32 s3, 0
	s_cbranch_scc0 .LBB356_1156
; %bb.1147:
	global_load_b32 v1, v[14:15], off
	s_mov_b32 s2, 0
	s_mov_b32 s11, -1
	s_wait_loadcnt 0x0
	v_lshlrev_b32_e32 v1, 16, v1
	s_delay_alu instid0(VALU_DEP_1)
	v_cvt_u32_f32_e32 v5, v1
	s_branch .LBB356_1158
.LBB356_1148:
	s_mov_b32 s11, 0
	s_mov_b32 s3, s8
                                        ; implicit-def: $vgpr5
	s_cbranch_execnz .LBB356_1216
.LBB356_1149:
	s_and_not1_b32 vcc_lo, exec_lo, s11
	s_cbranch_vccz .LBB356_1261
	s_branch .LBB356_2072
.LBB356_1150:
	s_mov_b32 s11, 0
	s_mov_b32 s2, 0
                                        ; implicit-def: $vgpr5
	s_cbranch_execnz .LBB356_1183
	s_branch .LBB356_1212
.LBB356_1151:
	s_mov_b32 s11, 0
	s_mov_b32 s2, 0
                                        ; implicit-def: $vgpr5
	s_cbranch_execz .LBB356_1182
	s_branch .LBB356_1167
.LBB356_1152:
	s_mov_b32 s11, 0
	s_mov_b32 s2, 0
                                        ; implicit-def: $vgpr5
	s_cbranch_execnz .LBB356_1163
	s_branch .LBB356_1166
.LBB356_1153:
	s_mov_b32 s3, -1
	s_mov_b32 s11, 0
	s_mov_b32 s2, 0
	s_branch .LBB356_1157
.LBB356_1154:
	s_and_not1_saveexec_b32 s5, s5
	s_cbranch_execz .LBB356_993
.LBB356_1155:
	v_add_f32_e32 v2, 0x46000000, v3
	s_and_not1_b32 s4, s4, exec_lo
	s_delay_alu instid0(VALU_DEP_1) | instskip(NEXT) | instid1(VALU_DEP_1)
	v_and_b32_e32 v2, 0xff, v2
	v_cmp_ne_u32_e32 vcc_lo, 0, v2
	s_and_b32 s9, vcc_lo, exec_lo
	s_delay_alu instid0(SALU_CYCLE_1)
	s_or_b32 s4, s4, s9
	s_or_b32 exec_lo, exec_lo, s5
	v_mov_b32_e32 v4, 0
	s_and_saveexec_b32 s5, s4
	s_cbranch_execnz .LBB356_994
	s_branch .LBB356_995
.LBB356_1156:
	s_mov_b32 s2, -1
	s_mov_b32 s11, 0
.LBB356_1157:
                                        ; implicit-def: $vgpr5
.LBB356_1158:
	s_and_b32 vcc_lo, exec_lo, s3
	s_cbranch_vccz .LBB356_1161
; %bb.1159:
	s_cmp_eq_u32 s1, 44
	s_cbranch_scc0 .LBB356_1162
; %bb.1160:
	global_load_u8 v1, v[14:15], off
	s_mov_b32 s2, 0
	s_mov_b32 s11, -1
	s_wait_loadcnt 0x0
	v_lshlrev_b32_e32 v3, 23, v1
	v_cmp_ne_u32_e32 vcc_lo, 0, v1
	s_delay_alu instid0(VALU_DEP_2) | instskip(NEXT) | instid1(VALU_DEP_1)
	v_cvt_u32_f32_e32 v3, v3
	v_cndmask_b32_e32 v5, 0, v3, vcc_lo
.LBB356_1161:
	s_branch .LBB356_1166
.LBB356_1162:
	s_mov_b32 s2, -1
                                        ; implicit-def: $vgpr5
	s_branch .LBB356_1166
.LBB356_1163:
	s_cmp_eq_u32 s1, 29
	s_cbranch_scc0 .LBB356_1165
; %bb.1164:
	global_load_b32 v5, v[14:15], off
	s_mov_b32 s2, 0
	s_mov_b32 s11, -1
	s_branch .LBB356_1166
.LBB356_1165:
	s_mov_b32 s2, -1
                                        ; implicit-def: $vgpr5
.LBB356_1166:
	s_branch .LBB356_1182
.LBB356_1167:
	s_cmp_lt_i32 s1, 27
	s_cbranch_scc1 .LBB356_1170
; %bb.1168:
	s_cmp_gt_i32 s1, 27
	s_cbranch_scc0 .LBB356_1171
; %bb.1169:
	s_wait_loadcnt 0x0
	global_load_b32 v5, v[14:15], off
	s_mov_b32 s3, 0
	s_branch .LBB356_1172
.LBB356_1170:
	s_mov_b32 s3, -1
                                        ; implicit-def: $vgpr5
	s_branch .LBB356_1175
.LBB356_1171:
	s_mov_b32 s3, -1
                                        ; implicit-def: $vgpr5
.LBB356_1172:
	s_delay_alu instid0(SALU_CYCLE_1)
	s_and_not1_b32 vcc_lo, exec_lo, s3
	s_cbranch_vccnz .LBB356_1174
; %bb.1173:
	s_wait_loadcnt 0x0
	global_load_u16 v5, v[14:15], off
.LBB356_1174:
	s_mov_b32 s3, 0
.LBB356_1175:
	s_delay_alu instid0(SALU_CYCLE_1)
	s_and_not1_b32 vcc_lo, exec_lo, s3
	s_cbranch_vccnz .LBB356_1181
; %bb.1176:
	global_load_u8 v1, v[14:15], off
	s_mov_b32 s11, 0
	s_mov_b32 s3, exec_lo
	s_wait_loadcnt 0x0
	v_cmpx_lt_i16_e32 0x7f, v1
	s_xor_b32 s3, exec_lo, s3
	s_cbranch_execz .LBB356_1192
; %bb.1177:
	v_cmp_ne_u16_e32 vcc_lo, 0x80, v1
	s_and_b32 s11, vcc_lo, exec_lo
	s_and_not1_saveexec_b32 s3, s3
	s_cbranch_execnz .LBB356_1193
.LBB356_1178:
	s_or_b32 exec_lo, exec_lo, s3
	v_mov_b32_e32 v5, 0
	s_and_saveexec_b32 s3, s11
	s_cbranch_execz .LBB356_1180
.LBB356_1179:
	v_and_b32_e32 v3, 0xffff, v1
	s_delay_alu instid0(VALU_DEP_1) | instskip(SKIP_1) | instid1(VALU_DEP_2)
	v_dual_lshlrev_b32 v1, 24, v1 :: v_dual_bitop2_b32 v5, 7, v3 bitop3:0x40
	v_bfe_u32 v11, v3, 3, 4
	v_and_b32_e32 v1, 0x80000000, v1
	s_delay_alu instid0(VALU_DEP_3) | instskip(NEXT) | instid1(VALU_DEP_3)
	v_clz_i32_u32_e32 v7, v5
	v_cmp_eq_u32_e32 vcc_lo, 0, v11
	s_delay_alu instid0(VALU_DEP_2) | instskip(NEXT) | instid1(VALU_DEP_1)
	v_min_u32_e32 v7, 32, v7
	v_subrev_nc_u32_e32 v9, 28, v7
	v_sub_nc_u32_e32 v7, 29, v7
	s_delay_alu instid0(VALU_DEP_2) | instskip(NEXT) | instid1(VALU_DEP_2)
	v_lshlrev_b32_e32 v3, v9, v3
	v_cndmask_b32_e32 v7, v11, v7, vcc_lo
	s_delay_alu instid0(VALU_DEP_2) | instskip(NEXT) | instid1(VALU_DEP_1)
	v_and_b32_e32 v3, 7, v3
	v_cndmask_b32_e32 v3, v5, v3, vcc_lo
	s_delay_alu instid0(VALU_DEP_3) | instskip(NEXT) | instid1(VALU_DEP_2)
	v_lshl_add_u32 v5, v7, 23, 0x3b800000
	v_lshlrev_b32_e32 v3, 20, v3
	s_delay_alu instid0(VALU_DEP_1) | instskip(NEXT) | instid1(VALU_DEP_1)
	v_or3_b32 v1, v1, v5, v3
	v_cvt_u32_f32_e32 v5, v1
.LBB356_1180:
	s_or_b32 exec_lo, exec_lo, s3
.LBB356_1181:
	s_mov_b32 s11, -1
.LBB356_1182:
	s_branch .LBB356_1212
.LBB356_1183:
	s_cmp_gt_i32 s1, 22
	s_cbranch_scc0 .LBB356_1191
; %bb.1184:
	s_cmp_lt_i32 s1, 24
	s_cbranch_scc1 .LBB356_1194
; %bb.1185:
	s_cmp_gt_i32 s1, 24
	s_cbranch_scc0 .LBB356_1195
; %bb.1186:
	global_load_u8 v1, v[14:15], off
	s_mov_b32 s3, exec_lo
	s_wait_loadcnt 0x0
	v_cmpx_lt_i16_e32 0x7f, v1
	s_xor_b32 s3, exec_lo, s3
	s_cbranch_execz .LBB356_1206
; %bb.1187:
	v_cmp_ne_u16_e32 vcc_lo, 0x80, v1
	s_and_b32 s10, vcc_lo, exec_lo
	s_and_not1_saveexec_b32 s3, s3
	s_cbranch_execnz .LBB356_1207
.LBB356_1188:
	s_or_b32 exec_lo, exec_lo, s3
	v_mov_b32_e32 v5, 0
	s_and_saveexec_b32 s3, s10
	s_cbranch_execz .LBB356_1190
.LBB356_1189:
	v_and_b32_e32 v3, 0xffff, v1
	s_delay_alu instid0(VALU_DEP_1) | instskip(SKIP_1) | instid1(VALU_DEP_2)
	v_dual_lshlrev_b32 v1, 24, v1 :: v_dual_bitop2_b32 v5, 3, v3 bitop3:0x40
	v_bfe_u32 v11, v3, 2, 5
	v_and_b32_e32 v1, 0x80000000, v1
	s_delay_alu instid0(VALU_DEP_3) | instskip(NEXT) | instid1(VALU_DEP_3)
	v_clz_i32_u32_e32 v7, v5
	v_cmp_eq_u32_e32 vcc_lo, 0, v11
	s_delay_alu instid0(VALU_DEP_2) | instskip(NEXT) | instid1(VALU_DEP_1)
	v_min_u32_e32 v7, 32, v7
	v_subrev_nc_u32_e32 v9, 29, v7
	v_sub_nc_u32_e32 v7, 30, v7
	s_delay_alu instid0(VALU_DEP_2) | instskip(NEXT) | instid1(VALU_DEP_2)
	v_lshlrev_b32_e32 v3, v9, v3
	v_cndmask_b32_e32 v7, v11, v7, vcc_lo
	s_delay_alu instid0(VALU_DEP_2) | instskip(NEXT) | instid1(VALU_DEP_1)
	v_and_b32_e32 v3, 3, v3
	v_cndmask_b32_e32 v3, v5, v3, vcc_lo
	s_delay_alu instid0(VALU_DEP_3) | instskip(NEXT) | instid1(VALU_DEP_2)
	v_lshl_add_u32 v5, v7, 23, 0x37800000
	v_lshlrev_b32_e32 v3, 21, v3
	s_delay_alu instid0(VALU_DEP_1) | instskip(NEXT) | instid1(VALU_DEP_1)
	v_or3_b32 v1, v1, v5, v3
	v_cvt_u32_f32_e32 v5, v1
.LBB356_1190:
	s_or_b32 exec_lo, exec_lo, s3
	s_mov_b32 s3, 0
	s_branch .LBB356_1196
.LBB356_1191:
                                        ; implicit-def: $vgpr5
	s_mov_b32 s10, 0
	s_branch .LBB356_1202
.LBB356_1192:
	s_and_not1_saveexec_b32 s3, s3
	s_cbranch_execz .LBB356_1178
.LBB356_1193:
	v_cmp_ne_u16_e32 vcc_lo, 0, v1
	s_and_not1_b32 s11, s11, exec_lo
	s_and_b32 s12, vcc_lo, exec_lo
	s_delay_alu instid0(SALU_CYCLE_1)
	s_or_b32 s11, s11, s12
	s_or_b32 exec_lo, exec_lo, s3
	v_mov_b32_e32 v5, 0
	s_and_saveexec_b32 s3, s11
	s_cbranch_execnz .LBB356_1179
	s_branch .LBB356_1180
.LBB356_1194:
	s_mov_b32 s3, -1
                                        ; implicit-def: $vgpr5
	s_branch .LBB356_1199
.LBB356_1195:
	s_mov_b32 s3, -1
                                        ; implicit-def: $vgpr5
.LBB356_1196:
	s_delay_alu instid0(SALU_CYCLE_1)
	s_and_b32 vcc_lo, exec_lo, s3
	s_cbranch_vccz .LBB356_1198
; %bb.1197:
	global_load_u8 v1, v[14:15], off
	s_wait_loadcnt 0x0
	v_lshlrev_b32_e32 v1, 24, v1
	s_delay_alu instid0(VALU_DEP_1) | instskip(NEXT) | instid1(VALU_DEP_1)
	v_and_b32_e32 v3, 0x7f000000, v1
	v_clz_i32_u32_e32 v5, v3
	v_add_nc_u32_e32 v9, 0x1000000, v3
	v_cmp_ne_u32_e32 vcc_lo, 0, v3
	s_delay_alu instid0(VALU_DEP_3) | instskip(NEXT) | instid1(VALU_DEP_1)
	v_min_u32_e32 v5, 32, v5
	v_sub_nc_u32_e64 v5, v5, 4 clamp
	s_delay_alu instid0(VALU_DEP_1) | instskip(NEXT) | instid1(VALU_DEP_1)
	v_dual_lshlrev_b32 v7, v5, v3 :: v_dual_lshlrev_b32 v5, 23, v5
	v_lshrrev_b32_e32 v7, 4, v7
	s_delay_alu instid0(VALU_DEP_1) | instskip(SKIP_1) | instid1(VALU_DEP_2)
	v_sub_nc_u32_e32 v5, v7, v5
	v_ashrrev_i32_e32 v7, 8, v9
	v_add_nc_u32_e32 v5, 0x3c000000, v5
	s_delay_alu instid0(VALU_DEP_1) | instskip(NEXT) | instid1(VALU_DEP_1)
	v_and_or_b32 v5, 0x7f800000, v7, v5
	v_cndmask_b32_e32 v3, 0, v5, vcc_lo
	s_delay_alu instid0(VALU_DEP_1) | instskip(NEXT) | instid1(VALU_DEP_1)
	v_and_or_b32 v1, 0x80000000, v1, v3
	v_cvt_u32_f32_e32 v5, v1
.LBB356_1198:
	s_mov_b32 s3, 0
.LBB356_1199:
	s_delay_alu instid0(SALU_CYCLE_1)
	s_and_not1_b32 vcc_lo, exec_lo, s3
	s_cbranch_vccnz .LBB356_1201
; %bb.1200:
	global_load_u8 v1, v[14:15], off
	s_wait_loadcnt 0x0
	v_lshlrev_b32_e32 v3, 25, v1
	v_lshlrev_b16 v1, 8, v1
	s_delay_alu instid0(VALU_DEP_1) | instskip(SKIP_1) | instid1(VALU_DEP_2)
	v_and_or_b32 v7, 0x7f00, v1, 0.5
	v_bfe_i32 v1, v1, 0, 16
	v_add_f32_e32 v7, -0.5, v7
	v_lshrrev_b32_e32 v5, 4, v3
	v_cmp_gt_u32_e32 vcc_lo, 0x8000000, v3
	s_delay_alu instid0(VALU_DEP_2) | instskip(NEXT) | instid1(VALU_DEP_1)
	v_or_b32_e32 v5, 0x70000000, v5
	v_mul_f32_e32 v5, 0x7800000, v5
	s_delay_alu instid0(VALU_DEP_1) | instskip(NEXT) | instid1(VALU_DEP_1)
	v_cndmask_b32_e32 v3, v5, v7, vcc_lo
	v_and_or_b32 v1, 0x80000000, v1, v3
	s_delay_alu instid0(VALU_DEP_1)
	v_cvt_u32_f32_e32 v5, v1
.LBB356_1201:
	s_mov_b32 s11, -1
	s_mov_b32 s10, 0
	s_cbranch_execnz .LBB356_1212
.LBB356_1202:
	s_cmp_gt_i32 s1, 14
	s_cbranch_scc0 .LBB356_1205
; %bb.1203:
	s_cmp_eq_u32 s1, 15
	s_cbranch_scc0 .LBB356_1208
; %bb.1204:
	global_load_u16 v1, v[14:15], off
	s_mov_b32 s2, 0
	s_mov_b32 s11, -1
	s_wait_loadcnt 0x0
	v_lshlrev_b32_e32 v1, 16, v1
	s_delay_alu instid0(VALU_DEP_1)
	v_cvt_u32_f32_e32 v5, v1
	s_branch .LBB356_1209
.LBB356_1205:
	s_mov_b32 s3, -1
                                        ; implicit-def: $vgpr5
	s_branch .LBB356_1210
.LBB356_1206:
	s_and_not1_saveexec_b32 s3, s3
	s_cbranch_execz .LBB356_1188
.LBB356_1207:
	v_cmp_ne_u16_e32 vcc_lo, 0, v1
	s_and_not1_b32 s10, s10, exec_lo
	s_and_b32 s11, vcc_lo, exec_lo
	s_delay_alu instid0(SALU_CYCLE_1)
	s_or_b32 s10, s10, s11
	s_or_b32 exec_lo, exec_lo, s3
	v_mov_b32_e32 v5, 0
	s_and_saveexec_b32 s3, s10
	s_cbranch_execnz .LBB356_1189
	s_branch .LBB356_1190
.LBB356_1208:
	s_mov_b32 s2, -1
                                        ; implicit-def: $vgpr5
.LBB356_1209:
	s_mov_b32 s3, 0
.LBB356_1210:
	s_delay_alu instid0(SALU_CYCLE_1)
	s_and_b32 vcc_lo, exec_lo, s3
	s_cbranch_vccz .LBB356_1212
; %bb.1211:
	s_cmp_lg_u32 s1, 11
	s_mov_b32 s10, -1
	s_cselect_b32 s2, -1, 0
.LBB356_1212:
	s_delay_alu instid0(SALU_CYCLE_1)
	s_and_b32 vcc_lo, exec_lo, s2
	s_mov_b32 s3, s8
	s_cbranch_vccnz .LBB356_1273
; %bb.1213:
	s_and_not1_b32 vcc_lo, exec_lo, s10
	s_cbranch_vccnz .LBB356_1215
.LBB356_1214:
	global_load_u8 v1, v[14:15], off
	s_mov_b32 s11, -1
	s_wait_loadcnt 0x0
	v_cmp_ne_u16_e32 vcc_lo, 0, v1
	v_cndmask_b32_e64 v5, 0, 1, vcc_lo
.LBB356_1215:
	s_branch .LBB356_1149
.LBB356_1216:
	s_and_b32 s1, 0xffff, s0
	s_delay_alu instid0(SALU_CYCLE_1)
	s_cmp_lt_i32 s1, 5
	s_cbranch_scc1 .LBB356_1221
; %bb.1217:
	s_cmp_lt_i32 s1, 8
	s_cbranch_scc1 .LBB356_1222
; %bb.1218:
	;; [unrolled: 3-line block ×3, first 2 shown]
	s_cmp_gt_i32 s1, 9
	s_cbranch_scc0 .LBB356_1224
; %bb.1220:
	global_load_b64 v[16:17], v[14:15], off
	s_mov_b32 s2, 0
	s_wait_loadcnt 0x0
	v_cvt_u32_f64_e32 v5, v[16:17]
	s_branch .LBB356_1225
.LBB356_1221:
                                        ; implicit-def: $vgpr5
	s_branch .LBB356_1242
.LBB356_1222:
                                        ; implicit-def: $vgpr5
	s_branch .LBB356_1231
.LBB356_1223:
	s_mov_b32 s2, -1
                                        ; implicit-def: $vgpr5
	s_branch .LBB356_1228
.LBB356_1224:
	s_mov_b32 s2, -1
                                        ; implicit-def: $vgpr5
.LBB356_1225:
	s_delay_alu instid0(SALU_CYCLE_1)
	s_and_not1_b32 vcc_lo, exec_lo, s2
	s_cbranch_vccnz .LBB356_1227
; %bb.1226:
	global_load_b32 v1, v[14:15], off
	s_wait_loadcnt 0x0
	v_cvt_u32_f32_e32 v5, v1
.LBB356_1227:
	s_mov_b32 s2, 0
.LBB356_1228:
	s_delay_alu instid0(SALU_CYCLE_1)
	s_and_not1_b32 vcc_lo, exec_lo, s2
	s_cbranch_vccnz .LBB356_1230
; %bb.1229:
	global_load_b32 v1, v[14:15], off
	s_wait_loadcnt 0x0
	v_cvt_f32_f16_e32 v1, v1
	s_delay_alu instid0(VALU_DEP_1)
	v_cvt_u32_f32_e32 v5, v1
.LBB356_1230:
	s_cbranch_execnz .LBB356_1241
.LBB356_1231:
	s_cmp_lt_i32 s1, 6
	s_cbranch_scc1 .LBB356_1234
; %bb.1232:
	s_cmp_gt_i32 s1, 6
	s_cbranch_scc0 .LBB356_1235
; %bb.1233:
	global_load_b64 v[16:17], v[14:15], off
	s_mov_b32 s2, 0
	s_wait_loadcnt 0x0
	v_cvt_u32_f64_e32 v5, v[16:17]
	s_branch .LBB356_1236
.LBB356_1234:
	s_mov_b32 s2, -1
                                        ; implicit-def: $vgpr5
	s_branch .LBB356_1239
.LBB356_1235:
	s_mov_b32 s2, -1
                                        ; implicit-def: $vgpr5
.LBB356_1236:
	s_delay_alu instid0(SALU_CYCLE_1)
	s_and_not1_b32 vcc_lo, exec_lo, s2
	s_cbranch_vccnz .LBB356_1238
; %bb.1237:
	global_load_b32 v1, v[14:15], off
	s_wait_loadcnt 0x0
	v_cvt_u32_f32_e32 v5, v1
.LBB356_1238:
	s_mov_b32 s2, 0
.LBB356_1239:
	s_delay_alu instid0(SALU_CYCLE_1)
	s_and_not1_b32 vcc_lo, exec_lo, s2
	s_cbranch_vccnz .LBB356_1241
; %bb.1240:
	global_load_u16 v1, v[14:15], off
	s_wait_loadcnt 0x0
	v_cvt_f32_f16_e32 v1, v1
	s_delay_alu instid0(VALU_DEP_1)
	v_cvt_u32_f32_e32 v5, v1
.LBB356_1241:
	s_cbranch_execnz .LBB356_1260
.LBB356_1242:
	s_cmp_lt_i32 s1, 2
	s_cbranch_scc1 .LBB356_1246
; %bb.1243:
	s_cmp_lt_i32 s1, 3
	s_cbranch_scc1 .LBB356_1247
; %bb.1244:
	s_cmp_gt_i32 s1, 3
	s_cbranch_scc0 .LBB356_1248
; %bb.1245:
	s_wait_loadcnt 0x0
	global_load_b32 v5, v[14:15], off
	s_mov_b32 s2, 0
	s_branch .LBB356_1249
.LBB356_1246:
                                        ; implicit-def: $vgpr5
	s_branch .LBB356_1255
.LBB356_1247:
	s_mov_b32 s2, -1
                                        ; implicit-def: $vgpr5
	s_branch .LBB356_1252
.LBB356_1248:
	s_mov_b32 s2, -1
                                        ; implicit-def: $vgpr5
.LBB356_1249:
	s_delay_alu instid0(SALU_CYCLE_1)
	s_and_not1_b32 vcc_lo, exec_lo, s2
	s_cbranch_vccnz .LBB356_1251
; %bb.1250:
	s_wait_loadcnt 0x0
	global_load_b32 v5, v[14:15], off
.LBB356_1251:
	s_mov_b32 s2, 0
.LBB356_1252:
	s_delay_alu instid0(SALU_CYCLE_1)
	s_and_not1_b32 vcc_lo, exec_lo, s2
	s_cbranch_vccnz .LBB356_1254
; %bb.1253:
	s_wait_loadcnt 0x0
	global_load_i16 v5, v[14:15], off
.LBB356_1254:
	s_cbranch_execnz .LBB356_1260
.LBB356_1255:
	s_cmp_gt_i32 s1, 0
	s_mov_b32 s1, 0
	s_cbranch_scc0 .LBB356_1257
; %bb.1256:
	s_wait_loadcnt 0x0
	global_load_i8 v5, v[14:15], off
	s_branch .LBB356_1258
.LBB356_1257:
	s_mov_b32 s1, -1
                                        ; implicit-def: $vgpr5
.LBB356_1258:
	s_delay_alu instid0(SALU_CYCLE_1)
	s_and_not1_b32 vcc_lo, exec_lo, s1
	s_cbranch_vccnz .LBB356_1260
; %bb.1259:
	s_wait_loadcnt 0x0
	global_load_u8 v5, v[14:15], off
.LBB356_1260:
.LBB356_1261:
	v_mov_b32_e32 v13, 0
	s_and_b32 s0, 0xffff, s0
	s_delay_alu instid0(SALU_CYCLE_1) | instskip(NEXT) | instid1(VALU_DEP_1)
	s_cmp_lt_i32 s0, 11
	v_add_nc_u64_e32 v[12:13], s[6:7], v[12:13]
	s_cbranch_scc1 .LBB356_1268
; %bb.1262:
	s_cmp_gt_i32 s0, 25
	s_mov_b32 s2, 0
	s_cbranch_scc0 .LBB356_1270
; %bb.1263:
	s_cmp_gt_i32 s0, 28
	s_cbranch_scc0 .LBB356_1271
; %bb.1264:
	s_cmp_gt_i32 s0, 43
	;; [unrolled: 3-line block ×3, first 2 shown]
	s_cbranch_scc0 .LBB356_1274
; %bb.1266:
	s_cmp_eq_u32 s0, 46
	s_mov_b32 s11, 0
	s_cbranch_scc0 .LBB356_1277
; %bb.1267:
	global_load_b32 v1, v[12:13], off
	s_mov_b32 s1, 0
	s_mov_b32 s10, -1
	s_wait_loadcnt 0x0
	v_lshlrev_b32_e32 v1, 16, v1
	s_delay_alu instid0(VALU_DEP_1)
	v_cvt_u32_f32_e32 v3, v1
	s_branch .LBB356_1279
.LBB356_1268:
	s_mov_b32 s10, 0
                                        ; implicit-def: $vgpr3
	s_cbranch_execnz .LBB356_1340
.LBB356_1269:
	s_and_not1_b32 vcc_lo, exec_lo, s10
	s_cbranch_vccnz .LBB356_2072
	s_branch .LBB356_1387
.LBB356_1270:
	s_mov_b32 s10, 0
	s_mov_b32 s1, 0
                                        ; implicit-def: $vgpr3
	s_cbranch_execnz .LBB356_1306
	s_branch .LBB356_1336
.LBB356_1271:
	s_mov_b32 s11, -1
	s_mov_b32 s10, 0
	s_mov_b32 s1, 0
                                        ; implicit-def: $vgpr3
	s_branch .LBB356_1289
.LBB356_1272:
	s_mov_b32 s11, -1
	s_mov_b32 s10, 0
	s_mov_b32 s1, 0
                                        ; implicit-def: $vgpr3
	s_branch .LBB356_1284
.LBB356_1273:
	s_or_b32 s3, s8, exec_lo
	s_trap 2
	s_cbranch_execz .LBB356_1214
	s_branch .LBB356_1215
.LBB356_1274:
	s_mov_b32 s11, -1
	s_mov_b32 s10, 0
	s_mov_b32 s1, 0
	s_branch .LBB356_1278
.LBB356_1275:
	s_and_not1_saveexec_b32 s9, s9
	s_cbranch_execz .LBB356_1005
.LBB356_1276:
	v_add_f32_e32 v2, 0x42800000, v3
	s_and_not1_b32 s5, s5, exec_lo
	s_delay_alu instid0(VALU_DEP_1) | instskip(NEXT) | instid1(VALU_DEP_1)
	v_and_b32_e32 v2, 0xff, v2
	v_cmp_ne_u32_e32 vcc_lo, 0, v2
	s_and_b32 s11, vcc_lo, exec_lo
	s_delay_alu instid0(SALU_CYCLE_1)
	s_or_b32 s5, s5, s11
	s_or_b32 exec_lo, exec_lo, s9
	v_mov_b32_e32 v4, 0
	s_and_saveexec_b32 s9, s5
	s_cbranch_execnz .LBB356_1006
	s_branch .LBB356_1007
.LBB356_1277:
	s_mov_b32 s1, -1
	s_mov_b32 s10, 0
.LBB356_1278:
                                        ; implicit-def: $vgpr3
.LBB356_1279:
	s_and_b32 vcc_lo, exec_lo, s11
	s_cbranch_vccz .LBB356_1283
; %bb.1280:
	s_cmp_eq_u32 s0, 44
	s_cbranch_scc0 .LBB356_1282
; %bb.1281:
	global_load_u8 v1, v[12:13], off
	s_mov_b32 s1, 0
	s_mov_b32 s10, -1
	s_wait_loadcnt 0x0
	v_lshlrev_b32_e32 v3, 23, v1
	v_cmp_ne_u32_e32 vcc_lo, 0, v1
	s_delay_alu instid0(VALU_DEP_2) | instskip(NEXT) | instid1(VALU_DEP_1)
	v_cvt_u32_f32_e32 v3, v3
	v_cndmask_b32_e32 v3, 0, v3, vcc_lo
	s_branch .LBB356_1283
.LBB356_1282:
	s_mov_b32 s1, -1
                                        ; implicit-def: $vgpr3
.LBB356_1283:
	s_mov_b32 s11, 0
.LBB356_1284:
	s_delay_alu instid0(SALU_CYCLE_1)
	s_and_b32 vcc_lo, exec_lo, s11
	s_cbranch_vccz .LBB356_1288
; %bb.1285:
	s_cmp_eq_u32 s0, 29
	s_cbranch_scc0 .LBB356_1287
; %bb.1286:
	global_load_b32 v3, v[12:13], off
	s_mov_b32 s1, 0
	s_mov_b32 s10, -1
	s_branch .LBB356_1288
.LBB356_1287:
	s_mov_b32 s1, -1
                                        ; implicit-def: $vgpr3
.LBB356_1288:
	s_mov_b32 s11, 0
.LBB356_1289:
	s_delay_alu instid0(SALU_CYCLE_1)
	s_and_b32 vcc_lo, exec_lo, s11
	s_cbranch_vccz .LBB356_1305
; %bb.1290:
	s_cmp_lt_i32 s0, 27
	s_cbranch_scc1 .LBB356_1293
; %bb.1291:
	s_cmp_gt_i32 s0, 27
	s_cbranch_scc0 .LBB356_1294
; %bb.1292:
	s_wait_loadcnt 0x0
	global_load_b32 v3, v[12:13], off
	s_mov_b32 s10, 0
	s_branch .LBB356_1295
.LBB356_1293:
	s_mov_b32 s10, -1
                                        ; implicit-def: $vgpr3
	s_branch .LBB356_1298
.LBB356_1294:
	s_mov_b32 s10, -1
                                        ; implicit-def: $vgpr3
.LBB356_1295:
	s_delay_alu instid0(SALU_CYCLE_1)
	s_and_not1_b32 vcc_lo, exec_lo, s10
	s_cbranch_vccnz .LBB356_1297
; %bb.1296:
	s_wait_loadcnt 0x0
	global_load_u16 v3, v[12:13], off
.LBB356_1297:
	s_mov_b32 s10, 0
.LBB356_1298:
	s_delay_alu instid0(SALU_CYCLE_1)
	s_and_not1_b32 vcc_lo, exec_lo, s10
	s_cbranch_vccnz .LBB356_1304
; %bb.1299:
	global_load_u8 v1, v[12:13], off
	s_mov_b32 s11, 0
	s_mov_b32 s10, exec_lo
	s_wait_loadcnt 0x0
	v_cmpx_lt_i16_e32 0x7f, v1
	s_xor_b32 s10, exec_lo, s10
	s_cbranch_execz .LBB356_1315
; %bb.1300:
	v_cmp_ne_u16_e32 vcc_lo, 0x80, v1
	s_and_b32 s11, vcc_lo, exec_lo
	s_and_not1_saveexec_b32 s10, s10
	s_cbranch_execnz .LBB356_1316
.LBB356_1301:
	s_or_b32 exec_lo, exec_lo, s10
	v_mov_b32_e32 v3, 0
	s_and_saveexec_b32 s10, s11
	s_cbranch_execz .LBB356_1303
.LBB356_1302:
	v_and_b32_e32 v3, 0xffff, v1
	s_delay_alu instid0(VALU_DEP_1) | instskip(SKIP_1) | instid1(VALU_DEP_2)
	v_and_b32_e32 v7, 7, v3
	v_bfe_u32 v14, v3, 3, 4
	v_clz_i32_u32_e32 v9, v7
	s_delay_alu instid0(VALU_DEP_2) | instskip(NEXT) | instid1(VALU_DEP_2)
	v_cmp_eq_u32_e32 vcc_lo, 0, v14
	v_min_u32_e32 v9, 32, v9
	s_delay_alu instid0(VALU_DEP_1) | instskip(NEXT) | instid1(VALU_DEP_1)
	v_subrev_nc_u32_e32 v11, 28, v9
	v_dual_lshlrev_b32 v3, v11, v3 :: v_dual_sub_nc_u32 v9, 29, v9
	s_delay_alu instid0(VALU_DEP_1) | instskip(NEXT) | instid1(VALU_DEP_1)
	v_dual_lshlrev_b32 v1, 24, v1 :: v_dual_bitop2_b32 v3, 7, v3 bitop3:0x40
	v_dual_cndmask_b32 v3, v7, v3, vcc_lo :: v_dual_cndmask_b32 v9, v14, v9, vcc_lo
	s_delay_alu instid0(VALU_DEP_2) | instskip(NEXT) | instid1(VALU_DEP_2)
	v_and_b32_e32 v1, 0x80000000, v1
	v_lshlrev_b32_e32 v3, 20, v3
	s_delay_alu instid0(VALU_DEP_3) | instskip(NEXT) | instid1(VALU_DEP_1)
	v_lshl_add_u32 v7, v9, 23, 0x3b800000
	v_or3_b32 v1, v1, v7, v3
	s_delay_alu instid0(VALU_DEP_1)
	v_cvt_u32_f32_e32 v3, v1
.LBB356_1303:
	s_or_b32 exec_lo, exec_lo, s10
.LBB356_1304:
	s_mov_b32 s10, -1
.LBB356_1305:
	s_branch .LBB356_1336
.LBB356_1306:
	s_cmp_gt_i32 s0, 22
	s_cbranch_scc0 .LBB356_1314
; %bb.1307:
	s_cmp_lt_i32 s0, 24
	s_cbranch_scc1 .LBB356_1317
; %bb.1308:
	s_cmp_gt_i32 s0, 24
	s_cbranch_scc0 .LBB356_1318
; %bb.1309:
	global_load_u8 v1, v[12:13], off
	s_mov_b32 s10, 0
	s_mov_b32 s2, exec_lo
	s_wait_loadcnt 0x0
	v_cmpx_lt_i16_e32 0x7f, v1
	s_xor_b32 s2, exec_lo, s2
	s_cbranch_execz .LBB356_1330
; %bb.1310:
	v_cmp_ne_u16_e32 vcc_lo, 0x80, v1
	s_and_b32 s10, vcc_lo, exec_lo
	s_and_not1_saveexec_b32 s2, s2
	s_cbranch_execnz .LBB356_1331
.LBB356_1311:
	s_or_b32 exec_lo, exec_lo, s2
	v_mov_b32_e32 v3, 0
	s_and_saveexec_b32 s2, s10
	s_cbranch_execz .LBB356_1313
.LBB356_1312:
	v_and_b32_e32 v3, 0xffff, v1
	s_delay_alu instid0(VALU_DEP_1) | instskip(SKIP_1) | instid1(VALU_DEP_2)
	v_and_b32_e32 v7, 3, v3
	v_bfe_u32 v14, v3, 2, 5
	v_clz_i32_u32_e32 v9, v7
	s_delay_alu instid0(VALU_DEP_2) | instskip(NEXT) | instid1(VALU_DEP_2)
	v_cmp_eq_u32_e32 vcc_lo, 0, v14
	v_min_u32_e32 v9, 32, v9
	s_delay_alu instid0(VALU_DEP_1) | instskip(NEXT) | instid1(VALU_DEP_1)
	v_subrev_nc_u32_e32 v11, 29, v9
	v_dual_lshlrev_b32 v3, v11, v3 :: v_dual_sub_nc_u32 v9, 30, v9
	s_delay_alu instid0(VALU_DEP_1) | instskip(NEXT) | instid1(VALU_DEP_1)
	v_dual_lshlrev_b32 v1, 24, v1 :: v_dual_bitop2_b32 v3, 3, v3 bitop3:0x40
	v_dual_cndmask_b32 v3, v7, v3, vcc_lo :: v_dual_cndmask_b32 v9, v14, v9, vcc_lo
	s_delay_alu instid0(VALU_DEP_2) | instskip(NEXT) | instid1(VALU_DEP_2)
	v_and_b32_e32 v1, 0x80000000, v1
	v_lshlrev_b32_e32 v3, 21, v3
	s_delay_alu instid0(VALU_DEP_3) | instskip(NEXT) | instid1(VALU_DEP_1)
	v_lshl_add_u32 v7, v9, 23, 0x37800000
	v_or3_b32 v1, v1, v7, v3
	s_delay_alu instid0(VALU_DEP_1)
	v_cvt_u32_f32_e32 v3, v1
.LBB356_1313:
	s_or_b32 exec_lo, exec_lo, s2
	s_mov_b32 s2, 0
	s_branch .LBB356_1319
.LBB356_1314:
	s_mov_b32 s2, -1
                                        ; implicit-def: $vgpr3
	s_branch .LBB356_1325
.LBB356_1315:
	s_and_not1_saveexec_b32 s10, s10
	s_cbranch_execz .LBB356_1301
.LBB356_1316:
	v_cmp_ne_u16_e32 vcc_lo, 0, v1
	s_and_not1_b32 s11, s11, exec_lo
	s_and_b32 s12, vcc_lo, exec_lo
	s_delay_alu instid0(SALU_CYCLE_1)
	s_or_b32 s11, s11, s12
	s_or_b32 exec_lo, exec_lo, s10
	v_mov_b32_e32 v3, 0
	s_and_saveexec_b32 s10, s11
	s_cbranch_execnz .LBB356_1302
	s_branch .LBB356_1303
.LBB356_1317:
	s_mov_b32 s2, -1
                                        ; implicit-def: $vgpr3
	s_branch .LBB356_1322
.LBB356_1318:
	s_mov_b32 s2, -1
                                        ; implicit-def: $vgpr3
.LBB356_1319:
	s_delay_alu instid0(SALU_CYCLE_1)
	s_and_b32 vcc_lo, exec_lo, s2
	s_cbranch_vccz .LBB356_1321
; %bb.1320:
	global_load_u8 v1, v[12:13], off
	s_wait_loadcnt 0x0
	v_lshlrev_b32_e32 v1, 24, v1
	s_delay_alu instid0(VALU_DEP_1) | instskip(NEXT) | instid1(VALU_DEP_1)
	v_and_b32_e32 v3, 0x7f000000, v1
	v_clz_i32_u32_e32 v7, v3
	v_add_nc_u32_e32 v11, 0x1000000, v3
	v_cmp_ne_u32_e32 vcc_lo, 0, v3
	s_delay_alu instid0(VALU_DEP_3) | instskip(NEXT) | instid1(VALU_DEP_1)
	v_min_u32_e32 v7, 32, v7
	v_sub_nc_u32_e64 v7, v7, 4 clamp
	s_delay_alu instid0(VALU_DEP_1) | instskip(NEXT) | instid1(VALU_DEP_1)
	v_lshlrev_b32_e32 v9, v7, v3
	v_dual_lshlrev_b32 v7, 23, v7 :: v_dual_lshrrev_b32 v9, 4, v9
	s_delay_alu instid0(VALU_DEP_1) | instskip(SKIP_1) | instid1(VALU_DEP_2)
	v_sub_nc_u32_e32 v7, v9, v7
	v_ashrrev_i32_e32 v9, 8, v11
	v_add_nc_u32_e32 v7, 0x3c000000, v7
	s_delay_alu instid0(VALU_DEP_1) | instskip(NEXT) | instid1(VALU_DEP_1)
	v_and_or_b32 v7, 0x7f800000, v9, v7
	v_cndmask_b32_e32 v3, 0, v7, vcc_lo
	s_delay_alu instid0(VALU_DEP_1) | instskip(NEXT) | instid1(VALU_DEP_1)
	v_and_or_b32 v1, 0x80000000, v1, v3
	v_cvt_u32_f32_e32 v3, v1
.LBB356_1321:
	s_mov_b32 s2, 0
.LBB356_1322:
	s_delay_alu instid0(SALU_CYCLE_1)
	s_and_not1_b32 vcc_lo, exec_lo, s2
	s_cbranch_vccnz .LBB356_1324
; %bb.1323:
	global_load_u8 v1, v[12:13], off
	s_wait_loadcnt 0x0
	v_lshlrev_b32_e32 v3, 25, v1
	v_lshlrev_b16 v1, 8, v1
	s_delay_alu instid0(VALU_DEP_2) | instskip(NEXT) | instid1(VALU_DEP_2)
	v_cmp_gt_u32_e32 vcc_lo, 0x8000000, v3
	v_and_or_b32 v9, 0x7f00, v1, 0.5
	v_lshrrev_b32_e32 v7, 4, v3
	v_bfe_i32 v1, v1, 0, 16
	s_delay_alu instid0(VALU_DEP_3) | instskip(NEXT) | instid1(VALU_DEP_3)
	v_add_f32_e32 v9, -0.5, v9
	v_or_b32_e32 v7, 0x70000000, v7
	s_delay_alu instid0(VALU_DEP_1) | instskip(NEXT) | instid1(VALU_DEP_1)
	v_mul_f32_e32 v7, 0x7800000, v7
	v_cndmask_b32_e32 v3, v7, v9, vcc_lo
	s_delay_alu instid0(VALU_DEP_1) | instskip(NEXT) | instid1(VALU_DEP_1)
	v_and_or_b32 v1, 0x80000000, v1, v3
	v_cvt_u32_f32_e32 v3, v1
.LBB356_1324:
	s_mov_b32 s2, 0
	s_mov_b32 s10, -1
.LBB356_1325:
	s_and_not1_b32 vcc_lo, exec_lo, s2
	s_mov_b32 s2, 0
	s_cbranch_vccnz .LBB356_1336
; %bb.1326:
	s_cmp_gt_i32 s0, 14
	s_cbranch_scc0 .LBB356_1329
; %bb.1327:
	s_cmp_eq_u32 s0, 15
	s_cbranch_scc0 .LBB356_1332
; %bb.1328:
	global_load_u16 v1, v[12:13], off
	s_mov_b32 s1, 0
	s_mov_b32 s10, -1
	s_wait_loadcnt 0x0
	v_lshlrev_b32_e32 v1, 16, v1
	s_delay_alu instid0(VALU_DEP_1)
	v_cvt_u32_f32_e32 v3, v1
	s_branch .LBB356_1334
.LBB356_1329:
	s_mov_b32 s2, -1
	s_branch .LBB356_1333
.LBB356_1330:
	s_and_not1_saveexec_b32 s2, s2
	s_cbranch_execz .LBB356_1311
.LBB356_1331:
	v_cmp_ne_u16_e32 vcc_lo, 0, v1
	s_and_not1_b32 s10, s10, exec_lo
	s_and_b32 s11, vcc_lo, exec_lo
	s_delay_alu instid0(SALU_CYCLE_1)
	s_or_b32 s10, s10, s11
	s_or_b32 exec_lo, exec_lo, s2
	v_mov_b32_e32 v3, 0
	s_and_saveexec_b32 s2, s10
	s_cbranch_execnz .LBB356_1312
	s_branch .LBB356_1313
.LBB356_1332:
	s_mov_b32 s1, -1
.LBB356_1333:
                                        ; implicit-def: $vgpr3
.LBB356_1334:
	s_and_b32 vcc_lo, exec_lo, s2
	s_mov_b32 s2, 0
	s_cbranch_vccz .LBB356_1336
; %bb.1335:
	s_cmp_lg_u32 s0, 11
	s_mov_b32 s2, -1
	s_cselect_b32 s1, -1, 0
.LBB356_1336:
	s_delay_alu instid0(SALU_CYCLE_1)
	s_and_b32 vcc_lo, exec_lo, s1
	s_cbranch_vccnz .LBB356_1399
; %bb.1337:
	s_and_not1_b32 vcc_lo, exec_lo, s2
	s_cbranch_vccnz .LBB356_1339
.LBB356_1338:
	global_load_u8 v1, v[12:13], off
	s_mov_b32 s10, -1
	s_wait_loadcnt 0x0
	v_cmp_ne_u16_e32 vcc_lo, 0, v1
	v_cndmask_b32_e64 v3, 0, 1, vcc_lo
.LBB356_1339:
	s_branch .LBB356_1269
.LBB356_1340:
	s_cmp_lt_i32 s0, 5
	s_cbranch_scc1 .LBB356_1345
; %bb.1341:
	s_cmp_lt_i32 s0, 8
	s_cbranch_scc1 .LBB356_1346
; %bb.1342:
	;; [unrolled: 3-line block ×3, first 2 shown]
	s_cmp_gt_i32 s0, 9
	s_cbranch_scc0 .LBB356_1348
; %bb.1344:
	global_load_b64 v[14:15], v[12:13], off
	s_mov_b32 s1, 0
	s_wait_loadcnt 0x0
	v_cvt_u32_f64_e32 v3, v[14:15]
	s_branch .LBB356_1349
.LBB356_1345:
                                        ; implicit-def: $vgpr3
	s_branch .LBB356_1367
.LBB356_1346:
	s_mov_b32 s1, -1
                                        ; implicit-def: $vgpr3
	s_branch .LBB356_1355
.LBB356_1347:
	s_mov_b32 s1, -1
                                        ; implicit-def: $vgpr3
	s_branch .LBB356_1352
.LBB356_1348:
	s_mov_b32 s1, -1
                                        ; implicit-def: $vgpr3
.LBB356_1349:
	s_delay_alu instid0(SALU_CYCLE_1)
	s_and_not1_b32 vcc_lo, exec_lo, s1
	s_cbranch_vccnz .LBB356_1351
; %bb.1350:
	global_load_b32 v1, v[12:13], off
	s_wait_loadcnt 0x0
	v_cvt_u32_f32_e32 v3, v1
.LBB356_1351:
	s_mov_b32 s1, 0
.LBB356_1352:
	s_delay_alu instid0(SALU_CYCLE_1)
	s_and_not1_b32 vcc_lo, exec_lo, s1
	s_cbranch_vccnz .LBB356_1354
; %bb.1353:
	global_load_b32 v1, v[12:13], off
	s_wait_loadcnt 0x0
	v_cvt_f32_f16_e32 v1, v1
	s_delay_alu instid0(VALU_DEP_1)
	v_cvt_u32_f32_e32 v3, v1
.LBB356_1354:
	s_mov_b32 s1, 0
.LBB356_1355:
	s_delay_alu instid0(SALU_CYCLE_1)
	s_and_not1_b32 vcc_lo, exec_lo, s1
	s_cbranch_vccnz .LBB356_1366
; %bb.1356:
	s_cmp_lt_i32 s0, 6
	s_cbranch_scc1 .LBB356_1359
; %bb.1357:
	s_cmp_gt_i32 s0, 6
	s_cbranch_scc0 .LBB356_1360
; %bb.1358:
	global_load_b64 v[14:15], v[12:13], off
	s_mov_b32 s1, 0
	s_wait_loadcnt 0x0
	v_cvt_u32_f64_e32 v3, v[14:15]
	s_branch .LBB356_1361
.LBB356_1359:
	s_mov_b32 s1, -1
                                        ; implicit-def: $vgpr3
	s_branch .LBB356_1364
.LBB356_1360:
	s_mov_b32 s1, -1
                                        ; implicit-def: $vgpr3
.LBB356_1361:
	s_delay_alu instid0(SALU_CYCLE_1)
	s_and_not1_b32 vcc_lo, exec_lo, s1
	s_cbranch_vccnz .LBB356_1363
; %bb.1362:
	global_load_b32 v1, v[12:13], off
	s_wait_loadcnt 0x0
	v_cvt_u32_f32_e32 v3, v1
.LBB356_1363:
	s_mov_b32 s1, 0
.LBB356_1364:
	s_delay_alu instid0(SALU_CYCLE_1)
	s_and_not1_b32 vcc_lo, exec_lo, s1
	s_cbranch_vccnz .LBB356_1366
; %bb.1365:
	global_load_u16 v1, v[12:13], off
	s_wait_loadcnt 0x0
	v_cvt_f32_f16_e32 v1, v1
	s_delay_alu instid0(VALU_DEP_1)
	v_cvt_u32_f32_e32 v3, v1
.LBB356_1366:
	s_cbranch_execnz .LBB356_1386
.LBB356_1367:
	s_cmp_lt_i32 s0, 2
	s_cbranch_scc1 .LBB356_1371
; %bb.1368:
	s_cmp_lt_i32 s0, 3
	s_cbranch_scc1 .LBB356_1372
; %bb.1369:
	s_cmp_gt_i32 s0, 3
	s_cbranch_scc0 .LBB356_1373
; %bb.1370:
	s_wait_loadcnt 0x0
	global_load_b32 v3, v[12:13], off
	s_mov_b32 s1, 0
	s_branch .LBB356_1374
.LBB356_1371:
	s_mov_b32 s1, -1
                                        ; implicit-def: $vgpr3
	s_branch .LBB356_1380
.LBB356_1372:
	s_mov_b32 s1, -1
                                        ; implicit-def: $vgpr3
	s_branch .LBB356_1377
.LBB356_1373:
	s_mov_b32 s1, -1
                                        ; implicit-def: $vgpr3
.LBB356_1374:
	s_delay_alu instid0(SALU_CYCLE_1)
	s_and_not1_b32 vcc_lo, exec_lo, s1
	s_cbranch_vccnz .LBB356_1376
; %bb.1375:
	s_wait_loadcnt 0x0
	global_load_b32 v3, v[12:13], off
.LBB356_1376:
	s_mov_b32 s1, 0
.LBB356_1377:
	s_delay_alu instid0(SALU_CYCLE_1)
	s_and_not1_b32 vcc_lo, exec_lo, s1
	s_cbranch_vccnz .LBB356_1379
; %bb.1378:
	s_wait_loadcnt 0x0
	global_load_i16 v3, v[12:13], off
.LBB356_1379:
	s_mov_b32 s1, 0
.LBB356_1380:
	s_delay_alu instid0(SALU_CYCLE_1)
	s_and_not1_b32 vcc_lo, exec_lo, s1
	s_cbranch_vccnz .LBB356_1386
; %bb.1381:
	s_cmp_gt_i32 s0, 0
	s_mov_b32 s1, 0
	s_cbranch_scc0 .LBB356_1383
; %bb.1382:
	s_wait_loadcnt 0x0
	global_load_i8 v3, v[12:13], off
	s_branch .LBB356_1384
.LBB356_1383:
	s_mov_b32 s1, -1
                                        ; implicit-def: $vgpr3
.LBB356_1384:
	s_delay_alu instid0(SALU_CYCLE_1)
	s_and_not1_b32 vcc_lo, exec_lo, s1
	s_cbranch_vccnz .LBB356_1386
; %bb.1385:
	s_wait_loadcnt 0x0
	global_load_u8 v3, v[12:13], off
.LBB356_1386:
.LBB356_1387:
	v_mov_b32_e32 v11, 0
	s_cmp_lt_i32 s0, 11
	s_delay_alu instid0(VALU_DEP_1)
	v_add_nc_u64_e32 v[10:11], s[6:7], v[10:11]
	s_cbranch_scc1 .LBB356_1394
; %bb.1388:
	s_cmp_gt_i32 s0, 25
	s_mov_b32 s2, 0
	s_cbranch_scc0 .LBB356_1396
; %bb.1389:
	s_cmp_gt_i32 s0, 28
	s_cbranch_scc0 .LBB356_1397
; %bb.1390:
	s_cmp_gt_i32 s0, 43
	;; [unrolled: 3-line block ×3, first 2 shown]
	s_cbranch_scc0 .LBB356_1400
; %bb.1392:
	s_cmp_eq_u32 s0, 46
	s_mov_b32 s11, 0
	s_cbranch_scc0 .LBB356_1401
; %bb.1393:
	global_load_b32 v1, v[10:11], off
	s_mov_b32 s1, 0
	s_mov_b32 s10, -1
	s_wait_loadcnt 0x0
	v_lshlrev_b32_e32 v1, 16, v1
	s_delay_alu instid0(VALU_DEP_1)
	v_cvt_u32_f32_e32 v1, v1
	s_branch .LBB356_1403
.LBB356_1394:
	s_mov_b32 s10, 0
                                        ; implicit-def: $vgpr1
	s_cbranch_execnz .LBB356_1465
.LBB356_1395:
	s_and_not1_b32 vcc_lo, exec_lo, s10
	s_cbranch_vccnz .LBB356_2072
	s_branch .LBB356_1513
.LBB356_1396:
	s_mov_b32 s11, -1
	s_mov_b32 s10, 0
	s_mov_b32 s1, 0
                                        ; implicit-def: $vgpr1
	s_branch .LBB356_1430
.LBB356_1397:
	s_mov_b32 s11, -1
	s_mov_b32 s10, 0
	s_mov_b32 s1, 0
                                        ; implicit-def: $vgpr1
	s_branch .LBB356_1413
.LBB356_1398:
	s_mov_b32 s11, -1
	s_mov_b32 s10, 0
	s_mov_b32 s1, 0
                                        ; implicit-def: $vgpr1
	s_branch .LBB356_1408
.LBB356_1399:
	s_or_b32 s3, s3, exec_lo
	s_trap 2
	s_cbranch_execz .LBB356_1338
	s_branch .LBB356_1339
.LBB356_1400:
	s_mov_b32 s11, -1
	s_mov_b32 s10, 0
	s_mov_b32 s1, 0
	s_branch .LBB356_1402
.LBB356_1401:
	s_mov_b32 s1, -1
	s_mov_b32 s10, 0
.LBB356_1402:
                                        ; implicit-def: $vgpr1
.LBB356_1403:
	s_and_b32 vcc_lo, exec_lo, s11
	s_cbranch_vccz .LBB356_1407
; %bb.1404:
	s_cmp_eq_u32 s0, 44
	s_cbranch_scc0 .LBB356_1406
; %bb.1405:
	global_load_u8 v1, v[10:11], off
	s_mov_b32 s1, 0
	s_mov_b32 s10, -1
	s_wait_loadcnt 0x0
	v_lshlrev_b32_e32 v7, 23, v1
	v_cmp_ne_u32_e32 vcc_lo, 0, v1
	s_delay_alu instid0(VALU_DEP_2) | instskip(NEXT) | instid1(VALU_DEP_1)
	v_cvt_u32_f32_e32 v7, v7
	v_cndmask_b32_e32 v1, 0, v7, vcc_lo
	s_branch .LBB356_1407
.LBB356_1406:
	s_mov_b32 s1, -1
                                        ; implicit-def: $vgpr1
.LBB356_1407:
	s_mov_b32 s11, 0
.LBB356_1408:
	s_delay_alu instid0(SALU_CYCLE_1)
	s_and_b32 vcc_lo, exec_lo, s11
	s_cbranch_vccz .LBB356_1412
; %bb.1409:
	s_cmp_eq_u32 s0, 29
	s_cbranch_scc0 .LBB356_1411
; %bb.1410:
	global_load_b32 v1, v[10:11], off
	s_mov_b32 s1, 0
	s_mov_b32 s10, -1
	s_branch .LBB356_1412
.LBB356_1411:
	s_mov_b32 s1, -1
                                        ; implicit-def: $vgpr1
.LBB356_1412:
	s_mov_b32 s11, 0
.LBB356_1413:
	s_delay_alu instid0(SALU_CYCLE_1)
	s_and_b32 vcc_lo, exec_lo, s11
	s_cbranch_vccz .LBB356_1429
; %bb.1414:
	s_cmp_lt_i32 s0, 27
	s_cbranch_scc1 .LBB356_1417
; %bb.1415:
	s_cmp_gt_i32 s0, 27
	s_cbranch_scc0 .LBB356_1418
; %bb.1416:
	s_wait_loadcnt 0x0
	global_load_b32 v1, v[10:11], off
	s_mov_b32 s10, 0
	s_branch .LBB356_1419
.LBB356_1417:
	s_mov_b32 s10, -1
                                        ; implicit-def: $vgpr1
	s_branch .LBB356_1422
.LBB356_1418:
	s_mov_b32 s10, -1
                                        ; implicit-def: $vgpr1
.LBB356_1419:
	s_delay_alu instid0(SALU_CYCLE_1)
	s_and_not1_b32 vcc_lo, exec_lo, s10
	s_cbranch_vccnz .LBB356_1421
; %bb.1420:
	s_wait_loadcnt 0x0
	global_load_u16 v1, v[10:11], off
.LBB356_1421:
	s_mov_b32 s10, 0
.LBB356_1422:
	s_delay_alu instid0(SALU_CYCLE_1)
	s_and_not1_b32 vcc_lo, exec_lo, s10
	s_cbranch_vccnz .LBB356_1428
; %bb.1423:
	global_load_u8 v7, v[10:11], off
	s_mov_b32 s11, 0
	s_mov_b32 s10, exec_lo
	s_wait_loadcnt 0x0
	v_cmpx_lt_i16_e32 0x7f, v7
	s_xor_b32 s10, exec_lo, s10
	s_cbranch_execz .LBB356_1440
; %bb.1424:
	v_cmp_ne_u16_e32 vcc_lo, 0x80, v7
	s_and_b32 s11, vcc_lo, exec_lo
	s_and_not1_saveexec_b32 s10, s10
	s_cbranch_execnz .LBB356_1441
.LBB356_1425:
	s_or_b32 exec_lo, exec_lo, s10
	v_mov_b32_e32 v1, 0
	s_and_saveexec_b32 s10, s11
	s_cbranch_execz .LBB356_1427
.LBB356_1426:
	v_and_b32_e32 v1, 0xffff, v7
	s_delay_alu instid0(VALU_DEP_1) | instskip(SKIP_1) | instid1(VALU_DEP_2)
	v_and_b32_e32 v9, 7, v1
	v_bfe_u32 v14, v1, 3, 4
	v_clz_i32_u32_e32 v12, v9
	s_delay_alu instid0(VALU_DEP_2) | instskip(NEXT) | instid1(VALU_DEP_2)
	v_cmp_eq_u32_e32 vcc_lo, 0, v14
	v_min_u32_e32 v12, 32, v12
	s_delay_alu instid0(VALU_DEP_1) | instskip(NEXT) | instid1(VALU_DEP_1)
	v_subrev_nc_u32_e32 v13, 28, v12
	v_dual_lshlrev_b32 v1, v13, v1 :: v_dual_sub_nc_u32 v12, 29, v12
	s_delay_alu instid0(VALU_DEP_1) | instskip(NEXT) | instid1(VALU_DEP_1)
	v_dual_lshlrev_b32 v7, 24, v7 :: v_dual_bitop2_b32 v1, 7, v1 bitop3:0x40
	v_dual_cndmask_b32 v12, v14, v12 :: v_dual_cndmask_b32 v1, v9, v1
	s_delay_alu instid0(VALU_DEP_2) | instskip(NEXT) | instid1(VALU_DEP_2)
	v_and_b32_e32 v7, 0x80000000, v7
	v_lshl_add_u32 v9, v12, 23, 0x3b800000
	s_delay_alu instid0(VALU_DEP_3) | instskip(NEXT) | instid1(VALU_DEP_1)
	v_lshlrev_b32_e32 v1, 20, v1
	v_or3_b32 v1, v7, v9, v1
	s_delay_alu instid0(VALU_DEP_1)
	v_cvt_u32_f32_e32 v1, v1
.LBB356_1427:
	s_or_b32 exec_lo, exec_lo, s10
.LBB356_1428:
	s_mov_b32 s10, -1
.LBB356_1429:
	s_mov_b32 s11, 0
.LBB356_1430:
	s_delay_alu instid0(SALU_CYCLE_1)
	s_and_b32 vcc_lo, exec_lo, s11
	s_cbranch_vccz .LBB356_1461
; %bb.1431:
	s_cmp_gt_i32 s0, 22
	s_cbranch_scc0 .LBB356_1439
; %bb.1432:
	s_cmp_lt_i32 s0, 24
	s_cbranch_scc1 .LBB356_1442
; %bb.1433:
	s_cmp_gt_i32 s0, 24
	s_cbranch_scc0 .LBB356_1443
; %bb.1434:
	global_load_u8 v7, v[10:11], off
	s_mov_b32 s10, 0
	s_mov_b32 s2, exec_lo
	s_wait_loadcnt 0x0
	v_cmpx_lt_i16_e32 0x7f, v7
	s_xor_b32 s2, exec_lo, s2
	s_cbranch_execz .LBB356_1455
; %bb.1435:
	v_cmp_ne_u16_e32 vcc_lo, 0x80, v7
	s_and_b32 s10, vcc_lo, exec_lo
	s_and_not1_saveexec_b32 s2, s2
	s_cbranch_execnz .LBB356_1456
.LBB356_1436:
	s_or_b32 exec_lo, exec_lo, s2
	v_mov_b32_e32 v1, 0
	s_and_saveexec_b32 s2, s10
	s_cbranch_execz .LBB356_1438
.LBB356_1437:
	v_and_b32_e32 v1, 0xffff, v7
	s_delay_alu instid0(VALU_DEP_1) | instskip(SKIP_1) | instid1(VALU_DEP_2)
	v_and_b32_e32 v9, 3, v1
	v_bfe_u32 v14, v1, 2, 5
	v_clz_i32_u32_e32 v12, v9
	s_delay_alu instid0(VALU_DEP_2) | instskip(NEXT) | instid1(VALU_DEP_2)
	v_cmp_eq_u32_e32 vcc_lo, 0, v14
	v_min_u32_e32 v12, 32, v12
	s_delay_alu instid0(VALU_DEP_1) | instskip(NEXT) | instid1(VALU_DEP_1)
	v_subrev_nc_u32_e32 v13, 29, v12
	v_dual_lshlrev_b32 v1, v13, v1 :: v_dual_sub_nc_u32 v12, 30, v12
	s_delay_alu instid0(VALU_DEP_1) | instskip(NEXT) | instid1(VALU_DEP_1)
	v_dual_lshlrev_b32 v7, 24, v7 :: v_dual_bitop2_b32 v1, 3, v1 bitop3:0x40
	v_dual_cndmask_b32 v12, v14, v12 :: v_dual_cndmask_b32 v1, v9, v1
	s_delay_alu instid0(VALU_DEP_2) | instskip(NEXT) | instid1(VALU_DEP_2)
	v_and_b32_e32 v7, 0x80000000, v7
	v_lshl_add_u32 v9, v12, 23, 0x37800000
	s_delay_alu instid0(VALU_DEP_3) | instskip(NEXT) | instid1(VALU_DEP_1)
	v_lshlrev_b32_e32 v1, 21, v1
	v_or3_b32 v1, v7, v9, v1
	s_delay_alu instid0(VALU_DEP_1)
	v_cvt_u32_f32_e32 v1, v1
.LBB356_1438:
	s_or_b32 exec_lo, exec_lo, s2
	s_mov_b32 s2, 0
	s_branch .LBB356_1444
.LBB356_1439:
	s_mov_b32 s2, -1
                                        ; implicit-def: $vgpr1
	s_branch .LBB356_1450
.LBB356_1440:
	s_and_not1_saveexec_b32 s10, s10
	s_cbranch_execz .LBB356_1425
.LBB356_1441:
	v_cmp_ne_u16_e32 vcc_lo, 0, v7
	s_and_not1_b32 s11, s11, exec_lo
	s_and_b32 s12, vcc_lo, exec_lo
	s_delay_alu instid0(SALU_CYCLE_1)
	s_or_b32 s11, s11, s12
	s_or_b32 exec_lo, exec_lo, s10
	v_mov_b32_e32 v1, 0
	s_and_saveexec_b32 s10, s11
	s_cbranch_execnz .LBB356_1426
	s_branch .LBB356_1427
.LBB356_1442:
	s_mov_b32 s2, -1
                                        ; implicit-def: $vgpr1
	s_branch .LBB356_1447
.LBB356_1443:
	s_mov_b32 s2, -1
                                        ; implicit-def: $vgpr1
.LBB356_1444:
	s_delay_alu instid0(SALU_CYCLE_1)
	s_and_b32 vcc_lo, exec_lo, s2
	s_cbranch_vccz .LBB356_1446
; %bb.1445:
	s_wait_loadcnt 0x0
	global_load_u8 v1, v[10:11], off
	s_wait_loadcnt 0x0
	v_lshlrev_b32_e32 v1, 24, v1
	s_delay_alu instid0(VALU_DEP_1) | instskip(NEXT) | instid1(VALU_DEP_1)
	v_and_b32_e32 v7, 0x7f000000, v1
	v_clz_i32_u32_e32 v9, v7
	s_wait_xcnt 0x1
	v_add_nc_u32_e32 v13, 0x1000000, v7
	v_cmp_ne_u32_e32 vcc_lo, 0, v7
	s_delay_alu instid0(VALU_DEP_3) | instskip(NEXT) | instid1(VALU_DEP_1)
	v_min_u32_e32 v9, 32, v9
	v_sub_nc_u32_e64 v9, v9, 4 clamp
	s_delay_alu instid0(VALU_DEP_1) | instskip(NEXT) | instid1(VALU_DEP_1)
	v_dual_lshlrev_b32 v12, v9, v7 :: v_dual_lshlrev_b32 v9, 23, v9
	v_lshrrev_b32_e32 v12, 4, v12
	s_delay_alu instid0(VALU_DEP_1) | instskip(SKIP_1) | instid1(VALU_DEP_2)
	v_sub_nc_u32_e32 v9, v12, v9
	v_ashrrev_i32_e32 v12, 8, v13
	v_add_nc_u32_e32 v9, 0x3c000000, v9
	s_delay_alu instid0(VALU_DEP_1) | instskip(NEXT) | instid1(VALU_DEP_1)
	v_and_or_b32 v9, 0x7f800000, v12, v9
	v_cndmask_b32_e32 v7, 0, v9, vcc_lo
	s_delay_alu instid0(VALU_DEP_1) | instskip(NEXT) | instid1(VALU_DEP_1)
	v_and_or_b32 v1, 0x80000000, v1, v7
	v_cvt_u32_f32_e32 v1, v1
.LBB356_1446:
	s_mov_b32 s2, 0
.LBB356_1447:
	s_delay_alu instid0(SALU_CYCLE_1)
	s_and_not1_b32 vcc_lo, exec_lo, s2
	s_cbranch_vccnz .LBB356_1449
; %bb.1448:
	s_wait_loadcnt 0x0
	global_load_u8 v1, v[10:11], off
	s_wait_loadcnt 0x0
	v_lshlrev_b32_e32 v7, 25, v1
	v_lshlrev_b16 v1, 8, v1
	s_wait_xcnt 0x1
	s_delay_alu instid0(VALU_DEP_1) | instskip(SKIP_1) | instid1(VALU_DEP_2)
	v_and_or_b32 v12, 0x7f00, v1, 0.5
	v_bfe_i32 v1, v1, 0, 16
	v_dual_add_f32 v12, -0.5, v12 :: v_dual_lshrrev_b32 v9, 4, v7
	v_cmp_gt_u32_e32 vcc_lo, 0x8000000, v7
	s_delay_alu instid0(VALU_DEP_2) | instskip(NEXT) | instid1(VALU_DEP_1)
	v_or_b32_e32 v9, 0x70000000, v9
	v_mul_f32_e32 v9, 0x7800000, v9
	s_delay_alu instid0(VALU_DEP_1) | instskip(NEXT) | instid1(VALU_DEP_1)
	v_cndmask_b32_e32 v7, v9, v12, vcc_lo
	v_and_or_b32 v1, 0x80000000, v1, v7
	s_delay_alu instid0(VALU_DEP_1)
	v_cvt_u32_f32_e32 v1, v1
.LBB356_1449:
	s_mov_b32 s2, 0
	s_mov_b32 s10, -1
.LBB356_1450:
	s_and_not1_b32 vcc_lo, exec_lo, s2
	s_mov_b32 s2, 0
	s_cbranch_vccnz .LBB356_1461
; %bb.1451:
	s_cmp_gt_i32 s0, 14
	s_cbranch_scc0 .LBB356_1454
; %bb.1452:
	s_cmp_eq_u32 s0, 15
	s_cbranch_scc0 .LBB356_1457
; %bb.1453:
	s_wait_loadcnt 0x0
	global_load_u16 v1, v[10:11], off
	s_mov_b32 s1, 0
	s_mov_b32 s10, -1
	s_wait_loadcnt 0x0
	v_lshlrev_b32_e32 v1, 16, v1
	s_delay_alu instid0(VALU_DEP_1)
	v_cvt_u32_f32_e32 v1, v1
	s_branch .LBB356_1459
.LBB356_1454:
	s_mov_b32 s2, -1
	s_branch .LBB356_1458
.LBB356_1455:
	s_and_not1_saveexec_b32 s2, s2
	s_cbranch_execz .LBB356_1436
.LBB356_1456:
	v_cmp_ne_u16_e32 vcc_lo, 0, v7
	s_and_not1_b32 s10, s10, exec_lo
	s_and_b32 s11, vcc_lo, exec_lo
	s_delay_alu instid0(SALU_CYCLE_1)
	s_or_b32 s10, s10, s11
	s_or_b32 exec_lo, exec_lo, s2
	v_mov_b32_e32 v1, 0
	s_and_saveexec_b32 s2, s10
	s_cbranch_execnz .LBB356_1437
	s_branch .LBB356_1438
.LBB356_1457:
	s_mov_b32 s1, -1
.LBB356_1458:
                                        ; implicit-def: $vgpr1
.LBB356_1459:
	s_and_b32 vcc_lo, exec_lo, s2
	s_mov_b32 s2, 0
	s_cbranch_vccz .LBB356_1461
; %bb.1460:
	s_cmp_lg_u32 s0, 11
	s_mov_b32 s2, -1
	s_cselect_b32 s1, -1, 0
.LBB356_1461:
	s_delay_alu instid0(SALU_CYCLE_1)
	s_and_b32 vcc_lo, exec_lo, s1
	s_cbranch_vccnz .LBB356_1524
; %bb.1462:
	s_and_not1_b32 vcc_lo, exec_lo, s2
	s_cbranch_vccnz .LBB356_1464
.LBB356_1463:
	s_wait_loadcnt 0x0
	global_load_u8 v1, v[10:11], off
	s_mov_b32 s10, -1
	s_wait_loadcnt 0x0
	v_cmp_ne_u16_e32 vcc_lo, 0, v1
	v_cndmask_b32_e64 v1, 0, 1, vcc_lo
.LBB356_1464:
	s_branch .LBB356_1395
.LBB356_1465:
	s_cmp_lt_i32 s0, 5
	s_cbranch_scc1 .LBB356_1470
; %bb.1466:
	s_cmp_lt_i32 s0, 8
	s_cbranch_scc1 .LBB356_1471
; %bb.1467:
	;; [unrolled: 3-line block ×3, first 2 shown]
	s_cmp_gt_i32 s0, 9
	s_cbranch_scc0 .LBB356_1473
; %bb.1469:
	global_load_b64 v[12:13], v[10:11], off
	s_mov_b32 s1, 0
	s_wait_loadcnt 0x0
	v_cvt_u32_f64_e32 v1, v[12:13]
	s_branch .LBB356_1474
.LBB356_1470:
	s_mov_b32 s1, -1
                                        ; implicit-def: $vgpr1
	s_branch .LBB356_1492
.LBB356_1471:
	s_mov_b32 s1, -1
                                        ; implicit-def: $vgpr1
	s_branch .LBB356_1480
.LBB356_1472:
	s_mov_b32 s1, -1
                                        ; implicit-def: $vgpr1
	s_branch .LBB356_1477
.LBB356_1473:
	s_mov_b32 s1, -1
                                        ; implicit-def: $vgpr1
.LBB356_1474:
	s_delay_alu instid0(SALU_CYCLE_1)
	s_and_not1_b32 vcc_lo, exec_lo, s1
	s_cbranch_vccnz .LBB356_1476
; %bb.1475:
	s_wait_loadcnt 0x0
	global_load_b32 v1, v[10:11], off
	s_wait_loadcnt 0x0
	v_cvt_u32_f32_e32 v1, v1
.LBB356_1476:
	s_mov_b32 s1, 0
.LBB356_1477:
	s_delay_alu instid0(SALU_CYCLE_1)
	s_and_not1_b32 vcc_lo, exec_lo, s1
	s_cbranch_vccnz .LBB356_1479
; %bb.1478:
	s_wait_loadcnt 0x0
	global_load_b32 v1, v[10:11], off
	s_wait_loadcnt 0x0
	v_cvt_f32_f16_e32 v1, v1
	s_delay_alu instid0(VALU_DEP_1)
	v_cvt_u32_f32_e32 v1, v1
.LBB356_1479:
	s_mov_b32 s1, 0
.LBB356_1480:
	s_delay_alu instid0(SALU_CYCLE_1)
	s_and_not1_b32 vcc_lo, exec_lo, s1
	s_cbranch_vccnz .LBB356_1491
; %bb.1481:
	s_cmp_lt_i32 s0, 6
	s_cbranch_scc1 .LBB356_1484
; %bb.1482:
	s_cmp_gt_i32 s0, 6
	s_cbranch_scc0 .LBB356_1485
; %bb.1483:
	global_load_b64 v[12:13], v[10:11], off
	s_mov_b32 s1, 0
	s_wait_loadcnt 0x0
	v_cvt_u32_f64_e32 v1, v[12:13]
	s_branch .LBB356_1486
.LBB356_1484:
	s_mov_b32 s1, -1
                                        ; implicit-def: $vgpr1
	s_branch .LBB356_1489
.LBB356_1485:
	s_mov_b32 s1, -1
                                        ; implicit-def: $vgpr1
.LBB356_1486:
	s_delay_alu instid0(SALU_CYCLE_1)
	s_and_not1_b32 vcc_lo, exec_lo, s1
	s_cbranch_vccnz .LBB356_1488
; %bb.1487:
	s_wait_loadcnt 0x0
	global_load_b32 v1, v[10:11], off
	s_wait_loadcnt 0x0
	v_cvt_u32_f32_e32 v1, v1
.LBB356_1488:
	s_mov_b32 s1, 0
.LBB356_1489:
	s_delay_alu instid0(SALU_CYCLE_1)
	s_and_not1_b32 vcc_lo, exec_lo, s1
	s_cbranch_vccnz .LBB356_1491
; %bb.1490:
	s_wait_loadcnt 0x0
	global_load_u16 v1, v[10:11], off
	s_wait_loadcnt 0x0
	v_cvt_f32_f16_e32 v1, v1
	s_delay_alu instid0(VALU_DEP_1)
	v_cvt_u32_f32_e32 v1, v1
.LBB356_1491:
	s_mov_b32 s1, 0
.LBB356_1492:
	s_delay_alu instid0(SALU_CYCLE_1)
	s_and_not1_b32 vcc_lo, exec_lo, s1
	s_cbranch_vccnz .LBB356_1512
; %bb.1493:
	s_cmp_lt_i32 s0, 2
	s_cbranch_scc1 .LBB356_1497
; %bb.1494:
	s_cmp_lt_i32 s0, 3
	s_cbranch_scc1 .LBB356_1498
; %bb.1495:
	s_cmp_gt_i32 s0, 3
	s_cbranch_scc0 .LBB356_1499
; %bb.1496:
	s_wait_loadcnt 0x0
	global_load_b32 v1, v[10:11], off
	s_mov_b32 s1, 0
	s_branch .LBB356_1500
.LBB356_1497:
	s_mov_b32 s1, -1
                                        ; implicit-def: $vgpr1
	s_branch .LBB356_1506
.LBB356_1498:
	s_mov_b32 s1, -1
                                        ; implicit-def: $vgpr1
	s_branch .LBB356_1503
.LBB356_1499:
	s_mov_b32 s1, -1
                                        ; implicit-def: $vgpr1
.LBB356_1500:
	s_delay_alu instid0(SALU_CYCLE_1)
	s_and_not1_b32 vcc_lo, exec_lo, s1
	s_cbranch_vccnz .LBB356_1502
; %bb.1501:
	s_wait_loadcnt 0x0
	global_load_b32 v1, v[10:11], off
.LBB356_1502:
	s_mov_b32 s1, 0
.LBB356_1503:
	s_delay_alu instid0(SALU_CYCLE_1)
	s_and_not1_b32 vcc_lo, exec_lo, s1
	s_cbranch_vccnz .LBB356_1505
; %bb.1504:
	s_wait_loadcnt 0x0
	global_load_i16 v1, v[10:11], off
.LBB356_1505:
	s_mov_b32 s1, 0
.LBB356_1506:
	s_delay_alu instid0(SALU_CYCLE_1)
	s_and_not1_b32 vcc_lo, exec_lo, s1
	s_cbranch_vccnz .LBB356_1512
; %bb.1507:
	s_cmp_gt_i32 s0, 0
	s_mov_b32 s1, 0
	s_cbranch_scc0 .LBB356_1509
; %bb.1508:
	s_wait_loadcnt 0x0
	global_load_i8 v1, v[10:11], off
	s_branch .LBB356_1510
.LBB356_1509:
	s_mov_b32 s1, -1
                                        ; implicit-def: $vgpr1
.LBB356_1510:
	s_delay_alu instid0(SALU_CYCLE_1)
	s_and_not1_b32 vcc_lo, exec_lo, s1
	s_cbranch_vccnz .LBB356_1512
; %bb.1511:
	s_wait_loadcnt 0x0
	global_load_u8 v1, v[10:11], off
.LBB356_1512:
.LBB356_1513:
	v_mov_b32_e32 v9, 0
	s_cmp_lt_i32 s0, 11
	s_delay_alu instid0(VALU_DEP_1)
	v_add_nc_u64_e32 v[8:9], s[6:7], v[8:9]
	s_cbranch_scc1 .LBB356_1520
; %bb.1514:
	s_cmp_gt_i32 s0, 25
	s_mov_b32 s2, 0
	s_cbranch_scc0 .LBB356_1521
; %bb.1515:
	s_cmp_gt_i32 s0, 28
	s_cbranch_scc0 .LBB356_1522
; %bb.1516:
	s_cmp_gt_i32 s0, 43
	;; [unrolled: 3-line block ×3, first 2 shown]
	s_cbranch_scc0 .LBB356_1525
; %bb.1518:
	s_cmp_eq_u32 s0, 46
	s_mov_b32 s7, 0
	s_cbranch_scc0 .LBB356_1526
; %bb.1519:
	global_load_b32 v7, v[8:9], off
	s_mov_b32 s1, 0
	s_mov_b32 s6, -1
	s_wait_loadcnt 0x0
	v_lshlrev_b32_e32 v7, 16, v7
	s_wait_xcnt 0x1
	s_delay_alu instid0(VALU_DEP_1)
	v_cvt_u32_f32_e32 v10, v7
	s_branch .LBB356_1528
.LBB356_1520:
	s_mov_b32 s1, -1
	s_mov_b32 s6, 0
                                        ; implicit-def: $vgpr10
	s_branch .LBB356_1590
.LBB356_1521:
	s_mov_b32 s7, -1
	s_mov_b32 s6, 0
	s_mov_b32 s1, 0
                                        ; implicit-def: $vgpr10
	s_branch .LBB356_1555
.LBB356_1522:
	s_mov_b32 s7, -1
	s_mov_b32 s6, 0
	s_mov_b32 s1, 0
                                        ; implicit-def: $vgpr10
	s_branch .LBB356_1538
.LBB356_1523:
	s_mov_b32 s7, -1
	s_mov_b32 s6, 0
	s_mov_b32 s1, 0
                                        ; implicit-def: $vgpr10
	s_branch .LBB356_1533
.LBB356_1524:
	s_or_b32 s3, s3, exec_lo
	s_trap 2
	s_cbranch_execz .LBB356_1463
	s_branch .LBB356_1464
.LBB356_1525:
	s_mov_b32 s7, -1
	s_mov_b32 s6, 0
	s_mov_b32 s1, 0
	s_branch .LBB356_1527
.LBB356_1526:
	s_mov_b32 s1, -1
	s_mov_b32 s6, 0
.LBB356_1527:
                                        ; implicit-def: $vgpr10
.LBB356_1528:
	s_and_b32 vcc_lo, exec_lo, s7
	s_cbranch_vccz .LBB356_1532
; %bb.1529:
	s_cmp_eq_u32 s0, 44
	s_cbranch_scc0 .LBB356_1531
; %bb.1530:
	global_load_u8 v7, v[8:9], off
	s_mov_b32 s1, 0
	s_mov_b32 s6, -1
	s_wait_loadcnt 0x0
	s_wait_xcnt 0x1
	v_lshlrev_b32_e32 v10, 23, v7
	v_cmp_ne_u32_e32 vcc_lo, 0, v7
	s_delay_alu instid0(VALU_DEP_2) | instskip(NEXT) | instid1(VALU_DEP_1)
	v_cvt_u32_f32_e32 v10, v10
	v_cndmask_b32_e32 v10, 0, v10, vcc_lo
	s_branch .LBB356_1532
.LBB356_1531:
	s_mov_b32 s1, -1
                                        ; implicit-def: $vgpr10
.LBB356_1532:
	s_mov_b32 s7, 0
.LBB356_1533:
	s_delay_alu instid0(SALU_CYCLE_1)
	s_and_b32 vcc_lo, exec_lo, s7
	s_cbranch_vccz .LBB356_1537
; %bb.1534:
	s_cmp_eq_u32 s0, 29
	s_cbranch_scc0 .LBB356_1536
; %bb.1535:
	global_load_b32 v10, v[8:9], off
	s_mov_b32 s1, 0
	s_mov_b32 s6, -1
	s_branch .LBB356_1537
.LBB356_1536:
	s_mov_b32 s1, -1
                                        ; implicit-def: $vgpr10
.LBB356_1537:
	s_mov_b32 s7, 0
.LBB356_1538:
	s_delay_alu instid0(SALU_CYCLE_1)
	s_and_b32 vcc_lo, exec_lo, s7
	s_cbranch_vccz .LBB356_1554
; %bb.1539:
	s_cmp_lt_i32 s0, 27
	s_cbranch_scc1 .LBB356_1542
; %bb.1540:
	s_cmp_gt_i32 s0, 27
	s_cbranch_scc0 .LBB356_1543
; %bb.1541:
	s_wait_loadcnt 0x0
	global_load_b32 v10, v[8:9], off
	s_mov_b32 s6, 0
	s_branch .LBB356_1544
.LBB356_1542:
	s_mov_b32 s6, -1
                                        ; implicit-def: $vgpr10
	s_branch .LBB356_1547
.LBB356_1543:
	s_mov_b32 s6, -1
                                        ; implicit-def: $vgpr10
.LBB356_1544:
	s_delay_alu instid0(SALU_CYCLE_1)
	s_and_not1_b32 vcc_lo, exec_lo, s6
	s_cbranch_vccnz .LBB356_1546
; %bb.1545:
	s_wait_loadcnt 0x0
	global_load_u16 v10, v[8:9], off
.LBB356_1546:
	s_mov_b32 s6, 0
.LBB356_1547:
	s_delay_alu instid0(SALU_CYCLE_1)
	s_and_not1_b32 vcc_lo, exec_lo, s6
	s_cbranch_vccnz .LBB356_1553
; %bb.1548:
	global_load_u8 v7, v[8:9], off
	s_mov_b32 s7, 0
	s_mov_b32 s6, exec_lo
	s_wait_loadcnt 0x0
	v_cmpx_lt_i16_e32 0x7f, v7
	s_xor_b32 s6, exec_lo, s6
	s_cbranch_execz .LBB356_1565
; %bb.1549:
	v_cmp_ne_u16_e32 vcc_lo, 0x80, v7
	s_and_b32 s7, vcc_lo, exec_lo
	s_and_not1_saveexec_b32 s6, s6
	s_cbranch_execnz .LBB356_1566
.LBB356_1550:
	s_or_b32 exec_lo, exec_lo, s6
	v_mov_b32_e32 v10, 0
	s_and_saveexec_b32 s6, s7
	s_cbranch_execz .LBB356_1552
.LBB356_1551:
	v_and_b32_e32 v10, 0xffff, v7
	s_delay_alu instid0(VALU_DEP_1) | instskip(SKIP_1) | instid1(VALU_DEP_2)
	v_and_b32_e32 v11, 7, v10
	v_bfe_u32 v14, v10, 3, 4
	v_clz_i32_u32_e32 v12, v11
	s_delay_alu instid0(VALU_DEP_2) | instskip(NEXT) | instid1(VALU_DEP_2)
	v_cmp_eq_u32_e32 vcc_lo, 0, v14
	v_min_u32_e32 v12, 32, v12
	s_delay_alu instid0(VALU_DEP_1) | instskip(NEXT) | instid1(VALU_DEP_1)
	v_subrev_nc_u32_e32 v13, 28, v12
	v_dual_lshlrev_b32 v10, v13, v10 :: v_dual_sub_nc_u32 v12, 29, v12
	s_delay_alu instid0(VALU_DEP_1) | instskip(NEXT) | instid1(VALU_DEP_1)
	v_dual_lshlrev_b32 v7, 24, v7 :: v_dual_bitop2_b32 v10, 7, v10 bitop3:0x40
	v_dual_cndmask_b32 v12, v14, v12, vcc_lo :: v_dual_cndmask_b32 v10, v11, v10, vcc_lo
	s_delay_alu instid0(VALU_DEP_2) | instskip(NEXT) | instid1(VALU_DEP_2)
	v_and_b32_e32 v7, 0x80000000, v7
	v_lshl_add_u32 v11, v12, 23, 0x3b800000
	s_delay_alu instid0(VALU_DEP_3) | instskip(NEXT) | instid1(VALU_DEP_1)
	v_lshlrev_b32_e32 v10, 20, v10
	v_or3_b32 v7, v7, v11, v10
	s_delay_alu instid0(VALU_DEP_1)
	v_cvt_u32_f32_e32 v10, v7
.LBB356_1552:
	s_or_b32 exec_lo, exec_lo, s6
.LBB356_1553:
	s_mov_b32 s6, -1
.LBB356_1554:
	s_mov_b32 s7, 0
.LBB356_1555:
	s_delay_alu instid0(SALU_CYCLE_1)
	s_and_b32 vcc_lo, exec_lo, s7
	s_cbranch_vccz .LBB356_1586
; %bb.1556:
	s_cmp_gt_i32 s0, 22
	s_cbranch_scc0 .LBB356_1564
; %bb.1557:
	s_cmp_lt_i32 s0, 24
	s_cbranch_scc1 .LBB356_1567
; %bb.1558:
	s_cmp_gt_i32 s0, 24
	s_cbranch_scc0 .LBB356_1568
; %bb.1559:
	global_load_u8 v7, v[8:9], off
	s_mov_b32 s6, 0
	s_mov_b32 s2, exec_lo
	s_wait_loadcnt 0x0
	v_cmpx_lt_i16_e32 0x7f, v7
	s_xor_b32 s2, exec_lo, s2
	s_cbranch_execz .LBB356_1580
; %bb.1560:
	v_cmp_ne_u16_e32 vcc_lo, 0x80, v7
	s_and_b32 s6, vcc_lo, exec_lo
	s_and_not1_saveexec_b32 s2, s2
	s_cbranch_execnz .LBB356_1581
.LBB356_1561:
	s_or_b32 exec_lo, exec_lo, s2
	v_mov_b32_e32 v10, 0
	s_and_saveexec_b32 s2, s6
	s_cbranch_execz .LBB356_1563
.LBB356_1562:
	v_and_b32_e32 v10, 0xffff, v7
	s_delay_alu instid0(VALU_DEP_1) | instskip(SKIP_1) | instid1(VALU_DEP_2)
	v_and_b32_e32 v11, 3, v10
	v_bfe_u32 v14, v10, 2, 5
	v_clz_i32_u32_e32 v12, v11
	s_delay_alu instid0(VALU_DEP_2) | instskip(NEXT) | instid1(VALU_DEP_2)
	v_cmp_eq_u32_e32 vcc_lo, 0, v14
	v_min_u32_e32 v12, 32, v12
	s_delay_alu instid0(VALU_DEP_1) | instskip(NEXT) | instid1(VALU_DEP_1)
	v_subrev_nc_u32_e32 v13, 29, v12
	v_dual_lshlrev_b32 v10, v13, v10 :: v_dual_sub_nc_u32 v12, 30, v12
	s_delay_alu instid0(VALU_DEP_1) | instskip(NEXT) | instid1(VALU_DEP_1)
	v_dual_lshlrev_b32 v7, 24, v7 :: v_dual_bitop2_b32 v10, 3, v10 bitop3:0x40
	v_dual_cndmask_b32 v12, v14, v12, vcc_lo :: v_dual_cndmask_b32 v10, v11, v10, vcc_lo
	s_delay_alu instid0(VALU_DEP_2) | instskip(NEXT) | instid1(VALU_DEP_2)
	v_and_b32_e32 v7, 0x80000000, v7
	v_lshl_add_u32 v11, v12, 23, 0x37800000
	s_delay_alu instid0(VALU_DEP_3) | instskip(NEXT) | instid1(VALU_DEP_1)
	v_lshlrev_b32_e32 v10, 21, v10
	v_or3_b32 v7, v7, v11, v10
	s_delay_alu instid0(VALU_DEP_1)
	v_cvt_u32_f32_e32 v10, v7
.LBB356_1563:
	s_or_b32 exec_lo, exec_lo, s2
	s_mov_b32 s2, 0
	s_branch .LBB356_1569
.LBB356_1564:
	s_mov_b32 s2, -1
                                        ; implicit-def: $vgpr10
	s_branch .LBB356_1575
.LBB356_1565:
	s_and_not1_saveexec_b32 s6, s6
	s_cbranch_execz .LBB356_1550
.LBB356_1566:
	v_cmp_ne_u16_e32 vcc_lo, 0, v7
	s_and_not1_b32 s7, s7, exec_lo
	s_and_b32 s10, vcc_lo, exec_lo
	s_delay_alu instid0(SALU_CYCLE_1)
	s_or_b32 s7, s7, s10
	s_or_b32 exec_lo, exec_lo, s6
	v_mov_b32_e32 v10, 0
	s_and_saveexec_b32 s6, s7
	s_cbranch_execnz .LBB356_1551
	s_branch .LBB356_1552
.LBB356_1567:
	s_mov_b32 s2, -1
                                        ; implicit-def: $vgpr10
	s_branch .LBB356_1572
.LBB356_1568:
	s_mov_b32 s2, -1
                                        ; implicit-def: $vgpr10
.LBB356_1569:
	s_delay_alu instid0(SALU_CYCLE_1)
	s_and_b32 vcc_lo, exec_lo, s2
	s_cbranch_vccz .LBB356_1571
; %bb.1570:
	global_load_u8 v7, v[8:9], off
	s_wait_loadcnt 0x0
	v_lshlrev_b32_e32 v7, 24, v7
	s_wait_xcnt 0x1
	s_delay_alu instid0(VALU_DEP_1) | instskip(NEXT) | instid1(VALU_DEP_1)
	v_and_b32_e32 v10, 0x7f000000, v7
	v_clz_i32_u32_e32 v11, v10
	v_cmp_ne_u32_e32 vcc_lo, 0, v10
	v_add_nc_u32_e32 v13, 0x1000000, v10
	s_delay_alu instid0(VALU_DEP_3) | instskip(NEXT) | instid1(VALU_DEP_1)
	v_min_u32_e32 v11, 32, v11
	v_sub_nc_u32_e64 v11, v11, 4 clamp
	s_delay_alu instid0(VALU_DEP_1) | instskip(NEXT) | instid1(VALU_DEP_1)
	v_dual_lshlrev_b32 v12, v11, v10 :: v_dual_lshlrev_b32 v11, 23, v11
	v_lshrrev_b32_e32 v12, 4, v12
	s_delay_alu instid0(VALU_DEP_1) | instskip(NEXT) | instid1(VALU_DEP_1)
	v_dual_sub_nc_u32 v11, v12, v11 :: v_dual_ashrrev_i32 v12, 8, v13
	v_add_nc_u32_e32 v11, 0x3c000000, v11
	s_delay_alu instid0(VALU_DEP_1) | instskip(NEXT) | instid1(VALU_DEP_1)
	v_and_or_b32 v11, 0x7f800000, v12, v11
	v_cndmask_b32_e32 v10, 0, v11, vcc_lo
	s_delay_alu instid0(VALU_DEP_1) | instskip(NEXT) | instid1(VALU_DEP_1)
	v_and_or_b32 v7, 0x80000000, v7, v10
	v_cvt_u32_f32_e32 v10, v7
.LBB356_1571:
	s_mov_b32 s2, 0
.LBB356_1572:
	s_delay_alu instid0(SALU_CYCLE_1)
	s_and_not1_b32 vcc_lo, exec_lo, s2
	s_cbranch_vccnz .LBB356_1574
; %bb.1573:
	global_load_u8 v7, v[8:9], off
	s_wait_loadcnt 0x0
	s_wait_xcnt 0x1
	v_lshlrev_b32_e32 v10, 25, v7
	v_lshlrev_b16 v7, 8, v7
	s_delay_alu instid0(VALU_DEP_1) | instskip(SKIP_1) | instid1(VALU_DEP_2)
	v_and_or_b32 v12, 0x7f00, v7, 0.5
	v_bfe_i32 v7, v7, 0, 16
	v_dual_add_f32 v12, -0.5, v12 :: v_dual_lshrrev_b32 v11, 4, v10
	v_cmp_gt_u32_e32 vcc_lo, 0x8000000, v10
	s_delay_alu instid0(VALU_DEP_2) | instskip(NEXT) | instid1(VALU_DEP_1)
	v_or_b32_e32 v11, 0x70000000, v11
	v_mul_f32_e32 v11, 0x7800000, v11
	s_delay_alu instid0(VALU_DEP_1) | instskip(NEXT) | instid1(VALU_DEP_1)
	v_cndmask_b32_e32 v10, v11, v12, vcc_lo
	v_and_or_b32 v7, 0x80000000, v7, v10
	s_delay_alu instid0(VALU_DEP_1)
	v_cvt_u32_f32_e32 v10, v7
.LBB356_1574:
	s_mov_b32 s2, 0
	s_mov_b32 s6, -1
.LBB356_1575:
	s_and_not1_b32 vcc_lo, exec_lo, s2
	s_mov_b32 s2, 0
	s_cbranch_vccnz .LBB356_1586
; %bb.1576:
	s_cmp_gt_i32 s0, 14
	s_cbranch_scc0 .LBB356_1579
; %bb.1577:
	s_cmp_eq_u32 s0, 15
	s_cbranch_scc0 .LBB356_1582
; %bb.1578:
	global_load_u16 v7, v[8:9], off
	s_mov_b32 s1, 0
	s_mov_b32 s6, -1
	s_wait_loadcnt 0x0
	v_lshlrev_b32_e32 v7, 16, v7
	s_wait_xcnt 0x1
	s_delay_alu instid0(VALU_DEP_1)
	v_cvt_u32_f32_e32 v10, v7
	s_branch .LBB356_1584
.LBB356_1579:
	s_mov_b32 s2, -1
	s_branch .LBB356_1583
.LBB356_1580:
	s_and_not1_saveexec_b32 s2, s2
	s_cbranch_execz .LBB356_1561
.LBB356_1581:
	v_cmp_ne_u16_e32 vcc_lo, 0, v7
	s_and_not1_b32 s6, s6, exec_lo
	s_and_b32 s7, vcc_lo, exec_lo
	s_delay_alu instid0(SALU_CYCLE_1)
	s_or_b32 s6, s6, s7
	s_or_b32 exec_lo, exec_lo, s2
	v_mov_b32_e32 v10, 0
	s_and_saveexec_b32 s2, s6
	s_cbranch_execnz .LBB356_1562
	s_branch .LBB356_1563
.LBB356_1582:
	s_mov_b32 s1, -1
.LBB356_1583:
                                        ; implicit-def: $vgpr10
.LBB356_1584:
	s_and_b32 vcc_lo, exec_lo, s2
	s_mov_b32 s2, 0
	s_cbranch_vccz .LBB356_1586
; %bb.1585:
	s_cmp_lg_u32 s0, 11
	s_mov_b32 s2, -1
	s_cselect_b32 s1, -1, 0
.LBB356_1586:
	s_delay_alu instid0(SALU_CYCLE_1)
	s_and_b32 vcc_lo, exec_lo, s1
	s_cbranch_vccnz .LBB356_2118
; %bb.1587:
	s_and_not1_b32 vcc_lo, exec_lo, s2
	s_cbranch_vccnz .LBB356_1589
.LBB356_1588:
	global_load_u8 v7, v[8:9], off
	s_mov_b32 s6, -1
	s_wait_loadcnt 0x0
	v_cmp_ne_u16_e32 vcc_lo, 0, v7
	s_wait_xcnt 0x1
	v_cndmask_b32_e64 v10, 0, 1, vcc_lo
.LBB356_1589:
	s_mov_b32 s1, 0
.LBB356_1590:
	s_delay_alu instid0(SALU_CYCLE_1)
	s_and_b32 vcc_lo, exec_lo, s1
	s_cbranch_vccz .LBB356_1639
; %bb.1591:
	s_cmp_lt_i32 s0, 5
	s_cbranch_scc1 .LBB356_1596
; %bb.1592:
	s_cmp_lt_i32 s0, 8
	s_cbranch_scc1 .LBB356_1597
; %bb.1593:
	s_cmp_lt_i32 s0, 9
	s_cbranch_scc1 .LBB356_1598
; %bb.1594:
	s_cmp_gt_i32 s0, 9
	s_cbranch_scc0 .LBB356_1599
; %bb.1595:
	s_wait_loadcnt 0x0
	global_load_b64 v[10:11], v[8:9], off
	s_mov_b32 s1, 0
	s_wait_loadcnt 0x0
	v_cvt_u32_f64_e32 v10, v[10:11]
	s_branch .LBB356_1600
.LBB356_1596:
	s_mov_b32 s1, -1
                                        ; implicit-def: $vgpr10
	s_branch .LBB356_1618
.LBB356_1597:
	s_mov_b32 s1, -1
                                        ; implicit-def: $vgpr10
	s_branch .LBB356_1606
.LBB356_1598:
	s_mov_b32 s1, -1
                                        ; implicit-def: $vgpr10
	s_branch .LBB356_1603
.LBB356_1599:
	s_mov_b32 s1, -1
                                        ; implicit-def: $vgpr10
.LBB356_1600:
	s_delay_alu instid0(SALU_CYCLE_1)
	s_and_not1_b32 vcc_lo, exec_lo, s1
	s_cbranch_vccnz .LBB356_1602
; %bb.1601:
	global_load_b32 v7, v[8:9], off
	s_wait_loadcnt 0x0
	s_wait_xcnt 0x1
	v_cvt_u32_f32_e32 v10, v7
.LBB356_1602:
	s_mov_b32 s1, 0
.LBB356_1603:
	s_delay_alu instid0(SALU_CYCLE_1)
	s_and_not1_b32 vcc_lo, exec_lo, s1
	s_cbranch_vccnz .LBB356_1605
; %bb.1604:
	global_load_b32 v7, v[8:9], off
	s_wait_loadcnt 0x0
	v_cvt_f32_f16_e32 v7, v7
	s_wait_xcnt 0x1
	s_delay_alu instid0(VALU_DEP_1)
	v_cvt_u32_f32_e32 v10, v7
.LBB356_1605:
	s_mov_b32 s1, 0
.LBB356_1606:
	s_delay_alu instid0(SALU_CYCLE_1)
	s_and_not1_b32 vcc_lo, exec_lo, s1
	s_cbranch_vccnz .LBB356_1617
; %bb.1607:
	s_cmp_lt_i32 s0, 6
	s_cbranch_scc1 .LBB356_1610
; %bb.1608:
	s_cmp_gt_i32 s0, 6
	s_cbranch_scc0 .LBB356_1611
; %bb.1609:
	s_wait_loadcnt 0x0
	global_load_b64 v[10:11], v[8:9], off
	s_mov_b32 s1, 0
	s_wait_loadcnt 0x0
	v_cvt_u32_f64_e32 v10, v[10:11]
	s_branch .LBB356_1612
.LBB356_1610:
	s_mov_b32 s1, -1
                                        ; implicit-def: $vgpr10
	s_branch .LBB356_1615
.LBB356_1611:
	s_mov_b32 s1, -1
                                        ; implicit-def: $vgpr10
.LBB356_1612:
	s_delay_alu instid0(SALU_CYCLE_1)
	s_and_not1_b32 vcc_lo, exec_lo, s1
	s_cbranch_vccnz .LBB356_1614
; %bb.1613:
	global_load_b32 v7, v[8:9], off
	s_wait_loadcnt 0x0
	s_wait_xcnt 0x1
	v_cvt_u32_f32_e32 v10, v7
.LBB356_1614:
	s_mov_b32 s1, 0
.LBB356_1615:
	s_delay_alu instid0(SALU_CYCLE_1)
	s_and_not1_b32 vcc_lo, exec_lo, s1
	s_cbranch_vccnz .LBB356_1617
; %bb.1616:
	global_load_u16 v7, v[8:9], off
	s_wait_loadcnt 0x0
	v_cvt_f32_f16_e32 v7, v7
	s_wait_xcnt 0x1
	s_delay_alu instid0(VALU_DEP_1)
	v_cvt_u32_f32_e32 v10, v7
.LBB356_1617:
	s_mov_b32 s1, 0
.LBB356_1618:
	s_delay_alu instid0(SALU_CYCLE_1)
	s_and_not1_b32 vcc_lo, exec_lo, s1
	s_cbranch_vccnz .LBB356_1638
; %bb.1619:
	s_cmp_lt_i32 s0, 2
	s_cbranch_scc1 .LBB356_1623
; %bb.1620:
	s_cmp_lt_i32 s0, 3
	s_cbranch_scc1 .LBB356_1624
; %bb.1621:
	s_cmp_gt_i32 s0, 3
	s_cbranch_scc0 .LBB356_1625
; %bb.1622:
	s_wait_loadcnt 0x0
	global_load_b32 v10, v[8:9], off
	s_mov_b32 s1, 0
	s_branch .LBB356_1626
.LBB356_1623:
	s_mov_b32 s1, -1
                                        ; implicit-def: $vgpr10
	s_branch .LBB356_1632
.LBB356_1624:
	s_mov_b32 s1, -1
                                        ; implicit-def: $vgpr10
	s_branch .LBB356_1629
.LBB356_1625:
	s_mov_b32 s1, -1
                                        ; implicit-def: $vgpr10
.LBB356_1626:
	s_delay_alu instid0(SALU_CYCLE_1)
	s_and_not1_b32 vcc_lo, exec_lo, s1
	s_cbranch_vccnz .LBB356_1628
; %bb.1627:
	s_wait_loadcnt 0x0
	global_load_b32 v10, v[8:9], off
.LBB356_1628:
	s_mov_b32 s1, 0
.LBB356_1629:
	s_delay_alu instid0(SALU_CYCLE_1)
	s_and_not1_b32 vcc_lo, exec_lo, s1
	s_cbranch_vccnz .LBB356_1631
; %bb.1630:
	s_wait_loadcnt 0x0
	global_load_i16 v10, v[8:9], off
.LBB356_1631:
	s_mov_b32 s1, 0
.LBB356_1632:
	s_delay_alu instid0(SALU_CYCLE_1)
	s_and_not1_b32 vcc_lo, exec_lo, s1
	s_cbranch_vccnz .LBB356_1638
; %bb.1633:
	s_cmp_gt_i32 s0, 0
	s_mov_b32 s0, 0
	s_cbranch_scc0 .LBB356_1635
; %bb.1634:
	s_wait_loadcnt 0x0
	global_load_i8 v10, v[8:9], off
	s_branch .LBB356_1636
.LBB356_1635:
	s_mov_b32 s0, -1
                                        ; implicit-def: $vgpr10
.LBB356_1636:
	s_delay_alu instid0(SALU_CYCLE_1)
	s_and_not1_b32 vcc_lo, exec_lo, s0
	s_cbranch_vccnz .LBB356_1638
; %bb.1637:
	s_wait_loadcnt 0x0
	global_load_u8 v10, v[8:9], off
.LBB356_1638:
	s_mov_b32 s6, -1
.LBB356_1639:
	s_delay_alu instid0(SALU_CYCLE_1)
	s_and_not1_b32 vcc_lo, exec_lo, s6
	s_cbranch_vccnz .LBB356_2072
; %bb.1640:
	s_load_b96 s[0:2], s[16:17], 0x158
	v_mov_b32_e32 v7, 0
	s_mov_b32 s12, 0
	s_delay_alu instid0(VALU_DEP_1)
	v_add_nc_u64_e32 v[6:7], s[4:5], v[6:7]
	s_wait_loadcnt 0x0
	s_wait_kmcnt 0x0
	v_cmp_ne_u32_e32 vcc_lo, s1, v5
	s_cmp_eq_u32 s0, 0
	s_mov_b32 s0, -1
	s_cselect_b32 s6, -1, 0
	s_and_b32 s2, s2, 0xff
	s_xor_b32 s7, s6, vcc_lo
	s_cmp_lt_i32 s2, 11
	s_cbranch_scc1 .LBB356_1719
; %bb.1641:
	s_and_b32 s10, 0xffff, s2
	s_mov_b32 s13, -1
	s_mov_b32 s11, 0
	s_cmp_gt_i32 s10, 25
	s_mov_b32 s0, 0
	s_cbranch_scc0 .LBB356_1674
; %bb.1642:
	s_cmp_gt_i32 s10, 28
	s_cbranch_scc0 .LBB356_1657
; %bb.1643:
	s_cmp_gt_i32 s10, 43
	;; [unrolled: 3-line block ×3, first 2 shown]
	s_cbranch_scc0 .LBB356_1647
; %bb.1645:
	s_mov_b32 s0, -1
	s_mov_b32 s13, 0
	s_cmp_eq_u32 s10, 46
	s_cbranch_scc0 .LBB356_1647
; %bb.1646:
	v_cndmask_b32_e64 v5, 0, 1.0, s7
	s_mov_b32 s0, 0
	s_mov_b32 s12, -1
	s_delay_alu instid0(VALU_DEP_1) | instskip(NEXT) | instid1(VALU_DEP_1)
	v_bfe_u32 v8, v5, 16, 1
	v_add3_u32 v5, v5, v8, 0x7fff
	s_delay_alu instid0(VALU_DEP_1)
	v_lshrrev_b32_e32 v5, 16, v5
	global_store_b32 v[6:7], v5, off
.LBB356_1647:
	s_and_b32 vcc_lo, exec_lo, s13
	s_cbranch_vccz .LBB356_1652
; %bb.1648:
	s_cmp_eq_u32 s10, 44
	s_mov_b32 s0, -1
	s_cbranch_scc0 .LBB356_1652
; %bb.1649:
	v_cndmask_b32_e64 v9, 0, 1.0, s7
	s_mov_b32 s12, exec_lo
	s_wait_xcnt 0x0
	s_delay_alu instid0(VALU_DEP_1) | instskip(NEXT) | instid1(VALU_DEP_1)
	v_dual_mov_b32 v8, 0xff :: v_dual_lshrrev_b32 v5, 23, v9
	v_cmpx_ne_u32_e32 0xff, v5
; %bb.1650:
	v_and_b32_e32 v8, 0x400000, v9
	v_and_or_b32 v9, 0x3fffff, v9, v5
	s_delay_alu instid0(VALU_DEP_2) | instskip(NEXT) | instid1(VALU_DEP_2)
	v_cmp_ne_u32_e32 vcc_lo, 0, v8
	v_cmp_ne_u32_e64 s0, 0, v9
	s_and_b32 s0, vcc_lo, s0
	s_delay_alu instid0(SALU_CYCLE_1) | instskip(NEXT) | instid1(VALU_DEP_1)
	v_cndmask_b32_e64 v8, 0, 1, s0
	v_add_nc_u32_e32 v8, v5, v8
; %bb.1651:
	s_or_b32 exec_lo, exec_lo, s12
	s_mov_b32 s0, 0
	s_mov_b32 s12, -1
	global_store_b8 v[6:7], v8, off
.LBB356_1652:
	s_mov_b32 s13, 0
.LBB356_1653:
	s_delay_alu instid0(SALU_CYCLE_1)
	s_and_b32 vcc_lo, exec_lo, s13
	s_cbranch_vccz .LBB356_1656
; %bb.1654:
	s_cmp_eq_u32 s10, 29
	s_mov_b32 s0, -1
	s_cbranch_scc0 .LBB356_1656
; %bb.1655:
	s_mov_b32 s0, 0
	s_wait_xcnt 0x0
	v_cndmask_b32_e64 v8, 0, 1, s7
	v_mov_b32_e32 v9, s0
	s_mov_b32 s12, -1
	global_store_b64 v[6:7], v[8:9], off
.LBB356_1656:
	s_mov_b32 s13, 0
.LBB356_1657:
	s_delay_alu instid0(SALU_CYCLE_1)
	s_and_b32 vcc_lo, exec_lo, s13
	s_cbranch_vccz .LBB356_1673
; %bb.1658:
	s_cmp_lt_i32 s10, 27
	s_mov_b32 s12, -1
	s_cbranch_scc1 .LBB356_1664
; %bb.1659:
	s_cmp_gt_i32 s10, 27
	s_cbranch_scc0 .LBB356_1661
; %bb.1660:
	s_wait_xcnt 0x0
	v_cndmask_b32_e64 v5, 0, 1, s7
	s_mov_b32 s12, 0
	global_store_b32 v[6:7], v5, off
.LBB356_1661:
	s_and_not1_b32 vcc_lo, exec_lo, s12
	s_cbranch_vccnz .LBB356_1663
; %bb.1662:
	s_wait_xcnt 0x0
	v_cndmask_b32_e64 v5, 0, 1, s7
	global_store_b16 v[6:7], v5, off
.LBB356_1663:
	s_mov_b32 s12, 0
.LBB356_1664:
	s_delay_alu instid0(SALU_CYCLE_1)
	s_and_not1_b32 vcc_lo, exec_lo, s12
	s_cbranch_vccnz .LBB356_1672
; %bb.1665:
	s_wait_xcnt 0x0
	v_cndmask_b32_e64 v8, 0, 1.0, s7
	v_mov_b32_e32 v9, 0x80
	s_mov_b32 s12, exec_lo
	s_delay_alu instid0(VALU_DEP_2)
	v_cmpx_gt_u32_e32 0x43800000, v8
	s_cbranch_execz .LBB356_1671
; %bb.1666:
	s_mov_b32 s13, 0
	s_mov_b32 s14, exec_lo
                                        ; implicit-def: $vgpr5
	v_cmpx_lt_u32_e32 0x3bffffff, v8
	s_xor_b32 s14, exec_lo, s14
	s_cbranch_execz .LBB356_2119
; %bb.1667:
	v_bfe_u32 v5, v8, 20, 1
	s_mov_b32 s13, exec_lo
	s_delay_alu instid0(VALU_DEP_1) | instskip(NEXT) | instid1(VALU_DEP_1)
	v_add3_u32 v5, v8, v5, 0x487ffff
                                        ; implicit-def: $vgpr8
	v_lshrrev_b32_e32 v5, 20, v5
	s_and_not1_saveexec_b32 s14, s14
	s_cbranch_execnz .LBB356_2120
.LBB356_1668:
	s_or_b32 exec_lo, exec_lo, s14
	v_mov_b32_e32 v9, 0
	s_and_saveexec_b32 s14, s13
.LBB356_1669:
	v_mov_b32_e32 v9, v5
.LBB356_1670:
	s_or_b32 exec_lo, exec_lo, s14
.LBB356_1671:
	s_delay_alu instid0(SALU_CYCLE_1)
	s_or_b32 exec_lo, exec_lo, s12
	global_store_b8 v[6:7], v9, off
.LBB356_1672:
	s_mov_b32 s12, -1
.LBB356_1673:
	s_mov_b32 s13, 0
.LBB356_1674:
	s_delay_alu instid0(SALU_CYCLE_1)
	s_and_b32 vcc_lo, exec_lo, s13
	s_cbranch_vccz .LBB356_1714
; %bb.1675:
	s_cmp_gt_i32 s10, 22
	s_mov_b32 s11, -1
	s_cbranch_scc0 .LBB356_1707
; %bb.1676:
	s_cmp_lt_i32 s10, 24
	s_cbranch_scc1 .LBB356_1696
; %bb.1677:
	s_cmp_gt_i32 s10, 24
	s_cbranch_scc0 .LBB356_1685
; %bb.1678:
	s_wait_xcnt 0x0
	v_cndmask_b32_e64 v8, 0, 1.0, s7
	v_mov_b32_e32 v9, 0x80
	s_mov_b32 s11, exec_lo
	s_delay_alu instid0(VALU_DEP_2)
	v_cmpx_gt_u32_e32 0x47800000, v8
	s_cbranch_execz .LBB356_1684
; %bb.1679:
	s_mov_b32 s12, 0
	s_mov_b32 s13, exec_lo
                                        ; implicit-def: $vgpr5
	v_cmpx_lt_u32_e32 0x37ffffff, v8
	s_xor_b32 s13, exec_lo, s13
	s_cbranch_execz .LBB356_2122
; %bb.1680:
	v_bfe_u32 v5, v8, 21, 1
	s_mov_b32 s12, exec_lo
	s_delay_alu instid0(VALU_DEP_1) | instskip(NEXT) | instid1(VALU_DEP_1)
	v_add3_u32 v5, v8, v5, 0x88fffff
                                        ; implicit-def: $vgpr8
	v_lshrrev_b32_e32 v5, 21, v5
	s_and_not1_saveexec_b32 s13, s13
	s_cbranch_execnz .LBB356_2123
.LBB356_1681:
	s_or_b32 exec_lo, exec_lo, s13
	v_mov_b32_e32 v9, 0
	s_and_saveexec_b32 s13, s12
.LBB356_1682:
	v_mov_b32_e32 v9, v5
.LBB356_1683:
	s_or_b32 exec_lo, exec_lo, s13
.LBB356_1684:
	s_delay_alu instid0(SALU_CYCLE_1)
	s_or_b32 exec_lo, exec_lo, s11
	s_mov_b32 s11, 0
	global_store_b8 v[6:7], v9, off
.LBB356_1685:
	s_and_b32 vcc_lo, exec_lo, s11
	s_cbranch_vccz .LBB356_1695
; %bb.1686:
	s_wait_xcnt 0x0
	v_cndmask_b32_e64 v8, 0, 1.0, s7
	s_mov_b32 s11, exec_lo
                                        ; implicit-def: $vgpr5
	s_delay_alu instid0(VALU_DEP_1)
	v_cmpx_gt_u32_e32 0x43f00000, v8
	s_xor_b32 s11, exec_lo, s11
	s_cbranch_execz .LBB356_1692
; %bb.1687:
	s_mov_b32 s12, exec_lo
                                        ; implicit-def: $vgpr5
	v_cmpx_lt_u32_e32 0x3c7fffff, v8
	s_xor_b32 s12, exec_lo, s12
; %bb.1688:
	v_bfe_u32 v5, v8, 20, 1
	s_delay_alu instid0(VALU_DEP_1) | instskip(NEXT) | instid1(VALU_DEP_1)
	v_add3_u32 v5, v8, v5, 0x407ffff
	v_and_b32_e32 v8, 0xff00000, v5
	v_lshrrev_b32_e32 v5, 20, v5
	s_delay_alu instid0(VALU_DEP_2) | instskip(NEXT) | instid1(VALU_DEP_2)
	v_cmp_ne_u32_e32 vcc_lo, 0x7f00000, v8
                                        ; implicit-def: $vgpr8
	v_cndmask_b32_e32 v5, 0x7e, v5, vcc_lo
; %bb.1689:
	s_and_not1_saveexec_b32 s12, s12
; %bb.1690:
	v_add_f32_e32 v5, 0x46800000, v8
; %bb.1691:
	s_or_b32 exec_lo, exec_lo, s12
                                        ; implicit-def: $vgpr8
.LBB356_1692:
	s_and_not1_saveexec_b32 s11, s11
; %bb.1693:
	v_mov_b32_e32 v5, 0x7f
	v_cmp_lt_u32_e32 vcc_lo, 0x7f800000, v8
	s_delay_alu instid0(VALU_DEP_2)
	v_cndmask_b32_e32 v5, 0x7e, v5, vcc_lo
; %bb.1694:
	s_or_b32 exec_lo, exec_lo, s11
	global_store_b8 v[6:7], v5, off
.LBB356_1695:
	s_mov_b32 s11, 0
.LBB356_1696:
	s_delay_alu instid0(SALU_CYCLE_1)
	s_and_not1_b32 vcc_lo, exec_lo, s11
	s_cbranch_vccnz .LBB356_1706
; %bb.1697:
	s_wait_xcnt 0x0
	v_cndmask_b32_e64 v8, 0, 1.0, s7
	s_mov_b32 s11, exec_lo
                                        ; implicit-def: $vgpr5
	s_delay_alu instid0(VALU_DEP_1)
	v_cmpx_gt_u32_e32 0x47800000, v8
	s_xor_b32 s11, exec_lo, s11
	s_cbranch_execz .LBB356_1703
; %bb.1698:
	s_mov_b32 s12, exec_lo
                                        ; implicit-def: $vgpr5
	v_cmpx_lt_u32_e32 0x387fffff, v8
	s_xor_b32 s12, exec_lo, s12
; %bb.1699:
	v_bfe_u32 v5, v8, 21, 1
	s_delay_alu instid0(VALU_DEP_1) | instskip(NEXT) | instid1(VALU_DEP_1)
	v_add3_u32 v5, v8, v5, 0x80fffff
                                        ; implicit-def: $vgpr8
	v_lshrrev_b32_e32 v5, 21, v5
; %bb.1700:
	s_and_not1_saveexec_b32 s12, s12
; %bb.1701:
	v_add_f32_e32 v5, 0x43000000, v8
; %bb.1702:
	s_or_b32 exec_lo, exec_lo, s12
                                        ; implicit-def: $vgpr8
.LBB356_1703:
	s_and_not1_saveexec_b32 s11, s11
; %bb.1704:
	v_mov_b32_e32 v5, 0x7f
	v_cmp_lt_u32_e32 vcc_lo, 0x7f800000, v8
	s_delay_alu instid0(VALU_DEP_2)
	v_cndmask_b32_e32 v5, 0x7c, v5, vcc_lo
; %bb.1705:
	s_or_b32 exec_lo, exec_lo, s11
	global_store_b8 v[6:7], v5, off
.LBB356_1706:
	s_mov_b32 s11, 0
	s_mov_b32 s12, -1
.LBB356_1707:
	s_and_not1_b32 vcc_lo, exec_lo, s11
	s_mov_b32 s11, 0
	s_cbranch_vccnz .LBB356_1714
; %bb.1708:
	s_cmp_gt_i32 s10, 14
	s_mov_b32 s11, -1
	s_cbranch_scc0 .LBB356_1712
; %bb.1709:
	s_cmp_eq_u32 s10, 15
	s_mov_b32 s0, -1
	s_cbranch_scc0 .LBB356_1711
; %bb.1710:
	s_wait_xcnt 0x0
	v_cndmask_b32_e64 v5, 0, 1.0, s7
	s_mov_b32 s0, 0
	s_mov_b32 s12, -1
	s_delay_alu instid0(VALU_DEP_1) | instskip(NEXT) | instid1(VALU_DEP_1)
	v_bfe_u32 v8, v5, 16, 1
	v_add3_u32 v5, v5, v8, 0x7fff
	global_store_d16_hi_b16 v[6:7], v5, off
.LBB356_1711:
	s_mov_b32 s11, 0
.LBB356_1712:
	s_delay_alu instid0(SALU_CYCLE_1)
	s_and_b32 vcc_lo, exec_lo, s11
	s_mov_b32 s11, 0
	s_cbranch_vccz .LBB356_1714
; %bb.1713:
	s_cmp_lg_u32 s10, 11
	s_mov_b32 s11, -1
	s_cselect_b32 s0, -1, 0
.LBB356_1714:
	s_delay_alu instid0(SALU_CYCLE_1)
	s_and_b32 vcc_lo, exec_lo, s0
	s_cbranch_vccnz .LBB356_2121
; %bb.1715:
	s_and_not1_b32 vcc_lo, exec_lo, s11
	s_cbranch_vccnz .LBB356_1717
.LBB356_1716:
	s_wait_xcnt 0x0
	v_cndmask_b32_e64 v5, 0, 1, s7
	s_mov_b32 s12, -1
	global_store_b8 v[6:7], v5, off
.LBB356_1717:
.LBB356_1718:
	s_and_not1_b32 vcc_lo, exec_lo, s12
	s_cbranch_vccnz .LBB356_2072
	s_branch .LBB356_1758
.LBB356_1719:
	s_and_b32 vcc_lo, exec_lo, s0
	s_cbranch_vccz .LBB356_1718
; %bb.1720:
	s_and_b32 s0, 0xffff, s2
	s_mov_b32 s10, -1
	s_cmp_lt_i32 s0, 5
	s_cbranch_scc1 .LBB356_1741
; %bb.1721:
	s_cmp_lt_i32 s0, 8
	s_cbranch_scc1 .LBB356_1731
; %bb.1722:
	;; [unrolled: 3-line block ×3, first 2 shown]
	s_cmp_gt_i32 s0, 9
	s_cbranch_scc0 .LBB356_1725
; %bb.1724:
	s_wait_xcnt 0x0
	v_cndmask_b32_e64 v5, 0, 1, s7
	v_mov_b32_e32 v14, 0
	s_mov_b32 s10, 0
	s_delay_alu instid0(VALU_DEP_2) | instskip(NEXT) | instid1(VALU_DEP_2)
	v_cvt_f64_u32_e32 v[12:13], v5
	v_mov_b32_e32 v15, v14
	global_store_b128 v[6:7], v[12:15], off
.LBB356_1725:
	s_and_not1_b32 vcc_lo, exec_lo, s10
	s_cbranch_vccnz .LBB356_1727
; %bb.1726:
	s_wait_xcnt 0x0
	v_cndmask_b32_e64 v8, 0, 1.0, s7
	v_mov_b32_e32 v9, 0
	global_store_b64 v[6:7], v[8:9], off
.LBB356_1727:
	s_mov_b32 s10, 0
.LBB356_1728:
	s_delay_alu instid0(SALU_CYCLE_1)
	s_and_not1_b32 vcc_lo, exec_lo, s10
	s_cbranch_vccnz .LBB356_1730
; %bb.1729:
	s_wait_xcnt 0x0
	v_cndmask_b32_e64 v5, 0, 1.0, s7
	s_delay_alu instid0(VALU_DEP_1) | instskip(NEXT) | instid1(VALU_DEP_1)
	v_cvt_f16_f32_e32 v5, v5
	v_and_b32_e32 v5, 0xffff, v5
	global_store_b32 v[6:7], v5, off
.LBB356_1730:
	s_mov_b32 s10, 0
.LBB356_1731:
	s_delay_alu instid0(SALU_CYCLE_1)
	s_and_not1_b32 vcc_lo, exec_lo, s10
	s_cbranch_vccnz .LBB356_1740
; %bb.1732:
	s_cmp_lt_i32 s0, 6
	s_mov_b32 s10, -1
	s_cbranch_scc1 .LBB356_1738
; %bb.1733:
	s_cmp_gt_i32 s0, 6
	s_cbranch_scc0 .LBB356_1735
; %bb.1734:
	s_wait_xcnt 0x0
	v_cndmask_b32_e64 v5, 0, 1, s7
	s_mov_b32 s10, 0
	s_delay_alu instid0(VALU_DEP_1)
	v_cvt_f64_u32_e32 v[8:9], v5
	global_store_b64 v[6:7], v[8:9], off
.LBB356_1735:
	s_and_not1_b32 vcc_lo, exec_lo, s10
	s_cbranch_vccnz .LBB356_1737
; %bb.1736:
	s_wait_xcnt 0x0
	v_cndmask_b32_e64 v5, 0, 1.0, s7
	global_store_b32 v[6:7], v5, off
.LBB356_1737:
	s_mov_b32 s10, 0
.LBB356_1738:
	s_delay_alu instid0(SALU_CYCLE_1)
	s_and_not1_b32 vcc_lo, exec_lo, s10
	s_cbranch_vccnz .LBB356_1740
; %bb.1739:
	s_wait_xcnt 0x0
	v_cndmask_b32_e64 v5, 0, 1.0, s7
	s_delay_alu instid0(VALU_DEP_1)
	v_cvt_f16_f32_e32 v5, v5
	global_store_b16 v[6:7], v5, off
.LBB356_1740:
	s_mov_b32 s10, 0
.LBB356_1741:
	s_delay_alu instid0(SALU_CYCLE_1)
	s_and_not1_b32 vcc_lo, exec_lo, s10
	s_cbranch_vccnz .LBB356_1757
; %bb.1742:
	s_cmp_lt_i32 s0, 2
	s_mov_b32 s10, -1
	s_cbranch_scc1 .LBB356_1752
; %bb.1743:
	s_cmp_lt_i32 s0, 3
	s_cbranch_scc1 .LBB356_1749
; %bb.1744:
	s_cmp_gt_i32 s0, 3
	s_cbranch_scc0 .LBB356_1746
; %bb.1745:
	s_mov_b32 s10, 0
	s_wait_xcnt 0x0
	v_cndmask_b32_e64 v8, 0, 1, s7
	v_mov_b32_e32 v9, s10
	global_store_b64 v[6:7], v[8:9], off
.LBB356_1746:
	s_and_not1_b32 vcc_lo, exec_lo, s10
	s_cbranch_vccnz .LBB356_1748
; %bb.1747:
	s_wait_xcnt 0x0
	v_cndmask_b32_e64 v5, 0, 1, s7
	global_store_b32 v[6:7], v5, off
.LBB356_1748:
	s_mov_b32 s10, 0
.LBB356_1749:
	s_delay_alu instid0(SALU_CYCLE_1)
	s_and_not1_b32 vcc_lo, exec_lo, s10
	s_cbranch_vccnz .LBB356_1751
; %bb.1750:
	s_wait_xcnt 0x0
	v_cndmask_b32_e64 v5, 0, 1, s7
	global_store_b16 v[6:7], v5, off
.LBB356_1751:
	s_mov_b32 s10, 0
.LBB356_1752:
	s_delay_alu instid0(SALU_CYCLE_1)
	s_and_not1_b32 vcc_lo, exec_lo, s10
	s_cbranch_vccnz .LBB356_1757
; %bb.1753:
	s_wait_xcnt 0x0
	v_cndmask_b32_e64 v5, 0, 1, s7
	s_cmp_gt_i32 s0, 0
	s_mov_b32 s0, -1
	s_cbranch_scc0 .LBB356_1755
; %bb.1754:
	s_mov_b32 s0, 0
	global_store_b8 v[6:7], v5, off
.LBB356_1755:
	s_and_not1_b32 vcc_lo, exec_lo, s0
	s_cbranch_vccnz .LBB356_1757
; %bb.1756:
	global_store_b8 v[6:7], v5, off
.LBB356_1757:
.LBB356_1758:
	s_wait_xcnt 0x0
	v_mov_b32_e32 v5, 0
	v_cmp_ne_u32_e32 vcc_lo, s1, v3
	s_and_b32 s7, 0xffff, s2
	s_delay_alu instid0(VALU_DEP_2)
	v_add_nc_u64_e32 v[4:5], s[4:5], v[4:5]
	s_xor_b32 s10, s6, vcc_lo
	s_cmp_lt_i32 s7, 11
	s_cbranch_scc1 .LBB356_1836
; %bb.1759:
	s_mov_b32 s13, -1
	s_mov_b32 s11, 0
	s_cmp_gt_i32 s7, 25
	s_mov_b32 s12, 0
	s_mov_b32 s0, 0
	s_cbranch_scc0 .LBB356_1792
; %bb.1760:
	s_cmp_gt_i32 s7, 28
	s_cbranch_scc0 .LBB356_1775
; %bb.1761:
	s_cmp_gt_i32 s7, 43
	;; [unrolled: 3-line block ×3, first 2 shown]
	s_cbranch_scc0 .LBB356_1765
; %bb.1763:
	s_mov_b32 s0, -1
	s_mov_b32 s13, 0
	s_cmp_eq_u32 s7, 46
	s_cbranch_scc0 .LBB356_1765
; %bb.1764:
	v_cndmask_b32_e64 v3, 0, 1.0, s10
	s_mov_b32 s0, 0
	s_mov_b32 s12, -1
	s_delay_alu instid0(VALU_DEP_1) | instskip(NEXT) | instid1(VALU_DEP_1)
	v_bfe_u32 v6, v3, 16, 1
	v_add3_u32 v3, v3, v6, 0x7fff
	s_delay_alu instid0(VALU_DEP_1)
	v_lshrrev_b32_e32 v3, 16, v3
	global_store_b32 v[4:5], v3, off
.LBB356_1765:
	s_and_b32 vcc_lo, exec_lo, s13
	s_cbranch_vccz .LBB356_1770
; %bb.1766:
	s_cmp_eq_u32 s7, 44
	s_mov_b32 s0, -1
	s_cbranch_scc0 .LBB356_1770
; %bb.1767:
	v_cndmask_b32_e64 v7, 0, 1.0, s10
	s_mov_b32 s12, exec_lo
	s_wait_xcnt 0x0
	s_delay_alu instid0(VALU_DEP_1) | instskip(NEXT) | instid1(VALU_DEP_1)
	v_dual_mov_b32 v6, 0xff :: v_dual_lshrrev_b32 v3, 23, v7
	v_cmpx_ne_u32_e32 0xff, v3
; %bb.1768:
	v_and_b32_e32 v6, 0x400000, v7
	v_and_or_b32 v7, 0x3fffff, v7, v3
	s_delay_alu instid0(VALU_DEP_2) | instskip(NEXT) | instid1(VALU_DEP_2)
	v_cmp_ne_u32_e32 vcc_lo, 0, v6
	v_cmp_ne_u32_e64 s0, 0, v7
	s_and_b32 s0, vcc_lo, s0
	s_delay_alu instid0(SALU_CYCLE_1) | instskip(NEXT) | instid1(VALU_DEP_1)
	v_cndmask_b32_e64 v6, 0, 1, s0
	v_add_nc_u32_e32 v6, v3, v6
; %bb.1769:
	s_or_b32 exec_lo, exec_lo, s12
	s_mov_b32 s0, 0
	s_mov_b32 s12, -1
	global_store_b8 v[4:5], v6, off
.LBB356_1770:
	s_mov_b32 s13, 0
.LBB356_1771:
	s_delay_alu instid0(SALU_CYCLE_1)
	s_and_b32 vcc_lo, exec_lo, s13
	s_cbranch_vccz .LBB356_1774
; %bb.1772:
	s_cmp_eq_u32 s7, 29
	s_mov_b32 s0, -1
	s_cbranch_scc0 .LBB356_1774
; %bb.1773:
	s_mov_b32 s0, 0
	s_wait_xcnt 0x0
	v_cndmask_b32_e64 v6, 0, 1, s10
	v_mov_b32_e32 v7, s0
	s_mov_b32 s12, -1
	global_store_b64 v[4:5], v[6:7], off
.LBB356_1774:
	s_mov_b32 s13, 0
.LBB356_1775:
	s_delay_alu instid0(SALU_CYCLE_1)
	s_and_b32 vcc_lo, exec_lo, s13
	s_cbranch_vccz .LBB356_1791
; %bb.1776:
	s_cmp_lt_i32 s7, 27
	s_mov_b32 s12, -1
	s_cbranch_scc1 .LBB356_1782
; %bb.1777:
	s_cmp_gt_i32 s7, 27
	s_cbranch_scc0 .LBB356_1779
; %bb.1778:
	s_wait_xcnt 0x0
	v_cndmask_b32_e64 v3, 0, 1, s10
	s_mov_b32 s12, 0
	global_store_b32 v[4:5], v3, off
.LBB356_1779:
	s_and_not1_b32 vcc_lo, exec_lo, s12
	s_cbranch_vccnz .LBB356_1781
; %bb.1780:
	s_wait_xcnt 0x0
	v_cndmask_b32_e64 v3, 0, 1, s10
	global_store_b16 v[4:5], v3, off
.LBB356_1781:
	s_mov_b32 s12, 0
.LBB356_1782:
	s_delay_alu instid0(SALU_CYCLE_1)
	s_and_not1_b32 vcc_lo, exec_lo, s12
	s_cbranch_vccnz .LBB356_1790
; %bb.1783:
	s_wait_xcnt 0x0
	v_cndmask_b32_e64 v6, 0, 1.0, s10
	v_mov_b32_e32 v7, 0x80
	s_mov_b32 s12, exec_lo
	s_delay_alu instid0(VALU_DEP_2)
	v_cmpx_gt_u32_e32 0x43800000, v6
	s_cbranch_execz .LBB356_1789
; %bb.1784:
	s_mov_b32 s13, 0
	s_mov_b32 s14, exec_lo
                                        ; implicit-def: $vgpr3
	v_cmpx_lt_u32_e32 0x3bffffff, v6
	s_xor_b32 s14, exec_lo, s14
	s_cbranch_execz .LBB356_2124
; %bb.1785:
	v_bfe_u32 v3, v6, 20, 1
	s_mov_b32 s13, exec_lo
	s_delay_alu instid0(VALU_DEP_1) | instskip(NEXT) | instid1(VALU_DEP_1)
	v_add3_u32 v3, v6, v3, 0x487ffff
                                        ; implicit-def: $vgpr6
	v_lshrrev_b32_e32 v3, 20, v3
	s_and_not1_saveexec_b32 s14, s14
	s_cbranch_execnz .LBB356_2125
.LBB356_1786:
	s_or_b32 exec_lo, exec_lo, s14
	v_mov_b32_e32 v7, 0
	s_and_saveexec_b32 s14, s13
.LBB356_1787:
	v_mov_b32_e32 v7, v3
.LBB356_1788:
	s_or_b32 exec_lo, exec_lo, s14
.LBB356_1789:
	s_delay_alu instid0(SALU_CYCLE_1)
	s_or_b32 exec_lo, exec_lo, s12
	global_store_b8 v[4:5], v7, off
.LBB356_1790:
	s_mov_b32 s12, -1
.LBB356_1791:
	s_mov_b32 s13, 0
.LBB356_1792:
	s_delay_alu instid0(SALU_CYCLE_1)
	s_and_b32 vcc_lo, exec_lo, s13
	s_cbranch_vccz .LBB356_1832
; %bb.1793:
	s_cmp_gt_i32 s7, 22
	s_mov_b32 s11, -1
	s_cbranch_scc0 .LBB356_1825
; %bb.1794:
	s_cmp_lt_i32 s7, 24
	s_cbranch_scc1 .LBB356_1814
; %bb.1795:
	s_cmp_gt_i32 s7, 24
	s_cbranch_scc0 .LBB356_1803
; %bb.1796:
	s_wait_xcnt 0x0
	v_cndmask_b32_e64 v6, 0, 1.0, s10
	v_mov_b32_e32 v7, 0x80
	s_mov_b32 s11, exec_lo
	s_delay_alu instid0(VALU_DEP_2)
	v_cmpx_gt_u32_e32 0x47800000, v6
	s_cbranch_execz .LBB356_1802
; %bb.1797:
	s_mov_b32 s12, 0
	s_mov_b32 s13, exec_lo
                                        ; implicit-def: $vgpr3
	v_cmpx_lt_u32_e32 0x37ffffff, v6
	s_xor_b32 s13, exec_lo, s13
	s_cbranch_execz .LBB356_2127
; %bb.1798:
	v_bfe_u32 v3, v6, 21, 1
	s_mov_b32 s12, exec_lo
	s_delay_alu instid0(VALU_DEP_1) | instskip(NEXT) | instid1(VALU_DEP_1)
	v_add3_u32 v3, v6, v3, 0x88fffff
                                        ; implicit-def: $vgpr6
	v_lshrrev_b32_e32 v3, 21, v3
	s_and_not1_saveexec_b32 s13, s13
	s_cbranch_execnz .LBB356_2128
.LBB356_1799:
	s_or_b32 exec_lo, exec_lo, s13
	v_mov_b32_e32 v7, 0
	s_and_saveexec_b32 s13, s12
.LBB356_1800:
	v_mov_b32_e32 v7, v3
.LBB356_1801:
	s_or_b32 exec_lo, exec_lo, s13
.LBB356_1802:
	s_delay_alu instid0(SALU_CYCLE_1)
	s_or_b32 exec_lo, exec_lo, s11
	s_mov_b32 s11, 0
	global_store_b8 v[4:5], v7, off
.LBB356_1803:
	s_and_b32 vcc_lo, exec_lo, s11
	s_cbranch_vccz .LBB356_1813
; %bb.1804:
	s_wait_xcnt 0x0
	v_cndmask_b32_e64 v6, 0, 1.0, s10
	s_mov_b32 s11, exec_lo
                                        ; implicit-def: $vgpr3
	s_delay_alu instid0(VALU_DEP_1)
	v_cmpx_gt_u32_e32 0x43f00000, v6
	s_xor_b32 s11, exec_lo, s11
	s_cbranch_execz .LBB356_1810
; %bb.1805:
	s_mov_b32 s12, exec_lo
                                        ; implicit-def: $vgpr3
	v_cmpx_lt_u32_e32 0x3c7fffff, v6
	s_xor_b32 s12, exec_lo, s12
; %bb.1806:
	v_bfe_u32 v3, v6, 20, 1
	s_delay_alu instid0(VALU_DEP_1) | instskip(NEXT) | instid1(VALU_DEP_1)
	v_add3_u32 v3, v6, v3, 0x407ffff
	v_and_b32_e32 v6, 0xff00000, v3
	v_lshrrev_b32_e32 v3, 20, v3
	s_delay_alu instid0(VALU_DEP_2) | instskip(NEXT) | instid1(VALU_DEP_2)
	v_cmp_ne_u32_e32 vcc_lo, 0x7f00000, v6
                                        ; implicit-def: $vgpr6
	v_cndmask_b32_e32 v3, 0x7e, v3, vcc_lo
; %bb.1807:
	s_and_not1_saveexec_b32 s12, s12
; %bb.1808:
	v_add_f32_e32 v3, 0x46800000, v6
; %bb.1809:
	s_or_b32 exec_lo, exec_lo, s12
                                        ; implicit-def: $vgpr6
.LBB356_1810:
	s_and_not1_saveexec_b32 s11, s11
; %bb.1811:
	v_mov_b32_e32 v3, 0x7f
	v_cmp_lt_u32_e32 vcc_lo, 0x7f800000, v6
	s_delay_alu instid0(VALU_DEP_2)
	v_cndmask_b32_e32 v3, 0x7e, v3, vcc_lo
; %bb.1812:
	s_or_b32 exec_lo, exec_lo, s11
	global_store_b8 v[4:5], v3, off
.LBB356_1813:
	s_mov_b32 s11, 0
.LBB356_1814:
	s_delay_alu instid0(SALU_CYCLE_1)
	s_and_not1_b32 vcc_lo, exec_lo, s11
	s_cbranch_vccnz .LBB356_1824
; %bb.1815:
	s_wait_xcnt 0x0
	v_cndmask_b32_e64 v6, 0, 1.0, s10
	s_mov_b32 s11, exec_lo
                                        ; implicit-def: $vgpr3
	s_delay_alu instid0(VALU_DEP_1)
	v_cmpx_gt_u32_e32 0x47800000, v6
	s_xor_b32 s11, exec_lo, s11
	s_cbranch_execz .LBB356_1821
; %bb.1816:
	s_mov_b32 s12, exec_lo
                                        ; implicit-def: $vgpr3
	v_cmpx_lt_u32_e32 0x387fffff, v6
	s_xor_b32 s12, exec_lo, s12
; %bb.1817:
	v_bfe_u32 v3, v6, 21, 1
	s_delay_alu instid0(VALU_DEP_1) | instskip(NEXT) | instid1(VALU_DEP_1)
	v_add3_u32 v3, v6, v3, 0x80fffff
                                        ; implicit-def: $vgpr6
	v_lshrrev_b32_e32 v3, 21, v3
; %bb.1818:
	s_and_not1_saveexec_b32 s12, s12
; %bb.1819:
	v_add_f32_e32 v3, 0x43000000, v6
; %bb.1820:
	s_or_b32 exec_lo, exec_lo, s12
                                        ; implicit-def: $vgpr6
.LBB356_1821:
	s_and_not1_saveexec_b32 s11, s11
; %bb.1822:
	v_mov_b32_e32 v3, 0x7f
	v_cmp_lt_u32_e32 vcc_lo, 0x7f800000, v6
	s_delay_alu instid0(VALU_DEP_2)
	v_cndmask_b32_e32 v3, 0x7c, v3, vcc_lo
; %bb.1823:
	s_or_b32 exec_lo, exec_lo, s11
	global_store_b8 v[4:5], v3, off
.LBB356_1824:
	s_mov_b32 s11, 0
	s_mov_b32 s12, -1
.LBB356_1825:
	s_and_not1_b32 vcc_lo, exec_lo, s11
	s_mov_b32 s11, 0
	s_cbranch_vccnz .LBB356_1832
; %bb.1826:
	s_cmp_gt_i32 s7, 14
	s_mov_b32 s11, -1
	s_cbranch_scc0 .LBB356_1830
; %bb.1827:
	s_cmp_eq_u32 s7, 15
	s_mov_b32 s0, -1
	s_cbranch_scc0 .LBB356_1829
; %bb.1828:
	s_wait_xcnt 0x0
	v_cndmask_b32_e64 v3, 0, 1.0, s10
	s_mov_b32 s0, 0
	s_mov_b32 s12, -1
	s_delay_alu instid0(VALU_DEP_1) | instskip(NEXT) | instid1(VALU_DEP_1)
	v_bfe_u32 v6, v3, 16, 1
	v_add3_u32 v3, v3, v6, 0x7fff
	global_store_d16_hi_b16 v[4:5], v3, off
.LBB356_1829:
	s_mov_b32 s11, 0
.LBB356_1830:
	s_delay_alu instid0(SALU_CYCLE_1)
	s_and_b32 vcc_lo, exec_lo, s11
	s_mov_b32 s11, 0
	s_cbranch_vccz .LBB356_1832
; %bb.1831:
	s_cmp_lg_u32 s7, 11
	s_mov_b32 s11, -1
	s_cselect_b32 s0, -1, 0
.LBB356_1832:
	s_delay_alu instid0(SALU_CYCLE_1)
	s_and_b32 vcc_lo, exec_lo, s0
	s_cbranch_vccnz .LBB356_2126
; %bb.1833:
	s_and_not1_b32 vcc_lo, exec_lo, s11
	s_cbranch_vccnz .LBB356_1835
.LBB356_1834:
	s_wait_xcnt 0x0
	v_cndmask_b32_e64 v3, 0, 1, s10
	s_mov_b32 s12, -1
	global_store_b8 v[4:5], v3, off
.LBB356_1835:
	s_mov_b32 s0, 0
	s_branch .LBB356_1837
.LBB356_1836:
	s_mov_b32 s0, -1
	s_mov_b32 s12, 0
.LBB356_1837:
	s_and_b32 vcc_lo, exec_lo, s0
	s_cbranch_vccz .LBB356_1876
; %bb.1838:
	s_cmp_lt_i32 s7, 5
	s_mov_b32 s0, -1
	s_cbranch_scc1 .LBB356_1859
; %bb.1839:
	s_cmp_lt_i32 s7, 8
	s_cbranch_scc1 .LBB356_1849
; %bb.1840:
	s_cmp_lt_i32 s7, 9
	s_cbranch_scc1 .LBB356_1846
; %bb.1841:
	s_cmp_gt_i32 s7, 9
	s_cbranch_scc0 .LBB356_1843
; %bb.1842:
	s_wait_xcnt 0x0
	v_cndmask_b32_e64 v3, 0, 1, s10
	v_mov_b32_e32 v8, 0
	s_mov_b32 s0, 0
	s_delay_alu instid0(VALU_DEP_2) | instskip(NEXT) | instid1(VALU_DEP_2)
	v_cvt_f64_u32_e32 v[6:7], v3
	v_mov_b32_e32 v9, v8
	global_store_b128 v[4:5], v[6:9], off
.LBB356_1843:
	s_and_not1_b32 vcc_lo, exec_lo, s0
	s_cbranch_vccnz .LBB356_1845
; %bb.1844:
	s_wait_xcnt 0x0
	v_cndmask_b32_e64 v6, 0, 1.0, s10
	v_mov_b32_e32 v7, 0
	global_store_b64 v[4:5], v[6:7], off
.LBB356_1845:
	s_mov_b32 s0, 0
.LBB356_1846:
	s_delay_alu instid0(SALU_CYCLE_1)
	s_and_not1_b32 vcc_lo, exec_lo, s0
	s_cbranch_vccnz .LBB356_1848
; %bb.1847:
	s_wait_xcnt 0x0
	v_cndmask_b32_e64 v3, 0, 1.0, s10
	s_delay_alu instid0(VALU_DEP_1) | instskip(NEXT) | instid1(VALU_DEP_1)
	v_cvt_f16_f32_e32 v3, v3
	v_and_b32_e32 v3, 0xffff, v3
	global_store_b32 v[4:5], v3, off
.LBB356_1848:
	s_mov_b32 s0, 0
.LBB356_1849:
	s_delay_alu instid0(SALU_CYCLE_1)
	s_and_not1_b32 vcc_lo, exec_lo, s0
	s_cbranch_vccnz .LBB356_1858
; %bb.1850:
	s_cmp_lt_i32 s7, 6
	s_mov_b32 s0, -1
	s_cbranch_scc1 .LBB356_1856
; %bb.1851:
	s_cmp_gt_i32 s7, 6
	s_cbranch_scc0 .LBB356_1853
; %bb.1852:
	s_wait_xcnt 0x0
	v_cndmask_b32_e64 v3, 0, 1, s10
	s_mov_b32 s0, 0
	s_delay_alu instid0(VALU_DEP_1)
	v_cvt_f64_u32_e32 v[6:7], v3
	global_store_b64 v[4:5], v[6:7], off
.LBB356_1853:
	s_and_not1_b32 vcc_lo, exec_lo, s0
	s_cbranch_vccnz .LBB356_1855
; %bb.1854:
	s_wait_xcnt 0x0
	v_cndmask_b32_e64 v3, 0, 1.0, s10
	global_store_b32 v[4:5], v3, off
.LBB356_1855:
	s_mov_b32 s0, 0
.LBB356_1856:
	s_delay_alu instid0(SALU_CYCLE_1)
	s_and_not1_b32 vcc_lo, exec_lo, s0
	s_cbranch_vccnz .LBB356_1858
; %bb.1857:
	s_wait_xcnt 0x0
	v_cndmask_b32_e64 v3, 0, 1.0, s10
	s_delay_alu instid0(VALU_DEP_1)
	v_cvt_f16_f32_e32 v3, v3
	global_store_b16 v[4:5], v3, off
.LBB356_1858:
	s_mov_b32 s0, 0
.LBB356_1859:
	s_delay_alu instid0(SALU_CYCLE_1)
	s_and_not1_b32 vcc_lo, exec_lo, s0
	s_cbranch_vccnz .LBB356_1875
; %bb.1860:
	s_cmp_lt_i32 s7, 2
	s_mov_b32 s0, -1
	s_cbranch_scc1 .LBB356_1870
; %bb.1861:
	s_cmp_lt_i32 s7, 3
	s_cbranch_scc1 .LBB356_1867
; %bb.1862:
	s_cmp_gt_i32 s7, 3
	s_cbranch_scc0 .LBB356_1864
; %bb.1863:
	s_mov_b32 s0, 0
	s_wait_xcnt 0x0
	v_cndmask_b32_e64 v6, 0, 1, s10
	v_mov_b32_e32 v7, s0
	global_store_b64 v[4:5], v[6:7], off
.LBB356_1864:
	s_and_not1_b32 vcc_lo, exec_lo, s0
	s_cbranch_vccnz .LBB356_1866
; %bb.1865:
	s_wait_xcnt 0x0
	v_cndmask_b32_e64 v3, 0, 1, s10
	global_store_b32 v[4:5], v3, off
.LBB356_1866:
	s_mov_b32 s0, 0
.LBB356_1867:
	s_delay_alu instid0(SALU_CYCLE_1)
	s_and_not1_b32 vcc_lo, exec_lo, s0
	s_cbranch_vccnz .LBB356_1869
; %bb.1868:
	s_wait_xcnt 0x0
	v_cndmask_b32_e64 v3, 0, 1, s10
	global_store_b16 v[4:5], v3, off
.LBB356_1869:
	s_mov_b32 s0, 0
.LBB356_1870:
	s_delay_alu instid0(SALU_CYCLE_1)
	s_and_not1_b32 vcc_lo, exec_lo, s0
	s_cbranch_vccnz .LBB356_1875
; %bb.1871:
	s_wait_xcnt 0x0
	v_cndmask_b32_e64 v3, 0, 1, s10
	s_cmp_gt_i32 s7, 0
	s_mov_b32 s0, -1
	s_cbranch_scc0 .LBB356_1873
; %bb.1872:
	s_mov_b32 s0, 0
	global_store_b8 v[4:5], v3, off
.LBB356_1873:
	s_and_not1_b32 vcc_lo, exec_lo, s0
	s_cbranch_vccnz .LBB356_1875
; %bb.1874:
	global_store_b8 v[4:5], v3, off
.LBB356_1875:
	s_mov_b32 s12, -1
.LBB356_1876:
	s_delay_alu instid0(SALU_CYCLE_1)
	s_and_not1_b32 vcc_lo, exec_lo, s12
	s_cbranch_vccnz .LBB356_2072
; %bb.1877:
	s_wait_xcnt 0x0
	v_mov_b32_e32 v3, 0
	v_cmp_ne_u32_e32 vcc_lo, s1, v1
	s_delay_alu instid0(VALU_DEP_2)
	v_add_nc_u64_e32 v[2:3], s[4:5], v[2:3]
	s_xor_b32 s10, s6, vcc_lo
	s_cmp_lt_i32 s7, 11
	s_cbranch_scc1 .LBB356_1955
; %bb.1878:
	s_mov_b32 s13, -1
	s_mov_b32 s11, 0
	s_cmp_gt_i32 s7, 25
	s_mov_b32 s12, 0
	s_mov_b32 s0, 0
	s_cbranch_scc0 .LBB356_1911
; %bb.1879:
	s_cmp_gt_i32 s7, 28
	s_cbranch_scc0 .LBB356_1894
; %bb.1880:
	s_cmp_gt_i32 s7, 43
	;; [unrolled: 3-line block ×3, first 2 shown]
	s_cbranch_scc0 .LBB356_1884
; %bb.1882:
	s_mov_b32 s0, -1
	s_mov_b32 s13, 0
	s_cmp_eq_u32 s7, 46
	s_cbranch_scc0 .LBB356_1884
; %bb.1883:
	v_cndmask_b32_e64 v1, 0, 1.0, s10
	s_mov_b32 s0, 0
	s_mov_b32 s12, -1
	s_delay_alu instid0(VALU_DEP_1) | instskip(NEXT) | instid1(VALU_DEP_1)
	v_bfe_u32 v4, v1, 16, 1
	v_add3_u32 v1, v1, v4, 0x7fff
	s_delay_alu instid0(VALU_DEP_1)
	v_lshrrev_b32_e32 v1, 16, v1
	global_store_b32 v[2:3], v1, off
.LBB356_1884:
	s_and_b32 vcc_lo, exec_lo, s13
	s_cbranch_vccz .LBB356_1889
; %bb.1885:
	s_cmp_eq_u32 s7, 44
	s_mov_b32 s0, -1
	s_cbranch_scc0 .LBB356_1889
; %bb.1886:
	v_cndmask_b32_e64 v5, 0, 1.0, s10
	s_mov_b32 s12, exec_lo
	s_wait_xcnt 0x0
	s_delay_alu instid0(VALU_DEP_1) | instskip(NEXT) | instid1(VALU_DEP_1)
	v_dual_mov_b32 v4, 0xff :: v_dual_lshrrev_b32 v1, 23, v5
	v_cmpx_ne_u32_e32 0xff, v1
; %bb.1887:
	v_and_b32_e32 v4, 0x400000, v5
	v_and_or_b32 v5, 0x3fffff, v5, v1
	s_delay_alu instid0(VALU_DEP_2) | instskip(NEXT) | instid1(VALU_DEP_2)
	v_cmp_ne_u32_e32 vcc_lo, 0, v4
	v_cmp_ne_u32_e64 s0, 0, v5
	s_and_b32 s0, vcc_lo, s0
	s_delay_alu instid0(SALU_CYCLE_1) | instskip(NEXT) | instid1(VALU_DEP_1)
	v_cndmask_b32_e64 v4, 0, 1, s0
	v_add_nc_u32_e32 v4, v1, v4
; %bb.1888:
	s_or_b32 exec_lo, exec_lo, s12
	s_mov_b32 s0, 0
	s_mov_b32 s12, -1
	global_store_b8 v[2:3], v4, off
.LBB356_1889:
	s_mov_b32 s13, 0
.LBB356_1890:
	s_delay_alu instid0(SALU_CYCLE_1)
	s_and_b32 vcc_lo, exec_lo, s13
	s_cbranch_vccz .LBB356_1893
; %bb.1891:
	s_cmp_eq_u32 s7, 29
	s_mov_b32 s0, -1
	s_cbranch_scc0 .LBB356_1893
; %bb.1892:
	s_mov_b32 s0, 0
	s_wait_xcnt 0x0
	v_cndmask_b32_e64 v4, 0, 1, s10
	v_mov_b32_e32 v5, s0
	s_mov_b32 s12, -1
	global_store_b64 v[2:3], v[4:5], off
.LBB356_1893:
	s_mov_b32 s13, 0
.LBB356_1894:
	s_delay_alu instid0(SALU_CYCLE_1)
	s_and_b32 vcc_lo, exec_lo, s13
	s_cbranch_vccz .LBB356_1910
; %bb.1895:
	s_cmp_lt_i32 s7, 27
	s_mov_b32 s12, -1
	s_cbranch_scc1 .LBB356_1901
; %bb.1896:
	s_cmp_gt_i32 s7, 27
	s_cbranch_scc0 .LBB356_1898
; %bb.1897:
	s_wait_xcnt 0x0
	v_cndmask_b32_e64 v1, 0, 1, s10
	s_mov_b32 s12, 0
	global_store_b32 v[2:3], v1, off
.LBB356_1898:
	s_and_not1_b32 vcc_lo, exec_lo, s12
	s_cbranch_vccnz .LBB356_1900
; %bb.1899:
	s_wait_xcnt 0x0
	v_cndmask_b32_e64 v1, 0, 1, s10
	global_store_b16 v[2:3], v1, off
.LBB356_1900:
	s_mov_b32 s12, 0
.LBB356_1901:
	s_delay_alu instid0(SALU_CYCLE_1)
	s_and_not1_b32 vcc_lo, exec_lo, s12
	s_cbranch_vccnz .LBB356_1909
; %bb.1902:
	s_wait_xcnt 0x0
	v_cndmask_b32_e64 v4, 0, 1.0, s10
	v_mov_b32_e32 v5, 0x80
	s_mov_b32 s12, exec_lo
	s_delay_alu instid0(VALU_DEP_2)
	v_cmpx_gt_u32_e32 0x43800000, v4
	s_cbranch_execz .LBB356_1908
; %bb.1903:
	s_mov_b32 s13, 0
	s_mov_b32 s14, exec_lo
                                        ; implicit-def: $vgpr1
	v_cmpx_lt_u32_e32 0x3bffffff, v4
	s_xor_b32 s14, exec_lo, s14
	s_cbranch_execz .LBB356_2129
; %bb.1904:
	v_bfe_u32 v1, v4, 20, 1
	s_mov_b32 s13, exec_lo
	s_delay_alu instid0(VALU_DEP_1) | instskip(NEXT) | instid1(VALU_DEP_1)
	v_add3_u32 v1, v4, v1, 0x487ffff
                                        ; implicit-def: $vgpr4
	v_lshrrev_b32_e32 v1, 20, v1
	s_and_not1_saveexec_b32 s14, s14
	s_cbranch_execnz .LBB356_2130
.LBB356_1905:
	s_or_b32 exec_lo, exec_lo, s14
	v_mov_b32_e32 v5, 0
	s_and_saveexec_b32 s14, s13
.LBB356_1906:
	v_mov_b32_e32 v5, v1
.LBB356_1907:
	s_or_b32 exec_lo, exec_lo, s14
.LBB356_1908:
	s_delay_alu instid0(SALU_CYCLE_1)
	s_or_b32 exec_lo, exec_lo, s12
	global_store_b8 v[2:3], v5, off
.LBB356_1909:
	s_mov_b32 s12, -1
.LBB356_1910:
	s_mov_b32 s13, 0
.LBB356_1911:
	s_delay_alu instid0(SALU_CYCLE_1)
	s_and_b32 vcc_lo, exec_lo, s13
	s_cbranch_vccz .LBB356_1951
; %bb.1912:
	s_cmp_gt_i32 s7, 22
	s_mov_b32 s11, -1
	s_cbranch_scc0 .LBB356_1944
; %bb.1913:
	s_cmp_lt_i32 s7, 24
	s_cbranch_scc1 .LBB356_1933
; %bb.1914:
	s_cmp_gt_i32 s7, 24
	s_cbranch_scc0 .LBB356_1922
; %bb.1915:
	s_wait_xcnt 0x0
	v_cndmask_b32_e64 v4, 0, 1.0, s10
	v_mov_b32_e32 v5, 0x80
	s_mov_b32 s11, exec_lo
	s_delay_alu instid0(VALU_DEP_2)
	v_cmpx_gt_u32_e32 0x47800000, v4
	s_cbranch_execz .LBB356_1921
; %bb.1916:
	s_mov_b32 s12, 0
	s_mov_b32 s13, exec_lo
                                        ; implicit-def: $vgpr1
	v_cmpx_lt_u32_e32 0x37ffffff, v4
	s_xor_b32 s13, exec_lo, s13
	s_cbranch_execz .LBB356_2132
; %bb.1917:
	v_bfe_u32 v1, v4, 21, 1
	s_mov_b32 s12, exec_lo
	s_delay_alu instid0(VALU_DEP_1) | instskip(NEXT) | instid1(VALU_DEP_1)
	v_add3_u32 v1, v4, v1, 0x88fffff
                                        ; implicit-def: $vgpr4
	v_lshrrev_b32_e32 v1, 21, v1
	s_and_not1_saveexec_b32 s13, s13
	s_cbranch_execnz .LBB356_2133
.LBB356_1918:
	s_or_b32 exec_lo, exec_lo, s13
	v_mov_b32_e32 v5, 0
	s_and_saveexec_b32 s13, s12
.LBB356_1919:
	v_mov_b32_e32 v5, v1
.LBB356_1920:
	s_or_b32 exec_lo, exec_lo, s13
.LBB356_1921:
	s_delay_alu instid0(SALU_CYCLE_1)
	s_or_b32 exec_lo, exec_lo, s11
	s_mov_b32 s11, 0
	global_store_b8 v[2:3], v5, off
.LBB356_1922:
	s_and_b32 vcc_lo, exec_lo, s11
	s_cbranch_vccz .LBB356_1932
; %bb.1923:
	s_wait_xcnt 0x0
	v_cndmask_b32_e64 v4, 0, 1.0, s10
	s_mov_b32 s11, exec_lo
                                        ; implicit-def: $vgpr1
	s_delay_alu instid0(VALU_DEP_1)
	v_cmpx_gt_u32_e32 0x43f00000, v4
	s_xor_b32 s11, exec_lo, s11
	s_cbranch_execz .LBB356_1929
; %bb.1924:
	s_mov_b32 s12, exec_lo
                                        ; implicit-def: $vgpr1
	v_cmpx_lt_u32_e32 0x3c7fffff, v4
	s_xor_b32 s12, exec_lo, s12
; %bb.1925:
	v_bfe_u32 v1, v4, 20, 1
	s_delay_alu instid0(VALU_DEP_1) | instskip(NEXT) | instid1(VALU_DEP_1)
	v_add3_u32 v1, v4, v1, 0x407ffff
	v_and_b32_e32 v4, 0xff00000, v1
	v_lshrrev_b32_e32 v1, 20, v1
	s_delay_alu instid0(VALU_DEP_2) | instskip(NEXT) | instid1(VALU_DEP_2)
	v_cmp_ne_u32_e32 vcc_lo, 0x7f00000, v4
                                        ; implicit-def: $vgpr4
	v_cndmask_b32_e32 v1, 0x7e, v1, vcc_lo
; %bb.1926:
	s_and_not1_saveexec_b32 s12, s12
; %bb.1927:
	v_add_f32_e32 v1, 0x46800000, v4
; %bb.1928:
	s_or_b32 exec_lo, exec_lo, s12
                                        ; implicit-def: $vgpr4
.LBB356_1929:
	s_and_not1_saveexec_b32 s11, s11
; %bb.1930:
	v_mov_b32_e32 v1, 0x7f
	v_cmp_lt_u32_e32 vcc_lo, 0x7f800000, v4
	s_delay_alu instid0(VALU_DEP_2)
	v_cndmask_b32_e32 v1, 0x7e, v1, vcc_lo
; %bb.1931:
	s_or_b32 exec_lo, exec_lo, s11
	global_store_b8 v[2:3], v1, off
.LBB356_1932:
	s_mov_b32 s11, 0
.LBB356_1933:
	s_delay_alu instid0(SALU_CYCLE_1)
	s_and_not1_b32 vcc_lo, exec_lo, s11
	s_cbranch_vccnz .LBB356_1943
; %bb.1934:
	s_wait_xcnt 0x0
	v_cndmask_b32_e64 v4, 0, 1.0, s10
	s_mov_b32 s11, exec_lo
                                        ; implicit-def: $vgpr1
	s_delay_alu instid0(VALU_DEP_1)
	v_cmpx_gt_u32_e32 0x47800000, v4
	s_xor_b32 s11, exec_lo, s11
	s_cbranch_execz .LBB356_1940
; %bb.1935:
	s_mov_b32 s12, exec_lo
                                        ; implicit-def: $vgpr1
	v_cmpx_lt_u32_e32 0x387fffff, v4
	s_xor_b32 s12, exec_lo, s12
; %bb.1936:
	v_bfe_u32 v1, v4, 21, 1
	s_delay_alu instid0(VALU_DEP_1) | instskip(NEXT) | instid1(VALU_DEP_1)
	v_add3_u32 v1, v4, v1, 0x80fffff
                                        ; implicit-def: $vgpr4
	v_lshrrev_b32_e32 v1, 21, v1
; %bb.1937:
	s_and_not1_saveexec_b32 s12, s12
; %bb.1938:
	v_add_f32_e32 v1, 0x43000000, v4
; %bb.1939:
	s_or_b32 exec_lo, exec_lo, s12
                                        ; implicit-def: $vgpr4
.LBB356_1940:
	s_and_not1_saveexec_b32 s11, s11
; %bb.1941:
	v_mov_b32_e32 v1, 0x7f
	v_cmp_lt_u32_e32 vcc_lo, 0x7f800000, v4
	s_delay_alu instid0(VALU_DEP_2)
	v_cndmask_b32_e32 v1, 0x7c, v1, vcc_lo
; %bb.1942:
	s_or_b32 exec_lo, exec_lo, s11
	global_store_b8 v[2:3], v1, off
.LBB356_1943:
	s_mov_b32 s11, 0
	s_mov_b32 s12, -1
.LBB356_1944:
	s_and_not1_b32 vcc_lo, exec_lo, s11
	s_mov_b32 s11, 0
	s_cbranch_vccnz .LBB356_1951
; %bb.1945:
	s_cmp_gt_i32 s7, 14
	s_mov_b32 s11, -1
	s_cbranch_scc0 .LBB356_1949
; %bb.1946:
	s_cmp_eq_u32 s7, 15
	s_mov_b32 s0, -1
	s_cbranch_scc0 .LBB356_1948
; %bb.1947:
	s_wait_xcnt 0x0
	v_cndmask_b32_e64 v1, 0, 1.0, s10
	s_mov_b32 s0, 0
	s_mov_b32 s12, -1
	s_delay_alu instid0(VALU_DEP_1) | instskip(NEXT) | instid1(VALU_DEP_1)
	v_bfe_u32 v4, v1, 16, 1
	v_add3_u32 v1, v1, v4, 0x7fff
	global_store_d16_hi_b16 v[2:3], v1, off
.LBB356_1948:
	s_mov_b32 s11, 0
.LBB356_1949:
	s_delay_alu instid0(SALU_CYCLE_1)
	s_and_b32 vcc_lo, exec_lo, s11
	s_mov_b32 s11, 0
	s_cbranch_vccz .LBB356_1951
; %bb.1950:
	s_cmp_lg_u32 s7, 11
	s_mov_b32 s11, -1
	s_cselect_b32 s0, -1, 0
.LBB356_1951:
	s_delay_alu instid0(SALU_CYCLE_1)
	s_and_b32 vcc_lo, exec_lo, s0
	s_cbranch_vccnz .LBB356_2131
; %bb.1952:
	s_and_not1_b32 vcc_lo, exec_lo, s11
	s_cbranch_vccnz .LBB356_1954
.LBB356_1953:
	s_wait_xcnt 0x0
	v_cndmask_b32_e64 v1, 0, 1, s10
	s_mov_b32 s12, -1
	global_store_b8 v[2:3], v1, off
.LBB356_1954:
	s_mov_b32 s0, 0
	s_branch .LBB356_1956
.LBB356_1955:
	s_mov_b32 s0, -1
	s_mov_b32 s12, 0
.LBB356_1956:
	s_and_b32 vcc_lo, exec_lo, s0
	s_cbranch_vccz .LBB356_1995
; %bb.1957:
	s_cmp_lt_i32 s7, 5
	s_mov_b32 s0, -1
	s_cbranch_scc1 .LBB356_1978
; %bb.1958:
	s_cmp_lt_i32 s7, 8
	s_cbranch_scc1 .LBB356_1968
; %bb.1959:
	s_cmp_lt_i32 s7, 9
	s_cbranch_scc1 .LBB356_1965
; %bb.1960:
	s_cmp_gt_i32 s7, 9
	s_cbranch_scc0 .LBB356_1962
; %bb.1961:
	s_wait_xcnt 0x0
	v_cndmask_b32_e64 v1, 0, 1, s10
	v_mov_b32_e32 v6, 0
	s_mov_b32 s0, 0
	s_delay_alu instid0(VALU_DEP_2) | instskip(NEXT) | instid1(VALU_DEP_2)
	v_cvt_f64_u32_e32 v[4:5], v1
	v_mov_b32_e32 v7, v6
	global_store_b128 v[2:3], v[4:7], off
.LBB356_1962:
	s_and_not1_b32 vcc_lo, exec_lo, s0
	s_cbranch_vccnz .LBB356_1964
; %bb.1963:
	s_wait_xcnt 0x0
	v_cndmask_b32_e64 v4, 0, 1.0, s10
	v_mov_b32_e32 v5, 0
	global_store_b64 v[2:3], v[4:5], off
.LBB356_1964:
	s_mov_b32 s0, 0
.LBB356_1965:
	s_delay_alu instid0(SALU_CYCLE_1)
	s_and_not1_b32 vcc_lo, exec_lo, s0
	s_cbranch_vccnz .LBB356_1967
; %bb.1966:
	s_wait_xcnt 0x0
	v_cndmask_b32_e64 v1, 0, 1.0, s10
	s_delay_alu instid0(VALU_DEP_1) | instskip(NEXT) | instid1(VALU_DEP_1)
	v_cvt_f16_f32_e32 v1, v1
	v_and_b32_e32 v1, 0xffff, v1
	global_store_b32 v[2:3], v1, off
.LBB356_1967:
	s_mov_b32 s0, 0
.LBB356_1968:
	s_delay_alu instid0(SALU_CYCLE_1)
	s_and_not1_b32 vcc_lo, exec_lo, s0
	s_cbranch_vccnz .LBB356_1977
; %bb.1969:
	s_cmp_lt_i32 s7, 6
	s_mov_b32 s0, -1
	s_cbranch_scc1 .LBB356_1975
; %bb.1970:
	s_cmp_gt_i32 s7, 6
	s_cbranch_scc0 .LBB356_1972
; %bb.1971:
	s_wait_xcnt 0x0
	v_cndmask_b32_e64 v1, 0, 1, s10
	s_mov_b32 s0, 0
	s_delay_alu instid0(VALU_DEP_1)
	v_cvt_f64_u32_e32 v[4:5], v1
	global_store_b64 v[2:3], v[4:5], off
.LBB356_1972:
	s_and_not1_b32 vcc_lo, exec_lo, s0
	s_cbranch_vccnz .LBB356_1974
; %bb.1973:
	s_wait_xcnt 0x0
	v_cndmask_b32_e64 v1, 0, 1.0, s10
	global_store_b32 v[2:3], v1, off
.LBB356_1974:
	s_mov_b32 s0, 0
.LBB356_1975:
	s_delay_alu instid0(SALU_CYCLE_1)
	s_and_not1_b32 vcc_lo, exec_lo, s0
	s_cbranch_vccnz .LBB356_1977
; %bb.1976:
	s_wait_xcnt 0x0
	v_cndmask_b32_e64 v1, 0, 1.0, s10
	s_delay_alu instid0(VALU_DEP_1)
	v_cvt_f16_f32_e32 v1, v1
	global_store_b16 v[2:3], v1, off
.LBB356_1977:
	s_mov_b32 s0, 0
.LBB356_1978:
	s_delay_alu instid0(SALU_CYCLE_1)
	s_and_not1_b32 vcc_lo, exec_lo, s0
	s_cbranch_vccnz .LBB356_1994
; %bb.1979:
	s_cmp_lt_i32 s7, 2
	s_mov_b32 s0, -1
	s_cbranch_scc1 .LBB356_1989
; %bb.1980:
	s_cmp_lt_i32 s7, 3
	s_cbranch_scc1 .LBB356_1986
; %bb.1981:
	s_cmp_gt_i32 s7, 3
	s_cbranch_scc0 .LBB356_1983
; %bb.1982:
	s_mov_b32 s0, 0
	s_wait_xcnt 0x0
	v_cndmask_b32_e64 v4, 0, 1, s10
	v_mov_b32_e32 v5, s0
	global_store_b64 v[2:3], v[4:5], off
.LBB356_1983:
	s_and_not1_b32 vcc_lo, exec_lo, s0
	s_cbranch_vccnz .LBB356_1985
; %bb.1984:
	s_wait_xcnt 0x0
	v_cndmask_b32_e64 v1, 0, 1, s10
	global_store_b32 v[2:3], v1, off
.LBB356_1985:
	s_mov_b32 s0, 0
.LBB356_1986:
	s_delay_alu instid0(SALU_CYCLE_1)
	s_and_not1_b32 vcc_lo, exec_lo, s0
	s_cbranch_vccnz .LBB356_1988
; %bb.1987:
	s_wait_xcnt 0x0
	v_cndmask_b32_e64 v1, 0, 1, s10
	global_store_b16 v[2:3], v1, off
.LBB356_1988:
	s_mov_b32 s0, 0
.LBB356_1989:
	s_delay_alu instid0(SALU_CYCLE_1)
	s_and_not1_b32 vcc_lo, exec_lo, s0
	s_cbranch_vccnz .LBB356_1994
; %bb.1990:
	s_cmp_gt_i32 s7, 0
	s_mov_b32 s0, -1
	s_cbranch_scc0 .LBB356_1992
; %bb.1991:
	s_wait_xcnt 0x0
	v_cndmask_b32_e64 v1, 0, 1, s10
	s_mov_b32 s0, 0
	global_store_b8 v[2:3], v1, off
.LBB356_1992:
	s_and_not1_b32 vcc_lo, exec_lo, s0
	s_cbranch_vccnz .LBB356_1994
; %bb.1993:
	s_wait_xcnt 0x0
	v_cndmask_b32_e64 v1, 0, 1, s10
	global_store_b8 v[2:3], v1, off
.LBB356_1994:
	s_mov_b32 s12, -1
.LBB356_1995:
	s_delay_alu instid0(SALU_CYCLE_1)
	s_and_not1_b32 vcc_lo, exec_lo, s12
	s_cbranch_vccnz .LBB356_2072
; %bb.1996:
	s_wait_xcnt 0x0
	v_mov_b32_e32 v1, 0
	v_cmp_ne_u32_e32 vcc_lo, s1, v10
	s_delay_alu instid0(VALU_DEP_2)
	v_add_nc_u64_e32 v[2:3], s[4:5], v[0:1]
	s_xor_b32 s1, s6, vcc_lo
	s_cmp_lt_i32 s7, 11
	s_cbranch_scc1 .LBB356_2117
; %bb.1997:
	s_mov_b32 s5, -1
	s_mov_b32 s4, 0
	s_cmp_gt_i32 s7, 25
	s_mov_b32 s0, 0
	s_cbranch_scc0 .LBB356_2030
; %bb.1998:
	s_cmp_gt_i32 s7, 28
	s_cbranch_scc0 .LBB356_2014
; %bb.1999:
	s_cmp_gt_i32 s7, 43
	;; [unrolled: 3-line block ×3, first 2 shown]
	s_cbranch_scc0 .LBB356_2004
; %bb.2001:
	s_cmp_eq_u32 s7, 46
	s_mov_b32 s0, -1
	s_cbranch_scc0 .LBB356_2003
; %bb.2002:
	v_cndmask_b32_e64 v0, 0, 1.0, s1
	s_mov_b32 s0, 0
	s_delay_alu instid0(VALU_DEP_1) | instskip(NEXT) | instid1(VALU_DEP_1)
	v_bfe_u32 v1, v0, 16, 1
	v_add3_u32 v0, v0, v1, 0x7fff
	s_delay_alu instid0(VALU_DEP_1)
	v_lshrrev_b32_e32 v0, 16, v0
	global_store_b32 v[2:3], v0, off
.LBB356_2003:
	s_mov_b32 s5, 0
.LBB356_2004:
	s_delay_alu instid0(SALU_CYCLE_1)
	s_and_b32 vcc_lo, exec_lo, s5
	s_cbranch_vccz .LBB356_2009
; %bb.2005:
	s_cmp_eq_u32 s7, 44
	s_mov_b32 s0, -1
	s_cbranch_scc0 .LBB356_2009
; %bb.2006:
	v_cndmask_b32_e64 v4, 0, 1.0, s1
	s_mov_b32 s5, exec_lo
	s_wait_xcnt 0x0
	s_delay_alu instid0(VALU_DEP_1) | instskip(NEXT) | instid1(VALU_DEP_1)
	v_dual_mov_b32 v1, 0xff :: v_dual_lshrrev_b32 v0, 23, v4
	v_cmpx_ne_u32_e32 0xff, v0
; %bb.2007:
	v_and_b32_e32 v1, 0x400000, v4
	v_and_or_b32 v4, 0x3fffff, v4, v0
	s_delay_alu instid0(VALU_DEP_2) | instskip(NEXT) | instid1(VALU_DEP_2)
	v_cmp_ne_u32_e32 vcc_lo, 0, v1
	v_cmp_ne_u32_e64 s0, 0, v4
	s_and_b32 s0, vcc_lo, s0
	s_delay_alu instid0(SALU_CYCLE_1) | instskip(NEXT) | instid1(VALU_DEP_1)
	v_cndmask_b32_e64 v1, 0, 1, s0
	v_add_nc_u32_e32 v1, v0, v1
; %bb.2008:
	s_or_b32 exec_lo, exec_lo, s5
	s_mov_b32 s0, 0
	global_store_b8 v[2:3], v1, off
.LBB356_2009:
	s_mov_b32 s5, 0
.LBB356_2010:
	s_delay_alu instid0(SALU_CYCLE_1)
	s_and_b32 vcc_lo, exec_lo, s5
	s_cbranch_vccz .LBB356_2013
; %bb.2011:
	s_cmp_eq_u32 s7, 29
	s_mov_b32 s0, -1
	s_cbranch_scc0 .LBB356_2013
; %bb.2012:
	s_mov_b32 s0, 0
	s_wait_xcnt 0x0
	v_cndmask_b32_e64 v0, 0, 1, s1
	v_mov_b32_e32 v1, s0
	global_store_b64 v[2:3], v[0:1], off
.LBB356_2013:
	s_mov_b32 s5, 0
.LBB356_2014:
	s_delay_alu instid0(SALU_CYCLE_1)
	s_and_b32 vcc_lo, exec_lo, s5
	s_cbranch_vccz .LBB356_2029
; %bb.2015:
	s_cmp_lt_i32 s7, 27
	s_mov_b32 s5, -1
	s_cbranch_scc1 .LBB356_2021
; %bb.2016:
	s_cmp_gt_i32 s7, 27
	s_cbranch_scc0 .LBB356_2018
; %bb.2017:
	s_wait_xcnt 0x0
	v_cndmask_b32_e64 v0, 0, 1, s1
	s_mov_b32 s5, 0
	global_store_b32 v[2:3], v0, off
.LBB356_2018:
	s_and_not1_b32 vcc_lo, exec_lo, s5
	s_cbranch_vccnz .LBB356_2020
; %bb.2019:
	s_wait_xcnt 0x0
	v_cndmask_b32_e64 v0, 0, 1, s1
	global_store_b16 v[2:3], v0, off
.LBB356_2020:
	s_mov_b32 s5, 0
.LBB356_2021:
	s_delay_alu instid0(SALU_CYCLE_1)
	s_and_not1_b32 vcc_lo, exec_lo, s5
	s_cbranch_vccnz .LBB356_2029
; %bb.2022:
	s_wait_xcnt 0x0
	v_cndmask_b32_e64 v1, 0, 1.0, s1
	v_mov_b32_e32 v4, 0x80
	s_mov_b32 s5, exec_lo
	s_delay_alu instid0(VALU_DEP_2)
	v_cmpx_gt_u32_e32 0x43800000, v1
	s_cbranch_execz .LBB356_2028
; %bb.2023:
	s_mov_b32 s6, 0
	s_mov_b32 s10, exec_lo
                                        ; implicit-def: $vgpr0
	v_cmpx_lt_u32_e32 0x3bffffff, v1
	s_xor_b32 s10, exec_lo, s10
	s_cbranch_execz .LBB356_2134
; %bb.2024:
	v_bfe_u32 v0, v1, 20, 1
	s_mov_b32 s6, exec_lo
	s_delay_alu instid0(VALU_DEP_1) | instskip(NEXT) | instid1(VALU_DEP_1)
	v_add3_u32 v0, v1, v0, 0x487ffff
                                        ; implicit-def: $vgpr1
	v_lshrrev_b32_e32 v0, 20, v0
	s_and_not1_saveexec_b32 s10, s10
	s_cbranch_execnz .LBB356_2135
.LBB356_2025:
	s_or_b32 exec_lo, exec_lo, s10
	v_mov_b32_e32 v4, 0
	s_and_saveexec_b32 s10, s6
.LBB356_2026:
	v_mov_b32_e32 v4, v0
.LBB356_2027:
	s_or_b32 exec_lo, exec_lo, s10
.LBB356_2028:
	s_delay_alu instid0(SALU_CYCLE_1)
	s_or_b32 exec_lo, exec_lo, s5
	global_store_b8 v[2:3], v4, off
.LBB356_2029:
	s_mov_b32 s5, 0
.LBB356_2030:
	s_delay_alu instid0(SALU_CYCLE_1)
	s_and_b32 vcc_lo, exec_lo, s5
	s_cbranch_vccz .LBB356_2070
; %bb.2031:
	s_cmp_gt_i32 s7, 22
	s_mov_b32 s4, -1
	s_cbranch_scc0 .LBB356_2063
; %bb.2032:
	s_cmp_lt_i32 s7, 24
	s_cbranch_scc1 .LBB356_2052
; %bb.2033:
	s_cmp_gt_i32 s7, 24
	s_cbranch_scc0 .LBB356_2041
; %bb.2034:
	s_wait_xcnt 0x0
	v_cndmask_b32_e64 v1, 0, 1.0, s1
	v_mov_b32_e32 v4, 0x80
	s_mov_b32 s4, exec_lo
	s_delay_alu instid0(VALU_DEP_2)
	v_cmpx_gt_u32_e32 0x47800000, v1
	s_cbranch_execz .LBB356_2040
; %bb.2035:
	s_mov_b32 s5, 0
	s_mov_b32 s6, exec_lo
                                        ; implicit-def: $vgpr0
	v_cmpx_lt_u32_e32 0x37ffffff, v1
	s_xor_b32 s6, exec_lo, s6
	s_cbranch_execz .LBB356_2137
; %bb.2036:
	v_bfe_u32 v0, v1, 21, 1
	s_mov_b32 s5, exec_lo
	s_delay_alu instid0(VALU_DEP_1) | instskip(NEXT) | instid1(VALU_DEP_1)
	v_add3_u32 v0, v1, v0, 0x88fffff
                                        ; implicit-def: $vgpr1
	v_lshrrev_b32_e32 v0, 21, v0
	s_and_not1_saveexec_b32 s6, s6
	s_cbranch_execnz .LBB356_2138
.LBB356_2037:
	s_or_b32 exec_lo, exec_lo, s6
	v_mov_b32_e32 v4, 0
	s_and_saveexec_b32 s6, s5
.LBB356_2038:
	v_mov_b32_e32 v4, v0
.LBB356_2039:
	s_or_b32 exec_lo, exec_lo, s6
.LBB356_2040:
	s_delay_alu instid0(SALU_CYCLE_1)
	s_or_b32 exec_lo, exec_lo, s4
	s_mov_b32 s4, 0
	global_store_b8 v[2:3], v4, off
.LBB356_2041:
	s_and_b32 vcc_lo, exec_lo, s4
	s_cbranch_vccz .LBB356_2051
; %bb.2042:
	s_wait_xcnt 0x0
	v_cndmask_b32_e64 v1, 0, 1.0, s1
	s_mov_b32 s4, exec_lo
                                        ; implicit-def: $vgpr0
	s_delay_alu instid0(VALU_DEP_1)
	v_cmpx_gt_u32_e32 0x43f00000, v1
	s_xor_b32 s4, exec_lo, s4
	s_cbranch_execz .LBB356_2048
; %bb.2043:
	s_mov_b32 s5, exec_lo
                                        ; implicit-def: $vgpr0
	v_cmpx_lt_u32_e32 0x3c7fffff, v1
	s_xor_b32 s5, exec_lo, s5
; %bb.2044:
	v_bfe_u32 v0, v1, 20, 1
	s_delay_alu instid0(VALU_DEP_1) | instskip(NEXT) | instid1(VALU_DEP_1)
	v_add3_u32 v0, v1, v0, 0x407ffff
	v_and_b32_e32 v1, 0xff00000, v0
	v_lshrrev_b32_e32 v0, 20, v0
	s_delay_alu instid0(VALU_DEP_2) | instskip(NEXT) | instid1(VALU_DEP_2)
	v_cmp_ne_u32_e32 vcc_lo, 0x7f00000, v1
                                        ; implicit-def: $vgpr1
	v_cndmask_b32_e32 v0, 0x7e, v0, vcc_lo
; %bb.2045:
	s_and_not1_saveexec_b32 s5, s5
; %bb.2046:
	v_add_f32_e32 v0, 0x46800000, v1
; %bb.2047:
	s_or_b32 exec_lo, exec_lo, s5
                                        ; implicit-def: $vgpr1
.LBB356_2048:
	s_and_not1_saveexec_b32 s4, s4
; %bb.2049:
	v_mov_b32_e32 v0, 0x7f
	v_cmp_lt_u32_e32 vcc_lo, 0x7f800000, v1
	s_delay_alu instid0(VALU_DEP_2)
	v_cndmask_b32_e32 v0, 0x7e, v0, vcc_lo
; %bb.2050:
	s_or_b32 exec_lo, exec_lo, s4
	global_store_b8 v[2:3], v0, off
.LBB356_2051:
	s_mov_b32 s4, 0
.LBB356_2052:
	s_delay_alu instid0(SALU_CYCLE_1)
	s_and_not1_b32 vcc_lo, exec_lo, s4
	s_cbranch_vccnz .LBB356_2062
; %bb.2053:
	s_wait_xcnt 0x0
	v_cndmask_b32_e64 v1, 0, 1.0, s1
	s_mov_b32 s4, exec_lo
                                        ; implicit-def: $vgpr0
	s_delay_alu instid0(VALU_DEP_1)
	v_cmpx_gt_u32_e32 0x47800000, v1
	s_xor_b32 s4, exec_lo, s4
	s_cbranch_execz .LBB356_2059
; %bb.2054:
	s_mov_b32 s5, exec_lo
                                        ; implicit-def: $vgpr0
	v_cmpx_lt_u32_e32 0x387fffff, v1
	s_xor_b32 s5, exec_lo, s5
; %bb.2055:
	v_bfe_u32 v0, v1, 21, 1
	s_delay_alu instid0(VALU_DEP_1) | instskip(NEXT) | instid1(VALU_DEP_1)
	v_add3_u32 v0, v1, v0, 0x80fffff
                                        ; implicit-def: $vgpr1
	v_lshrrev_b32_e32 v0, 21, v0
; %bb.2056:
	s_and_not1_saveexec_b32 s5, s5
; %bb.2057:
	v_add_f32_e32 v0, 0x43000000, v1
; %bb.2058:
	s_or_b32 exec_lo, exec_lo, s5
                                        ; implicit-def: $vgpr1
.LBB356_2059:
	s_and_not1_saveexec_b32 s4, s4
; %bb.2060:
	v_mov_b32_e32 v0, 0x7f
	v_cmp_lt_u32_e32 vcc_lo, 0x7f800000, v1
	s_delay_alu instid0(VALU_DEP_2)
	v_cndmask_b32_e32 v0, 0x7c, v0, vcc_lo
; %bb.2061:
	s_or_b32 exec_lo, exec_lo, s4
	global_store_b8 v[2:3], v0, off
.LBB356_2062:
	s_mov_b32 s4, 0
.LBB356_2063:
	s_delay_alu instid0(SALU_CYCLE_1)
	s_and_not1_b32 vcc_lo, exec_lo, s4
	s_mov_b32 s4, 0
	s_cbranch_vccnz .LBB356_2070
; %bb.2064:
	s_cmp_gt_i32 s7, 14
	s_mov_b32 s4, -1
	s_cbranch_scc0 .LBB356_2068
; %bb.2065:
	s_cmp_eq_u32 s7, 15
	s_mov_b32 s0, -1
	s_cbranch_scc0 .LBB356_2067
; %bb.2066:
	s_wait_xcnt 0x0
	v_cndmask_b32_e64 v0, 0, 1.0, s1
	s_mov_b32 s0, 0
	s_delay_alu instid0(VALU_DEP_1) | instskip(NEXT) | instid1(VALU_DEP_1)
	v_bfe_u32 v1, v0, 16, 1
	v_add3_u32 v0, v0, v1, 0x7fff
	global_store_d16_hi_b16 v[2:3], v0, off
.LBB356_2067:
	s_mov_b32 s4, 0
.LBB356_2068:
	s_delay_alu instid0(SALU_CYCLE_1)
	s_and_b32 vcc_lo, exec_lo, s4
	s_mov_b32 s4, 0
	s_cbranch_vccz .LBB356_2070
; %bb.2069:
	s_cmp_lg_u32 s7, 11
	s_mov_b32 s4, -1
	s_cselect_b32 s0, -1, 0
.LBB356_2070:
	s_delay_alu instid0(SALU_CYCLE_1)
	s_and_b32 vcc_lo, exec_lo, s0
	s_cbranch_vccnz .LBB356_2136
.LBB356_2071:
	s_mov_b32 s0, 0
	s_branch .LBB356_2073
.LBB356_2072:
	s_mov_b32 s0, 0
	s_mov_b32 s4, 0
                                        ; implicit-def: $sgpr1
                                        ; implicit-def: $vgpr2_vgpr3
                                        ; implicit-def: $sgpr2
.LBB356_2073:
	s_and_not1_b32 s5, s8, exec_lo
	s_and_b32 s6, s3, exec_lo
	s_and_b32 s0, s0, exec_lo
	;; [unrolled: 1-line block ×3, first 2 shown]
	s_or_b32 s8, s5, s6
.LBB356_2074:
	s_wait_xcnt 0x0
	s_or_b32 exec_lo, exec_lo, s9
	s_and_saveexec_b32 s4, s8
	s_cbranch_execz .LBB356_2077
; %bb.2075:
	; divergent unreachable
	s_or_b32 exec_lo, exec_lo, s4
	s_and_saveexec_b32 s4, s3
	s_delay_alu instid0(SALU_CYCLE_1)
	s_xor_b32 s3, exec_lo, s4
	s_cbranch_execnz .LBB356_2078
.LBB356_2076:
	s_or_b32 exec_lo, exec_lo, s3
	s_and_saveexec_b32 s3, s0
	s_cbranch_execnz .LBB356_2079
	s_branch .LBB356_2116
.LBB356_2077:
	s_or_b32 exec_lo, exec_lo, s4
	s_and_saveexec_b32 s4, s3
	s_delay_alu instid0(SALU_CYCLE_1)
	s_xor_b32 s3, exec_lo, s4
	s_cbranch_execz .LBB356_2076
.LBB356_2078:
	v_cndmask_b32_e64 v0, 0, 1, s1
	s_wait_loadcnt 0x0
	global_store_b8 v[2:3], v0, off
	s_wait_xcnt 0x0
	s_or_b32 exec_lo, exec_lo, s3
	s_and_saveexec_b32 s3, s0
	s_cbranch_execz .LBB356_2116
.LBB356_2079:
	s_sext_i32_i16 s3, s2
	s_mov_b32 s0, -1
	s_cmp_lt_i32 s3, 5
	s_cbranch_scc1 .LBB356_2100
; %bb.2080:
	s_cmp_lt_i32 s3, 8
	s_cbranch_scc1 .LBB356_2090
; %bb.2081:
	;; [unrolled: 3-line block ×3, first 2 shown]
	s_cmp_gt_i32 s3, 9
	s_cbranch_scc0 .LBB356_2084
; %bb.2083:
	v_cndmask_b32_e64 v0, 0, 1, s1
	s_wait_loadcnt 0x0
	v_mov_b32_e32 v6, 0
	s_mov_b32 s0, 0
	s_delay_alu instid0(VALU_DEP_2) | instskip(NEXT) | instid1(VALU_DEP_2)
	v_cvt_f64_u32_e32 v[4:5], v0
	v_mov_b32_e32 v7, v6
	global_store_b128 v[2:3], v[4:7], off
.LBB356_2084:
	s_and_not1_b32 vcc_lo, exec_lo, s0
	s_cbranch_vccnz .LBB356_2086
; %bb.2085:
	v_cndmask_b32_e64 v0, 0, 1.0, s1
	s_wait_loadcnt 0x0
	v_mov_b32_e32 v1, 0
	global_store_b64 v[2:3], v[0:1], off
.LBB356_2086:
	s_mov_b32 s0, 0
.LBB356_2087:
	s_delay_alu instid0(SALU_CYCLE_1)
	s_and_not1_b32 vcc_lo, exec_lo, s0
	s_cbranch_vccnz .LBB356_2089
; %bb.2088:
	s_wait_xcnt 0x0
	v_cndmask_b32_e64 v0, 0, 1.0, s1
	s_delay_alu instid0(VALU_DEP_1) | instskip(NEXT) | instid1(VALU_DEP_1)
	v_cvt_f16_f32_e32 v0, v0
	v_and_b32_e32 v0, 0xffff, v0
	s_wait_loadcnt 0x0
	global_store_b32 v[2:3], v0, off
.LBB356_2089:
	s_mov_b32 s0, 0
.LBB356_2090:
	s_delay_alu instid0(SALU_CYCLE_1)
	s_and_not1_b32 vcc_lo, exec_lo, s0
	s_cbranch_vccnz .LBB356_2099
; %bb.2091:
	s_sext_i32_i16 s3, s2
	s_mov_b32 s0, -1
	s_cmp_lt_i32 s3, 6
	s_cbranch_scc1 .LBB356_2097
; %bb.2092:
	s_cmp_gt_i32 s3, 6
	s_cbranch_scc0 .LBB356_2094
; %bb.2093:
	s_wait_xcnt 0x0
	v_cndmask_b32_e64 v0, 0, 1, s1
	s_mov_b32 s0, 0
	s_wait_loadcnt 0x0
	s_delay_alu instid0(VALU_DEP_1)
	v_cvt_f64_u32_e32 v[0:1], v0
	global_store_b64 v[2:3], v[0:1], off
.LBB356_2094:
	s_and_not1_b32 vcc_lo, exec_lo, s0
	s_cbranch_vccnz .LBB356_2096
; %bb.2095:
	s_wait_xcnt 0x0
	v_cndmask_b32_e64 v0, 0, 1.0, s1
	s_wait_loadcnt 0x0
	global_store_b32 v[2:3], v0, off
.LBB356_2096:
	s_mov_b32 s0, 0
.LBB356_2097:
	s_delay_alu instid0(SALU_CYCLE_1)
	s_and_not1_b32 vcc_lo, exec_lo, s0
	s_cbranch_vccnz .LBB356_2099
; %bb.2098:
	s_wait_xcnt 0x0
	v_cndmask_b32_e64 v0, 0, 1.0, s1
	s_delay_alu instid0(VALU_DEP_1)
	v_cvt_f16_f32_e32 v0, v0
	s_wait_loadcnt 0x0
	global_store_b16 v[2:3], v0, off
.LBB356_2099:
	s_mov_b32 s0, 0
.LBB356_2100:
	s_delay_alu instid0(SALU_CYCLE_1)
	s_and_not1_b32 vcc_lo, exec_lo, s0
	s_cbranch_vccnz .LBB356_2116
; %bb.2101:
	s_sext_i32_i16 s3, s2
	s_mov_b32 s0, -1
	s_cmp_lt_i32 s3, 2
	s_cbranch_scc1 .LBB356_2111
; %bb.2102:
	s_cmp_lt_i32 s3, 3
	s_cbranch_scc1 .LBB356_2108
; %bb.2103:
	s_cmp_gt_i32 s3, 3
	s_cbranch_scc0 .LBB356_2105
; %bb.2104:
	s_mov_b32 s0, 0
	s_wait_xcnt 0x0
	v_cndmask_b32_e64 v0, 0, 1, s1
	s_wait_loadcnt 0x0
	v_mov_b32_e32 v1, s0
	global_store_b64 v[2:3], v[0:1], off
.LBB356_2105:
	s_and_not1_b32 vcc_lo, exec_lo, s0
	s_cbranch_vccnz .LBB356_2107
; %bb.2106:
	s_wait_xcnt 0x0
	v_cndmask_b32_e64 v0, 0, 1, s1
	s_wait_loadcnt 0x0
	global_store_b32 v[2:3], v0, off
.LBB356_2107:
	s_mov_b32 s0, 0
.LBB356_2108:
	s_delay_alu instid0(SALU_CYCLE_1)
	s_and_not1_b32 vcc_lo, exec_lo, s0
	s_cbranch_vccnz .LBB356_2110
; %bb.2109:
	s_wait_xcnt 0x0
	v_cndmask_b32_e64 v0, 0, 1, s1
	s_wait_loadcnt 0x0
	global_store_b16 v[2:3], v0, off
.LBB356_2110:
	s_mov_b32 s0, 0
.LBB356_2111:
	s_delay_alu instid0(SALU_CYCLE_1)
	s_and_not1_b32 vcc_lo, exec_lo, s0
	s_cbranch_vccnz .LBB356_2116
; %bb.2112:
	s_sext_i32_i16 s0, s2
	s_delay_alu instid0(SALU_CYCLE_1)
	s_cmp_gt_i32 s0, 0
	s_mov_b32 s0, -1
	s_cbranch_scc0 .LBB356_2114
; %bb.2113:
	s_wait_xcnt 0x0
	v_cndmask_b32_e64 v0, 0, 1, s1
	s_mov_b32 s0, 0
	s_wait_loadcnt 0x0
	global_store_b8 v[2:3], v0, off
.LBB356_2114:
	s_and_not1_b32 vcc_lo, exec_lo, s0
	s_cbranch_vccnz .LBB356_2116
; %bb.2115:
	s_wait_xcnt 0x0
	v_cndmask_b32_e64 v0, 0, 1, s1
	s_wait_loadcnt 0x0
	global_store_b8 v[2:3], v0, off
	s_endpgm
.LBB356_2116:
	s_endpgm
.LBB356_2117:
	s_mov_b32 s4, 0
	s_mov_b32 s0, -1
	s_branch .LBB356_2073
.LBB356_2118:
	s_or_b32 s3, s3, exec_lo
	s_trap 2
	s_cbranch_execz .LBB356_1588
	s_branch .LBB356_1589
.LBB356_2119:
	s_and_not1_saveexec_b32 s14, s14
	s_cbranch_execz .LBB356_1668
.LBB356_2120:
	v_add_f32_e32 v5, 0x46000000, v8
	s_and_not1_b32 s13, s13, exec_lo
	s_delay_alu instid0(VALU_DEP_1) | instskip(NEXT) | instid1(VALU_DEP_1)
	v_and_b32_e32 v5, 0xff, v5
	v_cmp_ne_u32_e32 vcc_lo, 0, v5
	s_and_b32 s15, vcc_lo, exec_lo
	s_delay_alu instid0(SALU_CYCLE_1)
	s_or_b32 s13, s13, s15
	s_or_b32 exec_lo, exec_lo, s14
	v_mov_b32_e32 v9, 0
	s_and_saveexec_b32 s14, s13
	s_cbranch_execnz .LBB356_1669
	s_branch .LBB356_1670
.LBB356_2121:
	s_or_b32 s3, s3, exec_lo
	s_trap 2
	s_cbranch_execz .LBB356_1716
	s_branch .LBB356_1717
.LBB356_2122:
	s_and_not1_saveexec_b32 s13, s13
	s_cbranch_execz .LBB356_1681
.LBB356_2123:
	v_add_f32_e32 v5, 0x42800000, v8
	s_and_not1_b32 s12, s12, exec_lo
	s_delay_alu instid0(VALU_DEP_1) | instskip(NEXT) | instid1(VALU_DEP_1)
	v_and_b32_e32 v5, 0xff, v5
	v_cmp_ne_u32_e32 vcc_lo, 0, v5
	s_and_b32 s14, vcc_lo, exec_lo
	s_delay_alu instid0(SALU_CYCLE_1)
	s_or_b32 s12, s12, s14
	s_or_b32 exec_lo, exec_lo, s13
	v_mov_b32_e32 v9, 0
	s_and_saveexec_b32 s13, s12
	s_cbranch_execnz .LBB356_1682
	s_branch .LBB356_1683
.LBB356_2124:
	s_and_not1_saveexec_b32 s14, s14
	s_cbranch_execz .LBB356_1786
.LBB356_2125:
	v_add_f32_e32 v3, 0x46000000, v6
	s_and_not1_b32 s13, s13, exec_lo
	s_delay_alu instid0(VALU_DEP_1) | instskip(NEXT) | instid1(VALU_DEP_1)
	v_and_b32_e32 v3, 0xff, v3
	v_cmp_ne_u32_e32 vcc_lo, 0, v3
	s_and_b32 s15, vcc_lo, exec_lo
	s_delay_alu instid0(SALU_CYCLE_1)
	s_or_b32 s13, s13, s15
	s_or_b32 exec_lo, exec_lo, s14
	v_mov_b32_e32 v7, 0
	s_and_saveexec_b32 s14, s13
	s_cbranch_execnz .LBB356_1787
	s_branch .LBB356_1788
.LBB356_2126:
	s_or_b32 s3, s3, exec_lo
	s_trap 2
	s_cbranch_execz .LBB356_1834
	s_branch .LBB356_1835
.LBB356_2127:
	s_and_not1_saveexec_b32 s13, s13
	s_cbranch_execz .LBB356_1799
.LBB356_2128:
	v_add_f32_e32 v3, 0x42800000, v6
	s_and_not1_b32 s12, s12, exec_lo
	s_delay_alu instid0(VALU_DEP_1) | instskip(NEXT) | instid1(VALU_DEP_1)
	v_and_b32_e32 v3, 0xff, v3
	v_cmp_ne_u32_e32 vcc_lo, 0, v3
	s_and_b32 s14, vcc_lo, exec_lo
	s_delay_alu instid0(SALU_CYCLE_1)
	s_or_b32 s12, s12, s14
	s_or_b32 exec_lo, exec_lo, s13
	v_mov_b32_e32 v7, 0
	s_and_saveexec_b32 s13, s12
	s_cbranch_execnz .LBB356_1800
	s_branch .LBB356_1801
.LBB356_2129:
	s_and_not1_saveexec_b32 s14, s14
	s_cbranch_execz .LBB356_1905
.LBB356_2130:
	v_add_f32_e32 v1, 0x46000000, v4
	s_and_not1_b32 s13, s13, exec_lo
	s_delay_alu instid0(VALU_DEP_1) | instskip(NEXT) | instid1(VALU_DEP_1)
	v_and_b32_e32 v1, 0xff, v1
	v_cmp_ne_u32_e32 vcc_lo, 0, v1
	s_and_b32 s15, vcc_lo, exec_lo
	s_delay_alu instid0(SALU_CYCLE_1)
	s_or_b32 s13, s13, s15
	s_or_b32 exec_lo, exec_lo, s14
	v_mov_b32_e32 v5, 0
	s_and_saveexec_b32 s14, s13
	s_cbranch_execnz .LBB356_1906
	s_branch .LBB356_1907
.LBB356_2131:
	s_or_b32 s3, s3, exec_lo
	s_trap 2
	s_cbranch_execz .LBB356_1953
	s_branch .LBB356_1954
.LBB356_2132:
	s_and_not1_saveexec_b32 s13, s13
	s_cbranch_execz .LBB356_1918
.LBB356_2133:
	v_add_f32_e32 v1, 0x42800000, v4
	s_and_not1_b32 s12, s12, exec_lo
	s_delay_alu instid0(VALU_DEP_1) | instskip(NEXT) | instid1(VALU_DEP_1)
	v_and_b32_e32 v1, 0xff, v1
	v_cmp_ne_u32_e32 vcc_lo, 0, v1
	s_and_b32 s14, vcc_lo, exec_lo
	s_delay_alu instid0(SALU_CYCLE_1)
	s_or_b32 s12, s12, s14
	s_or_b32 exec_lo, exec_lo, s13
	v_mov_b32_e32 v5, 0
	s_and_saveexec_b32 s13, s12
	s_cbranch_execnz .LBB356_1919
	s_branch .LBB356_1920
.LBB356_2134:
	s_and_not1_saveexec_b32 s10, s10
	s_cbranch_execz .LBB356_2025
.LBB356_2135:
	v_add_f32_e32 v0, 0x46000000, v1
	s_and_not1_b32 s6, s6, exec_lo
	s_delay_alu instid0(VALU_DEP_1) | instskip(NEXT) | instid1(VALU_DEP_1)
	v_and_b32_e32 v0, 0xff, v0
	v_cmp_ne_u32_e32 vcc_lo, 0, v0
	s_and_b32 s11, vcc_lo, exec_lo
	s_delay_alu instid0(SALU_CYCLE_1)
	s_or_b32 s6, s6, s11
	s_or_b32 exec_lo, exec_lo, s10
	v_mov_b32_e32 v4, 0
	s_and_saveexec_b32 s10, s6
	s_cbranch_execnz .LBB356_2026
	s_branch .LBB356_2027
.LBB356_2136:
	s_mov_b32 s4, 0
	s_or_b32 s3, s3, exec_lo
	s_trap 2
	s_branch .LBB356_2071
.LBB356_2137:
	s_and_not1_saveexec_b32 s6, s6
	s_cbranch_execz .LBB356_2037
.LBB356_2138:
	v_add_f32_e32 v0, 0x42800000, v1
	s_and_not1_b32 s5, s5, exec_lo
	s_delay_alu instid0(VALU_DEP_1) | instskip(NEXT) | instid1(VALU_DEP_1)
	v_and_b32_e32 v0, 0xff, v0
	v_cmp_ne_u32_e32 vcc_lo, 0, v0
	s_and_b32 s10, vcc_lo, exec_lo
	s_delay_alu instid0(SALU_CYCLE_1)
	s_or_b32 s5, s5, s10
	s_or_b32 exec_lo, exec_lo, s6
	v_mov_b32_e32 v4, 0
	s_and_saveexec_b32 s6, s5
	s_cbranch_execnz .LBB356_2038
	s_branch .LBB356_2039
	.section	.rodata,"a",@progbits
	.p2align	6, 0x0
	.amdhsa_kernel _ZN2at6native32elementwise_kernel_manual_unrollILi128ELi4EZNS0_15gpu_kernel_implINS0_13AUnaryFunctorIjjbNS0_12_GLOBAL__N_116CompareEqFunctorIjEEEEEEvRNS_18TensorIteratorBaseERKT_EUlibE0_EEviT1_
		.amdhsa_group_segment_fixed_size 0
		.amdhsa_private_segment_fixed_size 0
		.amdhsa_kernarg_size 368
		.amdhsa_user_sgpr_count 2
		.amdhsa_user_sgpr_dispatch_ptr 0
		.amdhsa_user_sgpr_queue_ptr 0
		.amdhsa_user_sgpr_kernarg_segment_ptr 1
		.amdhsa_user_sgpr_dispatch_id 0
		.amdhsa_user_sgpr_kernarg_preload_length 0
		.amdhsa_user_sgpr_kernarg_preload_offset 0
		.amdhsa_user_sgpr_private_segment_size 0
		.amdhsa_wavefront_size32 1
		.amdhsa_uses_dynamic_stack 0
		.amdhsa_enable_private_segment 0
		.amdhsa_system_sgpr_workgroup_id_x 1
		.amdhsa_system_sgpr_workgroup_id_y 0
		.amdhsa_system_sgpr_workgroup_id_z 0
		.amdhsa_system_sgpr_workgroup_info 0
		.amdhsa_system_vgpr_workitem_id 0
		.amdhsa_next_free_vgpr 18
		.amdhsa_next_free_sgpr 68
		.amdhsa_named_barrier_count 0
		.amdhsa_reserve_vcc 1
		.amdhsa_float_round_mode_32 0
		.amdhsa_float_round_mode_16_64 0
		.amdhsa_float_denorm_mode_32 3
		.amdhsa_float_denorm_mode_16_64 3
		.amdhsa_fp16_overflow 0
		.amdhsa_memory_ordered 1
		.amdhsa_forward_progress 1
		.amdhsa_inst_pref_size 255
		.amdhsa_round_robin_scheduling 0
		.amdhsa_exception_fp_ieee_invalid_op 0
		.amdhsa_exception_fp_denorm_src 0
		.amdhsa_exception_fp_ieee_div_zero 0
		.amdhsa_exception_fp_ieee_overflow 0
		.amdhsa_exception_fp_ieee_underflow 0
		.amdhsa_exception_fp_ieee_inexact 0
		.amdhsa_exception_int_div_zero 0
	.end_amdhsa_kernel
	.section	.text._ZN2at6native32elementwise_kernel_manual_unrollILi128ELi4EZNS0_15gpu_kernel_implINS0_13AUnaryFunctorIjjbNS0_12_GLOBAL__N_116CompareEqFunctorIjEEEEEEvRNS_18TensorIteratorBaseERKT_EUlibE0_EEviT1_,"axG",@progbits,_ZN2at6native32elementwise_kernel_manual_unrollILi128ELi4EZNS0_15gpu_kernel_implINS0_13AUnaryFunctorIjjbNS0_12_GLOBAL__N_116CompareEqFunctorIjEEEEEEvRNS_18TensorIteratorBaseERKT_EUlibE0_EEviT1_,comdat
.Lfunc_end356:
	.size	_ZN2at6native32elementwise_kernel_manual_unrollILi128ELi4EZNS0_15gpu_kernel_implINS0_13AUnaryFunctorIjjbNS0_12_GLOBAL__N_116CompareEqFunctorIjEEEEEEvRNS_18TensorIteratorBaseERKT_EUlibE0_EEviT1_, .Lfunc_end356-_ZN2at6native32elementwise_kernel_manual_unrollILi128ELi4EZNS0_15gpu_kernel_implINS0_13AUnaryFunctorIjjbNS0_12_GLOBAL__N_116CompareEqFunctorIjEEEEEEvRNS_18TensorIteratorBaseERKT_EUlibE0_EEviT1_
                                        ; -- End function
	.set _ZN2at6native32elementwise_kernel_manual_unrollILi128ELi4EZNS0_15gpu_kernel_implINS0_13AUnaryFunctorIjjbNS0_12_GLOBAL__N_116CompareEqFunctorIjEEEEEEvRNS_18TensorIteratorBaseERKT_EUlibE0_EEviT1_.num_vgpr, 18
	.set _ZN2at6native32elementwise_kernel_manual_unrollILi128ELi4EZNS0_15gpu_kernel_implINS0_13AUnaryFunctorIjjbNS0_12_GLOBAL__N_116CompareEqFunctorIjEEEEEEvRNS_18TensorIteratorBaseERKT_EUlibE0_EEviT1_.num_agpr, 0
	.set _ZN2at6native32elementwise_kernel_manual_unrollILi128ELi4EZNS0_15gpu_kernel_implINS0_13AUnaryFunctorIjjbNS0_12_GLOBAL__N_116CompareEqFunctorIjEEEEEEvRNS_18TensorIteratorBaseERKT_EUlibE0_EEviT1_.numbered_sgpr, 68
	.set _ZN2at6native32elementwise_kernel_manual_unrollILi128ELi4EZNS0_15gpu_kernel_implINS0_13AUnaryFunctorIjjbNS0_12_GLOBAL__N_116CompareEqFunctorIjEEEEEEvRNS_18TensorIteratorBaseERKT_EUlibE0_EEviT1_.num_named_barrier, 0
	.set _ZN2at6native32elementwise_kernel_manual_unrollILi128ELi4EZNS0_15gpu_kernel_implINS0_13AUnaryFunctorIjjbNS0_12_GLOBAL__N_116CompareEqFunctorIjEEEEEEvRNS_18TensorIteratorBaseERKT_EUlibE0_EEviT1_.private_seg_size, 0
	.set _ZN2at6native32elementwise_kernel_manual_unrollILi128ELi4EZNS0_15gpu_kernel_implINS0_13AUnaryFunctorIjjbNS0_12_GLOBAL__N_116CompareEqFunctorIjEEEEEEvRNS_18TensorIteratorBaseERKT_EUlibE0_EEviT1_.uses_vcc, 1
	.set _ZN2at6native32elementwise_kernel_manual_unrollILi128ELi4EZNS0_15gpu_kernel_implINS0_13AUnaryFunctorIjjbNS0_12_GLOBAL__N_116CompareEqFunctorIjEEEEEEvRNS_18TensorIteratorBaseERKT_EUlibE0_EEviT1_.uses_flat_scratch, 0
	.set _ZN2at6native32elementwise_kernel_manual_unrollILi128ELi4EZNS0_15gpu_kernel_implINS0_13AUnaryFunctorIjjbNS0_12_GLOBAL__N_116CompareEqFunctorIjEEEEEEvRNS_18TensorIteratorBaseERKT_EUlibE0_EEviT1_.has_dyn_sized_stack, 0
	.set _ZN2at6native32elementwise_kernel_manual_unrollILi128ELi4EZNS0_15gpu_kernel_implINS0_13AUnaryFunctorIjjbNS0_12_GLOBAL__N_116CompareEqFunctorIjEEEEEEvRNS_18TensorIteratorBaseERKT_EUlibE0_EEviT1_.has_recursion, 0
	.set _ZN2at6native32elementwise_kernel_manual_unrollILi128ELi4EZNS0_15gpu_kernel_implINS0_13AUnaryFunctorIjjbNS0_12_GLOBAL__N_116CompareEqFunctorIjEEEEEEvRNS_18TensorIteratorBaseERKT_EUlibE0_EEviT1_.has_indirect_call, 0
	.section	.AMDGPU.csdata,"",@progbits
; Kernel info:
; codeLenInByte = 40220
; TotalNumSgprs: 70
; NumVgprs: 18
; ScratchSize: 0
; MemoryBound: 1
; FloatMode: 240
; IeeeMode: 1
; LDSByteSize: 0 bytes/workgroup (compile time only)
; SGPRBlocks: 0
; VGPRBlocks: 1
; NumSGPRsForWavesPerEU: 70
; NumVGPRsForWavesPerEU: 18
; NamedBarCnt: 0
; Occupancy: 16
; WaveLimiterHint : 1
; COMPUTE_PGM_RSRC2:SCRATCH_EN: 0
; COMPUTE_PGM_RSRC2:USER_SGPR: 2
; COMPUTE_PGM_RSRC2:TRAP_HANDLER: 0
; COMPUTE_PGM_RSRC2:TGID_X_EN: 1
; COMPUTE_PGM_RSRC2:TGID_Y_EN: 0
; COMPUTE_PGM_RSRC2:TGID_Z_EN: 0
; COMPUTE_PGM_RSRC2:TIDIG_COMP_CNT: 0
	.section	.text._ZN2at6native29vectorized_elementwise_kernelILi16ENS0_13BinaryFunctorImmbNS0_12_GLOBAL__N_116CompareEqFunctorImEEEESt5arrayIPcLm3EEEEviT0_T1_,"axG",@progbits,_ZN2at6native29vectorized_elementwise_kernelILi16ENS0_13BinaryFunctorImmbNS0_12_GLOBAL__N_116CompareEqFunctorImEEEESt5arrayIPcLm3EEEEviT0_T1_,comdat
	.globl	_ZN2at6native29vectorized_elementwise_kernelILi16ENS0_13BinaryFunctorImmbNS0_12_GLOBAL__N_116CompareEqFunctorImEEEESt5arrayIPcLm3EEEEviT0_T1_ ; -- Begin function _ZN2at6native29vectorized_elementwise_kernelILi16ENS0_13BinaryFunctorImmbNS0_12_GLOBAL__N_116CompareEqFunctorImEEEESt5arrayIPcLm3EEEEviT0_T1_
	.p2align	8
	.type	_ZN2at6native29vectorized_elementwise_kernelILi16ENS0_13BinaryFunctorImmbNS0_12_GLOBAL__N_116CompareEqFunctorImEEEESt5arrayIPcLm3EEEEviT0_T1_,@function
_ZN2at6native29vectorized_elementwise_kernelILi16ENS0_13BinaryFunctorImmbNS0_12_GLOBAL__N_116CompareEqFunctorImEEEESt5arrayIPcLm3EEEEviT0_T1_: ; @_ZN2at6native29vectorized_elementwise_kernelILi16ENS0_13BinaryFunctorImmbNS0_12_GLOBAL__N_116CompareEqFunctorImEEEESt5arrayIPcLm3EEEEviT0_T1_
; %bb.0:
	s_clause 0x2
	s_load_b64 s[14:15], s[0:1], 0x0
	s_load_b128 s[16:19], s[0:1], 0x8
	s_load_b64 s[22:23], s[0:1], 0x18
	s_wait_xcnt 0x0
	s_bfe_u32 s0, ttmp6, 0x4000c
	s_and_b32 s1, ttmp6, 15
	s_add_co_i32 s0, s0, 1
	s_getreg_b32 s2, hwreg(HW_REG_IB_STS2, 6, 4)
	s_mul_i32 s0, ttmp9, s0
	s_delay_alu instid0(SALU_CYCLE_1) | instskip(SKIP_2) | instid1(SALU_CYCLE_1)
	s_add_co_i32 s1, s1, s0
	s_cmp_eq_u32 s2, 0
	s_cselect_b32 s0, ttmp9, s1
	s_lshl_b32 s20, s0, 12
	s_mov_b32 s0, -1
	s_wait_kmcnt 0x0
	s_sub_co_i32 s24, s14, s20
	s_delay_alu instid0(SALU_CYCLE_1)
	s_cmp_gt_i32 s24, 0xfff
	s_cbranch_scc0 .LBB357_2
; %bb.1:
	s_ashr_i32 s21, s20, 31
	v_lshlrev_b32_e32 v1, 7, v0
	s_lshl_b64 s[0:1], s[20:21], 3
	s_cmp_eq_u32 s15, 0
	s_add_nc_u64 s[2:3], s[22:23], s[0:1]
	s_add_nc_u64 s[4:5], s[18:19], s[0:1]
	s_clause 0xc
	global_load_b128 v[2:5], v1, s[2:3] offset:32
	global_load_b128 v[6:9], v1, s[4:5] offset:32
	;; [unrolled: 1-line block ×5, first 2 shown]
	global_load_b128 v[22:25], v1, s[4:5]
	global_load_b128 v[26:29], v1, s[2:3] offset:16
	global_load_b128 v[30:33], v1, s[2:3]
	global_load_b128 v[34:37], v1, s[4:5] offset:112
	global_load_b128 v[38:41], v1, s[4:5] offset:96
	;; [unrolled: 1-line block ×5, first 2 shown]
	s_cselect_b32 s25, -1, 0
	s_wait_loadcnt 0xb
	v_cmp_ne_u64_e32 vcc_lo, v[8:9], v[4:5]
	v_cmp_ne_u64_e64 s0, v[6:7], v[2:3]
	s_clause 0x2
	global_load_b128 v[2:5], v1, s[4:5] offset:64
	global_load_b128 v[6:9], v1, s[4:5] offset:80
	;; [unrolled: 1-line block ×3, first 2 shown]
	s_wait_loadcnt 0xc
	v_cmp_ne_u64_e64 s1, v[12:13], v[16:17]
	s_wait_xcnt 0x0
	v_cmp_ne_u64_e64 s2, v[10:11], v[14:15]
	s_wait_loadcnt 0x9
	v_cmp_ne_u64_e64 s5, v[20:21], v[28:29]
	s_wait_loadcnt 0x8
	v_cmp_ne_u64_e64 s3, v[24:25], v[32:33]
	v_cmp_ne_u64_e64 s4, v[22:23], v[30:31]
	s_xor_b32 s0, s25, s0
	v_cmp_ne_u64_e64 s6, v[18:19], v[26:27]
	s_wait_loadcnt 0x4
	v_cmp_ne_u64_e64 s7, v[40:41], v[48:49]
	v_cmp_ne_u64_e64 s8, v[38:39], v[46:47]
	;; [unrolled: 1-line block ×4, first 2 shown]
	s_xor_b32 s26, s25, vcc_lo
	s_delay_alu instid0(SALU_CYCLE_1) | instskip(NEXT) | instid1(VALU_DEP_1)
	v_cndmask_b32_e64 v1, 0, 1, s26
	v_lshlrev_b16 v1, 8, v1
	s_wait_loadcnt 0x2
	v_cmp_ne_u64_e64 s12, v[2:3], v[50:51]
	v_cndmask_b32_e64 v2, 0, 1, s0
	s_xor_b32 s0, s25, s1
	v_cmp_ne_u64_e64 s11, v[4:5], v[52:53]
	v_cndmask_b32_e64 v3, 0, 1, s0
	s_xor_b32 s0, s25, s2
	s_wait_loadcnt 0x0
	v_cmp_ne_u64_e64 s14, v[6:7], v[54:55]
	v_cndmask_b32_e64 v4, 0, 1, s0
	s_xor_b32 s0, s25, s3
	v_cmp_ne_u64_e64 s13, v[8:9], v[56:57]
	v_cndmask_b32_e64 v5, 0, 1, s0
	s_xor_b32 s0, s25, s4
	v_lshlrev_b16 v3, 8, v3
	v_cndmask_b32_e64 v6, 0, 1, s0
	s_xor_b32 s0, s25, s5
	v_lshlrev_b16 v5, 8, v5
	v_cndmask_b32_e64 v7, 0, 1, s0
	s_xor_b32 s0, s25, s6
	v_or_b32_e32 v1, v2, v1
	v_cndmask_b32_e64 v8, 0, 1, s0
	s_xor_b32 s0, s25, s7
	v_lshlrev_b16 v7, 8, v7
	v_cndmask_b32_e64 v9, 0, 1, s0
	s_xor_b32 s0, s25, s8
	v_or_b32_e32 v2, v4, v3
	;; [unrolled: 6-line block ×5, first 2 shown]
	v_cndmask_b32_e64 v16, 0, 1, s0
	v_or_b32_e32 v7, v14, v13
	v_lshlrev_b16 v15, 8, v15
	v_lshlrev_b32_e32 v2, 16, v2
	v_and_b32_e32 v1, 0xffff, v1
	v_dual_lshlrev_b32 v6, 16, v6 :: v_dual_lshlrev_b32 v4, 16, v4
	s_delay_alu instid0(VALU_DEP_4) | instskip(SKIP_3) | instid1(VALU_DEP_4)
	v_or_b32_e32 v8, v16, v15
	v_or_b32_e32 v5, v10, v9
	v_and_b32_e32 v9, 0xffff, v3
	v_and_b32_e32 v7, 0xffff, v7
	v_dual_lshlrev_b32 v8, 16, v8 :: v_dual_bitop2_b32 v3, v1, v2 bitop3:0x54
	s_delay_alu instid0(VALU_DEP_4) | instskip(NEXT) | instid1(VALU_DEP_4)
	v_and_b32_e32 v5, 0xffff, v5
	v_or_b32_e32 v2, v9, v4
	s_add_nc_u64 s[2:3], s[16:17], s[20:21]
	s_mov_b32 s0, 0
	v_or_b32_e32 v4, v7, v8
	v_or_b32_e32 v5, v5, v6
	global_store_b128 v0, v[2:5], s[2:3] scale_offset
.LBB357_2:
	s_and_not1_b32 vcc_lo, exec_lo, s0
	s_cbranch_vccnz .LBB357_52
; %bb.3:
	v_cmp_gt_i32_e32 vcc_lo, s24, v0
	s_wait_xcnt 0x0
	v_dual_mov_b32 v3, v0 :: v_dual_bitop2_b32 v1, s20, v0 bitop3:0x54
	v_or_b32_e32 v2, 0x100, v0
	s_mov_b32 s1, 0
	s_mov_b32 s2, 0
	s_and_saveexec_b32 s3, vcc_lo
	s_cbranch_execz .LBB357_5
; %bb.4:
	s_clause 0x1
	global_load_b64 v[4:5], v1, s[18:19] scale_offset
	global_load_b64 v[6:7], v1, s[22:23] scale_offset
	v_or_b32_e32 v3, 0x100, v0
	s_wait_loadcnt 0x0
	v_cmp_ne_u64_e64 s0, v[4:5], v[6:7]
	s_and_b32 s2, s0, exec_lo
.LBB357_5:
	s_wait_xcnt 0x0
	s_or_b32 exec_lo, exec_lo, s3
	s_delay_alu instid0(SALU_CYCLE_1)
	s_mov_b32 s3, exec_lo
	v_cmpx_gt_i32_e64 s24, v3
	s_cbranch_execz .LBB357_7
; %bb.6:
	v_add_nc_u32_e32 v8, s20, v3
	v_add_nc_u32_e32 v3, 0x100, v3
	s_clause 0x1
	global_load_b64 v[4:5], v8, s[18:19] scale_offset
	global_load_b64 v[6:7], v8, s[22:23] scale_offset
	s_wait_loadcnt 0x0
	v_cmp_ne_u64_e64 s0, v[4:5], v[6:7]
	s_and_b32 s1, s0, exec_lo
.LBB357_7:
	s_wait_xcnt 0x0
	s_or_b32 exec_lo, exec_lo, s3
	s_mov_b32 s3, 0
	s_mov_b32 s5, 0
	s_mov_b32 s4, exec_lo
	v_cmpx_gt_i32_e64 s24, v3
	s_cbranch_execz .LBB357_9
; %bb.8:
	v_add_nc_u32_e32 v8, s20, v3
	v_add_nc_u32_e32 v3, 0x100, v3
	s_clause 0x1
	global_load_b64 v[4:5], v8, s[18:19] scale_offset
	global_load_b64 v[6:7], v8, s[22:23] scale_offset
	s_wait_loadcnt 0x0
	v_cmp_ne_u64_e64 s0, v[4:5], v[6:7]
	s_and_b32 s5, s0, exec_lo
.LBB357_9:
	s_wait_xcnt 0x0
	s_or_b32 exec_lo, exec_lo, s4
	s_delay_alu instid0(SALU_CYCLE_1)
	s_mov_b32 s4, exec_lo
	v_cmpx_gt_i32_e64 s24, v3
	s_cbranch_execz .LBB357_11
; %bb.10:
	v_add_nc_u32_e32 v8, s20, v3
	v_add_nc_u32_e32 v3, 0x100, v3
	s_clause 0x1
	global_load_b64 v[4:5], v8, s[18:19] scale_offset
	global_load_b64 v[6:7], v8, s[22:23] scale_offset
	s_wait_loadcnt 0x0
	v_cmp_ne_u64_e64 s0, v[4:5], v[6:7]
	s_and_b32 s3, s0, exec_lo
.LBB357_11:
	s_wait_xcnt 0x0
	s_or_b32 exec_lo, exec_lo, s4
	s_mov_b32 s4, 0
	s_mov_b32 s7, 0
	s_mov_b32 s6, exec_lo
	v_cmpx_gt_i32_e64 s24, v3
	s_cbranch_execz .LBB357_13
; %bb.12:
	v_add_nc_u32_e32 v8, s20, v3
	v_add_nc_u32_e32 v3, 0x100, v3
	s_clause 0x1
	global_load_b64 v[4:5], v8, s[18:19] scale_offset
	global_load_b64 v[6:7], v8, s[22:23] scale_offset
	s_wait_loadcnt 0x0
	v_cmp_ne_u64_e64 s0, v[4:5], v[6:7]
	s_and_b32 s7, s0, exec_lo
.LBB357_13:
	;; [unrolled: 33-line block ×7, first 2 shown]
	s_wait_xcnt 0x0
	s_or_b32 exec_lo, exec_lo, s26
	s_delay_alu instid0(SALU_CYCLE_1)
	s_mov_b32 s26, exec_lo
	v_cmpx_gt_i32_e64 s24, v3
	s_cbranch_execz .LBB357_35
; %bb.34:
	v_add_nc_u32_e32 v3, s20, v3
	s_clause 0x1
	global_load_b64 v[4:5], v3, s[18:19] scale_offset
	global_load_b64 v[6:7], v3, s[22:23] scale_offset
	s_wait_loadcnt 0x0
	v_cmp_ne_u64_e64 s0, v[4:5], v[6:7]
	s_and_b32 s14, s0, exec_lo
.LBB357_35:
	s_wait_xcnt 0x0
	s_or_b32 exec_lo, exec_lo, s26
	s_cmp_eq_u32 s15, 0
	s_cselect_b32 s0, -1, 0
	s_and_saveexec_b32 s15, vcc_lo
	s_cbranch_execnz .LBB357_53
; %bb.36:
	s_or_b32 exec_lo, exec_lo, s15
	s_delay_alu instid0(SALU_CYCLE_1)
	s_mov_b32 s2, exec_lo
	v_cmpx_gt_i32_e64 s24, v0
	s_cbranch_execnz .LBB357_54
.LBB357_37:
	s_or_b32 exec_lo, exec_lo, s2
	s_delay_alu instid0(SALU_CYCLE_1)
	s_mov_b32 s1, exec_lo
	v_cmpx_gt_i32_e64 s24, v0
	s_cbranch_execnz .LBB357_55
.LBB357_38:
	s_or_b32 exec_lo, exec_lo, s1
	s_delay_alu instid0(SALU_CYCLE_1)
	s_mov_b32 s1, exec_lo
	v_cmpx_gt_i32_e64 s24, v0
	s_cbranch_execnz .LBB357_56
.LBB357_39:
	s_or_b32 exec_lo, exec_lo, s1
	s_delay_alu instid0(SALU_CYCLE_1)
	s_mov_b32 s1, exec_lo
	v_cmpx_gt_i32_e64 s24, v0
	s_cbranch_execnz .LBB357_57
.LBB357_40:
	s_or_b32 exec_lo, exec_lo, s1
	s_delay_alu instid0(SALU_CYCLE_1)
	s_mov_b32 s1, exec_lo
	v_cmpx_gt_i32_e64 s24, v0
	s_cbranch_execnz .LBB357_58
.LBB357_41:
	s_or_b32 exec_lo, exec_lo, s1
	s_delay_alu instid0(SALU_CYCLE_1)
	s_mov_b32 s1, exec_lo
	v_cmpx_gt_i32_e64 s24, v0
	s_cbranch_execnz .LBB357_59
.LBB357_42:
	s_or_b32 exec_lo, exec_lo, s1
	s_delay_alu instid0(SALU_CYCLE_1)
	s_mov_b32 s1, exec_lo
	v_cmpx_gt_i32_e64 s24, v0
	s_cbranch_execnz .LBB357_60
.LBB357_43:
	s_or_b32 exec_lo, exec_lo, s1
	s_delay_alu instid0(SALU_CYCLE_1)
	s_mov_b32 s1, exec_lo
	v_cmpx_gt_i32_e64 s24, v0
	s_cbranch_execnz .LBB357_61
.LBB357_44:
	s_or_b32 exec_lo, exec_lo, s1
	s_delay_alu instid0(SALU_CYCLE_1)
	s_mov_b32 s1, exec_lo
	v_cmpx_gt_i32_e64 s24, v0
	s_cbranch_execnz .LBB357_62
.LBB357_45:
	s_or_b32 exec_lo, exec_lo, s1
	s_delay_alu instid0(SALU_CYCLE_1)
	s_mov_b32 s1, exec_lo
	v_cmpx_gt_i32_e64 s24, v0
	s_cbranch_execnz .LBB357_63
.LBB357_46:
	s_or_b32 exec_lo, exec_lo, s1
	s_delay_alu instid0(SALU_CYCLE_1)
	s_mov_b32 s1, exec_lo
	v_cmpx_gt_i32_e64 s24, v0
	s_cbranch_execnz .LBB357_64
.LBB357_47:
	s_or_b32 exec_lo, exec_lo, s1
	s_delay_alu instid0(SALU_CYCLE_1)
	s_mov_b32 s1, exec_lo
	v_cmpx_gt_i32_e64 s24, v0
	s_cbranch_execnz .LBB357_65
.LBB357_48:
	s_or_b32 exec_lo, exec_lo, s1
	s_delay_alu instid0(SALU_CYCLE_1)
	s_mov_b32 s1, exec_lo
	v_cmpx_gt_i32_e64 s24, v0
	s_cbranch_execnz .LBB357_66
.LBB357_49:
	s_or_b32 exec_lo, exec_lo, s1
	s_delay_alu instid0(SALU_CYCLE_1)
	s_mov_b32 s1, exec_lo
	v_cmpx_gt_i32_e64 s24, v0
	s_cbranch_execnz .LBB357_67
.LBB357_50:
	s_or_b32 exec_lo, exec_lo, s1
	s_delay_alu instid0(SALU_CYCLE_1)
	s_mov_b32 s1, exec_lo
	v_cmpx_gt_i32_e64 s24, v0
	s_cbranch_execz .LBB357_52
.LBB357_51:
	s_xor_b32 s0, s0, s14
	v_add_nc_u32_e32 v0, s20, v0
	v_cndmask_b32_e64 v1, 0, 1, s0
	global_store_b8 v0, v1, s[16:17]
.LBB357_52:
	s_endpgm
.LBB357_53:
	s_xor_b32 s2, s0, s2
	v_mov_b32_e32 v0, v2
	v_cndmask_b32_e64 v3, 0, 1, s2
	global_store_b8 v1, v3, s[16:17]
	s_wait_xcnt 0x0
	s_or_b32 exec_lo, exec_lo, s15
	s_delay_alu instid0(SALU_CYCLE_1)
	s_mov_b32 s2, exec_lo
	v_cmpx_gt_i32_e64 s24, v0
	s_cbranch_execz .LBB357_37
.LBB357_54:
	s_xor_b32 s1, s0, s1
	v_add_nc_u32_e32 v2, s20, v0
	v_cndmask_b32_e64 v1, 0, 1, s1
	v_add_nc_u32_e32 v0, 0x100, v0
	global_store_b8 v2, v1, s[16:17]
	s_wait_xcnt 0x0
	s_or_b32 exec_lo, exec_lo, s2
	s_delay_alu instid0(SALU_CYCLE_1)
	s_mov_b32 s1, exec_lo
	v_cmpx_gt_i32_e64 s24, v0
	s_cbranch_execz .LBB357_38
.LBB357_55:
	s_xor_b32 s2, s0, s5
	v_add_nc_u32_e32 v2, s20, v0
	v_cndmask_b32_e64 v1, 0, 1, s2
	v_add_nc_u32_e32 v0, 0x100, v0
	global_store_b8 v2, v1, s[16:17]
	s_wait_xcnt 0x0
	s_or_b32 exec_lo, exec_lo, s1
	s_delay_alu instid0(SALU_CYCLE_1)
	s_mov_b32 s1, exec_lo
	v_cmpx_gt_i32_e64 s24, v0
	s_cbranch_execz .LBB357_39
.LBB357_56:
	s_xor_b32 s2, s0, s3
	v_add_nc_u32_e32 v2, s20, v0
	v_cndmask_b32_e64 v1, 0, 1, s2
	v_add_nc_u32_e32 v0, 0x100, v0
	global_store_b8 v2, v1, s[16:17]
	s_wait_xcnt 0x0
	s_or_b32 exec_lo, exec_lo, s1
	s_delay_alu instid0(SALU_CYCLE_1)
	s_mov_b32 s1, exec_lo
	v_cmpx_gt_i32_e64 s24, v0
	s_cbranch_execz .LBB357_40
.LBB357_57:
	s_xor_b32 s2, s0, s7
	v_add_nc_u32_e32 v2, s20, v0
	v_cndmask_b32_e64 v1, 0, 1, s2
	v_add_nc_u32_e32 v0, 0x100, v0
	global_store_b8 v2, v1, s[16:17]
	s_wait_xcnt 0x0
	s_or_b32 exec_lo, exec_lo, s1
	s_delay_alu instid0(SALU_CYCLE_1)
	s_mov_b32 s1, exec_lo
	v_cmpx_gt_i32_e64 s24, v0
	s_cbranch_execz .LBB357_41
.LBB357_58:
	s_xor_b32 s2, s0, s4
	v_add_nc_u32_e32 v2, s20, v0
	v_cndmask_b32_e64 v1, 0, 1, s2
	v_add_nc_u32_e32 v0, 0x100, v0
	global_store_b8 v2, v1, s[16:17]
	s_wait_xcnt 0x0
	s_or_b32 exec_lo, exec_lo, s1
	s_delay_alu instid0(SALU_CYCLE_1)
	s_mov_b32 s1, exec_lo
	v_cmpx_gt_i32_e64 s24, v0
	s_cbranch_execz .LBB357_42
.LBB357_59:
	s_xor_b32 s2, s0, s9
	v_add_nc_u32_e32 v2, s20, v0
	v_cndmask_b32_e64 v1, 0, 1, s2
	v_add_nc_u32_e32 v0, 0x100, v0
	global_store_b8 v2, v1, s[16:17]
	s_wait_xcnt 0x0
	s_or_b32 exec_lo, exec_lo, s1
	s_delay_alu instid0(SALU_CYCLE_1)
	s_mov_b32 s1, exec_lo
	v_cmpx_gt_i32_e64 s24, v0
	s_cbranch_execz .LBB357_43
.LBB357_60:
	s_xor_b32 s2, s0, s6
	v_add_nc_u32_e32 v2, s20, v0
	v_cndmask_b32_e64 v1, 0, 1, s2
	v_add_nc_u32_e32 v0, 0x100, v0
	global_store_b8 v2, v1, s[16:17]
	s_wait_xcnt 0x0
	s_or_b32 exec_lo, exec_lo, s1
	s_delay_alu instid0(SALU_CYCLE_1)
	s_mov_b32 s1, exec_lo
	v_cmpx_gt_i32_e64 s24, v0
	s_cbranch_execz .LBB357_44
.LBB357_61:
	s_xor_b32 s2, s0, s11
	v_add_nc_u32_e32 v2, s20, v0
	v_cndmask_b32_e64 v1, 0, 1, s2
	v_add_nc_u32_e32 v0, 0x100, v0
	global_store_b8 v2, v1, s[16:17]
	s_wait_xcnt 0x0
	s_or_b32 exec_lo, exec_lo, s1
	s_delay_alu instid0(SALU_CYCLE_1)
	s_mov_b32 s1, exec_lo
	v_cmpx_gt_i32_e64 s24, v0
	s_cbranch_execz .LBB357_45
.LBB357_62:
	s_xor_b32 s2, s0, s8
	v_add_nc_u32_e32 v2, s20, v0
	v_cndmask_b32_e64 v1, 0, 1, s2
	v_add_nc_u32_e32 v0, 0x100, v0
	global_store_b8 v2, v1, s[16:17]
	s_wait_xcnt 0x0
	s_or_b32 exec_lo, exec_lo, s1
	s_delay_alu instid0(SALU_CYCLE_1)
	s_mov_b32 s1, exec_lo
	v_cmpx_gt_i32_e64 s24, v0
	s_cbranch_execz .LBB357_46
.LBB357_63:
	s_xor_b32 s2, s0, s13
	v_add_nc_u32_e32 v2, s20, v0
	v_cndmask_b32_e64 v1, 0, 1, s2
	v_add_nc_u32_e32 v0, 0x100, v0
	global_store_b8 v2, v1, s[16:17]
	s_wait_xcnt 0x0
	s_or_b32 exec_lo, exec_lo, s1
	s_delay_alu instid0(SALU_CYCLE_1)
	s_mov_b32 s1, exec_lo
	v_cmpx_gt_i32_e64 s24, v0
	s_cbranch_execz .LBB357_47
.LBB357_64:
	s_xor_b32 s2, s0, s10
	v_add_nc_u32_e32 v2, s20, v0
	v_cndmask_b32_e64 v1, 0, 1, s2
	v_add_nc_u32_e32 v0, 0x100, v0
	global_store_b8 v2, v1, s[16:17]
	s_wait_xcnt 0x0
	s_or_b32 exec_lo, exec_lo, s1
	s_delay_alu instid0(SALU_CYCLE_1)
	s_mov_b32 s1, exec_lo
	v_cmpx_gt_i32_e64 s24, v0
	s_cbranch_execz .LBB357_48
.LBB357_65:
	s_xor_b32 s2, s0, s21
	v_add_nc_u32_e32 v2, s20, v0
	v_cndmask_b32_e64 v1, 0, 1, s2
	v_add_nc_u32_e32 v0, 0x100, v0
	global_store_b8 v2, v1, s[16:17]
	s_wait_xcnt 0x0
	s_or_b32 exec_lo, exec_lo, s1
	s_delay_alu instid0(SALU_CYCLE_1)
	s_mov_b32 s1, exec_lo
	v_cmpx_gt_i32_e64 s24, v0
	s_cbranch_execz .LBB357_49
.LBB357_66:
	s_xor_b32 s2, s0, s12
	v_add_nc_u32_e32 v2, s20, v0
	v_cndmask_b32_e64 v1, 0, 1, s2
	v_add_nc_u32_e32 v0, 0x100, v0
	global_store_b8 v2, v1, s[16:17]
	s_wait_xcnt 0x0
	s_or_b32 exec_lo, exec_lo, s1
	s_delay_alu instid0(SALU_CYCLE_1)
	s_mov_b32 s1, exec_lo
	v_cmpx_gt_i32_e64 s24, v0
	s_cbranch_execz .LBB357_50
.LBB357_67:
	s_xor_b32 s2, s0, s25
	v_add_nc_u32_e32 v2, s20, v0
	v_cndmask_b32_e64 v1, 0, 1, s2
	v_add_nc_u32_e32 v0, 0x100, v0
	global_store_b8 v2, v1, s[16:17]
	s_wait_xcnt 0x0
	s_or_b32 exec_lo, exec_lo, s1
	s_delay_alu instid0(SALU_CYCLE_1)
	s_mov_b32 s1, exec_lo
	v_cmpx_gt_i32_e64 s24, v0
	s_cbranch_execnz .LBB357_51
	s_branch .LBB357_52
	.section	.rodata,"a",@progbits
	.p2align	6, 0x0
	.amdhsa_kernel _ZN2at6native29vectorized_elementwise_kernelILi16ENS0_13BinaryFunctorImmbNS0_12_GLOBAL__N_116CompareEqFunctorImEEEESt5arrayIPcLm3EEEEviT0_T1_
		.amdhsa_group_segment_fixed_size 0
		.amdhsa_private_segment_fixed_size 0
		.amdhsa_kernarg_size 32
		.amdhsa_user_sgpr_count 2
		.amdhsa_user_sgpr_dispatch_ptr 0
		.amdhsa_user_sgpr_queue_ptr 0
		.amdhsa_user_sgpr_kernarg_segment_ptr 1
		.amdhsa_user_sgpr_dispatch_id 0
		.amdhsa_user_sgpr_kernarg_preload_length 0
		.amdhsa_user_sgpr_kernarg_preload_offset 0
		.amdhsa_user_sgpr_private_segment_size 0
		.amdhsa_wavefront_size32 1
		.amdhsa_uses_dynamic_stack 0
		.amdhsa_enable_private_segment 0
		.amdhsa_system_sgpr_workgroup_id_x 1
		.amdhsa_system_sgpr_workgroup_id_y 0
		.amdhsa_system_sgpr_workgroup_id_z 0
		.amdhsa_system_sgpr_workgroup_info 0
		.amdhsa_system_vgpr_workitem_id 0
		.amdhsa_next_free_vgpr 58
		.amdhsa_next_free_sgpr 27
		.amdhsa_named_barrier_count 0
		.amdhsa_reserve_vcc 1
		.amdhsa_float_round_mode_32 0
		.amdhsa_float_round_mode_16_64 0
		.amdhsa_float_denorm_mode_32 3
		.amdhsa_float_denorm_mode_16_64 3
		.amdhsa_fp16_overflow 0
		.amdhsa_memory_ordered 1
		.amdhsa_forward_progress 1
		.amdhsa_inst_pref_size 29
		.amdhsa_round_robin_scheduling 0
		.amdhsa_exception_fp_ieee_invalid_op 0
		.amdhsa_exception_fp_denorm_src 0
		.amdhsa_exception_fp_ieee_div_zero 0
		.amdhsa_exception_fp_ieee_overflow 0
		.amdhsa_exception_fp_ieee_underflow 0
		.amdhsa_exception_fp_ieee_inexact 0
		.amdhsa_exception_int_div_zero 0
	.end_amdhsa_kernel
	.section	.text._ZN2at6native29vectorized_elementwise_kernelILi16ENS0_13BinaryFunctorImmbNS0_12_GLOBAL__N_116CompareEqFunctorImEEEESt5arrayIPcLm3EEEEviT0_T1_,"axG",@progbits,_ZN2at6native29vectorized_elementwise_kernelILi16ENS0_13BinaryFunctorImmbNS0_12_GLOBAL__N_116CompareEqFunctorImEEEESt5arrayIPcLm3EEEEviT0_T1_,comdat
.Lfunc_end357:
	.size	_ZN2at6native29vectorized_elementwise_kernelILi16ENS0_13BinaryFunctorImmbNS0_12_GLOBAL__N_116CompareEqFunctorImEEEESt5arrayIPcLm3EEEEviT0_T1_, .Lfunc_end357-_ZN2at6native29vectorized_elementwise_kernelILi16ENS0_13BinaryFunctorImmbNS0_12_GLOBAL__N_116CompareEqFunctorImEEEESt5arrayIPcLm3EEEEviT0_T1_
                                        ; -- End function
	.set _ZN2at6native29vectorized_elementwise_kernelILi16ENS0_13BinaryFunctorImmbNS0_12_GLOBAL__N_116CompareEqFunctorImEEEESt5arrayIPcLm3EEEEviT0_T1_.num_vgpr, 58
	.set _ZN2at6native29vectorized_elementwise_kernelILi16ENS0_13BinaryFunctorImmbNS0_12_GLOBAL__N_116CompareEqFunctorImEEEESt5arrayIPcLm3EEEEviT0_T1_.num_agpr, 0
	.set _ZN2at6native29vectorized_elementwise_kernelILi16ENS0_13BinaryFunctorImmbNS0_12_GLOBAL__N_116CompareEqFunctorImEEEESt5arrayIPcLm3EEEEviT0_T1_.numbered_sgpr, 27
	.set _ZN2at6native29vectorized_elementwise_kernelILi16ENS0_13BinaryFunctorImmbNS0_12_GLOBAL__N_116CompareEqFunctorImEEEESt5arrayIPcLm3EEEEviT0_T1_.num_named_barrier, 0
	.set _ZN2at6native29vectorized_elementwise_kernelILi16ENS0_13BinaryFunctorImmbNS0_12_GLOBAL__N_116CompareEqFunctorImEEEESt5arrayIPcLm3EEEEviT0_T1_.private_seg_size, 0
	.set _ZN2at6native29vectorized_elementwise_kernelILi16ENS0_13BinaryFunctorImmbNS0_12_GLOBAL__N_116CompareEqFunctorImEEEESt5arrayIPcLm3EEEEviT0_T1_.uses_vcc, 1
	.set _ZN2at6native29vectorized_elementwise_kernelILi16ENS0_13BinaryFunctorImmbNS0_12_GLOBAL__N_116CompareEqFunctorImEEEESt5arrayIPcLm3EEEEviT0_T1_.uses_flat_scratch, 0
	.set _ZN2at6native29vectorized_elementwise_kernelILi16ENS0_13BinaryFunctorImmbNS0_12_GLOBAL__N_116CompareEqFunctorImEEEESt5arrayIPcLm3EEEEviT0_T1_.has_dyn_sized_stack, 0
	.set _ZN2at6native29vectorized_elementwise_kernelILi16ENS0_13BinaryFunctorImmbNS0_12_GLOBAL__N_116CompareEqFunctorImEEEESt5arrayIPcLm3EEEEviT0_T1_.has_recursion, 0
	.set _ZN2at6native29vectorized_elementwise_kernelILi16ENS0_13BinaryFunctorImmbNS0_12_GLOBAL__N_116CompareEqFunctorImEEEESt5arrayIPcLm3EEEEviT0_T1_.has_indirect_call, 0
	.section	.AMDGPU.csdata,"",@progbits
; Kernel info:
; codeLenInByte = 3636
; TotalNumSgprs: 29
; NumVgprs: 58
; ScratchSize: 0
; MemoryBound: 1
; FloatMode: 240
; IeeeMode: 1
; LDSByteSize: 0 bytes/workgroup (compile time only)
; SGPRBlocks: 0
; VGPRBlocks: 3
; NumSGPRsForWavesPerEU: 29
; NumVGPRsForWavesPerEU: 58
; NamedBarCnt: 0
; Occupancy: 16
; WaveLimiterHint : 0
; COMPUTE_PGM_RSRC2:SCRATCH_EN: 0
; COMPUTE_PGM_RSRC2:USER_SGPR: 2
; COMPUTE_PGM_RSRC2:TRAP_HANDLER: 0
; COMPUTE_PGM_RSRC2:TGID_X_EN: 1
; COMPUTE_PGM_RSRC2:TGID_Y_EN: 0
; COMPUTE_PGM_RSRC2:TGID_Z_EN: 0
; COMPUTE_PGM_RSRC2:TIDIG_COMP_CNT: 0
	.section	.text._ZN2at6native29vectorized_elementwise_kernelILi8ENS0_13BinaryFunctorImmbNS0_12_GLOBAL__N_116CompareEqFunctorImEEEESt5arrayIPcLm3EEEEviT0_T1_,"axG",@progbits,_ZN2at6native29vectorized_elementwise_kernelILi8ENS0_13BinaryFunctorImmbNS0_12_GLOBAL__N_116CompareEqFunctorImEEEESt5arrayIPcLm3EEEEviT0_T1_,comdat
	.globl	_ZN2at6native29vectorized_elementwise_kernelILi8ENS0_13BinaryFunctorImmbNS0_12_GLOBAL__N_116CompareEqFunctorImEEEESt5arrayIPcLm3EEEEviT0_T1_ ; -- Begin function _ZN2at6native29vectorized_elementwise_kernelILi8ENS0_13BinaryFunctorImmbNS0_12_GLOBAL__N_116CompareEqFunctorImEEEESt5arrayIPcLm3EEEEviT0_T1_
	.p2align	8
	.type	_ZN2at6native29vectorized_elementwise_kernelILi8ENS0_13BinaryFunctorImmbNS0_12_GLOBAL__N_116CompareEqFunctorImEEEESt5arrayIPcLm3EEEEviT0_T1_,@function
_ZN2at6native29vectorized_elementwise_kernelILi8ENS0_13BinaryFunctorImmbNS0_12_GLOBAL__N_116CompareEqFunctorImEEEESt5arrayIPcLm3EEEEviT0_T1_: ; @_ZN2at6native29vectorized_elementwise_kernelILi8ENS0_13BinaryFunctorImmbNS0_12_GLOBAL__N_116CompareEqFunctorImEEEESt5arrayIPcLm3EEEEviT0_T1_
; %bb.0:
	s_clause 0x2
	s_load_b64 s[14:15], s[0:1], 0x0
	s_load_b128 s[16:19], s[0:1], 0x8
	s_load_b64 s[22:23], s[0:1], 0x18
	s_wait_xcnt 0x0
	s_bfe_u32 s0, ttmp6, 0x4000c
	s_and_b32 s1, ttmp6, 15
	s_add_co_i32 s0, s0, 1
	s_getreg_b32 s2, hwreg(HW_REG_IB_STS2, 6, 4)
	s_mul_i32 s0, ttmp9, s0
	s_delay_alu instid0(SALU_CYCLE_1) | instskip(SKIP_2) | instid1(SALU_CYCLE_1)
	s_add_co_i32 s1, s1, s0
	s_cmp_eq_u32 s2, 0
	s_cselect_b32 s0, ttmp9, s1
	s_lshl_b32 s20, s0, 12
	s_mov_b32 s0, -1
	s_wait_kmcnt 0x0
	s_sub_co_i32 s24, s14, s20
	s_delay_alu instid0(SALU_CYCLE_1)
	s_cmp_gt_i32 s24, 0xfff
	s_cbranch_scc0 .LBB358_2
; %bb.1:
	s_ashr_i32 s21, s20, 31
	v_lshlrev_b32_e32 v1, 6, v0
	s_lshl_b64 s[0:1], s[20:21], 3
	s_cmp_eq_u32 s15, 0
	s_add_nc_u64 s[2:3], s[22:23], s[0:1]
	s_add_nc_u64 s[4:5], s[18:19], s[0:1]
	s_clause 0xc
	global_load_b128 v[2:5], v1, s[2:3]
	global_load_b128 v[6:9], v1, s[4:5]
	global_load_b128 v[10:13], v1, s[4:5] offset:16
	global_load_b128 v[14:17], v1, s[2:3] offset:16
	;; [unrolled: 1-line block ×11, first 2 shown]
	s_cselect_b32 s25, -1, 0
	s_wait_loadcnt 0xb
	v_cmp_ne_u64_e32 vcc_lo, v[6:7], v[2:3]
	v_cmp_ne_u64_e64 s0, v[8:9], v[4:5]
	s_clause 0x2
	global_load_b128 v[2:5], v1, s[4:5] offset:16416
	global_load_b128 v[6:9], v1, s[4:5] offset:16432
	;; [unrolled: 1-line block ×3, first 2 shown]
	s_wait_loadcnt 0xc
	v_cmp_ne_u64_e64 s1, v[10:11], v[14:15]
	s_wait_xcnt 0x0
	v_cmp_ne_u64_e64 s2, v[12:13], v[16:17]
	s_wait_loadcnt 0x9
	v_cmp_ne_u64_e64 s5, v[18:19], v[26:27]
	s_wait_loadcnt 0x8
	v_cmp_ne_u64_e64 s3, v[22:23], v[30:31]
	v_cmp_ne_u64_e64 s4, v[24:25], v[32:33]
	s_xor_b32 s0, s25, s0
	v_cmp_ne_u64_e64 s6, v[20:21], v[28:29]
	s_wait_loadcnt 0x4
	v_cmp_ne_u64_e64 s7, v[38:39], v[46:47]
	v_cmp_ne_u64_e64 s8, v[40:41], v[48:49]
	;; [unrolled: 1-line block ×4, first 2 shown]
	s_xor_b32 s26, s25, vcc_lo
	v_or3_b32 v1, 0, 0, 0
	s_wait_loadcnt 0x2
	v_cmp_ne_u64_e64 s11, v[2:3], v[50:51]
	v_cndmask_b32_e64 v3, 0, 0x100, s0
	s_xor_b32 s0, s25, s1
	v_cmp_ne_u64_e64 s12, v[4:5], v[52:53]
	v_cndmask_b32_e64 v4, 0, 0x10000, s0
	s_xor_b32 s0, s25, s2
	s_wait_loadcnt 0x0
	v_cmp_ne_u64_e64 s13, v[6:7], v[54:55]
	v_cndmask_b32_e64 v5, 0, 0x1000000, s0
	s_xor_b32 s0, s25, s3
	v_cmp_ne_u64_e64 s14, v[8:9], v[56:57]
	v_cndmask_b32_e64 v6, 0, 1, s0
	s_xor_b32 s0, s25, s4
	v_cndmask_b32_e64 v2, 0, 1, s26
	v_cndmask_b32_e64 v7, 0, 0x100, s0
	s_xor_b32 s0, s25, s5
	s_add_nc_u64 s[2:3], s[16:17], s[20:21]
	v_cndmask_b32_e64 v8, 0, 0x10000, s0
	s_xor_b32 s0, s25, s6
	v_or_b32_e32 v2, v3, v2
	v_cndmask_b32_e64 v9, 0, 0x1000000, s0
	s_xor_b32 s0, s25, s7
	s_delay_alu instid0(SALU_CYCLE_1)
	v_cndmask_b32_e64 v10, 0, 1, s0
	s_xor_b32 s0, s25, s8
	v_or3_b32 v2, v2, v4, v5
	v_cndmask_b32_e64 v11, 0, 0x100, s0
	s_xor_b32 s0, s25, s9
	v_or3_b32 v5, v1, v6, v7
	v_cndmask_b32_e64 v12, 0, 0x10000, s0
	s_xor_b32 s0, s25, s10
	v_or_b32_e32 v3, v11, v10
	v_cndmask_b32_e64 v13, 0, 0x1000000, s0
	s_xor_b32 s0, s25, s11
	v_or3_b32 v2, v2, 0, 0
	v_cndmask_b32_e64 v14, 0, 1, s0
	s_xor_b32 s0, s25, s12
	v_or3_b32 v3, v3, v12, v13
	;; [unrolled: 3-line block ×4, first 2 shown]
	v_cndmask_b32_e64 v4, 0, 0x1000000, s0
	v_or3_b32 v6, v3, 0, 0
	v_or3_b32 v3, v5, v8, v9
	s_mov_b32 s0, 0
	s_delay_alu instid0(VALU_DEP_3) | instskip(NEXT) | instid1(VALU_DEP_3)
	v_or3_b32 v5, v1, v11, v4
	v_or3_b32 v4, v6, 0, 0
	s_clause 0x1
	global_store_b64 v0, v[2:3], s[2:3] scale_offset
	global_store_b64 v0, v[4:5], s[2:3] offset:2048 scale_offset
.LBB358_2:
	s_and_not1_b32 vcc_lo, exec_lo, s0
	s_cbranch_vccnz .LBB358_52
; %bb.3:
	v_cmp_gt_i32_e32 vcc_lo, s24, v0
	s_wait_xcnt 0x1
	v_dual_mov_b32 v3, v0 :: v_dual_bitop2_b32 v1, s20, v0 bitop3:0x54
	v_or_b32_e32 v2, 0x100, v0
	s_mov_b32 s1, 0
	s_wait_xcnt 0x0
	s_mov_b32 s2, 0
	s_and_saveexec_b32 s3, vcc_lo
	s_cbranch_execz .LBB358_5
; %bb.4:
	s_clause 0x1
	global_load_b64 v[4:5], v1, s[18:19] scale_offset
	global_load_b64 v[6:7], v1, s[22:23] scale_offset
	v_or_b32_e32 v3, 0x100, v0
	s_wait_loadcnt 0x0
	v_cmp_ne_u64_e64 s0, v[4:5], v[6:7]
	s_and_b32 s2, s0, exec_lo
.LBB358_5:
	s_wait_xcnt 0x0
	s_or_b32 exec_lo, exec_lo, s3
	s_delay_alu instid0(SALU_CYCLE_1)
	s_mov_b32 s3, exec_lo
	v_cmpx_gt_i32_e64 s24, v3
	s_cbranch_execz .LBB358_7
; %bb.6:
	v_add_nc_u32_e32 v8, s20, v3
	v_add_nc_u32_e32 v3, 0x100, v3
	s_clause 0x1
	global_load_b64 v[4:5], v8, s[18:19] scale_offset
	global_load_b64 v[6:7], v8, s[22:23] scale_offset
	s_wait_loadcnt 0x0
	v_cmp_ne_u64_e64 s0, v[4:5], v[6:7]
	s_and_b32 s1, s0, exec_lo
.LBB358_7:
	s_wait_xcnt 0x0
	s_or_b32 exec_lo, exec_lo, s3
	s_mov_b32 s3, 0
	s_mov_b32 s5, 0
	s_mov_b32 s4, exec_lo
	v_cmpx_gt_i32_e64 s24, v3
	s_cbranch_execz .LBB358_9
; %bb.8:
	v_add_nc_u32_e32 v8, s20, v3
	v_add_nc_u32_e32 v3, 0x100, v3
	s_clause 0x1
	global_load_b64 v[4:5], v8, s[18:19] scale_offset
	global_load_b64 v[6:7], v8, s[22:23] scale_offset
	s_wait_loadcnt 0x0
	v_cmp_ne_u64_e64 s0, v[4:5], v[6:7]
	s_and_b32 s5, s0, exec_lo
.LBB358_9:
	s_wait_xcnt 0x0
	s_or_b32 exec_lo, exec_lo, s4
	s_delay_alu instid0(SALU_CYCLE_1)
	s_mov_b32 s4, exec_lo
	v_cmpx_gt_i32_e64 s24, v3
	s_cbranch_execz .LBB358_11
; %bb.10:
	v_add_nc_u32_e32 v8, s20, v3
	v_add_nc_u32_e32 v3, 0x100, v3
	s_clause 0x1
	global_load_b64 v[4:5], v8, s[18:19] scale_offset
	global_load_b64 v[6:7], v8, s[22:23] scale_offset
	s_wait_loadcnt 0x0
	v_cmp_ne_u64_e64 s0, v[4:5], v[6:7]
	s_and_b32 s3, s0, exec_lo
.LBB358_11:
	s_wait_xcnt 0x0
	s_or_b32 exec_lo, exec_lo, s4
	s_mov_b32 s4, 0
	s_mov_b32 s7, 0
	s_mov_b32 s6, exec_lo
	v_cmpx_gt_i32_e64 s24, v3
	s_cbranch_execz .LBB358_13
; %bb.12:
	v_add_nc_u32_e32 v8, s20, v3
	v_add_nc_u32_e32 v3, 0x100, v3
	s_clause 0x1
	global_load_b64 v[4:5], v8, s[18:19] scale_offset
	global_load_b64 v[6:7], v8, s[22:23] scale_offset
	s_wait_loadcnt 0x0
	v_cmp_ne_u64_e64 s0, v[4:5], v[6:7]
	s_and_b32 s7, s0, exec_lo
.LBB358_13:
	;; [unrolled: 33-line block ×7, first 2 shown]
	s_wait_xcnt 0x0
	s_or_b32 exec_lo, exec_lo, s26
	s_delay_alu instid0(SALU_CYCLE_1)
	s_mov_b32 s26, exec_lo
	v_cmpx_gt_i32_e64 s24, v3
	s_cbranch_execz .LBB358_35
; %bb.34:
	v_add_nc_u32_e32 v3, s20, v3
	s_clause 0x1
	global_load_b64 v[4:5], v3, s[18:19] scale_offset
	global_load_b64 v[6:7], v3, s[22:23] scale_offset
	s_wait_loadcnt 0x0
	v_cmp_ne_u64_e64 s0, v[4:5], v[6:7]
	s_and_b32 s14, s0, exec_lo
.LBB358_35:
	s_wait_xcnt 0x0
	s_or_b32 exec_lo, exec_lo, s26
	s_cmp_eq_u32 s15, 0
	s_cselect_b32 s0, -1, 0
	s_and_saveexec_b32 s15, vcc_lo
	s_cbranch_execnz .LBB358_53
; %bb.36:
	s_or_b32 exec_lo, exec_lo, s15
	s_delay_alu instid0(SALU_CYCLE_1)
	s_mov_b32 s2, exec_lo
	v_cmpx_gt_i32_e64 s24, v0
	s_cbranch_execnz .LBB358_54
.LBB358_37:
	s_or_b32 exec_lo, exec_lo, s2
	s_delay_alu instid0(SALU_CYCLE_1)
	s_mov_b32 s1, exec_lo
	v_cmpx_gt_i32_e64 s24, v0
	s_cbranch_execnz .LBB358_55
.LBB358_38:
	s_or_b32 exec_lo, exec_lo, s1
	s_delay_alu instid0(SALU_CYCLE_1)
	s_mov_b32 s1, exec_lo
	v_cmpx_gt_i32_e64 s24, v0
	s_cbranch_execnz .LBB358_56
.LBB358_39:
	s_or_b32 exec_lo, exec_lo, s1
	s_delay_alu instid0(SALU_CYCLE_1)
	s_mov_b32 s1, exec_lo
	v_cmpx_gt_i32_e64 s24, v0
	s_cbranch_execnz .LBB358_57
.LBB358_40:
	s_or_b32 exec_lo, exec_lo, s1
	s_delay_alu instid0(SALU_CYCLE_1)
	s_mov_b32 s1, exec_lo
	v_cmpx_gt_i32_e64 s24, v0
	s_cbranch_execnz .LBB358_58
.LBB358_41:
	s_or_b32 exec_lo, exec_lo, s1
	s_delay_alu instid0(SALU_CYCLE_1)
	s_mov_b32 s1, exec_lo
	v_cmpx_gt_i32_e64 s24, v0
	s_cbranch_execnz .LBB358_59
.LBB358_42:
	s_or_b32 exec_lo, exec_lo, s1
	s_delay_alu instid0(SALU_CYCLE_1)
	s_mov_b32 s1, exec_lo
	v_cmpx_gt_i32_e64 s24, v0
	s_cbranch_execnz .LBB358_60
.LBB358_43:
	s_or_b32 exec_lo, exec_lo, s1
	s_delay_alu instid0(SALU_CYCLE_1)
	s_mov_b32 s1, exec_lo
	v_cmpx_gt_i32_e64 s24, v0
	s_cbranch_execnz .LBB358_61
.LBB358_44:
	s_or_b32 exec_lo, exec_lo, s1
	s_delay_alu instid0(SALU_CYCLE_1)
	s_mov_b32 s1, exec_lo
	v_cmpx_gt_i32_e64 s24, v0
	s_cbranch_execnz .LBB358_62
.LBB358_45:
	s_or_b32 exec_lo, exec_lo, s1
	s_delay_alu instid0(SALU_CYCLE_1)
	s_mov_b32 s1, exec_lo
	v_cmpx_gt_i32_e64 s24, v0
	s_cbranch_execnz .LBB358_63
.LBB358_46:
	s_or_b32 exec_lo, exec_lo, s1
	s_delay_alu instid0(SALU_CYCLE_1)
	s_mov_b32 s1, exec_lo
	v_cmpx_gt_i32_e64 s24, v0
	s_cbranch_execnz .LBB358_64
.LBB358_47:
	s_or_b32 exec_lo, exec_lo, s1
	s_delay_alu instid0(SALU_CYCLE_1)
	s_mov_b32 s1, exec_lo
	v_cmpx_gt_i32_e64 s24, v0
	s_cbranch_execnz .LBB358_65
.LBB358_48:
	s_or_b32 exec_lo, exec_lo, s1
	s_delay_alu instid0(SALU_CYCLE_1)
	s_mov_b32 s1, exec_lo
	v_cmpx_gt_i32_e64 s24, v0
	s_cbranch_execnz .LBB358_66
.LBB358_49:
	s_or_b32 exec_lo, exec_lo, s1
	s_delay_alu instid0(SALU_CYCLE_1)
	s_mov_b32 s1, exec_lo
	v_cmpx_gt_i32_e64 s24, v0
	s_cbranch_execnz .LBB358_67
.LBB358_50:
	s_or_b32 exec_lo, exec_lo, s1
	s_delay_alu instid0(SALU_CYCLE_1)
	s_mov_b32 s1, exec_lo
	v_cmpx_gt_i32_e64 s24, v0
	s_cbranch_execz .LBB358_52
.LBB358_51:
	s_xor_b32 s0, s0, s14
	v_add_nc_u32_e32 v0, s20, v0
	v_cndmask_b32_e64 v1, 0, 1, s0
	global_store_b8 v0, v1, s[16:17]
.LBB358_52:
	s_endpgm
.LBB358_53:
	s_xor_b32 s2, s0, s2
	v_mov_b32_e32 v0, v2
	v_cndmask_b32_e64 v3, 0, 1, s2
	global_store_b8 v1, v3, s[16:17]
	s_wait_xcnt 0x0
	s_or_b32 exec_lo, exec_lo, s15
	s_delay_alu instid0(SALU_CYCLE_1)
	s_mov_b32 s2, exec_lo
	v_cmpx_gt_i32_e64 s24, v0
	s_cbranch_execz .LBB358_37
.LBB358_54:
	s_xor_b32 s1, s0, s1
	v_add_nc_u32_e32 v2, s20, v0
	v_cndmask_b32_e64 v1, 0, 1, s1
	v_add_nc_u32_e32 v0, 0x100, v0
	global_store_b8 v2, v1, s[16:17]
	s_wait_xcnt 0x0
	s_or_b32 exec_lo, exec_lo, s2
	s_delay_alu instid0(SALU_CYCLE_1)
	s_mov_b32 s1, exec_lo
	v_cmpx_gt_i32_e64 s24, v0
	s_cbranch_execz .LBB358_38
.LBB358_55:
	s_xor_b32 s2, s0, s5
	v_add_nc_u32_e32 v2, s20, v0
	v_cndmask_b32_e64 v1, 0, 1, s2
	v_add_nc_u32_e32 v0, 0x100, v0
	global_store_b8 v2, v1, s[16:17]
	s_wait_xcnt 0x0
	s_or_b32 exec_lo, exec_lo, s1
	s_delay_alu instid0(SALU_CYCLE_1)
	s_mov_b32 s1, exec_lo
	v_cmpx_gt_i32_e64 s24, v0
	s_cbranch_execz .LBB358_39
.LBB358_56:
	s_xor_b32 s2, s0, s3
	v_add_nc_u32_e32 v2, s20, v0
	v_cndmask_b32_e64 v1, 0, 1, s2
	v_add_nc_u32_e32 v0, 0x100, v0
	global_store_b8 v2, v1, s[16:17]
	s_wait_xcnt 0x0
	s_or_b32 exec_lo, exec_lo, s1
	s_delay_alu instid0(SALU_CYCLE_1)
	s_mov_b32 s1, exec_lo
	v_cmpx_gt_i32_e64 s24, v0
	s_cbranch_execz .LBB358_40
.LBB358_57:
	s_xor_b32 s2, s0, s7
	v_add_nc_u32_e32 v2, s20, v0
	v_cndmask_b32_e64 v1, 0, 1, s2
	v_add_nc_u32_e32 v0, 0x100, v0
	global_store_b8 v2, v1, s[16:17]
	s_wait_xcnt 0x0
	s_or_b32 exec_lo, exec_lo, s1
	s_delay_alu instid0(SALU_CYCLE_1)
	s_mov_b32 s1, exec_lo
	v_cmpx_gt_i32_e64 s24, v0
	s_cbranch_execz .LBB358_41
.LBB358_58:
	s_xor_b32 s2, s0, s4
	v_add_nc_u32_e32 v2, s20, v0
	v_cndmask_b32_e64 v1, 0, 1, s2
	v_add_nc_u32_e32 v0, 0x100, v0
	global_store_b8 v2, v1, s[16:17]
	s_wait_xcnt 0x0
	s_or_b32 exec_lo, exec_lo, s1
	s_delay_alu instid0(SALU_CYCLE_1)
	s_mov_b32 s1, exec_lo
	v_cmpx_gt_i32_e64 s24, v0
	s_cbranch_execz .LBB358_42
.LBB358_59:
	s_xor_b32 s2, s0, s9
	v_add_nc_u32_e32 v2, s20, v0
	v_cndmask_b32_e64 v1, 0, 1, s2
	v_add_nc_u32_e32 v0, 0x100, v0
	global_store_b8 v2, v1, s[16:17]
	s_wait_xcnt 0x0
	s_or_b32 exec_lo, exec_lo, s1
	s_delay_alu instid0(SALU_CYCLE_1)
	s_mov_b32 s1, exec_lo
	v_cmpx_gt_i32_e64 s24, v0
	s_cbranch_execz .LBB358_43
.LBB358_60:
	s_xor_b32 s2, s0, s6
	v_add_nc_u32_e32 v2, s20, v0
	v_cndmask_b32_e64 v1, 0, 1, s2
	v_add_nc_u32_e32 v0, 0x100, v0
	global_store_b8 v2, v1, s[16:17]
	s_wait_xcnt 0x0
	s_or_b32 exec_lo, exec_lo, s1
	s_delay_alu instid0(SALU_CYCLE_1)
	s_mov_b32 s1, exec_lo
	v_cmpx_gt_i32_e64 s24, v0
	s_cbranch_execz .LBB358_44
.LBB358_61:
	s_xor_b32 s2, s0, s11
	v_add_nc_u32_e32 v2, s20, v0
	v_cndmask_b32_e64 v1, 0, 1, s2
	v_add_nc_u32_e32 v0, 0x100, v0
	global_store_b8 v2, v1, s[16:17]
	s_wait_xcnt 0x0
	s_or_b32 exec_lo, exec_lo, s1
	s_delay_alu instid0(SALU_CYCLE_1)
	s_mov_b32 s1, exec_lo
	v_cmpx_gt_i32_e64 s24, v0
	s_cbranch_execz .LBB358_45
.LBB358_62:
	s_xor_b32 s2, s0, s8
	v_add_nc_u32_e32 v2, s20, v0
	v_cndmask_b32_e64 v1, 0, 1, s2
	v_add_nc_u32_e32 v0, 0x100, v0
	global_store_b8 v2, v1, s[16:17]
	s_wait_xcnt 0x0
	s_or_b32 exec_lo, exec_lo, s1
	s_delay_alu instid0(SALU_CYCLE_1)
	s_mov_b32 s1, exec_lo
	v_cmpx_gt_i32_e64 s24, v0
	s_cbranch_execz .LBB358_46
.LBB358_63:
	s_xor_b32 s2, s0, s13
	v_add_nc_u32_e32 v2, s20, v0
	v_cndmask_b32_e64 v1, 0, 1, s2
	v_add_nc_u32_e32 v0, 0x100, v0
	global_store_b8 v2, v1, s[16:17]
	s_wait_xcnt 0x0
	s_or_b32 exec_lo, exec_lo, s1
	s_delay_alu instid0(SALU_CYCLE_1)
	s_mov_b32 s1, exec_lo
	v_cmpx_gt_i32_e64 s24, v0
	s_cbranch_execz .LBB358_47
.LBB358_64:
	s_xor_b32 s2, s0, s10
	v_add_nc_u32_e32 v2, s20, v0
	v_cndmask_b32_e64 v1, 0, 1, s2
	v_add_nc_u32_e32 v0, 0x100, v0
	global_store_b8 v2, v1, s[16:17]
	s_wait_xcnt 0x0
	s_or_b32 exec_lo, exec_lo, s1
	s_delay_alu instid0(SALU_CYCLE_1)
	s_mov_b32 s1, exec_lo
	v_cmpx_gt_i32_e64 s24, v0
	s_cbranch_execz .LBB358_48
.LBB358_65:
	s_xor_b32 s2, s0, s21
	v_add_nc_u32_e32 v2, s20, v0
	v_cndmask_b32_e64 v1, 0, 1, s2
	v_add_nc_u32_e32 v0, 0x100, v0
	global_store_b8 v2, v1, s[16:17]
	s_wait_xcnt 0x0
	s_or_b32 exec_lo, exec_lo, s1
	s_delay_alu instid0(SALU_CYCLE_1)
	s_mov_b32 s1, exec_lo
	v_cmpx_gt_i32_e64 s24, v0
	s_cbranch_execz .LBB358_49
.LBB358_66:
	s_xor_b32 s2, s0, s12
	v_add_nc_u32_e32 v2, s20, v0
	v_cndmask_b32_e64 v1, 0, 1, s2
	v_add_nc_u32_e32 v0, 0x100, v0
	global_store_b8 v2, v1, s[16:17]
	s_wait_xcnt 0x0
	s_or_b32 exec_lo, exec_lo, s1
	s_delay_alu instid0(SALU_CYCLE_1)
	s_mov_b32 s1, exec_lo
	v_cmpx_gt_i32_e64 s24, v0
	s_cbranch_execz .LBB358_50
.LBB358_67:
	s_xor_b32 s2, s0, s25
	v_add_nc_u32_e32 v2, s20, v0
	v_cndmask_b32_e64 v1, 0, 1, s2
	v_add_nc_u32_e32 v0, 0x100, v0
	global_store_b8 v2, v1, s[16:17]
	s_wait_xcnt 0x0
	s_or_b32 exec_lo, exec_lo, s1
	s_delay_alu instid0(SALU_CYCLE_1)
	s_mov_b32 s1, exec_lo
	v_cmpx_gt_i32_e64 s24, v0
	s_cbranch_execnz .LBB358_51
	s_branch .LBB358_52
	.section	.rodata,"a",@progbits
	.p2align	6, 0x0
	.amdhsa_kernel _ZN2at6native29vectorized_elementwise_kernelILi8ENS0_13BinaryFunctorImmbNS0_12_GLOBAL__N_116CompareEqFunctorImEEEESt5arrayIPcLm3EEEEviT0_T1_
		.amdhsa_group_segment_fixed_size 0
		.amdhsa_private_segment_fixed_size 0
		.amdhsa_kernarg_size 32
		.amdhsa_user_sgpr_count 2
		.amdhsa_user_sgpr_dispatch_ptr 0
		.amdhsa_user_sgpr_queue_ptr 0
		.amdhsa_user_sgpr_kernarg_segment_ptr 1
		.amdhsa_user_sgpr_dispatch_id 0
		.amdhsa_user_sgpr_kernarg_preload_length 0
		.amdhsa_user_sgpr_kernarg_preload_offset 0
		.amdhsa_user_sgpr_private_segment_size 0
		.amdhsa_wavefront_size32 1
		.amdhsa_uses_dynamic_stack 0
		.amdhsa_enable_private_segment 0
		.amdhsa_system_sgpr_workgroup_id_x 1
		.amdhsa_system_sgpr_workgroup_id_y 0
		.amdhsa_system_sgpr_workgroup_id_z 0
		.amdhsa_system_sgpr_workgroup_info 0
		.amdhsa_system_vgpr_workitem_id 0
		.amdhsa_next_free_vgpr 58
		.amdhsa_next_free_sgpr 27
		.amdhsa_named_barrier_count 0
		.amdhsa_reserve_vcc 1
		.amdhsa_float_round_mode_32 0
		.amdhsa_float_round_mode_16_64 0
		.amdhsa_float_denorm_mode_32 3
		.amdhsa_float_denorm_mode_16_64 3
		.amdhsa_fp16_overflow 0
		.amdhsa_memory_ordered 1
		.amdhsa_forward_progress 1
		.amdhsa_inst_pref_size 29
		.amdhsa_round_robin_scheduling 0
		.amdhsa_exception_fp_ieee_invalid_op 0
		.amdhsa_exception_fp_denorm_src 0
		.amdhsa_exception_fp_ieee_div_zero 0
		.amdhsa_exception_fp_ieee_overflow 0
		.amdhsa_exception_fp_ieee_underflow 0
		.amdhsa_exception_fp_ieee_inexact 0
		.amdhsa_exception_int_div_zero 0
	.end_amdhsa_kernel
	.section	.text._ZN2at6native29vectorized_elementwise_kernelILi8ENS0_13BinaryFunctorImmbNS0_12_GLOBAL__N_116CompareEqFunctorImEEEESt5arrayIPcLm3EEEEviT0_T1_,"axG",@progbits,_ZN2at6native29vectorized_elementwise_kernelILi8ENS0_13BinaryFunctorImmbNS0_12_GLOBAL__N_116CompareEqFunctorImEEEESt5arrayIPcLm3EEEEviT0_T1_,comdat
.Lfunc_end358:
	.size	_ZN2at6native29vectorized_elementwise_kernelILi8ENS0_13BinaryFunctorImmbNS0_12_GLOBAL__N_116CompareEqFunctorImEEEESt5arrayIPcLm3EEEEviT0_T1_, .Lfunc_end358-_ZN2at6native29vectorized_elementwise_kernelILi8ENS0_13BinaryFunctorImmbNS0_12_GLOBAL__N_116CompareEqFunctorImEEEESt5arrayIPcLm3EEEEviT0_T1_
                                        ; -- End function
	.set _ZN2at6native29vectorized_elementwise_kernelILi8ENS0_13BinaryFunctorImmbNS0_12_GLOBAL__N_116CompareEqFunctorImEEEESt5arrayIPcLm3EEEEviT0_T1_.num_vgpr, 58
	.set _ZN2at6native29vectorized_elementwise_kernelILi8ENS0_13BinaryFunctorImmbNS0_12_GLOBAL__N_116CompareEqFunctorImEEEESt5arrayIPcLm3EEEEviT0_T1_.num_agpr, 0
	.set _ZN2at6native29vectorized_elementwise_kernelILi8ENS0_13BinaryFunctorImmbNS0_12_GLOBAL__N_116CompareEqFunctorImEEEESt5arrayIPcLm3EEEEviT0_T1_.numbered_sgpr, 27
	.set _ZN2at6native29vectorized_elementwise_kernelILi8ENS0_13BinaryFunctorImmbNS0_12_GLOBAL__N_116CompareEqFunctorImEEEESt5arrayIPcLm3EEEEviT0_T1_.num_named_barrier, 0
	.set _ZN2at6native29vectorized_elementwise_kernelILi8ENS0_13BinaryFunctorImmbNS0_12_GLOBAL__N_116CompareEqFunctorImEEEESt5arrayIPcLm3EEEEviT0_T1_.private_seg_size, 0
	.set _ZN2at6native29vectorized_elementwise_kernelILi8ENS0_13BinaryFunctorImmbNS0_12_GLOBAL__N_116CompareEqFunctorImEEEESt5arrayIPcLm3EEEEviT0_T1_.uses_vcc, 1
	.set _ZN2at6native29vectorized_elementwise_kernelILi8ENS0_13BinaryFunctorImmbNS0_12_GLOBAL__N_116CompareEqFunctorImEEEESt5arrayIPcLm3EEEEviT0_T1_.uses_flat_scratch, 0
	.set _ZN2at6native29vectorized_elementwise_kernelILi8ENS0_13BinaryFunctorImmbNS0_12_GLOBAL__N_116CompareEqFunctorImEEEESt5arrayIPcLm3EEEEviT0_T1_.has_dyn_sized_stack, 0
	.set _ZN2at6native29vectorized_elementwise_kernelILi8ENS0_13BinaryFunctorImmbNS0_12_GLOBAL__N_116CompareEqFunctorImEEEESt5arrayIPcLm3EEEEviT0_T1_.has_recursion, 0
	.set _ZN2at6native29vectorized_elementwise_kernelILi8ENS0_13BinaryFunctorImmbNS0_12_GLOBAL__N_116CompareEqFunctorImEEEESt5arrayIPcLm3EEEEviT0_T1_.has_indirect_call, 0
	.section	.AMDGPU.csdata,"",@progbits
; Kernel info:
; codeLenInByte = 3628
; TotalNumSgprs: 29
; NumVgprs: 58
; ScratchSize: 0
; MemoryBound: 1
; FloatMode: 240
; IeeeMode: 1
; LDSByteSize: 0 bytes/workgroup (compile time only)
; SGPRBlocks: 0
; VGPRBlocks: 3
; NumSGPRsForWavesPerEU: 29
; NumVGPRsForWavesPerEU: 58
; NamedBarCnt: 0
; Occupancy: 16
; WaveLimiterHint : 1
; COMPUTE_PGM_RSRC2:SCRATCH_EN: 0
; COMPUTE_PGM_RSRC2:USER_SGPR: 2
; COMPUTE_PGM_RSRC2:TRAP_HANDLER: 0
; COMPUTE_PGM_RSRC2:TGID_X_EN: 1
; COMPUTE_PGM_RSRC2:TGID_Y_EN: 0
; COMPUTE_PGM_RSRC2:TGID_Z_EN: 0
; COMPUTE_PGM_RSRC2:TIDIG_COMP_CNT: 0
	.section	.text._ZN2at6native29vectorized_elementwise_kernelILi4ENS0_13BinaryFunctorImmbNS0_12_GLOBAL__N_116CompareEqFunctorImEEEESt5arrayIPcLm3EEEEviT0_T1_,"axG",@progbits,_ZN2at6native29vectorized_elementwise_kernelILi4ENS0_13BinaryFunctorImmbNS0_12_GLOBAL__N_116CompareEqFunctorImEEEESt5arrayIPcLm3EEEEviT0_T1_,comdat
	.globl	_ZN2at6native29vectorized_elementwise_kernelILi4ENS0_13BinaryFunctorImmbNS0_12_GLOBAL__N_116CompareEqFunctorImEEEESt5arrayIPcLm3EEEEviT0_T1_ ; -- Begin function _ZN2at6native29vectorized_elementwise_kernelILi4ENS0_13BinaryFunctorImmbNS0_12_GLOBAL__N_116CompareEqFunctorImEEEESt5arrayIPcLm3EEEEviT0_T1_
	.p2align	8
	.type	_ZN2at6native29vectorized_elementwise_kernelILi4ENS0_13BinaryFunctorImmbNS0_12_GLOBAL__N_116CompareEqFunctorImEEEESt5arrayIPcLm3EEEEviT0_T1_,@function
_ZN2at6native29vectorized_elementwise_kernelILi4ENS0_13BinaryFunctorImmbNS0_12_GLOBAL__N_116CompareEqFunctorImEEEESt5arrayIPcLm3EEEEviT0_T1_: ; @_ZN2at6native29vectorized_elementwise_kernelILi4ENS0_13BinaryFunctorImmbNS0_12_GLOBAL__N_116CompareEqFunctorImEEEESt5arrayIPcLm3EEEEviT0_T1_
; %bb.0:
	s_clause 0x2
	s_load_b64 s[14:15], s[0:1], 0x0
	s_load_b128 s[16:19], s[0:1], 0x8
	s_load_b64 s[22:23], s[0:1], 0x18
	s_wait_xcnt 0x0
	s_bfe_u32 s0, ttmp6, 0x4000c
	s_and_b32 s1, ttmp6, 15
	s_add_co_i32 s0, s0, 1
	s_getreg_b32 s2, hwreg(HW_REG_IB_STS2, 6, 4)
	s_mul_i32 s0, ttmp9, s0
	s_delay_alu instid0(SALU_CYCLE_1) | instskip(SKIP_2) | instid1(SALU_CYCLE_1)
	s_add_co_i32 s1, s1, s0
	s_cmp_eq_u32 s2, 0
	s_cselect_b32 s0, ttmp9, s1
	s_lshl_b32 s20, s0, 12
	s_mov_b32 s0, -1
	s_wait_kmcnt 0x0
	s_sub_co_i32 s24, s14, s20
	s_delay_alu instid0(SALU_CYCLE_1)
	s_cmp_gt_i32 s24, 0xfff
	s_cbranch_scc0 .LBB359_2
; %bb.1:
	s_ashr_i32 s21, s20, 31
	v_lshlrev_b32_e32 v1, 5, v0
	s_lshl_b64 s[0:1], s[20:21], 3
	s_cmp_eq_u32 s15, 0
	s_add_nc_u64 s[2:3], s[22:23], s[0:1]
	s_add_nc_u64 s[4:5], s[18:19], s[0:1]
	s_clause 0xc
	global_load_b128 v[2:5], v1, s[2:3]
	global_load_b128 v[6:9], v1, s[4:5]
	global_load_b128 v[10:13], v1, s[4:5] offset:16
	global_load_b128 v[14:17], v1, s[2:3] offset:16
	;; [unrolled: 1-line block ×11, first 2 shown]
	s_cselect_b32 s25, -1, 0
	s_wait_loadcnt 0xb
	v_cmp_ne_u64_e32 vcc_lo, v[6:7], v[2:3]
	v_cmp_ne_u64_e64 s0, v[8:9], v[4:5]
	s_clause 0x2
	global_load_b128 v[2:5], v1, s[4:5] offset:24576
	global_load_b128 v[6:9], v1, s[4:5] offset:24592
	;; [unrolled: 1-line block ×3, first 2 shown]
	s_wait_loadcnt 0xc
	v_cmp_ne_u64_e64 s1, v[10:11], v[14:15]
	s_wait_xcnt 0x0
	v_cmp_ne_u64_e64 s2, v[12:13], v[16:17]
	s_wait_loadcnt 0x9
	v_cmp_ne_u64_e64 s5, v[18:19], v[26:27]
	s_wait_loadcnt 0x8
	v_cmp_ne_u64_e64 s3, v[22:23], v[30:31]
	v_cmp_ne_u64_e64 s4, v[24:25], v[32:33]
	s_xor_b32 s0, s25, s0
	v_cmp_ne_u64_e64 s6, v[20:21], v[28:29]
	s_wait_loadcnt 0x4
	v_cmp_ne_u64_e64 s7, v[38:39], v[46:47]
	v_cmp_ne_u64_e64 s8, v[40:41], v[48:49]
	v_cmp_ne_u64_e64 s9, v[34:35], v[42:43]
	v_cmp_ne_u64_e64 s10, v[36:37], v[44:45]
	s_xor_b32 s26, s25, vcc_lo
	s_delay_alu instid0(SALU_CYCLE_1)
	v_cndmask_b32_e64 v1, 0, 1, s26
	s_wait_loadcnt 0x2
	v_cmp_ne_u64_e64 s11, v[2:3], v[50:51]
	v_cndmask_b32_e64 v2, 0, 0x100, s0
	s_xor_b32 s0, s25, s1
	v_cmp_ne_u64_e64 s12, v[4:5], v[52:53]
	v_cndmask_b32_e64 v3, 0, 0x10000, s0
	s_xor_b32 s0, s25, s2
	s_wait_loadcnt 0x0
	v_cmp_ne_u64_e64 s13, v[6:7], v[54:55]
	v_cndmask_b32_e64 v4, 0, 0x1000000, s0
	s_xor_b32 s0, s25, s3
	v_cmp_ne_u64_e64 s14, v[8:9], v[56:57]
	v_cndmask_b32_e64 v5, 0, 1, s0
	s_xor_b32 s0, s25, s4
	v_or_b32_e32 v1, v2, v1
	v_cndmask_b32_e64 v6, 0, 0x100, s0
	s_xor_b32 s0, s25, s5
	s_add_nc_u64 s[2:3], s[16:17], s[20:21]
	v_cndmask_b32_e64 v7, 0, 0x10000, s0
	s_xor_b32 s0, s25, s6
	v_or_b32_e32 v2, v6, v5
	v_cndmask_b32_e64 v8, 0, 0x1000000, s0
	s_xor_b32 s0, s25, s7
	v_or3_b32 v1, v1, v3, v4
	v_cndmask_b32_e64 v9, 0, 1, s0
	s_xor_b32 s0, s25, s8
	v_or3_b32 v2, v2, v7, v8
	v_cndmask_b32_e64 v10, 0, 0x100, s0
	s_xor_b32 s0, s25, s9
	s_delay_alu instid0(SALU_CYCLE_1) | instskip(SKIP_1) | instid1(VALU_DEP_2)
	v_cndmask_b32_e64 v11, 0, 0x10000, s0
	s_xor_b32 s0, s25, s10
	v_or_b32_e32 v5, v10, v9
	v_cndmask_b32_e64 v12, 0, 0x1000000, s0
	s_xor_b32 s0, s25, s11
	s_delay_alu instid0(SALU_CYCLE_1) | instskip(SKIP_1) | instid1(VALU_DEP_2)
	v_cndmask_b32_e64 v13, 0, 1, s0
	s_xor_b32 s0, s25, s12
	v_or3_b32 v3, v5, v11, v12
	v_cndmask_b32_e64 v14, 0, 0x100, s0
	s_xor_b32 s0, s25, s13
	s_delay_alu instid0(SALU_CYCLE_1) | instskip(SKIP_1) | instid1(VALU_DEP_2)
	v_cndmask_b32_e64 v15, 0, 0x10000, s0
	s_xor_b32 s0, s25, s14
	v_or_b32_e32 v6, v14, v13
	v_cndmask_b32_e64 v16, 0, 0x1000000, s0
	s_mov_b32 s0, 0
	s_delay_alu instid0(VALU_DEP_1)
	v_or3_b32 v4, v6, v15, v16
	s_clause 0x3
	global_store_b32 v0, v1, s[2:3] scale_offset
	global_store_b32 v0, v2, s[2:3] offset:1024 scale_offset
	global_store_b32 v0, v3, s[2:3] offset:2048 scale_offset
	;; [unrolled: 1-line block ×3, first 2 shown]
.LBB359_2:
	s_and_not1_b32 vcc_lo, exec_lo, s0
	s_cbranch_vccnz .LBB359_52
; %bb.3:
	v_cmp_gt_i32_e32 vcc_lo, s24, v0
	s_wait_xcnt 0x1
	v_dual_mov_b32 v3, v0 :: v_dual_bitop2_b32 v1, s20, v0 bitop3:0x54
	v_or_b32_e32 v2, 0x100, v0
	s_mov_b32 s1, 0
	s_wait_xcnt 0x0
	s_mov_b32 s2, 0
	s_and_saveexec_b32 s3, vcc_lo
	s_cbranch_execz .LBB359_5
; %bb.4:
	s_clause 0x1
	global_load_b64 v[4:5], v1, s[18:19] scale_offset
	global_load_b64 v[6:7], v1, s[22:23] scale_offset
	v_or_b32_e32 v3, 0x100, v0
	s_wait_loadcnt 0x0
	v_cmp_ne_u64_e64 s0, v[4:5], v[6:7]
	s_and_b32 s2, s0, exec_lo
.LBB359_5:
	s_wait_xcnt 0x0
	s_or_b32 exec_lo, exec_lo, s3
	s_delay_alu instid0(SALU_CYCLE_1)
	s_mov_b32 s3, exec_lo
	v_cmpx_gt_i32_e64 s24, v3
	s_cbranch_execz .LBB359_7
; %bb.6:
	v_add_nc_u32_e32 v8, s20, v3
	v_add_nc_u32_e32 v3, 0x100, v3
	s_clause 0x1
	global_load_b64 v[4:5], v8, s[18:19] scale_offset
	global_load_b64 v[6:7], v8, s[22:23] scale_offset
	s_wait_loadcnt 0x0
	v_cmp_ne_u64_e64 s0, v[4:5], v[6:7]
	s_and_b32 s1, s0, exec_lo
.LBB359_7:
	s_wait_xcnt 0x0
	s_or_b32 exec_lo, exec_lo, s3
	s_mov_b32 s3, 0
	s_mov_b32 s5, 0
	s_mov_b32 s4, exec_lo
	v_cmpx_gt_i32_e64 s24, v3
	s_cbranch_execz .LBB359_9
; %bb.8:
	v_add_nc_u32_e32 v8, s20, v3
	v_add_nc_u32_e32 v3, 0x100, v3
	s_clause 0x1
	global_load_b64 v[4:5], v8, s[18:19] scale_offset
	global_load_b64 v[6:7], v8, s[22:23] scale_offset
	s_wait_loadcnt 0x0
	v_cmp_ne_u64_e64 s0, v[4:5], v[6:7]
	s_and_b32 s5, s0, exec_lo
.LBB359_9:
	s_wait_xcnt 0x0
	s_or_b32 exec_lo, exec_lo, s4
	s_delay_alu instid0(SALU_CYCLE_1)
	s_mov_b32 s4, exec_lo
	v_cmpx_gt_i32_e64 s24, v3
	s_cbranch_execz .LBB359_11
; %bb.10:
	v_add_nc_u32_e32 v8, s20, v3
	v_add_nc_u32_e32 v3, 0x100, v3
	s_clause 0x1
	global_load_b64 v[4:5], v8, s[18:19] scale_offset
	global_load_b64 v[6:7], v8, s[22:23] scale_offset
	s_wait_loadcnt 0x0
	v_cmp_ne_u64_e64 s0, v[4:5], v[6:7]
	s_and_b32 s3, s0, exec_lo
.LBB359_11:
	s_wait_xcnt 0x0
	s_or_b32 exec_lo, exec_lo, s4
	s_mov_b32 s4, 0
	s_mov_b32 s7, 0
	s_mov_b32 s6, exec_lo
	v_cmpx_gt_i32_e64 s24, v3
	s_cbranch_execz .LBB359_13
; %bb.12:
	v_add_nc_u32_e32 v8, s20, v3
	v_add_nc_u32_e32 v3, 0x100, v3
	s_clause 0x1
	global_load_b64 v[4:5], v8, s[18:19] scale_offset
	global_load_b64 v[6:7], v8, s[22:23] scale_offset
	s_wait_loadcnt 0x0
	v_cmp_ne_u64_e64 s0, v[4:5], v[6:7]
	s_and_b32 s7, s0, exec_lo
.LBB359_13:
	;; [unrolled: 33-line block ×7, first 2 shown]
	s_wait_xcnt 0x0
	s_or_b32 exec_lo, exec_lo, s26
	s_delay_alu instid0(SALU_CYCLE_1)
	s_mov_b32 s26, exec_lo
	v_cmpx_gt_i32_e64 s24, v3
	s_cbranch_execz .LBB359_35
; %bb.34:
	v_add_nc_u32_e32 v3, s20, v3
	s_clause 0x1
	global_load_b64 v[4:5], v3, s[18:19] scale_offset
	global_load_b64 v[6:7], v3, s[22:23] scale_offset
	s_wait_loadcnt 0x0
	v_cmp_ne_u64_e64 s0, v[4:5], v[6:7]
	s_and_b32 s14, s0, exec_lo
.LBB359_35:
	s_wait_xcnt 0x0
	s_or_b32 exec_lo, exec_lo, s26
	s_cmp_eq_u32 s15, 0
	s_cselect_b32 s0, -1, 0
	s_and_saveexec_b32 s15, vcc_lo
	s_cbranch_execnz .LBB359_53
; %bb.36:
	s_or_b32 exec_lo, exec_lo, s15
	s_delay_alu instid0(SALU_CYCLE_1)
	s_mov_b32 s2, exec_lo
	v_cmpx_gt_i32_e64 s24, v0
	s_cbranch_execnz .LBB359_54
.LBB359_37:
	s_or_b32 exec_lo, exec_lo, s2
	s_delay_alu instid0(SALU_CYCLE_1)
	s_mov_b32 s1, exec_lo
	v_cmpx_gt_i32_e64 s24, v0
	s_cbranch_execnz .LBB359_55
.LBB359_38:
	s_or_b32 exec_lo, exec_lo, s1
	s_delay_alu instid0(SALU_CYCLE_1)
	s_mov_b32 s1, exec_lo
	v_cmpx_gt_i32_e64 s24, v0
	s_cbranch_execnz .LBB359_56
.LBB359_39:
	s_or_b32 exec_lo, exec_lo, s1
	s_delay_alu instid0(SALU_CYCLE_1)
	s_mov_b32 s1, exec_lo
	v_cmpx_gt_i32_e64 s24, v0
	s_cbranch_execnz .LBB359_57
.LBB359_40:
	s_or_b32 exec_lo, exec_lo, s1
	s_delay_alu instid0(SALU_CYCLE_1)
	s_mov_b32 s1, exec_lo
	v_cmpx_gt_i32_e64 s24, v0
	s_cbranch_execnz .LBB359_58
.LBB359_41:
	s_or_b32 exec_lo, exec_lo, s1
	s_delay_alu instid0(SALU_CYCLE_1)
	s_mov_b32 s1, exec_lo
	v_cmpx_gt_i32_e64 s24, v0
	s_cbranch_execnz .LBB359_59
.LBB359_42:
	s_or_b32 exec_lo, exec_lo, s1
	s_delay_alu instid0(SALU_CYCLE_1)
	s_mov_b32 s1, exec_lo
	v_cmpx_gt_i32_e64 s24, v0
	s_cbranch_execnz .LBB359_60
.LBB359_43:
	s_or_b32 exec_lo, exec_lo, s1
	s_delay_alu instid0(SALU_CYCLE_1)
	s_mov_b32 s1, exec_lo
	v_cmpx_gt_i32_e64 s24, v0
	s_cbranch_execnz .LBB359_61
.LBB359_44:
	s_or_b32 exec_lo, exec_lo, s1
	s_delay_alu instid0(SALU_CYCLE_1)
	s_mov_b32 s1, exec_lo
	v_cmpx_gt_i32_e64 s24, v0
	s_cbranch_execnz .LBB359_62
.LBB359_45:
	s_or_b32 exec_lo, exec_lo, s1
	s_delay_alu instid0(SALU_CYCLE_1)
	s_mov_b32 s1, exec_lo
	v_cmpx_gt_i32_e64 s24, v0
	s_cbranch_execnz .LBB359_63
.LBB359_46:
	s_or_b32 exec_lo, exec_lo, s1
	s_delay_alu instid0(SALU_CYCLE_1)
	s_mov_b32 s1, exec_lo
	v_cmpx_gt_i32_e64 s24, v0
	s_cbranch_execnz .LBB359_64
.LBB359_47:
	s_or_b32 exec_lo, exec_lo, s1
	s_delay_alu instid0(SALU_CYCLE_1)
	s_mov_b32 s1, exec_lo
	v_cmpx_gt_i32_e64 s24, v0
	s_cbranch_execnz .LBB359_65
.LBB359_48:
	s_or_b32 exec_lo, exec_lo, s1
	s_delay_alu instid0(SALU_CYCLE_1)
	s_mov_b32 s1, exec_lo
	v_cmpx_gt_i32_e64 s24, v0
	s_cbranch_execnz .LBB359_66
.LBB359_49:
	s_or_b32 exec_lo, exec_lo, s1
	s_delay_alu instid0(SALU_CYCLE_1)
	s_mov_b32 s1, exec_lo
	v_cmpx_gt_i32_e64 s24, v0
	s_cbranch_execnz .LBB359_67
.LBB359_50:
	s_or_b32 exec_lo, exec_lo, s1
	s_delay_alu instid0(SALU_CYCLE_1)
	s_mov_b32 s1, exec_lo
	v_cmpx_gt_i32_e64 s24, v0
	s_cbranch_execz .LBB359_52
.LBB359_51:
	s_xor_b32 s0, s0, s14
	v_add_nc_u32_e32 v0, s20, v0
	v_cndmask_b32_e64 v1, 0, 1, s0
	global_store_b8 v0, v1, s[16:17]
.LBB359_52:
	s_endpgm
.LBB359_53:
	s_xor_b32 s2, s0, s2
	v_mov_b32_e32 v0, v2
	v_cndmask_b32_e64 v3, 0, 1, s2
	global_store_b8 v1, v3, s[16:17]
	s_wait_xcnt 0x0
	s_or_b32 exec_lo, exec_lo, s15
	s_delay_alu instid0(SALU_CYCLE_1)
	s_mov_b32 s2, exec_lo
	v_cmpx_gt_i32_e64 s24, v0
	s_cbranch_execz .LBB359_37
.LBB359_54:
	s_xor_b32 s1, s0, s1
	v_add_nc_u32_e32 v2, s20, v0
	v_cndmask_b32_e64 v1, 0, 1, s1
	v_add_nc_u32_e32 v0, 0x100, v0
	global_store_b8 v2, v1, s[16:17]
	s_wait_xcnt 0x0
	s_or_b32 exec_lo, exec_lo, s2
	s_delay_alu instid0(SALU_CYCLE_1)
	s_mov_b32 s1, exec_lo
	v_cmpx_gt_i32_e64 s24, v0
	s_cbranch_execz .LBB359_38
.LBB359_55:
	s_xor_b32 s2, s0, s5
	v_add_nc_u32_e32 v2, s20, v0
	v_cndmask_b32_e64 v1, 0, 1, s2
	v_add_nc_u32_e32 v0, 0x100, v0
	global_store_b8 v2, v1, s[16:17]
	s_wait_xcnt 0x0
	s_or_b32 exec_lo, exec_lo, s1
	s_delay_alu instid0(SALU_CYCLE_1)
	s_mov_b32 s1, exec_lo
	v_cmpx_gt_i32_e64 s24, v0
	s_cbranch_execz .LBB359_39
.LBB359_56:
	s_xor_b32 s2, s0, s3
	v_add_nc_u32_e32 v2, s20, v0
	v_cndmask_b32_e64 v1, 0, 1, s2
	v_add_nc_u32_e32 v0, 0x100, v0
	global_store_b8 v2, v1, s[16:17]
	s_wait_xcnt 0x0
	s_or_b32 exec_lo, exec_lo, s1
	s_delay_alu instid0(SALU_CYCLE_1)
	s_mov_b32 s1, exec_lo
	v_cmpx_gt_i32_e64 s24, v0
	s_cbranch_execz .LBB359_40
.LBB359_57:
	s_xor_b32 s2, s0, s7
	v_add_nc_u32_e32 v2, s20, v0
	v_cndmask_b32_e64 v1, 0, 1, s2
	v_add_nc_u32_e32 v0, 0x100, v0
	global_store_b8 v2, v1, s[16:17]
	s_wait_xcnt 0x0
	s_or_b32 exec_lo, exec_lo, s1
	s_delay_alu instid0(SALU_CYCLE_1)
	s_mov_b32 s1, exec_lo
	v_cmpx_gt_i32_e64 s24, v0
	s_cbranch_execz .LBB359_41
.LBB359_58:
	s_xor_b32 s2, s0, s4
	v_add_nc_u32_e32 v2, s20, v0
	v_cndmask_b32_e64 v1, 0, 1, s2
	v_add_nc_u32_e32 v0, 0x100, v0
	global_store_b8 v2, v1, s[16:17]
	s_wait_xcnt 0x0
	s_or_b32 exec_lo, exec_lo, s1
	s_delay_alu instid0(SALU_CYCLE_1)
	s_mov_b32 s1, exec_lo
	v_cmpx_gt_i32_e64 s24, v0
	s_cbranch_execz .LBB359_42
.LBB359_59:
	s_xor_b32 s2, s0, s9
	v_add_nc_u32_e32 v2, s20, v0
	v_cndmask_b32_e64 v1, 0, 1, s2
	v_add_nc_u32_e32 v0, 0x100, v0
	global_store_b8 v2, v1, s[16:17]
	s_wait_xcnt 0x0
	s_or_b32 exec_lo, exec_lo, s1
	s_delay_alu instid0(SALU_CYCLE_1)
	s_mov_b32 s1, exec_lo
	v_cmpx_gt_i32_e64 s24, v0
	s_cbranch_execz .LBB359_43
.LBB359_60:
	s_xor_b32 s2, s0, s6
	v_add_nc_u32_e32 v2, s20, v0
	v_cndmask_b32_e64 v1, 0, 1, s2
	v_add_nc_u32_e32 v0, 0x100, v0
	global_store_b8 v2, v1, s[16:17]
	s_wait_xcnt 0x0
	s_or_b32 exec_lo, exec_lo, s1
	s_delay_alu instid0(SALU_CYCLE_1)
	s_mov_b32 s1, exec_lo
	v_cmpx_gt_i32_e64 s24, v0
	s_cbranch_execz .LBB359_44
.LBB359_61:
	s_xor_b32 s2, s0, s11
	v_add_nc_u32_e32 v2, s20, v0
	v_cndmask_b32_e64 v1, 0, 1, s2
	v_add_nc_u32_e32 v0, 0x100, v0
	global_store_b8 v2, v1, s[16:17]
	s_wait_xcnt 0x0
	s_or_b32 exec_lo, exec_lo, s1
	s_delay_alu instid0(SALU_CYCLE_1)
	s_mov_b32 s1, exec_lo
	v_cmpx_gt_i32_e64 s24, v0
	s_cbranch_execz .LBB359_45
.LBB359_62:
	s_xor_b32 s2, s0, s8
	v_add_nc_u32_e32 v2, s20, v0
	v_cndmask_b32_e64 v1, 0, 1, s2
	v_add_nc_u32_e32 v0, 0x100, v0
	global_store_b8 v2, v1, s[16:17]
	s_wait_xcnt 0x0
	s_or_b32 exec_lo, exec_lo, s1
	s_delay_alu instid0(SALU_CYCLE_1)
	s_mov_b32 s1, exec_lo
	v_cmpx_gt_i32_e64 s24, v0
	s_cbranch_execz .LBB359_46
.LBB359_63:
	s_xor_b32 s2, s0, s13
	v_add_nc_u32_e32 v2, s20, v0
	v_cndmask_b32_e64 v1, 0, 1, s2
	v_add_nc_u32_e32 v0, 0x100, v0
	global_store_b8 v2, v1, s[16:17]
	s_wait_xcnt 0x0
	s_or_b32 exec_lo, exec_lo, s1
	s_delay_alu instid0(SALU_CYCLE_1)
	s_mov_b32 s1, exec_lo
	v_cmpx_gt_i32_e64 s24, v0
	s_cbranch_execz .LBB359_47
.LBB359_64:
	s_xor_b32 s2, s0, s10
	v_add_nc_u32_e32 v2, s20, v0
	v_cndmask_b32_e64 v1, 0, 1, s2
	v_add_nc_u32_e32 v0, 0x100, v0
	global_store_b8 v2, v1, s[16:17]
	s_wait_xcnt 0x0
	s_or_b32 exec_lo, exec_lo, s1
	s_delay_alu instid0(SALU_CYCLE_1)
	s_mov_b32 s1, exec_lo
	v_cmpx_gt_i32_e64 s24, v0
	s_cbranch_execz .LBB359_48
.LBB359_65:
	s_xor_b32 s2, s0, s21
	v_add_nc_u32_e32 v2, s20, v0
	v_cndmask_b32_e64 v1, 0, 1, s2
	v_add_nc_u32_e32 v0, 0x100, v0
	global_store_b8 v2, v1, s[16:17]
	s_wait_xcnt 0x0
	s_or_b32 exec_lo, exec_lo, s1
	s_delay_alu instid0(SALU_CYCLE_1)
	s_mov_b32 s1, exec_lo
	v_cmpx_gt_i32_e64 s24, v0
	s_cbranch_execz .LBB359_49
.LBB359_66:
	s_xor_b32 s2, s0, s12
	v_add_nc_u32_e32 v2, s20, v0
	v_cndmask_b32_e64 v1, 0, 1, s2
	v_add_nc_u32_e32 v0, 0x100, v0
	global_store_b8 v2, v1, s[16:17]
	s_wait_xcnt 0x0
	s_or_b32 exec_lo, exec_lo, s1
	s_delay_alu instid0(SALU_CYCLE_1)
	s_mov_b32 s1, exec_lo
	v_cmpx_gt_i32_e64 s24, v0
	s_cbranch_execz .LBB359_50
.LBB359_67:
	s_xor_b32 s2, s0, s25
	v_add_nc_u32_e32 v2, s20, v0
	v_cndmask_b32_e64 v1, 0, 1, s2
	v_add_nc_u32_e32 v0, 0x100, v0
	global_store_b8 v2, v1, s[16:17]
	s_wait_xcnt 0x0
	s_or_b32 exec_lo, exec_lo, s1
	s_delay_alu instid0(SALU_CYCLE_1)
	s_mov_b32 s1, exec_lo
	v_cmpx_gt_i32_e64 s24, v0
	s_cbranch_execnz .LBB359_51
	s_branch .LBB359_52
	.section	.rodata,"a",@progbits
	.p2align	6, 0x0
	.amdhsa_kernel _ZN2at6native29vectorized_elementwise_kernelILi4ENS0_13BinaryFunctorImmbNS0_12_GLOBAL__N_116CompareEqFunctorImEEEESt5arrayIPcLm3EEEEviT0_T1_
		.amdhsa_group_segment_fixed_size 0
		.amdhsa_private_segment_fixed_size 0
		.amdhsa_kernarg_size 32
		.amdhsa_user_sgpr_count 2
		.amdhsa_user_sgpr_dispatch_ptr 0
		.amdhsa_user_sgpr_queue_ptr 0
		.amdhsa_user_sgpr_kernarg_segment_ptr 1
		.amdhsa_user_sgpr_dispatch_id 0
		.amdhsa_user_sgpr_kernarg_preload_length 0
		.amdhsa_user_sgpr_kernarg_preload_offset 0
		.amdhsa_user_sgpr_private_segment_size 0
		.amdhsa_wavefront_size32 1
		.amdhsa_uses_dynamic_stack 0
		.amdhsa_enable_private_segment 0
		.amdhsa_system_sgpr_workgroup_id_x 1
		.amdhsa_system_sgpr_workgroup_id_y 0
		.amdhsa_system_sgpr_workgroup_id_z 0
		.amdhsa_system_sgpr_workgroup_info 0
		.amdhsa_system_vgpr_workitem_id 0
		.amdhsa_next_free_vgpr 58
		.amdhsa_next_free_sgpr 27
		.amdhsa_named_barrier_count 0
		.amdhsa_reserve_vcc 1
		.amdhsa_float_round_mode_32 0
		.amdhsa_float_round_mode_16_64 0
		.amdhsa_float_denorm_mode_32 3
		.amdhsa_float_denorm_mode_16_64 3
		.amdhsa_fp16_overflow 0
		.amdhsa_memory_ordered 1
		.amdhsa_forward_progress 1
		.amdhsa_inst_pref_size 29
		.amdhsa_round_robin_scheduling 0
		.amdhsa_exception_fp_ieee_invalid_op 0
		.amdhsa_exception_fp_denorm_src 0
		.amdhsa_exception_fp_ieee_div_zero 0
		.amdhsa_exception_fp_ieee_overflow 0
		.amdhsa_exception_fp_ieee_underflow 0
		.amdhsa_exception_fp_ieee_inexact 0
		.amdhsa_exception_int_div_zero 0
	.end_amdhsa_kernel
	.section	.text._ZN2at6native29vectorized_elementwise_kernelILi4ENS0_13BinaryFunctorImmbNS0_12_GLOBAL__N_116CompareEqFunctorImEEEESt5arrayIPcLm3EEEEviT0_T1_,"axG",@progbits,_ZN2at6native29vectorized_elementwise_kernelILi4ENS0_13BinaryFunctorImmbNS0_12_GLOBAL__N_116CompareEqFunctorImEEEESt5arrayIPcLm3EEEEviT0_T1_,comdat
.Lfunc_end359:
	.size	_ZN2at6native29vectorized_elementwise_kernelILi4ENS0_13BinaryFunctorImmbNS0_12_GLOBAL__N_116CompareEqFunctorImEEEESt5arrayIPcLm3EEEEviT0_T1_, .Lfunc_end359-_ZN2at6native29vectorized_elementwise_kernelILi4ENS0_13BinaryFunctorImmbNS0_12_GLOBAL__N_116CompareEqFunctorImEEEESt5arrayIPcLm3EEEEviT0_T1_
                                        ; -- End function
	.set _ZN2at6native29vectorized_elementwise_kernelILi4ENS0_13BinaryFunctorImmbNS0_12_GLOBAL__N_116CompareEqFunctorImEEEESt5arrayIPcLm3EEEEviT0_T1_.num_vgpr, 58
	.set _ZN2at6native29vectorized_elementwise_kernelILi4ENS0_13BinaryFunctorImmbNS0_12_GLOBAL__N_116CompareEqFunctorImEEEESt5arrayIPcLm3EEEEviT0_T1_.num_agpr, 0
	.set _ZN2at6native29vectorized_elementwise_kernelILi4ENS0_13BinaryFunctorImmbNS0_12_GLOBAL__N_116CompareEqFunctorImEEEESt5arrayIPcLm3EEEEviT0_T1_.numbered_sgpr, 27
	.set _ZN2at6native29vectorized_elementwise_kernelILi4ENS0_13BinaryFunctorImmbNS0_12_GLOBAL__N_116CompareEqFunctorImEEEESt5arrayIPcLm3EEEEviT0_T1_.num_named_barrier, 0
	.set _ZN2at6native29vectorized_elementwise_kernelILi4ENS0_13BinaryFunctorImmbNS0_12_GLOBAL__N_116CompareEqFunctorImEEEESt5arrayIPcLm3EEEEviT0_T1_.private_seg_size, 0
	.set _ZN2at6native29vectorized_elementwise_kernelILi4ENS0_13BinaryFunctorImmbNS0_12_GLOBAL__N_116CompareEqFunctorImEEEESt5arrayIPcLm3EEEEviT0_T1_.uses_vcc, 1
	.set _ZN2at6native29vectorized_elementwise_kernelILi4ENS0_13BinaryFunctorImmbNS0_12_GLOBAL__N_116CompareEqFunctorImEEEESt5arrayIPcLm3EEEEviT0_T1_.uses_flat_scratch, 0
	.set _ZN2at6native29vectorized_elementwise_kernelILi4ENS0_13BinaryFunctorImmbNS0_12_GLOBAL__N_116CompareEqFunctorImEEEESt5arrayIPcLm3EEEEviT0_T1_.has_dyn_sized_stack, 0
	.set _ZN2at6native29vectorized_elementwise_kernelILi4ENS0_13BinaryFunctorImmbNS0_12_GLOBAL__N_116CompareEqFunctorImEEEESt5arrayIPcLm3EEEEviT0_T1_.has_recursion, 0
	.set _ZN2at6native29vectorized_elementwise_kernelILi4ENS0_13BinaryFunctorImmbNS0_12_GLOBAL__N_116CompareEqFunctorImEEEESt5arrayIPcLm3EEEEviT0_T1_.has_indirect_call, 0
	.section	.AMDGPU.csdata,"",@progbits
; Kernel info:
; codeLenInByte = 3616
; TotalNumSgprs: 29
; NumVgprs: 58
; ScratchSize: 0
; MemoryBound: 0
; FloatMode: 240
; IeeeMode: 1
; LDSByteSize: 0 bytes/workgroup (compile time only)
; SGPRBlocks: 0
; VGPRBlocks: 3
; NumSGPRsForWavesPerEU: 29
; NumVGPRsForWavesPerEU: 58
; NamedBarCnt: 0
; Occupancy: 16
; WaveLimiterHint : 1
; COMPUTE_PGM_RSRC2:SCRATCH_EN: 0
; COMPUTE_PGM_RSRC2:USER_SGPR: 2
; COMPUTE_PGM_RSRC2:TRAP_HANDLER: 0
; COMPUTE_PGM_RSRC2:TGID_X_EN: 1
; COMPUTE_PGM_RSRC2:TGID_Y_EN: 0
; COMPUTE_PGM_RSRC2:TGID_Z_EN: 0
; COMPUTE_PGM_RSRC2:TIDIG_COMP_CNT: 0
	.section	.text._ZN2at6native29vectorized_elementwise_kernelILi2ENS0_13BinaryFunctorImmbNS0_12_GLOBAL__N_116CompareEqFunctorImEEEESt5arrayIPcLm3EEEEviT0_T1_,"axG",@progbits,_ZN2at6native29vectorized_elementwise_kernelILi2ENS0_13BinaryFunctorImmbNS0_12_GLOBAL__N_116CompareEqFunctorImEEEESt5arrayIPcLm3EEEEviT0_T1_,comdat
	.globl	_ZN2at6native29vectorized_elementwise_kernelILi2ENS0_13BinaryFunctorImmbNS0_12_GLOBAL__N_116CompareEqFunctorImEEEESt5arrayIPcLm3EEEEviT0_T1_ ; -- Begin function _ZN2at6native29vectorized_elementwise_kernelILi2ENS0_13BinaryFunctorImmbNS0_12_GLOBAL__N_116CompareEqFunctorImEEEESt5arrayIPcLm3EEEEviT0_T1_
	.p2align	8
	.type	_ZN2at6native29vectorized_elementwise_kernelILi2ENS0_13BinaryFunctorImmbNS0_12_GLOBAL__N_116CompareEqFunctorImEEEESt5arrayIPcLm3EEEEviT0_T1_,@function
_ZN2at6native29vectorized_elementwise_kernelILi2ENS0_13BinaryFunctorImmbNS0_12_GLOBAL__N_116CompareEqFunctorImEEEESt5arrayIPcLm3EEEEviT0_T1_: ; @_ZN2at6native29vectorized_elementwise_kernelILi2ENS0_13BinaryFunctorImmbNS0_12_GLOBAL__N_116CompareEqFunctorImEEEESt5arrayIPcLm3EEEEviT0_T1_
; %bb.0:
	s_clause 0x2
	s_load_b64 s[14:15], s[0:1], 0x0
	s_load_b128 s[16:19], s[0:1], 0x8
	s_load_b64 s[22:23], s[0:1], 0x18
	s_wait_xcnt 0x0
	s_bfe_u32 s0, ttmp6, 0x4000c
	s_and_b32 s1, ttmp6, 15
	s_add_co_i32 s0, s0, 1
	s_getreg_b32 s2, hwreg(HW_REG_IB_STS2, 6, 4)
	s_mul_i32 s0, ttmp9, s0
	s_mov_b32 s25, -1
	s_add_co_i32 s1, s1, s0
	s_cmp_eq_u32 s2, 0
	s_cselect_b32 s0, ttmp9, s1
	s_delay_alu instid0(SALU_CYCLE_1) | instskip(SKIP_2) | instid1(SALU_CYCLE_1)
	s_lshl_b32 s20, s0, 12
	s_wait_kmcnt 0x0
	s_sub_co_i32 s24, s14, s20
	s_cmp_gt_i32 s24, 0xfff
	s_cbranch_scc0 .LBB360_2
; %bb.1:
	s_ashr_i32 s21, s20, 31
	s_mov_b32 s25, 0
	s_lshl_b64 s[0:1], s[20:21], 3
	s_cmp_eq_u32 s15, 0
	s_add_nc_u64 s[2:3], s[22:23], s[0:1]
	s_add_nc_u64 s[4:5], s[18:19], s[0:1]
	s_clause 0xc
	global_load_b128 v[2:5], v0, s[2:3] scale_offset
	global_load_b128 v[6:9], v0, s[4:5] scale_offset
	global_load_b128 v[10:13], v0, s[4:5] offset:4096 scale_offset
	global_load_b128 v[14:17], v0, s[4:5] offset:8192 scale_offset
	;; [unrolled: 1-line block ×11, first 2 shown]
	s_add_nc_u64 s[26:27], s[16:17], s[20:21]
	s_cselect_b32 s21, -1, 0
	s_wait_loadcnt 0xb
	v_cmp_ne_u64_e32 vcc_lo, v[6:7], v[2:3]
	v_cmp_ne_u64_e64 s0, v[8:9], v[4:5]
	s_clause 0x2
	global_load_b128 v[2:5], v0, s[4:5] offset:24576 scale_offset
	global_load_b128 v[6:9], v0, s[4:5] offset:28672 scale_offset
	;; [unrolled: 1-line block ×3, first 2 shown]
	s_wait_loadcnt 0xa
	v_cmp_ne_u64_e64 s1, v[10:11], v[22:23]
	s_wait_xcnt 0x0
	v_cmp_ne_u64_e64 s2, v[12:13], v[24:25]
	s_wait_loadcnt 0x9
	v_cmp_ne_u64_e64 s3, v[14:15], v[26:27]
	v_cmp_ne_u64_e64 s4, v[16:17], v[28:29]
	s_xor_b32 s0, s21, s0
	s_wait_loadcnt 0x6
	v_cmp_ne_u64_e64 s5, v[18:19], v[38:39]
	v_cmp_ne_u64_e64 s6, v[20:21], v[40:41]
	s_wait_loadcnt 0x5
	v_cmp_ne_u64_e64 s7, v[30:31], v[42:43]
	v_cmp_ne_u64_e64 s8, v[32:33], v[44:45]
	;; [unrolled: 3-line block ×3, first 2 shown]
	s_xor_b32 s28, s21, vcc_lo
	s_delay_alu instid0(SALU_CYCLE_1)
	v_cndmask_b32_e64 v1, 0, 1, s28
	s_wait_loadcnt 0x2
	v_cmp_ne_u64_e64 s11, v[2:3], v[50:51]
	v_cndmask_b32_e64 v2, 0, 0x100, s0
	s_xor_b32 s0, s21, s1
	v_cmp_ne_u64_e64 s12, v[4:5], v[52:53]
	v_cndmask_b32_e64 v3, 0, 1, s0
	s_xor_b32 s0, s21, s2
	s_wait_loadcnt 0x0
	v_cmp_ne_u64_e64 s13, v[6:7], v[54:55]
	v_cndmask_b32_e64 v4, 0, 0x100, s0
	s_xor_b32 s0, s21, s3
	v_cmp_ne_u64_e64 s14, v[8:9], v[56:57]
	v_cndmask_b32_e64 v5, 0, 1, s0
	s_xor_b32 s0, s21, s4
	v_or_b32_e32 v1, v2, v1
	v_cndmask_b32_e64 v6, 0, 0x100, s0
	s_xor_b32 s0, s21, s5
	v_or_b32_e32 v2, v4, v3
	;; [unrolled: 3-line block ×3, first 2 shown]
	v_cndmask_b32_e64 v8, 0, 0x100, s0
	s_xor_b32 s0, s21, s7
	s_delay_alu instid0(SALU_CYCLE_1) | instskip(SKIP_1) | instid1(VALU_DEP_2)
	v_cndmask_b32_e64 v9, 0, 1, s0
	s_xor_b32 s0, s21, s8
	v_or_b32_e32 v4, v8, v7
	v_cndmask_b32_e64 v10, 0, 0x100, s0
	s_xor_b32 s0, s21, s9
	s_delay_alu instid0(SALU_CYCLE_1) | instskip(SKIP_1) | instid1(VALU_DEP_2)
	v_cndmask_b32_e64 v11, 0, 1, s0
	s_xor_b32 s0, s21, s10
	v_or_b32_e32 v5, v10, v9
	;; [unrolled: 6-line block ×4, first 2 shown]
	v_cndmask_b32_e64 v16, 0, 0x100, s0
	s_delay_alu instid0(VALU_DEP_1)
	v_or_b32_e32 v8, v16, v15
	s_clause 0x7
	global_store_b16 v0, v1, s[26:27] scale_offset
	global_store_b16 v0, v2, s[26:27] offset:512 scale_offset
	global_store_b16 v0, v3, s[26:27] offset:1024 scale_offset
	;; [unrolled: 1-line block ×7, first 2 shown]
.LBB360_2:
	s_and_not1_b32 vcc_lo, exec_lo, s25
	s_cbranch_vccnz .LBB360_52
; %bb.3:
	v_cmp_gt_i32_e32 vcc_lo, s24, v0
	s_wait_xcnt 0x5
	v_dual_mov_b32 v3, v0 :: v_dual_bitop2_b32 v1, s20, v0 bitop3:0x54
	v_or_b32_e32 v2, 0x100, v0
	s_mov_b32 s1, 0
	s_mov_b32 s2, 0
	s_wait_xcnt 0x0
	s_and_saveexec_b32 s3, vcc_lo
	s_cbranch_execz .LBB360_5
; %bb.4:
	s_clause 0x1
	global_load_b64 v[4:5], v1, s[18:19] scale_offset
	global_load_b64 v[6:7], v1, s[22:23] scale_offset
	v_or_b32_e32 v3, 0x100, v0
	s_wait_loadcnt 0x0
	v_cmp_ne_u64_e64 s0, v[4:5], v[6:7]
	s_and_b32 s2, s0, exec_lo
.LBB360_5:
	s_wait_xcnt 0x0
	s_or_b32 exec_lo, exec_lo, s3
	s_delay_alu instid0(SALU_CYCLE_1)
	s_mov_b32 s3, exec_lo
	v_cmpx_gt_i32_e64 s24, v3
	s_cbranch_execz .LBB360_7
; %bb.6:
	v_add_nc_u32_e32 v8, s20, v3
	v_add_nc_u32_e32 v3, 0x100, v3
	s_clause 0x1
	global_load_b64 v[4:5], v8, s[18:19] scale_offset
	global_load_b64 v[6:7], v8, s[22:23] scale_offset
	s_wait_loadcnt 0x0
	v_cmp_ne_u64_e64 s0, v[4:5], v[6:7]
	s_and_b32 s1, s0, exec_lo
.LBB360_7:
	s_wait_xcnt 0x0
	s_or_b32 exec_lo, exec_lo, s3
	s_mov_b32 s3, 0
	s_mov_b32 s5, 0
	s_mov_b32 s4, exec_lo
	v_cmpx_gt_i32_e64 s24, v3
	s_cbranch_execz .LBB360_9
; %bb.8:
	v_add_nc_u32_e32 v8, s20, v3
	v_add_nc_u32_e32 v3, 0x100, v3
	s_clause 0x1
	global_load_b64 v[4:5], v8, s[18:19] scale_offset
	global_load_b64 v[6:7], v8, s[22:23] scale_offset
	s_wait_loadcnt 0x0
	v_cmp_ne_u64_e64 s0, v[4:5], v[6:7]
	s_and_b32 s5, s0, exec_lo
.LBB360_9:
	s_wait_xcnt 0x0
	s_or_b32 exec_lo, exec_lo, s4
	s_delay_alu instid0(SALU_CYCLE_1)
	s_mov_b32 s4, exec_lo
	v_cmpx_gt_i32_e64 s24, v3
	s_cbranch_execz .LBB360_11
; %bb.10:
	v_add_nc_u32_e32 v8, s20, v3
	v_add_nc_u32_e32 v3, 0x100, v3
	s_clause 0x1
	global_load_b64 v[4:5], v8, s[18:19] scale_offset
	global_load_b64 v[6:7], v8, s[22:23] scale_offset
	s_wait_loadcnt 0x0
	v_cmp_ne_u64_e64 s0, v[4:5], v[6:7]
	s_and_b32 s3, s0, exec_lo
.LBB360_11:
	s_wait_xcnt 0x0
	s_or_b32 exec_lo, exec_lo, s4
	s_mov_b32 s4, 0
	s_mov_b32 s7, 0
	s_mov_b32 s6, exec_lo
	v_cmpx_gt_i32_e64 s24, v3
	s_cbranch_execz .LBB360_13
; %bb.12:
	v_add_nc_u32_e32 v8, s20, v3
	v_add_nc_u32_e32 v3, 0x100, v3
	s_clause 0x1
	global_load_b64 v[4:5], v8, s[18:19] scale_offset
	global_load_b64 v[6:7], v8, s[22:23] scale_offset
	s_wait_loadcnt 0x0
	v_cmp_ne_u64_e64 s0, v[4:5], v[6:7]
	s_and_b32 s7, s0, exec_lo
.LBB360_13:
	;; [unrolled: 33-line block ×7, first 2 shown]
	s_wait_xcnt 0x0
	s_or_b32 exec_lo, exec_lo, s26
	s_delay_alu instid0(SALU_CYCLE_1)
	s_mov_b32 s26, exec_lo
	v_cmpx_gt_i32_e64 s24, v3
	s_cbranch_execz .LBB360_35
; %bb.34:
	v_add_nc_u32_e32 v3, s20, v3
	s_clause 0x1
	global_load_b64 v[4:5], v3, s[18:19] scale_offset
	global_load_b64 v[6:7], v3, s[22:23] scale_offset
	s_wait_loadcnt 0x0
	v_cmp_ne_u64_e64 s0, v[4:5], v[6:7]
	s_and_b32 s14, s0, exec_lo
.LBB360_35:
	s_wait_xcnt 0x0
	s_or_b32 exec_lo, exec_lo, s26
	s_cmp_eq_u32 s15, 0
	s_cselect_b32 s0, -1, 0
	s_and_saveexec_b32 s15, vcc_lo
	s_cbranch_execnz .LBB360_53
; %bb.36:
	s_or_b32 exec_lo, exec_lo, s15
	s_delay_alu instid0(SALU_CYCLE_1)
	s_mov_b32 s2, exec_lo
	v_cmpx_gt_i32_e64 s24, v0
	s_cbranch_execnz .LBB360_54
.LBB360_37:
	s_or_b32 exec_lo, exec_lo, s2
	s_delay_alu instid0(SALU_CYCLE_1)
	s_mov_b32 s1, exec_lo
	v_cmpx_gt_i32_e64 s24, v0
	s_cbranch_execnz .LBB360_55
.LBB360_38:
	s_or_b32 exec_lo, exec_lo, s1
	s_delay_alu instid0(SALU_CYCLE_1)
	s_mov_b32 s1, exec_lo
	v_cmpx_gt_i32_e64 s24, v0
	s_cbranch_execnz .LBB360_56
.LBB360_39:
	s_or_b32 exec_lo, exec_lo, s1
	s_delay_alu instid0(SALU_CYCLE_1)
	s_mov_b32 s1, exec_lo
	v_cmpx_gt_i32_e64 s24, v0
	s_cbranch_execnz .LBB360_57
.LBB360_40:
	s_or_b32 exec_lo, exec_lo, s1
	s_delay_alu instid0(SALU_CYCLE_1)
	s_mov_b32 s1, exec_lo
	v_cmpx_gt_i32_e64 s24, v0
	s_cbranch_execnz .LBB360_58
.LBB360_41:
	s_or_b32 exec_lo, exec_lo, s1
	s_delay_alu instid0(SALU_CYCLE_1)
	s_mov_b32 s1, exec_lo
	v_cmpx_gt_i32_e64 s24, v0
	s_cbranch_execnz .LBB360_59
.LBB360_42:
	s_or_b32 exec_lo, exec_lo, s1
	s_delay_alu instid0(SALU_CYCLE_1)
	s_mov_b32 s1, exec_lo
	v_cmpx_gt_i32_e64 s24, v0
	s_cbranch_execnz .LBB360_60
.LBB360_43:
	s_or_b32 exec_lo, exec_lo, s1
	s_delay_alu instid0(SALU_CYCLE_1)
	s_mov_b32 s1, exec_lo
	v_cmpx_gt_i32_e64 s24, v0
	s_cbranch_execnz .LBB360_61
.LBB360_44:
	s_or_b32 exec_lo, exec_lo, s1
	s_delay_alu instid0(SALU_CYCLE_1)
	s_mov_b32 s1, exec_lo
	v_cmpx_gt_i32_e64 s24, v0
	s_cbranch_execnz .LBB360_62
.LBB360_45:
	s_or_b32 exec_lo, exec_lo, s1
	s_delay_alu instid0(SALU_CYCLE_1)
	s_mov_b32 s1, exec_lo
	v_cmpx_gt_i32_e64 s24, v0
	s_cbranch_execnz .LBB360_63
.LBB360_46:
	s_or_b32 exec_lo, exec_lo, s1
	s_delay_alu instid0(SALU_CYCLE_1)
	s_mov_b32 s1, exec_lo
	v_cmpx_gt_i32_e64 s24, v0
	s_cbranch_execnz .LBB360_64
.LBB360_47:
	s_or_b32 exec_lo, exec_lo, s1
	s_delay_alu instid0(SALU_CYCLE_1)
	s_mov_b32 s1, exec_lo
	v_cmpx_gt_i32_e64 s24, v0
	s_cbranch_execnz .LBB360_65
.LBB360_48:
	s_or_b32 exec_lo, exec_lo, s1
	s_delay_alu instid0(SALU_CYCLE_1)
	s_mov_b32 s1, exec_lo
	v_cmpx_gt_i32_e64 s24, v0
	s_cbranch_execnz .LBB360_66
.LBB360_49:
	s_or_b32 exec_lo, exec_lo, s1
	s_delay_alu instid0(SALU_CYCLE_1)
	s_mov_b32 s1, exec_lo
	v_cmpx_gt_i32_e64 s24, v0
	s_cbranch_execnz .LBB360_67
.LBB360_50:
	s_or_b32 exec_lo, exec_lo, s1
	s_delay_alu instid0(SALU_CYCLE_1)
	s_mov_b32 s1, exec_lo
	v_cmpx_gt_i32_e64 s24, v0
	s_cbranch_execz .LBB360_52
.LBB360_51:
	s_xor_b32 s0, s0, s14
	v_add_nc_u32_e32 v0, s20, v0
	v_cndmask_b32_e64 v1, 0, 1, s0
	global_store_b8 v0, v1, s[16:17]
.LBB360_52:
	s_endpgm
.LBB360_53:
	s_xor_b32 s2, s0, s2
	v_mov_b32_e32 v0, v2
	v_cndmask_b32_e64 v3, 0, 1, s2
	global_store_b8 v1, v3, s[16:17]
	s_wait_xcnt 0x0
	s_or_b32 exec_lo, exec_lo, s15
	s_delay_alu instid0(SALU_CYCLE_1)
	s_mov_b32 s2, exec_lo
	v_cmpx_gt_i32_e64 s24, v0
	s_cbranch_execz .LBB360_37
.LBB360_54:
	s_xor_b32 s1, s0, s1
	v_add_nc_u32_e32 v2, s20, v0
	v_cndmask_b32_e64 v1, 0, 1, s1
	v_add_nc_u32_e32 v0, 0x100, v0
	global_store_b8 v2, v1, s[16:17]
	s_wait_xcnt 0x0
	s_or_b32 exec_lo, exec_lo, s2
	s_delay_alu instid0(SALU_CYCLE_1)
	s_mov_b32 s1, exec_lo
	v_cmpx_gt_i32_e64 s24, v0
	s_cbranch_execz .LBB360_38
.LBB360_55:
	s_xor_b32 s2, s0, s5
	v_add_nc_u32_e32 v2, s20, v0
	v_cndmask_b32_e64 v1, 0, 1, s2
	v_add_nc_u32_e32 v0, 0x100, v0
	global_store_b8 v2, v1, s[16:17]
	s_wait_xcnt 0x0
	s_or_b32 exec_lo, exec_lo, s1
	s_delay_alu instid0(SALU_CYCLE_1)
	s_mov_b32 s1, exec_lo
	v_cmpx_gt_i32_e64 s24, v0
	s_cbranch_execz .LBB360_39
.LBB360_56:
	s_xor_b32 s2, s0, s3
	v_add_nc_u32_e32 v2, s20, v0
	v_cndmask_b32_e64 v1, 0, 1, s2
	v_add_nc_u32_e32 v0, 0x100, v0
	global_store_b8 v2, v1, s[16:17]
	s_wait_xcnt 0x0
	s_or_b32 exec_lo, exec_lo, s1
	s_delay_alu instid0(SALU_CYCLE_1)
	s_mov_b32 s1, exec_lo
	v_cmpx_gt_i32_e64 s24, v0
	s_cbranch_execz .LBB360_40
.LBB360_57:
	s_xor_b32 s2, s0, s7
	v_add_nc_u32_e32 v2, s20, v0
	v_cndmask_b32_e64 v1, 0, 1, s2
	v_add_nc_u32_e32 v0, 0x100, v0
	global_store_b8 v2, v1, s[16:17]
	s_wait_xcnt 0x0
	s_or_b32 exec_lo, exec_lo, s1
	s_delay_alu instid0(SALU_CYCLE_1)
	s_mov_b32 s1, exec_lo
	v_cmpx_gt_i32_e64 s24, v0
	s_cbranch_execz .LBB360_41
.LBB360_58:
	s_xor_b32 s2, s0, s4
	v_add_nc_u32_e32 v2, s20, v0
	v_cndmask_b32_e64 v1, 0, 1, s2
	v_add_nc_u32_e32 v0, 0x100, v0
	global_store_b8 v2, v1, s[16:17]
	s_wait_xcnt 0x0
	s_or_b32 exec_lo, exec_lo, s1
	s_delay_alu instid0(SALU_CYCLE_1)
	s_mov_b32 s1, exec_lo
	v_cmpx_gt_i32_e64 s24, v0
	s_cbranch_execz .LBB360_42
.LBB360_59:
	s_xor_b32 s2, s0, s9
	v_add_nc_u32_e32 v2, s20, v0
	v_cndmask_b32_e64 v1, 0, 1, s2
	v_add_nc_u32_e32 v0, 0x100, v0
	global_store_b8 v2, v1, s[16:17]
	s_wait_xcnt 0x0
	s_or_b32 exec_lo, exec_lo, s1
	s_delay_alu instid0(SALU_CYCLE_1)
	s_mov_b32 s1, exec_lo
	v_cmpx_gt_i32_e64 s24, v0
	s_cbranch_execz .LBB360_43
.LBB360_60:
	s_xor_b32 s2, s0, s6
	v_add_nc_u32_e32 v2, s20, v0
	v_cndmask_b32_e64 v1, 0, 1, s2
	v_add_nc_u32_e32 v0, 0x100, v0
	global_store_b8 v2, v1, s[16:17]
	s_wait_xcnt 0x0
	s_or_b32 exec_lo, exec_lo, s1
	s_delay_alu instid0(SALU_CYCLE_1)
	s_mov_b32 s1, exec_lo
	v_cmpx_gt_i32_e64 s24, v0
	s_cbranch_execz .LBB360_44
.LBB360_61:
	s_xor_b32 s2, s0, s11
	v_add_nc_u32_e32 v2, s20, v0
	v_cndmask_b32_e64 v1, 0, 1, s2
	v_add_nc_u32_e32 v0, 0x100, v0
	global_store_b8 v2, v1, s[16:17]
	s_wait_xcnt 0x0
	s_or_b32 exec_lo, exec_lo, s1
	s_delay_alu instid0(SALU_CYCLE_1)
	s_mov_b32 s1, exec_lo
	v_cmpx_gt_i32_e64 s24, v0
	s_cbranch_execz .LBB360_45
.LBB360_62:
	s_xor_b32 s2, s0, s8
	v_add_nc_u32_e32 v2, s20, v0
	v_cndmask_b32_e64 v1, 0, 1, s2
	v_add_nc_u32_e32 v0, 0x100, v0
	global_store_b8 v2, v1, s[16:17]
	s_wait_xcnt 0x0
	s_or_b32 exec_lo, exec_lo, s1
	s_delay_alu instid0(SALU_CYCLE_1)
	s_mov_b32 s1, exec_lo
	v_cmpx_gt_i32_e64 s24, v0
	s_cbranch_execz .LBB360_46
.LBB360_63:
	s_xor_b32 s2, s0, s13
	v_add_nc_u32_e32 v2, s20, v0
	v_cndmask_b32_e64 v1, 0, 1, s2
	v_add_nc_u32_e32 v0, 0x100, v0
	global_store_b8 v2, v1, s[16:17]
	s_wait_xcnt 0x0
	s_or_b32 exec_lo, exec_lo, s1
	s_delay_alu instid0(SALU_CYCLE_1)
	s_mov_b32 s1, exec_lo
	v_cmpx_gt_i32_e64 s24, v0
	s_cbranch_execz .LBB360_47
.LBB360_64:
	s_xor_b32 s2, s0, s10
	v_add_nc_u32_e32 v2, s20, v0
	v_cndmask_b32_e64 v1, 0, 1, s2
	v_add_nc_u32_e32 v0, 0x100, v0
	global_store_b8 v2, v1, s[16:17]
	s_wait_xcnt 0x0
	s_or_b32 exec_lo, exec_lo, s1
	s_delay_alu instid0(SALU_CYCLE_1)
	s_mov_b32 s1, exec_lo
	v_cmpx_gt_i32_e64 s24, v0
	s_cbranch_execz .LBB360_48
.LBB360_65:
	s_xor_b32 s2, s0, s21
	v_add_nc_u32_e32 v2, s20, v0
	v_cndmask_b32_e64 v1, 0, 1, s2
	v_add_nc_u32_e32 v0, 0x100, v0
	global_store_b8 v2, v1, s[16:17]
	s_wait_xcnt 0x0
	s_or_b32 exec_lo, exec_lo, s1
	s_delay_alu instid0(SALU_CYCLE_1)
	s_mov_b32 s1, exec_lo
	v_cmpx_gt_i32_e64 s24, v0
	s_cbranch_execz .LBB360_49
.LBB360_66:
	s_xor_b32 s2, s0, s12
	v_add_nc_u32_e32 v2, s20, v0
	v_cndmask_b32_e64 v1, 0, 1, s2
	v_add_nc_u32_e32 v0, 0x100, v0
	global_store_b8 v2, v1, s[16:17]
	s_wait_xcnt 0x0
	s_or_b32 exec_lo, exec_lo, s1
	s_delay_alu instid0(SALU_CYCLE_1)
	s_mov_b32 s1, exec_lo
	v_cmpx_gt_i32_e64 s24, v0
	s_cbranch_execz .LBB360_50
.LBB360_67:
	s_xor_b32 s2, s0, s25
	v_add_nc_u32_e32 v2, s20, v0
	v_cndmask_b32_e64 v1, 0, 1, s2
	v_add_nc_u32_e32 v0, 0x100, v0
	global_store_b8 v2, v1, s[16:17]
	s_wait_xcnt 0x0
	s_or_b32 exec_lo, exec_lo, s1
	s_delay_alu instid0(SALU_CYCLE_1)
	s_mov_b32 s1, exec_lo
	v_cmpx_gt_i32_e64 s24, v0
	s_cbranch_execnz .LBB360_51
	s_branch .LBB360_52
	.section	.rodata,"a",@progbits
	.p2align	6, 0x0
	.amdhsa_kernel _ZN2at6native29vectorized_elementwise_kernelILi2ENS0_13BinaryFunctorImmbNS0_12_GLOBAL__N_116CompareEqFunctorImEEEESt5arrayIPcLm3EEEEviT0_T1_
		.amdhsa_group_segment_fixed_size 0
		.amdhsa_private_segment_fixed_size 0
		.amdhsa_kernarg_size 32
		.amdhsa_user_sgpr_count 2
		.amdhsa_user_sgpr_dispatch_ptr 0
		.amdhsa_user_sgpr_queue_ptr 0
		.amdhsa_user_sgpr_kernarg_segment_ptr 1
		.amdhsa_user_sgpr_dispatch_id 0
		.amdhsa_user_sgpr_kernarg_preload_length 0
		.amdhsa_user_sgpr_kernarg_preload_offset 0
		.amdhsa_user_sgpr_private_segment_size 0
		.amdhsa_wavefront_size32 1
		.amdhsa_uses_dynamic_stack 0
		.amdhsa_enable_private_segment 0
		.amdhsa_system_sgpr_workgroup_id_x 1
		.amdhsa_system_sgpr_workgroup_id_y 0
		.amdhsa_system_sgpr_workgroup_id_z 0
		.amdhsa_system_sgpr_workgroup_info 0
		.amdhsa_system_vgpr_workitem_id 0
		.amdhsa_next_free_vgpr 58
		.amdhsa_next_free_sgpr 29
		.amdhsa_named_barrier_count 0
		.amdhsa_reserve_vcc 1
		.amdhsa_float_round_mode_32 0
		.amdhsa_float_round_mode_16_64 0
		.amdhsa_float_denorm_mode_32 3
		.amdhsa_float_denorm_mode_16_64 3
		.amdhsa_fp16_overflow 0
		.amdhsa_memory_ordered 1
		.amdhsa_forward_progress 1
		.amdhsa_inst_pref_size 29
		.amdhsa_round_robin_scheduling 0
		.amdhsa_exception_fp_ieee_invalid_op 0
		.amdhsa_exception_fp_denorm_src 0
		.amdhsa_exception_fp_ieee_div_zero 0
		.amdhsa_exception_fp_ieee_overflow 0
		.amdhsa_exception_fp_ieee_underflow 0
		.amdhsa_exception_fp_ieee_inexact 0
		.amdhsa_exception_int_div_zero 0
	.end_amdhsa_kernel
	.section	.text._ZN2at6native29vectorized_elementwise_kernelILi2ENS0_13BinaryFunctorImmbNS0_12_GLOBAL__N_116CompareEqFunctorImEEEESt5arrayIPcLm3EEEEviT0_T1_,"axG",@progbits,_ZN2at6native29vectorized_elementwise_kernelILi2ENS0_13BinaryFunctorImmbNS0_12_GLOBAL__N_116CompareEqFunctorImEEEESt5arrayIPcLm3EEEEviT0_T1_,comdat
.Lfunc_end360:
	.size	_ZN2at6native29vectorized_elementwise_kernelILi2ENS0_13BinaryFunctorImmbNS0_12_GLOBAL__N_116CompareEqFunctorImEEEESt5arrayIPcLm3EEEEviT0_T1_, .Lfunc_end360-_ZN2at6native29vectorized_elementwise_kernelILi2ENS0_13BinaryFunctorImmbNS0_12_GLOBAL__N_116CompareEqFunctorImEEEESt5arrayIPcLm3EEEEviT0_T1_
                                        ; -- End function
	.set _ZN2at6native29vectorized_elementwise_kernelILi2ENS0_13BinaryFunctorImmbNS0_12_GLOBAL__N_116CompareEqFunctorImEEEESt5arrayIPcLm3EEEEviT0_T1_.num_vgpr, 58
	.set _ZN2at6native29vectorized_elementwise_kernelILi2ENS0_13BinaryFunctorImmbNS0_12_GLOBAL__N_116CompareEqFunctorImEEEESt5arrayIPcLm3EEEEviT0_T1_.num_agpr, 0
	.set _ZN2at6native29vectorized_elementwise_kernelILi2ENS0_13BinaryFunctorImmbNS0_12_GLOBAL__N_116CompareEqFunctorImEEEESt5arrayIPcLm3EEEEviT0_T1_.numbered_sgpr, 29
	.set _ZN2at6native29vectorized_elementwise_kernelILi2ENS0_13BinaryFunctorImmbNS0_12_GLOBAL__N_116CompareEqFunctorImEEEESt5arrayIPcLm3EEEEviT0_T1_.num_named_barrier, 0
	.set _ZN2at6native29vectorized_elementwise_kernelILi2ENS0_13BinaryFunctorImmbNS0_12_GLOBAL__N_116CompareEqFunctorImEEEESt5arrayIPcLm3EEEEviT0_T1_.private_seg_size, 0
	.set _ZN2at6native29vectorized_elementwise_kernelILi2ENS0_13BinaryFunctorImmbNS0_12_GLOBAL__N_116CompareEqFunctorImEEEESt5arrayIPcLm3EEEEviT0_T1_.uses_vcc, 1
	.set _ZN2at6native29vectorized_elementwise_kernelILi2ENS0_13BinaryFunctorImmbNS0_12_GLOBAL__N_116CompareEqFunctorImEEEESt5arrayIPcLm3EEEEviT0_T1_.uses_flat_scratch, 0
	.set _ZN2at6native29vectorized_elementwise_kernelILi2ENS0_13BinaryFunctorImmbNS0_12_GLOBAL__N_116CompareEqFunctorImEEEESt5arrayIPcLm3EEEEviT0_T1_.has_dyn_sized_stack, 0
	.set _ZN2at6native29vectorized_elementwise_kernelILi2ENS0_13BinaryFunctorImmbNS0_12_GLOBAL__N_116CompareEqFunctorImEEEESt5arrayIPcLm3EEEEviT0_T1_.has_recursion, 0
	.set _ZN2at6native29vectorized_elementwise_kernelILi2ENS0_13BinaryFunctorImmbNS0_12_GLOBAL__N_116CompareEqFunctorImEEEESt5arrayIPcLm3EEEEviT0_T1_.has_indirect_call, 0
	.section	.AMDGPU.csdata,"",@progbits
; Kernel info:
; codeLenInByte = 3632
; TotalNumSgprs: 31
; NumVgprs: 58
; ScratchSize: 0
; MemoryBound: 0
; FloatMode: 240
; IeeeMode: 1
; LDSByteSize: 0 bytes/workgroup (compile time only)
; SGPRBlocks: 0
; VGPRBlocks: 3
; NumSGPRsForWavesPerEU: 31
; NumVGPRsForWavesPerEU: 58
; NamedBarCnt: 0
; Occupancy: 16
; WaveLimiterHint : 1
; COMPUTE_PGM_RSRC2:SCRATCH_EN: 0
; COMPUTE_PGM_RSRC2:USER_SGPR: 2
; COMPUTE_PGM_RSRC2:TRAP_HANDLER: 0
; COMPUTE_PGM_RSRC2:TGID_X_EN: 1
; COMPUTE_PGM_RSRC2:TGID_Y_EN: 0
; COMPUTE_PGM_RSRC2:TGID_Z_EN: 0
; COMPUTE_PGM_RSRC2:TIDIG_COMP_CNT: 0
	.section	.text._ZN2at6native27unrolled_elementwise_kernelINS0_13BinaryFunctorImmbNS0_12_GLOBAL__N_116CompareEqFunctorImEEEESt5arrayIPcLm3EELi4E23TrivialOffsetCalculatorILi2EjESA_ILi1EjENS0_6memory15LoadWithoutCastENSD_16StoreWithoutCastEEEviT_T0_T2_T3_T4_T5_,"axG",@progbits,_ZN2at6native27unrolled_elementwise_kernelINS0_13BinaryFunctorImmbNS0_12_GLOBAL__N_116CompareEqFunctorImEEEESt5arrayIPcLm3EELi4E23TrivialOffsetCalculatorILi2EjESA_ILi1EjENS0_6memory15LoadWithoutCastENSD_16StoreWithoutCastEEEviT_T0_T2_T3_T4_T5_,comdat
	.globl	_ZN2at6native27unrolled_elementwise_kernelINS0_13BinaryFunctorImmbNS0_12_GLOBAL__N_116CompareEqFunctorImEEEESt5arrayIPcLm3EELi4E23TrivialOffsetCalculatorILi2EjESA_ILi1EjENS0_6memory15LoadWithoutCastENSD_16StoreWithoutCastEEEviT_T0_T2_T3_T4_T5_ ; -- Begin function _ZN2at6native27unrolled_elementwise_kernelINS0_13BinaryFunctorImmbNS0_12_GLOBAL__N_116CompareEqFunctorImEEEESt5arrayIPcLm3EELi4E23TrivialOffsetCalculatorILi2EjESA_ILi1EjENS0_6memory15LoadWithoutCastENSD_16StoreWithoutCastEEEviT_T0_T2_T3_T4_T5_
	.p2align	8
	.type	_ZN2at6native27unrolled_elementwise_kernelINS0_13BinaryFunctorImmbNS0_12_GLOBAL__N_116CompareEqFunctorImEEEESt5arrayIPcLm3EELi4E23TrivialOffsetCalculatorILi2EjESA_ILi1EjENS0_6memory15LoadWithoutCastENSD_16StoreWithoutCastEEEviT_T0_T2_T3_T4_T5_,@function
_ZN2at6native27unrolled_elementwise_kernelINS0_13BinaryFunctorImmbNS0_12_GLOBAL__N_116CompareEqFunctorImEEEESt5arrayIPcLm3EELi4E23TrivialOffsetCalculatorILi2EjESA_ILi1EjENS0_6memory15LoadWithoutCastENSD_16StoreWithoutCastEEEviT_T0_T2_T3_T4_T5_: ; @_ZN2at6native27unrolled_elementwise_kernelINS0_13BinaryFunctorImmbNS0_12_GLOBAL__N_116CompareEqFunctorImEEEESt5arrayIPcLm3EELi4E23TrivialOffsetCalculatorILi2EjESA_ILi1EjENS0_6memory15LoadWithoutCastENSD_16StoreWithoutCastEEEviT_T0_T2_T3_T4_T5_
; %bb.0:
	s_load_b64 s[2:3], s[0:1], 0x0
	s_bfe_u32 s10, ttmp6, 0x4000c
	s_clause 0x1
	s_load_b128 s[4:7], s[0:1], 0x8
	s_load_b64 s[8:9], s[0:1], 0x18
	s_add_co_i32 s10, s10, 1
	s_wait_xcnt 0x0
	s_and_b32 s0, ttmp6, 15
	s_mul_i32 s1, ttmp9, s10
	s_getreg_b32 s10, hwreg(HW_REG_IB_STS2, 6, 4)
	s_add_co_i32 s0, s0, s1
	s_cmp_eq_u32 s10, 0
	v_or_b32_e32 v1, 0x100, v0
	s_cselect_b32 s0, ttmp9, s0
	s_mov_b32 s10, 0
	s_lshl_b32 s1, s0, 10
	s_delay_alu instid0(SALU_CYCLE_1) | instskip(SKIP_3) | instid1(SALU_CYCLE_1)
	v_dual_mov_b32 v3, v0 :: v_dual_bitop2_b32 v2, s1, v0 bitop3:0x54
	s_mov_b32 s12, 0
	s_wait_kmcnt 0x0
	s_sub_co_i32 s2, s2, s1
	v_cmp_gt_i32_e32 vcc_lo, s2, v0
	s_and_saveexec_b32 s11, vcc_lo
	s_cbranch_execz .LBB361_2
; %bb.1:
	s_clause 0x1
	global_load_b64 v[4:5], v2, s[6:7] scale_offset
	global_load_b64 v[6:7], v2, s[8:9] scale_offset
	v_or_b32_e32 v3, 0x100, v0
	s_wait_loadcnt 0x0
	v_cmp_ne_u64_e64 s0, v[4:5], v[6:7]
	s_and_b32 s12, s0, exec_lo
.LBB361_2:
	s_or_b32 exec_lo, exec_lo, s11
	s_delay_alu instid0(SALU_CYCLE_1)
	s_mov_b32 s11, exec_lo
	v_cmpx_gt_i32_e64 s2, v3
	s_cbranch_execz .LBB361_4
; %bb.3:
	v_add_nc_u32_e32 v8, s1, v3
	v_add_nc_u32_e32 v3, 0x100, v3
	s_clause 0x1
	global_load_b64 v[4:5], v8, s[6:7] scale_offset
	global_load_b64 v[6:7], v8, s[8:9] scale_offset
	s_wait_loadcnt 0x0
	v_cmp_ne_u64_e64 s0, v[4:5], v[6:7]
	s_and_b32 s10, s0, exec_lo
.LBB361_4:
	s_or_b32 exec_lo, exec_lo, s11
	s_mov_b32 s11, 0
	s_mov_b32 s13, 0
	s_mov_b32 s14, exec_lo
	v_cmpx_gt_i32_e64 s2, v3
	s_cbranch_execz .LBB361_6
; %bb.5:
	v_add_nc_u32_e32 v8, s1, v3
	v_add_nc_u32_e32 v3, 0x100, v3
	s_clause 0x1
	global_load_b64 v[4:5], v8, s[6:7] scale_offset
	global_load_b64 v[6:7], v8, s[8:9] scale_offset
	s_wait_loadcnt 0x0
	v_cmp_ne_u64_e64 s0, v[4:5], v[6:7]
	s_and_b32 s13, s0, exec_lo
.LBB361_6:
	s_or_b32 exec_lo, exec_lo, s14
	s_delay_alu instid0(SALU_CYCLE_1)
	s_mov_b32 s14, exec_lo
	v_cmpx_gt_i32_e64 s2, v3
	s_cbranch_execz .LBB361_8
; %bb.7:
	v_add_nc_u32_e32 v3, s1, v3
	s_clause 0x1
	global_load_b64 v[4:5], v3, s[6:7] scale_offset
	global_load_b64 v[6:7], v3, s[8:9] scale_offset
	s_wait_loadcnt 0x0
	v_cmp_ne_u64_e64 s0, v[4:5], v[6:7]
	s_and_b32 s11, s0, exec_lo
.LBB361_8:
	s_or_b32 exec_lo, exec_lo, s14
	s_cmp_eq_u32 s3, 0
	s_cselect_b32 s0, -1, 0
	s_and_saveexec_b32 s3, vcc_lo
	s_cbranch_execnz .LBB361_13
; %bb.9:
	s_or_b32 exec_lo, exec_lo, s3
	s_delay_alu instid0(SALU_CYCLE_1)
	s_mov_b32 s3, exec_lo
	v_cmpx_gt_i32_e64 s2, v0
	s_cbranch_execnz .LBB361_14
.LBB361_10:
	s_or_b32 exec_lo, exec_lo, s3
	s_delay_alu instid0(SALU_CYCLE_1)
	s_mov_b32 s3, exec_lo
	v_cmpx_gt_i32_e64 s2, v0
	s_cbranch_execnz .LBB361_15
.LBB361_11:
	s_or_b32 exec_lo, exec_lo, s3
	v_cmp_gt_i32_e32 vcc_lo, s2, v0
	s_and_saveexec_b32 s2, vcc_lo
	s_cbranch_execnz .LBB361_16
.LBB361_12:
	s_endpgm
.LBB361_13:
	s_xor_b32 s6, s0, s12
	v_mov_b32_e32 v0, v1
	v_cndmask_b32_e64 v3, 0, 1, s6
	global_store_b8 v2, v3, s[4:5]
	s_wait_xcnt 0x0
	s_or_b32 exec_lo, exec_lo, s3
	s_delay_alu instid0(SALU_CYCLE_1)
	s_mov_b32 s3, exec_lo
	v_cmpx_gt_i32_e64 s2, v0
	s_cbranch_execz .LBB361_10
.LBB361_14:
	v_add_nc_u32_e32 v1, 0x100, v0
	s_xor_b32 s6, s0, s10
	v_add_nc_u32_e32 v3, s1, v0
	v_cndmask_b32_e64 v2, 0, 1, s6
	s_delay_alu instid0(VALU_DEP_3) | instskip(SKIP_3) | instid1(SALU_CYCLE_1)
	v_mov_b32_e32 v0, v1
	global_store_b8 v3, v2, s[4:5]
	s_wait_xcnt 0x0
	s_or_b32 exec_lo, exec_lo, s3
	s_mov_b32 s3, exec_lo
	v_cmpx_gt_i32_e64 s2, v0
	s_cbranch_execz .LBB361_11
.LBB361_15:
	v_add_nc_u32_e32 v1, 0x100, v0
	s_xor_b32 s6, s0, s13
	v_add_nc_u32_e32 v3, s1, v0
	v_cndmask_b32_e64 v2, 0, 1, s6
	s_delay_alu instid0(VALU_DEP_3)
	v_mov_b32_e32 v0, v1
	global_store_b8 v3, v2, s[4:5]
	s_wait_xcnt 0x0
	s_or_b32 exec_lo, exec_lo, s3
	v_cmp_gt_i32_e32 vcc_lo, s2, v0
	s_and_saveexec_b32 s2, vcc_lo
	s_cbranch_execz .LBB361_12
.LBB361_16:
	s_xor_b32 s0, s0, s11
	v_add_nc_u32_e32 v0, s1, v0
	v_cndmask_b32_e64 v1, 0, 1, s0
	global_store_b8 v0, v1, s[4:5]
	s_endpgm
	.section	.rodata,"a",@progbits
	.p2align	6, 0x0
	.amdhsa_kernel _ZN2at6native27unrolled_elementwise_kernelINS0_13BinaryFunctorImmbNS0_12_GLOBAL__N_116CompareEqFunctorImEEEESt5arrayIPcLm3EELi4E23TrivialOffsetCalculatorILi2EjESA_ILi1EjENS0_6memory15LoadWithoutCastENSD_16StoreWithoutCastEEEviT_T0_T2_T3_T4_T5_
		.amdhsa_group_segment_fixed_size 0
		.amdhsa_private_segment_fixed_size 0
		.amdhsa_kernarg_size 36
		.amdhsa_user_sgpr_count 2
		.amdhsa_user_sgpr_dispatch_ptr 0
		.amdhsa_user_sgpr_queue_ptr 0
		.amdhsa_user_sgpr_kernarg_segment_ptr 1
		.amdhsa_user_sgpr_dispatch_id 0
		.amdhsa_user_sgpr_kernarg_preload_length 0
		.amdhsa_user_sgpr_kernarg_preload_offset 0
		.amdhsa_user_sgpr_private_segment_size 0
		.amdhsa_wavefront_size32 1
		.amdhsa_uses_dynamic_stack 0
		.amdhsa_enable_private_segment 0
		.amdhsa_system_sgpr_workgroup_id_x 1
		.amdhsa_system_sgpr_workgroup_id_y 0
		.amdhsa_system_sgpr_workgroup_id_z 0
		.amdhsa_system_sgpr_workgroup_info 0
		.amdhsa_system_vgpr_workitem_id 0
		.amdhsa_next_free_vgpr 9
		.amdhsa_next_free_sgpr 15
		.amdhsa_named_barrier_count 0
		.amdhsa_reserve_vcc 1
		.amdhsa_float_round_mode_32 0
		.amdhsa_float_round_mode_16_64 0
		.amdhsa_float_denorm_mode_32 3
		.amdhsa_float_denorm_mode_16_64 3
		.amdhsa_fp16_overflow 0
		.amdhsa_memory_ordered 1
		.amdhsa_forward_progress 1
		.amdhsa_inst_pref_size 6
		.amdhsa_round_robin_scheduling 0
		.amdhsa_exception_fp_ieee_invalid_op 0
		.amdhsa_exception_fp_denorm_src 0
		.amdhsa_exception_fp_ieee_div_zero 0
		.amdhsa_exception_fp_ieee_overflow 0
		.amdhsa_exception_fp_ieee_underflow 0
		.amdhsa_exception_fp_ieee_inexact 0
		.amdhsa_exception_int_div_zero 0
	.end_amdhsa_kernel
	.section	.text._ZN2at6native27unrolled_elementwise_kernelINS0_13BinaryFunctorImmbNS0_12_GLOBAL__N_116CompareEqFunctorImEEEESt5arrayIPcLm3EELi4E23TrivialOffsetCalculatorILi2EjESA_ILi1EjENS0_6memory15LoadWithoutCastENSD_16StoreWithoutCastEEEviT_T0_T2_T3_T4_T5_,"axG",@progbits,_ZN2at6native27unrolled_elementwise_kernelINS0_13BinaryFunctorImmbNS0_12_GLOBAL__N_116CompareEqFunctorImEEEESt5arrayIPcLm3EELi4E23TrivialOffsetCalculatorILi2EjESA_ILi1EjENS0_6memory15LoadWithoutCastENSD_16StoreWithoutCastEEEviT_T0_T2_T3_T4_T5_,comdat
.Lfunc_end361:
	.size	_ZN2at6native27unrolled_elementwise_kernelINS0_13BinaryFunctorImmbNS0_12_GLOBAL__N_116CompareEqFunctorImEEEESt5arrayIPcLm3EELi4E23TrivialOffsetCalculatorILi2EjESA_ILi1EjENS0_6memory15LoadWithoutCastENSD_16StoreWithoutCastEEEviT_T0_T2_T3_T4_T5_, .Lfunc_end361-_ZN2at6native27unrolled_elementwise_kernelINS0_13BinaryFunctorImmbNS0_12_GLOBAL__N_116CompareEqFunctorImEEEESt5arrayIPcLm3EELi4E23TrivialOffsetCalculatorILi2EjESA_ILi1EjENS0_6memory15LoadWithoutCastENSD_16StoreWithoutCastEEEviT_T0_T2_T3_T4_T5_
                                        ; -- End function
	.set _ZN2at6native27unrolled_elementwise_kernelINS0_13BinaryFunctorImmbNS0_12_GLOBAL__N_116CompareEqFunctorImEEEESt5arrayIPcLm3EELi4E23TrivialOffsetCalculatorILi2EjESA_ILi1EjENS0_6memory15LoadWithoutCastENSD_16StoreWithoutCastEEEviT_T0_T2_T3_T4_T5_.num_vgpr, 9
	.set _ZN2at6native27unrolled_elementwise_kernelINS0_13BinaryFunctorImmbNS0_12_GLOBAL__N_116CompareEqFunctorImEEEESt5arrayIPcLm3EELi4E23TrivialOffsetCalculatorILi2EjESA_ILi1EjENS0_6memory15LoadWithoutCastENSD_16StoreWithoutCastEEEviT_T0_T2_T3_T4_T5_.num_agpr, 0
	.set _ZN2at6native27unrolled_elementwise_kernelINS0_13BinaryFunctorImmbNS0_12_GLOBAL__N_116CompareEqFunctorImEEEESt5arrayIPcLm3EELi4E23TrivialOffsetCalculatorILi2EjESA_ILi1EjENS0_6memory15LoadWithoutCastENSD_16StoreWithoutCastEEEviT_T0_T2_T3_T4_T5_.numbered_sgpr, 15
	.set _ZN2at6native27unrolled_elementwise_kernelINS0_13BinaryFunctorImmbNS0_12_GLOBAL__N_116CompareEqFunctorImEEEESt5arrayIPcLm3EELi4E23TrivialOffsetCalculatorILi2EjESA_ILi1EjENS0_6memory15LoadWithoutCastENSD_16StoreWithoutCastEEEviT_T0_T2_T3_T4_T5_.num_named_barrier, 0
	.set _ZN2at6native27unrolled_elementwise_kernelINS0_13BinaryFunctorImmbNS0_12_GLOBAL__N_116CompareEqFunctorImEEEESt5arrayIPcLm3EELi4E23TrivialOffsetCalculatorILi2EjESA_ILi1EjENS0_6memory15LoadWithoutCastENSD_16StoreWithoutCastEEEviT_T0_T2_T3_T4_T5_.private_seg_size, 0
	.set _ZN2at6native27unrolled_elementwise_kernelINS0_13BinaryFunctorImmbNS0_12_GLOBAL__N_116CompareEqFunctorImEEEESt5arrayIPcLm3EELi4E23TrivialOffsetCalculatorILi2EjESA_ILi1EjENS0_6memory15LoadWithoutCastENSD_16StoreWithoutCastEEEviT_T0_T2_T3_T4_T5_.uses_vcc, 1
	.set _ZN2at6native27unrolled_elementwise_kernelINS0_13BinaryFunctorImmbNS0_12_GLOBAL__N_116CompareEqFunctorImEEEESt5arrayIPcLm3EELi4E23TrivialOffsetCalculatorILi2EjESA_ILi1EjENS0_6memory15LoadWithoutCastENSD_16StoreWithoutCastEEEviT_T0_T2_T3_T4_T5_.uses_flat_scratch, 0
	.set _ZN2at6native27unrolled_elementwise_kernelINS0_13BinaryFunctorImmbNS0_12_GLOBAL__N_116CompareEqFunctorImEEEESt5arrayIPcLm3EELi4E23TrivialOffsetCalculatorILi2EjESA_ILi1EjENS0_6memory15LoadWithoutCastENSD_16StoreWithoutCastEEEviT_T0_T2_T3_T4_T5_.has_dyn_sized_stack, 0
	.set _ZN2at6native27unrolled_elementwise_kernelINS0_13BinaryFunctorImmbNS0_12_GLOBAL__N_116CompareEqFunctorImEEEESt5arrayIPcLm3EELi4E23TrivialOffsetCalculatorILi2EjESA_ILi1EjENS0_6memory15LoadWithoutCastENSD_16StoreWithoutCastEEEviT_T0_T2_T3_T4_T5_.has_recursion, 0
	.set _ZN2at6native27unrolled_elementwise_kernelINS0_13BinaryFunctorImmbNS0_12_GLOBAL__N_116CompareEqFunctorImEEEESt5arrayIPcLm3EELi4E23TrivialOffsetCalculatorILi2EjESA_ILi1EjENS0_6memory15LoadWithoutCastENSD_16StoreWithoutCastEEEviT_T0_T2_T3_T4_T5_.has_indirect_call, 0
	.section	.AMDGPU.csdata,"",@progbits
; Kernel info:
; codeLenInByte = 720
; TotalNumSgprs: 17
; NumVgprs: 9
; ScratchSize: 0
; MemoryBound: 0
; FloatMode: 240
; IeeeMode: 1
; LDSByteSize: 0 bytes/workgroup (compile time only)
; SGPRBlocks: 0
; VGPRBlocks: 0
; NumSGPRsForWavesPerEU: 17
; NumVGPRsForWavesPerEU: 9
; NamedBarCnt: 0
; Occupancy: 16
; WaveLimiterHint : 0
; COMPUTE_PGM_RSRC2:SCRATCH_EN: 0
; COMPUTE_PGM_RSRC2:USER_SGPR: 2
; COMPUTE_PGM_RSRC2:TRAP_HANDLER: 0
; COMPUTE_PGM_RSRC2:TGID_X_EN: 1
; COMPUTE_PGM_RSRC2:TGID_Y_EN: 0
; COMPUTE_PGM_RSRC2:TGID_Z_EN: 0
; COMPUTE_PGM_RSRC2:TIDIG_COMP_CNT: 0
	.section	.text._ZN2at6native32elementwise_kernel_manual_unrollILi128ELi8EZNS0_22gpu_kernel_impl_nocastINS0_13BinaryFunctorImmbNS0_12_GLOBAL__N_116CompareEqFunctorImEEEEEEvRNS_18TensorIteratorBaseERKT_EUlibE_EEviT1_,"axG",@progbits,_ZN2at6native32elementwise_kernel_manual_unrollILi128ELi8EZNS0_22gpu_kernel_impl_nocastINS0_13BinaryFunctorImmbNS0_12_GLOBAL__N_116CompareEqFunctorImEEEEEEvRNS_18TensorIteratorBaseERKT_EUlibE_EEviT1_,comdat
	.globl	_ZN2at6native32elementwise_kernel_manual_unrollILi128ELi8EZNS0_22gpu_kernel_impl_nocastINS0_13BinaryFunctorImmbNS0_12_GLOBAL__N_116CompareEqFunctorImEEEEEEvRNS_18TensorIteratorBaseERKT_EUlibE_EEviT1_ ; -- Begin function _ZN2at6native32elementwise_kernel_manual_unrollILi128ELi8EZNS0_22gpu_kernel_impl_nocastINS0_13BinaryFunctorImmbNS0_12_GLOBAL__N_116CompareEqFunctorImEEEEEEvRNS_18TensorIteratorBaseERKT_EUlibE_EEviT1_
	.p2align	8
	.type	_ZN2at6native32elementwise_kernel_manual_unrollILi128ELi8EZNS0_22gpu_kernel_impl_nocastINS0_13BinaryFunctorImmbNS0_12_GLOBAL__N_116CompareEqFunctorImEEEEEEvRNS_18TensorIteratorBaseERKT_EUlibE_EEviT1_,@function
_ZN2at6native32elementwise_kernel_manual_unrollILi128ELi8EZNS0_22gpu_kernel_impl_nocastINS0_13BinaryFunctorImmbNS0_12_GLOBAL__N_116CompareEqFunctorImEEEEEEvRNS_18TensorIteratorBaseERKT_EUlibE_EEviT1_: ; @_ZN2at6native32elementwise_kernel_manual_unrollILi128ELi8EZNS0_22gpu_kernel_impl_nocastINS0_13BinaryFunctorImmbNS0_12_GLOBAL__N_116CompareEqFunctorImEEEEEEvRNS_18TensorIteratorBaseERKT_EUlibE_EEviT1_
; %bb.0:
	s_clause 0x1
	s_load_b32 s26, s[0:1], 0x8
	s_load_b32 s33, s[0:1], 0x0
	s_bfe_u32 s2, ttmp6, 0x4000c
	s_and_b32 s3, ttmp6, 15
	s_add_co_i32 s2, s2, 1
	s_getreg_b32 s4, hwreg(HW_REG_IB_STS2, 6, 4)
	s_mul_i32 s2, ttmp9, s2
	s_add_nc_u64 s[16:17], s[0:1], 8
	s_add_co_i32 s3, s3, s2
	s_cmp_eq_u32 s4, 0
	s_mov_b32 s21, 0
	s_cselect_b32 s2, ttmp9, s3
	s_wait_xcnt 0x0
	s_mov_b32 s0, exec_lo
	v_lshl_or_b32 v0, s2, 10, v0
	s_delay_alu instid0(VALU_DEP_1) | instskip(SKIP_2) | instid1(SALU_CYCLE_1)
	v_or_b32_e32 v4, 0x380, v0
	s_wait_kmcnt 0x0
	s_add_co_i32 s27, s26, -1
	s_cmp_gt_u32 s27, 1
	s_cselect_b32 s28, -1, 0
	v_cmpx_le_i32_e64 s33, v4
	s_xor_b32 s29, exec_lo, s0
	s_cbranch_execz .LBB362_106
; %bb.1:
	s_clause 0x5
	s_load_b128 s[4:7], s[16:17], 0x4
	s_load_b64 s[18:19], s[16:17], 0x14
	s_load_b96 s[12:14], s[16:17], 0x198
	s_load_b128 s[8:11], s[16:17], 0xc4
	s_load_b64 s[22:23], s[16:17], 0xd4
	s_load_b128 s[0:3], s[16:17], 0x188
	s_cmp_lg_u32 s26, 0
	s_mov_b32 s25, s21
	s_cselect_b32 s34, -1, 0
	s_min_u32 s31, s27, 15
	s_cmp_gt_u32 s26, 1
	s_cselect_b32 s30, -1, 0
	s_wait_kmcnt 0x0
	s_mov_b32 s20, s5
	s_mov_b32 s24, s18
	s_cmp_eq_u32 s14, 0
	s_mov_b32 s18, exec_lo
	s_cselect_b32 s5, -1, 0
	v_cmpx_gt_i32_e64 s33, v0
	s_cbranch_execnz .LBB362_9
; %bb.2:
	s_or_b32 exec_lo, exec_lo, s18
	s_delay_alu instid0(SALU_CYCLE_1)
	s_mov_b32 s18, exec_lo
	v_cmpx_gt_i32_e64 s33, v0
	s_cbranch_execnz .LBB362_21
.LBB362_3:
	s_or_b32 exec_lo, exec_lo, s18
	s_delay_alu instid0(SALU_CYCLE_1)
	s_mov_b32 s18, exec_lo
	v_cmpx_gt_i32_e64 s33, v0
	s_cbranch_execnz .LBB362_33
.LBB362_4:
	s_or_b32 exec_lo, exec_lo, s18
	s_delay_alu instid0(SALU_CYCLE_1)
	s_mov_b32 s18, exec_lo
	v_cmpx_gt_i32_e64 s33, v0
	s_cbranch_execnz .LBB362_45
.LBB362_5:
	s_or_b32 exec_lo, exec_lo, s18
	s_delay_alu instid0(SALU_CYCLE_1)
	s_mov_b32 s18, exec_lo
	v_cmpx_gt_i32_e64 s33, v0
	s_cbranch_execnz .LBB362_57
.LBB362_6:
	s_or_b32 exec_lo, exec_lo, s18
	s_delay_alu instid0(SALU_CYCLE_1)
	s_mov_b32 s18, exec_lo
	v_cmpx_gt_i32_e64 s33, v0
	s_cbranch_execnz .LBB362_69
.LBB362_7:
	s_or_b32 exec_lo, exec_lo, s18
	s_delay_alu instid0(SALU_CYCLE_1)
	s_mov_b32 s18, exec_lo
	v_cmpx_gt_i32_e64 s33, v0
	s_cbranch_execnz .LBB362_81
.LBB362_8:
	s_or_b32 exec_lo, exec_lo, s18
	s_delay_alu instid0(SALU_CYCLE_1)
	s_mov_b32 s18, exec_lo
	v_cmpx_gt_i32_e64 s33, v0
	s_cbranch_execnz .LBB362_93
	s_branch .LBB362_105
.LBB362_9:
	s_and_not1_b32 vcc_lo, exec_lo, s28
	s_cbranch_vccnz .LBB362_15
; %bb.10:
	s_and_not1_b32 vcc_lo, exec_lo, s34
	s_cbranch_vccnz .LBB362_16
; %bb.11:
	v_dual_mov_b32 v4, 0 :: v_dual_mov_b32 v1, v0
	v_dual_mov_b32 v6, 0 :: v_dual_mov_b32 v5, 0
	s_add_co_i32 s35, s31, 1
	s_mov_b64 s[14:15], 0xffffffffffffffe8
	s_and_b32 s35, s35, 30
	s_add_nc_u64 s[14:15], s[16:17], s[14:15]
.LBB362_12:                             ; =>This Inner Loop Header: Depth=1
	s_clause 0x1
	s_load_b128 s[36:39], s[14:15], 0x1c
	s_load_b64 s[44:45], s[14:15], 0x2c
	s_add_co_i32 s35, s35, -2
	s_delay_alu instid0(SALU_CYCLE_1) | instskip(SKIP_2) | instid1(VALU_DEP_1)
	s_cmp_lg_u32 s35, 0
	s_wait_kmcnt 0x0
	v_mul_hi_u32 v2, s37, v1
	v_add_nc_u32_e32 v2, v1, v2
	s_delay_alu instid0(VALU_DEP_1) | instskip(NEXT) | instid1(VALU_DEP_1)
	v_lshrrev_b32_e32 v2, s38, v2
	v_mul_hi_u32 v3, s44, v2
	v_mul_lo_u32 v7, v2, s36
	s_clause 0x1
	s_load_b128 s[40:43], s[14:15], 0xdc
	s_load_b64 s[36:37], s[14:15], 0xec
	s_wait_xcnt 0x0
	s_add_nc_u64 s[14:15], s[14:15], 24
	s_delay_alu instid0(VALU_DEP_2) | instskip(NEXT) | instid1(VALU_DEP_2)
	v_add_nc_u32_e32 v3, v2, v3
	v_sub_nc_u32_e32 v7, v1, v7
	s_delay_alu instid0(VALU_DEP_2) | instskip(SKIP_1) | instid1(VALU_DEP_2)
	v_lshrrev_b32_e32 v1, s45, v3
	s_wait_kmcnt 0x0
	v_mad_u32 v4, v7, s40, v4
	s_delay_alu instid0(VALU_DEP_2) | instskip(SKIP_2) | instid1(VALU_DEP_3)
	v_mul_lo_u32 v3, v1, s39
	v_mad_u32 v5, v7, s42, v5
	v_mad_u32 v6, v7, s41, v6
	v_sub_nc_u32_e32 v2, v2, v3
	s_delay_alu instid0(VALU_DEP_1) | instskip(NEXT) | instid1(VALU_DEP_4)
	v_mad_u32 v4, v2, s43, v4
	v_mad_u32 v5, v2, s37, v5
	s_delay_alu instid0(VALU_DEP_4)
	v_mad_u32 v6, v2, s36, v6
	s_cbranch_scc1 .LBB362_12
; %bb.13:
	s_bitcmp1_b32 s31, 0
	s_cselect_b32 s35, -1, 0
	s_delay_alu instid0(SALU_CYCLE_1)
	s_and_b32 vcc_lo, exec_lo, s35
	s_cbranch_vccnz .LBB362_17
; %bb.14:
	s_clause 0x1
	s_load_b96 s[36:38], s[14:15], 0x1c
	s_load_b96 s[40:42], s[14:15], 0xdc
	s_wait_xcnt 0x0
	s_wait_kmcnt 0x0
	v_mul_hi_u32 v2, s37, v1
	s_delay_alu instid0(VALU_DEP_1) | instskip(NEXT) | instid1(VALU_DEP_1)
	v_add_nc_u32_e32 v2, v1, v2
	v_lshrrev_b32_e32 v2, s38, v2
	s_delay_alu instid0(VALU_DEP_1) | instskip(NEXT) | instid1(VALU_DEP_1)
	v_mul_lo_u32 v2, v2, s36
	v_sub_nc_u32_e32 v1, v1, v2
	s_delay_alu instid0(VALU_DEP_1)
	v_mad_u32 v4, v1, s40, v4
	v_mad_u32 v6, v1, s41, v6
	;; [unrolled: 1-line block ×3, first 2 shown]
	s_cbranch_execz .LBB362_18
	s_branch .LBB362_20
.LBB362_15:
                                        ; implicit-def: $vgpr5
                                        ; implicit-def: $vgpr6
                                        ; implicit-def: $vgpr4
	s_branch .LBB362_18
.LBB362_16:
	v_dual_mov_b32 v5, 0 :: v_dual_mov_b32 v6, 0
	v_mov_b32_e32 v4, 0
.LBB362_17:
	s_cbranch_execnz .LBB362_20
.LBB362_18:
	v_mov_b32_e32 v1, 0
	s_and_not1_b32 vcc_lo, exec_lo, s30
	s_delay_alu instid0(VALU_DEP_1) | instskip(NEXT) | instid1(VALU_DEP_1)
	v_mul_u64_e32 v[2:3], s[20:21], v[0:1]
	v_add_nc_u32_e32 v2, v0, v3
	s_delay_alu instid0(VALU_DEP_1) | instskip(NEXT) | instid1(VALU_DEP_1)
	v_lshrrev_b32_e32 v2, s6, v2
	v_mul_lo_u32 v3, v2, s4
	s_delay_alu instid0(VALU_DEP_1) | instskip(NEXT) | instid1(VALU_DEP_1)
	v_sub_nc_u32_e32 v3, v0, v3
	v_mul_lo_u32 v4, v3, s8
	v_mul_lo_u32 v5, v3, s10
	;; [unrolled: 1-line block ×3, first 2 shown]
	s_cbranch_vccnz .LBB362_20
; %bb.19:
	v_mov_b32_e32 v3, v1
	s_delay_alu instid0(VALU_DEP_1) | instskip(NEXT) | instid1(VALU_DEP_1)
	v_mul_u64_e32 v[8:9], s[24:25], v[2:3]
	v_add_nc_u32_e32 v1, v2, v9
	s_delay_alu instid0(VALU_DEP_1) | instskip(NEXT) | instid1(VALU_DEP_1)
	v_lshrrev_b32_e32 v1, s19, v1
	v_mul_lo_u32 v1, v1, s7
	s_delay_alu instid0(VALU_DEP_1) | instskip(NEXT) | instid1(VALU_DEP_1)
	v_sub_nc_u32_e32 v1, v2, v1
	v_mad_u32 v4, v1, s11, v4
	v_mad_u32 v6, v1, s22, v6
	;; [unrolled: 1-line block ×3, first 2 shown]
.LBB362_20:
	global_load_b64 v[2:3], v6, s[2:3]
	global_load_b64 v[8:9], v5, s[12:13]
	v_add_nc_u32_e32 v0, 0x80, v0
	s_wait_loadcnt 0x0
	v_cmp_ne_u64_e32 vcc_lo, v[2:3], v[8:9]
	s_xor_b32 s14, s5, vcc_lo
	s_delay_alu instid0(SALU_CYCLE_1) | instskip(SKIP_3) | instid1(SALU_CYCLE_1)
	v_cndmask_b32_e64 v1, 0, 1, s14
	global_store_b8 v4, v1, s[0:1]
	s_wait_xcnt 0x0
	s_or_b32 exec_lo, exec_lo, s18
	s_mov_b32 s18, exec_lo
	v_cmpx_gt_i32_e64 s33, v0
	s_cbranch_execz .LBB362_3
.LBB362_21:
	s_and_not1_b32 vcc_lo, exec_lo, s28
	s_cbranch_vccnz .LBB362_27
; %bb.22:
	s_and_not1_b32 vcc_lo, exec_lo, s34
	s_cbranch_vccnz .LBB362_28
; %bb.23:
	v_dual_mov_b32 v4, 0 :: v_dual_mov_b32 v1, v0
	v_dual_mov_b32 v6, 0 :: v_dual_mov_b32 v5, 0
	s_add_co_i32 s35, s31, 1
	s_mov_b64 s[14:15], 0xffffffffffffffe8
	s_and_b32 s35, s35, 30
	s_add_nc_u64 s[14:15], s[16:17], s[14:15]
.LBB362_24:                             ; =>This Inner Loop Header: Depth=1
	s_clause 0x1
	s_load_b128 s[36:39], s[14:15], 0x1c
	s_load_b64 s[44:45], s[14:15], 0x2c
	s_add_co_i32 s35, s35, -2
	s_delay_alu instid0(SALU_CYCLE_1) | instskip(SKIP_2) | instid1(VALU_DEP_1)
	s_cmp_eq_u32 s35, 0
	s_wait_kmcnt 0x0
	v_mul_hi_u32 v2, s37, v1
	v_add_nc_u32_e32 v2, v1, v2
	s_delay_alu instid0(VALU_DEP_1) | instskip(NEXT) | instid1(VALU_DEP_1)
	v_lshrrev_b32_e32 v2, s38, v2
	v_mul_hi_u32 v3, s44, v2
	v_mul_lo_u32 v7, v2, s36
	s_clause 0x1
	s_load_b128 s[40:43], s[14:15], 0xdc
	s_load_b64 s[36:37], s[14:15], 0xec
	s_wait_xcnt 0x0
	s_add_nc_u64 s[14:15], s[14:15], 24
	s_delay_alu instid0(VALU_DEP_2) | instskip(NEXT) | instid1(VALU_DEP_2)
	v_add_nc_u32_e32 v3, v2, v3
	v_sub_nc_u32_e32 v7, v1, v7
	s_delay_alu instid0(VALU_DEP_2) | instskip(SKIP_1) | instid1(VALU_DEP_2)
	v_lshrrev_b32_e32 v1, s45, v3
	s_wait_kmcnt 0x0
	v_mad_u32 v4, v7, s40, v4
	s_delay_alu instid0(VALU_DEP_2) | instskip(SKIP_2) | instid1(VALU_DEP_3)
	v_mul_lo_u32 v3, v1, s39
	v_mad_u32 v5, v7, s42, v5
	v_mad_u32 v6, v7, s41, v6
	v_sub_nc_u32_e32 v2, v2, v3
	s_delay_alu instid0(VALU_DEP_1) | instskip(NEXT) | instid1(VALU_DEP_4)
	v_mad_u32 v4, v2, s43, v4
	v_mad_u32 v5, v2, s37, v5
	s_delay_alu instid0(VALU_DEP_4)
	v_mad_u32 v6, v2, s36, v6
	s_cbranch_scc0 .LBB362_24
; %bb.25:
	s_bitcmp1_b32 s31, 0
	s_cselect_b32 s35, -1, 0
	s_delay_alu instid0(SALU_CYCLE_1)
	s_and_b32 vcc_lo, exec_lo, s35
	s_cbranch_vccnz .LBB362_29
; %bb.26:
	s_clause 0x1
	s_load_b96 s[36:38], s[14:15], 0x1c
	s_load_b96 s[40:42], s[14:15], 0xdc
	s_wait_kmcnt 0x0
	v_mul_hi_u32 v2, s37, v1
	s_delay_alu instid0(VALU_DEP_1) | instskip(NEXT) | instid1(VALU_DEP_1)
	v_add_nc_u32_e32 v2, v1, v2
	v_lshrrev_b32_e32 v2, s38, v2
	s_delay_alu instid0(VALU_DEP_1) | instskip(NEXT) | instid1(VALU_DEP_1)
	v_mul_lo_u32 v2, v2, s36
	v_sub_nc_u32_e32 v1, v1, v2
	s_delay_alu instid0(VALU_DEP_1)
	v_mad_u32 v4, v1, s40, v4
	v_mad_u32 v6, v1, s41, v6
	;; [unrolled: 1-line block ×3, first 2 shown]
	s_branch .LBB362_29
.LBB362_27:
                                        ; implicit-def: $vgpr5
                                        ; implicit-def: $vgpr6
                                        ; implicit-def: $vgpr4
	s_branch .LBB362_30
.LBB362_28:
	v_dual_mov_b32 v5, 0 :: v_dual_mov_b32 v6, 0
	v_mov_b32_e32 v4, 0
.LBB362_29:
	s_cbranch_execnz .LBB362_32
.LBB362_30:
	v_mov_b32_e32 v1, 0
	s_and_not1_b32 vcc_lo, exec_lo, s30
	s_delay_alu instid0(VALU_DEP_1) | instskip(NEXT) | instid1(VALU_DEP_1)
	v_mul_u64_e32 v[2:3], s[20:21], v[0:1]
	v_add_nc_u32_e32 v2, v0, v3
	s_delay_alu instid0(VALU_DEP_1) | instskip(NEXT) | instid1(VALU_DEP_1)
	v_lshrrev_b32_e32 v2, s6, v2
	v_mul_lo_u32 v3, v2, s4
	s_delay_alu instid0(VALU_DEP_1) | instskip(NEXT) | instid1(VALU_DEP_1)
	v_sub_nc_u32_e32 v3, v0, v3
	v_mul_lo_u32 v4, v3, s8
	v_mul_lo_u32 v5, v3, s10
	;; [unrolled: 1-line block ×3, first 2 shown]
	s_cbranch_vccnz .LBB362_32
; %bb.31:
	v_mov_b32_e32 v3, v1
	s_delay_alu instid0(VALU_DEP_1) | instskip(NEXT) | instid1(VALU_DEP_1)
	v_mul_u64_e32 v[8:9], s[24:25], v[2:3]
	v_add_nc_u32_e32 v1, v2, v9
	s_delay_alu instid0(VALU_DEP_1) | instskip(NEXT) | instid1(VALU_DEP_1)
	v_lshrrev_b32_e32 v1, s19, v1
	v_mul_lo_u32 v1, v1, s7
	s_delay_alu instid0(VALU_DEP_1) | instskip(NEXT) | instid1(VALU_DEP_1)
	v_sub_nc_u32_e32 v1, v2, v1
	v_mad_u32 v4, v1, s11, v4
	v_mad_u32 v6, v1, s22, v6
	;; [unrolled: 1-line block ×3, first 2 shown]
.LBB362_32:
	global_load_b64 v[2:3], v6, s[2:3]
	global_load_b64 v[8:9], v5, s[12:13]
	v_add_nc_u32_e32 v0, 0x80, v0
	s_wait_loadcnt 0x0
	v_cmp_ne_u64_e32 vcc_lo, v[2:3], v[8:9]
	s_xor_b32 s14, s5, vcc_lo
	s_delay_alu instid0(SALU_CYCLE_1) | instskip(SKIP_3) | instid1(SALU_CYCLE_1)
	v_cndmask_b32_e64 v1, 0, 1, s14
	global_store_b8 v4, v1, s[0:1]
	s_wait_xcnt 0x0
	s_or_b32 exec_lo, exec_lo, s18
	s_mov_b32 s18, exec_lo
	v_cmpx_gt_i32_e64 s33, v0
	s_cbranch_execz .LBB362_4
.LBB362_33:
	s_and_not1_b32 vcc_lo, exec_lo, s28
	s_cbranch_vccnz .LBB362_39
; %bb.34:
	s_and_not1_b32 vcc_lo, exec_lo, s34
	s_cbranch_vccnz .LBB362_40
; %bb.35:
	v_dual_mov_b32 v4, 0 :: v_dual_mov_b32 v1, v0
	v_dual_mov_b32 v6, 0 :: v_dual_mov_b32 v5, 0
	s_add_co_i32 s35, s31, 1
	s_mov_b64 s[14:15], 0xffffffffffffffe8
	s_and_b32 s35, s35, 30
	s_add_nc_u64 s[14:15], s[16:17], s[14:15]
.LBB362_36:                             ; =>This Inner Loop Header: Depth=1
	s_clause 0x1
	s_load_b128 s[36:39], s[14:15], 0x1c
	s_load_b64 s[44:45], s[14:15], 0x2c
	s_add_co_i32 s35, s35, -2
	s_delay_alu instid0(SALU_CYCLE_1) | instskip(SKIP_2) | instid1(VALU_DEP_1)
	s_cmp_eq_u32 s35, 0
	s_wait_kmcnt 0x0
	v_mul_hi_u32 v2, s37, v1
	v_add_nc_u32_e32 v2, v1, v2
	s_delay_alu instid0(VALU_DEP_1) | instskip(NEXT) | instid1(VALU_DEP_1)
	v_lshrrev_b32_e32 v2, s38, v2
	v_mul_hi_u32 v3, s44, v2
	v_mul_lo_u32 v7, v2, s36
	s_clause 0x1
	s_load_b128 s[40:43], s[14:15], 0xdc
	s_load_b64 s[36:37], s[14:15], 0xec
	s_wait_xcnt 0x0
	s_add_nc_u64 s[14:15], s[14:15], 24
	s_delay_alu instid0(VALU_DEP_2) | instskip(NEXT) | instid1(VALU_DEP_2)
	v_add_nc_u32_e32 v3, v2, v3
	v_sub_nc_u32_e32 v7, v1, v7
	s_delay_alu instid0(VALU_DEP_2) | instskip(SKIP_1) | instid1(VALU_DEP_2)
	v_lshrrev_b32_e32 v1, s45, v3
	s_wait_kmcnt 0x0
	v_mad_u32 v4, v7, s40, v4
	s_delay_alu instid0(VALU_DEP_2) | instskip(SKIP_2) | instid1(VALU_DEP_3)
	v_mul_lo_u32 v3, v1, s39
	v_mad_u32 v5, v7, s42, v5
	v_mad_u32 v6, v7, s41, v6
	v_sub_nc_u32_e32 v2, v2, v3
	s_delay_alu instid0(VALU_DEP_1) | instskip(NEXT) | instid1(VALU_DEP_4)
	v_mad_u32 v4, v2, s43, v4
	v_mad_u32 v5, v2, s37, v5
	s_delay_alu instid0(VALU_DEP_4)
	v_mad_u32 v6, v2, s36, v6
	s_cbranch_scc0 .LBB362_36
; %bb.37:
	s_bitcmp1_b32 s31, 0
	s_cselect_b32 s35, -1, 0
	s_delay_alu instid0(SALU_CYCLE_1)
	s_and_b32 vcc_lo, exec_lo, s35
	s_cbranch_vccnz .LBB362_41
; %bb.38:
	s_clause 0x1
	s_load_b96 s[36:38], s[14:15], 0x1c
	s_load_b96 s[40:42], s[14:15], 0xdc
	s_wait_kmcnt 0x0
	v_mul_hi_u32 v2, s37, v1
	s_delay_alu instid0(VALU_DEP_1) | instskip(NEXT) | instid1(VALU_DEP_1)
	v_add_nc_u32_e32 v2, v1, v2
	v_lshrrev_b32_e32 v2, s38, v2
	s_delay_alu instid0(VALU_DEP_1) | instskip(NEXT) | instid1(VALU_DEP_1)
	v_mul_lo_u32 v2, v2, s36
	v_sub_nc_u32_e32 v1, v1, v2
	s_delay_alu instid0(VALU_DEP_1)
	v_mad_u32 v4, v1, s40, v4
	v_mad_u32 v6, v1, s41, v6
	;; [unrolled: 1-line block ×3, first 2 shown]
	s_branch .LBB362_41
.LBB362_39:
                                        ; implicit-def: $vgpr5
                                        ; implicit-def: $vgpr6
                                        ; implicit-def: $vgpr4
	s_branch .LBB362_42
.LBB362_40:
	v_dual_mov_b32 v5, 0 :: v_dual_mov_b32 v6, 0
	v_mov_b32_e32 v4, 0
.LBB362_41:
	s_cbranch_execnz .LBB362_44
.LBB362_42:
	v_mov_b32_e32 v1, 0
	s_and_not1_b32 vcc_lo, exec_lo, s30
	s_delay_alu instid0(VALU_DEP_1) | instskip(NEXT) | instid1(VALU_DEP_1)
	v_mul_u64_e32 v[2:3], s[20:21], v[0:1]
	v_add_nc_u32_e32 v2, v0, v3
	s_delay_alu instid0(VALU_DEP_1) | instskip(NEXT) | instid1(VALU_DEP_1)
	v_lshrrev_b32_e32 v2, s6, v2
	v_mul_lo_u32 v3, v2, s4
	s_delay_alu instid0(VALU_DEP_1) | instskip(NEXT) | instid1(VALU_DEP_1)
	v_sub_nc_u32_e32 v3, v0, v3
	v_mul_lo_u32 v4, v3, s8
	v_mul_lo_u32 v5, v3, s10
	;; [unrolled: 1-line block ×3, first 2 shown]
	s_cbranch_vccnz .LBB362_44
; %bb.43:
	v_mov_b32_e32 v3, v1
	s_delay_alu instid0(VALU_DEP_1) | instskip(NEXT) | instid1(VALU_DEP_1)
	v_mul_u64_e32 v[8:9], s[24:25], v[2:3]
	v_add_nc_u32_e32 v1, v2, v9
	s_delay_alu instid0(VALU_DEP_1) | instskip(NEXT) | instid1(VALU_DEP_1)
	v_lshrrev_b32_e32 v1, s19, v1
	v_mul_lo_u32 v1, v1, s7
	s_delay_alu instid0(VALU_DEP_1) | instskip(NEXT) | instid1(VALU_DEP_1)
	v_sub_nc_u32_e32 v1, v2, v1
	v_mad_u32 v4, v1, s11, v4
	v_mad_u32 v6, v1, s22, v6
	;; [unrolled: 1-line block ×3, first 2 shown]
.LBB362_44:
	global_load_b64 v[2:3], v6, s[2:3]
	global_load_b64 v[8:9], v5, s[12:13]
	v_add_nc_u32_e32 v0, 0x80, v0
	s_wait_loadcnt 0x0
	v_cmp_ne_u64_e32 vcc_lo, v[2:3], v[8:9]
	s_xor_b32 s14, s5, vcc_lo
	s_delay_alu instid0(SALU_CYCLE_1) | instskip(SKIP_3) | instid1(SALU_CYCLE_1)
	v_cndmask_b32_e64 v1, 0, 1, s14
	global_store_b8 v4, v1, s[0:1]
	s_wait_xcnt 0x0
	s_or_b32 exec_lo, exec_lo, s18
	s_mov_b32 s18, exec_lo
	v_cmpx_gt_i32_e64 s33, v0
	s_cbranch_execz .LBB362_5
.LBB362_45:
	s_and_not1_b32 vcc_lo, exec_lo, s28
	s_cbranch_vccnz .LBB362_51
; %bb.46:
	s_and_not1_b32 vcc_lo, exec_lo, s34
	s_cbranch_vccnz .LBB362_52
; %bb.47:
	v_dual_mov_b32 v4, 0 :: v_dual_mov_b32 v1, v0
	v_dual_mov_b32 v6, 0 :: v_dual_mov_b32 v5, 0
	s_add_co_i32 s35, s31, 1
	s_mov_b64 s[14:15], 0xffffffffffffffe8
	s_and_b32 s35, s35, 30
	s_add_nc_u64 s[14:15], s[16:17], s[14:15]
.LBB362_48:                             ; =>This Inner Loop Header: Depth=1
	s_clause 0x1
	s_load_b128 s[36:39], s[14:15], 0x1c
	s_load_b64 s[44:45], s[14:15], 0x2c
	s_add_co_i32 s35, s35, -2
	s_delay_alu instid0(SALU_CYCLE_1) | instskip(SKIP_2) | instid1(VALU_DEP_1)
	s_cmp_eq_u32 s35, 0
	s_wait_kmcnt 0x0
	v_mul_hi_u32 v2, s37, v1
	v_add_nc_u32_e32 v2, v1, v2
	s_delay_alu instid0(VALU_DEP_1) | instskip(NEXT) | instid1(VALU_DEP_1)
	v_lshrrev_b32_e32 v2, s38, v2
	v_mul_hi_u32 v3, s44, v2
	v_mul_lo_u32 v7, v2, s36
	s_clause 0x1
	s_load_b128 s[40:43], s[14:15], 0xdc
	s_load_b64 s[36:37], s[14:15], 0xec
	s_wait_xcnt 0x0
	s_add_nc_u64 s[14:15], s[14:15], 24
	s_delay_alu instid0(VALU_DEP_2) | instskip(NEXT) | instid1(VALU_DEP_2)
	v_add_nc_u32_e32 v3, v2, v3
	v_sub_nc_u32_e32 v7, v1, v7
	s_delay_alu instid0(VALU_DEP_2) | instskip(SKIP_1) | instid1(VALU_DEP_2)
	v_lshrrev_b32_e32 v1, s45, v3
	s_wait_kmcnt 0x0
	v_mad_u32 v4, v7, s40, v4
	s_delay_alu instid0(VALU_DEP_2) | instskip(SKIP_2) | instid1(VALU_DEP_3)
	v_mul_lo_u32 v3, v1, s39
	v_mad_u32 v5, v7, s42, v5
	v_mad_u32 v6, v7, s41, v6
	v_sub_nc_u32_e32 v2, v2, v3
	s_delay_alu instid0(VALU_DEP_1) | instskip(NEXT) | instid1(VALU_DEP_4)
	v_mad_u32 v4, v2, s43, v4
	v_mad_u32 v5, v2, s37, v5
	s_delay_alu instid0(VALU_DEP_4)
	v_mad_u32 v6, v2, s36, v6
	s_cbranch_scc0 .LBB362_48
; %bb.49:
	s_bitcmp1_b32 s31, 0
	s_cselect_b32 s35, -1, 0
	s_delay_alu instid0(SALU_CYCLE_1)
	s_and_b32 vcc_lo, exec_lo, s35
	s_cbranch_vccnz .LBB362_53
; %bb.50:
	s_clause 0x1
	s_load_b96 s[36:38], s[14:15], 0x1c
	s_load_b96 s[40:42], s[14:15], 0xdc
	s_wait_kmcnt 0x0
	v_mul_hi_u32 v2, s37, v1
	s_delay_alu instid0(VALU_DEP_1) | instskip(NEXT) | instid1(VALU_DEP_1)
	v_add_nc_u32_e32 v2, v1, v2
	v_lshrrev_b32_e32 v2, s38, v2
	s_delay_alu instid0(VALU_DEP_1) | instskip(NEXT) | instid1(VALU_DEP_1)
	v_mul_lo_u32 v2, v2, s36
	v_sub_nc_u32_e32 v1, v1, v2
	s_delay_alu instid0(VALU_DEP_1)
	v_mad_u32 v4, v1, s40, v4
	v_mad_u32 v6, v1, s41, v6
	;; [unrolled: 1-line block ×3, first 2 shown]
	s_branch .LBB362_53
.LBB362_51:
                                        ; implicit-def: $vgpr5
                                        ; implicit-def: $vgpr6
                                        ; implicit-def: $vgpr4
	s_branch .LBB362_54
.LBB362_52:
	v_dual_mov_b32 v5, 0 :: v_dual_mov_b32 v6, 0
	v_mov_b32_e32 v4, 0
.LBB362_53:
	s_cbranch_execnz .LBB362_56
.LBB362_54:
	v_mov_b32_e32 v1, 0
	s_and_not1_b32 vcc_lo, exec_lo, s30
	s_delay_alu instid0(VALU_DEP_1) | instskip(NEXT) | instid1(VALU_DEP_1)
	v_mul_u64_e32 v[2:3], s[20:21], v[0:1]
	v_add_nc_u32_e32 v2, v0, v3
	s_delay_alu instid0(VALU_DEP_1) | instskip(NEXT) | instid1(VALU_DEP_1)
	v_lshrrev_b32_e32 v2, s6, v2
	v_mul_lo_u32 v3, v2, s4
	s_delay_alu instid0(VALU_DEP_1) | instskip(NEXT) | instid1(VALU_DEP_1)
	v_sub_nc_u32_e32 v3, v0, v3
	v_mul_lo_u32 v4, v3, s8
	v_mul_lo_u32 v5, v3, s10
	;; [unrolled: 1-line block ×3, first 2 shown]
	s_cbranch_vccnz .LBB362_56
; %bb.55:
	v_mov_b32_e32 v3, v1
	s_delay_alu instid0(VALU_DEP_1) | instskip(NEXT) | instid1(VALU_DEP_1)
	v_mul_u64_e32 v[8:9], s[24:25], v[2:3]
	v_add_nc_u32_e32 v1, v2, v9
	s_delay_alu instid0(VALU_DEP_1) | instskip(NEXT) | instid1(VALU_DEP_1)
	v_lshrrev_b32_e32 v1, s19, v1
	v_mul_lo_u32 v1, v1, s7
	s_delay_alu instid0(VALU_DEP_1) | instskip(NEXT) | instid1(VALU_DEP_1)
	v_sub_nc_u32_e32 v1, v2, v1
	v_mad_u32 v4, v1, s11, v4
	v_mad_u32 v6, v1, s22, v6
	;; [unrolled: 1-line block ×3, first 2 shown]
.LBB362_56:
	global_load_b64 v[2:3], v6, s[2:3]
	global_load_b64 v[8:9], v5, s[12:13]
	v_add_nc_u32_e32 v0, 0x80, v0
	s_wait_loadcnt 0x0
	v_cmp_ne_u64_e32 vcc_lo, v[2:3], v[8:9]
	s_xor_b32 s14, s5, vcc_lo
	s_delay_alu instid0(SALU_CYCLE_1) | instskip(SKIP_3) | instid1(SALU_CYCLE_1)
	v_cndmask_b32_e64 v1, 0, 1, s14
	global_store_b8 v4, v1, s[0:1]
	s_wait_xcnt 0x0
	s_or_b32 exec_lo, exec_lo, s18
	s_mov_b32 s18, exec_lo
	v_cmpx_gt_i32_e64 s33, v0
	s_cbranch_execz .LBB362_6
.LBB362_57:
	s_and_not1_b32 vcc_lo, exec_lo, s28
	s_cbranch_vccnz .LBB362_63
; %bb.58:
	s_and_not1_b32 vcc_lo, exec_lo, s34
	s_cbranch_vccnz .LBB362_64
; %bb.59:
	v_dual_mov_b32 v4, 0 :: v_dual_mov_b32 v1, v0
	v_dual_mov_b32 v6, 0 :: v_dual_mov_b32 v5, 0
	s_add_co_i32 s35, s31, 1
	s_mov_b64 s[14:15], 0xffffffffffffffe8
	s_and_b32 s35, s35, 30
	s_add_nc_u64 s[14:15], s[16:17], s[14:15]
.LBB362_60:                             ; =>This Inner Loop Header: Depth=1
	s_clause 0x1
	s_load_b128 s[36:39], s[14:15], 0x1c
	s_load_b64 s[44:45], s[14:15], 0x2c
	s_add_co_i32 s35, s35, -2
	s_delay_alu instid0(SALU_CYCLE_1) | instskip(SKIP_2) | instid1(VALU_DEP_1)
	s_cmp_eq_u32 s35, 0
	s_wait_kmcnt 0x0
	v_mul_hi_u32 v2, s37, v1
	v_add_nc_u32_e32 v2, v1, v2
	s_delay_alu instid0(VALU_DEP_1) | instskip(NEXT) | instid1(VALU_DEP_1)
	v_lshrrev_b32_e32 v2, s38, v2
	v_mul_hi_u32 v3, s44, v2
	v_mul_lo_u32 v7, v2, s36
	s_clause 0x1
	s_load_b128 s[40:43], s[14:15], 0xdc
	s_load_b64 s[36:37], s[14:15], 0xec
	s_wait_xcnt 0x0
	s_add_nc_u64 s[14:15], s[14:15], 24
	s_delay_alu instid0(VALU_DEP_2) | instskip(NEXT) | instid1(VALU_DEP_2)
	v_add_nc_u32_e32 v3, v2, v3
	v_sub_nc_u32_e32 v7, v1, v7
	s_delay_alu instid0(VALU_DEP_2) | instskip(SKIP_1) | instid1(VALU_DEP_2)
	v_lshrrev_b32_e32 v1, s45, v3
	s_wait_kmcnt 0x0
	v_mad_u32 v4, v7, s40, v4
	s_delay_alu instid0(VALU_DEP_2) | instskip(SKIP_2) | instid1(VALU_DEP_3)
	v_mul_lo_u32 v3, v1, s39
	v_mad_u32 v5, v7, s42, v5
	v_mad_u32 v6, v7, s41, v6
	v_sub_nc_u32_e32 v2, v2, v3
	s_delay_alu instid0(VALU_DEP_1) | instskip(NEXT) | instid1(VALU_DEP_4)
	v_mad_u32 v4, v2, s43, v4
	v_mad_u32 v5, v2, s37, v5
	s_delay_alu instid0(VALU_DEP_4)
	v_mad_u32 v6, v2, s36, v6
	s_cbranch_scc0 .LBB362_60
; %bb.61:
	s_bitcmp1_b32 s31, 0
	s_cselect_b32 s35, -1, 0
	s_delay_alu instid0(SALU_CYCLE_1)
	s_and_b32 vcc_lo, exec_lo, s35
	s_cbranch_vccnz .LBB362_65
; %bb.62:
	s_clause 0x1
	s_load_b96 s[36:38], s[14:15], 0x1c
	s_load_b96 s[40:42], s[14:15], 0xdc
	s_wait_kmcnt 0x0
	v_mul_hi_u32 v2, s37, v1
	s_delay_alu instid0(VALU_DEP_1) | instskip(NEXT) | instid1(VALU_DEP_1)
	v_add_nc_u32_e32 v2, v1, v2
	v_lshrrev_b32_e32 v2, s38, v2
	s_delay_alu instid0(VALU_DEP_1) | instskip(NEXT) | instid1(VALU_DEP_1)
	v_mul_lo_u32 v2, v2, s36
	v_sub_nc_u32_e32 v1, v1, v2
	s_delay_alu instid0(VALU_DEP_1)
	v_mad_u32 v4, v1, s40, v4
	v_mad_u32 v6, v1, s41, v6
	;; [unrolled: 1-line block ×3, first 2 shown]
	s_branch .LBB362_65
.LBB362_63:
                                        ; implicit-def: $vgpr5
                                        ; implicit-def: $vgpr6
                                        ; implicit-def: $vgpr4
	s_branch .LBB362_66
.LBB362_64:
	v_dual_mov_b32 v5, 0 :: v_dual_mov_b32 v6, 0
	v_mov_b32_e32 v4, 0
.LBB362_65:
	s_cbranch_execnz .LBB362_68
.LBB362_66:
	v_mov_b32_e32 v1, 0
	s_and_not1_b32 vcc_lo, exec_lo, s30
	s_delay_alu instid0(VALU_DEP_1) | instskip(NEXT) | instid1(VALU_DEP_1)
	v_mul_u64_e32 v[2:3], s[20:21], v[0:1]
	v_add_nc_u32_e32 v2, v0, v3
	s_delay_alu instid0(VALU_DEP_1) | instskip(NEXT) | instid1(VALU_DEP_1)
	v_lshrrev_b32_e32 v2, s6, v2
	v_mul_lo_u32 v3, v2, s4
	s_delay_alu instid0(VALU_DEP_1) | instskip(NEXT) | instid1(VALU_DEP_1)
	v_sub_nc_u32_e32 v3, v0, v3
	v_mul_lo_u32 v4, v3, s8
	v_mul_lo_u32 v5, v3, s10
	;; [unrolled: 1-line block ×3, first 2 shown]
	s_cbranch_vccnz .LBB362_68
; %bb.67:
	v_mov_b32_e32 v3, v1
	s_delay_alu instid0(VALU_DEP_1) | instskip(NEXT) | instid1(VALU_DEP_1)
	v_mul_u64_e32 v[8:9], s[24:25], v[2:3]
	v_add_nc_u32_e32 v1, v2, v9
	s_delay_alu instid0(VALU_DEP_1) | instskip(NEXT) | instid1(VALU_DEP_1)
	v_lshrrev_b32_e32 v1, s19, v1
	v_mul_lo_u32 v1, v1, s7
	s_delay_alu instid0(VALU_DEP_1) | instskip(NEXT) | instid1(VALU_DEP_1)
	v_sub_nc_u32_e32 v1, v2, v1
	v_mad_u32 v4, v1, s11, v4
	v_mad_u32 v6, v1, s22, v6
	;; [unrolled: 1-line block ×3, first 2 shown]
.LBB362_68:
	global_load_b64 v[2:3], v6, s[2:3]
	global_load_b64 v[8:9], v5, s[12:13]
	v_add_nc_u32_e32 v0, 0x80, v0
	s_wait_loadcnt 0x0
	v_cmp_ne_u64_e32 vcc_lo, v[2:3], v[8:9]
	s_xor_b32 s14, s5, vcc_lo
	s_delay_alu instid0(SALU_CYCLE_1) | instskip(SKIP_3) | instid1(SALU_CYCLE_1)
	v_cndmask_b32_e64 v1, 0, 1, s14
	global_store_b8 v4, v1, s[0:1]
	s_wait_xcnt 0x0
	s_or_b32 exec_lo, exec_lo, s18
	s_mov_b32 s18, exec_lo
	v_cmpx_gt_i32_e64 s33, v0
	s_cbranch_execz .LBB362_7
.LBB362_69:
	s_and_not1_b32 vcc_lo, exec_lo, s28
	s_cbranch_vccnz .LBB362_75
; %bb.70:
	s_and_not1_b32 vcc_lo, exec_lo, s34
	s_cbranch_vccnz .LBB362_76
; %bb.71:
	v_dual_mov_b32 v4, 0 :: v_dual_mov_b32 v1, v0
	v_dual_mov_b32 v6, 0 :: v_dual_mov_b32 v5, 0
	s_add_co_i32 s35, s31, 1
	s_mov_b64 s[14:15], 0xffffffffffffffe8
	s_and_b32 s35, s35, 30
	s_add_nc_u64 s[14:15], s[16:17], s[14:15]
.LBB362_72:                             ; =>This Inner Loop Header: Depth=1
	s_clause 0x1
	s_load_b128 s[36:39], s[14:15], 0x1c
	s_load_b64 s[44:45], s[14:15], 0x2c
	s_add_co_i32 s35, s35, -2
	s_delay_alu instid0(SALU_CYCLE_1) | instskip(SKIP_2) | instid1(VALU_DEP_1)
	s_cmp_eq_u32 s35, 0
	s_wait_kmcnt 0x0
	v_mul_hi_u32 v2, s37, v1
	v_add_nc_u32_e32 v2, v1, v2
	s_delay_alu instid0(VALU_DEP_1) | instskip(NEXT) | instid1(VALU_DEP_1)
	v_lshrrev_b32_e32 v2, s38, v2
	v_mul_hi_u32 v3, s44, v2
	v_mul_lo_u32 v7, v2, s36
	s_clause 0x1
	s_load_b128 s[40:43], s[14:15], 0xdc
	s_load_b64 s[36:37], s[14:15], 0xec
	s_wait_xcnt 0x0
	s_add_nc_u64 s[14:15], s[14:15], 24
	s_delay_alu instid0(VALU_DEP_2) | instskip(NEXT) | instid1(VALU_DEP_2)
	v_add_nc_u32_e32 v3, v2, v3
	v_sub_nc_u32_e32 v7, v1, v7
	s_delay_alu instid0(VALU_DEP_2) | instskip(SKIP_1) | instid1(VALU_DEP_2)
	v_lshrrev_b32_e32 v1, s45, v3
	s_wait_kmcnt 0x0
	v_mad_u32 v4, v7, s40, v4
	s_delay_alu instid0(VALU_DEP_2) | instskip(SKIP_2) | instid1(VALU_DEP_3)
	v_mul_lo_u32 v3, v1, s39
	v_mad_u32 v5, v7, s42, v5
	v_mad_u32 v6, v7, s41, v6
	v_sub_nc_u32_e32 v2, v2, v3
	s_delay_alu instid0(VALU_DEP_1) | instskip(NEXT) | instid1(VALU_DEP_4)
	v_mad_u32 v4, v2, s43, v4
	v_mad_u32 v5, v2, s37, v5
	s_delay_alu instid0(VALU_DEP_4)
	v_mad_u32 v6, v2, s36, v6
	s_cbranch_scc0 .LBB362_72
; %bb.73:
	s_bitcmp1_b32 s31, 0
	s_cselect_b32 s35, -1, 0
	s_delay_alu instid0(SALU_CYCLE_1)
	s_and_b32 vcc_lo, exec_lo, s35
	s_cbranch_vccnz .LBB362_77
; %bb.74:
	s_clause 0x1
	s_load_b96 s[36:38], s[14:15], 0x1c
	s_load_b96 s[40:42], s[14:15], 0xdc
	s_wait_kmcnt 0x0
	v_mul_hi_u32 v2, s37, v1
	s_delay_alu instid0(VALU_DEP_1) | instskip(NEXT) | instid1(VALU_DEP_1)
	v_add_nc_u32_e32 v2, v1, v2
	v_lshrrev_b32_e32 v2, s38, v2
	s_delay_alu instid0(VALU_DEP_1) | instskip(NEXT) | instid1(VALU_DEP_1)
	v_mul_lo_u32 v2, v2, s36
	v_sub_nc_u32_e32 v1, v1, v2
	s_delay_alu instid0(VALU_DEP_1)
	v_mad_u32 v4, v1, s40, v4
	v_mad_u32 v6, v1, s41, v6
	;; [unrolled: 1-line block ×3, first 2 shown]
	s_branch .LBB362_77
.LBB362_75:
                                        ; implicit-def: $vgpr5
                                        ; implicit-def: $vgpr6
                                        ; implicit-def: $vgpr4
	s_branch .LBB362_78
.LBB362_76:
	v_dual_mov_b32 v5, 0 :: v_dual_mov_b32 v6, 0
	v_mov_b32_e32 v4, 0
.LBB362_77:
	s_cbranch_execnz .LBB362_80
.LBB362_78:
	v_mov_b32_e32 v1, 0
	s_and_not1_b32 vcc_lo, exec_lo, s30
	s_delay_alu instid0(VALU_DEP_1) | instskip(NEXT) | instid1(VALU_DEP_1)
	v_mul_u64_e32 v[2:3], s[20:21], v[0:1]
	v_add_nc_u32_e32 v2, v0, v3
	s_delay_alu instid0(VALU_DEP_1) | instskip(NEXT) | instid1(VALU_DEP_1)
	v_lshrrev_b32_e32 v2, s6, v2
	v_mul_lo_u32 v3, v2, s4
	s_delay_alu instid0(VALU_DEP_1) | instskip(NEXT) | instid1(VALU_DEP_1)
	v_sub_nc_u32_e32 v3, v0, v3
	v_mul_lo_u32 v4, v3, s8
	v_mul_lo_u32 v5, v3, s10
	;; [unrolled: 1-line block ×3, first 2 shown]
	s_cbranch_vccnz .LBB362_80
; %bb.79:
	v_mov_b32_e32 v3, v1
	s_delay_alu instid0(VALU_DEP_1) | instskip(NEXT) | instid1(VALU_DEP_1)
	v_mul_u64_e32 v[8:9], s[24:25], v[2:3]
	v_add_nc_u32_e32 v1, v2, v9
	s_delay_alu instid0(VALU_DEP_1) | instskip(NEXT) | instid1(VALU_DEP_1)
	v_lshrrev_b32_e32 v1, s19, v1
	v_mul_lo_u32 v1, v1, s7
	s_delay_alu instid0(VALU_DEP_1) | instskip(NEXT) | instid1(VALU_DEP_1)
	v_sub_nc_u32_e32 v1, v2, v1
	v_mad_u32 v4, v1, s11, v4
	v_mad_u32 v6, v1, s22, v6
	;; [unrolled: 1-line block ×3, first 2 shown]
.LBB362_80:
	global_load_b64 v[2:3], v6, s[2:3]
	global_load_b64 v[8:9], v5, s[12:13]
	v_add_nc_u32_e32 v0, 0x80, v0
	s_wait_loadcnt 0x0
	v_cmp_ne_u64_e32 vcc_lo, v[2:3], v[8:9]
	s_xor_b32 s14, s5, vcc_lo
	s_delay_alu instid0(SALU_CYCLE_1) | instskip(SKIP_3) | instid1(SALU_CYCLE_1)
	v_cndmask_b32_e64 v1, 0, 1, s14
	global_store_b8 v4, v1, s[0:1]
	s_wait_xcnt 0x0
	s_or_b32 exec_lo, exec_lo, s18
	s_mov_b32 s18, exec_lo
	v_cmpx_gt_i32_e64 s33, v0
	s_cbranch_execz .LBB362_8
.LBB362_81:
	s_and_not1_b32 vcc_lo, exec_lo, s28
	s_cbranch_vccnz .LBB362_87
; %bb.82:
	s_and_not1_b32 vcc_lo, exec_lo, s34
	s_cbranch_vccnz .LBB362_88
; %bb.83:
	v_dual_mov_b32 v4, 0 :: v_dual_mov_b32 v1, v0
	v_dual_mov_b32 v6, 0 :: v_dual_mov_b32 v5, 0
	s_add_co_i32 s35, s31, 1
	s_mov_b64 s[14:15], 0xffffffffffffffe8
	s_and_b32 s35, s35, 30
	s_add_nc_u64 s[14:15], s[16:17], s[14:15]
.LBB362_84:                             ; =>This Inner Loop Header: Depth=1
	s_clause 0x1
	s_load_b128 s[36:39], s[14:15], 0x1c
	s_load_b64 s[44:45], s[14:15], 0x2c
	s_add_co_i32 s35, s35, -2
	s_delay_alu instid0(SALU_CYCLE_1) | instskip(SKIP_2) | instid1(VALU_DEP_1)
	s_cmp_eq_u32 s35, 0
	s_wait_kmcnt 0x0
	v_mul_hi_u32 v2, s37, v1
	v_add_nc_u32_e32 v2, v1, v2
	s_delay_alu instid0(VALU_DEP_1) | instskip(NEXT) | instid1(VALU_DEP_1)
	v_lshrrev_b32_e32 v2, s38, v2
	v_mul_hi_u32 v3, s44, v2
	v_mul_lo_u32 v7, v2, s36
	s_clause 0x1
	s_load_b128 s[40:43], s[14:15], 0xdc
	s_load_b64 s[36:37], s[14:15], 0xec
	s_wait_xcnt 0x0
	s_add_nc_u64 s[14:15], s[14:15], 24
	s_delay_alu instid0(VALU_DEP_2) | instskip(NEXT) | instid1(VALU_DEP_2)
	v_add_nc_u32_e32 v3, v2, v3
	v_sub_nc_u32_e32 v7, v1, v7
	s_delay_alu instid0(VALU_DEP_2) | instskip(SKIP_1) | instid1(VALU_DEP_2)
	v_lshrrev_b32_e32 v1, s45, v3
	s_wait_kmcnt 0x0
	v_mad_u32 v4, v7, s40, v4
	s_delay_alu instid0(VALU_DEP_2) | instskip(SKIP_2) | instid1(VALU_DEP_3)
	v_mul_lo_u32 v3, v1, s39
	v_mad_u32 v5, v7, s42, v5
	v_mad_u32 v6, v7, s41, v6
	v_sub_nc_u32_e32 v2, v2, v3
	s_delay_alu instid0(VALU_DEP_1) | instskip(NEXT) | instid1(VALU_DEP_4)
	v_mad_u32 v4, v2, s43, v4
	v_mad_u32 v5, v2, s37, v5
	s_delay_alu instid0(VALU_DEP_4)
	v_mad_u32 v6, v2, s36, v6
	s_cbranch_scc0 .LBB362_84
; %bb.85:
	s_bitcmp1_b32 s31, 0
	s_cselect_b32 s35, -1, 0
	s_delay_alu instid0(SALU_CYCLE_1)
	s_and_b32 vcc_lo, exec_lo, s35
	s_cbranch_vccnz .LBB362_89
; %bb.86:
	s_clause 0x1
	s_load_b96 s[36:38], s[14:15], 0x1c
	s_load_b96 s[40:42], s[14:15], 0xdc
	s_wait_kmcnt 0x0
	v_mul_hi_u32 v2, s37, v1
	s_delay_alu instid0(VALU_DEP_1) | instskip(NEXT) | instid1(VALU_DEP_1)
	v_add_nc_u32_e32 v2, v1, v2
	v_lshrrev_b32_e32 v2, s38, v2
	s_delay_alu instid0(VALU_DEP_1) | instskip(NEXT) | instid1(VALU_DEP_1)
	v_mul_lo_u32 v2, v2, s36
	v_sub_nc_u32_e32 v1, v1, v2
	s_delay_alu instid0(VALU_DEP_1)
	v_mad_u32 v4, v1, s40, v4
	v_mad_u32 v6, v1, s41, v6
	;; [unrolled: 1-line block ×3, first 2 shown]
	s_branch .LBB362_89
.LBB362_87:
                                        ; implicit-def: $vgpr5
                                        ; implicit-def: $vgpr6
                                        ; implicit-def: $vgpr4
	s_branch .LBB362_90
.LBB362_88:
	v_dual_mov_b32 v5, 0 :: v_dual_mov_b32 v6, 0
	v_mov_b32_e32 v4, 0
.LBB362_89:
	s_cbranch_execnz .LBB362_92
.LBB362_90:
	v_mov_b32_e32 v1, 0
	s_and_not1_b32 vcc_lo, exec_lo, s30
	s_delay_alu instid0(VALU_DEP_1) | instskip(NEXT) | instid1(VALU_DEP_1)
	v_mul_u64_e32 v[2:3], s[20:21], v[0:1]
	v_add_nc_u32_e32 v2, v0, v3
	s_delay_alu instid0(VALU_DEP_1) | instskip(NEXT) | instid1(VALU_DEP_1)
	v_lshrrev_b32_e32 v2, s6, v2
	v_mul_lo_u32 v3, v2, s4
	s_delay_alu instid0(VALU_DEP_1) | instskip(NEXT) | instid1(VALU_DEP_1)
	v_sub_nc_u32_e32 v3, v0, v3
	v_mul_lo_u32 v4, v3, s8
	v_mul_lo_u32 v5, v3, s10
	;; [unrolled: 1-line block ×3, first 2 shown]
	s_cbranch_vccnz .LBB362_92
; %bb.91:
	v_mov_b32_e32 v3, v1
	s_delay_alu instid0(VALU_DEP_1) | instskip(NEXT) | instid1(VALU_DEP_1)
	v_mul_u64_e32 v[8:9], s[24:25], v[2:3]
	v_add_nc_u32_e32 v1, v2, v9
	s_delay_alu instid0(VALU_DEP_1) | instskip(NEXT) | instid1(VALU_DEP_1)
	v_lshrrev_b32_e32 v1, s19, v1
	v_mul_lo_u32 v1, v1, s7
	s_delay_alu instid0(VALU_DEP_1) | instskip(NEXT) | instid1(VALU_DEP_1)
	v_sub_nc_u32_e32 v1, v2, v1
	v_mad_u32 v4, v1, s11, v4
	v_mad_u32 v6, v1, s22, v6
	;; [unrolled: 1-line block ×3, first 2 shown]
.LBB362_92:
	global_load_b64 v[2:3], v6, s[2:3]
	global_load_b64 v[8:9], v5, s[12:13]
	v_add_nc_u32_e32 v0, 0x80, v0
	s_wait_loadcnt 0x0
	v_cmp_ne_u64_e32 vcc_lo, v[2:3], v[8:9]
	s_xor_b32 s14, s5, vcc_lo
	s_delay_alu instid0(SALU_CYCLE_1) | instskip(SKIP_3) | instid1(SALU_CYCLE_1)
	v_cndmask_b32_e64 v1, 0, 1, s14
	global_store_b8 v4, v1, s[0:1]
	s_wait_xcnt 0x0
	s_or_b32 exec_lo, exec_lo, s18
	s_mov_b32 s18, exec_lo
	v_cmpx_gt_i32_e64 s33, v0
	s_cbranch_execz .LBB362_105
.LBB362_93:
	s_and_not1_b32 vcc_lo, exec_lo, s28
	s_cbranch_vccnz .LBB362_99
; %bb.94:
	s_and_not1_b32 vcc_lo, exec_lo, s34
	s_cbranch_vccnz .LBB362_100
; %bb.95:
	v_dual_mov_b32 v4, 0 :: v_dual_mov_b32 v1, v0
	v_dual_mov_b32 v6, 0 :: v_dual_mov_b32 v5, 0
	s_add_co_i32 s33, s31, 1
	s_mov_b64 s[14:15], 0xffffffffffffffe8
	s_and_b32 s33, s33, 30
	s_add_nc_u64 s[14:15], s[16:17], s[14:15]
.LBB362_96:                             ; =>This Inner Loop Header: Depth=1
	s_clause 0x1
	s_load_b128 s[36:39], s[14:15], 0x1c
	s_load_b64 s[34:35], s[14:15], 0x2c
	s_add_co_i32 s33, s33, -2
	s_delay_alu instid0(SALU_CYCLE_1) | instskip(SKIP_2) | instid1(VALU_DEP_1)
	s_cmp_eq_u32 s33, 0
	s_wait_kmcnt 0x0
	v_mul_hi_u32 v2, s37, v1
	v_add_nc_u32_e32 v2, v1, v2
	s_delay_alu instid0(VALU_DEP_1) | instskip(NEXT) | instid1(VALU_DEP_1)
	v_lshrrev_b32_e32 v2, s38, v2
	v_mul_hi_u32 v3, s34, v2
	v_mul_lo_u32 v7, v2, s36
	s_clause 0x1
	s_load_b128 s[40:43], s[14:15], 0xdc
	s_load_b64 s[36:37], s[14:15], 0xec
	s_wait_xcnt 0x0
	s_add_nc_u64 s[14:15], s[14:15], 24
	s_delay_alu instid0(VALU_DEP_2) | instskip(NEXT) | instid1(VALU_DEP_2)
	v_add_nc_u32_e32 v3, v2, v3
	v_sub_nc_u32_e32 v7, v1, v7
	s_delay_alu instid0(VALU_DEP_2) | instskip(SKIP_1) | instid1(VALU_DEP_2)
	v_lshrrev_b32_e32 v1, s35, v3
	s_wait_kmcnt 0x0
	v_mad_u32 v4, v7, s40, v4
	s_delay_alu instid0(VALU_DEP_2) | instskip(SKIP_2) | instid1(VALU_DEP_3)
	v_mul_lo_u32 v3, v1, s39
	v_mad_u32 v5, v7, s42, v5
	v_mad_u32 v6, v7, s41, v6
	v_sub_nc_u32_e32 v2, v2, v3
	s_delay_alu instid0(VALU_DEP_1) | instskip(NEXT) | instid1(VALU_DEP_4)
	v_mad_u32 v4, v2, s43, v4
	v_mad_u32 v5, v2, s37, v5
	s_delay_alu instid0(VALU_DEP_4)
	v_mad_u32 v6, v2, s36, v6
	s_cbranch_scc0 .LBB362_96
; %bb.97:
	s_bitcmp1_b32 s31, 0
	s_cselect_b32 s31, -1, 0
	s_delay_alu instid0(SALU_CYCLE_1)
	s_and_b32 vcc_lo, exec_lo, s31
	s_cbranch_vccnz .LBB362_101
; %bb.98:
	s_clause 0x1
	s_load_b96 s[36:38], s[14:15], 0x1c
	s_load_b96 s[40:42], s[14:15], 0xdc
	s_wait_kmcnt 0x0
	v_mul_hi_u32 v2, s37, v1
	s_delay_alu instid0(VALU_DEP_1) | instskip(NEXT) | instid1(VALU_DEP_1)
	v_add_nc_u32_e32 v2, v1, v2
	v_lshrrev_b32_e32 v2, s38, v2
	s_delay_alu instid0(VALU_DEP_1) | instskip(NEXT) | instid1(VALU_DEP_1)
	v_mul_lo_u32 v2, v2, s36
	v_sub_nc_u32_e32 v1, v1, v2
	s_delay_alu instid0(VALU_DEP_1)
	v_mad_u32 v4, v1, s40, v4
	v_mad_u32 v6, v1, s41, v6
	;; [unrolled: 1-line block ×3, first 2 shown]
	s_branch .LBB362_101
.LBB362_99:
                                        ; implicit-def: $vgpr5
                                        ; implicit-def: $vgpr6
                                        ; implicit-def: $vgpr4
	s_branch .LBB362_102
.LBB362_100:
	v_dual_mov_b32 v5, 0 :: v_dual_mov_b32 v6, 0
	v_mov_b32_e32 v4, 0
.LBB362_101:
	s_cbranch_execnz .LBB362_104
.LBB362_102:
	v_mov_b32_e32 v1, 0
	s_and_not1_b32 vcc_lo, exec_lo, s30
	s_delay_alu instid0(VALU_DEP_1) | instskip(NEXT) | instid1(VALU_DEP_1)
	v_mul_u64_e32 v[2:3], s[20:21], v[0:1]
	v_add_nc_u32_e32 v2, v0, v3
	s_delay_alu instid0(VALU_DEP_1) | instskip(NEXT) | instid1(VALU_DEP_1)
	v_lshrrev_b32_e32 v2, s6, v2
	v_mul_lo_u32 v3, v2, s4
	s_delay_alu instid0(VALU_DEP_1) | instskip(NEXT) | instid1(VALU_DEP_1)
	v_sub_nc_u32_e32 v0, v0, v3
	v_mul_lo_u32 v4, v0, s8
	v_mul_lo_u32 v5, v0, s10
	;; [unrolled: 1-line block ×3, first 2 shown]
	s_cbranch_vccnz .LBB362_104
; %bb.103:
	v_mov_b32_e32 v3, v1
	s_delay_alu instid0(VALU_DEP_1) | instskip(NEXT) | instid1(VALU_DEP_1)
	v_mul_u64_e32 v[0:1], s[24:25], v[2:3]
	v_add_nc_u32_e32 v0, v2, v1
	s_delay_alu instid0(VALU_DEP_1) | instskip(NEXT) | instid1(VALU_DEP_1)
	v_lshrrev_b32_e32 v0, s19, v0
	v_mul_lo_u32 v0, v0, s7
	s_delay_alu instid0(VALU_DEP_1) | instskip(NEXT) | instid1(VALU_DEP_1)
	v_sub_nc_u32_e32 v0, v2, v0
	v_mad_u32 v4, v0, s11, v4
	v_mad_u32 v6, v0, s22, v6
	v_mad_u32 v5, v0, s23, v5
.LBB362_104:
	global_load_b64 v[0:1], v6, s[2:3]
	global_load_b64 v[2:3], v5, s[12:13]
	s_wait_loadcnt 0x0
	v_cmp_ne_u64_e32 vcc_lo, v[0:1], v[2:3]
	s_wait_xcnt 0x1
	s_xor_b32 s2, s5, vcc_lo
	s_delay_alu instid0(SALU_CYCLE_1)
	v_cndmask_b32_e64 v0, 0, 1, s2
	global_store_b8 v4, v0, s[0:1]
.LBB362_105:
	s_wait_xcnt 0x0
	s_or_b32 exec_lo, exec_lo, s18
                                        ; implicit-def: $vgpr4
                                        ; implicit-def: $vgpr0
.LBB362_106:
	s_and_not1_saveexec_b32 s0, s29
	s_cbranch_execz .LBB362_113
; %bb.107:
	v_cndmask_b32_e64 v8, 0, 1, s28
	s_and_not1_b32 vcc_lo, exec_lo, s28
	s_cbranch_vccnz .LBB362_114
; %bb.108:
	s_cmp_lg_u32 s26, 0
	s_mov_b32 s2, 0
	s_cbranch_scc0 .LBB362_118
; %bb.109:
	s_min_u32 s3, s27, 15
	v_dual_mov_b32 v1, 0 :: v_dual_mov_b32 v5, v0
	v_dual_mov_b32 v3, 0 :: v_dual_mov_b32 v2, 0
	s_add_co_i32 s4, s3, 1
	s_mov_b64 s[0:1], 0xffffffffffffffe8
	s_and_b32 s4, s4, 30
	s_add_nc_u64 s[0:1], s[16:17], s[0:1]
.LBB362_110:                            ; =>This Inner Loop Header: Depth=1
	s_clause 0x1
	s_load_b128 s[8:11], s[0:1], 0x1c
	s_load_b64 s[6:7], s[0:1], 0x2c
	s_add_co_i32 s4, s4, -2
	s_delay_alu instid0(SALU_CYCLE_1) | instskip(SKIP_2) | instid1(VALU_DEP_1)
	s_cmp_lg_u32 s4, 0
	s_wait_kmcnt 0x0
	v_mul_hi_u32 v6, s9, v5
	v_add_nc_u32_e32 v6, v5, v6
	s_delay_alu instid0(VALU_DEP_1) | instskip(NEXT) | instid1(VALU_DEP_1)
	v_lshrrev_b32_e32 v6, s10, v6
	v_mul_hi_u32 v7, s6, v6
	v_mul_lo_u32 v9, v6, s8
	s_clause 0x1
	s_load_b128 s[12:15], s[0:1], 0xdc
	s_load_b64 s[8:9], s[0:1], 0xec
	s_wait_xcnt 0x0
	s_add_nc_u64 s[0:1], s[0:1], 24
	s_delay_alu instid0(VALU_DEP_1) | instskip(NEXT) | instid1(VALU_DEP_1)
	v_dual_add_nc_u32 v7, v6, v7 :: v_dual_sub_nc_u32 v9, v5, v9
	v_lshrrev_b32_e32 v5, s7, v7
	s_wait_kmcnt 0x0
	s_delay_alu instid0(VALU_DEP_2) | instskip(NEXT) | instid1(VALU_DEP_2)
	v_mad_u32 v1, v9, s12, v1
	v_mul_lo_u32 v7, v5, s11
	v_mad_u32 v2, v9, s14, v2
	v_mad_u32 v3, v9, s13, v3
	s_delay_alu instid0(VALU_DEP_3) | instskip(NEXT) | instid1(VALU_DEP_1)
	v_sub_nc_u32_e32 v6, v6, v7
	v_mad_u32 v1, v6, s15, v1
	s_delay_alu instid0(VALU_DEP_4) | instskip(NEXT) | instid1(VALU_DEP_4)
	v_mad_u32 v2, v6, s9, v2
	v_mad_u32 v3, v6, s8, v3
	s_cbranch_scc1 .LBB362_110
; %bb.111:
	s_bitcmp1_b32 s3, 0
	s_cselect_b32 s3, -1, 0
	s_delay_alu instid0(SALU_CYCLE_1)
	s_and_b32 vcc_lo, exec_lo, s3
	s_cbranch_vccnz .LBB362_115
; %bb.112:
	s_clause 0x1
	s_load_b96 s[4:6], s[0:1], 0x1c
	s_load_b96 s[8:10], s[0:1], 0xdc
	s_wait_kmcnt 0x0
	v_mul_hi_u32 v6, s5, v5
	s_delay_alu instid0(VALU_DEP_1) | instskip(NEXT) | instid1(VALU_DEP_1)
	v_add_nc_u32_e32 v6, v5, v6
	v_lshrrev_b32_e32 v6, s6, v6
	s_delay_alu instid0(VALU_DEP_1) | instskip(NEXT) | instid1(VALU_DEP_1)
	v_mul_lo_u32 v6, v6, s4
	v_sub_nc_u32_e32 v5, v5, v6
	s_delay_alu instid0(VALU_DEP_1)
	v_mad_u32 v1, v5, s8, v1
	v_mad_u32 v3, v5, s9, v3
	;; [unrolled: 1-line block ×3, first 2 shown]
	s_and_not1_b32 vcc_lo, exec_lo, s2
	s_cbranch_vccz .LBB362_116
	s_branch .LBB362_119
.LBB362_113:
	s_endpgm
.LBB362_114:
	s_mov_b32 s2, -1
                                        ; implicit-def: $vgpr2
                                        ; implicit-def: $vgpr3
                                        ; implicit-def: $vgpr1
.LBB362_115:
	s_delay_alu instid0(SALU_CYCLE_1)
	s_and_not1_b32 vcc_lo, exec_lo, s2
	s_cbranch_vccnz .LBB362_119
.LBB362_116:
	s_clause 0x1
	s_load_b96 s[0:2], s[16:17], 0x4
	s_load_b96 s[4:6], s[16:17], 0xc4
	s_cmp_lt_u32 s26, 2
	s_wait_kmcnt 0x0
	v_mul_hi_u32 v1, s1, v0
	s_delay_alu instid0(VALU_DEP_1) | instskip(NEXT) | instid1(VALU_DEP_1)
	v_add_nc_u32_e32 v1, v0, v1
	v_lshrrev_b32_e32 v5, s2, v1
	s_delay_alu instid0(VALU_DEP_1) | instskip(NEXT) | instid1(VALU_DEP_1)
	v_mul_lo_u32 v1, v5, s0
	v_sub_nc_u32_e32 v3, v0, v1
	s_delay_alu instid0(VALU_DEP_1)
	v_mul_lo_u32 v1, v3, s4
	v_mul_lo_u32 v2, v3, s6
	;; [unrolled: 1-line block ×3, first 2 shown]
	s_cbranch_scc1 .LBB362_119
; %bb.117:
	s_clause 0x1
	s_load_b96 s[0:2], s[16:17], 0x10
	s_load_b96 s[4:6], s[16:17], 0xd0
	s_wait_kmcnt 0x0
	v_mul_hi_u32 v6, s1, v5
	s_delay_alu instid0(VALU_DEP_1) | instskip(NEXT) | instid1(VALU_DEP_1)
	v_add_nc_u32_e32 v6, v5, v6
	v_lshrrev_b32_e32 v6, s2, v6
	s_delay_alu instid0(VALU_DEP_1) | instskip(NEXT) | instid1(VALU_DEP_1)
	v_mul_lo_u32 v6, v6, s0
	v_sub_nc_u32_e32 v5, v5, v6
	s_delay_alu instid0(VALU_DEP_1)
	v_mad_u32 v1, v5, s4, v1
	v_mad_u32 v3, v5, s5, v3
	;; [unrolled: 1-line block ×3, first 2 shown]
	s_branch .LBB362_119
.LBB362_118:
	v_dual_mov_b32 v2, 0 :: v_dual_mov_b32 v3, 0
	v_mov_b32_e32 v1, 0
	s_and_not1_b32 vcc_lo, exec_lo, s2
	s_cbranch_vccz .LBB362_116
.LBB362_119:
	v_cmp_ne_u32_e32 vcc_lo, 1, v8
	v_add_nc_u32_e32 v9, 0x80, v0
	s_cbranch_vccnz .LBB362_125
; %bb.120:
	s_cmp_lg_u32 s26, 0
	s_mov_b32 s2, 0
	s_cbranch_scc0 .LBB362_129
; %bb.121:
	s_min_u32 s3, s27, 15
	v_dual_mov_b32 v5, 0 :: v_dual_mov_b32 v10, v9
	v_dual_mov_b32 v6, 0 :: v_dual_mov_b32 v7, 0
	s_add_co_i32 s4, s3, 1
	s_mov_b64 s[0:1], 0xffffffffffffffe8
	s_and_b32 s4, s4, 30
	s_add_nc_u64 s[0:1], s[16:17], s[0:1]
.LBB362_122:                            ; =>This Inner Loop Header: Depth=1
	s_clause 0x1
	s_load_b128 s[8:11], s[0:1], 0x1c
	s_load_b64 s[6:7], s[0:1], 0x2c
	s_add_co_i32 s4, s4, -2
	s_delay_alu instid0(SALU_CYCLE_1) | instskip(SKIP_2) | instid1(VALU_DEP_1)
	s_cmp_lg_u32 s4, 0
	s_wait_kmcnt 0x0
	v_mul_hi_u32 v11, s9, v10
	v_add_nc_u32_e32 v11, v10, v11
	s_delay_alu instid0(VALU_DEP_1) | instskip(NEXT) | instid1(VALU_DEP_1)
	v_lshrrev_b32_e32 v11, s10, v11
	v_mul_hi_u32 v12, s6, v11
	v_mul_lo_u32 v13, v11, s8
	s_clause 0x1
	s_load_b128 s[12:15], s[0:1], 0xdc
	s_load_b64 s[8:9], s[0:1], 0xec
	s_wait_xcnt 0x0
	s_add_nc_u64 s[0:1], s[0:1], 24
	s_delay_alu instid0(VALU_DEP_1) | instskip(NEXT) | instid1(VALU_DEP_1)
	v_dual_add_nc_u32 v12, v11, v12 :: v_dual_sub_nc_u32 v13, v10, v13
	v_lshrrev_b32_e32 v10, s7, v12
	s_wait_kmcnt 0x0
	s_delay_alu instid0(VALU_DEP_2) | instskip(NEXT) | instid1(VALU_DEP_2)
	v_mad_u32 v5, v13, s12, v5
	v_mul_lo_u32 v12, v10, s11
	v_mad_u32 v7, v13, s14, v7
	v_mad_u32 v6, v13, s13, v6
	s_delay_alu instid0(VALU_DEP_3) | instskip(NEXT) | instid1(VALU_DEP_1)
	v_sub_nc_u32_e32 v11, v11, v12
	v_mad_u32 v5, v11, s15, v5
	s_delay_alu instid0(VALU_DEP_4) | instskip(NEXT) | instid1(VALU_DEP_4)
	v_mad_u32 v7, v11, s9, v7
	v_mad_u32 v6, v11, s8, v6
	s_cbranch_scc1 .LBB362_122
; %bb.123:
	s_bitcmp1_b32 s3, 0
	s_cselect_b32 s3, -1, 0
	s_delay_alu instid0(SALU_CYCLE_1)
	s_and_b32 vcc_lo, exec_lo, s3
	s_cbranch_vccnz .LBB362_126
; %bb.124:
	s_clause 0x1
	s_load_b96 s[4:6], s[0:1], 0x1c
	s_load_b96 s[8:10], s[0:1], 0xdc
	s_wait_kmcnt 0x0
	v_mul_hi_u32 v11, s5, v10
	s_delay_alu instid0(VALU_DEP_1) | instskip(NEXT) | instid1(VALU_DEP_1)
	v_add_nc_u32_e32 v11, v10, v11
	v_lshrrev_b32_e32 v11, s6, v11
	s_delay_alu instid0(VALU_DEP_1) | instskip(NEXT) | instid1(VALU_DEP_1)
	v_mul_lo_u32 v11, v11, s4
	v_sub_nc_u32_e32 v10, v10, v11
	s_delay_alu instid0(VALU_DEP_1)
	v_mad_u32 v5, v10, s8, v5
	v_mad_u32 v6, v10, s9, v6
	;; [unrolled: 1-line block ×3, first 2 shown]
	s_and_not1_b32 vcc_lo, exec_lo, s2
	s_cbranch_vccz .LBB362_127
	s_branch .LBB362_130
.LBB362_125:
	s_mov_b32 s2, -1
                                        ; implicit-def: $vgpr7
                                        ; implicit-def: $vgpr6
                                        ; implicit-def: $vgpr5
.LBB362_126:
	s_delay_alu instid0(SALU_CYCLE_1)
	s_and_not1_b32 vcc_lo, exec_lo, s2
	s_cbranch_vccnz .LBB362_130
.LBB362_127:
	s_clause 0x1
	s_load_b96 s[0:2], s[16:17], 0x4
	s_load_b96 s[4:6], s[16:17], 0xc4
	s_cmp_lt_u32 s26, 2
	s_wait_kmcnt 0x0
	v_mul_hi_u32 v5, s1, v9
	s_delay_alu instid0(VALU_DEP_1) | instskip(NEXT) | instid1(VALU_DEP_1)
	v_add_nc_u32_e32 v5, v9, v5
	v_lshrrev_b32_e32 v10, s2, v5
	s_delay_alu instid0(VALU_DEP_1) | instskip(NEXT) | instid1(VALU_DEP_1)
	v_mul_lo_u32 v5, v10, s0
	v_sub_nc_u32_e32 v6, v9, v5
	s_delay_alu instid0(VALU_DEP_1)
	v_mul_lo_u32 v5, v6, s4
	v_mul_lo_u32 v7, v6, s6
	;; [unrolled: 1-line block ×3, first 2 shown]
	s_cbranch_scc1 .LBB362_130
; %bb.128:
	s_clause 0x1
	s_load_b96 s[0:2], s[16:17], 0x10
	s_load_b96 s[4:6], s[16:17], 0xd0
	s_wait_kmcnt 0x0
	v_mul_hi_u32 v9, s1, v10
	s_delay_alu instid0(VALU_DEP_1) | instskip(NEXT) | instid1(VALU_DEP_1)
	v_add_nc_u32_e32 v9, v10, v9
	v_lshrrev_b32_e32 v9, s2, v9
	s_delay_alu instid0(VALU_DEP_1) | instskip(NEXT) | instid1(VALU_DEP_1)
	v_mul_lo_u32 v9, v9, s0
	v_sub_nc_u32_e32 v9, v10, v9
	s_delay_alu instid0(VALU_DEP_1)
	v_mad_u32 v5, v9, s4, v5
	v_mad_u32 v6, v9, s5, v6
	;; [unrolled: 1-line block ×3, first 2 shown]
	s_branch .LBB362_130
.LBB362_129:
	v_dual_mov_b32 v7, 0 :: v_dual_mov_b32 v6, 0
	v_mov_b32_e32 v5, 0
	s_and_not1_b32 vcc_lo, exec_lo, s2
	s_cbranch_vccz .LBB362_127
.LBB362_130:
	v_cmp_ne_u32_e32 vcc_lo, 1, v8
	v_add_nc_u32_e32 v12, 0x100, v0
	s_cbranch_vccnz .LBB362_136
; %bb.131:
	s_cmp_lg_u32 s26, 0
	s_mov_b32 s2, 0
	s_cbranch_scc0 .LBB362_140
; %bb.132:
	s_min_u32 s3, s27, 15
	v_dual_mov_b32 v9, 0 :: v_dual_mov_b32 v13, v12
	v_dual_mov_b32 v11, 0 :: v_dual_mov_b32 v10, 0
	s_add_co_i32 s4, s3, 1
	s_mov_b64 s[0:1], 0xffffffffffffffe8
	s_and_b32 s4, s4, 30
	s_add_nc_u64 s[0:1], s[16:17], s[0:1]
.LBB362_133:                            ; =>This Inner Loop Header: Depth=1
	s_clause 0x1
	s_load_b128 s[8:11], s[0:1], 0x1c
	s_load_b64 s[6:7], s[0:1], 0x2c
	s_add_co_i32 s4, s4, -2
	s_delay_alu instid0(SALU_CYCLE_1) | instskip(SKIP_2) | instid1(VALU_DEP_1)
	s_cmp_lg_u32 s4, 0
	s_wait_kmcnt 0x0
	v_mul_hi_u32 v14, s9, v13
	v_add_nc_u32_e32 v14, v13, v14
	s_delay_alu instid0(VALU_DEP_1) | instskip(NEXT) | instid1(VALU_DEP_1)
	v_lshrrev_b32_e32 v14, s10, v14
	v_mul_hi_u32 v15, s6, v14
	v_mul_lo_u32 v16, v14, s8
	s_clause 0x1
	s_load_b128 s[12:15], s[0:1], 0xdc
	s_load_b64 s[8:9], s[0:1], 0xec
	s_wait_xcnt 0x0
	s_add_nc_u64 s[0:1], s[0:1], 24
	s_delay_alu instid0(VALU_DEP_1) | instskip(NEXT) | instid1(VALU_DEP_1)
	v_dual_add_nc_u32 v15, v14, v15 :: v_dual_sub_nc_u32 v16, v13, v16
	v_lshrrev_b32_e32 v13, s7, v15
	s_wait_kmcnt 0x0
	s_delay_alu instid0(VALU_DEP_2) | instskip(NEXT) | instid1(VALU_DEP_2)
	v_mad_u32 v9, v16, s12, v9
	v_mul_lo_u32 v15, v13, s11
	v_mad_u32 v10, v16, s14, v10
	v_mad_u32 v11, v16, s13, v11
	s_delay_alu instid0(VALU_DEP_3) | instskip(NEXT) | instid1(VALU_DEP_1)
	v_sub_nc_u32_e32 v14, v14, v15
	v_mad_u32 v9, v14, s15, v9
	s_delay_alu instid0(VALU_DEP_4) | instskip(NEXT) | instid1(VALU_DEP_4)
	v_mad_u32 v10, v14, s9, v10
	v_mad_u32 v11, v14, s8, v11
	s_cbranch_scc1 .LBB362_133
; %bb.134:
	s_bitcmp1_b32 s3, 0
	s_cselect_b32 s3, -1, 0
	s_delay_alu instid0(SALU_CYCLE_1)
	s_and_b32 vcc_lo, exec_lo, s3
	s_cbranch_vccnz .LBB362_137
; %bb.135:
	s_clause 0x1
	s_load_b96 s[4:6], s[0:1], 0x1c
	s_load_b96 s[8:10], s[0:1], 0xdc
	s_wait_kmcnt 0x0
	v_mul_hi_u32 v14, s5, v13
	s_delay_alu instid0(VALU_DEP_1) | instskip(NEXT) | instid1(VALU_DEP_1)
	v_add_nc_u32_e32 v14, v13, v14
	v_lshrrev_b32_e32 v14, s6, v14
	s_delay_alu instid0(VALU_DEP_1) | instskip(NEXT) | instid1(VALU_DEP_1)
	v_mul_lo_u32 v14, v14, s4
	v_sub_nc_u32_e32 v13, v13, v14
	s_delay_alu instid0(VALU_DEP_1)
	v_mad_u32 v9, v13, s8, v9
	v_mad_u32 v11, v13, s9, v11
	;; [unrolled: 1-line block ×3, first 2 shown]
	s_and_not1_b32 vcc_lo, exec_lo, s2
	s_cbranch_vccz .LBB362_138
	s_branch .LBB362_141
.LBB362_136:
	s_mov_b32 s2, -1
                                        ; implicit-def: $vgpr10
                                        ; implicit-def: $vgpr11
                                        ; implicit-def: $vgpr9
.LBB362_137:
	s_delay_alu instid0(SALU_CYCLE_1)
	s_and_not1_b32 vcc_lo, exec_lo, s2
	s_cbranch_vccnz .LBB362_141
.LBB362_138:
	s_clause 0x1
	s_load_b96 s[0:2], s[16:17], 0x4
	s_load_b96 s[4:6], s[16:17], 0xc4
	s_cmp_lt_u32 s26, 2
	s_wait_kmcnt 0x0
	v_mul_hi_u32 v9, s1, v12
	s_delay_alu instid0(VALU_DEP_1) | instskip(NEXT) | instid1(VALU_DEP_1)
	v_add_nc_u32_e32 v9, v12, v9
	v_lshrrev_b32_e32 v13, s2, v9
	s_delay_alu instid0(VALU_DEP_1) | instskip(NEXT) | instid1(VALU_DEP_1)
	v_mul_lo_u32 v9, v13, s0
	v_sub_nc_u32_e32 v11, v12, v9
	s_delay_alu instid0(VALU_DEP_1)
	v_mul_lo_u32 v9, v11, s4
	v_mul_lo_u32 v10, v11, s6
	;; [unrolled: 1-line block ×3, first 2 shown]
	s_cbranch_scc1 .LBB362_141
; %bb.139:
	s_clause 0x1
	s_load_b96 s[0:2], s[16:17], 0x10
	s_load_b96 s[4:6], s[16:17], 0xd0
	s_wait_kmcnt 0x0
	v_mul_hi_u32 v12, s1, v13
	s_delay_alu instid0(VALU_DEP_1) | instskip(NEXT) | instid1(VALU_DEP_1)
	v_add_nc_u32_e32 v12, v13, v12
	v_lshrrev_b32_e32 v12, s2, v12
	s_delay_alu instid0(VALU_DEP_1) | instskip(NEXT) | instid1(VALU_DEP_1)
	v_mul_lo_u32 v12, v12, s0
	v_sub_nc_u32_e32 v12, v13, v12
	s_delay_alu instid0(VALU_DEP_1)
	v_mad_u32 v9, v12, s4, v9
	v_mad_u32 v11, v12, s5, v11
	;; [unrolled: 1-line block ×3, first 2 shown]
	s_branch .LBB362_141
.LBB362_140:
	v_dual_mov_b32 v10, 0 :: v_dual_mov_b32 v11, 0
	v_mov_b32_e32 v9, 0
	s_and_not1_b32 vcc_lo, exec_lo, s2
	s_cbranch_vccz .LBB362_138
.LBB362_141:
	v_cmp_ne_u32_e32 vcc_lo, 1, v8
	v_add_nc_u32_e32 v15, 0x180, v0
	s_cbranch_vccnz .LBB362_147
; %bb.142:
	s_cmp_lg_u32 s26, 0
	s_mov_b32 s2, 0
	s_cbranch_scc0 .LBB362_151
; %bb.143:
	s_min_u32 s3, s27, 15
	v_dual_mov_b32 v12, 0 :: v_dual_mov_b32 v16, v15
	v_dual_mov_b32 v14, 0 :: v_dual_mov_b32 v13, 0
	s_add_co_i32 s4, s3, 1
	s_mov_b64 s[0:1], 0xffffffffffffffe8
	s_and_b32 s4, s4, 30
	s_add_nc_u64 s[0:1], s[16:17], s[0:1]
.LBB362_144:                            ; =>This Inner Loop Header: Depth=1
	s_clause 0x1
	s_load_b128 s[8:11], s[0:1], 0x1c
	s_load_b64 s[6:7], s[0:1], 0x2c
	s_add_co_i32 s4, s4, -2
	s_delay_alu instid0(SALU_CYCLE_1) | instskip(SKIP_2) | instid1(VALU_DEP_1)
	s_cmp_lg_u32 s4, 0
	s_wait_kmcnt 0x0
	v_mul_hi_u32 v17, s9, v16
	v_add_nc_u32_e32 v17, v16, v17
	s_delay_alu instid0(VALU_DEP_1) | instskip(NEXT) | instid1(VALU_DEP_1)
	v_lshrrev_b32_e32 v17, s10, v17
	v_mul_hi_u32 v18, s6, v17
	v_mul_lo_u32 v19, v17, s8
	s_clause 0x1
	s_load_b128 s[12:15], s[0:1], 0xdc
	s_load_b64 s[8:9], s[0:1], 0xec
	s_wait_xcnt 0x0
	s_add_nc_u64 s[0:1], s[0:1], 24
	s_delay_alu instid0(VALU_DEP_1) | instskip(NEXT) | instid1(VALU_DEP_1)
	v_dual_add_nc_u32 v18, v17, v18 :: v_dual_sub_nc_u32 v19, v16, v19
	v_lshrrev_b32_e32 v16, s7, v18
	s_wait_kmcnt 0x0
	s_delay_alu instid0(VALU_DEP_2) | instskip(NEXT) | instid1(VALU_DEP_2)
	v_mad_u32 v12, v19, s12, v12
	v_mul_lo_u32 v18, v16, s11
	v_mad_u32 v13, v19, s14, v13
	v_mad_u32 v14, v19, s13, v14
	s_delay_alu instid0(VALU_DEP_3) | instskip(NEXT) | instid1(VALU_DEP_1)
	v_sub_nc_u32_e32 v17, v17, v18
	v_mad_u32 v12, v17, s15, v12
	s_delay_alu instid0(VALU_DEP_4) | instskip(NEXT) | instid1(VALU_DEP_4)
	v_mad_u32 v13, v17, s9, v13
	v_mad_u32 v14, v17, s8, v14
	s_cbranch_scc1 .LBB362_144
; %bb.145:
	s_bitcmp1_b32 s3, 0
	s_cselect_b32 s3, -1, 0
	s_delay_alu instid0(SALU_CYCLE_1)
	s_and_b32 vcc_lo, exec_lo, s3
	s_cbranch_vccnz .LBB362_148
; %bb.146:
	s_clause 0x1
	s_load_b96 s[4:6], s[0:1], 0x1c
	s_load_b96 s[8:10], s[0:1], 0xdc
	s_wait_kmcnt 0x0
	v_mul_hi_u32 v17, s5, v16
	s_delay_alu instid0(VALU_DEP_1) | instskip(NEXT) | instid1(VALU_DEP_1)
	v_add_nc_u32_e32 v17, v16, v17
	v_lshrrev_b32_e32 v17, s6, v17
	s_delay_alu instid0(VALU_DEP_1) | instskip(NEXT) | instid1(VALU_DEP_1)
	v_mul_lo_u32 v17, v17, s4
	v_sub_nc_u32_e32 v16, v16, v17
	s_delay_alu instid0(VALU_DEP_1)
	v_mad_u32 v12, v16, s8, v12
	v_mad_u32 v14, v16, s9, v14
	;; [unrolled: 1-line block ×3, first 2 shown]
	s_and_not1_b32 vcc_lo, exec_lo, s2
	s_cbranch_vccz .LBB362_149
	s_branch .LBB362_152
.LBB362_147:
	s_mov_b32 s2, -1
                                        ; implicit-def: $vgpr13
                                        ; implicit-def: $vgpr14
                                        ; implicit-def: $vgpr12
.LBB362_148:
	s_delay_alu instid0(SALU_CYCLE_1)
	s_and_not1_b32 vcc_lo, exec_lo, s2
	s_cbranch_vccnz .LBB362_152
.LBB362_149:
	s_clause 0x1
	s_load_b96 s[0:2], s[16:17], 0x4
	s_load_b96 s[4:6], s[16:17], 0xc4
	s_cmp_lt_u32 s26, 2
	s_wait_kmcnt 0x0
	v_mul_hi_u32 v12, s1, v15
	s_delay_alu instid0(VALU_DEP_1) | instskip(NEXT) | instid1(VALU_DEP_1)
	v_add_nc_u32_e32 v12, v15, v12
	v_lshrrev_b32_e32 v16, s2, v12
	s_delay_alu instid0(VALU_DEP_1) | instskip(NEXT) | instid1(VALU_DEP_1)
	v_mul_lo_u32 v12, v16, s0
	v_sub_nc_u32_e32 v14, v15, v12
	s_delay_alu instid0(VALU_DEP_1)
	v_mul_lo_u32 v12, v14, s4
	v_mul_lo_u32 v13, v14, s6
	;; [unrolled: 1-line block ×3, first 2 shown]
	s_cbranch_scc1 .LBB362_152
; %bb.150:
	s_clause 0x1
	s_load_b96 s[0:2], s[16:17], 0x10
	s_load_b96 s[4:6], s[16:17], 0xd0
	s_wait_kmcnt 0x0
	v_mul_hi_u32 v15, s1, v16
	s_delay_alu instid0(VALU_DEP_1) | instskip(NEXT) | instid1(VALU_DEP_1)
	v_add_nc_u32_e32 v15, v16, v15
	v_lshrrev_b32_e32 v15, s2, v15
	s_delay_alu instid0(VALU_DEP_1) | instskip(NEXT) | instid1(VALU_DEP_1)
	v_mul_lo_u32 v15, v15, s0
	v_sub_nc_u32_e32 v15, v16, v15
	s_delay_alu instid0(VALU_DEP_1)
	v_mad_u32 v12, v15, s4, v12
	v_mad_u32 v14, v15, s5, v14
	;; [unrolled: 1-line block ×3, first 2 shown]
	s_branch .LBB362_152
.LBB362_151:
	v_dual_mov_b32 v13, 0 :: v_dual_mov_b32 v14, 0
	v_mov_b32_e32 v12, 0
	s_and_not1_b32 vcc_lo, exec_lo, s2
	s_cbranch_vccz .LBB362_149
.LBB362_152:
	v_cmp_ne_u32_e32 vcc_lo, 1, v8
	v_add_nc_u32_e32 v18, 0x200, v0
	s_cbranch_vccnz .LBB362_158
; %bb.153:
	s_cmp_lg_u32 s26, 0
	s_mov_b32 s2, 0
	s_cbranch_scc0 .LBB362_162
; %bb.154:
	s_min_u32 s3, s27, 15
	v_dual_mov_b32 v15, 0 :: v_dual_mov_b32 v19, v18
	v_dual_mov_b32 v16, 0 :: v_dual_mov_b32 v17, 0
	s_add_co_i32 s4, s3, 1
	s_mov_b64 s[0:1], 0xffffffffffffffe8
	s_and_b32 s4, s4, 30
	s_add_nc_u64 s[0:1], s[16:17], s[0:1]
.LBB362_155:                            ; =>This Inner Loop Header: Depth=1
	s_clause 0x1
	s_load_b128 s[8:11], s[0:1], 0x1c
	s_load_b64 s[6:7], s[0:1], 0x2c
	s_add_co_i32 s4, s4, -2
	s_delay_alu instid0(SALU_CYCLE_1) | instskip(SKIP_2) | instid1(VALU_DEP_1)
	s_cmp_lg_u32 s4, 0
	s_wait_kmcnt 0x0
	v_mul_hi_u32 v20, s9, v19
	v_add_nc_u32_e32 v20, v19, v20
	s_delay_alu instid0(VALU_DEP_1) | instskip(NEXT) | instid1(VALU_DEP_1)
	v_lshrrev_b32_e32 v20, s10, v20
	v_mul_hi_u32 v21, s6, v20
	v_mul_lo_u32 v22, v20, s8
	s_clause 0x1
	s_load_b128 s[12:15], s[0:1], 0xdc
	s_load_b64 s[8:9], s[0:1], 0xec
	s_wait_xcnt 0x0
	s_add_nc_u64 s[0:1], s[0:1], 24
	s_delay_alu instid0(VALU_DEP_1) | instskip(NEXT) | instid1(VALU_DEP_1)
	v_dual_add_nc_u32 v21, v20, v21 :: v_dual_sub_nc_u32 v22, v19, v22
	v_lshrrev_b32_e32 v19, s7, v21
	s_wait_kmcnt 0x0
	s_delay_alu instid0(VALU_DEP_2) | instskip(NEXT) | instid1(VALU_DEP_2)
	v_mad_u32 v15, v22, s12, v15
	v_mul_lo_u32 v21, v19, s11
	v_mad_u32 v17, v22, s14, v17
	v_mad_u32 v16, v22, s13, v16
	s_delay_alu instid0(VALU_DEP_3) | instskip(NEXT) | instid1(VALU_DEP_1)
	v_sub_nc_u32_e32 v20, v20, v21
	v_mad_u32 v15, v20, s15, v15
	s_delay_alu instid0(VALU_DEP_4) | instskip(NEXT) | instid1(VALU_DEP_4)
	v_mad_u32 v17, v20, s9, v17
	v_mad_u32 v16, v20, s8, v16
	s_cbranch_scc1 .LBB362_155
; %bb.156:
	s_bitcmp1_b32 s3, 0
	s_cselect_b32 s3, -1, 0
	s_delay_alu instid0(SALU_CYCLE_1)
	s_and_b32 vcc_lo, exec_lo, s3
	s_cbranch_vccnz .LBB362_159
; %bb.157:
	s_clause 0x1
	s_load_b96 s[4:6], s[0:1], 0x1c
	s_load_b96 s[8:10], s[0:1], 0xdc
	s_wait_kmcnt 0x0
	v_mul_hi_u32 v20, s5, v19
	s_delay_alu instid0(VALU_DEP_1) | instskip(NEXT) | instid1(VALU_DEP_1)
	v_add_nc_u32_e32 v20, v19, v20
	v_lshrrev_b32_e32 v20, s6, v20
	s_delay_alu instid0(VALU_DEP_1) | instskip(NEXT) | instid1(VALU_DEP_1)
	v_mul_lo_u32 v20, v20, s4
	v_sub_nc_u32_e32 v19, v19, v20
	s_delay_alu instid0(VALU_DEP_1)
	v_mad_u32 v15, v19, s8, v15
	v_mad_u32 v16, v19, s9, v16
	;; [unrolled: 1-line block ×3, first 2 shown]
	s_and_not1_b32 vcc_lo, exec_lo, s2
	s_cbranch_vccz .LBB362_160
	s_branch .LBB362_163
.LBB362_158:
	s_mov_b32 s2, -1
                                        ; implicit-def: $vgpr17
                                        ; implicit-def: $vgpr16
                                        ; implicit-def: $vgpr15
.LBB362_159:
	s_delay_alu instid0(SALU_CYCLE_1)
	s_and_not1_b32 vcc_lo, exec_lo, s2
	s_cbranch_vccnz .LBB362_163
.LBB362_160:
	s_clause 0x1
	s_load_b96 s[0:2], s[16:17], 0x4
	s_load_b96 s[4:6], s[16:17], 0xc4
	s_cmp_lt_u32 s26, 2
	s_wait_kmcnt 0x0
	v_mul_hi_u32 v15, s1, v18
	s_delay_alu instid0(VALU_DEP_1) | instskip(NEXT) | instid1(VALU_DEP_1)
	v_add_nc_u32_e32 v15, v18, v15
	v_lshrrev_b32_e32 v19, s2, v15
	s_delay_alu instid0(VALU_DEP_1) | instskip(NEXT) | instid1(VALU_DEP_1)
	v_mul_lo_u32 v15, v19, s0
	v_sub_nc_u32_e32 v16, v18, v15
	s_delay_alu instid0(VALU_DEP_1)
	v_mul_lo_u32 v15, v16, s4
	v_mul_lo_u32 v17, v16, s6
	;; [unrolled: 1-line block ×3, first 2 shown]
	s_cbranch_scc1 .LBB362_163
; %bb.161:
	s_clause 0x1
	s_load_b96 s[0:2], s[16:17], 0x10
	s_load_b96 s[4:6], s[16:17], 0xd0
	s_wait_kmcnt 0x0
	v_mul_hi_u32 v18, s1, v19
	s_delay_alu instid0(VALU_DEP_1) | instskip(NEXT) | instid1(VALU_DEP_1)
	v_add_nc_u32_e32 v18, v19, v18
	v_lshrrev_b32_e32 v18, s2, v18
	s_delay_alu instid0(VALU_DEP_1) | instskip(NEXT) | instid1(VALU_DEP_1)
	v_mul_lo_u32 v18, v18, s0
	v_sub_nc_u32_e32 v18, v19, v18
	s_delay_alu instid0(VALU_DEP_1)
	v_mad_u32 v15, v18, s4, v15
	v_mad_u32 v16, v18, s5, v16
	;; [unrolled: 1-line block ×3, first 2 shown]
	s_branch .LBB362_163
.LBB362_162:
	v_dual_mov_b32 v17, 0 :: v_dual_mov_b32 v16, 0
	v_mov_b32_e32 v15, 0
	s_and_not1_b32 vcc_lo, exec_lo, s2
	s_cbranch_vccz .LBB362_160
.LBB362_163:
	v_cmp_ne_u32_e32 vcc_lo, 1, v8
	v_add_nc_u32_e32 v21, 0x280, v0
	s_cbranch_vccnz .LBB362_169
; %bb.164:
	s_cmp_lg_u32 s26, 0
	s_mov_b32 s2, 0
	s_cbranch_scc0 .LBB362_173
; %bb.165:
	s_min_u32 s3, s27, 15
	v_dual_mov_b32 v18, 0 :: v_dual_mov_b32 v22, v21
	v_dual_mov_b32 v19, 0 :: v_dual_mov_b32 v20, 0
	s_add_co_i32 s4, s3, 1
	s_mov_b64 s[0:1], 0xffffffffffffffe8
	s_and_b32 s4, s4, 30
	s_add_nc_u64 s[0:1], s[16:17], s[0:1]
.LBB362_166:                            ; =>This Inner Loop Header: Depth=1
	s_clause 0x1
	s_load_b128 s[8:11], s[0:1], 0x1c
	s_load_b64 s[6:7], s[0:1], 0x2c
	s_add_co_i32 s4, s4, -2
	s_delay_alu instid0(SALU_CYCLE_1) | instskip(SKIP_2) | instid1(VALU_DEP_1)
	s_cmp_lg_u32 s4, 0
	s_wait_kmcnt 0x0
	v_mul_hi_u32 v23, s9, v22
	v_add_nc_u32_e32 v23, v22, v23
	s_delay_alu instid0(VALU_DEP_1) | instskip(NEXT) | instid1(VALU_DEP_1)
	v_lshrrev_b32_e32 v23, s10, v23
	v_mul_hi_u32 v24, s6, v23
	v_mul_lo_u32 v25, v23, s8
	s_clause 0x1
	s_load_b128 s[12:15], s[0:1], 0xdc
	s_load_b64 s[8:9], s[0:1], 0xec
	s_wait_xcnt 0x0
	s_add_nc_u64 s[0:1], s[0:1], 24
	s_delay_alu instid0(VALU_DEP_1) | instskip(NEXT) | instid1(VALU_DEP_1)
	v_dual_add_nc_u32 v24, v23, v24 :: v_dual_sub_nc_u32 v25, v22, v25
	v_lshrrev_b32_e32 v22, s7, v24
	s_wait_kmcnt 0x0
	s_delay_alu instid0(VALU_DEP_2) | instskip(NEXT) | instid1(VALU_DEP_2)
	v_mad_u32 v18, v25, s12, v18
	v_mul_lo_u32 v24, v22, s11
	v_mad_u32 v20, v25, s14, v20
	v_mad_u32 v19, v25, s13, v19
	s_delay_alu instid0(VALU_DEP_3) | instskip(NEXT) | instid1(VALU_DEP_1)
	v_sub_nc_u32_e32 v23, v23, v24
	v_mad_u32 v18, v23, s15, v18
	s_delay_alu instid0(VALU_DEP_4) | instskip(NEXT) | instid1(VALU_DEP_4)
	v_mad_u32 v20, v23, s9, v20
	v_mad_u32 v19, v23, s8, v19
	s_cbranch_scc1 .LBB362_166
; %bb.167:
	s_bitcmp1_b32 s3, 0
	s_cselect_b32 s3, -1, 0
	s_delay_alu instid0(SALU_CYCLE_1)
	s_and_b32 vcc_lo, exec_lo, s3
	s_cbranch_vccnz .LBB362_170
; %bb.168:
	s_clause 0x1
	s_load_b96 s[4:6], s[0:1], 0x1c
	s_load_b96 s[8:10], s[0:1], 0xdc
	s_wait_kmcnt 0x0
	v_mul_hi_u32 v23, s5, v22
	s_delay_alu instid0(VALU_DEP_1) | instskip(NEXT) | instid1(VALU_DEP_1)
	v_add_nc_u32_e32 v23, v22, v23
	v_lshrrev_b32_e32 v23, s6, v23
	s_delay_alu instid0(VALU_DEP_1) | instskip(NEXT) | instid1(VALU_DEP_1)
	v_mul_lo_u32 v23, v23, s4
	v_sub_nc_u32_e32 v22, v22, v23
	s_delay_alu instid0(VALU_DEP_1)
	v_mad_u32 v18, v22, s8, v18
	v_mad_u32 v19, v22, s9, v19
	;; [unrolled: 1-line block ×3, first 2 shown]
	s_and_not1_b32 vcc_lo, exec_lo, s2
	s_cbranch_vccz .LBB362_171
	s_branch .LBB362_174
.LBB362_169:
	s_mov_b32 s2, -1
                                        ; implicit-def: $vgpr20
                                        ; implicit-def: $vgpr19
                                        ; implicit-def: $vgpr18
.LBB362_170:
	s_delay_alu instid0(SALU_CYCLE_1)
	s_and_not1_b32 vcc_lo, exec_lo, s2
	s_cbranch_vccnz .LBB362_174
.LBB362_171:
	s_clause 0x1
	s_load_b96 s[0:2], s[16:17], 0x4
	s_load_b96 s[4:6], s[16:17], 0xc4
	s_cmp_lt_u32 s26, 2
	s_wait_kmcnt 0x0
	v_mul_hi_u32 v18, s1, v21
	s_delay_alu instid0(VALU_DEP_1) | instskip(NEXT) | instid1(VALU_DEP_1)
	v_add_nc_u32_e32 v18, v21, v18
	v_lshrrev_b32_e32 v22, s2, v18
	s_delay_alu instid0(VALU_DEP_1) | instskip(NEXT) | instid1(VALU_DEP_1)
	v_mul_lo_u32 v18, v22, s0
	v_sub_nc_u32_e32 v19, v21, v18
	s_delay_alu instid0(VALU_DEP_1)
	v_mul_lo_u32 v18, v19, s4
	v_mul_lo_u32 v20, v19, s6
	;; [unrolled: 1-line block ×3, first 2 shown]
	s_cbranch_scc1 .LBB362_174
; %bb.172:
	s_clause 0x1
	s_load_b96 s[0:2], s[16:17], 0x10
	s_load_b96 s[4:6], s[16:17], 0xd0
	s_wait_kmcnt 0x0
	v_mul_hi_u32 v21, s1, v22
	s_delay_alu instid0(VALU_DEP_1) | instskip(NEXT) | instid1(VALU_DEP_1)
	v_add_nc_u32_e32 v21, v22, v21
	v_lshrrev_b32_e32 v21, s2, v21
	s_delay_alu instid0(VALU_DEP_1) | instskip(NEXT) | instid1(VALU_DEP_1)
	v_mul_lo_u32 v21, v21, s0
	v_sub_nc_u32_e32 v21, v22, v21
	s_delay_alu instid0(VALU_DEP_1)
	v_mad_u32 v18, v21, s4, v18
	v_mad_u32 v19, v21, s5, v19
	;; [unrolled: 1-line block ×3, first 2 shown]
	s_branch .LBB362_174
.LBB362_173:
	v_dual_mov_b32 v20, 0 :: v_dual_mov_b32 v19, 0
	v_mov_b32_e32 v18, 0
	s_and_not1_b32 vcc_lo, exec_lo, s2
	s_cbranch_vccz .LBB362_171
.LBB362_174:
	v_cmp_ne_u32_e32 vcc_lo, 1, v8
	v_add_nc_u32_e32 v23, 0x300, v0
	s_cbranch_vccnz .LBB362_180
; %bb.175:
	s_cmp_lg_u32 s26, 0
	s_mov_b32 s2, 0
	s_cbranch_scc0 .LBB362_184
; %bb.176:
	s_min_u32 s3, s27, 15
	v_dual_mov_b32 v0, 0 :: v_dual_mov_b32 v24, v23
	v_dual_mov_b32 v22, 0 :: v_dual_mov_b32 v21, 0
	s_add_co_i32 s4, s3, 1
	s_mov_b64 s[0:1], 0xffffffffffffffe8
	s_and_b32 s4, s4, 30
	s_add_nc_u64 s[0:1], s[16:17], s[0:1]
.LBB362_177:                            ; =>This Inner Loop Header: Depth=1
	s_clause 0x1
	s_load_b128 s[8:11], s[0:1], 0x1c
	s_load_b64 s[6:7], s[0:1], 0x2c
	s_add_co_i32 s4, s4, -2
	s_delay_alu instid0(SALU_CYCLE_1) | instskip(SKIP_2) | instid1(VALU_DEP_1)
	s_cmp_lg_u32 s4, 0
	s_wait_kmcnt 0x0
	v_mul_hi_u32 v25, s9, v24
	v_add_nc_u32_e32 v25, v24, v25
	s_delay_alu instid0(VALU_DEP_1) | instskip(NEXT) | instid1(VALU_DEP_1)
	v_lshrrev_b32_e32 v25, s10, v25
	v_mul_hi_u32 v26, s6, v25
	v_mul_lo_u32 v27, v25, s8
	s_clause 0x1
	s_load_b128 s[12:15], s[0:1], 0xdc
	s_load_b64 s[8:9], s[0:1], 0xec
	s_wait_xcnt 0x0
	s_add_nc_u64 s[0:1], s[0:1], 24
	s_delay_alu instid0(VALU_DEP_1) | instskip(NEXT) | instid1(VALU_DEP_1)
	v_dual_add_nc_u32 v26, v25, v26 :: v_dual_sub_nc_u32 v27, v24, v27
	v_lshrrev_b32_e32 v24, s7, v26
	s_wait_kmcnt 0x0
	s_delay_alu instid0(VALU_DEP_2) | instskip(NEXT) | instid1(VALU_DEP_2)
	v_mad_u32 v0, v27, s12, v0
	v_mul_lo_u32 v26, v24, s11
	v_mad_u32 v21, v27, s14, v21
	v_mad_u32 v22, v27, s13, v22
	s_delay_alu instid0(VALU_DEP_3) | instskip(NEXT) | instid1(VALU_DEP_1)
	v_sub_nc_u32_e32 v25, v25, v26
	v_mad_u32 v0, v25, s15, v0
	s_delay_alu instid0(VALU_DEP_4) | instskip(NEXT) | instid1(VALU_DEP_4)
	v_mad_u32 v21, v25, s9, v21
	v_mad_u32 v22, v25, s8, v22
	s_cbranch_scc1 .LBB362_177
; %bb.178:
	s_bitcmp1_b32 s3, 0
	s_cselect_b32 s3, -1, 0
	s_delay_alu instid0(SALU_CYCLE_1)
	s_and_b32 vcc_lo, exec_lo, s3
	s_cbranch_vccnz .LBB362_181
; %bb.179:
	s_clause 0x1
	s_load_b96 s[4:6], s[0:1], 0x1c
	s_load_b96 s[8:10], s[0:1], 0xdc
	s_wait_kmcnt 0x0
	v_mul_hi_u32 v25, s5, v24
	s_delay_alu instid0(VALU_DEP_1) | instskip(NEXT) | instid1(VALU_DEP_1)
	v_add_nc_u32_e32 v25, v24, v25
	v_lshrrev_b32_e32 v25, s6, v25
	s_delay_alu instid0(VALU_DEP_1) | instskip(NEXT) | instid1(VALU_DEP_1)
	v_mul_lo_u32 v25, v25, s4
	v_sub_nc_u32_e32 v24, v24, v25
	s_delay_alu instid0(VALU_DEP_1)
	v_mad_u32 v0, v24, s8, v0
	v_mad_u32 v22, v24, s9, v22
	v_mad_u32 v21, v24, s10, v21
	s_and_not1_b32 vcc_lo, exec_lo, s2
	s_cbranch_vccz .LBB362_182
	s_branch .LBB362_185
.LBB362_180:
	s_mov_b32 s2, -1
                                        ; implicit-def: $vgpr21
                                        ; implicit-def: $vgpr22
                                        ; implicit-def: $vgpr0
.LBB362_181:
	s_delay_alu instid0(SALU_CYCLE_1)
	s_and_not1_b32 vcc_lo, exec_lo, s2
	s_cbranch_vccnz .LBB362_185
.LBB362_182:
	s_clause 0x1
	s_load_b96 s[0:2], s[16:17], 0x4
	s_load_b96 s[4:6], s[16:17], 0xc4
	s_cmp_lt_u32 s26, 2
	s_wait_kmcnt 0x0
	v_mul_hi_u32 v0, s1, v23
	s_delay_alu instid0(VALU_DEP_1) | instskip(NEXT) | instid1(VALU_DEP_1)
	v_add_nc_u32_e32 v0, v23, v0
	v_lshrrev_b32_e32 v24, s2, v0
	s_delay_alu instid0(VALU_DEP_1) | instskip(NEXT) | instid1(VALU_DEP_1)
	v_mul_lo_u32 v0, v24, s0
	v_sub_nc_u32_e32 v22, v23, v0
	s_delay_alu instid0(VALU_DEP_1)
	v_mul_lo_u32 v0, v22, s4
	v_mul_lo_u32 v21, v22, s6
	;; [unrolled: 1-line block ×3, first 2 shown]
	s_cbranch_scc1 .LBB362_185
; %bb.183:
	s_clause 0x1
	s_load_b96 s[0:2], s[16:17], 0x10
	s_load_b96 s[4:6], s[16:17], 0xd0
	s_wait_kmcnt 0x0
	v_mul_hi_u32 v23, s1, v24
	s_delay_alu instid0(VALU_DEP_1) | instskip(NEXT) | instid1(VALU_DEP_1)
	v_add_nc_u32_e32 v23, v24, v23
	v_lshrrev_b32_e32 v23, s2, v23
	s_delay_alu instid0(VALU_DEP_1) | instskip(NEXT) | instid1(VALU_DEP_1)
	v_mul_lo_u32 v23, v23, s0
	v_sub_nc_u32_e32 v23, v24, v23
	s_delay_alu instid0(VALU_DEP_1)
	v_mad_u32 v0, v23, s4, v0
	v_mad_u32 v22, v23, s5, v22
	;; [unrolled: 1-line block ×3, first 2 shown]
	s_branch .LBB362_185
.LBB362_184:
	v_dual_mov_b32 v21, 0 :: v_dual_mov_b32 v22, 0
	v_mov_b32_e32 v0, 0
	s_and_not1_b32 vcc_lo, exec_lo, s2
	s_cbranch_vccz .LBB362_182
.LBB362_185:
	v_cmp_ne_u32_e32 vcc_lo, 1, v8
	s_cbranch_vccnz .LBB362_191
; %bb.186:
	s_cmp_lg_u32 s26, 0
	s_mov_b32 s2, 0
	s_cbranch_scc0 .LBB362_195
; %bb.187:
	s_min_u32 s3, s27, 15
	v_dual_mov_b32 v8, 0 :: v_dual_mov_b32 v25, v4
	v_dual_mov_b32 v24, 0 :: v_dual_mov_b32 v23, 0
	s_add_co_i32 s4, s3, 1
	s_mov_b64 s[0:1], 0xffffffffffffffe8
	s_and_b32 s4, s4, 30
	s_add_nc_u64 s[0:1], s[16:17], s[0:1]
.LBB362_188:                            ; =>This Inner Loop Header: Depth=1
	s_clause 0x1
	s_load_b128 s[8:11], s[0:1], 0x1c
	s_load_b64 s[6:7], s[0:1], 0x2c
	s_add_co_i32 s4, s4, -2
	s_delay_alu instid0(SALU_CYCLE_1) | instskip(SKIP_2) | instid1(VALU_DEP_1)
	s_cmp_lg_u32 s4, 0
	s_wait_kmcnt 0x0
	v_mul_hi_u32 v26, s9, v25
	v_add_nc_u32_e32 v26, v25, v26
	s_delay_alu instid0(VALU_DEP_1) | instskip(NEXT) | instid1(VALU_DEP_1)
	v_lshrrev_b32_e32 v26, s10, v26
	v_mul_hi_u32 v27, s6, v26
	v_mul_lo_u32 v28, v26, s8
	s_clause 0x1
	s_load_b128 s[12:15], s[0:1], 0xdc
	s_load_b64 s[8:9], s[0:1], 0xec
	s_wait_xcnt 0x0
	s_add_nc_u64 s[0:1], s[0:1], 24
	s_delay_alu instid0(VALU_DEP_1) | instskip(NEXT) | instid1(VALU_DEP_1)
	v_dual_add_nc_u32 v27, v26, v27 :: v_dual_sub_nc_u32 v28, v25, v28
	v_lshrrev_b32_e32 v25, s7, v27
	s_wait_kmcnt 0x0
	s_delay_alu instid0(VALU_DEP_2) | instskip(NEXT) | instid1(VALU_DEP_2)
	v_mad_u32 v8, v28, s12, v8
	v_mul_lo_u32 v27, v25, s11
	v_mad_u32 v23, v28, s14, v23
	v_mad_u32 v24, v28, s13, v24
	s_delay_alu instid0(VALU_DEP_3) | instskip(NEXT) | instid1(VALU_DEP_1)
	v_sub_nc_u32_e32 v26, v26, v27
	v_mad_u32 v8, v26, s15, v8
	s_delay_alu instid0(VALU_DEP_4) | instskip(NEXT) | instid1(VALU_DEP_4)
	v_mad_u32 v23, v26, s9, v23
	v_mad_u32 v24, v26, s8, v24
	s_cbranch_scc1 .LBB362_188
; %bb.189:
	s_bitcmp1_b32 s3, 0
	s_cselect_b32 s3, -1, 0
	s_delay_alu instid0(SALU_CYCLE_1)
	s_and_b32 vcc_lo, exec_lo, s3
	s_cbranch_vccnz .LBB362_192
; %bb.190:
	s_clause 0x1
	s_load_b96 s[4:6], s[0:1], 0x1c
	s_load_b96 s[8:10], s[0:1], 0xdc
	s_wait_kmcnt 0x0
	v_mul_hi_u32 v26, s5, v25
	s_delay_alu instid0(VALU_DEP_1) | instskip(NEXT) | instid1(VALU_DEP_1)
	v_add_nc_u32_e32 v26, v25, v26
	v_lshrrev_b32_e32 v26, s6, v26
	s_delay_alu instid0(VALU_DEP_1) | instskip(NEXT) | instid1(VALU_DEP_1)
	v_mul_lo_u32 v26, v26, s4
	v_sub_nc_u32_e32 v25, v25, v26
	s_delay_alu instid0(VALU_DEP_1)
	v_mad_u32 v8, v25, s8, v8
	v_mad_u32 v24, v25, s9, v24
	;; [unrolled: 1-line block ×3, first 2 shown]
	s_and_not1_b32 vcc_lo, exec_lo, s2
	s_cbranch_vccz .LBB362_193
	s_branch .LBB362_196
.LBB362_191:
	s_mov_b32 s2, -1
                                        ; implicit-def: $vgpr23
                                        ; implicit-def: $vgpr24
                                        ; implicit-def: $vgpr8
.LBB362_192:
	s_delay_alu instid0(SALU_CYCLE_1)
	s_and_not1_b32 vcc_lo, exec_lo, s2
	s_cbranch_vccnz .LBB362_196
.LBB362_193:
	s_clause 0x1
	s_load_b96 s[0:2], s[16:17], 0x4
	s_load_b96 s[4:6], s[16:17], 0xc4
	s_cmp_lt_u32 s26, 2
	s_wait_kmcnt 0x0
	v_mul_hi_u32 v8, s1, v4
	s_delay_alu instid0(VALU_DEP_1) | instskip(NEXT) | instid1(VALU_DEP_1)
	v_add_nc_u32_e32 v8, v4, v8
	v_lshrrev_b32_e32 v25, s2, v8
	s_delay_alu instid0(VALU_DEP_1) | instskip(NEXT) | instid1(VALU_DEP_1)
	v_mul_lo_u32 v8, v25, s0
	v_sub_nc_u32_e32 v4, v4, v8
	s_delay_alu instid0(VALU_DEP_1)
	v_mul_lo_u32 v8, v4, s4
	v_mul_lo_u32 v23, v4, s6
	;; [unrolled: 1-line block ×3, first 2 shown]
	s_cbranch_scc1 .LBB362_196
; %bb.194:
	s_clause 0x1
	s_load_b96 s[0:2], s[16:17], 0x10
	s_load_b96 s[4:6], s[16:17], 0xd0
	s_wait_kmcnt 0x0
	v_mul_hi_u32 v4, s1, v25
	s_delay_alu instid0(VALU_DEP_1) | instskip(NEXT) | instid1(VALU_DEP_1)
	v_add_nc_u32_e32 v4, v25, v4
	v_lshrrev_b32_e32 v4, s2, v4
	s_delay_alu instid0(VALU_DEP_1) | instskip(NEXT) | instid1(VALU_DEP_1)
	v_mul_lo_u32 v4, v4, s0
	v_sub_nc_u32_e32 v4, v25, v4
	s_delay_alu instid0(VALU_DEP_1)
	v_mad_u32 v8, v4, s4, v8
	v_mad_u32 v24, v4, s5, v24
	;; [unrolled: 1-line block ×3, first 2 shown]
	s_branch .LBB362_196
.LBB362_195:
	v_dual_mov_b32 v23, 0 :: v_dual_mov_b32 v24, 0
	v_mov_b32_e32 v8, 0
	s_and_not1_b32 vcc_lo, exec_lo, s2
	s_cbranch_vccz .LBB362_193
.LBB362_196:
	s_clause 0x1
	s_load_b128 s[8:11], s[16:17], 0x188
	s_load_b96 s[0:2], s[16:17], 0x198
	s_wait_kmcnt 0x0
	global_load_b64 v[26:27], v3, s[10:11]
	global_load_b64 v[28:29], v2, s[0:1]
	;; [unrolled: 1-line block ×15, first 2 shown]
                                        ; kill: killed $vgpr17
                                        ; kill: killed $vgpr11
                                        ; kill: killed $vgpr22
                                        ; kill: killed $vgpr7
                                        ; kill: killed $vgpr20
                                        ; kill: killed $vgpr14
                                        ; kill: killed $vgpr24
                                        ; kill: killed $vgpr10
                                        ; kill: killed $vgpr3
                                        ; kill: killed $vgpr21
                                        ; kill: killed $vgpr16
                                        ; kill: killed $vgpr13
                                        ; kill: killed $vgpr6
                                        ; kill: killed $sgpr10_sgpr11
                                        ; kill: killed $vgpr19
                                        ; kill: killed $vgpr2
	global_load_b64 v[2:3], v23, s[0:1]
	s_cmp_eq_u32 s2, 0
	s_cselect_b32 s7, -1, 0
	s_wait_loadcnt 0xe
	v_cmp_ne_u64_e32 vcc_lo, v[26:27], v[28:29]
	s_wait_loadcnt 0xc
	s_wait_xcnt 0x0
	v_cmp_ne_u64_e64 s0, v[30:31], v[32:33]
	s_wait_loadcnt 0xa
	v_cmp_ne_u64_e64 s1, v[34:35], v[36:37]
	s_wait_loadcnt 0x8
	v_cmp_ne_u64_e64 s2, v[38:39], v[40:41]
	s_xor_b32 s10, s7, vcc_lo
	s_wait_loadcnt 0x6
	v_cmp_ne_u64_e64 s3, v[42:43], v[44:45]
	s_xor_b32 s0, s7, s0
	s_wait_loadcnt 0x4
	v_cmp_ne_u64_e64 s4, v[46:47], v[48:49]
	s_wait_loadcnt 0x2
	v_cmp_ne_u64_e64 s5, v[50:51], v[52:53]
	;; [unrolled: 2-line block ×3, first 2 shown]
	v_cndmask_b32_e64 v3, 0, 1, s0
	s_xor_b32 s0, s7, s1
	v_cndmask_b32_e64 v2, 0, 1, s10
	v_cndmask_b32_e64 v4, 0, 1, s0
	s_xor_b32 s0, s7, s2
	s_delay_alu instid0(SALU_CYCLE_1) | instskip(SKIP_1) | instid1(SALU_CYCLE_1)
	v_cndmask_b32_e64 v6, 0, 1, s0
	s_xor_b32 s0, s7, s3
	v_cndmask_b32_e64 v7, 0, 1, s0
	s_xor_b32 s0, s7, s4
	s_delay_alu instid0(SALU_CYCLE_1) | instskip(SKIP_1) | instid1(SALU_CYCLE_1)
	v_cndmask_b32_e64 v10, 0, 1, s0
	s_xor_b32 s0, s7, s5
	v_cndmask_b32_e64 v11, 0, 1, s0
	s_xor_b32 s0, s7, s6
	s_delay_alu instid0(SALU_CYCLE_1)
	v_cndmask_b32_e64 v13, 0, 1, s0
	s_clause 0x7
	global_store_b8 v1, v2, s[8:9]
	global_store_b8 v5, v3, s[8:9]
	;; [unrolled: 1-line block ×8, first 2 shown]
	s_endpgm
	.section	.rodata,"a",@progbits
	.p2align	6, 0x0
	.amdhsa_kernel _ZN2at6native32elementwise_kernel_manual_unrollILi128ELi8EZNS0_22gpu_kernel_impl_nocastINS0_13BinaryFunctorImmbNS0_12_GLOBAL__N_116CompareEqFunctorImEEEEEEvRNS_18TensorIteratorBaseERKT_EUlibE_EEviT1_
		.amdhsa_group_segment_fixed_size 0
		.amdhsa_private_segment_fixed_size 0
		.amdhsa_kernarg_size 432
		.amdhsa_user_sgpr_count 2
		.amdhsa_user_sgpr_dispatch_ptr 0
		.amdhsa_user_sgpr_queue_ptr 0
		.amdhsa_user_sgpr_kernarg_segment_ptr 1
		.amdhsa_user_sgpr_dispatch_id 0
		.amdhsa_user_sgpr_kernarg_preload_length 0
		.amdhsa_user_sgpr_kernarg_preload_offset 0
		.amdhsa_user_sgpr_private_segment_size 0
		.amdhsa_wavefront_size32 1
		.amdhsa_uses_dynamic_stack 0
		.amdhsa_enable_private_segment 0
		.amdhsa_system_sgpr_workgroup_id_x 1
		.amdhsa_system_sgpr_workgroup_id_y 0
		.amdhsa_system_sgpr_workgroup_id_z 0
		.amdhsa_system_sgpr_workgroup_info 0
		.amdhsa_system_vgpr_workitem_id 0
		.amdhsa_next_free_vgpr 56
		.amdhsa_next_free_sgpr 46
		.amdhsa_named_barrier_count 0
		.amdhsa_reserve_vcc 1
		.amdhsa_float_round_mode_32 0
		.amdhsa_float_round_mode_16_64 0
		.amdhsa_float_denorm_mode_32 3
		.amdhsa_float_denorm_mode_16_64 3
		.amdhsa_fp16_overflow 0
		.amdhsa_memory_ordered 1
		.amdhsa_forward_progress 1
		.amdhsa_inst_pref_size 84
		.amdhsa_round_robin_scheduling 0
		.amdhsa_exception_fp_ieee_invalid_op 0
		.amdhsa_exception_fp_denorm_src 0
		.amdhsa_exception_fp_ieee_div_zero 0
		.amdhsa_exception_fp_ieee_overflow 0
		.amdhsa_exception_fp_ieee_underflow 0
		.amdhsa_exception_fp_ieee_inexact 0
		.amdhsa_exception_int_div_zero 0
	.end_amdhsa_kernel
	.section	.text._ZN2at6native32elementwise_kernel_manual_unrollILi128ELi8EZNS0_22gpu_kernel_impl_nocastINS0_13BinaryFunctorImmbNS0_12_GLOBAL__N_116CompareEqFunctorImEEEEEEvRNS_18TensorIteratorBaseERKT_EUlibE_EEviT1_,"axG",@progbits,_ZN2at6native32elementwise_kernel_manual_unrollILi128ELi8EZNS0_22gpu_kernel_impl_nocastINS0_13BinaryFunctorImmbNS0_12_GLOBAL__N_116CompareEqFunctorImEEEEEEvRNS_18TensorIteratorBaseERKT_EUlibE_EEviT1_,comdat
.Lfunc_end362:
	.size	_ZN2at6native32elementwise_kernel_manual_unrollILi128ELi8EZNS0_22gpu_kernel_impl_nocastINS0_13BinaryFunctorImmbNS0_12_GLOBAL__N_116CompareEqFunctorImEEEEEEvRNS_18TensorIteratorBaseERKT_EUlibE_EEviT1_, .Lfunc_end362-_ZN2at6native32elementwise_kernel_manual_unrollILi128ELi8EZNS0_22gpu_kernel_impl_nocastINS0_13BinaryFunctorImmbNS0_12_GLOBAL__N_116CompareEqFunctorImEEEEEEvRNS_18TensorIteratorBaseERKT_EUlibE_EEviT1_
                                        ; -- End function
	.set _ZN2at6native32elementwise_kernel_manual_unrollILi128ELi8EZNS0_22gpu_kernel_impl_nocastINS0_13BinaryFunctorImmbNS0_12_GLOBAL__N_116CompareEqFunctorImEEEEEEvRNS_18TensorIteratorBaseERKT_EUlibE_EEviT1_.num_vgpr, 56
	.set _ZN2at6native32elementwise_kernel_manual_unrollILi128ELi8EZNS0_22gpu_kernel_impl_nocastINS0_13BinaryFunctorImmbNS0_12_GLOBAL__N_116CompareEqFunctorImEEEEEEvRNS_18TensorIteratorBaseERKT_EUlibE_EEviT1_.num_agpr, 0
	.set _ZN2at6native32elementwise_kernel_manual_unrollILi128ELi8EZNS0_22gpu_kernel_impl_nocastINS0_13BinaryFunctorImmbNS0_12_GLOBAL__N_116CompareEqFunctorImEEEEEEvRNS_18TensorIteratorBaseERKT_EUlibE_EEviT1_.numbered_sgpr, 46
	.set _ZN2at6native32elementwise_kernel_manual_unrollILi128ELi8EZNS0_22gpu_kernel_impl_nocastINS0_13BinaryFunctorImmbNS0_12_GLOBAL__N_116CompareEqFunctorImEEEEEEvRNS_18TensorIteratorBaseERKT_EUlibE_EEviT1_.num_named_barrier, 0
	.set _ZN2at6native32elementwise_kernel_manual_unrollILi128ELi8EZNS0_22gpu_kernel_impl_nocastINS0_13BinaryFunctorImmbNS0_12_GLOBAL__N_116CompareEqFunctorImEEEEEEvRNS_18TensorIteratorBaseERKT_EUlibE_EEviT1_.private_seg_size, 0
	.set _ZN2at6native32elementwise_kernel_manual_unrollILi128ELi8EZNS0_22gpu_kernel_impl_nocastINS0_13BinaryFunctorImmbNS0_12_GLOBAL__N_116CompareEqFunctorImEEEEEEvRNS_18TensorIteratorBaseERKT_EUlibE_EEviT1_.uses_vcc, 1
	.set _ZN2at6native32elementwise_kernel_manual_unrollILi128ELi8EZNS0_22gpu_kernel_impl_nocastINS0_13BinaryFunctorImmbNS0_12_GLOBAL__N_116CompareEqFunctorImEEEEEEvRNS_18TensorIteratorBaseERKT_EUlibE_EEviT1_.uses_flat_scratch, 0
	.set _ZN2at6native32elementwise_kernel_manual_unrollILi128ELi8EZNS0_22gpu_kernel_impl_nocastINS0_13BinaryFunctorImmbNS0_12_GLOBAL__N_116CompareEqFunctorImEEEEEEvRNS_18TensorIteratorBaseERKT_EUlibE_EEviT1_.has_dyn_sized_stack, 0
	.set _ZN2at6native32elementwise_kernel_manual_unrollILi128ELi8EZNS0_22gpu_kernel_impl_nocastINS0_13BinaryFunctorImmbNS0_12_GLOBAL__N_116CompareEqFunctorImEEEEEEvRNS_18TensorIteratorBaseERKT_EUlibE_EEviT1_.has_recursion, 0
	.set _ZN2at6native32elementwise_kernel_manual_unrollILi128ELi8EZNS0_22gpu_kernel_impl_nocastINS0_13BinaryFunctorImmbNS0_12_GLOBAL__N_116CompareEqFunctorImEEEEEEvRNS_18TensorIteratorBaseERKT_EUlibE_EEviT1_.has_indirect_call, 0
	.section	.AMDGPU.csdata,"",@progbits
; Kernel info:
; codeLenInByte = 10748
; TotalNumSgprs: 48
; NumVgprs: 56
; ScratchSize: 0
; MemoryBound: 0
; FloatMode: 240
; IeeeMode: 1
; LDSByteSize: 0 bytes/workgroup (compile time only)
; SGPRBlocks: 0
; VGPRBlocks: 3
; NumSGPRsForWavesPerEU: 48
; NumVGPRsForWavesPerEU: 56
; NamedBarCnt: 0
; Occupancy: 16
; WaveLimiterHint : 1
; COMPUTE_PGM_RSRC2:SCRATCH_EN: 0
; COMPUTE_PGM_RSRC2:USER_SGPR: 2
; COMPUTE_PGM_RSRC2:TRAP_HANDLER: 0
; COMPUTE_PGM_RSRC2:TGID_X_EN: 1
; COMPUTE_PGM_RSRC2:TGID_Y_EN: 0
; COMPUTE_PGM_RSRC2:TGID_Z_EN: 0
; COMPUTE_PGM_RSRC2:TIDIG_COMP_CNT: 0
	.section	.text._ZN2at6native32elementwise_kernel_manual_unrollILi128ELi4EZNS0_15gpu_kernel_implINS0_13BinaryFunctorImmbNS0_12_GLOBAL__N_116CompareEqFunctorImEEEEEEvRNS_18TensorIteratorBaseERKT_EUlibE_EEviT1_,"axG",@progbits,_ZN2at6native32elementwise_kernel_manual_unrollILi128ELi4EZNS0_15gpu_kernel_implINS0_13BinaryFunctorImmbNS0_12_GLOBAL__N_116CompareEqFunctorImEEEEEEvRNS_18TensorIteratorBaseERKT_EUlibE_EEviT1_,comdat
	.globl	_ZN2at6native32elementwise_kernel_manual_unrollILi128ELi4EZNS0_15gpu_kernel_implINS0_13BinaryFunctorImmbNS0_12_GLOBAL__N_116CompareEqFunctorImEEEEEEvRNS_18TensorIteratorBaseERKT_EUlibE_EEviT1_ ; -- Begin function _ZN2at6native32elementwise_kernel_manual_unrollILi128ELi4EZNS0_15gpu_kernel_implINS0_13BinaryFunctorImmbNS0_12_GLOBAL__N_116CompareEqFunctorImEEEEEEvRNS_18TensorIteratorBaseERKT_EUlibE_EEviT1_
	.p2align	8
	.type	_ZN2at6native32elementwise_kernel_manual_unrollILi128ELi4EZNS0_15gpu_kernel_implINS0_13BinaryFunctorImmbNS0_12_GLOBAL__N_116CompareEqFunctorImEEEEEEvRNS_18TensorIteratorBaseERKT_EUlibE_EEviT1_,@function
_ZN2at6native32elementwise_kernel_manual_unrollILi128ELi4EZNS0_15gpu_kernel_implINS0_13BinaryFunctorImmbNS0_12_GLOBAL__N_116CompareEqFunctorImEEEEEEvRNS_18TensorIteratorBaseERKT_EUlibE_EEviT1_: ; @_ZN2at6native32elementwise_kernel_manual_unrollILi128ELi4EZNS0_15gpu_kernel_implINS0_13BinaryFunctorImmbNS0_12_GLOBAL__N_116CompareEqFunctorImEEEEEEvRNS_18TensorIteratorBaseERKT_EUlibE_EEviT1_
; %bb.0:
	s_load_b32 s12, s[0:1], 0x30
	s_bfe_u32 s2, ttmp6, 0x4000c
	s_clause 0x1
	s_load_b32 s17, s[0:1], 0x0
	s_load_b128 s[4:7], s[0:1], 0x8
	s_add_co_i32 s14, s2, 1
	s_clause 0x1
	s_load_b64 s[2:3], s[0:1], 0x18
	s_load_b128 s[8:11], s[0:1], 0x20
	s_and_b32 s13, ttmp6, 15
	s_wait_xcnt 0x0
	s_mul_i32 s0, ttmp9, s14
	s_getreg_b32 s15, hwreg(HW_REG_IB_STS2, 6, 4)
	s_add_co_i32 s13, s13, s0
	s_mov_b32 s16, 0
	s_wait_kmcnt 0x0
	s_lshr_b32 s14, s12, 8
	s_lshr_b32 s1, s12, 16
	s_cmp_eq_u32 s15, 0
	s_cselect_b32 s0, ttmp9, s13
	s_mov_b32 s13, 0
	v_lshl_or_b32 v18, s0, 9, v0
	s_mov_b32 s0, exec_lo
	s_delay_alu instid0(VALU_DEP_1) | instskip(NEXT) | instid1(VALU_DEP_1)
	v_or_b32_e32 v0, 0x180, v18
	v_cmpx_le_i32_e64 s17, v0
	s_xor_b32 s15, exec_lo, s0
	s_cbranch_execz .LBB363_1515
; %bb.1:
	s_cmp_eq_u32 s11, 0
	s_mov_b32 s22, 0
	s_cselect_b32 s16, -1, 0
	s_mov_b32 s25, -1
	s_mov_b32 s20, 0
	s_mov_b32 s19, 0
	;; [unrolled: 1-line block ×3, first 2 shown]
	s_mov_b32 s21, exec_lo
	v_cmpx_gt_i32_e64 s17, v18
	s_cbranch_execz .LBB363_374
; %bb.2:
	v_mul_lo_u32 v0, v18, s9
	s_and_b32 s0, s14, 0xff
	s_delay_alu instid0(SALU_CYCLE_1) | instskip(NEXT) | instid1(VALU_DEP_1)
	s_cmp_lt_i32 s0, 11
	v_ashrrev_i32_e32 v1, 31, v0
	s_delay_alu instid0(VALU_DEP_1)
	v_add_nc_u64_e32 v[2:3], s[6:7], v[0:1]
	s_cbranch_scc1 .LBB363_9
; %bb.3:
	s_and_b32 s18, 0xffff, s0
	s_delay_alu instid0(SALU_CYCLE_1)
	s_cmp_gt_i32 s18, 25
	s_cbranch_scc0 .LBB363_18
; %bb.4:
	s_cmp_gt_i32 s18, 28
	s_cbranch_scc0 .LBB363_28
; %bb.5:
	;; [unrolled: 3-line block ×4, first 2 shown]
	s_cmp_eq_u32 s18, 46
	s_mov_b32 s23, 0
	s_cbranch_scc0 .LBB363_37
; %bb.8:
	global_load_b32 v0, v[2:3], off
	s_mov_b32 s19, -1
	s_wait_loadcnt 0x0
	v_lshlrev_b32_e32 v0, 16, v0
	s_delay_alu instid0(VALU_DEP_1) | instskip(NEXT) | instid1(VALU_DEP_1)
	v_trunc_f32_e32 v0, v0
	v_mul_f32_e32 v1, 0x2f800000, v0
	s_delay_alu instid0(VALU_DEP_1) | instskip(NEXT) | instid1(VALU_DEP_1)
	v_floor_f32_e32 v1, v1
	v_fmamk_f32 v0, v1, 0xcf800000, v0
	v_cvt_u32_f32_e32 v1, v1
	s_delay_alu instid0(VALU_DEP_2)
	v_cvt_u32_f32_e32 v0, v0
	s_branch .LBB363_39
.LBB363_9:
                                        ; implicit-def: $vgpr0_vgpr1
	s_cbranch_execnz .LBB363_101
.LBB363_10:
	s_and_not1_b32 vcc_lo, exec_lo, s19
	s_cbranch_vccnz .LBB363_148
.LBB363_11:
	s_wait_xcnt 0x0
	v_mul_lo_u32 v2, v18, s10
	s_and_b32 s0, s1, 0xff
	s_delay_alu instid0(SALU_CYCLE_1) | instskip(NEXT) | instid1(VALU_DEP_1)
	s_cmp_lt_i32 s0, 11
	v_ashrrev_i32_e32 v3, 31, v2
	s_delay_alu instid0(VALU_DEP_1)
	v_add_nc_u64_e32 v[2:3], s[2:3], v[2:3]
	s_cbranch_scc1 .LBB363_19
; %bb.12:
	s_and_b32 s18, 0xffff, s0
	s_delay_alu instid0(SALU_CYCLE_1)
	s_cmp_gt_i32 s18, 25
	s_cbranch_scc0 .LBB363_29
; %bb.13:
	s_cmp_gt_i32 s18, 28
	s_cbranch_scc0 .LBB363_32
; %bb.14:
	;; [unrolled: 3-line block ×4, first 2 shown]
	s_cmp_eq_u32 s18, 46
	s_mov_b32 s24, 0
	s_cbranch_scc0 .LBB363_149
; %bb.17:
	global_load_b32 v4, v[2:3], off
	s_mov_b32 s23, -1
	s_mov_b32 s19, 0
	s_wait_loadcnt 0x0
	v_lshlrev_b32_e32 v4, 16, v4
	s_delay_alu instid0(VALU_DEP_1) | instskip(NEXT) | instid1(VALU_DEP_1)
	v_trunc_f32_e32 v4, v4
	v_mul_f32_e32 v5, 0x2f800000, v4
	s_delay_alu instid0(VALU_DEP_1) | instskip(NEXT) | instid1(VALU_DEP_1)
	v_floor_f32_e32 v5, v5
	v_fmamk_f32 v4, v5, 0xcf800000, v4
	v_cvt_u32_f32_e32 v5, v5
	s_delay_alu instid0(VALU_DEP_2)
	v_cvt_u32_f32_e32 v4, v4
	s_branch .LBB363_151
.LBB363_18:
                                        ; implicit-def: $vgpr0_vgpr1
	s_cbranch_execnz .LBB363_68
	s_branch .LBB363_100
.LBB363_19:
	s_mov_b32 s19, 0
	s_mov_b32 s23, 0
                                        ; implicit-def: $vgpr4_vgpr5
	s_cbranch_execnz .LBB363_323
.LBB363_20:
	s_and_not1_b32 vcc_lo, exec_lo, s23
	s_cbranch_vccnz .LBB363_371
.LBB363_21:
	s_wait_xcnt 0x0
	v_mul_lo_u32 v2, v18, s8
	s_wait_loadcnt 0x0
	s_delay_alu instid0(VALU_DEP_2) | instskip(SKIP_3) | instid1(VALU_DEP_2)
	v_cmp_ne_u64_e32 vcc_lo, v[0:1], v[4:5]
	s_and_b32 s23, s12, 0xff
	s_xor_b32 s18, s16, vcc_lo
	s_cmp_lt_i32 s23, 11
	v_ashrrev_i32_e32 v3, 31, v2
	s_delay_alu instid0(VALU_DEP_1)
	v_add_nc_u64_e32 v[0:1], s[4:5], v[2:3]
	s_cbranch_scc1 .LBB363_30
; %bb.22:
	s_and_b32 s24, 0xffff, s23
	s_delay_alu instid0(SALU_CYCLE_1)
	s_cmp_gt_i32 s24, 25
	s_cbranch_scc0 .LBB363_33
; %bb.23:
	s_cmp_gt_i32 s24, 28
	s_cbranch_scc0 .LBB363_36
; %bb.24:
	;; [unrolled: 3-line block ×4, first 2 shown]
	s_mov_b32 s26, 0
	s_mov_b32 s0, -1
	s_cmp_eq_u32 s24, 46
	s_mov_b32 s25, 0
	s_cbranch_scc0 .LBB363_155
; %bb.27:
	v_cndmask_b32_e64 v2, 0, 1.0, s18
	s_mov_b32 s25, -1
	s_mov_b32 s0, 0
	s_delay_alu instid0(VALU_DEP_1) | instskip(NEXT) | instid1(VALU_DEP_1)
	v_bfe_u32 v3, v2, 16, 1
	v_add3_u32 v2, v2, v3, 0x7fff
	s_delay_alu instid0(VALU_DEP_1)
	v_lshrrev_b32_e32 v2, 16, v2
	global_store_b32 v[0:1], v2, off
	s_branch .LBB363_155
.LBB363_28:
	s_mov_b32 s23, -1
                                        ; implicit-def: $vgpr0_vgpr1
	s_branch .LBB363_51
.LBB363_29:
	s_mov_b32 s24, -1
	s_mov_b32 s19, 0
	s_mov_b32 s23, 0
                                        ; implicit-def: $vgpr4_vgpr5
	s_branch .LBB363_289
.LBB363_30:
	s_mov_b32 s24, -1
	s_mov_b32 s0, 0
	s_mov_b32 s25, 0
	s_branch .LBB363_224
.LBB363_31:
	s_mov_b32 s23, -1
                                        ; implicit-def: $vgpr0_vgpr1
	s_branch .LBB363_46
.LBB363_32:
	s_mov_b32 s24, -1
	s_mov_b32 s19, 0
	s_mov_b32 s23, 0
                                        ; implicit-def: $vgpr4_vgpr5
	s_branch .LBB363_272
.LBB363_33:
	s_mov_b32 s26, -1
	s_mov_b32 s0, 0
	s_mov_b32 s25, 0
	s_branch .LBB363_182
.LBB363_34:
	s_mov_b32 s23, -1
	s_branch .LBB363_38
.LBB363_35:
	s_mov_b32 s24, -1
	s_mov_b32 s19, 0
	s_mov_b32 s23, 0
                                        ; implicit-def: $vgpr4_vgpr5
	s_branch .LBB363_267
.LBB363_36:
	s_mov_b32 s26, -1
	s_mov_b32 s0, 0
	s_mov_b32 s25, 0
	s_branch .LBB363_165
.LBB363_37:
	s_mov_b32 s20, -1
.LBB363_38:
                                        ; implicit-def: $vgpr0_vgpr1
.LBB363_39:
	s_and_b32 vcc_lo, exec_lo, s23
	s_cbranch_vccz .LBB363_45
; %bb.40:
	s_cmp_eq_u32 s18, 44
	s_cbranch_scc0 .LBB363_44
; %bb.41:
	global_load_u8 v0, v[2:3], off
	s_mov_b32 s20, 0
	s_mov_b32 s19, -1
	s_wait_loadcnt 0x0
	v_cmp_ne_u32_e32 vcc_lo, 0, v0
	v_lshlrev_b32_e32 v1, 23, v0
	s_delay_alu instid0(VALU_DEP_1) | instskip(NEXT) | instid1(VALU_DEP_1)
	v_trunc_f32_e32 v1, v1
	v_mul_f32_e32 v4, 0x2f800000, v1
	s_delay_alu instid0(VALU_DEP_1) | instskip(NEXT) | instid1(VALU_DEP_1)
	v_floor_f32_e32 v4, v4
	v_fmamk_f32 v1, v4, 0xcf800000, v1
	v_cvt_u32_f32_e32 v4, v4
	s_delay_alu instid0(VALU_DEP_2) | instskip(NEXT) | instid1(VALU_DEP_1)
	v_cvt_u32_f32_e32 v5, v1
	v_dual_cndmask_b32 v1, 0, v4 :: v_dual_cndmask_b32 v0, 0, v5
	s_branch .LBB363_45
.LBB363_42:
	s_mov_b32 s24, -1
	s_mov_b32 s19, 0
	s_branch .LBB363_150
.LBB363_43:
	s_mov_b32 s26, -1
	s_mov_b32 s0, 0
	s_mov_b32 s25, 0
	s_branch .LBB363_161
.LBB363_44:
	s_mov_b32 s20, -1
                                        ; implicit-def: $vgpr0_vgpr1
.LBB363_45:
	s_mov_b32 s23, 0
.LBB363_46:
	s_delay_alu instid0(SALU_CYCLE_1)
	s_and_b32 vcc_lo, exec_lo, s23
	s_cbranch_vccz .LBB363_50
; %bb.47:
	s_cmp_eq_u32 s18, 29
	s_cbranch_scc0 .LBB363_49
; %bb.48:
	global_load_b64 v[0:1], v[2:3], off
	s_mov_b32 s19, -1
	s_mov_b32 s20, 0
	s_branch .LBB363_50
.LBB363_49:
	s_mov_b32 s20, -1
                                        ; implicit-def: $vgpr0_vgpr1
.LBB363_50:
	s_mov_b32 s23, 0
.LBB363_51:
	s_delay_alu instid0(SALU_CYCLE_1)
	s_and_b32 vcc_lo, exec_lo, s23
	s_cbranch_vccz .LBB363_67
; %bb.52:
	s_cmp_lt_i32 s18, 27
	s_cbranch_scc1 .LBB363_55
; %bb.53:
	s_cmp_gt_i32 s18, 27
	s_cbranch_scc0 .LBB363_56
; %bb.54:
	s_wait_loadcnt 0x0
	global_load_b32 v0, v[2:3], off
	v_mov_b32_e32 v1, 0
	s_mov_b32 s19, 0
	s_branch .LBB363_57
.LBB363_55:
	s_mov_b32 s19, -1
                                        ; implicit-def: $vgpr0_vgpr1
	s_branch .LBB363_60
.LBB363_56:
	s_mov_b32 s19, -1
                                        ; implicit-def: $vgpr0_vgpr1
.LBB363_57:
	s_delay_alu instid0(SALU_CYCLE_1)
	s_and_not1_b32 vcc_lo, exec_lo, s19
	s_cbranch_vccnz .LBB363_59
; %bb.58:
	s_wait_loadcnt 0x0
	global_load_u16 v0, v[2:3], off
	s_mov_b32 s19, 0
	s_delay_alu instid0(SALU_CYCLE_1)
	v_mov_b32_e32 v1, s19
	s_wait_loadcnt 0x0
	v_and_b32_e32 v0, 0xffff, v0
.LBB363_59:
	s_mov_b32 s19, 0
.LBB363_60:
	s_delay_alu instid0(SALU_CYCLE_1)
	s_and_not1_b32 vcc_lo, exec_lo, s19
	s_cbranch_vccnz .LBB363_66
; %bb.61:
	global_load_u8 v4, v[2:3], off
	s_mov_b32 s23, 0
	s_mov_b32 s19, exec_lo
	s_wait_loadcnt 0x0
	v_cmpx_lt_i16_e32 0x7f, v4
	s_xor_b32 s19, exec_lo, s19
	s_cbranch_execz .LBB363_77
; %bb.62:
	v_cmp_ne_u16_e32 vcc_lo, 0x80, v4
	s_and_b32 s23, vcc_lo, exec_lo
	s_and_not1_saveexec_b32 s19, s19
	s_cbranch_execnz .LBB363_78
.LBB363_63:
	s_or_b32 exec_lo, exec_lo, s19
	v_mov_b64_e32 v[0:1], 0
	s_and_saveexec_b32 s19, s23
	s_cbranch_execz .LBB363_65
.LBB363_64:
	v_and_b32_e32 v0, 0xffff, v4
	s_delay_alu instid0(VALU_DEP_1) | instskip(SKIP_1) | instid1(VALU_DEP_2)
	v_and_b32_e32 v1, 7, v0
	v_bfe_u32 v7, v0, 3, 4
	v_clz_i32_u32_e32 v5, v1
	s_delay_alu instid0(VALU_DEP_2) | instskip(NEXT) | instid1(VALU_DEP_2)
	v_cmp_eq_u32_e32 vcc_lo, 0, v7
	v_min_u32_e32 v5, 32, v5
	s_delay_alu instid0(VALU_DEP_1) | instskip(NEXT) | instid1(VALU_DEP_1)
	v_subrev_nc_u32_e32 v6, 28, v5
	v_dual_lshlrev_b32 v0, v6, v0 :: v_dual_sub_nc_u32 v5, 29, v5
	s_delay_alu instid0(VALU_DEP_1) | instskip(NEXT) | instid1(VALU_DEP_2)
	v_and_b32_e32 v0, 7, v0
	v_dual_cndmask_b32 v5, v7, v5 :: v_dual_lshlrev_b32 v4, 24, v4
	s_delay_alu instid0(VALU_DEP_2) | instskip(NEXT) | instid1(VALU_DEP_2)
	v_cndmask_b32_e32 v0, v1, v0, vcc_lo
	v_and_b32_e32 v1, 0x80000000, v4
	s_delay_alu instid0(VALU_DEP_3) | instskip(NEXT) | instid1(VALU_DEP_3)
	v_lshl_add_u32 v4, v5, 23, 0x3b800000
	v_lshlrev_b32_e32 v0, 20, v0
	s_delay_alu instid0(VALU_DEP_1) | instskip(NEXT) | instid1(VALU_DEP_1)
	v_or3_b32 v0, v1, v4, v0
	v_trunc_f32_e32 v0, v0
	s_delay_alu instid0(VALU_DEP_1) | instskip(NEXT) | instid1(VALU_DEP_1)
	v_mul_f32_e32 v1, 0x2f800000, v0
	v_floor_f32_e32 v1, v1
	s_delay_alu instid0(VALU_DEP_1) | instskip(SKIP_1) | instid1(VALU_DEP_2)
	v_fmamk_f32 v0, v1, 0xcf800000, v0
	v_cvt_u32_f32_e32 v1, v1
	v_cvt_u32_f32_e32 v0, v0
.LBB363_65:
	s_or_b32 exec_lo, exec_lo, s19
.LBB363_66:
	s_mov_b32 s19, -1
.LBB363_67:
	s_branch .LBB363_100
.LBB363_68:
	s_cmp_gt_i32 s18, 22
	s_cbranch_scc0 .LBB363_76
; %bb.69:
	s_cmp_lt_i32 s18, 24
	s_cbranch_scc1 .LBB363_79
; %bb.70:
	s_cmp_gt_i32 s18, 24
	s_cbranch_scc0 .LBB363_80
; %bb.71:
	global_load_u8 v4, v[2:3], off
	s_mov_b32 s23, 0
	s_mov_b32 s19, exec_lo
	s_wait_loadcnt 0x0
	v_cmpx_lt_i16_e32 0x7f, v4
	s_xor_b32 s19, exec_lo, s19
	s_cbranch_execz .LBB363_92
; %bb.72:
	v_cmp_ne_u16_e32 vcc_lo, 0x80, v4
	s_and_b32 s23, vcc_lo, exec_lo
	s_and_not1_saveexec_b32 s19, s19
	s_cbranch_execnz .LBB363_93
.LBB363_73:
	s_or_b32 exec_lo, exec_lo, s19
	v_mov_b64_e32 v[0:1], 0
	s_and_saveexec_b32 s19, s23
	s_cbranch_execz .LBB363_75
.LBB363_74:
	v_and_b32_e32 v0, 0xffff, v4
	s_delay_alu instid0(VALU_DEP_1) | instskip(SKIP_1) | instid1(VALU_DEP_2)
	v_and_b32_e32 v1, 3, v0
	v_bfe_u32 v7, v0, 2, 5
	v_clz_i32_u32_e32 v5, v1
	s_delay_alu instid0(VALU_DEP_2) | instskip(NEXT) | instid1(VALU_DEP_2)
	v_cmp_eq_u32_e32 vcc_lo, 0, v7
	v_min_u32_e32 v5, 32, v5
	s_delay_alu instid0(VALU_DEP_1) | instskip(NEXT) | instid1(VALU_DEP_1)
	v_subrev_nc_u32_e32 v6, 29, v5
	v_dual_lshlrev_b32 v0, v6, v0 :: v_dual_sub_nc_u32 v5, 30, v5
	s_delay_alu instid0(VALU_DEP_1) | instskip(NEXT) | instid1(VALU_DEP_2)
	v_and_b32_e32 v0, 3, v0
	v_dual_cndmask_b32 v5, v7, v5 :: v_dual_lshlrev_b32 v4, 24, v4
	s_delay_alu instid0(VALU_DEP_2) | instskip(NEXT) | instid1(VALU_DEP_2)
	v_cndmask_b32_e32 v0, v1, v0, vcc_lo
	v_and_b32_e32 v1, 0x80000000, v4
	s_delay_alu instid0(VALU_DEP_3) | instskip(NEXT) | instid1(VALU_DEP_3)
	v_lshl_add_u32 v4, v5, 23, 0x37800000
	v_lshlrev_b32_e32 v0, 21, v0
	s_delay_alu instid0(VALU_DEP_1) | instskip(NEXT) | instid1(VALU_DEP_1)
	v_or3_b32 v0, v1, v4, v0
	v_trunc_f32_e32 v0, v0
	s_delay_alu instid0(VALU_DEP_1) | instskip(NEXT) | instid1(VALU_DEP_1)
	v_mul_f32_e32 v1, 0x2f800000, v0
	v_floor_f32_e32 v1, v1
	s_delay_alu instid0(VALU_DEP_1) | instskip(SKIP_1) | instid1(VALU_DEP_2)
	v_fmamk_f32 v0, v1, 0xcf800000, v0
	v_cvt_u32_f32_e32 v1, v1
	v_cvt_u32_f32_e32 v0, v0
.LBB363_75:
	s_or_b32 exec_lo, exec_lo, s19
	s_mov_b32 s19, 0
	s_branch .LBB363_81
.LBB363_76:
	s_mov_b32 s23, -1
                                        ; implicit-def: $vgpr0_vgpr1
	s_branch .LBB363_87
.LBB363_77:
	s_and_not1_saveexec_b32 s19, s19
	s_cbranch_execz .LBB363_63
.LBB363_78:
	v_cmp_ne_u16_e32 vcc_lo, 0, v4
	s_and_not1_b32 s23, s23, exec_lo
	s_and_b32 s24, vcc_lo, exec_lo
	s_delay_alu instid0(SALU_CYCLE_1)
	s_or_b32 s23, s23, s24
	s_or_b32 exec_lo, exec_lo, s19
	v_mov_b64_e32 v[0:1], 0
	s_and_saveexec_b32 s19, s23
	s_cbranch_execnz .LBB363_64
	s_branch .LBB363_65
.LBB363_79:
	s_mov_b32 s19, -1
                                        ; implicit-def: $vgpr0_vgpr1
	s_branch .LBB363_84
.LBB363_80:
	s_mov_b32 s19, -1
                                        ; implicit-def: $vgpr0_vgpr1
.LBB363_81:
	s_delay_alu instid0(SALU_CYCLE_1)
	s_and_b32 vcc_lo, exec_lo, s19
	s_cbranch_vccz .LBB363_83
; %bb.82:
	s_wait_loadcnt 0x0
	global_load_u8 v0, v[2:3], off
	s_wait_loadcnt 0x0
	v_lshlrev_b32_e32 v0, 24, v0
	s_delay_alu instid0(VALU_DEP_1) | instskip(NEXT) | instid1(VALU_DEP_1)
	v_and_b32_e32 v1, 0x7f000000, v0
	v_clz_i32_u32_e32 v4, v1
	v_cmp_ne_u32_e32 vcc_lo, 0, v1
	v_add_nc_u32_e32 v6, 0x1000000, v1
	s_delay_alu instid0(VALU_DEP_3) | instskip(NEXT) | instid1(VALU_DEP_1)
	v_min_u32_e32 v4, 32, v4
	v_sub_nc_u32_e64 v4, v4, 4 clamp
	s_delay_alu instid0(VALU_DEP_1) | instskip(NEXT) | instid1(VALU_DEP_1)
	v_dual_lshlrev_b32 v5, v4, v1 :: v_dual_lshlrev_b32 v4, 23, v4
	v_lshrrev_b32_e32 v5, 4, v5
	s_delay_alu instid0(VALU_DEP_1) | instskip(NEXT) | instid1(VALU_DEP_1)
	v_dual_sub_nc_u32 v4, v5, v4 :: v_dual_ashrrev_i32 v5, 8, v6
	v_add_nc_u32_e32 v4, 0x3c000000, v4
	s_delay_alu instid0(VALU_DEP_1) | instskip(NEXT) | instid1(VALU_DEP_1)
	v_and_or_b32 v4, 0x7f800000, v5, v4
	v_cndmask_b32_e32 v1, 0, v4, vcc_lo
	s_delay_alu instid0(VALU_DEP_1) | instskip(NEXT) | instid1(VALU_DEP_1)
	v_and_or_b32 v0, 0x80000000, v0, v1
	v_trunc_f32_e32 v0, v0
	s_delay_alu instid0(VALU_DEP_1) | instskip(NEXT) | instid1(VALU_DEP_1)
	v_mul_f32_e32 v1, 0x2f800000, v0
	v_floor_f32_e32 v1, v1
	s_delay_alu instid0(VALU_DEP_1) | instskip(SKIP_1) | instid1(VALU_DEP_2)
	v_fmamk_f32 v0, v1, 0xcf800000, v0
	v_cvt_u32_f32_e32 v1, v1
	v_cvt_u32_f32_e32 v0, v0
.LBB363_83:
	s_mov_b32 s19, 0
.LBB363_84:
	s_delay_alu instid0(SALU_CYCLE_1)
	s_and_not1_b32 vcc_lo, exec_lo, s19
	s_cbranch_vccnz .LBB363_86
; %bb.85:
	s_wait_loadcnt 0x0
	global_load_u8 v0, v[2:3], off
	s_wait_loadcnt 0x0
	v_lshlrev_b32_e32 v1, 25, v0
	v_lshlrev_b16 v0, 8, v0
	s_delay_alu instid0(VALU_DEP_1) | instskip(SKIP_1) | instid1(VALU_DEP_2)
	v_and_or_b32 v5, 0x7f00, v0, 0.5
	v_bfe_i32 v0, v0, 0, 16
	v_add_f32_e32 v5, -0.5, v5
	v_lshrrev_b32_e32 v4, 4, v1
	v_cmp_gt_u32_e32 vcc_lo, 0x8000000, v1
	s_delay_alu instid0(VALU_DEP_2) | instskip(NEXT) | instid1(VALU_DEP_1)
	v_or_b32_e32 v4, 0x70000000, v4
	v_mul_f32_e32 v4, 0x7800000, v4
	s_delay_alu instid0(VALU_DEP_1) | instskip(NEXT) | instid1(VALU_DEP_1)
	v_cndmask_b32_e32 v1, v4, v5, vcc_lo
	v_and_or_b32 v0, 0x80000000, v0, v1
	s_delay_alu instid0(VALU_DEP_1) | instskip(NEXT) | instid1(VALU_DEP_1)
	v_trunc_f32_e32 v0, v0
	v_mul_f32_e32 v1, 0x2f800000, v0
	s_delay_alu instid0(VALU_DEP_1) | instskip(NEXT) | instid1(VALU_DEP_1)
	v_floor_f32_e32 v1, v1
	v_fmamk_f32 v0, v1, 0xcf800000, v0
	v_cvt_u32_f32_e32 v1, v1
	s_delay_alu instid0(VALU_DEP_2)
	v_cvt_u32_f32_e32 v0, v0
.LBB363_86:
	s_mov_b32 s23, 0
	s_mov_b32 s19, -1
.LBB363_87:
	s_and_not1_b32 vcc_lo, exec_lo, s23
	s_cbranch_vccnz .LBB363_100
; %bb.88:
	s_cmp_gt_i32 s18, 14
	s_cbranch_scc0 .LBB363_91
; %bb.89:
	s_cmp_eq_u32 s18, 15
	s_cbranch_scc0 .LBB363_94
; %bb.90:
	s_wait_loadcnt 0x0
	global_load_u16 v0, v[2:3], off
	s_mov_b32 s19, -1
	s_mov_b32 s20, 0
	s_wait_loadcnt 0x0
	v_lshlrev_b32_e32 v0, 16, v0
	s_delay_alu instid0(VALU_DEP_1) | instskip(NEXT) | instid1(VALU_DEP_1)
	v_trunc_f32_e32 v0, v0
	v_mul_f32_e32 v1, 0x2f800000, v0
	s_delay_alu instid0(VALU_DEP_1) | instskip(NEXT) | instid1(VALU_DEP_1)
	v_floor_f32_e32 v1, v1
	v_fmamk_f32 v0, v1, 0xcf800000, v0
	v_cvt_u32_f32_e32 v1, v1
	s_delay_alu instid0(VALU_DEP_2)
	v_cvt_u32_f32_e32 v0, v0
	s_branch .LBB363_95
.LBB363_91:
	s_mov_b32 s23, -1
                                        ; implicit-def: $vgpr0_vgpr1
	s_branch .LBB363_96
.LBB363_92:
	s_and_not1_saveexec_b32 s19, s19
	s_cbranch_execz .LBB363_73
.LBB363_93:
	v_cmp_ne_u16_e32 vcc_lo, 0, v4
	s_and_not1_b32 s23, s23, exec_lo
	s_and_b32 s24, vcc_lo, exec_lo
	s_delay_alu instid0(SALU_CYCLE_1)
	s_or_b32 s23, s23, s24
	s_or_b32 exec_lo, exec_lo, s19
	v_mov_b64_e32 v[0:1], 0
	s_and_saveexec_b32 s19, s23
	s_cbranch_execnz .LBB363_74
	s_branch .LBB363_75
.LBB363_94:
	s_mov_b32 s20, -1
                                        ; implicit-def: $vgpr0_vgpr1
.LBB363_95:
	s_mov_b32 s23, 0
.LBB363_96:
	s_delay_alu instid0(SALU_CYCLE_1)
	s_and_b32 vcc_lo, exec_lo, s23
	s_cbranch_vccz .LBB363_100
; %bb.97:
	s_cmp_eq_u32 s18, 11
	s_cbranch_scc0 .LBB363_99
; %bb.98:
	s_wait_loadcnt 0x0
	global_load_u8 v0, v[2:3], off
	s_mov_b32 s20, 0
	s_mov_b32 s19, -1
	v_mov_b32_e32 v1, s20
	s_wait_loadcnt 0x0
	v_cmp_ne_u16_e32 vcc_lo, 0, v0
	v_cndmask_b32_e64 v0, 0, 1, vcc_lo
	s_branch .LBB363_100
.LBB363_99:
	s_mov_b32 s20, -1
                                        ; implicit-def: $vgpr0_vgpr1
.LBB363_100:
	s_branch .LBB363_10
.LBB363_101:
	s_and_b32 s0, 0xffff, s0
	s_delay_alu instid0(SALU_CYCLE_1)
	s_cmp_lt_i32 s0, 5
	s_cbranch_scc1 .LBB363_106
; %bb.102:
	s_cmp_lt_i32 s0, 8
	s_cbranch_scc1 .LBB363_107
; %bb.103:
	;; [unrolled: 3-line block ×3, first 2 shown]
	s_cmp_gt_i32 s0, 9
	s_cbranch_scc0 .LBB363_109
; %bb.105:
	s_wait_loadcnt 0x0
	global_load_b64 v[0:1], v[2:3], off
	s_mov_b32 s18, 0
	s_wait_loadcnt 0x0
	v_trunc_f64_e32 v[0:1], v[0:1]
	s_delay_alu instid0(VALU_DEP_1) | instskip(NEXT) | instid1(VALU_DEP_1)
	v_ldexp_f64 v[4:5], v[0:1], 0xffffffe0
	v_floor_f64_e32 v[4:5], v[4:5]
	s_delay_alu instid0(VALU_DEP_1) | instskip(SKIP_1) | instid1(VALU_DEP_2)
	v_fmamk_f64 v[6:7], v[4:5], 0xc1f00000, v[0:1]
	v_cvt_u32_f64_e32 v1, v[4:5]
	v_cvt_u32_f64_e32 v0, v[6:7]
	s_branch .LBB363_110
.LBB363_106:
                                        ; implicit-def: $vgpr0_vgpr1
	s_branch .LBB363_128
.LBB363_107:
	s_mov_b32 s18, -1
                                        ; implicit-def: $vgpr0_vgpr1
	s_branch .LBB363_116
.LBB363_108:
	s_mov_b32 s18, -1
                                        ; implicit-def: $vgpr0_vgpr1
	s_branch .LBB363_113
.LBB363_109:
	s_mov_b32 s18, -1
                                        ; implicit-def: $vgpr0_vgpr1
.LBB363_110:
	s_delay_alu instid0(SALU_CYCLE_1)
	s_and_not1_b32 vcc_lo, exec_lo, s18
	s_cbranch_vccnz .LBB363_112
; %bb.111:
	s_wait_loadcnt 0x0
	global_load_b32 v0, v[2:3], off
	s_wait_loadcnt 0x0
	v_trunc_f32_e32 v0, v0
	s_delay_alu instid0(VALU_DEP_1) | instskip(NEXT) | instid1(VALU_DEP_1)
	v_mul_f32_e32 v1, 0x2f800000, v0
	v_floor_f32_e32 v1, v1
	s_delay_alu instid0(VALU_DEP_1) | instskip(SKIP_1) | instid1(VALU_DEP_2)
	v_fmamk_f32 v0, v1, 0xcf800000, v0
	v_cvt_u32_f32_e32 v1, v1
	v_cvt_u32_f32_e32 v0, v0
.LBB363_112:
	s_mov_b32 s18, 0
.LBB363_113:
	s_delay_alu instid0(SALU_CYCLE_1)
	s_and_not1_b32 vcc_lo, exec_lo, s18
	s_cbranch_vccnz .LBB363_115
; %bb.114:
	s_wait_loadcnt 0x0
	global_load_b32 v0, v[2:3], off
	v_mov_b32_e32 v1, 0
	s_wait_loadcnt 0x0
	v_cvt_f32_f16_e32 v0, v0
	s_delay_alu instid0(VALU_DEP_1)
	v_cvt_u32_f32_e32 v0, v0
.LBB363_115:
	s_mov_b32 s18, 0
.LBB363_116:
	s_delay_alu instid0(SALU_CYCLE_1)
	s_and_not1_b32 vcc_lo, exec_lo, s18
	s_cbranch_vccnz .LBB363_127
; %bb.117:
	s_cmp_lt_i32 s0, 6
	s_cbranch_scc1 .LBB363_120
; %bb.118:
	s_cmp_gt_i32 s0, 6
	s_cbranch_scc0 .LBB363_121
; %bb.119:
	s_wait_loadcnt 0x0
	global_load_b64 v[0:1], v[2:3], off
	s_mov_b32 s18, 0
	s_wait_loadcnt 0x0
	v_trunc_f64_e32 v[0:1], v[0:1]
	s_delay_alu instid0(VALU_DEP_1) | instskip(NEXT) | instid1(VALU_DEP_1)
	v_ldexp_f64 v[4:5], v[0:1], 0xffffffe0
	v_floor_f64_e32 v[4:5], v[4:5]
	s_delay_alu instid0(VALU_DEP_1) | instskip(SKIP_1) | instid1(VALU_DEP_2)
	v_fmamk_f64 v[6:7], v[4:5], 0xc1f00000, v[0:1]
	v_cvt_u32_f64_e32 v1, v[4:5]
	v_cvt_u32_f64_e32 v0, v[6:7]
	s_branch .LBB363_122
.LBB363_120:
	s_mov_b32 s18, -1
                                        ; implicit-def: $vgpr0_vgpr1
	s_branch .LBB363_125
.LBB363_121:
	s_mov_b32 s18, -1
                                        ; implicit-def: $vgpr0_vgpr1
.LBB363_122:
	s_delay_alu instid0(SALU_CYCLE_1)
	s_and_not1_b32 vcc_lo, exec_lo, s18
	s_cbranch_vccnz .LBB363_124
; %bb.123:
	s_wait_loadcnt 0x0
	global_load_b32 v0, v[2:3], off
	s_wait_loadcnt 0x0
	v_trunc_f32_e32 v0, v0
	s_delay_alu instid0(VALU_DEP_1) | instskip(NEXT) | instid1(VALU_DEP_1)
	v_mul_f32_e32 v1, 0x2f800000, v0
	v_floor_f32_e32 v1, v1
	s_delay_alu instid0(VALU_DEP_1) | instskip(SKIP_1) | instid1(VALU_DEP_2)
	v_fmamk_f32 v0, v1, 0xcf800000, v0
	v_cvt_u32_f32_e32 v1, v1
	v_cvt_u32_f32_e32 v0, v0
.LBB363_124:
	s_mov_b32 s18, 0
.LBB363_125:
	s_delay_alu instid0(SALU_CYCLE_1)
	s_and_not1_b32 vcc_lo, exec_lo, s18
	s_cbranch_vccnz .LBB363_127
; %bb.126:
	s_wait_loadcnt 0x0
	global_load_u16 v0, v[2:3], off
	v_mov_b32_e32 v1, 0
	s_wait_loadcnt 0x0
	v_cvt_f32_f16_e32 v0, v0
	s_delay_alu instid0(VALU_DEP_1)
	v_cvt_u32_f32_e32 v0, v0
.LBB363_127:
	s_cbranch_execnz .LBB363_147
.LBB363_128:
	s_cmp_lt_i32 s0, 2
	s_cbranch_scc1 .LBB363_132
; %bb.129:
	s_cmp_lt_i32 s0, 3
	s_cbranch_scc1 .LBB363_133
; %bb.130:
	s_cmp_gt_i32 s0, 3
	s_cbranch_scc0 .LBB363_134
; %bb.131:
	s_wait_loadcnt 0x0
	global_load_b64 v[0:1], v[2:3], off
	s_mov_b32 s18, 0
	s_branch .LBB363_135
.LBB363_132:
	s_mov_b32 s18, -1
                                        ; implicit-def: $vgpr0_vgpr1
	s_branch .LBB363_141
.LBB363_133:
	s_mov_b32 s18, -1
                                        ; implicit-def: $vgpr0_vgpr1
	s_branch .LBB363_138
.LBB363_134:
	s_mov_b32 s18, -1
                                        ; implicit-def: $vgpr0_vgpr1
.LBB363_135:
	s_delay_alu instid0(SALU_CYCLE_1)
	s_and_not1_b32 vcc_lo, exec_lo, s18
	s_cbranch_vccnz .LBB363_137
; %bb.136:
	s_wait_loadcnt 0x0
	global_load_b32 v0, v[2:3], off
	s_wait_loadcnt 0x0
	v_ashrrev_i32_e32 v1, 31, v0
.LBB363_137:
	s_mov_b32 s18, 0
.LBB363_138:
	s_delay_alu instid0(SALU_CYCLE_1)
	s_and_not1_b32 vcc_lo, exec_lo, s18
	s_cbranch_vccnz .LBB363_140
; %bb.139:
	s_wait_loadcnt 0x0
	global_load_u16 v0, v[2:3], off
	s_wait_loadcnt 0x0
	v_bfe_i32 v0, v0, 0, 16
	s_delay_alu instid0(VALU_DEP_1)
	v_ashrrev_i32_e32 v1, 31, v0
.LBB363_140:
	s_mov_b32 s18, 0
.LBB363_141:
	s_delay_alu instid0(SALU_CYCLE_1)
	s_and_not1_b32 vcc_lo, exec_lo, s18
	s_cbranch_vccnz .LBB363_147
; %bb.142:
	s_cmp_gt_i32 s0, 0
	s_mov_b32 s0, 0
	s_cbranch_scc0 .LBB363_144
; %bb.143:
	s_wait_loadcnt 0x0
	global_load_i8 v0, v[2:3], off
	s_wait_loadcnt 0x0
	v_bfe_i32 v0, v0, 0, 16
	s_delay_alu instid0(VALU_DEP_1)
	v_ashrrev_i32_e32 v1, 31, v0
	s_branch .LBB363_145
.LBB363_144:
	s_mov_b32 s0, -1
                                        ; implicit-def: $vgpr0_vgpr1
.LBB363_145:
	s_delay_alu instid0(SALU_CYCLE_1)
	s_and_not1_b32 vcc_lo, exec_lo, s0
	s_cbranch_vccnz .LBB363_147
; %bb.146:
	s_wait_loadcnt 0x0
	global_load_u8 v0, v[2:3], off
	s_mov_b32 s0, 0
	s_delay_alu instid0(SALU_CYCLE_1)
	v_mov_b32_e32 v1, s0
	s_wait_loadcnt 0x0
	v_and_b32_e32 v0, 0xffff, v0
.LBB363_147:
	s_branch .LBB363_11
.LBB363_148:
	s_mov_b32 s0, 0
	s_mov_b32 s19, 0
	s_branch .LBB363_372
.LBB363_149:
	s_mov_b32 s19, -1
.LBB363_150:
	s_mov_b32 s23, 0
                                        ; implicit-def: $vgpr4_vgpr5
.LBB363_151:
	s_and_b32 vcc_lo, exec_lo, s24
	s_cbranch_vccz .LBB363_266
; %bb.152:
	s_cmp_eq_u32 s18, 44
	s_cbranch_scc0 .LBB363_265
; %bb.153:
	global_load_u8 v4, v[2:3], off
	s_mov_b32 s19, 0
	s_mov_b32 s23, -1
	s_wait_loadcnt 0x0
	v_cmp_ne_u32_e32 vcc_lo, 0, v4
	v_lshlrev_b32_e32 v5, 23, v4
	s_delay_alu instid0(VALU_DEP_1) | instskip(NEXT) | instid1(VALU_DEP_1)
	v_trunc_f32_e32 v5, v5
	v_mul_f32_e32 v6, 0x2f800000, v5
	s_delay_alu instid0(VALU_DEP_1) | instskip(NEXT) | instid1(VALU_DEP_1)
	v_floor_f32_e32 v6, v6
	v_fmamk_f32 v5, v6, 0xcf800000, v5
	v_cvt_u32_f32_e32 v6, v6
	s_delay_alu instid0(VALU_DEP_2) | instskip(NEXT) | instid1(VALU_DEP_1)
	v_cvt_u32_f32_e32 v7, v5
	v_dual_cndmask_b32 v5, 0, v6 :: v_dual_cndmask_b32 v4, 0, v7
	s_branch .LBB363_266
.LBB363_154:
	s_mov_b32 s26, -1
	s_mov_b32 s0, 0
	s_mov_b32 s25, 0
.LBB363_155:
	s_and_b32 vcc_lo, exec_lo, s26
	s_cbranch_vccz .LBB363_160
; %bb.156:
	s_cmp_eq_u32 s24, 44
	s_mov_b32 s0, -1
	s_cbranch_scc0 .LBB363_160
; %bb.157:
	v_cndmask_b32_e64 v4, 0, 1.0, s18
	s_mov_b32 s25, exec_lo
	s_wait_xcnt 0x0
	s_delay_alu instid0(VALU_DEP_1) | instskip(NEXT) | instid1(VALU_DEP_1)
	v_dual_mov_b32 v3, 0xff :: v_dual_lshrrev_b32 v2, 23, v4
	v_cmpx_ne_u32_e32 0xff, v2
; %bb.158:
	v_and_b32_e32 v3, 0x400000, v4
	v_and_or_b32 v4, 0x3fffff, v4, v2
	s_delay_alu instid0(VALU_DEP_2) | instskip(NEXT) | instid1(VALU_DEP_2)
	v_cmp_ne_u32_e32 vcc_lo, 0, v3
	v_cmp_ne_u32_e64 s0, 0, v4
	s_and_b32 s0, vcc_lo, s0
	s_delay_alu instid0(SALU_CYCLE_1) | instskip(NEXT) | instid1(VALU_DEP_1)
	v_cndmask_b32_e64 v3, 0, 1, s0
	v_add_nc_u32_e32 v3, v2, v3
; %bb.159:
	s_or_b32 exec_lo, exec_lo, s25
	s_mov_b32 s25, -1
	s_mov_b32 s0, 0
	global_store_b8 v[0:1], v3, off
.LBB363_160:
	s_mov_b32 s26, 0
.LBB363_161:
	s_delay_alu instid0(SALU_CYCLE_1)
	s_and_b32 vcc_lo, exec_lo, s26
	s_cbranch_vccz .LBB363_164
; %bb.162:
	s_cmp_eq_u32 s24, 29
	s_mov_b32 s0, -1
	s_cbranch_scc0 .LBB363_164
; %bb.163:
	s_mov_b32 s0, 0
	s_wait_xcnt 0x0
	v_cndmask_b32_e64 v2, 0, 1, s18
	v_mov_b32_e32 v3, s0
	s_mov_b32 s25, -1
	s_mov_b32 s26, 0
	global_store_b64 v[0:1], v[2:3], off
	s_branch .LBB363_165
.LBB363_164:
	s_mov_b32 s26, 0
.LBB363_165:
	s_delay_alu instid0(SALU_CYCLE_1)
	s_and_b32 vcc_lo, exec_lo, s26
	s_cbranch_vccz .LBB363_181
; %bb.166:
	s_cmp_lt_i32 s24, 27
	s_mov_b32 s25, -1
	s_cbranch_scc1 .LBB363_172
; %bb.167:
	s_cmp_gt_i32 s24, 27
	s_cbranch_scc0 .LBB363_169
; %bb.168:
	s_wait_xcnt 0x0
	v_cndmask_b32_e64 v2, 0, 1, s18
	s_mov_b32 s25, 0
	global_store_b32 v[0:1], v2, off
.LBB363_169:
	s_and_not1_b32 vcc_lo, exec_lo, s25
	s_cbranch_vccnz .LBB363_171
; %bb.170:
	s_wait_xcnt 0x0
	v_cndmask_b32_e64 v2, 0, 1, s18
	global_store_b16 v[0:1], v2, off
.LBB363_171:
	s_mov_b32 s25, 0
.LBB363_172:
	s_delay_alu instid0(SALU_CYCLE_1)
	s_and_not1_b32 vcc_lo, exec_lo, s25
	s_cbranch_vccnz .LBB363_180
; %bb.173:
	s_wait_xcnt 0x0
	v_cndmask_b32_e64 v3, 0, 1.0, s18
	v_mov_b32_e32 v4, 0x80
	s_mov_b32 s25, exec_lo
	s_delay_alu instid0(VALU_DEP_2)
	v_cmpx_gt_u32_e32 0x43800000, v3
	s_cbranch_execz .LBB363_179
; %bb.174:
	s_mov_b32 s26, 0
	s_mov_b32 s27, exec_lo
                                        ; implicit-def: $vgpr2
	v_cmpx_lt_u32_e32 0x3bffffff, v3
	s_xor_b32 s27, exec_lo, s27
	s_cbranch_execz .LBB363_403
; %bb.175:
	v_bfe_u32 v2, v3, 20, 1
	s_mov_b32 s26, exec_lo
	s_delay_alu instid0(VALU_DEP_1) | instskip(NEXT) | instid1(VALU_DEP_1)
	v_add3_u32 v2, v3, v2, 0x487ffff
                                        ; implicit-def: $vgpr3
	v_lshrrev_b32_e32 v2, 20, v2
	s_and_not1_saveexec_b32 s27, s27
	s_cbranch_execnz .LBB363_404
.LBB363_176:
	s_or_b32 exec_lo, exec_lo, s27
	v_mov_b32_e32 v4, 0
	s_and_saveexec_b32 s27, s26
.LBB363_177:
	v_mov_b32_e32 v4, v2
.LBB363_178:
	s_or_b32 exec_lo, exec_lo, s27
.LBB363_179:
	s_delay_alu instid0(SALU_CYCLE_1)
	s_or_b32 exec_lo, exec_lo, s25
	global_store_b8 v[0:1], v4, off
.LBB363_180:
	s_mov_b32 s25, -1
.LBB363_181:
	s_mov_b32 s26, 0
.LBB363_182:
	s_delay_alu instid0(SALU_CYCLE_1)
	s_and_b32 vcc_lo, exec_lo, s26
	s_cbranch_vccz .LBB363_223
; %bb.183:
	s_cmp_gt_i32 s24, 22
	s_mov_b32 s26, -1
	s_cbranch_scc0 .LBB363_215
; %bb.184:
	s_cmp_lt_i32 s24, 24
	s_mov_b32 s25, -1
	s_cbranch_scc1 .LBB363_204
; %bb.185:
	s_cmp_gt_i32 s24, 24
	s_cbranch_scc0 .LBB363_193
; %bb.186:
	s_wait_xcnt 0x0
	v_cndmask_b32_e64 v3, 0, 1.0, s18
	v_mov_b32_e32 v4, 0x80
	s_mov_b32 s25, exec_lo
	s_delay_alu instid0(VALU_DEP_2)
	v_cmpx_gt_u32_e32 0x47800000, v3
	s_cbranch_execz .LBB363_192
; %bb.187:
	s_mov_b32 s26, 0
	s_mov_b32 s27, exec_lo
                                        ; implicit-def: $vgpr2
	v_cmpx_lt_u32_e32 0x37ffffff, v3
	s_xor_b32 s27, exec_lo, s27
	s_cbranch_execz .LBB363_518
; %bb.188:
	v_bfe_u32 v2, v3, 21, 1
	s_mov_b32 s26, exec_lo
	s_delay_alu instid0(VALU_DEP_1) | instskip(NEXT) | instid1(VALU_DEP_1)
	v_add3_u32 v2, v3, v2, 0x88fffff
                                        ; implicit-def: $vgpr3
	v_lshrrev_b32_e32 v2, 21, v2
	s_and_not1_saveexec_b32 s27, s27
	s_cbranch_execnz .LBB363_519
.LBB363_189:
	s_or_b32 exec_lo, exec_lo, s27
	v_mov_b32_e32 v4, 0
	s_and_saveexec_b32 s27, s26
.LBB363_190:
	v_mov_b32_e32 v4, v2
.LBB363_191:
	s_or_b32 exec_lo, exec_lo, s27
.LBB363_192:
	s_delay_alu instid0(SALU_CYCLE_1)
	s_or_b32 exec_lo, exec_lo, s25
	s_mov_b32 s25, 0
	global_store_b8 v[0:1], v4, off
.LBB363_193:
	s_and_b32 vcc_lo, exec_lo, s25
	s_cbranch_vccz .LBB363_203
; %bb.194:
	s_wait_xcnt 0x0
	v_cndmask_b32_e64 v3, 0, 1.0, s18
	s_mov_b32 s25, exec_lo
                                        ; implicit-def: $vgpr2
	s_delay_alu instid0(VALU_DEP_1)
	v_cmpx_gt_u32_e32 0x43f00000, v3
	s_xor_b32 s25, exec_lo, s25
	s_cbranch_execz .LBB363_200
; %bb.195:
	s_mov_b32 s26, exec_lo
                                        ; implicit-def: $vgpr2
	v_cmpx_lt_u32_e32 0x3c7fffff, v3
	s_xor_b32 s26, exec_lo, s26
; %bb.196:
	v_bfe_u32 v2, v3, 20, 1
	s_delay_alu instid0(VALU_DEP_1) | instskip(NEXT) | instid1(VALU_DEP_1)
	v_add3_u32 v2, v3, v2, 0x407ffff
	v_and_b32_e32 v3, 0xff00000, v2
	v_lshrrev_b32_e32 v2, 20, v2
	s_delay_alu instid0(VALU_DEP_2) | instskip(NEXT) | instid1(VALU_DEP_2)
	v_cmp_ne_u32_e32 vcc_lo, 0x7f00000, v3
                                        ; implicit-def: $vgpr3
	v_cndmask_b32_e32 v2, 0x7e, v2, vcc_lo
; %bb.197:
	s_and_not1_saveexec_b32 s26, s26
; %bb.198:
	v_add_f32_e32 v2, 0x46800000, v3
; %bb.199:
	s_or_b32 exec_lo, exec_lo, s26
                                        ; implicit-def: $vgpr3
.LBB363_200:
	s_and_not1_saveexec_b32 s25, s25
; %bb.201:
	v_mov_b32_e32 v2, 0x7f
	v_cmp_lt_u32_e32 vcc_lo, 0x7f800000, v3
	s_delay_alu instid0(VALU_DEP_2)
	v_cndmask_b32_e32 v2, 0x7e, v2, vcc_lo
; %bb.202:
	s_or_b32 exec_lo, exec_lo, s25
	global_store_b8 v[0:1], v2, off
.LBB363_203:
	s_mov_b32 s25, 0
.LBB363_204:
	s_delay_alu instid0(SALU_CYCLE_1)
	s_and_not1_b32 vcc_lo, exec_lo, s25
	s_cbranch_vccnz .LBB363_214
; %bb.205:
	s_wait_xcnt 0x0
	v_cndmask_b32_e64 v3, 0, 1.0, s18
	s_mov_b32 s25, exec_lo
                                        ; implicit-def: $vgpr2
	s_delay_alu instid0(VALU_DEP_1)
	v_cmpx_gt_u32_e32 0x47800000, v3
	s_xor_b32 s25, exec_lo, s25
	s_cbranch_execz .LBB363_211
; %bb.206:
	s_mov_b32 s26, exec_lo
                                        ; implicit-def: $vgpr2
	v_cmpx_lt_u32_e32 0x387fffff, v3
	s_xor_b32 s26, exec_lo, s26
; %bb.207:
	v_bfe_u32 v2, v3, 21, 1
	s_delay_alu instid0(VALU_DEP_1) | instskip(NEXT) | instid1(VALU_DEP_1)
	v_add3_u32 v2, v3, v2, 0x80fffff
                                        ; implicit-def: $vgpr3
	v_lshrrev_b32_e32 v2, 21, v2
; %bb.208:
	s_and_not1_saveexec_b32 s26, s26
; %bb.209:
	v_add_f32_e32 v2, 0x43000000, v3
; %bb.210:
	s_or_b32 exec_lo, exec_lo, s26
                                        ; implicit-def: $vgpr3
.LBB363_211:
	s_and_not1_saveexec_b32 s25, s25
; %bb.212:
	v_mov_b32_e32 v2, 0x7f
	v_cmp_lt_u32_e32 vcc_lo, 0x7f800000, v3
	s_delay_alu instid0(VALU_DEP_2)
	v_cndmask_b32_e32 v2, 0x7c, v2, vcc_lo
; %bb.213:
	s_or_b32 exec_lo, exec_lo, s25
	global_store_b8 v[0:1], v2, off
.LBB363_214:
	s_mov_b32 s26, 0
	s_mov_b32 s25, -1
.LBB363_215:
	s_and_not1_b32 vcc_lo, exec_lo, s26
	s_cbranch_vccnz .LBB363_223
; %bb.216:
	s_cmp_gt_i32 s24, 14
	s_mov_b32 s26, -1
	s_cbranch_scc0 .LBB363_220
; %bb.217:
	s_cmp_eq_u32 s24, 15
	s_mov_b32 s0, -1
	s_cbranch_scc0 .LBB363_219
; %bb.218:
	s_wait_xcnt 0x0
	v_cndmask_b32_e64 v2, 0, 1.0, s18
	s_mov_b32 s25, -1
	s_mov_b32 s0, 0
	s_delay_alu instid0(VALU_DEP_1) | instskip(NEXT) | instid1(VALU_DEP_1)
	v_bfe_u32 v3, v2, 16, 1
	v_add3_u32 v2, v2, v3, 0x7fff
	global_store_d16_hi_b16 v[0:1], v2, off
.LBB363_219:
	s_mov_b32 s26, 0
.LBB363_220:
	s_delay_alu instid0(SALU_CYCLE_1)
	s_and_b32 vcc_lo, exec_lo, s26
	s_cbranch_vccz .LBB363_223
; %bb.221:
	s_cmp_eq_u32 s24, 11
	s_mov_b32 s0, -1
	s_cbranch_scc0 .LBB363_223
; %bb.222:
	s_wait_xcnt 0x0
	v_cndmask_b32_e64 v2, 0, 1, s18
	s_mov_b32 s25, -1
	s_mov_b32 s0, 0
	global_store_b8 v[0:1], v2, off
.LBB363_223:
	s_mov_b32 s24, 0
.LBB363_224:
	s_delay_alu instid0(SALU_CYCLE_1)
	s_and_b32 vcc_lo, exec_lo, s24
	s_cbranch_vccz .LBB363_263
; %bb.225:
	s_and_b32 s23, 0xffff, s23
	s_mov_b32 s24, -1
	s_cmp_lt_i32 s23, 5
	s_cbranch_scc1 .LBB363_246
; %bb.226:
	s_cmp_lt_i32 s23, 8
	s_cbranch_scc1 .LBB363_236
; %bb.227:
	;; [unrolled: 3-line block ×3, first 2 shown]
	s_cmp_gt_i32 s23, 9
	s_cbranch_scc0 .LBB363_230
; %bb.229:
	s_wait_xcnt 0x0
	v_cndmask_b32_e64 v2, 0, 1, s18
	v_mov_b32_e32 v4, 0
	s_mov_b32 s24, 0
	s_delay_alu instid0(VALU_DEP_2) | instskip(NEXT) | instid1(VALU_DEP_2)
	v_cvt_f64_u32_e32 v[2:3], v2
	v_mov_b32_e32 v5, v4
	global_store_b128 v[0:1], v[2:5], off
.LBB363_230:
	s_and_not1_b32 vcc_lo, exec_lo, s24
	s_cbranch_vccnz .LBB363_232
; %bb.231:
	s_wait_xcnt 0x0
	v_cndmask_b32_e64 v2, 0, 1.0, s18
	v_mov_b32_e32 v3, 0
	global_store_b64 v[0:1], v[2:3], off
.LBB363_232:
	s_mov_b32 s24, 0
.LBB363_233:
	s_delay_alu instid0(SALU_CYCLE_1)
	s_and_not1_b32 vcc_lo, exec_lo, s24
	s_cbranch_vccnz .LBB363_235
; %bb.234:
	s_wait_xcnt 0x0
	v_cndmask_b32_e64 v2, 0, 1.0, s18
	s_delay_alu instid0(VALU_DEP_1) | instskip(NEXT) | instid1(VALU_DEP_1)
	v_cvt_f16_f32_e32 v2, v2
	v_and_b32_e32 v2, 0xffff, v2
	global_store_b32 v[0:1], v2, off
.LBB363_235:
	s_mov_b32 s24, 0
.LBB363_236:
	s_delay_alu instid0(SALU_CYCLE_1)
	s_and_not1_b32 vcc_lo, exec_lo, s24
	s_cbranch_vccnz .LBB363_245
; %bb.237:
	s_cmp_lt_i32 s23, 6
	s_mov_b32 s24, -1
	s_cbranch_scc1 .LBB363_243
; %bb.238:
	s_cmp_gt_i32 s23, 6
	s_cbranch_scc0 .LBB363_240
; %bb.239:
	s_wait_xcnt 0x0
	v_cndmask_b32_e64 v2, 0, 1, s18
	s_mov_b32 s24, 0
	s_delay_alu instid0(VALU_DEP_1)
	v_cvt_f64_u32_e32 v[2:3], v2
	global_store_b64 v[0:1], v[2:3], off
.LBB363_240:
	s_and_not1_b32 vcc_lo, exec_lo, s24
	s_cbranch_vccnz .LBB363_242
; %bb.241:
	s_wait_xcnt 0x0
	v_cndmask_b32_e64 v2, 0, 1.0, s18
	global_store_b32 v[0:1], v2, off
.LBB363_242:
	s_mov_b32 s24, 0
.LBB363_243:
	s_delay_alu instid0(SALU_CYCLE_1)
	s_and_not1_b32 vcc_lo, exec_lo, s24
	s_cbranch_vccnz .LBB363_245
; %bb.244:
	s_wait_xcnt 0x0
	v_cndmask_b32_e64 v2, 0, 1.0, s18
	s_delay_alu instid0(VALU_DEP_1)
	v_cvt_f16_f32_e32 v2, v2
	global_store_b16 v[0:1], v2, off
.LBB363_245:
	s_mov_b32 s24, 0
.LBB363_246:
	s_delay_alu instid0(SALU_CYCLE_1)
	s_and_not1_b32 vcc_lo, exec_lo, s24
	s_cbranch_vccnz .LBB363_262
; %bb.247:
	s_cmp_lt_i32 s23, 2
	s_mov_b32 s24, -1
	s_cbranch_scc1 .LBB363_257
; %bb.248:
	s_cmp_lt_i32 s23, 3
	s_cbranch_scc1 .LBB363_254
; %bb.249:
	s_cmp_gt_i32 s23, 3
	s_cbranch_scc0 .LBB363_251
; %bb.250:
	s_mov_b32 s24, 0
	s_wait_xcnt 0x0
	v_cndmask_b32_e64 v2, 0, 1, s18
	v_mov_b32_e32 v3, s24
	global_store_b64 v[0:1], v[2:3], off
.LBB363_251:
	s_and_not1_b32 vcc_lo, exec_lo, s24
	s_cbranch_vccnz .LBB363_253
; %bb.252:
	s_wait_xcnt 0x0
	v_cndmask_b32_e64 v2, 0, 1, s18
	global_store_b32 v[0:1], v2, off
.LBB363_253:
	s_mov_b32 s24, 0
.LBB363_254:
	s_delay_alu instid0(SALU_CYCLE_1)
	s_and_not1_b32 vcc_lo, exec_lo, s24
	s_cbranch_vccnz .LBB363_256
; %bb.255:
	s_wait_xcnt 0x0
	v_cndmask_b32_e64 v2, 0, 1, s18
	global_store_b16 v[0:1], v2, off
.LBB363_256:
	s_mov_b32 s24, 0
.LBB363_257:
	s_delay_alu instid0(SALU_CYCLE_1)
	s_and_not1_b32 vcc_lo, exec_lo, s24
	s_cbranch_vccnz .LBB363_262
; %bb.258:
	s_wait_xcnt 0x0
	v_cndmask_b32_e64 v2, 0, 1, s18
	s_cmp_gt_i32 s23, 0
	s_mov_b32 s18, -1
	s_cbranch_scc0 .LBB363_260
; %bb.259:
	s_mov_b32 s18, 0
	global_store_b8 v[0:1], v2, off
.LBB363_260:
	s_and_not1_b32 vcc_lo, exec_lo, s18
	s_cbranch_vccnz .LBB363_262
; %bb.261:
	global_store_b8 v[0:1], v2, off
.LBB363_262:
	s_mov_b32 s25, -1
.LBB363_263:
	s_delay_alu instid0(SALU_CYCLE_1)
	s_and_not1_b32 vcc_lo, exec_lo, s25
	s_cbranch_vccnz .LBB363_372
; %bb.264:
	v_add_nc_u32_e32 v18, 0x80, v18
	s_mov_b32 s23, -1
	s_branch .LBB363_373
.LBB363_265:
	s_mov_b32 s19, -1
                                        ; implicit-def: $vgpr4_vgpr5
.LBB363_266:
	s_mov_b32 s24, 0
.LBB363_267:
	s_delay_alu instid0(SALU_CYCLE_1)
	s_and_b32 vcc_lo, exec_lo, s24
	s_cbranch_vccz .LBB363_271
; %bb.268:
	s_cmp_eq_u32 s18, 29
	s_cbranch_scc0 .LBB363_270
; %bb.269:
	global_load_b64 v[4:5], v[2:3], off
	s_mov_b32 s23, -1
	s_mov_b32 s19, 0
	s_branch .LBB363_271
.LBB363_270:
	s_mov_b32 s19, -1
                                        ; implicit-def: $vgpr4_vgpr5
.LBB363_271:
	s_mov_b32 s24, 0
.LBB363_272:
	s_delay_alu instid0(SALU_CYCLE_1)
	s_and_b32 vcc_lo, exec_lo, s24
	s_cbranch_vccz .LBB363_288
; %bb.273:
	s_cmp_lt_i32 s18, 27
	s_cbranch_scc1 .LBB363_276
; %bb.274:
	s_cmp_gt_i32 s18, 27
	s_cbranch_scc0 .LBB363_277
; %bb.275:
	s_wait_loadcnt 0x0
	global_load_b32 v4, v[2:3], off
	v_mov_b32_e32 v5, 0
	s_mov_b32 s23, 0
	s_branch .LBB363_278
.LBB363_276:
	s_mov_b32 s23, -1
                                        ; implicit-def: $vgpr4_vgpr5
	s_branch .LBB363_281
.LBB363_277:
	s_mov_b32 s23, -1
                                        ; implicit-def: $vgpr4_vgpr5
.LBB363_278:
	s_delay_alu instid0(SALU_CYCLE_1)
	s_and_not1_b32 vcc_lo, exec_lo, s23
	s_cbranch_vccnz .LBB363_280
; %bb.279:
	s_wait_loadcnt 0x0
	global_load_u16 v4, v[2:3], off
	s_mov_b32 s23, 0
	s_delay_alu instid0(SALU_CYCLE_1)
	v_mov_b32_e32 v5, s23
	s_wait_loadcnt 0x0
	v_and_b32_e32 v4, 0xffff, v4
.LBB363_280:
	s_mov_b32 s23, 0
.LBB363_281:
	s_delay_alu instid0(SALU_CYCLE_1)
	s_and_not1_b32 vcc_lo, exec_lo, s23
	s_cbranch_vccnz .LBB363_287
; %bb.282:
	global_load_u8 v6, v[2:3], off
	s_mov_b32 s24, 0
	s_mov_b32 s23, exec_lo
	s_wait_loadcnt 0x0
	v_cmpx_lt_i16_e32 0x7f, v6
	s_xor_b32 s23, exec_lo, s23
	s_cbranch_execz .LBB363_299
; %bb.283:
	v_cmp_ne_u16_e32 vcc_lo, 0x80, v6
	s_and_b32 s24, vcc_lo, exec_lo
	s_and_not1_saveexec_b32 s23, s23
	s_cbranch_execnz .LBB363_300
.LBB363_284:
	s_or_b32 exec_lo, exec_lo, s23
	v_mov_b64_e32 v[4:5], 0
	s_and_saveexec_b32 s23, s24
	s_cbranch_execz .LBB363_286
.LBB363_285:
	v_and_b32_e32 v4, 0xffff, v6
	s_delay_alu instid0(VALU_DEP_1) | instskip(SKIP_1) | instid1(VALU_DEP_2)
	v_and_b32_e32 v5, 7, v4
	v_bfe_u32 v9, v4, 3, 4
	v_clz_i32_u32_e32 v7, v5
	s_delay_alu instid0(VALU_DEP_2) | instskip(NEXT) | instid1(VALU_DEP_2)
	v_cmp_eq_u32_e32 vcc_lo, 0, v9
	v_min_u32_e32 v7, 32, v7
	s_delay_alu instid0(VALU_DEP_1) | instskip(NEXT) | instid1(VALU_DEP_1)
	v_subrev_nc_u32_e32 v8, 28, v7
	v_dual_lshlrev_b32 v4, v8, v4 :: v_dual_sub_nc_u32 v7, 29, v7
	s_delay_alu instid0(VALU_DEP_1) | instskip(NEXT) | instid1(VALU_DEP_2)
	v_dual_lshlrev_b32 v6, 24, v6 :: v_dual_bitop2_b32 v4, 7, v4 bitop3:0x40
	v_cndmask_b32_e32 v7, v9, v7, vcc_lo
	s_delay_alu instid0(VALU_DEP_2) | instskip(NEXT) | instid1(VALU_DEP_3)
	v_cndmask_b32_e32 v4, v5, v4, vcc_lo
	v_and_b32_e32 v5, 0x80000000, v6
	s_delay_alu instid0(VALU_DEP_3) | instskip(NEXT) | instid1(VALU_DEP_3)
	v_lshl_add_u32 v6, v7, 23, 0x3b800000
	v_lshlrev_b32_e32 v4, 20, v4
	s_delay_alu instid0(VALU_DEP_1) | instskip(NEXT) | instid1(VALU_DEP_1)
	v_or3_b32 v4, v5, v6, v4
	v_trunc_f32_e32 v4, v4
	s_delay_alu instid0(VALU_DEP_1) | instskip(NEXT) | instid1(VALU_DEP_1)
	v_mul_f32_e32 v5, 0x2f800000, v4
	v_floor_f32_e32 v5, v5
	s_delay_alu instid0(VALU_DEP_1) | instskip(SKIP_1) | instid1(VALU_DEP_2)
	v_fmamk_f32 v4, v5, 0xcf800000, v4
	v_cvt_u32_f32_e32 v5, v5
	v_cvt_u32_f32_e32 v4, v4
.LBB363_286:
	s_or_b32 exec_lo, exec_lo, s23
.LBB363_287:
	s_mov_b32 s23, -1
.LBB363_288:
	s_mov_b32 s24, 0
.LBB363_289:
	s_delay_alu instid0(SALU_CYCLE_1)
	s_and_b32 vcc_lo, exec_lo, s24
	s_cbranch_vccz .LBB363_322
; %bb.290:
	s_cmp_gt_i32 s18, 22
	s_cbranch_scc0 .LBB363_298
; %bb.291:
	s_cmp_lt_i32 s18, 24
	s_cbranch_scc1 .LBB363_301
; %bb.292:
	s_cmp_gt_i32 s18, 24
	s_cbranch_scc0 .LBB363_302
; %bb.293:
	global_load_u8 v6, v[2:3], off
	s_mov_b32 s24, 0
	s_mov_b32 s23, exec_lo
	s_wait_loadcnt 0x0
	v_cmpx_lt_i16_e32 0x7f, v6
	s_xor_b32 s23, exec_lo, s23
	s_cbranch_execz .LBB363_314
; %bb.294:
	v_cmp_ne_u16_e32 vcc_lo, 0x80, v6
	s_and_b32 s24, vcc_lo, exec_lo
	s_and_not1_saveexec_b32 s23, s23
	s_cbranch_execnz .LBB363_315
.LBB363_295:
	s_or_b32 exec_lo, exec_lo, s23
	v_mov_b64_e32 v[4:5], 0
	s_and_saveexec_b32 s23, s24
	s_cbranch_execz .LBB363_297
.LBB363_296:
	v_and_b32_e32 v4, 0xffff, v6
	s_delay_alu instid0(VALU_DEP_1) | instskip(SKIP_1) | instid1(VALU_DEP_2)
	v_and_b32_e32 v5, 3, v4
	v_bfe_u32 v9, v4, 2, 5
	v_clz_i32_u32_e32 v7, v5
	s_delay_alu instid0(VALU_DEP_2) | instskip(NEXT) | instid1(VALU_DEP_2)
	v_cmp_eq_u32_e32 vcc_lo, 0, v9
	v_min_u32_e32 v7, 32, v7
	s_delay_alu instid0(VALU_DEP_1) | instskip(NEXT) | instid1(VALU_DEP_1)
	v_subrev_nc_u32_e32 v8, 29, v7
	v_dual_lshlrev_b32 v4, v8, v4 :: v_dual_sub_nc_u32 v7, 30, v7
	s_delay_alu instid0(VALU_DEP_1) | instskip(NEXT) | instid1(VALU_DEP_2)
	v_dual_lshlrev_b32 v6, 24, v6 :: v_dual_bitop2_b32 v4, 3, v4 bitop3:0x40
	v_cndmask_b32_e32 v7, v9, v7, vcc_lo
	s_delay_alu instid0(VALU_DEP_2) | instskip(NEXT) | instid1(VALU_DEP_3)
	v_cndmask_b32_e32 v4, v5, v4, vcc_lo
	v_and_b32_e32 v5, 0x80000000, v6
	s_delay_alu instid0(VALU_DEP_3) | instskip(NEXT) | instid1(VALU_DEP_3)
	v_lshl_add_u32 v6, v7, 23, 0x37800000
	v_lshlrev_b32_e32 v4, 21, v4
	s_delay_alu instid0(VALU_DEP_1) | instskip(NEXT) | instid1(VALU_DEP_1)
	v_or3_b32 v4, v5, v6, v4
	v_trunc_f32_e32 v4, v4
	s_delay_alu instid0(VALU_DEP_1) | instskip(NEXT) | instid1(VALU_DEP_1)
	v_mul_f32_e32 v5, 0x2f800000, v4
	v_floor_f32_e32 v5, v5
	s_delay_alu instid0(VALU_DEP_1) | instskip(SKIP_1) | instid1(VALU_DEP_2)
	v_fmamk_f32 v4, v5, 0xcf800000, v4
	v_cvt_u32_f32_e32 v5, v5
	v_cvt_u32_f32_e32 v4, v4
.LBB363_297:
	s_or_b32 exec_lo, exec_lo, s23
	s_mov_b32 s23, 0
	s_branch .LBB363_303
.LBB363_298:
	s_mov_b32 s24, -1
                                        ; implicit-def: $vgpr4_vgpr5
	s_branch .LBB363_309
.LBB363_299:
	s_and_not1_saveexec_b32 s23, s23
	s_cbranch_execz .LBB363_284
.LBB363_300:
	v_cmp_ne_u16_e32 vcc_lo, 0, v6
	s_and_not1_b32 s24, s24, exec_lo
	s_and_b32 s25, vcc_lo, exec_lo
	s_delay_alu instid0(SALU_CYCLE_1)
	s_or_b32 s24, s24, s25
	s_or_b32 exec_lo, exec_lo, s23
	v_mov_b64_e32 v[4:5], 0
	s_and_saveexec_b32 s23, s24
	s_cbranch_execnz .LBB363_285
	s_branch .LBB363_286
.LBB363_301:
	s_mov_b32 s23, -1
                                        ; implicit-def: $vgpr4_vgpr5
	s_branch .LBB363_306
.LBB363_302:
	s_mov_b32 s23, -1
                                        ; implicit-def: $vgpr4_vgpr5
.LBB363_303:
	s_delay_alu instid0(SALU_CYCLE_1)
	s_and_b32 vcc_lo, exec_lo, s23
	s_cbranch_vccz .LBB363_305
; %bb.304:
	s_wait_loadcnt 0x0
	global_load_u8 v4, v[2:3], off
	s_wait_loadcnt 0x0
	v_lshlrev_b32_e32 v4, 24, v4
	s_delay_alu instid0(VALU_DEP_1) | instskip(NEXT) | instid1(VALU_DEP_1)
	v_and_b32_e32 v5, 0x7f000000, v4
	v_clz_i32_u32_e32 v6, v5
	v_cmp_ne_u32_e32 vcc_lo, 0, v5
	v_add_nc_u32_e32 v8, 0x1000000, v5
	s_delay_alu instid0(VALU_DEP_3) | instskip(NEXT) | instid1(VALU_DEP_1)
	v_min_u32_e32 v6, 32, v6
	v_sub_nc_u32_e64 v6, v6, 4 clamp
	s_delay_alu instid0(VALU_DEP_1) | instskip(NEXT) | instid1(VALU_DEP_1)
	v_dual_lshlrev_b32 v7, v6, v5 :: v_dual_lshlrev_b32 v6, 23, v6
	v_lshrrev_b32_e32 v7, 4, v7
	s_delay_alu instid0(VALU_DEP_1) | instskip(NEXT) | instid1(VALU_DEP_1)
	v_dual_sub_nc_u32 v6, v7, v6 :: v_dual_ashrrev_i32 v7, 8, v8
	v_add_nc_u32_e32 v6, 0x3c000000, v6
	s_delay_alu instid0(VALU_DEP_1) | instskip(NEXT) | instid1(VALU_DEP_1)
	v_and_or_b32 v6, 0x7f800000, v7, v6
	v_cndmask_b32_e32 v5, 0, v6, vcc_lo
	s_delay_alu instid0(VALU_DEP_1) | instskip(NEXT) | instid1(VALU_DEP_1)
	v_and_or_b32 v4, 0x80000000, v4, v5
	v_trunc_f32_e32 v4, v4
	s_delay_alu instid0(VALU_DEP_1) | instskip(NEXT) | instid1(VALU_DEP_1)
	v_mul_f32_e32 v5, 0x2f800000, v4
	v_floor_f32_e32 v5, v5
	s_delay_alu instid0(VALU_DEP_1) | instskip(SKIP_1) | instid1(VALU_DEP_2)
	v_fmamk_f32 v4, v5, 0xcf800000, v4
	v_cvt_u32_f32_e32 v5, v5
	v_cvt_u32_f32_e32 v4, v4
.LBB363_305:
	s_mov_b32 s23, 0
.LBB363_306:
	s_delay_alu instid0(SALU_CYCLE_1)
	s_and_not1_b32 vcc_lo, exec_lo, s23
	s_cbranch_vccnz .LBB363_308
; %bb.307:
	s_wait_loadcnt 0x0
	global_load_u8 v4, v[2:3], off
	s_wait_loadcnt 0x0
	v_lshlrev_b32_e32 v5, 25, v4
	v_lshlrev_b16 v4, 8, v4
	s_delay_alu instid0(VALU_DEP_1) | instskip(SKIP_1) | instid1(VALU_DEP_2)
	v_and_or_b32 v7, 0x7f00, v4, 0.5
	v_bfe_i32 v4, v4, 0, 16
	v_dual_add_f32 v7, -0.5, v7 :: v_dual_lshrrev_b32 v6, 4, v5
	v_cmp_gt_u32_e32 vcc_lo, 0x8000000, v5
	s_delay_alu instid0(VALU_DEP_2) | instskip(NEXT) | instid1(VALU_DEP_1)
	v_or_b32_e32 v6, 0x70000000, v6
	v_mul_f32_e32 v6, 0x7800000, v6
	s_delay_alu instid0(VALU_DEP_1) | instskip(NEXT) | instid1(VALU_DEP_1)
	v_cndmask_b32_e32 v5, v6, v7, vcc_lo
	v_and_or_b32 v4, 0x80000000, v4, v5
	s_delay_alu instid0(VALU_DEP_1) | instskip(NEXT) | instid1(VALU_DEP_1)
	v_trunc_f32_e32 v4, v4
	v_mul_f32_e32 v5, 0x2f800000, v4
	s_delay_alu instid0(VALU_DEP_1) | instskip(NEXT) | instid1(VALU_DEP_1)
	v_floor_f32_e32 v5, v5
	v_fmamk_f32 v4, v5, 0xcf800000, v4
	v_cvt_u32_f32_e32 v5, v5
	s_delay_alu instid0(VALU_DEP_2)
	v_cvt_u32_f32_e32 v4, v4
.LBB363_308:
	s_mov_b32 s24, 0
	s_mov_b32 s23, -1
.LBB363_309:
	s_and_not1_b32 vcc_lo, exec_lo, s24
	s_cbranch_vccnz .LBB363_322
; %bb.310:
	s_cmp_gt_i32 s18, 14
	s_cbranch_scc0 .LBB363_313
; %bb.311:
	s_cmp_eq_u32 s18, 15
	s_cbranch_scc0 .LBB363_316
; %bb.312:
	s_wait_loadcnt 0x0
	global_load_u16 v4, v[2:3], off
	s_mov_b32 s23, -1
	s_mov_b32 s19, 0
	s_wait_loadcnt 0x0
	v_lshlrev_b32_e32 v4, 16, v4
	s_delay_alu instid0(VALU_DEP_1) | instskip(NEXT) | instid1(VALU_DEP_1)
	v_trunc_f32_e32 v4, v4
	v_mul_f32_e32 v5, 0x2f800000, v4
	s_delay_alu instid0(VALU_DEP_1) | instskip(NEXT) | instid1(VALU_DEP_1)
	v_floor_f32_e32 v5, v5
	v_fmamk_f32 v4, v5, 0xcf800000, v4
	v_cvt_u32_f32_e32 v5, v5
	s_delay_alu instid0(VALU_DEP_2)
	v_cvt_u32_f32_e32 v4, v4
	s_branch .LBB363_317
.LBB363_313:
	s_mov_b32 s24, -1
                                        ; implicit-def: $vgpr4_vgpr5
	s_branch .LBB363_318
.LBB363_314:
	s_and_not1_saveexec_b32 s23, s23
	s_cbranch_execz .LBB363_295
.LBB363_315:
	v_cmp_ne_u16_e32 vcc_lo, 0, v6
	s_and_not1_b32 s24, s24, exec_lo
	s_and_b32 s25, vcc_lo, exec_lo
	s_delay_alu instid0(SALU_CYCLE_1)
	s_or_b32 s24, s24, s25
	s_or_b32 exec_lo, exec_lo, s23
	v_mov_b64_e32 v[4:5], 0
	s_and_saveexec_b32 s23, s24
	s_cbranch_execnz .LBB363_296
	s_branch .LBB363_297
.LBB363_316:
	s_mov_b32 s19, -1
                                        ; implicit-def: $vgpr4_vgpr5
.LBB363_317:
	s_mov_b32 s24, 0
.LBB363_318:
	s_delay_alu instid0(SALU_CYCLE_1)
	s_and_b32 vcc_lo, exec_lo, s24
	s_cbranch_vccz .LBB363_322
; %bb.319:
	s_cmp_eq_u32 s18, 11
	s_cbranch_scc0 .LBB363_321
; %bb.320:
	s_wait_loadcnt 0x0
	global_load_u8 v4, v[2:3], off
	s_mov_b32 s19, 0
	s_mov_b32 s23, -1
	v_mov_b32_e32 v5, s19
	s_wait_loadcnt 0x0
	v_cmp_ne_u16_e32 vcc_lo, 0, v4
	v_cndmask_b32_e64 v4, 0, 1, vcc_lo
	s_branch .LBB363_322
.LBB363_321:
	s_mov_b32 s19, -1
                                        ; implicit-def: $vgpr4_vgpr5
.LBB363_322:
	s_branch .LBB363_20
.LBB363_323:
	s_and_b32 s0, 0xffff, s0
	s_delay_alu instid0(SALU_CYCLE_1)
	s_cmp_lt_i32 s0, 5
	s_cbranch_scc1 .LBB363_328
; %bb.324:
	s_cmp_lt_i32 s0, 8
	s_cbranch_scc1 .LBB363_329
; %bb.325:
	;; [unrolled: 3-line block ×3, first 2 shown]
	s_cmp_gt_i32 s0, 9
	s_cbranch_scc0 .LBB363_331
; %bb.327:
	s_wait_loadcnt 0x0
	global_load_b64 v[4:5], v[2:3], off
	s_mov_b32 s18, 0
	s_wait_loadcnt 0x0
	v_trunc_f64_e32 v[4:5], v[4:5]
	s_delay_alu instid0(VALU_DEP_1) | instskip(NEXT) | instid1(VALU_DEP_1)
	v_ldexp_f64 v[6:7], v[4:5], 0xffffffe0
	v_floor_f64_e32 v[6:7], v[6:7]
	s_delay_alu instid0(VALU_DEP_1) | instskip(SKIP_1) | instid1(VALU_DEP_2)
	v_fmamk_f64 v[8:9], v[6:7], 0xc1f00000, v[4:5]
	v_cvt_u32_f64_e32 v5, v[6:7]
	v_cvt_u32_f64_e32 v4, v[8:9]
	s_branch .LBB363_332
.LBB363_328:
	s_mov_b32 s18, -1
                                        ; implicit-def: $vgpr4_vgpr5
	s_branch .LBB363_350
.LBB363_329:
	s_mov_b32 s18, -1
                                        ; implicit-def: $vgpr4_vgpr5
	s_branch .LBB363_338
.LBB363_330:
	s_mov_b32 s18, -1
                                        ; implicit-def: $vgpr4_vgpr5
	s_branch .LBB363_335
.LBB363_331:
	s_mov_b32 s18, -1
                                        ; implicit-def: $vgpr4_vgpr5
.LBB363_332:
	s_delay_alu instid0(SALU_CYCLE_1)
	s_and_not1_b32 vcc_lo, exec_lo, s18
	s_cbranch_vccnz .LBB363_334
; %bb.333:
	s_wait_loadcnt 0x0
	global_load_b32 v4, v[2:3], off
	s_wait_loadcnt 0x0
	v_trunc_f32_e32 v4, v4
	s_delay_alu instid0(VALU_DEP_1) | instskip(NEXT) | instid1(VALU_DEP_1)
	v_mul_f32_e32 v5, 0x2f800000, v4
	v_floor_f32_e32 v5, v5
	s_delay_alu instid0(VALU_DEP_1) | instskip(SKIP_1) | instid1(VALU_DEP_2)
	v_fmamk_f32 v4, v5, 0xcf800000, v4
	v_cvt_u32_f32_e32 v5, v5
	v_cvt_u32_f32_e32 v4, v4
.LBB363_334:
	s_mov_b32 s18, 0
.LBB363_335:
	s_delay_alu instid0(SALU_CYCLE_1)
	s_and_not1_b32 vcc_lo, exec_lo, s18
	s_cbranch_vccnz .LBB363_337
; %bb.336:
	s_wait_loadcnt 0x0
	global_load_b32 v4, v[2:3], off
	v_mov_b32_e32 v5, 0
	s_wait_loadcnt 0x0
	v_cvt_f32_f16_e32 v4, v4
	s_delay_alu instid0(VALU_DEP_1)
	v_cvt_u32_f32_e32 v4, v4
.LBB363_337:
	s_mov_b32 s18, 0
.LBB363_338:
	s_delay_alu instid0(SALU_CYCLE_1)
	s_and_not1_b32 vcc_lo, exec_lo, s18
	s_cbranch_vccnz .LBB363_349
; %bb.339:
	s_cmp_lt_i32 s0, 6
	s_cbranch_scc1 .LBB363_342
; %bb.340:
	s_cmp_gt_i32 s0, 6
	s_cbranch_scc0 .LBB363_343
; %bb.341:
	s_wait_loadcnt 0x0
	global_load_b64 v[4:5], v[2:3], off
	s_mov_b32 s18, 0
	s_wait_loadcnt 0x0
	v_trunc_f64_e32 v[4:5], v[4:5]
	s_delay_alu instid0(VALU_DEP_1) | instskip(NEXT) | instid1(VALU_DEP_1)
	v_ldexp_f64 v[6:7], v[4:5], 0xffffffe0
	v_floor_f64_e32 v[6:7], v[6:7]
	s_delay_alu instid0(VALU_DEP_1) | instskip(SKIP_1) | instid1(VALU_DEP_2)
	v_fmamk_f64 v[8:9], v[6:7], 0xc1f00000, v[4:5]
	v_cvt_u32_f64_e32 v5, v[6:7]
	v_cvt_u32_f64_e32 v4, v[8:9]
	s_branch .LBB363_344
.LBB363_342:
	s_mov_b32 s18, -1
                                        ; implicit-def: $vgpr4_vgpr5
	s_branch .LBB363_347
.LBB363_343:
	s_mov_b32 s18, -1
                                        ; implicit-def: $vgpr4_vgpr5
.LBB363_344:
	s_delay_alu instid0(SALU_CYCLE_1)
	s_and_not1_b32 vcc_lo, exec_lo, s18
	s_cbranch_vccnz .LBB363_346
; %bb.345:
	s_wait_loadcnt 0x0
	global_load_b32 v4, v[2:3], off
	s_wait_loadcnt 0x0
	v_trunc_f32_e32 v4, v4
	s_delay_alu instid0(VALU_DEP_1) | instskip(NEXT) | instid1(VALU_DEP_1)
	v_mul_f32_e32 v5, 0x2f800000, v4
	v_floor_f32_e32 v5, v5
	s_delay_alu instid0(VALU_DEP_1) | instskip(SKIP_1) | instid1(VALU_DEP_2)
	v_fmamk_f32 v4, v5, 0xcf800000, v4
	v_cvt_u32_f32_e32 v5, v5
	v_cvt_u32_f32_e32 v4, v4
.LBB363_346:
	s_mov_b32 s18, 0
.LBB363_347:
	s_delay_alu instid0(SALU_CYCLE_1)
	s_and_not1_b32 vcc_lo, exec_lo, s18
	s_cbranch_vccnz .LBB363_349
; %bb.348:
	s_wait_loadcnt 0x0
	global_load_u16 v4, v[2:3], off
	v_mov_b32_e32 v5, 0
	s_wait_loadcnt 0x0
	v_cvt_f32_f16_e32 v4, v4
	s_delay_alu instid0(VALU_DEP_1)
	v_cvt_u32_f32_e32 v4, v4
.LBB363_349:
	s_mov_b32 s18, 0
.LBB363_350:
	s_delay_alu instid0(SALU_CYCLE_1)
	s_and_not1_b32 vcc_lo, exec_lo, s18
	s_cbranch_vccnz .LBB363_370
; %bb.351:
	s_cmp_lt_i32 s0, 2
	s_cbranch_scc1 .LBB363_355
; %bb.352:
	s_cmp_lt_i32 s0, 3
	s_cbranch_scc1 .LBB363_356
; %bb.353:
	s_cmp_gt_i32 s0, 3
	s_cbranch_scc0 .LBB363_357
; %bb.354:
	s_wait_loadcnt 0x0
	global_load_b64 v[4:5], v[2:3], off
	s_mov_b32 s18, 0
	s_branch .LBB363_358
.LBB363_355:
	s_mov_b32 s18, -1
                                        ; implicit-def: $vgpr4_vgpr5
	s_branch .LBB363_364
.LBB363_356:
	s_mov_b32 s18, -1
                                        ; implicit-def: $vgpr4_vgpr5
	s_branch .LBB363_361
.LBB363_357:
	s_mov_b32 s18, -1
                                        ; implicit-def: $vgpr4_vgpr5
.LBB363_358:
	s_delay_alu instid0(SALU_CYCLE_1)
	s_and_not1_b32 vcc_lo, exec_lo, s18
	s_cbranch_vccnz .LBB363_360
; %bb.359:
	s_wait_loadcnt 0x0
	global_load_b32 v4, v[2:3], off
	s_wait_loadcnt 0x0
	v_ashrrev_i32_e32 v5, 31, v4
.LBB363_360:
	s_mov_b32 s18, 0
.LBB363_361:
	s_delay_alu instid0(SALU_CYCLE_1)
	s_and_not1_b32 vcc_lo, exec_lo, s18
	s_cbranch_vccnz .LBB363_363
; %bb.362:
	s_wait_loadcnt 0x0
	global_load_u16 v4, v[2:3], off
	s_wait_loadcnt 0x0
	v_bfe_i32 v4, v4, 0, 16
	s_delay_alu instid0(VALU_DEP_1)
	v_ashrrev_i32_e32 v5, 31, v4
.LBB363_363:
	s_mov_b32 s18, 0
.LBB363_364:
	s_delay_alu instid0(SALU_CYCLE_1)
	s_and_not1_b32 vcc_lo, exec_lo, s18
	s_cbranch_vccnz .LBB363_370
; %bb.365:
	s_cmp_gt_i32 s0, 0
	s_mov_b32 s0, 0
	s_cbranch_scc0 .LBB363_367
; %bb.366:
	s_wait_loadcnt 0x0
	global_load_i8 v4, v[2:3], off
	s_wait_loadcnt 0x0
	v_bfe_i32 v4, v4, 0, 16
	s_delay_alu instid0(VALU_DEP_1)
	v_ashrrev_i32_e32 v5, 31, v4
	s_branch .LBB363_368
.LBB363_367:
	s_mov_b32 s0, -1
                                        ; implicit-def: $vgpr4_vgpr5
.LBB363_368:
	s_delay_alu instid0(SALU_CYCLE_1)
	s_and_not1_b32 vcc_lo, exec_lo, s0
	s_cbranch_vccnz .LBB363_370
; %bb.369:
	global_load_u8 v2, v[2:3], off
	s_mov_b32 s0, 0
	s_wait_loadcnt 0x1
	v_mov_b32_e32 v5, s0
	s_wait_loadcnt 0x0
	v_and_b32_e32 v4, 0xffff, v2
.LBB363_370:
	s_branch .LBB363_21
.LBB363_371:
	s_mov_b32 s0, 0
.LBB363_372:
	s_mov_b32 s23, 0
                                        ; implicit-def: $vgpr18
.LBB363_373:
	s_and_b32 s18, s0, exec_lo
	s_and_b32 s19, s19, exec_lo
	;; [unrolled: 1-line block ×3, first 2 shown]
	s_or_not1_b32 s25, s23, exec_lo
.LBB363_374:
	s_wait_xcnt 0x0
	s_or_b32 exec_lo, exec_lo, s21
	s_mov_b32 s24, 0
	s_mov_b32 s23, 0
                                        ; implicit-def: $sgpr0
                                        ; implicit-def: $vgpr2_vgpr3
                                        ; implicit-def: $vgpr0_vgpr1
	s_and_saveexec_b32 s21, s25
	s_cbranch_execz .LBB363_383
; %bb.375:
	s_mov_b32 s27, -1
	s_mov_b32 s22, s20
	s_mov_b32 s24, s19
	;; [unrolled: 1-line block ×3, first 2 shown]
	s_mov_b32 s25, exec_lo
	v_cmpx_gt_i32_e64 s17, v18
	s_cbranch_execz .LBB363_759
; %bb.376:
	s_wait_loadcnt 0x0
	v_mul_lo_u32 v0, v18, s9
	s_and_b32 s0, s14, 0xff
	s_delay_alu instid0(SALU_CYCLE_1) | instskip(NEXT) | instid1(VALU_DEP_1)
	s_cmp_lt_i32 s0, 11
	v_ashrrev_i32_e32 v1, 31, v0
	s_delay_alu instid0(VALU_DEP_1)
	v_add_nc_u64_e32 v[2:3], s[6:7], v[0:1]
	s_cbranch_scc1 .LBB363_386
; %bb.377:
	s_and_b32 s23, 0xffff, s0
	s_delay_alu instid0(SALU_CYCLE_1)
	s_cmp_gt_i32 s23, 25
	s_cbranch_scc0 .LBB363_395
; %bb.378:
	s_cmp_gt_i32 s23, 28
	s_cbranch_scc0 .LBB363_397
; %bb.379:
	;; [unrolled: 3-line block ×4, first 2 shown]
	s_cmp_eq_u32 s23, 46
	s_mov_b32 s26, 0
	s_cbranch_scc0 .LBB363_405
; %bb.382:
	global_load_b32 v0, v[2:3], off
	s_mov_b32 s24, -1
	s_mov_b32 s22, 0
	s_wait_loadcnt 0x0
	v_lshlrev_b32_e32 v0, 16, v0
	s_delay_alu instid0(VALU_DEP_1) | instskip(NEXT) | instid1(VALU_DEP_1)
	v_trunc_f32_e32 v0, v0
	v_mul_f32_e32 v1, 0x2f800000, v0
	s_delay_alu instid0(VALU_DEP_1) | instskip(NEXT) | instid1(VALU_DEP_1)
	v_floor_f32_e32 v1, v1
	v_fmamk_f32 v0, v1, 0xcf800000, v0
	v_cvt_u32_f32_e32 v1, v1
	s_delay_alu instid0(VALU_DEP_2)
	v_cvt_u32_f32_e32 v0, v0
	s_branch .LBB363_407
.LBB363_383:
	s_or_b32 exec_lo, exec_lo, s21
	s_mov_b32 s17, 0
	s_and_saveexec_b32 s21, s20
	s_cbranch_execnz .LBB363_1223
.LBB363_384:
	s_or_b32 exec_lo, exec_lo, s21
	s_and_saveexec_b32 s20, s22
	s_delay_alu instid0(SALU_CYCLE_1)
	s_xor_b32 s20, exec_lo, s20
	s_cbranch_execz .LBB363_1224
.LBB363_385:
	s_wait_loadcnt 0x0
	global_load_u8 v0, v[2:3], off
	s_mov_b32 s21, 0
	s_or_b32 s23, s23, exec_lo
	v_mov_b32_e32 v1, s21
	s_wait_loadcnt 0x0
	v_cmp_ne_u16_e32 vcc_lo, 0, v0
	v_cndmask_b32_e64 v0, 0, 1, vcc_lo
	s_wait_xcnt 0x0
	s_or_b32 exec_lo, exec_lo, s20
	s_and_saveexec_b32 s20, s24
	s_cbranch_execz .LBB363_1270
	s_branch .LBB363_1225
.LBB363_386:
	s_mov_b32 s24, 0
	s_mov_b32 s22, s20
                                        ; implicit-def: $vgpr0_vgpr1
	s_cbranch_execnz .LBB363_469
.LBB363_387:
	s_and_not1_b32 vcc_lo, exec_lo, s24
	s_cbranch_vccnz .LBB363_517
.LBB363_388:
	s_wait_xcnt 0x0
	v_mul_lo_u32 v2, v18, s10
	s_and_b32 s0, s1, 0xff
	s_delay_alu instid0(SALU_CYCLE_1) | instskip(NEXT) | instid1(VALU_DEP_1)
	s_cmp_lt_i32 s0, 11
	v_ashrrev_i32_e32 v3, 31, v2
	s_delay_alu instid0(VALU_DEP_1)
	v_add_nc_u64_e32 v[2:3], s[2:3], v[2:3]
	s_cbranch_scc1 .LBB363_396
; %bb.389:
	s_and_b32 s23, 0xffff, s0
	s_delay_alu instid0(SALU_CYCLE_1)
	s_cmp_gt_i32 s23, 25
	s_cbranch_scc0 .LBB363_398
; %bb.390:
	s_cmp_gt_i32 s23, 28
	s_cbranch_scc0 .LBB363_400
; %bb.391:
	;; [unrolled: 3-line block ×4, first 2 shown]
	s_cmp_eq_u32 s23, 46
	s_mov_b32 s27, 0
	s_cbranch_scc0 .LBB363_520
; %bb.394:
	global_load_b32 v4, v[2:3], off
	s_mov_b32 s26, -1
	s_mov_b32 s24, 0
	s_wait_loadcnt 0x0
	v_lshlrev_b32_e32 v4, 16, v4
	s_delay_alu instid0(VALU_DEP_1) | instskip(NEXT) | instid1(VALU_DEP_1)
	v_trunc_f32_e32 v4, v4
	v_mul_f32_e32 v5, 0x2f800000, v4
	s_delay_alu instid0(VALU_DEP_1) | instskip(NEXT) | instid1(VALU_DEP_1)
	v_floor_f32_e32 v5, v5
	v_fmamk_f32 v4, v5, 0xcf800000, v4
	v_cvt_u32_f32_e32 v5, v5
	s_delay_alu instid0(VALU_DEP_2)
	v_cvt_u32_f32_e32 v4, v4
	s_branch .LBB363_522
.LBB363_395:
	s_mov_b32 s26, -1
	s_mov_b32 s24, 0
	s_mov_b32 s22, s20
                                        ; implicit-def: $vgpr0_vgpr1
	s_branch .LBB363_435
.LBB363_396:
	s_mov_b32 s23, -1
	s_mov_b32 s26, 0
	s_mov_b32 s24, s19
                                        ; implicit-def: $vgpr4_vgpr5
	s_branch .LBB363_583
.LBB363_397:
	s_mov_b32 s26, -1
	s_mov_b32 s24, 0
	s_mov_b32 s22, s20
                                        ; implicit-def: $vgpr0_vgpr1
	s_branch .LBB363_418
.LBB363_398:
	s_mov_b32 s27, -1
	s_mov_b32 s26, 0
	s_mov_b32 s24, s19
                                        ; implicit-def: $vgpr4_vgpr5
	s_branch .LBB363_549
.LBB363_399:
	s_mov_b32 s26, -1
	s_mov_b32 s24, 0
	s_mov_b32 s22, s20
                                        ; implicit-def: $vgpr0_vgpr1
	s_branch .LBB363_413
.LBB363_400:
	s_mov_b32 s27, -1
	s_mov_b32 s26, 0
	s_mov_b32 s24, s19
                                        ; implicit-def: $vgpr4_vgpr5
	s_branch .LBB363_532
.LBB363_401:
	s_mov_b32 s26, -1
	s_mov_b32 s24, 0
	s_mov_b32 s22, s20
	s_branch .LBB363_406
.LBB363_402:
	s_mov_b32 s27, -1
	s_mov_b32 s26, 0
	s_mov_b32 s24, s19
                                        ; implicit-def: $vgpr4_vgpr5
	s_branch .LBB363_527
.LBB363_403:
	s_and_not1_saveexec_b32 s27, s27
	s_cbranch_execz .LBB363_176
.LBB363_404:
	v_add_f32_e32 v2, 0x46000000, v3
	s_and_not1_b32 s26, s26, exec_lo
	s_delay_alu instid0(VALU_DEP_1) | instskip(NEXT) | instid1(VALU_DEP_1)
	v_and_b32_e32 v2, 0xff, v2
	v_cmp_ne_u32_e32 vcc_lo, 0, v2
	s_and_b32 s28, vcc_lo, exec_lo
	s_delay_alu instid0(SALU_CYCLE_1)
	s_or_b32 s26, s26, s28
	s_or_b32 exec_lo, exec_lo, s27
	v_mov_b32_e32 v4, 0
	s_and_saveexec_b32 s27, s26
	s_cbranch_execnz .LBB363_177
	s_branch .LBB363_178
.LBB363_405:
	s_mov_b32 s22, -1
	s_mov_b32 s24, 0
.LBB363_406:
                                        ; implicit-def: $vgpr0_vgpr1
.LBB363_407:
	s_and_b32 vcc_lo, exec_lo, s26
	s_cbranch_vccz .LBB363_412
; %bb.408:
	s_cmp_eq_u32 s23, 44
	s_cbranch_scc0 .LBB363_411
; %bb.409:
	global_load_u8 v0, v[2:3], off
	s_mov_b32 s22, 0
	s_mov_b32 s24, -1
	s_wait_loadcnt 0x0
	v_cmp_ne_u32_e32 vcc_lo, 0, v0
	v_lshlrev_b32_e32 v1, 23, v0
	s_delay_alu instid0(VALU_DEP_1) | instskip(NEXT) | instid1(VALU_DEP_1)
	v_trunc_f32_e32 v1, v1
	v_mul_f32_e32 v4, 0x2f800000, v1
	s_delay_alu instid0(VALU_DEP_1) | instskip(NEXT) | instid1(VALU_DEP_1)
	v_floor_f32_e32 v4, v4
	v_fmamk_f32 v1, v4, 0xcf800000, v1
	v_cvt_u32_f32_e32 v4, v4
	s_delay_alu instid0(VALU_DEP_2) | instskip(NEXT) | instid1(VALU_DEP_1)
	v_cvt_u32_f32_e32 v5, v1
	v_dual_cndmask_b32 v1, 0, v4 :: v_dual_cndmask_b32 v0, 0, v5
	s_branch .LBB363_412
.LBB363_410:
	s_mov_b32 s27, -1
	s_mov_b32 s26, 0
	s_mov_b32 s24, s19
	s_branch .LBB363_521
.LBB363_411:
	s_mov_b32 s22, -1
                                        ; implicit-def: $vgpr0_vgpr1
.LBB363_412:
	s_mov_b32 s26, 0
.LBB363_413:
	s_delay_alu instid0(SALU_CYCLE_1)
	s_and_b32 vcc_lo, exec_lo, s26
	s_cbranch_vccz .LBB363_417
; %bb.414:
	s_cmp_eq_u32 s23, 29
	s_cbranch_scc0 .LBB363_416
; %bb.415:
	global_load_b64 v[0:1], v[2:3], off
	s_mov_b32 s24, -1
	s_mov_b32 s22, 0
	s_branch .LBB363_417
.LBB363_416:
	s_mov_b32 s22, -1
                                        ; implicit-def: $vgpr0_vgpr1
.LBB363_417:
	s_mov_b32 s26, 0
.LBB363_418:
	s_delay_alu instid0(SALU_CYCLE_1)
	s_and_b32 vcc_lo, exec_lo, s26
	s_cbranch_vccz .LBB363_434
; %bb.419:
	s_cmp_lt_i32 s23, 27
	s_cbranch_scc1 .LBB363_422
; %bb.420:
	s_cmp_gt_i32 s23, 27
	s_cbranch_scc0 .LBB363_423
; %bb.421:
	s_wait_loadcnt 0x0
	global_load_b32 v0, v[2:3], off
	v_mov_b32_e32 v1, 0
	s_mov_b32 s24, 0
	s_branch .LBB363_424
.LBB363_422:
	s_mov_b32 s24, -1
                                        ; implicit-def: $vgpr0_vgpr1
	s_branch .LBB363_427
.LBB363_423:
	s_mov_b32 s24, -1
                                        ; implicit-def: $vgpr0_vgpr1
.LBB363_424:
	s_delay_alu instid0(SALU_CYCLE_1)
	s_and_not1_b32 vcc_lo, exec_lo, s24
	s_cbranch_vccnz .LBB363_426
; %bb.425:
	s_wait_loadcnt 0x0
	global_load_u16 v0, v[2:3], off
	s_mov_b32 s24, 0
	s_delay_alu instid0(SALU_CYCLE_1)
	v_mov_b32_e32 v1, s24
	s_wait_loadcnt 0x0
	v_and_b32_e32 v0, 0xffff, v0
.LBB363_426:
	s_mov_b32 s24, 0
.LBB363_427:
	s_delay_alu instid0(SALU_CYCLE_1)
	s_and_not1_b32 vcc_lo, exec_lo, s24
	s_cbranch_vccnz .LBB363_433
; %bb.428:
	global_load_u8 v4, v[2:3], off
	s_mov_b32 s26, 0
	s_mov_b32 s24, exec_lo
	s_wait_loadcnt 0x0
	v_cmpx_lt_i16_e32 0x7f, v4
	s_xor_b32 s24, exec_lo, s24
	s_cbranch_execz .LBB363_445
; %bb.429:
	v_cmp_ne_u16_e32 vcc_lo, 0x80, v4
	s_and_b32 s26, vcc_lo, exec_lo
	s_and_not1_saveexec_b32 s24, s24
	s_cbranch_execnz .LBB363_446
.LBB363_430:
	s_or_b32 exec_lo, exec_lo, s24
	v_mov_b64_e32 v[0:1], 0
	s_and_saveexec_b32 s24, s26
	s_cbranch_execz .LBB363_432
.LBB363_431:
	v_and_b32_e32 v0, 0xffff, v4
	s_delay_alu instid0(VALU_DEP_1) | instskip(SKIP_1) | instid1(VALU_DEP_2)
	v_and_b32_e32 v1, 7, v0
	v_bfe_u32 v7, v0, 3, 4
	v_clz_i32_u32_e32 v5, v1
	s_delay_alu instid0(VALU_DEP_2) | instskip(NEXT) | instid1(VALU_DEP_2)
	v_cmp_eq_u32_e32 vcc_lo, 0, v7
	v_min_u32_e32 v5, 32, v5
	s_delay_alu instid0(VALU_DEP_1) | instskip(NEXT) | instid1(VALU_DEP_1)
	v_subrev_nc_u32_e32 v6, 28, v5
	v_dual_lshlrev_b32 v0, v6, v0 :: v_dual_sub_nc_u32 v5, 29, v5
	s_delay_alu instid0(VALU_DEP_1) | instskip(NEXT) | instid1(VALU_DEP_2)
	v_and_b32_e32 v0, 7, v0
	v_dual_cndmask_b32 v5, v7, v5 :: v_dual_lshlrev_b32 v4, 24, v4
	s_delay_alu instid0(VALU_DEP_2) | instskip(NEXT) | instid1(VALU_DEP_2)
	v_cndmask_b32_e32 v0, v1, v0, vcc_lo
	v_and_b32_e32 v1, 0x80000000, v4
	s_delay_alu instid0(VALU_DEP_3) | instskip(NEXT) | instid1(VALU_DEP_3)
	v_lshl_add_u32 v4, v5, 23, 0x3b800000
	v_lshlrev_b32_e32 v0, 20, v0
	s_delay_alu instid0(VALU_DEP_1) | instskip(NEXT) | instid1(VALU_DEP_1)
	v_or3_b32 v0, v1, v4, v0
	v_trunc_f32_e32 v0, v0
	s_delay_alu instid0(VALU_DEP_1) | instskip(NEXT) | instid1(VALU_DEP_1)
	v_mul_f32_e32 v1, 0x2f800000, v0
	v_floor_f32_e32 v1, v1
	s_delay_alu instid0(VALU_DEP_1) | instskip(SKIP_1) | instid1(VALU_DEP_2)
	v_fmamk_f32 v0, v1, 0xcf800000, v0
	v_cvt_u32_f32_e32 v1, v1
	v_cvt_u32_f32_e32 v0, v0
.LBB363_432:
	s_or_b32 exec_lo, exec_lo, s24
.LBB363_433:
	s_mov_b32 s24, -1
.LBB363_434:
	s_mov_b32 s26, 0
.LBB363_435:
	s_delay_alu instid0(SALU_CYCLE_1)
	s_and_b32 vcc_lo, exec_lo, s26
	s_cbranch_vccz .LBB363_468
; %bb.436:
	s_cmp_gt_i32 s23, 22
	s_cbranch_scc0 .LBB363_444
; %bb.437:
	s_cmp_lt_i32 s23, 24
	s_cbranch_scc1 .LBB363_447
; %bb.438:
	s_cmp_gt_i32 s23, 24
	s_cbranch_scc0 .LBB363_448
; %bb.439:
	global_load_u8 v4, v[2:3], off
	s_mov_b32 s26, 0
	s_mov_b32 s24, exec_lo
	s_wait_loadcnt 0x0
	v_cmpx_lt_i16_e32 0x7f, v4
	s_xor_b32 s24, exec_lo, s24
	s_cbranch_execz .LBB363_460
; %bb.440:
	v_cmp_ne_u16_e32 vcc_lo, 0x80, v4
	s_and_b32 s26, vcc_lo, exec_lo
	s_and_not1_saveexec_b32 s24, s24
	s_cbranch_execnz .LBB363_461
.LBB363_441:
	s_or_b32 exec_lo, exec_lo, s24
	v_mov_b64_e32 v[0:1], 0
	s_and_saveexec_b32 s24, s26
	s_cbranch_execz .LBB363_443
.LBB363_442:
	v_and_b32_e32 v0, 0xffff, v4
	s_delay_alu instid0(VALU_DEP_1) | instskip(SKIP_1) | instid1(VALU_DEP_2)
	v_and_b32_e32 v1, 3, v0
	v_bfe_u32 v7, v0, 2, 5
	v_clz_i32_u32_e32 v5, v1
	s_delay_alu instid0(VALU_DEP_2) | instskip(NEXT) | instid1(VALU_DEP_2)
	v_cmp_eq_u32_e32 vcc_lo, 0, v7
	v_min_u32_e32 v5, 32, v5
	s_delay_alu instid0(VALU_DEP_1) | instskip(NEXT) | instid1(VALU_DEP_1)
	v_subrev_nc_u32_e32 v6, 29, v5
	v_dual_lshlrev_b32 v0, v6, v0 :: v_dual_sub_nc_u32 v5, 30, v5
	s_delay_alu instid0(VALU_DEP_1) | instskip(NEXT) | instid1(VALU_DEP_2)
	v_and_b32_e32 v0, 3, v0
	v_dual_cndmask_b32 v5, v7, v5 :: v_dual_lshlrev_b32 v4, 24, v4
	s_delay_alu instid0(VALU_DEP_2) | instskip(NEXT) | instid1(VALU_DEP_2)
	v_cndmask_b32_e32 v0, v1, v0, vcc_lo
	v_and_b32_e32 v1, 0x80000000, v4
	s_delay_alu instid0(VALU_DEP_3) | instskip(NEXT) | instid1(VALU_DEP_3)
	v_lshl_add_u32 v4, v5, 23, 0x37800000
	v_lshlrev_b32_e32 v0, 21, v0
	s_delay_alu instid0(VALU_DEP_1) | instskip(NEXT) | instid1(VALU_DEP_1)
	v_or3_b32 v0, v1, v4, v0
	v_trunc_f32_e32 v0, v0
	s_delay_alu instid0(VALU_DEP_1) | instskip(NEXT) | instid1(VALU_DEP_1)
	v_mul_f32_e32 v1, 0x2f800000, v0
	v_floor_f32_e32 v1, v1
	s_delay_alu instid0(VALU_DEP_1) | instskip(SKIP_1) | instid1(VALU_DEP_2)
	v_fmamk_f32 v0, v1, 0xcf800000, v0
	v_cvt_u32_f32_e32 v1, v1
	v_cvt_u32_f32_e32 v0, v0
.LBB363_443:
	s_or_b32 exec_lo, exec_lo, s24
	s_mov_b32 s24, 0
	s_branch .LBB363_449
.LBB363_444:
	s_mov_b32 s26, -1
                                        ; implicit-def: $vgpr0_vgpr1
	s_branch .LBB363_455
.LBB363_445:
	s_and_not1_saveexec_b32 s24, s24
	s_cbranch_execz .LBB363_430
.LBB363_446:
	v_cmp_ne_u16_e32 vcc_lo, 0, v4
	s_and_not1_b32 s26, s26, exec_lo
	s_and_b32 s27, vcc_lo, exec_lo
	s_delay_alu instid0(SALU_CYCLE_1)
	s_or_b32 s26, s26, s27
	s_or_b32 exec_lo, exec_lo, s24
	v_mov_b64_e32 v[0:1], 0
	s_and_saveexec_b32 s24, s26
	s_cbranch_execnz .LBB363_431
	s_branch .LBB363_432
.LBB363_447:
	s_mov_b32 s24, -1
                                        ; implicit-def: $vgpr0_vgpr1
	s_branch .LBB363_452
.LBB363_448:
	s_mov_b32 s24, -1
                                        ; implicit-def: $vgpr0_vgpr1
.LBB363_449:
	s_delay_alu instid0(SALU_CYCLE_1)
	s_and_b32 vcc_lo, exec_lo, s24
	s_cbranch_vccz .LBB363_451
; %bb.450:
	s_wait_loadcnt 0x0
	global_load_u8 v0, v[2:3], off
	s_wait_loadcnt 0x0
	v_lshlrev_b32_e32 v0, 24, v0
	s_delay_alu instid0(VALU_DEP_1) | instskip(NEXT) | instid1(VALU_DEP_1)
	v_and_b32_e32 v1, 0x7f000000, v0
	v_clz_i32_u32_e32 v4, v1
	v_cmp_ne_u32_e32 vcc_lo, 0, v1
	v_add_nc_u32_e32 v6, 0x1000000, v1
	s_delay_alu instid0(VALU_DEP_3) | instskip(NEXT) | instid1(VALU_DEP_1)
	v_min_u32_e32 v4, 32, v4
	v_sub_nc_u32_e64 v4, v4, 4 clamp
	s_delay_alu instid0(VALU_DEP_1) | instskip(NEXT) | instid1(VALU_DEP_1)
	v_dual_lshlrev_b32 v5, v4, v1 :: v_dual_lshlrev_b32 v4, 23, v4
	v_lshrrev_b32_e32 v5, 4, v5
	s_delay_alu instid0(VALU_DEP_1) | instskip(NEXT) | instid1(VALU_DEP_1)
	v_dual_sub_nc_u32 v4, v5, v4 :: v_dual_ashrrev_i32 v5, 8, v6
	v_add_nc_u32_e32 v4, 0x3c000000, v4
	s_delay_alu instid0(VALU_DEP_1) | instskip(NEXT) | instid1(VALU_DEP_1)
	v_and_or_b32 v4, 0x7f800000, v5, v4
	v_cndmask_b32_e32 v1, 0, v4, vcc_lo
	s_delay_alu instid0(VALU_DEP_1) | instskip(NEXT) | instid1(VALU_DEP_1)
	v_and_or_b32 v0, 0x80000000, v0, v1
	v_trunc_f32_e32 v0, v0
	s_delay_alu instid0(VALU_DEP_1) | instskip(NEXT) | instid1(VALU_DEP_1)
	v_mul_f32_e32 v1, 0x2f800000, v0
	v_floor_f32_e32 v1, v1
	s_delay_alu instid0(VALU_DEP_1) | instskip(SKIP_1) | instid1(VALU_DEP_2)
	v_fmamk_f32 v0, v1, 0xcf800000, v0
	v_cvt_u32_f32_e32 v1, v1
	v_cvt_u32_f32_e32 v0, v0
.LBB363_451:
	s_mov_b32 s24, 0
.LBB363_452:
	s_delay_alu instid0(SALU_CYCLE_1)
	s_and_not1_b32 vcc_lo, exec_lo, s24
	s_cbranch_vccnz .LBB363_454
; %bb.453:
	s_wait_loadcnt 0x0
	global_load_u8 v0, v[2:3], off
	s_wait_loadcnt 0x0
	v_lshlrev_b32_e32 v1, 25, v0
	v_lshlrev_b16 v0, 8, v0
	s_delay_alu instid0(VALU_DEP_1) | instskip(SKIP_1) | instid1(VALU_DEP_2)
	v_and_or_b32 v5, 0x7f00, v0, 0.5
	v_bfe_i32 v0, v0, 0, 16
	v_add_f32_e32 v5, -0.5, v5
	v_lshrrev_b32_e32 v4, 4, v1
	v_cmp_gt_u32_e32 vcc_lo, 0x8000000, v1
	s_delay_alu instid0(VALU_DEP_2) | instskip(NEXT) | instid1(VALU_DEP_1)
	v_or_b32_e32 v4, 0x70000000, v4
	v_mul_f32_e32 v4, 0x7800000, v4
	s_delay_alu instid0(VALU_DEP_1) | instskip(NEXT) | instid1(VALU_DEP_1)
	v_cndmask_b32_e32 v1, v4, v5, vcc_lo
	v_and_or_b32 v0, 0x80000000, v0, v1
	s_delay_alu instid0(VALU_DEP_1) | instskip(NEXT) | instid1(VALU_DEP_1)
	v_trunc_f32_e32 v0, v0
	v_mul_f32_e32 v1, 0x2f800000, v0
	s_delay_alu instid0(VALU_DEP_1) | instskip(NEXT) | instid1(VALU_DEP_1)
	v_floor_f32_e32 v1, v1
	v_fmamk_f32 v0, v1, 0xcf800000, v0
	v_cvt_u32_f32_e32 v1, v1
	s_delay_alu instid0(VALU_DEP_2)
	v_cvt_u32_f32_e32 v0, v0
.LBB363_454:
	s_mov_b32 s26, 0
	s_mov_b32 s24, -1
.LBB363_455:
	s_and_not1_b32 vcc_lo, exec_lo, s26
	s_cbranch_vccnz .LBB363_468
; %bb.456:
	s_cmp_gt_i32 s23, 14
	s_cbranch_scc0 .LBB363_459
; %bb.457:
	s_cmp_eq_u32 s23, 15
	s_cbranch_scc0 .LBB363_462
; %bb.458:
	s_wait_loadcnt 0x0
	global_load_u16 v0, v[2:3], off
	s_mov_b32 s24, -1
	s_mov_b32 s22, 0
	s_wait_loadcnt 0x0
	v_lshlrev_b32_e32 v0, 16, v0
	s_delay_alu instid0(VALU_DEP_1) | instskip(NEXT) | instid1(VALU_DEP_1)
	v_trunc_f32_e32 v0, v0
	v_mul_f32_e32 v1, 0x2f800000, v0
	s_delay_alu instid0(VALU_DEP_1) | instskip(NEXT) | instid1(VALU_DEP_1)
	v_floor_f32_e32 v1, v1
	v_fmamk_f32 v0, v1, 0xcf800000, v0
	v_cvt_u32_f32_e32 v1, v1
	s_delay_alu instid0(VALU_DEP_2)
	v_cvt_u32_f32_e32 v0, v0
	s_branch .LBB363_463
.LBB363_459:
	s_mov_b32 s26, -1
                                        ; implicit-def: $vgpr0_vgpr1
	s_branch .LBB363_464
.LBB363_460:
	s_and_not1_saveexec_b32 s24, s24
	s_cbranch_execz .LBB363_441
.LBB363_461:
	v_cmp_ne_u16_e32 vcc_lo, 0, v4
	s_and_not1_b32 s26, s26, exec_lo
	s_and_b32 s27, vcc_lo, exec_lo
	s_delay_alu instid0(SALU_CYCLE_1)
	s_or_b32 s26, s26, s27
	s_or_b32 exec_lo, exec_lo, s24
	v_mov_b64_e32 v[0:1], 0
	s_and_saveexec_b32 s24, s26
	s_cbranch_execnz .LBB363_442
	s_branch .LBB363_443
.LBB363_462:
	s_mov_b32 s22, -1
                                        ; implicit-def: $vgpr0_vgpr1
.LBB363_463:
	s_mov_b32 s26, 0
.LBB363_464:
	s_delay_alu instid0(SALU_CYCLE_1)
	s_and_b32 vcc_lo, exec_lo, s26
	s_cbranch_vccz .LBB363_468
; %bb.465:
	s_cmp_eq_u32 s23, 11
	s_cbranch_scc0 .LBB363_467
; %bb.466:
	s_wait_loadcnt 0x0
	global_load_u8 v0, v[2:3], off
	s_mov_b32 s22, 0
	s_mov_b32 s24, -1
	v_mov_b32_e32 v1, s22
	s_wait_loadcnt 0x0
	v_cmp_ne_u16_e32 vcc_lo, 0, v0
	v_cndmask_b32_e64 v0, 0, 1, vcc_lo
	s_branch .LBB363_468
.LBB363_467:
	s_mov_b32 s22, -1
                                        ; implicit-def: $vgpr0_vgpr1
.LBB363_468:
	s_branch .LBB363_387
.LBB363_469:
	s_and_b32 s0, 0xffff, s0
	s_delay_alu instid0(SALU_CYCLE_1)
	s_cmp_lt_i32 s0, 5
	s_cbranch_scc1 .LBB363_474
; %bb.470:
	s_cmp_lt_i32 s0, 8
	s_cbranch_scc1 .LBB363_475
; %bb.471:
	;; [unrolled: 3-line block ×3, first 2 shown]
	s_cmp_gt_i32 s0, 9
	s_cbranch_scc0 .LBB363_477
; %bb.473:
	s_wait_loadcnt 0x0
	global_load_b64 v[0:1], v[2:3], off
	s_mov_b32 s23, 0
	s_wait_loadcnt 0x0
	v_trunc_f64_e32 v[0:1], v[0:1]
	s_delay_alu instid0(VALU_DEP_1) | instskip(NEXT) | instid1(VALU_DEP_1)
	v_ldexp_f64 v[4:5], v[0:1], 0xffffffe0
	v_floor_f64_e32 v[4:5], v[4:5]
	s_delay_alu instid0(VALU_DEP_1) | instskip(SKIP_1) | instid1(VALU_DEP_2)
	v_fmamk_f64 v[6:7], v[4:5], 0xc1f00000, v[0:1]
	v_cvt_u32_f64_e32 v1, v[4:5]
	v_cvt_u32_f64_e32 v0, v[6:7]
	s_branch .LBB363_478
.LBB363_474:
	s_mov_b32 s23, -1
                                        ; implicit-def: $vgpr0_vgpr1
	s_branch .LBB363_496
.LBB363_475:
	s_mov_b32 s23, -1
                                        ; implicit-def: $vgpr0_vgpr1
	s_branch .LBB363_484
.LBB363_476:
	s_mov_b32 s23, -1
                                        ; implicit-def: $vgpr0_vgpr1
	s_branch .LBB363_481
.LBB363_477:
	s_mov_b32 s23, -1
                                        ; implicit-def: $vgpr0_vgpr1
.LBB363_478:
	s_delay_alu instid0(SALU_CYCLE_1)
	s_and_not1_b32 vcc_lo, exec_lo, s23
	s_cbranch_vccnz .LBB363_480
; %bb.479:
	s_wait_loadcnt 0x0
	global_load_b32 v0, v[2:3], off
	s_wait_loadcnt 0x0
	v_trunc_f32_e32 v0, v0
	s_delay_alu instid0(VALU_DEP_1) | instskip(NEXT) | instid1(VALU_DEP_1)
	v_mul_f32_e32 v1, 0x2f800000, v0
	v_floor_f32_e32 v1, v1
	s_delay_alu instid0(VALU_DEP_1) | instskip(SKIP_1) | instid1(VALU_DEP_2)
	v_fmamk_f32 v0, v1, 0xcf800000, v0
	v_cvt_u32_f32_e32 v1, v1
	v_cvt_u32_f32_e32 v0, v0
.LBB363_480:
	s_mov_b32 s23, 0
.LBB363_481:
	s_delay_alu instid0(SALU_CYCLE_1)
	s_and_not1_b32 vcc_lo, exec_lo, s23
	s_cbranch_vccnz .LBB363_483
; %bb.482:
	s_wait_loadcnt 0x0
	global_load_b32 v0, v[2:3], off
	v_mov_b32_e32 v1, 0
	s_wait_loadcnt 0x0
	v_cvt_f32_f16_e32 v0, v0
	s_delay_alu instid0(VALU_DEP_1)
	v_cvt_u32_f32_e32 v0, v0
.LBB363_483:
	s_mov_b32 s23, 0
.LBB363_484:
	s_delay_alu instid0(SALU_CYCLE_1)
	s_and_not1_b32 vcc_lo, exec_lo, s23
	s_cbranch_vccnz .LBB363_495
; %bb.485:
	s_cmp_lt_i32 s0, 6
	s_cbranch_scc1 .LBB363_488
; %bb.486:
	s_cmp_gt_i32 s0, 6
	s_cbranch_scc0 .LBB363_489
; %bb.487:
	s_wait_loadcnt 0x0
	global_load_b64 v[0:1], v[2:3], off
	s_mov_b32 s23, 0
	s_wait_loadcnt 0x0
	v_trunc_f64_e32 v[0:1], v[0:1]
	s_delay_alu instid0(VALU_DEP_1) | instskip(NEXT) | instid1(VALU_DEP_1)
	v_ldexp_f64 v[4:5], v[0:1], 0xffffffe0
	v_floor_f64_e32 v[4:5], v[4:5]
	s_delay_alu instid0(VALU_DEP_1) | instskip(SKIP_1) | instid1(VALU_DEP_2)
	v_fmamk_f64 v[6:7], v[4:5], 0xc1f00000, v[0:1]
	v_cvt_u32_f64_e32 v1, v[4:5]
	v_cvt_u32_f64_e32 v0, v[6:7]
	s_branch .LBB363_490
.LBB363_488:
	s_mov_b32 s23, -1
                                        ; implicit-def: $vgpr0_vgpr1
	s_branch .LBB363_493
.LBB363_489:
	s_mov_b32 s23, -1
                                        ; implicit-def: $vgpr0_vgpr1
.LBB363_490:
	s_delay_alu instid0(SALU_CYCLE_1)
	s_and_not1_b32 vcc_lo, exec_lo, s23
	s_cbranch_vccnz .LBB363_492
; %bb.491:
	s_wait_loadcnt 0x0
	global_load_b32 v0, v[2:3], off
	s_wait_loadcnt 0x0
	v_trunc_f32_e32 v0, v0
	s_delay_alu instid0(VALU_DEP_1) | instskip(NEXT) | instid1(VALU_DEP_1)
	v_mul_f32_e32 v1, 0x2f800000, v0
	v_floor_f32_e32 v1, v1
	s_delay_alu instid0(VALU_DEP_1) | instskip(SKIP_1) | instid1(VALU_DEP_2)
	v_fmamk_f32 v0, v1, 0xcf800000, v0
	v_cvt_u32_f32_e32 v1, v1
	v_cvt_u32_f32_e32 v0, v0
.LBB363_492:
	s_mov_b32 s23, 0
.LBB363_493:
	s_delay_alu instid0(SALU_CYCLE_1)
	s_and_not1_b32 vcc_lo, exec_lo, s23
	s_cbranch_vccnz .LBB363_495
; %bb.494:
	s_wait_loadcnt 0x0
	global_load_u16 v0, v[2:3], off
	v_mov_b32_e32 v1, 0
	s_wait_loadcnt 0x0
	v_cvt_f32_f16_e32 v0, v0
	s_delay_alu instid0(VALU_DEP_1)
	v_cvt_u32_f32_e32 v0, v0
.LBB363_495:
	s_mov_b32 s23, 0
.LBB363_496:
	s_delay_alu instid0(SALU_CYCLE_1)
	s_and_not1_b32 vcc_lo, exec_lo, s23
	s_cbranch_vccnz .LBB363_516
; %bb.497:
	s_cmp_lt_i32 s0, 2
	s_cbranch_scc1 .LBB363_501
; %bb.498:
	s_cmp_lt_i32 s0, 3
	s_cbranch_scc1 .LBB363_502
; %bb.499:
	s_cmp_gt_i32 s0, 3
	s_cbranch_scc0 .LBB363_503
; %bb.500:
	s_wait_loadcnt 0x0
	global_load_b64 v[0:1], v[2:3], off
	s_mov_b32 s23, 0
	s_branch .LBB363_504
.LBB363_501:
	s_mov_b32 s23, -1
                                        ; implicit-def: $vgpr0_vgpr1
	s_branch .LBB363_510
.LBB363_502:
	s_mov_b32 s23, -1
                                        ; implicit-def: $vgpr0_vgpr1
	s_branch .LBB363_507
.LBB363_503:
	s_mov_b32 s23, -1
                                        ; implicit-def: $vgpr0_vgpr1
.LBB363_504:
	s_delay_alu instid0(SALU_CYCLE_1)
	s_and_not1_b32 vcc_lo, exec_lo, s23
	s_cbranch_vccnz .LBB363_506
; %bb.505:
	s_wait_loadcnt 0x0
	global_load_b32 v0, v[2:3], off
	s_wait_loadcnt 0x0
	v_ashrrev_i32_e32 v1, 31, v0
.LBB363_506:
	s_mov_b32 s23, 0
.LBB363_507:
	s_delay_alu instid0(SALU_CYCLE_1)
	s_and_not1_b32 vcc_lo, exec_lo, s23
	s_cbranch_vccnz .LBB363_509
; %bb.508:
	s_wait_loadcnt 0x0
	global_load_u16 v0, v[2:3], off
	s_wait_loadcnt 0x0
	v_bfe_i32 v0, v0, 0, 16
	s_delay_alu instid0(VALU_DEP_1)
	v_ashrrev_i32_e32 v1, 31, v0
.LBB363_509:
	s_mov_b32 s23, 0
.LBB363_510:
	s_delay_alu instid0(SALU_CYCLE_1)
	s_and_not1_b32 vcc_lo, exec_lo, s23
	s_cbranch_vccnz .LBB363_516
; %bb.511:
	s_cmp_gt_i32 s0, 0
	s_mov_b32 s0, 0
	s_cbranch_scc0 .LBB363_513
; %bb.512:
	s_wait_loadcnt 0x0
	global_load_i8 v0, v[2:3], off
	s_wait_loadcnt 0x0
	v_bfe_i32 v0, v0, 0, 16
	s_delay_alu instid0(VALU_DEP_1)
	v_ashrrev_i32_e32 v1, 31, v0
	s_branch .LBB363_514
.LBB363_513:
	s_mov_b32 s0, -1
                                        ; implicit-def: $vgpr0_vgpr1
.LBB363_514:
	s_delay_alu instid0(SALU_CYCLE_1)
	s_and_not1_b32 vcc_lo, exec_lo, s0
	s_cbranch_vccnz .LBB363_516
; %bb.515:
	s_wait_loadcnt 0x0
	global_load_u8 v0, v[2:3], off
	s_mov_b32 s0, 0
	s_delay_alu instid0(SALU_CYCLE_1)
	v_mov_b32_e32 v1, s0
	s_wait_loadcnt 0x0
	v_and_b32_e32 v0, 0xffff, v0
.LBB363_516:
	s_branch .LBB363_388
.LBB363_517:
	s_mov_b32 s26, 0
	s_mov_b32 s0, s18
	;; [unrolled: 1-line block ×3, first 2 shown]
	s_branch .LBB363_757
.LBB363_518:
	s_and_not1_saveexec_b32 s27, s27
	s_cbranch_execz .LBB363_189
.LBB363_519:
	v_add_f32_e32 v2, 0x42800000, v3
	s_and_not1_b32 s26, s26, exec_lo
	s_delay_alu instid0(VALU_DEP_1) | instskip(NEXT) | instid1(VALU_DEP_1)
	v_and_b32_e32 v2, 0xff, v2
	v_cmp_ne_u32_e32 vcc_lo, 0, v2
	s_and_b32 s28, vcc_lo, exec_lo
	s_delay_alu instid0(SALU_CYCLE_1)
	s_or_b32 s26, s26, s28
	s_or_b32 exec_lo, exec_lo, s27
	v_mov_b32_e32 v4, 0
	s_and_saveexec_b32 s27, s26
	s_cbranch_execnz .LBB363_190
	s_branch .LBB363_191
.LBB363_520:
	s_mov_b32 s24, -1
	s_mov_b32 s26, 0
.LBB363_521:
                                        ; implicit-def: $vgpr4_vgpr5
.LBB363_522:
	s_and_b32 vcc_lo, exec_lo, s27
	s_cbranch_vccz .LBB363_526
; %bb.523:
	s_cmp_eq_u32 s23, 44
	s_cbranch_scc0 .LBB363_525
; %bb.524:
	global_load_u8 v4, v[2:3], off
	s_mov_b32 s24, 0
	s_mov_b32 s26, -1
	s_wait_loadcnt 0x0
	v_cmp_ne_u32_e32 vcc_lo, 0, v4
	v_lshlrev_b32_e32 v5, 23, v4
	s_delay_alu instid0(VALU_DEP_1) | instskip(NEXT) | instid1(VALU_DEP_1)
	v_trunc_f32_e32 v5, v5
	v_mul_f32_e32 v6, 0x2f800000, v5
	s_delay_alu instid0(VALU_DEP_1) | instskip(NEXT) | instid1(VALU_DEP_1)
	v_floor_f32_e32 v6, v6
	v_fmamk_f32 v5, v6, 0xcf800000, v5
	v_cvt_u32_f32_e32 v6, v6
	s_delay_alu instid0(VALU_DEP_2) | instskip(NEXT) | instid1(VALU_DEP_1)
	v_cvt_u32_f32_e32 v7, v5
	v_dual_cndmask_b32 v5, 0, v6 :: v_dual_cndmask_b32 v4, 0, v7
	s_branch .LBB363_526
.LBB363_525:
	s_mov_b32 s24, -1
                                        ; implicit-def: $vgpr4_vgpr5
.LBB363_526:
	s_mov_b32 s27, 0
.LBB363_527:
	s_delay_alu instid0(SALU_CYCLE_1)
	s_and_b32 vcc_lo, exec_lo, s27
	s_cbranch_vccz .LBB363_531
; %bb.528:
	s_cmp_eq_u32 s23, 29
	s_cbranch_scc0 .LBB363_530
; %bb.529:
	global_load_b64 v[4:5], v[2:3], off
	s_mov_b32 s26, -1
	s_mov_b32 s24, 0
	s_branch .LBB363_531
.LBB363_530:
	s_mov_b32 s24, -1
                                        ; implicit-def: $vgpr4_vgpr5
.LBB363_531:
	s_mov_b32 s27, 0
.LBB363_532:
	s_delay_alu instid0(SALU_CYCLE_1)
	s_and_b32 vcc_lo, exec_lo, s27
	s_cbranch_vccz .LBB363_548
; %bb.533:
	s_cmp_lt_i32 s23, 27
	s_cbranch_scc1 .LBB363_536
; %bb.534:
	s_cmp_gt_i32 s23, 27
	s_cbranch_scc0 .LBB363_537
; %bb.535:
	s_wait_loadcnt 0x0
	global_load_b32 v4, v[2:3], off
	v_mov_b32_e32 v5, 0
	s_mov_b32 s26, 0
	s_branch .LBB363_538
.LBB363_536:
	s_mov_b32 s26, -1
                                        ; implicit-def: $vgpr4_vgpr5
	s_branch .LBB363_541
.LBB363_537:
	s_mov_b32 s26, -1
                                        ; implicit-def: $vgpr4_vgpr5
.LBB363_538:
	s_delay_alu instid0(SALU_CYCLE_1)
	s_and_not1_b32 vcc_lo, exec_lo, s26
	s_cbranch_vccnz .LBB363_540
; %bb.539:
	s_wait_loadcnt 0x0
	global_load_u16 v4, v[2:3], off
	s_mov_b32 s26, 0
	s_delay_alu instid0(SALU_CYCLE_1)
	v_mov_b32_e32 v5, s26
	s_wait_loadcnt 0x0
	v_and_b32_e32 v4, 0xffff, v4
.LBB363_540:
	s_mov_b32 s26, 0
.LBB363_541:
	s_delay_alu instid0(SALU_CYCLE_1)
	s_and_not1_b32 vcc_lo, exec_lo, s26
	s_cbranch_vccnz .LBB363_547
; %bb.542:
	global_load_u8 v6, v[2:3], off
	s_mov_b32 s27, 0
	s_mov_b32 s26, exec_lo
	s_wait_loadcnt 0x0
	v_cmpx_lt_i16_e32 0x7f, v6
	s_xor_b32 s26, exec_lo, s26
	s_cbranch_execz .LBB363_559
; %bb.543:
	v_cmp_ne_u16_e32 vcc_lo, 0x80, v6
	s_and_b32 s27, vcc_lo, exec_lo
	s_and_not1_saveexec_b32 s26, s26
	s_cbranch_execnz .LBB363_560
.LBB363_544:
	s_or_b32 exec_lo, exec_lo, s26
	v_mov_b64_e32 v[4:5], 0
	s_and_saveexec_b32 s26, s27
	s_cbranch_execz .LBB363_546
.LBB363_545:
	v_and_b32_e32 v4, 0xffff, v6
	s_delay_alu instid0(VALU_DEP_1) | instskip(SKIP_1) | instid1(VALU_DEP_2)
	v_and_b32_e32 v5, 7, v4
	v_bfe_u32 v9, v4, 3, 4
	v_clz_i32_u32_e32 v7, v5
	s_delay_alu instid0(VALU_DEP_2) | instskip(NEXT) | instid1(VALU_DEP_2)
	v_cmp_eq_u32_e32 vcc_lo, 0, v9
	v_min_u32_e32 v7, 32, v7
	s_delay_alu instid0(VALU_DEP_1) | instskip(NEXT) | instid1(VALU_DEP_1)
	v_subrev_nc_u32_e32 v8, 28, v7
	v_dual_lshlrev_b32 v4, v8, v4 :: v_dual_sub_nc_u32 v7, 29, v7
	s_delay_alu instid0(VALU_DEP_1) | instskip(NEXT) | instid1(VALU_DEP_2)
	v_dual_lshlrev_b32 v6, 24, v6 :: v_dual_bitop2_b32 v4, 7, v4 bitop3:0x40
	v_cndmask_b32_e32 v7, v9, v7, vcc_lo
	s_delay_alu instid0(VALU_DEP_2) | instskip(NEXT) | instid1(VALU_DEP_3)
	v_cndmask_b32_e32 v4, v5, v4, vcc_lo
	v_and_b32_e32 v5, 0x80000000, v6
	s_delay_alu instid0(VALU_DEP_3) | instskip(NEXT) | instid1(VALU_DEP_3)
	v_lshl_add_u32 v6, v7, 23, 0x3b800000
	v_lshlrev_b32_e32 v4, 20, v4
	s_delay_alu instid0(VALU_DEP_1) | instskip(NEXT) | instid1(VALU_DEP_1)
	v_or3_b32 v4, v5, v6, v4
	v_trunc_f32_e32 v4, v4
	s_delay_alu instid0(VALU_DEP_1) | instskip(NEXT) | instid1(VALU_DEP_1)
	v_mul_f32_e32 v5, 0x2f800000, v4
	v_floor_f32_e32 v5, v5
	s_delay_alu instid0(VALU_DEP_1) | instskip(SKIP_1) | instid1(VALU_DEP_2)
	v_fmamk_f32 v4, v5, 0xcf800000, v4
	v_cvt_u32_f32_e32 v5, v5
	v_cvt_u32_f32_e32 v4, v4
.LBB363_546:
	s_or_b32 exec_lo, exec_lo, s26
.LBB363_547:
	s_mov_b32 s26, -1
.LBB363_548:
	s_mov_b32 s27, 0
.LBB363_549:
	s_delay_alu instid0(SALU_CYCLE_1)
	s_and_b32 vcc_lo, exec_lo, s27
	s_cbranch_vccz .LBB363_582
; %bb.550:
	s_cmp_gt_i32 s23, 22
	s_cbranch_scc0 .LBB363_558
; %bb.551:
	s_cmp_lt_i32 s23, 24
	s_cbranch_scc1 .LBB363_561
; %bb.552:
	s_cmp_gt_i32 s23, 24
	s_cbranch_scc0 .LBB363_562
; %bb.553:
	global_load_u8 v6, v[2:3], off
	s_mov_b32 s27, 0
	s_mov_b32 s26, exec_lo
	s_wait_loadcnt 0x0
	v_cmpx_lt_i16_e32 0x7f, v6
	s_xor_b32 s26, exec_lo, s26
	s_cbranch_execz .LBB363_574
; %bb.554:
	v_cmp_ne_u16_e32 vcc_lo, 0x80, v6
	s_and_b32 s27, vcc_lo, exec_lo
	s_and_not1_saveexec_b32 s26, s26
	s_cbranch_execnz .LBB363_575
.LBB363_555:
	s_or_b32 exec_lo, exec_lo, s26
	v_mov_b64_e32 v[4:5], 0
	s_and_saveexec_b32 s26, s27
	s_cbranch_execz .LBB363_557
.LBB363_556:
	v_and_b32_e32 v4, 0xffff, v6
	s_delay_alu instid0(VALU_DEP_1) | instskip(SKIP_1) | instid1(VALU_DEP_2)
	v_and_b32_e32 v5, 3, v4
	v_bfe_u32 v9, v4, 2, 5
	v_clz_i32_u32_e32 v7, v5
	s_delay_alu instid0(VALU_DEP_2) | instskip(NEXT) | instid1(VALU_DEP_2)
	v_cmp_eq_u32_e32 vcc_lo, 0, v9
	v_min_u32_e32 v7, 32, v7
	s_delay_alu instid0(VALU_DEP_1) | instskip(NEXT) | instid1(VALU_DEP_1)
	v_subrev_nc_u32_e32 v8, 29, v7
	v_dual_lshlrev_b32 v4, v8, v4 :: v_dual_sub_nc_u32 v7, 30, v7
	s_delay_alu instid0(VALU_DEP_1) | instskip(NEXT) | instid1(VALU_DEP_2)
	v_dual_lshlrev_b32 v6, 24, v6 :: v_dual_bitop2_b32 v4, 3, v4 bitop3:0x40
	v_cndmask_b32_e32 v7, v9, v7, vcc_lo
	s_delay_alu instid0(VALU_DEP_2) | instskip(NEXT) | instid1(VALU_DEP_3)
	v_cndmask_b32_e32 v4, v5, v4, vcc_lo
	v_and_b32_e32 v5, 0x80000000, v6
	s_delay_alu instid0(VALU_DEP_3) | instskip(NEXT) | instid1(VALU_DEP_3)
	v_lshl_add_u32 v6, v7, 23, 0x37800000
	v_lshlrev_b32_e32 v4, 21, v4
	s_delay_alu instid0(VALU_DEP_1) | instskip(NEXT) | instid1(VALU_DEP_1)
	v_or3_b32 v4, v5, v6, v4
	v_trunc_f32_e32 v4, v4
	s_delay_alu instid0(VALU_DEP_1) | instskip(NEXT) | instid1(VALU_DEP_1)
	v_mul_f32_e32 v5, 0x2f800000, v4
	v_floor_f32_e32 v5, v5
	s_delay_alu instid0(VALU_DEP_1) | instskip(SKIP_1) | instid1(VALU_DEP_2)
	v_fmamk_f32 v4, v5, 0xcf800000, v4
	v_cvt_u32_f32_e32 v5, v5
	v_cvt_u32_f32_e32 v4, v4
.LBB363_557:
	s_or_b32 exec_lo, exec_lo, s26
	s_mov_b32 s26, 0
	s_branch .LBB363_563
.LBB363_558:
	s_mov_b32 s27, -1
                                        ; implicit-def: $vgpr4_vgpr5
	s_branch .LBB363_569
.LBB363_559:
	s_and_not1_saveexec_b32 s26, s26
	s_cbranch_execz .LBB363_544
.LBB363_560:
	v_cmp_ne_u16_e32 vcc_lo, 0, v6
	s_and_not1_b32 s27, s27, exec_lo
	s_and_b32 s28, vcc_lo, exec_lo
	s_delay_alu instid0(SALU_CYCLE_1)
	s_or_b32 s27, s27, s28
	s_or_b32 exec_lo, exec_lo, s26
	v_mov_b64_e32 v[4:5], 0
	s_and_saveexec_b32 s26, s27
	s_cbranch_execnz .LBB363_545
	s_branch .LBB363_546
.LBB363_561:
	s_mov_b32 s26, -1
                                        ; implicit-def: $vgpr4_vgpr5
	s_branch .LBB363_566
.LBB363_562:
	s_mov_b32 s26, -1
                                        ; implicit-def: $vgpr4_vgpr5
.LBB363_563:
	s_delay_alu instid0(SALU_CYCLE_1)
	s_and_b32 vcc_lo, exec_lo, s26
	s_cbranch_vccz .LBB363_565
; %bb.564:
	s_wait_loadcnt 0x0
	global_load_u8 v4, v[2:3], off
	s_wait_loadcnt 0x0
	v_lshlrev_b32_e32 v4, 24, v4
	s_delay_alu instid0(VALU_DEP_1) | instskip(NEXT) | instid1(VALU_DEP_1)
	v_and_b32_e32 v5, 0x7f000000, v4
	v_clz_i32_u32_e32 v6, v5
	v_cmp_ne_u32_e32 vcc_lo, 0, v5
	v_add_nc_u32_e32 v8, 0x1000000, v5
	s_delay_alu instid0(VALU_DEP_3) | instskip(NEXT) | instid1(VALU_DEP_1)
	v_min_u32_e32 v6, 32, v6
	v_sub_nc_u32_e64 v6, v6, 4 clamp
	s_delay_alu instid0(VALU_DEP_1) | instskip(NEXT) | instid1(VALU_DEP_1)
	v_dual_lshlrev_b32 v7, v6, v5 :: v_dual_lshlrev_b32 v6, 23, v6
	v_lshrrev_b32_e32 v7, 4, v7
	s_delay_alu instid0(VALU_DEP_1) | instskip(NEXT) | instid1(VALU_DEP_1)
	v_dual_sub_nc_u32 v6, v7, v6 :: v_dual_ashrrev_i32 v7, 8, v8
	v_add_nc_u32_e32 v6, 0x3c000000, v6
	s_delay_alu instid0(VALU_DEP_1) | instskip(NEXT) | instid1(VALU_DEP_1)
	v_and_or_b32 v6, 0x7f800000, v7, v6
	v_cndmask_b32_e32 v5, 0, v6, vcc_lo
	s_delay_alu instid0(VALU_DEP_1) | instskip(NEXT) | instid1(VALU_DEP_1)
	v_and_or_b32 v4, 0x80000000, v4, v5
	v_trunc_f32_e32 v4, v4
	s_delay_alu instid0(VALU_DEP_1) | instskip(NEXT) | instid1(VALU_DEP_1)
	v_mul_f32_e32 v5, 0x2f800000, v4
	v_floor_f32_e32 v5, v5
	s_delay_alu instid0(VALU_DEP_1) | instskip(SKIP_1) | instid1(VALU_DEP_2)
	v_fmamk_f32 v4, v5, 0xcf800000, v4
	v_cvt_u32_f32_e32 v5, v5
	v_cvt_u32_f32_e32 v4, v4
.LBB363_565:
	s_mov_b32 s26, 0
.LBB363_566:
	s_delay_alu instid0(SALU_CYCLE_1)
	s_and_not1_b32 vcc_lo, exec_lo, s26
	s_cbranch_vccnz .LBB363_568
; %bb.567:
	s_wait_loadcnt 0x0
	global_load_u8 v4, v[2:3], off
	s_wait_loadcnt 0x0
	v_lshlrev_b32_e32 v5, 25, v4
	v_lshlrev_b16 v4, 8, v4
	s_delay_alu instid0(VALU_DEP_1) | instskip(SKIP_1) | instid1(VALU_DEP_2)
	v_and_or_b32 v7, 0x7f00, v4, 0.5
	v_bfe_i32 v4, v4, 0, 16
	v_dual_add_f32 v7, -0.5, v7 :: v_dual_lshrrev_b32 v6, 4, v5
	v_cmp_gt_u32_e32 vcc_lo, 0x8000000, v5
	s_delay_alu instid0(VALU_DEP_2) | instskip(NEXT) | instid1(VALU_DEP_1)
	v_or_b32_e32 v6, 0x70000000, v6
	v_mul_f32_e32 v6, 0x7800000, v6
	s_delay_alu instid0(VALU_DEP_1) | instskip(NEXT) | instid1(VALU_DEP_1)
	v_cndmask_b32_e32 v5, v6, v7, vcc_lo
	v_and_or_b32 v4, 0x80000000, v4, v5
	s_delay_alu instid0(VALU_DEP_1) | instskip(NEXT) | instid1(VALU_DEP_1)
	v_trunc_f32_e32 v4, v4
	v_mul_f32_e32 v5, 0x2f800000, v4
	s_delay_alu instid0(VALU_DEP_1) | instskip(NEXT) | instid1(VALU_DEP_1)
	v_floor_f32_e32 v5, v5
	v_fmamk_f32 v4, v5, 0xcf800000, v4
	v_cvt_u32_f32_e32 v5, v5
	s_delay_alu instid0(VALU_DEP_2)
	v_cvt_u32_f32_e32 v4, v4
.LBB363_568:
	s_mov_b32 s27, 0
	s_mov_b32 s26, -1
.LBB363_569:
	s_and_not1_b32 vcc_lo, exec_lo, s27
	s_cbranch_vccnz .LBB363_582
; %bb.570:
	s_cmp_gt_i32 s23, 14
	s_cbranch_scc0 .LBB363_573
; %bb.571:
	s_cmp_eq_u32 s23, 15
	s_cbranch_scc0 .LBB363_576
; %bb.572:
	s_wait_loadcnt 0x0
	global_load_u16 v4, v[2:3], off
	s_mov_b32 s26, -1
	s_mov_b32 s24, 0
	s_wait_loadcnt 0x0
	v_lshlrev_b32_e32 v4, 16, v4
	s_delay_alu instid0(VALU_DEP_1) | instskip(NEXT) | instid1(VALU_DEP_1)
	v_trunc_f32_e32 v4, v4
	v_mul_f32_e32 v5, 0x2f800000, v4
	s_delay_alu instid0(VALU_DEP_1) | instskip(NEXT) | instid1(VALU_DEP_1)
	v_floor_f32_e32 v5, v5
	v_fmamk_f32 v4, v5, 0xcf800000, v4
	v_cvt_u32_f32_e32 v5, v5
	s_delay_alu instid0(VALU_DEP_2)
	v_cvt_u32_f32_e32 v4, v4
	s_branch .LBB363_577
.LBB363_573:
	s_mov_b32 s27, -1
                                        ; implicit-def: $vgpr4_vgpr5
	s_branch .LBB363_578
.LBB363_574:
	s_and_not1_saveexec_b32 s26, s26
	s_cbranch_execz .LBB363_555
.LBB363_575:
	v_cmp_ne_u16_e32 vcc_lo, 0, v6
	s_and_not1_b32 s27, s27, exec_lo
	s_and_b32 s28, vcc_lo, exec_lo
	s_delay_alu instid0(SALU_CYCLE_1)
	s_or_b32 s27, s27, s28
	s_or_b32 exec_lo, exec_lo, s26
	v_mov_b64_e32 v[4:5], 0
	s_and_saveexec_b32 s26, s27
	s_cbranch_execnz .LBB363_556
	s_branch .LBB363_557
.LBB363_576:
	s_mov_b32 s24, -1
                                        ; implicit-def: $vgpr4_vgpr5
.LBB363_577:
	s_mov_b32 s27, 0
.LBB363_578:
	s_delay_alu instid0(SALU_CYCLE_1)
	s_and_b32 vcc_lo, exec_lo, s27
	s_cbranch_vccz .LBB363_582
; %bb.579:
	s_cmp_eq_u32 s23, 11
	s_cbranch_scc0 .LBB363_581
; %bb.580:
	s_wait_loadcnt 0x0
	global_load_u8 v4, v[2:3], off
	s_mov_b32 s24, 0
	s_mov_b32 s26, -1
	v_mov_b32_e32 v5, s24
	s_wait_loadcnt 0x0
	v_cmp_ne_u16_e32 vcc_lo, 0, v4
	v_cndmask_b32_e64 v4, 0, 1, vcc_lo
	s_branch .LBB363_582
.LBB363_581:
	s_mov_b32 s24, -1
                                        ; implicit-def: $vgpr4_vgpr5
.LBB363_582:
	s_mov_b32 s23, 0
.LBB363_583:
	s_delay_alu instid0(SALU_CYCLE_1)
	s_and_b32 vcc_lo, exec_lo, s23
	s_cbranch_vccz .LBB363_632
; %bb.584:
	s_and_b32 s0, 0xffff, s0
	s_delay_alu instid0(SALU_CYCLE_1)
	s_cmp_lt_i32 s0, 5
	s_cbranch_scc1 .LBB363_589
; %bb.585:
	s_cmp_lt_i32 s0, 8
	s_cbranch_scc1 .LBB363_590
; %bb.586:
	;; [unrolled: 3-line block ×3, first 2 shown]
	s_cmp_gt_i32 s0, 9
	s_cbranch_scc0 .LBB363_592
; %bb.588:
	s_wait_loadcnt 0x0
	global_load_b64 v[4:5], v[2:3], off
	s_mov_b32 s23, 0
	s_wait_loadcnt 0x0
	v_trunc_f64_e32 v[4:5], v[4:5]
	s_delay_alu instid0(VALU_DEP_1) | instskip(NEXT) | instid1(VALU_DEP_1)
	v_ldexp_f64 v[6:7], v[4:5], 0xffffffe0
	v_floor_f64_e32 v[6:7], v[6:7]
	s_delay_alu instid0(VALU_DEP_1) | instskip(SKIP_1) | instid1(VALU_DEP_2)
	v_fmamk_f64 v[8:9], v[6:7], 0xc1f00000, v[4:5]
	v_cvt_u32_f64_e32 v5, v[6:7]
	v_cvt_u32_f64_e32 v4, v[8:9]
	s_branch .LBB363_593
.LBB363_589:
	s_mov_b32 s23, -1
                                        ; implicit-def: $vgpr4_vgpr5
	s_branch .LBB363_611
.LBB363_590:
	s_mov_b32 s23, -1
                                        ; implicit-def: $vgpr4_vgpr5
	s_branch .LBB363_599
.LBB363_591:
	s_mov_b32 s23, -1
                                        ; implicit-def: $vgpr4_vgpr5
	s_branch .LBB363_596
.LBB363_592:
	s_mov_b32 s23, -1
                                        ; implicit-def: $vgpr4_vgpr5
.LBB363_593:
	s_delay_alu instid0(SALU_CYCLE_1)
	s_and_not1_b32 vcc_lo, exec_lo, s23
	s_cbranch_vccnz .LBB363_595
; %bb.594:
	s_wait_loadcnt 0x0
	global_load_b32 v4, v[2:3], off
	s_wait_loadcnt 0x0
	v_trunc_f32_e32 v4, v4
	s_delay_alu instid0(VALU_DEP_1) | instskip(NEXT) | instid1(VALU_DEP_1)
	v_mul_f32_e32 v5, 0x2f800000, v4
	v_floor_f32_e32 v5, v5
	s_delay_alu instid0(VALU_DEP_1) | instskip(SKIP_1) | instid1(VALU_DEP_2)
	v_fmamk_f32 v4, v5, 0xcf800000, v4
	v_cvt_u32_f32_e32 v5, v5
	v_cvt_u32_f32_e32 v4, v4
.LBB363_595:
	s_mov_b32 s23, 0
.LBB363_596:
	s_delay_alu instid0(SALU_CYCLE_1)
	s_and_not1_b32 vcc_lo, exec_lo, s23
	s_cbranch_vccnz .LBB363_598
; %bb.597:
	s_wait_loadcnt 0x0
	global_load_b32 v4, v[2:3], off
	v_mov_b32_e32 v5, 0
	s_wait_loadcnt 0x0
	v_cvt_f32_f16_e32 v4, v4
	s_delay_alu instid0(VALU_DEP_1)
	v_cvt_u32_f32_e32 v4, v4
.LBB363_598:
	s_mov_b32 s23, 0
.LBB363_599:
	s_delay_alu instid0(SALU_CYCLE_1)
	s_and_not1_b32 vcc_lo, exec_lo, s23
	s_cbranch_vccnz .LBB363_610
; %bb.600:
	s_cmp_lt_i32 s0, 6
	s_cbranch_scc1 .LBB363_603
; %bb.601:
	s_cmp_gt_i32 s0, 6
	s_cbranch_scc0 .LBB363_604
; %bb.602:
	s_wait_loadcnt 0x0
	global_load_b64 v[4:5], v[2:3], off
	s_mov_b32 s23, 0
	s_wait_loadcnt 0x0
	v_trunc_f64_e32 v[4:5], v[4:5]
	s_delay_alu instid0(VALU_DEP_1) | instskip(NEXT) | instid1(VALU_DEP_1)
	v_ldexp_f64 v[6:7], v[4:5], 0xffffffe0
	v_floor_f64_e32 v[6:7], v[6:7]
	s_delay_alu instid0(VALU_DEP_1) | instskip(SKIP_1) | instid1(VALU_DEP_2)
	v_fmamk_f64 v[8:9], v[6:7], 0xc1f00000, v[4:5]
	v_cvt_u32_f64_e32 v5, v[6:7]
	v_cvt_u32_f64_e32 v4, v[8:9]
	s_branch .LBB363_605
.LBB363_603:
	s_mov_b32 s23, -1
                                        ; implicit-def: $vgpr4_vgpr5
	s_branch .LBB363_608
.LBB363_604:
	s_mov_b32 s23, -1
                                        ; implicit-def: $vgpr4_vgpr5
.LBB363_605:
	s_delay_alu instid0(SALU_CYCLE_1)
	s_and_not1_b32 vcc_lo, exec_lo, s23
	s_cbranch_vccnz .LBB363_607
; %bb.606:
	s_wait_loadcnt 0x0
	global_load_b32 v4, v[2:3], off
	s_wait_loadcnt 0x0
	v_trunc_f32_e32 v4, v4
	s_delay_alu instid0(VALU_DEP_1) | instskip(NEXT) | instid1(VALU_DEP_1)
	v_mul_f32_e32 v5, 0x2f800000, v4
	v_floor_f32_e32 v5, v5
	s_delay_alu instid0(VALU_DEP_1) | instskip(SKIP_1) | instid1(VALU_DEP_2)
	v_fmamk_f32 v4, v5, 0xcf800000, v4
	v_cvt_u32_f32_e32 v5, v5
	v_cvt_u32_f32_e32 v4, v4
.LBB363_607:
	s_mov_b32 s23, 0
.LBB363_608:
	s_delay_alu instid0(SALU_CYCLE_1)
	s_and_not1_b32 vcc_lo, exec_lo, s23
	s_cbranch_vccnz .LBB363_610
; %bb.609:
	s_wait_loadcnt 0x0
	global_load_u16 v4, v[2:3], off
	v_mov_b32_e32 v5, 0
	s_wait_loadcnt 0x0
	v_cvt_f32_f16_e32 v4, v4
	s_delay_alu instid0(VALU_DEP_1)
	v_cvt_u32_f32_e32 v4, v4
.LBB363_610:
	s_mov_b32 s23, 0
.LBB363_611:
	s_delay_alu instid0(SALU_CYCLE_1)
	s_and_not1_b32 vcc_lo, exec_lo, s23
	s_cbranch_vccnz .LBB363_631
; %bb.612:
	s_cmp_lt_i32 s0, 2
	s_cbranch_scc1 .LBB363_616
; %bb.613:
	s_cmp_lt_i32 s0, 3
	s_cbranch_scc1 .LBB363_617
; %bb.614:
	s_cmp_gt_i32 s0, 3
	s_cbranch_scc0 .LBB363_618
; %bb.615:
	s_wait_loadcnt 0x0
	global_load_b64 v[4:5], v[2:3], off
	s_mov_b32 s23, 0
	s_branch .LBB363_619
.LBB363_616:
	s_mov_b32 s23, -1
                                        ; implicit-def: $vgpr4_vgpr5
	s_branch .LBB363_625
.LBB363_617:
	s_mov_b32 s23, -1
                                        ; implicit-def: $vgpr4_vgpr5
	s_branch .LBB363_622
.LBB363_618:
	s_mov_b32 s23, -1
                                        ; implicit-def: $vgpr4_vgpr5
.LBB363_619:
	s_delay_alu instid0(SALU_CYCLE_1)
	s_and_not1_b32 vcc_lo, exec_lo, s23
	s_cbranch_vccnz .LBB363_621
; %bb.620:
	s_wait_loadcnt 0x0
	global_load_b32 v4, v[2:3], off
	s_wait_loadcnt 0x0
	v_ashrrev_i32_e32 v5, 31, v4
.LBB363_621:
	s_mov_b32 s23, 0
.LBB363_622:
	s_delay_alu instid0(SALU_CYCLE_1)
	s_and_not1_b32 vcc_lo, exec_lo, s23
	s_cbranch_vccnz .LBB363_624
; %bb.623:
	s_wait_loadcnt 0x0
	global_load_u16 v4, v[2:3], off
	s_wait_loadcnt 0x0
	v_bfe_i32 v4, v4, 0, 16
	s_delay_alu instid0(VALU_DEP_1)
	v_ashrrev_i32_e32 v5, 31, v4
.LBB363_624:
	s_mov_b32 s23, 0
.LBB363_625:
	s_delay_alu instid0(SALU_CYCLE_1)
	s_and_not1_b32 vcc_lo, exec_lo, s23
	s_cbranch_vccnz .LBB363_631
; %bb.626:
	s_cmp_gt_i32 s0, 0
	s_mov_b32 s0, 0
	s_cbranch_scc0 .LBB363_628
; %bb.627:
	s_wait_loadcnt 0x0
	global_load_i8 v4, v[2:3], off
	s_wait_loadcnt 0x0
	v_bfe_i32 v4, v4, 0, 16
	s_delay_alu instid0(VALU_DEP_1)
	v_ashrrev_i32_e32 v5, 31, v4
	s_branch .LBB363_629
.LBB363_628:
	s_mov_b32 s0, -1
                                        ; implicit-def: $vgpr4_vgpr5
.LBB363_629:
	s_delay_alu instid0(SALU_CYCLE_1)
	s_and_not1_b32 vcc_lo, exec_lo, s0
	s_cbranch_vccnz .LBB363_631
; %bb.630:
	global_load_u8 v2, v[2:3], off
	s_mov_b32 s0, 0
	s_wait_loadcnt 0x1
	v_mov_b32_e32 v5, s0
	s_wait_loadcnt 0x0
	v_and_b32_e32 v4, 0xffff, v2
.LBB363_631:
	s_mov_b32 s26, -1
.LBB363_632:
	s_delay_alu instid0(SALU_CYCLE_1)
	s_and_not1_b32 vcc_lo, exec_lo, s26
	s_cbranch_vccnz .LBB363_640
; %bb.633:
	s_wait_xcnt 0x0
	v_mul_lo_u32 v2, v18, s8
	s_wait_loadcnt 0x0
	s_delay_alu instid0(VALU_DEP_2) | instskip(SKIP_3) | instid1(VALU_DEP_2)
	v_cmp_ne_u64_e32 vcc_lo, v[0:1], v[4:5]
	s_and_b32 s26, s12, 0xff
	s_xor_b32 s23, s16, vcc_lo
	s_cmp_lt_i32 s26, 11
	v_ashrrev_i32_e32 v3, 31, v2
	s_delay_alu instid0(VALU_DEP_1)
	v_add_nc_u64_e32 v[0:1], s[4:5], v[2:3]
	s_cbranch_scc1 .LBB363_641
; %bb.634:
	s_and_b32 s27, 0xffff, s26
	s_delay_alu instid0(SALU_CYCLE_1)
	s_cmp_gt_i32 s27, 25
	s_cbranch_scc0 .LBB363_642
; %bb.635:
	s_cmp_gt_i32 s27, 28
	s_cbranch_scc0 .LBB363_643
; %bb.636:
	;; [unrolled: 3-line block ×4, first 2 shown]
	s_mov_b32 s29, 0
	s_mov_b32 s0, -1
	s_cmp_eq_u32 s27, 46
	s_mov_b32 s28, 0
	s_cbranch_scc0 .LBB363_646
; %bb.639:
	v_cndmask_b32_e64 v2, 0, 1.0, s23
	s_mov_b32 s28, -1
	s_mov_b32 s0, 0
	s_delay_alu instid0(VALU_DEP_1) | instskip(NEXT) | instid1(VALU_DEP_1)
	v_bfe_u32 v3, v2, 16, 1
	v_add3_u32 v2, v2, v3, 0x7fff
	s_delay_alu instid0(VALU_DEP_1)
	v_lshrrev_b32_e32 v2, 16, v2
	global_store_b32 v[0:1], v2, off
	s_branch .LBB363_646
.LBB363_640:
	s_mov_b32 s26, 0
	s_mov_b32 s0, s18
	s_branch .LBB363_757
.LBB363_641:
	s_mov_b32 s27, -1
	s_mov_b32 s28, 0
	s_mov_b32 s0, s18
	s_branch .LBB363_715
.LBB363_642:
	s_mov_b32 s29, -1
	s_mov_b32 s28, 0
	s_mov_b32 s0, s18
	s_branch .LBB363_673
.LBB363_643:
	s_mov_b32 s29, -1
	s_mov_b32 s28, 0
	s_mov_b32 s0, s18
	s_branch .LBB363_656
.LBB363_644:
	s_mov_b32 s29, -1
	s_mov_b32 s28, 0
	s_mov_b32 s0, s18
	s_branch .LBB363_652
.LBB363_645:
	s_mov_b32 s29, -1
	s_mov_b32 s28, 0
	s_mov_b32 s0, s18
.LBB363_646:
	s_and_b32 vcc_lo, exec_lo, s29
	s_cbranch_vccz .LBB363_651
; %bb.647:
	s_cmp_eq_u32 s27, 44
	s_mov_b32 s0, -1
	s_cbranch_scc0 .LBB363_651
; %bb.648:
	v_cndmask_b32_e64 v4, 0, 1.0, s23
	s_mov_b32 s28, exec_lo
	s_wait_xcnt 0x0
	s_delay_alu instid0(VALU_DEP_1) | instskip(NEXT) | instid1(VALU_DEP_1)
	v_dual_mov_b32 v3, 0xff :: v_dual_lshrrev_b32 v2, 23, v4
	v_cmpx_ne_u32_e32 0xff, v2
; %bb.649:
	v_and_b32_e32 v3, 0x400000, v4
	v_and_or_b32 v4, 0x3fffff, v4, v2
	s_delay_alu instid0(VALU_DEP_2) | instskip(NEXT) | instid1(VALU_DEP_2)
	v_cmp_ne_u32_e32 vcc_lo, 0, v3
	v_cmp_ne_u32_e64 s0, 0, v4
	s_and_b32 s0, vcc_lo, s0
	s_delay_alu instid0(SALU_CYCLE_1) | instskip(NEXT) | instid1(VALU_DEP_1)
	v_cndmask_b32_e64 v3, 0, 1, s0
	v_add_nc_u32_e32 v3, v2, v3
; %bb.650:
	s_or_b32 exec_lo, exec_lo, s28
	s_mov_b32 s28, -1
	s_mov_b32 s0, 0
	global_store_b8 v[0:1], v3, off
.LBB363_651:
	s_mov_b32 s29, 0
.LBB363_652:
	s_delay_alu instid0(SALU_CYCLE_1)
	s_and_b32 vcc_lo, exec_lo, s29
	s_cbranch_vccz .LBB363_655
; %bb.653:
	s_cmp_eq_u32 s27, 29
	s_mov_b32 s0, -1
	s_cbranch_scc0 .LBB363_655
; %bb.654:
	s_mov_b32 s0, 0
	s_wait_xcnt 0x0
	v_cndmask_b32_e64 v2, 0, 1, s23
	v_mov_b32_e32 v3, s0
	s_mov_b32 s28, -1
	s_mov_b32 s29, 0
	global_store_b64 v[0:1], v[2:3], off
	s_branch .LBB363_656
.LBB363_655:
	s_mov_b32 s29, 0
.LBB363_656:
	s_delay_alu instid0(SALU_CYCLE_1)
	s_and_b32 vcc_lo, exec_lo, s29
	s_cbranch_vccz .LBB363_672
; %bb.657:
	s_cmp_lt_i32 s27, 27
	s_mov_b32 s28, -1
	s_cbranch_scc1 .LBB363_663
; %bb.658:
	s_cmp_gt_i32 s27, 27
	s_cbranch_scc0 .LBB363_660
; %bb.659:
	s_wait_xcnt 0x0
	v_cndmask_b32_e64 v2, 0, 1, s23
	s_mov_b32 s28, 0
	global_store_b32 v[0:1], v2, off
.LBB363_660:
	s_and_not1_b32 vcc_lo, exec_lo, s28
	s_cbranch_vccnz .LBB363_662
; %bb.661:
	s_wait_xcnt 0x0
	v_cndmask_b32_e64 v2, 0, 1, s23
	global_store_b16 v[0:1], v2, off
.LBB363_662:
	s_mov_b32 s28, 0
.LBB363_663:
	s_delay_alu instid0(SALU_CYCLE_1)
	s_and_not1_b32 vcc_lo, exec_lo, s28
	s_cbranch_vccnz .LBB363_671
; %bb.664:
	s_wait_xcnt 0x0
	v_cndmask_b32_e64 v3, 0, 1.0, s23
	v_mov_b32_e32 v4, 0x80
	s_mov_b32 s28, exec_lo
	s_delay_alu instid0(VALU_DEP_2)
	v_cmpx_gt_u32_e32 0x43800000, v3
	s_cbranch_execz .LBB363_670
; %bb.665:
	s_mov_b32 s29, 0
	s_mov_b32 s30, exec_lo
                                        ; implicit-def: $vgpr2
	v_cmpx_lt_u32_e32 0x3bffffff, v3
	s_xor_b32 s30, exec_lo, s30
	s_cbranch_execz .LBB363_773
; %bb.666:
	v_bfe_u32 v2, v3, 20, 1
	s_mov_b32 s29, exec_lo
	s_delay_alu instid0(VALU_DEP_1) | instskip(NEXT) | instid1(VALU_DEP_1)
	v_add3_u32 v2, v3, v2, 0x487ffff
                                        ; implicit-def: $vgpr3
	v_lshrrev_b32_e32 v2, 20, v2
	s_and_not1_saveexec_b32 s30, s30
	s_cbranch_execnz .LBB363_774
.LBB363_667:
	s_or_b32 exec_lo, exec_lo, s30
	v_mov_b32_e32 v4, 0
	s_and_saveexec_b32 s30, s29
.LBB363_668:
	v_mov_b32_e32 v4, v2
.LBB363_669:
	s_or_b32 exec_lo, exec_lo, s30
.LBB363_670:
	s_delay_alu instid0(SALU_CYCLE_1)
	s_or_b32 exec_lo, exec_lo, s28
	global_store_b8 v[0:1], v4, off
.LBB363_671:
	s_mov_b32 s28, -1
.LBB363_672:
	s_mov_b32 s29, 0
.LBB363_673:
	s_delay_alu instid0(SALU_CYCLE_1)
	s_and_b32 vcc_lo, exec_lo, s29
	s_cbranch_vccz .LBB363_714
; %bb.674:
	s_cmp_gt_i32 s27, 22
	s_mov_b32 s29, -1
	s_cbranch_scc0 .LBB363_706
; %bb.675:
	s_cmp_lt_i32 s27, 24
	s_mov_b32 s28, -1
	s_cbranch_scc1 .LBB363_695
; %bb.676:
	s_cmp_gt_i32 s27, 24
	s_cbranch_scc0 .LBB363_684
; %bb.677:
	s_wait_xcnt 0x0
	v_cndmask_b32_e64 v3, 0, 1.0, s23
	v_mov_b32_e32 v4, 0x80
	s_mov_b32 s28, exec_lo
	s_delay_alu instid0(VALU_DEP_2)
	v_cmpx_gt_u32_e32 0x47800000, v3
	s_cbranch_execz .LBB363_683
; %bb.678:
	s_mov_b32 s29, 0
	s_mov_b32 s30, exec_lo
                                        ; implicit-def: $vgpr2
	v_cmpx_lt_u32_e32 0x37ffffff, v3
	s_xor_b32 s30, exec_lo, s30
	s_cbranch_execz .LBB363_901
; %bb.679:
	v_bfe_u32 v2, v3, 21, 1
	s_mov_b32 s29, exec_lo
	s_delay_alu instid0(VALU_DEP_1) | instskip(NEXT) | instid1(VALU_DEP_1)
	v_add3_u32 v2, v3, v2, 0x88fffff
                                        ; implicit-def: $vgpr3
	v_lshrrev_b32_e32 v2, 21, v2
	s_and_not1_saveexec_b32 s30, s30
	s_cbranch_execnz .LBB363_902
.LBB363_680:
	s_or_b32 exec_lo, exec_lo, s30
	v_mov_b32_e32 v4, 0
	s_and_saveexec_b32 s30, s29
.LBB363_681:
	v_mov_b32_e32 v4, v2
.LBB363_682:
	s_or_b32 exec_lo, exec_lo, s30
.LBB363_683:
	s_delay_alu instid0(SALU_CYCLE_1)
	s_or_b32 exec_lo, exec_lo, s28
	s_mov_b32 s28, 0
	global_store_b8 v[0:1], v4, off
.LBB363_684:
	s_and_b32 vcc_lo, exec_lo, s28
	s_cbranch_vccz .LBB363_694
; %bb.685:
	s_wait_xcnt 0x0
	v_cndmask_b32_e64 v3, 0, 1.0, s23
	s_mov_b32 s28, exec_lo
                                        ; implicit-def: $vgpr2
	s_delay_alu instid0(VALU_DEP_1)
	v_cmpx_gt_u32_e32 0x43f00000, v3
	s_xor_b32 s28, exec_lo, s28
	s_cbranch_execz .LBB363_691
; %bb.686:
	s_mov_b32 s29, exec_lo
                                        ; implicit-def: $vgpr2
	v_cmpx_lt_u32_e32 0x3c7fffff, v3
	s_xor_b32 s29, exec_lo, s29
; %bb.687:
	v_bfe_u32 v2, v3, 20, 1
	s_delay_alu instid0(VALU_DEP_1) | instskip(NEXT) | instid1(VALU_DEP_1)
	v_add3_u32 v2, v3, v2, 0x407ffff
	v_and_b32_e32 v3, 0xff00000, v2
	v_lshrrev_b32_e32 v2, 20, v2
	s_delay_alu instid0(VALU_DEP_2) | instskip(NEXT) | instid1(VALU_DEP_2)
	v_cmp_ne_u32_e32 vcc_lo, 0x7f00000, v3
                                        ; implicit-def: $vgpr3
	v_cndmask_b32_e32 v2, 0x7e, v2, vcc_lo
; %bb.688:
	s_and_not1_saveexec_b32 s29, s29
; %bb.689:
	v_add_f32_e32 v2, 0x46800000, v3
; %bb.690:
	s_or_b32 exec_lo, exec_lo, s29
                                        ; implicit-def: $vgpr3
.LBB363_691:
	s_and_not1_saveexec_b32 s28, s28
; %bb.692:
	v_mov_b32_e32 v2, 0x7f
	v_cmp_lt_u32_e32 vcc_lo, 0x7f800000, v3
	s_delay_alu instid0(VALU_DEP_2)
	v_cndmask_b32_e32 v2, 0x7e, v2, vcc_lo
; %bb.693:
	s_or_b32 exec_lo, exec_lo, s28
	global_store_b8 v[0:1], v2, off
.LBB363_694:
	s_mov_b32 s28, 0
.LBB363_695:
	s_delay_alu instid0(SALU_CYCLE_1)
	s_and_not1_b32 vcc_lo, exec_lo, s28
	s_cbranch_vccnz .LBB363_705
; %bb.696:
	s_wait_xcnt 0x0
	v_cndmask_b32_e64 v3, 0, 1.0, s23
	s_mov_b32 s28, exec_lo
                                        ; implicit-def: $vgpr2
	s_delay_alu instid0(VALU_DEP_1)
	v_cmpx_gt_u32_e32 0x47800000, v3
	s_xor_b32 s28, exec_lo, s28
	s_cbranch_execz .LBB363_702
; %bb.697:
	s_mov_b32 s29, exec_lo
                                        ; implicit-def: $vgpr2
	v_cmpx_lt_u32_e32 0x387fffff, v3
	s_xor_b32 s29, exec_lo, s29
; %bb.698:
	v_bfe_u32 v2, v3, 21, 1
	s_delay_alu instid0(VALU_DEP_1) | instskip(NEXT) | instid1(VALU_DEP_1)
	v_add3_u32 v2, v3, v2, 0x80fffff
                                        ; implicit-def: $vgpr3
	v_lshrrev_b32_e32 v2, 21, v2
; %bb.699:
	s_and_not1_saveexec_b32 s29, s29
; %bb.700:
	v_add_f32_e32 v2, 0x43000000, v3
; %bb.701:
	s_or_b32 exec_lo, exec_lo, s29
                                        ; implicit-def: $vgpr3
.LBB363_702:
	s_and_not1_saveexec_b32 s28, s28
; %bb.703:
	v_mov_b32_e32 v2, 0x7f
	v_cmp_lt_u32_e32 vcc_lo, 0x7f800000, v3
	s_delay_alu instid0(VALU_DEP_2)
	v_cndmask_b32_e32 v2, 0x7c, v2, vcc_lo
; %bb.704:
	s_or_b32 exec_lo, exec_lo, s28
	global_store_b8 v[0:1], v2, off
.LBB363_705:
	s_mov_b32 s29, 0
	s_mov_b32 s28, -1
.LBB363_706:
	s_and_not1_b32 vcc_lo, exec_lo, s29
	s_cbranch_vccnz .LBB363_714
; %bb.707:
	s_cmp_gt_i32 s27, 14
	s_mov_b32 s29, -1
	s_cbranch_scc0 .LBB363_711
; %bb.708:
	s_cmp_eq_u32 s27, 15
	s_mov_b32 s0, -1
	s_cbranch_scc0 .LBB363_710
; %bb.709:
	s_wait_xcnt 0x0
	v_cndmask_b32_e64 v2, 0, 1.0, s23
	s_mov_b32 s28, -1
	s_mov_b32 s0, 0
	s_delay_alu instid0(VALU_DEP_1) | instskip(NEXT) | instid1(VALU_DEP_1)
	v_bfe_u32 v3, v2, 16, 1
	v_add3_u32 v2, v2, v3, 0x7fff
	global_store_d16_hi_b16 v[0:1], v2, off
.LBB363_710:
	s_mov_b32 s29, 0
.LBB363_711:
	s_delay_alu instid0(SALU_CYCLE_1)
	s_and_b32 vcc_lo, exec_lo, s29
	s_cbranch_vccz .LBB363_714
; %bb.712:
	s_cmp_eq_u32 s27, 11
	s_mov_b32 s0, -1
	s_cbranch_scc0 .LBB363_714
; %bb.713:
	s_wait_xcnt 0x0
	v_cndmask_b32_e64 v2, 0, 1, s23
	s_mov_b32 s28, -1
	s_mov_b32 s0, 0
	global_store_b8 v[0:1], v2, off
.LBB363_714:
	s_mov_b32 s27, 0
.LBB363_715:
	s_delay_alu instid0(SALU_CYCLE_1)
	s_and_b32 vcc_lo, exec_lo, s27
	s_cbranch_vccz .LBB363_754
; %bb.716:
	s_and_b32 s26, 0xffff, s26
	s_mov_b32 s27, -1
	s_cmp_lt_i32 s26, 5
	s_cbranch_scc1 .LBB363_737
; %bb.717:
	s_cmp_lt_i32 s26, 8
	s_cbranch_scc1 .LBB363_727
; %bb.718:
	;; [unrolled: 3-line block ×3, first 2 shown]
	s_cmp_gt_i32 s26, 9
	s_cbranch_scc0 .LBB363_721
; %bb.720:
	s_wait_xcnt 0x0
	v_cndmask_b32_e64 v2, 0, 1, s23
	v_mov_b32_e32 v4, 0
	s_mov_b32 s27, 0
	s_delay_alu instid0(VALU_DEP_2) | instskip(NEXT) | instid1(VALU_DEP_2)
	v_cvt_f64_u32_e32 v[2:3], v2
	v_mov_b32_e32 v5, v4
	global_store_b128 v[0:1], v[2:5], off
.LBB363_721:
	s_and_not1_b32 vcc_lo, exec_lo, s27
	s_cbranch_vccnz .LBB363_723
; %bb.722:
	s_wait_xcnt 0x0
	v_cndmask_b32_e64 v2, 0, 1.0, s23
	v_mov_b32_e32 v3, 0
	global_store_b64 v[0:1], v[2:3], off
.LBB363_723:
	s_mov_b32 s27, 0
.LBB363_724:
	s_delay_alu instid0(SALU_CYCLE_1)
	s_and_not1_b32 vcc_lo, exec_lo, s27
	s_cbranch_vccnz .LBB363_726
; %bb.725:
	s_wait_xcnt 0x0
	v_cndmask_b32_e64 v2, 0, 1.0, s23
	s_delay_alu instid0(VALU_DEP_1) | instskip(NEXT) | instid1(VALU_DEP_1)
	v_cvt_f16_f32_e32 v2, v2
	v_and_b32_e32 v2, 0xffff, v2
	global_store_b32 v[0:1], v2, off
.LBB363_726:
	s_mov_b32 s27, 0
.LBB363_727:
	s_delay_alu instid0(SALU_CYCLE_1)
	s_and_not1_b32 vcc_lo, exec_lo, s27
	s_cbranch_vccnz .LBB363_736
; %bb.728:
	s_cmp_lt_i32 s26, 6
	s_mov_b32 s27, -1
	s_cbranch_scc1 .LBB363_734
; %bb.729:
	s_cmp_gt_i32 s26, 6
	s_cbranch_scc0 .LBB363_731
; %bb.730:
	s_wait_xcnt 0x0
	v_cndmask_b32_e64 v2, 0, 1, s23
	s_mov_b32 s27, 0
	s_delay_alu instid0(VALU_DEP_1)
	v_cvt_f64_u32_e32 v[2:3], v2
	global_store_b64 v[0:1], v[2:3], off
.LBB363_731:
	s_and_not1_b32 vcc_lo, exec_lo, s27
	s_cbranch_vccnz .LBB363_733
; %bb.732:
	s_wait_xcnt 0x0
	v_cndmask_b32_e64 v2, 0, 1.0, s23
	global_store_b32 v[0:1], v2, off
.LBB363_733:
	s_mov_b32 s27, 0
.LBB363_734:
	s_delay_alu instid0(SALU_CYCLE_1)
	s_and_not1_b32 vcc_lo, exec_lo, s27
	s_cbranch_vccnz .LBB363_736
; %bb.735:
	s_wait_xcnt 0x0
	v_cndmask_b32_e64 v2, 0, 1.0, s23
	s_delay_alu instid0(VALU_DEP_1)
	v_cvt_f16_f32_e32 v2, v2
	global_store_b16 v[0:1], v2, off
.LBB363_736:
	s_mov_b32 s27, 0
.LBB363_737:
	s_delay_alu instid0(SALU_CYCLE_1)
	s_and_not1_b32 vcc_lo, exec_lo, s27
	s_cbranch_vccnz .LBB363_753
; %bb.738:
	s_cmp_lt_i32 s26, 2
	s_mov_b32 s27, -1
	s_cbranch_scc1 .LBB363_748
; %bb.739:
	s_cmp_lt_i32 s26, 3
	s_cbranch_scc1 .LBB363_745
; %bb.740:
	s_cmp_gt_i32 s26, 3
	s_cbranch_scc0 .LBB363_742
; %bb.741:
	s_mov_b32 s27, 0
	s_wait_xcnt 0x0
	v_cndmask_b32_e64 v2, 0, 1, s23
	v_mov_b32_e32 v3, s27
	global_store_b64 v[0:1], v[2:3], off
.LBB363_742:
	s_and_not1_b32 vcc_lo, exec_lo, s27
	s_cbranch_vccnz .LBB363_744
; %bb.743:
	s_wait_xcnt 0x0
	v_cndmask_b32_e64 v2, 0, 1, s23
	global_store_b32 v[0:1], v2, off
.LBB363_744:
	s_mov_b32 s27, 0
.LBB363_745:
	s_delay_alu instid0(SALU_CYCLE_1)
	s_and_not1_b32 vcc_lo, exec_lo, s27
	s_cbranch_vccnz .LBB363_747
; %bb.746:
	s_wait_xcnt 0x0
	v_cndmask_b32_e64 v2, 0, 1, s23
	global_store_b16 v[0:1], v2, off
.LBB363_747:
	s_mov_b32 s27, 0
.LBB363_748:
	s_delay_alu instid0(SALU_CYCLE_1)
	s_and_not1_b32 vcc_lo, exec_lo, s27
	s_cbranch_vccnz .LBB363_753
; %bb.749:
	s_wait_xcnt 0x0
	v_cndmask_b32_e64 v2, 0, 1, s23
	s_cmp_gt_i32 s26, 0
	s_mov_b32 s23, -1
	s_cbranch_scc0 .LBB363_751
; %bb.750:
	s_mov_b32 s23, 0
	global_store_b8 v[0:1], v2, off
.LBB363_751:
	s_and_not1_b32 vcc_lo, exec_lo, s23
	s_cbranch_vccnz .LBB363_753
; %bb.752:
	global_store_b8 v[0:1], v2, off
.LBB363_753:
	s_mov_b32 s28, -1
.LBB363_754:
	s_delay_alu instid0(SALU_CYCLE_1)
	s_and_not1_b32 vcc_lo, exec_lo, s28
	s_cbranch_vccnz .LBB363_756
; %bb.755:
	v_add_nc_u32_e32 v18, 0x80, v18
	s_mov_b32 s26, -1
	s_branch .LBB363_758
.LBB363_756:
	s_mov_b32 s26, 0
.LBB363_757:
                                        ; implicit-def: $vgpr18
.LBB363_758:
	s_and_not1_b32 s23, s18, exec_lo
	s_and_b32 s0, s0, exec_lo
	s_and_b32 s24, s24, exec_lo
	s_or_b32 s23, s23, s0
	s_and_not1_b32 s0, s19, exec_lo
	s_and_not1_b32 s27, s20, exec_lo
	s_and_b32 s22, s22, exec_lo
	s_or_b32 s24, s0, s24
	s_or_b32 s22, s27, s22
	s_or_not1_b32 s27, s26, exec_lo
.LBB363_759:
	s_wait_xcnt 0x0
	s_or_b32 exec_lo, exec_lo, s25
	s_mov_b32 s26, 0
	s_mov_b32 s28, 0
	;; [unrolled: 1-line block ×3, first 2 shown]
                                        ; implicit-def: $sgpr0
                                        ; implicit-def: $vgpr2_vgpr3
                                        ; implicit-def: $vgpr0_vgpr1
	s_and_saveexec_b32 s25, s27
	s_cbranch_execz .LBB363_1222
; %bb.760:
	s_mov_b32 s34, -1
	s_mov_b32 s27, s22
	s_mov_b32 s28, s24
	;; [unrolled: 1-line block ×3, first 2 shown]
	s_mov_b32 s26, exec_lo
	v_cmpx_gt_i32_e64 s17, v18
	s_cbranch_execz .LBB363_1142
; %bb.761:
	s_wait_loadcnt 0x0
	v_mul_lo_u32 v0, v18, s9
	s_and_b32 s0, s14, 0xff
	s_delay_alu instid0(SALU_CYCLE_1) | instskip(NEXT) | instid1(VALU_DEP_1)
	s_cmp_lt_i32 s0, 11
	v_ashrrev_i32_e32 v1, 31, v0
	s_delay_alu instid0(VALU_DEP_1)
	v_add_nc_u64_e32 v[2:3], s[6:7], v[0:1]
	s_cbranch_scc1 .LBB363_768
; %bb.762:
	s_and_b32 s28, 0xffff, s0
	s_delay_alu instid0(SALU_CYCLE_1)
	s_cmp_gt_i32 s28, 25
	s_cbranch_scc0 .LBB363_769
; %bb.763:
	s_cmp_gt_i32 s28, 28
	s_cbranch_scc0 .LBB363_770
; %bb.764:
	;; [unrolled: 3-line block ×4, first 2 shown]
	s_cmp_eq_u32 s28, 46
	s_mov_b32 s30, 0
	s_cbranch_scc0 .LBB363_775
; %bb.767:
	global_load_b32 v0, v[2:3], off
	s_mov_b32 s29, -1
	s_mov_b32 s27, 0
	s_wait_loadcnt 0x0
	v_lshlrev_b32_e32 v0, 16, v0
	s_delay_alu instid0(VALU_DEP_1) | instskip(NEXT) | instid1(VALU_DEP_1)
	v_trunc_f32_e32 v0, v0
	v_mul_f32_e32 v1, 0x2f800000, v0
	s_delay_alu instid0(VALU_DEP_1) | instskip(NEXT) | instid1(VALU_DEP_1)
	v_floor_f32_e32 v1, v1
	v_fmamk_f32 v0, v1, 0xcf800000, v0
	v_cvt_u32_f32_e32 v1, v1
	s_delay_alu instid0(VALU_DEP_2)
	v_cvt_u32_f32_e32 v0, v0
	s_branch .LBB363_777
.LBB363_768:
	s_mov_b32 s28, -1
	s_mov_b32 s29, 0
	s_mov_b32 s27, s22
                                        ; implicit-def: $vgpr0_vgpr1
	s_branch .LBB363_838
.LBB363_769:
	s_mov_b32 s30, -1
	s_mov_b32 s29, 0
	s_mov_b32 s27, s22
                                        ; implicit-def: $vgpr0_vgpr1
	s_branch .LBB363_804
.LBB363_770:
	s_mov_b32 s30, -1
	s_mov_b32 s29, 0
	s_mov_b32 s27, s22
                                        ; implicit-def: $vgpr0_vgpr1
	s_branch .LBB363_787
.LBB363_771:
	s_mov_b32 s30, -1
	s_mov_b32 s29, 0
	s_mov_b32 s27, s22
                                        ; implicit-def: $vgpr0_vgpr1
	s_branch .LBB363_782
.LBB363_772:
	s_mov_b32 s30, -1
	s_mov_b32 s29, 0
	s_mov_b32 s27, s22
	s_branch .LBB363_776
.LBB363_773:
	s_and_not1_saveexec_b32 s30, s30
	s_cbranch_execz .LBB363_667
.LBB363_774:
	v_add_f32_e32 v2, 0x46000000, v3
	s_and_not1_b32 s29, s29, exec_lo
	s_delay_alu instid0(VALU_DEP_1) | instskip(NEXT) | instid1(VALU_DEP_1)
	v_and_b32_e32 v2, 0xff, v2
	v_cmp_ne_u32_e32 vcc_lo, 0, v2
	s_and_b32 s31, vcc_lo, exec_lo
	s_delay_alu instid0(SALU_CYCLE_1)
	s_or_b32 s29, s29, s31
	s_or_b32 exec_lo, exec_lo, s30
	v_mov_b32_e32 v4, 0
	s_and_saveexec_b32 s30, s29
	s_cbranch_execnz .LBB363_668
	s_branch .LBB363_669
.LBB363_775:
	s_mov_b32 s27, -1
	s_mov_b32 s29, 0
.LBB363_776:
                                        ; implicit-def: $vgpr0_vgpr1
.LBB363_777:
	s_and_b32 vcc_lo, exec_lo, s30
	s_cbranch_vccz .LBB363_781
; %bb.778:
	s_cmp_eq_u32 s28, 44
	s_cbranch_scc0 .LBB363_780
; %bb.779:
	global_load_u8 v0, v[2:3], off
	s_mov_b32 s27, 0
	s_mov_b32 s29, -1
	s_wait_loadcnt 0x0
	v_cmp_ne_u32_e32 vcc_lo, 0, v0
	v_lshlrev_b32_e32 v1, 23, v0
	s_delay_alu instid0(VALU_DEP_1) | instskip(NEXT) | instid1(VALU_DEP_1)
	v_trunc_f32_e32 v1, v1
	v_mul_f32_e32 v4, 0x2f800000, v1
	s_delay_alu instid0(VALU_DEP_1) | instskip(NEXT) | instid1(VALU_DEP_1)
	v_floor_f32_e32 v4, v4
	v_fmamk_f32 v1, v4, 0xcf800000, v1
	v_cvt_u32_f32_e32 v4, v4
	s_delay_alu instid0(VALU_DEP_2) | instskip(NEXT) | instid1(VALU_DEP_1)
	v_cvt_u32_f32_e32 v5, v1
	v_dual_cndmask_b32 v1, 0, v4 :: v_dual_cndmask_b32 v0, 0, v5
	s_branch .LBB363_781
.LBB363_780:
	s_mov_b32 s27, -1
                                        ; implicit-def: $vgpr0_vgpr1
.LBB363_781:
	s_mov_b32 s30, 0
.LBB363_782:
	s_delay_alu instid0(SALU_CYCLE_1)
	s_and_b32 vcc_lo, exec_lo, s30
	s_cbranch_vccz .LBB363_786
; %bb.783:
	s_cmp_eq_u32 s28, 29
	s_cbranch_scc0 .LBB363_785
; %bb.784:
	global_load_b64 v[0:1], v[2:3], off
	s_mov_b32 s29, -1
	s_mov_b32 s27, 0
	s_branch .LBB363_786
.LBB363_785:
	s_mov_b32 s27, -1
                                        ; implicit-def: $vgpr0_vgpr1
.LBB363_786:
	s_mov_b32 s30, 0
.LBB363_787:
	s_delay_alu instid0(SALU_CYCLE_1)
	s_and_b32 vcc_lo, exec_lo, s30
	s_cbranch_vccz .LBB363_803
; %bb.788:
	s_cmp_lt_i32 s28, 27
	s_cbranch_scc1 .LBB363_791
; %bb.789:
	s_cmp_gt_i32 s28, 27
	s_cbranch_scc0 .LBB363_792
; %bb.790:
	s_wait_loadcnt 0x0
	global_load_b32 v0, v[2:3], off
	v_mov_b32_e32 v1, 0
	s_mov_b32 s29, 0
	s_branch .LBB363_793
.LBB363_791:
	s_mov_b32 s29, -1
                                        ; implicit-def: $vgpr0_vgpr1
	s_branch .LBB363_796
.LBB363_792:
	s_mov_b32 s29, -1
                                        ; implicit-def: $vgpr0_vgpr1
.LBB363_793:
	s_delay_alu instid0(SALU_CYCLE_1)
	s_and_not1_b32 vcc_lo, exec_lo, s29
	s_cbranch_vccnz .LBB363_795
; %bb.794:
	s_wait_loadcnt 0x0
	global_load_u16 v0, v[2:3], off
	s_mov_b32 s29, 0
	s_delay_alu instid0(SALU_CYCLE_1)
	v_mov_b32_e32 v1, s29
	s_wait_loadcnt 0x0
	v_and_b32_e32 v0, 0xffff, v0
.LBB363_795:
	s_mov_b32 s29, 0
.LBB363_796:
	s_delay_alu instid0(SALU_CYCLE_1)
	s_and_not1_b32 vcc_lo, exec_lo, s29
	s_cbranch_vccnz .LBB363_802
; %bb.797:
	global_load_u8 v4, v[2:3], off
	s_mov_b32 s30, 0
	s_mov_b32 s29, exec_lo
	s_wait_loadcnt 0x0
	v_cmpx_lt_i16_e32 0x7f, v4
	s_xor_b32 s29, exec_lo, s29
	s_cbranch_execz .LBB363_814
; %bb.798:
	v_cmp_ne_u16_e32 vcc_lo, 0x80, v4
	s_and_b32 s30, vcc_lo, exec_lo
	s_and_not1_saveexec_b32 s29, s29
	s_cbranch_execnz .LBB363_815
.LBB363_799:
	s_or_b32 exec_lo, exec_lo, s29
	v_mov_b64_e32 v[0:1], 0
	s_and_saveexec_b32 s29, s30
	s_cbranch_execz .LBB363_801
.LBB363_800:
	v_and_b32_e32 v0, 0xffff, v4
	s_delay_alu instid0(VALU_DEP_1) | instskip(SKIP_1) | instid1(VALU_DEP_2)
	v_and_b32_e32 v1, 7, v0
	v_bfe_u32 v7, v0, 3, 4
	v_clz_i32_u32_e32 v5, v1
	s_delay_alu instid0(VALU_DEP_2) | instskip(NEXT) | instid1(VALU_DEP_2)
	v_cmp_eq_u32_e32 vcc_lo, 0, v7
	v_min_u32_e32 v5, 32, v5
	s_delay_alu instid0(VALU_DEP_1) | instskip(NEXT) | instid1(VALU_DEP_1)
	v_subrev_nc_u32_e32 v6, 28, v5
	v_dual_lshlrev_b32 v0, v6, v0 :: v_dual_sub_nc_u32 v5, 29, v5
	s_delay_alu instid0(VALU_DEP_1) | instskip(NEXT) | instid1(VALU_DEP_2)
	v_and_b32_e32 v0, 7, v0
	v_dual_cndmask_b32 v5, v7, v5 :: v_dual_lshlrev_b32 v4, 24, v4
	s_delay_alu instid0(VALU_DEP_2) | instskip(NEXT) | instid1(VALU_DEP_2)
	v_cndmask_b32_e32 v0, v1, v0, vcc_lo
	v_and_b32_e32 v1, 0x80000000, v4
	s_delay_alu instid0(VALU_DEP_3) | instskip(NEXT) | instid1(VALU_DEP_3)
	v_lshl_add_u32 v4, v5, 23, 0x3b800000
	v_lshlrev_b32_e32 v0, 20, v0
	s_delay_alu instid0(VALU_DEP_1) | instskip(NEXT) | instid1(VALU_DEP_1)
	v_or3_b32 v0, v1, v4, v0
	v_trunc_f32_e32 v0, v0
	s_delay_alu instid0(VALU_DEP_1) | instskip(NEXT) | instid1(VALU_DEP_1)
	v_mul_f32_e32 v1, 0x2f800000, v0
	v_floor_f32_e32 v1, v1
	s_delay_alu instid0(VALU_DEP_1) | instskip(SKIP_1) | instid1(VALU_DEP_2)
	v_fmamk_f32 v0, v1, 0xcf800000, v0
	v_cvt_u32_f32_e32 v1, v1
	v_cvt_u32_f32_e32 v0, v0
.LBB363_801:
	s_or_b32 exec_lo, exec_lo, s29
.LBB363_802:
	s_mov_b32 s29, -1
.LBB363_803:
	s_mov_b32 s30, 0
.LBB363_804:
	s_delay_alu instid0(SALU_CYCLE_1)
	s_and_b32 vcc_lo, exec_lo, s30
	s_cbranch_vccz .LBB363_837
; %bb.805:
	s_cmp_gt_i32 s28, 22
	s_cbranch_scc0 .LBB363_813
; %bb.806:
	s_cmp_lt_i32 s28, 24
	s_cbranch_scc1 .LBB363_816
; %bb.807:
	s_cmp_gt_i32 s28, 24
	s_cbranch_scc0 .LBB363_817
; %bb.808:
	global_load_u8 v4, v[2:3], off
	s_mov_b32 s30, 0
	s_mov_b32 s29, exec_lo
	s_wait_loadcnt 0x0
	v_cmpx_lt_i16_e32 0x7f, v4
	s_xor_b32 s29, exec_lo, s29
	s_cbranch_execz .LBB363_829
; %bb.809:
	v_cmp_ne_u16_e32 vcc_lo, 0x80, v4
	s_and_b32 s30, vcc_lo, exec_lo
	s_and_not1_saveexec_b32 s29, s29
	s_cbranch_execnz .LBB363_830
.LBB363_810:
	s_or_b32 exec_lo, exec_lo, s29
	v_mov_b64_e32 v[0:1], 0
	s_and_saveexec_b32 s29, s30
	s_cbranch_execz .LBB363_812
.LBB363_811:
	v_and_b32_e32 v0, 0xffff, v4
	s_delay_alu instid0(VALU_DEP_1) | instskip(SKIP_1) | instid1(VALU_DEP_2)
	v_and_b32_e32 v1, 3, v0
	v_bfe_u32 v7, v0, 2, 5
	v_clz_i32_u32_e32 v5, v1
	s_delay_alu instid0(VALU_DEP_2) | instskip(NEXT) | instid1(VALU_DEP_2)
	v_cmp_eq_u32_e32 vcc_lo, 0, v7
	v_min_u32_e32 v5, 32, v5
	s_delay_alu instid0(VALU_DEP_1) | instskip(NEXT) | instid1(VALU_DEP_1)
	v_subrev_nc_u32_e32 v6, 29, v5
	v_dual_lshlrev_b32 v0, v6, v0 :: v_dual_sub_nc_u32 v5, 30, v5
	s_delay_alu instid0(VALU_DEP_1) | instskip(NEXT) | instid1(VALU_DEP_2)
	v_and_b32_e32 v0, 3, v0
	v_dual_cndmask_b32 v5, v7, v5 :: v_dual_lshlrev_b32 v4, 24, v4
	s_delay_alu instid0(VALU_DEP_2) | instskip(NEXT) | instid1(VALU_DEP_2)
	v_cndmask_b32_e32 v0, v1, v0, vcc_lo
	v_and_b32_e32 v1, 0x80000000, v4
	s_delay_alu instid0(VALU_DEP_3) | instskip(NEXT) | instid1(VALU_DEP_3)
	v_lshl_add_u32 v4, v5, 23, 0x37800000
	v_lshlrev_b32_e32 v0, 21, v0
	s_delay_alu instid0(VALU_DEP_1) | instskip(NEXT) | instid1(VALU_DEP_1)
	v_or3_b32 v0, v1, v4, v0
	v_trunc_f32_e32 v0, v0
	s_delay_alu instid0(VALU_DEP_1) | instskip(NEXT) | instid1(VALU_DEP_1)
	v_mul_f32_e32 v1, 0x2f800000, v0
	v_floor_f32_e32 v1, v1
	s_delay_alu instid0(VALU_DEP_1) | instskip(SKIP_1) | instid1(VALU_DEP_2)
	v_fmamk_f32 v0, v1, 0xcf800000, v0
	v_cvt_u32_f32_e32 v1, v1
	v_cvt_u32_f32_e32 v0, v0
.LBB363_812:
	s_or_b32 exec_lo, exec_lo, s29
	s_mov_b32 s29, 0
	s_branch .LBB363_818
.LBB363_813:
	s_mov_b32 s30, -1
                                        ; implicit-def: $vgpr0_vgpr1
	s_branch .LBB363_824
.LBB363_814:
	s_and_not1_saveexec_b32 s29, s29
	s_cbranch_execz .LBB363_799
.LBB363_815:
	v_cmp_ne_u16_e32 vcc_lo, 0, v4
	s_and_not1_b32 s30, s30, exec_lo
	s_and_b32 s31, vcc_lo, exec_lo
	s_delay_alu instid0(SALU_CYCLE_1)
	s_or_b32 s30, s30, s31
	s_or_b32 exec_lo, exec_lo, s29
	v_mov_b64_e32 v[0:1], 0
	s_and_saveexec_b32 s29, s30
	s_cbranch_execnz .LBB363_800
	s_branch .LBB363_801
.LBB363_816:
	s_mov_b32 s29, -1
                                        ; implicit-def: $vgpr0_vgpr1
	s_branch .LBB363_821
.LBB363_817:
	s_mov_b32 s29, -1
                                        ; implicit-def: $vgpr0_vgpr1
.LBB363_818:
	s_delay_alu instid0(SALU_CYCLE_1)
	s_and_b32 vcc_lo, exec_lo, s29
	s_cbranch_vccz .LBB363_820
; %bb.819:
	s_wait_loadcnt 0x0
	global_load_u8 v0, v[2:3], off
	s_wait_loadcnt 0x0
	v_lshlrev_b32_e32 v0, 24, v0
	s_delay_alu instid0(VALU_DEP_1) | instskip(NEXT) | instid1(VALU_DEP_1)
	v_and_b32_e32 v1, 0x7f000000, v0
	v_clz_i32_u32_e32 v4, v1
	v_cmp_ne_u32_e32 vcc_lo, 0, v1
	v_add_nc_u32_e32 v6, 0x1000000, v1
	s_delay_alu instid0(VALU_DEP_3) | instskip(NEXT) | instid1(VALU_DEP_1)
	v_min_u32_e32 v4, 32, v4
	v_sub_nc_u32_e64 v4, v4, 4 clamp
	s_delay_alu instid0(VALU_DEP_1) | instskip(NEXT) | instid1(VALU_DEP_1)
	v_dual_lshlrev_b32 v5, v4, v1 :: v_dual_lshlrev_b32 v4, 23, v4
	v_lshrrev_b32_e32 v5, 4, v5
	s_delay_alu instid0(VALU_DEP_1) | instskip(NEXT) | instid1(VALU_DEP_1)
	v_dual_sub_nc_u32 v4, v5, v4 :: v_dual_ashrrev_i32 v5, 8, v6
	v_add_nc_u32_e32 v4, 0x3c000000, v4
	s_delay_alu instid0(VALU_DEP_1) | instskip(NEXT) | instid1(VALU_DEP_1)
	v_and_or_b32 v4, 0x7f800000, v5, v4
	v_cndmask_b32_e32 v1, 0, v4, vcc_lo
	s_delay_alu instid0(VALU_DEP_1) | instskip(NEXT) | instid1(VALU_DEP_1)
	v_and_or_b32 v0, 0x80000000, v0, v1
	v_trunc_f32_e32 v0, v0
	s_delay_alu instid0(VALU_DEP_1) | instskip(NEXT) | instid1(VALU_DEP_1)
	v_mul_f32_e32 v1, 0x2f800000, v0
	v_floor_f32_e32 v1, v1
	s_delay_alu instid0(VALU_DEP_1) | instskip(SKIP_1) | instid1(VALU_DEP_2)
	v_fmamk_f32 v0, v1, 0xcf800000, v0
	v_cvt_u32_f32_e32 v1, v1
	v_cvt_u32_f32_e32 v0, v0
.LBB363_820:
	s_mov_b32 s29, 0
.LBB363_821:
	s_delay_alu instid0(SALU_CYCLE_1)
	s_and_not1_b32 vcc_lo, exec_lo, s29
	s_cbranch_vccnz .LBB363_823
; %bb.822:
	s_wait_loadcnt 0x0
	global_load_u8 v0, v[2:3], off
	s_wait_loadcnt 0x0
	v_lshlrev_b32_e32 v1, 25, v0
	v_lshlrev_b16 v0, 8, v0
	s_delay_alu instid0(VALU_DEP_1) | instskip(SKIP_1) | instid1(VALU_DEP_2)
	v_and_or_b32 v5, 0x7f00, v0, 0.5
	v_bfe_i32 v0, v0, 0, 16
	v_add_f32_e32 v5, -0.5, v5
	v_lshrrev_b32_e32 v4, 4, v1
	v_cmp_gt_u32_e32 vcc_lo, 0x8000000, v1
	s_delay_alu instid0(VALU_DEP_2) | instskip(NEXT) | instid1(VALU_DEP_1)
	v_or_b32_e32 v4, 0x70000000, v4
	v_mul_f32_e32 v4, 0x7800000, v4
	s_delay_alu instid0(VALU_DEP_1) | instskip(NEXT) | instid1(VALU_DEP_1)
	v_cndmask_b32_e32 v1, v4, v5, vcc_lo
	v_and_or_b32 v0, 0x80000000, v0, v1
	s_delay_alu instid0(VALU_DEP_1) | instskip(NEXT) | instid1(VALU_DEP_1)
	v_trunc_f32_e32 v0, v0
	v_mul_f32_e32 v1, 0x2f800000, v0
	s_delay_alu instid0(VALU_DEP_1) | instskip(NEXT) | instid1(VALU_DEP_1)
	v_floor_f32_e32 v1, v1
	v_fmamk_f32 v0, v1, 0xcf800000, v0
	v_cvt_u32_f32_e32 v1, v1
	s_delay_alu instid0(VALU_DEP_2)
	v_cvt_u32_f32_e32 v0, v0
.LBB363_823:
	s_mov_b32 s30, 0
	s_mov_b32 s29, -1
.LBB363_824:
	s_and_not1_b32 vcc_lo, exec_lo, s30
	s_cbranch_vccnz .LBB363_837
; %bb.825:
	s_cmp_gt_i32 s28, 14
	s_cbranch_scc0 .LBB363_828
; %bb.826:
	s_cmp_eq_u32 s28, 15
	s_cbranch_scc0 .LBB363_831
; %bb.827:
	s_wait_loadcnt 0x0
	global_load_u16 v0, v[2:3], off
	s_mov_b32 s29, -1
	s_mov_b32 s27, 0
	s_wait_loadcnt 0x0
	v_lshlrev_b32_e32 v0, 16, v0
	s_delay_alu instid0(VALU_DEP_1) | instskip(NEXT) | instid1(VALU_DEP_1)
	v_trunc_f32_e32 v0, v0
	v_mul_f32_e32 v1, 0x2f800000, v0
	s_delay_alu instid0(VALU_DEP_1) | instskip(NEXT) | instid1(VALU_DEP_1)
	v_floor_f32_e32 v1, v1
	v_fmamk_f32 v0, v1, 0xcf800000, v0
	v_cvt_u32_f32_e32 v1, v1
	s_delay_alu instid0(VALU_DEP_2)
	v_cvt_u32_f32_e32 v0, v0
	s_branch .LBB363_832
.LBB363_828:
	s_mov_b32 s30, -1
                                        ; implicit-def: $vgpr0_vgpr1
	s_branch .LBB363_833
.LBB363_829:
	s_and_not1_saveexec_b32 s29, s29
	s_cbranch_execz .LBB363_810
.LBB363_830:
	v_cmp_ne_u16_e32 vcc_lo, 0, v4
	s_and_not1_b32 s30, s30, exec_lo
	s_and_b32 s31, vcc_lo, exec_lo
	s_delay_alu instid0(SALU_CYCLE_1)
	s_or_b32 s30, s30, s31
	s_or_b32 exec_lo, exec_lo, s29
	v_mov_b64_e32 v[0:1], 0
	s_and_saveexec_b32 s29, s30
	s_cbranch_execnz .LBB363_811
	s_branch .LBB363_812
.LBB363_831:
	s_mov_b32 s27, -1
                                        ; implicit-def: $vgpr0_vgpr1
.LBB363_832:
	s_mov_b32 s30, 0
.LBB363_833:
	s_delay_alu instid0(SALU_CYCLE_1)
	s_and_b32 vcc_lo, exec_lo, s30
	s_cbranch_vccz .LBB363_837
; %bb.834:
	s_cmp_eq_u32 s28, 11
	s_cbranch_scc0 .LBB363_836
; %bb.835:
	s_wait_loadcnt 0x0
	global_load_u8 v0, v[2:3], off
	s_mov_b32 s27, 0
	s_mov_b32 s29, -1
	v_mov_b32_e32 v1, s27
	s_wait_loadcnt 0x0
	v_cmp_ne_u16_e32 vcc_lo, 0, v0
	v_cndmask_b32_e64 v0, 0, 1, vcc_lo
	s_branch .LBB363_837
.LBB363_836:
	s_mov_b32 s27, -1
                                        ; implicit-def: $vgpr0_vgpr1
.LBB363_837:
	s_mov_b32 s28, 0
.LBB363_838:
	s_delay_alu instid0(SALU_CYCLE_1)
	s_and_b32 vcc_lo, exec_lo, s28
	s_cbranch_vccz .LBB363_887
; %bb.839:
	s_and_b32 s0, 0xffff, s0
	s_delay_alu instid0(SALU_CYCLE_1)
	s_cmp_lt_i32 s0, 5
	s_cbranch_scc1 .LBB363_844
; %bb.840:
	s_cmp_lt_i32 s0, 8
	s_cbranch_scc1 .LBB363_845
; %bb.841:
	;; [unrolled: 3-line block ×3, first 2 shown]
	s_cmp_gt_i32 s0, 9
	s_cbranch_scc0 .LBB363_847
; %bb.843:
	s_wait_loadcnt 0x0
	global_load_b64 v[0:1], v[2:3], off
	s_mov_b32 s28, 0
	s_wait_loadcnt 0x0
	v_trunc_f64_e32 v[0:1], v[0:1]
	s_delay_alu instid0(VALU_DEP_1) | instskip(NEXT) | instid1(VALU_DEP_1)
	v_ldexp_f64 v[4:5], v[0:1], 0xffffffe0
	v_floor_f64_e32 v[4:5], v[4:5]
	s_delay_alu instid0(VALU_DEP_1) | instskip(SKIP_1) | instid1(VALU_DEP_2)
	v_fmamk_f64 v[6:7], v[4:5], 0xc1f00000, v[0:1]
	v_cvt_u32_f64_e32 v1, v[4:5]
	v_cvt_u32_f64_e32 v0, v[6:7]
	s_branch .LBB363_848
.LBB363_844:
	s_mov_b32 s28, -1
                                        ; implicit-def: $vgpr0_vgpr1
	s_branch .LBB363_866
.LBB363_845:
	s_mov_b32 s28, -1
                                        ; implicit-def: $vgpr0_vgpr1
	s_branch .LBB363_854
.LBB363_846:
	s_mov_b32 s28, -1
                                        ; implicit-def: $vgpr0_vgpr1
	s_branch .LBB363_851
.LBB363_847:
	s_mov_b32 s28, -1
                                        ; implicit-def: $vgpr0_vgpr1
.LBB363_848:
	s_delay_alu instid0(SALU_CYCLE_1)
	s_and_not1_b32 vcc_lo, exec_lo, s28
	s_cbranch_vccnz .LBB363_850
; %bb.849:
	s_wait_loadcnt 0x0
	global_load_b32 v0, v[2:3], off
	s_wait_loadcnt 0x0
	v_trunc_f32_e32 v0, v0
	s_delay_alu instid0(VALU_DEP_1) | instskip(NEXT) | instid1(VALU_DEP_1)
	v_mul_f32_e32 v1, 0x2f800000, v0
	v_floor_f32_e32 v1, v1
	s_delay_alu instid0(VALU_DEP_1) | instskip(SKIP_1) | instid1(VALU_DEP_2)
	v_fmamk_f32 v0, v1, 0xcf800000, v0
	v_cvt_u32_f32_e32 v1, v1
	v_cvt_u32_f32_e32 v0, v0
.LBB363_850:
	s_mov_b32 s28, 0
.LBB363_851:
	s_delay_alu instid0(SALU_CYCLE_1)
	s_and_not1_b32 vcc_lo, exec_lo, s28
	s_cbranch_vccnz .LBB363_853
; %bb.852:
	s_wait_loadcnt 0x0
	global_load_b32 v0, v[2:3], off
	v_mov_b32_e32 v1, 0
	s_wait_loadcnt 0x0
	v_cvt_f32_f16_e32 v0, v0
	s_delay_alu instid0(VALU_DEP_1)
	v_cvt_u32_f32_e32 v0, v0
.LBB363_853:
	s_mov_b32 s28, 0
.LBB363_854:
	s_delay_alu instid0(SALU_CYCLE_1)
	s_and_not1_b32 vcc_lo, exec_lo, s28
	s_cbranch_vccnz .LBB363_865
; %bb.855:
	s_cmp_lt_i32 s0, 6
	s_cbranch_scc1 .LBB363_858
; %bb.856:
	s_cmp_gt_i32 s0, 6
	s_cbranch_scc0 .LBB363_859
; %bb.857:
	s_wait_loadcnt 0x0
	global_load_b64 v[0:1], v[2:3], off
	s_mov_b32 s28, 0
	s_wait_loadcnt 0x0
	v_trunc_f64_e32 v[0:1], v[0:1]
	s_delay_alu instid0(VALU_DEP_1) | instskip(NEXT) | instid1(VALU_DEP_1)
	v_ldexp_f64 v[4:5], v[0:1], 0xffffffe0
	v_floor_f64_e32 v[4:5], v[4:5]
	s_delay_alu instid0(VALU_DEP_1) | instskip(SKIP_1) | instid1(VALU_DEP_2)
	v_fmamk_f64 v[6:7], v[4:5], 0xc1f00000, v[0:1]
	v_cvt_u32_f64_e32 v1, v[4:5]
	v_cvt_u32_f64_e32 v0, v[6:7]
	s_branch .LBB363_860
.LBB363_858:
	s_mov_b32 s28, -1
                                        ; implicit-def: $vgpr0_vgpr1
	s_branch .LBB363_863
.LBB363_859:
	s_mov_b32 s28, -1
                                        ; implicit-def: $vgpr0_vgpr1
.LBB363_860:
	s_delay_alu instid0(SALU_CYCLE_1)
	s_and_not1_b32 vcc_lo, exec_lo, s28
	s_cbranch_vccnz .LBB363_862
; %bb.861:
	s_wait_loadcnt 0x0
	global_load_b32 v0, v[2:3], off
	s_wait_loadcnt 0x0
	v_trunc_f32_e32 v0, v0
	s_delay_alu instid0(VALU_DEP_1) | instskip(NEXT) | instid1(VALU_DEP_1)
	v_mul_f32_e32 v1, 0x2f800000, v0
	v_floor_f32_e32 v1, v1
	s_delay_alu instid0(VALU_DEP_1) | instskip(SKIP_1) | instid1(VALU_DEP_2)
	v_fmamk_f32 v0, v1, 0xcf800000, v0
	v_cvt_u32_f32_e32 v1, v1
	v_cvt_u32_f32_e32 v0, v0
.LBB363_862:
	s_mov_b32 s28, 0
.LBB363_863:
	s_delay_alu instid0(SALU_CYCLE_1)
	s_and_not1_b32 vcc_lo, exec_lo, s28
	s_cbranch_vccnz .LBB363_865
; %bb.864:
	s_wait_loadcnt 0x0
	global_load_u16 v0, v[2:3], off
	v_mov_b32_e32 v1, 0
	s_wait_loadcnt 0x0
	v_cvt_f32_f16_e32 v0, v0
	s_delay_alu instid0(VALU_DEP_1)
	v_cvt_u32_f32_e32 v0, v0
.LBB363_865:
	s_mov_b32 s28, 0
.LBB363_866:
	s_delay_alu instid0(SALU_CYCLE_1)
	s_and_not1_b32 vcc_lo, exec_lo, s28
	s_cbranch_vccnz .LBB363_886
; %bb.867:
	s_cmp_lt_i32 s0, 2
	s_cbranch_scc1 .LBB363_871
; %bb.868:
	s_cmp_lt_i32 s0, 3
	s_cbranch_scc1 .LBB363_872
; %bb.869:
	s_cmp_gt_i32 s0, 3
	s_cbranch_scc0 .LBB363_873
; %bb.870:
	s_wait_loadcnt 0x0
	global_load_b64 v[0:1], v[2:3], off
	s_mov_b32 s28, 0
	s_branch .LBB363_874
.LBB363_871:
	s_mov_b32 s28, -1
                                        ; implicit-def: $vgpr0_vgpr1
	s_branch .LBB363_880
.LBB363_872:
	s_mov_b32 s28, -1
                                        ; implicit-def: $vgpr0_vgpr1
	s_branch .LBB363_877
.LBB363_873:
	s_mov_b32 s28, -1
                                        ; implicit-def: $vgpr0_vgpr1
.LBB363_874:
	s_delay_alu instid0(SALU_CYCLE_1)
	s_and_not1_b32 vcc_lo, exec_lo, s28
	s_cbranch_vccnz .LBB363_876
; %bb.875:
	s_wait_loadcnt 0x0
	global_load_b32 v0, v[2:3], off
	s_wait_loadcnt 0x0
	v_ashrrev_i32_e32 v1, 31, v0
.LBB363_876:
	s_mov_b32 s28, 0
.LBB363_877:
	s_delay_alu instid0(SALU_CYCLE_1)
	s_and_not1_b32 vcc_lo, exec_lo, s28
	s_cbranch_vccnz .LBB363_879
; %bb.878:
	s_wait_loadcnt 0x0
	global_load_u16 v0, v[2:3], off
	s_wait_loadcnt 0x0
	v_bfe_i32 v0, v0, 0, 16
	s_delay_alu instid0(VALU_DEP_1)
	v_ashrrev_i32_e32 v1, 31, v0
.LBB363_879:
	s_mov_b32 s28, 0
.LBB363_880:
	s_delay_alu instid0(SALU_CYCLE_1)
	s_and_not1_b32 vcc_lo, exec_lo, s28
	s_cbranch_vccnz .LBB363_886
; %bb.881:
	s_cmp_gt_i32 s0, 0
	s_mov_b32 s0, 0
	s_cbranch_scc0 .LBB363_883
; %bb.882:
	s_wait_loadcnt 0x0
	global_load_i8 v0, v[2:3], off
	s_wait_loadcnt 0x0
	v_bfe_i32 v0, v0, 0, 16
	s_delay_alu instid0(VALU_DEP_1)
	v_ashrrev_i32_e32 v1, 31, v0
	s_branch .LBB363_884
.LBB363_883:
	s_mov_b32 s0, -1
                                        ; implicit-def: $vgpr0_vgpr1
.LBB363_884:
	s_delay_alu instid0(SALU_CYCLE_1)
	s_and_not1_b32 vcc_lo, exec_lo, s0
	s_cbranch_vccnz .LBB363_886
; %bb.885:
	s_wait_loadcnt 0x0
	global_load_u8 v0, v[2:3], off
	s_mov_b32 s0, 0
	s_delay_alu instid0(SALU_CYCLE_1)
	v_mov_b32_e32 v1, s0
	s_wait_loadcnt 0x0
	v_and_b32_e32 v0, 0xffff, v0
.LBB363_886:
	s_mov_b32 s29, -1
.LBB363_887:
	s_delay_alu instid0(SALU_CYCLE_1)
	s_and_not1_b32 vcc_lo, exec_lo, s29
	s_cbranch_vccnz .LBB363_895
; %bb.888:
	s_wait_xcnt 0x0
	v_mul_lo_u32 v2, v18, s10
	s_and_b32 s0, s1, 0xff
	s_delay_alu instid0(SALU_CYCLE_1) | instskip(NEXT) | instid1(VALU_DEP_1)
	s_cmp_lt_i32 s0, 11
	v_ashrrev_i32_e32 v3, 31, v2
	s_delay_alu instid0(VALU_DEP_1)
	v_add_nc_u64_e32 v[2:3], s[2:3], v[2:3]
	s_cbranch_scc1 .LBB363_896
; %bb.889:
	s_and_b32 s29, 0xffff, s0
	s_delay_alu instid0(SALU_CYCLE_1)
	s_cmp_gt_i32 s29, 25
	s_cbranch_scc0 .LBB363_897
; %bb.890:
	s_cmp_gt_i32 s29, 28
	s_cbranch_scc0 .LBB363_898
; %bb.891:
	s_cmp_gt_i32 s29, 43
	s_cbranch_scc0 .LBB363_899
; %bb.892:
	s_cmp_gt_i32 s29, 45
	s_cbranch_scc0 .LBB363_900
; %bb.893:
	s_cmp_eq_u32 s29, 46
	s_mov_b32 s31, 0
	s_cbranch_scc0 .LBB363_903
; %bb.894:
	global_load_b32 v4, v[2:3], off
	s_mov_b32 s30, -1
	s_mov_b32 s28, 0
	s_wait_loadcnt 0x0
	v_lshlrev_b32_e32 v4, 16, v4
	s_delay_alu instid0(VALU_DEP_1) | instskip(NEXT) | instid1(VALU_DEP_1)
	v_trunc_f32_e32 v4, v4
	v_mul_f32_e32 v5, 0x2f800000, v4
	s_delay_alu instid0(VALU_DEP_1) | instskip(NEXT) | instid1(VALU_DEP_1)
	v_floor_f32_e32 v5, v5
	v_fmamk_f32 v4, v5, 0xcf800000, v4
	v_cvt_u32_f32_e32 v5, v5
	s_delay_alu instid0(VALU_DEP_2)
	v_cvt_u32_f32_e32 v4, v4
	s_branch .LBB363_905
.LBB363_895:
	s_mov_b32 s30, 0
	s_mov_b32 s0, s23
	s_mov_b32 s28, s24
	s_branch .LBB363_1140
.LBB363_896:
	s_mov_b32 s29, -1
	s_mov_b32 s30, 0
	s_mov_b32 s28, s24
                                        ; implicit-def: $vgpr4_vgpr5
	s_branch .LBB363_966
.LBB363_897:
	s_mov_b32 s31, -1
	s_mov_b32 s30, 0
	s_mov_b32 s28, s24
                                        ; implicit-def: $vgpr4_vgpr5
	s_branch .LBB363_932
.LBB363_898:
	s_mov_b32 s31, -1
	s_mov_b32 s30, 0
	s_mov_b32 s28, s24
                                        ; implicit-def: $vgpr4_vgpr5
	s_branch .LBB363_915
.LBB363_899:
	s_mov_b32 s31, -1
	s_mov_b32 s30, 0
	s_mov_b32 s28, s24
                                        ; implicit-def: $vgpr4_vgpr5
	s_branch .LBB363_910
.LBB363_900:
	s_mov_b32 s31, -1
	s_mov_b32 s30, 0
	s_mov_b32 s28, s24
	s_branch .LBB363_904
.LBB363_901:
	s_and_not1_saveexec_b32 s30, s30
	s_cbranch_execz .LBB363_680
.LBB363_902:
	v_add_f32_e32 v2, 0x42800000, v3
	s_and_not1_b32 s29, s29, exec_lo
	s_delay_alu instid0(VALU_DEP_1) | instskip(NEXT) | instid1(VALU_DEP_1)
	v_and_b32_e32 v2, 0xff, v2
	v_cmp_ne_u32_e32 vcc_lo, 0, v2
	s_and_b32 s31, vcc_lo, exec_lo
	s_delay_alu instid0(SALU_CYCLE_1)
	s_or_b32 s29, s29, s31
	s_or_b32 exec_lo, exec_lo, s30
	v_mov_b32_e32 v4, 0
	s_and_saveexec_b32 s30, s29
	s_cbranch_execnz .LBB363_681
	s_branch .LBB363_682
.LBB363_903:
	s_mov_b32 s28, -1
	s_mov_b32 s30, 0
.LBB363_904:
                                        ; implicit-def: $vgpr4_vgpr5
.LBB363_905:
	s_and_b32 vcc_lo, exec_lo, s31
	s_cbranch_vccz .LBB363_909
; %bb.906:
	s_cmp_eq_u32 s29, 44
	s_cbranch_scc0 .LBB363_908
; %bb.907:
	global_load_u8 v4, v[2:3], off
	s_mov_b32 s28, 0
	s_mov_b32 s30, -1
	s_wait_loadcnt 0x0
	v_cmp_ne_u32_e32 vcc_lo, 0, v4
	v_lshlrev_b32_e32 v5, 23, v4
	s_delay_alu instid0(VALU_DEP_1) | instskip(NEXT) | instid1(VALU_DEP_1)
	v_trunc_f32_e32 v5, v5
	v_mul_f32_e32 v6, 0x2f800000, v5
	s_delay_alu instid0(VALU_DEP_1) | instskip(NEXT) | instid1(VALU_DEP_1)
	v_floor_f32_e32 v6, v6
	v_fmamk_f32 v5, v6, 0xcf800000, v5
	v_cvt_u32_f32_e32 v6, v6
	s_delay_alu instid0(VALU_DEP_2) | instskip(NEXT) | instid1(VALU_DEP_1)
	v_cvt_u32_f32_e32 v7, v5
	v_dual_cndmask_b32 v5, 0, v6 :: v_dual_cndmask_b32 v4, 0, v7
	s_branch .LBB363_909
.LBB363_908:
	s_mov_b32 s28, -1
                                        ; implicit-def: $vgpr4_vgpr5
.LBB363_909:
	s_mov_b32 s31, 0
.LBB363_910:
	s_delay_alu instid0(SALU_CYCLE_1)
	s_and_b32 vcc_lo, exec_lo, s31
	s_cbranch_vccz .LBB363_914
; %bb.911:
	s_cmp_eq_u32 s29, 29
	s_cbranch_scc0 .LBB363_913
; %bb.912:
	global_load_b64 v[4:5], v[2:3], off
	s_mov_b32 s30, -1
	s_mov_b32 s28, 0
	s_branch .LBB363_914
.LBB363_913:
	s_mov_b32 s28, -1
                                        ; implicit-def: $vgpr4_vgpr5
.LBB363_914:
	s_mov_b32 s31, 0
.LBB363_915:
	s_delay_alu instid0(SALU_CYCLE_1)
	s_and_b32 vcc_lo, exec_lo, s31
	s_cbranch_vccz .LBB363_931
; %bb.916:
	s_cmp_lt_i32 s29, 27
	s_cbranch_scc1 .LBB363_919
; %bb.917:
	s_cmp_gt_i32 s29, 27
	s_cbranch_scc0 .LBB363_920
; %bb.918:
	s_wait_loadcnt 0x0
	global_load_b32 v4, v[2:3], off
	v_mov_b32_e32 v5, 0
	s_mov_b32 s30, 0
	s_branch .LBB363_921
.LBB363_919:
	s_mov_b32 s30, -1
                                        ; implicit-def: $vgpr4_vgpr5
	s_branch .LBB363_924
.LBB363_920:
	s_mov_b32 s30, -1
                                        ; implicit-def: $vgpr4_vgpr5
.LBB363_921:
	s_delay_alu instid0(SALU_CYCLE_1)
	s_and_not1_b32 vcc_lo, exec_lo, s30
	s_cbranch_vccnz .LBB363_923
; %bb.922:
	s_wait_loadcnt 0x0
	global_load_u16 v4, v[2:3], off
	s_mov_b32 s30, 0
	s_delay_alu instid0(SALU_CYCLE_1)
	v_mov_b32_e32 v5, s30
	s_wait_loadcnt 0x0
	v_and_b32_e32 v4, 0xffff, v4
.LBB363_923:
	s_mov_b32 s30, 0
.LBB363_924:
	s_delay_alu instid0(SALU_CYCLE_1)
	s_and_not1_b32 vcc_lo, exec_lo, s30
	s_cbranch_vccnz .LBB363_930
; %bb.925:
	global_load_u8 v6, v[2:3], off
	s_mov_b32 s31, 0
	s_mov_b32 s30, exec_lo
	s_wait_loadcnt 0x0
	v_cmpx_lt_i16_e32 0x7f, v6
	s_xor_b32 s30, exec_lo, s30
	s_cbranch_execz .LBB363_942
; %bb.926:
	v_cmp_ne_u16_e32 vcc_lo, 0x80, v6
	s_and_b32 s31, vcc_lo, exec_lo
	s_and_not1_saveexec_b32 s30, s30
	s_cbranch_execnz .LBB363_943
.LBB363_927:
	s_or_b32 exec_lo, exec_lo, s30
	v_mov_b64_e32 v[4:5], 0
	s_and_saveexec_b32 s30, s31
	s_cbranch_execz .LBB363_929
.LBB363_928:
	v_and_b32_e32 v4, 0xffff, v6
	s_delay_alu instid0(VALU_DEP_1) | instskip(SKIP_1) | instid1(VALU_DEP_2)
	v_and_b32_e32 v5, 7, v4
	v_bfe_u32 v9, v4, 3, 4
	v_clz_i32_u32_e32 v7, v5
	s_delay_alu instid0(VALU_DEP_2) | instskip(NEXT) | instid1(VALU_DEP_2)
	v_cmp_eq_u32_e32 vcc_lo, 0, v9
	v_min_u32_e32 v7, 32, v7
	s_delay_alu instid0(VALU_DEP_1) | instskip(NEXT) | instid1(VALU_DEP_1)
	v_subrev_nc_u32_e32 v8, 28, v7
	v_dual_lshlrev_b32 v4, v8, v4 :: v_dual_sub_nc_u32 v7, 29, v7
	s_delay_alu instid0(VALU_DEP_1) | instskip(NEXT) | instid1(VALU_DEP_2)
	v_dual_lshlrev_b32 v6, 24, v6 :: v_dual_bitop2_b32 v4, 7, v4 bitop3:0x40
	v_cndmask_b32_e32 v7, v9, v7, vcc_lo
	s_delay_alu instid0(VALU_DEP_2) | instskip(NEXT) | instid1(VALU_DEP_3)
	v_cndmask_b32_e32 v4, v5, v4, vcc_lo
	v_and_b32_e32 v5, 0x80000000, v6
	s_delay_alu instid0(VALU_DEP_3) | instskip(NEXT) | instid1(VALU_DEP_3)
	v_lshl_add_u32 v6, v7, 23, 0x3b800000
	v_lshlrev_b32_e32 v4, 20, v4
	s_delay_alu instid0(VALU_DEP_1) | instskip(NEXT) | instid1(VALU_DEP_1)
	v_or3_b32 v4, v5, v6, v4
	v_trunc_f32_e32 v4, v4
	s_delay_alu instid0(VALU_DEP_1) | instskip(NEXT) | instid1(VALU_DEP_1)
	v_mul_f32_e32 v5, 0x2f800000, v4
	v_floor_f32_e32 v5, v5
	s_delay_alu instid0(VALU_DEP_1) | instskip(SKIP_1) | instid1(VALU_DEP_2)
	v_fmamk_f32 v4, v5, 0xcf800000, v4
	v_cvt_u32_f32_e32 v5, v5
	v_cvt_u32_f32_e32 v4, v4
.LBB363_929:
	s_or_b32 exec_lo, exec_lo, s30
.LBB363_930:
	s_mov_b32 s30, -1
.LBB363_931:
	s_mov_b32 s31, 0
.LBB363_932:
	s_delay_alu instid0(SALU_CYCLE_1)
	s_and_b32 vcc_lo, exec_lo, s31
	s_cbranch_vccz .LBB363_965
; %bb.933:
	s_cmp_gt_i32 s29, 22
	s_cbranch_scc0 .LBB363_941
; %bb.934:
	s_cmp_lt_i32 s29, 24
	s_cbranch_scc1 .LBB363_944
; %bb.935:
	s_cmp_gt_i32 s29, 24
	s_cbranch_scc0 .LBB363_945
; %bb.936:
	global_load_u8 v6, v[2:3], off
	s_mov_b32 s31, 0
	s_mov_b32 s30, exec_lo
	s_wait_loadcnt 0x0
	v_cmpx_lt_i16_e32 0x7f, v6
	s_xor_b32 s30, exec_lo, s30
	s_cbranch_execz .LBB363_957
; %bb.937:
	v_cmp_ne_u16_e32 vcc_lo, 0x80, v6
	s_and_b32 s31, vcc_lo, exec_lo
	s_and_not1_saveexec_b32 s30, s30
	s_cbranch_execnz .LBB363_958
.LBB363_938:
	s_or_b32 exec_lo, exec_lo, s30
	v_mov_b64_e32 v[4:5], 0
	s_and_saveexec_b32 s30, s31
	s_cbranch_execz .LBB363_940
.LBB363_939:
	v_and_b32_e32 v4, 0xffff, v6
	s_delay_alu instid0(VALU_DEP_1) | instskip(SKIP_1) | instid1(VALU_DEP_2)
	v_and_b32_e32 v5, 3, v4
	v_bfe_u32 v9, v4, 2, 5
	v_clz_i32_u32_e32 v7, v5
	s_delay_alu instid0(VALU_DEP_2) | instskip(NEXT) | instid1(VALU_DEP_2)
	v_cmp_eq_u32_e32 vcc_lo, 0, v9
	v_min_u32_e32 v7, 32, v7
	s_delay_alu instid0(VALU_DEP_1) | instskip(NEXT) | instid1(VALU_DEP_1)
	v_subrev_nc_u32_e32 v8, 29, v7
	v_dual_lshlrev_b32 v4, v8, v4 :: v_dual_sub_nc_u32 v7, 30, v7
	s_delay_alu instid0(VALU_DEP_1) | instskip(NEXT) | instid1(VALU_DEP_2)
	v_dual_lshlrev_b32 v6, 24, v6 :: v_dual_bitop2_b32 v4, 3, v4 bitop3:0x40
	v_cndmask_b32_e32 v7, v9, v7, vcc_lo
	s_delay_alu instid0(VALU_DEP_2) | instskip(NEXT) | instid1(VALU_DEP_3)
	v_cndmask_b32_e32 v4, v5, v4, vcc_lo
	v_and_b32_e32 v5, 0x80000000, v6
	s_delay_alu instid0(VALU_DEP_3) | instskip(NEXT) | instid1(VALU_DEP_3)
	v_lshl_add_u32 v6, v7, 23, 0x37800000
	v_lshlrev_b32_e32 v4, 21, v4
	s_delay_alu instid0(VALU_DEP_1) | instskip(NEXT) | instid1(VALU_DEP_1)
	v_or3_b32 v4, v5, v6, v4
	v_trunc_f32_e32 v4, v4
	s_delay_alu instid0(VALU_DEP_1) | instskip(NEXT) | instid1(VALU_DEP_1)
	v_mul_f32_e32 v5, 0x2f800000, v4
	v_floor_f32_e32 v5, v5
	s_delay_alu instid0(VALU_DEP_1) | instskip(SKIP_1) | instid1(VALU_DEP_2)
	v_fmamk_f32 v4, v5, 0xcf800000, v4
	v_cvt_u32_f32_e32 v5, v5
	v_cvt_u32_f32_e32 v4, v4
.LBB363_940:
	s_or_b32 exec_lo, exec_lo, s30
	s_mov_b32 s30, 0
	s_branch .LBB363_946
.LBB363_941:
	s_mov_b32 s31, -1
                                        ; implicit-def: $vgpr4_vgpr5
	s_branch .LBB363_952
.LBB363_942:
	s_and_not1_saveexec_b32 s30, s30
	s_cbranch_execz .LBB363_927
.LBB363_943:
	v_cmp_ne_u16_e32 vcc_lo, 0, v6
	s_and_not1_b32 s31, s31, exec_lo
	s_and_b32 s33, vcc_lo, exec_lo
	s_delay_alu instid0(SALU_CYCLE_1)
	s_or_b32 s31, s31, s33
	s_or_b32 exec_lo, exec_lo, s30
	v_mov_b64_e32 v[4:5], 0
	s_and_saveexec_b32 s30, s31
	s_cbranch_execnz .LBB363_928
	s_branch .LBB363_929
.LBB363_944:
	s_mov_b32 s30, -1
                                        ; implicit-def: $vgpr4_vgpr5
	s_branch .LBB363_949
.LBB363_945:
	s_mov_b32 s30, -1
                                        ; implicit-def: $vgpr4_vgpr5
.LBB363_946:
	s_delay_alu instid0(SALU_CYCLE_1)
	s_and_b32 vcc_lo, exec_lo, s30
	s_cbranch_vccz .LBB363_948
; %bb.947:
	s_wait_loadcnt 0x0
	global_load_u8 v4, v[2:3], off
	s_wait_loadcnt 0x0
	v_lshlrev_b32_e32 v4, 24, v4
	s_delay_alu instid0(VALU_DEP_1) | instskip(NEXT) | instid1(VALU_DEP_1)
	v_and_b32_e32 v5, 0x7f000000, v4
	v_clz_i32_u32_e32 v6, v5
	v_cmp_ne_u32_e32 vcc_lo, 0, v5
	v_add_nc_u32_e32 v8, 0x1000000, v5
	s_delay_alu instid0(VALU_DEP_3) | instskip(NEXT) | instid1(VALU_DEP_1)
	v_min_u32_e32 v6, 32, v6
	v_sub_nc_u32_e64 v6, v6, 4 clamp
	s_delay_alu instid0(VALU_DEP_1) | instskip(NEXT) | instid1(VALU_DEP_1)
	v_dual_lshlrev_b32 v7, v6, v5 :: v_dual_lshlrev_b32 v6, 23, v6
	v_lshrrev_b32_e32 v7, 4, v7
	s_delay_alu instid0(VALU_DEP_1) | instskip(NEXT) | instid1(VALU_DEP_1)
	v_dual_sub_nc_u32 v6, v7, v6 :: v_dual_ashrrev_i32 v7, 8, v8
	v_add_nc_u32_e32 v6, 0x3c000000, v6
	s_delay_alu instid0(VALU_DEP_1) | instskip(NEXT) | instid1(VALU_DEP_1)
	v_and_or_b32 v6, 0x7f800000, v7, v6
	v_cndmask_b32_e32 v5, 0, v6, vcc_lo
	s_delay_alu instid0(VALU_DEP_1) | instskip(NEXT) | instid1(VALU_DEP_1)
	v_and_or_b32 v4, 0x80000000, v4, v5
	v_trunc_f32_e32 v4, v4
	s_delay_alu instid0(VALU_DEP_1) | instskip(NEXT) | instid1(VALU_DEP_1)
	v_mul_f32_e32 v5, 0x2f800000, v4
	v_floor_f32_e32 v5, v5
	s_delay_alu instid0(VALU_DEP_1) | instskip(SKIP_1) | instid1(VALU_DEP_2)
	v_fmamk_f32 v4, v5, 0xcf800000, v4
	v_cvt_u32_f32_e32 v5, v5
	v_cvt_u32_f32_e32 v4, v4
.LBB363_948:
	s_mov_b32 s30, 0
.LBB363_949:
	s_delay_alu instid0(SALU_CYCLE_1)
	s_and_not1_b32 vcc_lo, exec_lo, s30
	s_cbranch_vccnz .LBB363_951
; %bb.950:
	s_wait_loadcnt 0x0
	global_load_u8 v4, v[2:3], off
	s_wait_loadcnt 0x0
	v_lshlrev_b32_e32 v5, 25, v4
	v_lshlrev_b16 v4, 8, v4
	s_delay_alu instid0(VALU_DEP_1) | instskip(SKIP_1) | instid1(VALU_DEP_2)
	v_and_or_b32 v7, 0x7f00, v4, 0.5
	v_bfe_i32 v4, v4, 0, 16
	v_dual_add_f32 v7, -0.5, v7 :: v_dual_lshrrev_b32 v6, 4, v5
	v_cmp_gt_u32_e32 vcc_lo, 0x8000000, v5
	s_delay_alu instid0(VALU_DEP_2) | instskip(NEXT) | instid1(VALU_DEP_1)
	v_or_b32_e32 v6, 0x70000000, v6
	v_mul_f32_e32 v6, 0x7800000, v6
	s_delay_alu instid0(VALU_DEP_1) | instskip(NEXT) | instid1(VALU_DEP_1)
	v_cndmask_b32_e32 v5, v6, v7, vcc_lo
	v_and_or_b32 v4, 0x80000000, v4, v5
	s_delay_alu instid0(VALU_DEP_1) | instskip(NEXT) | instid1(VALU_DEP_1)
	v_trunc_f32_e32 v4, v4
	v_mul_f32_e32 v5, 0x2f800000, v4
	s_delay_alu instid0(VALU_DEP_1) | instskip(NEXT) | instid1(VALU_DEP_1)
	v_floor_f32_e32 v5, v5
	v_fmamk_f32 v4, v5, 0xcf800000, v4
	v_cvt_u32_f32_e32 v5, v5
	s_delay_alu instid0(VALU_DEP_2)
	v_cvt_u32_f32_e32 v4, v4
.LBB363_951:
	s_mov_b32 s31, 0
	s_mov_b32 s30, -1
.LBB363_952:
	s_and_not1_b32 vcc_lo, exec_lo, s31
	s_cbranch_vccnz .LBB363_965
; %bb.953:
	s_cmp_gt_i32 s29, 14
	s_cbranch_scc0 .LBB363_956
; %bb.954:
	s_cmp_eq_u32 s29, 15
	s_cbranch_scc0 .LBB363_959
; %bb.955:
	s_wait_loadcnt 0x0
	global_load_u16 v4, v[2:3], off
	s_mov_b32 s30, -1
	s_mov_b32 s28, 0
	s_wait_loadcnt 0x0
	v_lshlrev_b32_e32 v4, 16, v4
	s_delay_alu instid0(VALU_DEP_1) | instskip(NEXT) | instid1(VALU_DEP_1)
	v_trunc_f32_e32 v4, v4
	v_mul_f32_e32 v5, 0x2f800000, v4
	s_delay_alu instid0(VALU_DEP_1) | instskip(NEXT) | instid1(VALU_DEP_1)
	v_floor_f32_e32 v5, v5
	v_fmamk_f32 v4, v5, 0xcf800000, v4
	v_cvt_u32_f32_e32 v5, v5
	s_delay_alu instid0(VALU_DEP_2)
	v_cvt_u32_f32_e32 v4, v4
	s_branch .LBB363_960
.LBB363_956:
	s_mov_b32 s31, -1
                                        ; implicit-def: $vgpr4_vgpr5
	s_branch .LBB363_961
.LBB363_957:
	s_and_not1_saveexec_b32 s30, s30
	s_cbranch_execz .LBB363_938
.LBB363_958:
	v_cmp_ne_u16_e32 vcc_lo, 0, v6
	s_and_not1_b32 s31, s31, exec_lo
	s_and_b32 s33, vcc_lo, exec_lo
	s_delay_alu instid0(SALU_CYCLE_1)
	s_or_b32 s31, s31, s33
	s_or_b32 exec_lo, exec_lo, s30
	v_mov_b64_e32 v[4:5], 0
	s_and_saveexec_b32 s30, s31
	s_cbranch_execnz .LBB363_939
	s_branch .LBB363_940
.LBB363_959:
	s_mov_b32 s28, -1
                                        ; implicit-def: $vgpr4_vgpr5
.LBB363_960:
	s_mov_b32 s31, 0
.LBB363_961:
	s_delay_alu instid0(SALU_CYCLE_1)
	s_and_b32 vcc_lo, exec_lo, s31
	s_cbranch_vccz .LBB363_965
; %bb.962:
	s_cmp_eq_u32 s29, 11
	s_cbranch_scc0 .LBB363_964
; %bb.963:
	s_wait_loadcnt 0x0
	global_load_u8 v4, v[2:3], off
	s_mov_b32 s28, 0
	s_mov_b32 s30, -1
	v_mov_b32_e32 v5, s28
	s_wait_loadcnt 0x0
	v_cmp_ne_u16_e32 vcc_lo, 0, v4
	v_cndmask_b32_e64 v4, 0, 1, vcc_lo
	s_branch .LBB363_965
.LBB363_964:
	s_mov_b32 s28, -1
                                        ; implicit-def: $vgpr4_vgpr5
.LBB363_965:
	s_mov_b32 s29, 0
.LBB363_966:
	s_delay_alu instid0(SALU_CYCLE_1)
	s_and_b32 vcc_lo, exec_lo, s29
	s_cbranch_vccz .LBB363_1015
; %bb.967:
	s_and_b32 s0, 0xffff, s0
	s_delay_alu instid0(SALU_CYCLE_1)
	s_cmp_lt_i32 s0, 5
	s_cbranch_scc1 .LBB363_972
; %bb.968:
	s_cmp_lt_i32 s0, 8
	s_cbranch_scc1 .LBB363_973
; %bb.969:
	;; [unrolled: 3-line block ×3, first 2 shown]
	s_cmp_gt_i32 s0, 9
	s_cbranch_scc0 .LBB363_975
; %bb.971:
	s_wait_loadcnt 0x0
	global_load_b64 v[4:5], v[2:3], off
	s_mov_b32 s29, 0
	s_wait_loadcnt 0x0
	v_trunc_f64_e32 v[4:5], v[4:5]
	s_delay_alu instid0(VALU_DEP_1) | instskip(NEXT) | instid1(VALU_DEP_1)
	v_ldexp_f64 v[6:7], v[4:5], 0xffffffe0
	v_floor_f64_e32 v[6:7], v[6:7]
	s_delay_alu instid0(VALU_DEP_1) | instskip(SKIP_1) | instid1(VALU_DEP_2)
	v_fmamk_f64 v[8:9], v[6:7], 0xc1f00000, v[4:5]
	v_cvt_u32_f64_e32 v5, v[6:7]
	v_cvt_u32_f64_e32 v4, v[8:9]
	s_branch .LBB363_976
.LBB363_972:
	s_mov_b32 s29, -1
                                        ; implicit-def: $vgpr4_vgpr5
	s_branch .LBB363_994
.LBB363_973:
	s_mov_b32 s29, -1
                                        ; implicit-def: $vgpr4_vgpr5
	s_branch .LBB363_982
.LBB363_974:
	s_mov_b32 s29, -1
                                        ; implicit-def: $vgpr4_vgpr5
	s_branch .LBB363_979
.LBB363_975:
	s_mov_b32 s29, -1
                                        ; implicit-def: $vgpr4_vgpr5
.LBB363_976:
	s_delay_alu instid0(SALU_CYCLE_1)
	s_and_not1_b32 vcc_lo, exec_lo, s29
	s_cbranch_vccnz .LBB363_978
; %bb.977:
	s_wait_loadcnt 0x0
	global_load_b32 v4, v[2:3], off
	s_wait_loadcnt 0x0
	v_trunc_f32_e32 v4, v4
	s_delay_alu instid0(VALU_DEP_1) | instskip(NEXT) | instid1(VALU_DEP_1)
	v_mul_f32_e32 v5, 0x2f800000, v4
	v_floor_f32_e32 v5, v5
	s_delay_alu instid0(VALU_DEP_1) | instskip(SKIP_1) | instid1(VALU_DEP_2)
	v_fmamk_f32 v4, v5, 0xcf800000, v4
	v_cvt_u32_f32_e32 v5, v5
	v_cvt_u32_f32_e32 v4, v4
.LBB363_978:
	s_mov_b32 s29, 0
.LBB363_979:
	s_delay_alu instid0(SALU_CYCLE_1)
	s_and_not1_b32 vcc_lo, exec_lo, s29
	s_cbranch_vccnz .LBB363_981
; %bb.980:
	s_wait_loadcnt 0x0
	global_load_b32 v4, v[2:3], off
	v_mov_b32_e32 v5, 0
	s_wait_loadcnt 0x0
	v_cvt_f32_f16_e32 v4, v4
	s_delay_alu instid0(VALU_DEP_1)
	v_cvt_u32_f32_e32 v4, v4
.LBB363_981:
	s_mov_b32 s29, 0
.LBB363_982:
	s_delay_alu instid0(SALU_CYCLE_1)
	s_and_not1_b32 vcc_lo, exec_lo, s29
	s_cbranch_vccnz .LBB363_993
; %bb.983:
	s_cmp_lt_i32 s0, 6
	s_cbranch_scc1 .LBB363_986
; %bb.984:
	s_cmp_gt_i32 s0, 6
	s_cbranch_scc0 .LBB363_987
; %bb.985:
	s_wait_loadcnt 0x0
	global_load_b64 v[4:5], v[2:3], off
	s_mov_b32 s29, 0
	s_wait_loadcnt 0x0
	v_trunc_f64_e32 v[4:5], v[4:5]
	s_delay_alu instid0(VALU_DEP_1) | instskip(NEXT) | instid1(VALU_DEP_1)
	v_ldexp_f64 v[6:7], v[4:5], 0xffffffe0
	v_floor_f64_e32 v[6:7], v[6:7]
	s_delay_alu instid0(VALU_DEP_1) | instskip(SKIP_1) | instid1(VALU_DEP_2)
	v_fmamk_f64 v[8:9], v[6:7], 0xc1f00000, v[4:5]
	v_cvt_u32_f64_e32 v5, v[6:7]
	v_cvt_u32_f64_e32 v4, v[8:9]
	s_branch .LBB363_988
.LBB363_986:
	s_mov_b32 s29, -1
                                        ; implicit-def: $vgpr4_vgpr5
	s_branch .LBB363_991
.LBB363_987:
	s_mov_b32 s29, -1
                                        ; implicit-def: $vgpr4_vgpr5
.LBB363_988:
	s_delay_alu instid0(SALU_CYCLE_1)
	s_and_not1_b32 vcc_lo, exec_lo, s29
	s_cbranch_vccnz .LBB363_990
; %bb.989:
	s_wait_loadcnt 0x0
	global_load_b32 v4, v[2:3], off
	s_wait_loadcnt 0x0
	v_trunc_f32_e32 v4, v4
	s_delay_alu instid0(VALU_DEP_1) | instskip(NEXT) | instid1(VALU_DEP_1)
	v_mul_f32_e32 v5, 0x2f800000, v4
	v_floor_f32_e32 v5, v5
	s_delay_alu instid0(VALU_DEP_1) | instskip(SKIP_1) | instid1(VALU_DEP_2)
	v_fmamk_f32 v4, v5, 0xcf800000, v4
	v_cvt_u32_f32_e32 v5, v5
	v_cvt_u32_f32_e32 v4, v4
.LBB363_990:
	s_mov_b32 s29, 0
.LBB363_991:
	s_delay_alu instid0(SALU_CYCLE_1)
	s_and_not1_b32 vcc_lo, exec_lo, s29
	s_cbranch_vccnz .LBB363_993
; %bb.992:
	s_wait_loadcnt 0x0
	global_load_u16 v4, v[2:3], off
	v_mov_b32_e32 v5, 0
	s_wait_loadcnt 0x0
	v_cvt_f32_f16_e32 v4, v4
	s_delay_alu instid0(VALU_DEP_1)
	v_cvt_u32_f32_e32 v4, v4
.LBB363_993:
	s_mov_b32 s29, 0
.LBB363_994:
	s_delay_alu instid0(SALU_CYCLE_1)
	s_and_not1_b32 vcc_lo, exec_lo, s29
	s_cbranch_vccnz .LBB363_1014
; %bb.995:
	s_cmp_lt_i32 s0, 2
	s_cbranch_scc1 .LBB363_999
; %bb.996:
	s_cmp_lt_i32 s0, 3
	s_cbranch_scc1 .LBB363_1000
; %bb.997:
	s_cmp_gt_i32 s0, 3
	s_cbranch_scc0 .LBB363_1001
; %bb.998:
	s_wait_loadcnt 0x0
	global_load_b64 v[4:5], v[2:3], off
	s_mov_b32 s29, 0
	s_branch .LBB363_1002
.LBB363_999:
	s_mov_b32 s29, -1
                                        ; implicit-def: $vgpr4_vgpr5
	s_branch .LBB363_1008
.LBB363_1000:
	s_mov_b32 s29, -1
                                        ; implicit-def: $vgpr4_vgpr5
	s_branch .LBB363_1005
.LBB363_1001:
	s_mov_b32 s29, -1
                                        ; implicit-def: $vgpr4_vgpr5
.LBB363_1002:
	s_delay_alu instid0(SALU_CYCLE_1)
	s_and_not1_b32 vcc_lo, exec_lo, s29
	s_cbranch_vccnz .LBB363_1004
; %bb.1003:
	s_wait_loadcnt 0x0
	global_load_b32 v4, v[2:3], off
	s_wait_loadcnt 0x0
	v_ashrrev_i32_e32 v5, 31, v4
.LBB363_1004:
	s_mov_b32 s29, 0
.LBB363_1005:
	s_delay_alu instid0(SALU_CYCLE_1)
	s_and_not1_b32 vcc_lo, exec_lo, s29
	s_cbranch_vccnz .LBB363_1007
; %bb.1006:
	s_wait_loadcnt 0x0
	global_load_u16 v4, v[2:3], off
	s_wait_loadcnt 0x0
	v_bfe_i32 v4, v4, 0, 16
	s_delay_alu instid0(VALU_DEP_1)
	v_ashrrev_i32_e32 v5, 31, v4
.LBB363_1007:
	s_mov_b32 s29, 0
.LBB363_1008:
	s_delay_alu instid0(SALU_CYCLE_1)
	s_and_not1_b32 vcc_lo, exec_lo, s29
	s_cbranch_vccnz .LBB363_1014
; %bb.1009:
	s_cmp_gt_i32 s0, 0
	s_mov_b32 s0, 0
	s_cbranch_scc0 .LBB363_1011
; %bb.1010:
	s_wait_loadcnt 0x0
	global_load_i8 v4, v[2:3], off
	s_wait_loadcnt 0x0
	v_bfe_i32 v4, v4, 0, 16
	s_delay_alu instid0(VALU_DEP_1)
	v_ashrrev_i32_e32 v5, 31, v4
	s_branch .LBB363_1012
.LBB363_1011:
	s_mov_b32 s0, -1
                                        ; implicit-def: $vgpr4_vgpr5
.LBB363_1012:
	s_delay_alu instid0(SALU_CYCLE_1)
	s_and_not1_b32 vcc_lo, exec_lo, s0
	s_cbranch_vccnz .LBB363_1014
; %bb.1013:
	global_load_u8 v2, v[2:3], off
	s_mov_b32 s0, 0
	s_wait_loadcnt 0x1
	v_mov_b32_e32 v5, s0
	s_wait_loadcnt 0x0
	v_and_b32_e32 v4, 0xffff, v2
.LBB363_1014:
	s_mov_b32 s30, -1
.LBB363_1015:
	s_delay_alu instid0(SALU_CYCLE_1)
	s_and_not1_b32 vcc_lo, exec_lo, s30
	s_cbranch_vccnz .LBB363_1023
; %bb.1016:
	s_wait_xcnt 0x0
	v_mul_lo_u32 v2, v18, s8
	s_wait_loadcnt 0x0
	s_delay_alu instid0(VALU_DEP_2) | instskip(SKIP_3) | instid1(VALU_DEP_2)
	v_cmp_ne_u64_e32 vcc_lo, v[0:1], v[4:5]
	s_and_b32 s30, s12, 0xff
	s_xor_b32 s29, s16, vcc_lo
	s_cmp_lt_i32 s30, 11
	v_ashrrev_i32_e32 v3, 31, v2
	s_delay_alu instid0(VALU_DEP_1)
	v_add_nc_u64_e32 v[0:1], s[4:5], v[2:3]
	s_cbranch_scc1 .LBB363_1024
; %bb.1017:
	s_and_b32 s31, 0xffff, s30
	s_delay_alu instid0(SALU_CYCLE_1)
	s_cmp_gt_i32 s31, 25
	s_cbranch_scc0 .LBB363_1025
; %bb.1018:
	s_cmp_gt_i32 s31, 28
	s_cbranch_scc0 .LBB363_1026
; %bb.1019:
	;; [unrolled: 3-line block ×4, first 2 shown]
	s_mov_b32 s34, 0
	s_mov_b32 s0, -1
	s_cmp_eq_u32 s31, 46
	s_mov_b32 s33, 0
	s_cbranch_scc0 .LBB363_1029
; %bb.1022:
	v_cndmask_b32_e64 v2, 0, 1.0, s29
	s_mov_b32 s33, -1
	s_mov_b32 s0, 0
	s_delay_alu instid0(VALU_DEP_1) | instskip(NEXT) | instid1(VALU_DEP_1)
	v_bfe_u32 v3, v2, 16, 1
	v_add3_u32 v2, v2, v3, 0x7fff
	s_delay_alu instid0(VALU_DEP_1)
	v_lshrrev_b32_e32 v2, 16, v2
	global_store_b32 v[0:1], v2, off
	s_branch .LBB363_1029
.LBB363_1023:
	s_mov_b32 s30, 0
	s_mov_b32 s0, s23
	s_branch .LBB363_1140
.LBB363_1024:
	s_mov_b32 s31, -1
	s_mov_b32 s33, 0
	s_mov_b32 s0, s23
	s_branch .LBB363_1098
.LBB363_1025:
	s_mov_b32 s33, 0
	s_mov_b32 s0, s23
	s_branch .LBB363_1056
.LBB363_1026:
	s_mov_b32 s33, 0
	s_mov_b32 s0, s23
	s_branch .LBB363_1039
.LBB363_1027:
	s_mov_b32 s33, 0
	s_mov_b32 s0, s23
	s_branch .LBB363_1035
.LBB363_1028:
	s_mov_b32 s33, 0
	s_mov_b32 s0, s23
.LBB363_1029:
	s_and_b32 vcc_lo, exec_lo, s34
	s_cbranch_vccz .LBB363_1034
; %bb.1030:
	s_cmp_eq_u32 s31, 44
	s_mov_b32 s0, -1
	s_cbranch_scc0 .LBB363_1034
; %bb.1031:
	v_cndmask_b32_e64 v4, 0, 1.0, s29
	s_mov_b32 s33, exec_lo
	s_wait_xcnt 0x0
	s_delay_alu instid0(VALU_DEP_1) | instskip(NEXT) | instid1(VALU_DEP_1)
	v_dual_mov_b32 v3, 0xff :: v_dual_lshrrev_b32 v2, 23, v4
	v_cmpx_ne_u32_e32 0xff, v2
; %bb.1032:
	v_and_b32_e32 v3, 0x400000, v4
	v_and_or_b32 v4, 0x3fffff, v4, v2
	s_delay_alu instid0(VALU_DEP_2) | instskip(NEXT) | instid1(VALU_DEP_2)
	v_cmp_ne_u32_e32 vcc_lo, 0, v3
	v_cmp_ne_u32_e64 s0, 0, v4
	s_and_b32 s0, vcc_lo, s0
	s_delay_alu instid0(SALU_CYCLE_1) | instskip(NEXT) | instid1(VALU_DEP_1)
	v_cndmask_b32_e64 v3, 0, 1, s0
	v_add_nc_u32_e32 v3, v2, v3
; %bb.1033:
	s_or_b32 exec_lo, exec_lo, s33
	s_mov_b32 s33, -1
	s_mov_b32 s0, 0
	global_store_b8 v[0:1], v3, off
.LBB363_1034:
	s_mov_b32 s34, 0
.LBB363_1035:
	s_delay_alu instid0(SALU_CYCLE_1)
	s_and_b32 vcc_lo, exec_lo, s34
	s_cbranch_vccz .LBB363_1038
; %bb.1036:
	s_cmp_eq_u32 s31, 29
	s_mov_b32 s0, -1
	s_cbranch_scc0 .LBB363_1038
; %bb.1037:
	s_mov_b32 s0, 0
	s_wait_xcnt 0x0
	v_cndmask_b32_e64 v2, 0, 1, s29
	v_mov_b32_e32 v3, s0
	s_mov_b32 s33, -1
	s_mov_b32 s34, 0
	global_store_b64 v[0:1], v[2:3], off
	s_branch .LBB363_1039
.LBB363_1038:
	s_mov_b32 s34, 0
.LBB363_1039:
	s_delay_alu instid0(SALU_CYCLE_1)
	s_and_b32 vcc_lo, exec_lo, s34
	s_cbranch_vccz .LBB363_1055
; %bb.1040:
	s_cmp_lt_i32 s31, 27
	s_mov_b32 s33, -1
	s_cbranch_scc1 .LBB363_1046
; %bb.1041:
	s_cmp_gt_i32 s31, 27
	s_cbranch_scc0 .LBB363_1043
; %bb.1042:
	s_wait_xcnt 0x0
	v_cndmask_b32_e64 v2, 0, 1, s29
	s_mov_b32 s33, 0
	global_store_b32 v[0:1], v2, off
.LBB363_1043:
	s_and_not1_b32 vcc_lo, exec_lo, s33
	s_cbranch_vccnz .LBB363_1045
; %bb.1044:
	s_wait_xcnt 0x0
	v_cndmask_b32_e64 v2, 0, 1, s29
	global_store_b16 v[0:1], v2, off
.LBB363_1045:
	s_mov_b32 s33, 0
.LBB363_1046:
	s_delay_alu instid0(SALU_CYCLE_1)
	s_and_not1_b32 vcc_lo, exec_lo, s33
	s_cbranch_vccnz .LBB363_1054
; %bb.1047:
	s_wait_xcnt 0x0
	v_cndmask_b32_e64 v3, 0, 1.0, s29
	v_mov_b32_e32 v4, 0x80
	s_mov_b32 s33, exec_lo
	s_delay_alu instid0(VALU_DEP_2)
	v_cmpx_gt_u32_e32 0x43800000, v3
	s_cbranch_execz .LBB363_1053
; %bb.1048:
	s_mov_b32 s34, 0
	s_mov_b32 s35, exec_lo
                                        ; implicit-def: $vgpr2
	v_cmpx_lt_u32_e32 0x3bffffff, v3
	s_xor_b32 s35, exec_lo, s35
	s_cbranch_execz .LBB363_1156
; %bb.1049:
	v_bfe_u32 v2, v3, 20, 1
	s_mov_b32 s34, exec_lo
	s_delay_alu instid0(VALU_DEP_1) | instskip(NEXT) | instid1(VALU_DEP_1)
	v_add3_u32 v2, v3, v2, 0x487ffff
                                        ; implicit-def: $vgpr3
	v_lshrrev_b32_e32 v2, 20, v2
	s_and_not1_saveexec_b32 s35, s35
	s_cbranch_execnz .LBB363_1157
.LBB363_1050:
	s_or_b32 exec_lo, exec_lo, s35
	v_mov_b32_e32 v4, 0
	s_and_saveexec_b32 s35, s34
.LBB363_1051:
	v_mov_b32_e32 v4, v2
.LBB363_1052:
	s_or_b32 exec_lo, exec_lo, s35
.LBB363_1053:
	s_delay_alu instid0(SALU_CYCLE_1)
	s_or_b32 exec_lo, exec_lo, s33
	global_store_b8 v[0:1], v4, off
.LBB363_1054:
	s_mov_b32 s33, -1
.LBB363_1055:
	s_mov_b32 s34, 0
.LBB363_1056:
	s_delay_alu instid0(SALU_CYCLE_1)
	s_and_b32 vcc_lo, exec_lo, s34
	s_cbranch_vccz .LBB363_1097
; %bb.1057:
	s_cmp_gt_i32 s31, 22
	s_mov_b32 s34, -1
	s_cbranch_scc0 .LBB363_1089
; %bb.1058:
	s_cmp_lt_i32 s31, 24
	s_mov_b32 s33, -1
	s_cbranch_scc1 .LBB363_1078
; %bb.1059:
	s_cmp_gt_i32 s31, 24
	s_cbranch_scc0 .LBB363_1067
; %bb.1060:
	s_wait_xcnt 0x0
	v_cndmask_b32_e64 v3, 0, 1.0, s29
	v_mov_b32_e32 v4, 0x80
	s_mov_b32 s33, exec_lo
	s_delay_alu instid0(VALU_DEP_2)
	v_cmpx_gt_u32_e32 0x47800000, v3
	s_cbranch_execz .LBB363_1066
; %bb.1061:
	s_mov_b32 s34, 0
	s_mov_b32 s35, exec_lo
                                        ; implicit-def: $vgpr2
	v_cmpx_lt_u32_e32 0x37ffffff, v3
	s_xor_b32 s35, exec_lo, s35
	s_cbranch_execz .LBB363_2155
; %bb.1062:
	v_bfe_u32 v2, v3, 21, 1
	s_mov_b32 s34, exec_lo
	s_delay_alu instid0(VALU_DEP_1) | instskip(NEXT) | instid1(VALU_DEP_1)
	v_add3_u32 v2, v3, v2, 0x88fffff
                                        ; implicit-def: $vgpr3
	v_lshrrev_b32_e32 v2, 21, v2
	s_and_not1_saveexec_b32 s35, s35
	s_cbranch_execnz .LBB363_2156
.LBB363_1063:
	s_or_b32 exec_lo, exec_lo, s35
	v_mov_b32_e32 v4, 0
	s_and_saveexec_b32 s35, s34
.LBB363_1064:
	v_mov_b32_e32 v4, v2
.LBB363_1065:
	s_or_b32 exec_lo, exec_lo, s35
.LBB363_1066:
	s_delay_alu instid0(SALU_CYCLE_1)
	s_or_b32 exec_lo, exec_lo, s33
	s_mov_b32 s33, 0
	global_store_b8 v[0:1], v4, off
.LBB363_1067:
	s_and_b32 vcc_lo, exec_lo, s33
	s_cbranch_vccz .LBB363_1077
; %bb.1068:
	s_wait_xcnt 0x0
	v_cndmask_b32_e64 v3, 0, 1.0, s29
	s_mov_b32 s33, exec_lo
                                        ; implicit-def: $vgpr2
	s_delay_alu instid0(VALU_DEP_1)
	v_cmpx_gt_u32_e32 0x43f00000, v3
	s_xor_b32 s33, exec_lo, s33
	s_cbranch_execz .LBB363_1074
; %bb.1069:
	s_mov_b32 s34, exec_lo
                                        ; implicit-def: $vgpr2
	v_cmpx_lt_u32_e32 0x3c7fffff, v3
	s_xor_b32 s34, exec_lo, s34
; %bb.1070:
	v_bfe_u32 v2, v3, 20, 1
	s_delay_alu instid0(VALU_DEP_1) | instskip(NEXT) | instid1(VALU_DEP_1)
	v_add3_u32 v2, v3, v2, 0x407ffff
	v_and_b32_e32 v3, 0xff00000, v2
	v_lshrrev_b32_e32 v2, 20, v2
	s_delay_alu instid0(VALU_DEP_2) | instskip(NEXT) | instid1(VALU_DEP_2)
	v_cmp_ne_u32_e32 vcc_lo, 0x7f00000, v3
                                        ; implicit-def: $vgpr3
	v_cndmask_b32_e32 v2, 0x7e, v2, vcc_lo
; %bb.1071:
	s_and_not1_saveexec_b32 s34, s34
; %bb.1072:
	v_add_f32_e32 v2, 0x46800000, v3
; %bb.1073:
	s_or_b32 exec_lo, exec_lo, s34
                                        ; implicit-def: $vgpr3
.LBB363_1074:
	s_and_not1_saveexec_b32 s33, s33
; %bb.1075:
	v_mov_b32_e32 v2, 0x7f
	v_cmp_lt_u32_e32 vcc_lo, 0x7f800000, v3
	s_delay_alu instid0(VALU_DEP_2)
	v_cndmask_b32_e32 v2, 0x7e, v2, vcc_lo
; %bb.1076:
	s_or_b32 exec_lo, exec_lo, s33
	global_store_b8 v[0:1], v2, off
.LBB363_1077:
	s_mov_b32 s33, 0
.LBB363_1078:
	s_delay_alu instid0(SALU_CYCLE_1)
	s_and_not1_b32 vcc_lo, exec_lo, s33
	s_cbranch_vccnz .LBB363_1088
; %bb.1079:
	s_wait_xcnt 0x0
	v_cndmask_b32_e64 v3, 0, 1.0, s29
	s_mov_b32 s33, exec_lo
                                        ; implicit-def: $vgpr2
	s_delay_alu instid0(VALU_DEP_1)
	v_cmpx_gt_u32_e32 0x47800000, v3
	s_xor_b32 s33, exec_lo, s33
	s_cbranch_execz .LBB363_1085
; %bb.1080:
	s_mov_b32 s34, exec_lo
                                        ; implicit-def: $vgpr2
	v_cmpx_lt_u32_e32 0x387fffff, v3
	s_xor_b32 s34, exec_lo, s34
; %bb.1081:
	v_bfe_u32 v2, v3, 21, 1
	s_delay_alu instid0(VALU_DEP_1) | instskip(NEXT) | instid1(VALU_DEP_1)
	v_add3_u32 v2, v3, v2, 0x80fffff
                                        ; implicit-def: $vgpr3
	v_lshrrev_b32_e32 v2, 21, v2
; %bb.1082:
	s_and_not1_saveexec_b32 s34, s34
; %bb.1083:
	v_add_f32_e32 v2, 0x43000000, v3
; %bb.1084:
	s_or_b32 exec_lo, exec_lo, s34
                                        ; implicit-def: $vgpr3
.LBB363_1085:
	s_and_not1_saveexec_b32 s33, s33
; %bb.1086:
	v_mov_b32_e32 v2, 0x7f
	v_cmp_lt_u32_e32 vcc_lo, 0x7f800000, v3
	s_delay_alu instid0(VALU_DEP_2)
	v_cndmask_b32_e32 v2, 0x7c, v2, vcc_lo
; %bb.1087:
	s_or_b32 exec_lo, exec_lo, s33
	global_store_b8 v[0:1], v2, off
.LBB363_1088:
	s_mov_b32 s34, 0
	s_mov_b32 s33, -1
.LBB363_1089:
	s_and_not1_b32 vcc_lo, exec_lo, s34
	s_cbranch_vccnz .LBB363_1097
; %bb.1090:
	s_cmp_gt_i32 s31, 14
	s_mov_b32 s34, -1
	s_cbranch_scc0 .LBB363_1094
; %bb.1091:
	s_cmp_eq_u32 s31, 15
	s_mov_b32 s0, -1
	s_cbranch_scc0 .LBB363_1093
; %bb.1092:
	s_wait_xcnt 0x0
	v_cndmask_b32_e64 v2, 0, 1.0, s29
	s_mov_b32 s33, -1
	s_mov_b32 s0, 0
	s_delay_alu instid0(VALU_DEP_1) | instskip(NEXT) | instid1(VALU_DEP_1)
	v_bfe_u32 v3, v2, 16, 1
	v_add3_u32 v2, v2, v3, 0x7fff
	global_store_d16_hi_b16 v[0:1], v2, off
.LBB363_1093:
	s_mov_b32 s34, 0
.LBB363_1094:
	s_delay_alu instid0(SALU_CYCLE_1)
	s_and_b32 vcc_lo, exec_lo, s34
	s_cbranch_vccz .LBB363_1097
; %bb.1095:
	s_cmp_eq_u32 s31, 11
	s_mov_b32 s0, -1
	s_cbranch_scc0 .LBB363_1097
; %bb.1096:
	s_wait_xcnt 0x0
	v_cndmask_b32_e64 v2, 0, 1, s29
	s_mov_b32 s33, -1
	s_mov_b32 s0, 0
	global_store_b8 v[0:1], v2, off
.LBB363_1097:
	s_mov_b32 s31, 0
.LBB363_1098:
	s_delay_alu instid0(SALU_CYCLE_1)
	s_and_b32 vcc_lo, exec_lo, s31
	s_cbranch_vccz .LBB363_1137
; %bb.1099:
	s_and_b32 s30, 0xffff, s30
	s_mov_b32 s31, -1
	s_cmp_lt_i32 s30, 5
	s_cbranch_scc1 .LBB363_1120
; %bb.1100:
	s_cmp_lt_i32 s30, 8
	s_cbranch_scc1 .LBB363_1110
; %bb.1101:
	;; [unrolled: 3-line block ×3, first 2 shown]
	s_cmp_gt_i32 s30, 9
	s_cbranch_scc0 .LBB363_1104
; %bb.1103:
	s_wait_xcnt 0x0
	v_cndmask_b32_e64 v2, 0, 1, s29
	v_mov_b32_e32 v4, 0
	s_mov_b32 s31, 0
	s_delay_alu instid0(VALU_DEP_2) | instskip(NEXT) | instid1(VALU_DEP_2)
	v_cvt_f64_u32_e32 v[2:3], v2
	v_mov_b32_e32 v5, v4
	global_store_b128 v[0:1], v[2:5], off
.LBB363_1104:
	s_and_not1_b32 vcc_lo, exec_lo, s31
	s_cbranch_vccnz .LBB363_1106
; %bb.1105:
	s_wait_xcnt 0x0
	v_cndmask_b32_e64 v2, 0, 1.0, s29
	v_mov_b32_e32 v3, 0
	global_store_b64 v[0:1], v[2:3], off
.LBB363_1106:
	s_mov_b32 s31, 0
.LBB363_1107:
	s_delay_alu instid0(SALU_CYCLE_1)
	s_and_not1_b32 vcc_lo, exec_lo, s31
	s_cbranch_vccnz .LBB363_1109
; %bb.1108:
	s_wait_xcnt 0x0
	v_cndmask_b32_e64 v2, 0, 1.0, s29
	s_delay_alu instid0(VALU_DEP_1) | instskip(NEXT) | instid1(VALU_DEP_1)
	v_cvt_f16_f32_e32 v2, v2
	v_and_b32_e32 v2, 0xffff, v2
	global_store_b32 v[0:1], v2, off
.LBB363_1109:
	s_mov_b32 s31, 0
.LBB363_1110:
	s_delay_alu instid0(SALU_CYCLE_1)
	s_and_not1_b32 vcc_lo, exec_lo, s31
	s_cbranch_vccnz .LBB363_1119
; %bb.1111:
	s_cmp_lt_i32 s30, 6
	s_mov_b32 s31, -1
	s_cbranch_scc1 .LBB363_1117
; %bb.1112:
	s_cmp_gt_i32 s30, 6
	s_cbranch_scc0 .LBB363_1114
; %bb.1113:
	s_wait_xcnt 0x0
	v_cndmask_b32_e64 v2, 0, 1, s29
	s_mov_b32 s31, 0
	s_delay_alu instid0(VALU_DEP_1)
	v_cvt_f64_u32_e32 v[2:3], v2
	global_store_b64 v[0:1], v[2:3], off
.LBB363_1114:
	s_and_not1_b32 vcc_lo, exec_lo, s31
	s_cbranch_vccnz .LBB363_1116
; %bb.1115:
	s_wait_xcnt 0x0
	v_cndmask_b32_e64 v2, 0, 1.0, s29
	global_store_b32 v[0:1], v2, off
.LBB363_1116:
	s_mov_b32 s31, 0
.LBB363_1117:
	s_delay_alu instid0(SALU_CYCLE_1)
	s_and_not1_b32 vcc_lo, exec_lo, s31
	s_cbranch_vccnz .LBB363_1119
; %bb.1118:
	s_wait_xcnt 0x0
	v_cndmask_b32_e64 v2, 0, 1.0, s29
	s_delay_alu instid0(VALU_DEP_1)
	v_cvt_f16_f32_e32 v2, v2
	global_store_b16 v[0:1], v2, off
.LBB363_1119:
	s_mov_b32 s31, 0
.LBB363_1120:
	s_delay_alu instid0(SALU_CYCLE_1)
	s_and_not1_b32 vcc_lo, exec_lo, s31
	s_cbranch_vccnz .LBB363_1136
; %bb.1121:
	s_cmp_lt_i32 s30, 2
	s_mov_b32 s31, -1
	s_cbranch_scc1 .LBB363_1131
; %bb.1122:
	s_cmp_lt_i32 s30, 3
	s_cbranch_scc1 .LBB363_1128
; %bb.1123:
	s_cmp_gt_i32 s30, 3
	s_cbranch_scc0 .LBB363_1125
; %bb.1124:
	s_mov_b32 s31, 0
	s_wait_xcnt 0x0
	v_cndmask_b32_e64 v2, 0, 1, s29
	v_mov_b32_e32 v3, s31
	global_store_b64 v[0:1], v[2:3], off
.LBB363_1125:
	s_and_not1_b32 vcc_lo, exec_lo, s31
	s_cbranch_vccnz .LBB363_1127
; %bb.1126:
	s_wait_xcnt 0x0
	v_cndmask_b32_e64 v2, 0, 1, s29
	global_store_b32 v[0:1], v2, off
.LBB363_1127:
	s_mov_b32 s31, 0
.LBB363_1128:
	s_delay_alu instid0(SALU_CYCLE_1)
	s_and_not1_b32 vcc_lo, exec_lo, s31
	s_cbranch_vccnz .LBB363_1130
; %bb.1129:
	s_wait_xcnt 0x0
	v_cndmask_b32_e64 v2, 0, 1, s29
	global_store_b16 v[0:1], v2, off
.LBB363_1130:
	s_mov_b32 s31, 0
.LBB363_1131:
	s_delay_alu instid0(SALU_CYCLE_1)
	s_and_not1_b32 vcc_lo, exec_lo, s31
	s_cbranch_vccnz .LBB363_1136
; %bb.1132:
	s_wait_xcnt 0x0
	v_cndmask_b32_e64 v2, 0, 1, s29
	s_cmp_gt_i32 s30, 0
	s_mov_b32 s29, -1
	s_cbranch_scc0 .LBB363_1134
; %bb.1133:
	s_mov_b32 s29, 0
	global_store_b8 v[0:1], v2, off
.LBB363_1134:
	s_and_not1_b32 vcc_lo, exec_lo, s29
	s_cbranch_vccnz .LBB363_1136
; %bb.1135:
	global_store_b8 v[0:1], v2, off
.LBB363_1136:
	s_mov_b32 s33, -1
.LBB363_1137:
	s_delay_alu instid0(SALU_CYCLE_1)
	s_and_not1_b32 vcc_lo, exec_lo, s33
	s_cbranch_vccnz .LBB363_1139
; %bb.1138:
	v_add_nc_u32_e32 v18, 0x80, v18
	s_mov_b32 s30, -1
	s_branch .LBB363_1141
.LBB363_1139:
	s_mov_b32 s30, 0
.LBB363_1140:
                                        ; implicit-def: $vgpr18
.LBB363_1141:
	s_and_not1_b32 s29, s23, exec_lo
	s_and_b32 s0, s0, exec_lo
	s_and_b32 s28, s28, exec_lo
	s_or_b32 s29, s29, s0
	s_and_not1_b32 s0, s24, exec_lo
	s_and_not1_b32 s31, s22, exec_lo
	s_and_b32 s27, s27, exec_lo
	s_or_b32 s28, s0, s28
	s_or_b32 s27, s31, s27
	s_or_not1_b32 s34, s30, exec_lo
.LBB363_1142:
	s_wait_xcnt 0x0
	s_or_b32 exec_lo, exec_lo, s26
	s_mov_b32 s30, 0
	s_mov_b32 s31, 0
	;; [unrolled: 1-line block ×3, first 2 shown]
                                        ; implicit-def: $sgpr0
                                        ; implicit-def: $vgpr2_vgpr3
                                        ; implicit-def: $vgpr0_vgpr1
	s_and_saveexec_b32 s26, s34
	s_cbranch_execz .LBB363_1221
; %bb.1143:
	v_cmp_gt_i32_e32 vcc_lo, s17, v18
	s_mov_b32 s35, s27
	s_mov_b32 s34, 0
	;; [unrolled: 1-line block ×3, first 2 shown]
                                        ; implicit-def: $sgpr0
                                        ; implicit-def: $vgpr2_vgpr3
                                        ; implicit-def: $vgpr0_vgpr1
	s_and_saveexec_b32 s17, vcc_lo
	s_cbranch_execz .LBB363_1220
; %bb.1144:
	s_wait_loadcnt 0x0
	v_mul_lo_u32 v0, v18, s9
	s_and_b32 s0, s14, 0xff
	s_delay_alu instid0(SALU_CYCLE_1) | instskip(NEXT) | instid1(VALU_DEP_1)
	s_cmp_lt_i32 s0, 11
	v_ashrrev_i32_e32 v1, 31, v0
	s_delay_alu instid0(VALU_DEP_1)
	v_add_nc_u64_e32 v[2:3], s[6:7], v[0:1]
	s_cbranch_scc1 .LBB363_1151
; %bb.1145:
	s_and_b32 s30, 0xffff, s0
	s_delay_alu instid0(SALU_CYCLE_1)
	s_cmp_gt_i32 s30, 25
	s_cbranch_scc0 .LBB363_1152
; %bb.1146:
	s_cmp_gt_i32 s30, 28
	s_cbranch_scc0 .LBB363_1153
; %bb.1147:
	;; [unrolled: 3-line block ×4, first 2 shown]
	s_cmp_eq_u32 s30, 46
	s_mov_b32 s35, 0
	s_cbranch_scc0 .LBB363_1158
; %bb.1150:
	global_load_b32 v0, v[2:3], off
	s_mov_b32 s34, -1
	s_wait_loadcnt 0x0
	v_lshlrev_b32_e32 v0, 16, v0
	s_delay_alu instid0(VALU_DEP_1) | instskip(NEXT) | instid1(VALU_DEP_1)
	v_trunc_f32_e32 v0, v0
	v_mul_f32_e32 v1, 0x2f800000, v0
	s_delay_alu instid0(VALU_DEP_1) | instskip(NEXT) | instid1(VALU_DEP_1)
	v_floor_f32_e32 v1, v1
	v_fmamk_f32 v0, v1, 0xcf800000, v0
	v_cvt_u32_f32_e32 v1, v1
	s_delay_alu instid0(VALU_DEP_2)
	v_cvt_u32_f32_e32 v0, v0
	s_branch .LBB363_1160
.LBB363_1151:
	s_mov_b32 s30, -1
	s_mov_b32 s31, s27
                                        ; implicit-def: $vgpr0_vgpr1
	s_branch .LBB363_1219
.LBB363_1152:
	s_mov_b32 s35, -1
	s_mov_b32 s31, s27
                                        ; implicit-def: $vgpr0_vgpr1
	s_branch .LBB363_1187
.LBB363_1153:
	s_mov_b32 s35, -1
	s_mov_b32 s31, s27
                                        ; implicit-def: $vgpr0_vgpr1
	s_branch .LBB363_1170
.LBB363_1154:
	s_mov_b32 s35, -1
	s_mov_b32 s31, s27
                                        ; implicit-def: $vgpr0_vgpr1
	s_branch .LBB363_1165
.LBB363_1155:
	s_mov_b32 s35, -1
	s_mov_b32 s31, s27
	s_branch .LBB363_1159
.LBB363_1156:
	s_and_not1_saveexec_b32 s35, s35
	s_cbranch_execz .LBB363_1050
.LBB363_1157:
	v_add_f32_e32 v2, 0x46000000, v3
	s_and_not1_b32 s34, s34, exec_lo
	s_delay_alu instid0(VALU_DEP_1) | instskip(NEXT) | instid1(VALU_DEP_1)
	v_and_b32_e32 v2, 0xff, v2
	v_cmp_ne_u32_e32 vcc_lo, 0, v2
	s_and_b32 s36, vcc_lo, exec_lo
	s_delay_alu instid0(SALU_CYCLE_1)
	s_or_b32 s34, s34, s36
	s_or_b32 exec_lo, exec_lo, s35
	v_mov_b32_e32 v4, 0
	s_and_saveexec_b32 s35, s34
	s_cbranch_execnz .LBB363_1051
	s_branch .LBB363_1052
.LBB363_1158:
	s_mov_b32 s31, -1
.LBB363_1159:
                                        ; implicit-def: $vgpr0_vgpr1
.LBB363_1160:
	s_and_b32 vcc_lo, exec_lo, s35
	s_cbranch_vccz .LBB363_1164
; %bb.1161:
	s_cmp_eq_u32 s30, 44
	s_cbranch_scc0 .LBB363_1163
; %bb.1162:
	global_load_u8 v0, v[2:3], off
	s_mov_b32 s31, 0
	s_mov_b32 s34, -1
	s_wait_loadcnt 0x0
	v_cmp_ne_u32_e32 vcc_lo, 0, v0
	v_lshlrev_b32_e32 v1, 23, v0
	s_delay_alu instid0(VALU_DEP_1) | instskip(NEXT) | instid1(VALU_DEP_1)
	v_trunc_f32_e32 v1, v1
	v_mul_f32_e32 v4, 0x2f800000, v1
	s_delay_alu instid0(VALU_DEP_1) | instskip(NEXT) | instid1(VALU_DEP_1)
	v_floor_f32_e32 v4, v4
	v_fmamk_f32 v1, v4, 0xcf800000, v1
	v_cvt_u32_f32_e32 v4, v4
	s_delay_alu instid0(VALU_DEP_2) | instskip(NEXT) | instid1(VALU_DEP_1)
	v_cvt_u32_f32_e32 v5, v1
	v_dual_cndmask_b32 v1, 0, v4 :: v_dual_cndmask_b32 v0, 0, v5
	s_branch .LBB363_1164
.LBB363_1163:
	s_mov_b32 s31, -1
                                        ; implicit-def: $vgpr0_vgpr1
.LBB363_1164:
	s_mov_b32 s35, 0
.LBB363_1165:
	s_delay_alu instid0(SALU_CYCLE_1)
	s_and_b32 vcc_lo, exec_lo, s35
	s_cbranch_vccz .LBB363_1169
; %bb.1166:
	s_cmp_eq_u32 s30, 29
	s_cbranch_scc0 .LBB363_1168
; %bb.1167:
	global_load_b64 v[0:1], v[2:3], off
	s_mov_b32 s31, 0
	s_mov_b32 s34, -1
	s_branch .LBB363_1169
.LBB363_1168:
	s_mov_b32 s31, -1
                                        ; implicit-def: $vgpr0_vgpr1
.LBB363_1169:
	s_mov_b32 s35, 0
.LBB363_1170:
	s_delay_alu instid0(SALU_CYCLE_1)
	s_and_b32 vcc_lo, exec_lo, s35
	s_cbranch_vccz .LBB363_1186
; %bb.1171:
	s_cmp_lt_i32 s30, 27
	s_cbranch_scc1 .LBB363_1174
; %bb.1172:
	s_cmp_gt_i32 s30, 27
	s_cbranch_scc0 .LBB363_1175
; %bb.1173:
	s_wait_loadcnt 0x0
	global_load_b32 v0, v[2:3], off
	v_mov_b32_e32 v1, 0
	s_mov_b32 s34, 0
	s_branch .LBB363_1176
.LBB363_1174:
	s_mov_b32 s34, -1
                                        ; implicit-def: $vgpr0_vgpr1
	s_branch .LBB363_1179
.LBB363_1175:
	s_mov_b32 s34, -1
                                        ; implicit-def: $vgpr0_vgpr1
.LBB363_1176:
	s_delay_alu instid0(SALU_CYCLE_1)
	s_and_not1_b32 vcc_lo, exec_lo, s34
	s_cbranch_vccnz .LBB363_1178
; %bb.1177:
	s_wait_loadcnt 0x0
	global_load_u16 v0, v[2:3], off
	s_mov_b32 s34, 0
	s_delay_alu instid0(SALU_CYCLE_1)
	v_mov_b32_e32 v1, s34
	s_wait_loadcnt 0x0
	v_and_b32_e32 v0, 0xffff, v0
.LBB363_1178:
	s_mov_b32 s34, 0
.LBB363_1179:
	s_delay_alu instid0(SALU_CYCLE_1)
	s_and_not1_b32 vcc_lo, exec_lo, s34
	s_cbranch_vccnz .LBB363_1185
; %bb.1180:
	global_load_u8 v4, v[2:3], off
	s_mov_b32 s35, 0
	s_mov_b32 s34, exec_lo
	s_wait_loadcnt 0x0
	v_cmpx_lt_i16_e32 0x7f, v4
	s_xor_b32 s34, exec_lo, s34
	s_cbranch_execz .LBB363_1197
; %bb.1181:
	v_cmp_ne_u16_e32 vcc_lo, 0x80, v4
	s_and_b32 s35, vcc_lo, exec_lo
	s_and_not1_saveexec_b32 s34, s34
	s_cbranch_execnz .LBB363_1198
.LBB363_1182:
	s_or_b32 exec_lo, exec_lo, s34
	v_mov_b64_e32 v[0:1], 0
	s_and_saveexec_b32 s34, s35
	s_cbranch_execz .LBB363_1184
.LBB363_1183:
	v_and_b32_e32 v0, 0xffff, v4
	s_delay_alu instid0(VALU_DEP_1) | instskip(SKIP_1) | instid1(VALU_DEP_2)
	v_and_b32_e32 v1, 7, v0
	v_bfe_u32 v7, v0, 3, 4
	v_clz_i32_u32_e32 v5, v1
	s_delay_alu instid0(VALU_DEP_2) | instskip(NEXT) | instid1(VALU_DEP_2)
	v_cmp_eq_u32_e32 vcc_lo, 0, v7
	v_min_u32_e32 v5, 32, v5
	s_delay_alu instid0(VALU_DEP_1) | instskip(NEXT) | instid1(VALU_DEP_1)
	v_subrev_nc_u32_e32 v6, 28, v5
	v_dual_lshlrev_b32 v0, v6, v0 :: v_dual_sub_nc_u32 v5, 29, v5
	s_delay_alu instid0(VALU_DEP_1) | instskip(NEXT) | instid1(VALU_DEP_2)
	v_and_b32_e32 v0, 7, v0
	v_dual_cndmask_b32 v5, v7, v5 :: v_dual_lshlrev_b32 v4, 24, v4
	s_delay_alu instid0(VALU_DEP_2) | instskip(NEXT) | instid1(VALU_DEP_2)
	v_cndmask_b32_e32 v0, v1, v0, vcc_lo
	v_and_b32_e32 v1, 0x80000000, v4
	s_delay_alu instid0(VALU_DEP_3) | instskip(NEXT) | instid1(VALU_DEP_3)
	v_lshl_add_u32 v4, v5, 23, 0x3b800000
	v_lshlrev_b32_e32 v0, 20, v0
	s_delay_alu instid0(VALU_DEP_1) | instskip(NEXT) | instid1(VALU_DEP_1)
	v_or3_b32 v0, v1, v4, v0
	v_trunc_f32_e32 v0, v0
	s_delay_alu instid0(VALU_DEP_1) | instskip(NEXT) | instid1(VALU_DEP_1)
	v_mul_f32_e32 v1, 0x2f800000, v0
	v_floor_f32_e32 v1, v1
	s_delay_alu instid0(VALU_DEP_1) | instskip(SKIP_1) | instid1(VALU_DEP_2)
	v_fmamk_f32 v0, v1, 0xcf800000, v0
	v_cvt_u32_f32_e32 v1, v1
	v_cvt_u32_f32_e32 v0, v0
.LBB363_1184:
	s_or_b32 exec_lo, exec_lo, s34
.LBB363_1185:
	s_mov_b32 s34, -1
.LBB363_1186:
	s_mov_b32 s35, 0
.LBB363_1187:
	s_delay_alu instid0(SALU_CYCLE_1)
	s_and_b32 vcc_lo, exec_lo, s35
	s_cbranch_vccz .LBB363_1218
; %bb.1188:
	s_cmp_gt_i32 s30, 22
	s_cbranch_scc0 .LBB363_1196
; %bb.1189:
	s_cmp_lt_i32 s30, 24
	s_cbranch_scc1 .LBB363_1199
; %bb.1190:
	s_cmp_gt_i32 s30, 24
	s_cbranch_scc0 .LBB363_1200
; %bb.1191:
	global_load_u8 v4, v[2:3], off
	s_mov_b32 s34, 0
	s_mov_b32 s33, exec_lo
	s_wait_loadcnt 0x0
	v_cmpx_lt_i16_e32 0x7f, v4
	s_xor_b32 s33, exec_lo, s33
	s_cbranch_execz .LBB363_1212
; %bb.1192:
	v_cmp_ne_u16_e32 vcc_lo, 0x80, v4
	s_and_b32 s34, vcc_lo, exec_lo
	s_and_not1_saveexec_b32 s33, s33
	s_cbranch_execnz .LBB363_1213
.LBB363_1193:
	s_or_b32 exec_lo, exec_lo, s33
	v_mov_b64_e32 v[0:1], 0
	s_and_saveexec_b32 s33, s34
	s_cbranch_execz .LBB363_1195
.LBB363_1194:
	v_and_b32_e32 v0, 0xffff, v4
	s_delay_alu instid0(VALU_DEP_1) | instskip(SKIP_1) | instid1(VALU_DEP_2)
	v_and_b32_e32 v1, 3, v0
	v_bfe_u32 v7, v0, 2, 5
	v_clz_i32_u32_e32 v5, v1
	s_delay_alu instid0(VALU_DEP_2) | instskip(NEXT) | instid1(VALU_DEP_2)
	v_cmp_eq_u32_e32 vcc_lo, 0, v7
	v_min_u32_e32 v5, 32, v5
	s_delay_alu instid0(VALU_DEP_1) | instskip(NEXT) | instid1(VALU_DEP_1)
	v_subrev_nc_u32_e32 v6, 29, v5
	v_dual_lshlrev_b32 v0, v6, v0 :: v_dual_sub_nc_u32 v5, 30, v5
	s_delay_alu instid0(VALU_DEP_1) | instskip(NEXT) | instid1(VALU_DEP_2)
	v_and_b32_e32 v0, 3, v0
	v_dual_cndmask_b32 v5, v7, v5 :: v_dual_lshlrev_b32 v4, 24, v4
	s_delay_alu instid0(VALU_DEP_2) | instskip(NEXT) | instid1(VALU_DEP_2)
	v_cndmask_b32_e32 v0, v1, v0, vcc_lo
	v_and_b32_e32 v1, 0x80000000, v4
	s_delay_alu instid0(VALU_DEP_3) | instskip(NEXT) | instid1(VALU_DEP_3)
	v_lshl_add_u32 v4, v5, 23, 0x37800000
	v_lshlrev_b32_e32 v0, 21, v0
	s_delay_alu instid0(VALU_DEP_1) | instskip(NEXT) | instid1(VALU_DEP_1)
	v_or3_b32 v0, v1, v4, v0
	v_trunc_f32_e32 v0, v0
	s_delay_alu instid0(VALU_DEP_1) | instskip(NEXT) | instid1(VALU_DEP_1)
	v_mul_f32_e32 v1, 0x2f800000, v0
	v_floor_f32_e32 v1, v1
	s_delay_alu instid0(VALU_DEP_1) | instskip(SKIP_1) | instid1(VALU_DEP_2)
	v_fmamk_f32 v0, v1, 0xcf800000, v0
	v_cvt_u32_f32_e32 v1, v1
	v_cvt_u32_f32_e32 v0, v0
.LBB363_1195:
	s_or_b32 exec_lo, exec_lo, s33
	s_mov_b32 s33, 0
	s_branch .LBB363_1201
.LBB363_1196:
	s_mov_b32 s33, -1
                                        ; implicit-def: $vgpr0_vgpr1
	s_branch .LBB363_1207
.LBB363_1197:
	s_and_not1_saveexec_b32 s34, s34
	s_cbranch_execz .LBB363_1182
.LBB363_1198:
	v_cmp_ne_u16_e32 vcc_lo, 0, v4
	s_and_not1_b32 s35, s35, exec_lo
	s_and_b32 s36, vcc_lo, exec_lo
	s_delay_alu instid0(SALU_CYCLE_1)
	s_or_b32 s35, s35, s36
	s_or_b32 exec_lo, exec_lo, s34
	v_mov_b64_e32 v[0:1], 0
	s_and_saveexec_b32 s34, s35
	s_cbranch_execnz .LBB363_1183
	s_branch .LBB363_1184
.LBB363_1199:
	s_mov_b32 s33, -1
                                        ; implicit-def: $vgpr0_vgpr1
	s_branch .LBB363_1204
.LBB363_1200:
	s_mov_b32 s33, -1
                                        ; implicit-def: $vgpr0_vgpr1
.LBB363_1201:
	s_delay_alu instid0(SALU_CYCLE_1)
	s_and_b32 vcc_lo, exec_lo, s33
	s_cbranch_vccz .LBB363_1203
; %bb.1202:
	s_wait_loadcnt 0x0
	global_load_u8 v0, v[2:3], off
	s_wait_loadcnt 0x0
	v_lshlrev_b32_e32 v0, 24, v0
	s_delay_alu instid0(VALU_DEP_1) | instskip(NEXT) | instid1(VALU_DEP_1)
	v_and_b32_e32 v1, 0x7f000000, v0
	v_clz_i32_u32_e32 v4, v1
	v_cmp_ne_u32_e32 vcc_lo, 0, v1
	v_add_nc_u32_e32 v6, 0x1000000, v1
	s_delay_alu instid0(VALU_DEP_3) | instskip(NEXT) | instid1(VALU_DEP_1)
	v_min_u32_e32 v4, 32, v4
	v_sub_nc_u32_e64 v4, v4, 4 clamp
	s_delay_alu instid0(VALU_DEP_1) | instskip(NEXT) | instid1(VALU_DEP_1)
	v_dual_lshlrev_b32 v5, v4, v1 :: v_dual_lshlrev_b32 v4, 23, v4
	v_lshrrev_b32_e32 v5, 4, v5
	s_delay_alu instid0(VALU_DEP_1) | instskip(NEXT) | instid1(VALU_DEP_1)
	v_dual_sub_nc_u32 v4, v5, v4 :: v_dual_ashrrev_i32 v5, 8, v6
	v_add_nc_u32_e32 v4, 0x3c000000, v4
	s_delay_alu instid0(VALU_DEP_1) | instskip(NEXT) | instid1(VALU_DEP_1)
	v_and_or_b32 v4, 0x7f800000, v5, v4
	v_cndmask_b32_e32 v1, 0, v4, vcc_lo
	s_delay_alu instid0(VALU_DEP_1) | instskip(NEXT) | instid1(VALU_DEP_1)
	v_and_or_b32 v0, 0x80000000, v0, v1
	v_trunc_f32_e32 v0, v0
	s_delay_alu instid0(VALU_DEP_1) | instskip(NEXT) | instid1(VALU_DEP_1)
	v_mul_f32_e32 v1, 0x2f800000, v0
	v_floor_f32_e32 v1, v1
	s_delay_alu instid0(VALU_DEP_1) | instskip(SKIP_1) | instid1(VALU_DEP_2)
	v_fmamk_f32 v0, v1, 0xcf800000, v0
	v_cvt_u32_f32_e32 v1, v1
	v_cvt_u32_f32_e32 v0, v0
.LBB363_1203:
	s_mov_b32 s33, 0
.LBB363_1204:
	s_delay_alu instid0(SALU_CYCLE_1)
	s_and_not1_b32 vcc_lo, exec_lo, s33
	s_cbranch_vccnz .LBB363_1206
; %bb.1205:
	s_wait_loadcnt 0x0
	global_load_u8 v0, v[2:3], off
	s_wait_loadcnt 0x0
	v_lshlrev_b32_e32 v1, 25, v0
	v_lshlrev_b16 v0, 8, v0
	s_delay_alu instid0(VALU_DEP_1) | instskip(SKIP_1) | instid1(VALU_DEP_2)
	v_and_or_b32 v5, 0x7f00, v0, 0.5
	v_bfe_i32 v0, v0, 0, 16
	v_add_f32_e32 v5, -0.5, v5
	v_lshrrev_b32_e32 v4, 4, v1
	v_cmp_gt_u32_e32 vcc_lo, 0x8000000, v1
	s_delay_alu instid0(VALU_DEP_2) | instskip(NEXT) | instid1(VALU_DEP_1)
	v_or_b32_e32 v4, 0x70000000, v4
	v_mul_f32_e32 v4, 0x7800000, v4
	s_delay_alu instid0(VALU_DEP_1) | instskip(NEXT) | instid1(VALU_DEP_1)
	v_cndmask_b32_e32 v1, v4, v5, vcc_lo
	v_and_or_b32 v0, 0x80000000, v0, v1
	s_delay_alu instid0(VALU_DEP_1) | instskip(NEXT) | instid1(VALU_DEP_1)
	v_trunc_f32_e32 v0, v0
	v_mul_f32_e32 v1, 0x2f800000, v0
	s_delay_alu instid0(VALU_DEP_1) | instskip(NEXT) | instid1(VALU_DEP_1)
	v_floor_f32_e32 v1, v1
	v_fmamk_f32 v0, v1, 0xcf800000, v0
	v_cvt_u32_f32_e32 v1, v1
	s_delay_alu instid0(VALU_DEP_2)
	v_cvt_u32_f32_e32 v0, v0
.LBB363_1206:
	s_mov_b32 s33, 0
	s_mov_b32 s34, -1
.LBB363_1207:
	s_and_not1_b32 vcc_lo, exec_lo, s33
	s_mov_b32 s33, 0
	s_cbranch_vccnz .LBB363_1218
; %bb.1208:
	s_cmp_gt_i32 s30, 14
	s_cbranch_scc0 .LBB363_1211
; %bb.1209:
	s_cmp_eq_u32 s30, 15
	s_cbranch_scc0 .LBB363_1214
; %bb.1210:
	s_wait_loadcnt 0x0
	global_load_u16 v0, v[2:3], off
	s_mov_b32 s31, 0
	s_mov_b32 s34, -1
	s_wait_loadcnt 0x0
	v_lshlrev_b32_e32 v0, 16, v0
	s_delay_alu instid0(VALU_DEP_1) | instskip(NEXT) | instid1(VALU_DEP_1)
	v_trunc_f32_e32 v0, v0
	v_mul_f32_e32 v1, 0x2f800000, v0
	s_delay_alu instid0(VALU_DEP_1) | instskip(NEXT) | instid1(VALU_DEP_1)
	v_floor_f32_e32 v1, v1
	v_fmamk_f32 v0, v1, 0xcf800000, v0
	v_cvt_u32_f32_e32 v1, v1
	s_delay_alu instid0(VALU_DEP_2)
	v_cvt_u32_f32_e32 v0, v0
	s_branch .LBB363_1216
.LBB363_1211:
	s_mov_b32 s33, -1
	s_branch .LBB363_1215
.LBB363_1212:
	s_and_not1_saveexec_b32 s33, s33
	s_cbranch_execz .LBB363_1193
.LBB363_1213:
	v_cmp_ne_u16_e32 vcc_lo, 0, v4
	s_and_not1_b32 s34, s34, exec_lo
	s_and_b32 s35, vcc_lo, exec_lo
	s_delay_alu instid0(SALU_CYCLE_1)
	s_or_b32 s34, s34, s35
	s_or_b32 exec_lo, exec_lo, s33
	v_mov_b64_e32 v[0:1], 0
	s_and_saveexec_b32 s33, s34
	s_cbranch_execnz .LBB363_1194
	s_branch .LBB363_1195
.LBB363_1214:
	s_mov_b32 s31, -1
.LBB363_1215:
                                        ; implicit-def: $vgpr0_vgpr1
.LBB363_1216:
	s_and_b32 vcc_lo, exec_lo, s33
	s_mov_b32 s33, 0
	s_cbranch_vccz .LBB363_1218
; %bb.1217:
	s_cmp_lg_u32 s30, 11
	s_mov_b32 s33, -1
	s_cselect_b32 s30, -1, 0
	s_and_not1_b32 s31, s31, exec_lo
	s_and_b32 s30, s30, exec_lo
	s_delay_alu instid0(SALU_CYCLE_1)
	s_or_b32 s31, s31, s30
.LBB363_1218:
	s_mov_b32 s30, 0
.LBB363_1219:
	s_and_not1_b32 s35, s27, exec_lo
	s_and_b32 s31, s31, exec_lo
	s_and_b32 s36, s34, exec_lo
	;; [unrolled: 1-line block ×4, first 2 shown]
	s_or_b32 s35, s35, s31
.LBB363_1220:
	s_wait_xcnt 0x0
	s_or_b32 exec_lo, exec_lo, s17
	s_delay_alu instid0(SALU_CYCLE_1)
	s_and_not1_b32 s17, s27, exec_lo
	s_and_b32 s27, s35, exec_lo
	s_and_b32 s33, s36, exec_lo
	;; [unrolled: 1-line block ×4, first 2 shown]
	s_or_b32 s27, s17, s27
.LBB363_1221:
	s_or_b32 exec_lo, exec_lo, s26
	s_delay_alu instid0(SALU_CYCLE_1)
	s_and_not1_b32 s17, s23, exec_lo
	s_and_b32 s23, s29, exec_lo
	s_and_not1_b32 s24, s24, exec_lo
	s_and_b32 s26, s28, exec_lo
	s_or_b32 s23, s17, s23
	s_and_not1_b32 s17, s22, exec_lo
	s_and_b32 s22, s27, exec_lo
	s_or_b32 s24, s24, s26
	s_and_b32 s29, s33, exec_lo
	s_and_b32 s28, s31, exec_lo
	;; [unrolled: 1-line block ×3, first 2 shown]
	s_or_b32 s22, s17, s22
.LBB363_1222:
	s_or_b32 exec_lo, exec_lo, s25
	s_delay_alu instid0(SALU_CYCLE_1)
	s_and_not1_b32 s17, s18, exec_lo
	s_and_b32 s18, s23, exec_lo
	s_and_not1_b32 s19, s19, exec_lo
	s_and_b32 s23, s24, exec_lo
	s_or_b32 s18, s17, s18
	s_and_not1_b32 s17, s20, exec_lo
	s_and_b32 s20, s22, exec_lo
	s_or_b32 s19, s19, s23
	s_and_b32 s23, s29, exec_lo
	s_and_b32 s24, s28, exec_lo
	;; [unrolled: 1-line block ×3, first 2 shown]
	s_or_b32 s20, s17, s20
	s_or_b32 exec_lo, exec_lo, s21
	s_mov_b32 s17, 0
	s_and_saveexec_b32 s21, s20
	s_cbranch_execz .LBB363_384
.LBB363_1223:
	s_mov_b32 s17, exec_lo
	s_and_not1_b32 s22, s22, exec_lo
	s_trap 2
	s_or_b32 exec_lo, exec_lo, s21
	s_and_saveexec_b32 s20, s22
	s_delay_alu instid0(SALU_CYCLE_1)
	s_xor_b32 s20, exec_lo, s20
	s_cbranch_execnz .LBB363_385
.LBB363_1224:
	s_or_b32 exec_lo, exec_lo, s20
	s_and_saveexec_b32 s20, s24
	s_cbranch_execz .LBB363_1270
.LBB363_1225:
	s_sext_i32_i16 s21, s0
	s_delay_alu instid0(SALU_CYCLE_1)
	s_cmp_lt_i32 s21, 5
	s_cbranch_scc1 .LBB363_1230
; %bb.1226:
	s_cmp_lt_i32 s21, 8
	s_cbranch_scc1 .LBB363_1231
; %bb.1227:
	s_cmp_lt_i32 s21, 9
	s_cbranch_scc1 .LBB363_1232
; %bb.1228:
	s_cmp_gt_i32 s21, 9
	s_cbranch_scc0 .LBB363_1233
; %bb.1229:
	s_wait_loadcnt 0x0
	global_load_b64 v[0:1], v[2:3], off
	s_mov_b32 s21, 0
	s_wait_loadcnt 0x0
	v_trunc_f64_e32 v[0:1], v[0:1]
	s_delay_alu instid0(VALU_DEP_1) | instskip(NEXT) | instid1(VALU_DEP_1)
	v_ldexp_f64 v[4:5], v[0:1], 0xffffffe0
	v_floor_f64_e32 v[4:5], v[4:5]
	s_delay_alu instid0(VALU_DEP_1) | instskip(SKIP_1) | instid1(VALU_DEP_2)
	v_fmamk_f64 v[6:7], v[4:5], 0xc1f00000, v[0:1]
	v_cvt_u32_f64_e32 v1, v[4:5]
	v_cvt_u32_f64_e32 v0, v[6:7]
	s_branch .LBB363_1234
.LBB363_1230:
                                        ; implicit-def: $vgpr0_vgpr1
	s_branch .LBB363_1251
.LBB363_1231:
                                        ; implicit-def: $vgpr0_vgpr1
	s_branch .LBB363_1240
.LBB363_1232:
	s_mov_b32 s21, -1
                                        ; implicit-def: $vgpr0_vgpr1
	s_branch .LBB363_1237
.LBB363_1233:
	s_mov_b32 s21, -1
                                        ; implicit-def: $vgpr0_vgpr1
.LBB363_1234:
	s_delay_alu instid0(SALU_CYCLE_1)
	s_and_not1_b32 vcc_lo, exec_lo, s21
	s_cbranch_vccnz .LBB363_1236
; %bb.1235:
	s_wait_loadcnt 0x0
	global_load_b32 v0, v[2:3], off
	s_wait_loadcnt 0x0
	v_trunc_f32_e32 v0, v0
	s_delay_alu instid0(VALU_DEP_1) | instskip(NEXT) | instid1(VALU_DEP_1)
	v_mul_f32_e32 v1, 0x2f800000, v0
	v_floor_f32_e32 v1, v1
	s_delay_alu instid0(VALU_DEP_1) | instskip(SKIP_1) | instid1(VALU_DEP_2)
	v_fmamk_f32 v0, v1, 0xcf800000, v0
	v_cvt_u32_f32_e32 v1, v1
	v_cvt_u32_f32_e32 v0, v0
.LBB363_1236:
	s_mov_b32 s21, 0
.LBB363_1237:
	s_delay_alu instid0(SALU_CYCLE_1)
	s_and_not1_b32 vcc_lo, exec_lo, s21
	s_cbranch_vccnz .LBB363_1239
; %bb.1238:
	s_wait_loadcnt 0x0
	global_load_b32 v0, v[2:3], off
	v_mov_b32_e32 v1, 0
	s_wait_loadcnt 0x0
	v_cvt_f32_f16_e32 v0, v0
	s_delay_alu instid0(VALU_DEP_1)
	v_cvt_u32_f32_e32 v0, v0
.LBB363_1239:
	s_cbranch_execnz .LBB363_1250
.LBB363_1240:
	s_sext_i32_i16 s21, s0
	s_delay_alu instid0(SALU_CYCLE_1)
	s_cmp_lt_i32 s21, 6
	s_cbranch_scc1 .LBB363_1243
; %bb.1241:
	s_cmp_gt_i32 s21, 6
	s_cbranch_scc0 .LBB363_1244
; %bb.1242:
	s_wait_loadcnt 0x0
	global_load_b64 v[0:1], v[2:3], off
	s_mov_b32 s21, 0
	s_wait_loadcnt 0x0
	v_trunc_f64_e32 v[0:1], v[0:1]
	s_delay_alu instid0(VALU_DEP_1) | instskip(NEXT) | instid1(VALU_DEP_1)
	v_ldexp_f64 v[4:5], v[0:1], 0xffffffe0
	v_floor_f64_e32 v[4:5], v[4:5]
	s_delay_alu instid0(VALU_DEP_1) | instskip(SKIP_1) | instid1(VALU_DEP_2)
	v_fmamk_f64 v[6:7], v[4:5], 0xc1f00000, v[0:1]
	v_cvt_u32_f64_e32 v1, v[4:5]
	v_cvt_u32_f64_e32 v0, v[6:7]
	s_branch .LBB363_1245
.LBB363_1243:
	s_mov_b32 s21, -1
                                        ; implicit-def: $vgpr0_vgpr1
	s_branch .LBB363_1248
.LBB363_1244:
	s_mov_b32 s21, -1
                                        ; implicit-def: $vgpr0_vgpr1
.LBB363_1245:
	s_delay_alu instid0(SALU_CYCLE_1)
	s_and_not1_b32 vcc_lo, exec_lo, s21
	s_cbranch_vccnz .LBB363_1247
; %bb.1246:
	s_wait_loadcnt 0x0
	global_load_b32 v0, v[2:3], off
	s_wait_loadcnt 0x0
	v_trunc_f32_e32 v0, v0
	s_delay_alu instid0(VALU_DEP_1) | instskip(NEXT) | instid1(VALU_DEP_1)
	v_mul_f32_e32 v1, 0x2f800000, v0
	v_floor_f32_e32 v1, v1
	s_delay_alu instid0(VALU_DEP_1) | instskip(SKIP_1) | instid1(VALU_DEP_2)
	v_fmamk_f32 v0, v1, 0xcf800000, v0
	v_cvt_u32_f32_e32 v1, v1
	v_cvt_u32_f32_e32 v0, v0
.LBB363_1247:
	s_mov_b32 s21, 0
.LBB363_1248:
	s_delay_alu instid0(SALU_CYCLE_1)
	s_and_not1_b32 vcc_lo, exec_lo, s21
	s_cbranch_vccnz .LBB363_1250
; %bb.1249:
	s_wait_loadcnt 0x0
	global_load_u16 v0, v[2:3], off
	v_mov_b32_e32 v1, 0
	s_wait_loadcnt 0x0
	v_cvt_f32_f16_e32 v0, v0
	s_delay_alu instid0(VALU_DEP_1)
	v_cvt_u32_f32_e32 v0, v0
.LBB363_1250:
	s_cbranch_execnz .LBB363_1269
.LBB363_1251:
	s_sext_i32_i16 s21, s0
	s_delay_alu instid0(SALU_CYCLE_1)
	s_cmp_lt_i32 s21, 2
	s_cbranch_scc1 .LBB363_1255
; %bb.1252:
	s_cmp_lt_i32 s21, 3
	s_cbranch_scc1 .LBB363_1256
; %bb.1253:
	s_cmp_gt_i32 s21, 3
	s_cbranch_scc0 .LBB363_1257
; %bb.1254:
	s_wait_loadcnt 0x0
	global_load_b64 v[0:1], v[2:3], off
	s_mov_b32 s21, 0
	s_branch .LBB363_1258
.LBB363_1255:
                                        ; implicit-def: $vgpr0_vgpr1
	s_branch .LBB363_1264
.LBB363_1256:
	s_mov_b32 s21, -1
                                        ; implicit-def: $vgpr0_vgpr1
	s_branch .LBB363_1261
.LBB363_1257:
	s_mov_b32 s21, -1
                                        ; implicit-def: $vgpr0_vgpr1
.LBB363_1258:
	s_delay_alu instid0(SALU_CYCLE_1)
	s_and_not1_b32 vcc_lo, exec_lo, s21
	s_cbranch_vccnz .LBB363_1260
; %bb.1259:
	s_wait_loadcnt 0x0
	global_load_b32 v0, v[2:3], off
	s_wait_loadcnt 0x0
	v_ashrrev_i32_e32 v1, 31, v0
.LBB363_1260:
	s_mov_b32 s21, 0
.LBB363_1261:
	s_delay_alu instid0(SALU_CYCLE_1)
	s_and_not1_b32 vcc_lo, exec_lo, s21
	s_cbranch_vccnz .LBB363_1263
; %bb.1262:
	s_wait_loadcnt 0x0
	global_load_u16 v0, v[2:3], off
	s_wait_loadcnt 0x0
	v_bfe_i32 v0, v0, 0, 16
	s_delay_alu instid0(VALU_DEP_1)
	v_ashrrev_i32_e32 v1, 31, v0
.LBB363_1263:
	s_cbranch_execnz .LBB363_1269
.LBB363_1264:
	s_sext_i32_i16 s0, s0
	s_delay_alu instid0(SALU_CYCLE_1)
	s_cmp_gt_i32 s0, 0
	s_mov_b32 s0, 0
	s_cbranch_scc0 .LBB363_1266
; %bb.1265:
	s_wait_loadcnt 0x0
	global_load_i8 v0, v[2:3], off
	s_wait_loadcnt 0x0
	v_bfe_i32 v0, v0, 0, 16
	s_delay_alu instid0(VALU_DEP_1)
	v_ashrrev_i32_e32 v1, 31, v0
	s_branch .LBB363_1267
.LBB363_1266:
	s_mov_b32 s0, -1
                                        ; implicit-def: $vgpr0_vgpr1
.LBB363_1267:
	s_delay_alu instid0(SALU_CYCLE_1)
	s_and_not1_b32 vcc_lo, exec_lo, s0
	s_cbranch_vccnz .LBB363_1269
; %bb.1268:
	s_wait_loadcnt 0x0
	global_load_u8 v0, v[2:3], off
	s_mov_b32 s0, 0
	s_delay_alu instid0(SALU_CYCLE_1)
	v_mov_b32_e32 v1, s0
	s_wait_loadcnt 0x0
	v_and_b32_e32 v0, 0xffff, v0
.LBB363_1269:
	s_or_b32 s23, s23, exec_lo
.LBB363_1270:
	s_wait_xcnt 0x0
	s_or_b32 exec_lo, exec_lo, s20
	s_mov_b32 s22, 0
	s_mov_b32 s21, 0
	;; [unrolled: 1-line block ×3, first 2 shown]
                                        ; implicit-def: $sgpr0
                                        ; implicit-def: $vgpr2_vgpr3
                                        ; implicit-def: $vgpr4_vgpr5
	s_and_saveexec_b32 s20, s23
	s_cbranch_execz .LBB363_1278
; %bb.1271:
	v_mul_lo_u32 v2, v18, s10
	s_and_b32 s0, s1, 0xff
	s_delay_alu instid0(SALU_CYCLE_1) | instskip(NEXT) | instid1(VALU_DEP_1)
	s_cmp_lt_i32 s0, 11
	v_ashrrev_i32_e32 v3, 31, v2
	s_delay_alu instid0(VALU_DEP_1)
	v_add_nc_u64_e32 v[2:3], s[2:3], v[2:3]
	s_cbranch_scc1 .LBB363_1281
; %bb.1272:
	s_and_b32 s21, 0xffff, s0
	s_mov_b32 s23, 0
	s_cmp_gt_i32 s21, 25
	s_cbranch_scc0 .LBB363_1282
; %bb.1273:
	s_cmp_gt_i32 s21, 28
	s_cbranch_scc0 .LBB363_1283
; %bb.1274:
	;; [unrolled: 3-line block ×4, first 2 shown]
	s_cmp_eq_u32 s21, 46
	s_mov_b32 s25, 0
	s_cbranch_scc0 .LBB363_1286
; %bb.1277:
	s_wait_loadcnt 0x0
	global_load_b32 v4, v[2:3], off
	s_mov_b32 s24, -1
	s_wait_loadcnt 0x0
	v_lshlrev_b32_e32 v4, 16, v4
	s_delay_alu instid0(VALU_DEP_1) | instskip(NEXT) | instid1(VALU_DEP_1)
	v_trunc_f32_e32 v4, v4
	v_mul_f32_e32 v5, 0x2f800000, v4
	s_delay_alu instid0(VALU_DEP_1) | instskip(NEXT) | instid1(VALU_DEP_1)
	v_floor_f32_e32 v5, v5
	v_fmamk_f32 v4, v5, 0xcf800000, v4
	v_cvt_u32_f32_e32 v5, v5
	s_delay_alu instid0(VALU_DEP_2)
	v_cvt_u32_f32_e32 v4, v4
	s_branch .LBB363_1288
.LBB363_1278:
	s_or_b32 exec_lo, exec_lo, s20
	s_and_saveexec_b32 s20, s19
	s_cbranch_execnz .LBB363_1347
.LBB363_1279:
	s_or_b32 exec_lo, exec_lo, s20
	s_and_saveexec_b32 s19, s22
	s_delay_alu instid0(SALU_CYCLE_1)
	s_xor_b32 s19, exec_lo, s19
	s_cbranch_execz .LBB363_1348
.LBB363_1280:
	s_wait_loadcnt 0x0
	global_load_u8 v4, v[2:3], off
	s_mov_b32 s20, 0
	s_or_b32 s24, s24, exec_lo
	v_mov_b32_e32 v5, s20
	s_wait_loadcnt 0x0
	v_cmp_ne_u16_e32 vcc_lo, 0, v4
	v_cndmask_b32_e64 v4, 0, 1, vcc_lo
	s_wait_xcnt 0x0
	s_or_b32 exec_lo, exec_lo, s19
	s_and_saveexec_b32 s19, s21
	s_cbranch_execz .LBB363_1394
	s_branch .LBB363_1349
.LBB363_1281:
	s_mov_b32 s21, -1
	s_mov_b32 s23, 0
	s_mov_b32 s22, s19
                                        ; implicit-def: $vgpr4_vgpr5
	s_branch .LBB363_1346
.LBB363_1282:
	s_mov_b32 s22, s19
                                        ; implicit-def: $vgpr4_vgpr5
	s_cbranch_execnz .LBB363_1315
	s_branch .LBB363_1345
.LBB363_1283:
	s_mov_b32 s25, -1
	s_mov_b32 s22, s19
                                        ; implicit-def: $vgpr4_vgpr5
	s_branch .LBB363_1298
.LBB363_1284:
	s_mov_b32 s25, -1
	s_mov_b32 s22, s19
                                        ; implicit-def: $vgpr4_vgpr5
	s_branch .LBB363_1293
.LBB363_1285:
	s_mov_b32 s25, -1
	s_mov_b32 s22, s19
	s_branch .LBB363_1287
.LBB363_1286:
	s_mov_b32 s22, -1
.LBB363_1287:
                                        ; implicit-def: $vgpr4_vgpr5
.LBB363_1288:
	s_and_b32 vcc_lo, exec_lo, s25
	s_cbranch_vccz .LBB363_1292
; %bb.1289:
	s_cmp_eq_u32 s21, 44
	s_cbranch_scc0 .LBB363_1291
; %bb.1290:
	s_wait_loadcnt 0x0
	global_load_u8 v4, v[2:3], off
	s_mov_b32 s22, 0
	s_mov_b32 s24, -1
	s_wait_loadcnt 0x0
	v_cmp_ne_u32_e32 vcc_lo, 0, v4
	v_lshlrev_b32_e32 v5, 23, v4
	s_delay_alu instid0(VALU_DEP_1) | instskip(NEXT) | instid1(VALU_DEP_1)
	v_trunc_f32_e32 v5, v5
	v_mul_f32_e32 v6, 0x2f800000, v5
	s_delay_alu instid0(VALU_DEP_1) | instskip(NEXT) | instid1(VALU_DEP_1)
	v_floor_f32_e32 v6, v6
	v_fmamk_f32 v5, v6, 0xcf800000, v5
	v_cvt_u32_f32_e32 v6, v6
	s_delay_alu instid0(VALU_DEP_2) | instskip(NEXT) | instid1(VALU_DEP_1)
	v_cvt_u32_f32_e32 v7, v5
	v_dual_cndmask_b32 v5, 0, v6 :: v_dual_cndmask_b32 v4, 0, v7
	s_branch .LBB363_1292
.LBB363_1291:
	s_mov_b32 s22, -1
                                        ; implicit-def: $vgpr4_vgpr5
.LBB363_1292:
	s_mov_b32 s25, 0
.LBB363_1293:
	s_delay_alu instid0(SALU_CYCLE_1)
	s_and_b32 vcc_lo, exec_lo, s25
	s_cbranch_vccz .LBB363_1297
; %bb.1294:
	s_cmp_eq_u32 s21, 29
	s_cbranch_scc0 .LBB363_1296
; %bb.1295:
	s_wait_loadcnt 0x0
	global_load_b64 v[4:5], v[2:3], off
	s_mov_b32 s22, 0
	s_mov_b32 s24, -1
	s_branch .LBB363_1297
.LBB363_1296:
	s_mov_b32 s22, -1
                                        ; implicit-def: $vgpr4_vgpr5
.LBB363_1297:
	s_mov_b32 s25, 0
.LBB363_1298:
	s_delay_alu instid0(SALU_CYCLE_1)
	s_and_b32 vcc_lo, exec_lo, s25
	s_cbranch_vccz .LBB363_1314
; %bb.1299:
	s_cmp_lt_i32 s21, 27
	s_cbranch_scc1 .LBB363_1302
; %bb.1300:
	s_cmp_gt_i32 s21, 27
	s_cbranch_scc0 .LBB363_1303
; %bb.1301:
	s_wait_loadcnt 0x0
	global_load_b32 v4, v[2:3], off
	v_mov_b32_e32 v5, 0
	s_mov_b32 s24, 0
	s_branch .LBB363_1304
.LBB363_1302:
	s_mov_b32 s24, -1
                                        ; implicit-def: $vgpr4_vgpr5
	s_branch .LBB363_1307
.LBB363_1303:
	s_mov_b32 s24, -1
                                        ; implicit-def: $vgpr4_vgpr5
.LBB363_1304:
	s_delay_alu instid0(SALU_CYCLE_1)
	s_and_not1_b32 vcc_lo, exec_lo, s24
	s_cbranch_vccnz .LBB363_1306
; %bb.1305:
	s_wait_loadcnt 0x0
	global_load_u16 v4, v[2:3], off
	s_mov_b32 s24, 0
	s_delay_alu instid0(SALU_CYCLE_1)
	v_mov_b32_e32 v5, s24
	s_wait_loadcnt 0x0
	v_and_b32_e32 v4, 0xffff, v4
.LBB363_1306:
	s_mov_b32 s24, 0
.LBB363_1307:
	s_delay_alu instid0(SALU_CYCLE_1)
	s_and_not1_b32 vcc_lo, exec_lo, s24
	s_cbranch_vccnz .LBB363_1313
; %bb.1308:
	global_load_u8 v6, v[2:3], off
	s_mov_b32 s25, 0
	s_mov_b32 s24, exec_lo
	s_wait_loadcnt 0x0
	v_cmpx_lt_i16_e32 0x7f, v6
	s_xor_b32 s24, exec_lo, s24
	s_cbranch_execz .LBB363_1324
; %bb.1309:
	v_cmp_ne_u16_e32 vcc_lo, 0x80, v6
	s_and_b32 s25, vcc_lo, exec_lo
	s_and_not1_saveexec_b32 s24, s24
	s_cbranch_execnz .LBB363_1325
.LBB363_1310:
	s_or_b32 exec_lo, exec_lo, s24
	v_mov_b64_e32 v[4:5], 0
	s_and_saveexec_b32 s24, s25
	s_cbranch_execz .LBB363_1312
.LBB363_1311:
	v_and_b32_e32 v4, 0xffff, v6
	s_delay_alu instid0(VALU_DEP_1) | instskip(SKIP_1) | instid1(VALU_DEP_2)
	v_and_b32_e32 v5, 7, v4
	v_bfe_u32 v9, v4, 3, 4
	v_clz_i32_u32_e32 v7, v5
	s_delay_alu instid0(VALU_DEP_2) | instskip(NEXT) | instid1(VALU_DEP_2)
	v_cmp_eq_u32_e32 vcc_lo, 0, v9
	v_min_u32_e32 v7, 32, v7
	s_delay_alu instid0(VALU_DEP_1) | instskip(NEXT) | instid1(VALU_DEP_1)
	v_subrev_nc_u32_e32 v8, 28, v7
	v_dual_lshlrev_b32 v4, v8, v4 :: v_dual_sub_nc_u32 v7, 29, v7
	s_delay_alu instid0(VALU_DEP_1) | instskip(NEXT) | instid1(VALU_DEP_2)
	v_dual_lshlrev_b32 v6, 24, v6 :: v_dual_bitop2_b32 v4, 7, v4 bitop3:0x40
	v_cndmask_b32_e32 v7, v9, v7, vcc_lo
	s_delay_alu instid0(VALU_DEP_2) | instskip(NEXT) | instid1(VALU_DEP_3)
	v_cndmask_b32_e32 v4, v5, v4, vcc_lo
	v_and_b32_e32 v5, 0x80000000, v6
	s_delay_alu instid0(VALU_DEP_3) | instskip(NEXT) | instid1(VALU_DEP_3)
	v_lshl_add_u32 v6, v7, 23, 0x3b800000
	v_lshlrev_b32_e32 v4, 20, v4
	s_delay_alu instid0(VALU_DEP_1) | instskip(NEXT) | instid1(VALU_DEP_1)
	v_or3_b32 v4, v5, v6, v4
	v_trunc_f32_e32 v4, v4
	s_delay_alu instid0(VALU_DEP_1) | instskip(NEXT) | instid1(VALU_DEP_1)
	v_mul_f32_e32 v5, 0x2f800000, v4
	v_floor_f32_e32 v5, v5
	s_delay_alu instid0(VALU_DEP_1) | instskip(SKIP_1) | instid1(VALU_DEP_2)
	v_fmamk_f32 v4, v5, 0xcf800000, v4
	v_cvt_u32_f32_e32 v5, v5
	v_cvt_u32_f32_e32 v4, v4
.LBB363_1312:
	s_or_b32 exec_lo, exec_lo, s24
.LBB363_1313:
	s_mov_b32 s24, -1
.LBB363_1314:
	s_branch .LBB363_1345
.LBB363_1315:
	s_cmp_gt_i32 s21, 22
	s_cbranch_scc0 .LBB363_1323
; %bb.1316:
	s_cmp_lt_i32 s21, 24
	s_cbranch_scc1 .LBB363_1326
; %bb.1317:
	s_cmp_gt_i32 s21, 24
	s_cbranch_scc0 .LBB363_1327
; %bb.1318:
	global_load_u8 v6, v[2:3], off
	s_mov_b32 s24, 0
	s_mov_b32 s23, exec_lo
	s_wait_loadcnt 0x0
	v_cmpx_lt_i16_e32 0x7f, v6
	s_xor_b32 s23, exec_lo, s23
	s_cbranch_execz .LBB363_1339
; %bb.1319:
	v_cmp_ne_u16_e32 vcc_lo, 0x80, v6
	s_and_b32 s24, vcc_lo, exec_lo
	s_and_not1_saveexec_b32 s23, s23
	s_cbranch_execnz .LBB363_1340
.LBB363_1320:
	s_or_b32 exec_lo, exec_lo, s23
	v_mov_b64_e32 v[4:5], 0
	s_and_saveexec_b32 s23, s24
	s_cbranch_execz .LBB363_1322
.LBB363_1321:
	v_and_b32_e32 v4, 0xffff, v6
	s_delay_alu instid0(VALU_DEP_1) | instskip(SKIP_1) | instid1(VALU_DEP_2)
	v_and_b32_e32 v5, 3, v4
	v_bfe_u32 v9, v4, 2, 5
	v_clz_i32_u32_e32 v7, v5
	s_delay_alu instid0(VALU_DEP_2) | instskip(NEXT) | instid1(VALU_DEP_2)
	v_cmp_eq_u32_e32 vcc_lo, 0, v9
	v_min_u32_e32 v7, 32, v7
	s_delay_alu instid0(VALU_DEP_1) | instskip(NEXT) | instid1(VALU_DEP_1)
	v_subrev_nc_u32_e32 v8, 29, v7
	v_dual_lshlrev_b32 v4, v8, v4 :: v_dual_sub_nc_u32 v7, 30, v7
	s_delay_alu instid0(VALU_DEP_1) | instskip(NEXT) | instid1(VALU_DEP_2)
	v_dual_lshlrev_b32 v6, 24, v6 :: v_dual_bitop2_b32 v4, 3, v4 bitop3:0x40
	v_cndmask_b32_e32 v7, v9, v7, vcc_lo
	s_delay_alu instid0(VALU_DEP_2) | instskip(NEXT) | instid1(VALU_DEP_3)
	v_cndmask_b32_e32 v4, v5, v4, vcc_lo
	v_and_b32_e32 v5, 0x80000000, v6
	s_delay_alu instid0(VALU_DEP_3) | instskip(NEXT) | instid1(VALU_DEP_3)
	v_lshl_add_u32 v6, v7, 23, 0x37800000
	v_lshlrev_b32_e32 v4, 21, v4
	s_delay_alu instid0(VALU_DEP_1) | instskip(NEXT) | instid1(VALU_DEP_1)
	v_or3_b32 v4, v5, v6, v4
	v_trunc_f32_e32 v4, v4
	s_delay_alu instid0(VALU_DEP_1) | instskip(NEXT) | instid1(VALU_DEP_1)
	v_mul_f32_e32 v5, 0x2f800000, v4
	v_floor_f32_e32 v5, v5
	s_delay_alu instid0(VALU_DEP_1) | instskip(SKIP_1) | instid1(VALU_DEP_2)
	v_fmamk_f32 v4, v5, 0xcf800000, v4
	v_cvt_u32_f32_e32 v5, v5
	v_cvt_u32_f32_e32 v4, v4
.LBB363_1322:
	s_or_b32 exec_lo, exec_lo, s23
	s_mov_b32 s23, 0
	s_branch .LBB363_1328
.LBB363_1323:
	s_mov_b32 s23, -1
                                        ; implicit-def: $vgpr4_vgpr5
	s_branch .LBB363_1334
.LBB363_1324:
	s_and_not1_saveexec_b32 s24, s24
	s_cbranch_execz .LBB363_1310
.LBB363_1325:
	v_cmp_ne_u16_e32 vcc_lo, 0, v6
	s_and_not1_b32 s25, s25, exec_lo
	s_and_b32 s26, vcc_lo, exec_lo
	s_delay_alu instid0(SALU_CYCLE_1)
	s_or_b32 s25, s25, s26
	s_or_b32 exec_lo, exec_lo, s24
	v_mov_b64_e32 v[4:5], 0
	s_and_saveexec_b32 s24, s25
	s_cbranch_execnz .LBB363_1311
	s_branch .LBB363_1312
.LBB363_1326:
	s_mov_b32 s23, -1
                                        ; implicit-def: $vgpr4_vgpr5
	s_branch .LBB363_1331
.LBB363_1327:
	s_mov_b32 s23, -1
                                        ; implicit-def: $vgpr4_vgpr5
.LBB363_1328:
	s_delay_alu instid0(SALU_CYCLE_1)
	s_and_b32 vcc_lo, exec_lo, s23
	s_cbranch_vccz .LBB363_1330
; %bb.1329:
	s_wait_loadcnt 0x0
	global_load_u8 v4, v[2:3], off
	s_wait_loadcnt 0x0
	v_lshlrev_b32_e32 v4, 24, v4
	s_delay_alu instid0(VALU_DEP_1) | instskip(NEXT) | instid1(VALU_DEP_1)
	v_and_b32_e32 v5, 0x7f000000, v4
	v_clz_i32_u32_e32 v6, v5
	v_cmp_ne_u32_e32 vcc_lo, 0, v5
	v_add_nc_u32_e32 v8, 0x1000000, v5
	s_delay_alu instid0(VALU_DEP_3) | instskip(NEXT) | instid1(VALU_DEP_1)
	v_min_u32_e32 v6, 32, v6
	v_sub_nc_u32_e64 v6, v6, 4 clamp
	s_delay_alu instid0(VALU_DEP_1) | instskip(NEXT) | instid1(VALU_DEP_1)
	v_dual_lshlrev_b32 v7, v6, v5 :: v_dual_lshlrev_b32 v6, 23, v6
	v_lshrrev_b32_e32 v7, 4, v7
	s_delay_alu instid0(VALU_DEP_1) | instskip(NEXT) | instid1(VALU_DEP_1)
	v_dual_sub_nc_u32 v6, v7, v6 :: v_dual_ashrrev_i32 v7, 8, v8
	v_add_nc_u32_e32 v6, 0x3c000000, v6
	s_delay_alu instid0(VALU_DEP_1) | instskip(NEXT) | instid1(VALU_DEP_1)
	v_and_or_b32 v6, 0x7f800000, v7, v6
	v_cndmask_b32_e32 v5, 0, v6, vcc_lo
	s_delay_alu instid0(VALU_DEP_1) | instskip(NEXT) | instid1(VALU_DEP_1)
	v_and_or_b32 v4, 0x80000000, v4, v5
	v_trunc_f32_e32 v4, v4
	s_delay_alu instid0(VALU_DEP_1) | instskip(NEXT) | instid1(VALU_DEP_1)
	v_mul_f32_e32 v5, 0x2f800000, v4
	v_floor_f32_e32 v5, v5
	s_delay_alu instid0(VALU_DEP_1) | instskip(SKIP_1) | instid1(VALU_DEP_2)
	v_fmamk_f32 v4, v5, 0xcf800000, v4
	v_cvt_u32_f32_e32 v5, v5
	v_cvt_u32_f32_e32 v4, v4
.LBB363_1330:
	s_mov_b32 s23, 0
.LBB363_1331:
	s_delay_alu instid0(SALU_CYCLE_1)
	s_and_not1_b32 vcc_lo, exec_lo, s23
	s_cbranch_vccnz .LBB363_1333
; %bb.1332:
	s_wait_loadcnt 0x0
	global_load_u8 v4, v[2:3], off
	s_wait_loadcnt 0x0
	v_lshlrev_b32_e32 v5, 25, v4
	v_lshlrev_b16 v4, 8, v4
	s_delay_alu instid0(VALU_DEP_1) | instskip(SKIP_1) | instid1(VALU_DEP_2)
	v_and_or_b32 v7, 0x7f00, v4, 0.5
	v_bfe_i32 v4, v4, 0, 16
	v_dual_add_f32 v7, -0.5, v7 :: v_dual_lshrrev_b32 v6, 4, v5
	v_cmp_gt_u32_e32 vcc_lo, 0x8000000, v5
	s_delay_alu instid0(VALU_DEP_2) | instskip(NEXT) | instid1(VALU_DEP_1)
	v_or_b32_e32 v6, 0x70000000, v6
	v_mul_f32_e32 v6, 0x7800000, v6
	s_delay_alu instid0(VALU_DEP_1) | instskip(NEXT) | instid1(VALU_DEP_1)
	v_cndmask_b32_e32 v5, v6, v7, vcc_lo
	v_and_or_b32 v4, 0x80000000, v4, v5
	s_delay_alu instid0(VALU_DEP_1) | instskip(NEXT) | instid1(VALU_DEP_1)
	v_trunc_f32_e32 v4, v4
	v_mul_f32_e32 v5, 0x2f800000, v4
	s_delay_alu instid0(VALU_DEP_1) | instskip(NEXT) | instid1(VALU_DEP_1)
	v_floor_f32_e32 v5, v5
	v_fmamk_f32 v4, v5, 0xcf800000, v4
	v_cvt_u32_f32_e32 v5, v5
	s_delay_alu instid0(VALU_DEP_2)
	v_cvt_u32_f32_e32 v4, v4
.LBB363_1333:
	s_mov_b32 s23, 0
	s_mov_b32 s24, -1
.LBB363_1334:
	s_and_not1_b32 vcc_lo, exec_lo, s23
	s_mov_b32 s23, 0
	s_cbranch_vccnz .LBB363_1345
; %bb.1335:
	s_cmp_gt_i32 s21, 14
	s_cbranch_scc0 .LBB363_1338
; %bb.1336:
	s_cmp_eq_u32 s21, 15
	s_cbranch_scc0 .LBB363_1341
; %bb.1337:
	s_wait_loadcnt 0x0
	global_load_u16 v4, v[2:3], off
	s_mov_b32 s22, 0
	s_mov_b32 s24, -1
	s_wait_loadcnt 0x0
	v_lshlrev_b32_e32 v4, 16, v4
	s_delay_alu instid0(VALU_DEP_1) | instskip(NEXT) | instid1(VALU_DEP_1)
	v_trunc_f32_e32 v4, v4
	v_mul_f32_e32 v5, 0x2f800000, v4
	s_delay_alu instid0(VALU_DEP_1) | instskip(NEXT) | instid1(VALU_DEP_1)
	v_floor_f32_e32 v5, v5
	v_fmamk_f32 v4, v5, 0xcf800000, v4
	v_cvt_u32_f32_e32 v5, v5
	s_delay_alu instid0(VALU_DEP_2)
	v_cvt_u32_f32_e32 v4, v4
	s_branch .LBB363_1343
.LBB363_1338:
	s_mov_b32 s23, -1
	s_branch .LBB363_1342
.LBB363_1339:
	s_and_not1_saveexec_b32 s23, s23
	s_cbranch_execz .LBB363_1320
.LBB363_1340:
	v_cmp_ne_u16_e32 vcc_lo, 0, v6
	s_and_not1_b32 s24, s24, exec_lo
	s_and_b32 s25, vcc_lo, exec_lo
	s_delay_alu instid0(SALU_CYCLE_1)
	s_or_b32 s24, s24, s25
	s_or_b32 exec_lo, exec_lo, s23
	v_mov_b64_e32 v[4:5], 0
	s_and_saveexec_b32 s23, s24
	s_cbranch_execnz .LBB363_1321
	s_branch .LBB363_1322
.LBB363_1341:
	s_mov_b32 s22, -1
.LBB363_1342:
                                        ; implicit-def: $vgpr4_vgpr5
.LBB363_1343:
	s_and_b32 vcc_lo, exec_lo, s23
	s_mov_b32 s23, 0
	s_cbranch_vccz .LBB363_1345
; %bb.1344:
	s_cmp_lg_u32 s21, 11
	s_mov_b32 s23, -1
	s_cselect_b32 s21, -1, 0
	s_and_not1_b32 s22, s22, exec_lo
	s_and_b32 s21, s21, exec_lo
	s_delay_alu instid0(SALU_CYCLE_1)
	s_or_b32 s22, s22, s21
.LBB363_1345:
	s_mov_b32 s21, 0
.LBB363_1346:
	s_and_not1_b32 s19, s19, exec_lo
	s_and_b32 s25, s22, exec_lo
	s_and_b32 s24, s24, exec_lo
	;; [unrolled: 1-line block ×4, first 2 shown]
	s_or_b32 s19, s19, s25
	s_wait_xcnt 0x0
	s_or_b32 exec_lo, exec_lo, s20
	s_and_saveexec_b32 s20, s19
	s_cbranch_execz .LBB363_1279
.LBB363_1347:
	s_or_b32 s17, s17, exec_lo
	s_and_not1_b32 s22, s22, exec_lo
	s_trap 2
	s_or_b32 exec_lo, exec_lo, s20
	s_and_saveexec_b32 s19, s22
	s_delay_alu instid0(SALU_CYCLE_1)
	s_xor_b32 s19, exec_lo, s19
	s_cbranch_execnz .LBB363_1280
.LBB363_1348:
	s_or_b32 exec_lo, exec_lo, s19
	s_and_saveexec_b32 s19, s21
	s_cbranch_execz .LBB363_1394
.LBB363_1349:
	s_sext_i32_i16 s20, s0
	s_delay_alu instid0(SALU_CYCLE_1)
	s_cmp_lt_i32 s20, 5
	s_cbranch_scc1 .LBB363_1354
; %bb.1350:
	s_cmp_lt_i32 s20, 8
	s_cbranch_scc1 .LBB363_1355
; %bb.1351:
	;; [unrolled: 3-line block ×3, first 2 shown]
	s_cmp_gt_i32 s20, 9
	s_cbranch_scc0 .LBB363_1357
; %bb.1353:
	s_wait_loadcnt 0x0
	global_load_b64 v[4:5], v[2:3], off
	s_mov_b32 s20, 0
	s_wait_loadcnt 0x0
	v_trunc_f64_e32 v[4:5], v[4:5]
	s_delay_alu instid0(VALU_DEP_1) | instskip(NEXT) | instid1(VALU_DEP_1)
	v_ldexp_f64 v[6:7], v[4:5], 0xffffffe0
	v_floor_f64_e32 v[6:7], v[6:7]
	s_delay_alu instid0(VALU_DEP_1) | instskip(SKIP_1) | instid1(VALU_DEP_2)
	v_fmamk_f64 v[8:9], v[6:7], 0xc1f00000, v[4:5]
	v_cvt_u32_f64_e32 v5, v[6:7]
	v_cvt_u32_f64_e32 v4, v[8:9]
	s_branch .LBB363_1358
.LBB363_1354:
                                        ; implicit-def: $vgpr4_vgpr5
	s_branch .LBB363_1375
.LBB363_1355:
                                        ; implicit-def: $vgpr4_vgpr5
	s_branch .LBB363_1364
.LBB363_1356:
	s_mov_b32 s20, -1
                                        ; implicit-def: $vgpr4_vgpr5
	s_branch .LBB363_1361
.LBB363_1357:
	s_mov_b32 s20, -1
                                        ; implicit-def: $vgpr4_vgpr5
.LBB363_1358:
	s_delay_alu instid0(SALU_CYCLE_1)
	s_and_not1_b32 vcc_lo, exec_lo, s20
	s_cbranch_vccnz .LBB363_1360
; %bb.1359:
	s_wait_loadcnt 0x0
	global_load_b32 v4, v[2:3], off
	s_wait_loadcnt 0x0
	v_trunc_f32_e32 v4, v4
	s_delay_alu instid0(VALU_DEP_1) | instskip(NEXT) | instid1(VALU_DEP_1)
	v_mul_f32_e32 v5, 0x2f800000, v4
	v_floor_f32_e32 v5, v5
	s_delay_alu instid0(VALU_DEP_1) | instskip(SKIP_1) | instid1(VALU_DEP_2)
	v_fmamk_f32 v4, v5, 0xcf800000, v4
	v_cvt_u32_f32_e32 v5, v5
	v_cvt_u32_f32_e32 v4, v4
.LBB363_1360:
	s_mov_b32 s20, 0
.LBB363_1361:
	s_delay_alu instid0(SALU_CYCLE_1)
	s_and_not1_b32 vcc_lo, exec_lo, s20
	s_cbranch_vccnz .LBB363_1363
; %bb.1362:
	s_wait_loadcnt 0x0
	global_load_b32 v4, v[2:3], off
	v_mov_b32_e32 v5, 0
	s_wait_loadcnt 0x0
	v_cvt_f32_f16_e32 v4, v4
	s_delay_alu instid0(VALU_DEP_1)
	v_cvt_u32_f32_e32 v4, v4
.LBB363_1363:
	s_cbranch_execnz .LBB363_1374
.LBB363_1364:
	s_sext_i32_i16 s20, s0
	s_delay_alu instid0(SALU_CYCLE_1)
	s_cmp_lt_i32 s20, 6
	s_cbranch_scc1 .LBB363_1367
; %bb.1365:
	s_cmp_gt_i32 s20, 6
	s_cbranch_scc0 .LBB363_1368
; %bb.1366:
	s_wait_loadcnt 0x0
	global_load_b64 v[4:5], v[2:3], off
	s_mov_b32 s20, 0
	s_wait_loadcnt 0x0
	v_trunc_f64_e32 v[4:5], v[4:5]
	s_delay_alu instid0(VALU_DEP_1) | instskip(NEXT) | instid1(VALU_DEP_1)
	v_ldexp_f64 v[6:7], v[4:5], 0xffffffe0
	v_floor_f64_e32 v[6:7], v[6:7]
	s_delay_alu instid0(VALU_DEP_1) | instskip(SKIP_1) | instid1(VALU_DEP_2)
	v_fmamk_f64 v[8:9], v[6:7], 0xc1f00000, v[4:5]
	v_cvt_u32_f64_e32 v5, v[6:7]
	v_cvt_u32_f64_e32 v4, v[8:9]
	s_branch .LBB363_1369
.LBB363_1367:
	s_mov_b32 s20, -1
                                        ; implicit-def: $vgpr4_vgpr5
	s_branch .LBB363_1372
.LBB363_1368:
	s_mov_b32 s20, -1
                                        ; implicit-def: $vgpr4_vgpr5
.LBB363_1369:
	s_delay_alu instid0(SALU_CYCLE_1)
	s_and_not1_b32 vcc_lo, exec_lo, s20
	s_cbranch_vccnz .LBB363_1371
; %bb.1370:
	s_wait_loadcnt 0x0
	global_load_b32 v4, v[2:3], off
	s_wait_loadcnt 0x0
	v_trunc_f32_e32 v4, v4
	s_delay_alu instid0(VALU_DEP_1) | instskip(NEXT) | instid1(VALU_DEP_1)
	v_mul_f32_e32 v5, 0x2f800000, v4
	v_floor_f32_e32 v5, v5
	s_delay_alu instid0(VALU_DEP_1) | instskip(SKIP_1) | instid1(VALU_DEP_2)
	v_fmamk_f32 v4, v5, 0xcf800000, v4
	v_cvt_u32_f32_e32 v5, v5
	v_cvt_u32_f32_e32 v4, v4
.LBB363_1371:
	s_mov_b32 s20, 0
.LBB363_1372:
	s_delay_alu instid0(SALU_CYCLE_1)
	s_and_not1_b32 vcc_lo, exec_lo, s20
	s_cbranch_vccnz .LBB363_1374
; %bb.1373:
	s_wait_loadcnt 0x0
	global_load_u16 v4, v[2:3], off
	v_mov_b32_e32 v5, 0
	s_wait_loadcnt 0x0
	v_cvt_f32_f16_e32 v4, v4
	s_delay_alu instid0(VALU_DEP_1)
	v_cvt_u32_f32_e32 v4, v4
.LBB363_1374:
	s_cbranch_execnz .LBB363_1393
.LBB363_1375:
	s_sext_i32_i16 s20, s0
	s_delay_alu instid0(SALU_CYCLE_1)
	s_cmp_lt_i32 s20, 2
	s_cbranch_scc1 .LBB363_1379
; %bb.1376:
	s_cmp_lt_i32 s20, 3
	s_cbranch_scc1 .LBB363_1380
; %bb.1377:
	s_cmp_gt_i32 s20, 3
	s_cbranch_scc0 .LBB363_1381
; %bb.1378:
	s_wait_loadcnt 0x0
	global_load_b64 v[4:5], v[2:3], off
	s_mov_b32 s20, 0
	s_branch .LBB363_1382
.LBB363_1379:
                                        ; implicit-def: $vgpr4_vgpr5
	s_branch .LBB363_1388
.LBB363_1380:
	s_mov_b32 s20, -1
                                        ; implicit-def: $vgpr4_vgpr5
	s_branch .LBB363_1385
.LBB363_1381:
	s_mov_b32 s20, -1
                                        ; implicit-def: $vgpr4_vgpr5
.LBB363_1382:
	s_delay_alu instid0(SALU_CYCLE_1)
	s_and_not1_b32 vcc_lo, exec_lo, s20
	s_cbranch_vccnz .LBB363_1384
; %bb.1383:
	s_wait_loadcnt 0x0
	global_load_b32 v4, v[2:3], off
	s_wait_loadcnt 0x0
	v_ashrrev_i32_e32 v5, 31, v4
.LBB363_1384:
	s_mov_b32 s20, 0
.LBB363_1385:
	s_delay_alu instid0(SALU_CYCLE_1)
	s_and_not1_b32 vcc_lo, exec_lo, s20
	s_cbranch_vccnz .LBB363_1387
; %bb.1386:
	s_wait_loadcnt 0x0
	global_load_u16 v4, v[2:3], off
	s_wait_loadcnt 0x0
	v_bfe_i32 v4, v4, 0, 16
	s_delay_alu instid0(VALU_DEP_1)
	v_ashrrev_i32_e32 v5, 31, v4
.LBB363_1387:
	s_cbranch_execnz .LBB363_1393
.LBB363_1388:
	s_sext_i32_i16 s0, s0
	s_delay_alu instid0(SALU_CYCLE_1)
	s_cmp_gt_i32 s0, 0
	s_mov_b32 s0, 0
	s_cbranch_scc0 .LBB363_1390
; %bb.1389:
	s_wait_loadcnt 0x0
	global_load_i8 v4, v[2:3], off
	s_wait_loadcnt 0x0
	v_bfe_i32 v4, v4, 0, 16
	s_delay_alu instid0(VALU_DEP_1)
	v_ashrrev_i32_e32 v5, 31, v4
	s_branch .LBB363_1391
.LBB363_1390:
	s_mov_b32 s0, -1
                                        ; implicit-def: $vgpr4_vgpr5
.LBB363_1391:
	s_delay_alu instid0(SALU_CYCLE_1)
	s_and_not1_b32 vcc_lo, exec_lo, s0
	s_cbranch_vccnz .LBB363_1393
; %bb.1392:
	global_load_u8 v2, v[2:3], off
	s_mov_b32 s0, 0
	s_wait_loadcnt 0x1
	v_mov_b32_e32 v5, s0
	s_wait_loadcnt 0x0
	v_and_b32_e32 v4, 0xffff, v2
.LBB363_1393:
	s_or_b32 s24, s24, exec_lo
.LBB363_1394:
	s_wait_xcnt 0x0
	s_or_b32 exec_lo, exec_lo, s19
	s_mov_b32 s0, 0
	s_mov_b32 s22, 0
                                        ; implicit-def: $sgpr19
                                        ; implicit-def: $sgpr20
                                        ; implicit-def: $vgpr2_vgpr3
	s_and_saveexec_b32 s21, s24
	s_cbranch_execz .LBB363_1402
; %bb.1395:
	v_mul_lo_u32 v2, v18, s8
	s_wait_loadcnt 0x0
	s_delay_alu instid0(VALU_DEP_2) | instskip(SKIP_3) | instid1(VALU_DEP_2)
	v_cmp_ne_u64_e32 vcc_lo, v[0:1], v[4:5]
	s_and_b32 s20, s12, 0xff
	s_xor_b32 s19, s16, vcc_lo
	s_cmp_lt_i32 s20, 11
	v_ashrrev_i32_e32 v3, 31, v2
	s_delay_alu instid0(VALU_DEP_1)
	v_add_nc_u64_e32 v[2:3], s[4:5], v[2:3]
	s_cbranch_scc1 .LBB363_1405
; %bb.1396:
	s_and_b32 s16, 0xffff, s20
	s_mov_b32 s22, -1
	s_cmp_gt_i32 s16, 25
	s_mov_b32 s0, s18
	s_cbranch_scc0 .LBB363_1433
; %bb.1397:
	s_cmp_gt_i32 s16, 28
	s_mov_b32 s0, s18
	s_cbranch_scc0 .LBB363_1417
; %bb.1398:
	;; [unrolled: 4-line block ×4, first 2 shown]
	s_cmp_eq_u32 s16, 46
	s_mov_b32 s0, -1
	s_cbranch_scc0 .LBB363_1406
; %bb.1401:
	v_cndmask_b32_e64 v0, 0, 1.0, s19
	s_mov_b32 s0, 0
	s_mov_b32 s22, 0
	s_delay_alu instid0(VALU_DEP_1) | instskip(NEXT) | instid1(VALU_DEP_1)
	v_bfe_u32 v1, v0, 16, 1
	v_add3_u32 v0, v0, v1, 0x7fff
	s_delay_alu instid0(VALU_DEP_1)
	v_lshrrev_b32_e32 v0, 16, v0
	global_store_b32 v[2:3], v0, off
	s_branch .LBB363_1407
.LBB363_1402:
	s_or_b32 exec_lo, exec_lo, s21
	s_and_saveexec_b32 s16, s18
	s_cbranch_execnz .LBB363_1475
.LBB363_1403:
	s_or_b32 exec_lo, exec_lo, s16
	s_and_saveexec_b32 s16, s0
	s_delay_alu instid0(SALU_CYCLE_1)
	s_xor_b32 s0, exec_lo, s16
	s_cbranch_execz .LBB363_1476
.LBB363_1404:
	s_wait_loadcnt 0x0
	v_cndmask_b32_e64 v0, 0, 1, s19
	global_store_b8 v[2:3], v0, off
	s_wait_xcnt 0x0
	s_or_b32 exec_lo, exec_lo, s0
	s_and_saveexec_b32 s0, s22
	s_delay_alu instid0(SALU_CYCLE_1)
	s_xor_b32 s0, exec_lo, s0
	s_cbranch_execz .LBB363_1514
	s_branch .LBB363_1477
.LBB363_1405:
	s_mov_b32 s23, 0
	s_mov_b32 s22, -1
	s_mov_b32 s0, s18
	s_branch .LBB363_1474
.LBB363_1406:
	s_mov_b32 s22, 0
.LBB363_1407:
	s_delay_alu instid0(SALU_CYCLE_1)
	s_and_b32 vcc_lo, exec_lo, s22
	s_cbranch_vccz .LBB363_1412
; %bb.1408:
	s_cmp_eq_u32 s16, 44
	s_mov_b32 s0, -1
	s_cbranch_scc0 .LBB363_1412
; %bb.1409:
	v_cndmask_b32_e64 v4, 0, 1.0, s19
	s_mov_b32 s22, exec_lo
	s_wait_xcnt 0x0
	s_delay_alu instid0(VALU_DEP_1) | instskip(NEXT) | instid1(VALU_DEP_1)
	v_dual_mov_b32 v1, 0xff :: v_dual_lshrrev_b32 v0, 23, v4
	v_cmpx_ne_u32_e32 0xff, v0
; %bb.1410:
	v_and_b32_e32 v1, 0x400000, v4
	v_and_or_b32 v4, 0x3fffff, v4, v0
	s_delay_alu instid0(VALU_DEP_2) | instskip(NEXT) | instid1(VALU_DEP_2)
	v_cmp_ne_u32_e32 vcc_lo, 0, v1
	v_cmp_ne_u32_e64 s0, 0, v4
	s_and_b32 s0, vcc_lo, s0
	s_delay_alu instid0(SALU_CYCLE_1) | instskip(NEXT) | instid1(VALU_DEP_1)
	v_cndmask_b32_e64 v1, 0, 1, s0
	v_add_nc_u32_e32 v1, v0, v1
; %bb.1411:
	s_or_b32 exec_lo, exec_lo, s22
	s_mov_b32 s0, 0
	global_store_b8 v[2:3], v1, off
.LBB363_1412:
	s_mov_b32 s22, 0
.LBB363_1413:
	s_delay_alu instid0(SALU_CYCLE_1)
	s_and_b32 vcc_lo, exec_lo, s22
	s_cbranch_vccz .LBB363_1416
; %bb.1414:
	s_cmp_eq_u32 s16, 29
	s_mov_b32 s0, -1
	s_cbranch_scc0 .LBB363_1416
; %bb.1415:
	s_mov_b32 s0, 0
	s_wait_xcnt 0x0
	v_cndmask_b32_e64 v0, 0, 1, s19
	v_mov_b32_e32 v1, s0
	s_mov_b32 s22, 0
	global_store_b64 v[2:3], v[0:1], off
	s_branch .LBB363_1417
.LBB363_1416:
	s_mov_b32 s22, 0
.LBB363_1417:
	s_delay_alu instid0(SALU_CYCLE_1)
	s_and_b32 vcc_lo, exec_lo, s22
	s_cbranch_vccz .LBB363_1432
; %bb.1418:
	s_cmp_lt_i32 s16, 27
	s_mov_b32 s22, -1
	s_cbranch_scc1 .LBB363_1424
; %bb.1419:
	s_wait_xcnt 0x0
	v_cndmask_b32_e64 v0, 0, 1, s19
	s_cmp_gt_i32 s16, 27
	s_cbranch_scc0 .LBB363_1421
; %bb.1420:
	s_mov_b32 s22, 0
	global_store_b32 v[2:3], v0, off
.LBB363_1421:
	s_and_not1_b32 vcc_lo, exec_lo, s22
	s_cbranch_vccnz .LBB363_1423
; %bb.1422:
	global_store_b16 v[2:3], v0, off
.LBB363_1423:
	s_mov_b32 s22, 0
.LBB363_1424:
	s_delay_alu instid0(SALU_CYCLE_1)
	s_and_not1_b32 vcc_lo, exec_lo, s22
	s_cbranch_vccnz .LBB363_1432
; %bb.1425:
	s_wait_xcnt 0x0
	v_cndmask_b32_e64 v1, 0, 1.0, s19
	v_mov_b32_e32 v4, 0x80
	s_mov_b32 s22, exec_lo
	s_delay_alu instid0(VALU_DEP_2)
	v_cmpx_gt_u32_e32 0x43800000, v1
	s_cbranch_execz .LBB363_1431
; %bb.1426:
	s_mov_b32 s23, 0
	s_mov_b32 s24, exec_lo
                                        ; implicit-def: $vgpr0
	v_cmpx_lt_u32_e32 0x3bffffff, v1
	s_xor_b32 s24, exec_lo, s24
	s_cbranch_execz .LBB363_1529
; %bb.1427:
	v_bfe_u32 v0, v1, 20, 1
	s_mov_b32 s23, exec_lo
	s_delay_alu instid0(VALU_DEP_1) | instskip(NEXT) | instid1(VALU_DEP_1)
	v_add3_u32 v0, v1, v0, 0x487ffff
                                        ; implicit-def: $vgpr1
	v_lshrrev_b32_e32 v0, 20, v0
	s_and_not1_saveexec_b32 s24, s24
	s_cbranch_execnz .LBB363_1530
.LBB363_1428:
	s_or_b32 exec_lo, exec_lo, s24
	v_mov_b32_e32 v4, 0
	s_and_saveexec_b32 s24, s23
.LBB363_1429:
	v_mov_b32_e32 v4, v0
.LBB363_1430:
	s_or_b32 exec_lo, exec_lo, s24
.LBB363_1431:
	s_delay_alu instid0(SALU_CYCLE_1)
	s_or_b32 exec_lo, exec_lo, s22
	global_store_b8 v[2:3], v4, off
.LBB363_1432:
	s_mov_b32 s22, 0
.LBB363_1433:
	s_delay_alu instid0(SALU_CYCLE_1)
	s_and_b32 vcc_lo, exec_lo, s22
	s_mov_b32 s22, 0
	s_cbranch_vccz .LBB363_1473
; %bb.1434:
	s_cmp_gt_i32 s16, 22
	s_mov_b32 s23, -1
	s_cbranch_scc0 .LBB363_1466
; %bb.1435:
	s_cmp_lt_i32 s16, 24
	s_cbranch_scc1 .LBB363_1455
; %bb.1436:
	s_cmp_gt_i32 s16, 24
	s_cbranch_scc0 .LBB363_1444
; %bb.1437:
	s_wait_xcnt 0x0
	v_cndmask_b32_e64 v1, 0, 1.0, s19
	v_mov_b32_e32 v4, 0x80
	s_mov_b32 s23, exec_lo
	s_delay_alu instid0(VALU_DEP_2)
	v_cmpx_gt_u32_e32 0x47800000, v1
	s_cbranch_execz .LBB363_1443
; %bb.1438:
	s_mov_b32 s24, 0
	s_mov_b32 s25, exec_lo
                                        ; implicit-def: $vgpr0
	v_cmpx_lt_u32_e32 0x37ffffff, v1
	s_xor_b32 s25, exec_lo, s25
	s_cbranch_execz .LBB363_1650
; %bb.1439:
	v_bfe_u32 v0, v1, 21, 1
	s_mov_b32 s24, exec_lo
	s_delay_alu instid0(VALU_DEP_1) | instskip(NEXT) | instid1(VALU_DEP_1)
	v_add3_u32 v0, v1, v0, 0x88fffff
                                        ; implicit-def: $vgpr1
	v_lshrrev_b32_e32 v0, 21, v0
	s_and_not1_saveexec_b32 s25, s25
	s_cbranch_execnz .LBB363_1651
.LBB363_1440:
	s_or_b32 exec_lo, exec_lo, s25
	v_mov_b32_e32 v4, 0
	s_and_saveexec_b32 s25, s24
.LBB363_1441:
	v_mov_b32_e32 v4, v0
.LBB363_1442:
	s_or_b32 exec_lo, exec_lo, s25
.LBB363_1443:
	s_delay_alu instid0(SALU_CYCLE_1)
	s_or_b32 exec_lo, exec_lo, s23
	s_mov_b32 s23, 0
	global_store_b8 v[2:3], v4, off
.LBB363_1444:
	s_and_b32 vcc_lo, exec_lo, s23
	s_cbranch_vccz .LBB363_1454
; %bb.1445:
	s_wait_xcnt 0x0
	v_cndmask_b32_e64 v1, 0, 1.0, s19
	s_mov_b32 s23, exec_lo
                                        ; implicit-def: $vgpr0
	s_delay_alu instid0(VALU_DEP_1)
	v_cmpx_gt_u32_e32 0x43f00000, v1
	s_xor_b32 s23, exec_lo, s23
	s_cbranch_execz .LBB363_1451
; %bb.1446:
	s_mov_b32 s24, exec_lo
                                        ; implicit-def: $vgpr0
	v_cmpx_lt_u32_e32 0x3c7fffff, v1
	s_xor_b32 s24, exec_lo, s24
; %bb.1447:
	v_bfe_u32 v0, v1, 20, 1
	s_delay_alu instid0(VALU_DEP_1) | instskip(NEXT) | instid1(VALU_DEP_1)
	v_add3_u32 v0, v1, v0, 0x407ffff
	v_and_b32_e32 v1, 0xff00000, v0
	v_lshrrev_b32_e32 v0, 20, v0
	s_delay_alu instid0(VALU_DEP_2) | instskip(NEXT) | instid1(VALU_DEP_2)
	v_cmp_ne_u32_e32 vcc_lo, 0x7f00000, v1
                                        ; implicit-def: $vgpr1
	v_cndmask_b32_e32 v0, 0x7e, v0, vcc_lo
; %bb.1448:
	s_and_not1_saveexec_b32 s24, s24
; %bb.1449:
	v_add_f32_e32 v0, 0x46800000, v1
; %bb.1450:
	s_or_b32 exec_lo, exec_lo, s24
                                        ; implicit-def: $vgpr1
.LBB363_1451:
	s_and_not1_saveexec_b32 s23, s23
; %bb.1452:
	v_mov_b32_e32 v0, 0x7f
	v_cmp_lt_u32_e32 vcc_lo, 0x7f800000, v1
	s_delay_alu instid0(VALU_DEP_2)
	v_cndmask_b32_e32 v0, 0x7e, v0, vcc_lo
; %bb.1453:
	s_or_b32 exec_lo, exec_lo, s23
	global_store_b8 v[2:3], v0, off
.LBB363_1454:
	s_mov_b32 s23, 0
.LBB363_1455:
	s_delay_alu instid0(SALU_CYCLE_1)
	s_and_not1_b32 vcc_lo, exec_lo, s23
	s_cbranch_vccnz .LBB363_1465
; %bb.1456:
	s_wait_xcnt 0x0
	v_cndmask_b32_e64 v1, 0, 1.0, s19
	s_mov_b32 s23, exec_lo
                                        ; implicit-def: $vgpr0
	s_delay_alu instid0(VALU_DEP_1)
	v_cmpx_gt_u32_e32 0x47800000, v1
	s_xor_b32 s23, exec_lo, s23
	s_cbranch_execz .LBB363_1462
; %bb.1457:
	s_mov_b32 s24, exec_lo
                                        ; implicit-def: $vgpr0
	v_cmpx_lt_u32_e32 0x387fffff, v1
	s_xor_b32 s24, exec_lo, s24
; %bb.1458:
	v_bfe_u32 v0, v1, 21, 1
	s_delay_alu instid0(VALU_DEP_1) | instskip(NEXT) | instid1(VALU_DEP_1)
	v_add3_u32 v0, v1, v0, 0x80fffff
                                        ; implicit-def: $vgpr1
	v_lshrrev_b32_e32 v0, 21, v0
; %bb.1459:
	s_and_not1_saveexec_b32 s24, s24
; %bb.1460:
	v_add_f32_e32 v0, 0x43000000, v1
; %bb.1461:
	s_or_b32 exec_lo, exec_lo, s24
                                        ; implicit-def: $vgpr1
.LBB363_1462:
	s_and_not1_saveexec_b32 s23, s23
; %bb.1463:
	v_mov_b32_e32 v0, 0x7f
	v_cmp_lt_u32_e32 vcc_lo, 0x7f800000, v1
	s_delay_alu instid0(VALU_DEP_2)
	v_cndmask_b32_e32 v0, 0x7c, v0, vcc_lo
; %bb.1464:
	s_or_b32 exec_lo, exec_lo, s23
	global_store_b8 v[2:3], v0, off
.LBB363_1465:
	s_mov_b32 s23, 0
.LBB363_1466:
	s_delay_alu instid0(SALU_CYCLE_1)
	s_and_not1_b32 vcc_lo, exec_lo, s23
	s_mov_b32 s23, 0
	s_cbranch_vccnz .LBB363_1474
; %bb.1467:
	s_cmp_gt_i32 s16, 14
	s_mov_b32 s23, -1
	s_cbranch_scc0 .LBB363_1471
; %bb.1468:
	s_cmp_eq_u32 s16, 15
	s_mov_b32 s0, -1
	s_cbranch_scc0 .LBB363_1470
; %bb.1469:
	s_wait_xcnt 0x0
	v_cndmask_b32_e64 v0, 0, 1.0, s19
	s_mov_b32 s0, 0
	s_delay_alu instid0(VALU_DEP_1) | instskip(NEXT) | instid1(VALU_DEP_1)
	v_bfe_u32 v1, v0, 16, 1
	v_add3_u32 v0, v0, v1, 0x7fff
	global_store_d16_hi_b16 v[2:3], v0, off
.LBB363_1470:
	s_mov_b32 s23, 0
.LBB363_1471:
	s_delay_alu instid0(SALU_CYCLE_1)
	s_and_b32 vcc_lo, exec_lo, s23
	s_mov_b32 s23, 0
	s_cbranch_vccz .LBB363_1474
; %bb.1472:
	s_cmp_lg_u32 s16, 11
	s_mov_b32 s23, -1
	s_cselect_b32 s16, -1, 0
	s_and_not1_b32 s0, s0, exec_lo
	s_and_b32 s16, s16, exec_lo
	s_delay_alu instid0(SALU_CYCLE_1)
	s_or_b32 s0, s0, s16
	s_branch .LBB363_1474
.LBB363_1473:
	s_mov_b32 s23, 0
.LBB363_1474:
	s_and_not1_b32 s16, s18, exec_lo
	s_and_b32 s18, s0, exec_lo
	s_and_b32 s22, s22, exec_lo
	s_and_b32 s0, s23, exec_lo
	s_or_b32 s18, s16, s18
	s_wait_xcnt 0x0
	s_or_b32 exec_lo, exec_lo, s21
	s_and_saveexec_b32 s16, s18
	s_cbranch_execz .LBB363_1403
.LBB363_1475:
	s_or_b32 s17, s17, exec_lo
	s_and_not1_b32 s0, s0, exec_lo
	s_trap 2
	s_or_b32 exec_lo, exec_lo, s16
	s_and_saveexec_b32 s16, s0
	s_delay_alu instid0(SALU_CYCLE_1)
	s_xor_b32 s0, exec_lo, s16
	s_cbranch_execnz .LBB363_1404
.LBB363_1476:
	s_or_b32 exec_lo, exec_lo, s0
	s_and_saveexec_b32 s0, s22
	s_delay_alu instid0(SALU_CYCLE_1)
	s_xor_b32 s0, exec_lo, s0
	s_cbranch_execz .LBB363_1514
.LBB363_1477:
	s_sext_i32_i16 s18, s20
	s_mov_b32 s16, -1
	s_cmp_lt_i32 s18, 5
	s_cbranch_scc1 .LBB363_1498
; %bb.1478:
	s_cmp_lt_i32 s18, 8
	s_cbranch_scc1 .LBB363_1488
; %bb.1479:
	;; [unrolled: 3-line block ×3, first 2 shown]
	s_cmp_gt_i32 s18, 9
	s_cbranch_scc0 .LBB363_1482
; %bb.1481:
	s_wait_loadcnt 0x0
	v_cndmask_b32_e64 v0, 0, 1, s19
	v_mov_b32_e32 v6, 0
	s_mov_b32 s16, 0
	s_delay_alu instid0(VALU_DEP_2) | instskip(NEXT) | instid1(VALU_DEP_2)
	v_cvt_f64_u32_e32 v[4:5], v0
	v_mov_b32_e32 v7, v6
	global_store_b128 v[2:3], v[4:7], off
.LBB363_1482:
	s_and_not1_b32 vcc_lo, exec_lo, s16
	s_cbranch_vccnz .LBB363_1484
; %bb.1483:
	s_wait_loadcnt 0x0
	v_cndmask_b32_e64 v0, 0, 1.0, s19
	v_mov_b32_e32 v1, 0
	global_store_b64 v[2:3], v[0:1], off
.LBB363_1484:
	s_mov_b32 s16, 0
.LBB363_1485:
	s_delay_alu instid0(SALU_CYCLE_1)
	s_and_not1_b32 vcc_lo, exec_lo, s16
	s_cbranch_vccnz .LBB363_1487
; %bb.1486:
	s_wait_loadcnt 0x0
	v_cndmask_b32_e64 v0, 0, 1.0, s19
	s_delay_alu instid0(VALU_DEP_1) | instskip(NEXT) | instid1(VALU_DEP_1)
	v_cvt_f16_f32_e32 v0, v0
	v_and_b32_e32 v0, 0xffff, v0
	global_store_b32 v[2:3], v0, off
.LBB363_1487:
	s_mov_b32 s16, 0
.LBB363_1488:
	s_delay_alu instid0(SALU_CYCLE_1)
	s_and_not1_b32 vcc_lo, exec_lo, s16
	s_cbranch_vccnz .LBB363_1497
; %bb.1489:
	s_sext_i32_i16 s18, s20
	s_mov_b32 s16, -1
	s_cmp_lt_i32 s18, 6
	s_cbranch_scc1 .LBB363_1495
; %bb.1490:
	s_cmp_gt_i32 s18, 6
	s_cbranch_scc0 .LBB363_1492
; %bb.1491:
	s_wait_loadcnt 0x0
	v_cndmask_b32_e64 v0, 0, 1, s19
	s_mov_b32 s16, 0
	s_delay_alu instid0(VALU_DEP_1)
	v_cvt_f64_u32_e32 v[0:1], v0
	global_store_b64 v[2:3], v[0:1], off
.LBB363_1492:
	s_and_not1_b32 vcc_lo, exec_lo, s16
	s_cbranch_vccnz .LBB363_1494
; %bb.1493:
	s_wait_loadcnt 0x0
	v_cndmask_b32_e64 v0, 0, 1.0, s19
	global_store_b32 v[2:3], v0, off
.LBB363_1494:
	s_mov_b32 s16, 0
.LBB363_1495:
	s_delay_alu instid0(SALU_CYCLE_1)
	s_and_not1_b32 vcc_lo, exec_lo, s16
	s_cbranch_vccnz .LBB363_1497
; %bb.1496:
	s_wait_loadcnt 0x0
	v_cndmask_b32_e64 v0, 0, 1.0, s19
	s_delay_alu instid0(VALU_DEP_1)
	v_cvt_f16_f32_e32 v0, v0
	global_store_b16 v[2:3], v0, off
.LBB363_1497:
	s_mov_b32 s16, 0
.LBB363_1498:
	s_delay_alu instid0(SALU_CYCLE_1)
	s_and_not1_b32 vcc_lo, exec_lo, s16
	s_cbranch_vccnz .LBB363_1514
; %bb.1499:
	s_sext_i32_i16 s18, s20
	s_mov_b32 s16, -1
	s_cmp_lt_i32 s18, 2
	s_cbranch_scc1 .LBB363_1509
; %bb.1500:
	s_cmp_lt_i32 s18, 3
	s_cbranch_scc1 .LBB363_1506
; %bb.1501:
	s_cmp_gt_i32 s18, 3
	s_cbranch_scc0 .LBB363_1503
; %bb.1502:
	s_mov_b32 s16, 0
	s_wait_loadcnt 0x0
	v_cndmask_b32_e64 v0, 0, 1, s19
	v_mov_b32_e32 v1, s16
	global_store_b64 v[2:3], v[0:1], off
.LBB363_1503:
	s_and_not1_b32 vcc_lo, exec_lo, s16
	s_cbranch_vccnz .LBB363_1505
; %bb.1504:
	s_wait_loadcnt 0x0
	v_cndmask_b32_e64 v0, 0, 1, s19
	global_store_b32 v[2:3], v0, off
.LBB363_1505:
	s_mov_b32 s16, 0
.LBB363_1506:
	s_delay_alu instid0(SALU_CYCLE_1)
	s_and_not1_b32 vcc_lo, exec_lo, s16
	s_cbranch_vccnz .LBB363_1508
; %bb.1507:
	s_wait_loadcnt 0x0
	v_cndmask_b32_e64 v0, 0, 1, s19
	global_store_b16 v[2:3], v0, off
.LBB363_1508:
	s_mov_b32 s16, 0
.LBB363_1509:
	s_delay_alu instid0(SALU_CYCLE_1)
	s_and_not1_b32 vcc_lo, exec_lo, s16
	s_cbranch_vccnz .LBB363_1514
; %bb.1510:
	s_wait_loadcnt 0x0
	v_cndmask_b32_e64 v0, 0, 1, s19
	s_sext_i32_i16 s16, s20
	s_delay_alu instid0(SALU_CYCLE_1)
	s_cmp_gt_i32 s16, 0
	s_mov_b32 s16, -1
	s_cbranch_scc0 .LBB363_1512
; %bb.1511:
	s_mov_b32 s16, 0
	global_store_b8 v[2:3], v0, off
.LBB363_1512:
	s_and_not1_b32 vcc_lo, exec_lo, s16
	s_cbranch_vccnz .LBB363_1514
; %bb.1513:
	global_store_b8 v[2:3], v0, off
.LBB363_1514:
	s_wait_xcnt 0x0
	s_or_b32 exec_lo, exec_lo, s0
	s_delay_alu instid0(SALU_CYCLE_1)
	s_and_b32 s16, s17, exec_lo
                                        ; implicit-def: $vgpr18
.LBB363_1515:
	s_or_saveexec_b32 s15, s15
	s_mov_b32 s0, 0
                                        ; implicit-def: $sgpr18
                                        ; implicit-def: $sgpr17
                                        ; implicit-def: $vgpr0_vgpr1
	s_xor_b32 exec_lo, exec_lo, s15
	s_cbranch_execz .LBB363_2959
; %bb.1516:
	s_wait_loadcnt 0x0
	v_mul_lo_u32 v4, s9, v18
	s_and_b32 s0, s14, 0xff
	s_delay_alu instid0(SALU_CYCLE_1) | instskip(NEXT) | instid1(VALU_DEP_1)
	s_cmp_lt_i32 s0, 11
	v_ashrrev_i32_e32 v5, 31, v4
	s_delay_alu instid0(VALU_DEP_1)
	v_add_nc_u64_e32 v[2:3], s[6:7], v[4:5]
	s_cbranch_scc1 .LBB363_1523
; %bb.1517:
	s_and_b32 s13, 0xffff, s0
	s_mov_b32 s17, 0
	s_cmp_gt_i32 s13, 25
	s_cbranch_scc0 .LBB363_1525
; %bb.1518:
	s_cmp_gt_i32 s13, 28
	s_cbranch_scc0 .LBB363_1526
; %bb.1519:
	;; [unrolled: 3-line block ×4, first 2 shown]
	s_cmp_eq_u32 s13, 46
	s_mov_b32 s19, 0
	s_cbranch_scc0 .LBB363_1531
; %bb.1522:
	global_load_b32 v0, v[2:3], off
	s_mov_b32 s14, 0
	s_mov_b32 s18, -1
	s_wait_loadcnt 0x0
	v_lshlrev_b32_e32 v0, 16, v0
	s_delay_alu instid0(VALU_DEP_1) | instskip(NEXT) | instid1(VALU_DEP_1)
	v_trunc_f32_e32 v0, v0
	v_mul_f32_e32 v1, 0x2f800000, v0
	s_delay_alu instid0(VALU_DEP_1) | instskip(NEXT) | instid1(VALU_DEP_1)
	v_floor_f32_e32 v1, v1
	v_fmamk_f32 v0, v1, 0xcf800000, v0
	v_cvt_u32_f32_e32 v1, v1
	s_delay_alu instid0(VALU_DEP_2)
	v_cvt_u32_f32_e32 v0, v0
	s_branch .LBB363_1533
.LBB363_1523:
	s_mov_b32 s18, 0
	s_mov_b32 s13, s16
                                        ; implicit-def: $vgpr0_vgpr1
	s_cbranch_execnz .LBB363_1591
.LBB363_1524:
	s_and_not1_b32 vcc_lo, exec_lo, s18
	s_cbranch_vccz .LBB363_1636
	s_branch .LBB363_2957
.LBB363_1525:
	s_mov_b32 s18, 0
	s_mov_b32 s14, 0
                                        ; implicit-def: $vgpr0_vgpr1
	s_cbranch_execnz .LBB363_1558
	s_branch .LBB363_1587
.LBB363_1526:
	s_mov_b32 s18, 0
	s_mov_b32 s14, 0
                                        ; implicit-def: $vgpr0_vgpr1
	s_cbranch_execz .LBB363_1557
	s_branch .LBB363_1542
.LBB363_1527:
	s_mov_b32 s18, 0
	s_mov_b32 s14, 0
                                        ; implicit-def: $vgpr0_vgpr1
	s_cbranch_execnz .LBB363_1538
	s_branch .LBB363_1541
.LBB363_1528:
	s_mov_b32 s19, -1
	s_mov_b32 s18, 0
	s_mov_b32 s14, 0
	s_branch .LBB363_1532
.LBB363_1529:
	s_and_not1_saveexec_b32 s24, s24
	s_cbranch_execz .LBB363_1428
.LBB363_1530:
	v_add_f32_e32 v0, 0x46000000, v1
	s_and_not1_b32 s23, s23, exec_lo
	s_delay_alu instid0(VALU_DEP_1) | instskip(NEXT) | instid1(VALU_DEP_1)
	v_and_b32_e32 v0, 0xff, v0
	v_cmp_ne_u32_e32 vcc_lo, 0, v0
	s_and_b32 s25, vcc_lo, exec_lo
	s_delay_alu instid0(SALU_CYCLE_1)
	s_or_b32 s23, s23, s25
	s_or_b32 exec_lo, exec_lo, s24
	v_mov_b32_e32 v4, 0
	s_and_saveexec_b32 s24, s23
	s_cbranch_execnz .LBB363_1429
	s_branch .LBB363_1430
.LBB363_1531:
	s_mov_b32 s14, -1
	s_mov_b32 s18, 0
.LBB363_1532:
                                        ; implicit-def: $vgpr0_vgpr1
.LBB363_1533:
	s_and_b32 vcc_lo, exec_lo, s19
	s_cbranch_vccz .LBB363_1536
; %bb.1534:
	s_cmp_eq_u32 s13, 44
	s_cbranch_scc0 .LBB363_1537
; %bb.1535:
	global_load_u8 v0, v[2:3], off
	s_mov_b32 s14, 0
	s_mov_b32 s18, -1
	s_wait_loadcnt 0x0
	v_cmp_ne_u32_e32 vcc_lo, 0, v0
	v_lshlrev_b32_e32 v1, 23, v0
	s_delay_alu instid0(VALU_DEP_1) | instskip(NEXT) | instid1(VALU_DEP_1)
	v_trunc_f32_e32 v1, v1
	v_mul_f32_e32 v5, 0x2f800000, v1
	s_delay_alu instid0(VALU_DEP_1) | instskip(NEXT) | instid1(VALU_DEP_1)
	v_floor_f32_e32 v5, v5
	v_fmamk_f32 v1, v5, 0xcf800000, v1
	v_cvt_u32_f32_e32 v5, v5
	s_delay_alu instid0(VALU_DEP_2) | instskip(NEXT) | instid1(VALU_DEP_1)
	v_cvt_u32_f32_e32 v6, v1
	v_dual_cndmask_b32 v1, 0, v5 :: v_dual_cndmask_b32 v0, 0, v6
.LBB363_1536:
	s_branch .LBB363_1541
.LBB363_1537:
	s_mov_b32 s14, -1
                                        ; implicit-def: $vgpr0_vgpr1
	s_branch .LBB363_1541
.LBB363_1538:
	s_cmp_eq_u32 s13, 29
	s_cbranch_scc0 .LBB363_1540
; %bb.1539:
	global_load_b64 v[0:1], v[2:3], off
	s_mov_b32 s14, 0
	s_mov_b32 s18, -1
	s_branch .LBB363_1541
.LBB363_1540:
	s_mov_b32 s14, -1
                                        ; implicit-def: $vgpr0_vgpr1
.LBB363_1541:
	s_branch .LBB363_1557
.LBB363_1542:
	s_cmp_lt_i32 s13, 27
	s_cbranch_scc1 .LBB363_1545
; %bb.1543:
	s_cmp_gt_i32 s13, 27
	s_cbranch_scc0 .LBB363_1546
; %bb.1544:
	s_wait_loadcnt 0x0
	global_load_b32 v0, v[2:3], off
	v_mov_b32_e32 v1, 0
	s_mov_b32 s18, 0
	s_branch .LBB363_1547
.LBB363_1545:
	s_mov_b32 s18, -1
                                        ; implicit-def: $vgpr0_vgpr1
	s_branch .LBB363_1550
.LBB363_1546:
	s_mov_b32 s18, -1
                                        ; implicit-def: $vgpr0_vgpr1
.LBB363_1547:
	s_delay_alu instid0(SALU_CYCLE_1)
	s_and_not1_b32 vcc_lo, exec_lo, s18
	s_cbranch_vccnz .LBB363_1549
; %bb.1548:
	s_wait_loadcnt 0x0
	global_load_u16 v0, v[2:3], off
	s_mov_b32 s18, 0
	s_delay_alu instid0(SALU_CYCLE_1)
	v_mov_b32_e32 v1, s18
	s_wait_loadcnt 0x0
	v_and_b32_e32 v0, 0xffff, v0
.LBB363_1549:
	s_mov_b32 s18, 0
.LBB363_1550:
	s_delay_alu instid0(SALU_CYCLE_1)
	s_and_not1_b32 vcc_lo, exec_lo, s18
	s_cbranch_vccnz .LBB363_1556
; %bb.1551:
	global_load_u8 v5, v[2:3], off
	s_mov_b32 s19, 0
	s_mov_b32 s18, exec_lo
	s_wait_loadcnt 0x0
	v_cmpx_lt_i16_e32 0x7f, v5
	s_xor_b32 s18, exec_lo, s18
	s_cbranch_execz .LBB363_1567
; %bb.1552:
	v_cmp_ne_u16_e32 vcc_lo, 0x80, v5
	s_and_b32 s19, vcc_lo, exec_lo
	s_and_not1_saveexec_b32 s18, s18
	s_cbranch_execnz .LBB363_1568
.LBB363_1553:
	s_or_b32 exec_lo, exec_lo, s18
	v_mov_b64_e32 v[0:1], 0
	s_and_saveexec_b32 s18, s19
	s_cbranch_execz .LBB363_1555
.LBB363_1554:
	v_and_b32_e32 v0, 0xffff, v5
	s_delay_alu instid0(VALU_DEP_1) | instskip(SKIP_1) | instid1(VALU_DEP_2)
	v_and_b32_e32 v1, 7, v0
	v_bfe_u32 v8, v0, 3, 4
	v_clz_i32_u32_e32 v6, v1
	s_delay_alu instid0(VALU_DEP_2) | instskip(NEXT) | instid1(VALU_DEP_2)
	v_cmp_eq_u32_e32 vcc_lo, 0, v8
	v_min_u32_e32 v6, 32, v6
	s_delay_alu instid0(VALU_DEP_1) | instskip(NEXT) | instid1(VALU_DEP_1)
	v_subrev_nc_u32_e32 v7, 28, v6
	v_dual_lshlrev_b32 v0, v7, v0 :: v_dual_sub_nc_u32 v6, 29, v6
	s_delay_alu instid0(VALU_DEP_1) | instskip(NEXT) | instid1(VALU_DEP_1)
	v_dual_lshlrev_b32 v5, 24, v5 :: v_dual_bitop2_b32 v0, 7, v0 bitop3:0x40
	v_dual_cndmask_b32 v6, v8, v6, vcc_lo :: v_dual_cndmask_b32 v0, v1, v0, vcc_lo
	s_delay_alu instid0(VALU_DEP_2) | instskip(NEXT) | instid1(VALU_DEP_2)
	v_and_b32_e32 v1, 0x80000000, v5
	v_lshl_add_u32 v5, v6, 23, 0x3b800000
	s_delay_alu instid0(VALU_DEP_3) | instskip(NEXT) | instid1(VALU_DEP_1)
	v_lshlrev_b32_e32 v0, 20, v0
	v_or3_b32 v0, v1, v5, v0
	s_delay_alu instid0(VALU_DEP_1) | instskip(NEXT) | instid1(VALU_DEP_1)
	v_trunc_f32_e32 v0, v0
	v_mul_f32_e32 v1, 0x2f800000, v0
	s_delay_alu instid0(VALU_DEP_1) | instskip(NEXT) | instid1(VALU_DEP_1)
	v_floor_f32_e32 v1, v1
	v_fmamk_f32 v0, v1, 0xcf800000, v0
	v_cvt_u32_f32_e32 v1, v1
	s_delay_alu instid0(VALU_DEP_2)
	v_cvt_u32_f32_e32 v0, v0
.LBB363_1555:
	s_or_b32 exec_lo, exec_lo, s18
.LBB363_1556:
	s_mov_b32 s18, -1
.LBB363_1557:
	s_branch .LBB363_1587
.LBB363_1558:
	s_cmp_gt_i32 s13, 22
	s_cbranch_scc0 .LBB363_1566
; %bb.1559:
	s_cmp_lt_i32 s13, 24
	s_cbranch_scc1 .LBB363_1569
; %bb.1560:
	s_cmp_gt_i32 s13, 24
	s_cbranch_scc0 .LBB363_1570
; %bb.1561:
	global_load_u8 v5, v[2:3], off
	s_mov_b32 s18, 0
	s_mov_b32 s17, exec_lo
	s_wait_loadcnt 0x0
	v_cmpx_lt_i16_e32 0x7f, v5
	s_xor_b32 s17, exec_lo, s17
	s_cbranch_execz .LBB363_1581
; %bb.1562:
	v_cmp_ne_u16_e32 vcc_lo, 0x80, v5
	s_and_b32 s18, vcc_lo, exec_lo
	s_and_not1_saveexec_b32 s17, s17
	s_cbranch_execnz .LBB363_1582
.LBB363_1563:
	s_or_b32 exec_lo, exec_lo, s17
	v_mov_b64_e32 v[0:1], 0
	s_and_saveexec_b32 s17, s18
	s_cbranch_execz .LBB363_1565
.LBB363_1564:
	v_and_b32_e32 v0, 0xffff, v5
	s_delay_alu instid0(VALU_DEP_1) | instskip(SKIP_1) | instid1(VALU_DEP_2)
	v_and_b32_e32 v1, 3, v0
	v_bfe_u32 v8, v0, 2, 5
	v_clz_i32_u32_e32 v6, v1
	s_delay_alu instid0(VALU_DEP_2) | instskip(NEXT) | instid1(VALU_DEP_2)
	v_cmp_eq_u32_e32 vcc_lo, 0, v8
	v_min_u32_e32 v6, 32, v6
	s_delay_alu instid0(VALU_DEP_1) | instskip(NEXT) | instid1(VALU_DEP_1)
	v_subrev_nc_u32_e32 v7, 29, v6
	v_dual_lshlrev_b32 v0, v7, v0 :: v_dual_sub_nc_u32 v6, 30, v6
	s_delay_alu instid0(VALU_DEP_1) | instskip(NEXT) | instid1(VALU_DEP_1)
	v_dual_lshlrev_b32 v5, 24, v5 :: v_dual_bitop2_b32 v0, 3, v0 bitop3:0x40
	v_dual_cndmask_b32 v6, v8, v6, vcc_lo :: v_dual_cndmask_b32 v0, v1, v0, vcc_lo
	s_delay_alu instid0(VALU_DEP_2) | instskip(NEXT) | instid1(VALU_DEP_2)
	v_and_b32_e32 v1, 0x80000000, v5
	v_lshl_add_u32 v5, v6, 23, 0x37800000
	s_delay_alu instid0(VALU_DEP_3) | instskip(NEXT) | instid1(VALU_DEP_1)
	v_lshlrev_b32_e32 v0, 21, v0
	v_or3_b32 v0, v1, v5, v0
	s_delay_alu instid0(VALU_DEP_1) | instskip(NEXT) | instid1(VALU_DEP_1)
	v_trunc_f32_e32 v0, v0
	v_mul_f32_e32 v1, 0x2f800000, v0
	s_delay_alu instid0(VALU_DEP_1) | instskip(NEXT) | instid1(VALU_DEP_1)
	v_floor_f32_e32 v1, v1
	v_fmamk_f32 v0, v1, 0xcf800000, v0
	v_cvt_u32_f32_e32 v1, v1
	s_delay_alu instid0(VALU_DEP_2)
	v_cvt_u32_f32_e32 v0, v0
.LBB363_1565:
	s_or_b32 exec_lo, exec_lo, s17
	s_mov_b32 s17, 0
	s_branch .LBB363_1571
.LBB363_1566:
                                        ; implicit-def: $vgpr0_vgpr1
	s_mov_b32 s17, 0
	s_branch .LBB363_1577
.LBB363_1567:
	s_and_not1_saveexec_b32 s18, s18
	s_cbranch_execz .LBB363_1553
.LBB363_1568:
	v_cmp_ne_u16_e32 vcc_lo, 0, v5
	s_and_not1_b32 s19, s19, exec_lo
	s_and_b32 s20, vcc_lo, exec_lo
	s_delay_alu instid0(SALU_CYCLE_1)
	s_or_b32 s19, s19, s20
	s_or_b32 exec_lo, exec_lo, s18
	v_mov_b64_e32 v[0:1], 0
	s_and_saveexec_b32 s18, s19
	s_cbranch_execnz .LBB363_1554
	s_branch .LBB363_1555
.LBB363_1569:
	s_mov_b32 s17, -1
                                        ; implicit-def: $vgpr0_vgpr1
	s_branch .LBB363_1574
.LBB363_1570:
	s_mov_b32 s17, -1
                                        ; implicit-def: $vgpr0_vgpr1
.LBB363_1571:
	s_delay_alu instid0(SALU_CYCLE_1)
	s_and_b32 vcc_lo, exec_lo, s17
	s_cbranch_vccz .LBB363_1573
; %bb.1572:
	s_wait_loadcnt 0x0
	global_load_u8 v0, v[2:3], off
	s_wait_loadcnt 0x0
	v_lshlrev_b32_e32 v0, 24, v0
	s_delay_alu instid0(VALU_DEP_1) | instskip(NEXT) | instid1(VALU_DEP_1)
	v_and_b32_e32 v1, 0x7f000000, v0
	v_clz_i32_u32_e32 v5, v1
	v_add_nc_u32_e32 v7, 0x1000000, v1
	v_cmp_ne_u32_e32 vcc_lo, 0, v1
	s_delay_alu instid0(VALU_DEP_3) | instskip(NEXT) | instid1(VALU_DEP_1)
	v_min_u32_e32 v5, 32, v5
	v_sub_nc_u32_e64 v5, v5, 4 clamp
	s_delay_alu instid0(VALU_DEP_1) | instskip(NEXT) | instid1(VALU_DEP_1)
	v_lshlrev_b32_e32 v6, v5, v1
	v_dual_lshlrev_b32 v5, 23, v5 :: v_dual_lshrrev_b32 v6, 4, v6
	s_delay_alu instid0(VALU_DEP_1) | instskip(NEXT) | instid1(VALU_DEP_1)
	v_dual_sub_nc_u32 v5, v6, v5 :: v_dual_ashrrev_i32 v6, 8, v7
	v_add_nc_u32_e32 v5, 0x3c000000, v5
	s_delay_alu instid0(VALU_DEP_1) | instskip(NEXT) | instid1(VALU_DEP_1)
	v_and_or_b32 v5, 0x7f800000, v6, v5
	v_cndmask_b32_e32 v1, 0, v5, vcc_lo
	s_delay_alu instid0(VALU_DEP_1) | instskip(NEXT) | instid1(VALU_DEP_1)
	v_and_or_b32 v0, 0x80000000, v0, v1
	v_trunc_f32_e32 v0, v0
	s_delay_alu instid0(VALU_DEP_1) | instskip(NEXT) | instid1(VALU_DEP_1)
	v_mul_f32_e32 v1, 0x2f800000, v0
	v_floor_f32_e32 v1, v1
	s_delay_alu instid0(VALU_DEP_1) | instskip(SKIP_1) | instid1(VALU_DEP_2)
	v_fmamk_f32 v0, v1, 0xcf800000, v0
	v_cvt_u32_f32_e32 v1, v1
	v_cvt_u32_f32_e32 v0, v0
.LBB363_1573:
	s_mov_b32 s17, 0
.LBB363_1574:
	s_delay_alu instid0(SALU_CYCLE_1)
	s_and_not1_b32 vcc_lo, exec_lo, s17
	s_cbranch_vccnz .LBB363_1576
; %bb.1575:
	s_wait_loadcnt 0x0
	global_load_u8 v0, v[2:3], off
	s_wait_loadcnt 0x0
	v_lshlrev_b32_e32 v1, 25, v0
	v_lshlrev_b16 v0, 8, v0
	s_delay_alu instid0(VALU_DEP_1) | instskip(SKIP_1) | instid1(VALU_DEP_2)
	v_and_or_b32 v6, 0x7f00, v0, 0.5
	v_bfe_i32 v0, v0, 0, 16
	v_dual_add_f32 v6, -0.5, v6 :: v_dual_lshrrev_b32 v5, 4, v1
	v_cmp_gt_u32_e32 vcc_lo, 0x8000000, v1
	s_delay_alu instid0(VALU_DEP_2) | instskip(NEXT) | instid1(VALU_DEP_1)
	v_or_b32_e32 v5, 0x70000000, v5
	v_mul_f32_e32 v5, 0x7800000, v5
	s_delay_alu instid0(VALU_DEP_1) | instskip(NEXT) | instid1(VALU_DEP_1)
	v_cndmask_b32_e32 v1, v5, v6, vcc_lo
	v_and_or_b32 v0, 0x80000000, v0, v1
	s_delay_alu instid0(VALU_DEP_1) | instskip(NEXT) | instid1(VALU_DEP_1)
	v_trunc_f32_e32 v0, v0
	v_mul_f32_e32 v1, 0x2f800000, v0
	s_delay_alu instid0(VALU_DEP_1) | instskip(NEXT) | instid1(VALU_DEP_1)
	v_floor_f32_e32 v1, v1
	v_fmamk_f32 v0, v1, 0xcf800000, v0
	v_cvt_u32_f32_e32 v1, v1
	s_delay_alu instid0(VALU_DEP_2)
	v_cvt_u32_f32_e32 v0, v0
.LBB363_1576:
	s_mov_b32 s18, -1
	s_mov_b32 s17, 0
	s_cbranch_execnz .LBB363_1587
.LBB363_1577:
	s_cmp_gt_i32 s13, 14
	s_cbranch_scc0 .LBB363_1580
; %bb.1578:
	s_cmp_eq_u32 s13, 15
	s_cbranch_scc0 .LBB363_1583
; %bb.1579:
	s_wait_loadcnt 0x0
	global_load_u16 v0, v[2:3], off
	s_mov_b32 s14, 0
	s_mov_b32 s18, -1
	s_wait_loadcnt 0x0
	v_lshlrev_b32_e32 v0, 16, v0
	s_delay_alu instid0(VALU_DEP_1) | instskip(NEXT) | instid1(VALU_DEP_1)
	v_trunc_f32_e32 v0, v0
	v_mul_f32_e32 v1, 0x2f800000, v0
	s_delay_alu instid0(VALU_DEP_1) | instskip(NEXT) | instid1(VALU_DEP_1)
	v_floor_f32_e32 v1, v1
	v_fmamk_f32 v0, v1, 0xcf800000, v0
	v_cvt_u32_f32_e32 v1, v1
	s_delay_alu instid0(VALU_DEP_2)
	v_cvt_u32_f32_e32 v0, v0
	s_branch .LBB363_1585
.LBB363_1580:
	s_mov_b32 s17, -1
	s_branch .LBB363_1584
.LBB363_1581:
	s_and_not1_saveexec_b32 s17, s17
	s_cbranch_execz .LBB363_1563
.LBB363_1582:
	v_cmp_ne_u16_e32 vcc_lo, 0, v5
	s_and_not1_b32 s18, s18, exec_lo
	s_and_b32 s19, vcc_lo, exec_lo
	s_delay_alu instid0(SALU_CYCLE_1)
	s_or_b32 s18, s18, s19
	s_or_b32 exec_lo, exec_lo, s17
	v_mov_b64_e32 v[0:1], 0
	s_and_saveexec_b32 s17, s18
	s_cbranch_execnz .LBB363_1564
	s_branch .LBB363_1565
.LBB363_1583:
	s_mov_b32 s14, -1
.LBB363_1584:
                                        ; implicit-def: $vgpr0_vgpr1
.LBB363_1585:
	s_and_b32 vcc_lo, exec_lo, s17
	s_mov_b32 s17, 0
	s_cbranch_vccz .LBB363_1587
; %bb.1586:
	s_cmp_lg_u32 s13, 11
	s_mov_b32 s17, -1
	s_cselect_b32 s14, -1, 0
.LBB363_1587:
	s_delay_alu instid0(SALU_CYCLE_1)
	s_and_b32 vcc_lo, exec_lo, s14
	s_mov_b32 s13, s16
	s_cbranch_vccnz .LBB363_1648
; %bb.1588:
	s_and_not1_b32 vcc_lo, exec_lo, s17
	s_cbranch_vccnz .LBB363_1590
.LBB363_1589:
	s_wait_loadcnt 0x0
	global_load_u8 v0, v[2:3], off
	s_mov_b32 s14, 0
	s_mov_b32 s18, -1
	v_mov_b32_e32 v1, s14
	s_wait_loadcnt 0x0
	v_cmp_ne_u16_e32 vcc_lo, 0, v0
	v_cndmask_b32_e64 v0, 0, 1, vcc_lo
.LBB363_1590:
	s_branch .LBB363_1524
.LBB363_1591:
	s_and_b32 s14, 0xffff, s0
	s_delay_alu instid0(SALU_CYCLE_1)
	s_cmp_lt_i32 s14, 5
	s_cbranch_scc1 .LBB363_1596
; %bb.1592:
	s_cmp_lt_i32 s14, 8
	s_cbranch_scc1 .LBB363_1597
; %bb.1593:
	;; [unrolled: 3-line block ×3, first 2 shown]
	s_cmp_gt_i32 s14, 9
	s_cbranch_scc0 .LBB363_1599
; %bb.1595:
	s_wait_loadcnt 0x0
	global_load_b64 v[0:1], v[2:3], off
	s_mov_b32 s17, 0
	s_wait_loadcnt 0x0
	v_trunc_f64_e32 v[0:1], v[0:1]
	s_delay_alu instid0(VALU_DEP_1) | instskip(NEXT) | instid1(VALU_DEP_1)
	v_ldexp_f64 v[6:7], v[0:1], 0xffffffe0
	v_floor_f64_e32 v[6:7], v[6:7]
	s_delay_alu instid0(VALU_DEP_1) | instskip(SKIP_1) | instid1(VALU_DEP_2)
	v_fmamk_f64 v[8:9], v[6:7], 0xc1f00000, v[0:1]
	v_cvt_u32_f64_e32 v1, v[6:7]
	v_cvt_u32_f64_e32 v0, v[8:9]
	s_branch .LBB363_1600
.LBB363_1596:
                                        ; implicit-def: $vgpr0_vgpr1
	s_branch .LBB363_1617
.LBB363_1597:
                                        ; implicit-def: $vgpr0_vgpr1
	s_branch .LBB363_1606
.LBB363_1598:
	s_mov_b32 s17, -1
                                        ; implicit-def: $vgpr0_vgpr1
	s_branch .LBB363_1603
.LBB363_1599:
	s_mov_b32 s17, -1
                                        ; implicit-def: $vgpr0_vgpr1
.LBB363_1600:
	s_delay_alu instid0(SALU_CYCLE_1)
	s_and_not1_b32 vcc_lo, exec_lo, s17
	s_cbranch_vccnz .LBB363_1602
; %bb.1601:
	s_wait_loadcnt 0x0
	global_load_b32 v0, v[2:3], off
	s_wait_loadcnt 0x0
	v_trunc_f32_e32 v0, v0
	s_delay_alu instid0(VALU_DEP_1) | instskip(NEXT) | instid1(VALU_DEP_1)
	v_mul_f32_e32 v1, 0x2f800000, v0
	v_floor_f32_e32 v1, v1
	s_delay_alu instid0(VALU_DEP_1) | instskip(SKIP_1) | instid1(VALU_DEP_2)
	v_fmamk_f32 v0, v1, 0xcf800000, v0
	v_cvt_u32_f32_e32 v1, v1
	v_cvt_u32_f32_e32 v0, v0
.LBB363_1602:
	s_mov_b32 s17, 0
.LBB363_1603:
	s_delay_alu instid0(SALU_CYCLE_1)
	s_and_not1_b32 vcc_lo, exec_lo, s17
	s_cbranch_vccnz .LBB363_1605
; %bb.1604:
	s_wait_loadcnt 0x0
	global_load_b32 v0, v[2:3], off
	v_mov_b32_e32 v1, 0
	s_wait_loadcnt 0x0
	v_cvt_f32_f16_e32 v0, v0
	s_delay_alu instid0(VALU_DEP_1)
	v_cvt_u32_f32_e32 v0, v0
.LBB363_1605:
	s_cbranch_execnz .LBB363_1616
.LBB363_1606:
	s_cmp_lt_i32 s14, 6
	s_cbranch_scc1 .LBB363_1609
; %bb.1607:
	s_cmp_gt_i32 s14, 6
	s_cbranch_scc0 .LBB363_1610
; %bb.1608:
	s_wait_loadcnt 0x0
	global_load_b64 v[0:1], v[2:3], off
	s_mov_b32 s17, 0
	s_wait_loadcnt 0x0
	v_trunc_f64_e32 v[0:1], v[0:1]
	s_delay_alu instid0(VALU_DEP_1) | instskip(NEXT) | instid1(VALU_DEP_1)
	v_ldexp_f64 v[6:7], v[0:1], 0xffffffe0
	v_floor_f64_e32 v[6:7], v[6:7]
	s_delay_alu instid0(VALU_DEP_1) | instskip(SKIP_1) | instid1(VALU_DEP_2)
	v_fmamk_f64 v[8:9], v[6:7], 0xc1f00000, v[0:1]
	v_cvt_u32_f64_e32 v1, v[6:7]
	v_cvt_u32_f64_e32 v0, v[8:9]
	s_branch .LBB363_1611
.LBB363_1609:
	s_mov_b32 s17, -1
                                        ; implicit-def: $vgpr0_vgpr1
	s_branch .LBB363_1614
.LBB363_1610:
	s_mov_b32 s17, -1
                                        ; implicit-def: $vgpr0_vgpr1
.LBB363_1611:
	s_delay_alu instid0(SALU_CYCLE_1)
	s_and_not1_b32 vcc_lo, exec_lo, s17
	s_cbranch_vccnz .LBB363_1613
; %bb.1612:
	s_wait_loadcnt 0x0
	global_load_b32 v0, v[2:3], off
	s_wait_loadcnt 0x0
	v_trunc_f32_e32 v0, v0
	s_delay_alu instid0(VALU_DEP_1) | instskip(NEXT) | instid1(VALU_DEP_1)
	v_mul_f32_e32 v1, 0x2f800000, v0
	v_floor_f32_e32 v1, v1
	s_delay_alu instid0(VALU_DEP_1) | instskip(SKIP_1) | instid1(VALU_DEP_2)
	v_fmamk_f32 v0, v1, 0xcf800000, v0
	v_cvt_u32_f32_e32 v1, v1
	v_cvt_u32_f32_e32 v0, v0
.LBB363_1613:
	s_mov_b32 s17, 0
.LBB363_1614:
	s_delay_alu instid0(SALU_CYCLE_1)
	s_and_not1_b32 vcc_lo, exec_lo, s17
	s_cbranch_vccnz .LBB363_1616
; %bb.1615:
	s_wait_loadcnt 0x0
	global_load_u16 v0, v[2:3], off
	v_mov_b32_e32 v1, 0
	s_wait_loadcnt 0x0
	v_cvt_f32_f16_e32 v0, v0
	s_delay_alu instid0(VALU_DEP_1)
	v_cvt_u32_f32_e32 v0, v0
.LBB363_1616:
	s_cbranch_execnz .LBB363_1635
.LBB363_1617:
	s_cmp_lt_i32 s14, 2
	s_cbranch_scc1 .LBB363_1621
; %bb.1618:
	s_cmp_lt_i32 s14, 3
	s_cbranch_scc1 .LBB363_1622
; %bb.1619:
	s_cmp_gt_i32 s14, 3
	s_cbranch_scc0 .LBB363_1623
; %bb.1620:
	s_wait_loadcnt 0x0
	global_load_b64 v[0:1], v[2:3], off
	s_mov_b32 s17, 0
	s_branch .LBB363_1624
.LBB363_1621:
                                        ; implicit-def: $vgpr0_vgpr1
	s_branch .LBB363_1630
.LBB363_1622:
	s_mov_b32 s17, -1
                                        ; implicit-def: $vgpr0_vgpr1
	s_branch .LBB363_1627
.LBB363_1623:
	s_mov_b32 s17, -1
                                        ; implicit-def: $vgpr0_vgpr1
.LBB363_1624:
	s_delay_alu instid0(SALU_CYCLE_1)
	s_and_not1_b32 vcc_lo, exec_lo, s17
	s_cbranch_vccnz .LBB363_1626
; %bb.1625:
	s_wait_loadcnt 0x0
	global_load_b32 v0, v[2:3], off
	s_wait_loadcnt 0x0
	v_ashrrev_i32_e32 v1, 31, v0
.LBB363_1626:
	s_mov_b32 s17, 0
.LBB363_1627:
	s_delay_alu instid0(SALU_CYCLE_1)
	s_and_not1_b32 vcc_lo, exec_lo, s17
	s_cbranch_vccnz .LBB363_1629
; %bb.1628:
	s_wait_loadcnt 0x0
	global_load_u16 v0, v[2:3], off
	s_wait_loadcnt 0x0
	v_bfe_i32 v0, v0, 0, 16
	s_delay_alu instid0(VALU_DEP_1)
	v_ashrrev_i32_e32 v1, 31, v0
.LBB363_1629:
	s_cbranch_execnz .LBB363_1635
.LBB363_1630:
	s_cmp_gt_i32 s14, 0
	s_mov_b32 s14, 0
	s_cbranch_scc0 .LBB363_1632
; %bb.1631:
	s_wait_loadcnt 0x0
	global_load_i8 v0, v[2:3], off
	s_wait_loadcnt 0x0
	v_bfe_i32 v0, v0, 0, 16
	s_delay_alu instid0(VALU_DEP_1)
	v_ashrrev_i32_e32 v1, 31, v0
	s_branch .LBB363_1633
.LBB363_1632:
	s_mov_b32 s14, -1
                                        ; implicit-def: $vgpr0_vgpr1
.LBB363_1633:
	s_delay_alu instid0(SALU_CYCLE_1)
	s_and_not1_b32 vcc_lo, exec_lo, s14
	s_cbranch_vccnz .LBB363_1635
; %bb.1634:
	s_wait_loadcnt 0x0
	global_load_u8 v0, v[2:3], off
	s_mov_b32 s14, 0
	s_delay_alu instid0(SALU_CYCLE_1)
	v_mov_b32_e32 v1, s14
	s_wait_loadcnt 0x0
	v_and_b32_e32 v0, 0xffff, v0
.LBB363_1635:
.LBB363_1636:
	v_mul_lo_u32 v6, s10, v18
	s_and_b32 s1, s1, 0xff
	s_delay_alu instid0(SALU_CYCLE_1) | instskip(NEXT) | instid1(VALU_DEP_1)
	s_cmp_lt_i32 s1, 11
	v_ashrrev_i32_e32 v7, 31, v6
	s_delay_alu instid0(VALU_DEP_1)
	v_add_nc_u64_e32 v[8:9], s[2:3], v[6:7]
	s_cbranch_scc1 .LBB363_1643
; %bb.1637:
	s_and_b32 s14, 0xffff, s1
	s_mov_b32 s18, 0
	s_cmp_gt_i32 s14, 25
	s_cbranch_scc0 .LBB363_1645
; %bb.1638:
	s_cmp_gt_i32 s14, 28
	s_cbranch_scc0 .LBB363_1646
; %bb.1639:
	;; [unrolled: 3-line block ×4, first 2 shown]
	s_cmp_eq_u32 s14, 46
	s_mov_b32 s20, 0
	s_cbranch_scc0 .LBB363_1652
; %bb.1642:
	global_load_b32 v2, v[8:9], off
	s_mov_b32 s17, 0
	s_mov_b32 s19, -1
	s_wait_loadcnt 0x0
	v_lshlrev_b32_e32 v2, 16, v2
	s_delay_alu instid0(VALU_DEP_1) | instskip(NEXT) | instid1(VALU_DEP_1)
	v_trunc_f32_e32 v2, v2
	v_mul_f32_e32 v3, 0x2f800000, v2
	s_delay_alu instid0(VALU_DEP_1) | instskip(NEXT) | instid1(VALU_DEP_1)
	v_floor_f32_e32 v3, v3
	v_fmamk_f32 v2, v3, 0xcf800000, v2
	v_cvt_u32_f32_e32 v3, v3
	s_delay_alu instid0(VALU_DEP_2)
	v_cvt_u32_f32_e32 v2, v2
	s_branch .LBB363_1654
.LBB363_1643:
	s_mov_b32 s19, 0
                                        ; implicit-def: $vgpr2_vgpr3
	s_cbranch_execnz .LBB363_1715
.LBB363_1644:
	s_and_not1_b32 vcc_lo, exec_lo, s19
	s_cbranch_vccnz .LBB363_2957
	s_branch .LBB363_1762
.LBB363_1645:
	s_mov_b32 s19, 0
	s_mov_b32 s17, 0
                                        ; implicit-def: $vgpr2_vgpr3
	s_cbranch_execnz .LBB363_1681
	s_branch .LBB363_1711
.LBB363_1646:
	s_mov_b32 s20, -1
	s_mov_b32 s19, 0
	s_mov_b32 s17, 0
                                        ; implicit-def: $vgpr2_vgpr3
	s_branch .LBB363_1664
.LBB363_1647:
	s_mov_b32 s20, -1
	s_mov_b32 s19, 0
	s_mov_b32 s17, 0
                                        ; implicit-def: $vgpr2_vgpr3
	s_branch .LBB363_1659
.LBB363_1648:
	s_or_b32 s13, s16, exec_lo
	s_trap 2
	s_cbranch_execz .LBB363_1589
	s_branch .LBB363_1590
.LBB363_1649:
	s_mov_b32 s20, -1
	s_mov_b32 s19, 0
	s_mov_b32 s17, 0
	s_branch .LBB363_1653
.LBB363_1650:
	s_and_not1_saveexec_b32 s25, s25
	s_cbranch_execz .LBB363_1440
.LBB363_1651:
	v_add_f32_e32 v0, 0x42800000, v1
	s_and_not1_b32 s24, s24, exec_lo
	s_delay_alu instid0(VALU_DEP_1) | instskip(NEXT) | instid1(VALU_DEP_1)
	v_and_b32_e32 v0, 0xff, v0
	v_cmp_ne_u32_e32 vcc_lo, 0, v0
	s_and_b32 s26, vcc_lo, exec_lo
	s_delay_alu instid0(SALU_CYCLE_1)
	s_or_b32 s24, s24, s26
	s_or_b32 exec_lo, exec_lo, s25
	v_mov_b32_e32 v4, 0
	s_and_saveexec_b32 s25, s24
	s_cbranch_execnz .LBB363_1441
	s_branch .LBB363_1442
.LBB363_1652:
	s_mov_b32 s17, -1
	s_mov_b32 s19, 0
.LBB363_1653:
                                        ; implicit-def: $vgpr2_vgpr3
.LBB363_1654:
	s_and_b32 vcc_lo, exec_lo, s20
	s_cbranch_vccz .LBB363_1658
; %bb.1655:
	s_cmp_eq_u32 s14, 44
	s_cbranch_scc0 .LBB363_1657
; %bb.1656:
	global_load_u8 v2, v[8:9], off
	s_mov_b32 s17, 0
	s_mov_b32 s19, -1
	s_wait_loadcnt 0x0
	v_cmp_ne_u32_e32 vcc_lo, 0, v2
	v_lshlrev_b32_e32 v3, 23, v2
	s_delay_alu instid0(VALU_DEP_1) | instskip(NEXT) | instid1(VALU_DEP_1)
	v_trunc_f32_e32 v3, v3
	v_mul_f32_e32 v5, 0x2f800000, v3
	s_delay_alu instid0(VALU_DEP_1) | instskip(NEXT) | instid1(VALU_DEP_1)
	v_floor_f32_e32 v5, v5
	v_fmamk_f32 v3, v5, 0xcf800000, v3
	v_cvt_u32_f32_e32 v5, v5
	s_delay_alu instid0(VALU_DEP_2) | instskip(NEXT) | instid1(VALU_DEP_1)
	v_cvt_u32_f32_e32 v7, v3
	v_dual_cndmask_b32 v3, 0, v5 :: v_dual_cndmask_b32 v2, 0, v7
	s_branch .LBB363_1658
.LBB363_1657:
	s_mov_b32 s17, -1
                                        ; implicit-def: $vgpr2_vgpr3
.LBB363_1658:
	s_mov_b32 s20, 0
.LBB363_1659:
	s_delay_alu instid0(SALU_CYCLE_1)
	s_and_b32 vcc_lo, exec_lo, s20
	s_cbranch_vccz .LBB363_1663
; %bb.1660:
	s_cmp_eq_u32 s14, 29
	s_cbranch_scc0 .LBB363_1662
; %bb.1661:
	global_load_b64 v[2:3], v[8:9], off
	s_mov_b32 s17, 0
	s_mov_b32 s19, -1
	s_branch .LBB363_1663
.LBB363_1662:
	s_mov_b32 s17, -1
                                        ; implicit-def: $vgpr2_vgpr3
.LBB363_1663:
	s_mov_b32 s20, 0
.LBB363_1664:
	s_delay_alu instid0(SALU_CYCLE_1)
	s_and_b32 vcc_lo, exec_lo, s20
	s_cbranch_vccz .LBB363_1680
; %bb.1665:
	s_cmp_lt_i32 s14, 27
	s_cbranch_scc1 .LBB363_1668
; %bb.1666:
	s_cmp_gt_i32 s14, 27
	s_cbranch_scc0 .LBB363_1669
; %bb.1667:
	s_wait_loadcnt 0x0
	global_load_b32 v2, v[8:9], off
	v_mov_b32_e32 v3, 0
	s_mov_b32 s19, 0
	s_branch .LBB363_1670
.LBB363_1668:
	s_mov_b32 s19, -1
                                        ; implicit-def: $vgpr2_vgpr3
	s_branch .LBB363_1673
.LBB363_1669:
	s_mov_b32 s19, -1
                                        ; implicit-def: $vgpr2_vgpr3
.LBB363_1670:
	s_delay_alu instid0(SALU_CYCLE_1)
	s_and_not1_b32 vcc_lo, exec_lo, s19
	s_cbranch_vccnz .LBB363_1672
; %bb.1671:
	s_wait_loadcnt 0x0
	global_load_u16 v2, v[8:9], off
	s_mov_b32 s19, 0
	s_delay_alu instid0(SALU_CYCLE_1)
	v_mov_b32_e32 v3, s19
	s_wait_loadcnt 0x0
	v_and_b32_e32 v2, 0xffff, v2
.LBB363_1672:
	s_mov_b32 s19, 0
.LBB363_1673:
	s_delay_alu instid0(SALU_CYCLE_1)
	s_and_not1_b32 vcc_lo, exec_lo, s19
	s_cbranch_vccnz .LBB363_1679
; %bb.1674:
	global_load_u8 v5, v[8:9], off
	s_mov_b32 s20, 0
	s_mov_b32 s19, exec_lo
	s_wait_loadcnt 0x0
	v_cmpx_lt_i16_e32 0x7f, v5
	s_xor_b32 s19, exec_lo, s19
	s_cbranch_execz .LBB363_1690
; %bb.1675:
	v_cmp_ne_u16_e32 vcc_lo, 0x80, v5
	s_and_b32 s20, vcc_lo, exec_lo
	s_and_not1_saveexec_b32 s19, s19
	s_cbranch_execnz .LBB363_1691
.LBB363_1676:
	s_or_b32 exec_lo, exec_lo, s19
	v_mov_b64_e32 v[2:3], 0
	s_and_saveexec_b32 s19, s20
	s_cbranch_execz .LBB363_1678
.LBB363_1677:
	v_and_b32_e32 v2, 0xffff, v5
	s_delay_alu instid0(VALU_DEP_1) | instskip(SKIP_1) | instid1(VALU_DEP_2)
	v_and_b32_e32 v3, 7, v2
	v_bfe_u32 v11, v2, 3, 4
	v_clz_i32_u32_e32 v7, v3
	s_delay_alu instid0(VALU_DEP_2) | instskip(NEXT) | instid1(VALU_DEP_2)
	v_cmp_eq_u32_e32 vcc_lo, 0, v11
	v_min_u32_e32 v7, 32, v7
	s_delay_alu instid0(VALU_DEP_1) | instskip(NEXT) | instid1(VALU_DEP_1)
	v_subrev_nc_u32_e32 v10, 28, v7
	v_dual_lshlrev_b32 v2, v10, v2 :: v_dual_sub_nc_u32 v7, 29, v7
	s_delay_alu instid0(VALU_DEP_1) | instskip(NEXT) | instid1(VALU_DEP_2)
	v_dual_lshlrev_b32 v5, 24, v5 :: v_dual_bitop2_b32 v2, 7, v2 bitop3:0x40
	v_cndmask_b32_e32 v7, v11, v7, vcc_lo
	s_delay_alu instid0(VALU_DEP_2) | instskip(NEXT) | instid1(VALU_DEP_3)
	v_cndmask_b32_e32 v2, v3, v2, vcc_lo
	v_and_b32_e32 v3, 0x80000000, v5
	s_delay_alu instid0(VALU_DEP_3) | instskip(NEXT) | instid1(VALU_DEP_3)
	v_lshl_add_u32 v5, v7, 23, 0x3b800000
	v_lshlrev_b32_e32 v2, 20, v2
	s_delay_alu instid0(VALU_DEP_1) | instskip(NEXT) | instid1(VALU_DEP_1)
	v_or3_b32 v2, v3, v5, v2
	v_trunc_f32_e32 v2, v2
	s_delay_alu instid0(VALU_DEP_1) | instskip(NEXT) | instid1(VALU_DEP_1)
	v_mul_f32_e32 v3, 0x2f800000, v2
	v_floor_f32_e32 v3, v3
	s_delay_alu instid0(VALU_DEP_1) | instskip(SKIP_1) | instid1(VALU_DEP_2)
	v_fmamk_f32 v2, v3, 0xcf800000, v2
	v_cvt_u32_f32_e32 v3, v3
	v_cvt_u32_f32_e32 v2, v2
.LBB363_1678:
	s_or_b32 exec_lo, exec_lo, s19
.LBB363_1679:
	s_mov_b32 s19, -1
.LBB363_1680:
	s_branch .LBB363_1711
.LBB363_1681:
	s_cmp_gt_i32 s14, 22
	s_cbranch_scc0 .LBB363_1689
; %bb.1682:
	s_cmp_lt_i32 s14, 24
	s_cbranch_scc1 .LBB363_1692
; %bb.1683:
	s_cmp_gt_i32 s14, 24
	s_cbranch_scc0 .LBB363_1693
; %bb.1684:
	global_load_u8 v5, v[8:9], off
	s_mov_b32 s19, 0
	s_mov_b32 s18, exec_lo
	s_wait_loadcnt 0x0
	v_cmpx_lt_i16_e32 0x7f, v5
	s_xor_b32 s18, exec_lo, s18
	s_cbranch_execz .LBB363_1705
; %bb.1685:
	v_cmp_ne_u16_e32 vcc_lo, 0x80, v5
	s_and_b32 s19, vcc_lo, exec_lo
	s_and_not1_saveexec_b32 s18, s18
	s_cbranch_execnz .LBB363_1706
.LBB363_1686:
	s_or_b32 exec_lo, exec_lo, s18
	v_mov_b64_e32 v[2:3], 0
	s_and_saveexec_b32 s18, s19
	s_cbranch_execz .LBB363_1688
.LBB363_1687:
	v_and_b32_e32 v2, 0xffff, v5
	s_delay_alu instid0(VALU_DEP_1) | instskip(SKIP_1) | instid1(VALU_DEP_2)
	v_and_b32_e32 v3, 3, v2
	v_bfe_u32 v11, v2, 2, 5
	v_clz_i32_u32_e32 v7, v3
	s_delay_alu instid0(VALU_DEP_2) | instskip(NEXT) | instid1(VALU_DEP_2)
	v_cmp_eq_u32_e32 vcc_lo, 0, v11
	v_min_u32_e32 v7, 32, v7
	s_delay_alu instid0(VALU_DEP_1) | instskip(NEXT) | instid1(VALU_DEP_1)
	v_subrev_nc_u32_e32 v10, 29, v7
	v_dual_lshlrev_b32 v2, v10, v2 :: v_dual_sub_nc_u32 v7, 30, v7
	s_delay_alu instid0(VALU_DEP_1) | instskip(NEXT) | instid1(VALU_DEP_2)
	v_dual_lshlrev_b32 v5, 24, v5 :: v_dual_bitop2_b32 v2, 3, v2 bitop3:0x40
	v_cndmask_b32_e32 v7, v11, v7, vcc_lo
	s_delay_alu instid0(VALU_DEP_2) | instskip(NEXT) | instid1(VALU_DEP_3)
	v_cndmask_b32_e32 v2, v3, v2, vcc_lo
	v_and_b32_e32 v3, 0x80000000, v5
	s_delay_alu instid0(VALU_DEP_3) | instskip(NEXT) | instid1(VALU_DEP_3)
	v_lshl_add_u32 v5, v7, 23, 0x37800000
	v_lshlrev_b32_e32 v2, 21, v2
	s_delay_alu instid0(VALU_DEP_1) | instskip(NEXT) | instid1(VALU_DEP_1)
	v_or3_b32 v2, v3, v5, v2
	v_trunc_f32_e32 v2, v2
	s_delay_alu instid0(VALU_DEP_1) | instskip(NEXT) | instid1(VALU_DEP_1)
	v_mul_f32_e32 v3, 0x2f800000, v2
	v_floor_f32_e32 v3, v3
	s_delay_alu instid0(VALU_DEP_1) | instskip(SKIP_1) | instid1(VALU_DEP_2)
	v_fmamk_f32 v2, v3, 0xcf800000, v2
	v_cvt_u32_f32_e32 v3, v3
	v_cvt_u32_f32_e32 v2, v2
.LBB363_1688:
	s_or_b32 exec_lo, exec_lo, s18
	s_mov_b32 s18, 0
	s_branch .LBB363_1694
.LBB363_1689:
	s_mov_b32 s18, -1
                                        ; implicit-def: $vgpr2_vgpr3
	s_branch .LBB363_1700
.LBB363_1690:
	s_and_not1_saveexec_b32 s19, s19
	s_cbranch_execz .LBB363_1676
.LBB363_1691:
	v_cmp_ne_u16_e32 vcc_lo, 0, v5
	s_and_not1_b32 s20, s20, exec_lo
	s_and_b32 s21, vcc_lo, exec_lo
	s_delay_alu instid0(SALU_CYCLE_1)
	s_or_b32 s20, s20, s21
	s_or_b32 exec_lo, exec_lo, s19
	v_mov_b64_e32 v[2:3], 0
	s_and_saveexec_b32 s19, s20
	s_cbranch_execnz .LBB363_1677
	s_branch .LBB363_1678
.LBB363_1692:
	s_mov_b32 s18, -1
                                        ; implicit-def: $vgpr2_vgpr3
	s_branch .LBB363_1697
.LBB363_1693:
	s_mov_b32 s18, -1
                                        ; implicit-def: $vgpr2_vgpr3
.LBB363_1694:
	s_delay_alu instid0(SALU_CYCLE_1)
	s_and_b32 vcc_lo, exec_lo, s18
	s_cbranch_vccz .LBB363_1696
; %bb.1695:
	s_wait_loadcnt 0x0
	global_load_u8 v2, v[8:9], off
	s_wait_loadcnt 0x0
	v_lshlrev_b32_e32 v2, 24, v2
	s_delay_alu instid0(VALU_DEP_1) | instskip(NEXT) | instid1(VALU_DEP_1)
	v_and_b32_e32 v3, 0x7f000000, v2
	v_clz_i32_u32_e32 v5, v3
	v_cmp_ne_u32_e32 vcc_lo, 0, v3
	v_add_nc_u32_e32 v10, 0x1000000, v3
	s_delay_alu instid0(VALU_DEP_3) | instskip(NEXT) | instid1(VALU_DEP_1)
	v_min_u32_e32 v5, 32, v5
	v_sub_nc_u32_e64 v5, v5, 4 clamp
	s_delay_alu instid0(VALU_DEP_1) | instskip(NEXT) | instid1(VALU_DEP_1)
	v_dual_lshlrev_b32 v7, v5, v3 :: v_dual_lshlrev_b32 v5, 23, v5
	v_lshrrev_b32_e32 v7, 4, v7
	s_delay_alu instid0(VALU_DEP_1) | instskip(NEXT) | instid1(VALU_DEP_1)
	v_dual_sub_nc_u32 v5, v7, v5 :: v_dual_ashrrev_i32 v7, 8, v10
	v_add_nc_u32_e32 v5, 0x3c000000, v5
	s_delay_alu instid0(VALU_DEP_1) | instskip(NEXT) | instid1(VALU_DEP_1)
	v_and_or_b32 v5, 0x7f800000, v7, v5
	v_cndmask_b32_e32 v3, 0, v5, vcc_lo
	s_delay_alu instid0(VALU_DEP_1) | instskip(NEXT) | instid1(VALU_DEP_1)
	v_and_or_b32 v2, 0x80000000, v2, v3
	v_trunc_f32_e32 v2, v2
	s_delay_alu instid0(VALU_DEP_1) | instskip(NEXT) | instid1(VALU_DEP_1)
	v_mul_f32_e32 v3, 0x2f800000, v2
	v_floor_f32_e32 v3, v3
	s_delay_alu instid0(VALU_DEP_1) | instskip(SKIP_1) | instid1(VALU_DEP_2)
	v_fmamk_f32 v2, v3, 0xcf800000, v2
	v_cvt_u32_f32_e32 v3, v3
	v_cvt_u32_f32_e32 v2, v2
.LBB363_1696:
	s_mov_b32 s18, 0
.LBB363_1697:
	s_delay_alu instid0(SALU_CYCLE_1)
	s_and_not1_b32 vcc_lo, exec_lo, s18
	s_cbranch_vccnz .LBB363_1699
; %bb.1698:
	s_wait_loadcnt 0x0
	global_load_u8 v2, v[8:9], off
	s_wait_loadcnt 0x0
	v_lshlrev_b32_e32 v3, 25, v2
	v_lshlrev_b16 v2, 8, v2
	s_delay_alu instid0(VALU_DEP_1) | instskip(SKIP_1) | instid1(VALU_DEP_2)
	v_and_or_b32 v7, 0x7f00, v2, 0.5
	v_bfe_i32 v2, v2, 0, 16
	v_add_f32_e32 v7, -0.5, v7
	v_lshrrev_b32_e32 v5, 4, v3
	v_cmp_gt_u32_e32 vcc_lo, 0x8000000, v3
	s_delay_alu instid0(VALU_DEP_2) | instskip(NEXT) | instid1(VALU_DEP_1)
	v_or_b32_e32 v5, 0x70000000, v5
	v_mul_f32_e32 v5, 0x7800000, v5
	s_delay_alu instid0(VALU_DEP_1) | instskip(NEXT) | instid1(VALU_DEP_1)
	v_cndmask_b32_e32 v3, v5, v7, vcc_lo
	v_and_or_b32 v2, 0x80000000, v2, v3
	s_delay_alu instid0(VALU_DEP_1) | instskip(NEXT) | instid1(VALU_DEP_1)
	v_trunc_f32_e32 v2, v2
	v_mul_f32_e32 v3, 0x2f800000, v2
	s_delay_alu instid0(VALU_DEP_1) | instskip(NEXT) | instid1(VALU_DEP_1)
	v_floor_f32_e32 v3, v3
	v_fmamk_f32 v2, v3, 0xcf800000, v2
	v_cvt_u32_f32_e32 v3, v3
	s_delay_alu instid0(VALU_DEP_2)
	v_cvt_u32_f32_e32 v2, v2
.LBB363_1699:
	s_mov_b32 s18, 0
	s_mov_b32 s19, -1
.LBB363_1700:
	s_and_not1_b32 vcc_lo, exec_lo, s18
	s_mov_b32 s18, 0
	s_cbranch_vccnz .LBB363_1711
; %bb.1701:
	s_cmp_gt_i32 s14, 14
	s_cbranch_scc0 .LBB363_1704
; %bb.1702:
	s_cmp_eq_u32 s14, 15
	s_cbranch_scc0 .LBB363_1707
; %bb.1703:
	s_wait_loadcnt 0x0
	global_load_u16 v2, v[8:9], off
	s_mov_b32 s17, 0
	s_mov_b32 s19, -1
	s_wait_loadcnt 0x0
	v_lshlrev_b32_e32 v2, 16, v2
	s_delay_alu instid0(VALU_DEP_1) | instskip(NEXT) | instid1(VALU_DEP_1)
	v_trunc_f32_e32 v2, v2
	v_mul_f32_e32 v3, 0x2f800000, v2
	s_delay_alu instid0(VALU_DEP_1) | instskip(NEXT) | instid1(VALU_DEP_1)
	v_floor_f32_e32 v3, v3
	v_fmamk_f32 v2, v3, 0xcf800000, v2
	v_cvt_u32_f32_e32 v3, v3
	s_delay_alu instid0(VALU_DEP_2)
	v_cvt_u32_f32_e32 v2, v2
	s_branch .LBB363_1709
.LBB363_1704:
	s_mov_b32 s18, -1
	s_branch .LBB363_1708
.LBB363_1705:
	s_and_not1_saveexec_b32 s18, s18
	s_cbranch_execz .LBB363_1686
.LBB363_1706:
	v_cmp_ne_u16_e32 vcc_lo, 0, v5
	s_and_not1_b32 s19, s19, exec_lo
	s_and_b32 s20, vcc_lo, exec_lo
	s_delay_alu instid0(SALU_CYCLE_1)
	s_or_b32 s19, s19, s20
	s_or_b32 exec_lo, exec_lo, s18
	v_mov_b64_e32 v[2:3], 0
	s_and_saveexec_b32 s18, s19
	s_cbranch_execnz .LBB363_1687
	s_branch .LBB363_1688
.LBB363_1707:
	s_mov_b32 s17, -1
.LBB363_1708:
                                        ; implicit-def: $vgpr2_vgpr3
.LBB363_1709:
	s_and_b32 vcc_lo, exec_lo, s18
	s_mov_b32 s18, 0
	s_cbranch_vccz .LBB363_1711
; %bb.1710:
	s_cmp_lg_u32 s14, 11
	s_mov_b32 s18, -1
	s_cselect_b32 s17, -1, 0
.LBB363_1711:
	s_delay_alu instid0(SALU_CYCLE_1)
	s_and_b32 vcc_lo, exec_lo, s17
	s_cbranch_vccnz .LBB363_1774
; %bb.1712:
	s_and_not1_b32 vcc_lo, exec_lo, s18
	s_cbranch_vccnz .LBB363_1714
.LBB363_1713:
	s_wait_loadcnt 0x0
	global_load_u8 v2, v[8:9], off
	s_mov_b32 s14, 0
	s_mov_b32 s19, -1
	v_mov_b32_e32 v3, s14
	s_wait_loadcnt 0x0
	v_cmp_ne_u16_e32 vcc_lo, 0, v2
	v_cndmask_b32_e64 v2, 0, 1, vcc_lo
.LBB363_1714:
	s_branch .LBB363_1644
.LBB363_1715:
	s_and_b32 s14, 0xffff, s1
	s_delay_alu instid0(SALU_CYCLE_1)
	s_cmp_lt_i32 s14, 5
	s_cbranch_scc1 .LBB363_1720
; %bb.1716:
	s_cmp_lt_i32 s14, 8
	s_cbranch_scc1 .LBB363_1721
; %bb.1717:
	;; [unrolled: 3-line block ×3, first 2 shown]
	s_cmp_gt_i32 s14, 9
	s_cbranch_scc0 .LBB363_1723
; %bb.1719:
	s_wait_loadcnt 0x0
	global_load_b64 v[2:3], v[8:9], off
	s_mov_b32 s17, 0
	s_wait_loadcnt 0x0
	v_trunc_f64_e32 v[2:3], v[2:3]
	s_delay_alu instid0(VALU_DEP_1) | instskip(NEXT) | instid1(VALU_DEP_1)
	v_ldexp_f64 v[10:11], v[2:3], 0xffffffe0
	v_floor_f64_e32 v[10:11], v[10:11]
	s_delay_alu instid0(VALU_DEP_1) | instskip(SKIP_1) | instid1(VALU_DEP_2)
	v_fmamk_f64 v[12:13], v[10:11], 0xc1f00000, v[2:3]
	v_cvt_u32_f64_e32 v3, v[10:11]
	v_cvt_u32_f64_e32 v2, v[12:13]
	s_branch .LBB363_1724
.LBB363_1720:
                                        ; implicit-def: $vgpr2_vgpr3
	s_branch .LBB363_1742
.LBB363_1721:
	s_mov_b32 s17, -1
                                        ; implicit-def: $vgpr2_vgpr3
	s_branch .LBB363_1730
.LBB363_1722:
	s_mov_b32 s17, -1
                                        ; implicit-def: $vgpr2_vgpr3
	s_branch .LBB363_1727
.LBB363_1723:
	s_mov_b32 s17, -1
                                        ; implicit-def: $vgpr2_vgpr3
.LBB363_1724:
	s_delay_alu instid0(SALU_CYCLE_1)
	s_and_not1_b32 vcc_lo, exec_lo, s17
	s_cbranch_vccnz .LBB363_1726
; %bb.1725:
	s_wait_loadcnt 0x0
	global_load_b32 v2, v[8:9], off
	s_wait_loadcnt 0x0
	v_trunc_f32_e32 v2, v2
	s_delay_alu instid0(VALU_DEP_1) | instskip(NEXT) | instid1(VALU_DEP_1)
	v_mul_f32_e32 v3, 0x2f800000, v2
	v_floor_f32_e32 v3, v3
	s_delay_alu instid0(VALU_DEP_1) | instskip(SKIP_1) | instid1(VALU_DEP_2)
	v_fmamk_f32 v2, v3, 0xcf800000, v2
	v_cvt_u32_f32_e32 v3, v3
	v_cvt_u32_f32_e32 v2, v2
.LBB363_1726:
	s_mov_b32 s17, 0
.LBB363_1727:
	s_delay_alu instid0(SALU_CYCLE_1)
	s_and_not1_b32 vcc_lo, exec_lo, s17
	s_cbranch_vccnz .LBB363_1729
; %bb.1728:
	s_wait_loadcnt 0x0
	global_load_b32 v2, v[8:9], off
	v_mov_b32_e32 v3, 0
	s_wait_loadcnt 0x0
	v_cvt_f32_f16_e32 v2, v2
	s_delay_alu instid0(VALU_DEP_1)
	v_cvt_u32_f32_e32 v2, v2
.LBB363_1729:
	s_mov_b32 s17, 0
.LBB363_1730:
	s_delay_alu instid0(SALU_CYCLE_1)
	s_and_not1_b32 vcc_lo, exec_lo, s17
	s_cbranch_vccnz .LBB363_1741
; %bb.1731:
	s_cmp_lt_i32 s14, 6
	s_cbranch_scc1 .LBB363_1734
; %bb.1732:
	s_cmp_gt_i32 s14, 6
	s_cbranch_scc0 .LBB363_1735
; %bb.1733:
	s_wait_loadcnt 0x0
	global_load_b64 v[2:3], v[8:9], off
	s_mov_b32 s17, 0
	s_wait_loadcnt 0x0
	v_trunc_f64_e32 v[2:3], v[2:3]
	s_delay_alu instid0(VALU_DEP_1) | instskip(NEXT) | instid1(VALU_DEP_1)
	v_ldexp_f64 v[10:11], v[2:3], 0xffffffe0
	v_floor_f64_e32 v[10:11], v[10:11]
	s_delay_alu instid0(VALU_DEP_1) | instskip(SKIP_1) | instid1(VALU_DEP_2)
	v_fmamk_f64 v[12:13], v[10:11], 0xc1f00000, v[2:3]
	v_cvt_u32_f64_e32 v3, v[10:11]
	v_cvt_u32_f64_e32 v2, v[12:13]
	s_branch .LBB363_1736
.LBB363_1734:
	s_mov_b32 s17, -1
                                        ; implicit-def: $vgpr2_vgpr3
	s_branch .LBB363_1739
.LBB363_1735:
	s_mov_b32 s17, -1
                                        ; implicit-def: $vgpr2_vgpr3
.LBB363_1736:
	s_delay_alu instid0(SALU_CYCLE_1)
	s_and_not1_b32 vcc_lo, exec_lo, s17
	s_cbranch_vccnz .LBB363_1738
; %bb.1737:
	s_wait_loadcnt 0x0
	global_load_b32 v2, v[8:9], off
	s_wait_loadcnt 0x0
	v_trunc_f32_e32 v2, v2
	s_delay_alu instid0(VALU_DEP_1) | instskip(NEXT) | instid1(VALU_DEP_1)
	v_mul_f32_e32 v3, 0x2f800000, v2
	v_floor_f32_e32 v3, v3
	s_delay_alu instid0(VALU_DEP_1) | instskip(SKIP_1) | instid1(VALU_DEP_2)
	v_fmamk_f32 v2, v3, 0xcf800000, v2
	v_cvt_u32_f32_e32 v3, v3
	v_cvt_u32_f32_e32 v2, v2
.LBB363_1738:
	s_mov_b32 s17, 0
.LBB363_1739:
	s_delay_alu instid0(SALU_CYCLE_1)
	s_and_not1_b32 vcc_lo, exec_lo, s17
	s_cbranch_vccnz .LBB363_1741
; %bb.1740:
	s_wait_loadcnt 0x0
	global_load_u16 v2, v[8:9], off
	v_mov_b32_e32 v3, 0
	s_wait_loadcnt 0x0
	v_cvt_f32_f16_e32 v2, v2
	s_delay_alu instid0(VALU_DEP_1)
	v_cvt_u32_f32_e32 v2, v2
.LBB363_1741:
	s_cbranch_execnz .LBB363_1761
.LBB363_1742:
	s_cmp_lt_i32 s14, 2
	s_cbranch_scc1 .LBB363_1746
; %bb.1743:
	s_cmp_lt_i32 s14, 3
	s_cbranch_scc1 .LBB363_1747
; %bb.1744:
	s_cmp_gt_i32 s14, 3
	s_cbranch_scc0 .LBB363_1748
; %bb.1745:
	s_wait_loadcnt 0x0
	global_load_b64 v[2:3], v[8:9], off
	s_mov_b32 s17, 0
	s_branch .LBB363_1749
.LBB363_1746:
	s_mov_b32 s17, -1
                                        ; implicit-def: $vgpr2_vgpr3
	s_branch .LBB363_1755
.LBB363_1747:
	s_mov_b32 s17, -1
                                        ; implicit-def: $vgpr2_vgpr3
	s_branch .LBB363_1752
.LBB363_1748:
	s_mov_b32 s17, -1
                                        ; implicit-def: $vgpr2_vgpr3
.LBB363_1749:
	s_delay_alu instid0(SALU_CYCLE_1)
	s_and_not1_b32 vcc_lo, exec_lo, s17
	s_cbranch_vccnz .LBB363_1751
; %bb.1750:
	s_wait_loadcnt 0x0
	global_load_b32 v2, v[8:9], off
	s_wait_loadcnt 0x0
	v_ashrrev_i32_e32 v3, 31, v2
.LBB363_1751:
	s_mov_b32 s17, 0
.LBB363_1752:
	s_delay_alu instid0(SALU_CYCLE_1)
	s_and_not1_b32 vcc_lo, exec_lo, s17
	s_cbranch_vccnz .LBB363_1754
; %bb.1753:
	s_wait_loadcnt 0x0
	global_load_u16 v2, v[8:9], off
	s_wait_loadcnt 0x0
	v_bfe_i32 v2, v2, 0, 16
	s_delay_alu instid0(VALU_DEP_1)
	v_ashrrev_i32_e32 v3, 31, v2
.LBB363_1754:
	s_mov_b32 s17, 0
.LBB363_1755:
	s_delay_alu instid0(SALU_CYCLE_1)
	s_and_not1_b32 vcc_lo, exec_lo, s17
	s_cbranch_vccnz .LBB363_1761
; %bb.1756:
	s_cmp_gt_i32 s14, 0
	s_mov_b32 s14, 0
	s_cbranch_scc0 .LBB363_1758
; %bb.1757:
	s_wait_loadcnt 0x0
	global_load_i8 v2, v[8:9], off
	s_wait_loadcnt 0x0
	v_bfe_i32 v2, v2, 0, 16
	s_delay_alu instid0(VALU_DEP_1)
	v_ashrrev_i32_e32 v3, 31, v2
	s_branch .LBB363_1759
.LBB363_1758:
	s_mov_b32 s14, -1
                                        ; implicit-def: $vgpr2_vgpr3
.LBB363_1759:
	s_delay_alu instid0(SALU_CYCLE_1)
	s_and_not1_b32 vcc_lo, exec_lo, s14
	s_cbranch_vccnz .LBB363_1761
; %bb.1760:
	s_wait_loadcnt 0x0
	global_load_u8 v2, v[8:9], off
	s_mov_b32 s14, 0
	s_delay_alu instid0(SALU_CYCLE_1)
	v_mov_b32_e32 v3, s14
	s_wait_loadcnt 0x0
	v_and_b32_e32 v2, 0xffff, v2
.LBB363_1761:
.LBB363_1762:
	s_lshl_b32 s9, s9, 7
	s_cmp_lt_i32 s0, 11
	s_wait_xcnt 0x0
	v_add_nc_u32_e32 v8, s9, v4
	s_delay_alu instid0(VALU_DEP_1) | instskip(NEXT) | instid1(VALU_DEP_1)
	v_ashrrev_i32_e32 v9, 31, v8
	v_add_nc_u64_e32 v[10:11], s[6:7], v[8:9]
	s_cbranch_scc1 .LBB363_1769
; %bb.1763:
	s_and_b32 s14, 0xffff, s0
	s_mov_b32 s18, 0
	s_cmp_gt_i32 s14, 25
	s_cbranch_scc0 .LBB363_1771
; %bb.1764:
	s_cmp_gt_i32 s14, 28
	s_cbranch_scc0 .LBB363_1772
; %bb.1765:
	;; [unrolled: 3-line block ×4, first 2 shown]
	s_cmp_eq_u32 s14, 46
	s_mov_b32 s20, 0
	s_cbranch_scc0 .LBB363_1776
; %bb.1768:
	global_load_b32 v4, v[10:11], off
	s_mov_b32 s17, 0
	s_mov_b32 s19, -1
	s_wait_loadcnt 0x0
	v_lshlrev_b32_e32 v4, 16, v4
	s_delay_alu instid0(VALU_DEP_1) | instskip(NEXT) | instid1(VALU_DEP_1)
	v_trunc_f32_e32 v4, v4
	v_mul_f32_e32 v5, 0x2f800000, v4
	s_delay_alu instid0(VALU_DEP_1) | instskip(NEXT) | instid1(VALU_DEP_1)
	v_floor_f32_e32 v5, v5
	v_fmamk_f32 v4, v5, 0xcf800000, v4
	v_cvt_u32_f32_e32 v5, v5
	s_delay_alu instid0(VALU_DEP_2)
	v_cvt_u32_f32_e32 v4, v4
	s_branch .LBB363_1778
.LBB363_1769:
	s_mov_b32 s19, 0
                                        ; implicit-def: $vgpr4_vgpr5
	s_cbranch_execnz .LBB363_1840
.LBB363_1770:
	s_and_not1_b32 vcc_lo, exec_lo, s19
	s_cbranch_vccnz .LBB363_2957
	s_branch .LBB363_1888
.LBB363_1771:
	s_mov_b32 s20, -1
	s_mov_b32 s19, 0
	s_mov_b32 s17, 0
                                        ; implicit-def: $vgpr4_vgpr5
	s_branch .LBB363_1805
.LBB363_1772:
	s_mov_b32 s20, -1
	s_mov_b32 s19, 0
	s_mov_b32 s17, 0
                                        ; implicit-def: $vgpr4_vgpr5
	s_branch .LBB363_1788
.LBB363_1773:
	s_mov_b32 s20, -1
	s_mov_b32 s19, 0
	s_mov_b32 s17, 0
                                        ; implicit-def: $vgpr4_vgpr5
	s_branch .LBB363_1783
.LBB363_1774:
	s_or_b32 s13, s13, exec_lo
	s_trap 2
	s_cbranch_execz .LBB363_1713
	s_branch .LBB363_1714
.LBB363_1775:
	s_mov_b32 s20, -1
	s_mov_b32 s19, 0
	s_mov_b32 s17, 0
	s_branch .LBB363_1777
.LBB363_1776:
	s_mov_b32 s17, -1
	s_mov_b32 s19, 0
.LBB363_1777:
                                        ; implicit-def: $vgpr4_vgpr5
.LBB363_1778:
	s_and_b32 vcc_lo, exec_lo, s20
	s_cbranch_vccz .LBB363_1782
; %bb.1779:
	s_cmp_eq_u32 s14, 44
	s_cbranch_scc0 .LBB363_1781
; %bb.1780:
	global_load_u8 v4, v[10:11], off
	s_mov_b32 s17, 0
	s_mov_b32 s19, -1
	s_wait_loadcnt 0x0
	v_cmp_ne_u32_e32 vcc_lo, 0, v4
	v_lshlrev_b32_e32 v5, 23, v4
	s_delay_alu instid0(VALU_DEP_1) | instskip(NEXT) | instid1(VALU_DEP_1)
	v_trunc_f32_e32 v5, v5
	v_mul_f32_e32 v7, 0x2f800000, v5
	s_delay_alu instid0(VALU_DEP_1) | instskip(NEXT) | instid1(VALU_DEP_1)
	v_floor_f32_e32 v7, v7
	v_fmamk_f32 v5, v7, 0xcf800000, v5
	v_cvt_u32_f32_e32 v7, v7
	s_delay_alu instid0(VALU_DEP_2) | instskip(NEXT) | instid1(VALU_DEP_1)
	v_cvt_u32_f32_e32 v9, v5
	v_dual_cndmask_b32 v5, 0, v7 :: v_dual_cndmask_b32 v4, 0, v9
	s_branch .LBB363_1782
.LBB363_1781:
	s_mov_b32 s17, -1
                                        ; implicit-def: $vgpr4_vgpr5
.LBB363_1782:
	s_mov_b32 s20, 0
.LBB363_1783:
	s_delay_alu instid0(SALU_CYCLE_1)
	s_and_b32 vcc_lo, exec_lo, s20
	s_cbranch_vccz .LBB363_1787
; %bb.1784:
	s_cmp_eq_u32 s14, 29
	s_cbranch_scc0 .LBB363_1786
; %bb.1785:
	global_load_b64 v[4:5], v[10:11], off
	s_mov_b32 s17, 0
	s_mov_b32 s19, -1
	s_branch .LBB363_1787
.LBB363_1786:
	s_mov_b32 s17, -1
                                        ; implicit-def: $vgpr4_vgpr5
.LBB363_1787:
	s_mov_b32 s20, 0
.LBB363_1788:
	s_delay_alu instid0(SALU_CYCLE_1)
	s_and_b32 vcc_lo, exec_lo, s20
	s_cbranch_vccz .LBB363_1804
; %bb.1789:
	s_cmp_lt_i32 s14, 27
	s_cbranch_scc1 .LBB363_1792
; %bb.1790:
	s_cmp_gt_i32 s14, 27
	s_cbranch_scc0 .LBB363_1793
; %bb.1791:
	s_wait_loadcnt 0x0
	global_load_b32 v4, v[10:11], off
	v_mov_b32_e32 v5, 0
	s_mov_b32 s19, 0
	s_branch .LBB363_1794
.LBB363_1792:
	s_mov_b32 s19, -1
                                        ; implicit-def: $vgpr4_vgpr5
	s_branch .LBB363_1797
.LBB363_1793:
	s_mov_b32 s19, -1
                                        ; implicit-def: $vgpr4_vgpr5
.LBB363_1794:
	s_delay_alu instid0(SALU_CYCLE_1)
	s_and_not1_b32 vcc_lo, exec_lo, s19
	s_cbranch_vccnz .LBB363_1796
; %bb.1795:
	s_wait_loadcnt 0x0
	global_load_u16 v4, v[10:11], off
	s_mov_b32 s19, 0
	s_delay_alu instid0(SALU_CYCLE_1)
	v_mov_b32_e32 v5, s19
	s_wait_loadcnt 0x0
	v_and_b32_e32 v4, 0xffff, v4
.LBB363_1796:
	s_mov_b32 s19, 0
.LBB363_1797:
	s_delay_alu instid0(SALU_CYCLE_1)
	s_and_not1_b32 vcc_lo, exec_lo, s19
	s_cbranch_vccnz .LBB363_1803
; %bb.1798:
	global_load_u8 v7, v[10:11], off
	s_mov_b32 s20, 0
	s_mov_b32 s19, exec_lo
	s_wait_loadcnt 0x0
	v_cmpx_lt_i16_e32 0x7f, v7
	s_xor_b32 s19, exec_lo, s19
	s_cbranch_execz .LBB363_1815
; %bb.1799:
	v_cmp_ne_u16_e32 vcc_lo, 0x80, v7
	s_and_b32 s20, vcc_lo, exec_lo
	s_and_not1_saveexec_b32 s19, s19
	s_cbranch_execnz .LBB363_1816
.LBB363_1800:
	s_or_b32 exec_lo, exec_lo, s19
	v_mov_b64_e32 v[4:5], 0
	s_and_saveexec_b32 s19, s20
	s_cbranch_execz .LBB363_1802
.LBB363_1801:
	v_and_b32_e32 v4, 0xffff, v7
	s_delay_alu instid0(VALU_DEP_1) | instskip(SKIP_1) | instid1(VALU_DEP_2)
	v_and_b32_e32 v5, 7, v4
	v_bfe_u32 v13, v4, 3, 4
	v_clz_i32_u32_e32 v9, v5
	s_delay_alu instid0(VALU_DEP_2) | instskip(NEXT) | instid1(VALU_DEP_2)
	v_cmp_eq_u32_e32 vcc_lo, 0, v13
	v_min_u32_e32 v9, 32, v9
	s_delay_alu instid0(VALU_DEP_1) | instskip(NEXT) | instid1(VALU_DEP_1)
	v_subrev_nc_u32_e32 v12, 28, v9
	v_dual_lshlrev_b32 v4, v12, v4 :: v_dual_sub_nc_u32 v9, 29, v9
	s_delay_alu instid0(VALU_DEP_1) | instskip(NEXT) | instid1(VALU_DEP_2)
	v_dual_lshlrev_b32 v7, 24, v7 :: v_dual_bitop2_b32 v4, 7, v4 bitop3:0x40
	v_cndmask_b32_e32 v9, v13, v9, vcc_lo
	s_delay_alu instid0(VALU_DEP_2) | instskip(NEXT) | instid1(VALU_DEP_3)
	v_cndmask_b32_e32 v4, v5, v4, vcc_lo
	v_and_b32_e32 v5, 0x80000000, v7
	s_delay_alu instid0(VALU_DEP_3) | instskip(NEXT) | instid1(VALU_DEP_3)
	v_lshl_add_u32 v7, v9, 23, 0x3b800000
	v_lshlrev_b32_e32 v4, 20, v4
	s_delay_alu instid0(VALU_DEP_1) | instskip(NEXT) | instid1(VALU_DEP_1)
	v_or3_b32 v4, v5, v7, v4
	v_trunc_f32_e32 v4, v4
	s_delay_alu instid0(VALU_DEP_1) | instskip(NEXT) | instid1(VALU_DEP_1)
	v_mul_f32_e32 v5, 0x2f800000, v4
	v_floor_f32_e32 v5, v5
	s_delay_alu instid0(VALU_DEP_1) | instskip(SKIP_1) | instid1(VALU_DEP_2)
	v_fmamk_f32 v4, v5, 0xcf800000, v4
	v_cvt_u32_f32_e32 v5, v5
	v_cvt_u32_f32_e32 v4, v4
.LBB363_1802:
	s_or_b32 exec_lo, exec_lo, s19
.LBB363_1803:
	s_mov_b32 s19, -1
.LBB363_1804:
	s_mov_b32 s20, 0
.LBB363_1805:
	s_delay_alu instid0(SALU_CYCLE_1)
	s_and_b32 vcc_lo, exec_lo, s20
	s_cbranch_vccz .LBB363_1836
; %bb.1806:
	s_cmp_gt_i32 s14, 22
	s_cbranch_scc0 .LBB363_1814
; %bb.1807:
	s_cmp_lt_i32 s14, 24
	s_cbranch_scc1 .LBB363_1817
; %bb.1808:
	s_cmp_gt_i32 s14, 24
	s_cbranch_scc0 .LBB363_1818
; %bb.1809:
	global_load_u8 v7, v[10:11], off
	s_mov_b32 s19, 0
	s_mov_b32 s18, exec_lo
	s_wait_loadcnt 0x0
	v_cmpx_lt_i16_e32 0x7f, v7
	s_xor_b32 s18, exec_lo, s18
	s_cbranch_execz .LBB363_1830
; %bb.1810:
	v_cmp_ne_u16_e32 vcc_lo, 0x80, v7
	s_and_b32 s19, vcc_lo, exec_lo
	s_and_not1_saveexec_b32 s18, s18
	s_cbranch_execnz .LBB363_1831
.LBB363_1811:
	s_or_b32 exec_lo, exec_lo, s18
	v_mov_b64_e32 v[4:5], 0
	s_and_saveexec_b32 s18, s19
	s_cbranch_execz .LBB363_1813
.LBB363_1812:
	v_and_b32_e32 v4, 0xffff, v7
	s_delay_alu instid0(VALU_DEP_1) | instskip(SKIP_1) | instid1(VALU_DEP_2)
	v_and_b32_e32 v5, 3, v4
	v_bfe_u32 v13, v4, 2, 5
	v_clz_i32_u32_e32 v9, v5
	s_delay_alu instid0(VALU_DEP_2) | instskip(NEXT) | instid1(VALU_DEP_2)
	v_cmp_eq_u32_e32 vcc_lo, 0, v13
	v_min_u32_e32 v9, 32, v9
	s_delay_alu instid0(VALU_DEP_1) | instskip(NEXT) | instid1(VALU_DEP_1)
	v_subrev_nc_u32_e32 v12, 29, v9
	v_dual_lshlrev_b32 v4, v12, v4 :: v_dual_sub_nc_u32 v9, 30, v9
	s_delay_alu instid0(VALU_DEP_1) | instskip(NEXT) | instid1(VALU_DEP_2)
	v_dual_lshlrev_b32 v7, 24, v7 :: v_dual_bitop2_b32 v4, 3, v4 bitop3:0x40
	v_cndmask_b32_e32 v9, v13, v9, vcc_lo
	s_delay_alu instid0(VALU_DEP_2) | instskip(NEXT) | instid1(VALU_DEP_3)
	v_cndmask_b32_e32 v4, v5, v4, vcc_lo
	v_and_b32_e32 v5, 0x80000000, v7
	s_delay_alu instid0(VALU_DEP_3) | instskip(NEXT) | instid1(VALU_DEP_3)
	v_lshl_add_u32 v7, v9, 23, 0x37800000
	v_lshlrev_b32_e32 v4, 21, v4
	s_delay_alu instid0(VALU_DEP_1) | instskip(NEXT) | instid1(VALU_DEP_1)
	v_or3_b32 v4, v5, v7, v4
	v_trunc_f32_e32 v4, v4
	s_delay_alu instid0(VALU_DEP_1) | instskip(NEXT) | instid1(VALU_DEP_1)
	v_mul_f32_e32 v5, 0x2f800000, v4
	v_floor_f32_e32 v5, v5
	s_delay_alu instid0(VALU_DEP_1) | instskip(SKIP_1) | instid1(VALU_DEP_2)
	v_fmamk_f32 v4, v5, 0xcf800000, v4
	v_cvt_u32_f32_e32 v5, v5
	v_cvt_u32_f32_e32 v4, v4
.LBB363_1813:
	s_or_b32 exec_lo, exec_lo, s18
	s_mov_b32 s18, 0
	s_branch .LBB363_1819
.LBB363_1814:
	s_mov_b32 s18, -1
                                        ; implicit-def: $vgpr4_vgpr5
	s_branch .LBB363_1825
.LBB363_1815:
	s_and_not1_saveexec_b32 s19, s19
	s_cbranch_execz .LBB363_1800
.LBB363_1816:
	v_cmp_ne_u16_e32 vcc_lo, 0, v7
	s_and_not1_b32 s20, s20, exec_lo
	s_and_b32 s21, vcc_lo, exec_lo
	s_delay_alu instid0(SALU_CYCLE_1)
	s_or_b32 s20, s20, s21
	s_or_b32 exec_lo, exec_lo, s19
	v_mov_b64_e32 v[4:5], 0
	s_and_saveexec_b32 s19, s20
	s_cbranch_execnz .LBB363_1801
	s_branch .LBB363_1802
.LBB363_1817:
	s_mov_b32 s18, -1
                                        ; implicit-def: $vgpr4_vgpr5
	s_branch .LBB363_1822
.LBB363_1818:
	s_mov_b32 s18, -1
                                        ; implicit-def: $vgpr4_vgpr5
.LBB363_1819:
	s_delay_alu instid0(SALU_CYCLE_1)
	s_and_b32 vcc_lo, exec_lo, s18
	s_cbranch_vccz .LBB363_1821
; %bb.1820:
	s_wait_loadcnt 0x0
	global_load_u8 v4, v[10:11], off
	s_wait_loadcnt 0x0
	v_lshlrev_b32_e32 v4, 24, v4
	s_delay_alu instid0(VALU_DEP_1) | instskip(NEXT) | instid1(VALU_DEP_1)
	v_and_b32_e32 v5, 0x7f000000, v4
	v_clz_i32_u32_e32 v7, v5
	v_cmp_ne_u32_e32 vcc_lo, 0, v5
	v_add_nc_u32_e32 v12, 0x1000000, v5
	s_delay_alu instid0(VALU_DEP_3) | instskip(NEXT) | instid1(VALU_DEP_1)
	v_min_u32_e32 v7, 32, v7
	v_sub_nc_u32_e64 v7, v7, 4 clamp
	s_delay_alu instid0(VALU_DEP_1) | instskip(NEXT) | instid1(VALU_DEP_1)
	v_dual_lshlrev_b32 v9, v7, v5 :: v_dual_lshlrev_b32 v7, 23, v7
	v_lshrrev_b32_e32 v9, 4, v9
	s_delay_alu instid0(VALU_DEP_1) | instskip(NEXT) | instid1(VALU_DEP_1)
	v_dual_sub_nc_u32 v7, v9, v7 :: v_dual_ashrrev_i32 v9, 8, v12
	v_add_nc_u32_e32 v7, 0x3c000000, v7
	s_delay_alu instid0(VALU_DEP_1) | instskip(NEXT) | instid1(VALU_DEP_1)
	v_and_or_b32 v7, 0x7f800000, v9, v7
	v_cndmask_b32_e32 v5, 0, v7, vcc_lo
	s_delay_alu instid0(VALU_DEP_1) | instskip(NEXT) | instid1(VALU_DEP_1)
	v_and_or_b32 v4, 0x80000000, v4, v5
	v_trunc_f32_e32 v4, v4
	s_delay_alu instid0(VALU_DEP_1) | instskip(NEXT) | instid1(VALU_DEP_1)
	v_mul_f32_e32 v5, 0x2f800000, v4
	v_floor_f32_e32 v5, v5
	s_delay_alu instid0(VALU_DEP_1) | instskip(SKIP_1) | instid1(VALU_DEP_2)
	v_fmamk_f32 v4, v5, 0xcf800000, v4
	v_cvt_u32_f32_e32 v5, v5
	v_cvt_u32_f32_e32 v4, v4
.LBB363_1821:
	s_mov_b32 s18, 0
.LBB363_1822:
	s_delay_alu instid0(SALU_CYCLE_1)
	s_and_not1_b32 vcc_lo, exec_lo, s18
	s_cbranch_vccnz .LBB363_1824
; %bb.1823:
	s_wait_loadcnt 0x0
	global_load_u8 v4, v[10:11], off
	s_wait_loadcnt 0x0
	v_lshlrev_b32_e32 v5, 25, v4
	v_lshlrev_b16 v4, 8, v4
	s_delay_alu instid0(VALU_DEP_1) | instskip(SKIP_1) | instid1(VALU_DEP_2)
	v_and_or_b32 v9, 0x7f00, v4, 0.5
	v_bfe_i32 v4, v4, 0, 16
	v_add_f32_e32 v9, -0.5, v9
	v_lshrrev_b32_e32 v7, 4, v5
	v_cmp_gt_u32_e32 vcc_lo, 0x8000000, v5
	s_delay_alu instid0(VALU_DEP_2) | instskip(NEXT) | instid1(VALU_DEP_1)
	v_or_b32_e32 v7, 0x70000000, v7
	v_mul_f32_e32 v7, 0x7800000, v7
	s_delay_alu instid0(VALU_DEP_1) | instskip(NEXT) | instid1(VALU_DEP_1)
	v_cndmask_b32_e32 v5, v7, v9, vcc_lo
	v_and_or_b32 v4, 0x80000000, v4, v5
	s_delay_alu instid0(VALU_DEP_1) | instskip(NEXT) | instid1(VALU_DEP_1)
	v_trunc_f32_e32 v4, v4
	v_mul_f32_e32 v5, 0x2f800000, v4
	s_delay_alu instid0(VALU_DEP_1) | instskip(NEXT) | instid1(VALU_DEP_1)
	v_floor_f32_e32 v5, v5
	v_fmamk_f32 v4, v5, 0xcf800000, v4
	v_cvt_u32_f32_e32 v5, v5
	s_delay_alu instid0(VALU_DEP_2)
	v_cvt_u32_f32_e32 v4, v4
.LBB363_1824:
	s_mov_b32 s18, 0
	s_mov_b32 s19, -1
.LBB363_1825:
	s_and_not1_b32 vcc_lo, exec_lo, s18
	s_mov_b32 s18, 0
	s_cbranch_vccnz .LBB363_1836
; %bb.1826:
	s_cmp_gt_i32 s14, 14
	s_cbranch_scc0 .LBB363_1829
; %bb.1827:
	s_cmp_eq_u32 s14, 15
	s_cbranch_scc0 .LBB363_1832
; %bb.1828:
	s_wait_loadcnt 0x0
	global_load_u16 v4, v[10:11], off
	s_mov_b32 s17, 0
	s_mov_b32 s19, -1
	s_wait_loadcnt 0x0
	v_lshlrev_b32_e32 v4, 16, v4
	s_delay_alu instid0(VALU_DEP_1) | instskip(NEXT) | instid1(VALU_DEP_1)
	v_trunc_f32_e32 v4, v4
	v_mul_f32_e32 v5, 0x2f800000, v4
	s_delay_alu instid0(VALU_DEP_1) | instskip(NEXT) | instid1(VALU_DEP_1)
	v_floor_f32_e32 v5, v5
	v_fmamk_f32 v4, v5, 0xcf800000, v4
	v_cvt_u32_f32_e32 v5, v5
	s_delay_alu instid0(VALU_DEP_2)
	v_cvt_u32_f32_e32 v4, v4
	s_branch .LBB363_1834
.LBB363_1829:
	s_mov_b32 s18, -1
	s_branch .LBB363_1833
.LBB363_1830:
	s_and_not1_saveexec_b32 s18, s18
	s_cbranch_execz .LBB363_1811
.LBB363_1831:
	v_cmp_ne_u16_e32 vcc_lo, 0, v7
	s_and_not1_b32 s19, s19, exec_lo
	s_and_b32 s20, vcc_lo, exec_lo
	s_delay_alu instid0(SALU_CYCLE_1)
	s_or_b32 s19, s19, s20
	s_or_b32 exec_lo, exec_lo, s18
	v_mov_b64_e32 v[4:5], 0
	s_and_saveexec_b32 s18, s19
	s_cbranch_execnz .LBB363_1812
	s_branch .LBB363_1813
.LBB363_1832:
	s_mov_b32 s17, -1
.LBB363_1833:
                                        ; implicit-def: $vgpr4_vgpr5
.LBB363_1834:
	s_and_b32 vcc_lo, exec_lo, s18
	s_mov_b32 s18, 0
	s_cbranch_vccz .LBB363_1836
; %bb.1835:
	s_cmp_lg_u32 s14, 11
	s_mov_b32 s18, -1
	s_cselect_b32 s17, -1, 0
.LBB363_1836:
	s_delay_alu instid0(SALU_CYCLE_1)
	s_and_b32 vcc_lo, exec_lo, s17
	s_cbranch_vccnz .LBB363_1899
; %bb.1837:
	s_and_not1_b32 vcc_lo, exec_lo, s18
	s_cbranch_vccnz .LBB363_1839
.LBB363_1838:
	s_wait_loadcnt 0x0
	global_load_u8 v4, v[10:11], off
	s_mov_b32 s14, 0
	s_mov_b32 s19, -1
	v_mov_b32_e32 v5, s14
	s_wait_loadcnt 0x0
	v_cmp_ne_u16_e32 vcc_lo, 0, v4
	v_cndmask_b32_e64 v4, 0, 1, vcc_lo
.LBB363_1839:
	s_branch .LBB363_1770
.LBB363_1840:
	s_and_b32 s14, 0xffff, s0
	s_delay_alu instid0(SALU_CYCLE_1)
	s_cmp_lt_i32 s14, 5
	s_cbranch_scc1 .LBB363_1845
; %bb.1841:
	s_cmp_lt_i32 s14, 8
	s_cbranch_scc1 .LBB363_1846
; %bb.1842:
	;; [unrolled: 3-line block ×3, first 2 shown]
	s_cmp_gt_i32 s14, 9
	s_cbranch_scc0 .LBB363_1848
; %bb.1844:
	s_wait_loadcnt 0x0
	global_load_b64 v[4:5], v[10:11], off
	s_mov_b32 s17, 0
	s_wait_loadcnt 0x0
	v_trunc_f64_e32 v[4:5], v[4:5]
	s_delay_alu instid0(VALU_DEP_1) | instskip(NEXT) | instid1(VALU_DEP_1)
	v_ldexp_f64 v[12:13], v[4:5], 0xffffffe0
	v_floor_f64_e32 v[12:13], v[12:13]
	s_delay_alu instid0(VALU_DEP_1) | instskip(SKIP_1) | instid1(VALU_DEP_2)
	v_fmamk_f64 v[14:15], v[12:13], 0xc1f00000, v[4:5]
	v_cvt_u32_f64_e32 v5, v[12:13]
	v_cvt_u32_f64_e32 v4, v[14:15]
	s_branch .LBB363_1849
.LBB363_1845:
	s_mov_b32 s17, -1
                                        ; implicit-def: $vgpr4_vgpr5
	s_branch .LBB363_1867
.LBB363_1846:
	s_mov_b32 s17, -1
                                        ; implicit-def: $vgpr4_vgpr5
	s_branch .LBB363_1855
.LBB363_1847:
	s_mov_b32 s17, -1
                                        ; implicit-def: $vgpr4_vgpr5
	s_branch .LBB363_1852
.LBB363_1848:
	s_mov_b32 s17, -1
                                        ; implicit-def: $vgpr4_vgpr5
.LBB363_1849:
	s_delay_alu instid0(SALU_CYCLE_1)
	s_and_not1_b32 vcc_lo, exec_lo, s17
	s_cbranch_vccnz .LBB363_1851
; %bb.1850:
	s_wait_loadcnt 0x0
	global_load_b32 v4, v[10:11], off
	s_wait_loadcnt 0x0
	v_trunc_f32_e32 v4, v4
	s_delay_alu instid0(VALU_DEP_1) | instskip(NEXT) | instid1(VALU_DEP_1)
	v_mul_f32_e32 v5, 0x2f800000, v4
	v_floor_f32_e32 v5, v5
	s_delay_alu instid0(VALU_DEP_1) | instskip(SKIP_1) | instid1(VALU_DEP_2)
	v_fmamk_f32 v4, v5, 0xcf800000, v4
	v_cvt_u32_f32_e32 v5, v5
	v_cvt_u32_f32_e32 v4, v4
.LBB363_1851:
	s_mov_b32 s17, 0
.LBB363_1852:
	s_delay_alu instid0(SALU_CYCLE_1)
	s_and_not1_b32 vcc_lo, exec_lo, s17
	s_cbranch_vccnz .LBB363_1854
; %bb.1853:
	s_wait_loadcnt 0x0
	global_load_b32 v4, v[10:11], off
	v_mov_b32_e32 v5, 0
	s_wait_loadcnt 0x0
	v_cvt_f32_f16_e32 v4, v4
	s_delay_alu instid0(VALU_DEP_1)
	v_cvt_u32_f32_e32 v4, v4
.LBB363_1854:
	s_mov_b32 s17, 0
.LBB363_1855:
	s_delay_alu instid0(SALU_CYCLE_1)
	s_and_not1_b32 vcc_lo, exec_lo, s17
	s_cbranch_vccnz .LBB363_1866
; %bb.1856:
	s_cmp_lt_i32 s14, 6
	s_cbranch_scc1 .LBB363_1859
; %bb.1857:
	s_cmp_gt_i32 s14, 6
	s_cbranch_scc0 .LBB363_1860
; %bb.1858:
	s_wait_loadcnt 0x0
	global_load_b64 v[4:5], v[10:11], off
	s_mov_b32 s17, 0
	s_wait_loadcnt 0x0
	v_trunc_f64_e32 v[4:5], v[4:5]
	s_delay_alu instid0(VALU_DEP_1) | instskip(NEXT) | instid1(VALU_DEP_1)
	v_ldexp_f64 v[12:13], v[4:5], 0xffffffe0
	v_floor_f64_e32 v[12:13], v[12:13]
	s_delay_alu instid0(VALU_DEP_1) | instskip(SKIP_1) | instid1(VALU_DEP_2)
	v_fmamk_f64 v[14:15], v[12:13], 0xc1f00000, v[4:5]
	v_cvt_u32_f64_e32 v5, v[12:13]
	v_cvt_u32_f64_e32 v4, v[14:15]
	s_branch .LBB363_1861
.LBB363_1859:
	s_mov_b32 s17, -1
                                        ; implicit-def: $vgpr4_vgpr5
	s_branch .LBB363_1864
.LBB363_1860:
	s_mov_b32 s17, -1
                                        ; implicit-def: $vgpr4_vgpr5
.LBB363_1861:
	s_delay_alu instid0(SALU_CYCLE_1)
	s_and_not1_b32 vcc_lo, exec_lo, s17
	s_cbranch_vccnz .LBB363_1863
; %bb.1862:
	s_wait_loadcnt 0x0
	global_load_b32 v4, v[10:11], off
	s_wait_loadcnt 0x0
	v_trunc_f32_e32 v4, v4
	s_delay_alu instid0(VALU_DEP_1) | instskip(NEXT) | instid1(VALU_DEP_1)
	v_mul_f32_e32 v5, 0x2f800000, v4
	v_floor_f32_e32 v5, v5
	s_delay_alu instid0(VALU_DEP_1) | instskip(SKIP_1) | instid1(VALU_DEP_2)
	v_fmamk_f32 v4, v5, 0xcf800000, v4
	v_cvt_u32_f32_e32 v5, v5
	v_cvt_u32_f32_e32 v4, v4
.LBB363_1863:
	s_mov_b32 s17, 0
.LBB363_1864:
	s_delay_alu instid0(SALU_CYCLE_1)
	s_and_not1_b32 vcc_lo, exec_lo, s17
	s_cbranch_vccnz .LBB363_1866
; %bb.1865:
	s_wait_loadcnt 0x0
	global_load_u16 v4, v[10:11], off
	v_mov_b32_e32 v5, 0
	s_wait_loadcnt 0x0
	v_cvt_f32_f16_e32 v4, v4
	s_delay_alu instid0(VALU_DEP_1)
	v_cvt_u32_f32_e32 v4, v4
.LBB363_1866:
	s_mov_b32 s17, 0
.LBB363_1867:
	s_delay_alu instid0(SALU_CYCLE_1)
	s_and_not1_b32 vcc_lo, exec_lo, s17
	s_cbranch_vccnz .LBB363_1887
; %bb.1868:
	s_cmp_lt_i32 s14, 2
	s_cbranch_scc1 .LBB363_1872
; %bb.1869:
	s_cmp_lt_i32 s14, 3
	s_cbranch_scc1 .LBB363_1873
; %bb.1870:
	s_cmp_gt_i32 s14, 3
	s_cbranch_scc0 .LBB363_1874
; %bb.1871:
	s_wait_loadcnt 0x0
	global_load_b64 v[4:5], v[10:11], off
	s_mov_b32 s17, 0
	s_branch .LBB363_1875
.LBB363_1872:
	s_mov_b32 s17, -1
                                        ; implicit-def: $vgpr4_vgpr5
	s_branch .LBB363_1881
.LBB363_1873:
	s_mov_b32 s17, -1
                                        ; implicit-def: $vgpr4_vgpr5
	s_branch .LBB363_1878
.LBB363_1874:
	s_mov_b32 s17, -1
                                        ; implicit-def: $vgpr4_vgpr5
.LBB363_1875:
	s_delay_alu instid0(SALU_CYCLE_1)
	s_and_not1_b32 vcc_lo, exec_lo, s17
	s_cbranch_vccnz .LBB363_1877
; %bb.1876:
	s_wait_loadcnt 0x0
	global_load_b32 v4, v[10:11], off
	s_wait_loadcnt 0x0
	v_ashrrev_i32_e32 v5, 31, v4
.LBB363_1877:
	s_mov_b32 s17, 0
.LBB363_1878:
	s_delay_alu instid0(SALU_CYCLE_1)
	s_and_not1_b32 vcc_lo, exec_lo, s17
	s_cbranch_vccnz .LBB363_1880
; %bb.1879:
	s_wait_loadcnt 0x0
	global_load_u16 v4, v[10:11], off
	s_wait_loadcnt 0x0
	v_bfe_i32 v4, v4, 0, 16
	s_delay_alu instid0(VALU_DEP_1)
	v_ashrrev_i32_e32 v5, 31, v4
.LBB363_1880:
	s_mov_b32 s17, 0
.LBB363_1881:
	s_delay_alu instid0(SALU_CYCLE_1)
	s_and_not1_b32 vcc_lo, exec_lo, s17
	s_cbranch_vccnz .LBB363_1887
; %bb.1882:
	s_cmp_gt_i32 s14, 0
	s_mov_b32 s14, 0
	s_cbranch_scc0 .LBB363_1884
; %bb.1883:
	s_wait_loadcnt 0x0
	global_load_i8 v4, v[10:11], off
	s_wait_loadcnt 0x0
	v_bfe_i32 v4, v4, 0, 16
	s_delay_alu instid0(VALU_DEP_1)
	v_ashrrev_i32_e32 v5, 31, v4
	s_branch .LBB363_1885
.LBB363_1884:
	s_mov_b32 s14, -1
                                        ; implicit-def: $vgpr4_vgpr5
.LBB363_1885:
	s_delay_alu instid0(SALU_CYCLE_1)
	s_and_not1_b32 vcc_lo, exec_lo, s14
	s_cbranch_vccnz .LBB363_1887
; %bb.1886:
	s_wait_loadcnt 0x0
	global_load_u8 v4, v[10:11], off
	s_mov_b32 s14, 0
	s_delay_alu instid0(SALU_CYCLE_1)
	v_mov_b32_e32 v5, s14
	s_wait_loadcnt 0x0
	v_and_b32_e32 v4, 0xffff, v4
.LBB363_1887:
.LBB363_1888:
	s_lshl_b32 s10, s10, 7
	s_cmp_lt_i32 s1, 11
	s_wait_xcnt 0x0
	v_add_nc_u32_e32 v10, s10, v6
	s_delay_alu instid0(VALU_DEP_1) | instskip(NEXT) | instid1(VALU_DEP_1)
	v_ashrrev_i32_e32 v11, 31, v10
	v_add_nc_u64_e32 v[12:13], s[2:3], v[10:11]
	s_cbranch_scc1 .LBB363_1895
; %bb.1889:
	s_and_b32 s14, 0xffff, s1
	s_mov_b32 s18, 0
	s_cmp_gt_i32 s14, 25
	s_cbranch_scc0 .LBB363_1896
; %bb.1890:
	s_cmp_gt_i32 s14, 28
	s_cbranch_scc0 .LBB363_1897
; %bb.1891:
	;; [unrolled: 3-line block ×4, first 2 shown]
	s_cmp_eq_u32 s14, 46
	s_mov_b32 s20, 0
	s_cbranch_scc0 .LBB363_1901
; %bb.1894:
	global_load_b32 v6, v[12:13], off
	s_mov_b32 s17, 0
	s_mov_b32 s19, -1
	s_wait_loadcnt 0x0
	v_lshlrev_b32_e32 v6, 16, v6
	s_delay_alu instid0(VALU_DEP_1) | instskip(NEXT) | instid1(VALU_DEP_1)
	v_trunc_f32_e32 v6, v6
	v_mul_f32_e32 v7, 0x2f800000, v6
	s_delay_alu instid0(VALU_DEP_1) | instskip(NEXT) | instid1(VALU_DEP_1)
	v_floor_f32_e32 v7, v7
	v_fmamk_f32 v6, v7, 0xcf800000, v6
	v_cvt_u32_f32_e32 v7, v7
	s_delay_alu instid0(VALU_DEP_2)
	v_cvt_u32_f32_e32 v6, v6
	s_branch .LBB363_1903
.LBB363_1895:
	s_mov_b32 s14, -1
	s_mov_b32 s19, 0
                                        ; implicit-def: $vgpr6_vgpr7
	s_branch .LBB363_1965
.LBB363_1896:
	s_mov_b32 s20, -1
	s_mov_b32 s19, 0
	s_mov_b32 s17, 0
                                        ; implicit-def: $vgpr6_vgpr7
	s_branch .LBB363_1930
.LBB363_1897:
	s_mov_b32 s20, -1
	s_mov_b32 s19, 0
	s_mov_b32 s17, 0
                                        ; implicit-def: $vgpr6_vgpr7
	s_branch .LBB363_1913
.LBB363_1898:
	s_mov_b32 s20, -1
	s_mov_b32 s19, 0
	s_mov_b32 s17, 0
                                        ; implicit-def: $vgpr6_vgpr7
	s_branch .LBB363_1908
.LBB363_1899:
	s_or_b32 s13, s13, exec_lo
	s_trap 2
	s_cbranch_execz .LBB363_1838
	s_branch .LBB363_1839
.LBB363_1900:
	s_mov_b32 s20, -1
	s_mov_b32 s19, 0
	s_mov_b32 s17, 0
	s_branch .LBB363_1902
.LBB363_1901:
	s_mov_b32 s17, -1
	s_mov_b32 s19, 0
.LBB363_1902:
                                        ; implicit-def: $vgpr6_vgpr7
.LBB363_1903:
	s_and_b32 vcc_lo, exec_lo, s20
	s_cbranch_vccz .LBB363_1907
; %bb.1904:
	s_cmp_eq_u32 s14, 44
	s_cbranch_scc0 .LBB363_1906
; %bb.1905:
	global_load_u8 v6, v[12:13], off
	s_mov_b32 s17, 0
	s_mov_b32 s19, -1
	s_wait_loadcnt 0x0
	v_cmp_ne_u32_e32 vcc_lo, 0, v6
	v_lshlrev_b32_e32 v7, 23, v6
	s_delay_alu instid0(VALU_DEP_1) | instskip(NEXT) | instid1(VALU_DEP_1)
	v_trunc_f32_e32 v7, v7
	v_mul_f32_e32 v9, 0x2f800000, v7
	s_delay_alu instid0(VALU_DEP_1) | instskip(NEXT) | instid1(VALU_DEP_1)
	v_floor_f32_e32 v9, v9
	v_fmamk_f32 v7, v9, 0xcf800000, v7
	v_cvt_u32_f32_e32 v9, v9
	s_delay_alu instid0(VALU_DEP_2) | instskip(NEXT) | instid1(VALU_DEP_1)
	v_cvt_u32_f32_e32 v11, v7
	v_dual_cndmask_b32 v7, 0, v9 :: v_dual_cndmask_b32 v6, 0, v11
	s_branch .LBB363_1907
.LBB363_1906:
	s_mov_b32 s17, -1
                                        ; implicit-def: $vgpr6_vgpr7
.LBB363_1907:
	s_mov_b32 s20, 0
.LBB363_1908:
	s_delay_alu instid0(SALU_CYCLE_1)
	s_and_b32 vcc_lo, exec_lo, s20
	s_cbranch_vccz .LBB363_1912
; %bb.1909:
	s_cmp_eq_u32 s14, 29
	s_cbranch_scc0 .LBB363_1911
; %bb.1910:
	global_load_b64 v[6:7], v[12:13], off
	s_mov_b32 s17, 0
	s_mov_b32 s19, -1
	s_branch .LBB363_1912
.LBB363_1911:
	s_mov_b32 s17, -1
                                        ; implicit-def: $vgpr6_vgpr7
.LBB363_1912:
	s_mov_b32 s20, 0
.LBB363_1913:
	s_delay_alu instid0(SALU_CYCLE_1)
	s_and_b32 vcc_lo, exec_lo, s20
	s_cbranch_vccz .LBB363_1929
; %bb.1914:
	s_cmp_lt_i32 s14, 27
	s_cbranch_scc1 .LBB363_1917
; %bb.1915:
	s_cmp_gt_i32 s14, 27
	s_cbranch_scc0 .LBB363_1918
; %bb.1916:
	s_wait_loadcnt 0x0
	global_load_b32 v6, v[12:13], off
	v_mov_b32_e32 v7, 0
	s_mov_b32 s19, 0
	s_branch .LBB363_1919
.LBB363_1917:
	s_mov_b32 s19, -1
                                        ; implicit-def: $vgpr6_vgpr7
	s_branch .LBB363_1922
.LBB363_1918:
	s_mov_b32 s19, -1
                                        ; implicit-def: $vgpr6_vgpr7
.LBB363_1919:
	s_delay_alu instid0(SALU_CYCLE_1)
	s_and_not1_b32 vcc_lo, exec_lo, s19
	s_cbranch_vccnz .LBB363_1921
; %bb.1920:
	s_wait_loadcnt 0x0
	global_load_u16 v6, v[12:13], off
	s_mov_b32 s19, 0
	s_delay_alu instid0(SALU_CYCLE_1)
	v_mov_b32_e32 v7, s19
	s_wait_loadcnt 0x0
	v_and_b32_e32 v6, 0xffff, v6
.LBB363_1921:
	s_mov_b32 s19, 0
.LBB363_1922:
	s_delay_alu instid0(SALU_CYCLE_1)
	s_and_not1_b32 vcc_lo, exec_lo, s19
	s_cbranch_vccnz .LBB363_1928
; %bb.1923:
	global_load_u8 v9, v[12:13], off
	s_mov_b32 s20, 0
	s_mov_b32 s19, exec_lo
	s_wait_loadcnt 0x0
	v_cmpx_lt_i16_e32 0x7f, v9
	s_xor_b32 s19, exec_lo, s19
	s_cbranch_execz .LBB363_1940
; %bb.1924:
	v_cmp_ne_u16_e32 vcc_lo, 0x80, v9
	s_and_b32 s20, vcc_lo, exec_lo
	s_and_not1_saveexec_b32 s19, s19
	s_cbranch_execnz .LBB363_1941
.LBB363_1925:
	s_or_b32 exec_lo, exec_lo, s19
	v_mov_b64_e32 v[6:7], 0
	s_and_saveexec_b32 s19, s20
	s_cbranch_execz .LBB363_1927
.LBB363_1926:
	v_and_b32_e32 v6, 0xffff, v9
	s_delay_alu instid0(VALU_DEP_1) | instskip(SKIP_1) | instid1(VALU_DEP_2)
	v_and_b32_e32 v7, 7, v6
	v_bfe_u32 v15, v6, 3, 4
	v_clz_i32_u32_e32 v11, v7
	s_delay_alu instid0(VALU_DEP_2) | instskip(NEXT) | instid1(VALU_DEP_2)
	v_cmp_eq_u32_e32 vcc_lo, 0, v15
	v_min_u32_e32 v11, 32, v11
	s_delay_alu instid0(VALU_DEP_1) | instskip(NEXT) | instid1(VALU_DEP_1)
	v_subrev_nc_u32_e32 v14, 28, v11
	v_dual_lshlrev_b32 v6, v14, v6 :: v_dual_sub_nc_u32 v11, 29, v11
	s_delay_alu instid0(VALU_DEP_1) | instskip(NEXT) | instid1(VALU_DEP_2)
	v_dual_lshlrev_b32 v9, 24, v9 :: v_dual_bitop2_b32 v6, 7, v6 bitop3:0x40
	v_cndmask_b32_e32 v11, v15, v11, vcc_lo
	s_delay_alu instid0(VALU_DEP_2) | instskip(NEXT) | instid1(VALU_DEP_3)
	v_cndmask_b32_e32 v6, v7, v6, vcc_lo
	v_and_b32_e32 v7, 0x80000000, v9
	s_delay_alu instid0(VALU_DEP_3) | instskip(NEXT) | instid1(VALU_DEP_3)
	v_lshl_add_u32 v9, v11, 23, 0x3b800000
	v_lshlrev_b32_e32 v6, 20, v6
	s_delay_alu instid0(VALU_DEP_1) | instskip(NEXT) | instid1(VALU_DEP_1)
	v_or3_b32 v6, v7, v9, v6
	v_trunc_f32_e32 v6, v6
	s_delay_alu instid0(VALU_DEP_1) | instskip(NEXT) | instid1(VALU_DEP_1)
	v_mul_f32_e32 v7, 0x2f800000, v6
	v_floor_f32_e32 v7, v7
	s_delay_alu instid0(VALU_DEP_1) | instskip(SKIP_1) | instid1(VALU_DEP_2)
	v_fmamk_f32 v6, v7, 0xcf800000, v6
	v_cvt_u32_f32_e32 v7, v7
	v_cvt_u32_f32_e32 v6, v6
.LBB363_1927:
	s_or_b32 exec_lo, exec_lo, s19
.LBB363_1928:
	s_mov_b32 s19, -1
.LBB363_1929:
	s_mov_b32 s20, 0
.LBB363_1930:
	s_delay_alu instid0(SALU_CYCLE_1)
	s_and_b32 vcc_lo, exec_lo, s20
	s_cbranch_vccz .LBB363_1961
; %bb.1931:
	s_cmp_gt_i32 s14, 22
	s_cbranch_scc0 .LBB363_1939
; %bb.1932:
	s_cmp_lt_i32 s14, 24
	s_cbranch_scc1 .LBB363_1942
; %bb.1933:
	s_cmp_gt_i32 s14, 24
	s_cbranch_scc0 .LBB363_1943
; %bb.1934:
	global_load_u8 v9, v[12:13], off
	s_mov_b32 s19, 0
	s_mov_b32 s18, exec_lo
	s_wait_loadcnt 0x0
	v_cmpx_lt_i16_e32 0x7f, v9
	s_xor_b32 s18, exec_lo, s18
	s_cbranch_execz .LBB363_1955
; %bb.1935:
	v_cmp_ne_u16_e32 vcc_lo, 0x80, v9
	s_and_b32 s19, vcc_lo, exec_lo
	s_and_not1_saveexec_b32 s18, s18
	s_cbranch_execnz .LBB363_1956
.LBB363_1936:
	s_or_b32 exec_lo, exec_lo, s18
	v_mov_b64_e32 v[6:7], 0
	s_and_saveexec_b32 s18, s19
	s_cbranch_execz .LBB363_1938
.LBB363_1937:
	v_and_b32_e32 v6, 0xffff, v9
	s_delay_alu instid0(VALU_DEP_1) | instskip(SKIP_1) | instid1(VALU_DEP_2)
	v_and_b32_e32 v7, 3, v6
	v_bfe_u32 v15, v6, 2, 5
	v_clz_i32_u32_e32 v11, v7
	s_delay_alu instid0(VALU_DEP_2) | instskip(NEXT) | instid1(VALU_DEP_2)
	v_cmp_eq_u32_e32 vcc_lo, 0, v15
	v_min_u32_e32 v11, 32, v11
	s_delay_alu instid0(VALU_DEP_1) | instskip(NEXT) | instid1(VALU_DEP_1)
	v_subrev_nc_u32_e32 v14, 29, v11
	v_dual_lshlrev_b32 v6, v14, v6 :: v_dual_sub_nc_u32 v11, 30, v11
	s_delay_alu instid0(VALU_DEP_1) | instskip(NEXT) | instid1(VALU_DEP_2)
	v_dual_lshlrev_b32 v9, 24, v9 :: v_dual_bitop2_b32 v6, 3, v6 bitop3:0x40
	v_cndmask_b32_e32 v11, v15, v11, vcc_lo
	s_delay_alu instid0(VALU_DEP_2) | instskip(NEXT) | instid1(VALU_DEP_3)
	v_cndmask_b32_e32 v6, v7, v6, vcc_lo
	v_and_b32_e32 v7, 0x80000000, v9
	s_delay_alu instid0(VALU_DEP_3) | instskip(NEXT) | instid1(VALU_DEP_3)
	v_lshl_add_u32 v9, v11, 23, 0x37800000
	v_lshlrev_b32_e32 v6, 21, v6
	s_delay_alu instid0(VALU_DEP_1) | instskip(NEXT) | instid1(VALU_DEP_1)
	v_or3_b32 v6, v7, v9, v6
	v_trunc_f32_e32 v6, v6
	s_delay_alu instid0(VALU_DEP_1) | instskip(NEXT) | instid1(VALU_DEP_1)
	v_mul_f32_e32 v7, 0x2f800000, v6
	v_floor_f32_e32 v7, v7
	s_delay_alu instid0(VALU_DEP_1) | instskip(SKIP_1) | instid1(VALU_DEP_2)
	v_fmamk_f32 v6, v7, 0xcf800000, v6
	v_cvt_u32_f32_e32 v7, v7
	v_cvt_u32_f32_e32 v6, v6
.LBB363_1938:
	s_or_b32 exec_lo, exec_lo, s18
	s_mov_b32 s18, 0
	s_branch .LBB363_1944
.LBB363_1939:
	s_mov_b32 s18, -1
                                        ; implicit-def: $vgpr6_vgpr7
	s_branch .LBB363_1950
.LBB363_1940:
	s_and_not1_saveexec_b32 s19, s19
	s_cbranch_execz .LBB363_1925
.LBB363_1941:
	v_cmp_ne_u16_e32 vcc_lo, 0, v9
	s_and_not1_b32 s20, s20, exec_lo
	s_and_b32 s21, vcc_lo, exec_lo
	s_delay_alu instid0(SALU_CYCLE_1)
	s_or_b32 s20, s20, s21
	s_or_b32 exec_lo, exec_lo, s19
	v_mov_b64_e32 v[6:7], 0
	s_and_saveexec_b32 s19, s20
	s_cbranch_execnz .LBB363_1926
	s_branch .LBB363_1927
.LBB363_1942:
	s_mov_b32 s18, -1
                                        ; implicit-def: $vgpr6_vgpr7
	s_branch .LBB363_1947
.LBB363_1943:
	s_mov_b32 s18, -1
                                        ; implicit-def: $vgpr6_vgpr7
.LBB363_1944:
	s_delay_alu instid0(SALU_CYCLE_1)
	s_and_b32 vcc_lo, exec_lo, s18
	s_cbranch_vccz .LBB363_1946
; %bb.1945:
	s_wait_loadcnt 0x0
	global_load_u8 v6, v[12:13], off
	s_wait_loadcnt 0x0
	v_lshlrev_b32_e32 v6, 24, v6
	s_delay_alu instid0(VALU_DEP_1) | instskip(NEXT) | instid1(VALU_DEP_1)
	v_and_b32_e32 v7, 0x7f000000, v6
	v_clz_i32_u32_e32 v9, v7
	v_cmp_ne_u32_e32 vcc_lo, 0, v7
	v_add_nc_u32_e32 v14, 0x1000000, v7
	s_delay_alu instid0(VALU_DEP_3) | instskip(NEXT) | instid1(VALU_DEP_1)
	v_min_u32_e32 v9, 32, v9
	v_sub_nc_u32_e64 v9, v9, 4 clamp
	s_delay_alu instid0(VALU_DEP_1) | instskip(NEXT) | instid1(VALU_DEP_1)
	v_dual_lshlrev_b32 v11, v9, v7 :: v_dual_lshlrev_b32 v9, 23, v9
	v_lshrrev_b32_e32 v11, 4, v11
	s_delay_alu instid0(VALU_DEP_1) | instskip(NEXT) | instid1(VALU_DEP_1)
	v_dual_sub_nc_u32 v9, v11, v9 :: v_dual_ashrrev_i32 v11, 8, v14
	v_add_nc_u32_e32 v9, 0x3c000000, v9
	s_delay_alu instid0(VALU_DEP_1) | instskip(NEXT) | instid1(VALU_DEP_1)
	v_and_or_b32 v9, 0x7f800000, v11, v9
	v_cndmask_b32_e32 v7, 0, v9, vcc_lo
	s_delay_alu instid0(VALU_DEP_1) | instskip(NEXT) | instid1(VALU_DEP_1)
	v_and_or_b32 v6, 0x80000000, v6, v7
	v_trunc_f32_e32 v6, v6
	s_delay_alu instid0(VALU_DEP_1) | instskip(NEXT) | instid1(VALU_DEP_1)
	v_mul_f32_e32 v7, 0x2f800000, v6
	v_floor_f32_e32 v7, v7
	s_delay_alu instid0(VALU_DEP_1) | instskip(SKIP_1) | instid1(VALU_DEP_2)
	v_fmamk_f32 v6, v7, 0xcf800000, v6
	v_cvt_u32_f32_e32 v7, v7
	v_cvt_u32_f32_e32 v6, v6
.LBB363_1946:
	s_mov_b32 s18, 0
.LBB363_1947:
	s_delay_alu instid0(SALU_CYCLE_1)
	s_and_not1_b32 vcc_lo, exec_lo, s18
	s_cbranch_vccnz .LBB363_1949
; %bb.1948:
	s_wait_loadcnt 0x0
	global_load_u8 v6, v[12:13], off
	s_wait_loadcnt 0x0
	v_lshlrev_b32_e32 v7, 25, v6
	v_lshlrev_b16 v6, 8, v6
	s_delay_alu instid0(VALU_DEP_1) | instskip(SKIP_1) | instid1(VALU_DEP_2)
	v_and_or_b32 v11, 0x7f00, v6, 0.5
	v_bfe_i32 v6, v6, 0, 16
	v_add_f32_e32 v11, -0.5, v11
	v_lshrrev_b32_e32 v9, 4, v7
	v_cmp_gt_u32_e32 vcc_lo, 0x8000000, v7
	s_delay_alu instid0(VALU_DEP_2) | instskip(NEXT) | instid1(VALU_DEP_1)
	v_or_b32_e32 v9, 0x70000000, v9
	v_mul_f32_e32 v9, 0x7800000, v9
	s_delay_alu instid0(VALU_DEP_1) | instskip(NEXT) | instid1(VALU_DEP_1)
	v_cndmask_b32_e32 v7, v9, v11, vcc_lo
	v_and_or_b32 v6, 0x80000000, v6, v7
	s_delay_alu instid0(VALU_DEP_1) | instskip(NEXT) | instid1(VALU_DEP_1)
	v_trunc_f32_e32 v6, v6
	v_mul_f32_e32 v7, 0x2f800000, v6
	s_delay_alu instid0(VALU_DEP_1) | instskip(NEXT) | instid1(VALU_DEP_1)
	v_floor_f32_e32 v7, v7
	v_fmamk_f32 v6, v7, 0xcf800000, v6
	v_cvt_u32_f32_e32 v7, v7
	s_delay_alu instid0(VALU_DEP_2)
	v_cvt_u32_f32_e32 v6, v6
.LBB363_1949:
	s_mov_b32 s18, 0
	s_mov_b32 s19, -1
.LBB363_1950:
	s_and_not1_b32 vcc_lo, exec_lo, s18
	s_mov_b32 s18, 0
	s_cbranch_vccnz .LBB363_1961
; %bb.1951:
	s_cmp_gt_i32 s14, 14
	s_cbranch_scc0 .LBB363_1954
; %bb.1952:
	s_cmp_eq_u32 s14, 15
	s_cbranch_scc0 .LBB363_1957
; %bb.1953:
	s_wait_loadcnt 0x0
	global_load_u16 v6, v[12:13], off
	s_mov_b32 s17, 0
	s_mov_b32 s19, -1
	s_wait_loadcnt 0x0
	v_lshlrev_b32_e32 v6, 16, v6
	s_delay_alu instid0(VALU_DEP_1) | instskip(NEXT) | instid1(VALU_DEP_1)
	v_trunc_f32_e32 v6, v6
	v_mul_f32_e32 v7, 0x2f800000, v6
	s_delay_alu instid0(VALU_DEP_1) | instskip(NEXT) | instid1(VALU_DEP_1)
	v_floor_f32_e32 v7, v7
	v_fmamk_f32 v6, v7, 0xcf800000, v6
	v_cvt_u32_f32_e32 v7, v7
	s_delay_alu instid0(VALU_DEP_2)
	v_cvt_u32_f32_e32 v6, v6
	s_branch .LBB363_1959
.LBB363_1954:
	s_mov_b32 s18, -1
	s_branch .LBB363_1958
.LBB363_1955:
	s_and_not1_saveexec_b32 s18, s18
	s_cbranch_execz .LBB363_1936
.LBB363_1956:
	v_cmp_ne_u16_e32 vcc_lo, 0, v9
	s_and_not1_b32 s19, s19, exec_lo
	s_and_b32 s20, vcc_lo, exec_lo
	s_delay_alu instid0(SALU_CYCLE_1)
	s_or_b32 s19, s19, s20
	s_or_b32 exec_lo, exec_lo, s18
	v_mov_b64_e32 v[6:7], 0
	s_and_saveexec_b32 s18, s19
	s_cbranch_execnz .LBB363_1937
	s_branch .LBB363_1938
.LBB363_1957:
	s_mov_b32 s17, -1
.LBB363_1958:
                                        ; implicit-def: $vgpr6_vgpr7
.LBB363_1959:
	s_and_b32 vcc_lo, exec_lo, s18
	s_mov_b32 s18, 0
	s_cbranch_vccz .LBB363_1961
; %bb.1960:
	s_cmp_lg_u32 s14, 11
	s_mov_b32 s18, -1
	s_cselect_b32 s17, -1, 0
.LBB363_1961:
	s_delay_alu instid0(SALU_CYCLE_1)
	s_and_b32 vcc_lo, exec_lo, s17
	s_cbranch_vccnz .LBB363_2026
; %bb.1962:
	s_and_not1_b32 vcc_lo, exec_lo, s18
	s_cbranch_vccnz .LBB363_1964
.LBB363_1963:
	s_wait_loadcnt 0x0
	global_load_u8 v6, v[12:13], off
	s_mov_b32 s14, 0
	s_mov_b32 s19, -1
	v_mov_b32_e32 v7, s14
	s_wait_loadcnt 0x0
	v_cmp_ne_u16_e32 vcc_lo, 0, v6
	v_cndmask_b32_e64 v6, 0, 1, vcc_lo
.LBB363_1964:
	s_mov_b32 s14, 0
.LBB363_1965:
	s_delay_alu instid0(SALU_CYCLE_1)
	s_and_b32 vcc_lo, exec_lo, s14
	s_cbranch_vccz .LBB363_2014
; %bb.1966:
	s_and_b32 s14, 0xffff, s1
	s_delay_alu instid0(SALU_CYCLE_1)
	s_cmp_lt_i32 s14, 5
	s_cbranch_scc1 .LBB363_1971
; %bb.1967:
	s_cmp_lt_i32 s14, 8
	s_cbranch_scc1 .LBB363_1972
; %bb.1968:
	;; [unrolled: 3-line block ×3, first 2 shown]
	s_cmp_gt_i32 s14, 9
	s_cbranch_scc0 .LBB363_1974
; %bb.1970:
	s_wait_loadcnt 0x0
	global_load_b64 v[6:7], v[12:13], off
	s_mov_b32 s17, 0
	s_wait_loadcnt 0x0
	v_trunc_f64_e32 v[6:7], v[6:7]
	s_delay_alu instid0(VALU_DEP_1) | instskip(NEXT) | instid1(VALU_DEP_1)
	v_ldexp_f64 v[14:15], v[6:7], 0xffffffe0
	v_floor_f64_e32 v[14:15], v[14:15]
	s_delay_alu instid0(VALU_DEP_1) | instskip(SKIP_1) | instid1(VALU_DEP_2)
	v_fmamk_f64 v[16:17], v[14:15], 0xc1f00000, v[6:7]
	v_cvt_u32_f64_e32 v7, v[14:15]
	v_cvt_u32_f64_e32 v6, v[16:17]
	s_branch .LBB363_1975
.LBB363_1971:
	s_mov_b32 s17, -1
                                        ; implicit-def: $vgpr6_vgpr7
	s_branch .LBB363_1993
.LBB363_1972:
	s_mov_b32 s17, -1
                                        ; implicit-def: $vgpr6_vgpr7
	s_branch .LBB363_1981
.LBB363_1973:
	s_mov_b32 s17, -1
                                        ; implicit-def: $vgpr6_vgpr7
	s_branch .LBB363_1978
.LBB363_1974:
	s_mov_b32 s17, -1
                                        ; implicit-def: $vgpr6_vgpr7
.LBB363_1975:
	s_delay_alu instid0(SALU_CYCLE_1)
	s_and_not1_b32 vcc_lo, exec_lo, s17
	s_cbranch_vccnz .LBB363_1977
; %bb.1976:
	s_wait_loadcnt 0x0
	global_load_b32 v6, v[12:13], off
	s_wait_loadcnt 0x0
	v_trunc_f32_e32 v6, v6
	s_delay_alu instid0(VALU_DEP_1) | instskip(NEXT) | instid1(VALU_DEP_1)
	v_mul_f32_e32 v7, 0x2f800000, v6
	v_floor_f32_e32 v7, v7
	s_delay_alu instid0(VALU_DEP_1) | instskip(SKIP_1) | instid1(VALU_DEP_2)
	v_fmamk_f32 v6, v7, 0xcf800000, v6
	v_cvt_u32_f32_e32 v7, v7
	v_cvt_u32_f32_e32 v6, v6
.LBB363_1977:
	s_mov_b32 s17, 0
.LBB363_1978:
	s_delay_alu instid0(SALU_CYCLE_1)
	s_and_not1_b32 vcc_lo, exec_lo, s17
	s_cbranch_vccnz .LBB363_1980
; %bb.1979:
	s_wait_loadcnt 0x0
	global_load_b32 v6, v[12:13], off
	v_mov_b32_e32 v7, 0
	s_wait_loadcnt 0x0
	v_cvt_f32_f16_e32 v6, v6
	s_delay_alu instid0(VALU_DEP_1)
	v_cvt_u32_f32_e32 v6, v6
.LBB363_1980:
	s_mov_b32 s17, 0
.LBB363_1981:
	s_delay_alu instid0(SALU_CYCLE_1)
	s_and_not1_b32 vcc_lo, exec_lo, s17
	s_cbranch_vccnz .LBB363_1992
; %bb.1982:
	s_cmp_lt_i32 s14, 6
	s_cbranch_scc1 .LBB363_1985
; %bb.1983:
	s_cmp_gt_i32 s14, 6
	s_cbranch_scc0 .LBB363_1986
; %bb.1984:
	s_wait_loadcnt 0x0
	global_load_b64 v[6:7], v[12:13], off
	s_mov_b32 s17, 0
	s_wait_loadcnt 0x0
	v_trunc_f64_e32 v[6:7], v[6:7]
	s_delay_alu instid0(VALU_DEP_1) | instskip(NEXT) | instid1(VALU_DEP_1)
	v_ldexp_f64 v[14:15], v[6:7], 0xffffffe0
	v_floor_f64_e32 v[14:15], v[14:15]
	s_delay_alu instid0(VALU_DEP_1) | instskip(SKIP_1) | instid1(VALU_DEP_2)
	v_fmamk_f64 v[16:17], v[14:15], 0xc1f00000, v[6:7]
	v_cvt_u32_f64_e32 v7, v[14:15]
	v_cvt_u32_f64_e32 v6, v[16:17]
	s_branch .LBB363_1987
.LBB363_1985:
	s_mov_b32 s17, -1
                                        ; implicit-def: $vgpr6_vgpr7
	s_branch .LBB363_1990
.LBB363_1986:
	s_mov_b32 s17, -1
                                        ; implicit-def: $vgpr6_vgpr7
.LBB363_1987:
	s_delay_alu instid0(SALU_CYCLE_1)
	s_and_not1_b32 vcc_lo, exec_lo, s17
	s_cbranch_vccnz .LBB363_1989
; %bb.1988:
	s_wait_loadcnt 0x0
	global_load_b32 v6, v[12:13], off
	s_wait_loadcnt 0x0
	v_trunc_f32_e32 v6, v6
	s_delay_alu instid0(VALU_DEP_1) | instskip(NEXT) | instid1(VALU_DEP_1)
	v_mul_f32_e32 v7, 0x2f800000, v6
	v_floor_f32_e32 v7, v7
	s_delay_alu instid0(VALU_DEP_1) | instskip(SKIP_1) | instid1(VALU_DEP_2)
	v_fmamk_f32 v6, v7, 0xcf800000, v6
	v_cvt_u32_f32_e32 v7, v7
	v_cvt_u32_f32_e32 v6, v6
.LBB363_1989:
	s_mov_b32 s17, 0
.LBB363_1990:
	s_delay_alu instid0(SALU_CYCLE_1)
	s_and_not1_b32 vcc_lo, exec_lo, s17
	s_cbranch_vccnz .LBB363_1992
; %bb.1991:
	s_wait_loadcnt 0x0
	global_load_u16 v6, v[12:13], off
	v_mov_b32_e32 v7, 0
	s_wait_loadcnt 0x0
	v_cvt_f32_f16_e32 v6, v6
	s_delay_alu instid0(VALU_DEP_1)
	v_cvt_u32_f32_e32 v6, v6
.LBB363_1992:
	s_mov_b32 s17, 0
.LBB363_1993:
	s_delay_alu instid0(SALU_CYCLE_1)
	s_and_not1_b32 vcc_lo, exec_lo, s17
	s_cbranch_vccnz .LBB363_2013
; %bb.1994:
	s_cmp_lt_i32 s14, 2
	s_cbranch_scc1 .LBB363_1998
; %bb.1995:
	s_cmp_lt_i32 s14, 3
	s_cbranch_scc1 .LBB363_1999
; %bb.1996:
	s_cmp_gt_i32 s14, 3
	s_cbranch_scc0 .LBB363_2000
; %bb.1997:
	s_wait_loadcnt 0x0
	global_load_b64 v[6:7], v[12:13], off
	s_mov_b32 s17, 0
	s_branch .LBB363_2001
.LBB363_1998:
	s_mov_b32 s17, -1
                                        ; implicit-def: $vgpr6_vgpr7
	s_branch .LBB363_2007
.LBB363_1999:
	s_mov_b32 s17, -1
                                        ; implicit-def: $vgpr6_vgpr7
	s_branch .LBB363_2004
.LBB363_2000:
	s_mov_b32 s17, -1
                                        ; implicit-def: $vgpr6_vgpr7
.LBB363_2001:
	s_delay_alu instid0(SALU_CYCLE_1)
	s_and_not1_b32 vcc_lo, exec_lo, s17
	s_cbranch_vccnz .LBB363_2003
; %bb.2002:
	s_wait_loadcnt 0x0
	global_load_b32 v6, v[12:13], off
	s_wait_loadcnt 0x0
	v_ashrrev_i32_e32 v7, 31, v6
.LBB363_2003:
	s_mov_b32 s17, 0
.LBB363_2004:
	s_delay_alu instid0(SALU_CYCLE_1)
	s_and_not1_b32 vcc_lo, exec_lo, s17
	s_cbranch_vccnz .LBB363_2006
; %bb.2005:
	s_wait_loadcnt 0x0
	global_load_u16 v6, v[12:13], off
	s_wait_loadcnt 0x0
	v_bfe_i32 v6, v6, 0, 16
	s_delay_alu instid0(VALU_DEP_1)
	v_ashrrev_i32_e32 v7, 31, v6
.LBB363_2006:
	s_mov_b32 s17, 0
.LBB363_2007:
	s_delay_alu instid0(SALU_CYCLE_1)
	s_and_not1_b32 vcc_lo, exec_lo, s17
	s_cbranch_vccnz .LBB363_2013
; %bb.2008:
	s_cmp_gt_i32 s14, 0
	s_mov_b32 s14, 0
	s_cbranch_scc0 .LBB363_2010
; %bb.2009:
	s_wait_loadcnt 0x0
	global_load_i8 v6, v[12:13], off
	s_wait_loadcnt 0x0
	v_bfe_i32 v6, v6, 0, 16
	s_delay_alu instid0(VALU_DEP_1)
	v_ashrrev_i32_e32 v7, 31, v6
	s_branch .LBB363_2011
.LBB363_2010:
	s_mov_b32 s14, -1
                                        ; implicit-def: $vgpr6_vgpr7
.LBB363_2011:
	s_delay_alu instid0(SALU_CYCLE_1)
	s_and_not1_b32 vcc_lo, exec_lo, s14
	s_cbranch_vccnz .LBB363_2013
; %bb.2012:
	s_wait_loadcnt 0x0
	global_load_u8 v6, v[12:13], off
	s_mov_b32 s14, 0
	s_delay_alu instid0(SALU_CYCLE_1)
	v_mov_b32_e32 v7, s14
	s_wait_loadcnt 0x0
	v_and_b32_e32 v6, 0xffff, v6
.LBB363_2013:
	s_mov_b32 s19, -1
.LBB363_2014:
	s_delay_alu instid0(SALU_CYCLE_1)
	s_and_not1_b32 vcc_lo, exec_lo, s19
	s_cbranch_vccnz .LBB363_2957
; %bb.2015:
	s_wait_xcnt 0x0
	v_add_nc_u32_e32 v12, s9, v8
	s_cmp_lt_i32 s0, 11
	s_delay_alu instid0(VALU_DEP_1) | instskip(NEXT) | instid1(VALU_DEP_1)
	v_ashrrev_i32_e32 v13, 31, v12
	v_add_nc_u64_e32 v[14:15], s[6:7], v[12:13]
	s_cbranch_scc1 .LBB363_2022
; %bb.2016:
	s_and_b32 s14, 0xffff, s0
	s_mov_b32 s18, 0
	s_cmp_gt_i32 s14, 25
	s_cbranch_scc0 .LBB363_2023
; %bb.2017:
	s_cmp_gt_i32 s14, 28
	s_cbranch_scc0 .LBB363_2024
; %bb.2018:
	;; [unrolled: 3-line block ×4, first 2 shown]
	s_cmp_eq_u32 s14, 46
	s_mov_b32 s20, 0
	s_cbranch_scc0 .LBB363_2028
; %bb.2021:
	global_load_b32 v8, v[14:15], off
	s_mov_b32 s17, 0
	s_mov_b32 s19, -1
	s_wait_loadcnt 0x0
	v_lshlrev_b32_e32 v8, 16, v8
	s_delay_alu instid0(VALU_DEP_1) | instskip(NEXT) | instid1(VALU_DEP_1)
	v_trunc_f32_e32 v8, v8
	v_mul_f32_e32 v9, 0x2f800000, v8
	s_delay_alu instid0(VALU_DEP_1) | instskip(NEXT) | instid1(VALU_DEP_1)
	v_floor_f32_e32 v9, v9
	v_fmamk_f32 v8, v9, 0xcf800000, v8
	v_cvt_u32_f32_e32 v9, v9
	s_delay_alu instid0(VALU_DEP_2)
	v_cvt_u32_f32_e32 v8, v8
	s_branch .LBB363_2030
.LBB363_2022:
	s_mov_b32 s14, -1
	s_mov_b32 s19, 0
                                        ; implicit-def: $vgpr8_vgpr9
	s_branch .LBB363_2092
.LBB363_2023:
	s_mov_b32 s20, -1
	s_mov_b32 s19, 0
	s_mov_b32 s17, 0
                                        ; implicit-def: $vgpr8_vgpr9
	s_branch .LBB363_2057
.LBB363_2024:
	s_mov_b32 s20, -1
	s_mov_b32 s19, 0
	s_mov_b32 s17, 0
                                        ; implicit-def: $vgpr8_vgpr9
	s_branch .LBB363_2040
.LBB363_2025:
	s_mov_b32 s20, -1
	s_mov_b32 s19, 0
	s_mov_b32 s17, 0
                                        ; implicit-def: $vgpr8_vgpr9
	s_branch .LBB363_2035
.LBB363_2026:
	s_or_b32 s13, s13, exec_lo
	s_trap 2
	s_cbranch_execz .LBB363_1963
	s_branch .LBB363_1964
.LBB363_2027:
	s_mov_b32 s20, -1
	s_mov_b32 s19, 0
	s_mov_b32 s17, 0
	s_branch .LBB363_2029
.LBB363_2028:
	s_mov_b32 s17, -1
	s_mov_b32 s19, 0
.LBB363_2029:
                                        ; implicit-def: $vgpr8_vgpr9
.LBB363_2030:
	s_and_b32 vcc_lo, exec_lo, s20
	s_cbranch_vccz .LBB363_2034
; %bb.2031:
	s_cmp_eq_u32 s14, 44
	s_cbranch_scc0 .LBB363_2033
; %bb.2032:
	global_load_u8 v8, v[14:15], off
	s_mov_b32 s17, 0
	s_mov_b32 s19, -1
	s_wait_loadcnt 0x0
	v_cmp_ne_u32_e32 vcc_lo, 0, v8
	v_lshlrev_b32_e32 v9, 23, v8
	s_delay_alu instid0(VALU_DEP_1) | instskip(NEXT) | instid1(VALU_DEP_1)
	v_trunc_f32_e32 v9, v9
	v_mul_f32_e32 v11, 0x2f800000, v9
	s_delay_alu instid0(VALU_DEP_1) | instskip(NEXT) | instid1(VALU_DEP_1)
	v_floor_f32_e32 v11, v11
	v_fmamk_f32 v9, v11, 0xcf800000, v9
	v_cvt_u32_f32_e32 v11, v11
	s_delay_alu instid0(VALU_DEP_2) | instskip(NEXT) | instid1(VALU_DEP_1)
	v_cvt_u32_f32_e32 v13, v9
	v_dual_cndmask_b32 v9, 0, v11 :: v_dual_cndmask_b32 v8, 0, v13
	s_branch .LBB363_2034
.LBB363_2033:
	s_mov_b32 s17, -1
                                        ; implicit-def: $vgpr8_vgpr9
.LBB363_2034:
	s_mov_b32 s20, 0
.LBB363_2035:
	s_delay_alu instid0(SALU_CYCLE_1)
	s_and_b32 vcc_lo, exec_lo, s20
	s_cbranch_vccz .LBB363_2039
; %bb.2036:
	s_cmp_eq_u32 s14, 29
	s_cbranch_scc0 .LBB363_2038
; %bb.2037:
	global_load_b64 v[8:9], v[14:15], off
	s_mov_b32 s17, 0
	s_mov_b32 s19, -1
	s_branch .LBB363_2039
.LBB363_2038:
	s_mov_b32 s17, -1
                                        ; implicit-def: $vgpr8_vgpr9
.LBB363_2039:
	s_mov_b32 s20, 0
.LBB363_2040:
	s_delay_alu instid0(SALU_CYCLE_1)
	s_and_b32 vcc_lo, exec_lo, s20
	s_cbranch_vccz .LBB363_2056
; %bb.2041:
	s_cmp_lt_i32 s14, 27
	s_cbranch_scc1 .LBB363_2044
; %bb.2042:
	s_cmp_gt_i32 s14, 27
	s_cbranch_scc0 .LBB363_2045
; %bb.2043:
	s_wait_loadcnt 0x0
	global_load_b32 v8, v[14:15], off
	v_mov_b32_e32 v9, 0
	s_mov_b32 s19, 0
	s_branch .LBB363_2046
.LBB363_2044:
	s_mov_b32 s19, -1
                                        ; implicit-def: $vgpr8_vgpr9
	s_branch .LBB363_2049
.LBB363_2045:
	s_mov_b32 s19, -1
                                        ; implicit-def: $vgpr8_vgpr9
.LBB363_2046:
	s_delay_alu instid0(SALU_CYCLE_1)
	s_and_not1_b32 vcc_lo, exec_lo, s19
	s_cbranch_vccnz .LBB363_2048
; %bb.2047:
	s_wait_loadcnt 0x0
	global_load_u16 v8, v[14:15], off
	s_mov_b32 s19, 0
	s_delay_alu instid0(SALU_CYCLE_1)
	v_mov_b32_e32 v9, s19
	s_wait_loadcnt 0x0
	v_and_b32_e32 v8, 0xffff, v8
.LBB363_2048:
	s_mov_b32 s19, 0
.LBB363_2049:
	s_delay_alu instid0(SALU_CYCLE_1)
	s_and_not1_b32 vcc_lo, exec_lo, s19
	s_cbranch_vccnz .LBB363_2055
; %bb.2050:
	global_load_u8 v11, v[14:15], off
	s_mov_b32 s20, 0
	s_mov_b32 s19, exec_lo
	s_wait_loadcnt 0x0
	v_cmpx_lt_i16_e32 0x7f, v11
	s_xor_b32 s19, exec_lo, s19
	s_cbranch_execz .LBB363_2067
; %bb.2051:
	v_cmp_ne_u16_e32 vcc_lo, 0x80, v11
	s_and_b32 s20, vcc_lo, exec_lo
	s_and_not1_saveexec_b32 s19, s19
	s_cbranch_execnz .LBB363_2068
.LBB363_2052:
	s_or_b32 exec_lo, exec_lo, s19
	v_mov_b64_e32 v[8:9], 0
	s_and_saveexec_b32 s19, s20
	s_cbranch_execz .LBB363_2054
.LBB363_2053:
	v_and_b32_e32 v8, 0xffff, v11
	s_delay_alu instid0(VALU_DEP_1) | instskip(SKIP_1) | instid1(VALU_DEP_2)
	v_and_b32_e32 v9, 7, v8
	v_bfe_u32 v17, v8, 3, 4
	v_clz_i32_u32_e32 v13, v9
	s_delay_alu instid0(VALU_DEP_2) | instskip(NEXT) | instid1(VALU_DEP_2)
	v_cmp_eq_u32_e32 vcc_lo, 0, v17
	v_min_u32_e32 v13, 32, v13
	s_delay_alu instid0(VALU_DEP_1) | instskip(NEXT) | instid1(VALU_DEP_1)
	v_subrev_nc_u32_e32 v16, 28, v13
	v_dual_lshlrev_b32 v8, v16, v8 :: v_dual_sub_nc_u32 v13, 29, v13
	s_delay_alu instid0(VALU_DEP_1) | instskip(NEXT) | instid1(VALU_DEP_2)
	v_dual_lshlrev_b32 v11, 24, v11 :: v_dual_bitop2_b32 v8, 7, v8 bitop3:0x40
	v_cndmask_b32_e32 v13, v17, v13, vcc_lo
	s_delay_alu instid0(VALU_DEP_2) | instskip(NEXT) | instid1(VALU_DEP_3)
	v_cndmask_b32_e32 v8, v9, v8, vcc_lo
	v_and_b32_e32 v9, 0x80000000, v11
	s_delay_alu instid0(VALU_DEP_3) | instskip(NEXT) | instid1(VALU_DEP_3)
	v_lshl_add_u32 v11, v13, 23, 0x3b800000
	v_lshlrev_b32_e32 v8, 20, v8
	s_delay_alu instid0(VALU_DEP_1) | instskip(NEXT) | instid1(VALU_DEP_1)
	v_or3_b32 v8, v9, v11, v8
	v_trunc_f32_e32 v8, v8
	s_delay_alu instid0(VALU_DEP_1) | instskip(NEXT) | instid1(VALU_DEP_1)
	v_mul_f32_e32 v9, 0x2f800000, v8
	v_floor_f32_e32 v9, v9
	s_delay_alu instid0(VALU_DEP_1) | instskip(SKIP_1) | instid1(VALU_DEP_2)
	v_fmamk_f32 v8, v9, 0xcf800000, v8
	v_cvt_u32_f32_e32 v9, v9
	v_cvt_u32_f32_e32 v8, v8
.LBB363_2054:
	s_or_b32 exec_lo, exec_lo, s19
.LBB363_2055:
	s_mov_b32 s19, -1
.LBB363_2056:
	s_mov_b32 s20, 0
.LBB363_2057:
	s_delay_alu instid0(SALU_CYCLE_1)
	s_and_b32 vcc_lo, exec_lo, s20
	s_cbranch_vccz .LBB363_2088
; %bb.2058:
	s_cmp_gt_i32 s14, 22
	s_cbranch_scc0 .LBB363_2066
; %bb.2059:
	s_cmp_lt_i32 s14, 24
	s_cbranch_scc1 .LBB363_2069
; %bb.2060:
	s_cmp_gt_i32 s14, 24
	s_cbranch_scc0 .LBB363_2070
; %bb.2061:
	global_load_u8 v11, v[14:15], off
	s_mov_b32 s19, 0
	s_mov_b32 s18, exec_lo
	s_wait_loadcnt 0x0
	v_cmpx_lt_i16_e32 0x7f, v11
	s_xor_b32 s18, exec_lo, s18
	s_cbranch_execz .LBB363_2082
; %bb.2062:
	v_cmp_ne_u16_e32 vcc_lo, 0x80, v11
	s_and_b32 s19, vcc_lo, exec_lo
	s_and_not1_saveexec_b32 s18, s18
	s_cbranch_execnz .LBB363_2083
.LBB363_2063:
	s_or_b32 exec_lo, exec_lo, s18
	v_mov_b64_e32 v[8:9], 0
	s_and_saveexec_b32 s18, s19
	s_cbranch_execz .LBB363_2065
.LBB363_2064:
	v_and_b32_e32 v8, 0xffff, v11
	s_delay_alu instid0(VALU_DEP_1) | instskip(SKIP_1) | instid1(VALU_DEP_2)
	v_and_b32_e32 v9, 3, v8
	v_bfe_u32 v17, v8, 2, 5
	v_clz_i32_u32_e32 v13, v9
	s_delay_alu instid0(VALU_DEP_2) | instskip(NEXT) | instid1(VALU_DEP_2)
	v_cmp_eq_u32_e32 vcc_lo, 0, v17
	v_min_u32_e32 v13, 32, v13
	s_delay_alu instid0(VALU_DEP_1) | instskip(NEXT) | instid1(VALU_DEP_1)
	v_subrev_nc_u32_e32 v16, 29, v13
	v_dual_lshlrev_b32 v8, v16, v8 :: v_dual_sub_nc_u32 v13, 30, v13
	s_delay_alu instid0(VALU_DEP_1) | instskip(NEXT) | instid1(VALU_DEP_2)
	v_dual_lshlrev_b32 v11, 24, v11 :: v_dual_bitop2_b32 v8, 3, v8 bitop3:0x40
	v_cndmask_b32_e32 v13, v17, v13, vcc_lo
	s_delay_alu instid0(VALU_DEP_2) | instskip(NEXT) | instid1(VALU_DEP_3)
	v_cndmask_b32_e32 v8, v9, v8, vcc_lo
	v_and_b32_e32 v9, 0x80000000, v11
	s_delay_alu instid0(VALU_DEP_3) | instskip(NEXT) | instid1(VALU_DEP_3)
	v_lshl_add_u32 v11, v13, 23, 0x37800000
	v_lshlrev_b32_e32 v8, 21, v8
	s_delay_alu instid0(VALU_DEP_1) | instskip(NEXT) | instid1(VALU_DEP_1)
	v_or3_b32 v8, v9, v11, v8
	v_trunc_f32_e32 v8, v8
	s_delay_alu instid0(VALU_DEP_1) | instskip(NEXT) | instid1(VALU_DEP_1)
	v_mul_f32_e32 v9, 0x2f800000, v8
	v_floor_f32_e32 v9, v9
	s_delay_alu instid0(VALU_DEP_1) | instskip(SKIP_1) | instid1(VALU_DEP_2)
	v_fmamk_f32 v8, v9, 0xcf800000, v8
	v_cvt_u32_f32_e32 v9, v9
	v_cvt_u32_f32_e32 v8, v8
.LBB363_2065:
	s_or_b32 exec_lo, exec_lo, s18
	s_mov_b32 s18, 0
	s_branch .LBB363_2071
.LBB363_2066:
	s_mov_b32 s18, -1
                                        ; implicit-def: $vgpr8_vgpr9
	s_branch .LBB363_2077
.LBB363_2067:
	s_and_not1_saveexec_b32 s19, s19
	s_cbranch_execz .LBB363_2052
.LBB363_2068:
	v_cmp_ne_u16_e32 vcc_lo, 0, v11
	s_and_not1_b32 s20, s20, exec_lo
	s_and_b32 s21, vcc_lo, exec_lo
	s_delay_alu instid0(SALU_CYCLE_1)
	s_or_b32 s20, s20, s21
	s_or_b32 exec_lo, exec_lo, s19
	v_mov_b64_e32 v[8:9], 0
	s_and_saveexec_b32 s19, s20
	s_cbranch_execnz .LBB363_2053
	s_branch .LBB363_2054
.LBB363_2069:
	s_mov_b32 s18, -1
                                        ; implicit-def: $vgpr8_vgpr9
	s_branch .LBB363_2074
.LBB363_2070:
	s_mov_b32 s18, -1
                                        ; implicit-def: $vgpr8_vgpr9
.LBB363_2071:
	s_delay_alu instid0(SALU_CYCLE_1)
	s_and_b32 vcc_lo, exec_lo, s18
	s_cbranch_vccz .LBB363_2073
; %bb.2072:
	s_wait_loadcnt 0x0
	global_load_u8 v8, v[14:15], off
	s_wait_loadcnt 0x0
	v_lshlrev_b32_e32 v8, 24, v8
	s_delay_alu instid0(VALU_DEP_1) | instskip(NEXT) | instid1(VALU_DEP_1)
	v_and_b32_e32 v9, 0x7f000000, v8
	v_clz_i32_u32_e32 v11, v9
	v_cmp_ne_u32_e32 vcc_lo, 0, v9
	v_add_nc_u32_e32 v16, 0x1000000, v9
	s_delay_alu instid0(VALU_DEP_3) | instskip(NEXT) | instid1(VALU_DEP_1)
	v_min_u32_e32 v11, 32, v11
	v_sub_nc_u32_e64 v11, v11, 4 clamp
	s_delay_alu instid0(VALU_DEP_1) | instskip(NEXT) | instid1(VALU_DEP_1)
	v_dual_lshlrev_b32 v13, v11, v9 :: v_dual_lshlrev_b32 v11, 23, v11
	v_lshrrev_b32_e32 v13, 4, v13
	s_delay_alu instid0(VALU_DEP_1) | instskip(NEXT) | instid1(VALU_DEP_1)
	v_dual_sub_nc_u32 v11, v13, v11 :: v_dual_ashrrev_i32 v13, 8, v16
	v_add_nc_u32_e32 v11, 0x3c000000, v11
	s_delay_alu instid0(VALU_DEP_1) | instskip(NEXT) | instid1(VALU_DEP_1)
	v_and_or_b32 v11, 0x7f800000, v13, v11
	v_cndmask_b32_e32 v9, 0, v11, vcc_lo
	s_delay_alu instid0(VALU_DEP_1) | instskip(NEXT) | instid1(VALU_DEP_1)
	v_and_or_b32 v8, 0x80000000, v8, v9
	v_trunc_f32_e32 v8, v8
	s_delay_alu instid0(VALU_DEP_1) | instskip(NEXT) | instid1(VALU_DEP_1)
	v_mul_f32_e32 v9, 0x2f800000, v8
	v_floor_f32_e32 v9, v9
	s_delay_alu instid0(VALU_DEP_1) | instskip(SKIP_1) | instid1(VALU_DEP_2)
	v_fmamk_f32 v8, v9, 0xcf800000, v8
	v_cvt_u32_f32_e32 v9, v9
	v_cvt_u32_f32_e32 v8, v8
.LBB363_2073:
	s_mov_b32 s18, 0
.LBB363_2074:
	s_delay_alu instid0(SALU_CYCLE_1)
	s_and_not1_b32 vcc_lo, exec_lo, s18
	s_cbranch_vccnz .LBB363_2076
; %bb.2075:
	s_wait_loadcnt 0x0
	global_load_u8 v8, v[14:15], off
	s_wait_loadcnt 0x0
	v_lshlrev_b32_e32 v9, 25, v8
	v_lshlrev_b16 v8, 8, v8
	s_delay_alu instid0(VALU_DEP_1) | instskip(SKIP_1) | instid1(VALU_DEP_2)
	v_and_or_b32 v13, 0x7f00, v8, 0.5
	v_bfe_i32 v8, v8, 0, 16
	v_add_f32_e32 v13, -0.5, v13
	v_lshrrev_b32_e32 v11, 4, v9
	v_cmp_gt_u32_e32 vcc_lo, 0x8000000, v9
	s_delay_alu instid0(VALU_DEP_2) | instskip(NEXT) | instid1(VALU_DEP_1)
	v_or_b32_e32 v11, 0x70000000, v11
	v_mul_f32_e32 v11, 0x7800000, v11
	s_delay_alu instid0(VALU_DEP_1) | instskip(NEXT) | instid1(VALU_DEP_1)
	v_cndmask_b32_e32 v9, v11, v13, vcc_lo
	v_and_or_b32 v8, 0x80000000, v8, v9
	s_delay_alu instid0(VALU_DEP_1) | instskip(NEXT) | instid1(VALU_DEP_1)
	v_trunc_f32_e32 v8, v8
	v_mul_f32_e32 v9, 0x2f800000, v8
	s_delay_alu instid0(VALU_DEP_1) | instskip(NEXT) | instid1(VALU_DEP_1)
	v_floor_f32_e32 v9, v9
	v_fmamk_f32 v8, v9, 0xcf800000, v8
	v_cvt_u32_f32_e32 v9, v9
	s_delay_alu instid0(VALU_DEP_2)
	v_cvt_u32_f32_e32 v8, v8
.LBB363_2076:
	s_mov_b32 s18, 0
	s_mov_b32 s19, -1
.LBB363_2077:
	s_and_not1_b32 vcc_lo, exec_lo, s18
	s_mov_b32 s18, 0
	s_cbranch_vccnz .LBB363_2088
; %bb.2078:
	s_cmp_gt_i32 s14, 14
	s_cbranch_scc0 .LBB363_2081
; %bb.2079:
	s_cmp_eq_u32 s14, 15
	s_cbranch_scc0 .LBB363_2084
; %bb.2080:
	s_wait_loadcnt 0x0
	global_load_u16 v8, v[14:15], off
	s_mov_b32 s17, 0
	s_mov_b32 s19, -1
	s_wait_loadcnt 0x0
	v_lshlrev_b32_e32 v8, 16, v8
	s_delay_alu instid0(VALU_DEP_1) | instskip(NEXT) | instid1(VALU_DEP_1)
	v_trunc_f32_e32 v8, v8
	v_mul_f32_e32 v9, 0x2f800000, v8
	s_delay_alu instid0(VALU_DEP_1) | instskip(NEXT) | instid1(VALU_DEP_1)
	v_floor_f32_e32 v9, v9
	v_fmamk_f32 v8, v9, 0xcf800000, v8
	v_cvt_u32_f32_e32 v9, v9
	s_delay_alu instid0(VALU_DEP_2)
	v_cvt_u32_f32_e32 v8, v8
	s_branch .LBB363_2086
.LBB363_2081:
	s_mov_b32 s18, -1
	s_branch .LBB363_2085
.LBB363_2082:
	s_and_not1_saveexec_b32 s18, s18
	s_cbranch_execz .LBB363_2063
.LBB363_2083:
	v_cmp_ne_u16_e32 vcc_lo, 0, v11
	s_and_not1_b32 s19, s19, exec_lo
	s_and_b32 s20, vcc_lo, exec_lo
	s_delay_alu instid0(SALU_CYCLE_1)
	s_or_b32 s19, s19, s20
	s_or_b32 exec_lo, exec_lo, s18
	v_mov_b64_e32 v[8:9], 0
	s_and_saveexec_b32 s18, s19
	s_cbranch_execnz .LBB363_2064
	s_branch .LBB363_2065
.LBB363_2084:
	s_mov_b32 s17, -1
.LBB363_2085:
                                        ; implicit-def: $vgpr8_vgpr9
.LBB363_2086:
	s_and_b32 vcc_lo, exec_lo, s18
	s_mov_b32 s18, 0
	s_cbranch_vccz .LBB363_2088
; %bb.2087:
	s_cmp_lg_u32 s14, 11
	s_mov_b32 s18, -1
	s_cselect_b32 s17, -1, 0
.LBB363_2088:
	s_delay_alu instid0(SALU_CYCLE_1)
	s_and_b32 vcc_lo, exec_lo, s17
	s_cbranch_vccnz .LBB363_2153
; %bb.2089:
	s_and_not1_b32 vcc_lo, exec_lo, s18
	s_cbranch_vccnz .LBB363_2091
.LBB363_2090:
	s_wait_loadcnt 0x0
	global_load_u8 v8, v[14:15], off
	s_mov_b32 s14, 0
	s_mov_b32 s19, -1
	v_mov_b32_e32 v9, s14
	s_wait_loadcnt 0x0
	v_cmp_ne_u16_e32 vcc_lo, 0, v8
	v_cndmask_b32_e64 v8, 0, 1, vcc_lo
.LBB363_2091:
	s_mov_b32 s14, 0
.LBB363_2092:
	s_delay_alu instid0(SALU_CYCLE_1)
	s_and_b32 vcc_lo, exec_lo, s14
	s_cbranch_vccz .LBB363_2141
; %bb.2093:
	s_and_b32 s14, 0xffff, s0
	s_delay_alu instid0(SALU_CYCLE_1)
	s_cmp_lt_i32 s14, 5
	s_cbranch_scc1 .LBB363_2098
; %bb.2094:
	s_cmp_lt_i32 s14, 8
	s_cbranch_scc1 .LBB363_2099
; %bb.2095:
	s_cmp_lt_i32 s14, 9
	s_cbranch_scc1 .LBB363_2100
; %bb.2096:
	s_cmp_gt_i32 s14, 9
	s_cbranch_scc0 .LBB363_2101
; %bb.2097:
	s_wait_loadcnt 0x0
	global_load_b64 v[8:9], v[14:15], off
	s_mov_b32 s17, 0
	s_wait_loadcnt 0x0
	v_trunc_f64_e32 v[8:9], v[8:9]
	s_delay_alu instid0(VALU_DEP_1) | instskip(NEXT) | instid1(VALU_DEP_1)
	v_ldexp_f64 v[16:17], v[8:9], 0xffffffe0
	v_floor_f64_e32 v[16:17], v[16:17]
	s_delay_alu instid0(VALU_DEP_1) | instskip(SKIP_1) | instid1(VALU_DEP_2)
	v_fmamk_f64 v[20:21], v[16:17], 0xc1f00000, v[8:9]
	v_cvt_u32_f64_e32 v9, v[16:17]
	v_cvt_u32_f64_e32 v8, v[20:21]
	s_branch .LBB363_2102
.LBB363_2098:
	s_mov_b32 s17, -1
                                        ; implicit-def: $vgpr8_vgpr9
	s_branch .LBB363_2120
.LBB363_2099:
	s_mov_b32 s17, -1
                                        ; implicit-def: $vgpr8_vgpr9
	s_branch .LBB363_2108
.LBB363_2100:
	s_mov_b32 s17, -1
                                        ; implicit-def: $vgpr8_vgpr9
	s_branch .LBB363_2105
.LBB363_2101:
	s_mov_b32 s17, -1
                                        ; implicit-def: $vgpr8_vgpr9
.LBB363_2102:
	s_delay_alu instid0(SALU_CYCLE_1)
	s_and_not1_b32 vcc_lo, exec_lo, s17
	s_cbranch_vccnz .LBB363_2104
; %bb.2103:
	s_wait_loadcnt 0x0
	global_load_b32 v8, v[14:15], off
	s_wait_loadcnt 0x0
	v_trunc_f32_e32 v8, v8
	s_delay_alu instid0(VALU_DEP_1) | instskip(NEXT) | instid1(VALU_DEP_1)
	v_mul_f32_e32 v9, 0x2f800000, v8
	v_floor_f32_e32 v9, v9
	s_delay_alu instid0(VALU_DEP_1) | instskip(SKIP_1) | instid1(VALU_DEP_2)
	v_fmamk_f32 v8, v9, 0xcf800000, v8
	v_cvt_u32_f32_e32 v9, v9
	v_cvt_u32_f32_e32 v8, v8
.LBB363_2104:
	s_mov_b32 s17, 0
.LBB363_2105:
	s_delay_alu instid0(SALU_CYCLE_1)
	s_and_not1_b32 vcc_lo, exec_lo, s17
	s_cbranch_vccnz .LBB363_2107
; %bb.2106:
	s_wait_loadcnt 0x0
	global_load_b32 v8, v[14:15], off
	v_mov_b32_e32 v9, 0
	s_wait_loadcnt 0x0
	v_cvt_f32_f16_e32 v8, v8
	s_delay_alu instid0(VALU_DEP_1)
	v_cvt_u32_f32_e32 v8, v8
.LBB363_2107:
	s_mov_b32 s17, 0
.LBB363_2108:
	s_delay_alu instid0(SALU_CYCLE_1)
	s_and_not1_b32 vcc_lo, exec_lo, s17
	s_cbranch_vccnz .LBB363_2119
; %bb.2109:
	s_cmp_lt_i32 s14, 6
	s_cbranch_scc1 .LBB363_2112
; %bb.2110:
	s_cmp_gt_i32 s14, 6
	s_cbranch_scc0 .LBB363_2113
; %bb.2111:
	s_wait_loadcnt 0x0
	global_load_b64 v[8:9], v[14:15], off
	s_mov_b32 s17, 0
	s_wait_loadcnt 0x0
	v_trunc_f64_e32 v[8:9], v[8:9]
	s_delay_alu instid0(VALU_DEP_1) | instskip(NEXT) | instid1(VALU_DEP_1)
	v_ldexp_f64 v[16:17], v[8:9], 0xffffffe0
	v_floor_f64_e32 v[16:17], v[16:17]
	s_delay_alu instid0(VALU_DEP_1) | instskip(SKIP_1) | instid1(VALU_DEP_2)
	v_fmamk_f64 v[20:21], v[16:17], 0xc1f00000, v[8:9]
	v_cvt_u32_f64_e32 v9, v[16:17]
	v_cvt_u32_f64_e32 v8, v[20:21]
	s_branch .LBB363_2114
.LBB363_2112:
	s_mov_b32 s17, -1
                                        ; implicit-def: $vgpr8_vgpr9
	s_branch .LBB363_2117
.LBB363_2113:
	s_mov_b32 s17, -1
                                        ; implicit-def: $vgpr8_vgpr9
.LBB363_2114:
	s_delay_alu instid0(SALU_CYCLE_1)
	s_and_not1_b32 vcc_lo, exec_lo, s17
	s_cbranch_vccnz .LBB363_2116
; %bb.2115:
	s_wait_loadcnt 0x0
	global_load_b32 v8, v[14:15], off
	s_wait_loadcnt 0x0
	v_trunc_f32_e32 v8, v8
	s_delay_alu instid0(VALU_DEP_1) | instskip(NEXT) | instid1(VALU_DEP_1)
	v_mul_f32_e32 v9, 0x2f800000, v8
	v_floor_f32_e32 v9, v9
	s_delay_alu instid0(VALU_DEP_1) | instskip(SKIP_1) | instid1(VALU_DEP_2)
	v_fmamk_f32 v8, v9, 0xcf800000, v8
	v_cvt_u32_f32_e32 v9, v9
	v_cvt_u32_f32_e32 v8, v8
.LBB363_2116:
	s_mov_b32 s17, 0
.LBB363_2117:
	s_delay_alu instid0(SALU_CYCLE_1)
	s_and_not1_b32 vcc_lo, exec_lo, s17
	s_cbranch_vccnz .LBB363_2119
; %bb.2118:
	s_wait_loadcnt 0x0
	global_load_u16 v8, v[14:15], off
	v_mov_b32_e32 v9, 0
	s_wait_loadcnt 0x0
	v_cvt_f32_f16_e32 v8, v8
	s_delay_alu instid0(VALU_DEP_1)
	v_cvt_u32_f32_e32 v8, v8
.LBB363_2119:
	s_mov_b32 s17, 0
.LBB363_2120:
	s_delay_alu instid0(SALU_CYCLE_1)
	s_and_not1_b32 vcc_lo, exec_lo, s17
	s_cbranch_vccnz .LBB363_2140
; %bb.2121:
	s_cmp_lt_i32 s14, 2
	s_cbranch_scc1 .LBB363_2125
; %bb.2122:
	s_cmp_lt_i32 s14, 3
	s_cbranch_scc1 .LBB363_2126
; %bb.2123:
	s_cmp_gt_i32 s14, 3
	s_cbranch_scc0 .LBB363_2127
; %bb.2124:
	s_wait_loadcnt 0x0
	global_load_b64 v[8:9], v[14:15], off
	s_mov_b32 s17, 0
	s_branch .LBB363_2128
.LBB363_2125:
	s_mov_b32 s17, -1
                                        ; implicit-def: $vgpr8_vgpr9
	s_branch .LBB363_2134
.LBB363_2126:
	s_mov_b32 s17, -1
                                        ; implicit-def: $vgpr8_vgpr9
	s_branch .LBB363_2131
.LBB363_2127:
	s_mov_b32 s17, -1
                                        ; implicit-def: $vgpr8_vgpr9
.LBB363_2128:
	s_delay_alu instid0(SALU_CYCLE_1)
	s_and_not1_b32 vcc_lo, exec_lo, s17
	s_cbranch_vccnz .LBB363_2130
; %bb.2129:
	s_wait_loadcnt 0x0
	global_load_b32 v8, v[14:15], off
	s_wait_loadcnt 0x0
	v_ashrrev_i32_e32 v9, 31, v8
.LBB363_2130:
	s_mov_b32 s17, 0
.LBB363_2131:
	s_delay_alu instid0(SALU_CYCLE_1)
	s_and_not1_b32 vcc_lo, exec_lo, s17
	s_cbranch_vccnz .LBB363_2133
; %bb.2132:
	s_wait_loadcnt 0x0
	global_load_u16 v8, v[14:15], off
	s_wait_loadcnt 0x0
	v_bfe_i32 v8, v8, 0, 16
	s_delay_alu instid0(VALU_DEP_1)
	v_ashrrev_i32_e32 v9, 31, v8
.LBB363_2133:
	s_mov_b32 s17, 0
.LBB363_2134:
	s_delay_alu instid0(SALU_CYCLE_1)
	s_and_not1_b32 vcc_lo, exec_lo, s17
	s_cbranch_vccnz .LBB363_2140
; %bb.2135:
	s_cmp_gt_i32 s14, 0
	s_mov_b32 s14, 0
	s_cbranch_scc0 .LBB363_2137
; %bb.2136:
	s_wait_loadcnt 0x0
	global_load_i8 v8, v[14:15], off
	s_wait_loadcnt 0x0
	v_bfe_i32 v8, v8, 0, 16
	s_delay_alu instid0(VALU_DEP_1)
	v_ashrrev_i32_e32 v9, 31, v8
	s_branch .LBB363_2138
.LBB363_2137:
	s_mov_b32 s14, -1
                                        ; implicit-def: $vgpr8_vgpr9
.LBB363_2138:
	s_delay_alu instid0(SALU_CYCLE_1)
	s_and_not1_b32 vcc_lo, exec_lo, s14
	s_cbranch_vccnz .LBB363_2140
; %bb.2139:
	s_wait_loadcnt 0x0
	global_load_u8 v8, v[14:15], off
	s_mov_b32 s14, 0
	s_delay_alu instid0(SALU_CYCLE_1)
	v_mov_b32_e32 v9, s14
	s_wait_loadcnt 0x0
	v_and_b32_e32 v8, 0xffff, v8
.LBB363_2140:
	s_mov_b32 s19, -1
.LBB363_2141:
	s_delay_alu instid0(SALU_CYCLE_1)
	s_and_not1_b32 vcc_lo, exec_lo, s19
	s_cbranch_vccnz .LBB363_2957
; %bb.2142:
	s_wait_xcnt 0x0
	v_add_nc_u32_e32 v14, s10, v10
	s_cmp_lt_i32 s1, 11
	s_delay_alu instid0(VALU_DEP_1) | instskip(NEXT) | instid1(VALU_DEP_1)
	v_ashrrev_i32_e32 v15, 31, v14
	v_add_nc_u64_e32 v[16:17], s[2:3], v[14:15]
	s_cbranch_scc1 .LBB363_2149
; %bb.2143:
	s_and_b32 s14, 0xffff, s1
	s_mov_b32 s18, 0
	s_cmp_gt_i32 s14, 25
	s_cbranch_scc0 .LBB363_2150
; %bb.2144:
	s_cmp_gt_i32 s14, 28
	s_cbranch_scc0 .LBB363_2151
; %bb.2145:
	;; [unrolled: 3-line block ×4, first 2 shown]
	s_cmp_eq_u32 s14, 46
	s_mov_b32 s20, 0
	s_cbranch_scc0 .LBB363_2157
; %bb.2148:
	global_load_b32 v10, v[16:17], off
	s_mov_b32 s17, 0
	s_mov_b32 s19, -1
	s_wait_loadcnt 0x0
	v_lshlrev_b32_e32 v10, 16, v10
	s_delay_alu instid0(VALU_DEP_1) | instskip(NEXT) | instid1(VALU_DEP_1)
	v_trunc_f32_e32 v10, v10
	v_mul_f32_e32 v11, 0x2f800000, v10
	s_delay_alu instid0(VALU_DEP_1) | instskip(NEXT) | instid1(VALU_DEP_1)
	v_floor_f32_e32 v11, v11
	v_fmamk_f32 v10, v11, 0xcf800000, v10
	v_cvt_u32_f32_e32 v11, v11
	s_delay_alu instid0(VALU_DEP_2)
	v_cvt_u32_f32_e32 v10, v10
	s_branch .LBB363_2159
.LBB363_2149:
	s_mov_b32 s14, -1
	s_mov_b32 s19, 0
                                        ; implicit-def: $vgpr10_vgpr11
	s_branch .LBB363_2221
.LBB363_2150:
	s_mov_b32 s20, -1
	s_mov_b32 s19, 0
	s_mov_b32 s17, 0
                                        ; implicit-def: $vgpr10_vgpr11
	s_branch .LBB363_2186
.LBB363_2151:
	s_mov_b32 s20, -1
	s_mov_b32 s19, 0
	s_mov_b32 s17, 0
                                        ; implicit-def: $vgpr10_vgpr11
	s_branch .LBB363_2169
.LBB363_2152:
	s_mov_b32 s20, -1
	s_mov_b32 s19, 0
	s_mov_b32 s17, 0
                                        ; implicit-def: $vgpr10_vgpr11
	s_branch .LBB363_2164
.LBB363_2153:
	s_or_b32 s13, s13, exec_lo
	s_trap 2
	s_cbranch_execz .LBB363_2090
	s_branch .LBB363_2091
.LBB363_2154:
	s_mov_b32 s20, -1
	s_mov_b32 s19, 0
	s_mov_b32 s17, 0
	s_branch .LBB363_2158
.LBB363_2155:
	s_and_not1_saveexec_b32 s35, s35
	s_cbranch_execz .LBB363_1063
.LBB363_2156:
	v_add_f32_e32 v2, 0x42800000, v3
	s_and_not1_b32 s34, s34, exec_lo
	s_delay_alu instid0(VALU_DEP_1) | instskip(NEXT) | instid1(VALU_DEP_1)
	v_and_b32_e32 v2, 0xff, v2
	v_cmp_ne_u32_e32 vcc_lo, 0, v2
	s_and_b32 s36, vcc_lo, exec_lo
	s_delay_alu instid0(SALU_CYCLE_1)
	s_or_b32 s34, s34, s36
	s_or_b32 exec_lo, exec_lo, s35
	v_mov_b32_e32 v4, 0
	s_and_saveexec_b32 s35, s34
	s_cbranch_execnz .LBB363_1064
	s_branch .LBB363_1065
.LBB363_2157:
	s_mov_b32 s17, -1
	s_mov_b32 s19, 0
.LBB363_2158:
                                        ; implicit-def: $vgpr10_vgpr11
.LBB363_2159:
	s_and_b32 vcc_lo, exec_lo, s20
	s_cbranch_vccz .LBB363_2163
; %bb.2160:
	s_cmp_eq_u32 s14, 44
	s_cbranch_scc0 .LBB363_2162
; %bb.2161:
	global_load_u8 v10, v[16:17], off
	s_mov_b32 s17, 0
	s_mov_b32 s19, -1
	s_wait_loadcnt 0x0
	v_cmp_ne_u32_e32 vcc_lo, 0, v10
	v_lshlrev_b32_e32 v11, 23, v10
	s_delay_alu instid0(VALU_DEP_1) | instskip(NEXT) | instid1(VALU_DEP_1)
	v_trunc_f32_e32 v11, v11
	v_mul_f32_e32 v13, 0x2f800000, v11
	s_delay_alu instid0(VALU_DEP_1) | instskip(NEXT) | instid1(VALU_DEP_1)
	v_floor_f32_e32 v13, v13
	v_fmamk_f32 v11, v13, 0xcf800000, v11
	v_cvt_u32_f32_e32 v13, v13
	s_delay_alu instid0(VALU_DEP_2) | instskip(NEXT) | instid1(VALU_DEP_1)
	v_cvt_u32_f32_e32 v15, v11
	v_dual_cndmask_b32 v11, 0, v13 :: v_dual_cndmask_b32 v10, 0, v15
	s_branch .LBB363_2163
.LBB363_2162:
	s_mov_b32 s17, -1
                                        ; implicit-def: $vgpr10_vgpr11
.LBB363_2163:
	s_mov_b32 s20, 0
.LBB363_2164:
	s_delay_alu instid0(SALU_CYCLE_1)
	s_and_b32 vcc_lo, exec_lo, s20
	s_cbranch_vccz .LBB363_2168
; %bb.2165:
	s_cmp_eq_u32 s14, 29
	s_cbranch_scc0 .LBB363_2167
; %bb.2166:
	global_load_b64 v[10:11], v[16:17], off
	s_mov_b32 s17, 0
	s_mov_b32 s19, -1
	s_branch .LBB363_2168
.LBB363_2167:
	s_mov_b32 s17, -1
                                        ; implicit-def: $vgpr10_vgpr11
.LBB363_2168:
	s_mov_b32 s20, 0
.LBB363_2169:
	s_delay_alu instid0(SALU_CYCLE_1)
	s_and_b32 vcc_lo, exec_lo, s20
	s_cbranch_vccz .LBB363_2185
; %bb.2170:
	s_cmp_lt_i32 s14, 27
	s_cbranch_scc1 .LBB363_2173
; %bb.2171:
	s_cmp_gt_i32 s14, 27
	s_cbranch_scc0 .LBB363_2174
; %bb.2172:
	s_wait_loadcnt 0x0
	global_load_b32 v10, v[16:17], off
	v_mov_b32_e32 v11, 0
	s_mov_b32 s19, 0
	s_branch .LBB363_2175
.LBB363_2173:
	s_mov_b32 s19, -1
                                        ; implicit-def: $vgpr10_vgpr11
	s_branch .LBB363_2178
.LBB363_2174:
	s_mov_b32 s19, -1
                                        ; implicit-def: $vgpr10_vgpr11
.LBB363_2175:
	s_delay_alu instid0(SALU_CYCLE_1)
	s_and_not1_b32 vcc_lo, exec_lo, s19
	s_cbranch_vccnz .LBB363_2177
; %bb.2176:
	s_wait_loadcnt 0x0
	global_load_u16 v10, v[16:17], off
	s_mov_b32 s19, 0
	s_delay_alu instid0(SALU_CYCLE_1)
	v_mov_b32_e32 v11, s19
	s_wait_loadcnt 0x0
	v_and_b32_e32 v10, 0xffff, v10
.LBB363_2177:
	s_mov_b32 s19, 0
.LBB363_2178:
	s_delay_alu instid0(SALU_CYCLE_1)
	s_and_not1_b32 vcc_lo, exec_lo, s19
	s_cbranch_vccnz .LBB363_2184
; %bb.2179:
	global_load_u8 v13, v[16:17], off
	s_mov_b32 s20, 0
	s_mov_b32 s19, exec_lo
	s_wait_loadcnt 0x0
	v_cmpx_lt_i16_e32 0x7f, v13
	s_xor_b32 s19, exec_lo, s19
	s_cbranch_execz .LBB363_2196
; %bb.2180:
	v_cmp_ne_u16_e32 vcc_lo, 0x80, v13
	s_and_b32 s20, vcc_lo, exec_lo
	s_and_not1_saveexec_b32 s19, s19
	s_cbranch_execnz .LBB363_2197
.LBB363_2181:
	s_or_b32 exec_lo, exec_lo, s19
	v_mov_b64_e32 v[10:11], 0
	s_and_saveexec_b32 s19, s20
	s_cbranch_execz .LBB363_2183
.LBB363_2182:
	v_and_b32_e32 v10, 0xffff, v13
	s_delay_alu instid0(VALU_DEP_1) | instskip(SKIP_1) | instid1(VALU_DEP_2)
	v_and_b32_e32 v11, 7, v10
	v_bfe_u32 v20, v10, 3, 4
	v_clz_i32_u32_e32 v15, v11
	s_delay_alu instid0(VALU_DEP_2) | instskip(NEXT) | instid1(VALU_DEP_2)
	v_cmp_eq_u32_e32 vcc_lo, 0, v20
	v_min_u32_e32 v15, 32, v15
	s_delay_alu instid0(VALU_DEP_1) | instskip(NEXT) | instid1(VALU_DEP_1)
	v_subrev_nc_u32_e32 v19, 28, v15
	v_dual_lshlrev_b32 v10, v19, v10 :: v_dual_sub_nc_u32 v15, 29, v15
	s_delay_alu instid0(VALU_DEP_1) | instskip(NEXT) | instid1(VALU_DEP_1)
	v_dual_lshlrev_b32 v13, 24, v13 :: v_dual_bitop2_b32 v10, 7, v10 bitop3:0x40
	v_dual_cndmask_b32 v15, v20, v15 :: v_dual_cndmask_b32 v10, v11, v10
	s_delay_alu instid0(VALU_DEP_2) | instskip(NEXT) | instid1(VALU_DEP_2)
	v_and_b32_e32 v11, 0x80000000, v13
	v_lshl_add_u32 v13, v15, 23, 0x3b800000
	s_delay_alu instid0(VALU_DEP_3) | instskip(NEXT) | instid1(VALU_DEP_1)
	v_lshlrev_b32_e32 v10, 20, v10
	v_or3_b32 v10, v11, v13, v10
	s_delay_alu instid0(VALU_DEP_1) | instskip(NEXT) | instid1(VALU_DEP_1)
	v_trunc_f32_e32 v10, v10
	v_mul_f32_e32 v11, 0x2f800000, v10
	s_delay_alu instid0(VALU_DEP_1) | instskip(NEXT) | instid1(VALU_DEP_1)
	v_floor_f32_e32 v11, v11
	v_fmamk_f32 v10, v11, 0xcf800000, v10
	v_cvt_u32_f32_e32 v11, v11
	s_delay_alu instid0(VALU_DEP_2)
	v_cvt_u32_f32_e32 v10, v10
.LBB363_2183:
	s_or_b32 exec_lo, exec_lo, s19
.LBB363_2184:
	s_mov_b32 s19, -1
.LBB363_2185:
	s_mov_b32 s20, 0
.LBB363_2186:
	s_delay_alu instid0(SALU_CYCLE_1)
	s_and_b32 vcc_lo, exec_lo, s20
	s_cbranch_vccz .LBB363_2217
; %bb.2187:
	s_cmp_gt_i32 s14, 22
	s_cbranch_scc0 .LBB363_2195
; %bb.2188:
	s_cmp_lt_i32 s14, 24
	s_cbranch_scc1 .LBB363_2198
; %bb.2189:
	s_cmp_gt_i32 s14, 24
	s_cbranch_scc0 .LBB363_2199
; %bb.2190:
	global_load_u8 v13, v[16:17], off
	s_mov_b32 s19, 0
	s_mov_b32 s18, exec_lo
	s_wait_loadcnt 0x0
	v_cmpx_lt_i16_e32 0x7f, v13
	s_xor_b32 s18, exec_lo, s18
	s_cbranch_execz .LBB363_2211
; %bb.2191:
	v_cmp_ne_u16_e32 vcc_lo, 0x80, v13
	s_and_b32 s19, vcc_lo, exec_lo
	s_and_not1_saveexec_b32 s18, s18
	s_cbranch_execnz .LBB363_2212
.LBB363_2192:
	s_or_b32 exec_lo, exec_lo, s18
	v_mov_b64_e32 v[10:11], 0
	s_and_saveexec_b32 s18, s19
	s_cbranch_execz .LBB363_2194
.LBB363_2193:
	v_and_b32_e32 v10, 0xffff, v13
	s_delay_alu instid0(VALU_DEP_1) | instskip(SKIP_1) | instid1(VALU_DEP_2)
	v_and_b32_e32 v11, 3, v10
	v_bfe_u32 v20, v10, 2, 5
	v_clz_i32_u32_e32 v15, v11
	s_delay_alu instid0(VALU_DEP_2) | instskip(NEXT) | instid1(VALU_DEP_2)
	v_cmp_eq_u32_e32 vcc_lo, 0, v20
	v_min_u32_e32 v15, 32, v15
	s_delay_alu instid0(VALU_DEP_1) | instskip(NEXT) | instid1(VALU_DEP_1)
	v_subrev_nc_u32_e32 v19, 29, v15
	v_dual_lshlrev_b32 v10, v19, v10 :: v_dual_sub_nc_u32 v15, 30, v15
	s_delay_alu instid0(VALU_DEP_1) | instskip(NEXT) | instid1(VALU_DEP_1)
	v_dual_lshlrev_b32 v13, 24, v13 :: v_dual_bitop2_b32 v10, 3, v10 bitop3:0x40
	v_dual_cndmask_b32 v15, v20, v15 :: v_dual_cndmask_b32 v10, v11, v10
	s_delay_alu instid0(VALU_DEP_2) | instskip(NEXT) | instid1(VALU_DEP_2)
	v_and_b32_e32 v11, 0x80000000, v13
	v_lshl_add_u32 v13, v15, 23, 0x37800000
	s_delay_alu instid0(VALU_DEP_3) | instskip(NEXT) | instid1(VALU_DEP_1)
	v_lshlrev_b32_e32 v10, 21, v10
	v_or3_b32 v10, v11, v13, v10
	s_delay_alu instid0(VALU_DEP_1) | instskip(NEXT) | instid1(VALU_DEP_1)
	v_trunc_f32_e32 v10, v10
	v_mul_f32_e32 v11, 0x2f800000, v10
	s_delay_alu instid0(VALU_DEP_1) | instskip(NEXT) | instid1(VALU_DEP_1)
	v_floor_f32_e32 v11, v11
	v_fmamk_f32 v10, v11, 0xcf800000, v10
	v_cvt_u32_f32_e32 v11, v11
	s_delay_alu instid0(VALU_DEP_2)
	v_cvt_u32_f32_e32 v10, v10
.LBB363_2194:
	s_or_b32 exec_lo, exec_lo, s18
	s_mov_b32 s18, 0
	s_branch .LBB363_2200
.LBB363_2195:
	s_mov_b32 s18, -1
                                        ; implicit-def: $vgpr10_vgpr11
	s_branch .LBB363_2206
.LBB363_2196:
	s_and_not1_saveexec_b32 s19, s19
	s_cbranch_execz .LBB363_2181
.LBB363_2197:
	v_cmp_ne_u16_e32 vcc_lo, 0, v13
	s_and_not1_b32 s20, s20, exec_lo
	s_and_b32 s21, vcc_lo, exec_lo
	s_delay_alu instid0(SALU_CYCLE_1)
	s_or_b32 s20, s20, s21
	s_or_b32 exec_lo, exec_lo, s19
	v_mov_b64_e32 v[10:11], 0
	s_and_saveexec_b32 s19, s20
	s_cbranch_execnz .LBB363_2182
	s_branch .LBB363_2183
.LBB363_2198:
	s_mov_b32 s18, -1
                                        ; implicit-def: $vgpr10_vgpr11
	s_branch .LBB363_2203
.LBB363_2199:
	s_mov_b32 s18, -1
                                        ; implicit-def: $vgpr10_vgpr11
.LBB363_2200:
	s_delay_alu instid0(SALU_CYCLE_1)
	s_and_b32 vcc_lo, exec_lo, s18
	s_cbranch_vccz .LBB363_2202
; %bb.2201:
	s_wait_loadcnt 0x0
	global_load_u8 v10, v[16:17], off
	s_wait_loadcnt 0x0
	v_lshlrev_b32_e32 v10, 24, v10
	s_delay_alu instid0(VALU_DEP_1) | instskip(NEXT) | instid1(VALU_DEP_1)
	v_and_b32_e32 v11, 0x7f000000, v10
	v_clz_i32_u32_e32 v13, v11
	v_add_nc_u32_e32 v19, 0x1000000, v11
	v_cmp_ne_u32_e32 vcc_lo, 0, v11
	s_delay_alu instid0(VALU_DEP_3) | instskip(NEXT) | instid1(VALU_DEP_1)
	v_min_u32_e32 v13, 32, v13
	v_sub_nc_u32_e64 v13, v13, 4 clamp
	s_delay_alu instid0(VALU_DEP_1) | instskip(NEXT) | instid1(VALU_DEP_1)
	v_dual_lshlrev_b32 v15, v13, v11 :: v_dual_lshlrev_b32 v13, 23, v13
	v_lshrrev_b32_e32 v15, 4, v15
	s_delay_alu instid0(VALU_DEP_1) | instskip(NEXT) | instid1(VALU_DEP_1)
	v_dual_sub_nc_u32 v13, v15, v13 :: v_dual_ashrrev_i32 v15, 8, v19
	v_add_nc_u32_e32 v13, 0x3c000000, v13
	s_delay_alu instid0(VALU_DEP_1) | instskip(NEXT) | instid1(VALU_DEP_1)
	v_and_or_b32 v13, 0x7f800000, v15, v13
	v_cndmask_b32_e32 v11, 0, v13, vcc_lo
	s_delay_alu instid0(VALU_DEP_1) | instskip(NEXT) | instid1(VALU_DEP_1)
	v_and_or_b32 v10, 0x80000000, v10, v11
	v_trunc_f32_e32 v10, v10
	s_delay_alu instid0(VALU_DEP_1) | instskip(NEXT) | instid1(VALU_DEP_1)
	v_mul_f32_e32 v11, 0x2f800000, v10
	v_floor_f32_e32 v11, v11
	s_delay_alu instid0(VALU_DEP_1) | instskip(SKIP_1) | instid1(VALU_DEP_2)
	v_fmamk_f32 v10, v11, 0xcf800000, v10
	v_cvt_u32_f32_e32 v11, v11
	v_cvt_u32_f32_e32 v10, v10
.LBB363_2202:
	s_mov_b32 s18, 0
.LBB363_2203:
	s_delay_alu instid0(SALU_CYCLE_1)
	s_and_not1_b32 vcc_lo, exec_lo, s18
	s_cbranch_vccnz .LBB363_2205
; %bb.2204:
	s_wait_loadcnt 0x0
	global_load_u8 v10, v[16:17], off
	s_wait_loadcnt 0x0
	v_lshlrev_b32_e32 v11, 25, v10
	v_lshlrev_b16 v10, 8, v10
	s_delay_alu instid0(VALU_DEP_1) | instskip(SKIP_1) | instid1(VALU_DEP_2)
	v_and_or_b32 v15, 0x7f00, v10, 0.5
	v_bfe_i32 v10, v10, 0, 16
	v_add_f32_e32 v15, -0.5, v15
	v_lshrrev_b32_e32 v13, 4, v11
	v_cmp_gt_u32_e32 vcc_lo, 0x8000000, v11
	s_delay_alu instid0(VALU_DEP_2) | instskip(NEXT) | instid1(VALU_DEP_1)
	v_or_b32_e32 v13, 0x70000000, v13
	v_mul_f32_e32 v13, 0x7800000, v13
	s_delay_alu instid0(VALU_DEP_1) | instskip(NEXT) | instid1(VALU_DEP_1)
	v_cndmask_b32_e32 v11, v13, v15, vcc_lo
	v_and_or_b32 v10, 0x80000000, v10, v11
	s_delay_alu instid0(VALU_DEP_1) | instskip(NEXT) | instid1(VALU_DEP_1)
	v_trunc_f32_e32 v10, v10
	v_mul_f32_e32 v11, 0x2f800000, v10
	s_delay_alu instid0(VALU_DEP_1) | instskip(NEXT) | instid1(VALU_DEP_1)
	v_floor_f32_e32 v11, v11
	v_fmamk_f32 v10, v11, 0xcf800000, v10
	v_cvt_u32_f32_e32 v11, v11
	s_delay_alu instid0(VALU_DEP_2)
	v_cvt_u32_f32_e32 v10, v10
.LBB363_2205:
	s_mov_b32 s18, 0
	s_mov_b32 s19, -1
.LBB363_2206:
	s_and_not1_b32 vcc_lo, exec_lo, s18
	s_mov_b32 s18, 0
	s_cbranch_vccnz .LBB363_2217
; %bb.2207:
	s_cmp_gt_i32 s14, 14
	s_cbranch_scc0 .LBB363_2210
; %bb.2208:
	s_cmp_eq_u32 s14, 15
	s_cbranch_scc0 .LBB363_2213
; %bb.2209:
	s_wait_loadcnt 0x0
	global_load_u16 v10, v[16:17], off
	s_mov_b32 s17, 0
	s_mov_b32 s19, -1
	s_wait_loadcnt 0x0
	v_lshlrev_b32_e32 v10, 16, v10
	s_delay_alu instid0(VALU_DEP_1) | instskip(NEXT) | instid1(VALU_DEP_1)
	v_trunc_f32_e32 v10, v10
	v_mul_f32_e32 v11, 0x2f800000, v10
	s_delay_alu instid0(VALU_DEP_1) | instskip(NEXT) | instid1(VALU_DEP_1)
	v_floor_f32_e32 v11, v11
	v_fmamk_f32 v10, v11, 0xcf800000, v10
	v_cvt_u32_f32_e32 v11, v11
	s_delay_alu instid0(VALU_DEP_2)
	v_cvt_u32_f32_e32 v10, v10
	s_branch .LBB363_2215
.LBB363_2210:
	s_mov_b32 s18, -1
	s_branch .LBB363_2214
.LBB363_2211:
	s_and_not1_saveexec_b32 s18, s18
	s_cbranch_execz .LBB363_2192
.LBB363_2212:
	v_cmp_ne_u16_e32 vcc_lo, 0, v13
	s_and_not1_b32 s19, s19, exec_lo
	s_and_b32 s20, vcc_lo, exec_lo
	s_delay_alu instid0(SALU_CYCLE_1)
	s_or_b32 s19, s19, s20
	s_or_b32 exec_lo, exec_lo, s18
	v_mov_b64_e32 v[10:11], 0
	s_and_saveexec_b32 s18, s19
	s_cbranch_execnz .LBB363_2193
	s_branch .LBB363_2194
.LBB363_2213:
	s_mov_b32 s17, -1
.LBB363_2214:
                                        ; implicit-def: $vgpr10_vgpr11
.LBB363_2215:
	s_and_b32 vcc_lo, exec_lo, s18
	s_mov_b32 s18, 0
	s_cbranch_vccz .LBB363_2217
; %bb.2216:
	s_cmp_lg_u32 s14, 11
	s_mov_b32 s18, -1
	s_cselect_b32 s17, -1, 0
.LBB363_2217:
	s_delay_alu instid0(SALU_CYCLE_1)
	s_and_b32 vcc_lo, exec_lo, s17
	s_cbranch_vccnz .LBB363_2282
; %bb.2218:
	s_and_not1_b32 vcc_lo, exec_lo, s18
	s_cbranch_vccnz .LBB363_2220
.LBB363_2219:
	s_wait_loadcnt 0x0
	global_load_u8 v10, v[16:17], off
	s_mov_b32 s14, 0
	s_mov_b32 s19, -1
	v_mov_b32_e32 v11, s14
	s_wait_loadcnt 0x0
	v_cmp_ne_u16_e32 vcc_lo, 0, v10
	v_cndmask_b32_e64 v10, 0, 1, vcc_lo
.LBB363_2220:
	s_mov_b32 s14, 0
.LBB363_2221:
	s_delay_alu instid0(SALU_CYCLE_1)
	s_and_b32 vcc_lo, exec_lo, s14
	s_cbranch_vccz .LBB363_2270
; %bb.2222:
	s_and_b32 s14, 0xffff, s1
	s_delay_alu instid0(SALU_CYCLE_1)
	s_cmp_lt_i32 s14, 5
	s_cbranch_scc1 .LBB363_2227
; %bb.2223:
	s_cmp_lt_i32 s14, 8
	s_cbranch_scc1 .LBB363_2228
; %bb.2224:
	;; [unrolled: 3-line block ×3, first 2 shown]
	s_cmp_gt_i32 s14, 9
	s_cbranch_scc0 .LBB363_2230
; %bb.2226:
	s_wait_loadcnt 0x0
	global_load_b64 v[10:11], v[16:17], off
	s_mov_b32 s17, 0
	s_wait_loadcnt 0x0
	v_trunc_f64_e32 v[10:11], v[10:11]
	s_delay_alu instid0(VALU_DEP_1) | instskip(NEXT) | instid1(VALU_DEP_1)
	v_ldexp_f64 v[20:21], v[10:11], 0xffffffe0
	v_floor_f64_e32 v[20:21], v[20:21]
	s_delay_alu instid0(VALU_DEP_1) | instskip(SKIP_1) | instid1(VALU_DEP_2)
	v_fmamk_f64 v[22:23], v[20:21], 0xc1f00000, v[10:11]
	v_cvt_u32_f64_e32 v11, v[20:21]
	v_cvt_u32_f64_e32 v10, v[22:23]
	s_branch .LBB363_2231
.LBB363_2227:
	s_mov_b32 s17, -1
                                        ; implicit-def: $vgpr10_vgpr11
	s_branch .LBB363_2249
.LBB363_2228:
	s_mov_b32 s17, -1
                                        ; implicit-def: $vgpr10_vgpr11
	s_branch .LBB363_2237
.LBB363_2229:
	s_mov_b32 s17, -1
                                        ; implicit-def: $vgpr10_vgpr11
	s_branch .LBB363_2234
.LBB363_2230:
	s_mov_b32 s17, -1
                                        ; implicit-def: $vgpr10_vgpr11
.LBB363_2231:
	s_delay_alu instid0(SALU_CYCLE_1)
	s_and_not1_b32 vcc_lo, exec_lo, s17
	s_cbranch_vccnz .LBB363_2233
; %bb.2232:
	s_wait_loadcnt 0x0
	global_load_b32 v10, v[16:17], off
	s_wait_loadcnt 0x0
	v_trunc_f32_e32 v10, v10
	s_delay_alu instid0(VALU_DEP_1) | instskip(NEXT) | instid1(VALU_DEP_1)
	v_mul_f32_e32 v11, 0x2f800000, v10
	v_floor_f32_e32 v11, v11
	s_delay_alu instid0(VALU_DEP_1) | instskip(SKIP_1) | instid1(VALU_DEP_2)
	v_fmamk_f32 v10, v11, 0xcf800000, v10
	v_cvt_u32_f32_e32 v11, v11
	v_cvt_u32_f32_e32 v10, v10
.LBB363_2233:
	s_mov_b32 s17, 0
.LBB363_2234:
	s_delay_alu instid0(SALU_CYCLE_1)
	s_and_not1_b32 vcc_lo, exec_lo, s17
	s_cbranch_vccnz .LBB363_2236
; %bb.2235:
	s_wait_loadcnt 0x0
	global_load_b32 v10, v[16:17], off
	v_mov_b32_e32 v11, 0
	s_wait_loadcnt 0x0
	v_cvt_f32_f16_e32 v10, v10
	s_delay_alu instid0(VALU_DEP_1)
	v_cvt_u32_f32_e32 v10, v10
.LBB363_2236:
	s_mov_b32 s17, 0
.LBB363_2237:
	s_delay_alu instid0(SALU_CYCLE_1)
	s_and_not1_b32 vcc_lo, exec_lo, s17
	s_cbranch_vccnz .LBB363_2248
; %bb.2238:
	s_cmp_lt_i32 s14, 6
	s_cbranch_scc1 .LBB363_2241
; %bb.2239:
	s_cmp_gt_i32 s14, 6
	s_cbranch_scc0 .LBB363_2242
; %bb.2240:
	s_wait_loadcnt 0x0
	global_load_b64 v[10:11], v[16:17], off
	s_mov_b32 s17, 0
	s_wait_loadcnt 0x0
	v_trunc_f64_e32 v[10:11], v[10:11]
	s_delay_alu instid0(VALU_DEP_1) | instskip(NEXT) | instid1(VALU_DEP_1)
	v_ldexp_f64 v[20:21], v[10:11], 0xffffffe0
	v_floor_f64_e32 v[20:21], v[20:21]
	s_delay_alu instid0(VALU_DEP_1) | instskip(SKIP_1) | instid1(VALU_DEP_2)
	v_fmamk_f64 v[22:23], v[20:21], 0xc1f00000, v[10:11]
	v_cvt_u32_f64_e32 v11, v[20:21]
	v_cvt_u32_f64_e32 v10, v[22:23]
	s_branch .LBB363_2243
.LBB363_2241:
	s_mov_b32 s17, -1
                                        ; implicit-def: $vgpr10_vgpr11
	s_branch .LBB363_2246
.LBB363_2242:
	s_mov_b32 s17, -1
                                        ; implicit-def: $vgpr10_vgpr11
.LBB363_2243:
	s_delay_alu instid0(SALU_CYCLE_1)
	s_and_not1_b32 vcc_lo, exec_lo, s17
	s_cbranch_vccnz .LBB363_2245
; %bb.2244:
	s_wait_loadcnt 0x0
	global_load_b32 v10, v[16:17], off
	s_wait_loadcnt 0x0
	v_trunc_f32_e32 v10, v10
	s_delay_alu instid0(VALU_DEP_1) | instskip(NEXT) | instid1(VALU_DEP_1)
	v_mul_f32_e32 v11, 0x2f800000, v10
	v_floor_f32_e32 v11, v11
	s_delay_alu instid0(VALU_DEP_1) | instskip(SKIP_1) | instid1(VALU_DEP_2)
	v_fmamk_f32 v10, v11, 0xcf800000, v10
	v_cvt_u32_f32_e32 v11, v11
	v_cvt_u32_f32_e32 v10, v10
.LBB363_2245:
	s_mov_b32 s17, 0
.LBB363_2246:
	s_delay_alu instid0(SALU_CYCLE_1)
	s_and_not1_b32 vcc_lo, exec_lo, s17
	s_cbranch_vccnz .LBB363_2248
; %bb.2247:
	s_wait_loadcnt 0x0
	global_load_u16 v10, v[16:17], off
	v_mov_b32_e32 v11, 0
	s_wait_loadcnt 0x0
	v_cvt_f32_f16_e32 v10, v10
	s_delay_alu instid0(VALU_DEP_1)
	v_cvt_u32_f32_e32 v10, v10
.LBB363_2248:
	s_mov_b32 s17, 0
.LBB363_2249:
	s_delay_alu instid0(SALU_CYCLE_1)
	s_and_not1_b32 vcc_lo, exec_lo, s17
	s_cbranch_vccnz .LBB363_2269
; %bb.2250:
	s_cmp_lt_i32 s14, 2
	s_cbranch_scc1 .LBB363_2254
; %bb.2251:
	s_cmp_lt_i32 s14, 3
	s_cbranch_scc1 .LBB363_2255
; %bb.2252:
	s_cmp_gt_i32 s14, 3
	s_cbranch_scc0 .LBB363_2256
; %bb.2253:
	s_wait_loadcnt 0x0
	global_load_b64 v[10:11], v[16:17], off
	s_mov_b32 s17, 0
	s_branch .LBB363_2257
.LBB363_2254:
	s_mov_b32 s17, -1
                                        ; implicit-def: $vgpr10_vgpr11
	s_branch .LBB363_2263
.LBB363_2255:
	s_mov_b32 s17, -1
                                        ; implicit-def: $vgpr10_vgpr11
	s_branch .LBB363_2260
.LBB363_2256:
	s_mov_b32 s17, -1
                                        ; implicit-def: $vgpr10_vgpr11
.LBB363_2257:
	s_delay_alu instid0(SALU_CYCLE_1)
	s_and_not1_b32 vcc_lo, exec_lo, s17
	s_cbranch_vccnz .LBB363_2259
; %bb.2258:
	s_wait_loadcnt 0x0
	global_load_b32 v10, v[16:17], off
	s_wait_loadcnt 0x0
	v_ashrrev_i32_e32 v11, 31, v10
.LBB363_2259:
	s_mov_b32 s17, 0
.LBB363_2260:
	s_delay_alu instid0(SALU_CYCLE_1)
	s_and_not1_b32 vcc_lo, exec_lo, s17
	s_cbranch_vccnz .LBB363_2262
; %bb.2261:
	s_wait_loadcnt 0x0
	global_load_u16 v10, v[16:17], off
	s_wait_loadcnt 0x0
	v_bfe_i32 v10, v10, 0, 16
	s_delay_alu instid0(VALU_DEP_1)
	v_ashrrev_i32_e32 v11, 31, v10
.LBB363_2262:
	s_mov_b32 s17, 0
.LBB363_2263:
	s_delay_alu instid0(SALU_CYCLE_1)
	s_and_not1_b32 vcc_lo, exec_lo, s17
	s_cbranch_vccnz .LBB363_2269
; %bb.2264:
	s_cmp_gt_i32 s14, 0
	s_mov_b32 s14, 0
	s_cbranch_scc0 .LBB363_2266
; %bb.2265:
	s_wait_loadcnt 0x0
	global_load_i8 v10, v[16:17], off
	s_wait_loadcnt 0x0
	v_bfe_i32 v10, v10, 0, 16
	s_delay_alu instid0(VALU_DEP_1)
	v_ashrrev_i32_e32 v11, 31, v10
	s_branch .LBB363_2267
.LBB363_2266:
	s_mov_b32 s14, -1
                                        ; implicit-def: $vgpr10_vgpr11
.LBB363_2267:
	s_delay_alu instid0(SALU_CYCLE_1)
	s_and_not1_b32 vcc_lo, exec_lo, s14
	s_cbranch_vccnz .LBB363_2269
; %bb.2268:
	s_wait_loadcnt 0x0
	global_load_u8 v10, v[16:17], off
	s_mov_b32 s14, 0
	s_delay_alu instid0(SALU_CYCLE_1)
	v_mov_b32_e32 v11, s14
	s_wait_loadcnt 0x0
	v_and_b32_e32 v10, 0xffff, v10
.LBB363_2269:
	s_mov_b32 s19, -1
.LBB363_2270:
	s_delay_alu instid0(SALU_CYCLE_1)
	s_and_not1_b32 vcc_lo, exec_lo, s19
	s_cbranch_vccnz .LBB363_2957
; %bb.2271:
	v_add_nc_u32_e32 v12, s9, v12
	s_cmp_lt_i32 s0, 11
	s_delay_alu instid0(VALU_DEP_1) | instskip(SKIP_1) | instid1(VALU_DEP_1)
	v_ashrrev_i32_e32 v13, 31, v12
	s_wait_xcnt 0x0
	v_add_nc_u64_e32 v[16:17], s[6:7], v[12:13]
	s_cbranch_scc1 .LBB363_2278
; %bb.2272:
	s_and_b32 s6, 0xffff, s0
	s_mov_b32 s9, 0
	s_cmp_gt_i32 s6, 25
	s_cbranch_scc0 .LBB363_2279
; %bb.2273:
	s_cmp_gt_i32 s6, 28
	s_cbranch_scc0 .LBB363_2280
; %bb.2274:
	;; [unrolled: 3-line block ×4, first 2 shown]
	s_cmp_eq_u32 s6, 46
	s_mov_b32 s17, 0
	s_cbranch_scc0 .LBB363_2284
; %bb.2277:
	global_load_b32 v12, v[16:17], off
	s_mov_b32 s7, 0
	s_mov_b32 s14, -1
	s_wait_loadcnt 0x0
	v_lshlrev_b32_e32 v12, 16, v12
	s_delay_alu instid0(VALU_DEP_1) | instskip(NEXT) | instid1(VALU_DEP_1)
	v_trunc_f32_e32 v12, v12
	v_mul_f32_e32 v13, 0x2f800000, v12
	s_delay_alu instid0(VALU_DEP_1) | instskip(NEXT) | instid1(VALU_DEP_1)
	v_floor_f32_e32 v13, v13
	v_fmamk_f32 v12, v13, 0xcf800000, v12
	v_cvt_u32_f32_e32 v13, v13
	s_delay_alu instid0(VALU_DEP_2)
	v_cvt_u32_f32_e32 v12, v12
	s_branch .LBB363_2286
.LBB363_2278:
	s_mov_b32 s6, -1
	s_mov_b32 s14, 0
                                        ; implicit-def: $vgpr12_vgpr13
	s_branch .LBB363_2348
.LBB363_2279:
	s_mov_b32 s17, -1
	s_mov_b32 s14, 0
	s_mov_b32 s7, 0
                                        ; implicit-def: $vgpr12_vgpr13
	s_branch .LBB363_2313
.LBB363_2280:
	s_mov_b32 s17, -1
	s_mov_b32 s14, 0
	s_mov_b32 s7, 0
                                        ; implicit-def: $vgpr12_vgpr13
	s_branch .LBB363_2296
.LBB363_2281:
	s_mov_b32 s17, -1
	s_mov_b32 s14, 0
	s_mov_b32 s7, 0
                                        ; implicit-def: $vgpr12_vgpr13
	s_branch .LBB363_2291
.LBB363_2282:
	s_or_b32 s13, s13, exec_lo
	s_trap 2
	s_cbranch_execz .LBB363_2219
	s_branch .LBB363_2220
.LBB363_2283:
	s_mov_b32 s17, -1
	s_mov_b32 s14, 0
	s_mov_b32 s7, 0
	s_branch .LBB363_2285
.LBB363_2284:
	s_mov_b32 s7, -1
	s_mov_b32 s14, 0
.LBB363_2285:
                                        ; implicit-def: $vgpr12_vgpr13
.LBB363_2286:
	s_and_b32 vcc_lo, exec_lo, s17
	s_cbranch_vccz .LBB363_2290
; %bb.2287:
	s_cmp_eq_u32 s6, 44
	s_cbranch_scc0 .LBB363_2289
; %bb.2288:
	global_load_u8 v12, v[16:17], off
	s_mov_b32 s7, 0
	s_mov_b32 s14, -1
	s_wait_loadcnt 0x0
	v_cmp_ne_u32_e32 vcc_lo, 0, v12
	v_lshlrev_b32_e32 v13, 23, v12
	s_delay_alu instid0(VALU_DEP_1) | instskip(NEXT) | instid1(VALU_DEP_1)
	v_trunc_f32_e32 v13, v13
	v_mul_f32_e32 v15, 0x2f800000, v13
	s_delay_alu instid0(VALU_DEP_1) | instskip(NEXT) | instid1(VALU_DEP_1)
	v_floor_f32_e32 v15, v15
	v_fmamk_f32 v13, v15, 0xcf800000, v13
	v_cvt_u32_f32_e32 v15, v15
	s_delay_alu instid0(VALU_DEP_2) | instskip(NEXT) | instid1(VALU_DEP_2)
	v_cvt_u32_f32_e32 v19, v13
	v_cndmask_b32_e32 v13, 0, v15, vcc_lo
	s_delay_alu instid0(VALU_DEP_2)
	v_cndmask_b32_e32 v12, 0, v19, vcc_lo
	s_branch .LBB363_2290
.LBB363_2289:
	s_mov_b32 s7, -1
                                        ; implicit-def: $vgpr12_vgpr13
.LBB363_2290:
	s_mov_b32 s17, 0
.LBB363_2291:
	s_delay_alu instid0(SALU_CYCLE_1)
	s_and_b32 vcc_lo, exec_lo, s17
	s_cbranch_vccz .LBB363_2295
; %bb.2292:
	s_cmp_eq_u32 s6, 29
	s_cbranch_scc0 .LBB363_2294
; %bb.2293:
	global_load_b64 v[12:13], v[16:17], off
	s_mov_b32 s7, 0
	s_mov_b32 s14, -1
	s_branch .LBB363_2295
.LBB363_2294:
	s_mov_b32 s7, -1
                                        ; implicit-def: $vgpr12_vgpr13
.LBB363_2295:
	s_mov_b32 s17, 0
.LBB363_2296:
	s_delay_alu instid0(SALU_CYCLE_1)
	s_and_b32 vcc_lo, exec_lo, s17
	s_cbranch_vccz .LBB363_2312
; %bb.2297:
	s_cmp_lt_i32 s6, 27
	s_cbranch_scc1 .LBB363_2300
; %bb.2298:
	s_cmp_gt_i32 s6, 27
	s_cbranch_scc0 .LBB363_2301
; %bb.2299:
	s_wait_loadcnt 0x0
	global_load_b32 v12, v[16:17], off
	v_mov_b32_e32 v13, 0
	s_mov_b32 s14, 0
	s_branch .LBB363_2302
.LBB363_2300:
	s_mov_b32 s14, -1
                                        ; implicit-def: $vgpr12_vgpr13
	s_branch .LBB363_2305
.LBB363_2301:
	s_mov_b32 s14, -1
                                        ; implicit-def: $vgpr12_vgpr13
.LBB363_2302:
	s_delay_alu instid0(SALU_CYCLE_1)
	s_and_not1_b32 vcc_lo, exec_lo, s14
	s_cbranch_vccnz .LBB363_2304
; %bb.2303:
	s_wait_loadcnt 0x0
	global_load_u16 v12, v[16:17], off
	s_mov_b32 s14, 0
	s_delay_alu instid0(SALU_CYCLE_1)
	v_mov_b32_e32 v13, s14
	s_wait_loadcnt 0x0
	v_and_b32_e32 v12, 0xffff, v12
.LBB363_2304:
	s_mov_b32 s14, 0
.LBB363_2305:
	s_delay_alu instid0(SALU_CYCLE_1)
	s_and_not1_b32 vcc_lo, exec_lo, s14
	s_cbranch_vccnz .LBB363_2311
; %bb.2306:
	global_load_u8 v15, v[16:17], off
	s_mov_b32 s17, 0
	s_mov_b32 s14, exec_lo
	s_wait_loadcnt 0x0
	v_cmpx_lt_i16_e32 0x7f, v15
	s_xor_b32 s14, exec_lo, s14
	s_cbranch_execz .LBB363_2323
; %bb.2307:
	v_cmp_ne_u16_e32 vcc_lo, 0x80, v15
	s_and_b32 s17, vcc_lo, exec_lo
	s_and_not1_saveexec_b32 s14, s14
	s_cbranch_execnz .LBB363_2324
.LBB363_2308:
	s_or_b32 exec_lo, exec_lo, s14
	v_mov_b64_e32 v[12:13], 0
	s_and_saveexec_b32 s14, s17
	s_cbranch_execz .LBB363_2310
.LBB363_2309:
	v_and_b32_e32 v12, 0xffff, v15
	s_delay_alu instid0(VALU_DEP_1) | instskip(SKIP_1) | instid1(VALU_DEP_2)
	v_and_b32_e32 v13, 7, v12
	v_bfe_u32 v21, v12, 3, 4
	v_clz_i32_u32_e32 v19, v13
	s_delay_alu instid0(VALU_DEP_2) | instskip(NEXT) | instid1(VALU_DEP_2)
	v_cmp_eq_u32_e32 vcc_lo, 0, v21
	v_min_u32_e32 v19, 32, v19
	s_delay_alu instid0(VALU_DEP_1) | instskip(NEXT) | instid1(VALU_DEP_1)
	v_subrev_nc_u32_e32 v20, 28, v19
	v_dual_lshlrev_b32 v12, v20, v12 :: v_dual_sub_nc_u32 v19, 29, v19
	s_delay_alu instid0(VALU_DEP_1) | instskip(NEXT) | instid1(VALU_DEP_1)
	v_dual_lshlrev_b32 v15, 24, v15 :: v_dual_bitop2_b32 v12, 7, v12 bitop3:0x40
	v_cndmask_b32_e32 v12, v13, v12, vcc_lo
	s_delay_alu instid0(VALU_DEP_3) | instskip(NEXT) | instid1(VALU_DEP_3)
	v_cndmask_b32_e32 v19, v21, v19, vcc_lo
	v_and_b32_e32 v13, 0x80000000, v15
	s_delay_alu instid0(VALU_DEP_3) | instskip(NEXT) | instid1(VALU_DEP_3)
	v_lshlrev_b32_e32 v12, 20, v12
	v_lshl_add_u32 v15, v19, 23, 0x3b800000
	s_delay_alu instid0(VALU_DEP_1) | instskip(NEXT) | instid1(VALU_DEP_1)
	v_or3_b32 v12, v13, v15, v12
	v_trunc_f32_e32 v12, v12
	s_delay_alu instid0(VALU_DEP_1) | instskip(NEXT) | instid1(VALU_DEP_1)
	v_mul_f32_e32 v13, 0x2f800000, v12
	v_floor_f32_e32 v13, v13
	s_delay_alu instid0(VALU_DEP_1) | instskip(SKIP_1) | instid1(VALU_DEP_2)
	v_fmamk_f32 v12, v13, 0xcf800000, v12
	v_cvt_u32_f32_e32 v13, v13
	v_cvt_u32_f32_e32 v12, v12
.LBB363_2310:
	s_or_b32 exec_lo, exec_lo, s14
.LBB363_2311:
	s_mov_b32 s14, -1
.LBB363_2312:
	s_mov_b32 s17, 0
.LBB363_2313:
	s_delay_alu instid0(SALU_CYCLE_1)
	s_and_b32 vcc_lo, exec_lo, s17
	s_cbranch_vccz .LBB363_2344
; %bb.2314:
	s_cmp_gt_i32 s6, 22
	s_cbranch_scc0 .LBB363_2322
; %bb.2315:
	s_cmp_lt_i32 s6, 24
	s_cbranch_scc1 .LBB363_2325
; %bb.2316:
	s_cmp_gt_i32 s6, 24
	s_cbranch_scc0 .LBB363_2326
; %bb.2317:
	global_load_u8 v15, v[16:17], off
	s_mov_b32 s14, 0
	s_mov_b32 s9, exec_lo
	s_wait_loadcnt 0x0
	v_cmpx_lt_i16_e32 0x7f, v15
	s_xor_b32 s9, exec_lo, s9
	s_cbranch_execz .LBB363_2338
; %bb.2318:
	v_cmp_ne_u16_e32 vcc_lo, 0x80, v15
	s_and_b32 s14, vcc_lo, exec_lo
	s_and_not1_saveexec_b32 s9, s9
	s_cbranch_execnz .LBB363_2339
.LBB363_2319:
	s_or_b32 exec_lo, exec_lo, s9
	v_mov_b64_e32 v[12:13], 0
	s_and_saveexec_b32 s9, s14
	s_cbranch_execz .LBB363_2321
.LBB363_2320:
	v_and_b32_e32 v12, 0xffff, v15
	s_delay_alu instid0(VALU_DEP_1) | instskip(SKIP_1) | instid1(VALU_DEP_2)
	v_and_b32_e32 v13, 3, v12
	v_bfe_u32 v21, v12, 2, 5
	v_clz_i32_u32_e32 v19, v13
	s_delay_alu instid0(VALU_DEP_2) | instskip(NEXT) | instid1(VALU_DEP_2)
	v_cmp_eq_u32_e32 vcc_lo, 0, v21
	v_min_u32_e32 v19, 32, v19
	s_delay_alu instid0(VALU_DEP_1) | instskip(NEXT) | instid1(VALU_DEP_1)
	v_subrev_nc_u32_e32 v20, 29, v19
	v_dual_lshlrev_b32 v12, v20, v12 :: v_dual_sub_nc_u32 v19, 30, v19
	s_delay_alu instid0(VALU_DEP_1) | instskip(NEXT) | instid1(VALU_DEP_1)
	v_dual_lshlrev_b32 v15, 24, v15 :: v_dual_bitop2_b32 v12, 3, v12 bitop3:0x40
	v_cndmask_b32_e32 v12, v13, v12, vcc_lo
	s_delay_alu instid0(VALU_DEP_3) | instskip(NEXT) | instid1(VALU_DEP_3)
	v_cndmask_b32_e32 v19, v21, v19, vcc_lo
	v_and_b32_e32 v13, 0x80000000, v15
	s_delay_alu instid0(VALU_DEP_3) | instskip(NEXT) | instid1(VALU_DEP_3)
	v_lshlrev_b32_e32 v12, 21, v12
	v_lshl_add_u32 v15, v19, 23, 0x37800000
	s_delay_alu instid0(VALU_DEP_1) | instskip(NEXT) | instid1(VALU_DEP_1)
	v_or3_b32 v12, v13, v15, v12
	v_trunc_f32_e32 v12, v12
	s_delay_alu instid0(VALU_DEP_1) | instskip(NEXT) | instid1(VALU_DEP_1)
	v_mul_f32_e32 v13, 0x2f800000, v12
	v_floor_f32_e32 v13, v13
	s_delay_alu instid0(VALU_DEP_1) | instskip(SKIP_1) | instid1(VALU_DEP_2)
	v_fmamk_f32 v12, v13, 0xcf800000, v12
	v_cvt_u32_f32_e32 v13, v13
	v_cvt_u32_f32_e32 v12, v12
.LBB363_2321:
	s_or_b32 exec_lo, exec_lo, s9
	s_mov_b32 s9, 0
	s_branch .LBB363_2327
.LBB363_2322:
	s_mov_b32 s9, -1
                                        ; implicit-def: $vgpr12_vgpr13
	s_branch .LBB363_2333
.LBB363_2323:
	s_and_not1_saveexec_b32 s14, s14
	s_cbranch_execz .LBB363_2308
.LBB363_2324:
	v_cmp_ne_u16_e32 vcc_lo, 0, v15
	s_and_not1_b32 s17, s17, exec_lo
	s_and_b32 s18, vcc_lo, exec_lo
	s_delay_alu instid0(SALU_CYCLE_1)
	s_or_b32 s17, s17, s18
	s_or_b32 exec_lo, exec_lo, s14
	v_mov_b64_e32 v[12:13], 0
	s_and_saveexec_b32 s14, s17
	s_cbranch_execnz .LBB363_2309
	s_branch .LBB363_2310
.LBB363_2325:
	s_mov_b32 s9, -1
                                        ; implicit-def: $vgpr12_vgpr13
	s_branch .LBB363_2330
.LBB363_2326:
	s_mov_b32 s9, -1
                                        ; implicit-def: $vgpr12_vgpr13
.LBB363_2327:
	s_delay_alu instid0(SALU_CYCLE_1)
	s_and_b32 vcc_lo, exec_lo, s9
	s_cbranch_vccz .LBB363_2329
; %bb.2328:
	s_wait_loadcnt 0x0
	global_load_u8 v12, v[16:17], off
	s_wait_loadcnt 0x0
	v_lshlrev_b32_e32 v12, 24, v12
	s_delay_alu instid0(VALU_DEP_1) | instskip(NEXT) | instid1(VALU_DEP_1)
	v_and_b32_e32 v13, 0x7f000000, v12
	v_clz_i32_u32_e32 v15, v13
	v_cmp_ne_u32_e32 vcc_lo, 0, v13
	v_add_nc_u32_e32 v20, 0x1000000, v13
	s_delay_alu instid0(VALU_DEP_3) | instskip(NEXT) | instid1(VALU_DEP_1)
	v_min_u32_e32 v15, 32, v15
	v_sub_nc_u32_e64 v15, v15, 4 clamp
	s_delay_alu instid0(VALU_DEP_1) | instskip(NEXT) | instid1(VALU_DEP_1)
	v_dual_lshlrev_b32 v19, v15, v13 :: v_dual_lshlrev_b32 v15, 23, v15
	v_lshrrev_b32_e32 v19, 4, v19
	s_delay_alu instid0(VALU_DEP_1) | instskip(NEXT) | instid1(VALU_DEP_1)
	v_dual_sub_nc_u32 v15, v19, v15 :: v_dual_ashrrev_i32 v19, 8, v20
	v_add_nc_u32_e32 v15, 0x3c000000, v15
	s_delay_alu instid0(VALU_DEP_1) | instskip(NEXT) | instid1(VALU_DEP_1)
	v_and_or_b32 v15, 0x7f800000, v19, v15
	v_cndmask_b32_e32 v13, 0, v15, vcc_lo
	s_delay_alu instid0(VALU_DEP_1) | instskip(NEXT) | instid1(VALU_DEP_1)
	v_and_or_b32 v12, 0x80000000, v12, v13
	v_trunc_f32_e32 v12, v12
	s_delay_alu instid0(VALU_DEP_1) | instskip(NEXT) | instid1(VALU_DEP_1)
	v_mul_f32_e32 v13, 0x2f800000, v12
	v_floor_f32_e32 v13, v13
	s_delay_alu instid0(VALU_DEP_1) | instskip(SKIP_1) | instid1(VALU_DEP_2)
	v_fmamk_f32 v12, v13, 0xcf800000, v12
	v_cvt_u32_f32_e32 v13, v13
	v_cvt_u32_f32_e32 v12, v12
.LBB363_2329:
	s_mov_b32 s9, 0
.LBB363_2330:
	s_delay_alu instid0(SALU_CYCLE_1)
	s_and_not1_b32 vcc_lo, exec_lo, s9
	s_cbranch_vccnz .LBB363_2332
; %bb.2331:
	s_wait_loadcnt 0x0
	global_load_u8 v12, v[16:17], off
	s_wait_loadcnt 0x0
	v_lshlrev_b32_e32 v13, 25, v12
	v_lshlrev_b16 v12, 8, v12
	s_delay_alu instid0(VALU_DEP_1) | instskip(SKIP_1) | instid1(VALU_DEP_2)
	v_and_or_b32 v19, 0x7f00, v12, 0.5
	v_bfe_i32 v12, v12, 0, 16
	v_dual_add_f32 v19, -0.5, v19 :: v_dual_lshrrev_b32 v15, 4, v13
	v_cmp_gt_u32_e32 vcc_lo, 0x8000000, v13
	s_delay_alu instid0(VALU_DEP_2) | instskip(NEXT) | instid1(VALU_DEP_1)
	v_or_b32_e32 v15, 0x70000000, v15
	v_mul_f32_e32 v15, 0x7800000, v15
	s_delay_alu instid0(VALU_DEP_1) | instskip(NEXT) | instid1(VALU_DEP_1)
	v_cndmask_b32_e32 v13, v15, v19, vcc_lo
	v_and_or_b32 v12, 0x80000000, v12, v13
	s_delay_alu instid0(VALU_DEP_1) | instskip(NEXT) | instid1(VALU_DEP_1)
	v_trunc_f32_e32 v12, v12
	v_mul_f32_e32 v13, 0x2f800000, v12
	s_delay_alu instid0(VALU_DEP_1) | instskip(NEXT) | instid1(VALU_DEP_1)
	v_floor_f32_e32 v13, v13
	v_fmamk_f32 v12, v13, 0xcf800000, v12
	v_cvt_u32_f32_e32 v13, v13
	s_delay_alu instid0(VALU_DEP_2)
	v_cvt_u32_f32_e32 v12, v12
.LBB363_2332:
	s_mov_b32 s9, 0
	s_mov_b32 s14, -1
.LBB363_2333:
	s_and_not1_b32 vcc_lo, exec_lo, s9
	s_mov_b32 s9, 0
	s_cbranch_vccnz .LBB363_2344
; %bb.2334:
	s_cmp_gt_i32 s6, 14
	s_cbranch_scc0 .LBB363_2337
; %bb.2335:
	s_cmp_eq_u32 s6, 15
	s_cbranch_scc0 .LBB363_2340
; %bb.2336:
	s_wait_loadcnt 0x0
	global_load_u16 v12, v[16:17], off
	s_mov_b32 s7, 0
	s_mov_b32 s14, -1
	s_wait_loadcnt 0x0
	v_lshlrev_b32_e32 v12, 16, v12
	s_delay_alu instid0(VALU_DEP_1) | instskip(NEXT) | instid1(VALU_DEP_1)
	v_trunc_f32_e32 v12, v12
	v_mul_f32_e32 v13, 0x2f800000, v12
	s_delay_alu instid0(VALU_DEP_1) | instskip(NEXT) | instid1(VALU_DEP_1)
	v_floor_f32_e32 v13, v13
	v_fmamk_f32 v12, v13, 0xcf800000, v12
	v_cvt_u32_f32_e32 v13, v13
	s_delay_alu instid0(VALU_DEP_2)
	v_cvt_u32_f32_e32 v12, v12
	s_branch .LBB363_2342
.LBB363_2337:
	s_mov_b32 s9, -1
	s_branch .LBB363_2341
.LBB363_2338:
	s_and_not1_saveexec_b32 s9, s9
	s_cbranch_execz .LBB363_2319
.LBB363_2339:
	v_cmp_ne_u16_e32 vcc_lo, 0, v15
	s_and_not1_b32 s14, s14, exec_lo
	s_and_b32 s17, vcc_lo, exec_lo
	s_delay_alu instid0(SALU_CYCLE_1)
	s_or_b32 s14, s14, s17
	s_or_b32 exec_lo, exec_lo, s9
	v_mov_b64_e32 v[12:13], 0
	s_and_saveexec_b32 s9, s14
	s_cbranch_execnz .LBB363_2320
	s_branch .LBB363_2321
.LBB363_2340:
	s_mov_b32 s7, -1
.LBB363_2341:
                                        ; implicit-def: $vgpr12_vgpr13
.LBB363_2342:
	s_and_b32 vcc_lo, exec_lo, s9
	s_mov_b32 s9, 0
	s_cbranch_vccz .LBB363_2344
; %bb.2343:
	s_cmp_lg_u32 s6, 11
	s_mov_b32 s9, -1
	s_cselect_b32 s7, -1, 0
.LBB363_2344:
	s_delay_alu instid0(SALU_CYCLE_1)
	s_and_b32 vcc_lo, exec_lo, s7
	s_cbranch_vccnz .LBB363_2409
; %bb.2345:
	s_and_not1_b32 vcc_lo, exec_lo, s9
	s_cbranch_vccnz .LBB363_2347
.LBB363_2346:
	s_wait_loadcnt 0x0
	global_load_u8 v12, v[16:17], off
	s_mov_b32 s6, 0
	s_mov_b32 s14, -1
	v_mov_b32_e32 v13, s6
	s_wait_loadcnt 0x0
	v_cmp_ne_u16_e32 vcc_lo, 0, v12
	v_cndmask_b32_e64 v12, 0, 1, vcc_lo
.LBB363_2347:
	s_mov_b32 s6, 0
.LBB363_2348:
	s_delay_alu instid0(SALU_CYCLE_1)
	s_and_b32 vcc_lo, exec_lo, s6
	s_cbranch_vccz .LBB363_2397
; %bb.2349:
	s_and_b32 s0, 0xffff, s0
	s_delay_alu instid0(SALU_CYCLE_1)
	s_cmp_lt_i32 s0, 5
	s_cbranch_scc1 .LBB363_2354
; %bb.2350:
	s_cmp_lt_i32 s0, 8
	s_cbranch_scc1 .LBB363_2355
; %bb.2351:
	;; [unrolled: 3-line block ×3, first 2 shown]
	s_cmp_gt_i32 s0, 9
	s_cbranch_scc0 .LBB363_2357
; %bb.2353:
	s_wait_loadcnt 0x0
	global_load_b64 v[12:13], v[16:17], off
	s_mov_b32 s6, 0
	s_wait_loadcnt 0x0
	v_trunc_f64_e32 v[12:13], v[12:13]
	s_delay_alu instid0(VALU_DEP_1) | instskip(NEXT) | instid1(VALU_DEP_1)
	v_ldexp_f64 v[20:21], v[12:13], 0xffffffe0
	v_floor_f64_e32 v[20:21], v[20:21]
	s_delay_alu instid0(VALU_DEP_1) | instskip(SKIP_1) | instid1(VALU_DEP_2)
	v_fmamk_f64 v[22:23], v[20:21], 0xc1f00000, v[12:13]
	v_cvt_u32_f64_e32 v13, v[20:21]
	v_cvt_u32_f64_e32 v12, v[22:23]
	s_branch .LBB363_2358
.LBB363_2354:
	s_mov_b32 s6, -1
                                        ; implicit-def: $vgpr12_vgpr13
	s_branch .LBB363_2376
.LBB363_2355:
	s_mov_b32 s6, -1
                                        ; implicit-def: $vgpr12_vgpr13
	s_branch .LBB363_2364
.LBB363_2356:
	s_mov_b32 s6, -1
                                        ; implicit-def: $vgpr12_vgpr13
	s_branch .LBB363_2361
.LBB363_2357:
	s_mov_b32 s6, -1
                                        ; implicit-def: $vgpr12_vgpr13
.LBB363_2358:
	s_delay_alu instid0(SALU_CYCLE_1)
	s_and_not1_b32 vcc_lo, exec_lo, s6
	s_cbranch_vccnz .LBB363_2360
; %bb.2359:
	s_wait_loadcnt 0x0
	global_load_b32 v12, v[16:17], off
	s_wait_loadcnt 0x0
	v_trunc_f32_e32 v12, v12
	s_delay_alu instid0(VALU_DEP_1) | instskip(NEXT) | instid1(VALU_DEP_1)
	v_mul_f32_e32 v13, 0x2f800000, v12
	v_floor_f32_e32 v13, v13
	s_delay_alu instid0(VALU_DEP_1) | instskip(SKIP_1) | instid1(VALU_DEP_2)
	v_fmamk_f32 v12, v13, 0xcf800000, v12
	v_cvt_u32_f32_e32 v13, v13
	v_cvt_u32_f32_e32 v12, v12
.LBB363_2360:
	s_mov_b32 s6, 0
.LBB363_2361:
	s_delay_alu instid0(SALU_CYCLE_1)
	s_and_not1_b32 vcc_lo, exec_lo, s6
	s_cbranch_vccnz .LBB363_2363
; %bb.2362:
	s_wait_loadcnt 0x0
	global_load_b32 v12, v[16:17], off
	v_mov_b32_e32 v13, 0
	s_wait_loadcnt 0x0
	v_cvt_f32_f16_e32 v12, v12
	s_delay_alu instid0(VALU_DEP_1)
	v_cvt_u32_f32_e32 v12, v12
.LBB363_2363:
	s_mov_b32 s6, 0
.LBB363_2364:
	s_delay_alu instid0(SALU_CYCLE_1)
	s_and_not1_b32 vcc_lo, exec_lo, s6
	s_cbranch_vccnz .LBB363_2375
; %bb.2365:
	s_cmp_lt_i32 s0, 6
	s_cbranch_scc1 .LBB363_2368
; %bb.2366:
	s_cmp_gt_i32 s0, 6
	s_cbranch_scc0 .LBB363_2369
; %bb.2367:
	s_wait_loadcnt 0x0
	global_load_b64 v[12:13], v[16:17], off
	s_mov_b32 s6, 0
	s_wait_loadcnt 0x0
	v_trunc_f64_e32 v[12:13], v[12:13]
	s_delay_alu instid0(VALU_DEP_1) | instskip(NEXT) | instid1(VALU_DEP_1)
	v_ldexp_f64 v[20:21], v[12:13], 0xffffffe0
	v_floor_f64_e32 v[20:21], v[20:21]
	s_delay_alu instid0(VALU_DEP_1) | instskip(SKIP_1) | instid1(VALU_DEP_2)
	v_fmamk_f64 v[22:23], v[20:21], 0xc1f00000, v[12:13]
	v_cvt_u32_f64_e32 v13, v[20:21]
	v_cvt_u32_f64_e32 v12, v[22:23]
	s_branch .LBB363_2370
.LBB363_2368:
	s_mov_b32 s6, -1
                                        ; implicit-def: $vgpr12_vgpr13
	s_branch .LBB363_2373
.LBB363_2369:
	s_mov_b32 s6, -1
                                        ; implicit-def: $vgpr12_vgpr13
.LBB363_2370:
	s_delay_alu instid0(SALU_CYCLE_1)
	s_and_not1_b32 vcc_lo, exec_lo, s6
	s_cbranch_vccnz .LBB363_2372
; %bb.2371:
	s_wait_loadcnt 0x0
	global_load_b32 v12, v[16:17], off
	s_wait_loadcnt 0x0
	v_trunc_f32_e32 v12, v12
	s_delay_alu instid0(VALU_DEP_1) | instskip(NEXT) | instid1(VALU_DEP_1)
	v_mul_f32_e32 v13, 0x2f800000, v12
	v_floor_f32_e32 v13, v13
	s_delay_alu instid0(VALU_DEP_1) | instskip(SKIP_1) | instid1(VALU_DEP_2)
	v_fmamk_f32 v12, v13, 0xcf800000, v12
	v_cvt_u32_f32_e32 v13, v13
	v_cvt_u32_f32_e32 v12, v12
.LBB363_2372:
	s_mov_b32 s6, 0
.LBB363_2373:
	s_delay_alu instid0(SALU_CYCLE_1)
	s_and_not1_b32 vcc_lo, exec_lo, s6
	s_cbranch_vccnz .LBB363_2375
; %bb.2374:
	s_wait_loadcnt 0x0
	global_load_u16 v12, v[16:17], off
	v_mov_b32_e32 v13, 0
	s_wait_loadcnt 0x0
	v_cvt_f32_f16_e32 v12, v12
	s_delay_alu instid0(VALU_DEP_1)
	v_cvt_u32_f32_e32 v12, v12
.LBB363_2375:
	s_mov_b32 s6, 0
.LBB363_2376:
	s_delay_alu instid0(SALU_CYCLE_1)
	s_and_not1_b32 vcc_lo, exec_lo, s6
	s_cbranch_vccnz .LBB363_2396
; %bb.2377:
	s_cmp_lt_i32 s0, 2
	s_cbranch_scc1 .LBB363_2381
; %bb.2378:
	s_cmp_lt_i32 s0, 3
	s_cbranch_scc1 .LBB363_2382
; %bb.2379:
	s_cmp_gt_i32 s0, 3
	s_cbranch_scc0 .LBB363_2383
; %bb.2380:
	s_wait_loadcnt 0x0
	global_load_b64 v[12:13], v[16:17], off
	s_mov_b32 s6, 0
	s_branch .LBB363_2384
.LBB363_2381:
	s_mov_b32 s6, -1
                                        ; implicit-def: $vgpr12_vgpr13
	s_branch .LBB363_2390
.LBB363_2382:
	s_mov_b32 s6, -1
                                        ; implicit-def: $vgpr12_vgpr13
	s_branch .LBB363_2387
.LBB363_2383:
	s_mov_b32 s6, -1
                                        ; implicit-def: $vgpr12_vgpr13
.LBB363_2384:
	s_delay_alu instid0(SALU_CYCLE_1)
	s_and_not1_b32 vcc_lo, exec_lo, s6
	s_cbranch_vccnz .LBB363_2386
; %bb.2385:
	s_wait_loadcnt 0x0
	global_load_b32 v12, v[16:17], off
	s_wait_loadcnt 0x0
	v_ashrrev_i32_e32 v13, 31, v12
.LBB363_2386:
	s_mov_b32 s6, 0
.LBB363_2387:
	s_delay_alu instid0(SALU_CYCLE_1)
	s_and_not1_b32 vcc_lo, exec_lo, s6
	s_cbranch_vccnz .LBB363_2389
; %bb.2388:
	s_wait_loadcnt 0x0
	global_load_u16 v12, v[16:17], off
	s_wait_loadcnt 0x0
	v_bfe_i32 v12, v12, 0, 16
	s_delay_alu instid0(VALU_DEP_1)
	v_ashrrev_i32_e32 v13, 31, v12
.LBB363_2389:
	s_mov_b32 s6, 0
.LBB363_2390:
	s_delay_alu instid0(SALU_CYCLE_1)
	s_and_not1_b32 vcc_lo, exec_lo, s6
	s_cbranch_vccnz .LBB363_2396
; %bb.2391:
	s_cmp_gt_i32 s0, 0
	s_mov_b32 s0, 0
	s_cbranch_scc0 .LBB363_2393
; %bb.2392:
	s_wait_loadcnt 0x0
	global_load_i8 v12, v[16:17], off
	s_wait_loadcnt 0x0
	v_bfe_i32 v12, v12, 0, 16
	s_delay_alu instid0(VALU_DEP_1)
	v_ashrrev_i32_e32 v13, 31, v12
	s_branch .LBB363_2394
.LBB363_2393:
	s_mov_b32 s0, -1
                                        ; implicit-def: $vgpr12_vgpr13
.LBB363_2394:
	s_delay_alu instid0(SALU_CYCLE_1)
	s_and_not1_b32 vcc_lo, exec_lo, s0
	s_cbranch_vccnz .LBB363_2396
; %bb.2395:
	s_wait_loadcnt 0x0
	global_load_u8 v12, v[16:17], off
	s_mov_b32 s0, 0
	s_delay_alu instid0(SALU_CYCLE_1)
	v_mov_b32_e32 v13, s0
	s_wait_loadcnt 0x0
	v_and_b32_e32 v12, 0xffff, v12
.LBB363_2396:
	s_mov_b32 s14, -1
.LBB363_2397:
	s_delay_alu instid0(SALU_CYCLE_1)
	s_and_not1_b32 vcc_lo, exec_lo, s14
	s_cbranch_vccnz .LBB363_2957
; %bb.2398:
	v_add_nc_u32_e32 v14, s10, v14
	s_cmp_lt_i32 s1, 11
	s_delay_alu instid0(VALU_DEP_1) | instskip(SKIP_1) | instid1(VALU_DEP_1)
	v_ashrrev_i32_e32 v15, 31, v14
	s_wait_xcnt 0x0
	v_add_nc_u64_e32 v[16:17], s[2:3], v[14:15]
	s_cbranch_scc1 .LBB363_2405
; %bb.2399:
	s_and_b32 s0, 0xffff, s1
	s_mov_b32 s3, 0
	s_cmp_gt_i32 s0, 25
	s_cbranch_scc0 .LBB363_2406
; %bb.2400:
	s_cmp_gt_i32 s0, 28
	s_cbranch_scc0 .LBB363_2407
; %bb.2401:
	;; [unrolled: 3-line block ×4, first 2 shown]
	s_cmp_eq_u32 s0, 46
	s_mov_b32 s7, 0
	s_cbranch_scc0 .LBB363_2411
; %bb.2404:
	global_load_b32 v14, v[16:17], off
	s_mov_b32 s2, 0
	s_mov_b32 s6, -1
	s_wait_loadcnt 0x0
	v_lshlrev_b32_e32 v14, 16, v14
	s_delay_alu instid0(VALU_DEP_1) | instskip(NEXT) | instid1(VALU_DEP_1)
	v_trunc_f32_e32 v14, v14
	v_mul_f32_e32 v15, 0x2f800000, v14
	s_delay_alu instid0(VALU_DEP_1) | instskip(NEXT) | instid1(VALU_DEP_1)
	v_floor_f32_e32 v15, v15
	v_fmamk_f32 v14, v15, 0xcf800000, v14
	v_cvt_u32_f32_e32 v15, v15
	s_delay_alu instid0(VALU_DEP_2)
	v_cvt_u32_f32_e32 v14, v14
	s_branch .LBB363_2413
.LBB363_2405:
	s_mov_b32 s0, -1
	s_mov_b32 s6, 0
                                        ; implicit-def: $vgpr14_vgpr15
	s_branch .LBB363_2475
.LBB363_2406:
	s_mov_b32 s7, -1
	s_mov_b32 s6, 0
	s_mov_b32 s2, 0
                                        ; implicit-def: $vgpr14_vgpr15
	s_branch .LBB363_2440
.LBB363_2407:
	s_mov_b32 s7, -1
	s_mov_b32 s6, 0
	s_mov_b32 s2, 0
                                        ; implicit-def: $vgpr14_vgpr15
	s_branch .LBB363_2423
.LBB363_2408:
	s_mov_b32 s7, -1
	s_mov_b32 s6, 0
	s_mov_b32 s2, 0
                                        ; implicit-def: $vgpr14_vgpr15
	s_branch .LBB363_2418
.LBB363_2409:
	s_or_b32 s13, s13, exec_lo
	s_trap 2
	s_cbranch_execz .LBB363_2346
	s_branch .LBB363_2347
.LBB363_2410:
	s_mov_b32 s7, -1
	s_mov_b32 s6, 0
	s_mov_b32 s2, 0
	s_branch .LBB363_2412
.LBB363_2411:
	s_mov_b32 s2, -1
	s_mov_b32 s6, 0
.LBB363_2412:
                                        ; implicit-def: $vgpr14_vgpr15
.LBB363_2413:
	s_and_b32 vcc_lo, exec_lo, s7
	s_cbranch_vccz .LBB363_2417
; %bb.2414:
	s_cmp_eq_u32 s0, 44
	s_cbranch_scc0 .LBB363_2416
; %bb.2415:
	global_load_u8 v14, v[16:17], off
	s_mov_b32 s2, 0
	s_mov_b32 s6, -1
	s_wait_loadcnt 0x0
	v_cmp_ne_u32_e32 vcc_lo, 0, v14
	v_lshlrev_b32_e32 v15, 23, v14
	s_delay_alu instid0(VALU_DEP_1) | instskip(NEXT) | instid1(VALU_DEP_1)
	v_trunc_f32_e32 v15, v15
	v_mul_f32_e32 v19, 0x2f800000, v15
	s_delay_alu instid0(VALU_DEP_1) | instskip(NEXT) | instid1(VALU_DEP_1)
	v_floor_f32_e32 v19, v19
	v_fmamk_f32 v15, v19, 0xcf800000, v15
	v_cvt_u32_f32_e32 v19, v19
	s_delay_alu instid0(VALU_DEP_2) | instskip(NEXT) | instid1(VALU_DEP_1)
	v_cvt_u32_f32_e32 v20, v15
	v_dual_cndmask_b32 v15, 0, v19 :: v_dual_cndmask_b32 v14, 0, v20
	s_branch .LBB363_2417
.LBB363_2416:
	s_mov_b32 s2, -1
                                        ; implicit-def: $vgpr14_vgpr15
.LBB363_2417:
	s_mov_b32 s7, 0
.LBB363_2418:
	s_delay_alu instid0(SALU_CYCLE_1)
	s_and_b32 vcc_lo, exec_lo, s7
	s_cbranch_vccz .LBB363_2422
; %bb.2419:
	s_cmp_eq_u32 s0, 29
	s_cbranch_scc0 .LBB363_2421
; %bb.2420:
	global_load_b64 v[14:15], v[16:17], off
	s_mov_b32 s2, 0
	s_mov_b32 s6, -1
	s_branch .LBB363_2422
.LBB363_2421:
	s_mov_b32 s2, -1
                                        ; implicit-def: $vgpr14_vgpr15
.LBB363_2422:
	s_mov_b32 s7, 0
.LBB363_2423:
	s_delay_alu instid0(SALU_CYCLE_1)
	s_and_b32 vcc_lo, exec_lo, s7
	s_cbranch_vccz .LBB363_2439
; %bb.2424:
	s_cmp_lt_i32 s0, 27
	s_cbranch_scc1 .LBB363_2427
; %bb.2425:
	s_cmp_gt_i32 s0, 27
	s_cbranch_scc0 .LBB363_2428
; %bb.2426:
	s_wait_loadcnt 0x0
	global_load_b32 v14, v[16:17], off
	v_mov_b32_e32 v15, 0
	s_mov_b32 s6, 0
	s_branch .LBB363_2429
.LBB363_2427:
	s_mov_b32 s6, -1
                                        ; implicit-def: $vgpr14_vgpr15
	s_branch .LBB363_2432
.LBB363_2428:
	s_mov_b32 s6, -1
                                        ; implicit-def: $vgpr14_vgpr15
.LBB363_2429:
	s_delay_alu instid0(SALU_CYCLE_1)
	s_and_not1_b32 vcc_lo, exec_lo, s6
	s_cbranch_vccnz .LBB363_2431
; %bb.2430:
	s_wait_loadcnt 0x0
	global_load_u16 v14, v[16:17], off
	s_mov_b32 s6, 0
	s_delay_alu instid0(SALU_CYCLE_1)
	v_mov_b32_e32 v15, s6
	s_wait_loadcnt 0x0
	v_and_b32_e32 v14, 0xffff, v14
.LBB363_2431:
	s_mov_b32 s6, 0
.LBB363_2432:
	s_delay_alu instid0(SALU_CYCLE_1)
	s_and_not1_b32 vcc_lo, exec_lo, s6
	s_cbranch_vccnz .LBB363_2438
; %bb.2433:
	global_load_u8 v19, v[16:17], off
	s_mov_b32 s7, 0
	s_mov_b32 s6, exec_lo
	s_wait_loadcnt 0x0
	v_cmpx_lt_i16_e32 0x7f, v19
	s_xor_b32 s6, exec_lo, s6
	s_cbranch_execz .LBB363_2450
; %bb.2434:
	v_cmp_ne_u16_e32 vcc_lo, 0x80, v19
	s_and_b32 s7, vcc_lo, exec_lo
	s_and_not1_saveexec_b32 s6, s6
	s_cbranch_execnz .LBB363_2451
.LBB363_2435:
	s_or_b32 exec_lo, exec_lo, s6
	v_mov_b64_e32 v[14:15], 0
	s_and_saveexec_b32 s6, s7
	s_cbranch_execz .LBB363_2437
.LBB363_2436:
	v_and_b32_e32 v14, 0xffff, v19
	s_delay_alu instid0(VALU_DEP_1) | instskip(SKIP_1) | instid1(VALU_DEP_2)
	v_and_b32_e32 v15, 7, v14
	v_bfe_u32 v22, v14, 3, 4
	v_clz_i32_u32_e32 v20, v15
	s_delay_alu instid0(VALU_DEP_2) | instskip(NEXT) | instid1(VALU_DEP_2)
	v_cmp_eq_u32_e32 vcc_lo, 0, v22
	v_min_u32_e32 v20, 32, v20
	s_delay_alu instid0(VALU_DEP_1) | instskip(NEXT) | instid1(VALU_DEP_1)
	v_subrev_nc_u32_e32 v21, 28, v20
	v_dual_lshlrev_b32 v14, v21, v14 :: v_dual_sub_nc_u32 v20, 29, v20
	s_delay_alu instid0(VALU_DEP_1) | instskip(NEXT) | instid1(VALU_DEP_1)
	v_dual_lshlrev_b32 v19, 24, v19 :: v_dual_bitop2_b32 v14, 7, v14 bitop3:0x40
	v_dual_cndmask_b32 v20, v22, v20, vcc_lo :: v_dual_cndmask_b32 v14, v15, v14, vcc_lo
	s_delay_alu instid0(VALU_DEP_2) | instskip(NEXT) | instid1(VALU_DEP_2)
	v_and_b32_e32 v15, 0x80000000, v19
	v_lshl_add_u32 v19, v20, 23, 0x3b800000
	s_delay_alu instid0(VALU_DEP_3) | instskip(NEXT) | instid1(VALU_DEP_1)
	v_lshlrev_b32_e32 v14, 20, v14
	v_or3_b32 v14, v15, v19, v14
	s_delay_alu instid0(VALU_DEP_1) | instskip(NEXT) | instid1(VALU_DEP_1)
	v_trunc_f32_e32 v14, v14
	v_mul_f32_e32 v15, 0x2f800000, v14
	s_delay_alu instid0(VALU_DEP_1) | instskip(NEXT) | instid1(VALU_DEP_1)
	v_floor_f32_e32 v15, v15
	v_fmamk_f32 v14, v15, 0xcf800000, v14
	v_cvt_u32_f32_e32 v15, v15
	s_delay_alu instid0(VALU_DEP_2)
	v_cvt_u32_f32_e32 v14, v14
.LBB363_2437:
	s_or_b32 exec_lo, exec_lo, s6
.LBB363_2438:
	s_mov_b32 s6, -1
.LBB363_2439:
	s_mov_b32 s7, 0
.LBB363_2440:
	s_delay_alu instid0(SALU_CYCLE_1)
	s_and_b32 vcc_lo, exec_lo, s7
	s_cbranch_vccz .LBB363_2471
; %bb.2441:
	s_cmp_gt_i32 s0, 22
	s_cbranch_scc0 .LBB363_2449
; %bb.2442:
	s_cmp_lt_i32 s0, 24
	s_cbranch_scc1 .LBB363_2452
; %bb.2443:
	s_cmp_gt_i32 s0, 24
	s_cbranch_scc0 .LBB363_2453
; %bb.2444:
	global_load_u8 v19, v[16:17], off
	s_mov_b32 s6, 0
	s_mov_b32 s3, exec_lo
	s_wait_loadcnt 0x0
	v_cmpx_lt_i16_e32 0x7f, v19
	s_xor_b32 s3, exec_lo, s3
	s_cbranch_execz .LBB363_2465
; %bb.2445:
	v_cmp_ne_u16_e32 vcc_lo, 0x80, v19
	s_and_b32 s6, vcc_lo, exec_lo
	s_and_not1_saveexec_b32 s3, s3
	s_cbranch_execnz .LBB363_2466
.LBB363_2446:
	s_or_b32 exec_lo, exec_lo, s3
	v_mov_b64_e32 v[14:15], 0
	s_and_saveexec_b32 s3, s6
	s_cbranch_execz .LBB363_2448
.LBB363_2447:
	v_and_b32_e32 v14, 0xffff, v19
	s_delay_alu instid0(VALU_DEP_1) | instskip(SKIP_1) | instid1(VALU_DEP_2)
	v_and_b32_e32 v15, 3, v14
	v_bfe_u32 v22, v14, 2, 5
	v_clz_i32_u32_e32 v20, v15
	s_delay_alu instid0(VALU_DEP_2) | instskip(NEXT) | instid1(VALU_DEP_2)
	v_cmp_eq_u32_e32 vcc_lo, 0, v22
	v_min_u32_e32 v20, 32, v20
	s_delay_alu instid0(VALU_DEP_1) | instskip(NEXT) | instid1(VALU_DEP_1)
	v_subrev_nc_u32_e32 v21, 29, v20
	v_dual_lshlrev_b32 v14, v21, v14 :: v_dual_sub_nc_u32 v20, 30, v20
	s_delay_alu instid0(VALU_DEP_1) | instskip(NEXT) | instid1(VALU_DEP_1)
	v_dual_lshlrev_b32 v19, 24, v19 :: v_dual_bitop2_b32 v14, 3, v14 bitop3:0x40
	v_dual_cndmask_b32 v20, v22, v20, vcc_lo :: v_dual_cndmask_b32 v14, v15, v14, vcc_lo
	s_delay_alu instid0(VALU_DEP_2) | instskip(NEXT) | instid1(VALU_DEP_2)
	v_and_b32_e32 v15, 0x80000000, v19
	v_lshl_add_u32 v19, v20, 23, 0x37800000
	s_delay_alu instid0(VALU_DEP_3) | instskip(NEXT) | instid1(VALU_DEP_1)
	v_lshlrev_b32_e32 v14, 21, v14
	v_or3_b32 v14, v15, v19, v14
	s_delay_alu instid0(VALU_DEP_1) | instskip(NEXT) | instid1(VALU_DEP_1)
	v_trunc_f32_e32 v14, v14
	v_mul_f32_e32 v15, 0x2f800000, v14
	s_delay_alu instid0(VALU_DEP_1) | instskip(NEXT) | instid1(VALU_DEP_1)
	v_floor_f32_e32 v15, v15
	v_fmamk_f32 v14, v15, 0xcf800000, v14
	v_cvt_u32_f32_e32 v15, v15
	s_delay_alu instid0(VALU_DEP_2)
	v_cvt_u32_f32_e32 v14, v14
.LBB363_2448:
	s_or_b32 exec_lo, exec_lo, s3
	s_mov_b32 s3, 0
	s_branch .LBB363_2454
.LBB363_2449:
	s_mov_b32 s3, -1
                                        ; implicit-def: $vgpr14_vgpr15
	s_branch .LBB363_2460
.LBB363_2450:
	s_and_not1_saveexec_b32 s6, s6
	s_cbranch_execz .LBB363_2435
.LBB363_2451:
	v_cmp_ne_u16_e32 vcc_lo, 0, v19
	s_and_not1_b32 s7, s7, exec_lo
	s_and_b32 s9, vcc_lo, exec_lo
	s_delay_alu instid0(SALU_CYCLE_1)
	s_or_b32 s7, s7, s9
	s_or_b32 exec_lo, exec_lo, s6
	v_mov_b64_e32 v[14:15], 0
	s_and_saveexec_b32 s6, s7
	s_cbranch_execnz .LBB363_2436
	s_branch .LBB363_2437
.LBB363_2452:
	s_mov_b32 s3, -1
                                        ; implicit-def: $vgpr14_vgpr15
	s_branch .LBB363_2457
.LBB363_2453:
	s_mov_b32 s3, -1
                                        ; implicit-def: $vgpr14_vgpr15
.LBB363_2454:
	s_delay_alu instid0(SALU_CYCLE_1)
	s_and_b32 vcc_lo, exec_lo, s3
	s_cbranch_vccz .LBB363_2456
; %bb.2455:
	s_wait_loadcnt 0x0
	global_load_u8 v14, v[16:17], off
	s_wait_loadcnt 0x0
	v_lshlrev_b32_e32 v14, 24, v14
	s_delay_alu instid0(VALU_DEP_1) | instskip(NEXT) | instid1(VALU_DEP_1)
	v_and_b32_e32 v15, 0x7f000000, v14
	v_clz_i32_u32_e32 v19, v15
	v_add_nc_u32_e32 v21, 0x1000000, v15
	v_cmp_ne_u32_e32 vcc_lo, 0, v15
	s_delay_alu instid0(VALU_DEP_3) | instskip(NEXT) | instid1(VALU_DEP_1)
	v_min_u32_e32 v19, 32, v19
	v_sub_nc_u32_e64 v19, v19, 4 clamp
	s_delay_alu instid0(VALU_DEP_1) | instskip(NEXT) | instid1(VALU_DEP_1)
	v_lshlrev_b32_e32 v20, v19, v15
	v_dual_lshlrev_b32 v19, 23, v19 :: v_dual_lshrrev_b32 v20, 4, v20
	s_delay_alu instid0(VALU_DEP_1) | instskip(NEXT) | instid1(VALU_DEP_1)
	v_dual_sub_nc_u32 v19, v20, v19 :: v_dual_ashrrev_i32 v20, 8, v21
	v_add_nc_u32_e32 v19, 0x3c000000, v19
	s_delay_alu instid0(VALU_DEP_1) | instskip(NEXT) | instid1(VALU_DEP_1)
	v_and_or_b32 v19, 0x7f800000, v20, v19
	v_cndmask_b32_e32 v15, 0, v19, vcc_lo
	s_delay_alu instid0(VALU_DEP_1) | instskip(NEXT) | instid1(VALU_DEP_1)
	v_and_or_b32 v14, 0x80000000, v14, v15
	v_trunc_f32_e32 v14, v14
	s_delay_alu instid0(VALU_DEP_1) | instskip(NEXT) | instid1(VALU_DEP_1)
	v_mul_f32_e32 v15, 0x2f800000, v14
	v_floor_f32_e32 v15, v15
	s_delay_alu instid0(VALU_DEP_1) | instskip(SKIP_1) | instid1(VALU_DEP_2)
	v_fmamk_f32 v14, v15, 0xcf800000, v14
	v_cvt_u32_f32_e32 v15, v15
	v_cvt_u32_f32_e32 v14, v14
.LBB363_2456:
	s_mov_b32 s3, 0
.LBB363_2457:
	s_delay_alu instid0(SALU_CYCLE_1)
	s_and_not1_b32 vcc_lo, exec_lo, s3
	s_cbranch_vccnz .LBB363_2459
; %bb.2458:
	s_wait_loadcnt 0x0
	global_load_u8 v14, v[16:17], off
	s_wait_loadcnt 0x0
	v_lshlrev_b32_e32 v15, 25, v14
	v_lshlrev_b16 v14, 8, v14
	s_delay_alu instid0(VALU_DEP_1) | instskip(SKIP_1) | instid1(VALU_DEP_2)
	v_and_or_b32 v20, 0x7f00, v14, 0.5
	v_bfe_i32 v14, v14, 0, 16
	v_dual_add_f32 v20, -0.5, v20 :: v_dual_lshrrev_b32 v19, 4, v15
	v_cmp_gt_u32_e32 vcc_lo, 0x8000000, v15
	s_delay_alu instid0(VALU_DEP_2) | instskip(NEXT) | instid1(VALU_DEP_1)
	v_or_b32_e32 v19, 0x70000000, v19
	v_mul_f32_e32 v19, 0x7800000, v19
	s_delay_alu instid0(VALU_DEP_1) | instskip(NEXT) | instid1(VALU_DEP_1)
	v_cndmask_b32_e32 v15, v19, v20, vcc_lo
	v_and_or_b32 v14, 0x80000000, v14, v15
	s_delay_alu instid0(VALU_DEP_1) | instskip(NEXT) | instid1(VALU_DEP_1)
	v_trunc_f32_e32 v14, v14
	v_mul_f32_e32 v15, 0x2f800000, v14
	s_delay_alu instid0(VALU_DEP_1) | instskip(NEXT) | instid1(VALU_DEP_1)
	v_floor_f32_e32 v15, v15
	v_fmamk_f32 v14, v15, 0xcf800000, v14
	v_cvt_u32_f32_e32 v15, v15
	s_delay_alu instid0(VALU_DEP_2)
	v_cvt_u32_f32_e32 v14, v14
.LBB363_2459:
	s_mov_b32 s3, 0
	s_mov_b32 s6, -1
.LBB363_2460:
	s_and_not1_b32 vcc_lo, exec_lo, s3
	s_mov_b32 s3, 0
	s_cbranch_vccnz .LBB363_2471
; %bb.2461:
	s_cmp_gt_i32 s0, 14
	s_cbranch_scc0 .LBB363_2464
; %bb.2462:
	s_cmp_eq_u32 s0, 15
	s_cbranch_scc0 .LBB363_2467
; %bb.2463:
	s_wait_loadcnt 0x0
	global_load_u16 v14, v[16:17], off
	s_mov_b32 s2, 0
	s_mov_b32 s6, -1
	s_wait_loadcnt 0x0
	v_lshlrev_b32_e32 v14, 16, v14
	s_delay_alu instid0(VALU_DEP_1) | instskip(NEXT) | instid1(VALU_DEP_1)
	v_trunc_f32_e32 v14, v14
	v_mul_f32_e32 v15, 0x2f800000, v14
	s_delay_alu instid0(VALU_DEP_1) | instskip(NEXT) | instid1(VALU_DEP_1)
	v_floor_f32_e32 v15, v15
	v_fmamk_f32 v14, v15, 0xcf800000, v14
	v_cvt_u32_f32_e32 v15, v15
	s_delay_alu instid0(VALU_DEP_2)
	v_cvt_u32_f32_e32 v14, v14
	s_branch .LBB363_2469
.LBB363_2464:
	s_mov_b32 s3, -1
	s_branch .LBB363_2468
.LBB363_2465:
	s_and_not1_saveexec_b32 s3, s3
	s_cbranch_execz .LBB363_2446
.LBB363_2466:
	v_cmp_ne_u16_e32 vcc_lo, 0, v19
	s_and_not1_b32 s6, s6, exec_lo
	s_and_b32 s7, vcc_lo, exec_lo
	s_delay_alu instid0(SALU_CYCLE_1)
	s_or_b32 s6, s6, s7
	s_or_b32 exec_lo, exec_lo, s3
	v_mov_b64_e32 v[14:15], 0
	s_and_saveexec_b32 s3, s6
	s_cbranch_execnz .LBB363_2447
	s_branch .LBB363_2448
.LBB363_2467:
	s_mov_b32 s2, -1
.LBB363_2468:
                                        ; implicit-def: $vgpr14_vgpr15
.LBB363_2469:
	s_and_b32 vcc_lo, exec_lo, s3
	s_mov_b32 s3, 0
	s_cbranch_vccz .LBB363_2471
; %bb.2470:
	s_cmp_lg_u32 s0, 11
	s_mov_b32 s3, -1
	s_cselect_b32 s2, -1, 0
.LBB363_2471:
	s_delay_alu instid0(SALU_CYCLE_1)
	s_and_b32 vcc_lo, exec_lo, s2
	s_cbranch_vccnz .LBB363_3003
; %bb.2472:
	s_and_not1_b32 vcc_lo, exec_lo, s3
	s_cbranch_vccnz .LBB363_2474
.LBB363_2473:
	s_wait_loadcnt 0x0
	global_load_u8 v14, v[16:17], off
	s_mov_b32 s0, 0
	s_mov_b32 s6, -1
	v_mov_b32_e32 v15, s0
	s_wait_loadcnt 0x0
	v_cmp_ne_u16_e32 vcc_lo, 0, v14
	v_cndmask_b32_e64 v14, 0, 1, vcc_lo
.LBB363_2474:
	s_mov_b32 s0, 0
.LBB363_2475:
	s_delay_alu instid0(SALU_CYCLE_1)
	s_and_b32 vcc_lo, exec_lo, s0
	s_cbranch_vccz .LBB363_2524
; %bb.2476:
	s_and_b32 s0, 0xffff, s1
	s_delay_alu instid0(SALU_CYCLE_1)
	s_cmp_lt_i32 s0, 5
	s_cbranch_scc1 .LBB363_2481
; %bb.2477:
	s_cmp_lt_i32 s0, 8
	s_cbranch_scc1 .LBB363_2482
; %bb.2478:
	;; [unrolled: 3-line block ×3, first 2 shown]
	s_cmp_gt_i32 s0, 9
	s_cbranch_scc0 .LBB363_2484
; %bb.2480:
	s_wait_loadcnt 0x0
	global_load_b64 v[14:15], v[16:17], off
	s_mov_b32 s1, 0
	s_wait_loadcnt 0x0
	v_trunc_f64_e32 v[14:15], v[14:15]
	s_delay_alu instid0(VALU_DEP_1) | instskip(NEXT) | instid1(VALU_DEP_1)
	v_ldexp_f64 v[20:21], v[14:15], 0xffffffe0
	v_floor_f64_e32 v[20:21], v[20:21]
	s_delay_alu instid0(VALU_DEP_1) | instskip(SKIP_1) | instid1(VALU_DEP_2)
	v_fmamk_f64 v[22:23], v[20:21], 0xc1f00000, v[14:15]
	v_cvt_u32_f64_e32 v15, v[20:21]
	v_cvt_u32_f64_e32 v14, v[22:23]
	s_branch .LBB363_2485
.LBB363_2481:
	s_mov_b32 s1, -1
                                        ; implicit-def: $vgpr14_vgpr15
	s_branch .LBB363_2503
.LBB363_2482:
	s_mov_b32 s1, -1
                                        ; implicit-def: $vgpr14_vgpr15
	s_branch .LBB363_2491
.LBB363_2483:
	s_mov_b32 s1, -1
                                        ; implicit-def: $vgpr14_vgpr15
	s_branch .LBB363_2488
.LBB363_2484:
	s_mov_b32 s1, -1
                                        ; implicit-def: $vgpr14_vgpr15
.LBB363_2485:
	s_delay_alu instid0(SALU_CYCLE_1)
	s_and_not1_b32 vcc_lo, exec_lo, s1
	s_cbranch_vccnz .LBB363_2487
; %bb.2486:
	s_wait_loadcnt 0x0
	global_load_b32 v14, v[16:17], off
	s_wait_loadcnt 0x0
	v_trunc_f32_e32 v14, v14
	s_delay_alu instid0(VALU_DEP_1) | instskip(NEXT) | instid1(VALU_DEP_1)
	v_mul_f32_e32 v15, 0x2f800000, v14
	v_floor_f32_e32 v15, v15
	s_delay_alu instid0(VALU_DEP_1) | instskip(SKIP_1) | instid1(VALU_DEP_2)
	v_fmamk_f32 v14, v15, 0xcf800000, v14
	v_cvt_u32_f32_e32 v15, v15
	v_cvt_u32_f32_e32 v14, v14
.LBB363_2487:
	s_mov_b32 s1, 0
.LBB363_2488:
	s_delay_alu instid0(SALU_CYCLE_1)
	s_and_not1_b32 vcc_lo, exec_lo, s1
	s_cbranch_vccnz .LBB363_2490
; %bb.2489:
	s_wait_loadcnt 0x0
	global_load_b32 v14, v[16:17], off
	v_mov_b32_e32 v15, 0
	s_wait_loadcnt 0x0
	v_cvt_f32_f16_e32 v14, v14
	s_delay_alu instid0(VALU_DEP_1)
	v_cvt_u32_f32_e32 v14, v14
.LBB363_2490:
	s_mov_b32 s1, 0
.LBB363_2491:
	s_delay_alu instid0(SALU_CYCLE_1)
	s_and_not1_b32 vcc_lo, exec_lo, s1
	s_cbranch_vccnz .LBB363_2502
; %bb.2492:
	s_cmp_lt_i32 s0, 6
	s_cbranch_scc1 .LBB363_2495
; %bb.2493:
	s_cmp_gt_i32 s0, 6
	s_cbranch_scc0 .LBB363_2496
; %bb.2494:
	s_wait_loadcnt 0x0
	global_load_b64 v[14:15], v[16:17], off
	s_mov_b32 s1, 0
	s_wait_loadcnt 0x0
	v_trunc_f64_e32 v[14:15], v[14:15]
	s_delay_alu instid0(VALU_DEP_1) | instskip(NEXT) | instid1(VALU_DEP_1)
	v_ldexp_f64 v[20:21], v[14:15], 0xffffffe0
	v_floor_f64_e32 v[20:21], v[20:21]
	s_delay_alu instid0(VALU_DEP_1) | instskip(SKIP_1) | instid1(VALU_DEP_2)
	v_fmamk_f64 v[22:23], v[20:21], 0xc1f00000, v[14:15]
	v_cvt_u32_f64_e32 v15, v[20:21]
	v_cvt_u32_f64_e32 v14, v[22:23]
	s_branch .LBB363_2497
.LBB363_2495:
	s_mov_b32 s1, -1
                                        ; implicit-def: $vgpr14_vgpr15
	s_branch .LBB363_2500
.LBB363_2496:
	s_mov_b32 s1, -1
                                        ; implicit-def: $vgpr14_vgpr15
.LBB363_2497:
	s_delay_alu instid0(SALU_CYCLE_1)
	s_and_not1_b32 vcc_lo, exec_lo, s1
	s_cbranch_vccnz .LBB363_2499
; %bb.2498:
	s_wait_loadcnt 0x0
	global_load_b32 v14, v[16:17], off
	s_wait_loadcnt 0x0
	v_trunc_f32_e32 v14, v14
	s_delay_alu instid0(VALU_DEP_1) | instskip(NEXT) | instid1(VALU_DEP_1)
	v_mul_f32_e32 v15, 0x2f800000, v14
	v_floor_f32_e32 v15, v15
	s_delay_alu instid0(VALU_DEP_1) | instskip(SKIP_1) | instid1(VALU_DEP_2)
	v_fmamk_f32 v14, v15, 0xcf800000, v14
	v_cvt_u32_f32_e32 v15, v15
	v_cvt_u32_f32_e32 v14, v14
.LBB363_2499:
	s_mov_b32 s1, 0
.LBB363_2500:
	s_delay_alu instid0(SALU_CYCLE_1)
	s_and_not1_b32 vcc_lo, exec_lo, s1
	s_cbranch_vccnz .LBB363_2502
; %bb.2501:
	s_wait_loadcnt 0x0
	global_load_u16 v14, v[16:17], off
	v_mov_b32_e32 v15, 0
	s_wait_loadcnt 0x0
	v_cvt_f32_f16_e32 v14, v14
	s_delay_alu instid0(VALU_DEP_1)
	v_cvt_u32_f32_e32 v14, v14
.LBB363_2502:
	s_mov_b32 s1, 0
.LBB363_2503:
	s_delay_alu instid0(SALU_CYCLE_1)
	s_and_not1_b32 vcc_lo, exec_lo, s1
	s_cbranch_vccnz .LBB363_2523
; %bb.2504:
	s_cmp_lt_i32 s0, 2
	s_cbranch_scc1 .LBB363_2508
; %bb.2505:
	s_cmp_lt_i32 s0, 3
	s_cbranch_scc1 .LBB363_2509
; %bb.2506:
	s_cmp_gt_i32 s0, 3
	s_cbranch_scc0 .LBB363_2510
; %bb.2507:
	s_wait_loadcnt 0x0
	global_load_b64 v[14:15], v[16:17], off
	s_mov_b32 s1, 0
	s_branch .LBB363_2511
.LBB363_2508:
	s_mov_b32 s1, -1
                                        ; implicit-def: $vgpr14_vgpr15
	s_branch .LBB363_2517
.LBB363_2509:
	s_mov_b32 s1, -1
                                        ; implicit-def: $vgpr14_vgpr15
	s_branch .LBB363_2514
.LBB363_2510:
	s_mov_b32 s1, -1
                                        ; implicit-def: $vgpr14_vgpr15
.LBB363_2511:
	s_delay_alu instid0(SALU_CYCLE_1)
	s_and_not1_b32 vcc_lo, exec_lo, s1
	s_cbranch_vccnz .LBB363_2513
; %bb.2512:
	s_wait_loadcnt 0x0
	global_load_b32 v14, v[16:17], off
	s_wait_loadcnt 0x0
	v_ashrrev_i32_e32 v15, 31, v14
.LBB363_2513:
	s_mov_b32 s1, 0
.LBB363_2514:
	s_delay_alu instid0(SALU_CYCLE_1)
	s_and_not1_b32 vcc_lo, exec_lo, s1
	s_cbranch_vccnz .LBB363_2516
; %bb.2515:
	s_wait_loadcnt 0x0
	global_load_u16 v14, v[16:17], off
	s_wait_loadcnt 0x0
	v_bfe_i32 v14, v14, 0, 16
	s_delay_alu instid0(VALU_DEP_1)
	v_ashrrev_i32_e32 v15, 31, v14
.LBB363_2516:
	s_mov_b32 s1, 0
.LBB363_2517:
	s_delay_alu instid0(SALU_CYCLE_1)
	s_and_not1_b32 vcc_lo, exec_lo, s1
	s_cbranch_vccnz .LBB363_2523
; %bb.2518:
	s_cmp_gt_i32 s0, 0
	s_mov_b32 s0, 0
	s_cbranch_scc0 .LBB363_2520
; %bb.2519:
	s_wait_loadcnt 0x0
	global_load_i8 v14, v[16:17], off
	s_wait_loadcnt 0x0
	v_bfe_i32 v14, v14, 0, 16
	s_delay_alu instid0(VALU_DEP_1)
	v_ashrrev_i32_e32 v15, 31, v14
	s_branch .LBB363_2521
.LBB363_2520:
	s_mov_b32 s0, -1
                                        ; implicit-def: $vgpr14_vgpr15
.LBB363_2521:
	s_delay_alu instid0(SALU_CYCLE_1)
	s_and_not1_b32 vcc_lo, exec_lo, s0
	s_cbranch_vccnz .LBB363_2523
; %bb.2522:
	s_wait_loadcnt 0x0
	global_load_u8 v14, v[16:17], off
	s_mov_b32 s0, 0
	s_delay_alu instid0(SALU_CYCLE_1)
	v_mov_b32_e32 v15, s0
	s_wait_loadcnt 0x0
	v_and_b32_e32 v14, 0xffff, v14
.LBB363_2523:
	s_mov_b32 s6, -1
.LBB363_2524:
	s_delay_alu instid0(SALU_CYCLE_1)
	s_and_not1_b32 vcc_lo, exec_lo, s6
	s_cbranch_vccnz .LBB363_2957
; %bb.2525:
	s_wait_xcnt 0x0
	v_mul_lo_u32 v16, s8, v18
	s_wait_loadcnt 0x0
	v_cmp_ne_u64_e32 vcc_lo, v[0:1], v[2:3]
	s_cmp_eq_u32 s11, 0
	s_mov_b32 s7, 0
	s_cselect_b32 s1, -1, 0
	s_and_b32 s17, s12, 0xff
	s_mov_b32 s0, -1
	s_xor_b32 s2, s1, vcc_lo
	s_cmp_lt_i32 s17, 11
	s_delay_alu instid0(VALU_DEP_2) | instskip(NEXT) | instid1(VALU_DEP_1)
	v_ashrrev_i32_e32 v17, 31, v16
	v_add_nc_u64_e32 v[0:1], s[4:5], v[16:17]
	s_cbranch_scc1 .LBB363_2604
; %bb.2526:
	s_and_b32 s3, 0xffff, s17
	s_mov_b32 s9, -1
	s_mov_b32 s6, 0
	s_cmp_gt_i32 s3, 25
	s_mov_b32 s0, 0
	s_cbranch_scc0 .LBB363_2559
; %bb.2527:
	s_cmp_gt_i32 s3, 28
	s_cbranch_scc0 .LBB363_2542
; %bb.2528:
	s_cmp_gt_i32 s3, 43
	;; [unrolled: 3-line block ×3, first 2 shown]
	s_cbranch_scc0 .LBB363_2532
; %bb.2530:
	s_mov_b32 s0, -1
	s_mov_b32 s9, 0
	s_cmp_eq_u32 s3, 46
	s_cbranch_scc0 .LBB363_2532
; %bb.2531:
	v_cndmask_b32_e64 v2, 0, 1.0, s2
	s_mov_b32 s0, 0
	s_mov_b32 s7, -1
	s_delay_alu instid0(VALU_DEP_1) | instskip(NEXT) | instid1(VALU_DEP_1)
	v_bfe_u32 v3, v2, 16, 1
	v_add3_u32 v2, v2, v3, 0x7fff
	s_delay_alu instid0(VALU_DEP_1)
	v_lshrrev_b32_e32 v2, 16, v2
	global_store_b32 v[0:1], v2, off
.LBB363_2532:
	s_and_b32 vcc_lo, exec_lo, s9
	s_cbranch_vccz .LBB363_2537
; %bb.2533:
	s_cmp_eq_u32 s3, 44
	s_mov_b32 s0, -1
	s_cbranch_scc0 .LBB363_2537
; %bb.2534:
	v_cndmask_b32_e64 v17, 0, 1.0, s2
	s_mov_b32 s7, exec_lo
	s_wait_xcnt 0x0
	s_delay_alu instid0(VALU_DEP_1) | instskip(NEXT) | instid1(VALU_DEP_1)
	v_dual_mov_b32 v3, 0xff :: v_dual_lshrrev_b32 v2, 23, v17
	v_cmpx_ne_u32_e32 0xff, v2
; %bb.2535:
	v_and_b32_e32 v3, 0x400000, v17
	v_and_or_b32 v17, 0x3fffff, v17, v2
	s_delay_alu instid0(VALU_DEP_2) | instskip(NEXT) | instid1(VALU_DEP_2)
	v_cmp_ne_u32_e32 vcc_lo, 0, v3
	v_cmp_ne_u32_e64 s0, 0, v17
	s_and_b32 s0, vcc_lo, s0
	s_delay_alu instid0(SALU_CYCLE_1) | instskip(NEXT) | instid1(VALU_DEP_1)
	v_cndmask_b32_e64 v3, 0, 1, s0
	v_add_nc_u32_e32 v3, v2, v3
; %bb.2536:
	s_or_b32 exec_lo, exec_lo, s7
	s_mov_b32 s0, 0
	s_mov_b32 s7, -1
	global_store_b8 v[0:1], v3, off
.LBB363_2537:
	s_mov_b32 s9, 0
.LBB363_2538:
	s_delay_alu instid0(SALU_CYCLE_1)
	s_and_b32 vcc_lo, exec_lo, s9
	s_cbranch_vccz .LBB363_2541
; %bb.2539:
	s_cmp_eq_u32 s3, 29
	s_mov_b32 s0, -1
	s_cbranch_scc0 .LBB363_2541
; %bb.2540:
	s_mov_b32 s0, 0
	s_wait_xcnt 0x0
	v_cndmask_b32_e64 v2, 0, 1, s2
	v_mov_b32_e32 v3, s0
	s_mov_b32 s7, -1
	global_store_b64 v[0:1], v[2:3], off
.LBB363_2541:
	s_mov_b32 s9, 0
.LBB363_2542:
	s_delay_alu instid0(SALU_CYCLE_1)
	s_and_b32 vcc_lo, exec_lo, s9
	s_cbranch_vccz .LBB363_2558
; %bb.2543:
	s_cmp_lt_i32 s3, 27
	s_mov_b32 s7, -1
	s_cbranch_scc1 .LBB363_2549
; %bb.2544:
	s_cmp_gt_i32 s3, 27
	s_cbranch_scc0 .LBB363_2546
; %bb.2545:
	s_wait_xcnt 0x0
	v_cndmask_b32_e64 v2, 0, 1, s2
	s_mov_b32 s7, 0
	global_store_b32 v[0:1], v2, off
.LBB363_2546:
	s_and_not1_b32 vcc_lo, exec_lo, s7
	s_cbranch_vccnz .LBB363_2548
; %bb.2547:
	s_wait_xcnt 0x0
	v_cndmask_b32_e64 v2, 0, 1, s2
	global_store_b16 v[0:1], v2, off
.LBB363_2548:
	s_mov_b32 s7, 0
.LBB363_2549:
	s_delay_alu instid0(SALU_CYCLE_1)
	s_and_not1_b32 vcc_lo, exec_lo, s7
	s_cbranch_vccnz .LBB363_2557
; %bb.2550:
	s_wait_xcnt 0x0
	v_cndmask_b32_e64 v3, 0, 1.0, s2
	v_mov_b32_e32 v17, 0x80
	s_mov_b32 s7, exec_lo
	s_delay_alu instid0(VALU_DEP_2)
	v_cmpx_gt_u32_e32 0x43800000, v3
	s_cbranch_execz .LBB363_2556
; %bb.2551:
	s_mov_b32 s9, 0
	s_mov_b32 s10, exec_lo
                                        ; implicit-def: $vgpr2
	v_cmpx_lt_u32_e32 0x3bffffff, v3
	s_xor_b32 s10, exec_lo, s10
	s_cbranch_execz .LBB363_3004
; %bb.2552:
	v_bfe_u32 v2, v3, 20, 1
	s_mov_b32 s9, exec_lo
	s_delay_alu instid0(VALU_DEP_1) | instskip(NEXT) | instid1(VALU_DEP_1)
	v_add3_u32 v2, v3, v2, 0x487ffff
                                        ; implicit-def: $vgpr3
	v_lshrrev_b32_e32 v2, 20, v2
	s_and_not1_saveexec_b32 s10, s10
	s_cbranch_execnz .LBB363_3005
.LBB363_2553:
	s_or_b32 exec_lo, exec_lo, s10
	v_mov_b32_e32 v17, 0
	s_and_saveexec_b32 s10, s9
.LBB363_2554:
	v_mov_b32_e32 v17, v2
.LBB363_2555:
	s_or_b32 exec_lo, exec_lo, s10
.LBB363_2556:
	s_delay_alu instid0(SALU_CYCLE_1)
	s_or_b32 exec_lo, exec_lo, s7
	global_store_b8 v[0:1], v17, off
.LBB363_2557:
	s_mov_b32 s7, -1
.LBB363_2558:
	s_mov_b32 s9, 0
.LBB363_2559:
	s_delay_alu instid0(SALU_CYCLE_1)
	s_and_b32 vcc_lo, exec_lo, s9
	s_cbranch_vccz .LBB363_2599
; %bb.2560:
	s_cmp_gt_i32 s3, 22
	s_mov_b32 s6, -1
	s_cbranch_scc0 .LBB363_2592
; %bb.2561:
	s_cmp_lt_i32 s3, 24
	s_cbranch_scc1 .LBB363_2581
; %bb.2562:
	s_cmp_gt_i32 s3, 24
	s_cbranch_scc0 .LBB363_2570
; %bb.2563:
	s_wait_xcnt 0x0
	v_cndmask_b32_e64 v3, 0, 1.0, s2
	v_mov_b32_e32 v17, 0x80
	s_mov_b32 s6, exec_lo
	s_delay_alu instid0(VALU_DEP_2)
	v_cmpx_gt_u32_e32 0x47800000, v3
	s_cbranch_execz .LBB363_2569
; %bb.2564:
	s_mov_b32 s7, 0
	s_mov_b32 s9, exec_lo
                                        ; implicit-def: $vgpr2
	v_cmpx_lt_u32_e32 0x37ffffff, v3
	s_xor_b32 s9, exec_lo, s9
	s_cbranch_execz .LBB363_3007
; %bb.2565:
	v_bfe_u32 v2, v3, 21, 1
	s_mov_b32 s7, exec_lo
	s_delay_alu instid0(VALU_DEP_1) | instskip(NEXT) | instid1(VALU_DEP_1)
	v_add3_u32 v2, v3, v2, 0x88fffff
                                        ; implicit-def: $vgpr3
	v_lshrrev_b32_e32 v2, 21, v2
	s_and_not1_saveexec_b32 s9, s9
	s_cbranch_execnz .LBB363_3008
.LBB363_2566:
	s_or_b32 exec_lo, exec_lo, s9
	v_mov_b32_e32 v17, 0
	s_and_saveexec_b32 s9, s7
.LBB363_2567:
	v_mov_b32_e32 v17, v2
.LBB363_2568:
	s_or_b32 exec_lo, exec_lo, s9
.LBB363_2569:
	s_delay_alu instid0(SALU_CYCLE_1)
	s_or_b32 exec_lo, exec_lo, s6
	s_mov_b32 s6, 0
	global_store_b8 v[0:1], v17, off
.LBB363_2570:
	s_and_b32 vcc_lo, exec_lo, s6
	s_cbranch_vccz .LBB363_2580
; %bb.2571:
	s_wait_xcnt 0x0
	v_cndmask_b32_e64 v3, 0, 1.0, s2
	s_mov_b32 s6, exec_lo
                                        ; implicit-def: $vgpr2
	s_delay_alu instid0(VALU_DEP_1)
	v_cmpx_gt_u32_e32 0x43f00000, v3
	s_xor_b32 s6, exec_lo, s6
	s_cbranch_execz .LBB363_2577
; %bb.2572:
	s_mov_b32 s7, exec_lo
                                        ; implicit-def: $vgpr2
	v_cmpx_lt_u32_e32 0x3c7fffff, v3
	s_xor_b32 s7, exec_lo, s7
; %bb.2573:
	v_bfe_u32 v2, v3, 20, 1
	s_delay_alu instid0(VALU_DEP_1) | instskip(NEXT) | instid1(VALU_DEP_1)
	v_add3_u32 v2, v3, v2, 0x407ffff
	v_and_b32_e32 v3, 0xff00000, v2
	v_lshrrev_b32_e32 v2, 20, v2
	s_delay_alu instid0(VALU_DEP_2) | instskip(NEXT) | instid1(VALU_DEP_2)
	v_cmp_ne_u32_e32 vcc_lo, 0x7f00000, v3
                                        ; implicit-def: $vgpr3
	v_cndmask_b32_e32 v2, 0x7e, v2, vcc_lo
; %bb.2574:
	s_and_not1_saveexec_b32 s7, s7
; %bb.2575:
	v_add_f32_e32 v2, 0x46800000, v3
; %bb.2576:
	s_or_b32 exec_lo, exec_lo, s7
                                        ; implicit-def: $vgpr3
.LBB363_2577:
	s_and_not1_saveexec_b32 s6, s6
; %bb.2578:
	v_mov_b32_e32 v2, 0x7f
	v_cmp_lt_u32_e32 vcc_lo, 0x7f800000, v3
	s_delay_alu instid0(VALU_DEP_2)
	v_cndmask_b32_e32 v2, 0x7e, v2, vcc_lo
; %bb.2579:
	s_or_b32 exec_lo, exec_lo, s6
	global_store_b8 v[0:1], v2, off
.LBB363_2580:
	s_mov_b32 s6, 0
.LBB363_2581:
	s_delay_alu instid0(SALU_CYCLE_1)
	s_and_not1_b32 vcc_lo, exec_lo, s6
	s_cbranch_vccnz .LBB363_2591
; %bb.2582:
	s_wait_xcnt 0x0
	v_cndmask_b32_e64 v3, 0, 1.0, s2
	s_mov_b32 s6, exec_lo
                                        ; implicit-def: $vgpr2
	s_delay_alu instid0(VALU_DEP_1)
	v_cmpx_gt_u32_e32 0x47800000, v3
	s_xor_b32 s6, exec_lo, s6
	s_cbranch_execz .LBB363_2588
; %bb.2583:
	s_mov_b32 s7, exec_lo
                                        ; implicit-def: $vgpr2
	v_cmpx_lt_u32_e32 0x387fffff, v3
	s_xor_b32 s7, exec_lo, s7
; %bb.2584:
	v_bfe_u32 v2, v3, 21, 1
	s_delay_alu instid0(VALU_DEP_1) | instskip(NEXT) | instid1(VALU_DEP_1)
	v_add3_u32 v2, v3, v2, 0x80fffff
                                        ; implicit-def: $vgpr3
	v_lshrrev_b32_e32 v2, 21, v2
; %bb.2585:
	s_and_not1_saveexec_b32 s7, s7
; %bb.2586:
	v_add_f32_e32 v2, 0x43000000, v3
; %bb.2587:
	s_or_b32 exec_lo, exec_lo, s7
                                        ; implicit-def: $vgpr3
.LBB363_2588:
	s_and_not1_saveexec_b32 s6, s6
; %bb.2589:
	v_mov_b32_e32 v2, 0x7f
	v_cmp_lt_u32_e32 vcc_lo, 0x7f800000, v3
	s_delay_alu instid0(VALU_DEP_2)
	v_cndmask_b32_e32 v2, 0x7c, v2, vcc_lo
; %bb.2590:
	s_or_b32 exec_lo, exec_lo, s6
	global_store_b8 v[0:1], v2, off
.LBB363_2591:
	s_mov_b32 s6, 0
	s_mov_b32 s7, -1
.LBB363_2592:
	s_and_not1_b32 vcc_lo, exec_lo, s6
	s_mov_b32 s6, 0
	s_cbranch_vccnz .LBB363_2599
; %bb.2593:
	s_cmp_gt_i32 s3, 14
	s_mov_b32 s6, -1
	s_cbranch_scc0 .LBB363_2597
; %bb.2594:
	s_cmp_eq_u32 s3, 15
	s_mov_b32 s0, -1
	s_cbranch_scc0 .LBB363_2596
; %bb.2595:
	s_wait_xcnt 0x0
	v_cndmask_b32_e64 v2, 0, 1.0, s2
	s_mov_b32 s0, 0
	s_mov_b32 s7, -1
	s_delay_alu instid0(VALU_DEP_1) | instskip(NEXT) | instid1(VALU_DEP_1)
	v_bfe_u32 v3, v2, 16, 1
	v_add3_u32 v2, v2, v3, 0x7fff
	global_store_d16_hi_b16 v[0:1], v2, off
.LBB363_2596:
	s_mov_b32 s6, 0
.LBB363_2597:
	s_delay_alu instid0(SALU_CYCLE_1)
	s_and_b32 vcc_lo, exec_lo, s6
	s_mov_b32 s6, 0
	s_cbranch_vccz .LBB363_2599
; %bb.2598:
	s_cmp_lg_u32 s3, 11
	s_mov_b32 s6, -1
	s_cselect_b32 s0, -1, 0
.LBB363_2599:
	s_delay_alu instid0(SALU_CYCLE_1)
	s_and_b32 vcc_lo, exec_lo, s0
	s_cbranch_vccnz .LBB363_3006
; %bb.2600:
	s_and_not1_b32 vcc_lo, exec_lo, s6
	s_cbranch_vccnz .LBB363_2602
.LBB363_2601:
	s_wait_xcnt 0x0
	v_cndmask_b32_e64 v2, 0, 1, s2
	s_mov_b32 s7, -1
	global_store_b8 v[0:1], v2, off
.LBB363_2602:
.LBB363_2603:
	s_and_not1_b32 vcc_lo, exec_lo, s7
	s_cbranch_vccnz .LBB363_2957
	s_branch .LBB363_2643
.LBB363_2604:
	s_and_b32 vcc_lo, exec_lo, s0
	s_cbranch_vccz .LBB363_2603
; %bb.2605:
	s_and_b32 s0, 0xffff, s17
	s_mov_b32 s3, -1
	s_cmp_lt_i32 s0, 5
	s_cbranch_scc1 .LBB363_2626
; %bb.2606:
	s_cmp_lt_i32 s0, 8
	s_cbranch_scc1 .LBB363_2616
; %bb.2607:
	;; [unrolled: 3-line block ×3, first 2 shown]
	s_cmp_gt_i32 s0, 9
	s_cbranch_scc0 .LBB363_2610
; %bb.2609:
	s_wait_xcnt 0x0
	v_cndmask_b32_e64 v2, 0, 1, s2
	v_mov_b32_e32 v20, 0
	s_mov_b32 s3, 0
	s_delay_alu instid0(VALU_DEP_2) | instskip(NEXT) | instid1(VALU_DEP_2)
	v_cvt_f64_u32_e32 v[18:19], v2
	v_mov_b32_e32 v21, v20
	global_store_b128 v[0:1], v[18:21], off
.LBB363_2610:
	s_and_not1_b32 vcc_lo, exec_lo, s3
	s_cbranch_vccnz .LBB363_2612
; %bb.2611:
	s_wait_xcnt 0x0
	v_cndmask_b32_e64 v2, 0, 1.0, s2
	v_mov_b32_e32 v3, 0
	global_store_b64 v[0:1], v[2:3], off
.LBB363_2612:
	s_mov_b32 s3, 0
.LBB363_2613:
	s_delay_alu instid0(SALU_CYCLE_1)
	s_and_not1_b32 vcc_lo, exec_lo, s3
	s_cbranch_vccnz .LBB363_2615
; %bb.2614:
	s_wait_xcnt 0x0
	v_cndmask_b32_e64 v2, 0, 1.0, s2
	s_delay_alu instid0(VALU_DEP_1) | instskip(NEXT) | instid1(VALU_DEP_1)
	v_cvt_f16_f32_e32 v2, v2
	v_and_b32_e32 v2, 0xffff, v2
	global_store_b32 v[0:1], v2, off
.LBB363_2615:
	s_mov_b32 s3, 0
.LBB363_2616:
	s_delay_alu instid0(SALU_CYCLE_1)
	s_and_not1_b32 vcc_lo, exec_lo, s3
	s_cbranch_vccnz .LBB363_2625
; %bb.2617:
	s_cmp_lt_i32 s0, 6
	s_mov_b32 s3, -1
	s_cbranch_scc1 .LBB363_2623
; %bb.2618:
	s_cmp_gt_i32 s0, 6
	s_cbranch_scc0 .LBB363_2620
; %bb.2619:
	s_wait_xcnt 0x0
	v_cndmask_b32_e64 v2, 0, 1, s2
	s_mov_b32 s3, 0
	s_delay_alu instid0(VALU_DEP_1)
	v_cvt_f64_u32_e32 v[2:3], v2
	global_store_b64 v[0:1], v[2:3], off
.LBB363_2620:
	s_and_not1_b32 vcc_lo, exec_lo, s3
	s_cbranch_vccnz .LBB363_2622
; %bb.2621:
	s_wait_xcnt 0x0
	v_cndmask_b32_e64 v2, 0, 1.0, s2
	global_store_b32 v[0:1], v2, off
.LBB363_2622:
	s_mov_b32 s3, 0
.LBB363_2623:
	s_delay_alu instid0(SALU_CYCLE_1)
	s_and_not1_b32 vcc_lo, exec_lo, s3
	s_cbranch_vccnz .LBB363_2625
; %bb.2624:
	s_wait_xcnt 0x0
	v_cndmask_b32_e64 v2, 0, 1.0, s2
	s_delay_alu instid0(VALU_DEP_1)
	v_cvt_f16_f32_e32 v2, v2
	global_store_b16 v[0:1], v2, off
.LBB363_2625:
	s_mov_b32 s3, 0
.LBB363_2626:
	s_delay_alu instid0(SALU_CYCLE_1)
	s_and_not1_b32 vcc_lo, exec_lo, s3
	s_cbranch_vccnz .LBB363_2642
; %bb.2627:
	s_cmp_lt_i32 s0, 2
	s_mov_b32 s3, -1
	s_cbranch_scc1 .LBB363_2637
; %bb.2628:
	s_cmp_lt_i32 s0, 3
	s_cbranch_scc1 .LBB363_2634
; %bb.2629:
	s_cmp_gt_i32 s0, 3
	s_cbranch_scc0 .LBB363_2631
; %bb.2630:
	s_mov_b32 s3, 0
	s_wait_xcnt 0x0
	v_cndmask_b32_e64 v2, 0, 1, s2
	v_mov_b32_e32 v3, s3
	global_store_b64 v[0:1], v[2:3], off
.LBB363_2631:
	s_and_not1_b32 vcc_lo, exec_lo, s3
	s_cbranch_vccnz .LBB363_2633
; %bb.2632:
	s_wait_xcnt 0x0
	v_cndmask_b32_e64 v2, 0, 1, s2
	global_store_b32 v[0:1], v2, off
.LBB363_2633:
	s_mov_b32 s3, 0
.LBB363_2634:
	s_delay_alu instid0(SALU_CYCLE_1)
	s_and_not1_b32 vcc_lo, exec_lo, s3
	s_cbranch_vccnz .LBB363_2636
; %bb.2635:
	s_wait_xcnt 0x0
	v_cndmask_b32_e64 v2, 0, 1, s2
	global_store_b16 v[0:1], v2, off
.LBB363_2636:
	s_mov_b32 s3, 0
.LBB363_2637:
	s_delay_alu instid0(SALU_CYCLE_1)
	s_and_not1_b32 vcc_lo, exec_lo, s3
	s_cbranch_vccnz .LBB363_2642
; %bb.2638:
	s_wait_xcnt 0x0
	v_cndmask_b32_e64 v2, 0, 1, s2
	s_cmp_gt_i32 s0, 0
	s_mov_b32 s0, -1
	s_cbranch_scc0 .LBB363_2640
; %bb.2639:
	s_mov_b32 s0, 0
	global_store_b8 v[0:1], v2, off
.LBB363_2640:
	s_and_not1_b32 vcc_lo, exec_lo, s0
	s_cbranch_vccnz .LBB363_2642
; %bb.2641:
	global_store_b8 v[0:1], v2, off
.LBB363_2642:
.LBB363_2643:
	s_lshl_b32 s2, s8, 7
	v_cmp_ne_u64_e32 vcc_lo, v[4:5], v[6:7]
	s_wait_xcnt 0x0
	v_add_nc_u32_e32 v0, s2, v16
	s_delay_alu instid0(VALU_DEP_1) | instskip(SKIP_2) | instid1(VALU_DEP_1)
	v_ashrrev_i32_e32 v1, 31, v0
	s_xor_b32 s3, s1, vcc_lo
	s_cmp_lt_i32 s17, 11
	v_add_nc_u64_e32 v[2:3], s[4:5], v[0:1]
	s_cbranch_scc1 .LBB363_2721
; %bb.2644:
	s_and_b32 s6, 0xffff, s17
	s_mov_b32 s9, -1
	s_mov_b32 s7, 0
	s_cmp_gt_i32 s6, 25
	s_mov_b32 s8, 0
	s_mov_b32 s0, 0
	s_cbranch_scc0 .LBB363_2677
; %bb.2645:
	s_cmp_gt_i32 s6, 28
	s_cbranch_scc0 .LBB363_2660
; %bb.2646:
	s_cmp_gt_i32 s6, 43
	;; [unrolled: 3-line block ×3, first 2 shown]
	s_cbranch_scc0 .LBB363_2650
; %bb.2648:
	s_mov_b32 s0, -1
	s_mov_b32 s9, 0
	s_cmp_eq_u32 s6, 46
	s_cbranch_scc0 .LBB363_2650
; %bb.2649:
	v_cndmask_b32_e64 v1, 0, 1.0, s3
	s_mov_b32 s0, 0
	s_mov_b32 s8, -1
	s_delay_alu instid0(VALU_DEP_1) | instskip(NEXT) | instid1(VALU_DEP_1)
	v_bfe_u32 v4, v1, 16, 1
	v_add3_u32 v1, v1, v4, 0x7fff
	s_delay_alu instid0(VALU_DEP_1)
	v_lshrrev_b32_e32 v1, 16, v1
	global_store_b32 v[2:3], v1, off
.LBB363_2650:
	s_and_b32 vcc_lo, exec_lo, s9
	s_cbranch_vccz .LBB363_2655
; %bb.2651:
	s_cmp_eq_u32 s6, 44
	s_mov_b32 s0, -1
	s_cbranch_scc0 .LBB363_2655
; %bb.2652:
	v_cndmask_b32_e64 v5, 0, 1.0, s3
	s_mov_b32 s8, exec_lo
	s_wait_xcnt 0x0
	s_delay_alu instid0(VALU_DEP_1) | instskip(NEXT) | instid1(VALU_DEP_1)
	v_dual_mov_b32 v4, 0xff :: v_dual_lshrrev_b32 v1, 23, v5
	v_cmpx_ne_u32_e32 0xff, v1
; %bb.2653:
	v_and_b32_e32 v4, 0x400000, v5
	v_and_or_b32 v5, 0x3fffff, v5, v1
	s_delay_alu instid0(VALU_DEP_2) | instskip(NEXT) | instid1(VALU_DEP_2)
	v_cmp_ne_u32_e32 vcc_lo, 0, v4
	v_cmp_ne_u32_e64 s0, 0, v5
	s_and_b32 s0, vcc_lo, s0
	s_delay_alu instid0(SALU_CYCLE_1) | instskip(NEXT) | instid1(VALU_DEP_1)
	v_cndmask_b32_e64 v4, 0, 1, s0
	v_add_nc_u32_e32 v4, v1, v4
; %bb.2654:
	s_or_b32 exec_lo, exec_lo, s8
	s_mov_b32 s0, 0
	s_mov_b32 s8, -1
	global_store_b8 v[2:3], v4, off
.LBB363_2655:
	s_mov_b32 s9, 0
.LBB363_2656:
	s_delay_alu instid0(SALU_CYCLE_1)
	s_and_b32 vcc_lo, exec_lo, s9
	s_cbranch_vccz .LBB363_2659
; %bb.2657:
	s_cmp_eq_u32 s6, 29
	s_mov_b32 s0, -1
	s_cbranch_scc0 .LBB363_2659
; %bb.2658:
	s_mov_b32 s0, 0
	s_wait_xcnt 0x0
	v_cndmask_b32_e64 v4, 0, 1, s3
	v_mov_b32_e32 v5, s0
	s_mov_b32 s8, -1
	global_store_b64 v[2:3], v[4:5], off
.LBB363_2659:
	s_mov_b32 s9, 0
.LBB363_2660:
	s_delay_alu instid0(SALU_CYCLE_1)
	s_and_b32 vcc_lo, exec_lo, s9
	s_cbranch_vccz .LBB363_2676
; %bb.2661:
	s_cmp_lt_i32 s6, 27
	s_mov_b32 s8, -1
	s_cbranch_scc1 .LBB363_2667
; %bb.2662:
	s_cmp_gt_i32 s6, 27
	s_cbranch_scc0 .LBB363_2664
; %bb.2663:
	s_wait_xcnt 0x0
	v_cndmask_b32_e64 v1, 0, 1, s3
	s_mov_b32 s8, 0
	global_store_b32 v[2:3], v1, off
.LBB363_2664:
	s_and_not1_b32 vcc_lo, exec_lo, s8
	s_cbranch_vccnz .LBB363_2666
; %bb.2665:
	s_wait_xcnt 0x0
	v_cndmask_b32_e64 v1, 0, 1, s3
	global_store_b16 v[2:3], v1, off
.LBB363_2666:
	s_mov_b32 s8, 0
.LBB363_2667:
	s_delay_alu instid0(SALU_CYCLE_1)
	s_and_not1_b32 vcc_lo, exec_lo, s8
	s_cbranch_vccnz .LBB363_2675
; %bb.2668:
	s_wait_xcnt 0x0
	v_cndmask_b32_e64 v4, 0, 1.0, s3
	v_mov_b32_e32 v5, 0x80
	s_mov_b32 s8, exec_lo
	s_delay_alu instid0(VALU_DEP_2)
	v_cmpx_gt_u32_e32 0x43800000, v4
	s_cbranch_execz .LBB363_2674
; %bb.2669:
	s_mov_b32 s9, 0
	s_mov_b32 s10, exec_lo
                                        ; implicit-def: $vgpr1
	v_cmpx_lt_u32_e32 0x3bffffff, v4
	s_xor_b32 s10, exec_lo, s10
	s_cbranch_execz .LBB363_3009
; %bb.2670:
	v_bfe_u32 v1, v4, 20, 1
	s_mov_b32 s9, exec_lo
	s_delay_alu instid0(VALU_DEP_1) | instskip(NEXT) | instid1(VALU_DEP_1)
	v_add3_u32 v1, v4, v1, 0x487ffff
                                        ; implicit-def: $vgpr4
	v_lshrrev_b32_e32 v1, 20, v1
	s_and_not1_saveexec_b32 s10, s10
	s_cbranch_execnz .LBB363_3010
.LBB363_2671:
	s_or_b32 exec_lo, exec_lo, s10
	v_mov_b32_e32 v5, 0
	s_and_saveexec_b32 s10, s9
.LBB363_2672:
	v_mov_b32_e32 v5, v1
.LBB363_2673:
	s_or_b32 exec_lo, exec_lo, s10
.LBB363_2674:
	s_delay_alu instid0(SALU_CYCLE_1)
	s_or_b32 exec_lo, exec_lo, s8
	global_store_b8 v[2:3], v5, off
.LBB363_2675:
	s_mov_b32 s8, -1
.LBB363_2676:
	s_mov_b32 s9, 0
.LBB363_2677:
	s_delay_alu instid0(SALU_CYCLE_1)
	s_and_b32 vcc_lo, exec_lo, s9
	s_cbranch_vccz .LBB363_2717
; %bb.2678:
	s_cmp_gt_i32 s6, 22
	s_mov_b32 s7, -1
	s_cbranch_scc0 .LBB363_2710
; %bb.2679:
	s_cmp_lt_i32 s6, 24
	s_cbranch_scc1 .LBB363_2699
; %bb.2680:
	s_cmp_gt_i32 s6, 24
	s_cbranch_scc0 .LBB363_2688
; %bb.2681:
	s_wait_xcnt 0x0
	v_cndmask_b32_e64 v4, 0, 1.0, s3
	v_mov_b32_e32 v5, 0x80
	s_mov_b32 s7, exec_lo
	s_delay_alu instid0(VALU_DEP_2)
	v_cmpx_gt_u32_e32 0x47800000, v4
	s_cbranch_execz .LBB363_2687
; %bb.2682:
	s_mov_b32 s8, 0
	s_mov_b32 s9, exec_lo
                                        ; implicit-def: $vgpr1
	v_cmpx_lt_u32_e32 0x37ffffff, v4
	s_xor_b32 s9, exec_lo, s9
	s_cbranch_execz .LBB363_3012
; %bb.2683:
	v_bfe_u32 v1, v4, 21, 1
	s_mov_b32 s8, exec_lo
	s_delay_alu instid0(VALU_DEP_1) | instskip(NEXT) | instid1(VALU_DEP_1)
	v_add3_u32 v1, v4, v1, 0x88fffff
                                        ; implicit-def: $vgpr4
	v_lshrrev_b32_e32 v1, 21, v1
	s_and_not1_saveexec_b32 s9, s9
	s_cbranch_execnz .LBB363_3013
.LBB363_2684:
	s_or_b32 exec_lo, exec_lo, s9
	v_mov_b32_e32 v5, 0
	s_and_saveexec_b32 s9, s8
.LBB363_2685:
	v_mov_b32_e32 v5, v1
.LBB363_2686:
	s_or_b32 exec_lo, exec_lo, s9
.LBB363_2687:
	s_delay_alu instid0(SALU_CYCLE_1)
	s_or_b32 exec_lo, exec_lo, s7
	s_mov_b32 s7, 0
	global_store_b8 v[2:3], v5, off
.LBB363_2688:
	s_and_b32 vcc_lo, exec_lo, s7
	s_cbranch_vccz .LBB363_2698
; %bb.2689:
	s_wait_xcnt 0x0
	v_cndmask_b32_e64 v4, 0, 1.0, s3
	s_mov_b32 s7, exec_lo
                                        ; implicit-def: $vgpr1
	s_delay_alu instid0(VALU_DEP_1)
	v_cmpx_gt_u32_e32 0x43f00000, v4
	s_xor_b32 s7, exec_lo, s7
	s_cbranch_execz .LBB363_2695
; %bb.2690:
	s_mov_b32 s8, exec_lo
                                        ; implicit-def: $vgpr1
	v_cmpx_lt_u32_e32 0x3c7fffff, v4
	s_xor_b32 s8, exec_lo, s8
; %bb.2691:
	v_bfe_u32 v1, v4, 20, 1
	s_delay_alu instid0(VALU_DEP_1) | instskip(NEXT) | instid1(VALU_DEP_1)
	v_add3_u32 v1, v4, v1, 0x407ffff
	v_and_b32_e32 v4, 0xff00000, v1
	v_lshrrev_b32_e32 v1, 20, v1
	s_delay_alu instid0(VALU_DEP_2) | instskip(NEXT) | instid1(VALU_DEP_2)
	v_cmp_ne_u32_e32 vcc_lo, 0x7f00000, v4
                                        ; implicit-def: $vgpr4
	v_cndmask_b32_e32 v1, 0x7e, v1, vcc_lo
; %bb.2692:
	s_and_not1_saveexec_b32 s8, s8
; %bb.2693:
	v_add_f32_e32 v1, 0x46800000, v4
; %bb.2694:
	s_or_b32 exec_lo, exec_lo, s8
                                        ; implicit-def: $vgpr4
.LBB363_2695:
	s_and_not1_saveexec_b32 s7, s7
; %bb.2696:
	v_mov_b32_e32 v1, 0x7f
	v_cmp_lt_u32_e32 vcc_lo, 0x7f800000, v4
	s_delay_alu instid0(VALU_DEP_2)
	v_cndmask_b32_e32 v1, 0x7e, v1, vcc_lo
; %bb.2697:
	s_or_b32 exec_lo, exec_lo, s7
	global_store_b8 v[2:3], v1, off
.LBB363_2698:
	s_mov_b32 s7, 0
.LBB363_2699:
	s_delay_alu instid0(SALU_CYCLE_1)
	s_and_not1_b32 vcc_lo, exec_lo, s7
	s_cbranch_vccnz .LBB363_2709
; %bb.2700:
	s_wait_xcnt 0x0
	v_cndmask_b32_e64 v4, 0, 1.0, s3
	s_mov_b32 s7, exec_lo
                                        ; implicit-def: $vgpr1
	s_delay_alu instid0(VALU_DEP_1)
	v_cmpx_gt_u32_e32 0x47800000, v4
	s_xor_b32 s7, exec_lo, s7
	s_cbranch_execz .LBB363_2706
; %bb.2701:
	s_mov_b32 s8, exec_lo
                                        ; implicit-def: $vgpr1
	v_cmpx_lt_u32_e32 0x387fffff, v4
	s_xor_b32 s8, exec_lo, s8
; %bb.2702:
	v_bfe_u32 v1, v4, 21, 1
	s_delay_alu instid0(VALU_DEP_1) | instskip(NEXT) | instid1(VALU_DEP_1)
	v_add3_u32 v1, v4, v1, 0x80fffff
                                        ; implicit-def: $vgpr4
	v_lshrrev_b32_e32 v1, 21, v1
; %bb.2703:
	s_and_not1_saveexec_b32 s8, s8
; %bb.2704:
	v_add_f32_e32 v1, 0x43000000, v4
; %bb.2705:
	s_or_b32 exec_lo, exec_lo, s8
                                        ; implicit-def: $vgpr4
.LBB363_2706:
	s_and_not1_saveexec_b32 s7, s7
; %bb.2707:
	v_mov_b32_e32 v1, 0x7f
	v_cmp_lt_u32_e32 vcc_lo, 0x7f800000, v4
	s_delay_alu instid0(VALU_DEP_2)
	v_cndmask_b32_e32 v1, 0x7c, v1, vcc_lo
; %bb.2708:
	s_or_b32 exec_lo, exec_lo, s7
	global_store_b8 v[2:3], v1, off
.LBB363_2709:
	s_mov_b32 s7, 0
	s_mov_b32 s8, -1
.LBB363_2710:
	s_and_not1_b32 vcc_lo, exec_lo, s7
	s_mov_b32 s7, 0
	s_cbranch_vccnz .LBB363_2717
; %bb.2711:
	s_cmp_gt_i32 s6, 14
	s_mov_b32 s7, -1
	s_cbranch_scc0 .LBB363_2715
; %bb.2712:
	s_cmp_eq_u32 s6, 15
	s_mov_b32 s0, -1
	s_cbranch_scc0 .LBB363_2714
; %bb.2713:
	s_wait_xcnt 0x0
	v_cndmask_b32_e64 v1, 0, 1.0, s3
	s_mov_b32 s0, 0
	s_mov_b32 s8, -1
	s_delay_alu instid0(VALU_DEP_1) | instskip(NEXT) | instid1(VALU_DEP_1)
	v_bfe_u32 v4, v1, 16, 1
	v_add3_u32 v1, v1, v4, 0x7fff
	global_store_d16_hi_b16 v[2:3], v1, off
.LBB363_2714:
	s_mov_b32 s7, 0
.LBB363_2715:
	s_delay_alu instid0(SALU_CYCLE_1)
	s_and_b32 vcc_lo, exec_lo, s7
	s_mov_b32 s7, 0
	s_cbranch_vccz .LBB363_2717
; %bb.2716:
	s_cmp_lg_u32 s6, 11
	s_mov_b32 s7, -1
	s_cselect_b32 s0, -1, 0
.LBB363_2717:
	s_delay_alu instid0(SALU_CYCLE_1)
	s_and_b32 vcc_lo, exec_lo, s0
	s_cbranch_vccnz .LBB363_3011
; %bb.2718:
	s_and_not1_b32 vcc_lo, exec_lo, s7
	s_cbranch_vccnz .LBB363_2720
.LBB363_2719:
	s_wait_xcnt 0x0
	v_cndmask_b32_e64 v1, 0, 1, s3
	s_mov_b32 s8, -1
	global_store_b8 v[2:3], v1, off
.LBB363_2720:
	s_mov_b32 s0, 0
	s_branch .LBB363_2722
.LBB363_2721:
	s_mov_b32 s0, -1
	s_mov_b32 s8, 0
.LBB363_2722:
	s_and_b32 vcc_lo, exec_lo, s0
	s_cbranch_vccz .LBB363_2761
; %bb.2723:
	s_and_b32 s0, 0xffff, s17
	s_mov_b32 s6, -1
	s_cmp_lt_i32 s0, 5
	s_cbranch_scc1 .LBB363_2744
; %bb.2724:
	s_cmp_lt_i32 s0, 8
	s_cbranch_scc1 .LBB363_2734
; %bb.2725:
	;; [unrolled: 3-line block ×3, first 2 shown]
	s_cmp_gt_i32 s0, 9
	s_cbranch_scc0 .LBB363_2728
; %bb.2727:
	s_wait_xcnt 0x0
	v_cndmask_b32_e64 v1, 0, 1, s3
	v_mov_b32_e32 v6, 0
	s_mov_b32 s6, 0
	s_delay_alu instid0(VALU_DEP_2) | instskip(NEXT) | instid1(VALU_DEP_2)
	v_cvt_f64_u32_e32 v[4:5], v1
	v_mov_b32_e32 v7, v6
	global_store_b128 v[2:3], v[4:7], off
.LBB363_2728:
	s_and_not1_b32 vcc_lo, exec_lo, s6
	s_cbranch_vccnz .LBB363_2730
; %bb.2729:
	s_wait_xcnt 0x0
	v_cndmask_b32_e64 v4, 0, 1.0, s3
	v_mov_b32_e32 v5, 0
	global_store_b64 v[2:3], v[4:5], off
.LBB363_2730:
	s_mov_b32 s6, 0
.LBB363_2731:
	s_delay_alu instid0(SALU_CYCLE_1)
	s_and_not1_b32 vcc_lo, exec_lo, s6
	s_cbranch_vccnz .LBB363_2733
; %bb.2732:
	s_wait_xcnt 0x0
	v_cndmask_b32_e64 v1, 0, 1.0, s3
	s_delay_alu instid0(VALU_DEP_1) | instskip(NEXT) | instid1(VALU_DEP_1)
	v_cvt_f16_f32_e32 v1, v1
	v_and_b32_e32 v1, 0xffff, v1
	global_store_b32 v[2:3], v1, off
.LBB363_2733:
	s_mov_b32 s6, 0
.LBB363_2734:
	s_delay_alu instid0(SALU_CYCLE_1)
	s_and_not1_b32 vcc_lo, exec_lo, s6
	s_cbranch_vccnz .LBB363_2743
; %bb.2735:
	s_cmp_lt_i32 s0, 6
	s_mov_b32 s6, -1
	s_cbranch_scc1 .LBB363_2741
; %bb.2736:
	s_cmp_gt_i32 s0, 6
	s_cbranch_scc0 .LBB363_2738
; %bb.2737:
	s_wait_xcnt 0x0
	v_cndmask_b32_e64 v1, 0, 1, s3
	s_mov_b32 s6, 0
	s_delay_alu instid0(VALU_DEP_1)
	v_cvt_f64_u32_e32 v[4:5], v1
	global_store_b64 v[2:3], v[4:5], off
.LBB363_2738:
	s_and_not1_b32 vcc_lo, exec_lo, s6
	s_cbranch_vccnz .LBB363_2740
; %bb.2739:
	s_wait_xcnt 0x0
	v_cndmask_b32_e64 v1, 0, 1.0, s3
	global_store_b32 v[2:3], v1, off
.LBB363_2740:
	s_mov_b32 s6, 0
.LBB363_2741:
	s_delay_alu instid0(SALU_CYCLE_1)
	s_and_not1_b32 vcc_lo, exec_lo, s6
	s_cbranch_vccnz .LBB363_2743
; %bb.2742:
	s_wait_xcnt 0x0
	v_cndmask_b32_e64 v1, 0, 1.0, s3
	s_delay_alu instid0(VALU_DEP_1)
	v_cvt_f16_f32_e32 v1, v1
	global_store_b16 v[2:3], v1, off
.LBB363_2743:
	s_mov_b32 s6, 0
.LBB363_2744:
	s_delay_alu instid0(SALU_CYCLE_1)
	s_and_not1_b32 vcc_lo, exec_lo, s6
	s_cbranch_vccnz .LBB363_2760
; %bb.2745:
	s_cmp_lt_i32 s0, 2
	s_mov_b32 s6, -1
	s_cbranch_scc1 .LBB363_2755
; %bb.2746:
	s_cmp_lt_i32 s0, 3
	s_cbranch_scc1 .LBB363_2752
; %bb.2747:
	s_cmp_gt_i32 s0, 3
	s_cbranch_scc0 .LBB363_2749
; %bb.2748:
	s_mov_b32 s6, 0
	s_wait_xcnt 0x0
	v_cndmask_b32_e64 v4, 0, 1, s3
	v_mov_b32_e32 v5, s6
	global_store_b64 v[2:3], v[4:5], off
.LBB363_2749:
	s_and_not1_b32 vcc_lo, exec_lo, s6
	s_cbranch_vccnz .LBB363_2751
; %bb.2750:
	s_wait_xcnt 0x0
	v_cndmask_b32_e64 v1, 0, 1, s3
	global_store_b32 v[2:3], v1, off
.LBB363_2751:
	s_mov_b32 s6, 0
.LBB363_2752:
	s_delay_alu instid0(SALU_CYCLE_1)
	s_and_not1_b32 vcc_lo, exec_lo, s6
	s_cbranch_vccnz .LBB363_2754
; %bb.2753:
	s_wait_xcnt 0x0
	v_cndmask_b32_e64 v1, 0, 1, s3
	global_store_b16 v[2:3], v1, off
.LBB363_2754:
	s_mov_b32 s6, 0
.LBB363_2755:
	s_delay_alu instid0(SALU_CYCLE_1)
	s_and_not1_b32 vcc_lo, exec_lo, s6
	s_cbranch_vccnz .LBB363_2760
; %bb.2756:
	s_wait_xcnt 0x0
	v_cndmask_b32_e64 v1, 0, 1, s3
	s_cmp_gt_i32 s0, 0
	s_mov_b32 s0, -1
	s_cbranch_scc0 .LBB363_2758
; %bb.2757:
	s_mov_b32 s0, 0
	global_store_b8 v[2:3], v1, off
.LBB363_2758:
	s_and_not1_b32 vcc_lo, exec_lo, s0
	s_cbranch_vccnz .LBB363_2760
; %bb.2759:
	global_store_b8 v[2:3], v1, off
.LBB363_2760:
	s_mov_b32 s8, -1
.LBB363_2761:
	s_delay_alu instid0(SALU_CYCLE_1)
	s_and_not1_b32 vcc_lo, exec_lo, s8
	s_cbranch_vccnz .LBB363_2957
; %bb.2762:
	v_add_nc_u32_e32 v0, s2, v0
	v_cmp_ne_u64_e32 vcc_lo, v[8:9], v[10:11]
	s_wait_xcnt 0x0
	s_delay_alu instid0(VALU_DEP_2) | instskip(SKIP_2) | instid1(VALU_DEP_1)
	v_ashrrev_i32_e32 v1, 31, v0
	s_xor_b32 s3, s1, vcc_lo
	s_cmp_lt_i32 s17, 11
	v_add_nc_u64_e32 v[2:3], s[4:5], v[0:1]
	s_cbranch_scc1 .LBB363_2840
; %bb.2763:
	s_and_b32 s6, 0xffff, s17
	s_mov_b32 s9, -1
	s_mov_b32 s7, 0
	s_cmp_gt_i32 s6, 25
	s_mov_b32 s8, 0
	s_mov_b32 s0, 0
	s_cbranch_scc0 .LBB363_2796
; %bb.2764:
	s_cmp_gt_i32 s6, 28
	s_cbranch_scc0 .LBB363_2779
; %bb.2765:
	s_cmp_gt_i32 s6, 43
	;; [unrolled: 3-line block ×3, first 2 shown]
	s_cbranch_scc0 .LBB363_2769
; %bb.2767:
	s_mov_b32 s0, -1
	s_mov_b32 s9, 0
	s_cmp_eq_u32 s6, 46
	s_cbranch_scc0 .LBB363_2769
; %bb.2768:
	v_cndmask_b32_e64 v1, 0, 1.0, s3
	s_mov_b32 s0, 0
	s_mov_b32 s8, -1
	s_delay_alu instid0(VALU_DEP_1) | instskip(NEXT) | instid1(VALU_DEP_1)
	v_bfe_u32 v4, v1, 16, 1
	v_add3_u32 v1, v1, v4, 0x7fff
	s_delay_alu instid0(VALU_DEP_1)
	v_lshrrev_b32_e32 v1, 16, v1
	global_store_b32 v[2:3], v1, off
.LBB363_2769:
	s_and_b32 vcc_lo, exec_lo, s9
	s_cbranch_vccz .LBB363_2774
; %bb.2770:
	s_cmp_eq_u32 s6, 44
	s_mov_b32 s0, -1
	s_cbranch_scc0 .LBB363_2774
; %bb.2771:
	v_cndmask_b32_e64 v5, 0, 1.0, s3
	s_mov_b32 s8, exec_lo
	s_wait_xcnt 0x0
	s_delay_alu instid0(VALU_DEP_1) | instskip(NEXT) | instid1(VALU_DEP_1)
	v_dual_mov_b32 v4, 0xff :: v_dual_lshrrev_b32 v1, 23, v5
	v_cmpx_ne_u32_e32 0xff, v1
; %bb.2772:
	v_and_b32_e32 v4, 0x400000, v5
	v_and_or_b32 v5, 0x3fffff, v5, v1
	s_delay_alu instid0(VALU_DEP_2) | instskip(NEXT) | instid1(VALU_DEP_2)
	v_cmp_ne_u32_e32 vcc_lo, 0, v4
	v_cmp_ne_u32_e64 s0, 0, v5
	s_and_b32 s0, vcc_lo, s0
	s_delay_alu instid0(SALU_CYCLE_1) | instskip(NEXT) | instid1(VALU_DEP_1)
	v_cndmask_b32_e64 v4, 0, 1, s0
	v_add_nc_u32_e32 v4, v1, v4
; %bb.2773:
	s_or_b32 exec_lo, exec_lo, s8
	s_mov_b32 s0, 0
	s_mov_b32 s8, -1
	global_store_b8 v[2:3], v4, off
.LBB363_2774:
	s_mov_b32 s9, 0
.LBB363_2775:
	s_delay_alu instid0(SALU_CYCLE_1)
	s_and_b32 vcc_lo, exec_lo, s9
	s_cbranch_vccz .LBB363_2778
; %bb.2776:
	s_cmp_eq_u32 s6, 29
	s_mov_b32 s0, -1
	s_cbranch_scc0 .LBB363_2778
; %bb.2777:
	s_mov_b32 s0, 0
	s_wait_xcnt 0x0
	v_cndmask_b32_e64 v4, 0, 1, s3
	v_mov_b32_e32 v5, s0
	s_mov_b32 s8, -1
	global_store_b64 v[2:3], v[4:5], off
.LBB363_2778:
	s_mov_b32 s9, 0
.LBB363_2779:
	s_delay_alu instid0(SALU_CYCLE_1)
	s_and_b32 vcc_lo, exec_lo, s9
	s_cbranch_vccz .LBB363_2795
; %bb.2780:
	s_cmp_lt_i32 s6, 27
	s_mov_b32 s8, -1
	s_cbranch_scc1 .LBB363_2786
; %bb.2781:
	s_cmp_gt_i32 s6, 27
	s_cbranch_scc0 .LBB363_2783
; %bb.2782:
	s_wait_xcnt 0x0
	v_cndmask_b32_e64 v1, 0, 1, s3
	s_mov_b32 s8, 0
	global_store_b32 v[2:3], v1, off
.LBB363_2783:
	s_and_not1_b32 vcc_lo, exec_lo, s8
	s_cbranch_vccnz .LBB363_2785
; %bb.2784:
	s_wait_xcnt 0x0
	v_cndmask_b32_e64 v1, 0, 1, s3
	global_store_b16 v[2:3], v1, off
.LBB363_2785:
	s_mov_b32 s8, 0
.LBB363_2786:
	s_delay_alu instid0(SALU_CYCLE_1)
	s_and_not1_b32 vcc_lo, exec_lo, s8
	s_cbranch_vccnz .LBB363_2794
; %bb.2787:
	s_wait_xcnt 0x0
	v_cndmask_b32_e64 v4, 0, 1.0, s3
	v_mov_b32_e32 v5, 0x80
	s_mov_b32 s8, exec_lo
	s_delay_alu instid0(VALU_DEP_2)
	v_cmpx_gt_u32_e32 0x43800000, v4
	s_cbranch_execz .LBB363_2793
; %bb.2788:
	s_mov_b32 s9, 0
	s_mov_b32 s10, exec_lo
                                        ; implicit-def: $vgpr1
	v_cmpx_lt_u32_e32 0x3bffffff, v4
	s_xor_b32 s10, exec_lo, s10
	s_cbranch_execz .LBB363_3014
; %bb.2789:
	v_bfe_u32 v1, v4, 20, 1
	s_mov_b32 s9, exec_lo
	s_delay_alu instid0(VALU_DEP_1) | instskip(NEXT) | instid1(VALU_DEP_1)
	v_add3_u32 v1, v4, v1, 0x487ffff
                                        ; implicit-def: $vgpr4
	v_lshrrev_b32_e32 v1, 20, v1
	s_and_not1_saveexec_b32 s10, s10
	s_cbranch_execnz .LBB363_3015
.LBB363_2790:
	s_or_b32 exec_lo, exec_lo, s10
	v_mov_b32_e32 v5, 0
	s_and_saveexec_b32 s10, s9
.LBB363_2791:
	v_mov_b32_e32 v5, v1
.LBB363_2792:
	s_or_b32 exec_lo, exec_lo, s10
.LBB363_2793:
	s_delay_alu instid0(SALU_CYCLE_1)
	s_or_b32 exec_lo, exec_lo, s8
	global_store_b8 v[2:3], v5, off
.LBB363_2794:
	s_mov_b32 s8, -1
.LBB363_2795:
	s_mov_b32 s9, 0
.LBB363_2796:
	s_delay_alu instid0(SALU_CYCLE_1)
	s_and_b32 vcc_lo, exec_lo, s9
	s_cbranch_vccz .LBB363_2836
; %bb.2797:
	s_cmp_gt_i32 s6, 22
	s_mov_b32 s7, -1
	s_cbranch_scc0 .LBB363_2829
; %bb.2798:
	s_cmp_lt_i32 s6, 24
	s_cbranch_scc1 .LBB363_2818
; %bb.2799:
	s_cmp_gt_i32 s6, 24
	s_cbranch_scc0 .LBB363_2807
; %bb.2800:
	s_wait_xcnt 0x0
	v_cndmask_b32_e64 v4, 0, 1.0, s3
	v_mov_b32_e32 v5, 0x80
	s_mov_b32 s7, exec_lo
	s_delay_alu instid0(VALU_DEP_2)
	v_cmpx_gt_u32_e32 0x47800000, v4
	s_cbranch_execz .LBB363_2806
; %bb.2801:
	s_mov_b32 s8, 0
	s_mov_b32 s9, exec_lo
                                        ; implicit-def: $vgpr1
	v_cmpx_lt_u32_e32 0x37ffffff, v4
	s_xor_b32 s9, exec_lo, s9
	s_cbranch_execz .LBB363_3017
; %bb.2802:
	v_bfe_u32 v1, v4, 21, 1
	s_mov_b32 s8, exec_lo
	s_delay_alu instid0(VALU_DEP_1) | instskip(NEXT) | instid1(VALU_DEP_1)
	v_add3_u32 v1, v4, v1, 0x88fffff
                                        ; implicit-def: $vgpr4
	v_lshrrev_b32_e32 v1, 21, v1
	s_and_not1_saveexec_b32 s9, s9
	s_cbranch_execnz .LBB363_3018
.LBB363_2803:
	s_or_b32 exec_lo, exec_lo, s9
	v_mov_b32_e32 v5, 0
	s_and_saveexec_b32 s9, s8
.LBB363_2804:
	v_mov_b32_e32 v5, v1
.LBB363_2805:
	s_or_b32 exec_lo, exec_lo, s9
.LBB363_2806:
	s_delay_alu instid0(SALU_CYCLE_1)
	s_or_b32 exec_lo, exec_lo, s7
	s_mov_b32 s7, 0
	global_store_b8 v[2:3], v5, off
.LBB363_2807:
	s_and_b32 vcc_lo, exec_lo, s7
	s_cbranch_vccz .LBB363_2817
; %bb.2808:
	s_wait_xcnt 0x0
	v_cndmask_b32_e64 v4, 0, 1.0, s3
	s_mov_b32 s7, exec_lo
                                        ; implicit-def: $vgpr1
	s_delay_alu instid0(VALU_DEP_1)
	v_cmpx_gt_u32_e32 0x43f00000, v4
	s_xor_b32 s7, exec_lo, s7
	s_cbranch_execz .LBB363_2814
; %bb.2809:
	s_mov_b32 s8, exec_lo
                                        ; implicit-def: $vgpr1
	v_cmpx_lt_u32_e32 0x3c7fffff, v4
	s_xor_b32 s8, exec_lo, s8
; %bb.2810:
	v_bfe_u32 v1, v4, 20, 1
	s_delay_alu instid0(VALU_DEP_1) | instskip(NEXT) | instid1(VALU_DEP_1)
	v_add3_u32 v1, v4, v1, 0x407ffff
	v_and_b32_e32 v4, 0xff00000, v1
	v_lshrrev_b32_e32 v1, 20, v1
	s_delay_alu instid0(VALU_DEP_2) | instskip(NEXT) | instid1(VALU_DEP_2)
	v_cmp_ne_u32_e32 vcc_lo, 0x7f00000, v4
                                        ; implicit-def: $vgpr4
	v_cndmask_b32_e32 v1, 0x7e, v1, vcc_lo
; %bb.2811:
	s_and_not1_saveexec_b32 s8, s8
; %bb.2812:
	v_add_f32_e32 v1, 0x46800000, v4
; %bb.2813:
	s_or_b32 exec_lo, exec_lo, s8
                                        ; implicit-def: $vgpr4
.LBB363_2814:
	s_and_not1_saveexec_b32 s7, s7
; %bb.2815:
	v_mov_b32_e32 v1, 0x7f
	v_cmp_lt_u32_e32 vcc_lo, 0x7f800000, v4
	s_delay_alu instid0(VALU_DEP_2)
	v_cndmask_b32_e32 v1, 0x7e, v1, vcc_lo
; %bb.2816:
	s_or_b32 exec_lo, exec_lo, s7
	global_store_b8 v[2:3], v1, off
.LBB363_2817:
	s_mov_b32 s7, 0
.LBB363_2818:
	s_delay_alu instid0(SALU_CYCLE_1)
	s_and_not1_b32 vcc_lo, exec_lo, s7
	s_cbranch_vccnz .LBB363_2828
; %bb.2819:
	s_wait_xcnt 0x0
	v_cndmask_b32_e64 v4, 0, 1.0, s3
	s_mov_b32 s7, exec_lo
                                        ; implicit-def: $vgpr1
	s_delay_alu instid0(VALU_DEP_1)
	v_cmpx_gt_u32_e32 0x47800000, v4
	s_xor_b32 s7, exec_lo, s7
	s_cbranch_execz .LBB363_2825
; %bb.2820:
	s_mov_b32 s8, exec_lo
                                        ; implicit-def: $vgpr1
	v_cmpx_lt_u32_e32 0x387fffff, v4
	s_xor_b32 s8, exec_lo, s8
; %bb.2821:
	v_bfe_u32 v1, v4, 21, 1
	s_delay_alu instid0(VALU_DEP_1) | instskip(NEXT) | instid1(VALU_DEP_1)
	v_add3_u32 v1, v4, v1, 0x80fffff
                                        ; implicit-def: $vgpr4
	v_lshrrev_b32_e32 v1, 21, v1
; %bb.2822:
	s_and_not1_saveexec_b32 s8, s8
; %bb.2823:
	v_add_f32_e32 v1, 0x43000000, v4
; %bb.2824:
	s_or_b32 exec_lo, exec_lo, s8
                                        ; implicit-def: $vgpr4
.LBB363_2825:
	s_and_not1_saveexec_b32 s7, s7
; %bb.2826:
	v_mov_b32_e32 v1, 0x7f
	v_cmp_lt_u32_e32 vcc_lo, 0x7f800000, v4
	s_delay_alu instid0(VALU_DEP_2)
	v_cndmask_b32_e32 v1, 0x7c, v1, vcc_lo
; %bb.2827:
	s_or_b32 exec_lo, exec_lo, s7
	global_store_b8 v[2:3], v1, off
.LBB363_2828:
	s_mov_b32 s7, 0
	s_mov_b32 s8, -1
.LBB363_2829:
	s_and_not1_b32 vcc_lo, exec_lo, s7
	s_mov_b32 s7, 0
	s_cbranch_vccnz .LBB363_2836
; %bb.2830:
	s_cmp_gt_i32 s6, 14
	s_mov_b32 s7, -1
	s_cbranch_scc0 .LBB363_2834
; %bb.2831:
	s_cmp_eq_u32 s6, 15
	s_mov_b32 s0, -1
	s_cbranch_scc0 .LBB363_2833
; %bb.2832:
	s_wait_xcnt 0x0
	v_cndmask_b32_e64 v1, 0, 1.0, s3
	s_mov_b32 s0, 0
	s_mov_b32 s8, -1
	s_delay_alu instid0(VALU_DEP_1) | instskip(NEXT) | instid1(VALU_DEP_1)
	v_bfe_u32 v4, v1, 16, 1
	v_add3_u32 v1, v1, v4, 0x7fff
	global_store_d16_hi_b16 v[2:3], v1, off
.LBB363_2833:
	s_mov_b32 s7, 0
.LBB363_2834:
	s_delay_alu instid0(SALU_CYCLE_1)
	s_and_b32 vcc_lo, exec_lo, s7
	s_mov_b32 s7, 0
	s_cbranch_vccz .LBB363_2836
; %bb.2835:
	s_cmp_lg_u32 s6, 11
	s_mov_b32 s7, -1
	s_cselect_b32 s0, -1, 0
.LBB363_2836:
	s_delay_alu instid0(SALU_CYCLE_1)
	s_and_b32 vcc_lo, exec_lo, s0
	s_cbranch_vccnz .LBB363_3016
; %bb.2837:
	s_and_not1_b32 vcc_lo, exec_lo, s7
	s_cbranch_vccnz .LBB363_2839
.LBB363_2838:
	s_wait_xcnt 0x0
	v_cndmask_b32_e64 v1, 0, 1, s3
	s_mov_b32 s8, -1
	global_store_b8 v[2:3], v1, off
.LBB363_2839:
	s_mov_b32 s0, 0
	s_branch .LBB363_2841
.LBB363_2840:
	s_mov_b32 s0, -1
	s_mov_b32 s8, 0
.LBB363_2841:
	s_and_b32 vcc_lo, exec_lo, s0
	s_cbranch_vccz .LBB363_2880
; %bb.2842:
	s_and_b32 s0, 0xffff, s17
	s_mov_b32 s6, -1
	s_cmp_lt_i32 s0, 5
	s_cbranch_scc1 .LBB363_2863
; %bb.2843:
	s_cmp_lt_i32 s0, 8
	s_cbranch_scc1 .LBB363_2853
; %bb.2844:
	;; [unrolled: 3-line block ×3, first 2 shown]
	s_cmp_gt_i32 s0, 9
	s_cbranch_scc0 .LBB363_2847
; %bb.2846:
	s_wait_xcnt 0x0
	v_cndmask_b32_e64 v1, 0, 1, s3
	v_mov_b32_e32 v6, 0
	s_mov_b32 s6, 0
	s_delay_alu instid0(VALU_DEP_2) | instskip(NEXT) | instid1(VALU_DEP_2)
	v_cvt_f64_u32_e32 v[4:5], v1
	v_mov_b32_e32 v7, v6
	global_store_b128 v[2:3], v[4:7], off
.LBB363_2847:
	s_and_not1_b32 vcc_lo, exec_lo, s6
	s_cbranch_vccnz .LBB363_2849
; %bb.2848:
	s_wait_xcnt 0x0
	v_cndmask_b32_e64 v4, 0, 1.0, s3
	v_mov_b32_e32 v5, 0
	global_store_b64 v[2:3], v[4:5], off
.LBB363_2849:
	s_mov_b32 s6, 0
.LBB363_2850:
	s_delay_alu instid0(SALU_CYCLE_1)
	s_and_not1_b32 vcc_lo, exec_lo, s6
	s_cbranch_vccnz .LBB363_2852
; %bb.2851:
	s_wait_xcnt 0x0
	v_cndmask_b32_e64 v1, 0, 1.0, s3
	s_delay_alu instid0(VALU_DEP_1) | instskip(NEXT) | instid1(VALU_DEP_1)
	v_cvt_f16_f32_e32 v1, v1
	v_and_b32_e32 v1, 0xffff, v1
	global_store_b32 v[2:3], v1, off
.LBB363_2852:
	s_mov_b32 s6, 0
.LBB363_2853:
	s_delay_alu instid0(SALU_CYCLE_1)
	s_and_not1_b32 vcc_lo, exec_lo, s6
	s_cbranch_vccnz .LBB363_2862
; %bb.2854:
	s_cmp_lt_i32 s0, 6
	s_mov_b32 s6, -1
	s_cbranch_scc1 .LBB363_2860
; %bb.2855:
	s_cmp_gt_i32 s0, 6
	s_cbranch_scc0 .LBB363_2857
; %bb.2856:
	s_wait_xcnt 0x0
	v_cndmask_b32_e64 v1, 0, 1, s3
	s_mov_b32 s6, 0
	s_delay_alu instid0(VALU_DEP_1)
	v_cvt_f64_u32_e32 v[4:5], v1
	global_store_b64 v[2:3], v[4:5], off
.LBB363_2857:
	s_and_not1_b32 vcc_lo, exec_lo, s6
	s_cbranch_vccnz .LBB363_2859
; %bb.2858:
	s_wait_xcnt 0x0
	v_cndmask_b32_e64 v1, 0, 1.0, s3
	global_store_b32 v[2:3], v1, off
.LBB363_2859:
	s_mov_b32 s6, 0
.LBB363_2860:
	s_delay_alu instid0(SALU_CYCLE_1)
	s_and_not1_b32 vcc_lo, exec_lo, s6
	s_cbranch_vccnz .LBB363_2862
; %bb.2861:
	s_wait_xcnt 0x0
	v_cndmask_b32_e64 v1, 0, 1.0, s3
	s_delay_alu instid0(VALU_DEP_1)
	v_cvt_f16_f32_e32 v1, v1
	global_store_b16 v[2:3], v1, off
.LBB363_2862:
	s_mov_b32 s6, 0
.LBB363_2863:
	s_delay_alu instid0(SALU_CYCLE_1)
	s_and_not1_b32 vcc_lo, exec_lo, s6
	s_cbranch_vccnz .LBB363_2879
; %bb.2864:
	s_cmp_lt_i32 s0, 2
	s_mov_b32 s6, -1
	s_cbranch_scc1 .LBB363_2874
; %bb.2865:
	s_cmp_lt_i32 s0, 3
	s_cbranch_scc1 .LBB363_2871
; %bb.2866:
	s_cmp_gt_i32 s0, 3
	s_cbranch_scc0 .LBB363_2868
; %bb.2867:
	s_mov_b32 s6, 0
	s_wait_xcnt 0x0
	v_cndmask_b32_e64 v4, 0, 1, s3
	v_mov_b32_e32 v5, s6
	global_store_b64 v[2:3], v[4:5], off
.LBB363_2868:
	s_and_not1_b32 vcc_lo, exec_lo, s6
	s_cbranch_vccnz .LBB363_2870
; %bb.2869:
	s_wait_xcnt 0x0
	v_cndmask_b32_e64 v1, 0, 1, s3
	global_store_b32 v[2:3], v1, off
.LBB363_2870:
	s_mov_b32 s6, 0
.LBB363_2871:
	s_delay_alu instid0(SALU_CYCLE_1)
	s_and_not1_b32 vcc_lo, exec_lo, s6
	s_cbranch_vccnz .LBB363_2873
; %bb.2872:
	s_wait_xcnt 0x0
	v_cndmask_b32_e64 v1, 0, 1, s3
	global_store_b16 v[2:3], v1, off
.LBB363_2873:
	s_mov_b32 s6, 0
.LBB363_2874:
	s_delay_alu instid0(SALU_CYCLE_1)
	s_and_not1_b32 vcc_lo, exec_lo, s6
	s_cbranch_vccnz .LBB363_2879
; %bb.2875:
	s_wait_xcnt 0x0
	v_cndmask_b32_e64 v1, 0, 1, s3
	s_cmp_gt_i32 s0, 0
	s_mov_b32 s0, -1
	s_cbranch_scc0 .LBB363_2877
; %bb.2876:
	s_mov_b32 s0, 0
	global_store_b8 v[2:3], v1, off
.LBB363_2877:
	s_and_not1_b32 vcc_lo, exec_lo, s0
	s_cbranch_vccnz .LBB363_2879
; %bb.2878:
	global_store_b8 v[2:3], v1, off
.LBB363_2879:
	s_mov_b32 s8, -1
.LBB363_2880:
	s_delay_alu instid0(SALU_CYCLE_1)
	s_and_not1_b32 vcc_lo, exec_lo, s8
	s_cbranch_vccnz .LBB363_2957
; %bb.2881:
	v_add_nc_u32_e32 v0, s2, v0
	v_cmp_ne_u64_e32 vcc_lo, v[12:13], v[14:15]
	s_wait_xcnt 0x0
	s_delay_alu instid0(VALU_DEP_2) | instskip(SKIP_2) | instid1(VALU_DEP_1)
	v_ashrrev_i32_e32 v1, 31, v0
	s_xor_b32 s18, s1, vcc_lo
	s_cmp_lt_i32 s17, 11
	v_add_nc_u64_e32 v[0:1], s[4:5], v[0:1]
	s_cbranch_scc1 .LBB363_3002
; %bb.2882:
	s_and_b32 s1, 0xffff, s17
	s_mov_b32 s3, -1
	s_mov_b32 s2, 0
	s_cmp_gt_i32 s1, 25
	s_mov_b32 s0, 0
	s_cbranch_scc0 .LBB363_2915
; %bb.2883:
	s_cmp_gt_i32 s1, 28
	s_cbranch_scc0 .LBB363_2899
; %bb.2884:
	s_cmp_gt_i32 s1, 43
	;; [unrolled: 3-line block ×3, first 2 shown]
	s_cbranch_scc0 .LBB363_2889
; %bb.2886:
	s_cmp_eq_u32 s1, 46
	s_mov_b32 s0, -1
	s_cbranch_scc0 .LBB363_2888
; %bb.2887:
	v_cndmask_b32_e64 v2, 0, 1.0, s18
	s_mov_b32 s0, 0
	s_delay_alu instid0(VALU_DEP_1) | instskip(NEXT) | instid1(VALU_DEP_1)
	v_bfe_u32 v3, v2, 16, 1
	v_add3_u32 v2, v2, v3, 0x7fff
	s_delay_alu instid0(VALU_DEP_1)
	v_lshrrev_b32_e32 v2, 16, v2
	global_store_b32 v[0:1], v2, off
.LBB363_2888:
	s_mov_b32 s3, 0
.LBB363_2889:
	s_delay_alu instid0(SALU_CYCLE_1)
	s_and_b32 vcc_lo, exec_lo, s3
	s_cbranch_vccz .LBB363_2894
; %bb.2890:
	s_cmp_eq_u32 s1, 44
	s_mov_b32 s0, -1
	s_cbranch_scc0 .LBB363_2894
; %bb.2891:
	v_cndmask_b32_e64 v4, 0, 1.0, s18
	s_mov_b32 s3, exec_lo
	s_wait_xcnt 0x0
	s_delay_alu instid0(VALU_DEP_1) | instskip(NEXT) | instid1(VALU_DEP_1)
	v_dual_mov_b32 v3, 0xff :: v_dual_lshrrev_b32 v2, 23, v4
	v_cmpx_ne_u32_e32 0xff, v2
; %bb.2892:
	v_and_b32_e32 v3, 0x400000, v4
	v_and_or_b32 v4, 0x3fffff, v4, v2
	s_delay_alu instid0(VALU_DEP_2) | instskip(NEXT) | instid1(VALU_DEP_2)
	v_cmp_ne_u32_e32 vcc_lo, 0, v3
	v_cmp_ne_u32_e64 s0, 0, v4
	s_and_b32 s0, vcc_lo, s0
	s_delay_alu instid0(SALU_CYCLE_1) | instskip(NEXT) | instid1(VALU_DEP_1)
	v_cndmask_b32_e64 v3, 0, 1, s0
	v_add_nc_u32_e32 v3, v2, v3
; %bb.2893:
	s_or_b32 exec_lo, exec_lo, s3
	s_mov_b32 s0, 0
	global_store_b8 v[0:1], v3, off
.LBB363_2894:
	s_mov_b32 s3, 0
.LBB363_2895:
	s_delay_alu instid0(SALU_CYCLE_1)
	s_and_b32 vcc_lo, exec_lo, s3
	s_cbranch_vccz .LBB363_2898
; %bb.2896:
	s_cmp_eq_u32 s1, 29
	s_mov_b32 s0, -1
	s_cbranch_scc0 .LBB363_2898
; %bb.2897:
	s_mov_b32 s0, 0
	s_wait_xcnt 0x0
	v_cndmask_b32_e64 v2, 0, 1, s18
	v_mov_b32_e32 v3, s0
	global_store_b64 v[0:1], v[2:3], off
.LBB363_2898:
	s_mov_b32 s3, 0
.LBB363_2899:
	s_delay_alu instid0(SALU_CYCLE_1)
	s_and_b32 vcc_lo, exec_lo, s3
	s_cbranch_vccz .LBB363_2914
; %bb.2900:
	s_cmp_lt_i32 s1, 27
	s_mov_b32 s3, -1
	s_cbranch_scc1 .LBB363_2906
; %bb.2901:
	s_wait_xcnt 0x0
	v_cndmask_b32_e64 v2, 0, 1, s18
	s_cmp_gt_i32 s1, 27
	s_cbranch_scc0 .LBB363_2903
; %bb.2902:
	s_mov_b32 s3, 0
	global_store_b32 v[0:1], v2, off
.LBB363_2903:
	s_and_not1_b32 vcc_lo, exec_lo, s3
	s_cbranch_vccnz .LBB363_2905
; %bb.2904:
	global_store_b16 v[0:1], v2, off
.LBB363_2905:
	s_mov_b32 s3, 0
.LBB363_2906:
	s_delay_alu instid0(SALU_CYCLE_1)
	s_and_not1_b32 vcc_lo, exec_lo, s3
	s_cbranch_vccnz .LBB363_2914
; %bb.2907:
	s_wait_xcnt 0x0
	v_cndmask_b32_e64 v3, 0, 1.0, s18
	v_mov_b32_e32 v4, 0x80
	s_mov_b32 s3, exec_lo
	s_delay_alu instid0(VALU_DEP_2)
	v_cmpx_gt_u32_e32 0x43800000, v3
	s_cbranch_execz .LBB363_2913
; %bb.2908:
	s_mov_b32 s4, 0
	s_mov_b32 s5, exec_lo
                                        ; implicit-def: $vgpr2
	v_cmpx_lt_u32_e32 0x3bffffff, v3
	s_xor_b32 s5, exec_lo, s5
	s_cbranch_execz .LBB363_3019
; %bb.2909:
	v_bfe_u32 v2, v3, 20, 1
	s_mov_b32 s4, exec_lo
	s_delay_alu instid0(VALU_DEP_1) | instskip(NEXT) | instid1(VALU_DEP_1)
	v_add3_u32 v2, v3, v2, 0x487ffff
                                        ; implicit-def: $vgpr3
	v_lshrrev_b32_e32 v2, 20, v2
	s_and_not1_saveexec_b32 s5, s5
	s_cbranch_execnz .LBB363_3020
.LBB363_2910:
	s_or_b32 exec_lo, exec_lo, s5
	v_mov_b32_e32 v4, 0
	s_and_saveexec_b32 s5, s4
.LBB363_2911:
	v_mov_b32_e32 v4, v2
.LBB363_2912:
	s_or_b32 exec_lo, exec_lo, s5
.LBB363_2913:
	s_delay_alu instid0(SALU_CYCLE_1)
	s_or_b32 exec_lo, exec_lo, s3
	global_store_b8 v[0:1], v4, off
.LBB363_2914:
	s_mov_b32 s3, 0
.LBB363_2915:
	s_delay_alu instid0(SALU_CYCLE_1)
	s_and_b32 vcc_lo, exec_lo, s3
	s_cbranch_vccz .LBB363_2955
; %bb.2916:
	s_cmp_gt_i32 s1, 22
	s_mov_b32 s2, -1
	s_cbranch_scc0 .LBB363_2948
; %bb.2917:
	s_cmp_lt_i32 s1, 24
	s_cbranch_scc1 .LBB363_2937
; %bb.2918:
	s_cmp_gt_i32 s1, 24
	s_cbranch_scc0 .LBB363_2926
; %bb.2919:
	s_wait_xcnt 0x0
	v_cndmask_b32_e64 v3, 0, 1.0, s18
	v_mov_b32_e32 v4, 0x80
	s_mov_b32 s2, exec_lo
	s_delay_alu instid0(VALU_DEP_2)
	v_cmpx_gt_u32_e32 0x47800000, v3
	s_cbranch_execz .LBB363_2925
; %bb.2920:
	s_mov_b32 s3, 0
	s_mov_b32 s4, exec_lo
                                        ; implicit-def: $vgpr2
	v_cmpx_lt_u32_e32 0x37ffffff, v3
	s_xor_b32 s4, exec_lo, s4
	s_cbranch_execz .LBB363_3022
; %bb.2921:
	v_bfe_u32 v2, v3, 21, 1
	s_mov_b32 s3, exec_lo
	s_delay_alu instid0(VALU_DEP_1) | instskip(NEXT) | instid1(VALU_DEP_1)
	v_add3_u32 v2, v3, v2, 0x88fffff
                                        ; implicit-def: $vgpr3
	v_lshrrev_b32_e32 v2, 21, v2
	s_and_not1_saveexec_b32 s4, s4
	s_cbranch_execnz .LBB363_3023
.LBB363_2922:
	s_or_b32 exec_lo, exec_lo, s4
	v_mov_b32_e32 v4, 0
	s_and_saveexec_b32 s4, s3
.LBB363_2923:
	v_mov_b32_e32 v4, v2
.LBB363_2924:
	s_or_b32 exec_lo, exec_lo, s4
.LBB363_2925:
	s_delay_alu instid0(SALU_CYCLE_1)
	s_or_b32 exec_lo, exec_lo, s2
	s_mov_b32 s2, 0
	global_store_b8 v[0:1], v4, off
.LBB363_2926:
	s_and_b32 vcc_lo, exec_lo, s2
	s_cbranch_vccz .LBB363_2936
; %bb.2927:
	s_wait_xcnt 0x0
	v_cndmask_b32_e64 v3, 0, 1.0, s18
	s_mov_b32 s2, exec_lo
                                        ; implicit-def: $vgpr2
	s_delay_alu instid0(VALU_DEP_1)
	v_cmpx_gt_u32_e32 0x43f00000, v3
	s_xor_b32 s2, exec_lo, s2
	s_cbranch_execz .LBB363_2933
; %bb.2928:
	s_mov_b32 s3, exec_lo
                                        ; implicit-def: $vgpr2
	v_cmpx_lt_u32_e32 0x3c7fffff, v3
	s_xor_b32 s3, exec_lo, s3
; %bb.2929:
	v_bfe_u32 v2, v3, 20, 1
	s_delay_alu instid0(VALU_DEP_1) | instskip(NEXT) | instid1(VALU_DEP_1)
	v_add3_u32 v2, v3, v2, 0x407ffff
	v_and_b32_e32 v3, 0xff00000, v2
	v_lshrrev_b32_e32 v2, 20, v2
	s_delay_alu instid0(VALU_DEP_2) | instskip(NEXT) | instid1(VALU_DEP_2)
	v_cmp_ne_u32_e32 vcc_lo, 0x7f00000, v3
                                        ; implicit-def: $vgpr3
	v_cndmask_b32_e32 v2, 0x7e, v2, vcc_lo
; %bb.2930:
	s_and_not1_saveexec_b32 s3, s3
; %bb.2931:
	v_add_f32_e32 v2, 0x46800000, v3
; %bb.2932:
	s_or_b32 exec_lo, exec_lo, s3
                                        ; implicit-def: $vgpr3
.LBB363_2933:
	s_and_not1_saveexec_b32 s2, s2
; %bb.2934:
	v_mov_b32_e32 v2, 0x7f
	v_cmp_lt_u32_e32 vcc_lo, 0x7f800000, v3
	s_delay_alu instid0(VALU_DEP_2)
	v_cndmask_b32_e32 v2, 0x7e, v2, vcc_lo
; %bb.2935:
	s_or_b32 exec_lo, exec_lo, s2
	global_store_b8 v[0:1], v2, off
.LBB363_2936:
	s_mov_b32 s2, 0
.LBB363_2937:
	s_delay_alu instid0(SALU_CYCLE_1)
	s_and_not1_b32 vcc_lo, exec_lo, s2
	s_cbranch_vccnz .LBB363_2947
; %bb.2938:
	s_wait_xcnt 0x0
	v_cndmask_b32_e64 v3, 0, 1.0, s18
	s_mov_b32 s2, exec_lo
                                        ; implicit-def: $vgpr2
	s_delay_alu instid0(VALU_DEP_1)
	v_cmpx_gt_u32_e32 0x47800000, v3
	s_xor_b32 s2, exec_lo, s2
	s_cbranch_execz .LBB363_2944
; %bb.2939:
	s_mov_b32 s3, exec_lo
                                        ; implicit-def: $vgpr2
	v_cmpx_lt_u32_e32 0x387fffff, v3
	s_xor_b32 s3, exec_lo, s3
; %bb.2940:
	v_bfe_u32 v2, v3, 21, 1
	s_delay_alu instid0(VALU_DEP_1) | instskip(NEXT) | instid1(VALU_DEP_1)
	v_add3_u32 v2, v3, v2, 0x80fffff
                                        ; implicit-def: $vgpr3
	v_lshrrev_b32_e32 v2, 21, v2
; %bb.2941:
	s_and_not1_saveexec_b32 s3, s3
; %bb.2942:
	v_add_f32_e32 v2, 0x43000000, v3
; %bb.2943:
	s_or_b32 exec_lo, exec_lo, s3
                                        ; implicit-def: $vgpr3
.LBB363_2944:
	s_and_not1_saveexec_b32 s2, s2
; %bb.2945:
	v_mov_b32_e32 v2, 0x7f
	v_cmp_lt_u32_e32 vcc_lo, 0x7f800000, v3
	s_delay_alu instid0(VALU_DEP_2)
	v_cndmask_b32_e32 v2, 0x7c, v2, vcc_lo
; %bb.2946:
	s_or_b32 exec_lo, exec_lo, s2
	global_store_b8 v[0:1], v2, off
.LBB363_2947:
	s_mov_b32 s2, 0
.LBB363_2948:
	s_delay_alu instid0(SALU_CYCLE_1)
	s_and_not1_b32 vcc_lo, exec_lo, s2
	s_mov_b32 s2, 0
	s_cbranch_vccnz .LBB363_2955
; %bb.2949:
	s_cmp_gt_i32 s1, 14
	s_mov_b32 s2, -1
	s_cbranch_scc0 .LBB363_2953
; %bb.2950:
	s_cmp_eq_u32 s1, 15
	s_mov_b32 s0, -1
	s_cbranch_scc0 .LBB363_2952
; %bb.2951:
	s_wait_xcnt 0x0
	v_cndmask_b32_e64 v2, 0, 1.0, s18
	s_mov_b32 s0, 0
	s_delay_alu instid0(VALU_DEP_1) | instskip(NEXT) | instid1(VALU_DEP_1)
	v_bfe_u32 v3, v2, 16, 1
	v_add3_u32 v2, v2, v3, 0x7fff
	global_store_d16_hi_b16 v[0:1], v2, off
.LBB363_2952:
	s_mov_b32 s2, 0
.LBB363_2953:
	s_delay_alu instid0(SALU_CYCLE_1)
	s_and_b32 vcc_lo, exec_lo, s2
	s_mov_b32 s2, 0
	s_cbranch_vccz .LBB363_2955
; %bb.2954:
	s_cmp_lg_u32 s1, 11
	s_mov_b32 s2, -1
	s_cselect_b32 s0, -1, 0
.LBB363_2955:
	s_delay_alu instid0(SALU_CYCLE_1)
	s_and_b32 vcc_lo, exec_lo, s0
	s_cbranch_vccnz .LBB363_3021
.LBB363_2956:
	s_mov_b32 s0, 0
	s_branch .LBB363_2958
.LBB363_2957:
	s_mov_b32 s0, 0
	s_mov_b32 s2, 0
                                        ; implicit-def: $sgpr18
                                        ; implicit-def: $sgpr17
                                        ; implicit-def: $vgpr0_vgpr1
.LBB363_2958:
	s_and_not1_b32 s1, s16, exec_lo
	s_and_b32 s3, s13, exec_lo
	s_and_b32 s0, s0, exec_lo
	s_and_b32 s13, s2, exec_lo
	s_or_b32 s16, s1, s3
.LBB363_2959:
	s_wait_xcnt 0x0
	s_or_b32 exec_lo, exec_lo, s15
	s_and_saveexec_b32 s1, s16
	s_cbranch_execz .LBB363_2962
; %bb.2960:
	; divergent unreachable
	s_or_b32 exec_lo, exec_lo, s1
	s_and_saveexec_b32 s1, s13
	s_delay_alu instid0(SALU_CYCLE_1)
	s_xor_b32 s1, exec_lo, s1
	s_cbranch_execnz .LBB363_2963
.LBB363_2961:
	s_or_b32 exec_lo, exec_lo, s1
	s_and_saveexec_b32 s1, s0
	s_cbranch_execnz .LBB363_2964
	s_branch .LBB363_3001
.LBB363_2962:
	s_or_b32 exec_lo, exec_lo, s1
	s_and_saveexec_b32 s1, s13
	s_delay_alu instid0(SALU_CYCLE_1)
	s_xor_b32 s1, exec_lo, s1
	s_cbranch_execz .LBB363_2961
.LBB363_2963:
	s_wait_loadcnt 0x0
	v_cndmask_b32_e64 v2, 0, 1, s18
	global_store_b8 v[0:1], v2, off
	s_wait_xcnt 0x0
	s_or_b32 exec_lo, exec_lo, s1
	s_and_saveexec_b32 s1, s0
	s_cbranch_execz .LBB363_3001
.LBB363_2964:
	s_sext_i32_i16 s1, s17
	s_mov_b32 s0, -1
	s_cmp_lt_i32 s1, 5
	s_cbranch_scc1 .LBB363_2985
; %bb.2965:
	s_cmp_lt_i32 s1, 8
	s_cbranch_scc1 .LBB363_2975
; %bb.2966:
	s_cmp_lt_i32 s1, 9
	s_cbranch_scc1 .LBB363_2972
; %bb.2967:
	s_cmp_gt_i32 s1, 9
	s_cbranch_scc0 .LBB363_2969
; %bb.2968:
	s_wait_loadcnt 0x0
	v_cndmask_b32_e64 v2, 0, 1, s18
	v_mov_b32_e32 v4, 0
	s_mov_b32 s0, 0
	s_delay_alu instid0(VALU_DEP_2) | instskip(NEXT) | instid1(VALU_DEP_2)
	v_cvt_f64_u32_e32 v[2:3], v2
	v_mov_b32_e32 v5, v4
	global_store_b128 v[0:1], v[2:5], off
.LBB363_2969:
	s_and_not1_b32 vcc_lo, exec_lo, s0
	s_cbranch_vccnz .LBB363_2971
; %bb.2970:
	s_wait_loadcnt 0x0
	v_cndmask_b32_e64 v2, 0, 1.0, s18
	v_mov_b32_e32 v3, 0
	global_store_b64 v[0:1], v[2:3], off
.LBB363_2971:
	s_mov_b32 s0, 0
.LBB363_2972:
	s_delay_alu instid0(SALU_CYCLE_1)
	s_and_not1_b32 vcc_lo, exec_lo, s0
	s_cbranch_vccnz .LBB363_2974
; %bb.2973:
	s_wait_loadcnt 0x0
	v_cndmask_b32_e64 v2, 0, 1.0, s18
	s_delay_alu instid0(VALU_DEP_1) | instskip(NEXT) | instid1(VALU_DEP_1)
	v_cvt_f16_f32_e32 v2, v2
	v_and_b32_e32 v2, 0xffff, v2
	global_store_b32 v[0:1], v2, off
.LBB363_2974:
	s_mov_b32 s0, 0
.LBB363_2975:
	s_delay_alu instid0(SALU_CYCLE_1)
	s_and_not1_b32 vcc_lo, exec_lo, s0
	s_cbranch_vccnz .LBB363_2984
; %bb.2976:
	s_sext_i32_i16 s1, s17
	s_mov_b32 s0, -1
	s_cmp_lt_i32 s1, 6
	s_cbranch_scc1 .LBB363_2982
; %bb.2977:
	s_cmp_gt_i32 s1, 6
	s_cbranch_scc0 .LBB363_2979
; %bb.2978:
	s_wait_loadcnt 0x0
	v_cndmask_b32_e64 v2, 0, 1, s18
	s_mov_b32 s0, 0
	s_delay_alu instid0(VALU_DEP_1)
	v_cvt_f64_u32_e32 v[2:3], v2
	global_store_b64 v[0:1], v[2:3], off
.LBB363_2979:
	s_and_not1_b32 vcc_lo, exec_lo, s0
	s_cbranch_vccnz .LBB363_2981
; %bb.2980:
	s_wait_loadcnt 0x0
	v_cndmask_b32_e64 v2, 0, 1.0, s18
	global_store_b32 v[0:1], v2, off
.LBB363_2981:
	s_mov_b32 s0, 0
.LBB363_2982:
	s_delay_alu instid0(SALU_CYCLE_1)
	s_and_not1_b32 vcc_lo, exec_lo, s0
	s_cbranch_vccnz .LBB363_2984
; %bb.2983:
	s_wait_loadcnt 0x0
	v_cndmask_b32_e64 v2, 0, 1.0, s18
	s_delay_alu instid0(VALU_DEP_1)
	v_cvt_f16_f32_e32 v2, v2
	global_store_b16 v[0:1], v2, off
.LBB363_2984:
	s_mov_b32 s0, 0
.LBB363_2985:
	s_delay_alu instid0(SALU_CYCLE_1)
	s_and_not1_b32 vcc_lo, exec_lo, s0
	s_cbranch_vccnz .LBB363_3001
; %bb.2986:
	s_sext_i32_i16 s1, s17
	s_mov_b32 s0, -1
	s_cmp_lt_i32 s1, 2
	s_cbranch_scc1 .LBB363_2996
; %bb.2987:
	s_cmp_lt_i32 s1, 3
	s_cbranch_scc1 .LBB363_2993
; %bb.2988:
	s_cmp_gt_i32 s1, 3
	s_cbranch_scc0 .LBB363_2990
; %bb.2989:
	s_mov_b32 s0, 0
	s_wait_loadcnt 0x0
	v_cndmask_b32_e64 v2, 0, 1, s18
	v_mov_b32_e32 v3, s0
	global_store_b64 v[0:1], v[2:3], off
.LBB363_2990:
	s_and_not1_b32 vcc_lo, exec_lo, s0
	s_cbranch_vccnz .LBB363_2992
; %bb.2991:
	s_wait_loadcnt 0x0
	v_cndmask_b32_e64 v2, 0, 1, s18
	global_store_b32 v[0:1], v2, off
.LBB363_2992:
	s_mov_b32 s0, 0
.LBB363_2993:
	s_delay_alu instid0(SALU_CYCLE_1)
	s_and_not1_b32 vcc_lo, exec_lo, s0
	s_cbranch_vccnz .LBB363_2995
; %bb.2994:
	s_wait_loadcnt 0x0
	v_cndmask_b32_e64 v2, 0, 1, s18
	global_store_b16 v[0:1], v2, off
.LBB363_2995:
	s_mov_b32 s0, 0
.LBB363_2996:
	s_delay_alu instid0(SALU_CYCLE_1)
	s_and_not1_b32 vcc_lo, exec_lo, s0
	s_cbranch_vccnz .LBB363_3001
; %bb.2997:
	s_wait_loadcnt 0x0
	v_cndmask_b32_e64 v2, 0, 1, s18
	s_sext_i32_i16 s0, s17
	s_delay_alu instid0(SALU_CYCLE_1)
	s_cmp_gt_i32 s0, 0
	s_mov_b32 s0, -1
	s_cbranch_scc0 .LBB363_2999
; %bb.2998:
	s_mov_b32 s0, 0
	global_store_b8 v[0:1], v2, off
.LBB363_2999:
	s_and_not1_b32 vcc_lo, exec_lo, s0
	s_cbranch_vccnz .LBB363_3001
; %bb.3000:
	global_store_b8 v[0:1], v2, off
	s_endpgm
.LBB363_3001:
	s_endpgm
.LBB363_3002:
	s_mov_b32 s2, 0
	s_mov_b32 s0, -1
	s_branch .LBB363_2958
.LBB363_3003:
	s_or_b32 s13, s13, exec_lo
	s_trap 2
	s_cbranch_execz .LBB363_2473
	s_branch .LBB363_2474
.LBB363_3004:
	s_and_not1_saveexec_b32 s10, s10
	s_cbranch_execz .LBB363_2553
.LBB363_3005:
	v_add_f32_e32 v2, 0x46000000, v3
	s_and_not1_b32 s9, s9, exec_lo
	s_delay_alu instid0(VALU_DEP_1) | instskip(NEXT) | instid1(VALU_DEP_1)
	v_and_b32_e32 v2, 0xff, v2
	v_cmp_ne_u32_e32 vcc_lo, 0, v2
	s_and_b32 s11, vcc_lo, exec_lo
	s_delay_alu instid0(SALU_CYCLE_1)
	s_or_b32 s9, s9, s11
	s_or_b32 exec_lo, exec_lo, s10
	v_mov_b32_e32 v17, 0
	s_and_saveexec_b32 s10, s9
	s_cbranch_execnz .LBB363_2554
	s_branch .LBB363_2555
.LBB363_3006:
	s_or_b32 s13, s13, exec_lo
	s_trap 2
	s_cbranch_execz .LBB363_2601
	s_branch .LBB363_2602
.LBB363_3007:
	s_and_not1_saveexec_b32 s9, s9
	s_cbranch_execz .LBB363_2566
.LBB363_3008:
	v_add_f32_e32 v2, 0x42800000, v3
	s_and_not1_b32 s7, s7, exec_lo
	s_delay_alu instid0(VALU_DEP_1) | instskip(NEXT) | instid1(VALU_DEP_1)
	v_and_b32_e32 v2, 0xff, v2
	v_cmp_ne_u32_e32 vcc_lo, 0, v2
	s_and_b32 s10, vcc_lo, exec_lo
	s_delay_alu instid0(SALU_CYCLE_1)
	s_or_b32 s7, s7, s10
	s_or_b32 exec_lo, exec_lo, s9
	v_mov_b32_e32 v17, 0
	s_and_saveexec_b32 s9, s7
	s_cbranch_execnz .LBB363_2567
	s_branch .LBB363_2568
.LBB363_3009:
	s_and_not1_saveexec_b32 s10, s10
	s_cbranch_execz .LBB363_2671
.LBB363_3010:
	v_add_f32_e32 v1, 0x46000000, v4
	s_and_not1_b32 s9, s9, exec_lo
	s_delay_alu instid0(VALU_DEP_1) | instskip(NEXT) | instid1(VALU_DEP_1)
	v_and_b32_e32 v1, 0xff, v1
	v_cmp_ne_u32_e32 vcc_lo, 0, v1
	s_and_b32 s11, vcc_lo, exec_lo
	s_delay_alu instid0(SALU_CYCLE_1)
	s_or_b32 s9, s9, s11
	s_or_b32 exec_lo, exec_lo, s10
	v_mov_b32_e32 v5, 0
	s_and_saveexec_b32 s10, s9
	s_cbranch_execnz .LBB363_2672
	s_branch .LBB363_2673
.LBB363_3011:
	s_or_b32 s13, s13, exec_lo
	s_trap 2
	s_cbranch_execz .LBB363_2719
	s_branch .LBB363_2720
.LBB363_3012:
	s_and_not1_saveexec_b32 s9, s9
	s_cbranch_execz .LBB363_2684
.LBB363_3013:
	v_add_f32_e32 v1, 0x42800000, v4
	s_and_not1_b32 s8, s8, exec_lo
	s_delay_alu instid0(VALU_DEP_1) | instskip(NEXT) | instid1(VALU_DEP_1)
	v_and_b32_e32 v1, 0xff, v1
	v_cmp_ne_u32_e32 vcc_lo, 0, v1
	s_and_b32 s10, vcc_lo, exec_lo
	s_delay_alu instid0(SALU_CYCLE_1)
	s_or_b32 s8, s8, s10
	s_or_b32 exec_lo, exec_lo, s9
	v_mov_b32_e32 v5, 0
	s_and_saveexec_b32 s9, s8
	s_cbranch_execnz .LBB363_2685
	s_branch .LBB363_2686
.LBB363_3014:
	s_and_not1_saveexec_b32 s10, s10
	s_cbranch_execz .LBB363_2790
.LBB363_3015:
	v_add_f32_e32 v1, 0x46000000, v4
	s_and_not1_b32 s9, s9, exec_lo
	s_delay_alu instid0(VALU_DEP_1) | instskip(NEXT) | instid1(VALU_DEP_1)
	v_and_b32_e32 v1, 0xff, v1
	v_cmp_ne_u32_e32 vcc_lo, 0, v1
	s_and_b32 s11, vcc_lo, exec_lo
	s_delay_alu instid0(SALU_CYCLE_1)
	s_or_b32 s9, s9, s11
	s_or_b32 exec_lo, exec_lo, s10
	v_mov_b32_e32 v5, 0
	s_and_saveexec_b32 s10, s9
	s_cbranch_execnz .LBB363_2791
	s_branch .LBB363_2792
.LBB363_3016:
	s_or_b32 s13, s13, exec_lo
	s_trap 2
	s_cbranch_execz .LBB363_2838
	s_branch .LBB363_2839
.LBB363_3017:
	s_and_not1_saveexec_b32 s9, s9
	s_cbranch_execz .LBB363_2803
.LBB363_3018:
	v_add_f32_e32 v1, 0x42800000, v4
	s_and_not1_b32 s8, s8, exec_lo
	s_delay_alu instid0(VALU_DEP_1) | instskip(NEXT) | instid1(VALU_DEP_1)
	v_and_b32_e32 v1, 0xff, v1
	v_cmp_ne_u32_e32 vcc_lo, 0, v1
	s_and_b32 s10, vcc_lo, exec_lo
	s_delay_alu instid0(SALU_CYCLE_1)
	s_or_b32 s8, s8, s10
	s_or_b32 exec_lo, exec_lo, s9
	v_mov_b32_e32 v5, 0
	s_and_saveexec_b32 s9, s8
	s_cbranch_execnz .LBB363_2804
	s_branch .LBB363_2805
.LBB363_3019:
	s_and_not1_saveexec_b32 s5, s5
	s_cbranch_execz .LBB363_2910
.LBB363_3020:
	v_add_f32_e32 v2, 0x46000000, v3
	s_and_not1_b32 s4, s4, exec_lo
	s_delay_alu instid0(VALU_DEP_1) | instskip(NEXT) | instid1(VALU_DEP_1)
	v_and_b32_e32 v2, 0xff, v2
	v_cmp_ne_u32_e32 vcc_lo, 0, v2
	s_and_b32 s6, vcc_lo, exec_lo
	s_delay_alu instid0(SALU_CYCLE_1)
	s_or_b32 s4, s4, s6
	s_or_b32 exec_lo, exec_lo, s5
	v_mov_b32_e32 v4, 0
	s_and_saveexec_b32 s5, s4
	s_cbranch_execnz .LBB363_2911
	s_branch .LBB363_2912
.LBB363_3021:
	s_mov_b32 s2, 0
	s_or_b32 s13, s13, exec_lo
	s_trap 2
	s_branch .LBB363_2956
.LBB363_3022:
	s_and_not1_saveexec_b32 s4, s4
	s_cbranch_execz .LBB363_2922
.LBB363_3023:
	v_add_f32_e32 v2, 0x42800000, v3
	s_and_not1_b32 s3, s3, exec_lo
	s_delay_alu instid0(VALU_DEP_1) | instskip(NEXT) | instid1(VALU_DEP_1)
	v_and_b32_e32 v2, 0xff, v2
	v_cmp_ne_u32_e32 vcc_lo, 0, v2
	s_and_b32 s5, vcc_lo, exec_lo
	s_delay_alu instid0(SALU_CYCLE_1)
	s_or_b32 s3, s3, s5
	s_or_b32 exec_lo, exec_lo, s4
	v_mov_b32_e32 v4, 0
	s_and_saveexec_b32 s4, s3
	s_cbranch_execnz .LBB363_2923
	s_branch .LBB363_2924
	.section	.rodata,"a",@progbits
	.p2align	6, 0x0
	.amdhsa_kernel _ZN2at6native32elementwise_kernel_manual_unrollILi128ELi4EZNS0_15gpu_kernel_implINS0_13BinaryFunctorImmbNS0_12_GLOBAL__N_116CompareEqFunctorImEEEEEEvRNS_18TensorIteratorBaseERKT_EUlibE_EEviT1_
		.amdhsa_group_segment_fixed_size 0
		.amdhsa_private_segment_fixed_size 0
		.amdhsa_kernarg_size 56
		.amdhsa_user_sgpr_count 2
		.amdhsa_user_sgpr_dispatch_ptr 0
		.amdhsa_user_sgpr_queue_ptr 0
		.amdhsa_user_sgpr_kernarg_segment_ptr 1
		.amdhsa_user_sgpr_dispatch_id 0
		.amdhsa_user_sgpr_kernarg_preload_length 0
		.amdhsa_user_sgpr_kernarg_preload_offset 0
		.amdhsa_user_sgpr_private_segment_size 0
		.amdhsa_wavefront_size32 1
		.amdhsa_uses_dynamic_stack 0
		.amdhsa_enable_private_segment 0
		.amdhsa_system_sgpr_workgroup_id_x 1
		.amdhsa_system_sgpr_workgroup_id_y 0
		.amdhsa_system_sgpr_workgroup_id_z 0
		.amdhsa_system_sgpr_workgroup_info 0
		.amdhsa_system_vgpr_workitem_id 0
		.amdhsa_next_free_vgpr 24
		.amdhsa_next_free_sgpr 37
		.amdhsa_named_barrier_count 0
		.amdhsa_reserve_vcc 1
		.amdhsa_float_round_mode_32 0
		.amdhsa_float_round_mode_16_64 0
		.amdhsa_float_denorm_mode_32 3
		.amdhsa_float_denorm_mode_16_64 3
		.amdhsa_fp16_overflow 0
		.amdhsa_memory_ordered 1
		.amdhsa_forward_progress 1
		.amdhsa_inst_pref_size 255
		.amdhsa_round_robin_scheduling 0
		.amdhsa_exception_fp_ieee_invalid_op 0
		.amdhsa_exception_fp_denorm_src 0
		.amdhsa_exception_fp_ieee_div_zero 0
		.amdhsa_exception_fp_ieee_overflow 0
		.amdhsa_exception_fp_ieee_underflow 0
		.amdhsa_exception_fp_ieee_inexact 0
		.amdhsa_exception_int_div_zero 0
	.end_amdhsa_kernel
	.section	.text._ZN2at6native32elementwise_kernel_manual_unrollILi128ELi4EZNS0_15gpu_kernel_implINS0_13BinaryFunctorImmbNS0_12_GLOBAL__N_116CompareEqFunctorImEEEEEEvRNS_18TensorIteratorBaseERKT_EUlibE_EEviT1_,"axG",@progbits,_ZN2at6native32elementwise_kernel_manual_unrollILi128ELi4EZNS0_15gpu_kernel_implINS0_13BinaryFunctorImmbNS0_12_GLOBAL__N_116CompareEqFunctorImEEEEEEvRNS_18TensorIteratorBaseERKT_EUlibE_EEviT1_,comdat
.Lfunc_end363:
	.size	_ZN2at6native32elementwise_kernel_manual_unrollILi128ELi4EZNS0_15gpu_kernel_implINS0_13BinaryFunctorImmbNS0_12_GLOBAL__N_116CompareEqFunctorImEEEEEEvRNS_18TensorIteratorBaseERKT_EUlibE_EEviT1_, .Lfunc_end363-_ZN2at6native32elementwise_kernel_manual_unrollILi128ELi4EZNS0_15gpu_kernel_implINS0_13BinaryFunctorImmbNS0_12_GLOBAL__N_116CompareEqFunctorImEEEEEEvRNS_18TensorIteratorBaseERKT_EUlibE_EEviT1_
                                        ; -- End function
	.set _ZN2at6native32elementwise_kernel_manual_unrollILi128ELi4EZNS0_15gpu_kernel_implINS0_13BinaryFunctorImmbNS0_12_GLOBAL__N_116CompareEqFunctorImEEEEEEvRNS_18TensorIteratorBaseERKT_EUlibE_EEviT1_.num_vgpr, 24
	.set _ZN2at6native32elementwise_kernel_manual_unrollILi128ELi4EZNS0_15gpu_kernel_implINS0_13BinaryFunctorImmbNS0_12_GLOBAL__N_116CompareEqFunctorImEEEEEEvRNS_18TensorIteratorBaseERKT_EUlibE_EEviT1_.num_agpr, 0
	.set _ZN2at6native32elementwise_kernel_manual_unrollILi128ELi4EZNS0_15gpu_kernel_implINS0_13BinaryFunctorImmbNS0_12_GLOBAL__N_116CompareEqFunctorImEEEEEEvRNS_18TensorIteratorBaseERKT_EUlibE_EEviT1_.numbered_sgpr, 37
	.set _ZN2at6native32elementwise_kernel_manual_unrollILi128ELi4EZNS0_15gpu_kernel_implINS0_13BinaryFunctorImmbNS0_12_GLOBAL__N_116CompareEqFunctorImEEEEEEvRNS_18TensorIteratorBaseERKT_EUlibE_EEviT1_.num_named_barrier, 0
	.set _ZN2at6native32elementwise_kernel_manual_unrollILi128ELi4EZNS0_15gpu_kernel_implINS0_13BinaryFunctorImmbNS0_12_GLOBAL__N_116CompareEqFunctorImEEEEEEvRNS_18TensorIteratorBaseERKT_EUlibE_EEviT1_.private_seg_size, 0
	.set _ZN2at6native32elementwise_kernel_manual_unrollILi128ELi4EZNS0_15gpu_kernel_implINS0_13BinaryFunctorImmbNS0_12_GLOBAL__N_116CompareEqFunctorImEEEEEEvRNS_18TensorIteratorBaseERKT_EUlibE_EEviT1_.uses_vcc, 1
	.set _ZN2at6native32elementwise_kernel_manual_unrollILi128ELi4EZNS0_15gpu_kernel_implINS0_13BinaryFunctorImmbNS0_12_GLOBAL__N_116CompareEqFunctorImEEEEEEvRNS_18TensorIteratorBaseERKT_EUlibE_EEviT1_.uses_flat_scratch, 0
	.set _ZN2at6native32elementwise_kernel_manual_unrollILi128ELi4EZNS0_15gpu_kernel_implINS0_13BinaryFunctorImmbNS0_12_GLOBAL__N_116CompareEqFunctorImEEEEEEvRNS_18TensorIteratorBaseERKT_EUlibE_EEviT1_.has_dyn_sized_stack, 0
	.set _ZN2at6native32elementwise_kernel_manual_unrollILi128ELi4EZNS0_15gpu_kernel_implINS0_13BinaryFunctorImmbNS0_12_GLOBAL__N_116CompareEqFunctorImEEEEEEvRNS_18TensorIteratorBaseERKT_EUlibE_EEviT1_.has_recursion, 0
	.set _ZN2at6native32elementwise_kernel_manual_unrollILi128ELi4EZNS0_15gpu_kernel_implINS0_13BinaryFunctorImmbNS0_12_GLOBAL__N_116CompareEqFunctorImEEEEEEvRNS_18TensorIteratorBaseERKT_EUlibE_EEviT1_.has_indirect_call, 0
	.section	.AMDGPU.csdata,"",@progbits
; Kernel info:
; codeLenInByte = 60160
; TotalNumSgprs: 39
; NumVgprs: 24
; ScratchSize: 0
; MemoryBound: 1
; FloatMode: 240
; IeeeMode: 1
; LDSByteSize: 0 bytes/workgroup (compile time only)
; SGPRBlocks: 0
; VGPRBlocks: 1
; NumSGPRsForWavesPerEU: 39
; NumVGPRsForWavesPerEU: 24
; NamedBarCnt: 0
; Occupancy: 16
; WaveLimiterHint : 0
; COMPUTE_PGM_RSRC2:SCRATCH_EN: 0
; COMPUTE_PGM_RSRC2:USER_SGPR: 2
; COMPUTE_PGM_RSRC2:TRAP_HANDLER: 0
; COMPUTE_PGM_RSRC2:TGID_X_EN: 1
; COMPUTE_PGM_RSRC2:TGID_Y_EN: 0
; COMPUTE_PGM_RSRC2:TGID_Z_EN: 0
; COMPUTE_PGM_RSRC2:TIDIG_COMP_CNT: 0
	.section	.text._ZN2at6native32elementwise_kernel_manual_unrollILi128ELi4EZNS0_15gpu_kernel_implINS0_13BinaryFunctorImmbNS0_12_GLOBAL__N_116CompareEqFunctorImEEEEEEvRNS_18TensorIteratorBaseERKT_EUlibE0_EEviT1_,"axG",@progbits,_ZN2at6native32elementwise_kernel_manual_unrollILi128ELi4EZNS0_15gpu_kernel_implINS0_13BinaryFunctorImmbNS0_12_GLOBAL__N_116CompareEqFunctorImEEEEEEvRNS_18TensorIteratorBaseERKT_EUlibE0_EEviT1_,comdat
	.globl	_ZN2at6native32elementwise_kernel_manual_unrollILi128ELi4EZNS0_15gpu_kernel_implINS0_13BinaryFunctorImmbNS0_12_GLOBAL__N_116CompareEqFunctorImEEEEEEvRNS_18TensorIteratorBaseERKT_EUlibE0_EEviT1_ ; -- Begin function _ZN2at6native32elementwise_kernel_manual_unrollILi128ELi4EZNS0_15gpu_kernel_implINS0_13BinaryFunctorImmbNS0_12_GLOBAL__N_116CompareEqFunctorImEEEEEEvRNS_18TensorIteratorBaseERKT_EUlibE0_EEviT1_
	.p2align	8
	.type	_ZN2at6native32elementwise_kernel_manual_unrollILi128ELi4EZNS0_15gpu_kernel_implINS0_13BinaryFunctorImmbNS0_12_GLOBAL__N_116CompareEqFunctorImEEEEEEvRNS_18TensorIteratorBaseERKT_EUlibE0_EEviT1_,@function
_ZN2at6native32elementwise_kernel_manual_unrollILi128ELi4EZNS0_15gpu_kernel_implINS0_13BinaryFunctorImmbNS0_12_GLOBAL__N_116CompareEqFunctorImEEEEEEvRNS_18TensorIteratorBaseERKT_EUlibE0_EEviT1_: ; @_ZN2at6native32elementwise_kernel_manual_unrollILi128ELi4EZNS0_15gpu_kernel_implINS0_13BinaryFunctorImmbNS0_12_GLOBAL__N_116CompareEqFunctorImEEEEEEvRNS_18TensorIteratorBaseERKT_EUlibE0_EEviT1_
; %bb.0:
	s_clause 0x1
	s_load_b32 s28, s[0:1], 0x8
	s_load_b32 s37, s[0:1], 0x0
	s_bfe_u32 s2, ttmp6, 0x4000c
	s_and_b32 s3, ttmp6, 15
	s_add_co_i32 s2, s2, 1
	s_getreg_b32 s4, hwreg(HW_REG_IB_STS2, 6, 4)
	s_mul_i32 s2, ttmp9, s2
	s_mov_b32 s30, 0
	s_add_co_i32 s3, s3, s2
	s_cmp_eq_u32 s4, 0
	s_mov_b32 s27, -1
	s_cselect_b32 s2, ttmp9, s3
	s_mov_b32 s8, 0
	v_lshl_or_b32 v0, s2, 9, v0
	s_add_nc_u64 s[2:3], s[0:1], 8
	s_wait_xcnt 0x0
	s_mov_b32 s0, exec_lo
	s_delay_alu instid0(VALU_DEP_1) | instskip(SKIP_2) | instid1(SALU_CYCLE_1)
	v_or_b32_e32 v1, 0x180, v0
	s_wait_kmcnt 0x0
	s_add_co_i32 s29, s28, -1
	s_cmp_gt_u32 s29, 1
	s_cselect_b32 s31, -1, 0
	v_cmpx_le_i32_e64 s37, v1
	s_xor_b32 s33, exec_lo, s0
	s_cbranch_execz .LBB364_1561
; %bb.1:
	s_clause 0x4
	s_load_b128 s[12:15], s[2:3], 0x4
	s_load_b256 s[4:11], s[2:3], 0x188
	s_load_b64 s[0:1], s[2:3], 0x14
	s_load_b128 s[16:19], s[2:3], 0xc4
	s_load_b64 s[22:23], s[2:3], 0xd4
	s_cmp_lg_u32 s28, 0
	s_mov_b32 s21, 0
	s_cselect_b32 s38, -1, 0
	s_min_u32 s36, s29, 15
	s_cmp_gt_u32 s28, 1
	s_mov_b32 s25, s21
	s_cselect_b32 s35, -1, 0
	s_mov_b32 s41, s21
	s_mov_b32 s40, s21
	;; [unrolled: 1-line block ×3, first 2 shown]
	s_mov_b32 s42, exec_lo
	s_wait_kmcnt 0x0
	s_mov_b32 s20, s13
	s_lshr_b32 s34, s11, 8
	s_lshr_b32 s13, s11, 16
	s_cmp_eq_u32 s10, 0
	s_mov_b32 s24, s0
	s_cselect_b32 s10, -1, 0
	v_cmpx_gt_i32_e64 s37, v0
	s_cbranch_execz .LBB364_385
; %bb.2:
	s_and_not1_b32 vcc_lo, exec_lo, s31
	s_cbranch_vccnz .LBB364_8
; %bb.3:
	s_and_not1_b32 vcc_lo, exec_lo, s38
	s_cbranch_vccnz .LBB364_9
; %bb.4:
	v_dual_mov_b32 v2, 0 :: v_dual_mov_b32 v1, v0
	v_dual_mov_b32 v4, 0 :: v_dual_mov_b32 v6, 0
	s_add_co_i32 s0, s36, 1
	s_mov_b64 s[26:27], 0xffffffffffffffe8
	s_and_b32 s0, s0, 30
	s_add_nc_u64 s[26:27], s[2:3], s[26:27]
.LBB364_5:                              ; =>This Inner Loop Header: Depth=1
	s_clause 0x1
	s_load_b128 s[44:47], s[26:27], 0x1c
	s_load_b64 s[40:41], s[26:27], 0x2c
	s_add_co_i32 s0, s0, -2
	s_delay_alu instid0(SALU_CYCLE_1) | instskip(SKIP_2) | instid1(VALU_DEP_1)
	s_cmp_lg_u32 s0, 0
	s_wait_kmcnt 0x0
	v_mul_hi_u32 v3, s45, v1
	v_add_nc_u32_e32 v3, v1, v3
	s_delay_alu instid0(VALU_DEP_1) | instskip(NEXT) | instid1(VALU_DEP_1)
	v_lshrrev_b32_e32 v3, s46, v3
	v_mul_hi_u32 v5, s40, v3
	v_mul_lo_u32 v7, v3, s44
	s_clause 0x1
	s_load_b128 s[48:51], s[26:27], 0xdc
	s_load_b64 s[44:45], s[26:27], 0xec
	s_wait_xcnt 0x0
	s_add_nc_u64 s[26:27], s[26:27], 24
	s_delay_alu instid0(VALU_DEP_1) | instskip(NEXT) | instid1(VALU_DEP_1)
	v_dual_add_nc_u32 v5, v3, v5 :: v_dual_sub_nc_u32 v7, v1, v7
	v_lshrrev_b32_e32 v1, s41, v5
	s_wait_kmcnt 0x0
	s_delay_alu instid0(VALU_DEP_2) | instskip(NEXT) | instid1(VALU_DEP_2)
	v_mad_u32 v2, v7, s48, v2
	v_mul_lo_u32 v5, v1, s47
	v_mad_u32 v6, v7, s50, v6
	v_mad_u32 v4, v7, s49, v4
	s_delay_alu instid0(VALU_DEP_3) | instskip(NEXT) | instid1(VALU_DEP_1)
	v_sub_nc_u32_e32 v3, v3, v5
	v_mad_u32 v2, v3, s51, v2
	s_delay_alu instid0(VALU_DEP_4) | instskip(NEXT) | instid1(VALU_DEP_4)
	v_mad_u32 v6, v3, s45, v6
	v_mad_u32 v4, v3, s44, v4
	s_cbranch_scc1 .LBB364_5
; %bb.6:
	s_bitcmp1_b32 s36, 0
	s_cselect_b32 s0, -1, 0
	s_delay_alu instid0(SALU_CYCLE_1)
	s_and_b32 vcc_lo, exec_lo, s0
	s_cbranch_vccnz .LBB364_10
; %bb.7:
	s_clause 0x1
	s_load_b96 s[44:46], s[26:27], 0x1c
	s_load_b96 s[48:50], s[26:27], 0xdc
	s_wait_kmcnt 0x0
	v_mul_hi_u32 v3, s45, v1
	s_delay_alu instid0(VALU_DEP_1) | instskip(NEXT) | instid1(VALU_DEP_1)
	v_add_nc_u32_e32 v3, v1, v3
	v_lshrrev_b32_e32 v3, s46, v3
	s_delay_alu instid0(VALU_DEP_1) | instskip(NEXT) | instid1(VALU_DEP_1)
	v_mul_lo_u32 v3, v3, s44
	v_sub_nc_u32_e32 v1, v1, v3
	s_delay_alu instid0(VALU_DEP_1)
	v_mad_u32 v2, v1, s48, v2
	v_mad_u32 v4, v1, s49, v4
	;; [unrolled: 1-line block ×3, first 2 shown]
	s_cbranch_execz .LBB364_11
	s_branch .LBB364_13
.LBB364_8:
                                        ; implicit-def: $vgpr6
                                        ; implicit-def: $vgpr4
                                        ; implicit-def: $vgpr2
	s_branch .LBB364_11
.LBB364_9:
	v_dual_mov_b32 v6, 0 :: v_dual_mov_b32 v4, 0
	v_mov_b32_e32 v2, 0
.LBB364_10:
	s_cbranch_execnz .LBB364_13
.LBB364_11:
	v_mov_b32_e32 v1, 0
	s_and_not1_b32 vcc_lo, exec_lo, s35
	s_delay_alu instid0(VALU_DEP_1) | instskip(NEXT) | instid1(VALU_DEP_1)
	v_mul_u64_e32 v[2:3], s[20:21], v[0:1]
	v_add_nc_u32_e32 v2, v0, v3
	s_delay_alu instid0(VALU_DEP_1) | instskip(NEXT) | instid1(VALU_DEP_1)
	v_lshrrev_b32_e32 v8, s14, v2
	v_mul_lo_u32 v2, v8, s12
	s_delay_alu instid0(VALU_DEP_1) | instskip(NEXT) | instid1(VALU_DEP_1)
	v_sub_nc_u32_e32 v3, v0, v2
	v_mul_lo_u32 v2, v3, s16
	v_mul_lo_u32 v6, v3, s18
	;; [unrolled: 1-line block ×3, first 2 shown]
	s_cbranch_vccnz .LBB364_13
; %bb.12:
	v_mov_b32_e32 v9, v1
	s_delay_alu instid0(VALU_DEP_1) | instskip(NEXT) | instid1(VALU_DEP_1)
	v_mul_u64_e32 v[10:11], s[24:25], v[8:9]
	v_add_nc_u32_e32 v1, v8, v11
	s_delay_alu instid0(VALU_DEP_1) | instskip(NEXT) | instid1(VALU_DEP_1)
	v_lshrrev_b32_e32 v1, s1, v1
	v_mul_lo_u32 v1, v1, s15
	s_delay_alu instid0(VALU_DEP_1) | instskip(NEXT) | instid1(VALU_DEP_1)
	v_sub_nc_u32_e32 v1, v8, v1
	v_mad_u32 v2, v1, s19, v2
	v_mad_u32 v4, v1, s22, v4
	;; [unrolled: 1-line block ×3, first 2 shown]
.LBB364_13:
	v_mov_b32_e32 v5, 0
	s_and_b32 s0, s34, 0xff
	s_delay_alu instid0(SALU_CYCLE_1) | instskip(NEXT) | instid1(VALU_DEP_1)
	s_cmp_lt_i32 s0, 11
	v_add_nc_u64_e32 v[8:9], s[6:7], v[4:5]
	s_cbranch_scc1 .LBB364_20
; %bb.14:
	s_and_b32 s27, 0xffff, s0
	s_delay_alu instid0(SALU_CYCLE_1)
	s_cmp_gt_i32 s27, 25
	s_cbranch_scc0 .LBB364_29
; %bb.15:
	s_cmp_gt_i32 s27, 28
	s_cbranch_scc0 .LBB364_39
; %bb.16:
	;; [unrolled: 3-line block ×4, first 2 shown]
	s_cmp_eq_u32 s27, 46
	s_mov_b32 s40, 0
	s_cbranch_scc0 .LBB364_48
; %bb.19:
	global_load_b32 v1, v[8:9], off
	s_mov_b32 s39, -1
	s_mov_b32 s26, 0
	s_wait_loadcnt 0x0
	v_lshlrev_b32_e32 v1, 16, v1
	s_delay_alu instid0(VALU_DEP_1) | instskip(NEXT) | instid1(VALU_DEP_1)
	v_trunc_f32_e32 v1, v1
	v_mul_f32_e32 v3, 0x2f800000, v1
	s_delay_alu instid0(VALU_DEP_1) | instskip(NEXT) | instid1(VALU_DEP_1)
	v_floor_f32_e32 v3, v3
	v_fmamk_f32 v1, v3, 0xcf800000, v1
	v_cvt_u32_f32_e32 v5, v3
	s_delay_alu instid0(VALU_DEP_2)
	v_cvt_u32_f32_e32 v4, v1
	s_branch .LBB364_50
.LBB364_20:
	s_mov_b32 s26, 0
	s_mov_b32 s39, 0
                                        ; implicit-def: $vgpr4_vgpr5
	s_cbranch_execnz .LBB364_112
.LBB364_21:
	s_and_not1_b32 vcc_lo, exec_lo, s39
	s_cbranch_vccnz .LBB364_159
.LBB364_22:
	v_mov_b32_e32 v7, 0
	s_and_b32 s0, s13, 0xff
	s_delay_alu instid0(SALU_CYCLE_1) | instskip(NEXT) | instid1(VALU_DEP_1)
	s_cmp_lt_i32 s0, 11
	v_add_nc_u64_e32 v[6:7], s[8:9], v[6:7]
	s_cbranch_scc1 .LBB364_30
; %bb.23:
	s_and_b32 s39, 0xffff, s0
	s_delay_alu instid0(SALU_CYCLE_1)
	s_cmp_gt_i32 s39, 25
	s_cbranch_scc0 .LBB364_40
; %bb.24:
	s_cmp_gt_i32 s39, 28
	s_cbranch_scc0 .LBB364_43
; %bb.25:
	;; [unrolled: 3-line block ×4, first 2 shown]
	s_cmp_eq_u32 s39, 46
	s_mov_b32 s41, 0
	s_cbranch_scc0 .LBB364_160
; %bb.28:
	global_load_b32 v1, v[6:7], off
	s_mov_b32 s40, -1
	s_mov_b32 s27, 0
	s_wait_loadcnt 0x0
	v_lshlrev_b32_e32 v1, 16, v1
	s_delay_alu instid0(VALU_DEP_1) | instskip(NEXT) | instid1(VALU_DEP_1)
	v_trunc_f32_e32 v1, v1
	v_mul_f32_e32 v3, 0x2f800000, v1
	s_delay_alu instid0(VALU_DEP_1) | instskip(NEXT) | instid1(VALU_DEP_1)
	v_floor_f32_e32 v3, v3
	v_fmamk_f32 v1, v3, 0xcf800000, v1
	v_cvt_u32_f32_e32 v9, v3
	s_delay_alu instid0(VALU_DEP_2)
	v_cvt_u32_f32_e32 v8, v1
	s_branch .LBB364_162
.LBB364_29:
	s_mov_b32 s26, 0
	s_mov_b32 s39, 0
                                        ; implicit-def: $vgpr4_vgpr5
	s_cbranch_execnz .LBB364_79
	s_branch .LBB364_111
.LBB364_30:
	s_mov_b32 s27, 0
	s_mov_b32 s40, 0
                                        ; implicit-def: $vgpr8_vgpr9
	s_cbranch_execnz .LBB364_334
.LBB364_31:
	s_and_not1_b32 vcc_lo, exec_lo, s40
	s_cbranch_vccnz .LBB364_382
.LBB364_32:
	v_mov_b32_e32 v3, 0
	s_wait_loadcnt 0x0
	s_delay_alu instid0(VALU_DEP_2) | instskip(SKIP_1) | instid1(VALU_DEP_2)
	v_cmp_ne_u64_e32 vcc_lo, v[4:5], v[8:9]
	s_and_b32 s40, s11, 0xff
	v_add_nc_u64_e32 v[2:3], s[4:5], v[2:3]
	s_xor_b32 s39, s10, vcc_lo
	s_cmp_lt_i32 s40, 11
	s_cbranch_scc1 .LBB364_41
; %bb.33:
	s_and_b32 s41, 0xffff, s40
	s_delay_alu instid0(SALU_CYCLE_1)
	s_cmp_gt_i32 s41, 25
	s_cbranch_scc0 .LBB364_44
; %bb.34:
	s_cmp_gt_i32 s41, 28
	s_cbranch_scc0 .LBB364_47
; %bb.35:
	;; [unrolled: 3-line block ×4, first 2 shown]
	s_mov_b32 s44, 0
	s_mov_b32 s0, -1
	s_cmp_eq_u32 s41, 46
	s_mov_b32 s43, 0
	s_cbranch_scc0 .LBB364_166
; %bb.38:
	v_cndmask_b32_e64 v1, 0, 1.0, s39
	s_mov_b32 s43, -1
	s_mov_b32 s0, 0
	s_delay_alu instid0(VALU_DEP_1) | instskip(NEXT) | instid1(VALU_DEP_1)
	v_bfe_u32 v4, v1, 16, 1
	v_add3_u32 v1, v1, v4, 0x7fff
	s_delay_alu instid0(VALU_DEP_1)
	v_lshrrev_b32_e32 v1, 16, v1
	global_store_b32 v[2:3], v1, off
	s_branch .LBB364_166
.LBB364_39:
	s_mov_b32 s40, -1
	s_mov_b32 s26, 0
	s_mov_b32 s39, 0
                                        ; implicit-def: $vgpr4_vgpr5
	s_branch .LBB364_62
.LBB364_40:
	s_mov_b32 s41, -1
	s_mov_b32 s27, 0
	s_mov_b32 s40, 0
                                        ; implicit-def: $vgpr8_vgpr9
	s_branch .LBB364_300
.LBB364_41:
	s_mov_b32 s41, -1
	s_mov_b32 s0, 0
	s_mov_b32 s43, 0
	s_branch .LBB364_235
.LBB364_42:
	s_mov_b32 s40, -1
	s_mov_b32 s26, 0
	s_mov_b32 s39, 0
                                        ; implicit-def: $vgpr4_vgpr5
	s_branch .LBB364_57
.LBB364_43:
	s_mov_b32 s41, -1
	s_mov_b32 s27, 0
	s_mov_b32 s40, 0
                                        ; implicit-def: $vgpr8_vgpr9
	s_branch .LBB364_283
.LBB364_44:
	s_mov_b32 s44, -1
	s_mov_b32 s0, 0
	s_mov_b32 s43, 0
	s_branch .LBB364_193
.LBB364_45:
	s_mov_b32 s40, -1
	s_mov_b32 s26, 0
	s_branch .LBB364_49
.LBB364_46:
	s_mov_b32 s41, -1
	s_mov_b32 s27, 0
	s_mov_b32 s40, 0
                                        ; implicit-def: $vgpr8_vgpr9
	s_branch .LBB364_278
.LBB364_47:
	s_mov_b32 s44, -1
	s_mov_b32 s0, 0
	s_mov_b32 s43, 0
	s_branch .LBB364_176
.LBB364_48:
	s_mov_b32 s26, -1
.LBB364_49:
	s_mov_b32 s39, 0
                                        ; implicit-def: $vgpr4_vgpr5
.LBB364_50:
	s_and_b32 vcc_lo, exec_lo, s40
	s_cbranch_vccz .LBB364_56
; %bb.51:
	s_cmp_eq_u32 s27, 44
	s_cbranch_scc0 .LBB364_55
; %bb.52:
	global_load_u8 v1, v[8:9], off
	s_mov_b32 s26, 0
	s_mov_b32 s39, -1
	s_wait_loadcnt 0x0
	v_cmp_ne_u32_e32 vcc_lo, 0, v1
	v_lshlrev_b32_e32 v3, 23, v1
	s_delay_alu instid0(VALU_DEP_1) | instskip(NEXT) | instid1(VALU_DEP_1)
	v_trunc_f32_e32 v3, v3
	v_mul_f32_e32 v4, 0x2f800000, v3
	s_delay_alu instid0(VALU_DEP_1) | instskip(NEXT) | instid1(VALU_DEP_1)
	v_floor_f32_e32 v4, v4
	v_fmamk_f32 v3, v4, 0xcf800000, v3
	v_cvt_u32_f32_e32 v4, v4
	s_delay_alu instid0(VALU_DEP_2) | instskip(NEXT) | instid1(VALU_DEP_1)
	v_cvt_u32_f32_e32 v3, v3
	v_dual_cndmask_b32 v5, 0, v4 :: v_dual_cndmask_b32 v4, 0, v3
	s_branch .LBB364_56
.LBB364_53:
	s_mov_b32 s41, -1
	s_mov_b32 s27, 0
	s_branch .LBB364_161
.LBB364_54:
	s_mov_b32 s44, -1
	s_mov_b32 s0, 0
	s_mov_b32 s43, 0
	s_branch .LBB364_172
.LBB364_55:
	s_mov_b32 s26, -1
                                        ; implicit-def: $vgpr4_vgpr5
.LBB364_56:
	s_mov_b32 s40, 0
.LBB364_57:
	s_delay_alu instid0(SALU_CYCLE_1)
	s_and_b32 vcc_lo, exec_lo, s40
	s_cbranch_vccz .LBB364_61
; %bb.58:
	s_cmp_eq_u32 s27, 29
	s_cbranch_scc0 .LBB364_60
; %bb.59:
	global_load_b64 v[4:5], v[8:9], off
	s_mov_b32 s39, -1
	s_mov_b32 s26, 0
	s_branch .LBB364_61
.LBB364_60:
	s_mov_b32 s26, -1
                                        ; implicit-def: $vgpr4_vgpr5
.LBB364_61:
	s_mov_b32 s40, 0
.LBB364_62:
	s_delay_alu instid0(SALU_CYCLE_1)
	s_and_b32 vcc_lo, exec_lo, s40
	s_cbranch_vccz .LBB364_78
; %bb.63:
	s_cmp_lt_i32 s27, 27
	s_cbranch_scc1 .LBB364_66
; %bb.64:
	s_cmp_gt_i32 s27, 27
	s_cbranch_scc0 .LBB364_67
; %bb.65:
	s_wait_loadcnt 0x0
	global_load_b32 v4, v[8:9], off
	v_mov_b32_e32 v5, 0
	s_mov_b32 s39, 0
	s_branch .LBB364_68
.LBB364_66:
	s_mov_b32 s39, -1
                                        ; implicit-def: $vgpr4_vgpr5
	s_branch .LBB364_71
.LBB364_67:
	s_mov_b32 s39, -1
                                        ; implicit-def: $vgpr4_vgpr5
.LBB364_68:
	s_delay_alu instid0(SALU_CYCLE_1)
	s_and_not1_b32 vcc_lo, exec_lo, s39
	s_cbranch_vccnz .LBB364_70
; %bb.69:
	global_load_u16 v1, v[8:9], off
	s_mov_b32 s39, 0
	s_wait_loadcnt 0x1
	v_mov_b32_e32 v5, s39
	s_wait_loadcnt 0x0
	v_and_b32_e32 v4, 0xffff, v1
.LBB364_70:
	s_mov_b32 s39, 0
.LBB364_71:
	s_delay_alu instid0(SALU_CYCLE_1)
	s_and_not1_b32 vcc_lo, exec_lo, s39
	s_cbranch_vccnz .LBB364_77
; %bb.72:
	global_load_u8 v1, v[8:9], off
	s_mov_b32 s40, 0
	s_mov_b32 s39, exec_lo
	s_wait_loadcnt 0x0
	v_cmpx_lt_i16_e32 0x7f, v1
	s_xor_b32 s39, exec_lo, s39
	s_cbranch_execz .LBB364_88
; %bb.73:
	v_cmp_ne_u16_e32 vcc_lo, 0x80, v1
	s_and_b32 s40, vcc_lo, exec_lo
	s_and_not1_saveexec_b32 s39, s39
	s_cbranch_execnz .LBB364_89
.LBB364_74:
	s_or_b32 exec_lo, exec_lo, s39
	v_mov_b64_e32 v[4:5], 0
	s_and_saveexec_b32 s39, s40
	s_cbranch_execz .LBB364_76
.LBB364_75:
	v_and_b32_e32 v3, 0xffff, v1
	s_delay_alu instid0(VALU_DEP_1) | instskip(SKIP_1) | instid1(VALU_DEP_2)
	v_and_b32_e32 v4, 7, v3
	v_bfe_u32 v10, v3, 3, 4
	v_clz_i32_u32_e32 v5, v4
	s_delay_alu instid0(VALU_DEP_2) | instskip(NEXT) | instid1(VALU_DEP_2)
	v_cmp_eq_u32_e32 vcc_lo, 0, v10
	v_min_u32_e32 v5, 32, v5
	s_delay_alu instid0(VALU_DEP_1) | instskip(NEXT) | instid1(VALU_DEP_1)
	v_subrev_nc_u32_e32 v7, 28, v5
	v_dual_lshlrev_b32 v3, v7, v3 :: v_dual_sub_nc_u32 v5, 29, v5
	s_delay_alu instid0(VALU_DEP_1) | instskip(NEXT) | instid1(VALU_DEP_1)
	v_dual_lshlrev_b32 v1, 24, v1 :: v_dual_bitop2_b32 v3, 7, v3 bitop3:0x40
	v_dual_cndmask_b32 v3, v4, v3, vcc_lo :: v_dual_cndmask_b32 v5, v10, v5, vcc_lo
	s_delay_alu instid0(VALU_DEP_2) | instskip(NEXT) | instid1(VALU_DEP_2)
	v_and_b32_e32 v1, 0x80000000, v1
	v_lshlrev_b32_e32 v3, 20, v3
	s_delay_alu instid0(VALU_DEP_3) | instskip(NEXT) | instid1(VALU_DEP_1)
	v_lshl_add_u32 v4, v5, 23, 0x3b800000
	v_or3_b32 v1, v1, v4, v3
	s_delay_alu instid0(VALU_DEP_1) | instskip(NEXT) | instid1(VALU_DEP_1)
	v_trunc_f32_e32 v1, v1
	v_mul_f32_e32 v3, 0x2f800000, v1
	s_delay_alu instid0(VALU_DEP_1) | instskip(NEXT) | instid1(VALU_DEP_1)
	v_floor_f32_e32 v3, v3
	v_fmamk_f32 v1, v3, 0xcf800000, v1
	v_cvt_u32_f32_e32 v5, v3
	s_delay_alu instid0(VALU_DEP_2)
	v_cvt_u32_f32_e32 v4, v1
.LBB364_76:
	s_or_b32 exec_lo, exec_lo, s39
.LBB364_77:
	s_mov_b32 s39, -1
.LBB364_78:
	s_branch .LBB364_111
.LBB364_79:
	s_cmp_gt_i32 s27, 22
	s_cbranch_scc0 .LBB364_87
; %bb.80:
	s_cmp_lt_i32 s27, 24
	s_cbranch_scc1 .LBB364_90
; %bb.81:
	s_cmp_gt_i32 s27, 24
	s_cbranch_scc0 .LBB364_91
; %bb.82:
	global_load_u8 v1, v[8:9], off
	s_mov_b32 s40, 0
	s_mov_b32 s39, exec_lo
	s_wait_loadcnt 0x0
	v_cmpx_lt_i16_e32 0x7f, v1
	s_xor_b32 s39, exec_lo, s39
	s_cbranch_execz .LBB364_103
; %bb.83:
	v_cmp_ne_u16_e32 vcc_lo, 0x80, v1
	s_and_b32 s40, vcc_lo, exec_lo
	s_and_not1_saveexec_b32 s39, s39
	s_cbranch_execnz .LBB364_104
.LBB364_84:
	s_or_b32 exec_lo, exec_lo, s39
	v_mov_b64_e32 v[4:5], 0
	s_and_saveexec_b32 s39, s40
	s_cbranch_execz .LBB364_86
.LBB364_85:
	v_and_b32_e32 v3, 0xffff, v1
	s_delay_alu instid0(VALU_DEP_1) | instskip(SKIP_1) | instid1(VALU_DEP_2)
	v_and_b32_e32 v4, 3, v3
	v_bfe_u32 v10, v3, 2, 5
	v_clz_i32_u32_e32 v5, v4
	s_delay_alu instid0(VALU_DEP_2) | instskip(NEXT) | instid1(VALU_DEP_2)
	v_cmp_eq_u32_e32 vcc_lo, 0, v10
	v_min_u32_e32 v5, 32, v5
	s_delay_alu instid0(VALU_DEP_1) | instskip(NEXT) | instid1(VALU_DEP_1)
	v_subrev_nc_u32_e32 v7, 29, v5
	v_dual_lshlrev_b32 v3, v7, v3 :: v_dual_sub_nc_u32 v5, 30, v5
	s_delay_alu instid0(VALU_DEP_1) | instskip(NEXT) | instid1(VALU_DEP_1)
	v_dual_lshlrev_b32 v1, 24, v1 :: v_dual_bitop2_b32 v3, 3, v3 bitop3:0x40
	v_dual_cndmask_b32 v3, v4, v3, vcc_lo :: v_dual_cndmask_b32 v5, v10, v5, vcc_lo
	s_delay_alu instid0(VALU_DEP_2) | instskip(NEXT) | instid1(VALU_DEP_2)
	v_and_b32_e32 v1, 0x80000000, v1
	v_lshlrev_b32_e32 v3, 21, v3
	s_delay_alu instid0(VALU_DEP_3) | instskip(NEXT) | instid1(VALU_DEP_1)
	v_lshl_add_u32 v4, v5, 23, 0x37800000
	v_or3_b32 v1, v1, v4, v3
	s_delay_alu instid0(VALU_DEP_1) | instskip(NEXT) | instid1(VALU_DEP_1)
	v_trunc_f32_e32 v1, v1
	v_mul_f32_e32 v3, 0x2f800000, v1
	s_delay_alu instid0(VALU_DEP_1) | instskip(NEXT) | instid1(VALU_DEP_1)
	v_floor_f32_e32 v3, v3
	v_fmamk_f32 v1, v3, 0xcf800000, v1
	v_cvt_u32_f32_e32 v5, v3
	s_delay_alu instid0(VALU_DEP_2)
	v_cvt_u32_f32_e32 v4, v1
.LBB364_86:
	s_or_b32 exec_lo, exec_lo, s39
	s_mov_b32 s39, 0
	s_branch .LBB364_92
.LBB364_87:
	s_mov_b32 s40, -1
                                        ; implicit-def: $vgpr4_vgpr5
	s_branch .LBB364_98
.LBB364_88:
	s_and_not1_saveexec_b32 s39, s39
	s_cbranch_execz .LBB364_74
.LBB364_89:
	v_cmp_ne_u16_e32 vcc_lo, 0, v1
	s_and_not1_b32 s40, s40, exec_lo
	s_and_b32 s41, vcc_lo, exec_lo
	s_delay_alu instid0(SALU_CYCLE_1)
	s_or_b32 s40, s40, s41
	s_or_b32 exec_lo, exec_lo, s39
	v_mov_b64_e32 v[4:5], 0
	s_and_saveexec_b32 s39, s40
	s_cbranch_execnz .LBB364_75
	s_branch .LBB364_76
.LBB364_90:
	s_mov_b32 s39, -1
                                        ; implicit-def: $vgpr4_vgpr5
	s_branch .LBB364_95
.LBB364_91:
	s_mov_b32 s39, -1
                                        ; implicit-def: $vgpr4_vgpr5
.LBB364_92:
	s_delay_alu instid0(SALU_CYCLE_1)
	s_and_b32 vcc_lo, exec_lo, s39
	s_cbranch_vccz .LBB364_94
; %bb.93:
	global_load_u8 v1, v[8:9], off
	s_wait_loadcnt 0x0
	v_lshlrev_b32_e32 v1, 24, v1
	s_delay_alu instid0(VALU_DEP_1) | instskip(NEXT) | instid1(VALU_DEP_1)
	v_and_b32_e32 v3, 0x7f000000, v1
	v_clz_i32_u32_e32 v4, v3
	v_add_nc_u32_e32 v7, 0x1000000, v3
	v_cmp_ne_u32_e32 vcc_lo, 0, v3
	s_delay_alu instid0(VALU_DEP_3) | instskip(NEXT) | instid1(VALU_DEP_1)
	v_min_u32_e32 v4, 32, v4
	v_sub_nc_u32_e64 v4, v4, 4 clamp
	s_delay_alu instid0(VALU_DEP_1) | instskip(NEXT) | instid1(VALU_DEP_1)
	v_dual_lshlrev_b32 v5, v4, v3 :: v_dual_lshlrev_b32 v4, 23, v4
	v_lshrrev_b32_e32 v5, 4, v5
	s_delay_alu instid0(VALU_DEP_1) | instskip(NEXT) | instid1(VALU_DEP_1)
	v_dual_sub_nc_u32 v4, v5, v4 :: v_dual_ashrrev_i32 v5, 8, v7
	v_add_nc_u32_e32 v4, 0x3c000000, v4
	s_delay_alu instid0(VALU_DEP_1) | instskip(NEXT) | instid1(VALU_DEP_1)
	v_and_or_b32 v4, 0x7f800000, v5, v4
	v_cndmask_b32_e32 v3, 0, v4, vcc_lo
	s_delay_alu instid0(VALU_DEP_1) | instskip(NEXT) | instid1(VALU_DEP_1)
	v_and_or_b32 v1, 0x80000000, v1, v3
	v_trunc_f32_e32 v1, v1
	s_delay_alu instid0(VALU_DEP_1) | instskip(NEXT) | instid1(VALU_DEP_1)
	v_mul_f32_e32 v3, 0x2f800000, v1
	v_floor_f32_e32 v3, v3
	s_delay_alu instid0(VALU_DEP_1) | instskip(SKIP_1) | instid1(VALU_DEP_2)
	v_fmamk_f32 v1, v3, 0xcf800000, v1
	v_cvt_u32_f32_e32 v5, v3
	v_cvt_u32_f32_e32 v4, v1
.LBB364_94:
	s_mov_b32 s39, 0
.LBB364_95:
	s_delay_alu instid0(SALU_CYCLE_1)
	s_and_not1_b32 vcc_lo, exec_lo, s39
	s_cbranch_vccnz .LBB364_97
; %bb.96:
	global_load_u8 v1, v[8:9], off
	s_wait_loadcnt 0x0
	v_lshlrev_b32_e32 v3, 25, v1
	v_lshlrev_b16 v1, 8, v1
	s_delay_alu instid0(VALU_DEP_1) | instskip(NEXT) | instid1(VALU_DEP_3)
	v_and_or_b32 v5, 0x7f00, v1, 0.5
	v_lshrrev_b32_e32 v4, 4, v3
	v_bfe_i32 v1, v1, 0, 16
	s_delay_alu instid0(VALU_DEP_3) | instskip(NEXT) | instid1(VALU_DEP_3)
	v_add_f32_e32 v5, -0.5, v5
	v_or_b32_e32 v4, 0x70000000, v4
	s_delay_alu instid0(VALU_DEP_1) | instskip(SKIP_1) | instid1(VALU_DEP_2)
	v_mul_f32_e32 v4, 0x7800000, v4
	v_cmp_gt_u32_e32 vcc_lo, 0x8000000, v3
	v_cndmask_b32_e32 v3, v4, v5, vcc_lo
	s_delay_alu instid0(VALU_DEP_1) | instskip(NEXT) | instid1(VALU_DEP_1)
	v_and_or_b32 v1, 0x80000000, v1, v3
	v_trunc_f32_e32 v1, v1
	s_delay_alu instid0(VALU_DEP_1) | instskip(NEXT) | instid1(VALU_DEP_1)
	v_mul_f32_e32 v3, 0x2f800000, v1
	v_floor_f32_e32 v3, v3
	s_delay_alu instid0(VALU_DEP_1) | instskip(SKIP_1) | instid1(VALU_DEP_2)
	v_fmamk_f32 v1, v3, 0xcf800000, v1
	v_cvt_u32_f32_e32 v5, v3
	v_cvt_u32_f32_e32 v4, v1
.LBB364_97:
	s_mov_b32 s40, 0
	s_mov_b32 s39, -1
.LBB364_98:
	s_and_not1_b32 vcc_lo, exec_lo, s40
	s_cbranch_vccnz .LBB364_111
; %bb.99:
	s_cmp_gt_i32 s27, 14
	s_cbranch_scc0 .LBB364_102
; %bb.100:
	s_cmp_eq_u32 s27, 15
	s_cbranch_scc0 .LBB364_105
; %bb.101:
	global_load_u16 v1, v[8:9], off
	s_mov_b32 s39, -1
	s_mov_b32 s26, 0
	s_wait_loadcnt 0x0
	v_lshlrev_b32_e32 v1, 16, v1
	s_delay_alu instid0(VALU_DEP_1) | instskip(NEXT) | instid1(VALU_DEP_1)
	v_trunc_f32_e32 v1, v1
	v_mul_f32_e32 v3, 0x2f800000, v1
	s_delay_alu instid0(VALU_DEP_1) | instskip(NEXT) | instid1(VALU_DEP_1)
	v_floor_f32_e32 v3, v3
	v_fmamk_f32 v1, v3, 0xcf800000, v1
	v_cvt_u32_f32_e32 v5, v3
	s_delay_alu instid0(VALU_DEP_2)
	v_cvt_u32_f32_e32 v4, v1
	s_branch .LBB364_106
.LBB364_102:
	s_mov_b32 s40, -1
                                        ; implicit-def: $vgpr4_vgpr5
	s_branch .LBB364_107
.LBB364_103:
	s_and_not1_saveexec_b32 s39, s39
	s_cbranch_execz .LBB364_84
.LBB364_104:
	v_cmp_ne_u16_e32 vcc_lo, 0, v1
	s_and_not1_b32 s40, s40, exec_lo
	s_and_b32 s41, vcc_lo, exec_lo
	s_delay_alu instid0(SALU_CYCLE_1)
	s_or_b32 s40, s40, s41
	s_or_b32 exec_lo, exec_lo, s39
	v_mov_b64_e32 v[4:5], 0
	s_and_saveexec_b32 s39, s40
	s_cbranch_execnz .LBB364_85
	s_branch .LBB364_86
.LBB364_105:
	s_mov_b32 s26, -1
                                        ; implicit-def: $vgpr4_vgpr5
.LBB364_106:
	s_mov_b32 s40, 0
.LBB364_107:
	s_delay_alu instid0(SALU_CYCLE_1)
	s_and_b32 vcc_lo, exec_lo, s40
	s_cbranch_vccz .LBB364_111
; %bb.108:
	s_cmp_eq_u32 s27, 11
	s_cbranch_scc0 .LBB364_110
; %bb.109:
	global_load_u8 v1, v[8:9], off
	s_mov_b32 s26, 0
	s_mov_b32 s39, -1
	s_wait_loadcnt 0x1
	v_mov_b32_e32 v5, s26
	s_wait_loadcnt 0x0
	v_cmp_ne_u16_e32 vcc_lo, 0, v1
	v_cndmask_b32_e64 v4, 0, 1, vcc_lo
	s_branch .LBB364_111
.LBB364_110:
	s_mov_b32 s26, -1
                                        ; implicit-def: $vgpr4_vgpr5
.LBB364_111:
	s_branch .LBB364_21
.LBB364_112:
	s_and_b32 s0, 0xffff, s0
	s_delay_alu instid0(SALU_CYCLE_1)
	s_cmp_lt_i32 s0, 5
	s_cbranch_scc1 .LBB364_117
; %bb.113:
	s_cmp_lt_i32 s0, 8
	s_cbranch_scc1 .LBB364_118
; %bb.114:
	;; [unrolled: 3-line block ×3, first 2 shown]
	s_cmp_gt_i32 s0, 9
	s_cbranch_scc0 .LBB364_120
; %bb.116:
	s_wait_loadcnt 0x0
	global_load_b64 v[4:5], v[8:9], off
	s_mov_b32 s27, 0
	s_wait_loadcnt 0x0
	v_trunc_f64_e32 v[4:5], v[4:5]
	s_delay_alu instid0(VALU_DEP_1) | instskip(NEXT) | instid1(VALU_DEP_1)
	v_ldexp_f64 v[10:11], v[4:5], 0xffffffe0
	v_floor_f64_e32 v[10:11], v[10:11]
	s_delay_alu instid0(VALU_DEP_1) | instskip(SKIP_1) | instid1(VALU_DEP_2)
	v_fmamk_f64 v[12:13], v[10:11], 0xc1f00000, v[4:5]
	v_cvt_u32_f64_e32 v5, v[10:11]
	v_cvt_u32_f64_e32 v4, v[12:13]
	s_branch .LBB364_121
.LBB364_117:
                                        ; implicit-def: $vgpr4_vgpr5
	s_branch .LBB364_139
.LBB364_118:
	s_mov_b32 s27, -1
                                        ; implicit-def: $vgpr4_vgpr5
	s_branch .LBB364_127
.LBB364_119:
	s_mov_b32 s27, -1
                                        ; implicit-def: $vgpr4_vgpr5
	s_branch .LBB364_124
.LBB364_120:
	s_mov_b32 s27, -1
                                        ; implicit-def: $vgpr4_vgpr5
.LBB364_121:
	s_delay_alu instid0(SALU_CYCLE_1)
	s_and_not1_b32 vcc_lo, exec_lo, s27
	s_cbranch_vccnz .LBB364_123
; %bb.122:
	global_load_b32 v1, v[8:9], off
	s_wait_loadcnt 0x0
	v_trunc_f32_e32 v1, v1
	s_delay_alu instid0(VALU_DEP_1) | instskip(NEXT) | instid1(VALU_DEP_1)
	v_mul_f32_e32 v3, 0x2f800000, v1
	v_floor_f32_e32 v3, v3
	s_delay_alu instid0(VALU_DEP_1) | instskip(SKIP_1) | instid1(VALU_DEP_2)
	v_fmamk_f32 v1, v3, 0xcf800000, v1
	v_cvt_u32_f32_e32 v5, v3
	v_cvt_u32_f32_e32 v4, v1
.LBB364_123:
	s_mov_b32 s27, 0
.LBB364_124:
	s_delay_alu instid0(SALU_CYCLE_1)
	s_and_not1_b32 vcc_lo, exec_lo, s27
	s_cbranch_vccnz .LBB364_126
; %bb.125:
	global_load_b32 v1, v[8:9], off
	s_wait_loadcnt 0x1
	v_mov_b32_e32 v5, 0
	s_wait_loadcnt 0x0
	v_cvt_f32_f16_e32 v1, v1
	s_delay_alu instid0(VALU_DEP_1)
	v_cvt_u32_f32_e32 v4, v1
.LBB364_126:
	s_mov_b32 s27, 0
.LBB364_127:
	s_delay_alu instid0(SALU_CYCLE_1)
	s_and_not1_b32 vcc_lo, exec_lo, s27
	s_cbranch_vccnz .LBB364_138
; %bb.128:
	s_cmp_lt_i32 s0, 6
	s_cbranch_scc1 .LBB364_131
; %bb.129:
	s_cmp_gt_i32 s0, 6
	s_cbranch_scc0 .LBB364_132
; %bb.130:
	s_wait_loadcnt 0x0
	global_load_b64 v[4:5], v[8:9], off
	s_mov_b32 s27, 0
	s_wait_loadcnt 0x0
	v_trunc_f64_e32 v[4:5], v[4:5]
	s_delay_alu instid0(VALU_DEP_1) | instskip(NEXT) | instid1(VALU_DEP_1)
	v_ldexp_f64 v[10:11], v[4:5], 0xffffffe0
	v_floor_f64_e32 v[10:11], v[10:11]
	s_delay_alu instid0(VALU_DEP_1) | instskip(SKIP_1) | instid1(VALU_DEP_2)
	v_fmamk_f64 v[12:13], v[10:11], 0xc1f00000, v[4:5]
	v_cvt_u32_f64_e32 v5, v[10:11]
	v_cvt_u32_f64_e32 v4, v[12:13]
	s_branch .LBB364_133
.LBB364_131:
	s_mov_b32 s27, -1
                                        ; implicit-def: $vgpr4_vgpr5
	s_branch .LBB364_136
.LBB364_132:
	s_mov_b32 s27, -1
                                        ; implicit-def: $vgpr4_vgpr5
.LBB364_133:
	s_delay_alu instid0(SALU_CYCLE_1)
	s_and_not1_b32 vcc_lo, exec_lo, s27
	s_cbranch_vccnz .LBB364_135
; %bb.134:
	global_load_b32 v1, v[8:9], off
	s_wait_loadcnt 0x0
	v_trunc_f32_e32 v1, v1
	s_delay_alu instid0(VALU_DEP_1) | instskip(NEXT) | instid1(VALU_DEP_1)
	v_mul_f32_e32 v3, 0x2f800000, v1
	v_floor_f32_e32 v3, v3
	s_delay_alu instid0(VALU_DEP_1) | instskip(SKIP_1) | instid1(VALU_DEP_2)
	v_fmamk_f32 v1, v3, 0xcf800000, v1
	v_cvt_u32_f32_e32 v5, v3
	v_cvt_u32_f32_e32 v4, v1
.LBB364_135:
	s_mov_b32 s27, 0
.LBB364_136:
	s_delay_alu instid0(SALU_CYCLE_1)
	s_and_not1_b32 vcc_lo, exec_lo, s27
	s_cbranch_vccnz .LBB364_138
; %bb.137:
	global_load_u16 v1, v[8:9], off
	s_wait_loadcnt 0x1
	v_mov_b32_e32 v5, 0
	s_wait_loadcnt 0x0
	v_cvt_f32_f16_e32 v1, v1
	s_delay_alu instid0(VALU_DEP_1)
	v_cvt_u32_f32_e32 v4, v1
.LBB364_138:
	s_cbranch_execnz .LBB364_158
.LBB364_139:
	s_cmp_lt_i32 s0, 2
	s_cbranch_scc1 .LBB364_143
; %bb.140:
	s_cmp_lt_i32 s0, 3
	s_cbranch_scc1 .LBB364_144
; %bb.141:
	s_cmp_gt_i32 s0, 3
	s_cbranch_scc0 .LBB364_145
; %bb.142:
	s_wait_loadcnt 0x0
	global_load_b64 v[4:5], v[8:9], off
	s_mov_b32 s27, 0
	s_branch .LBB364_146
.LBB364_143:
	s_mov_b32 s27, -1
                                        ; implicit-def: $vgpr4_vgpr5
	s_branch .LBB364_152
.LBB364_144:
	s_mov_b32 s27, -1
                                        ; implicit-def: $vgpr4_vgpr5
	s_branch .LBB364_149
.LBB364_145:
	s_mov_b32 s27, -1
                                        ; implicit-def: $vgpr4_vgpr5
.LBB364_146:
	s_delay_alu instid0(SALU_CYCLE_1)
	s_and_not1_b32 vcc_lo, exec_lo, s27
	s_cbranch_vccnz .LBB364_148
; %bb.147:
	s_wait_loadcnt 0x0
	global_load_b32 v4, v[8:9], off
	s_wait_loadcnt 0x0
	v_ashrrev_i32_e32 v5, 31, v4
.LBB364_148:
	s_mov_b32 s27, 0
.LBB364_149:
	s_delay_alu instid0(SALU_CYCLE_1)
	s_and_not1_b32 vcc_lo, exec_lo, s27
	s_cbranch_vccnz .LBB364_151
; %bb.150:
	global_load_u16 v1, v[8:9], off
	s_wait_loadcnt 0x0
	v_bfe_i32 v4, v1, 0, 16
	s_delay_alu instid0(VALU_DEP_1)
	v_ashrrev_i32_e32 v5, 31, v4
.LBB364_151:
	s_mov_b32 s27, 0
.LBB364_152:
	s_delay_alu instid0(SALU_CYCLE_1)
	s_and_not1_b32 vcc_lo, exec_lo, s27
	s_cbranch_vccnz .LBB364_158
; %bb.153:
	s_cmp_gt_i32 s0, 0
	s_mov_b32 s0, 0
	s_cbranch_scc0 .LBB364_155
; %bb.154:
	global_load_i8 v1, v[8:9], off
	s_wait_loadcnt 0x0
	v_bfe_i32 v4, v1, 0, 16
	s_delay_alu instid0(VALU_DEP_1)
	v_ashrrev_i32_e32 v5, 31, v4
	s_branch .LBB364_156
.LBB364_155:
	s_mov_b32 s0, -1
                                        ; implicit-def: $vgpr4_vgpr5
.LBB364_156:
	s_delay_alu instid0(SALU_CYCLE_1)
	s_and_not1_b32 vcc_lo, exec_lo, s0
	s_cbranch_vccnz .LBB364_158
; %bb.157:
	global_load_u8 v1, v[8:9], off
	s_mov_b32 s0, 0
	s_wait_loadcnt 0x1
	v_mov_b32_e32 v5, s0
	s_wait_loadcnt 0x0
	v_and_b32_e32 v4, 0xffff, v1
.LBB364_158:
	s_branch .LBB364_22
.LBB364_159:
	s_mov_b32 s0, 0
	s_mov_b32 s27, 0
	s_branch .LBB364_383
.LBB364_160:
	s_mov_b32 s27, -1
.LBB364_161:
	s_mov_b32 s40, 0
                                        ; implicit-def: $vgpr8_vgpr9
.LBB364_162:
	s_and_b32 vcc_lo, exec_lo, s41
	s_cbranch_vccz .LBB364_277
; %bb.163:
	s_cmp_eq_u32 s39, 44
	s_cbranch_scc0 .LBB364_276
; %bb.164:
	global_load_u8 v1, v[6:7], off
	s_mov_b32 s27, 0
	s_mov_b32 s40, -1
	s_wait_loadcnt 0x0
	v_cmp_ne_u32_e32 vcc_lo, 0, v1
	v_lshlrev_b32_e32 v3, 23, v1
	s_delay_alu instid0(VALU_DEP_1) | instskip(NEXT) | instid1(VALU_DEP_1)
	v_trunc_f32_e32 v3, v3
	v_mul_f32_e32 v8, 0x2f800000, v3
	s_delay_alu instid0(VALU_DEP_1) | instskip(NEXT) | instid1(VALU_DEP_1)
	v_floor_f32_e32 v8, v8
	v_fmamk_f32 v3, v8, 0xcf800000, v3
	v_cvt_u32_f32_e32 v8, v8
	s_delay_alu instid0(VALU_DEP_2) | instskip(NEXT) | instid1(VALU_DEP_1)
	v_cvt_u32_f32_e32 v3, v3
	v_dual_cndmask_b32 v9, 0, v8 :: v_dual_cndmask_b32 v8, 0, v3
	s_branch .LBB364_277
.LBB364_165:
	s_mov_b32 s44, -1
	s_mov_b32 s0, 0
	s_mov_b32 s43, 0
.LBB364_166:
	s_and_b32 vcc_lo, exec_lo, s44
	s_cbranch_vccz .LBB364_171
; %bb.167:
	s_cmp_eq_u32 s41, 44
	s_mov_b32 s0, -1
	s_cbranch_scc0 .LBB364_171
; %bb.168:
	v_cndmask_b32_e64 v5, 0, 1.0, s39
	s_mov_b32 s43, exec_lo
	s_wait_xcnt 0x0
	s_delay_alu instid0(VALU_DEP_1) | instskip(NEXT) | instid1(VALU_DEP_1)
	v_dual_mov_b32 v4, 0xff :: v_dual_lshrrev_b32 v1, 23, v5
	v_cmpx_ne_u32_e32 0xff, v1
; %bb.169:
	v_and_b32_e32 v4, 0x400000, v5
	v_and_or_b32 v5, 0x3fffff, v5, v1
	s_delay_alu instid0(VALU_DEP_2) | instskip(NEXT) | instid1(VALU_DEP_2)
	v_cmp_ne_u32_e32 vcc_lo, 0, v4
	v_cmp_ne_u32_e64 s0, 0, v5
	s_and_b32 s0, vcc_lo, s0
	s_delay_alu instid0(SALU_CYCLE_1) | instskip(NEXT) | instid1(VALU_DEP_1)
	v_cndmask_b32_e64 v4, 0, 1, s0
	v_add_nc_u32_e32 v4, v1, v4
; %bb.170:
	s_or_b32 exec_lo, exec_lo, s43
	s_mov_b32 s43, -1
	s_mov_b32 s0, 0
	global_store_b8 v[2:3], v4, off
.LBB364_171:
	s_mov_b32 s44, 0
.LBB364_172:
	s_delay_alu instid0(SALU_CYCLE_1)
	s_and_b32 vcc_lo, exec_lo, s44
	s_cbranch_vccz .LBB364_175
; %bb.173:
	s_cmp_eq_u32 s41, 29
	s_mov_b32 s0, -1
	s_cbranch_scc0 .LBB364_175
; %bb.174:
	s_mov_b32 s0, 0
	s_wait_xcnt 0x0
	v_cndmask_b32_e64 v4, 0, 1, s39
	v_mov_b32_e32 v5, s0
	s_mov_b32 s43, -1
	s_mov_b32 s44, 0
	global_store_b64 v[2:3], v[4:5], off
	s_branch .LBB364_176
.LBB364_175:
	s_mov_b32 s44, 0
.LBB364_176:
	s_delay_alu instid0(SALU_CYCLE_1)
	s_and_b32 vcc_lo, exec_lo, s44
	s_cbranch_vccz .LBB364_192
; %bb.177:
	s_cmp_lt_i32 s41, 27
	s_mov_b32 s43, -1
	s_cbranch_scc1 .LBB364_183
; %bb.178:
	s_cmp_gt_i32 s41, 27
	s_cbranch_scc0 .LBB364_180
; %bb.179:
	s_wait_xcnt 0x0
	v_cndmask_b32_e64 v1, 0, 1, s39
	s_mov_b32 s43, 0
	global_store_b32 v[2:3], v1, off
.LBB364_180:
	s_and_not1_b32 vcc_lo, exec_lo, s43
	s_cbranch_vccnz .LBB364_182
; %bb.181:
	s_wait_xcnt 0x0
	v_cndmask_b32_e64 v1, 0, 1, s39
	global_store_b16 v[2:3], v1, off
.LBB364_182:
	s_mov_b32 s43, 0
.LBB364_183:
	s_delay_alu instid0(SALU_CYCLE_1)
	s_and_not1_b32 vcc_lo, exec_lo, s43
	s_cbranch_vccnz .LBB364_191
; %bb.184:
	s_wait_xcnt 0x0
	v_cndmask_b32_e64 v4, 0, 1.0, s39
	v_mov_b32_e32 v5, 0x80
	s_mov_b32 s43, exec_lo
	s_delay_alu instid0(VALU_DEP_2)
	v_cmpx_gt_u32_e32 0x43800000, v4
	s_cbranch_execz .LBB364_190
; %bb.185:
	s_mov_b32 s44, 0
	s_mov_b32 s45, exec_lo
                                        ; implicit-def: $vgpr1
	v_cmpx_lt_u32_e32 0x3bffffff, v4
	s_xor_b32 s45, exec_lo, s45
	s_cbranch_execz .LBB364_425
; %bb.186:
	v_bfe_u32 v1, v4, 20, 1
	s_mov_b32 s44, exec_lo
	s_delay_alu instid0(VALU_DEP_1) | instskip(NEXT) | instid1(VALU_DEP_1)
	v_add3_u32 v1, v4, v1, 0x487ffff
                                        ; implicit-def: $vgpr4
	v_lshrrev_b32_e32 v1, 20, v1
	s_and_not1_saveexec_b32 s45, s45
	s_cbranch_execnz .LBB364_426
.LBB364_187:
	s_or_b32 exec_lo, exec_lo, s45
	v_mov_b32_e32 v5, 0
	s_and_saveexec_b32 s45, s44
.LBB364_188:
	v_mov_b32_e32 v5, v1
.LBB364_189:
	s_or_b32 exec_lo, exec_lo, s45
.LBB364_190:
	s_delay_alu instid0(SALU_CYCLE_1)
	s_or_b32 exec_lo, exec_lo, s43
	global_store_b8 v[2:3], v5, off
.LBB364_191:
	s_mov_b32 s43, -1
.LBB364_192:
	s_mov_b32 s44, 0
.LBB364_193:
	s_delay_alu instid0(SALU_CYCLE_1)
	s_and_b32 vcc_lo, exec_lo, s44
	s_cbranch_vccz .LBB364_234
; %bb.194:
	s_cmp_gt_i32 s41, 22
	s_mov_b32 s44, -1
	s_cbranch_scc0 .LBB364_226
; %bb.195:
	s_cmp_lt_i32 s41, 24
	s_mov_b32 s43, -1
	s_cbranch_scc1 .LBB364_215
; %bb.196:
	s_cmp_gt_i32 s41, 24
	s_cbranch_scc0 .LBB364_204
; %bb.197:
	s_wait_xcnt 0x0
	v_cndmask_b32_e64 v4, 0, 1.0, s39
	v_mov_b32_e32 v5, 0x80
	s_mov_b32 s43, exec_lo
	s_delay_alu instid0(VALU_DEP_2)
	v_cmpx_gt_u32_e32 0x47800000, v4
	s_cbranch_execz .LBB364_203
; %bb.198:
	s_mov_b32 s44, 0
	s_mov_b32 s45, exec_lo
                                        ; implicit-def: $vgpr1
	v_cmpx_lt_u32_e32 0x37ffffff, v4
	s_xor_b32 s45, exec_lo, s45
	s_cbranch_execz .LBB364_540
; %bb.199:
	v_bfe_u32 v1, v4, 21, 1
	s_mov_b32 s44, exec_lo
	s_delay_alu instid0(VALU_DEP_1) | instskip(NEXT) | instid1(VALU_DEP_1)
	v_add3_u32 v1, v4, v1, 0x88fffff
                                        ; implicit-def: $vgpr4
	v_lshrrev_b32_e32 v1, 21, v1
	s_and_not1_saveexec_b32 s45, s45
	s_cbranch_execnz .LBB364_541
.LBB364_200:
	s_or_b32 exec_lo, exec_lo, s45
	v_mov_b32_e32 v5, 0
	s_and_saveexec_b32 s45, s44
.LBB364_201:
	v_mov_b32_e32 v5, v1
.LBB364_202:
	s_or_b32 exec_lo, exec_lo, s45
.LBB364_203:
	s_delay_alu instid0(SALU_CYCLE_1)
	s_or_b32 exec_lo, exec_lo, s43
	s_mov_b32 s43, 0
	global_store_b8 v[2:3], v5, off
.LBB364_204:
	s_and_b32 vcc_lo, exec_lo, s43
	s_cbranch_vccz .LBB364_214
; %bb.205:
	s_wait_xcnt 0x0
	v_cndmask_b32_e64 v4, 0, 1.0, s39
	s_mov_b32 s43, exec_lo
                                        ; implicit-def: $vgpr1
	s_delay_alu instid0(VALU_DEP_1)
	v_cmpx_gt_u32_e32 0x43f00000, v4
	s_xor_b32 s43, exec_lo, s43
	s_cbranch_execz .LBB364_211
; %bb.206:
	s_mov_b32 s44, exec_lo
                                        ; implicit-def: $vgpr1
	v_cmpx_lt_u32_e32 0x3c7fffff, v4
	s_xor_b32 s44, exec_lo, s44
; %bb.207:
	v_bfe_u32 v1, v4, 20, 1
	s_delay_alu instid0(VALU_DEP_1) | instskip(NEXT) | instid1(VALU_DEP_1)
	v_add3_u32 v1, v4, v1, 0x407ffff
	v_and_b32_e32 v4, 0xff00000, v1
	v_lshrrev_b32_e32 v1, 20, v1
	s_delay_alu instid0(VALU_DEP_2) | instskip(NEXT) | instid1(VALU_DEP_2)
	v_cmp_ne_u32_e32 vcc_lo, 0x7f00000, v4
                                        ; implicit-def: $vgpr4
	v_cndmask_b32_e32 v1, 0x7e, v1, vcc_lo
; %bb.208:
	s_and_not1_saveexec_b32 s44, s44
; %bb.209:
	v_add_f32_e32 v1, 0x46800000, v4
; %bb.210:
	s_or_b32 exec_lo, exec_lo, s44
                                        ; implicit-def: $vgpr4
.LBB364_211:
	s_and_not1_saveexec_b32 s43, s43
; %bb.212:
	v_mov_b32_e32 v1, 0x7f
	v_cmp_lt_u32_e32 vcc_lo, 0x7f800000, v4
	s_delay_alu instid0(VALU_DEP_2)
	v_cndmask_b32_e32 v1, 0x7e, v1, vcc_lo
; %bb.213:
	s_or_b32 exec_lo, exec_lo, s43
	global_store_b8 v[2:3], v1, off
.LBB364_214:
	s_mov_b32 s43, 0
.LBB364_215:
	s_delay_alu instid0(SALU_CYCLE_1)
	s_and_not1_b32 vcc_lo, exec_lo, s43
	s_cbranch_vccnz .LBB364_225
; %bb.216:
	s_wait_xcnt 0x0
	v_cndmask_b32_e64 v4, 0, 1.0, s39
	s_mov_b32 s43, exec_lo
                                        ; implicit-def: $vgpr1
	s_delay_alu instid0(VALU_DEP_1)
	v_cmpx_gt_u32_e32 0x47800000, v4
	s_xor_b32 s43, exec_lo, s43
	s_cbranch_execz .LBB364_222
; %bb.217:
	s_mov_b32 s44, exec_lo
                                        ; implicit-def: $vgpr1
	v_cmpx_lt_u32_e32 0x387fffff, v4
	s_xor_b32 s44, exec_lo, s44
; %bb.218:
	v_bfe_u32 v1, v4, 21, 1
	s_delay_alu instid0(VALU_DEP_1) | instskip(NEXT) | instid1(VALU_DEP_1)
	v_add3_u32 v1, v4, v1, 0x80fffff
                                        ; implicit-def: $vgpr4
	v_lshrrev_b32_e32 v1, 21, v1
; %bb.219:
	s_and_not1_saveexec_b32 s44, s44
; %bb.220:
	v_add_f32_e32 v1, 0x43000000, v4
; %bb.221:
	s_or_b32 exec_lo, exec_lo, s44
                                        ; implicit-def: $vgpr4
.LBB364_222:
	s_and_not1_saveexec_b32 s43, s43
; %bb.223:
	v_mov_b32_e32 v1, 0x7f
	v_cmp_lt_u32_e32 vcc_lo, 0x7f800000, v4
	s_delay_alu instid0(VALU_DEP_2)
	v_cndmask_b32_e32 v1, 0x7c, v1, vcc_lo
; %bb.224:
	s_or_b32 exec_lo, exec_lo, s43
	global_store_b8 v[2:3], v1, off
.LBB364_225:
	s_mov_b32 s44, 0
	s_mov_b32 s43, -1
.LBB364_226:
	s_and_not1_b32 vcc_lo, exec_lo, s44
	s_cbranch_vccnz .LBB364_234
; %bb.227:
	s_cmp_gt_i32 s41, 14
	s_mov_b32 s44, -1
	s_cbranch_scc0 .LBB364_231
; %bb.228:
	s_cmp_eq_u32 s41, 15
	s_mov_b32 s0, -1
	s_cbranch_scc0 .LBB364_230
; %bb.229:
	s_wait_xcnt 0x0
	v_cndmask_b32_e64 v1, 0, 1.0, s39
	s_mov_b32 s43, -1
	s_mov_b32 s0, 0
	s_delay_alu instid0(VALU_DEP_1) | instskip(NEXT) | instid1(VALU_DEP_1)
	v_bfe_u32 v4, v1, 16, 1
	v_add3_u32 v1, v1, v4, 0x7fff
	global_store_d16_hi_b16 v[2:3], v1, off
.LBB364_230:
	s_mov_b32 s44, 0
.LBB364_231:
	s_delay_alu instid0(SALU_CYCLE_1)
	s_and_b32 vcc_lo, exec_lo, s44
	s_cbranch_vccz .LBB364_234
; %bb.232:
	s_cmp_eq_u32 s41, 11
	s_mov_b32 s0, -1
	s_cbranch_scc0 .LBB364_234
; %bb.233:
	s_wait_xcnt 0x0
	v_cndmask_b32_e64 v1, 0, 1, s39
	s_mov_b32 s43, -1
	s_mov_b32 s0, 0
	global_store_b8 v[2:3], v1, off
.LBB364_234:
	s_mov_b32 s41, 0
.LBB364_235:
	s_delay_alu instid0(SALU_CYCLE_1)
	s_and_b32 vcc_lo, exec_lo, s41
	s_cbranch_vccz .LBB364_274
; %bb.236:
	s_and_b32 s40, 0xffff, s40
	s_mov_b32 s41, -1
	s_cmp_lt_i32 s40, 5
	s_cbranch_scc1 .LBB364_257
; %bb.237:
	s_cmp_lt_i32 s40, 8
	s_cbranch_scc1 .LBB364_247
; %bb.238:
	;; [unrolled: 3-line block ×3, first 2 shown]
	s_cmp_gt_i32 s40, 9
	s_cbranch_scc0 .LBB364_241
; %bb.240:
	s_wait_xcnt 0x0
	v_cndmask_b32_e64 v1, 0, 1, s39
	v_mov_b32_e32 v6, 0
	s_mov_b32 s41, 0
	s_delay_alu instid0(VALU_DEP_2) | instskip(NEXT) | instid1(VALU_DEP_2)
	v_cvt_f64_u32_e32 v[4:5], v1
	v_mov_b32_e32 v7, v6
	global_store_b128 v[2:3], v[4:7], off
.LBB364_241:
	s_and_not1_b32 vcc_lo, exec_lo, s41
	s_cbranch_vccnz .LBB364_243
; %bb.242:
	s_wait_xcnt 0x0
	v_cndmask_b32_e64 v4, 0, 1.0, s39
	v_mov_b32_e32 v5, 0
	global_store_b64 v[2:3], v[4:5], off
.LBB364_243:
	s_mov_b32 s41, 0
.LBB364_244:
	s_delay_alu instid0(SALU_CYCLE_1)
	s_and_not1_b32 vcc_lo, exec_lo, s41
	s_cbranch_vccnz .LBB364_246
; %bb.245:
	s_wait_xcnt 0x0
	v_cndmask_b32_e64 v1, 0, 1.0, s39
	s_delay_alu instid0(VALU_DEP_1) | instskip(NEXT) | instid1(VALU_DEP_1)
	v_cvt_f16_f32_e32 v1, v1
	v_and_b32_e32 v1, 0xffff, v1
	global_store_b32 v[2:3], v1, off
.LBB364_246:
	s_mov_b32 s41, 0
.LBB364_247:
	s_delay_alu instid0(SALU_CYCLE_1)
	s_and_not1_b32 vcc_lo, exec_lo, s41
	s_cbranch_vccnz .LBB364_256
; %bb.248:
	s_cmp_lt_i32 s40, 6
	s_mov_b32 s41, -1
	s_cbranch_scc1 .LBB364_254
; %bb.249:
	s_cmp_gt_i32 s40, 6
	s_cbranch_scc0 .LBB364_251
; %bb.250:
	s_wait_xcnt 0x0
	v_cndmask_b32_e64 v1, 0, 1, s39
	s_mov_b32 s41, 0
	s_delay_alu instid0(VALU_DEP_1)
	v_cvt_f64_u32_e32 v[4:5], v1
	global_store_b64 v[2:3], v[4:5], off
.LBB364_251:
	s_and_not1_b32 vcc_lo, exec_lo, s41
	s_cbranch_vccnz .LBB364_253
; %bb.252:
	s_wait_xcnt 0x0
	v_cndmask_b32_e64 v1, 0, 1.0, s39
	global_store_b32 v[2:3], v1, off
.LBB364_253:
	s_mov_b32 s41, 0
.LBB364_254:
	s_delay_alu instid0(SALU_CYCLE_1)
	s_and_not1_b32 vcc_lo, exec_lo, s41
	s_cbranch_vccnz .LBB364_256
; %bb.255:
	s_wait_xcnt 0x0
	v_cndmask_b32_e64 v1, 0, 1.0, s39
	s_delay_alu instid0(VALU_DEP_1)
	v_cvt_f16_f32_e32 v1, v1
	global_store_b16 v[2:3], v1, off
.LBB364_256:
	s_mov_b32 s41, 0
.LBB364_257:
	s_delay_alu instid0(SALU_CYCLE_1)
	s_and_not1_b32 vcc_lo, exec_lo, s41
	s_cbranch_vccnz .LBB364_273
; %bb.258:
	s_cmp_lt_i32 s40, 2
	s_mov_b32 s41, -1
	s_cbranch_scc1 .LBB364_268
; %bb.259:
	s_cmp_lt_i32 s40, 3
	s_cbranch_scc1 .LBB364_265
; %bb.260:
	s_cmp_gt_i32 s40, 3
	s_cbranch_scc0 .LBB364_262
; %bb.261:
	s_mov_b32 s41, 0
	s_wait_xcnt 0x0
	v_cndmask_b32_e64 v4, 0, 1, s39
	v_mov_b32_e32 v5, s41
	global_store_b64 v[2:3], v[4:5], off
.LBB364_262:
	s_and_not1_b32 vcc_lo, exec_lo, s41
	s_cbranch_vccnz .LBB364_264
; %bb.263:
	s_wait_xcnt 0x0
	v_cndmask_b32_e64 v1, 0, 1, s39
	global_store_b32 v[2:3], v1, off
.LBB364_264:
	s_mov_b32 s41, 0
.LBB364_265:
	s_delay_alu instid0(SALU_CYCLE_1)
	s_and_not1_b32 vcc_lo, exec_lo, s41
	s_cbranch_vccnz .LBB364_267
; %bb.266:
	s_wait_xcnt 0x0
	v_cndmask_b32_e64 v1, 0, 1, s39
	global_store_b16 v[2:3], v1, off
.LBB364_267:
	s_mov_b32 s41, 0
.LBB364_268:
	s_delay_alu instid0(SALU_CYCLE_1)
	s_and_not1_b32 vcc_lo, exec_lo, s41
	s_cbranch_vccnz .LBB364_273
; %bb.269:
	s_cmp_gt_i32 s40, 0
	s_mov_b32 s40, -1
	s_cbranch_scc0 .LBB364_271
; %bb.270:
	s_wait_xcnt 0x0
	v_cndmask_b32_e64 v1, 0, 1, s39
	s_mov_b32 s40, 0
	global_store_b8 v[2:3], v1, off
.LBB364_271:
	s_and_not1_b32 vcc_lo, exec_lo, s40
	s_cbranch_vccnz .LBB364_273
; %bb.272:
	s_wait_xcnt 0x0
	v_cndmask_b32_e64 v1, 0, 1, s39
	global_store_b8 v[2:3], v1, off
.LBB364_273:
	s_mov_b32 s43, -1
.LBB364_274:
	s_delay_alu instid0(SALU_CYCLE_1)
	s_and_not1_b32 vcc_lo, exec_lo, s43
	s_cbranch_vccnz .LBB364_383
; %bb.275:
	v_add_nc_u32_e32 v0, 0x80, v0
	s_mov_b32 s43, -1
	s_branch .LBB364_384
.LBB364_276:
	s_mov_b32 s27, -1
                                        ; implicit-def: $vgpr8_vgpr9
.LBB364_277:
	s_mov_b32 s41, 0
.LBB364_278:
	s_delay_alu instid0(SALU_CYCLE_1)
	s_and_b32 vcc_lo, exec_lo, s41
	s_cbranch_vccz .LBB364_282
; %bb.279:
	s_cmp_eq_u32 s39, 29
	s_cbranch_scc0 .LBB364_281
; %bb.280:
	global_load_b64 v[8:9], v[6:7], off
	s_mov_b32 s40, -1
	s_mov_b32 s27, 0
	s_branch .LBB364_282
.LBB364_281:
	s_mov_b32 s27, -1
                                        ; implicit-def: $vgpr8_vgpr9
.LBB364_282:
	s_mov_b32 s41, 0
.LBB364_283:
	s_delay_alu instid0(SALU_CYCLE_1)
	s_and_b32 vcc_lo, exec_lo, s41
	s_cbranch_vccz .LBB364_299
; %bb.284:
	s_cmp_lt_i32 s39, 27
	s_cbranch_scc1 .LBB364_287
; %bb.285:
	s_cmp_gt_i32 s39, 27
	s_cbranch_scc0 .LBB364_288
; %bb.286:
	s_wait_loadcnt 0x0
	global_load_b32 v8, v[6:7], off
	v_mov_b32_e32 v9, 0
	s_mov_b32 s40, 0
	s_branch .LBB364_289
.LBB364_287:
	s_mov_b32 s40, -1
                                        ; implicit-def: $vgpr8_vgpr9
	s_branch .LBB364_292
.LBB364_288:
	s_mov_b32 s40, -1
                                        ; implicit-def: $vgpr8_vgpr9
.LBB364_289:
	s_delay_alu instid0(SALU_CYCLE_1)
	s_and_not1_b32 vcc_lo, exec_lo, s40
	s_cbranch_vccnz .LBB364_291
; %bb.290:
	global_load_u16 v1, v[6:7], off
	s_mov_b32 s40, 0
	s_wait_loadcnt 0x1
	s_wait_xcnt 0x1
	v_mov_b32_e32 v9, s40
	s_wait_loadcnt 0x0
	v_and_b32_e32 v8, 0xffff, v1
.LBB364_291:
	s_mov_b32 s40, 0
.LBB364_292:
	s_delay_alu instid0(SALU_CYCLE_1)
	s_and_not1_b32 vcc_lo, exec_lo, s40
	s_cbranch_vccnz .LBB364_298
; %bb.293:
	global_load_u8 v1, v[6:7], off
	s_mov_b32 s41, 0
	s_mov_b32 s40, exec_lo
	s_wait_loadcnt 0x0
	v_cmpx_lt_i16_e32 0x7f, v1
	s_xor_b32 s40, exec_lo, s40
	s_cbranch_execz .LBB364_310
; %bb.294:
	v_cmp_ne_u16_e32 vcc_lo, 0x80, v1
	s_and_b32 s41, vcc_lo, exec_lo
	s_and_not1_saveexec_b32 s40, s40
	s_cbranch_execnz .LBB364_311
.LBB364_295:
	s_or_b32 exec_lo, exec_lo, s40
	v_mov_b64_e32 v[8:9], 0
	s_and_saveexec_b32 s40, s41
	s_cbranch_execz .LBB364_297
.LBB364_296:
	v_and_b32_e32 v3, 0xffff, v1
	s_delay_alu instid0(VALU_DEP_1) | instskip(SKIP_1) | instid1(VALU_DEP_2)
	v_and_b32_e32 v8, 7, v3
	v_bfe_u32 v11, v3, 3, 4
	v_clz_i32_u32_e32 v9, v8
	s_delay_alu instid0(VALU_DEP_2) | instskip(NEXT) | instid1(VALU_DEP_2)
	v_cmp_eq_u32_e32 vcc_lo, 0, v11
	v_min_u32_e32 v9, 32, v9
	s_delay_alu instid0(VALU_DEP_1) | instskip(NEXT) | instid1(VALU_DEP_1)
	v_subrev_nc_u32_e32 v10, 28, v9
	v_dual_lshlrev_b32 v3, v10, v3 :: v_dual_sub_nc_u32 v9, 29, v9
	s_delay_alu instid0(VALU_DEP_1) | instskip(NEXT) | instid1(VALU_DEP_1)
	v_dual_lshlrev_b32 v1, 24, v1 :: v_dual_bitop2_b32 v3, 7, v3 bitop3:0x40
	v_dual_cndmask_b32 v3, v8, v3, vcc_lo :: v_dual_cndmask_b32 v9, v11, v9, vcc_lo
	s_delay_alu instid0(VALU_DEP_2) | instskip(NEXT) | instid1(VALU_DEP_2)
	v_and_b32_e32 v1, 0x80000000, v1
	v_lshlrev_b32_e32 v3, 20, v3
	s_delay_alu instid0(VALU_DEP_3) | instskip(NEXT) | instid1(VALU_DEP_1)
	v_lshl_add_u32 v8, v9, 23, 0x3b800000
	v_or3_b32 v1, v1, v8, v3
	s_delay_alu instid0(VALU_DEP_1) | instskip(NEXT) | instid1(VALU_DEP_1)
	v_trunc_f32_e32 v1, v1
	v_mul_f32_e32 v3, 0x2f800000, v1
	s_delay_alu instid0(VALU_DEP_1) | instskip(NEXT) | instid1(VALU_DEP_1)
	v_floor_f32_e32 v3, v3
	v_fmamk_f32 v1, v3, 0xcf800000, v1
	v_cvt_u32_f32_e32 v9, v3
	s_delay_alu instid0(VALU_DEP_2)
	v_cvt_u32_f32_e32 v8, v1
.LBB364_297:
	s_or_b32 exec_lo, exec_lo, s40
.LBB364_298:
	s_mov_b32 s40, -1
.LBB364_299:
	s_mov_b32 s41, 0
.LBB364_300:
	s_delay_alu instid0(SALU_CYCLE_1)
	s_and_b32 vcc_lo, exec_lo, s41
	s_cbranch_vccz .LBB364_333
; %bb.301:
	s_cmp_gt_i32 s39, 22
	s_cbranch_scc0 .LBB364_309
; %bb.302:
	s_cmp_lt_i32 s39, 24
	s_cbranch_scc1 .LBB364_312
; %bb.303:
	s_cmp_gt_i32 s39, 24
	s_cbranch_scc0 .LBB364_313
; %bb.304:
	global_load_u8 v1, v[6:7], off
	s_mov_b32 s41, 0
	s_mov_b32 s40, exec_lo
	s_wait_loadcnt 0x0
	v_cmpx_lt_i16_e32 0x7f, v1
	s_xor_b32 s40, exec_lo, s40
	s_cbranch_execz .LBB364_325
; %bb.305:
	v_cmp_ne_u16_e32 vcc_lo, 0x80, v1
	s_and_b32 s41, vcc_lo, exec_lo
	s_and_not1_saveexec_b32 s40, s40
	s_cbranch_execnz .LBB364_326
.LBB364_306:
	s_or_b32 exec_lo, exec_lo, s40
	v_mov_b64_e32 v[8:9], 0
	s_and_saveexec_b32 s40, s41
	s_cbranch_execz .LBB364_308
.LBB364_307:
	v_and_b32_e32 v3, 0xffff, v1
	s_delay_alu instid0(VALU_DEP_1) | instskip(SKIP_1) | instid1(VALU_DEP_2)
	v_and_b32_e32 v8, 3, v3
	v_bfe_u32 v11, v3, 2, 5
	v_clz_i32_u32_e32 v9, v8
	s_delay_alu instid0(VALU_DEP_2) | instskip(NEXT) | instid1(VALU_DEP_2)
	v_cmp_eq_u32_e32 vcc_lo, 0, v11
	v_min_u32_e32 v9, 32, v9
	s_delay_alu instid0(VALU_DEP_1) | instskip(NEXT) | instid1(VALU_DEP_1)
	v_subrev_nc_u32_e32 v10, 29, v9
	v_dual_lshlrev_b32 v3, v10, v3 :: v_dual_sub_nc_u32 v9, 30, v9
	s_delay_alu instid0(VALU_DEP_1) | instskip(NEXT) | instid1(VALU_DEP_1)
	v_dual_lshlrev_b32 v1, 24, v1 :: v_dual_bitop2_b32 v3, 3, v3 bitop3:0x40
	v_dual_cndmask_b32 v3, v8, v3, vcc_lo :: v_dual_cndmask_b32 v9, v11, v9, vcc_lo
	s_delay_alu instid0(VALU_DEP_2) | instskip(NEXT) | instid1(VALU_DEP_2)
	v_and_b32_e32 v1, 0x80000000, v1
	v_lshlrev_b32_e32 v3, 21, v3
	s_delay_alu instid0(VALU_DEP_3) | instskip(NEXT) | instid1(VALU_DEP_1)
	v_lshl_add_u32 v8, v9, 23, 0x37800000
	v_or3_b32 v1, v1, v8, v3
	s_delay_alu instid0(VALU_DEP_1) | instskip(NEXT) | instid1(VALU_DEP_1)
	v_trunc_f32_e32 v1, v1
	v_mul_f32_e32 v3, 0x2f800000, v1
	s_delay_alu instid0(VALU_DEP_1) | instskip(NEXT) | instid1(VALU_DEP_1)
	v_floor_f32_e32 v3, v3
	v_fmamk_f32 v1, v3, 0xcf800000, v1
	v_cvt_u32_f32_e32 v9, v3
	s_delay_alu instid0(VALU_DEP_2)
	v_cvt_u32_f32_e32 v8, v1
.LBB364_308:
	s_or_b32 exec_lo, exec_lo, s40
	s_mov_b32 s40, 0
	s_branch .LBB364_314
.LBB364_309:
	s_mov_b32 s41, -1
                                        ; implicit-def: $vgpr8_vgpr9
	s_branch .LBB364_320
.LBB364_310:
	s_and_not1_saveexec_b32 s40, s40
	s_cbranch_execz .LBB364_295
.LBB364_311:
	v_cmp_ne_u16_e32 vcc_lo, 0, v1
	s_and_not1_b32 s41, s41, exec_lo
	s_and_b32 s43, vcc_lo, exec_lo
	s_delay_alu instid0(SALU_CYCLE_1)
	s_or_b32 s41, s41, s43
	s_or_b32 exec_lo, exec_lo, s40
	v_mov_b64_e32 v[8:9], 0
	s_and_saveexec_b32 s40, s41
	s_cbranch_execnz .LBB364_296
	s_branch .LBB364_297
.LBB364_312:
	s_mov_b32 s40, -1
                                        ; implicit-def: $vgpr8_vgpr9
	s_branch .LBB364_317
.LBB364_313:
	s_mov_b32 s40, -1
                                        ; implicit-def: $vgpr8_vgpr9
.LBB364_314:
	s_delay_alu instid0(SALU_CYCLE_1)
	s_and_b32 vcc_lo, exec_lo, s40
	s_cbranch_vccz .LBB364_316
; %bb.315:
	global_load_u8 v1, v[6:7], off
	s_wait_loadcnt 0x0
	v_lshlrev_b32_e32 v1, 24, v1
	s_delay_alu instid0(VALU_DEP_1) | instskip(NEXT) | instid1(VALU_DEP_1)
	v_and_b32_e32 v3, 0x7f000000, v1
	v_clz_i32_u32_e32 v8, v3
	v_cmp_ne_u32_e32 vcc_lo, 0, v3
	v_add_nc_u32_e32 v10, 0x1000000, v3
	s_delay_alu instid0(VALU_DEP_3) | instskip(NEXT) | instid1(VALU_DEP_1)
	v_min_u32_e32 v8, 32, v8
	v_sub_nc_u32_e64 v8, v8, 4 clamp
	s_delay_alu instid0(VALU_DEP_1) | instskip(NEXT) | instid1(VALU_DEP_1)
	v_dual_lshlrev_b32 v9, v8, v3 :: v_dual_lshlrev_b32 v8, 23, v8
	v_lshrrev_b32_e32 v9, 4, v9
	s_delay_alu instid0(VALU_DEP_1) | instskip(NEXT) | instid1(VALU_DEP_1)
	v_dual_sub_nc_u32 v8, v9, v8 :: v_dual_ashrrev_i32 v9, 8, v10
	v_add_nc_u32_e32 v8, 0x3c000000, v8
	s_delay_alu instid0(VALU_DEP_1) | instskip(NEXT) | instid1(VALU_DEP_1)
	v_and_or_b32 v8, 0x7f800000, v9, v8
	v_cndmask_b32_e32 v3, 0, v8, vcc_lo
	s_delay_alu instid0(VALU_DEP_1) | instskip(NEXT) | instid1(VALU_DEP_1)
	v_and_or_b32 v1, 0x80000000, v1, v3
	v_trunc_f32_e32 v1, v1
	s_delay_alu instid0(VALU_DEP_1) | instskip(NEXT) | instid1(VALU_DEP_1)
	v_mul_f32_e32 v3, 0x2f800000, v1
	v_floor_f32_e32 v3, v3
	s_delay_alu instid0(VALU_DEP_1) | instskip(SKIP_1) | instid1(VALU_DEP_2)
	v_fmamk_f32 v1, v3, 0xcf800000, v1
	v_cvt_u32_f32_e32 v9, v3
	v_cvt_u32_f32_e32 v8, v1
.LBB364_316:
	s_mov_b32 s40, 0
.LBB364_317:
	s_delay_alu instid0(SALU_CYCLE_1)
	s_and_not1_b32 vcc_lo, exec_lo, s40
	s_cbranch_vccnz .LBB364_319
; %bb.318:
	global_load_u8 v1, v[6:7], off
	s_wait_loadcnt 0x0
	v_lshlrev_b32_e32 v3, 25, v1
	v_lshlrev_b16 v1, 8, v1
	s_delay_alu instid0(VALU_DEP_1) | instskip(NEXT) | instid1(VALU_DEP_3)
	v_and_or_b32 v9, 0x7f00, v1, 0.5
	v_lshrrev_b32_e32 v8, 4, v3
	v_bfe_i32 v1, v1, 0, 16
	s_delay_alu instid0(VALU_DEP_3) | instskip(NEXT) | instid1(VALU_DEP_3)
	v_add_f32_e32 v9, -0.5, v9
	v_or_b32_e32 v8, 0x70000000, v8
	s_delay_alu instid0(VALU_DEP_1) | instskip(SKIP_1) | instid1(VALU_DEP_2)
	v_mul_f32_e32 v8, 0x7800000, v8
	v_cmp_gt_u32_e32 vcc_lo, 0x8000000, v3
	v_cndmask_b32_e32 v3, v8, v9, vcc_lo
	s_delay_alu instid0(VALU_DEP_1) | instskip(NEXT) | instid1(VALU_DEP_1)
	v_and_or_b32 v1, 0x80000000, v1, v3
	v_trunc_f32_e32 v1, v1
	s_delay_alu instid0(VALU_DEP_1) | instskip(NEXT) | instid1(VALU_DEP_1)
	v_mul_f32_e32 v3, 0x2f800000, v1
	v_floor_f32_e32 v3, v3
	s_delay_alu instid0(VALU_DEP_1) | instskip(SKIP_1) | instid1(VALU_DEP_2)
	v_fmamk_f32 v1, v3, 0xcf800000, v1
	v_cvt_u32_f32_e32 v9, v3
	v_cvt_u32_f32_e32 v8, v1
.LBB364_319:
	s_mov_b32 s41, 0
	s_mov_b32 s40, -1
.LBB364_320:
	s_and_not1_b32 vcc_lo, exec_lo, s41
	s_cbranch_vccnz .LBB364_333
; %bb.321:
	s_cmp_gt_i32 s39, 14
	s_cbranch_scc0 .LBB364_324
; %bb.322:
	s_cmp_eq_u32 s39, 15
	s_cbranch_scc0 .LBB364_327
; %bb.323:
	global_load_u16 v1, v[6:7], off
	s_mov_b32 s40, -1
	s_mov_b32 s27, 0
	s_wait_loadcnt 0x0
	v_lshlrev_b32_e32 v1, 16, v1
	s_delay_alu instid0(VALU_DEP_1) | instskip(NEXT) | instid1(VALU_DEP_1)
	v_trunc_f32_e32 v1, v1
	v_mul_f32_e32 v3, 0x2f800000, v1
	s_delay_alu instid0(VALU_DEP_1) | instskip(NEXT) | instid1(VALU_DEP_1)
	v_floor_f32_e32 v3, v3
	v_fmamk_f32 v1, v3, 0xcf800000, v1
	v_cvt_u32_f32_e32 v9, v3
	s_delay_alu instid0(VALU_DEP_2)
	v_cvt_u32_f32_e32 v8, v1
	s_branch .LBB364_328
.LBB364_324:
	s_mov_b32 s41, -1
                                        ; implicit-def: $vgpr8_vgpr9
	s_branch .LBB364_329
.LBB364_325:
	s_and_not1_saveexec_b32 s40, s40
	s_cbranch_execz .LBB364_306
.LBB364_326:
	v_cmp_ne_u16_e32 vcc_lo, 0, v1
	s_and_not1_b32 s41, s41, exec_lo
	s_and_b32 s43, vcc_lo, exec_lo
	s_delay_alu instid0(SALU_CYCLE_1)
	s_or_b32 s41, s41, s43
	s_or_b32 exec_lo, exec_lo, s40
	v_mov_b64_e32 v[8:9], 0
	s_and_saveexec_b32 s40, s41
	s_cbranch_execnz .LBB364_307
	s_branch .LBB364_308
.LBB364_327:
	s_mov_b32 s27, -1
                                        ; implicit-def: $vgpr8_vgpr9
.LBB364_328:
	s_mov_b32 s41, 0
.LBB364_329:
	s_delay_alu instid0(SALU_CYCLE_1)
	s_and_b32 vcc_lo, exec_lo, s41
	s_cbranch_vccz .LBB364_333
; %bb.330:
	s_cmp_eq_u32 s39, 11
	s_cbranch_scc0 .LBB364_332
; %bb.331:
	global_load_u8 v1, v[6:7], off
	s_mov_b32 s27, 0
	s_mov_b32 s40, -1
	s_wait_loadcnt 0x1
	s_wait_xcnt 0x1
	v_mov_b32_e32 v9, s27
	s_wait_loadcnt 0x0
	v_cmp_ne_u16_e32 vcc_lo, 0, v1
	v_cndmask_b32_e64 v8, 0, 1, vcc_lo
	s_branch .LBB364_333
.LBB364_332:
	s_mov_b32 s27, -1
                                        ; implicit-def: $vgpr8_vgpr9
.LBB364_333:
	s_branch .LBB364_31
.LBB364_334:
	s_and_b32 s0, 0xffff, s0
	s_delay_alu instid0(SALU_CYCLE_1)
	s_cmp_lt_i32 s0, 5
	s_cbranch_scc1 .LBB364_339
; %bb.335:
	s_cmp_lt_i32 s0, 8
	s_cbranch_scc1 .LBB364_340
; %bb.336:
	;; [unrolled: 3-line block ×3, first 2 shown]
	s_cmp_gt_i32 s0, 9
	s_cbranch_scc0 .LBB364_342
; %bb.338:
	s_wait_loadcnt 0x0
	global_load_b64 v[8:9], v[6:7], off
	s_mov_b32 s39, 0
	s_wait_loadcnt 0x0
	v_trunc_f64_e32 v[8:9], v[8:9]
	s_delay_alu instid0(VALU_DEP_1) | instskip(NEXT) | instid1(VALU_DEP_1)
	v_ldexp_f64 v[10:11], v[8:9], 0xffffffe0
	v_floor_f64_e32 v[10:11], v[10:11]
	s_delay_alu instid0(VALU_DEP_1) | instskip(SKIP_1) | instid1(VALU_DEP_2)
	v_fmamk_f64 v[12:13], v[10:11], 0xc1f00000, v[8:9]
	v_cvt_u32_f64_e32 v9, v[10:11]
	v_cvt_u32_f64_e32 v8, v[12:13]
	s_branch .LBB364_343
.LBB364_339:
	s_mov_b32 s39, -1
                                        ; implicit-def: $vgpr8_vgpr9
	s_branch .LBB364_361
.LBB364_340:
	s_mov_b32 s39, -1
                                        ; implicit-def: $vgpr8_vgpr9
	s_branch .LBB364_349
.LBB364_341:
	s_mov_b32 s39, -1
                                        ; implicit-def: $vgpr8_vgpr9
	s_branch .LBB364_346
.LBB364_342:
	s_mov_b32 s39, -1
                                        ; implicit-def: $vgpr8_vgpr9
.LBB364_343:
	s_delay_alu instid0(SALU_CYCLE_1)
	s_and_not1_b32 vcc_lo, exec_lo, s39
	s_cbranch_vccnz .LBB364_345
; %bb.344:
	global_load_b32 v1, v[6:7], off
	s_wait_loadcnt 0x0
	v_trunc_f32_e32 v1, v1
	s_delay_alu instid0(VALU_DEP_1) | instskip(NEXT) | instid1(VALU_DEP_1)
	v_mul_f32_e32 v3, 0x2f800000, v1
	v_floor_f32_e32 v3, v3
	s_delay_alu instid0(VALU_DEP_1) | instskip(SKIP_1) | instid1(VALU_DEP_2)
	v_fmamk_f32 v1, v3, 0xcf800000, v1
	v_cvt_u32_f32_e32 v9, v3
	v_cvt_u32_f32_e32 v8, v1
.LBB364_345:
	s_mov_b32 s39, 0
.LBB364_346:
	s_delay_alu instid0(SALU_CYCLE_1)
	s_and_not1_b32 vcc_lo, exec_lo, s39
	s_cbranch_vccnz .LBB364_348
; %bb.347:
	global_load_b32 v1, v[6:7], off
	s_wait_loadcnt 0x1
	s_wait_xcnt 0x1
	v_mov_b32_e32 v9, 0
	s_wait_loadcnt 0x0
	v_cvt_f32_f16_e32 v1, v1
	s_delay_alu instid0(VALU_DEP_1)
	v_cvt_u32_f32_e32 v8, v1
.LBB364_348:
	s_mov_b32 s39, 0
.LBB364_349:
	s_delay_alu instid0(SALU_CYCLE_1)
	s_and_not1_b32 vcc_lo, exec_lo, s39
	s_cbranch_vccnz .LBB364_360
; %bb.350:
	s_cmp_lt_i32 s0, 6
	s_cbranch_scc1 .LBB364_353
; %bb.351:
	s_cmp_gt_i32 s0, 6
	s_cbranch_scc0 .LBB364_354
; %bb.352:
	s_wait_loadcnt 0x0
	global_load_b64 v[8:9], v[6:7], off
	s_mov_b32 s39, 0
	s_wait_loadcnt 0x0
	v_trunc_f64_e32 v[8:9], v[8:9]
	s_delay_alu instid0(VALU_DEP_1) | instskip(NEXT) | instid1(VALU_DEP_1)
	v_ldexp_f64 v[10:11], v[8:9], 0xffffffe0
	v_floor_f64_e32 v[10:11], v[10:11]
	s_delay_alu instid0(VALU_DEP_1) | instskip(SKIP_1) | instid1(VALU_DEP_2)
	v_fmamk_f64 v[12:13], v[10:11], 0xc1f00000, v[8:9]
	v_cvt_u32_f64_e32 v9, v[10:11]
	v_cvt_u32_f64_e32 v8, v[12:13]
	s_branch .LBB364_355
.LBB364_353:
	s_mov_b32 s39, -1
                                        ; implicit-def: $vgpr8_vgpr9
	s_branch .LBB364_358
.LBB364_354:
	s_mov_b32 s39, -1
                                        ; implicit-def: $vgpr8_vgpr9
.LBB364_355:
	s_delay_alu instid0(SALU_CYCLE_1)
	s_and_not1_b32 vcc_lo, exec_lo, s39
	s_cbranch_vccnz .LBB364_357
; %bb.356:
	global_load_b32 v1, v[6:7], off
	s_wait_loadcnt 0x0
	v_trunc_f32_e32 v1, v1
	s_delay_alu instid0(VALU_DEP_1) | instskip(NEXT) | instid1(VALU_DEP_1)
	v_mul_f32_e32 v3, 0x2f800000, v1
	v_floor_f32_e32 v3, v3
	s_delay_alu instid0(VALU_DEP_1) | instskip(SKIP_1) | instid1(VALU_DEP_2)
	v_fmamk_f32 v1, v3, 0xcf800000, v1
	v_cvt_u32_f32_e32 v9, v3
	v_cvt_u32_f32_e32 v8, v1
.LBB364_357:
	s_mov_b32 s39, 0
.LBB364_358:
	s_delay_alu instid0(SALU_CYCLE_1)
	s_and_not1_b32 vcc_lo, exec_lo, s39
	s_cbranch_vccnz .LBB364_360
; %bb.359:
	global_load_u16 v1, v[6:7], off
	s_wait_loadcnt 0x1
	s_wait_xcnt 0x1
	v_mov_b32_e32 v9, 0
	s_wait_loadcnt 0x0
	v_cvt_f32_f16_e32 v1, v1
	s_delay_alu instid0(VALU_DEP_1)
	v_cvt_u32_f32_e32 v8, v1
.LBB364_360:
	s_mov_b32 s39, 0
.LBB364_361:
	s_delay_alu instid0(SALU_CYCLE_1)
	s_and_not1_b32 vcc_lo, exec_lo, s39
	s_cbranch_vccnz .LBB364_381
; %bb.362:
	s_cmp_lt_i32 s0, 2
	s_cbranch_scc1 .LBB364_366
; %bb.363:
	s_cmp_lt_i32 s0, 3
	s_cbranch_scc1 .LBB364_367
; %bb.364:
	s_cmp_gt_i32 s0, 3
	s_cbranch_scc0 .LBB364_368
; %bb.365:
	s_wait_loadcnt 0x0
	global_load_b64 v[8:9], v[6:7], off
	s_mov_b32 s39, 0
	s_branch .LBB364_369
.LBB364_366:
	s_mov_b32 s39, -1
                                        ; implicit-def: $vgpr8_vgpr9
	s_branch .LBB364_375
.LBB364_367:
	s_mov_b32 s39, -1
                                        ; implicit-def: $vgpr8_vgpr9
	s_branch .LBB364_372
.LBB364_368:
	s_mov_b32 s39, -1
                                        ; implicit-def: $vgpr8_vgpr9
.LBB364_369:
	s_delay_alu instid0(SALU_CYCLE_1)
	s_and_not1_b32 vcc_lo, exec_lo, s39
	s_cbranch_vccnz .LBB364_371
; %bb.370:
	s_wait_loadcnt 0x0
	global_load_b32 v8, v[6:7], off
	s_wait_loadcnt 0x0
	v_ashrrev_i32_e32 v9, 31, v8
.LBB364_371:
	s_mov_b32 s39, 0
.LBB364_372:
	s_delay_alu instid0(SALU_CYCLE_1)
	s_and_not1_b32 vcc_lo, exec_lo, s39
	s_cbranch_vccnz .LBB364_374
; %bb.373:
	global_load_u16 v1, v[6:7], off
	s_wait_loadcnt 0x0
	v_bfe_i32 v8, v1, 0, 16
	s_delay_alu instid0(VALU_DEP_1)
	v_ashrrev_i32_e32 v9, 31, v8
.LBB364_374:
	s_mov_b32 s39, 0
.LBB364_375:
	s_delay_alu instid0(SALU_CYCLE_1)
	s_and_not1_b32 vcc_lo, exec_lo, s39
	s_cbranch_vccnz .LBB364_381
; %bb.376:
	s_cmp_gt_i32 s0, 0
	s_mov_b32 s0, 0
	s_cbranch_scc0 .LBB364_378
; %bb.377:
	global_load_i8 v1, v[6:7], off
	s_wait_loadcnt 0x0
	v_bfe_i32 v8, v1, 0, 16
	s_delay_alu instid0(VALU_DEP_1)
	v_ashrrev_i32_e32 v9, 31, v8
	s_branch .LBB364_379
.LBB364_378:
	s_mov_b32 s0, -1
                                        ; implicit-def: $vgpr8_vgpr9
.LBB364_379:
	s_delay_alu instid0(SALU_CYCLE_1)
	s_and_not1_b32 vcc_lo, exec_lo, s0
	s_cbranch_vccnz .LBB364_381
; %bb.380:
	global_load_u8 v1, v[6:7], off
	s_mov_b32 s0, 0
	s_wait_loadcnt 0x1
	s_wait_xcnt 0x1
	v_mov_b32_e32 v9, s0
	s_wait_loadcnt 0x0
	v_and_b32_e32 v8, 0xffff, v1
.LBB364_381:
	s_branch .LBB364_32
.LBB364_382:
	s_mov_b32 s0, 0
.LBB364_383:
	s_mov_b32 s43, 0
                                        ; implicit-def: $vgpr0
.LBB364_384:
	s_and_b32 s39, s0, exec_lo
	s_and_b32 s40, s27, exec_lo
	;; [unrolled: 1-line block ×3, first 2 shown]
	s_or_not1_b32 s27, s43, exec_lo
.LBB364_385:
	s_wait_xcnt 0x0
	s_or_b32 exec_lo, exec_lo, s42
	s_mov_b32 s44, 0
	s_mov_b32 s26, 0
                                        ; implicit-def: $sgpr0
                                        ; implicit-def: $vgpr8_vgpr9
                                        ; implicit-def: $vgpr6
                                        ; implicit-def: $vgpr2
                                        ; implicit-def: $vgpr4_vgpr5
	s_and_saveexec_b32 s42, s27
	s_cbranch_execz .LBB364_393
; %bb.386:
	s_mov_b32 s48, -1
	s_mov_b32 s43, s41
	s_mov_b32 s45, s40
	s_mov_b32 s44, s39
	s_mov_b32 s46, exec_lo
	v_cmpx_gt_i32_e64 s37, v0
	s_cbranch_execz .LBB364_781
; %bb.387:
	s_and_not1_b32 vcc_lo, exec_lo, s31
	s_cbranch_vccnz .LBB364_396
; %bb.388:
	s_and_not1_b32 vcc_lo, exec_lo, s38
	s_cbranch_vccnz .LBB364_397
; %bb.389:
	v_dual_mov_b32 v2, 0 :: v_dual_mov_b32 v1, v0
	s_wait_loadcnt 0x0
	v_dual_mov_b32 v4, 0 :: v_dual_mov_b32 v6, 0
	s_add_co_i32 s0, s36, 1
	s_mov_b64 s[26:27], 0xffffffffffffffe8
	s_and_b32 s0, s0, 30
	s_add_nc_u64 s[26:27], s[2:3], s[26:27]
.LBB364_390:                            ; =>This Inner Loop Header: Depth=1
	s_clause 0x1
	s_load_b128 s[48:51], s[26:27], 0x1c
	s_load_b64 s[44:45], s[26:27], 0x2c
	s_add_co_i32 s0, s0, -2
	s_delay_alu instid0(SALU_CYCLE_1) | instskip(SKIP_2) | instid1(VALU_DEP_1)
	s_cmp_eq_u32 s0, 0
	s_wait_kmcnt 0x0
	v_mul_hi_u32 v3, s49, v1
	v_add_nc_u32_e32 v3, v1, v3
	s_delay_alu instid0(VALU_DEP_1) | instskip(NEXT) | instid1(VALU_DEP_1)
	v_lshrrev_b32_e32 v3, s50, v3
	v_mul_hi_u32 v5, s44, v3
	v_mul_lo_u32 v7, v3, s48
	s_clause 0x1
	s_load_b128 s[52:55], s[26:27], 0xdc
	s_load_b64 s[48:49], s[26:27], 0xec
	s_wait_xcnt 0x0
	s_add_nc_u64 s[26:27], s[26:27], 24
	s_delay_alu instid0(VALU_DEP_1) | instskip(NEXT) | instid1(VALU_DEP_1)
	v_dual_add_nc_u32 v5, v3, v5 :: v_dual_sub_nc_u32 v7, v1, v7
	v_lshrrev_b32_e32 v1, s45, v5
	s_wait_kmcnt 0x0
	s_delay_alu instid0(VALU_DEP_2) | instskip(NEXT) | instid1(VALU_DEP_2)
	v_mad_u32 v2, v7, s52, v2
	v_mul_lo_u32 v5, v1, s51
	v_mad_u32 v6, v7, s54, v6
	v_mad_u32 v4, v7, s53, v4
	s_delay_alu instid0(VALU_DEP_3) | instskip(NEXT) | instid1(VALU_DEP_1)
	v_sub_nc_u32_e32 v3, v3, v5
	v_mad_u32 v2, v3, s55, v2
	s_delay_alu instid0(VALU_DEP_4) | instskip(NEXT) | instid1(VALU_DEP_4)
	v_mad_u32 v6, v3, s49, v6
	v_mad_u32 v4, v3, s48, v4
	s_cbranch_scc0 .LBB364_390
; %bb.391:
	s_bitcmp1_b32 s36, 0
	s_cselect_b32 s0, -1, 0
	s_delay_alu instid0(SALU_CYCLE_1)
	s_and_b32 vcc_lo, exec_lo, s0
	s_cbranch_vccnz .LBB364_398
; %bb.392:
	s_clause 0x1
	s_load_b96 s[48:50], s[26:27], 0x1c
	s_load_b96 s[52:54], s[26:27], 0xdc
	s_wait_kmcnt 0x0
	v_mul_hi_u32 v3, s49, v1
	s_delay_alu instid0(VALU_DEP_1) | instskip(NEXT) | instid1(VALU_DEP_1)
	v_add_nc_u32_e32 v3, v1, v3
	v_lshrrev_b32_e32 v3, s50, v3
	s_delay_alu instid0(VALU_DEP_1) | instskip(NEXT) | instid1(VALU_DEP_1)
	v_mul_lo_u32 v3, v3, s48
	v_sub_nc_u32_e32 v1, v1, v3
	s_delay_alu instid0(VALU_DEP_1)
	v_mad_u32 v2, v1, s52, v2
	v_mad_u32 v4, v1, s53, v4
	;; [unrolled: 1-line block ×3, first 2 shown]
	s_branch .LBB364_398
.LBB364_393:
	s_or_b32 exec_lo, exec_lo, s42
	s_mov_b32 s1, 0
	s_and_saveexec_b32 s6, s41
	s_cbranch_execnz .LBB364_1269
.LBB364_394:
	s_or_b32 exec_lo, exec_lo, s6
	s_and_saveexec_b32 s6, s21
	s_delay_alu instid0(SALU_CYCLE_1)
	s_xor_b32 s6, exec_lo, s6
	s_cbranch_execz .LBB364_1270
.LBB364_395:
	s_wait_loadcnt 0x0
	global_load_u8 v0, v[8:9], off
	s_mov_b32 s7, 0
	s_or_b32 s26, s26, exec_lo
	v_mov_b32_e32 v5, s7
	s_wait_loadcnt 0x0
	v_cmp_ne_u16_e32 vcc_lo, 0, v0
	v_cndmask_b32_e64 v4, 0, 1, vcc_lo
	s_wait_xcnt 0x0
	s_or_b32 exec_lo, exec_lo, s6
	s_and_saveexec_b32 s6, s44
	s_cbranch_execz .LBB364_1316
	s_branch .LBB364_1271
.LBB364_396:
                                        ; implicit-def: $vgpr6
                                        ; implicit-def: $vgpr4
                                        ; implicit-def: $vgpr2
	s_branch .LBB364_399
.LBB364_397:
	s_wait_loadcnt 0x0
	v_dual_mov_b32 v6, 0 :: v_dual_mov_b32 v4, 0
	v_mov_b32_e32 v2, 0
.LBB364_398:
	s_cbranch_execnz .LBB364_401
.LBB364_399:
	v_mov_b32_e32 v1, 0
	s_and_not1_b32 vcc_lo, exec_lo, s35
	s_delay_alu instid0(VALU_DEP_1) | instskip(NEXT) | instid1(VALU_DEP_1)
	v_mul_u64_e32 v[2:3], s[20:21], v[0:1]
	v_add_nc_u32_e32 v2, v0, v3
	s_wait_loadcnt 0x0
	s_delay_alu instid0(VALU_DEP_1) | instskip(NEXT) | instid1(VALU_DEP_1)
	v_lshrrev_b32_e32 v8, s14, v2
	v_mul_lo_u32 v2, v8, s12
	s_delay_alu instid0(VALU_DEP_1) | instskip(NEXT) | instid1(VALU_DEP_1)
	v_sub_nc_u32_e32 v3, v0, v2
	v_mul_lo_u32 v2, v3, s16
	v_mul_lo_u32 v6, v3, s18
	;; [unrolled: 1-line block ×3, first 2 shown]
	s_cbranch_vccnz .LBB364_401
; %bb.400:
	v_mov_b32_e32 v9, v1
	s_delay_alu instid0(VALU_DEP_1) | instskip(NEXT) | instid1(VALU_DEP_1)
	v_mul_u64_e32 v[10:11], s[24:25], v[8:9]
	v_add_nc_u32_e32 v1, v8, v11
	s_delay_alu instid0(VALU_DEP_1) | instskip(NEXT) | instid1(VALU_DEP_1)
	v_lshrrev_b32_e32 v1, s1, v1
	v_mul_lo_u32 v1, v1, s15
	s_delay_alu instid0(VALU_DEP_1) | instskip(NEXT) | instid1(VALU_DEP_1)
	v_sub_nc_u32_e32 v1, v8, v1
	v_mad_u32 v2, v1, s19, v2
	v_mad_u32 v4, v1, s22, v4
	;; [unrolled: 1-line block ×3, first 2 shown]
.LBB364_401:
	s_wait_loadcnt 0x0
	v_mov_b32_e32 v5, 0
	s_and_b32 s0, s34, 0xff
	s_delay_alu instid0(SALU_CYCLE_1) | instskip(NEXT) | instid1(VALU_DEP_1)
	s_cmp_lt_i32 s0, 11
	v_add_nc_u64_e32 v[8:9], s[6:7], v[4:5]
	s_cbranch_scc1 .LBB364_408
; %bb.402:
	s_and_b32 s27, 0xffff, s0
	s_delay_alu instid0(SALU_CYCLE_1)
	s_cmp_gt_i32 s27, 25
	s_cbranch_scc0 .LBB364_417
; %bb.403:
	s_cmp_gt_i32 s27, 28
	s_cbranch_scc0 .LBB364_419
; %bb.404:
	;; [unrolled: 3-line block ×4, first 2 shown]
	s_cmp_eq_u32 s27, 46
	s_mov_b32 s44, 0
	s_cbranch_scc0 .LBB364_427
; %bb.407:
	global_load_b32 v1, v[8:9], off
	s_mov_b32 s43, -1
	s_mov_b32 s26, 0
	s_wait_loadcnt 0x0
	v_lshlrev_b32_e32 v1, 16, v1
	s_delay_alu instid0(VALU_DEP_1) | instskip(NEXT) | instid1(VALU_DEP_1)
	v_trunc_f32_e32 v1, v1
	v_mul_f32_e32 v3, 0x2f800000, v1
	s_delay_alu instid0(VALU_DEP_1) | instskip(NEXT) | instid1(VALU_DEP_1)
	v_floor_f32_e32 v3, v3
	v_fmamk_f32 v1, v3, 0xcf800000, v1
	v_cvt_u32_f32_e32 v5, v3
	s_delay_alu instid0(VALU_DEP_2)
	v_cvt_u32_f32_e32 v4, v1
	s_branch .LBB364_429
.LBB364_408:
	s_mov_b32 s43, 0
	s_mov_b32 s26, s41
                                        ; implicit-def: $vgpr4_vgpr5
	s_cbranch_execnz .LBB364_491
.LBB364_409:
	s_and_not1_b32 vcc_lo, exec_lo, s43
	s_cbranch_vccnz .LBB364_539
.LBB364_410:
	v_mov_b32_e32 v7, 0
	s_and_b32 s0, s13, 0xff
	s_delay_alu instid0(SALU_CYCLE_1) | instskip(NEXT) | instid1(VALU_DEP_1)
	s_cmp_lt_i32 s0, 11
	v_add_nc_u64_e32 v[6:7], s[8:9], v[6:7]
	s_cbranch_scc1 .LBB364_418
; %bb.411:
	s_and_b32 s43, 0xffff, s0
	s_delay_alu instid0(SALU_CYCLE_1)
	s_cmp_gt_i32 s43, 25
	s_cbranch_scc0 .LBB364_420
; %bb.412:
	s_cmp_gt_i32 s43, 28
	s_cbranch_scc0 .LBB364_422
; %bb.413:
	;; [unrolled: 3-line block ×4, first 2 shown]
	s_cmp_eq_u32 s43, 46
	s_mov_b32 s45, 0
	s_cbranch_scc0 .LBB364_542
; %bb.416:
	global_load_b32 v1, v[6:7], off
	s_mov_b32 s44, -1
	s_mov_b32 s27, 0
	s_wait_loadcnt 0x0
	v_lshlrev_b32_e32 v1, 16, v1
	s_delay_alu instid0(VALU_DEP_1) | instskip(NEXT) | instid1(VALU_DEP_1)
	v_trunc_f32_e32 v1, v1
	v_mul_f32_e32 v3, 0x2f800000, v1
	s_delay_alu instid0(VALU_DEP_1) | instskip(NEXT) | instid1(VALU_DEP_1)
	v_floor_f32_e32 v3, v3
	v_fmamk_f32 v1, v3, 0xcf800000, v1
	s_wait_xcnt 0x1
	v_cvt_u32_f32_e32 v9, v3
	s_delay_alu instid0(VALU_DEP_2)
	v_cvt_u32_f32_e32 v8, v1
	s_branch .LBB364_544
.LBB364_417:
	s_mov_b32 s44, -1
	s_mov_b32 s43, 0
	s_mov_b32 s26, s41
                                        ; implicit-def: $vgpr4_vgpr5
	s_branch .LBB364_457
.LBB364_418:
	s_mov_b32 s43, -1
	s_mov_b32 s44, 0
	s_mov_b32 s27, s40
                                        ; implicit-def: $vgpr8_vgpr9
	s_branch .LBB364_605
.LBB364_419:
	s_mov_b32 s44, -1
	s_mov_b32 s43, 0
	s_mov_b32 s26, s41
                                        ; implicit-def: $vgpr4_vgpr5
	s_branch .LBB364_440
.LBB364_420:
	s_mov_b32 s45, -1
	s_mov_b32 s44, 0
	s_mov_b32 s27, s40
                                        ; implicit-def: $vgpr8_vgpr9
	s_branch .LBB364_571
.LBB364_421:
	s_mov_b32 s44, -1
	s_mov_b32 s43, 0
	s_mov_b32 s26, s41
                                        ; implicit-def: $vgpr4_vgpr5
	s_branch .LBB364_435
.LBB364_422:
	s_mov_b32 s45, -1
	s_mov_b32 s44, 0
	s_mov_b32 s27, s40
                                        ; implicit-def: $vgpr8_vgpr9
	s_branch .LBB364_554
.LBB364_423:
	s_mov_b32 s44, -1
	s_mov_b32 s43, 0
	s_mov_b32 s26, s41
	s_branch .LBB364_428
.LBB364_424:
	s_mov_b32 s45, -1
	s_mov_b32 s44, 0
	s_mov_b32 s27, s40
                                        ; implicit-def: $vgpr8_vgpr9
	s_branch .LBB364_549
.LBB364_425:
	s_and_not1_saveexec_b32 s45, s45
	s_cbranch_execz .LBB364_187
.LBB364_426:
	v_add_f32_e32 v1, 0x46000000, v4
	s_and_not1_b32 s44, s44, exec_lo
	s_delay_alu instid0(VALU_DEP_1) | instskip(NEXT) | instid1(VALU_DEP_1)
	v_and_b32_e32 v1, 0xff, v1
	v_cmp_ne_u32_e32 vcc_lo, 0, v1
	s_and_b32 s46, vcc_lo, exec_lo
	s_delay_alu instid0(SALU_CYCLE_1)
	s_or_b32 s44, s44, s46
	s_or_b32 exec_lo, exec_lo, s45
	v_mov_b32_e32 v5, 0
	s_and_saveexec_b32 s45, s44
	s_cbranch_execnz .LBB364_188
	s_branch .LBB364_189
.LBB364_427:
	s_mov_b32 s26, -1
	s_mov_b32 s43, 0
.LBB364_428:
                                        ; implicit-def: $vgpr4_vgpr5
.LBB364_429:
	s_and_b32 vcc_lo, exec_lo, s44
	s_cbranch_vccz .LBB364_434
; %bb.430:
	s_cmp_eq_u32 s27, 44
	s_cbranch_scc0 .LBB364_433
; %bb.431:
	global_load_u8 v1, v[8:9], off
	s_mov_b32 s26, 0
	s_mov_b32 s43, -1
	s_wait_loadcnt 0x0
	v_cmp_ne_u32_e32 vcc_lo, 0, v1
	v_lshlrev_b32_e32 v3, 23, v1
	s_delay_alu instid0(VALU_DEP_1) | instskip(NEXT) | instid1(VALU_DEP_1)
	v_trunc_f32_e32 v3, v3
	v_mul_f32_e32 v4, 0x2f800000, v3
	s_delay_alu instid0(VALU_DEP_1) | instskip(NEXT) | instid1(VALU_DEP_1)
	v_floor_f32_e32 v4, v4
	v_fmamk_f32 v3, v4, 0xcf800000, v3
	v_cvt_u32_f32_e32 v4, v4
	s_delay_alu instid0(VALU_DEP_2) | instskip(NEXT) | instid1(VALU_DEP_1)
	v_cvt_u32_f32_e32 v3, v3
	v_dual_cndmask_b32 v5, 0, v4 :: v_dual_cndmask_b32 v4, 0, v3
	s_branch .LBB364_434
.LBB364_432:
	s_mov_b32 s45, -1
	s_mov_b32 s44, 0
	s_mov_b32 s27, s40
	s_branch .LBB364_543
.LBB364_433:
	s_mov_b32 s26, -1
                                        ; implicit-def: $vgpr4_vgpr5
.LBB364_434:
	s_mov_b32 s44, 0
.LBB364_435:
	s_delay_alu instid0(SALU_CYCLE_1)
	s_and_b32 vcc_lo, exec_lo, s44
	s_cbranch_vccz .LBB364_439
; %bb.436:
	s_cmp_eq_u32 s27, 29
	s_cbranch_scc0 .LBB364_438
; %bb.437:
	global_load_b64 v[4:5], v[8:9], off
	s_mov_b32 s43, -1
	s_mov_b32 s26, 0
	s_branch .LBB364_439
.LBB364_438:
	s_mov_b32 s26, -1
                                        ; implicit-def: $vgpr4_vgpr5
.LBB364_439:
	s_mov_b32 s44, 0
.LBB364_440:
	s_delay_alu instid0(SALU_CYCLE_1)
	s_and_b32 vcc_lo, exec_lo, s44
	s_cbranch_vccz .LBB364_456
; %bb.441:
	s_cmp_lt_i32 s27, 27
	s_cbranch_scc1 .LBB364_444
; %bb.442:
	s_cmp_gt_i32 s27, 27
	s_cbranch_scc0 .LBB364_445
; %bb.443:
	s_wait_loadcnt 0x0
	global_load_b32 v4, v[8:9], off
	v_mov_b32_e32 v5, 0
	s_mov_b32 s43, 0
	s_branch .LBB364_446
.LBB364_444:
	s_mov_b32 s43, -1
                                        ; implicit-def: $vgpr4_vgpr5
	s_branch .LBB364_449
.LBB364_445:
	s_mov_b32 s43, -1
                                        ; implicit-def: $vgpr4_vgpr5
.LBB364_446:
	s_delay_alu instid0(SALU_CYCLE_1)
	s_and_not1_b32 vcc_lo, exec_lo, s43
	s_cbranch_vccnz .LBB364_448
; %bb.447:
	global_load_u16 v1, v[8:9], off
	s_mov_b32 s43, 0
	s_wait_loadcnt 0x1
	v_mov_b32_e32 v5, s43
	s_wait_loadcnt 0x0
	v_and_b32_e32 v4, 0xffff, v1
.LBB364_448:
	s_mov_b32 s43, 0
.LBB364_449:
	s_delay_alu instid0(SALU_CYCLE_1)
	s_and_not1_b32 vcc_lo, exec_lo, s43
	s_cbranch_vccnz .LBB364_455
; %bb.450:
	global_load_u8 v1, v[8:9], off
	s_mov_b32 s44, 0
	s_mov_b32 s43, exec_lo
	s_wait_loadcnt 0x0
	v_cmpx_lt_i16_e32 0x7f, v1
	s_xor_b32 s43, exec_lo, s43
	s_cbranch_execz .LBB364_467
; %bb.451:
	v_cmp_ne_u16_e32 vcc_lo, 0x80, v1
	s_and_b32 s44, vcc_lo, exec_lo
	s_and_not1_saveexec_b32 s43, s43
	s_cbranch_execnz .LBB364_468
.LBB364_452:
	s_or_b32 exec_lo, exec_lo, s43
	v_mov_b64_e32 v[4:5], 0
	s_and_saveexec_b32 s43, s44
	s_cbranch_execz .LBB364_454
.LBB364_453:
	v_and_b32_e32 v3, 0xffff, v1
	s_delay_alu instid0(VALU_DEP_1) | instskip(SKIP_1) | instid1(VALU_DEP_2)
	v_and_b32_e32 v4, 7, v3
	v_bfe_u32 v10, v3, 3, 4
	v_clz_i32_u32_e32 v5, v4
	s_delay_alu instid0(VALU_DEP_2) | instskip(NEXT) | instid1(VALU_DEP_2)
	v_cmp_eq_u32_e32 vcc_lo, 0, v10
	v_min_u32_e32 v5, 32, v5
	s_delay_alu instid0(VALU_DEP_1) | instskip(NEXT) | instid1(VALU_DEP_1)
	v_subrev_nc_u32_e32 v7, 28, v5
	v_dual_lshlrev_b32 v3, v7, v3 :: v_dual_sub_nc_u32 v5, 29, v5
	s_delay_alu instid0(VALU_DEP_1) | instskip(NEXT) | instid1(VALU_DEP_1)
	v_dual_lshlrev_b32 v1, 24, v1 :: v_dual_bitop2_b32 v3, 7, v3 bitop3:0x40
	v_dual_cndmask_b32 v3, v4, v3, vcc_lo :: v_dual_cndmask_b32 v5, v10, v5, vcc_lo
	s_delay_alu instid0(VALU_DEP_2) | instskip(NEXT) | instid1(VALU_DEP_2)
	v_and_b32_e32 v1, 0x80000000, v1
	v_lshlrev_b32_e32 v3, 20, v3
	s_delay_alu instid0(VALU_DEP_3) | instskip(NEXT) | instid1(VALU_DEP_1)
	v_lshl_add_u32 v4, v5, 23, 0x3b800000
	v_or3_b32 v1, v1, v4, v3
	s_delay_alu instid0(VALU_DEP_1) | instskip(NEXT) | instid1(VALU_DEP_1)
	v_trunc_f32_e32 v1, v1
	v_mul_f32_e32 v3, 0x2f800000, v1
	s_delay_alu instid0(VALU_DEP_1) | instskip(NEXT) | instid1(VALU_DEP_1)
	v_floor_f32_e32 v3, v3
	v_fmamk_f32 v1, v3, 0xcf800000, v1
	v_cvt_u32_f32_e32 v5, v3
	s_delay_alu instid0(VALU_DEP_2)
	v_cvt_u32_f32_e32 v4, v1
.LBB364_454:
	s_or_b32 exec_lo, exec_lo, s43
.LBB364_455:
	s_mov_b32 s43, -1
.LBB364_456:
	s_mov_b32 s44, 0
.LBB364_457:
	s_delay_alu instid0(SALU_CYCLE_1)
	s_and_b32 vcc_lo, exec_lo, s44
	s_cbranch_vccz .LBB364_490
; %bb.458:
	s_cmp_gt_i32 s27, 22
	s_cbranch_scc0 .LBB364_466
; %bb.459:
	s_cmp_lt_i32 s27, 24
	s_cbranch_scc1 .LBB364_469
; %bb.460:
	s_cmp_gt_i32 s27, 24
	s_cbranch_scc0 .LBB364_470
; %bb.461:
	global_load_u8 v1, v[8:9], off
	s_mov_b32 s44, 0
	s_mov_b32 s43, exec_lo
	s_wait_loadcnt 0x0
	v_cmpx_lt_i16_e32 0x7f, v1
	s_xor_b32 s43, exec_lo, s43
	s_cbranch_execz .LBB364_482
; %bb.462:
	v_cmp_ne_u16_e32 vcc_lo, 0x80, v1
	s_and_b32 s44, vcc_lo, exec_lo
	s_and_not1_saveexec_b32 s43, s43
	s_cbranch_execnz .LBB364_483
.LBB364_463:
	s_or_b32 exec_lo, exec_lo, s43
	v_mov_b64_e32 v[4:5], 0
	s_and_saveexec_b32 s43, s44
	s_cbranch_execz .LBB364_465
.LBB364_464:
	v_and_b32_e32 v3, 0xffff, v1
	s_delay_alu instid0(VALU_DEP_1) | instskip(SKIP_1) | instid1(VALU_DEP_2)
	v_and_b32_e32 v4, 3, v3
	v_bfe_u32 v10, v3, 2, 5
	v_clz_i32_u32_e32 v5, v4
	s_delay_alu instid0(VALU_DEP_2) | instskip(NEXT) | instid1(VALU_DEP_2)
	v_cmp_eq_u32_e32 vcc_lo, 0, v10
	v_min_u32_e32 v5, 32, v5
	s_delay_alu instid0(VALU_DEP_1) | instskip(NEXT) | instid1(VALU_DEP_1)
	v_subrev_nc_u32_e32 v7, 29, v5
	v_dual_lshlrev_b32 v3, v7, v3 :: v_dual_sub_nc_u32 v5, 30, v5
	s_delay_alu instid0(VALU_DEP_1) | instskip(NEXT) | instid1(VALU_DEP_1)
	v_dual_lshlrev_b32 v1, 24, v1 :: v_dual_bitop2_b32 v3, 3, v3 bitop3:0x40
	v_dual_cndmask_b32 v3, v4, v3, vcc_lo :: v_dual_cndmask_b32 v5, v10, v5, vcc_lo
	s_delay_alu instid0(VALU_DEP_2) | instskip(NEXT) | instid1(VALU_DEP_2)
	v_and_b32_e32 v1, 0x80000000, v1
	v_lshlrev_b32_e32 v3, 21, v3
	s_delay_alu instid0(VALU_DEP_3) | instskip(NEXT) | instid1(VALU_DEP_1)
	v_lshl_add_u32 v4, v5, 23, 0x37800000
	v_or3_b32 v1, v1, v4, v3
	s_delay_alu instid0(VALU_DEP_1) | instskip(NEXT) | instid1(VALU_DEP_1)
	v_trunc_f32_e32 v1, v1
	v_mul_f32_e32 v3, 0x2f800000, v1
	s_delay_alu instid0(VALU_DEP_1) | instskip(NEXT) | instid1(VALU_DEP_1)
	v_floor_f32_e32 v3, v3
	v_fmamk_f32 v1, v3, 0xcf800000, v1
	v_cvt_u32_f32_e32 v5, v3
	s_delay_alu instid0(VALU_DEP_2)
	v_cvt_u32_f32_e32 v4, v1
.LBB364_465:
	s_or_b32 exec_lo, exec_lo, s43
	s_mov_b32 s43, 0
	s_branch .LBB364_471
.LBB364_466:
	s_mov_b32 s44, -1
                                        ; implicit-def: $vgpr4_vgpr5
	s_branch .LBB364_477
.LBB364_467:
	s_and_not1_saveexec_b32 s43, s43
	s_cbranch_execz .LBB364_452
.LBB364_468:
	v_cmp_ne_u16_e32 vcc_lo, 0, v1
	s_and_not1_b32 s44, s44, exec_lo
	s_and_b32 s45, vcc_lo, exec_lo
	s_delay_alu instid0(SALU_CYCLE_1)
	s_or_b32 s44, s44, s45
	s_or_b32 exec_lo, exec_lo, s43
	v_mov_b64_e32 v[4:5], 0
	s_and_saveexec_b32 s43, s44
	s_cbranch_execnz .LBB364_453
	s_branch .LBB364_454
.LBB364_469:
	s_mov_b32 s43, -1
                                        ; implicit-def: $vgpr4_vgpr5
	s_branch .LBB364_474
.LBB364_470:
	s_mov_b32 s43, -1
                                        ; implicit-def: $vgpr4_vgpr5
.LBB364_471:
	s_delay_alu instid0(SALU_CYCLE_1)
	s_and_b32 vcc_lo, exec_lo, s43
	s_cbranch_vccz .LBB364_473
; %bb.472:
	global_load_u8 v1, v[8:9], off
	s_wait_loadcnt 0x0
	v_lshlrev_b32_e32 v1, 24, v1
	s_delay_alu instid0(VALU_DEP_1) | instskip(NEXT) | instid1(VALU_DEP_1)
	v_and_b32_e32 v3, 0x7f000000, v1
	v_clz_i32_u32_e32 v4, v3
	v_add_nc_u32_e32 v7, 0x1000000, v3
	v_cmp_ne_u32_e32 vcc_lo, 0, v3
	s_delay_alu instid0(VALU_DEP_3) | instskip(NEXT) | instid1(VALU_DEP_1)
	v_min_u32_e32 v4, 32, v4
	v_sub_nc_u32_e64 v4, v4, 4 clamp
	s_delay_alu instid0(VALU_DEP_1) | instskip(NEXT) | instid1(VALU_DEP_1)
	v_dual_lshlrev_b32 v5, v4, v3 :: v_dual_lshlrev_b32 v4, 23, v4
	v_lshrrev_b32_e32 v5, 4, v5
	s_delay_alu instid0(VALU_DEP_1) | instskip(NEXT) | instid1(VALU_DEP_1)
	v_dual_sub_nc_u32 v4, v5, v4 :: v_dual_ashrrev_i32 v5, 8, v7
	v_add_nc_u32_e32 v4, 0x3c000000, v4
	s_delay_alu instid0(VALU_DEP_1) | instskip(NEXT) | instid1(VALU_DEP_1)
	v_and_or_b32 v4, 0x7f800000, v5, v4
	v_cndmask_b32_e32 v3, 0, v4, vcc_lo
	s_delay_alu instid0(VALU_DEP_1) | instskip(NEXT) | instid1(VALU_DEP_1)
	v_and_or_b32 v1, 0x80000000, v1, v3
	v_trunc_f32_e32 v1, v1
	s_delay_alu instid0(VALU_DEP_1) | instskip(NEXT) | instid1(VALU_DEP_1)
	v_mul_f32_e32 v3, 0x2f800000, v1
	v_floor_f32_e32 v3, v3
	s_delay_alu instid0(VALU_DEP_1) | instskip(SKIP_1) | instid1(VALU_DEP_2)
	v_fmamk_f32 v1, v3, 0xcf800000, v1
	v_cvt_u32_f32_e32 v5, v3
	v_cvt_u32_f32_e32 v4, v1
.LBB364_473:
	s_mov_b32 s43, 0
.LBB364_474:
	s_delay_alu instid0(SALU_CYCLE_1)
	s_and_not1_b32 vcc_lo, exec_lo, s43
	s_cbranch_vccnz .LBB364_476
; %bb.475:
	global_load_u8 v1, v[8:9], off
	s_wait_loadcnt 0x0
	v_lshlrev_b32_e32 v3, 25, v1
	v_lshlrev_b16 v1, 8, v1
	s_delay_alu instid0(VALU_DEP_1) | instskip(NEXT) | instid1(VALU_DEP_3)
	v_and_or_b32 v5, 0x7f00, v1, 0.5
	v_lshrrev_b32_e32 v4, 4, v3
	v_bfe_i32 v1, v1, 0, 16
	s_delay_alu instid0(VALU_DEP_3) | instskip(NEXT) | instid1(VALU_DEP_3)
	v_add_f32_e32 v5, -0.5, v5
	v_or_b32_e32 v4, 0x70000000, v4
	s_delay_alu instid0(VALU_DEP_1) | instskip(SKIP_1) | instid1(VALU_DEP_2)
	v_mul_f32_e32 v4, 0x7800000, v4
	v_cmp_gt_u32_e32 vcc_lo, 0x8000000, v3
	v_cndmask_b32_e32 v3, v4, v5, vcc_lo
	s_delay_alu instid0(VALU_DEP_1) | instskip(NEXT) | instid1(VALU_DEP_1)
	v_and_or_b32 v1, 0x80000000, v1, v3
	v_trunc_f32_e32 v1, v1
	s_delay_alu instid0(VALU_DEP_1) | instskip(NEXT) | instid1(VALU_DEP_1)
	v_mul_f32_e32 v3, 0x2f800000, v1
	v_floor_f32_e32 v3, v3
	s_delay_alu instid0(VALU_DEP_1) | instskip(SKIP_1) | instid1(VALU_DEP_2)
	v_fmamk_f32 v1, v3, 0xcf800000, v1
	v_cvt_u32_f32_e32 v5, v3
	v_cvt_u32_f32_e32 v4, v1
.LBB364_476:
	s_mov_b32 s44, 0
	s_mov_b32 s43, -1
.LBB364_477:
	s_and_not1_b32 vcc_lo, exec_lo, s44
	s_cbranch_vccnz .LBB364_490
; %bb.478:
	s_cmp_gt_i32 s27, 14
	s_cbranch_scc0 .LBB364_481
; %bb.479:
	s_cmp_eq_u32 s27, 15
	s_cbranch_scc0 .LBB364_484
; %bb.480:
	global_load_u16 v1, v[8:9], off
	s_mov_b32 s43, -1
	s_mov_b32 s26, 0
	s_wait_loadcnt 0x0
	v_lshlrev_b32_e32 v1, 16, v1
	s_delay_alu instid0(VALU_DEP_1) | instskip(NEXT) | instid1(VALU_DEP_1)
	v_trunc_f32_e32 v1, v1
	v_mul_f32_e32 v3, 0x2f800000, v1
	s_delay_alu instid0(VALU_DEP_1) | instskip(NEXT) | instid1(VALU_DEP_1)
	v_floor_f32_e32 v3, v3
	v_fmamk_f32 v1, v3, 0xcf800000, v1
	v_cvt_u32_f32_e32 v5, v3
	s_delay_alu instid0(VALU_DEP_2)
	v_cvt_u32_f32_e32 v4, v1
	s_branch .LBB364_485
.LBB364_481:
	s_mov_b32 s44, -1
                                        ; implicit-def: $vgpr4_vgpr5
	s_branch .LBB364_486
.LBB364_482:
	s_and_not1_saveexec_b32 s43, s43
	s_cbranch_execz .LBB364_463
.LBB364_483:
	v_cmp_ne_u16_e32 vcc_lo, 0, v1
	s_and_not1_b32 s44, s44, exec_lo
	s_and_b32 s45, vcc_lo, exec_lo
	s_delay_alu instid0(SALU_CYCLE_1)
	s_or_b32 s44, s44, s45
	s_or_b32 exec_lo, exec_lo, s43
	v_mov_b64_e32 v[4:5], 0
	s_and_saveexec_b32 s43, s44
	s_cbranch_execnz .LBB364_464
	s_branch .LBB364_465
.LBB364_484:
	s_mov_b32 s26, -1
                                        ; implicit-def: $vgpr4_vgpr5
.LBB364_485:
	s_mov_b32 s44, 0
.LBB364_486:
	s_delay_alu instid0(SALU_CYCLE_1)
	s_and_b32 vcc_lo, exec_lo, s44
	s_cbranch_vccz .LBB364_490
; %bb.487:
	s_cmp_eq_u32 s27, 11
	s_cbranch_scc0 .LBB364_489
; %bb.488:
	global_load_u8 v1, v[8:9], off
	s_mov_b32 s26, 0
	s_mov_b32 s43, -1
	s_wait_loadcnt 0x1
	v_mov_b32_e32 v5, s26
	s_wait_loadcnt 0x0
	v_cmp_ne_u16_e32 vcc_lo, 0, v1
	v_cndmask_b32_e64 v4, 0, 1, vcc_lo
	s_branch .LBB364_490
.LBB364_489:
	s_mov_b32 s26, -1
                                        ; implicit-def: $vgpr4_vgpr5
.LBB364_490:
	s_branch .LBB364_409
.LBB364_491:
	s_and_b32 s0, 0xffff, s0
	s_delay_alu instid0(SALU_CYCLE_1)
	s_cmp_lt_i32 s0, 5
	s_cbranch_scc1 .LBB364_496
; %bb.492:
	s_cmp_lt_i32 s0, 8
	s_cbranch_scc1 .LBB364_497
; %bb.493:
	;; [unrolled: 3-line block ×3, first 2 shown]
	s_cmp_gt_i32 s0, 9
	s_cbranch_scc0 .LBB364_499
; %bb.495:
	s_wait_loadcnt 0x0
	global_load_b64 v[4:5], v[8:9], off
	s_mov_b32 s27, 0
	s_wait_loadcnt 0x0
	v_trunc_f64_e32 v[4:5], v[4:5]
	s_delay_alu instid0(VALU_DEP_1) | instskip(NEXT) | instid1(VALU_DEP_1)
	v_ldexp_f64 v[10:11], v[4:5], 0xffffffe0
	v_floor_f64_e32 v[10:11], v[10:11]
	s_delay_alu instid0(VALU_DEP_1) | instskip(SKIP_1) | instid1(VALU_DEP_2)
	v_fmamk_f64 v[12:13], v[10:11], 0xc1f00000, v[4:5]
	v_cvt_u32_f64_e32 v5, v[10:11]
	v_cvt_u32_f64_e32 v4, v[12:13]
	s_branch .LBB364_500
.LBB364_496:
	s_mov_b32 s27, -1
                                        ; implicit-def: $vgpr4_vgpr5
	s_branch .LBB364_518
.LBB364_497:
	s_mov_b32 s27, -1
                                        ; implicit-def: $vgpr4_vgpr5
	s_branch .LBB364_506
.LBB364_498:
	s_mov_b32 s27, -1
                                        ; implicit-def: $vgpr4_vgpr5
	s_branch .LBB364_503
.LBB364_499:
	s_mov_b32 s27, -1
                                        ; implicit-def: $vgpr4_vgpr5
.LBB364_500:
	s_delay_alu instid0(SALU_CYCLE_1)
	s_and_not1_b32 vcc_lo, exec_lo, s27
	s_cbranch_vccnz .LBB364_502
; %bb.501:
	global_load_b32 v1, v[8:9], off
	s_wait_loadcnt 0x0
	v_trunc_f32_e32 v1, v1
	s_delay_alu instid0(VALU_DEP_1) | instskip(NEXT) | instid1(VALU_DEP_1)
	v_mul_f32_e32 v3, 0x2f800000, v1
	v_floor_f32_e32 v3, v3
	s_delay_alu instid0(VALU_DEP_1) | instskip(SKIP_1) | instid1(VALU_DEP_2)
	v_fmamk_f32 v1, v3, 0xcf800000, v1
	v_cvt_u32_f32_e32 v5, v3
	v_cvt_u32_f32_e32 v4, v1
.LBB364_502:
	s_mov_b32 s27, 0
.LBB364_503:
	s_delay_alu instid0(SALU_CYCLE_1)
	s_and_not1_b32 vcc_lo, exec_lo, s27
	s_cbranch_vccnz .LBB364_505
; %bb.504:
	global_load_b32 v1, v[8:9], off
	s_wait_loadcnt 0x1
	v_mov_b32_e32 v5, 0
	s_wait_loadcnt 0x0
	v_cvt_f32_f16_e32 v1, v1
	s_delay_alu instid0(VALU_DEP_1)
	v_cvt_u32_f32_e32 v4, v1
.LBB364_505:
	s_mov_b32 s27, 0
.LBB364_506:
	s_delay_alu instid0(SALU_CYCLE_1)
	s_and_not1_b32 vcc_lo, exec_lo, s27
	s_cbranch_vccnz .LBB364_517
; %bb.507:
	s_cmp_lt_i32 s0, 6
	s_cbranch_scc1 .LBB364_510
; %bb.508:
	s_cmp_gt_i32 s0, 6
	s_cbranch_scc0 .LBB364_511
; %bb.509:
	s_wait_loadcnt 0x0
	global_load_b64 v[4:5], v[8:9], off
	s_mov_b32 s27, 0
	s_wait_loadcnt 0x0
	v_trunc_f64_e32 v[4:5], v[4:5]
	s_delay_alu instid0(VALU_DEP_1) | instskip(NEXT) | instid1(VALU_DEP_1)
	v_ldexp_f64 v[10:11], v[4:5], 0xffffffe0
	v_floor_f64_e32 v[10:11], v[10:11]
	s_delay_alu instid0(VALU_DEP_1) | instskip(SKIP_1) | instid1(VALU_DEP_2)
	v_fmamk_f64 v[12:13], v[10:11], 0xc1f00000, v[4:5]
	v_cvt_u32_f64_e32 v5, v[10:11]
	v_cvt_u32_f64_e32 v4, v[12:13]
	s_branch .LBB364_512
.LBB364_510:
	s_mov_b32 s27, -1
                                        ; implicit-def: $vgpr4_vgpr5
	s_branch .LBB364_515
.LBB364_511:
	s_mov_b32 s27, -1
                                        ; implicit-def: $vgpr4_vgpr5
.LBB364_512:
	s_delay_alu instid0(SALU_CYCLE_1)
	s_and_not1_b32 vcc_lo, exec_lo, s27
	s_cbranch_vccnz .LBB364_514
; %bb.513:
	global_load_b32 v1, v[8:9], off
	s_wait_loadcnt 0x0
	v_trunc_f32_e32 v1, v1
	s_delay_alu instid0(VALU_DEP_1) | instskip(NEXT) | instid1(VALU_DEP_1)
	v_mul_f32_e32 v3, 0x2f800000, v1
	v_floor_f32_e32 v3, v3
	s_delay_alu instid0(VALU_DEP_1) | instskip(SKIP_1) | instid1(VALU_DEP_2)
	v_fmamk_f32 v1, v3, 0xcf800000, v1
	v_cvt_u32_f32_e32 v5, v3
	v_cvt_u32_f32_e32 v4, v1
.LBB364_514:
	s_mov_b32 s27, 0
.LBB364_515:
	s_delay_alu instid0(SALU_CYCLE_1)
	s_and_not1_b32 vcc_lo, exec_lo, s27
	s_cbranch_vccnz .LBB364_517
; %bb.516:
	global_load_u16 v1, v[8:9], off
	s_wait_loadcnt 0x1
	v_mov_b32_e32 v5, 0
	s_wait_loadcnt 0x0
	v_cvt_f32_f16_e32 v1, v1
	s_delay_alu instid0(VALU_DEP_1)
	v_cvt_u32_f32_e32 v4, v1
.LBB364_517:
	s_mov_b32 s27, 0
.LBB364_518:
	s_delay_alu instid0(SALU_CYCLE_1)
	s_and_not1_b32 vcc_lo, exec_lo, s27
	s_cbranch_vccnz .LBB364_538
; %bb.519:
	s_cmp_lt_i32 s0, 2
	s_cbranch_scc1 .LBB364_523
; %bb.520:
	s_cmp_lt_i32 s0, 3
	s_cbranch_scc1 .LBB364_524
; %bb.521:
	s_cmp_gt_i32 s0, 3
	s_cbranch_scc0 .LBB364_525
; %bb.522:
	s_wait_loadcnt 0x0
	global_load_b64 v[4:5], v[8:9], off
	s_mov_b32 s27, 0
	s_branch .LBB364_526
.LBB364_523:
	s_mov_b32 s27, -1
                                        ; implicit-def: $vgpr4_vgpr5
	s_branch .LBB364_532
.LBB364_524:
	s_mov_b32 s27, -1
                                        ; implicit-def: $vgpr4_vgpr5
	s_branch .LBB364_529
.LBB364_525:
	s_mov_b32 s27, -1
                                        ; implicit-def: $vgpr4_vgpr5
.LBB364_526:
	s_delay_alu instid0(SALU_CYCLE_1)
	s_and_not1_b32 vcc_lo, exec_lo, s27
	s_cbranch_vccnz .LBB364_528
; %bb.527:
	s_wait_loadcnt 0x0
	global_load_b32 v4, v[8:9], off
	s_wait_loadcnt 0x0
	v_ashrrev_i32_e32 v5, 31, v4
.LBB364_528:
	s_mov_b32 s27, 0
.LBB364_529:
	s_delay_alu instid0(SALU_CYCLE_1)
	s_and_not1_b32 vcc_lo, exec_lo, s27
	s_cbranch_vccnz .LBB364_531
; %bb.530:
	global_load_u16 v1, v[8:9], off
	s_wait_loadcnt 0x0
	v_bfe_i32 v4, v1, 0, 16
	s_delay_alu instid0(VALU_DEP_1)
	v_ashrrev_i32_e32 v5, 31, v4
.LBB364_531:
	s_mov_b32 s27, 0
.LBB364_532:
	s_delay_alu instid0(SALU_CYCLE_1)
	s_and_not1_b32 vcc_lo, exec_lo, s27
	s_cbranch_vccnz .LBB364_538
; %bb.533:
	s_cmp_gt_i32 s0, 0
	s_mov_b32 s0, 0
	s_cbranch_scc0 .LBB364_535
; %bb.534:
	global_load_i8 v1, v[8:9], off
	s_wait_loadcnt 0x0
	v_bfe_i32 v4, v1, 0, 16
	s_delay_alu instid0(VALU_DEP_1)
	v_ashrrev_i32_e32 v5, 31, v4
	s_branch .LBB364_536
.LBB364_535:
	s_mov_b32 s0, -1
                                        ; implicit-def: $vgpr4_vgpr5
.LBB364_536:
	s_delay_alu instid0(SALU_CYCLE_1)
	s_and_not1_b32 vcc_lo, exec_lo, s0
	s_cbranch_vccnz .LBB364_538
; %bb.537:
	global_load_u8 v1, v[8:9], off
	s_mov_b32 s0, 0
	s_wait_loadcnt 0x1
	v_mov_b32_e32 v5, s0
	s_wait_loadcnt 0x0
	v_and_b32_e32 v4, 0xffff, v1
.LBB364_538:
	s_branch .LBB364_410
.LBB364_539:
	s_mov_b32 s47, 0
	s_mov_b32 s0, s39
	;; [unrolled: 1-line block ×3, first 2 shown]
	s_branch .LBB364_779
.LBB364_540:
	s_and_not1_saveexec_b32 s45, s45
	s_cbranch_execz .LBB364_200
.LBB364_541:
	v_add_f32_e32 v1, 0x42800000, v4
	s_and_not1_b32 s44, s44, exec_lo
	s_delay_alu instid0(VALU_DEP_1) | instskip(NEXT) | instid1(VALU_DEP_1)
	v_and_b32_e32 v1, 0xff, v1
	v_cmp_ne_u32_e32 vcc_lo, 0, v1
	s_and_b32 s46, vcc_lo, exec_lo
	s_delay_alu instid0(SALU_CYCLE_1)
	s_or_b32 s44, s44, s46
	s_or_b32 exec_lo, exec_lo, s45
	v_mov_b32_e32 v5, 0
	s_and_saveexec_b32 s45, s44
	s_cbranch_execnz .LBB364_201
	s_branch .LBB364_202
.LBB364_542:
	s_mov_b32 s27, -1
	s_mov_b32 s44, 0
.LBB364_543:
                                        ; implicit-def: $vgpr8_vgpr9
.LBB364_544:
	s_and_b32 vcc_lo, exec_lo, s45
	s_cbranch_vccz .LBB364_548
; %bb.545:
	s_cmp_eq_u32 s43, 44
	s_cbranch_scc0 .LBB364_547
; %bb.546:
	global_load_u8 v1, v[6:7], off
	s_mov_b32 s27, 0
	s_mov_b32 s44, -1
	s_wait_loadcnt 0x0
	v_cmp_ne_u32_e32 vcc_lo, 0, v1
	v_lshlrev_b32_e32 v3, 23, v1
	s_delay_alu instid0(VALU_DEP_1) | instskip(SKIP_1) | instid1(VALU_DEP_1)
	v_trunc_f32_e32 v3, v3
	s_wait_xcnt 0x1
	v_mul_f32_e32 v8, 0x2f800000, v3
	s_delay_alu instid0(VALU_DEP_1) | instskip(NEXT) | instid1(VALU_DEP_1)
	v_floor_f32_e32 v8, v8
	v_fmamk_f32 v3, v8, 0xcf800000, v3
	v_cvt_u32_f32_e32 v8, v8
	s_delay_alu instid0(VALU_DEP_2) | instskip(NEXT) | instid1(VALU_DEP_1)
	v_cvt_u32_f32_e32 v3, v3
	v_dual_cndmask_b32 v9, 0, v8 :: v_dual_cndmask_b32 v8, 0, v3
	s_branch .LBB364_548
.LBB364_547:
	s_mov_b32 s27, -1
                                        ; implicit-def: $vgpr8_vgpr9
.LBB364_548:
	s_mov_b32 s45, 0
.LBB364_549:
	s_delay_alu instid0(SALU_CYCLE_1)
	s_and_b32 vcc_lo, exec_lo, s45
	s_cbranch_vccz .LBB364_553
; %bb.550:
	s_cmp_eq_u32 s43, 29
	s_cbranch_scc0 .LBB364_552
; %bb.551:
	global_load_b64 v[8:9], v[6:7], off
	s_mov_b32 s44, -1
	s_mov_b32 s27, 0
	s_branch .LBB364_553
.LBB364_552:
	s_mov_b32 s27, -1
                                        ; implicit-def: $vgpr8_vgpr9
.LBB364_553:
	s_mov_b32 s45, 0
.LBB364_554:
	s_delay_alu instid0(SALU_CYCLE_1)
	s_and_b32 vcc_lo, exec_lo, s45
	s_cbranch_vccz .LBB364_570
; %bb.555:
	s_cmp_lt_i32 s43, 27
	s_cbranch_scc1 .LBB364_558
; %bb.556:
	s_cmp_gt_i32 s43, 27
	s_cbranch_scc0 .LBB364_559
; %bb.557:
	s_wait_loadcnt 0x0
	global_load_b32 v8, v[6:7], off
	v_mov_b32_e32 v9, 0
	s_mov_b32 s44, 0
	s_branch .LBB364_560
.LBB364_558:
	s_mov_b32 s44, -1
                                        ; implicit-def: $vgpr8_vgpr9
	s_branch .LBB364_563
.LBB364_559:
	s_mov_b32 s44, -1
                                        ; implicit-def: $vgpr8_vgpr9
.LBB364_560:
	s_delay_alu instid0(SALU_CYCLE_1)
	s_and_not1_b32 vcc_lo, exec_lo, s44
	s_cbranch_vccnz .LBB364_562
; %bb.561:
	global_load_u16 v1, v[6:7], off
	s_mov_b32 s44, 0
	s_wait_loadcnt 0x1
	s_wait_xcnt 0x1
	v_mov_b32_e32 v9, s44
	s_wait_loadcnt 0x0
	v_and_b32_e32 v8, 0xffff, v1
.LBB364_562:
	s_mov_b32 s44, 0
.LBB364_563:
	s_delay_alu instid0(SALU_CYCLE_1)
	s_and_not1_b32 vcc_lo, exec_lo, s44
	s_cbranch_vccnz .LBB364_569
; %bb.564:
	global_load_u8 v1, v[6:7], off
	s_mov_b32 s45, 0
	s_mov_b32 s44, exec_lo
	s_wait_loadcnt 0x0
	v_cmpx_lt_i16_e32 0x7f, v1
	s_xor_b32 s44, exec_lo, s44
	s_cbranch_execz .LBB364_581
; %bb.565:
	v_cmp_ne_u16_e32 vcc_lo, 0x80, v1
	s_and_b32 s45, vcc_lo, exec_lo
	s_and_not1_saveexec_b32 s44, s44
	s_cbranch_execnz .LBB364_582
.LBB364_566:
	s_or_b32 exec_lo, exec_lo, s44
	v_mov_b64_e32 v[8:9], 0
	s_and_saveexec_b32 s44, s45
	s_cbranch_execz .LBB364_568
.LBB364_567:
	v_and_b32_e32 v3, 0xffff, v1
	s_delay_alu instid0(VALU_DEP_1) | instskip(SKIP_1) | instid1(VALU_DEP_2)
	v_and_b32_e32 v8, 7, v3
	v_bfe_u32 v11, v3, 3, 4
	v_clz_i32_u32_e32 v9, v8
	s_delay_alu instid0(VALU_DEP_2) | instskip(NEXT) | instid1(VALU_DEP_2)
	v_cmp_eq_u32_e32 vcc_lo, 0, v11
	v_min_u32_e32 v9, 32, v9
	s_delay_alu instid0(VALU_DEP_1) | instskip(NEXT) | instid1(VALU_DEP_1)
	v_subrev_nc_u32_e32 v10, 28, v9
	v_dual_lshlrev_b32 v3, v10, v3 :: v_dual_sub_nc_u32 v9, 29, v9
	s_delay_alu instid0(VALU_DEP_1) | instskip(NEXT) | instid1(VALU_DEP_1)
	v_dual_lshlrev_b32 v1, 24, v1 :: v_dual_bitop2_b32 v3, 7, v3 bitop3:0x40
	v_dual_cndmask_b32 v3, v8, v3, vcc_lo :: v_dual_cndmask_b32 v9, v11, v9, vcc_lo
	s_delay_alu instid0(VALU_DEP_2) | instskip(NEXT) | instid1(VALU_DEP_2)
	v_and_b32_e32 v1, 0x80000000, v1
	v_lshlrev_b32_e32 v3, 20, v3
	s_delay_alu instid0(VALU_DEP_3) | instskip(NEXT) | instid1(VALU_DEP_1)
	v_lshl_add_u32 v8, v9, 23, 0x3b800000
	v_or3_b32 v1, v1, v8, v3
	s_delay_alu instid0(VALU_DEP_1) | instskip(NEXT) | instid1(VALU_DEP_1)
	v_trunc_f32_e32 v1, v1
	v_mul_f32_e32 v3, 0x2f800000, v1
	s_delay_alu instid0(VALU_DEP_1) | instskip(NEXT) | instid1(VALU_DEP_1)
	v_floor_f32_e32 v3, v3
	v_fmamk_f32 v1, v3, 0xcf800000, v1
	v_cvt_u32_f32_e32 v9, v3
	s_delay_alu instid0(VALU_DEP_2)
	v_cvt_u32_f32_e32 v8, v1
.LBB364_568:
	s_or_b32 exec_lo, exec_lo, s44
.LBB364_569:
	s_mov_b32 s44, -1
.LBB364_570:
	s_mov_b32 s45, 0
.LBB364_571:
	s_delay_alu instid0(SALU_CYCLE_1)
	s_and_b32 vcc_lo, exec_lo, s45
	s_cbranch_vccz .LBB364_604
; %bb.572:
	s_cmp_gt_i32 s43, 22
	s_cbranch_scc0 .LBB364_580
; %bb.573:
	s_cmp_lt_i32 s43, 24
	s_cbranch_scc1 .LBB364_583
; %bb.574:
	s_cmp_gt_i32 s43, 24
	s_cbranch_scc0 .LBB364_584
; %bb.575:
	global_load_u8 v1, v[6:7], off
	s_mov_b32 s45, 0
	s_mov_b32 s44, exec_lo
	s_wait_loadcnt 0x0
	v_cmpx_lt_i16_e32 0x7f, v1
	s_xor_b32 s44, exec_lo, s44
	s_cbranch_execz .LBB364_596
; %bb.576:
	v_cmp_ne_u16_e32 vcc_lo, 0x80, v1
	s_and_b32 s45, vcc_lo, exec_lo
	s_and_not1_saveexec_b32 s44, s44
	s_cbranch_execnz .LBB364_597
.LBB364_577:
	s_or_b32 exec_lo, exec_lo, s44
	v_mov_b64_e32 v[8:9], 0
	s_and_saveexec_b32 s44, s45
	s_cbranch_execz .LBB364_579
.LBB364_578:
	v_and_b32_e32 v3, 0xffff, v1
	s_delay_alu instid0(VALU_DEP_1) | instskip(SKIP_1) | instid1(VALU_DEP_2)
	v_and_b32_e32 v8, 3, v3
	v_bfe_u32 v11, v3, 2, 5
	v_clz_i32_u32_e32 v9, v8
	s_delay_alu instid0(VALU_DEP_2) | instskip(NEXT) | instid1(VALU_DEP_2)
	v_cmp_eq_u32_e32 vcc_lo, 0, v11
	v_min_u32_e32 v9, 32, v9
	s_delay_alu instid0(VALU_DEP_1) | instskip(NEXT) | instid1(VALU_DEP_1)
	v_subrev_nc_u32_e32 v10, 29, v9
	v_dual_lshlrev_b32 v3, v10, v3 :: v_dual_sub_nc_u32 v9, 30, v9
	s_delay_alu instid0(VALU_DEP_1) | instskip(NEXT) | instid1(VALU_DEP_1)
	v_dual_lshlrev_b32 v1, 24, v1 :: v_dual_bitop2_b32 v3, 3, v3 bitop3:0x40
	v_dual_cndmask_b32 v3, v8, v3, vcc_lo :: v_dual_cndmask_b32 v9, v11, v9, vcc_lo
	s_delay_alu instid0(VALU_DEP_2) | instskip(NEXT) | instid1(VALU_DEP_2)
	v_and_b32_e32 v1, 0x80000000, v1
	v_lshlrev_b32_e32 v3, 21, v3
	s_delay_alu instid0(VALU_DEP_3) | instskip(NEXT) | instid1(VALU_DEP_1)
	v_lshl_add_u32 v8, v9, 23, 0x37800000
	v_or3_b32 v1, v1, v8, v3
	s_delay_alu instid0(VALU_DEP_1) | instskip(NEXT) | instid1(VALU_DEP_1)
	v_trunc_f32_e32 v1, v1
	v_mul_f32_e32 v3, 0x2f800000, v1
	s_delay_alu instid0(VALU_DEP_1) | instskip(NEXT) | instid1(VALU_DEP_1)
	v_floor_f32_e32 v3, v3
	v_fmamk_f32 v1, v3, 0xcf800000, v1
	v_cvt_u32_f32_e32 v9, v3
	s_delay_alu instid0(VALU_DEP_2)
	v_cvt_u32_f32_e32 v8, v1
.LBB364_579:
	s_or_b32 exec_lo, exec_lo, s44
	s_mov_b32 s44, 0
	s_branch .LBB364_585
.LBB364_580:
	s_mov_b32 s45, -1
                                        ; implicit-def: $vgpr8_vgpr9
	s_branch .LBB364_591
.LBB364_581:
	s_and_not1_saveexec_b32 s44, s44
	s_cbranch_execz .LBB364_566
.LBB364_582:
	v_cmp_ne_u16_e32 vcc_lo, 0, v1
	s_and_not1_b32 s45, s45, exec_lo
	s_and_b32 s47, vcc_lo, exec_lo
	s_delay_alu instid0(SALU_CYCLE_1)
	s_or_b32 s45, s45, s47
	s_or_b32 exec_lo, exec_lo, s44
	v_mov_b64_e32 v[8:9], 0
	s_and_saveexec_b32 s44, s45
	s_cbranch_execnz .LBB364_567
	s_branch .LBB364_568
.LBB364_583:
	s_mov_b32 s44, -1
                                        ; implicit-def: $vgpr8_vgpr9
	s_branch .LBB364_588
.LBB364_584:
	s_mov_b32 s44, -1
                                        ; implicit-def: $vgpr8_vgpr9
.LBB364_585:
	s_delay_alu instid0(SALU_CYCLE_1)
	s_and_b32 vcc_lo, exec_lo, s44
	s_cbranch_vccz .LBB364_587
; %bb.586:
	global_load_u8 v1, v[6:7], off
	s_wait_loadcnt 0x0
	v_lshlrev_b32_e32 v1, 24, v1
	s_delay_alu instid0(VALU_DEP_1) | instskip(SKIP_1) | instid1(VALU_DEP_1)
	v_and_b32_e32 v3, 0x7f000000, v1
	s_wait_xcnt 0x1
	v_clz_i32_u32_e32 v8, v3
	v_cmp_ne_u32_e32 vcc_lo, 0, v3
	v_add_nc_u32_e32 v10, 0x1000000, v3
	s_delay_alu instid0(VALU_DEP_3) | instskip(NEXT) | instid1(VALU_DEP_1)
	v_min_u32_e32 v8, 32, v8
	v_sub_nc_u32_e64 v8, v8, 4 clamp
	s_delay_alu instid0(VALU_DEP_1) | instskip(NEXT) | instid1(VALU_DEP_1)
	v_dual_lshlrev_b32 v9, v8, v3 :: v_dual_lshlrev_b32 v8, 23, v8
	v_lshrrev_b32_e32 v9, 4, v9
	s_delay_alu instid0(VALU_DEP_1) | instskip(NEXT) | instid1(VALU_DEP_1)
	v_dual_sub_nc_u32 v8, v9, v8 :: v_dual_ashrrev_i32 v9, 8, v10
	v_add_nc_u32_e32 v8, 0x3c000000, v8
	s_delay_alu instid0(VALU_DEP_1) | instskip(NEXT) | instid1(VALU_DEP_1)
	v_and_or_b32 v8, 0x7f800000, v9, v8
	v_cndmask_b32_e32 v3, 0, v8, vcc_lo
	s_delay_alu instid0(VALU_DEP_1) | instskip(NEXT) | instid1(VALU_DEP_1)
	v_and_or_b32 v1, 0x80000000, v1, v3
	v_trunc_f32_e32 v1, v1
	s_delay_alu instid0(VALU_DEP_1) | instskip(NEXT) | instid1(VALU_DEP_1)
	v_mul_f32_e32 v3, 0x2f800000, v1
	v_floor_f32_e32 v3, v3
	s_delay_alu instid0(VALU_DEP_1) | instskip(SKIP_1) | instid1(VALU_DEP_2)
	v_fmamk_f32 v1, v3, 0xcf800000, v1
	v_cvt_u32_f32_e32 v9, v3
	v_cvt_u32_f32_e32 v8, v1
.LBB364_587:
	s_mov_b32 s44, 0
.LBB364_588:
	s_delay_alu instid0(SALU_CYCLE_1)
	s_and_not1_b32 vcc_lo, exec_lo, s44
	s_cbranch_vccnz .LBB364_590
; %bb.589:
	global_load_u8 v1, v[6:7], off
	s_wait_loadcnt 0x0
	v_lshlrev_b32_e32 v3, 25, v1
	v_lshlrev_b16 v1, 8, v1
	s_wait_xcnt 0x1
	s_delay_alu instid0(VALU_DEP_1) | instskip(NEXT) | instid1(VALU_DEP_3)
	v_and_or_b32 v9, 0x7f00, v1, 0.5
	v_lshrrev_b32_e32 v8, 4, v3
	v_bfe_i32 v1, v1, 0, 16
	s_delay_alu instid0(VALU_DEP_3) | instskip(NEXT) | instid1(VALU_DEP_3)
	v_add_f32_e32 v9, -0.5, v9
	v_or_b32_e32 v8, 0x70000000, v8
	s_delay_alu instid0(VALU_DEP_1) | instskip(SKIP_1) | instid1(VALU_DEP_2)
	v_mul_f32_e32 v8, 0x7800000, v8
	v_cmp_gt_u32_e32 vcc_lo, 0x8000000, v3
	v_cndmask_b32_e32 v3, v8, v9, vcc_lo
	s_delay_alu instid0(VALU_DEP_1) | instskip(NEXT) | instid1(VALU_DEP_1)
	v_and_or_b32 v1, 0x80000000, v1, v3
	v_trunc_f32_e32 v1, v1
	s_delay_alu instid0(VALU_DEP_1) | instskip(NEXT) | instid1(VALU_DEP_1)
	v_mul_f32_e32 v3, 0x2f800000, v1
	v_floor_f32_e32 v3, v3
	s_delay_alu instid0(VALU_DEP_1) | instskip(SKIP_1) | instid1(VALU_DEP_2)
	v_fmamk_f32 v1, v3, 0xcf800000, v1
	v_cvt_u32_f32_e32 v9, v3
	v_cvt_u32_f32_e32 v8, v1
.LBB364_590:
	s_mov_b32 s45, 0
	s_mov_b32 s44, -1
.LBB364_591:
	s_and_not1_b32 vcc_lo, exec_lo, s45
	s_cbranch_vccnz .LBB364_604
; %bb.592:
	s_cmp_gt_i32 s43, 14
	s_cbranch_scc0 .LBB364_595
; %bb.593:
	s_cmp_eq_u32 s43, 15
	s_cbranch_scc0 .LBB364_598
; %bb.594:
	global_load_u16 v1, v[6:7], off
	s_mov_b32 s44, -1
	s_mov_b32 s27, 0
	s_wait_loadcnt 0x0
	v_lshlrev_b32_e32 v1, 16, v1
	s_delay_alu instid0(VALU_DEP_1) | instskip(NEXT) | instid1(VALU_DEP_1)
	v_trunc_f32_e32 v1, v1
	v_mul_f32_e32 v3, 0x2f800000, v1
	s_delay_alu instid0(VALU_DEP_1) | instskip(NEXT) | instid1(VALU_DEP_1)
	v_floor_f32_e32 v3, v3
	v_fmamk_f32 v1, v3, 0xcf800000, v1
	s_wait_xcnt 0x1
	v_cvt_u32_f32_e32 v9, v3
	s_delay_alu instid0(VALU_DEP_2)
	v_cvt_u32_f32_e32 v8, v1
	s_branch .LBB364_599
.LBB364_595:
	s_mov_b32 s45, -1
                                        ; implicit-def: $vgpr8_vgpr9
	s_branch .LBB364_600
.LBB364_596:
	s_and_not1_saveexec_b32 s44, s44
	s_cbranch_execz .LBB364_577
.LBB364_597:
	v_cmp_ne_u16_e32 vcc_lo, 0, v1
	s_and_not1_b32 s45, s45, exec_lo
	s_and_b32 s47, vcc_lo, exec_lo
	s_delay_alu instid0(SALU_CYCLE_1)
	s_or_b32 s45, s45, s47
	s_or_b32 exec_lo, exec_lo, s44
	v_mov_b64_e32 v[8:9], 0
	s_and_saveexec_b32 s44, s45
	s_cbranch_execnz .LBB364_578
	s_branch .LBB364_579
.LBB364_598:
	s_mov_b32 s27, -1
                                        ; implicit-def: $vgpr8_vgpr9
.LBB364_599:
	s_mov_b32 s45, 0
.LBB364_600:
	s_delay_alu instid0(SALU_CYCLE_1)
	s_and_b32 vcc_lo, exec_lo, s45
	s_cbranch_vccz .LBB364_604
; %bb.601:
	s_cmp_eq_u32 s43, 11
	s_cbranch_scc0 .LBB364_603
; %bb.602:
	global_load_u8 v1, v[6:7], off
	s_mov_b32 s27, 0
	s_mov_b32 s44, -1
	s_wait_loadcnt 0x1
	s_wait_xcnt 0x1
	v_mov_b32_e32 v9, s27
	s_wait_loadcnt 0x0
	v_cmp_ne_u16_e32 vcc_lo, 0, v1
	v_cndmask_b32_e64 v8, 0, 1, vcc_lo
	s_branch .LBB364_604
.LBB364_603:
	s_mov_b32 s27, -1
                                        ; implicit-def: $vgpr8_vgpr9
.LBB364_604:
	s_mov_b32 s43, 0
.LBB364_605:
	s_delay_alu instid0(SALU_CYCLE_1)
	s_and_b32 vcc_lo, exec_lo, s43
	s_cbranch_vccz .LBB364_654
; %bb.606:
	s_and_b32 s0, 0xffff, s0
	s_delay_alu instid0(SALU_CYCLE_1)
	s_cmp_lt_i32 s0, 5
	s_cbranch_scc1 .LBB364_611
; %bb.607:
	s_cmp_lt_i32 s0, 8
	s_cbranch_scc1 .LBB364_612
; %bb.608:
	;; [unrolled: 3-line block ×3, first 2 shown]
	s_cmp_gt_i32 s0, 9
	s_cbranch_scc0 .LBB364_614
; %bb.610:
	s_wait_loadcnt 0x0
	global_load_b64 v[8:9], v[6:7], off
	s_mov_b32 s43, 0
	s_wait_loadcnt 0x0
	v_trunc_f64_e32 v[8:9], v[8:9]
	s_delay_alu instid0(VALU_DEP_1) | instskip(NEXT) | instid1(VALU_DEP_1)
	v_ldexp_f64 v[10:11], v[8:9], 0xffffffe0
	v_floor_f64_e32 v[10:11], v[10:11]
	s_delay_alu instid0(VALU_DEP_1) | instskip(SKIP_1) | instid1(VALU_DEP_2)
	v_fmamk_f64 v[12:13], v[10:11], 0xc1f00000, v[8:9]
	v_cvt_u32_f64_e32 v9, v[10:11]
	v_cvt_u32_f64_e32 v8, v[12:13]
	s_branch .LBB364_615
.LBB364_611:
	s_mov_b32 s43, -1
                                        ; implicit-def: $vgpr8_vgpr9
	s_branch .LBB364_633
.LBB364_612:
	s_mov_b32 s43, -1
                                        ; implicit-def: $vgpr8_vgpr9
	s_branch .LBB364_621
.LBB364_613:
	s_mov_b32 s43, -1
                                        ; implicit-def: $vgpr8_vgpr9
	s_branch .LBB364_618
.LBB364_614:
	s_mov_b32 s43, -1
                                        ; implicit-def: $vgpr8_vgpr9
.LBB364_615:
	s_delay_alu instid0(SALU_CYCLE_1)
	s_and_not1_b32 vcc_lo, exec_lo, s43
	s_cbranch_vccnz .LBB364_617
; %bb.616:
	global_load_b32 v1, v[6:7], off
	s_wait_loadcnt 0x0
	v_trunc_f32_e32 v1, v1
	s_delay_alu instid0(VALU_DEP_1) | instskip(NEXT) | instid1(VALU_DEP_1)
	v_mul_f32_e32 v3, 0x2f800000, v1
	v_floor_f32_e32 v3, v3
	s_delay_alu instid0(VALU_DEP_1) | instskip(SKIP_2) | instid1(VALU_DEP_2)
	v_fmamk_f32 v1, v3, 0xcf800000, v1
	s_wait_xcnt 0x1
	v_cvt_u32_f32_e32 v9, v3
	v_cvt_u32_f32_e32 v8, v1
.LBB364_617:
	s_mov_b32 s43, 0
.LBB364_618:
	s_delay_alu instid0(SALU_CYCLE_1)
	s_and_not1_b32 vcc_lo, exec_lo, s43
	s_cbranch_vccnz .LBB364_620
; %bb.619:
	global_load_b32 v1, v[6:7], off
	s_wait_loadcnt 0x1
	s_wait_xcnt 0x1
	v_mov_b32_e32 v9, 0
	s_wait_loadcnt 0x0
	v_cvt_f32_f16_e32 v1, v1
	s_delay_alu instid0(VALU_DEP_1)
	v_cvt_u32_f32_e32 v8, v1
.LBB364_620:
	s_mov_b32 s43, 0
.LBB364_621:
	s_delay_alu instid0(SALU_CYCLE_1)
	s_and_not1_b32 vcc_lo, exec_lo, s43
	s_cbranch_vccnz .LBB364_632
; %bb.622:
	s_cmp_lt_i32 s0, 6
	s_cbranch_scc1 .LBB364_625
; %bb.623:
	s_cmp_gt_i32 s0, 6
	s_cbranch_scc0 .LBB364_626
; %bb.624:
	s_wait_loadcnt 0x0
	global_load_b64 v[8:9], v[6:7], off
	s_mov_b32 s43, 0
	s_wait_loadcnt 0x0
	v_trunc_f64_e32 v[8:9], v[8:9]
	s_delay_alu instid0(VALU_DEP_1) | instskip(NEXT) | instid1(VALU_DEP_1)
	v_ldexp_f64 v[10:11], v[8:9], 0xffffffe0
	v_floor_f64_e32 v[10:11], v[10:11]
	s_delay_alu instid0(VALU_DEP_1) | instskip(SKIP_1) | instid1(VALU_DEP_2)
	v_fmamk_f64 v[12:13], v[10:11], 0xc1f00000, v[8:9]
	v_cvt_u32_f64_e32 v9, v[10:11]
	v_cvt_u32_f64_e32 v8, v[12:13]
	s_branch .LBB364_627
.LBB364_625:
	s_mov_b32 s43, -1
                                        ; implicit-def: $vgpr8_vgpr9
	s_branch .LBB364_630
.LBB364_626:
	s_mov_b32 s43, -1
                                        ; implicit-def: $vgpr8_vgpr9
.LBB364_627:
	s_delay_alu instid0(SALU_CYCLE_1)
	s_and_not1_b32 vcc_lo, exec_lo, s43
	s_cbranch_vccnz .LBB364_629
; %bb.628:
	global_load_b32 v1, v[6:7], off
	s_wait_loadcnt 0x0
	v_trunc_f32_e32 v1, v1
	s_delay_alu instid0(VALU_DEP_1) | instskip(NEXT) | instid1(VALU_DEP_1)
	v_mul_f32_e32 v3, 0x2f800000, v1
	v_floor_f32_e32 v3, v3
	s_delay_alu instid0(VALU_DEP_1) | instskip(SKIP_2) | instid1(VALU_DEP_2)
	v_fmamk_f32 v1, v3, 0xcf800000, v1
	s_wait_xcnt 0x1
	v_cvt_u32_f32_e32 v9, v3
	v_cvt_u32_f32_e32 v8, v1
.LBB364_629:
	s_mov_b32 s43, 0
.LBB364_630:
	s_delay_alu instid0(SALU_CYCLE_1)
	s_and_not1_b32 vcc_lo, exec_lo, s43
	s_cbranch_vccnz .LBB364_632
; %bb.631:
	global_load_u16 v1, v[6:7], off
	s_wait_loadcnt 0x1
	s_wait_xcnt 0x1
	v_mov_b32_e32 v9, 0
	s_wait_loadcnt 0x0
	v_cvt_f32_f16_e32 v1, v1
	s_delay_alu instid0(VALU_DEP_1)
	v_cvt_u32_f32_e32 v8, v1
.LBB364_632:
	s_mov_b32 s43, 0
.LBB364_633:
	s_delay_alu instid0(SALU_CYCLE_1)
	s_and_not1_b32 vcc_lo, exec_lo, s43
	s_cbranch_vccnz .LBB364_653
; %bb.634:
	s_cmp_lt_i32 s0, 2
	s_cbranch_scc1 .LBB364_638
; %bb.635:
	s_cmp_lt_i32 s0, 3
	s_cbranch_scc1 .LBB364_639
; %bb.636:
	s_cmp_gt_i32 s0, 3
	s_cbranch_scc0 .LBB364_640
; %bb.637:
	s_wait_loadcnt 0x0
	global_load_b64 v[8:9], v[6:7], off
	s_mov_b32 s43, 0
	s_branch .LBB364_641
.LBB364_638:
	s_mov_b32 s43, -1
                                        ; implicit-def: $vgpr8_vgpr9
	s_branch .LBB364_647
.LBB364_639:
	s_mov_b32 s43, -1
                                        ; implicit-def: $vgpr8_vgpr9
	s_branch .LBB364_644
.LBB364_640:
	s_mov_b32 s43, -1
                                        ; implicit-def: $vgpr8_vgpr9
.LBB364_641:
	s_delay_alu instid0(SALU_CYCLE_1)
	s_and_not1_b32 vcc_lo, exec_lo, s43
	s_cbranch_vccnz .LBB364_643
; %bb.642:
	s_wait_loadcnt 0x0
	global_load_b32 v8, v[6:7], off
	s_wait_loadcnt 0x0
	v_ashrrev_i32_e32 v9, 31, v8
.LBB364_643:
	s_mov_b32 s43, 0
.LBB364_644:
	s_delay_alu instid0(SALU_CYCLE_1)
	s_and_not1_b32 vcc_lo, exec_lo, s43
	s_cbranch_vccnz .LBB364_646
; %bb.645:
	global_load_u16 v1, v[6:7], off
	s_wait_loadcnt 0x0
	s_wait_xcnt 0x1
	v_bfe_i32 v8, v1, 0, 16
	s_delay_alu instid0(VALU_DEP_1)
	v_ashrrev_i32_e32 v9, 31, v8
.LBB364_646:
	s_mov_b32 s43, 0
.LBB364_647:
	s_delay_alu instid0(SALU_CYCLE_1)
	s_and_not1_b32 vcc_lo, exec_lo, s43
	s_cbranch_vccnz .LBB364_653
; %bb.648:
	s_cmp_gt_i32 s0, 0
	s_mov_b32 s0, 0
	s_cbranch_scc0 .LBB364_650
; %bb.649:
	global_load_i8 v1, v[6:7], off
	s_wait_loadcnt 0x0
	s_wait_xcnt 0x1
	v_bfe_i32 v8, v1, 0, 16
	s_delay_alu instid0(VALU_DEP_1)
	v_ashrrev_i32_e32 v9, 31, v8
	s_branch .LBB364_651
.LBB364_650:
	s_mov_b32 s0, -1
                                        ; implicit-def: $vgpr8_vgpr9
.LBB364_651:
	s_delay_alu instid0(SALU_CYCLE_1)
	s_and_not1_b32 vcc_lo, exec_lo, s0
	s_cbranch_vccnz .LBB364_653
; %bb.652:
	global_load_u8 v1, v[6:7], off
	s_mov_b32 s0, 0
	s_wait_loadcnt 0x1
	s_wait_xcnt 0x1
	v_mov_b32_e32 v9, s0
	s_wait_loadcnt 0x0
	v_and_b32_e32 v8, 0xffff, v1
.LBB364_653:
	s_mov_b32 s44, -1
.LBB364_654:
	s_delay_alu instid0(SALU_CYCLE_1)
	s_and_not1_b32 vcc_lo, exec_lo, s44
	s_cbranch_vccnz .LBB364_662
; %bb.655:
	v_mov_b32_e32 v3, 0
	s_wait_loadcnt 0x0
	s_delay_alu instid0(VALU_DEP_2) | instskip(SKIP_1) | instid1(VALU_DEP_2)
	v_cmp_ne_u64_e32 vcc_lo, v[4:5], v[8:9]
	s_and_b32 s44, s11, 0xff
	v_add_nc_u64_e32 v[2:3], s[4:5], v[2:3]
	s_xor_b32 s43, s10, vcc_lo
	s_cmp_lt_i32 s44, 11
	s_cbranch_scc1 .LBB364_663
; %bb.656:
	s_and_b32 s45, 0xffff, s44
	s_delay_alu instid0(SALU_CYCLE_1)
	s_cmp_gt_i32 s45, 25
	s_cbranch_scc0 .LBB364_664
; %bb.657:
	s_cmp_gt_i32 s45, 28
	s_cbranch_scc0 .LBB364_665
; %bb.658:
	;; [unrolled: 3-line block ×4, first 2 shown]
	s_mov_b32 s48, 0
	s_mov_b32 s0, -1
	s_cmp_eq_u32 s45, 46
	s_mov_b32 s47, 0
	s_cbranch_scc0 .LBB364_668
; %bb.661:
	v_cndmask_b32_e64 v1, 0, 1.0, s43
	s_mov_b32 s47, -1
	s_mov_b32 s0, 0
	s_delay_alu instid0(VALU_DEP_1) | instskip(NEXT) | instid1(VALU_DEP_1)
	v_bfe_u32 v4, v1, 16, 1
	v_add3_u32 v1, v1, v4, 0x7fff
	s_delay_alu instid0(VALU_DEP_1)
	v_lshrrev_b32_e32 v1, 16, v1
	global_store_b32 v[2:3], v1, off
	s_branch .LBB364_668
.LBB364_662:
	s_mov_b32 s47, 0
	s_mov_b32 s0, s39
	s_branch .LBB364_779
.LBB364_663:
	s_mov_b32 s45, -1
	s_mov_b32 s47, 0
	s_mov_b32 s0, s39
	s_branch .LBB364_737
.LBB364_664:
	s_mov_b32 s48, -1
	s_mov_b32 s47, 0
	s_mov_b32 s0, s39
	s_branch .LBB364_695
.LBB364_665:
	s_mov_b32 s48, -1
	s_mov_b32 s47, 0
	s_mov_b32 s0, s39
	s_branch .LBB364_678
.LBB364_666:
	s_mov_b32 s48, -1
	s_mov_b32 s47, 0
	s_mov_b32 s0, s39
	s_branch .LBB364_674
.LBB364_667:
	s_mov_b32 s48, -1
	s_mov_b32 s47, 0
	s_mov_b32 s0, s39
.LBB364_668:
	s_and_b32 vcc_lo, exec_lo, s48
	s_cbranch_vccz .LBB364_673
; %bb.669:
	s_cmp_eq_u32 s45, 44
	s_mov_b32 s0, -1
	s_cbranch_scc0 .LBB364_673
; %bb.670:
	v_cndmask_b32_e64 v5, 0, 1.0, s43
	s_mov_b32 s47, exec_lo
	s_wait_xcnt 0x0
	s_delay_alu instid0(VALU_DEP_1) | instskip(NEXT) | instid1(VALU_DEP_1)
	v_dual_mov_b32 v4, 0xff :: v_dual_lshrrev_b32 v1, 23, v5
	v_cmpx_ne_u32_e32 0xff, v1
; %bb.671:
	v_and_b32_e32 v4, 0x400000, v5
	v_and_or_b32 v5, 0x3fffff, v5, v1
	s_delay_alu instid0(VALU_DEP_2) | instskip(NEXT) | instid1(VALU_DEP_2)
	v_cmp_ne_u32_e32 vcc_lo, 0, v4
	v_cmp_ne_u32_e64 s0, 0, v5
	s_and_b32 s0, vcc_lo, s0
	s_delay_alu instid0(SALU_CYCLE_1) | instskip(NEXT) | instid1(VALU_DEP_1)
	v_cndmask_b32_e64 v4, 0, 1, s0
	v_add_nc_u32_e32 v4, v1, v4
; %bb.672:
	s_or_b32 exec_lo, exec_lo, s47
	s_mov_b32 s47, -1
	s_mov_b32 s0, 0
	global_store_b8 v[2:3], v4, off
.LBB364_673:
	s_mov_b32 s48, 0
.LBB364_674:
	s_delay_alu instid0(SALU_CYCLE_1)
	s_and_b32 vcc_lo, exec_lo, s48
	s_cbranch_vccz .LBB364_677
; %bb.675:
	s_cmp_eq_u32 s45, 29
	s_mov_b32 s0, -1
	s_cbranch_scc0 .LBB364_677
; %bb.676:
	s_mov_b32 s0, 0
	s_wait_xcnt 0x0
	v_cndmask_b32_e64 v4, 0, 1, s43
	v_mov_b32_e32 v5, s0
	s_mov_b32 s47, -1
	s_mov_b32 s48, 0
	global_store_b64 v[2:3], v[4:5], off
	s_branch .LBB364_678
.LBB364_677:
	s_mov_b32 s48, 0
.LBB364_678:
	s_delay_alu instid0(SALU_CYCLE_1)
	s_and_b32 vcc_lo, exec_lo, s48
	s_cbranch_vccz .LBB364_694
; %bb.679:
	s_cmp_lt_i32 s45, 27
	s_mov_b32 s47, -1
	s_cbranch_scc1 .LBB364_685
; %bb.680:
	s_cmp_gt_i32 s45, 27
	s_cbranch_scc0 .LBB364_682
; %bb.681:
	s_wait_xcnt 0x0
	v_cndmask_b32_e64 v1, 0, 1, s43
	s_mov_b32 s47, 0
	global_store_b32 v[2:3], v1, off
.LBB364_682:
	s_and_not1_b32 vcc_lo, exec_lo, s47
	s_cbranch_vccnz .LBB364_684
; %bb.683:
	s_wait_xcnt 0x0
	v_cndmask_b32_e64 v1, 0, 1, s43
	global_store_b16 v[2:3], v1, off
.LBB364_684:
	s_mov_b32 s47, 0
.LBB364_685:
	s_delay_alu instid0(SALU_CYCLE_1)
	s_and_not1_b32 vcc_lo, exec_lo, s47
	s_cbranch_vccnz .LBB364_693
; %bb.686:
	s_wait_xcnt 0x0
	v_cndmask_b32_e64 v4, 0, 1.0, s43
	v_mov_b32_e32 v5, 0x80
	s_mov_b32 s47, exec_lo
	s_delay_alu instid0(VALU_DEP_2)
	v_cmpx_gt_u32_e32 0x43800000, v4
	s_cbranch_execz .LBB364_692
; %bb.687:
	s_mov_b32 s48, 0
	s_mov_b32 s49, exec_lo
                                        ; implicit-def: $vgpr1
	v_cmpx_lt_u32_e32 0x3bffffff, v4
	s_xor_b32 s49, exec_lo, s49
	s_cbranch_execz .LBB364_807
; %bb.688:
	v_bfe_u32 v1, v4, 20, 1
	s_mov_b32 s48, exec_lo
	s_delay_alu instid0(VALU_DEP_1) | instskip(NEXT) | instid1(VALU_DEP_1)
	v_add3_u32 v1, v4, v1, 0x487ffff
                                        ; implicit-def: $vgpr4
	v_lshrrev_b32_e32 v1, 20, v1
	s_and_not1_saveexec_b32 s49, s49
	s_cbranch_execnz .LBB364_808
.LBB364_689:
	s_or_b32 exec_lo, exec_lo, s49
	v_mov_b32_e32 v5, 0
	s_and_saveexec_b32 s49, s48
.LBB364_690:
	v_mov_b32_e32 v5, v1
.LBB364_691:
	s_or_b32 exec_lo, exec_lo, s49
.LBB364_692:
	s_delay_alu instid0(SALU_CYCLE_1)
	s_or_b32 exec_lo, exec_lo, s47
	global_store_b8 v[2:3], v5, off
.LBB364_693:
	s_mov_b32 s47, -1
.LBB364_694:
	s_mov_b32 s48, 0
.LBB364_695:
	s_delay_alu instid0(SALU_CYCLE_1)
	s_and_b32 vcc_lo, exec_lo, s48
	s_cbranch_vccz .LBB364_736
; %bb.696:
	s_cmp_gt_i32 s45, 22
	s_mov_b32 s48, -1
	s_cbranch_scc0 .LBB364_728
; %bb.697:
	s_cmp_lt_i32 s45, 24
	s_mov_b32 s47, -1
	s_cbranch_scc1 .LBB364_717
; %bb.698:
	s_cmp_gt_i32 s45, 24
	s_cbranch_scc0 .LBB364_706
; %bb.699:
	s_wait_xcnt 0x0
	v_cndmask_b32_e64 v4, 0, 1.0, s43
	v_mov_b32_e32 v5, 0x80
	s_mov_b32 s47, exec_lo
	s_delay_alu instid0(VALU_DEP_2)
	v_cmpx_gt_u32_e32 0x47800000, v4
	s_cbranch_execz .LBB364_705
; %bb.700:
	s_mov_b32 s48, 0
	s_mov_b32 s49, exec_lo
                                        ; implicit-def: $vgpr1
	v_cmpx_lt_u32_e32 0x37ffffff, v4
	s_xor_b32 s49, exec_lo, s49
	s_cbranch_execz .LBB364_935
; %bb.701:
	v_bfe_u32 v1, v4, 21, 1
	s_mov_b32 s48, exec_lo
	s_delay_alu instid0(VALU_DEP_1) | instskip(NEXT) | instid1(VALU_DEP_1)
	v_add3_u32 v1, v4, v1, 0x88fffff
                                        ; implicit-def: $vgpr4
	v_lshrrev_b32_e32 v1, 21, v1
	s_and_not1_saveexec_b32 s49, s49
	s_cbranch_execnz .LBB364_936
.LBB364_702:
	s_or_b32 exec_lo, exec_lo, s49
	v_mov_b32_e32 v5, 0
	s_and_saveexec_b32 s49, s48
.LBB364_703:
	v_mov_b32_e32 v5, v1
.LBB364_704:
	s_or_b32 exec_lo, exec_lo, s49
.LBB364_705:
	s_delay_alu instid0(SALU_CYCLE_1)
	s_or_b32 exec_lo, exec_lo, s47
	s_mov_b32 s47, 0
	global_store_b8 v[2:3], v5, off
.LBB364_706:
	s_and_b32 vcc_lo, exec_lo, s47
	s_cbranch_vccz .LBB364_716
; %bb.707:
	s_wait_xcnt 0x0
	v_cndmask_b32_e64 v4, 0, 1.0, s43
	s_mov_b32 s47, exec_lo
                                        ; implicit-def: $vgpr1
	s_delay_alu instid0(VALU_DEP_1)
	v_cmpx_gt_u32_e32 0x43f00000, v4
	s_xor_b32 s47, exec_lo, s47
	s_cbranch_execz .LBB364_713
; %bb.708:
	s_mov_b32 s48, exec_lo
                                        ; implicit-def: $vgpr1
	v_cmpx_lt_u32_e32 0x3c7fffff, v4
	s_xor_b32 s48, exec_lo, s48
; %bb.709:
	v_bfe_u32 v1, v4, 20, 1
	s_delay_alu instid0(VALU_DEP_1) | instskip(NEXT) | instid1(VALU_DEP_1)
	v_add3_u32 v1, v4, v1, 0x407ffff
	v_and_b32_e32 v4, 0xff00000, v1
	v_lshrrev_b32_e32 v1, 20, v1
	s_delay_alu instid0(VALU_DEP_2) | instskip(NEXT) | instid1(VALU_DEP_2)
	v_cmp_ne_u32_e32 vcc_lo, 0x7f00000, v4
                                        ; implicit-def: $vgpr4
	v_cndmask_b32_e32 v1, 0x7e, v1, vcc_lo
; %bb.710:
	s_and_not1_saveexec_b32 s48, s48
; %bb.711:
	v_add_f32_e32 v1, 0x46800000, v4
; %bb.712:
	s_or_b32 exec_lo, exec_lo, s48
                                        ; implicit-def: $vgpr4
.LBB364_713:
	s_and_not1_saveexec_b32 s47, s47
; %bb.714:
	v_mov_b32_e32 v1, 0x7f
	v_cmp_lt_u32_e32 vcc_lo, 0x7f800000, v4
	s_delay_alu instid0(VALU_DEP_2)
	v_cndmask_b32_e32 v1, 0x7e, v1, vcc_lo
; %bb.715:
	s_or_b32 exec_lo, exec_lo, s47
	global_store_b8 v[2:3], v1, off
.LBB364_716:
	s_mov_b32 s47, 0
.LBB364_717:
	s_delay_alu instid0(SALU_CYCLE_1)
	s_and_not1_b32 vcc_lo, exec_lo, s47
	s_cbranch_vccnz .LBB364_727
; %bb.718:
	s_wait_xcnt 0x0
	v_cndmask_b32_e64 v4, 0, 1.0, s43
	s_mov_b32 s47, exec_lo
                                        ; implicit-def: $vgpr1
	s_delay_alu instid0(VALU_DEP_1)
	v_cmpx_gt_u32_e32 0x47800000, v4
	s_xor_b32 s47, exec_lo, s47
	s_cbranch_execz .LBB364_724
; %bb.719:
	s_mov_b32 s48, exec_lo
                                        ; implicit-def: $vgpr1
	v_cmpx_lt_u32_e32 0x387fffff, v4
	s_xor_b32 s48, exec_lo, s48
; %bb.720:
	v_bfe_u32 v1, v4, 21, 1
	s_delay_alu instid0(VALU_DEP_1) | instskip(NEXT) | instid1(VALU_DEP_1)
	v_add3_u32 v1, v4, v1, 0x80fffff
                                        ; implicit-def: $vgpr4
	v_lshrrev_b32_e32 v1, 21, v1
; %bb.721:
	s_and_not1_saveexec_b32 s48, s48
; %bb.722:
	v_add_f32_e32 v1, 0x43000000, v4
; %bb.723:
	s_or_b32 exec_lo, exec_lo, s48
                                        ; implicit-def: $vgpr4
.LBB364_724:
	s_and_not1_saveexec_b32 s47, s47
; %bb.725:
	v_mov_b32_e32 v1, 0x7f
	v_cmp_lt_u32_e32 vcc_lo, 0x7f800000, v4
	s_delay_alu instid0(VALU_DEP_2)
	v_cndmask_b32_e32 v1, 0x7c, v1, vcc_lo
; %bb.726:
	s_or_b32 exec_lo, exec_lo, s47
	global_store_b8 v[2:3], v1, off
.LBB364_727:
	s_mov_b32 s48, 0
	s_mov_b32 s47, -1
.LBB364_728:
	s_and_not1_b32 vcc_lo, exec_lo, s48
	s_cbranch_vccnz .LBB364_736
; %bb.729:
	s_cmp_gt_i32 s45, 14
	s_mov_b32 s48, -1
	s_cbranch_scc0 .LBB364_733
; %bb.730:
	s_cmp_eq_u32 s45, 15
	s_mov_b32 s0, -1
	s_cbranch_scc0 .LBB364_732
; %bb.731:
	s_wait_xcnt 0x0
	v_cndmask_b32_e64 v1, 0, 1.0, s43
	s_mov_b32 s47, -1
	s_mov_b32 s0, 0
	s_delay_alu instid0(VALU_DEP_1) | instskip(NEXT) | instid1(VALU_DEP_1)
	v_bfe_u32 v4, v1, 16, 1
	v_add3_u32 v1, v1, v4, 0x7fff
	global_store_d16_hi_b16 v[2:3], v1, off
.LBB364_732:
	s_mov_b32 s48, 0
.LBB364_733:
	s_delay_alu instid0(SALU_CYCLE_1)
	s_and_b32 vcc_lo, exec_lo, s48
	s_cbranch_vccz .LBB364_736
; %bb.734:
	s_cmp_eq_u32 s45, 11
	s_mov_b32 s0, -1
	s_cbranch_scc0 .LBB364_736
; %bb.735:
	s_wait_xcnt 0x0
	v_cndmask_b32_e64 v1, 0, 1, s43
	s_mov_b32 s47, -1
	s_mov_b32 s0, 0
	global_store_b8 v[2:3], v1, off
.LBB364_736:
	s_mov_b32 s45, 0
.LBB364_737:
	s_delay_alu instid0(SALU_CYCLE_1)
	s_and_b32 vcc_lo, exec_lo, s45
	s_cbranch_vccz .LBB364_776
; %bb.738:
	s_and_b32 s44, 0xffff, s44
	s_mov_b32 s45, -1
	s_cmp_lt_i32 s44, 5
	s_cbranch_scc1 .LBB364_759
; %bb.739:
	s_cmp_lt_i32 s44, 8
	s_cbranch_scc1 .LBB364_749
; %bb.740:
	;; [unrolled: 3-line block ×3, first 2 shown]
	s_cmp_gt_i32 s44, 9
	s_cbranch_scc0 .LBB364_743
; %bb.742:
	s_wait_xcnt 0x0
	v_cndmask_b32_e64 v1, 0, 1, s43
	v_mov_b32_e32 v6, 0
	s_mov_b32 s45, 0
	s_delay_alu instid0(VALU_DEP_2) | instskip(NEXT) | instid1(VALU_DEP_2)
	v_cvt_f64_u32_e32 v[4:5], v1
	v_mov_b32_e32 v7, v6
	global_store_b128 v[2:3], v[4:7], off
.LBB364_743:
	s_and_not1_b32 vcc_lo, exec_lo, s45
	s_cbranch_vccnz .LBB364_745
; %bb.744:
	s_wait_xcnt 0x0
	v_cndmask_b32_e64 v4, 0, 1.0, s43
	v_mov_b32_e32 v5, 0
	global_store_b64 v[2:3], v[4:5], off
.LBB364_745:
	s_mov_b32 s45, 0
.LBB364_746:
	s_delay_alu instid0(SALU_CYCLE_1)
	s_and_not1_b32 vcc_lo, exec_lo, s45
	s_cbranch_vccnz .LBB364_748
; %bb.747:
	s_wait_xcnt 0x0
	v_cndmask_b32_e64 v1, 0, 1.0, s43
	s_delay_alu instid0(VALU_DEP_1) | instskip(NEXT) | instid1(VALU_DEP_1)
	v_cvt_f16_f32_e32 v1, v1
	v_and_b32_e32 v1, 0xffff, v1
	global_store_b32 v[2:3], v1, off
.LBB364_748:
	s_mov_b32 s45, 0
.LBB364_749:
	s_delay_alu instid0(SALU_CYCLE_1)
	s_and_not1_b32 vcc_lo, exec_lo, s45
	s_cbranch_vccnz .LBB364_758
; %bb.750:
	s_cmp_lt_i32 s44, 6
	s_mov_b32 s45, -1
	s_cbranch_scc1 .LBB364_756
; %bb.751:
	s_cmp_gt_i32 s44, 6
	s_cbranch_scc0 .LBB364_753
; %bb.752:
	s_wait_xcnt 0x0
	v_cndmask_b32_e64 v1, 0, 1, s43
	s_mov_b32 s45, 0
	s_delay_alu instid0(VALU_DEP_1)
	v_cvt_f64_u32_e32 v[4:5], v1
	global_store_b64 v[2:3], v[4:5], off
.LBB364_753:
	s_and_not1_b32 vcc_lo, exec_lo, s45
	s_cbranch_vccnz .LBB364_755
; %bb.754:
	s_wait_xcnt 0x0
	v_cndmask_b32_e64 v1, 0, 1.0, s43
	global_store_b32 v[2:3], v1, off
.LBB364_755:
	s_mov_b32 s45, 0
.LBB364_756:
	s_delay_alu instid0(SALU_CYCLE_1)
	s_and_not1_b32 vcc_lo, exec_lo, s45
	s_cbranch_vccnz .LBB364_758
; %bb.757:
	s_wait_xcnt 0x0
	v_cndmask_b32_e64 v1, 0, 1.0, s43
	s_delay_alu instid0(VALU_DEP_1)
	v_cvt_f16_f32_e32 v1, v1
	global_store_b16 v[2:3], v1, off
.LBB364_758:
	s_mov_b32 s45, 0
.LBB364_759:
	s_delay_alu instid0(SALU_CYCLE_1)
	s_and_not1_b32 vcc_lo, exec_lo, s45
	s_cbranch_vccnz .LBB364_775
; %bb.760:
	s_cmp_lt_i32 s44, 2
	s_mov_b32 s45, -1
	s_cbranch_scc1 .LBB364_770
; %bb.761:
	s_cmp_lt_i32 s44, 3
	s_cbranch_scc1 .LBB364_767
; %bb.762:
	s_cmp_gt_i32 s44, 3
	s_cbranch_scc0 .LBB364_764
; %bb.763:
	s_mov_b32 s45, 0
	s_wait_xcnt 0x0
	v_cndmask_b32_e64 v4, 0, 1, s43
	v_mov_b32_e32 v5, s45
	global_store_b64 v[2:3], v[4:5], off
.LBB364_764:
	s_and_not1_b32 vcc_lo, exec_lo, s45
	s_cbranch_vccnz .LBB364_766
; %bb.765:
	s_wait_xcnt 0x0
	v_cndmask_b32_e64 v1, 0, 1, s43
	global_store_b32 v[2:3], v1, off
.LBB364_766:
	s_mov_b32 s45, 0
.LBB364_767:
	s_delay_alu instid0(SALU_CYCLE_1)
	s_and_not1_b32 vcc_lo, exec_lo, s45
	s_cbranch_vccnz .LBB364_769
; %bb.768:
	s_wait_xcnt 0x0
	v_cndmask_b32_e64 v1, 0, 1, s43
	global_store_b16 v[2:3], v1, off
.LBB364_769:
	s_mov_b32 s45, 0
.LBB364_770:
	s_delay_alu instid0(SALU_CYCLE_1)
	s_and_not1_b32 vcc_lo, exec_lo, s45
	s_cbranch_vccnz .LBB364_775
; %bb.771:
	s_wait_xcnt 0x0
	v_cndmask_b32_e64 v1, 0, 1, s43
	s_cmp_gt_i32 s44, 0
	s_mov_b32 s43, -1
	s_cbranch_scc0 .LBB364_773
; %bb.772:
	s_mov_b32 s43, 0
	global_store_b8 v[2:3], v1, off
.LBB364_773:
	s_and_not1_b32 vcc_lo, exec_lo, s43
	s_cbranch_vccnz .LBB364_775
; %bb.774:
	global_store_b8 v[2:3], v1, off
.LBB364_775:
	s_mov_b32 s47, -1
.LBB364_776:
	s_delay_alu instid0(SALU_CYCLE_1)
	s_and_not1_b32 vcc_lo, exec_lo, s47
	s_cbranch_vccnz .LBB364_778
; %bb.777:
	v_add_nc_u32_e32 v0, 0x80, v0
	s_mov_b32 s47, -1
	s_branch .LBB364_780
.LBB364_778:
	s_mov_b32 s47, 0
.LBB364_779:
                                        ; implicit-def: $vgpr0
.LBB364_780:
	s_and_not1_b32 s43, s39, exec_lo
	s_and_b32 s0, s0, exec_lo
	s_and_b32 s27, s27, exec_lo
	s_or_b32 s44, s43, s0
	s_and_not1_b32 s0, s40, exec_lo
	s_and_not1_b32 s43, s41, exec_lo
	s_and_b32 s26, s26, exec_lo
	s_or_b32 s45, s0, s27
	s_or_b32 s43, s43, s26
	s_or_not1_b32 s48, s47, exec_lo
.LBB364_781:
	s_wait_xcnt 0x0
	s_or_b32 exec_lo, exec_lo, s46
	s_mov_b32 s27, 0
	s_mov_b32 s47, 0
	;; [unrolled: 1-line block ×3, first 2 shown]
                                        ; implicit-def: $sgpr0
                                        ; implicit-def: $vgpr8_vgpr9
                                        ; implicit-def: $vgpr6
                                        ; implicit-def: $vgpr2
                                        ; implicit-def: $vgpr4_vgpr5
	s_and_saveexec_b32 s46, s48
	s_cbranch_execz .LBB364_1268
; %bb.782:
	s_mov_b32 s52, -1
	s_mov_b32 s48, s43
	s_mov_b32 s50, s45
	;; [unrolled: 1-line block ×3, first 2 shown]
	s_mov_b32 s47, exec_lo
	v_cmpx_gt_i32_e64 s37, v0
	s_cbranch_execz .LBB364_1176
; %bb.783:
	s_and_not1_b32 vcc_lo, exec_lo, s31
	s_cbranch_vccnz .LBB364_789
; %bb.784:
	s_and_not1_b32 vcc_lo, exec_lo, s38
	s_cbranch_vccnz .LBB364_790
; %bb.785:
	v_dual_mov_b32 v2, 0 :: v_dual_mov_b32 v1, v0
	s_wait_loadcnt 0x0
	v_dual_mov_b32 v4, 0 :: v_dual_mov_b32 v6, 0
	s_add_co_i32 s0, s36, 1
	s_mov_b64 s[26:27], 0xffffffffffffffe8
	s_and_b32 s0, s0, 30
	s_add_nc_u64 s[26:27], s[2:3], s[26:27]
.LBB364_786:                            ; =>This Inner Loop Header: Depth=1
	s_clause 0x1
	s_load_b128 s[48:51], s[26:27], 0x1c
	s_load_b64 s[56:57], s[26:27], 0x2c
	s_add_co_i32 s0, s0, -2
	s_delay_alu instid0(SALU_CYCLE_1) | instskip(SKIP_2) | instid1(VALU_DEP_1)
	s_cmp_eq_u32 s0, 0
	s_wait_kmcnt 0x0
	v_mul_hi_u32 v3, s49, v1
	v_add_nc_u32_e32 v3, v1, v3
	s_delay_alu instid0(VALU_DEP_1) | instskip(NEXT) | instid1(VALU_DEP_1)
	v_lshrrev_b32_e32 v3, s50, v3
	v_mul_hi_u32 v5, s56, v3
	v_mul_lo_u32 v7, v3, s48
	s_clause 0x1
	s_load_b128 s[52:55], s[26:27], 0xdc
	s_load_b64 s[48:49], s[26:27], 0xec
	s_wait_xcnt 0x0
	s_add_nc_u64 s[26:27], s[26:27], 24
	s_delay_alu instid0(VALU_DEP_1) | instskip(NEXT) | instid1(VALU_DEP_1)
	v_dual_add_nc_u32 v5, v3, v5 :: v_dual_sub_nc_u32 v7, v1, v7
	v_lshrrev_b32_e32 v1, s57, v5
	s_wait_kmcnt 0x0
	s_delay_alu instid0(VALU_DEP_2) | instskip(NEXT) | instid1(VALU_DEP_2)
	v_mad_u32 v2, v7, s52, v2
	v_mul_lo_u32 v5, v1, s51
	v_mad_u32 v6, v7, s54, v6
	v_mad_u32 v4, v7, s53, v4
	s_delay_alu instid0(VALU_DEP_3) | instskip(NEXT) | instid1(VALU_DEP_1)
	v_sub_nc_u32_e32 v3, v3, v5
	v_mad_u32 v2, v3, s55, v2
	s_delay_alu instid0(VALU_DEP_4) | instskip(NEXT) | instid1(VALU_DEP_4)
	v_mad_u32 v6, v3, s49, v6
	v_mad_u32 v4, v3, s48, v4
	s_cbranch_scc0 .LBB364_786
; %bb.787:
	s_bitcmp1_b32 s36, 0
	s_cselect_b32 s0, -1, 0
	s_delay_alu instid0(SALU_CYCLE_1)
	s_and_b32 vcc_lo, exec_lo, s0
	s_cbranch_vccnz .LBB364_791
; %bb.788:
	s_clause 0x1
	s_load_b96 s[48:50], s[26:27], 0x1c
	s_load_b96 s[52:54], s[26:27], 0xdc
	s_wait_kmcnt 0x0
	v_mul_hi_u32 v3, s49, v1
	s_delay_alu instid0(VALU_DEP_1) | instskip(NEXT) | instid1(VALU_DEP_1)
	v_add_nc_u32_e32 v3, v1, v3
	v_lshrrev_b32_e32 v3, s50, v3
	s_delay_alu instid0(VALU_DEP_1) | instskip(NEXT) | instid1(VALU_DEP_1)
	v_mul_lo_u32 v3, v3, s48
	v_sub_nc_u32_e32 v1, v1, v3
	s_delay_alu instid0(VALU_DEP_1)
	v_mad_u32 v2, v1, s52, v2
	v_mad_u32 v4, v1, s53, v4
	;; [unrolled: 1-line block ×3, first 2 shown]
	s_branch .LBB364_791
.LBB364_789:
	s_mov_b32 s0, -1
                                        ; implicit-def: $vgpr6
                                        ; implicit-def: $vgpr4
                                        ; implicit-def: $vgpr2
	s_branch .LBB364_792
.LBB364_790:
	s_wait_loadcnt 0x0
	v_dual_mov_b32 v6, 0 :: v_dual_mov_b32 v4, 0
	v_mov_b32_e32 v2, 0
.LBB364_791:
	s_mov_b32 s0, 0
.LBB364_792:
	s_delay_alu instid0(SALU_CYCLE_1)
	s_and_not1_b32 vcc_lo, exec_lo, s0
	s_cbranch_vccnz .LBB364_795
; %bb.793:
	v_mov_b32_e32 v1, 0
	s_and_not1_b32 vcc_lo, exec_lo, s35
	s_delay_alu instid0(VALU_DEP_1) | instskip(NEXT) | instid1(VALU_DEP_1)
	v_mul_u64_e32 v[2:3], s[20:21], v[0:1]
	v_add_nc_u32_e32 v2, v0, v3
	s_wait_loadcnt 0x0
	s_delay_alu instid0(VALU_DEP_1) | instskip(NEXT) | instid1(VALU_DEP_1)
	v_lshrrev_b32_e32 v8, s14, v2
	v_mul_lo_u32 v2, v8, s12
	s_delay_alu instid0(VALU_DEP_1) | instskip(NEXT) | instid1(VALU_DEP_1)
	v_sub_nc_u32_e32 v3, v0, v2
	v_mul_lo_u32 v2, v3, s16
	v_mul_lo_u32 v6, v3, s18
	;; [unrolled: 1-line block ×3, first 2 shown]
	s_cbranch_vccnz .LBB364_795
; %bb.794:
	v_mov_b32_e32 v9, v1
	s_delay_alu instid0(VALU_DEP_1) | instskip(NEXT) | instid1(VALU_DEP_1)
	v_mul_u64_e32 v[10:11], s[24:25], v[8:9]
	v_add_nc_u32_e32 v1, v8, v11
	s_delay_alu instid0(VALU_DEP_1) | instskip(NEXT) | instid1(VALU_DEP_1)
	v_lshrrev_b32_e32 v1, s1, v1
	v_mul_lo_u32 v1, v1, s15
	s_delay_alu instid0(VALU_DEP_1) | instskip(NEXT) | instid1(VALU_DEP_1)
	v_sub_nc_u32_e32 v1, v8, v1
	v_mad_u32 v2, v1, s19, v2
	v_mad_u32 v4, v1, s22, v4
	;; [unrolled: 1-line block ×3, first 2 shown]
.LBB364_795:
	s_wait_loadcnt 0x0
	v_mov_b32_e32 v5, 0
	s_and_b32 s0, s34, 0xff
	s_delay_alu instid0(SALU_CYCLE_1) | instskip(NEXT) | instid1(VALU_DEP_1)
	s_cmp_lt_i32 s0, 11
	v_add_nc_u64_e32 v[8:9], s[6:7], v[4:5]
	s_cbranch_scc1 .LBB364_802
; %bb.796:
	s_and_b32 s27, 0xffff, s0
	s_delay_alu instid0(SALU_CYCLE_1)
	s_cmp_gt_i32 s27, 25
	s_cbranch_scc0 .LBB364_803
; %bb.797:
	s_cmp_gt_i32 s27, 28
	s_cbranch_scc0 .LBB364_804
; %bb.798:
	;; [unrolled: 3-line block ×4, first 2 shown]
	s_cmp_eq_u32 s27, 46
	s_mov_b32 s49, 0
	s_cbranch_scc0 .LBB364_809
; %bb.801:
	global_load_b32 v1, v[8:9], off
	s_mov_b32 s48, -1
	s_mov_b32 s26, 0
	s_wait_loadcnt 0x0
	v_lshlrev_b32_e32 v1, 16, v1
	s_delay_alu instid0(VALU_DEP_1) | instskip(NEXT) | instid1(VALU_DEP_1)
	v_trunc_f32_e32 v1, v1
	v_mul_f32_e32 v3, 0x2f800000, v1
	s_delay_alu instid0(VALU_DEP_1) | instskip(NEXT) | instid1(VALU_DEP_1)
	v_floor_f32_e32 v3, v3
	v_fmamk_f32 v1, v3, 0xcf800000, v1
	v_cvt_u32_f32_e32 v5, v3
	s_delay_alu instid0(VALU_DEP_2)
	v_cvt_u32_f32_e32 v4, v1
	s_branch .LBB364_811
.LBB364_802:
	s_mov_b32 s27, -1
	s_mov_b32 s48, 0
	s_mov_b32 s26, s43
                                        ; implicit-def: $vgpr4_vgpr5
	s_branch .LBB364_872
.LBB364_803:
	s_mov_b32 s49, -1
	s_mov_b32 s48, 0
	s_mov_b32 s26, s43
                                        ; implicit-def: $vgpr4_vgpr5
	s_branch .LBB364_838
.LBB364_804:
	s_mov_b32 s49, -1
	s_mov_b32 s48, 0
	s_mov_b32 s26, s43
                                        ; implicit-def: $vgpr4_vgpr5
	s_branch .LBB364_821
.LBB364_805:
	s_mov_b32 s49, -1
	s_mov_b32 s48, 0
	s_mov_b32 s26, s43
                                        ; implicit-def: $vgpr4_vgpr5
	s_branch .LBB364_816
.LBB364_806:
	s_mov_b32 s49, -1
	s_mov_b32 s48, 0
	s_mov_b32 s26, s43
	s_branch .LBB364_810
.LBB364_807:
	s_and_not1_saveexec_b32 s49, s49
	s_cbranch_execz .LBB364_689
.LBB364_808:
	v_add_f32_e32 v1, 0x46000000, v4
	s_and_not1_b32 s48, s48, exec_lo
	s_delay_alu instid0(VALU_DEP_1) | instskip(NEXT) | instid1(VALU_DEP_1)
	v_and_b32_e32 v1, 0xff, v1
	v_cmp_ne_u32_e32 vcc_lo, 0, v1
	s_and_b32 s50, vcc_lo, exec_lo
	s_delay_alu instid0(SALU_CYCLE_1)
	s_or_b32 s48, s48, s50
	s_or_b32 exec_lo, exec_lo, s49
	v_mov_b32_e32 v5, 0
	s_and_saveexec_b32 s49, s48
	s_cbranch_execnz .LBB364_690
	s_branch .LBB364_691
.LBB364_809:
	s_mov_b32 s26, -1
	s_mov_b32 s48, 0
.LBB364_810:
                                        ; implicit-def: $vgpr4_vgpr5
.LBB364_811:
	s_and_b32 vcc_lo, exec_lo, s49
	s_cbranch_vccz .LBB364_815
; %bb.812:
	s_cmp_eq_u32 s27, 44
	s_cbranch_scc0 .LBB364_814
; %bb.813:
	global_load_u8 v1, v[8:9], off
	s_mov_b32 s26, 0
	s_mov_b32 s48, -1
	s_wait_loadcnt 0x0
	v_cmp_ne_u32_e32 vcc_lo, 0, v1
	v_lshlrev_b32_e32 v3, 23, v1
	s_delay_alu instid0(VALU_DEP_1) | instskip(NEXT) | instid1(VALU_DEP_1)
	v_trunc_f32_e32 v3, v3
	v_mul_f32_e32 v4, 0x2f800000, v3
	s_delay_alu instid0(VALU_DEP_1) | instskip(NEXT) | instid1(VALU_DEP_1)
	v_floor_f32_e32 v4, v4
	v_fmamk_f32 v3, v4, 0xcf800000, v3
	v_cvt_u32_f32_e32 v4, v4
	s_delay_alu instid0(VALU_DEP_2) | instskip(NEXT) | instid1(VALU_DEP_1)
	v_cvt_u32_f32_e32 v3, v3
	v_dual_cndmask_b32 v5, 0, v4 :: v_dual_cndmask_b32 v4, 0, v3
	s_branch .LBB364_815
.LBB364_814:
	s_mov_b32 s26, -1
                                        ; implicit-def: $vgpr4_vgpr5
.LBB364_815:
	s_mov_b32 s49, 0
.LBB364_816:
	s_delay_alu instid0(SALU_CYCLE_1)
	s_and_b32 vcc_lo, exec_lo, s49
	s_cbranch_vccz .LBB364_820
; %bb.817:
	s_cmp_eq_u32 s27, 29
	s_cbranch_scc0 .LBB364_819
; %bb.818:
	global_load_b64 v[4:5], v[8:9], off
	s_mov_b32 s48, -1
	s_mov_b32 s26, 0
	s_branch .LBB364_820
.LBB364_819:
	s_mov_b32 s26, -1
                                        ; implicit-def: $vgpr4_vgpr5
.LBB364_820:
	s_mov_b32 s49, 0
.LBB364_821:
	s_delay_alu instid0(SALU_CYCLE_1)
	s_and_b32 vcc_lo, exec_lo, s49
	s_cbranch_vccz .LBB364_837
; %bb.822:
	s_cmp_lt_i32 s27, 27
	s_cbranch_scc1 .LBB364_825
; %bb.823:
	s_cmp_gt_i32 s27, 27
	s_cbranch_scc0 .LBB364_826
; %bb.824:
	s_wait_loadcnt 0x0
	global_load_b32 v4, v[8:9], off
	v_mov_b32_e32 v5, 0
	s_mov_b32 s48, 0
	s_branch .LBB364_827
.LBB364_825:
	s_mov_b32 s48, -1
                                        ; implicit-def: $vgpr4_vgpr5
	s_branch .LBB364_830
.LBB364_826:
	s_mov_b32 s48, -1
                                        ; implicit-def: $vgpr4_vgpr5
.LBB364_827:
	s_delay_alu instid0(SALU_CYCLE_1)
	s_and_not1_b32 vcc_lo, exec_lo, s48
	s_cbranch_vccnz .LBB364_829
; %bb.828:
	global_load_u16 v1, v[8:9], off
	s_mov_b32 s48, 0
	s_wait_loadcnt 0x1
	v_mov_b32_e32 v5, s48
	s_wait_loadcnt 0x0
	v_and_b32_e32 v4, 0xffff, v1
.LBB364_829:
	s_mov_b32 s48, 0
.LBB364_830:
	s_delay_alu instid0(SALU_CYCLE_1)
	s_and_not1_b32 vcc_lo, exec_lo, s48
	s_cbranch_vccnz .LBB364_836
; %bb.831:
	global_load_u8 v1, v[8:9], off
	s_mov_b32 s49, 0
	s_mov_b32 s48, exec_lo
	s_wait_loadcnt 0x0
	v_cmpx_lt_i16_e32 0x7f, v1
	s_xor_b32 s48, exec_lo, s48
	s_cbranch_execz .LBB364_848
; %bb.832:
	v_cmp_ne_u16_e32 vcc_lo, 0x80, v1
	s_and_b32 s49, vcc_lo, exec_lo
	s_and_not1_saveexec_b32 s48, s48
	s_cbranch_execnz .LBB364_849
.LBB364_833:
	s_or_b32 exec_lo, exec_lo, s48
	v_mov_b64_e32 v[4:5], 0
	s_and_saveexec_b32 s48, s49
	s_cbranch_execz .LBB364_835
.LBB364_834:
	v_and_b32_e32 v3, 0xffff, v1
	s_delay_alu instid0(VALU_DEP_1) | instskip(SKIP_1) | instid1(VALU_DEP_2)
	v_and_b32_e32 v4, 7, v3
	v_bfe_u32 v10, v3, 3, 4
	v_clz_i32_u32_e32 v5, v4
	s_delay_alu instid0(VALU_DEP_2) | instskip(NEXT) | instid1(VALU_DEP_2)
	v_cmp_eq_u32_e32 vcc_lo, 0, v10
	v_min_u32_e32 v5, 32, v5
	s_delay_alu instid0(VALU_DEP_1) | instskip(NEXT) | instid1(VALU_DEP_1)
	v_subrev_nc_u32_e32 v7, 28, v5
	v_dual_lshlrev_b32 v3, v7, v3 :: v_dual_sub_nc_u32 v5, 29, v5
	s_delay_alu instid0(VALU_DEP_1) | instskip(NEXT) | instid1(VALU_DEP_1)
	v_dual_lshlrev_b32 v1, 24, v1 :: v_dual_bitop2_b32 v3, 7, v3 bitop3:0x40
	v_dual_cndmask_b32 v3, v4, v3, vcc_lo :: v_dual_cndmask_b32 v5, v10, v5, vcc_lo
	s_delay_alu instid0(VALU_DEP_2) | instskip(NEXT) | instid1(VALU_DEP_2)
	v_and_b32_e32 v1, 0x80000000, v1
	v_lshlrev_b32_e32 v3, 20, v3
	s_delay_alu instid0(VALU_DEP_3) | instskip(NEXT) | instid1(VALU_DEP_1)
	v_lshl_add_u32 v4, v5, 23, 0x3b800000
	v_or3_b32 v1, v1, v4, v3
	s_delay_alu instid0(VALU_DEP_1) | instskip(NEXT) | instid1(VALU_DEP_1)
	v_trunc_f32_e32 v1, v1
	v_mul_f32_e32 v3, 0x2f800000, v1
	s_delay_alu instid0(VALU_DEP_1) | instskip(NEXT) | instid1(VALU_DEP_1)
	v_floor_f32_e32 v3, v3
	v_fmamk_f32 v1, v3, 0xcf800000, v1
	v_cvt_u32_f32_e32 v5, v3
	s_delay_alu instid0(VALU_DEP_2)
	v_cvt_u32_f32_e32 v4, v1
.LBB364_835:
	s_or_b32 exec_lo, exec_lo, s48
.LBB364_836:
	s_mov_b32 s48, -1
.LBB364_837:
	s_mov_b32 s49, 0
.LBB364_838:
	s_delay_alu instid0(SALU_CYCLE_1)
	s_and_b32 vcc_lo, exec_lo, s49
	s_cbranch_vccz .LBB364_871
; %bb.839:
	s_cmp_gt_i32 s27, 22
	s_cbranch_scc0 .LBB364_847
; %bb.840:
	s_cmp_lt_i32 s27, 24
	s_cbranch_scc1 .LBB364_850
; %bb.841:
	s_cmp_gt_i32 s27, 24
	s_cbranch_scc0 .LBB364_851
; %bb.842:
	global_load_u8 v1, v[8:9], off
	s_mov_b32 s49, 0
	s_mov_b32 s48, exec_lo
	s_wait_loadcnt 0x0
	v_cmpx_lt_i16_e32 0x7f, v1
	s_xor_b32 s48, exec_lo, s48
	s_cbranch_execz .LBB364_863
; %bb.843:
	v_cmp_ne_u16_e32 vcc_lo, 0x80, v1
	s_and_b32 s49, vcc_lo, exec_lo
	s_and_not1_saveexec_b32 s48, s48
	s_cbranch_execnz .LBB364_864
.LBB364_844:
	s_or_b32 exec_lo, exec_lo, s48
	v_mov_b64_e32 v[4:5], 0
	s_and_saveexec_b32 s48, s49
	s_cbranch_execz .LBB364_846
.LBB364_845:
	v_and_b32_e32 v3, 0xffff, v1
	s_delay_alu instid0(VALU_DEP_1) | instskip(SKIP_1) | instid1(VALU_DEP_2)
	v_and_b32_e32 v4, 3, v3
	v_bfe_u32 v10, v3, 2, 5
	v_clz_i32_u32_e32 v5, v4
	s_delay_alu instid0(VALU_DEP_2) | instskip(NEXT) | instid1(VALU_DEP_2)
	v_cmp_eq_u32_e32 vcc_lo, 0, v10
	v_min_u32_e32 v5, 32, v5
	s_delay_alu instid0(VALU_DEP_1) | instskip(NEXT) | instid1(VALU_DEP_1)
	v_subrev_nc_u32_e32 v7, 29, v5
	v_dual_lshlrev_b32 v3, v7, v3 :: v_dual_sub_nc_u32 v5, 30, v5
	s_delay_alu instid0(VALU_DEP_1) | instskip(NEXT) | instid1(VALU_DEP_1)
	v_dual_lshlrev_b32 v1, 24, v1 :: v_dual_bitop2_b32 v3, 3, v3 bitop3:0x40
	v_dual_cndmask_b32 v3, v4, v3, vcc_lo :: v_dual_cndmask_b32 v5, v10, v5, vcc_lo
	s_delay_alu instid0(VALU_DEP_2) | instskip(NEXT) | instid1(VALU_DEP_2)
	v_and_b32_e32 v1, 0x80000000, v1
	v_lshlrev_b32_e32 v3, 21, v3
	s_delay_alu instid0(VALU_DEP_3) | instskip(NEXT) | instid1(VALU_DEP_1)
	v_lshl_add_u32 v4, v5, 23, 0x37800000
	v_or3_b32 v1, v1, v4, v3
	s_delay_alu instid0(VALU_DEP_1) | instskip(NEXT) | instid1(VALU_DEP_1)
	v_trunc_f32_e32 v1, v1
	v_mul_f32_e32 v3, 0x2f800000, v1
	s_delay_alu instid0(VALU_DEP_1) | instskip(NEXT) | instid1(VALU_DEP_1)
	v_floor_f32_e32 v3, v3
	v_fmamk_f32 v1, v3, 0xcf800000, v1
	v_cvt_u32_f32_e32 v5, v3
	s_delay_alu instid0(VALU_DEP_2)
	v_cvt_u32_f32_e32 v4, v1
.LBB364_846:
	s_or_b32 exec_lo, exec_lo, s48
	s_mov_b32 s48, 0
	s_branch .LBB364_852
.LBB364_847:
	s_mov_b32 s49, -1
                                        ; implicit-def: $vgpr4_vgpr5
	s_branch .LBB364_858
.LBB364_848:
	s_and_not1_saveexec_b32 s48, s48
	s_cbranch_execz .LBB364_833
.LBB364_849:
	v_cmp_ne_u16_e32 vcc_lo, 0, v1
	s_and_not1_b32 s49, s49, exec_lo
	s_and_b32 s50, vcc_lo, exec_lo
	s_delay_alu instid0(SALU_CYCLE_1)
	s_or_b32 s49, s49, s50
	s_or_b32 exec_lo, exec_lo, s48
	v_mov_b64_e32 v[4:5], 0
	s_and_saveexec_b32 s48, s49
	s_cbranch_execnz .LBB364_834
	s_branch .LBB364_835
.LBB364_850:
	s_mov_b32 s48, -1
                                        ; implicit-def: $vgpr4_vgpr5
	s_branch .LBB364_855
.LBB364_851:
	s_mov_b32 s48, -1
                                        ; implicit-def: $vgpr4_vgpr5
.LBB364_852:
	s_delay_alu instid0(SALU_CYCLE_1)
	s_and_b32 vcc_lo, exec_lo, s48
	s_cbranch_vccz .LBB364_854
; %bb.853:
	global_load_u8 v1, v[8:9], off
	s_wait_loadcnt 0x0
	v_lshlrev_b32_e32 v1, 24, v1
	s_delay_alu instid0(VALU_DEP_1) | instskip(NEXT) | instid1(VALU_DEP_1)
	v_and_b32_e32 v3, 0x7f000000, v1
	v_clz_i32_u32_e32 v4, v3
	v_add_nc_u32_e32 v7, 0x1000000, v3
	v_cmp_ne_u32_e32 vcc_lo, 0, v3
	s_delay_alu instid0(VALU_DEP_3) | instskip(NEXT) | instid1(VALU_DEP_1)
	v_min_u32_e32 v4, 32, v4
	v_sub_nc_u32_e64 v4, v4, 4 clamp
	s_delay_alu instid0(VALU_DEP_1) | instskip(NEXT) | instid1(VALU_DEP_1)
	v_dual_lshlrev_b32 v5, v4, v3 :: v_dual_lshlrev_b32 v4, 23, v4
	v_lshrrev_b32_e32 v5, 4, v5
	s_delay_alu instid0(VALU_DEP_1) | instskip(NEXT) | instid1(VALU_DEP_1)
	v_dual_sub_nc_u32 v4, v5, v4 :: v_dual_ashrrev_i32 v5, 8, v7
	v_add_nc_u32_e32 v4, 0x3c000000, v4
	s_delay_alu instid0(VALU_DEP_1) | instskip(NEXT) | instid1(VALU_DEP_1)
	v_and_or_b32 v4, 0x7f800000, v5, v4
	v_cndmask_b32_e32 v3, 0, v4, vcc_lo
	s_delay_alu instid0(VALU_DEP_1) | instskip(NEXT) | instid1(VALU_DEP_1)
	v_and_or_b32 v1, 0x80000000, v1, v3
	v_trunc_f32_e32 v1, v1
	s_delay_alu instid0(VALU_DEP_1) | instskip(NEXT) | instid1(VALU_DEP_1)
	v_mul_f32_e32 v3, 0x2f800000, v1
	v_floor_f32_e32 v3, v3
	s_delay_alu instid0(VALU_DEP_1) | instskip(SKIP_1) | instid1(VALU_DEP_2)
	v_fmamk_f32 v1, v3, 0xcf800000, v1
	v_cvt_u32_f32_e32 v5, v3
	v_cvt_u32_f32_e32 v4, v1
.LBB364_854:
	s_mov_b32 s48, 0
.LBB364_855:
	s_delay_alu instid0(SALU_CYCLE_1)
	s_and_not1_b32 vcc_lo, exec_lo, s48
	s_cbranch_vccnz .LBB364_857
; %bb.856:
	global_load_u8 v1, v[8:9], off
	s_wait_loadcnt 0x0
	v_lshlrev_b32_e32 v3, 25, v1
	v_lshlrev_b16 v1, 8, v1
	s_delay_alu instid0(VALU_DEP_1) | instskip(NEXT) | instid1(VALU_DEP_3)
	v_and_or_b32 v5, 0x7f00, v1, 0.5
	v_lshrrev_b32_e32 v4, 4, v3
	v_bfe_i32 v1, v1, 0, 16
	s_delay_alu instid0(VALU_DEP_3) | instskip(NEXT) | instid1(VALU_DEP_3)
	v_add_f32_e32 v5, -0.5, v5
	v_or_b32_e32 v4, 0x70000000, v4
	s_delay_alu instid0(VALU_DEP_1) | instskip(SKIP_1) | instid1(VALU_DEP_2)
	v_mul_f32_e32 v4, 0x7800000, v4
	v_cmp_gt_u32_e32 vcc_lo, 0x8000000, v3
	v_cndmask_b32_e32 v3, v4, v5, vcc_lo
	s_delay_alu instid0(VALU_DEP_1) | instskip(NEXT) | instid1(VALU_DEP_1)
	v_and_or_b32 v1, 0x80000000, v1, v3
	v_trunc_f32_e32 v1, v1
	s_delay_alu instid0(VALU_DEP_1) | instskip(NEXT) | instid1(VALU_DEP_1)
	v_mul_f32_e32 v3, 0x2f800000, v1
	v_floor_f32_e32 v3, v3
	s_delay_alu instid0(VALU_DEP_1) | instskip(SKIP_1) | instid1(VALU_DEP_2)
	v_fmamk_f32 v1, v3, 0xcf800000, v1
	v_cvt_u32_f32_e32 v5, v3
	v_cvt_u32_f32_e32 v4, v1
.LBB364_857:
	s_mov_b32 s49, 0
	s_mov_b32 s48, -1
.LBB364_858:
	s_and_not1_b32 vcc_lo, exec_lo, s49
	s_cbranch_vccnz .LBB364_871
; %bb.859:
	s_cmp_gt_i32 s27, 14
	s_cbranch_scc0 .LBB364_862
; %bb.860:
	s_cmp_eq_u32 s27, 15
	s_cbranch_scc0 .LBB364_865
; %bb.861:
	global_load_u16 v1, v[8:9], off
	s_mov_b32 s48, -1
	s_mov_b32 s26, 0
	s_wait_loadcnt 0x0
	v_lshlrev_b32_e32 v1, 16, v1
	s_delay_alu instid0(VALU_DEP_1) | instskip(NEXT) | instid1(VALU_DEP_1)
	v_trunc_f32_e32 v1, v1
	v_mul_f32_e32 v3, 0x2f800000, v1
	s_delay_alu instid0(VALU_DEP_1) | instskip(NEXT) | instid1(VALU_DEP_1)
	v_floor_f32_e32 v3, v3
	v_fmamk_f32 v1, v3, 0xcf800000, v1
	v_cvt_u32_f32_e32 v5, v3
	s_delay_alu instid0(VALU_DEP_2)
	v_cvt_u32_f32_e32 v4, v1
	s_branch .LBB364_866
.LBB364_862:
	s_mov_b32 s49, -1
                                        ; implicit-def: $vgpr4_vgpr5
	s_branch .LBB364_867
.LBB364_863:
	s_and_not1_saveexec_b32 s48, s48
	s_cbranch_execz .LBB364_844
.LBB364_864:
	v_cmp_ne_u16_e32 vcc_lo, 0, v1
	s_and_not1_b32 s49, s49, exec_lo
	s_and_b32 s50, vcc_lo, exec_lo
	s_delay_alu instid0(SALU_CYCLE_1)
	s_or_b32 s49, s49, s50
	s_or_b32 exec_lo, exec_lo, s48
	v_mov_b64_e32 v[4:5], 0
	s_and_saveexec_b32 s48, s49
	s_cbranch_execnz .LBB364_845
	s_branch .LBB364_846
.LBB364_865:
	s_mov_b32 s26, -1
                                        ; implicit-def: $vgpr4_vgpr5
.LBB364_866:
	s_mov_b32 s49, 0
.LBB364_867:
	s_delay_alu instid0(SALU_CYCLE_1)
	s_and_b32 vcc_lo, exec_lo, s49
	s_cbranch_vccz .LBB364_871
; %bb.868:
	s_cmp_eq_u32 s27, 11
	s_cbranch_scc0 .LBB364_870
; %bb.869:
	global_load_u8 v1, v[8:9], off
	s_mov_b32 s26, 0
	s_mov_b32 s48, -1
	s_wait_loadcnt 0x1
	v_mov_b32_e32 v5, s26
	s_wait_loadcnt 0x0
	v_cmp_ne_u16_e32 vcc_lo, 0, v1
	v_cndmask_b32_e64 v4, 0, 1, vcc_lo
	s_branch .LBB364_871
.LBB364_870:
	s_mov_b32 s26, -1
                                        ; implicit-def: $vgpr4_vgpr5
.LBB364_871:
	s_mov_b32 s27, 0
.LBB364_872:
	s_delay_alu instid0(SALU_CYCLE_1)
	s_and_b32 vcc_lo, exec_lo, s27
	s_cbranch_vccz .LBB364_921
; %bb.873:
	s_and_b32 s0, 0xffff, s0
	s_delay_alu instid0(SALU_CYCLE_1)
	s_cmp_lt_i32 s0, 5
	s_cbranch_scc1 .LBB364_878
; %bb.874:
	s_cmp_lt_i32 s0, 8
	s_cbranch_scc1 .LBB364_879
; %bb.875:
	s_cmp_lt_i32 s0, 9
	s_cbranch_scc1 .LBB364_880
; %bb.876:
	s_cmp_gt_i32 s0, 9
	s_cbranch_scc0 .LBB364_881
; %bb.877:
	s_wait_loadcnt 0x0
	global_load_b64 v[4:5], v[8:9], off
	s_mov_b32 s27, 0
	s_wait_loadcnt 0x0
	v_trunc_f64_e32 v[4:5], v[4:5]
	s_delay_alu instid0(VALU_DEP_1) | instskip(NEXT) | instid1(VALU_DEP_1)
	v_ldexp_f64 v[10:11], v[4:5], 0xffffffe0
	v_floor_f64_e32 v[10:11], v[10:11]
	s_delay_alu instid0(VALU_DEP_1) | instskip(SKIP_1) | instid1(VALU_DEP_2)
	v_fmamk_f64 v[12:13], v[10:11], 0xc1f00000, v[4:5]
	v_cvt_u32_f64_e32 v5, v[10:11]
	v_cvt_u32_f64_e32 v4, v[12:13]
	s_branch .LBB364_882
.LBB364_878:
	s_mov_b32 s27, -1
                                        ; implicit-def: $vgpr4_vgpr5
	s_branch .LBB364_900
.LBB364_879:
	s_mov_b32 s27, -1
                                        ; implicit-def: $vgpr4_vgpr5
	s_branch .LBB364_888
.LBB364_880:
	s_mov_b32 s27, -1
                                        ; implicit-def: $vgpr4_vgpr5
	s_branch .LBB364_885
.LBB364_881:
	s_mov_b32 s27, -1
                                        ; implicit-def: $vgpr4_vgpr5
.LBB364_882:
	s_delay_alu instid0(SALU_CYCLE_1)
	s_and_not1_b32 vcc_lo, exec_lo, s27
	s_cbranch_vccnz .LBB364_884
; %bb.883:
	global_load_b32 v1, v[8:9], off
	s_wait_loadcnt 0x0
	v_trunc_f32_e32 v1, v1
	s_delay_alu instid0(VALU_DEP_1) | instskip(NEXT) | instid1(VALU_DEP_1)
	v_mul_f32_e32 v3, 0x2f800000, v1
	v_floor_f32_e32 v3, v3
	s_delay_alu instid0(VALU_DEP_1) | instskip(SKIP_1) | instid1(VALU_DEP_2)
	v_fmamk_f32 v1, v3, 0xcf800000, v1
	v_cvt_u32_f32_e32 v5, v3
	v_cvt_u32_f32_e32 v4, v1
.LBB364_884:
	s_mov_b32 s27, 0
.LBB364_885:
	s_delay_alu instid0(SALU_CYCLE_1)
	s_and_not1_b32 vcc_lo, exec_lo, s27
	s_cbranch_vccnz .LBB364_887
; %bb.886:
	global_load_b32 v1, v[8:9], off
	s_wait_loadcnt 0x1
	v_mov_b32_e32 v5, 0
	s_wait_loadcnt 0x0
	v_cvt_f32_f16_e32 v1, v1
	s_delay_alu instid0(VALU_DEP_1)
	v_cvt_u32_f32_e32 v4, v1
.LBB364_887:
	s_mov_b32 s27, 0
.LBB364_888:
	s_delay_alu instid0(SALU_CYCLE_1)
	s_and_not1_b32 vcc_lo, exec_lo, s27
	s_cbranch_vccnz .LBB364_899
; %bb.889:
	s_cmp_lt_i32 s0, 6
	s_cbranch_scc1 .LBB364_892
; %bb.890:
	s_cmp_gt_i32 s0, 6
	s_cbranch_scc0 .LBB364_893
; %bb.891:
	s_wait_loadcnt 0x0
	global_load_b64 v[4:5], v[8:9], off
	s_mov_b32 s27, 0
	s_wait_loadcnt 0x0
	v_trunc_f64_e32 v[4:5], v[4:5]
	s_delay_alu instid0(VALU_DEP_1) | instskip(NEXT) | instid1(VALU_DEP_1)
	v_ldexp_f64 v[10:11], v[4:5], 0xffffffe0
	v_floor_f64_e32 v[10:11], v[10:11]
	s_delay_alu instid0(VALU_DEP_1) | instskip(SKIP_1) | instid1(VALU_DEP_2)
	v_fmamk_f64 v[12:13], v[10:11], 0xc1f00000, v[4:5]
	v_cvt_u32_f64_e32 v5, v[10:11]
	v_cvt_u32_f64_e32 v4, v[12:13]
	s_branch .LBB364_894
.LBB364_892:
	s_mov_b32 s27, -1
                                        ; implicit-def: $vgpr4_vgpr5
	s_branch .LBB364_897
.LBB364_893:
	s_mov_b32 s27, -1
                                        ; implicit-def: $vgpr4_vgpr5
.LBB364_894:
	s_delay_alu instid0(SALU_CYCLE_1)
	s_and_not1_b32 vcc_lo, exec_lo, s27
	s_cbranch_vccnz .LBB364_896
; %bb.895:
	global_load_b32 v1, v[8:9], off
	s_wait_loadcnt 0x0
	v_trunc_f32_e32 v1, v1
	s_delay_alu instid0(VALU_DEP_1) | instskip(NEXT) | instid1(VALU_DEP_1)
	v_mul_f32_e32 v3, 0x2f800000, v1
	v_floor_f32_e32 v3, v3
	s_delay_alu instid0(VALU_DEP_1) | instskip(SKIP_1) | instid1(VALU_DEP_2)
	v_fmamk_f32 v1, v3, 0xcf800000, v1
	v_cvt_u32_f32_e32 v5, v3
	v_cvt_u32_f32_e32 v4, v1
.LBB364_896:
	s_mov_b32 s27, 0
.LBB364_897:
	s_delay_alu instid0(SALU_CYCLE_1)
	s_and_not1_b32 vcc_lo, exec_lo, s27
	s_cbranch_vccnz .LBB364_899
; %bb.898:
	global_load_u16 v1, v[8:9], off
	s_wait_loadcnt 0x1
	v_mov_b32_e32 v5, 0
	s_wait_loadcnt 0x0
	v_cvt_f32_f16_e32 v1, v1
	s_delay_alu instid0(VALU_DEP_1)
	v_cvt_u32_f32_e32 v4, v1
.LBB364_899:
	s_mov_b32 s27, 0
.LBB364_900:
	s_delay_alu instid0(SALU_CYCLE_1)
	s_and_not1_b32 vcc_lo, exec_lo, s27
	s_cbranch_vccnz .LBB364_920
; %bb.901:
	s_cmp_lt_i32 s0, 2
	s_cbranch_scc1 .LBB364_905
; %bb.902:
	s_cmp_lt_i32 s0, 3
	s_cbranch_scc1 .LBB364_906
; %bb.903:
	s_cmp_gt_i32 s0, 3
	s_cbranch_scc0 .LBB364_907
; %bb.904:
	s_wait_loadcnt 0x0
	global_load_b64 v[4:5], v[8:9], off
	s_mov_b32 s27, 0
	s_branch .LBB364_908
.LBB364_905:
	s_mov_b32 s27, -1
                                        ; implicit-def: $vgpr4_vgpr5
	s_branch .LBB364_914
.LBB364_906:
	s_mov_b32 s27, -1
                                        ; implicit-def: $vgpr4_vgpr5
	s_branch .LBB364_911
.LBB364_907:
	s_mov_b32 s27, -1
                                        ; implicit-def: $vgpr4_vgpr5
.LBB364_908:
	s_delay_alu instid0(SALU_CYCLE_1)
	s_and_not1_b32 vcc_lo, exec_lo, s27
	s_cbranch_vccnz .LBB364_910
; %bb.909:
	s_wait_loadcnt 0x0
	global_load_b32 v4, v[8:9], off
	s_wait_loadcnt 0x0
	v_ashrrev_i32_e32 v5, 31, v4
.LBB364_910:
	s_mov_b32 s27, 0
.LBB364_911:
	s_delay_alu instid0(SALU_CYCLE_1)
	s_and_not1_b32 vcc_lo, exec_lo, s27
	s_cbranch_vccnz .LBB364_913
; %bb.912:
	global_load_u16 v1, v[8:9], off
	s_wait_loadcnt 0x0
	v_bfe_i32 v4, v1, 0, 16
	s_delay_alu instid0(VALU_DEP_1)
	v_ashrrev_i32_e32 v5, 31, v4
.LBB364_913:
	s_mov_b32 s27, 0
.LBB364_914:
	s_delay_alu instid0(SALU_CYCLE_1)
	s_and_not1_b32 vcc_lo, exec_lo, s27
	s_cbranch_vccnz .LBB364_920
; %bb.915:
	s_cmp_gt_i32 s0, 0
	s_mov_b32 s0, 0
	s_cbranch_scc0 .LBB364_917
; %bb.916:
	global_load_i8 v1, v[8:9], off
	s_wait_loadcnt 0x0
	v_bfe_i32 v4, v1, 0, 16
	s_delay_alu instid0(VALU_DEP_1)
	v_ashrrev_i32_e32 v5, 31, v4
	s_branch .LBB364_918
.LBB364_917:
	s_mov_b32 s0, -1
                                        ; implicit-def: $vgpr4_vgpr5
.LBB364_918:
	s_delay_alu instid0(SALU_CYCLE_1)
	s_and_not1_b32 vcc_lo, exec_lo, s0
	s_cbranch_vccnz .LBB364_920
; %bb.919:
	global_load_u8 v1, v[8:9], off
	s_mov_b32 s0, 0
	s_wait_loadcnt 0x1
	v_mov_b32_e32 v5, s0
	s_wait_loadcnt 0x0
	v_and_b32_e32 v4, 0xffff, v1
.LBB364_920:
	s_mov_b32 s48, -1
.LBB364_921:
	s_delay_alu instid0(SALU_CYCLE_1)
	s_and_not1_b32 vcc_lo, exec_lo, s48
	s_cbranch_vccnz .LBB364_929
; %bb.922:
	v_mov_b32_e32 v7, 0
	s_and_b32 s0, s13, 0xff
	s_delay_alu instid0(SALU_CYCLE_1) | instskip(NEXT) | instid1(VALU_DEP_1)
	s_cmp_lt_i32 s0, 11
	v_add_nc_u64_e32 v[6:7], s[8:9], v[6:7]
	s_cbranch_scc1 .LBB364_930
; %bb.923:
	s_and_b32 s48, 0xffff, s0
	s_delay_alu instid0(SALU_CYCLE_1)
	s_cmp_gt_i32 s48, 25
	s_cbranch_scc0 .LBB364_931
; %bb.924:
	s_cmp_gt_i32 s48, 28
	s_cbranch_scc0 .LBB364_932
; %bb.925:
	s_cmp_gt_i32 s48, 43
	s_cbranch_scc0 .LBB364_933
; %bb.926:
	s_cmp_gt_i32 s48, 45
	s_cbranch_scc0 .LBB364_934
; %bb.927:
	s_cmp_eq_u32 s48, 46
	s_mov_b32 s50, 0
	s_cbranch_scc0 .LBB364_937
; %bb.928:
	global_load_b32 v1, v[6:7], off
	s_mov_b32 s49, -1
	s_mov_b32 s27, 0
	s_wait_loadcnt 0x0
	v_lshlrev_b32_e32 v1, 16, v1
	s_delay_alu instid0(VALU_DEP_1) | instskip(NEXT) | instid1(VALU_DEP_1)
	v_trunc_f32_e32 v1, v1
	v_mul_f32_e32 v3, 0x2f800000, v1
	s_delay_alu instid0(VALU_DEP_1) | instskip(NEXT) | instid1(VALU_DEP_1)
	v_floor_f32_e32 v3, v3
	v_fmamk_f32 v1, v3, 0xcf800000, v1
	s_wait_xcnt 0x1
	v_cvt_u32_f32_e32 v9, v3
	s_delay_alu instid0(VALU_DEP_2)
	v_cvt_u32_f32_e32 v8, v1
	s_branch .LBB364_939
.LBB364_929:
	s_mov_b32 s51, 0
	s_mov_b32 s0, s44
	;; [unrolled: 1-line block ×3, first 2 shown]
	s_branch .LBB364_1174
.LBB364_930:
	s_mov_b32 s48, -1
	s_mov_b32 s49, 0
	s_mov_b32 s27, s45
                                        ; implicit-def: $vgpr8_vgpr9
	s_branch .LBB364_1000
.LBB364_931:
	s_mov_b32 s50, -1
	s_mov_b32 s49, 0
	s_mov_b32 s27, s45
                                        ; implicit-def: $vgpr8_vgpr9
	s_branch .LBB364_966
.LBB364_932:
	s_mov_b32 s50, -1
	s_mov_b32 s49, 0
	s_mov_b32 s27, s45
                                        ; implicit-def: $vgpr8_vgpr9
	s_branch .LBB364_949
.LBB364_933:
	s_mov_b32 s50, -1
	s_mov_b32 s49, 0
	s_mov_b32 s27, s45
                                        ; implicit-def: $vgpr8_vgpr9
	s_branch .LBB364_944
.LBB364_934:
	s_mov_b32 s50, -1
	s_mov_b32 s49, 0
	s_mov_b32 s27, s45
	s_branch .LBB364_938
.LBB364_935:
	s_and_not1_saveexec_b32 s49, s49
	s_cbranch_execz .LBB364_702
.LBB364_936:
	v_add_f32_e32 v1, 0x42800000, v4
	s_and_not1_b32 s48, s48, exec_lo
	s_delay_alu instid0(VALU_DEP_1) | instskip(NEXT) | instid1(VALU_DEP_1)
	v_and_b32_e32 v1, 0xff, v1
	v_cmp_ne_u32_e32 vcc_lo, 0, v1
	s_and_b32 s50, vcc_lo, exec_lo
	s_delay_alu instid0(SALU_CYCLE_1)
	s_or_b32 s48, s48, s50
	s_or_b32 exec_lo, exec_lo, s49
	v_mov_b32_e32 v5, 0
	s_and_saveexec_b32 s49, s48
	s_cbranch_execnz .LBB364_703
	s_branch .LBB364_704
.LBB364_937:
	s_mov_b32 s27, -1
	s_mov_b32 s49, 0
.LBB364_938:
                                        ; implicit-def: $vgpr8_vgpr9
.LBB364_939:
	s_and_b32 vcc_lo, exec_lo, s50
	s_cbranch_vccz .LBB364_943
; %bb.940:
	s_cmp_eq_u32 s48, 44
	s_cbranch_scc0 .LBB364_942
; %bb.941:
	global_load_u8 v1, v[6:7], off
	s_mov_b32 s27, 0
	s_mov_b32 s49, -1
	s_wait_loadcnt 0x0
	v_cmp_ne_u32_e32 vcc_lo, 0, v1
	v_lshlrev_b32_e32 v3, 23, v1
	s_delay_alu instid0(VALU_DEP_1) | instskip(SKIP_1) | instid1(VALU_DEP_1)
	v_trunc_f32_e32 v3, v3
	s_wait_xcnt 0x1
	v_mul_f32_e32 v8, 0x2f800000, v3
	s_delay_alu instid0(VALU_DEP_1) | instskip(NEXT) | instid1(VALU_DEP_1)
	v_floor_f32_e32 v8, v8
	v_fmamk_f32 v3, v8, 0xcf800000, v3
	v_cvt_u32_f32_e32 v8, v8
	s_delay_alu instid0(VALU_DEP_2) | instskip(NEXT) | instid1(VALU_DEP_1)
	v_cvt_u32_f32_e32 v3, v3
	v_dual_cndmask_b32 v9, 0, v8 :: v_dual_cndmask_b32 v8, 0, v3
	s_branch .LBB364_943
.LBB364_942:
	s_mov_b32 s27, -1
                                        ; implicit-def: $vgpr8_vgpr9
.LBB364_943:
	s_mov_b32 s50, 0
.LBB364_944:
	s_delay_alu instid0(SALU_CYCLE_1)
	s_and_b32 vcc_lo, exec_lo, s50
	s_cbranch_vccz .LBB364_948
; %bb.945:
	s_cmp_eq_u32 s48, 29
	s_cbranch_scc0 .LBB364_947
; %bb.946:
	global_load_b64 v[8:9], v[6:7], off
	s_mov_b32 s49, -1
	s_mov_b32 s27, 0
	s_branch .LBB364_948
.LBB364_947:
	s_mov_b32 s27, -1
                                        ; implicit-def: $vgpr8_vgpr9
.LBB364_948:
	s_mov_b32 s50, 0
.LBB364_949:
	s_delay_alu instid0(SALU_CYCLE_1)
	s_and_b32 vcc_lo, exec_lo, s50
	s_cbranch_vccz .LBB364_965
; %bb.950:
	s_cmp_lt_i32 s48, 27
	s_cbranch_scc1 .LBB364_953
; %bb.951:
	s_cmp_gt_i32 s48, 27
	s_cbranch_scc0 .LBB364_954
; %bb.952:
	s_wait_loadcnt 0x0
	global_load_b32 v8, v[6:7], off
	v_mov_b32_e32 v9, 0
	s_mov_b32 s49, 0
	s_branch .LBB364_955
.LBB364_953:
	s_mov_b32 s49, -1
                                        ; implicit-def: $vgpr8_vgpr9
	s_branch .LBB364_958
.LBB364_954:
	s_mov_b32 s49, -1
                                        ; implicit-def: $vgpr8_vgpr9
.LBB364_955:
	s_delay_alu instid0(SALU_CYCLE_1)
	s_and_not1_b32 vcc_lo, exec_lo, s49
	s_cbranch_vccnz .LBB364_957
; %bb.956:
	global_load_u16 v1, v[6:7], off
	s_mov_b32 s49, 0
	s_wait_loadcnt 0x1
	s_wait_xcnt 0x1
	v_mov_b32_e32 v9, s49
	s_wait_loadcnt 0x0
	v_and_b32_e32 v8, 0xffff, v1
.LBB364_957:
	s_mov_b32 s49, 0
.LBB364_958:
	s_delay_alu instid0(SALU_CYCLE_1)
	s_and_not1_b32 vcc_lo, exec_lo, s49
	s_cbranch_vccnz .LBB364_964
; %bb.959:
	global_load_u8 v1, v[6:7], off
	s_mov_b32 s50, 0
	s_mov_b32 s49, exec_lo
	s_wait_loadcnt 0x0
	v_cmpx_lt_i16_e32 0x7f, v1
	s_xor_b32 s49, exec_lo, s49
	s_cbranch_execz .LBB364_976
; %bb.960:
	v_cmp_ne_u16_e32 vcc_lo, 0x80, v1
	s_and_b32 s50, vcc_lo, exec_lo
	s_and_not1_saveexec_b32 s49, s49
	s_cbranch_execnz .LBB364_977
.LBB364_961:
	s_or_b32 exec_lo, exec_lo, s49
	v_mov_b64_e32 v[8:9], 0
	s_and_saveexec_b32 s49, s50
	s_cbranch_execz .LBB364_963
.LBB364_962:
	v_and_b32_e32 v3, 0xffff, v1
	s_delay_alu instid0(VALU_DEP_1) | instskip(SKIP_1) | instid1(VALU_DEP_2)
	v_and_b32_e32 v8, 7, v3
	v_bfe_u32 v11, v3, 3, 4
	v_clz_i32_u32_e32 v9, v8
	s_delay_alu instid0(VALU_DEP_2) | instskip(NEXT) | instid1(VALU_DEP_2)
	v_cmp_eq_u32_e32 vcc_lo, 0, v11
	v_min_u32_e32 v9, 32, v9
	s_delay_alu instid0(VALU_DEP_1) | instskip(NEXT) | instid1(VALU_DEP_1)
	v_subrev_nc_u32_e32 v10, 28, v9
	v_dual_lshlrev_b32 v3, v10, v3 :: v_dual_sub_nc_u32 v9, 29, v9
	s_delay_alu instid0(VALU_DEP_1) | instskip(NEXT) | instid1(VALU_DEP_1)
	v_dual_lshlrev_b32 v1, 24, v1 :: v_dual_bitop2_b32 v3, 7, v3 bitop3:0x40
	v_dual_cndmask_b32 v3, v8, v3, vcc_lo :: v_dual_cndmask_b32 v9, v11, v9, vcc_lo
	s_delay_alu instid0(VALU_DEP_2) | instskip(NEXT) | instid1(VALU_DEP_2)
	v_and_b32_e32 v1, 0x80000000, v1
	v_lshlrev_b32_e32 v3, 20, v3
	s_delay_alu instid0(VALU_DEP_3) | instskip(NEXT) | instid1(VALU_DEP_1)
	v_lshl_add_u32 v8, v9, 23, 0x3b800000
	v_or3_b32 v1, v1, v8, v3
	s_delay_alu instid0(VALU_DEP_1) | instskip(NEXT) | instid1(VALU_DEP_1)
	v_trunc_f32_e32 v1, v1
	v_mul_f32_e32 v3, 0x2f800000, v1
	s_delay_alu instid0(VALU_DEP_1) | instskip(NEXT) | instid1(VALU_DEP_1)
	v_floor_f32_e32 v3, v3
	v_fmamk_f32 v1, v3, 0xcf800000, v1
	v_cvt_u32_f32_e32 v9, v3
	s_delay_alu instid0(VALU_DEP_2)
	v_cvt_u32_f32_e32 v8, v1
.LBB364_963:
	s_or_b32 exec_lo, exec_lo, s49
.LBB364_964:
	s_mov_b32 s49, -1
.LBB364_965:
	s_mov_b32 s50, 0
.LBB364_966:
	s_delay_alu instid0(SALU_CYCLE_1)
	s_and_b32 vcc_lo, exec_lo, s50
	s_cbranch_vccz .LBB364_999
; %bb.967:
	s_cmp_gt_i32 s48, 22
	s_cbranch_scc0 .LBB364_975
; %bb.968:
	s_cmp_lt_i32 s48, 24
	s_cbranch_scc1 .LBB364_978
; %bb.969:
	s_cmp_gt_i32 s48, 24
	s_cbranch_scc0 .LBB364_979
; %bb.970:
	global_load_u8 v1, v[6:7], off
	s_mov_b32 s50, 0
	s_mov_b32 s49, exec_lo
	s_wait_loadcnt 0x0
	v_cmpx_lt_i16_e32 0x7f, v1
	s_xor_b32 s49, exec_lo, s49
	s_cbranch_execz .LBB364_991
; %bb.971:
	v_cmp_ne_u16_e32 vcc_lo, 0x80, v1
	s_and_b32 s50, vcc_lo, exec_lo
	s_and_not1_saveexec_b32 s49, s49
	s_cbranch_execnz .LBB364_992
.LBB364_972:
	s_or_b32 exec_lo, exec_lo, s49
	v_mov_b64_e32 v[8:9], 0
	s_and_saveexec_b32 s49, s50
	s_cbranch_execz .LBB364_974
.LBB364_973:
	v_and_b32_e32 v3, 0xffff, v1
	s_delay_alu instid0(VALU_DEP_1) | instskip(SKIP_1) | instid1(VALU_DEP_2)
	v_and_b32_e32 v8, 3, v3
	v_bfe_u32 v11, v3, 2, 5
	v_clz_i32_u32_e32 v9, v8
	s_delay_alu instid0(VALU_DEP_2) | instskip(NEXT) | instid1(VALU_DEP_2)
	v_cmp_eq_u32_e32 vcc_lo, 0, v11
	v_min_u32_e32 v9, 32, v9
	s_delay_alu instid0(VALU_DEP_1) | instskip(NEXT) | instid1(VALU_DEP_1)
	v_subrev_nc_u32_e32 v10, 29, v9
	v_dual_lshlrev_b32 v3, v10, v3 :: v_dual_sub_nc_u32 v9, 30, v9
	s_delay_alu instid0(VALU_DEP_1) | instskip(NEXT) | instid1(VALU_DEP_1)
	v_dual_lshlrev_b32 v1, 24, v1 :: v_dual_bitop2_b32 v3, 3, v3 bitop3:0x40
	v_dual_cndmask_b32 v3, v8, v3, vcc_lo :: v_dual_cndmask_b32 v9, v11, v9, vcc_lo
	s_delay_alu instid0(VALU_DEP_2) | instskip(NEXT) | instid1(VALU_DEP_2)
	v_and_b32_e32 v1, 0x80000000, v1
	v_lshlrev_b32_e32 v3, 21, v3
	s_delay_alu instid0(VALU_DEP_3) | instskip(NEXT) | instid1(VALU_DEP_1)
	v_lshl_add_u32 v8, v9, 23, 0x37800000
	v_or3_b32 v1, v1, v8, v3
	s_delay_alu instid0(VALU_DEP_1) | instskip(NEXT) | instid1(VALU_DEP_1)
	v_trunc_f32_e32 v1, v1
	v_mul_f32_e32 v3, 0x2f800000, v1
	s_delay_alu instid0(VALU_DEP_1) | instskip(NEXT) | instid1(VALU_DEP_1)
	v_floor_f32_e32 v3, v3
	v_fmamk_f32 v1, v3, 0xcf800000, v1
	v_cvt_u32_f32_e32 v9, v3
	s_delay_alu instid0(VALU_DEP_2)
	v_cvt_u32_f32_e32 v8, v1
.LBB364_974:
	s_or_b32 exec_lo, exec_lo, s49
	s_mov_b32 s49, 0
	s_branch .LBB364_980
.LBB364_975:
	s_mov_b32 s50, -1
                                        ; implicit-def: $vgpr8_vgpr9
	s_branch .LBB364_986
.LBB364_976:
	s_and_not1_saveexec_b32 s49, s49
	s_cbranch_execz .LBB364_961
.LBB364_977:
	v_cmp_ne_u16_e32 vcc_lo, 0, v1
	s_and_not1_b32 s50, s50, exec_lo
	s_and_b32 s51, vcc_lo, exec_lo
	s_delay_alu instid0(SALU_CYCLE_1)
	s_or_b32 s50, s50, s51
	s_or_b32 exec_lo, exec_lo, s49
	v_mov_b64_e32 v[8:9], 0
	s_and_saveexec_b32 s49, s50
	s_cbranch_execnz .LBB364_962
	s_branch .LBB364_963
.LBB364_978:
	s_mov_b32 s49, -1
                                        ; implicit-def: $vgpr8_vgpr9
	s_branch .LBB364_983
.LBB364_979:
	s_mov_b32 s49, -1
                                        ; implicit-def: $vgpr8_vgpr9
.LBB364_980:
	s_delay_alu instid0(SALU_CYCLE_1)
	s_and_b32 vcc_lo, exec_lo, s49
	s_cbranch_vccz .LBB364_982
; %bb.981:
	global_load_u8 v1, v[6:7], off
	s_wait_loadcnt 0x0
	v_lshlrev_b32_e32 v1, 24, v1
	s_delay_alu instid0(VALU_DEP_1) | instskip(SKIP_1) | instid1(VALU_DEP_1)
	v_and_b32_e32 v3, 0x7f000000, v1
	s_wait_xcnt 0x1
	v_clz_i32_u32_e32 v8, v3
	v_cmp_ne_u32_e32 vcc_lo, 0, v3
	v_add_nc_u32_e32 v10, 0x1000000, v3
	s_delay_alu instid0(VALU_DEP_3) | instskip(NEXT) | instid1(VALU_DEP_1)
	v_min_u32_e32 v8, 32, v8
	v_sub_nc_u32_e64 v8, v8, 4 clamp
	s_delay_alu instid0(VALU_DEP_1) | instskip(NEXT) | instid1(VALU_DEP_1)
	v_dual_lshlrev_b32 v9, v8, v3 :: v_dual_lshlrev_b32 v8, 23, v8
	v_lshrrev_b32_e32 v9, 4, v9
	s_delay_alu instid0(VALU_DEP_1) | instskip(NEXT) | instid1(VALU_DEP_1)
	v_dual_sub_nc_u32 v8, v9, v8 :: v_dual_ashrrev_i32 v9, 8, v10
	v_add_nc_u32_e32 v8, 0x3c000000, v8
	s_delay_alu instid0(VALU_DEP_1) | instskip(NEXT) | instid1(VALU_DEP_1)
	v_and_or_b32 v8, 0x7f800000, v9, v8
	v_cndmask_b32_e32 v3, 0, v8, vcc_lo
	s_delay_alu instid0(VALU_DEP_1) | instskip(NEXT) | instid1(VALU_DEP_1)
	v_and_or_b32 v1, 0x80000000, v1, v3
	v_trunc_f32_e32 v1, v1
	s_delay_alu instid0(VALU_DEP_1) | instskip(NEXT) | instid1(VALU_DEP_1)
	v_mul_f32_e32 v3, 0x2f800000, v1
	v_floor_f32_e32 v3, v3
	s_delay_alu instid0(VALU_DEP_1) | instskip(SKIP_1) | instid1(VALU_DEP_2)
	v_fmamk_f32 v1, v3, 0xcf800000, v1
	v_cvt_u32_f32_e32 v9, v3
	v_cvt_u32_f32_e32 v8, v1
.LBB364_982:
	s_mov_b32 s49, 0
.LBB364_983:
	s_delay_alu instid0(SALU_CYCLE_1)
	s_and_not1_b32 vcc_lo, exec_lo, s49
	s_cbranch_vccnz .LBB364_985
; %bb.984:
	global_load_u8 v1, v[6:7], off
	s_wait_loadcnt 0x0
	v_lshlrev_b32_e32 v3, 25, v1
	v_lshlrev_b16 v1, 8, v1
	s_wait_xcnt 0x1
	s_delay_alu instid0(VALU_DEP_1) | instskip(NEXT) | instid1(VALU_DEP_3)
	v_and_or_b32 v9, 0x7f00, v1, 0.5
	v_lshrrev_b32_e32 v8, 4, v3
	v_bfe_i32 v1, v1, 0, 16
	s_delay_alu instid0(VALU_DEP_3) | instskip(NEXT) | instid1(VALU_DEP_3)
	v_add_f32_e32 v9, -0.5, v9
	v_or_b32_e32 v8, 0x70000000, v8
	s_delay_alu instid0(VALU_DEP_1) | instskip(SKIP_1) | instid1(VALU_DEP_2)
	v_mul_f32_e32 v8, 0x7800000, v8
	v_cmp_gt_u32_e32 vcc_lo, 0x8000000, v3
	v_cndmask_b32_e32 v3, v8, v9, vcc_lo
	s_delay_alu instid0(VALU_DEP_1) | instskip(NEXT) | instid1(VALU_DEP_1)
	v_and_or_b32 v1, 0x80000000, v1, v3
	v_trunc_f32_e32 v1, v1
	s_delay_alu instid0(VALU_DEP_1) | instskip(NEXT) | instid1(VALU_DEP_1)
	v_mul_f32_e32 v3, 0x2f800000, v1
	v_floor_f32_e32 v3, v3
	s_delay_alu instid0(VALU_DEP_1) | instskip(SKIP_1) | instid1(VALU_DEP_2)
	v_fmamk_f32 v1, v3, 0xcf800000, v1
	v_cvt_u32_f32_e32 v9, v3
	v_cvt_u32_f32_e32 v8, v1
.LBB364_985:
	s_mov_b32 s50, 0
	s_mov_b32 s49, -1
.LBB364_986:
	s_and_not1_b32 vcc_lo, exec_lo, s50
	s_cbranch_vccnz .LBB364_999
; %bb.987:
	s_cmp_gt_i32 s48, 14
	s_cbranch_scc0 .LBB364_990
; %bb.988:
	s_cmp_eq_u32 s48, 15
	s_cbranch_scc0 .LBB364_993
; %bb.989:
	global_load_u16 v1, v[6:7], off
	s_mov_b32 s49, -1
	s_mov_b32 s27, 0
	s_wait_loadcnt 0x0
	v_lshlrev_b32_e32 v1, 16, v1
	s_delay_alu instid0(VALU_DEP_1) | instskip(NEXT) | instid1(VALU_DEP_1)
	v_trunc_f32_e32 v1, v1
	v_mul_f32_e32 v3, 0x2f800000, v1
	s_delay_alu instid0(VALU_DEP_1) | instskip(NEXT) | instid1(VALU_DEP_1)
	v_floor_f32_e32 v3, v3
	v_fmamk_f32 v1, v3, 0xcf800000, v1
	s_wait_xcnt 0x1
	v_cvt_u32_f32_e32 v9, v3
	s_delay_alu instid0(VALU_DEP_2)
	v_cvt_u32_f32_e32 v8, v1
	s_branch .LBB364_994
.LBB364_990:
	s_mov_b32 s50, -1
                                        ; implicit-def: $vgpr8_vgpr9
	s_branch .LBB364_995
.LBB364_991:
	s_and_not1_saveexec_b32 s49, s49
	s_cbranch_execz .LBB364_972
.LBB364_992:
	v_cmp_ne_u16_e32 vcc_lo, 0, v1
	s_and_not1_b32 s50, s50, exec_lo
	s_and_b32 s51, vcc_lo, exec_lo
	s_delay_alu instid0(SALU_CYCLE_1)
	s_or_b32 s50, s50, s51
	s_or_b32 exec_lo, exec_lo, s49
	v_mov_b64_e32 v[8:9], 0
	s_and_saveexec_b32 s49, s50
	s_cbranch_execnz .LBB364_973
	s_branch .LBB364_974
.LBB364_993:
	s_mov_b32 s27, -1
                                        ; implicit-def: $vgpr8_vgpr9
.LBB364_994:
	s_mov_b32 s50, 0
.LBB364_995:
	s_delay_alu instid0(SALU_CYCLE_1)
	s_and_b32 vcc_lo, exec_lo, s50
	s_cbranch_vccz .LBB364_999
; %bb.996:
	s_cmp_eq_u32 s48, 11
	s_cbranch_scc0 .LBB364_998
; %bb.997:
	global_load_u8 v1, v[6:7], off
	s_mov_b32 s27, 0
	s_mov_b32 s49, -1
	s_wait_loadcnt 0x1
	s_wait_xcnt 0x1
	v_mov_b32_e32 v9, s27
	s_wait_loadcnt 0x0
	v_cmp_ne_u16_e32 vcc_lo, 0, v1
	v_cndmask_b32_e64 v8, 0, 1, vcc_lo
	s_branch .LBB364_999
.LBB364_998:
	s_mov_b32 s27, -1
                                        ; implicit-def: $vgpr8_vgpr9
.LBB364_999:
	s_mov_b32 s48, 0
.LBB364_1000:
	s_delay_alu instid0(SALU_CYCLE_1)
	s_and_b32 vcc_lo, exec_lo, s48
	s_cbranch_vccz .LBB364_1049
; %bb.1001:
	s_and_b32 s0, 0xffff, s0
	s_delay_alu instid0(SALU_CYCLE_1)
	s_cmp_lt_i32 s0, 5
	s_cbranch_scc1 .LBB364_1006
; %bb.1002:
	s_cmp_lt_i32 s0, 8
	s_cbranch_scc1 .LBB364_1007
; %bb.1003:
	;; [unrolled: 3-line block ×3, first 2 shown]
	s_cmp_gt_i32 s0, 9
	s_cbranch_scc0 .LBB364_1009
; %bb.1005:
	s_wait_loadcnt 0x0
	global_load_b64 v[8:9], v[6:7], off
	s_mov_b32 s48, 0
	s_wait_loadcnt 0x0
	v_trunc_f64_e32 v[8:9], v[8:9]
	s_delay_alu instid0(VALU_DEP_1) | instskip(NEXT) | instid1(VALU_DEP_1)
	v_ldexp_f64 v[10:11], v[8:9], 0xffffffe0
	v_floor_f64_e32 v[10:11], v[10:11]
	s_delay_alu instid0(VALU_DEP_1) | instskip(SKIP_1) | instid1(VALU_DEP_2)
	v_fmamk_f64 v[12:13], v[10:11], 0xc1f00000, v[8:9]
	v_cvt_u32_f64_e32 v9, v[10:11]
	v_cvt_u32_f64_e32 v8, v[12:13]
	s_branch .LBB364_1010
.LBB364_1006:
	s_mov_b32 s48, -1
                                        ; implicit-def: $vgpr8_vgpr9
	s_branch .LBB364_1028
.LBB364_1007:
	s_mov_b32 s48, -1
                                        ; implicit-def: $vgpr8_vgpr9
	s_branch .LBB364_1016
.LBB364_1008:
	s_mov_b32 s48, -1
                                        ; implicit-def: $vgpr8_vgpr9
	s_branch .LBB364_1013
.LBB364_1009:
	s_mov_b32 s48, -1
                                        ; implicit-def: $vgpr8_vgpr9
.LBB364_1010:
	s_delay_alu instid0(SALU_CYCLE_1)
	s_and_not1_b32 vcc_lo, exec_lo, s48
	s_cbranch_vccnz .LBB364_1012
; %bb.1011:
	global_load_b32 v1, v[6:7], off
	s_wait_loadcnt 0x0
	v_trunc_f32_e32 v1, v1
	s_delay_alu instid0(VALU_DEP_1) | instskip(NEXT) | instid1(VALU_DEP_1)
	v_mul_f32_e32 v3, 0x2f800000, v1
	v_floor_f32_e32 v3, v3
	s_delay_alu instid0(VALU_DEP_1) | instskip(SKIP_2) | instid1(VALU_DEP_2)
	v_fmamk_f32 v1, v3, 0xcf800000, v1
	s_wait_xcnt 0x1
	v_cvt_u32_f32_e32 v9, v3
	v_cvt_u32_f32_e32 v8, v1
.LBB364_1012:
	s_mov_b32 s48, 0
.LBB364_1013:
	s_delay_alu instid0(SALU_CYCLE_1)
	s_and_not1_b32 vcc_lo, exec_lo, s48
	s_cbranch_vccnz .LBB364_1015
; %bb.1014:
	global_load_b32 v1, v[6:7], off
	s_wait_loadcnt 0x1
	s_wait_xcnt 0x1
	v_mov_b32_e32 v9, 0
	s_wait_loadcnt 0x0
	v_cvt_f32_f16_e32 v1, v1
	s_delay_alu instid0(VALU_DEP_1)
	v_cvt_u32_f32_e32 v8, v1
.LBB364_1015:
	s_mov_b32 s48, 0
.LBB364_1016:
	s_delay_alu instid0(SALU_CYCLE_1)
	s_and_not1_b32 vcc_lo, exec_lo, s48
	s_cbranch_vccnz .LBB364_1027
; %bb.1017:
	s_cmp_lt_i32 s0, 6
	s_cbranch_scc1 .LBB364_1020
; %bb.1018:
	s_cmp_gt_i32 s0, 6
	s_cbranch_scc0 .LBB364_1021
; %bb.1019:
	s_wait_loadcnt 0x0
	global_load_b64 v[8:9], v[6:7], off
	s_mov_b32 s48, 0
	s_wait_loadcnt 0x0
	v_trunc_f64_e32 v[8:9], v[8:9]
	s_delay_alu instid0(VALU_DEP_1) | instskip(NEXT) | instid1(VALU_DEP_1)
	v_ldexp_f64 v[10:11], v[8:9], 0xffffffe0
	v_floor_f64_e32 v[10:11], v[10:11]
	s_delay_alu instid0(VALU_DEP_1) | instskip(SKIP_1) | instid1(VALU_DEP_2)
	v_fmamk_f64 v[12:13], v[10:11], 0xc1f00000, v[8:9]
	v_cvt_u32_f64_e32 v9, v[10:11]
	v_cvt_u32_f64_e32 v8, v[12:13]
	s_branch .LBB364_1022
.LBB364_1020:
	s_mov_b32 s48, -1
                                        ; implicit-def: $vgpr8_vgpr9
	s_branch .LBB364_1025
.LBB364_1021:
	s_mov_b32 s48, -1
                                        ; implicit-def: $vgpr8_vgpr9
.LBB364_1022:
	s_delay_alu instid0(SALU_CYCLE_1)
	s_and_not1_b32 vcc_lo, exec_lo, s48
	s_cbranch_vccnz .LBB364_1024
; %bb.1023:
	global_load_b32 v1, v[6:7], off
	s_wait_loadcnt 0x0
	v_trunc_f32_e32 v1, v1
	s_delay_alu instid0(VALU_DEP_1) | instskip(NEXT) | instid1(VALU_DEP_1)
	v_mul_f32_e32 v3, 0x2f800000, v1
	v_floor_f32_e32 v3, v3
	s_delay_alu instid0(VALU_DEP_1) | instskip(SKIP_2) | instid1(VALU_DEP_2)
	v_fmamk_f32 v1, v3, 0xcf800000, v1
	s_wait_xcnt 0x1
	v_cvt_u32_f32_e32 v9, v3
	v_cvt_u32_f32_e32 v8, v1
.LBB364_1024:
	s_mov_b32 s48, 0
.LBB364_1025:
	s_delay_alu instid0(SALU_CYCLE_1)
	s_and_not1_b32 vcc_lo, exec_lo, s48
	s_cbranch_vccnz .LBB364_1027
; %bb.1026:
	global_load_u16 v1, v[6:7], off
	s_wait_loadcnt 0x1
	s_wait_xcnt 0x1
	v_mov_b32_e32 v9, 0
	s_wait_loadcnt 0x0
	v_cvt_f32_f16_e32 v1, v1
	s_delay_alu instid0(VALU_DEP_1)
	v_cvt_u32_f32_e32 v8, v1
.LBB364_1027:
	s_mov_b32 s48, 0
.LBB364_1028:
	s_delay_alu instid0(SALU_CYCLE_1)
	s_and_not1_b32 vcc_lo, exec_lo, s48
	s_cbranch_vccnz .LBB364_1048
; %bb.1029:
	s_cmp_lt_i32 s0, 2
	s_cbranch_scc1 .LBB364_1033
; %bb.1030:
	s_cmp_lt_i32 s0, 3
	s_cbranch_scc1 .LBB364_1034
; %bb.1031:
	s_cmp_gt_i32 s0, 3
	s_cbranch_scc0 .LBB364_1035
; %bb.1032:
	s_wait_loadcnt 0x0
	global_load_b64 v[8:9], v[6:7], off
	s_mov_b32 s48, 0
	s_branch .LBB364_1036
.LBB364_1033:
	s_mov_b32 s48, -1
                                        ; implicit-def: $vgpr8_vgpr9
	s_branch .LBB364_1042
.LBB364_1034:
	s_mov_b32 s48, -1
                                        ; implicit-def: $vgpr8_vgpr9
	s_branch .LBB364_1039
.LBB364_1035:
	s_mov_b32 s48, -1
                                        ; implicit-def: $vgpr8_vgpr9
.LBB364_1036:
	s_delay_alu instid0(SALU_CYCLE_1)
	s_and_not1_b32 vcc_lo, exec_lo, s48
	s_cbranch_vccnz .LBB364_1038
; %bb.1037:
	s_wait_loadcnt 0x0
	global_load_b32 v8, v[6:7], off
	s_wait_loadcnt 0x0
	v_ashrrev_i32_e32 v9, 31, v8
.LBB364_1038:
	s_mov_b32 s48, 0
.LBB364_1039:
	s_delay_alu instid0(SALU_CYCLE_1)
	s_and_not1_b32 vcc_lo, exec_lo, s48
	s_cbranch_vccnz .LBB364_1041
; %bb.1040:
	global_load_u16 v1, v[6:7], off
	s_wait_loadcnt 0x0
	s_wait_xcnt 0x1
	v_bfe_i32 v8, v1, 0, 16
	s_delay_alu instid0(VALU_DEP_1)
	v_ashrrev_i32_e32 v9, 31, v8
.LBB364_1041:
	s_mov_b32 s48, 0
.LBB364_1042:
	s_delay_alu instid0(SALU_CYCLE_1)
	s_and_not1_b32 vcc_lo, exec_lo, s48
	s_cbranch_vccnz .LBB364_1048
; %bb.1043:
	s_cmp_gt_i32 s0, 0
	s_mov_b32 s0, 0
	s_cbranch_scc0 .LBB364_1045
; %bb.1044:
	global_load_i8 v1, v[6:7], off
	s_wait_loadcnt 0x0
	s_wait_xcnt 0x1
	v_bfe_i32 v8, v1, 0, 16
	s_delay_alu instid0(VALU_DEP_1)
	v_ashrrev_i32_e32 v9, 31, v8
	s_branch .LBB364_1046
.LBB364_1045:
	s_mov_b32 s0, -1
                                        ; implicit-def: $vgpr8_vgpr9
.LBB364_1046:
	s_delay_alu instid0(SALU_CYCLE_1)
	s_and_not1_b32 vcc_lo, exec_lo, s0
	s_cbranch_vccnz .LBB364_1048
; %bb.1047:
	global_load_u8 v1, v[6:7], off
	s_mov_b32 s0, 0
	s_wait_loadcnt 0x1
	s_wait_xcnt 0x1
	v_mov_b32_e32 v9, s0
	s_wait_loadcnt 0x0
	v_and_b32_e32 v8, 0xffff, v1
.LBB364_1048:
	s_mov_b32 s49, -1
.LBB364_1049:
	s_delay_alu instid0(SALU_CYCLE_1)
	s_and_not1_b32 vcc_lo, exec_lo, s49
	s_cbranch_vccnz .LBB364_1057
; %bb.1050:
	v_mov_b32_e32 v3, 0
	s_wait_loadcnt 0x0
	s_delay_alu instid0(VALU_DEP_2) | instskip(SKIP_1) | instid1(VALU_DEP_2)
	v_cmp_ne_u64_e32 vcc_lo, v[4:5], v[8:9]
	s_and_b32 s49, s11, 0xff
	v_add_nc_u64_e32 v[2:3], s[4:5], v[2:3]
	s_xor_b32 s48, s10, vcc_lo
	s_cmp_lt_i32 s49, 11
	s_cbranch_scc1 .LBB364_1058
; %bb.1051:
	s_and_b32 s50, 0xffff, s49
	s_delay_alu instid0(SALU_CYCLE_1)
	s_cmp_gt_i32 s50, 25
	s_cbranch_scc0 .LBB364_1059
; %bb.1052:
	s_cmp_gt_i32 s50, 28
	s_cbranch_scc0 .LBB364_1060
; %bb.1053:
	;; [unrolled: 3-line block ×4, first 2 shown]
	s_mov_b32 s52, 0
	s_mov_b32 s0, -1
	s_cmp_eq_u32 s50, 46
	s_mov_b32 s51, 0
	s_cbranch_scc0 .LBB364_1063
; %bb.1056:
	v_cndmask_b32_e64 v1, 0, 1.0, s48
	s_mov_b32 s51, -1
	s_mov_b32 s0, 0
	s_delay_alu instid0(VALU_DEP_1) | instskip(NEXT) | instid1(VALU_DEP_1)
	v_bfe_u32 v4, v1, 16, 1
	v_add3_u32 v1, v1, v4, 0x7fff
	s_delay_alu instid0(VALU_DEP_1)
	v_lshrrev_b32_e32 v1, 16, v1
	global_store_b32 v[2:3], v1, off
	s_branch .LBB364_1063
.LBB364_1057:
	s_mov_b32 s51, 0
	s_mov_b32 s0, s44
	s_branch .LBB364_1174
.LBB364_1058:
	s_mov_b32 s50, -1
	s_mov_b32 s51, 0
	s_mov_b32 s0, s44
	s_branch .LBB364_1132
.LBB364_1059:
	s_mov_b32 s52, -1
	s_mov_b32 s51, 0
	s_mov_b32 s0, s44
	s_branch .LBB364_1090
.LBB364_1060:
	s_mov_b32 s52, -1
	s_mov_b32 s51, 0
	s_mov_b32 s0, s44
	s_branch .LBB364_1073
.LBB364_1061:
	s_mov_b32 s52, -1
	s_mov_b32 s51, 0
	s_mov_b32 s0, s44
	s_branch .LBB364_1069
.LBB364_1062:
	s_mov_b32 s52, -1
	s_mov_b32 s51, 0
	s_mov_b32 s0, s44
.LBB364_1063:
	s_and_b32 vcc_lo, exec_lo, s52
	s_cbranch_vccz .LBB364_1068
; %bb.1064:
	s_cmp_eq_u32 s50, 44
	s_mov_b32 s0, -1
	s_cbranch_scc0 .LBB364_1068
; %bb.1065:
	v_cndmask_b32_e64 v5, 0, 1.0, s48
	s_mov_b32 s51, exec_lo
	s_wait_xcnt 0x0
	s_delay_alu instid0(VALU_DEP_1) | instskip(NEXT) | instid1(VALU_DEP_1)
	v_dual_mov_b32 v4, 0xff :: v_dual_lshrrev_b32 v1, 23, v5
	v_cmpx_ne_u32_e32 0xff, v1
; %bb.1066:
	v_and_b32_e32 v4, 0x400000, v5
	v_and_or_b32 v5, 0x3fffff, v5, v1
	s_delay_alu instid0(VALU_DEP_2) | instskip(NEXT) | instid1(VALU_DEP_2)
	v_cmp_ne_u32_e32 vcc_lo, 0, v4
	v_cmp_ne_u32_e64 s0, 0, v5
	s_and_b32 s0, vcc_lo, s0
	s_delay_alu instid0(SALU_CYCLE_1) | instskip(NEXT) | instid1(VALU_DEP_1)
	v_cndmask_b32_e64 v4, 0, 1, s0
	v_add_nc_u32_e32 v4, v1, v4
; %bb.1067:
	s_or_b32 exec_lo, exec_lo, s51
	s_mov_b32 s51, -1
	s_mov_b32 s0, 0
	global_store_b8 v[2:3], v4, off
.LBB364_1068:
	s_mov_b32 s52, 0
.LBB364_1069:
	s_delay_alu instid0(SALU_CYCLE_1)
	s_and_b32 vcc_lo, exec_lo, s52
	s_cbranch_vccz .LBB364_1072
; %bb.1070:
	s_cmp_eq_u32 s50, 29
	s_mov_b32 s0, -1
	s_cbranch_scc0 .LBB364_1072
; %bb.1071:
	s_mov_b32 s0, 0
	s_wait_xcnt 0x0
	v_cndmask_b32_e64 v4, 0, 1, s48
	v_mov_b32_e32 v5, s0
	s_mov_b32 s51, -1
	s_mov_b32 s52, 0
	global_store_b64 v[2:3], v[4:5], off
	s_branch .LBB364_1073
.LBB364_1072:
	s_mov_b32 s52, 0
.LBB364_1073:
	s_delay_alu instid0(SALU_CYCLE_1)
	s_and_b32 vcc_lo, exec_lo, s52
	s_cbranch_vccz .LBB364_1089
; %bb.1074:
	s_cmp_lt_i32 s50, 27
	s_mov_b32 s51, -1
	s_cbranch_scc1 .LBB364_1080
; %bb.1075:
	s_cmp_gt_i32 s50, 27
	s_cbranch_scc0 .LBB364_1077
; %bb.1076:
	s_wait_xcnt 0x0
	v_cndmask_b32_e64 v1, 0, 1, s48
	s_mov_b32 s51, 0
	global_store_b32 v[2:3], v1, off
.LBB364_1077:
	s_and_not1_b32 vcc_lo, exec_lo, s51
	s_cbranch_vccnz .LBB364_1079
; %bb.1078:
	s_wait_xcnt 0x0
	v_cndmask_b32_e64 v1, 0, 1, s48
	global_store_b16 v[2:3], v1, off
.LBB364_1079:
	s_mov_b32 s51, 0
.LBB364_1080:
	s_delay_alu instid0(SALU_CYCLE_1)
	s_and_not1_b32 vcc_lo, exec_lo, s51
	s_cbranch_vccnz .LBB364_1088
; %bb.1081:
	s_wait_xcnt 0x0
	v_cndmask_b32_e64 v4, 0, 1.0, s48
	v_mov_b32_e32 v5, 0x80
	s_mov_b32 s51, exec_lo
	s_delay_alu instid0(VALU_DEP_2)
	v_cmpx_gt_u32_e32 0x43800000, v4
	s_cbranch_execz .LBB364_1087
; %bb.1082:
	s_mov_b32 s52, 0
	s_mov_b32 s53, exec_lo
                                        ; implicit-def: $vgpr1
	v_cmpx_lt_u32_e32 0x3bffffff, v4
	s_xor_b32 s53, exec_lo, s53
	s_cbranch_execz .LBB364_1202
; %bb.1083:
	v_bfe_u32 v1, v4, 20, 1
	s_mov_b32 s52, exec_lo
	s_delay_alu instid0(VALU_DEP_1) | instskip(NEXT) | instid1(VALU_DEP_1)
	v_add3_u32 v1, v4, v1, 0x487ffff
                                        ; implicit-def: $vgpr4
	v_lshrrev_b32_e32 v1, 20, v1
	s_and_not1_saveexec_b32 s53, s53
	s_cbranch_execnz .LBB364_1203
.LBB364_1084:
	s_or_b32 exec_lo, exec_lo, s53
	v_mov_b32_e32 v5, 0
	s_and_saveexec_b32 s53, s52
.LBB364_1085:
	v_mov_b32_e32 v5, v1
.LBB364_1086:
	s_or_b32 exec_lo, exec_lo, s53
.LBB364_1087:
	s_delay_alu instid0(SALU_CYCLE_1)
	s_or_b32 exec_lo, exec_lo, s51
	global_store_b8 v[2:3], v5, off
.LBB364_1088:
	s_mov_b32 s51, -1
.LBB364_1089:
	s_mov_b32 s52, 0
.LBB364_1090:
	s_delay_alu instid0(SALU_CYCLE_1)
	s_and_b32 vcc_lo, exec_lo, s52
	s_cbranch_vccz .LBB364_1131
; %bb.1091:
	s_cmp_gt_i32 s50, 22
	s_mov_b32 s52, -1
	s_cbranch_scc0 .LBB364_1123
; %bb.1092:
	s_cmp_lt_i32 s50, 24
	s_mov_b32 s51, -1
	s_cbranch_scc1 .LBB364_1112
; %bb.1093:
	s_cmp_gt_i32 s50, 24
	s_cbranch_scc0 .LBB364_1101
; %bb.1094:
	s_wait_xcnt 0x0
	v_cndmask_b32_e64 v4, 0, 1.0, s48
	v_mov_b32_e32 v5, 0x80
	s_mov_b32 s51, exec_lo
	s_delay_alu instid0(VALU_DEP_2)
	v_cmpx_gt_u32_e32 0x47800000, v4
	s_cbranch_execz .LBB364_1100
; %bb.1095:
	s_mov_b32 s52, 0
	s_mov_b32 s53, exec_lo
                                        ; implicit-def: $vgpr1
	v_cmpx_lt_u32_e32 0x37ffffff, v4
	s_xor_b32 s53, exec_lo, s53
	s_cbranch_execz .LBB364_2245
; %bb.1096:
	v_bfe_u32 v1, v4, 21, 1
	s_mov_b32 s52, exec_lo
	s_delay_alu instid0(VALU_DEP_1) | instskip(NEXT) | instid1(VALU_DEP_1)
	v_add3_u32 v1, v4, v1, 0x88fffff
                                        ; implicit-def: $vgpr4
	v_lshrrev_b32_e32 v1, 21, v1
	s_and_not1_saveexec_b32 s53, s53
	s_cbranch_execnz .LBB364_2246
.LBB364_1097:
	s_or_b32 exec_lo, exec_lo, s53
	v_mov_b32_e32 v5, 0
	s_and_saveexec_b32 s53, s52
.LBB364_1098:
	v_mov_b32_e32 v5, v1
.LBB364_1099:
	s_or_b32 exec_lo, exec_lo, s53
.LBB364_1100:
	s_delay_alu instid0(SALU_CYCLE_1)
	s_or_b32 exec_lo, exec_lo, s51
	s_mov_b32 s51, 0
	global_store_b8 v[2:3], v5, off
.LBB364_1101:
	s_and_b32 vcc_lo, exec_lo, s51
	s_cbranch_vccz .LBB364_1111
; %bb.1102:
	s_wait_xcnt 0x0
	v_cndmask_b32_e64 v4, 0, 1.0, s48
	s_mov_b32 s51, exec_lo
                                        ; implicit-def: $vgpr1
	s_delay_alu instid0(VALU_DEP_1)
	v_cmpx_gt_u32_e32 0x43f00000, v4
	s_xor_b32 s51, exec_lo, s51
	s_cbranch_execz .LBB364_1108
; %bb.1103:
	s_mov_b32 s52, exec_lo
                                        ; implicit-def: $vgpr1
	v_cmpx_lt_u32_e32 0x3c7fffff, v4
	s_xor_b32 s52, exec_lo, s52
; %bb.1104:
	v_bfe_u32 v1, v4, 20, 1
	s_delay_alu instid0(VALU_DEP_1) | instskip(NEXT) | instid1(VALU_DEP_1)
	v_add3_u32 v1, v4, v1, 0x407ffff
	v_and_b32_e32 v4, 0xff00000, v1
	v_lshrrev_b32_e32 v1, 20, v1
	s_delay_alu instid0(VALU_DEP_2) | instskip(NEXT) | instid1(VALU_DEP_2)
	v_cmp_ne_u32_e32 vcc_lo, 0x7f00000, v4
                                        ; implicit-def: $vgpr4
	v_cndmask_b32_e32 v1, 0x7e, v1, vcc_lo
; %bb.1105:
	s_and_not1_saveexec_b32 s52, s52
; %bb.1106:
	v_add_f32_e32 v1, 0x46800000, v4
; %bb.1107:
	s_or_b32 exec_lo, exec_lo, s52
                                        ; implicit-def: $vgpr4
.LBB364_1108:
	s_and_not1_saveexec_b32 s51, s51
; %bb.1109:
	v_mov_b32_e32 v1, 0x7f
	v_cmp_lt_u32_e32 vcc_lo, 0x7f800000, v4
	s_delay_alu instid0(VALU_DEP_2)
	v_cndmask_b32_e32 v1, 0x7e, v1, vcc_lo
; %bb.1110:
	s_or_b32 exec_lo, exec_lo, s51
	global_store_b8 v[2:3], v1, off
.LBB364_1111:
	s_mov_b32 s51, 0
.LBB364_1112:
	s_delay_alu instid0(SALU_CYCLE_1)
	s_and_not1_b32 vcc_lo, exec_lo, s51
	s_cbranch_vccnz .LBB364_1122
; %bb.1113:
	s_wait_xcnt 0x0
	v_cndmask_b32_e64 v4, 0, 1.0, s48
	s_mov_b32 s51, exec_lo
                                        ; implicit-def: $vgpr1
	s_delay_alu instid0(VALU_DEP_1)
	v_cmpx_gt_u32_e32 0x47800000, v4
	s_xor_b32 s51, exec_lo, s51
	s_cbranch_execz .LBB364_1119
; %bb.1114:
	s_mov_b32 s52, exec_lo
                                        ; implicit-def: $vgpr1
	v_cmpx_lt_u32_e32 0x387fffff, v4
	s_xor_b32 s52, exec_lo, s52
; %bb.1115:
	v_bfe_u32 v1, v4, 21, 1
	s_delay_alu instid0(VALU_DEP_1) | instskip(NEXT) | instid1(VALU_DEP_1)
	v_add3_u32 v1, v4, v1, 0x80fffff
                                        ; implicit-def: $vgpr4
	v_lshrrev_b32_e32 v1, 21, v1
; %bb.1116:
	s_and_not1_saveexec_b32 s52, s52
; %bb.1117:
	v_add_f32_e32 v1, 0x43000000, v4
; %bb.1118:
	s_or_b32 exec_lo, exec_lo, s52
                                        ; implicit-def: $vgpr4
.LBB364_1119:
	s_and_not1_saveexec_b32 s51, s51
; %bb.1120:
	v_mov_b32_e32 v1, 0x7f
	v_cmp_lt_u32_e32 vcc_lo, 0x7f800000, v4
	s_delay_alu instid0(VALU_DEP_2)
	v_cndmask_b32_e32 v1, 0x7c, v1, vcc_lo
; %bb.1121:
	s_or_b32 exec_lo, exec_lo, s51
	global_store_b8 v[2:3], v1, off
.LBB364_1122:
	s_mov_b32 s52, 0
	s_mov_b32 s51, -1
.LBB364_1123:
	s_and_not1_b32 vcc_lo, exec_lo, s52
	s_cbranch_vccnz .LBB364_1131
; %bb.1124:
	s_cmp_gt_i32 s50, 14
	s_mov_b32 s52, -1
	s_cbranch_scc0 .LBB364_1128
; %bb.1125:
	s_cmp_eq_u32 s50, 15
	s_mov_b32 s0, -1
	s_cbranch_scc0 .LBB364_1127
; %bb.1126:
	s_wait_xcnt 0x0
	v_cndmask_b32_e64 v1, 0, 1.0, s48
	s_mov_b32 s51, -1
	s_mov_b32 s0, 0
	s_delay_alu instid0(VALU_DEP_1) | instskip(NEXT) | instid1(VALU_DEP_1)
	v_bfe_u32 v4, v1, 16, 1
	v_add3_u32 v1, v1, v4, 0x7fff
	global_store_d16_hi_b16 v[2:3], v1, off
.LBB364_1127:
	s_mov_b32 s52, 0
.LBB364_1128:
	s_delay_alu instid0(SALU_CYCLE_1)
	s_and_b32 vcc_lo, exec_lo, s52
	s_cbranch_vccz .LBB364_1131
; %bb.1129:
	s_cmp_eq_u32 s50, 11
	s_mov_b32 s0, -1
	s_cbranch_scc0 .LBB364_1131
; %bb.1130:
	s_wait_xcnt 0x0
	v_cndmask_b32_e64 v1, 0, 1, s48
	s_mov_b32 s51, -1
	s_mov_b32 s0, 0
	global_store_b8 v[2:3], v1, off
.LBB364_1131:
	s_mov_b32 s50, 0
.LBB364_1132:
	s_delay_alu instid0(SALU_CYCLE_1)
	s_and_b32 vcc_lo, exec_lo, s50
	s_cbranch_vccz .LBB364_1171
; %bb.1133:
	s_and_b32 s49, 0xffff, s49
	s_mov_b32 s50, -1
	s_cmp_lt_i32 s49, 5
	s_cbranch_scc1 .LBB364_1154
; %bb.1134:
	s_cmp_lt_i32 s49, 8
	s_cbranch_scc1 .LBB364_1144
; %bb.1135:
	;; [unrolled: 3-line block ×3, first 2 shown]
	s_cmp_gt_i32 s49, 9
	s_cbranch_scc0 .LBB364_1138
; %bb.1137:
	s_wait_xcnt 0x0
	v_cndmask_b32_e64 v1, 0, 1, s48
	v_mov_b32_e32 v6, 0
	s_mov_b32 s50, 0
	s_delay_alu instid0(VALU_DEP_2) | instskip(NEXT) | instid1(VALU_DEP_2)
	v_cvt_f64_u32_e32 v[4:5], v1
	v_mov_b32_e32 v7, v6
	global_store_b128 v[2:3], v[4:7], off
.LBB364_1138:
	s_and_not1_b32 vcc_lo, exec_lo, s50
	s_cbranch_vccnz .LBB364_1140
; %bb.1139:
	s_wait_xcnt 0x0
	v_cndmask_b32_e64 v4, 0, 1.0, s48
	v_mov_b32_e32 v5, 0
	global_store_b64 v[2:3], v[4:5], off
.LBB364_1140:
	s_mov_b32 s50, 0
.LBB364_1141:
	s_delay_alu instid0(SALU_CYCLE_1)
	s_and_not1_b32 vcc_lo, exec_lo, s50
	s_cbranch_vccnz .LBB364_1143
; %bb.1142:
	s_wait_xcnt 0x0
	v_cndmask_b32_e64 v1, 0, 1.0, s48
	s_delay_alu instid0(VALU_DEP_1) | instskip(NEXT) | instid1(VALU_DEP_1)
	v_cvt_f16_f32_e32 v1, v1
	v_and_b32_e32 v1, 0xffff, v1
	global_store_b32 v[2:3], v1, off
.LBB364_1143:
	s_mov_b32 s50, 0
.LBB364_1144:
	s_delay_alu instid0(SALU_CYCLE_1)
	s_and_not1_b32 vcc_lo, exec_lo, s50
	s_cbranch_vccnz .LBB364_1153
; %bb.1145:
	s_cmp_lt_i32 s49, 6
	s_mov_b32 s50, -1
	s_cbranch_scc1 .LBB364_1151
; %bb.1146:
	s_cmp_gt_i32 s49, 6
	s_cbranch_scc0 .LBB364_1148
; %bb.1147:
	s_wait_xcnt 0x0
	v_cndmask_b32_e64 v1, 0, 1, s48
	s_mov_b32 s50, 0
	s_delay_alu instid0(VALU_DEP_1)
	v_cvt_f64_u32_e32 v[4:5], v1
	global_store_b64 v[2:3], v[4:5], off
.LBB364_1148:
	s_and_not1_b32 vcc_lo, exec_lo, s50
	s_cbranch_vccnz .LBB364_1150
; %bb.1149:
	s_wait_xcnt 0x0
	v_cndmask_b32_e64 v1, 0, 1.0, s48
	global_store_b32 v[2:3], v1, off
.LBB364_1150:
	s_mov_b32 s50, 0
.LBB364_1151:
	s_delay_alu instid0(SALU_CYCLE_1)
	s_and_not1_b32 vcc_lo, exec_lo, s50
	s_cbranch_vccnz .LBB364_1153
; %bb.1152:
	s_wait_xcnt 0x0
	v_cndmask_b32_e64 v1, 0, 1.0, s48
	s_delay_alu instid0(VALU_DEP_1)
	v_cvt_f16_f32_e32 v1, v1
	global_store_b16 v[2:3], v1, off
.LBB364_1153:
	s_mov_b32 s50, 0
.LBB364_1154:
	s_delay_alu instid0(SALU_CYCLE_1)
	s_and_not1_b32 vcc_lo, exec_lo, s50
	s_cbranch_vccnz .LBB364_1170
; %bb.1155:
	s_cmp_lt_i32 s49, 2
	s_mov_b32 s50, -1
	s_cbranch_scc1 .LBB364_1165
; %bb.1156:
	s_cmp_lt_i32 s49, 3
	s_cbranch_scc1 .LBB364_1162
; %bb.1157:
	s_cmp_gt_i32 s49, 3
	s_cbranch_scc0 .LBB364_1159
; %bb.1158:
	s_mov_b32 s50, 0
	s_wait_xcnt 0x0
	v_cndmask_b32_e64 v4, 0, 1, s48
	v_mov_b32_e32 v5, s50
	global_store_b64 v[2:3], v[4:5], off
.LBB364_1159:
	s_and_not1_b32 vcc_lo, exec_lo, s50
	s_cbranch_vccnz .LBB364_1161
; %bb.1160:
	s_wait_xcnt 0x0
	v_cndmask_b32_e64 v1, 0, 1, s48
	global_store_b32 v[2:3], v1, off
.LBB364_1161:
	s_mov_b32 s50, 0
.LBB364_1162:
	s_delay_alu instid0(SALU_CYCLE_1)
	s_and_not1_b32 vcc_lo, exec_lo, s50
	s_cbranch_vccnz .LBB364_1164
; %bb.1163:
	s_wait_xcnt 0x0
	v_cndmask_b32_e64 v1, 0, 1, s48
	global_store_b16 v[2:3], v1, off
.LBB364_1164:
	s_mov_b32 s50, 0
.LBB364_1165:
	s_delay_alu instid0(SALU_CYCLE_1)
	s_and_not1_b32 vcc_lo, exec_lo, s50
	s_cbranch_vccnz .LBB364_1170
; %bb.1166:
	s_wait_xcnt 0x0
	v_cndmask_b32_e64 v1, 0, 1, s48
	s_cmp_gt_i32 s49, 0
	s_mov_b32 s48, -1
	s_cbranch_scc0 .LBB364_1168
; %bb.1167:
	s_mov_b32 s48, 0
	global_store_b8 v[2:3], v1, off
.LBB364_1168:
	s_and_not1_b32 vcc_lo, exec_lo, s48
	s_cbranch_vccnz .LBB364_1170
; %bb.1169:
	global_store_b8 v[2:3], v1, off
.LBB364_1170:
	s_mov_b32 s51, -1
.LBB364_1171:
	s_delay_alu instid0(SALU_CYCLE_1)
	s_and_not1_b32 vcc_lo, exec_lo, s51
	s_cbranch_vccnz .LBB364_1173
; %bb.1172:
	v_add_nc_u32_e32 v0, 0x80, v0
	s_mov_b32 s51, -1
	s_branch .LBB364_1175
.LBB364_1173:
	s_mov_b32 s51, 0
.LBB364_1174:
                                        ; implicit-def: $vgpr0
.LBB364_1175:
	s_and_not1_b32 s48, s44, exec_lo
	s_and_b32 s0, s0, exec_lo
	s_and_b32 s27, s27, exec_lo
	s_or_b32 s49, s48, s0
	s_and_not1_b32 s0, s45, exec_lo
	s_and_not1_b32 s48, s43, exec_lo
	s_and_b32 s26, s26, exec_lo
	s_or_b32 s50, s0, s27
	s_or_b32 s48, s48, s26
	s_or_not1_b32 s52, s51, exec_lo
.LBB364_1176:
	s_wait_xcnt 0x0
	s_or_b32 exec_lo, exec_lo, s47
	s_mov_b32 s27, 0
	s_mov_b32 s51, 0
	s_mov_b32 s26, 0
                                        ; implicit-def: $sgpr0
                                        ; implicit-def: $vgpr8_vgpr9
                                        ; implicit-def: $vgpr6
                                        ; implicit-def: $vgpr2
                                        ; implicit-def: $vgpr4_vgpr5
	s_and_saveexec_b32 s47, s52
	s_cbranch_execz .LBB364_1267
; %bb.1177:
	v_cmp_gt_i32_e32 vcc_lo, s37, v0
	s_mov_b32 s52, s48
                                        ; implicit-def: $sgpr0
                                        ; implicit-def: $vgpr8_vgpr9
                                        ; implicit-def: $vgpr6
                                        ; implicit-def: $vgpr2
                                        ; implicit-def: $vgpr4_vgpr5
	s_and_saveexec_b32 s37, vcc_lo
	s_cbranch_execz .LBB364_1266
; %bb.1178:
	s_and_not1_b32 vcc_lo, exec_lo, s31
	s_cbranch_vccnz .LBB364_1184
; %bb.1179:
	s_and_not1_b32 vcc_lo, exec_lo, s38
	s_cbranch_vccnz .LBB364_1185
; %bb.1180:
	v_dual_mov_b32 v2, 0 :: v_dual_mov_b32 v1, v0
	s_wait_loadcnt 0x0
	v_dual_mov_b32 v4, 0 :: v_dual_mov_b32 v6, 0
	s_add_co_i32 s0, s36, 1
	s_mov_b64 s[26:27], 0xffffffffffffffe8
	s_and_b32 s0, s0, 30
	s_add_nc_u64 s[26:27], s[2:3], s[26:27]
.LBB364_1181:                           ; =>This Inner Loop Header: Depth=1
	s_clause 0x1
	s_load_b128 s[52:55], s[26:27], 0x1c
	s_load_b64 s[60:61], s[26:27], 0x2c
	s_add_co_i32 s0, s0, -2
	s_delay_alu instid0(SALU_CYCLE_1) | instskip(SKIP_2) | instid1(VALU_DEP_1)
	s_cmp_eq_u32 s0, 0
	s_wait_kmcnt 0x0
	v_mul_hi_u32 v3, s53, v1
	v_add_nc_u32_e32 v3, v1, v3
	s_delay_alu instid0(VALU_DEP_1) | instskip(NEXT) | instid1(VALU_DEP_1)
	v_lshrrev_b32_e32 v3, s54, v3
	v_mul_hi_u32 v5, s60, v3
	v_mul_lo_u32 v7, v3, s52
	s_clause 0x1
	s_load_b128 s[56:59], s[26:27], 0xdc
	s_load_b64 s[52:53], s[26:27], 0xec
	s_wait_xcnt 0x0
	s_add_nc_u64 s[26:27], s[26:27], 24
	s_delay_alu instid0(VALU_DEP_1) | instskip(NEXT) | instid1(VALU_DEP_1)
	v_dual_add_nc_u32 v5, v3, v5 :: v_dual_sub_nc_u32 v7, v1, v7
	v_lshrrev_b32_e32 v1, s61, v5
	s_wait_kmcnt 0x0
	s_delay_alu instid0(VALU_DEP_2) | instskip(NEXT) | instid1(VALU_DEP_2)
	v_mad_u32 v2, v7, s56, v2
	v_mul_lo_u32 v5, v1, s55
	v_mad_u32 v6, v7, s58, v6
	v_mad_u32 v4, v7, s57, v4
	s_delay_alu instid0(VALU_DEP_3) | instskip(NEXT) | instid1(VALU_DEP_1)
	v_sub_nc_u32_e32 v3, v3, v5
	v_mad_u32 v2, v3, s59, v2
	s_delay_alu instid0(VALU_DEP_4) | instskip(NEXT) | instid1(VALU_DEP_4)
	v_mad_u32 v6, v3, s53, v6
	v_mad_u32 v4, v3, s52, v4
	s_cbranch_scc0 .LBB364_1181
; %bb.1182:
	s_bitcmp1_b32 s36, 0
	s_cselect_b32 s0, -1, 0
	s_delay_alu instid0(SALU_CYCLE_1)
	s_and_b32 vcc_lo, exec_lo, s0
	s_cbranch_vccnz .LBB364_1186
; %bb.1183:
	s_clause 0x1
	s_load_b96 s[52:54], s[26:27], 0x1c
	s_load_b96 s[56:58], s[26:27], 0xdc
	s_wait_kmcnt 0x0
	v_mul_hi_u32 v3, s53, v1
	s_delay_alu instid0(VALU_DEP_1) | instskip(NEXT) | instid1(VALU_DEP_1)
	v_add_nc_u32_e32 v3, v1, v3
	v_lshrrev_b32_e32 v3, s54, v3
	s_delay_alu instid0(VALU_DEP_1) | instskip(NEXT) | instid1(VALU_DEP_1)
	v_mul_lo_u32 v3, v3, s52
	v_sub_nc_u32_e32 v1, v1, v3
	s_delay_alu instid0(VALU_DEP_1)
	v_mad_u32 v2, v1, s56, v2
	v_mad_u32 v4, v1, s57, v4
	;; [unrolled: 1-line block ×3, first 2 shown]
	s_branch .LBB364_1186
.LBB364_1184:
	s_mov_b32 s0, -1
                                        ; implicit-def: $vgpr6
                                        ; implicit-def: $vgpr4
                                        ; implicit-def: $vgpr2
	s_branch .LBB364_1187
.LBB364_1185:
	s_wait_loadcnt 0x0
	v_dual_mov_b32 v6, 0 :: v_dual_mov_b32 v4, 0
	v_mov_b32_e32 v2, 0
.LBB364_1186:
	s_mov_b32 s0, 0
.LBB364_1187:
	s_delay_alu instid0(SALU_CYCLE_1)
	s_and_not1_b32 vcc_lo, exec_lo, s0
	s_cbranch_vccnz .LBB364_1190
; %bb.1188:
	v_mov_b32_e32 v1, 0
	s_and_not1_b32 vcc_lo, exec_lo, s35
	s_delay_alu instid0(VALU_DEP_1) | instskip(NEXT) | instid1(VALU_DEP_1)
	v_mul_u64_e32 v[2:3], s[20:21], v[0:1]
	v_add_nc_u32_e32 v2, v0, v3
	s_wait_loadcnt 0x0
	s_delay_alu instid0(VALU_DEP_1) | instskip(NEXT) | instid1(VALU_DEP_1)
	v_lshrrev_b32_e32 v8, s14, v2
	v_mul_lo_u32 v2, v8, s12
	s_delay_alu instid0(VALU_DEP_1) | instskip(NEXT) | instid1(VALU_DEP_1)
	v_sub_nc_u32_e32 v0, v0, v2
	v_mul_lo_u32 v2, v0, s16
	v_mul_lo_u32 v6, v0, s18
	;; [unrolled: 1-line block ×3, first 2 shown]
	s_cbranch_vccnz .LBB364_1190
; %bb.1189:
	v_mov_b32_e32 v9, v1
	s_delay_alu instid0(VALU_DEP_1) | instskip(NEXT) | instid1(VALU_DEP_1)
	v_mul_u64_e32 v[0:1], s[24:25], v[8:9]
	v_add_nc_u32_e32 v0, v8, v1
	s_delay_alu instid0(VALU_DEP_1) | instskip(NEXT) | instid1(VALU_DEP_1)
	v_lshrrev_b32_e32 v0, s1, v0
	v_mul_lo_u32 v0, v0, s15
	s_delay_alu instid0(VALU_DEP_1) | instskip(NEXT) | instid1(VALU_DEP_1)
	v_sub_nc_u32_e32 v0, v8, v0
	v_mad_u32 v2, v0, s19, v2
	v_mad_u32 v4, v0, s22, v4
	;; [unrolled: 1-line block ×3, first 2 shown]
.LBB364_1190:
	s_wait_loadcnt 0x0
	v_mov_b32_e32 v5, 0
	s_and_b32 s0, s34, 0xff
	s_delay_alu instid0(SALU_CYCLE_1) | instskip(NEXT) | instid1(VALU_DEP_1)
	s_cmp_lt_i32 s0, 11
	v_add_nc_u64_e32 v[8:9], s[6:7], v[4:5]
	s_cbranch_scc1 .LBB364_1197
; %bb.1191:
	s_and_b32 s1, 0xffff, s0
	s_mov_b32 s7, 0
	s_cmp_gt_i32 s1, 25
	s_cbranch_scc0 .LBB364_1198
; %bb.1192:
	s_cmp_gt_i32 s1, 28
	s_cbranch_scc0 .LBB364_1199
; %bb.1193:
	;; [unrolled: 3-line block ×4, first 2 shown]
	s_cmp_eq_u32 s1, 46
	s_mov_b32 s14, 0
	s_cbranch_scc0 .LBB364_1204
; %bb.1196:
	global_load_b32 v0, v[8:9], off
	s_mov_b32 s6, 0
	s_mov_b32 s12, -1
	s_wait_loadcnt 0x0
	v_lshlrev_b32_e32 v0, 16, v0
	s_delay_alu instid0(VALU_DEP_1) | instskip(NEXT) | instid1(VALU_DEP_1)
	v_trunc_f32_e32 v0, v0
	v_mul_f32_e32 v1, 0x2f800000, v0
	s_delay_alu instid0(VALU_DEP_1) | instskip(NEXT) | instid1(VALU_DEP_1)
	v_floor_f32_e32 v1, v1
	v_fmamk_f32 v0, v1, 0xcf800000, v0
	v_cvt_u32_f32_e32 v5, v1
	s_delay_alu instid0(VALU_DEP_2)
	v_cvt_u32_f32_e32 v4, v0
	s_branch .LBB364_1206
.LBB364_1197:
	s_mov_b32 s1, -1
	s_mov_b32 s12, 0
	s_mov_b32 s7, 0
	;; [unrolled: 1-line block ×3, first 2 shown]
                                        ; implicit-def: $vgpr4_vgpr5
	s_branch .LBB364_1265
.LBB364_1198:
	s_mov_b32 s14, -1
	s_mov_b32 s12, 0
	s_mov_b32 s6, s48
                                        ; implicit-def: $vgpr4_vgpr5
	s_branch .LBB364_1233
.LBB364_1199:
	s_mov_b32 s14, -1
	s_mov_b32 s12, 0
	s_mov_b32 s6, s48
                                        ; implicit-def: $vgpr4_vgpr5
	s_branch .LBB364_1216
.LBB364_1200:
	s_mov_b32 s14, -1
	s_mov_b32 s12, 0
	s_mov_b32 s6, s48
                                        ; implicit-def: $vgpr4_vgpr5
	s_branch .LBB364_1211
.LBB364_1201:
	s_mov_b32 s14, -1
	s_mov_b32 s12, 0
	s_mov_b32 s6, s48
	s_branch .LBB364_1205
.LBB364_1202:
	s_and_not1_saveexec_b32 s53, s53
	s_cbranch_execz .LBB364_1084
.LBB364_1203:
	v_add_f32_e32 v1, 0x46000000, v4
	s_and_not1_b32 s52, s52, exec_lo
	s_delay_alu instid0(VALU_DEP_1) | instskip(NEXT) | instid1(VALU_DEP_1)
	v_and_b32_e32 v1, 0xff, v1
	v_cmp_ne_u32_e32 vcc_lo, 0, v1
	s_and_b32 s54, vcc_lo, exec_lo
	s_delay_alu instid0(SALU_CYCLE_1)
	s_or_b32 s52, s52, s54
	s_or_b32 exec_lo, exec_lo, s53
	v_mov_b32_e32 v5, 0
	s_and_saveexec_b32 s53, s52
	s_cbranch_execnz .LBB364_1085
	s_branch .LBB364_1086
.LBB364_1204:
	s_mov_b32 s6, -1
	s_mov_b32 s12, 0
.LBB364_1205:
                                        ; implicit-def: $vgpr4_vgpr5
.LBB364_1206:
	s_and_b32 vcc_lo, exec_lo, s14
	s_cbranch_vccz .LBB364_1210
; %bb.1207:
	s_cmp_eq_u32 s1, 44
	s_cbranch_scc0 .LBB364_1209
; %bb.1208:
	global_load_u8 v0, v[8:9], off
	s_mov_b32 s6, 0
	s_mov_b32 s12, -1
	s_wait_loadcnt 0x0
	v_cmp_ne_u32_e32 vcc_lo, 0, v0
	v_lshlrev_b32_e32 v1, 23, v0
	s_delay_alu instid0(VALU_DEP_1) | instskip(NEXT) | instid1(VALU_DEP_1)
	v_trunc_f32_e32 v1, v1
	v_mul_f32_e32 v3, 0x2f800000, v1
	s_delay_alu instid0(VALU_DEP_1) | instskip(NEXT) | instid1(VALU_DEP_1)
	v_floor_f32_e32 v3, v3
	v_fmamk_f32 v1, v3, 0xcf800000, v1
	v_cvt_u32_f32_e32 v3, v3
	s_delay_alu instid0(VALU_DEP_2) | instskip(NEXT) | instid1(VALU_DEP_1)
	v_cvt_u32_f32_e32 v1, v1
	v_dual_cndmask_b32 v5, 0, v3 :: v_dual_cndmask_b32 v4, 0, v1
	s_branch .LBB364_1210
.LBB364_1209:
	s_mov_b32 s6, -1
                                        ; implicit-def: $vgpr4_vgpr5
.LBB364_1210:
	s_mov_b32 s14, 0
.LBB364_1211:
	s_delay_alu instid0(SALU_CYCLE_1)
	s_and_b32 vcc_lo, exec_lo, s14
	s_cbranch_vccz .LBB364_1215
; %bb.1212:
	s_cmp_eq_u32 s1, 29
	s_cbranch_scc0 .LBB364_1214
; %bb.1213:
	global_load_b64 v[4:5], v[8:9], off
	s_mov_b32 s6, 0
	s_mov_b32 s12, -1
	s_branch .LBB364_1215
.LBB364_1214:
	s_mov_b32 s6, -1
                                        ; implicit-def: $vgpr4_vgpr5
.LBB364_1215:
	s_mov_b32 s14, 0
.LBB364_1216:
	s_delay_alu instid0(SALU_CYCLE_1)
	s_and_b32 vcc_lo, exec_lo, s14
	s_cbranch_vccz .LBB364_1232
; %bb.1217:
	s_cmp_lt_i32 s1, 27
	s_cbranch_scc1 .LBB364_1220
; %bb.1218:
	s_cmp_gt_i32 s1, 27
	s_cbranch_scc0 .LBB364_1221
; %bb.1219:
	s_wait_loadcnt 0x0
	global_load_b32 v4, v[8:9], off
	v_mov_b32_e32 v5, 0
	s_mov_b32 s12, 0
	s_branch .LBB364_1222
.LBB364_1220:
	s_mov_b32 s12, -1
                                        ; implicit-def: $vgpr4_vgpr5
	s_branch .LBB364_1225
.LBB364_1221:
	s_mov_b32 s12, -1
                                        ; implicit-def: $vgpr4_vgpr5
.LBB364_1222:
	s_delay_alu instid0(SALU_CYCLE_1)
	s_and_not1_b32 vcc_lo, exec_lo, s12
	s_cbranch_vccnz .LBB364_1224
; %bb.1223:
	global_load_u16 v0, v[8:9], off
	s_mov_b32 s12, 0
	s_wait_loadcnt 0x1
	v_mov_b32_e32 v5, s12
	s_wait_loadcnt 0x0
	v_and_b32_e32 v4, 0xffff, v0
.LBB364_1224:
	s_mov_b32 s12, 0
.LBB364_1225:
	s_delay_alu instid0(SALU_CYCLE_1)
	s_and_not1_b32 vcc_lo, exec_lo, s12
	s_cbranch_vccnz .LBB364_1231
; %bb.1226:
	global_load_u8 v0, v[8:9], off
	s_mov_b32 s14, 0
	s_mov_b32 s12, exec_lo
	s_wait_loadcnt 0x0
	v_cmpx_lt_i16_e32 0x7f, v0
	s_xor_b32 s12, exec_lo, s12
	s_cbranch_execz .LBB364_1243
; %bb.1227:
	v_cmp_ne_u16_e32 vcc_lo, 0x80, v0
	s_and_b32 s14, vcc_lo, exec_lo
	s_and_not1_saveexec_b32 s12, s12
	s_cbranch_execnz .LBB364_1244
.LBB364_1228:
	s_or_b32 exec_lo, exec_lo, s12
	v_mov_b64_e32 v[4:5], 0
	s_and_saveexec_b32 s12, s14
	s_cbranch_execz .LBB364_1230
.LBB364_1229:
	v_and_b32_e32 v1, 0xffff, v0
	s_delay_alu instid0(VALU_DEP_1) | instskip(SKIP_1) | instid1(VALU_DEP_2)
	v_and_b32_e32 v3, 7, v1
	v_bfe_u32 v7, v1, 3, 4
	v_clz_i32_u32_e32 v4, v3
	s_delay_alu instid0(VALU_DEP_2) | instskip(NEXT) | instid1(VALU_DEP_2)
	v_cmp_eq_u32_e32 vcc_lo, 0, v7
	v_min_u32_e32 v4, 32, v4
	s_delay_alu instid0(VALU_DEP_1) | instskip(NEXT) | instid1(VALU_DEP_1)
	v_subrev_nc_u32_e32 v5, 28, v4
	v_dual_lshlrev_b32 v1, v5, v1 :: v_dual_sub_nc_u32 v4, 29, v4
	s_delay_alu instid0(VALU_DEP_1) | instskip(NEXT) | instid1(VALU_DEP_1)
	v_dual_lshlrev_b32 v0, 24, v0 :: v_dual_bitop2_b32 v1, 7, v1 bitop3:0x40
	v_cndmask_b32_e32 v1, v3, v1, vcc_lo
	s_delay_alu instid0(VALU_DEP_3) | instskip(NEXT) | instid1(VALU_DEP_3)
	v_cndmask_b32_e32 v4, v7, v4, vcc_lo
	v_and_b32_e32 v0, 0x80000000, v0
	s_delay_alu instid0(VALU_DEP_3) | instskip(NEXT) | instid1(VALU_DEP_3)
	v_lshlrev_b32_e32 v1, 20, v1
	v_lshl_add_u32 v3, v4, 23, 0x3b800000
	s_delay_alu instid0(VALU_DEP_1) | instskip(NEXT) | instid1(VALU_DEP_1)
	v_or3_b32 v0, v0, v3, v1
	v_trunc_f32_e32 v0, v0
	s_delay_alu instid0(VALU_DEP_1) | instskip(NEXT) | instid1(VALU_DEP_1)
	v_mul_f32_e32 v1, 0x2f800000, v0
	v_floor_f32_e32 v1, v1
	s_delay_alu instid0(VALU_DEP_1) | instskip(SKIP_1) | instid1(VALU_DEP_2)
	v_fmamk_f32 v0, v1, 0xcf800000, v0
	v_cvt_u32_f32_e32 v5, v1
	v_cvt_u32_f32_e32 v4, v0
.LBB364_1230:
	s_or_b32 exec_lo, exec_lo, s12
.LBB364_1231:
	s_mov_b32 s12, -1
.LBB364_1232:
	s_mov_b32 s14, 0
.LBB364_1233:
	s_delay_alu instid0(SALU_CYCLE_1)
	s_and_b32 vcc_lo, exec_lo, s14
	s_cbranch_vccz .LBB364_1264
; %bb.1234:
	s_cmp_gt_i32 s1, 22
	s_cbranch_scc0 .LBB364_1242
; %bb.1235:
	s_cmp_lt_i32 s1, 24
	s_cbranch_scc1 .LBB364_1245
; %bb.1236:
	s_cmp_gt_i32 s1, 24
	s_cbranch_scc0 .LBB364_1246
; %bb.1237:
	global_load_u8 v0, v[8:9], off
	s_mov_b32 s12, 0
	s_mov_b32 s7, exec_lo
	s_wait_loadcnt 0x0
	v_cmpx_lt_i16_e32 0x7f, v0
	s_xor_b32 s7, exec_lo, s7
	s_cbranch_execz .LBB364_1258
; %bb.1238:
	v_cmp_ne_u16_e32 vcc_lo, 0x80, v0
	s_and_b32 s12, vcc_lo, exec_lo
	s_and_not1_saveexec_b32 s7, s7
	s_cbranch_execnz .LBB364_1259
.LBB364_1239:
	s_or_b32 exec_lo, exec_lo, s7
	v_mov_b64_e32 v[4:5], 0
	s_and_saveexec_b32 s7, s12
	s_cbranch_execz .LBB364_1241
.LBB364_1240:
	v_and_b32_e32 v1, 0xffff, v0
	s_delay_alu instid0(VALU_DEP_1) | instskip(SKIP_1) | instid1(VALU_DEP_2)
	v_and_b32_e32 v3, 3, v1
	v_bfe_u32 v7, v1, 2, 5
	v_clz_i32_u32_e32 v4, v3
	s_delay_alu instid0(VALU_DEP_2) | instskip(NEXT) | instid1(VALU_DEP_2)
	v_cmp_eq_u32_e32 vcc_lo, 0, v7
	v_min_u32_e32 v4, 32, v4
	s_delay_alu instid0(VALU_DEP_1) | instskip(NEXT) | instid1(VALU_DEP_1)
	v_subrev_nc_u32_e32 v5, 29, v4
	v_dual_lshlrev_b32 v1, v5, v1 :: v_dual_sub_nc_u32 v4, 30, v4
	s_delay_alu instid0(VALU_DEP_1) | instskip(NEXT) | instid1(VALU_DEP_1)
	v_dual_lshlrev_b32 v0, 24, v0 :: v_dual_bitop2_b32 v1, 3, v1 bitop3:0x40
	v_cndmask_b32_e32 v1, v3, v1, vcc_lo
	s_delay_alu instid0(VALU_DEP_3) | instskip(NEXT) | instid1(VALU_DEP_3)
	v_cndmask_b32_e32 v4, v7, v4, vcc_lo
	v_and_b32_e32 v0, 0x80000000, v0
	s_delay_alu instid0(VALU_DEP_3) | instskip(NEXT) | instid1(VALU_DEP_3)
	v_lshlrev_b32_e32 v1, 21, v1
	v_lshl_add_u32 v3, v4, 23, 0x37800000
	s_delay_alu instid0(VALU_DEP_1) | instskip(NEXT) | instid1(VALU_DEP_1)
	v_or3_b32 v0, v0, v3, v1
	v_trunc_f32_e32 v0, v0
	s_delay_alu instid0(VALU_DEP_1) | instskip(NEXT) | instid1(VALU_DEP_1)
	v_mul_f32_e32 v1, 0x2f800000, v0
	v_floor_f32_e32 v1, v1
	s_delay_alu instid0(VALU_DEP_1) | instskip(SKIP_1) | instid1(VALU_DEP_2)
	v_fmamk_f32 v0, v1, 0xcf800000, v0
	v_cvt_u32_f32_e32 v5, v1
	v_cvt_u32_f32_e32 v4, v0
.LBB364_1241:
	s_or_b32 exec_lo, exec_lo, s7
	s_mov_b32 s7, 0
	s_branch .LBB364_1247
.LBB364_1242:
	s_mov_b32 s7, -1
                                        ; implicit-def: $vgpr4_vgpr5
	s_branch .LBB364_1253
.LBB364_1243:
	s_and_not1_saveexec_b32 s12, s12
	s_cbranch_execz .LBB364_1228
.LBB364_1244:
	v_cmp_ne_u16_e32 vcc_lo, 0, v0
	s_and_not1_b32 s14, s14, exec_lo
	s_and_b32 s15, vcc_lo, exec_lo
	s_delay_alu instid0(SALU_CYCLE_1)
	s_or_b32 s14, s14, s15
	s_or_b32 exec_lo, exec_lo, s12
	v_mov_b64_e32 v[4:5], 0
	s_and_saveexec_b32 s12, s14
	s_cbranch_execnz .LBB364_1229
	s_branch .LBB364_1230
.LBB364_1245:
	s_mov_b32 s7, -1
                                        ; implicit-def: $vgpr4_vgpr5
	s_branch .LBB364_1250
.LBB364_1246:
	s_mov_b32 s7, -1
                                        ; implicit-def: $vgpr4_vgpr5
.LBB364_1247:
	s_delay_alu instid0(SALU_CYCLE_1)
	s_and_b32 vcc_lo, exec_lo, s7
	s_cbranch_vccz .LBB364_1249
; %bb.1248:
	global_load_u8 v0, v[8:9], off
	s_wait_loadcnt 0x0
	v_lshlrev_b32_e32 v0, 24, v0
	s_delay_alu instid0(VALU_DEP_1) | instskip(NEXT) | instid1(VALU_DEP_1)
	v_and_b32_e32 v1, 0x7f000000, v0
	v_clz_i32_u32_e32 v3, v1
	v_add_nc_u32_e32 v5, 0x1000000, v1
	v_cmp_ne_u32_e32 vcc_lo, 0, v1
	s_delay_alu instid0(VALU_DEP_3) | instskip(NEXT) | instid1(VALU_DEP_1)
	v_min_u32_e32 v3, 32, v3
	v_sub_nc_u32_e64 v3, v3, 4 clamp
	s_delay_alu instid0(VALU_DEP_1) | instskip(NEXT) | instid1(VALU_DEP_1)
	v_dual_lshlrev_b32 v4, v3, v1 :: v_dual_lshlrev_b32 v3, 23, v3
	v_lshrrev_b32_e32 v4, 4, v4
	s_delay_alu instid0(VALU_DEP_1) | instskip(NEXT) | instid1(VALU_DEP_1)
	v_dual_sub_nc_u32 v3, v4, v3 :: v_dual_ashrrev_i32 v4, 8, v5
	v_add_nc_u32_e32 v3, 0x3c000000, v3
	s_delay_alu instid0(VALU_DEP_1) | instskip(NEXT) | instid1(VALU_DEP_1)
	v_and_or_b32 v3, 0x7f800000, v4, v3
	v_cndmask_b32_e32 v1, 0, v3, vcc_lo
	s_delay_alu instid0(VALU_DEP_1) | instskip(NEXT) | instid1(VALU_DEP_1)
	v_and_or_b32 v0, 0x80000000, v0, v1
	v_trunc_f32_e32 v0, v0
	s_delay_alu instid0(VALU_DEP_1) | instskip(NEXT) | instid1(VALU_DEP_1)
	v_mul_f32_e32 v1, 0x2f800000, v0
	v_floor_f32_e32 v1, v1
	s_delay_alu instid0(VALU_DEP_1) | instskip(SKIP_1) | instid1(VALU_DEP_2)
	v_fmamk_f32 v0, v1, 0xcf800000, v0
	v_cvt_u32_f32_e32 v5, v1
	v_cvt_u32_f32_e32 v4, v0
.LBB364_1249:
	s_mov_b32 s7, 0
.LBB364_1250:
	s_delay_alu instid0(SALU_CYCLE_1)
	s_and_not1_b32 vcc_lo, exec_lo, s7
	s_cbranch_vccnz .LBB364_1252
; %bb.1251:
	global_load_u8 v0, v[8:9], off
	s_wait_loadcnt 0x0
	v_lshlrev_b32_e32 v1, 25, v0
	v_lshlrev_b16 v0, 8, v0
	s_delay_alu instid0(VALU_DEP_2) | instskip(NEXT) | instid1(VALU_DEP_2)
	v_cmp_gt_u32_e32 vcc_lo, 0x8000000, v1
	v_and_or_b32 v4, 0x7f00, v0, 0.5
	v_lshrrev_b32_e32 v3, 4, v1
	v_bfe_i32 v0, v0, 0, 16
	s_delay_alu instid0(VALU_DEP_3) | instskip(NEXT) | instid1(VALU_DEP_3)
	v_add_f32_e32 v4, -0.5, v4
	v_or_b32_e32 v3, 0x70000000, v3
	s_delay_alu instid0(VALU_DEP_1) | instskip(NEXT) | instid1(VALU_DEP_1)
	v_mul_f32_e32 v3, 0x7800000, v3
	v_cndmask_b32_e32 v1, v3, v4, vcc_lo
	s_delay_alu instid0(VALU_DEP_1) | instskip(NEXT) | instid1(VALU_DEP_1)
	v_and_or_b32 v0, 0x80000000, v0, v1
	v_trunc_f32_e32 v0, v0
	s_delay_alu instid0(VALU_DEP_1) | instskip(NEXT) | instid1(VALU_DEP_1)
	v_mul_f32_e32 v1, 0x2f800000, v0
	v_floor_f32_e32 v1, v1
	s_delay_alu instid0(VALU_DEP_1) | instskip(SKIP_1) | instid1(VALU_DEP_2)
	v_fmamk_f32 v0, v1, 0xcf800000, v0
	v_cvt_u32_f32_e32 v5, v1
	v_cvt_u32_f32_e32 v4, v0
.LBB364_1252:
	s_mov_b32 s7, 0
	s_mov_b32 s12, -1
.LBB364_1253:
	s_and_not1_b32 vcc_lo, exec_lo, s7
	s_mov_b32 s7, 0
	s_cbranch_vccnz .LBB364_1264
; %bb.1254:
	s_cmp_gt_i32 s1, 14
	s_cbranch_scc0 .LBB364_1257
; %bb.1255:
	s_cmp_eq_u32 s1, 15
	s_cbranch_scc0 .LBB364_1260
; %bb.1256:
	global_load_u16 v0, v[8:9], off
	s_mov_b32 s6, 0
	s_mov_b32 s12, -1
	s_wait_loadcnt 0x0
	v_lshlrev_b32_e32 v0, 16, v0
	s_delay_alu instid0(VALU_DEP_1) | instskip(NEXT) | instid1(VALU_DEP_1)
	v_trunc_f32_e32 v0, v0
	v_mul_f32_e32 v1, 0x2f800000, v0
	s_delay_alu instid0(VALU_DEP_1) | instskip(NEXT) | instid1(VALU_DEP_1)
	v_floor_f32_e32 v1, v1
	v_fmamk_f32 v0, v1, 0xcf800000, v0
	v_cvt_u32_f32_e32 v5, v1
	s_delay_alu instid0(VALU_DEP_2)
	v_cvt_u32_f32_e32 v4, v0
	s_branch .LBB364_1262
.LBB364_1257:
	s_mov_b32 s7, -1
	s_branch .LBB364_1261
.LBB364_1258:
	s_and_not1_saveexec_b32 s7, s7
	s_cbranch_execz .LBB364_1239
.LBB364_1259:
	v_cmp_ne_u16_e32 vcc_lo, 0, v0
	s_and_not1_b32 s12, s12, exec_lo
	s_and_b32 s14, vcc_lo, exec_lo
	s_delay_alu instid0(SALU_CYCLE_1)
	s_or_b32 s12, s12, s14
	s_or_b32 exec_lo, exec_lo, s7
	v_mov_b64_e32 v[4:5], 0
	s_and_saveexec_b32 s7, s12
	s_cbranch_execnz .LBB364_1240
	s_branch .LBB364_1241
.LBB364_1260:
	s_mov_b32 s6, -1
.LBB364_1261:
                                        ; implicit-def: $vgpr4_vgpr5
.LBB364_1262:
	s_and_b32 vcc_lo, exec_lo, s7
	s_mov_b32 s7, 0
	s_cbranch_vccz .LBB364_1264
; %bb.1263:
	s_cmp_lg_u32 s1, 11
	s_mov_b32 s7, -1
	s_cselect_b32 s1, -1, 0
	s_and_not1_b32 s6, s6, exec_lo
	s_and_b32 s1, s1, exec_lo
	s_delay_alu instid0(SALU_CYCLE_1)
	s_or_b32 s6, s6, s1
.LBB364_1264:
	s_mov_b32 s1, 0
.LBB364_1265:
	s_delay_alu instid0(SALU_CYCLE_1)
	s_and_b32 s51, s1, exec_lo
	s_and_not1_b32 s1, s48, exec_lo
	s_and_b32 s6, s6, exec_lo
	s_and_b32 s26, s12, exec_lo
	;; [unrolled: 1-line block ×3, first 2 shown]
	s_or_b32 s52, s1, s6
.LBB364_1266:
	s_wait_xcnt 0x0
	s_or_b32 exec_lo, exec_lo, s37
	s_delay_alu instid0(SALU_CYCLE_1)
	s_and_not1_b32 s1, s48, exec_lo
	s_and_b32 s6, s52, exec_lo
	s_and_b32 s26, s26, exec_lo
	;; [unrolled: 1-line block ×4, first 2 shown]
	s_or_b32 s48, s1, s6
.LBB364_1267:
	s_or_b32 exec_lo, exec_lo, s47
	s_delay_alu instid0(SALU_CYCLE_1)
	s_and_not1_b32 s1, s44, exec_lo
	s_and_b32 s6, s49, exec_lo
	s_and_not1_b32 s7, s45, exec_lo
	s_and_b32 s12, s50, exec_lo
	s_or_b32 s44, s1, s6
	s_and_not1_b32 s1, s43, exec_lo
	s_and_b32 s6, s48, exec_lo
	s_or_b32 s45, s7, s12
	s_and_b32 s26, s26, exec_lo
	s_and_b32 s47, s51, exec_lo
	;; [unrolled: 1-line block ×3, first 2 shown]
	s_or_b32 s43, s1, s6
.LBB364_1268:
	s_or_b32 exec_lo, exec_lo, s46
	s_delay_alu instid0(SALU_CYCLE_1)
	s_and_not1_b32 s1, s39, exec_lo
	s_and_b32 s6, s44, exec_lo
	s_and_not1_b32 s7, s40, exec_lo
	s_and_b32 s12, s45, exec_lo
	s_or_b32 s39, s1, s6
	s_and_not1_b32 s1, s41, exec_lo
	s_and_b32 s6, s43, exec_lo
	s_or_b32 s40, s7, s12
	s_and_b32 s26, s26, exec_lo
	s_and_b32 s44, s47, exec_lo
	;; [unrolled: 1-line block ×3, first 2 shown]
	s_or_b32 s41, s1, s6
	s_or_b32 exec_lo, exec_lo, s42
	s_mov_b32 s1, 0
	s_and_saveexec_b32 s6, s41
	s_cbranch_execz .LBB364_394
.LBB364_1269:
	s_mov_b32 s1, exec_lo
	s_and_not1_b32 s21, s21, exec_lo
	s_trap 2
	s_or_b32 exec_lo, exec_lo, s6
	s_and_saveexec_b32 s6, s21
	s_delay_alu instid0(SALU_CYCLE_1)
	s_xor_b32 s6, exec_lo, s6
	s_cbranch_execnz .LBB364_395
.LBB364_1270:
	s_or_b32 exec_lo, exec_lo, s6
	s_and_saveexec_b32 s6, s44
	s_cbranch_execz .LBB364_1316
.LBB364_1271:
	s_sext_i32_i16 s7, s0
	s_delay_alu instid0(SALU_CYCLE_1)
	s_cmp_lt_i32 s7, 5
	s_cbranch_scc1 .LBB364_1276
; %bb.1272:
	s_cmp_lt_i32 s7, 8
	s_cbranch_scc1 .LBB364_1277
; %bb.1273:
	;; [unrolled: 3-line block ×3, first 2 shown]
	s_cmp_gt_i32 s7, 9
	s_cbranch_scc0 .LBB364_1279
; %bb.1275:
	s_wait_loadcnt 0x0
	global_load_b64 v[0:1], v[8:9], off
	s_mov_b32 s7, 0
	s_wait_loadcnt 0x0
	v_trunc_f64_e32 v[0:1], v[0:1]
	s_delay_alu instid0(VALU_DEP_1) | instskip(NEXT) | instid1(VALU_DEP_1)
	v_ldexp_f64 v[4:5], v[0:1], 0xffffffe0
	v_floor_f64_e32 v[4:5], v[4:5]
	s_delay_alu instid0(VALU_DEP_1) | instskip(SKIP_1) | instid1(VALU_DEP_2)
	v_fmamk_f64 v[0:1], v[4:5], 0xc1f00000, v[0:1]
	v_cvt_u32_f64_e32 v5, v[4:5]
	v_cvt_u32_f64_e32 v4, v[0:1]
	s_branch .LBB364_1280
.LBB364_1276:
                                        ; implicit-def: $vgpr4_vgpr5
	s_branch .LBB364_1297
.LBB364_1277:
                                        ; implicit-def: $vgpr4_vgpr5
	s_branch .LBB364_1286
.LBB364_1278:
	s_mov_b32 s7, -1
                                        ; implicit-def: $vgpr4_vgpr5
	s_branch .LBB364_1283
.LBB364_1279:
	s_mov_b32 s7, -1
                                        ; implicit-def: $vgpr4_vgpr5
.LBB364_1280:
	s_delay_alu instid0(SALU_CYCLE_1)
	s_and_not1_b32 vcc_lo, exec_lo, s7
	s_cbranch_vccnz .LBB364_1282
; %bb.1281:
	s_wait_loadcnt 0x0
	global_load_b32 v0, v[8:9], off
	s_wait_loadcnt 0x0
	v_trunc_f32_e32 v0, v0
	s_delay_alu instid0(VALU_DEP_1) | instskip(NEXT) | instid1(VALU_DEP_1)
	v_mul_f32_e32 v1, 0x2f800000, v0
	v_floor_f32_e32 v1, v1
	s_delay_alu instid0(VALU_DEP_1) | instskip(SKIP_1) | instid1(VALU_DEP_2)
	v_fmamk_f32 v0, v1, 0xcf800000, v0
	v_cvt_u32_f32_e32 v5, v1
	v_cvt_u32_f32_e32 v4, v0
.LBB364_1282:
	s_mov_b32 s7, 0
.LBB364_1283:
	s_delay_alu instid0(SALU_CYCLE_1)
	s_and_not1_b32 vcc_lo, exec_lo, s7
	s_cbranch_vccnz .LBB364_1285
; %bb.1284:
	s_wait_loadcnt 0x0
	global_load_b32 v0, v[8:9], off
	v_mov_b32_e32 v5, 0
	s_wait_loadcnt 0x0
	v_cvt_f32_f16_e32 v0, v0
	s_delay_alu instid0(VALU_DEP_1)
	v_cvt_u32_f32_e32 v4, v0
.LBB364_1285:
	s_cbranch_execnz .LBB364_1296
.LBB364_1286:
	s_sext_i32_i16 s7, s0
	s_delay_alu instid0(SALU_CYCLE_1)
	s_cmp_lt_i32 s7, 6
	s_cbranch_scc1 .LBB364_1289
; %bb.1287:
	s_cmp_gt_i32 s7, 6
	s_cbranch_scc0 .LBB364_1290
; %bb.1288:
	s_wait_loadcnt 0x0
	global_load_b64 v[0:1], v[8:9], off
	s_mov_b32 s7, 0
	s_wait_loadcnt 0x0
	v_trunc_f64_e32 v[0:1], v[0:1]
	s_delay_alu instid0(VALU_DEP_1) | instskip(NEXT) | instid1(VALU_DEP_1)
	v_ldexp_f64 v[4:5], v[0:1], 0xffffffe0
	v_floor_f64_e32 v[4:5], v[4:5]
	s_delay_alu instid0(VALU_DEP_1) | instskip(SKIP_1) | instid1(VALU_DEP_2)
	v_fmamk_f64 v[0:1], v[4:5], 0xc1f00000, v[0:1]
	v_cvt_u32_f64_e32 v5, v[4:5]
	v_cvt_u32_f64_e32 v4, v[0:1]
	s_branch .LBB364_1291
.LBB364_1289:
	s_mov_b32 s7, -1
                                        ; implicit-def: $vgpr4_vgpr5
	s_branch .LBB364_1294
.LBB364_1290:
	s_mov_b32 s7, -1
                                        ; implicit-def: $vgpr4_vgpr5
.LBB364_1291:
	s_delay_alu instid0(SALU_CYCLE_1)
	s_and_not1_b32 vcc_lo, exec_lo, s7
	s_cbranch_vccnz .LBB364_1293
; %bb.1292:
	s_wait_loadcnt 0x0
	global_load_b32 v0, v[8:9], off
	s_wait_loadcnt 0x0
	v_trunc_f32_e32 v0, v0
	s_delay_alu instid0(VALU_DEP_1) | instskip(NEXT) | instid1(VALU_DEP_1)
	v_mul_f32_e32 v1, 0x2f800000, v0
	v_floor_f32_e32 v1, v1
	s_delay_alu instid0(VALU_DEP_1) | instskip(SKIP_1) | instid1(VALU_DEP_2)
	v_fmamk_f32 v0, v1, 0xcf800000, v0
	v_cvt_u32_f32_e32 v5, v1
	v_cvt_u32_f32_e32 v4, v0
.LBB364_1293:
	s_mov_b32 s7, 0
.LBB364_1294:
	s_delay_alu instid0(SALU_CYCLE_1)
	s_and_not1_b32 vcc_lo, exec_lo, s7
	s_cbranch_vccnz .LBB364_1296
; %bb.1295:
	s_wait_loadcnt 0x0
	global_load_u16 v0, v[8:9], off
	v_mov_b32_e32 v5, 0
	s_wait_loadcnt 0x0
	v_cvt_f32_f16_e32 v0, v0
	s_delay_alu instid0(VALU_DEP_1)
	v_cvt_u32_f32_e32 v4, v0
.LBB364_1296:
	s_cbranch_execnz .LBB364_1315
.LBB364_1297:
	s_sext_i32_i16 s7, s0
	s_delay_alu instid0(SALU_CYCLE_1)
	s_cmp_lt_i32 s7, 2
	s_cbranch_scc1 .LBB364_1301
; %bb.1298:
	s_cmp_lt_i32 s7, 3
	s_cbranch_scc1 .LBB364_1302
; %bb.1299:
	s_cmp_gt_i32 s7, 3
	s_cbranch_scc0 .LBB364_1303
; %bb.1300:
	s_wait_loadcnt 0x0
	global_load_b64 v[4:5], v[8:9], off
	s_mov_b32 s7, 0
	s_branch .LBB364_1304
.LBB364_1301:
                                        ; implicit-def: $vgpr4_vgpr5
	s_branch .LBB364_1310
.LBB364_1302:
	s_mov_b32 s7, -1
                                        ; implicit-def: $vgpr4_vgpr5
	s_branch .LBB364_1307
.LBB364_1303:
	s_mov_b32 s7, -1
                                        ; implicit-def: $vgpr4_vgpr5
.LBB364_1304:
	s_delay_alu instid0(SALU_CYCLE_1)
	s_and_not1_b32 vcc_lo, exec_lo, s7
	s_cbranch_vccnz .LBB364_1306
; %bb.1305:
	s_wait_loadcnt 0x0
	global_load_b32 v4, v[8:9], off
	s_wait_loadcnt 0x0
	v_ashrrev_i32_e32 v5, 31, v4
.LBB364_1306:
	s_mov_b32 s7, 0
.LBB364_1307:
	s_delay_alu instid0(SALU_CYCLE_1)
	s_and_not1_b32 vcc_lo, exec_lo, s7
	s_cbranch_vccnz .LBB364_1309
; %bb.1308:
	s_wait_loadcnt 0x0
	global_load_u16 v0, v[8:9], off
	s_wait_loadcnt 0x0
	v_bfe_i32 v4, v0, 0, 16
	s_delay_alu instid0(VALU_DEP_1)
	v_ashrrev_i32_e32 v5, 31, v4
.LBB364_1309:
	s_cbranch_execnz .LBB364_1315
.LBB364_1310:
	s_sext_i32_i16 s0, s0
	s_delay_alu instid0(SALU_CYCLE_1)
	s_cmp_gt_i32 s0, 0
	s_mov_b32 s0, 0
	s_cbranch_scc0 .LBB364_1312
; %bb.1311:
	s_wait_loadcnt 0x0
	global_load_i8 v0, v[8:9], off
	s_wait_loadcnt 0x0
	v_bfe_i32 v4, v0, 0, 16
	s_delay_alu instid0(VALU_DEP_1)
	v_ashrrev_i32_e32 v5, 31, v4
	s_branch .LBB364_1313
.LBB364_1312:
	s_mov_b32 s0, -1
                                        ; implicit-def: $vgpr4_vgpr5
.LBB364_1313:
	s_delay_alu instid0(SALU_CYCLE_1)
	s_and_not1_b32 vcc_lo, exec_lo, s0
	s_cbranch_vccnz .LBB364_1315
; %bb.1314:
	s_wait_loadcnt 0x0
	global_load_u8 v0, v[8:9], off
	s_mov_b32 s0, 0
	s_delay_alu instid0(SALU_CYCLE_1)
	v_mov_b32_e32 v5, s0
	s_wait_loadcnt 0x0
	v_and_b32_e32 v4, 0xffff, v0
.LBB364_1315:
	s_or_b32 s26, s26, exec_lo
.LBB364_1316:
	s_wait_xcnt 0x0
	s_or_b32 exec_lo, exec_lo, s6
	s_mov_b32 s14, 0
	s_mov_b32 s7, 0
	;; [unrolled: 1-line block ×3, first 2 shown]
                                        ; implicit-def: $sgpr0
                                        ; implicit-def: $vgpr0_vgpr1
                                        ; implicit-def: $vgpr8_vgpr9
	s_and_saveexec_b32 s6, s26
	s_cbranch_execz .LBB364_1324
; %bb.1317:
	v_mov_b32_e32 v7, 0
	s_and_b32 s0, s13, 0xff
	s_delay_alu instid0(SALU_CYCLE_1) | instskip(NEXT) | instid1(VALU_DEP_1)
	s_cmp_lt_i32 s0, 11
	v_add_nc_u64_e32 v[0:1], s[8:9], v[6:7]
	s_cbranch_scc1 .LBB364_1327
; %bb.1318:
	s_and_b32 s7, 0xffff, s0
	s_mov_b32 s9, 0
	s_cmp_gt_i32 s7, 25
	s_cbranch_scc0 .LBB364_1328
; %bb.1319:
	s_cmp_gt_i32 s7, 28
	s_cbranch_scc0 .LBB364_1329
; %bb.1320:
	;; [unrolled: 3-line block ×4, first 2 shown]
	s_cmp_eq_u32 s7, 46
	s_mov_b32 s13, 0
	s_cbranch_scc0 .LBB364_1332
; %bb.1323:
	global_load_b32 v3, v[0:1], off
	s_mov_b32 s8, 0
	s_mov_b32 s12, -1
	s_wait_loadcnt 0x0
	v_lshlrev_b32_e32 v3, 16, v3
	s_delay_alu instid0(VALU_DEP_1) | instskip(NEXT) | instid1(VALU_DEP_1)
	v_trunc_f32_e32 v3, v3
	v_mul_f32_e32 v6, 0x2f800000, v3
	s_delay_alu instid0(VALU_DEP_1) | instskip(NEXT) | instid1(VALU_DEP_1)
	v_floor_f32_e32 v6, v6
	v_fmamk_f32 v3, v6, 0xcf800000, v3
	v_cvt_u32_f32_e32 v9, v6
	s_delay_alu instid0(VALU_DEP_2)
	v_cvt_u32_f32_e32 v8, v3
	s_branch .LBB364_1334
.LBB364_1324:
	s_or_b32 exec_lo, exec_lo, s6
	s_and_saveexec_b32 s6, s40
	s_cbranch_execnz .LBB364_1393
.LBB364_1325:
	s_or_b32 exec_lo, exec_lo, s6
	s_and_saveexec_b32 s6, s14
	s_delay_alu instid0(SALU_CYCLE_1)
	s_xor_b32 s6, exec_lo, s6
	s_cbranch_execz .LBB364_1394
.LBB364_1326:
	global_load_u8 v3, v[0:1], off
	s_mov_b32 s8, 0
	s_or_b32 s12, s12, exec_lo
	s_wait_loadcnt 0x1
	v_mov_b32_e32 v9, s8
	s_wait_loadcnt 0x0
	v_cmp_ne_u16_e32 vcc_lo, 0, v3
	v_cndmask_b32_e64 v8, 0, 1, vcc_lo
	s_wait_xcnt 0x0
	s_or_b32 exec_lo, exec_lo, s6
	s_and_saveexec_b32 s6, s7
	s_cbranch_execz .LBB364_1440
	s_branch .LBB364_1395
.LBB364_1327:
	s_mov_b32 s7, -1
	s_mov_b32 s9, 0
	s_mov_b32 s8, s40
                                        ; implicit-def: $vgpr8_vgpr9
	s_branch .LBB364_1392
.LBB364_1328:
	s_mov_b32 s8, s40
                                        ; implicit-def: $vgpr8_vgpr9
	s_cbranch_execnz .LBB364_1361
	s_branch .LBB364_1391
.LBB364_1329:
	s_mov_b32 s13, -1
	s_mov_b32 s8, s40
                                        ; implicit-def: $vgpr8_vgpr9
	s_branch .LBB364_1344
.LBB364_1330:
	s_mov_b32 s13, -1
	s_mov_b32 s8, s40
                                        ; implicit-def: $vgpr8_vgpr9
	s_branch .LBB364_1339
.LBB364_1331:
	s_mov_b32 s13, -1
	s_mov_b32 s8, s40
	s_branch .LBB364_1333
.LBB364_1332:
	s_mov_b32 s8, -1
.LBB364_1333:
                                        ; implicit-def: $vgpr8_vgpr9
.LBB364_1334:
	s_and_b32 vcc_lo, exec_lo, s13
	s_cbranch_vccz .LBB364_1338
; %bb.1335:
	s_cmp_eq_u32 s7, 44
	s_cbranch_scc0 .LBB364_1337
; %bb.1336:
	global_load_u8 v3, v[0:1], off
	s_mov_b32 s8, 0
	s_mov_b32 s12, -1
	s_wait_loadcnt 0x0
	v_lshlrev_b32_e32 v6, 23, v3
	v_cmp_ne_u32_e32 vcc_lo, 0, v3
	s_delay_alu instid0(VALU_DEP_2) | instskip(NEXT) | instid1(VALU_DEP_1)
	v_trunc_f32_e32 v6, v6
	v_mul_f32_e32 v7, 0x2f800000, v6
	s_delay_alu instid0(VALU_DEP_1) | instskip(NEXT) | instid1(VALU_DEP_1)
	v_floor_f32_e32 v7, v7
	v_fmamk_f32 v6, v7, 0xcf800000, v6
	v_cvt_u32_f32_e32 v7, v7
	s_delay_alu instid0(VALU_DEP_1) | instskip(NEXT) | instid1(VALU_DEP_3)
	v_cndmask_b32_e32 v9, 0, v7, vcc_lo
	v_cvt_u32_f32_e32 v6, v6
	s_delay_alu instid0(VALU_DEP_1)
	v_cndmask_b32_e32 v8, 0, v6, vcc_lo
	s_branch .LBB364_1338
.LBB364_1337:
	s_mov_b32 s8, -1
                                        ; implicit-def: $vgpr8_vgpr9
.LBB364_1338:
	s_mov_b32 s13, 0
.LBB364_1339:
	s_delay_alu instid0(SALU_CYCLE_1)
	s_and_b32 vcc_lo, exec_lo, s13
	s_cbranch_vccz .LBB364_1343
; %bb.1340:
	s_cmp_eq_u32 s7, 29
	s_cbranch_scc0 .LBB364_1342
; %bb.1341:
	s_wait_loadcnt 0x0
	global_load_b64 v[8:9], v[0:1], off
	s_mov_b32 s8, 0
	s_mov_b32 s12, -1
	s_branch .LBB364_1343
.LBB364_1342:
	s_mov_b32 s8, -1
                                        ; implicit-def: $vgpr8_vgpr9
.LBB364_1343:
	s_mov_b32 s13, 0
.LBB364_1344:
	s_delay_alu instid0(SALU_CYCLE_1)
	s_and_b32 vcc_lo, exec_lo, s13
	s_cbranch_vccz .LBB364_1360
; %bb.1345:
	s_cmp_lt_i32 s7, 27
	s_cbranch_scc1 .LBB364_1348
; %bb.1346:
	s_cmp_gt_i32 s7, 27
	s_cbranch_scc0 .LBB364_1349
; %bb.1347:
	s_wait_loadcnt 0x0
	global_load_b32 v8, v[0:1], off
	v_mov_b32_e32 v9, 0
	s_mov_b32 s12, 0
	s_branch .LBB364_1350
.LBB364_1348:
	s_mov_b32 s12, -1
                                        ; implicit-def: $vgpr8_vgpr9
	s_branch .LBB364_1353
.LBB364_1349:
	s_mov_b32 s12, -1
                                        ; implicit-def: $vgpr8_vgpr9
.LBB364_1350:
	s_delay_alu instid0(SALU_CYCLE_1)
	s_and_not1_b32 vcc_lo, exec_lo, s12
	s_cbranch_vccnz .LBB364_1352
; %bb.1351:
	global_load_u16 v3, v[0:1], off
	s_mov_b32 s12, 0
	s_wait_loadcnt 0x1
	v_mov_b32_e32 v9, s12
	s_wait_loadcnt 0x0
	v_and_b32_e32 v8, 0xffff, v3
.LBB364_1352:
	s_mov_b32 s12, 0
.LBB364_1353:
	s_delay_alu instid0(SALU_CYCLE_1)
	s_and_not1_b32 vcc_lo, exec_lo, s12
	s_cbranch_vccnz .LBB364_1359
; %bb.1354:
	global_load_u8 v3, v[0:1], off
	s_mov_b32 s13, 0
	s_mov_b32 s12, exec_lo
	s_wait_loadcnt 0x0
	v_cmpx_lt_i16_e32 0x7f, v3
	s_xor_b32 s12, exec_lo, s12
	s_cbranch_execz .LBB364_1370
; %bb.1355:
	v_cmp_ne_u16_e32 vcc_lo, 0x80, v3
	s_and_b32 s13, vcc_lo, exec_lo
	s_and_not1_saveexec_b32 s12, s12
	s_cbranch_execnz .LBB364_1371
.LBB364_1356:
	s_or_b32 exec_lo, exec_lo, s12
	v_mov_b64_e32 v[8:9], 0
	s_and_saveexec_b32 s12, s13
	s_cbranch_execz .LBB364_1358
.LBB364_1357:
	v_and_b32_e32 v6, 0xffff, v3
	s_delay_alu instid0(VALU_DEP_1) | instskip(SKIP_1) | instid1(VALU_DEP_2)
	v_and_b32_e32 v7, 7, v6
	v_bfe_u32 v10, v6, 3, 4
	v_clz_i32_u32_e32 v8, v7
	s_delay_alu instid0(VALU_DEP_2) | instskip(NEXT) | instid1(VALU_DEP_2)
	v_cmp_eq_u32_e32 vcc_lo, 0, v10
	v_min_u32_e32 v8, 32, v8
	s_delay_alu instid0(VALU_DEP_1) | instskip(NEXT) | instid1(VALU_DEP_1)
	v_subrev_nc_u32_e32 v9, 28, v8
	v_dual_lshlrev_b32 v6, v9, v6 :: v_dual_sub_nc_u32 v8, 29, v8
	s_delay_alu instid0(VALU_DEP_1) | instskip(NEXT) | instid1(VALU_DEP_1)
	v_dual_lshlrev_b32 v3, 24, v3 :: v_dual_bitop2_b32 v6, 7, v6 bitop3:0x40
	v_dual_cndmask_b32 v8, v10, v8, vcc_lo :: v_dual_cndmask_b32 v6, v7, v6, vcc_lo
	s_delay_alu instid0(VALU_DEP_2) | instskip(NEXT) | instid1(VALU_DEP_2)
	v_and_b32_e32 v3, 0x80000000, v3
	v_lshl_add_u32 v7, v8, 23, 0x3b800000
	s_delay_alu instid0(VALU_DEP_3) | instskip(NEXT) | instid1(VALU_DEP_1)
	v_lshlrev_b32_e32 v6, 20, v6
	v_or3_b32 v3, v3, v7, v6
	s_delay_alu instid0(VALU_DEP_1) | instskip(NEXT) | instid1(VALU_DEP_1)
	v_trunc_f32_e32 v3, v3
	v_mul_f32_e32 v6, 0x2f800000, v3
	s_delay_alu instid0(VALU_DEP_1) | instskip(NEXT) | instid1(VALU_DEP_1)
	v_floor_f32_e32 v6, v6
	v_fmamk_f32 v3, v6, 0xcf800000, v3
	v_cvt_u32_f32_e32 v9, v6
	s_delay_alu instid0(VALU_DEP_2)
	v_cvt_u32_f32_e32 v8, v3
.LBB364_1358:
	s_or_b32 exec_lo, exec_lo, s12
.LBB364_1359:
	s_mov_b32 s12, -1
.LBB364_1360:
	s_branch .LBB364_1391
.LBB364_1361:
	s_cmp_gt_i32 s7, 22
	s_cbranch_scc0 .LBB364_1369
; %bb.1362:
	s_cmp_lt_i32 s7, 24
	s_cbranch_scc1 .LBB364_1372
; %bb.1363:
	s_cmp_gt_i32 s7, 24
	s_cbranch_scc0 .LBB364_1373
; %bb.1364:
	global_load_u8 v3, v[0:1], off
	s_mov_b32 s12, 0
	s_mov_b32 s9, exec_lo
	s_wait_loadcnt 0x0
	v_cmpx_lt_i16_e32 0x7f, v3
	s_xor_b32 s9, exec_lo, s9
	s_cbranch_execz .LBB364_1385
; %bb.1365:
	v_cmp_ne_u16_e32 vcc_lo, 0x80, v3
	s_and_b32 s12, vcc_lo, exec_lo
	s_and_not1_saveexec_b32 s9, s9
	s_cbranch_execnz .LBB364_1386
.LBB364_1366:
	s_or_b32 exec_lo, exec_lo, s9
	v_mov_b64_e32 v[8:9], 0
	s_and_saveexec_b32 s9, s12
	s_cbranch_execz .LBB364_1368
.LBB364_1367:
	v_and_b32_e32 v6, 0xffff, v3
	s_delay_alu instid0(VALU_DEP_1) | instskip(SKIP_1) | instid1(VALU_DEP_2)
	v_and_b32_e32 v7, 3, v6
	v_bfe_u32 v10, v6, 2, 5
	v_clz_i32_u32_e32 v8, v7
	s_delay_alu instid0(VALU_DEP_2) | instskip(NEXT) | instid1(VALU_DEP_2)
	v_cmp_eq_u32_e32 vcc_lo, 0, v10
	v_min_u32_e32 v8, 32, v8
	s_delay_alu instid0(VALU_DEP_1) | instskip(NEXT) | instid1(VALU_DEP_1)
	v_subrev_nc_u32_e32 v9, 29, v8
	v_dual_lshlrev_b32 v6, v9, v6 :: v_dual_sub_nc_u32 v8, 30, v8
	s_delay_alu instid0(VALU_DEP_1) | instskip(NEXT) | instid1(VALU_DEP_1)
	v_dual_lshlrev_b32 v3, 24, v3 :: v_dual_bitop2_b32 v6, 3, v6 bitop3:0x40
	v_dual_cndmask_b32 v8, v10, v8, vcc_lo :: v_dual_cndmask_b32 v6, v7, v6, vcc_lo
	s_delay_alu instid0(VALU_DEP_2) | instskip(NEXT) | instid1(VALU_DEP_2)
	v_and_b32_e32 v3, 0x80000000, v3
	v_lshl_add_u32 v7, v8, 23, 0x37800000
	s_delay_alu instid0(VALU_DEP_3) | instskip(NEXT) | instid1(VALU_DEP_1)
	v_lshlrev_b32_e32 v6, 21, v6
	v_or3_b32 v3, v3, v7, v6
	s_delay_alu instid0(VALU_DEP_1) | instskip(NEXT) | instid1(VALU_DEP_1)
	v_trunc_f32_e32 v3, v3
	v_mul_f32_e32 v6, 0x2f800000, v3
	s_delay_alu instid0(VALU_DEP_1) | instskip(NEXT) | instid1(VALU_DEP_1)
	v_floor_f32_e32 v6, v6
	v_fmamk_f32 v3, v6, 0xcf800000, v3
	v_cvt_u32_f32_e32 v9, v6
	s_delay_alu instid0(VALU_DEP_2)
	v_cvt_u32_f32_e32 v8, v3
.LBB364_1368:
	s_or_b32 exec_lo, exec_lo, s9
	s_mov_b32 s9, 0
	s_branch .LBB364_1374
.LBB364_1369:
	s_mov_b32 s9, -1
                                        ; implicit-def: $vgpr8_vgpr9
	s_branch .LBB364_1380
.LBB364_1370:
	s_and_not1_saveexec_b32 s12, s12
	s_cbranch_execz .LBB364_1356
.LBB364_1371:
	v_cmp_ne_u16_e32 vcc_lo, 0, v3
	s_and_not1_b32 s13, s13, exec_lo
	s_and_b32 s14, vcc_lo, exec_lo
	s_delay_alu instid0(SALU_CYCLE_1)
	s_or_b32 s13, s13, s14
	s_or_b32 exec_lo, exec_lo, s12
	v_mov_b64_e32 v[8:9], 0
	s_and_saveexec_b32 s12, s13
	s_cbranch_execnz .LBB364_1357
	s_branch .LBB364_1358
.LBB364_1372:
	s_mov_b32 s9, -1
                                        ; implicit-def: $vgpr8_vgpr9
	s_branch .LBB364_1377
.LBB364_1373:
	s_mov_b32 s9, -1
                                        ; implicit-def: $vgpr8_vgpr9
.LBB364_1374:
	s_delay_alu instid0(SALU_CYCLE_1)
	s_and_b32 vcc_lo, exec_lo, s9
	s_cbranch_vccz .LBB364_1376
; %bb.1375:
	global_load_u8 v3, v[0:1], off
	s_wait_loadcnt 0x0
	v_lshlrev_b32_e32 v3, 24, v3
	s_delay_alu instid0(VALU_DEP_1) | instskip(NEXT) | instid1(VALU_DEP_1)
	v_and_b32_e32 v6, 0x7f000000, v3
	v_clz_i32_u32_e32 v7, v6
	v_cmp_ne_u32_e32 vcc_lo, 0, v6
	v_add_nc_u32_e32 v9, 0x1000000, v6
	s_delay_alu instid0(VALU_DEP_3) | instskip(NEXT) | instid1(VALU_DEP_1)
	v_min_u32_e32 v7, 32, v7
	v_sub_nc_u32_e64 v7, v7, 4 clamp
	s_delay_alu instid0(VALU_DEP_1) | instskip(NEXT) | instid1(VALU_DEP_1)
	v_dual_lshlrev_b32 v8, v7, v6 :: v_dual_lshlrev_b32 v7, 23, v7
	v_lshrrev_b32_e32 v8, 4, v8
	s_delay_alu instid0(VALU_DEP_1) | instskip(NEXT) | instid1(VALU_DEP_1)
	v_dual_sub_nc_u32 v7, v8, v7 :: v_dual_ashrrev_i32 v8, 8, v9
	v_add_nc_u32_e32 v7, 0x3c000000, v7
	s_delay_alu instid0(VALU_DEP_1) | instskip(NEXT) | instid1(VALU_DEP_1)
	v_and_or_b32 v7, 0x7f800000, v8, v7
	v_cndmask_b32_e32 v6, 0, v7, vcc_lo
	s_delay_alu instid0(VALU_DEP_1) | instskip(NEXT) | instid1(VALU_DEP_1)
	v_and_or_b32 v3, 0x80000000, v3, v6
	v_trunc_f32_e32 v3, v3
	s_delay_alu instid0(VALU_DEP_1) | instskip(NEXT) | instid1(VALU_DEP_1)
	v_mul_f32_e32 v6, 0x2f800000, v3
	v_floor_f32_e32 v6, v6
	s_delay_alu instid0(VALU_DEP_1) | instskip(SKIP_1) | instid1(VALU_DEP_2)
	v_fmamk_f32 v3, v6, 0xcf800000, v3
	v_cvt_u32_f32_e32 v9, v6
	v_cvt_u32_f32_e32 v8, v3
.LBB364_1376:
	s_mov_b32 s9, 0
.LBB364_1377:
	s_delay_alu instid0(SALU_CYCLE_1)
	s_and_not1_b32 vcc_lo, exec_lo, s9
	s_cbranch_vccnz .LBB364_1379
; %bb.1378:
	global_load_u8 v3, v[0:1], off
	s_wait_loadcnt 0x0
	v_lshlrev_b32_e32 v6, 25, v3
	v_lshlrev_b16 v3, 8, v3
	s_delay_alu instid0(VALU_DEP_1) | instskip(SKIP_1) | instid1(VALU_DEP_2)
	v_and_or_b32 v8, 0x7f00, v3, 0.5
	v_bfe_i32 v3, v3, 0, 16
	v_dual_add_f32 v8, -0.5, v8 :: v_dual_lshrrev_b32 v7, 4, v6
	v_cmp_gt_u32_e32 vcc_lo, 0x8000000, v6
	s_delay_alu instid0(VALU_DEP_2) | instskip(NEXT) | instid1(VALU_DEP_1)
	v_or_b32_e32 v7, 0x70000000, v7
	v_mul_f32_e32 v7, 0x7800000, v7
	s_delay_alu instid0(VALU_DEP_1) | instskip(NEXT) | instid1(VALU_DEP_1)
	v_cndmask_b32_e32 v6, v7, v8, vcc_lo
	v_and_or_b32 v3, 0x80000000, v3, v6
	s_delay_alu instid0(VALU_DEP_1) | instskip(NEXT) | instid1(VALU_DEP_1)
	v_trunc_f32_e32 v3, v3
	v_mul_f32_e32 v6, 0x2f800000, v3
	s_delay_alu instid0(VALU_DEP_1) | instskip(NEXT) | instid1(VALU_DEP_1)
	v_floor_f32_e32 v6, v6
	v_fmamk_f32 v3, v6, 0xcf800000, v3
	v_cvt_u32_f32_e32 v9, v6
	s_delay_alu instid0(VALU_DEP_2)
	v_cvt_u32_f32_e32 v8, v3
.LBB364_1379:
	s_mov_b32 s9, 0
	s_mov_b32 s12, -1
.LBB364_1380:
	s_and_not1_b32 vcc_lo, exec_lo, s9
	s_mov_b32 s9, 0
	s_cbranch_vccnz .LBB364_1391
; %bb.1381:
	s_cmp_gt_i32 s7, 14
	s_cbranch_scc0 .LBB364_1384
; %bb.1382:
	s_cmp_eq_u32 s7, 15
	s_cbranch_scc0 .LBB364_1387
; %bb.1383:
	global_load_u16 v3, v[0:1], off
	s_mov_b32 s8, 0
	s_mov_b32 s12, -1
	s_wait_loadcnt 0x0
	v_lshlrev_b32_e32 v3, 16, v3
	s_delay_alu instid0(VALU_DEP_1) | instskip(NEXT) | instid1(VALU_DEP_1)
	v_trunc_f32_e32 v3, v3
	v_mul_f32_e32 v6, 0x2f800000, v3
	s_delay_alu instid0(VALU_DEP_1) | instskip(NEXT) | instid1(VALU_DEP_1)
	v_floor_f32_e32 v6, v6
	v_fmamk_f32 v3, v6, 0xcf800000, v3
	v_cvt_u32_f32_e32 v9, v6
	s_delay_alu instid0(VALU_DEP_2)
	v_cvt_u32_f32_e32 v8, v3
	s_branch .LBB364_1389
.LBB364_1384:
	s_mov_b32 s9, -1
	s_branch .LBB364_1388
.LBB364_1385:
	s_and_not1_saveexec_b32 s9, s9
	s_cbranch_execz .LBB364_1366
.LBB364_1386:
	v_cmp_ne_u16_e32 vcc_lo, 0, v3
	s_and_not1_b32 s12, s12, exec_lo
	s_and_b32 s13, vcc_lo, exec_lo
	s_delay_alu instid0(SALU_CYCLE_1)
	s_or_b32 s12, s12, s13
	s_or_b32 exec_lo, exec_lo, s9
	v_mov_b64_e32 v[8:9], 0
	s_and_saveexec_b32 s9, s12
	s_cbranch_execnz .LBB364_1367
	s_branch .LBB364_1368
.LBB364_1387:
	s_mov_b32 s8, -1
.LBB364_1388:
                                        ; implicit-def: $vgpr8_vgpr9
.LBB364_1389:
	s_and_b32 vcc_lo, exec_lo, s9
	s_mov_b32 s9, 0
	s_cbranch_vccz .LBB364_1391
; %bb.1390:
	s_cmp_lg_u32 s7, 11
	s_mov_b32 s9, -1
	s_cselect_b32 s7, -1, 0
	s_and_not1_b32 s8, s8, exec_lo
	s_and_b32 s7, s7, exec_lo
	s_delay_alu instid0(SALU_CYCLE_1)
	s_or_b32 s8, s8, s7
.LBB364_1391:
	s_mov_b32 s7, 0
.LBB364_1392:
	s_and_not1_b32 s13, s40, exec_lo
	s_and_b32 s8, s8, exec_lo
	s_and_b32 s12, s12, exec_lo
	;; [unrolled: 1-line block ×4, first 2 shown]
	s_or_b32 s40, s13, s8
	s_wait_xcnt 0x0
	s_or_b32 exec_lo, exec_lo, s6
	s_and_saveexec_b32 s6, s40
	s_cbranch_execz .LBB364_1325
.LBB364_1393:
	s_or_b32 s1, s1, exec_lo
	s_and_not1_b32 s14, s14, exec_lo
	s_trap 2
	s_or_b32 exec_lo, exec_lo, s6
	s_and_saveexec_b32 s6, s14
	s_delay_alu instid0(SALU_CYCLE_1)
	s_xor_b32 s6, exec_lo, s6
	s_cbranch_execnz .LBB364_1326
.LBB364_1394:
	s_or_b32 exec_lo, exec_lo, s6
	s_and_saveexec_b32 s6, s7
	s_cbranch_execz .LBB364_1440
.LBB364_1395:
	s_sext_i32_i16 s7, s0
	s_delay_alu instid0(SALU_CYCLE_1)
	s_cmp_lt_i32 s7, 5
	s_cbranch_scc1 .LBB364_1400
; %bb.1396:
	s_cmp_lt_i32 s7, 8
	s_cbranch_scc1 .LBB364_1401
; %bb.1397:
	;; [unrolled: 3-line block ×3, first 2 shown]
	s_cmp_gt_i32 s7, 9
	s_cbranch_scc0 .LBB364_1403
; %bb.1399:
	global_load_b64 v[6:7], v[0:1], off
	s_mov_b32 s7, 0
	s_wait_loadcnt 0x0
	v_trunc_f64_e32 v[6:7], v[6:7]
	s_delay_alu instid0(VALU_DEP_1) | instskip(NEXT) | instid1(VALU_DEP_1)
	v_ldexp_f64 v[8:9], v[6:7], 0xffffffe0
	v_floor_f64_e32 v[8:9], v[8:9]
	s_delay_alu instid0(VALU_DEP_1) | instskip(SKIP_1) | instid1(VALU_DEP_2)
	v_fmamk_f64 v[6:7], v[8:9], 0xc1f00000, v[6:7]
	v_cvt_u32_f64_e32 v9, v[8:9]
	v_cvt_u32_f64_e32 v8, v[6:7]
	s_branch .LBB364_1404
.LBB364_1400:
                                        ; implicit-def: $vgpr8_vgpr9
	s_branch .LBB364_1421
.LBB364_1401:
                                        ; implicit-def: $vgpr8_vgpr9
	s_branch .LBB364_1410
.LBB364_1402:
	s_mov_b32 s7, -1
                                        ; implicit-def: $vgpr8_vgpr9
	s_branch .LBB364_1407
.LBB364_1403:
	s_mov_b32 s7, -1
                                        ; implicit-def: $vgpr8_vgpr9
.LBB364_1404:
	s_delay_alu instid0(SALU_CYCLE_1)
	s_and_not1_b32 vcc_lo, exec_lo, s7
	s_cbranch_vccnz .LBB364_1406
; %bb.1405:
	global_load_b32 v3, v[0:1], off
	s_wait_loadcnt 0x0
	v_trunc_f32_e32 v3, v3
	s_delay_alu instid0(VALU_DEP_1) | instskip(NEXT) | instid1(VALU_DEP_1)
	v_mul_f32_e32 v6, 0x2f800000, v3
	v_floor_f32_e32 v6, v6
	s_delay_alu instid0(VALU_DEP_1) | instskip(SKIP_1) | instid1(VALU_DEP_2)
	v_fmamk_f32 v3, v6, 0xcf800000, v3
	v_cvt_u32_f32_e32 v9, v6
	v_cvt_u32_f32_e32 v8, v3
.LBB364_1406:
	s_mov_b32 s7, 0
.LBB364_1407:
	s_delay_alu instid0(SALU_CYCLE_1)
	s_and_not1_b32 vcc_lo, exec_lo, s7
	s_cbranch_vccnz .LBB364_1409
; %bb.1408:
	global_load_b32 v3, v[0:1], off
	s_wait_loadcnt 0x1
	v_mov_b32_e32 v9, 0
	s_wait_loadcnt 0x0
	v_cvt_f32_f16_e32 v3, v3
	s_delay_alu instid0(VALU_DEP_1)
	v_cvt_u32_f32_e32 v8, v3
.LBB364_1409:
	s_cbranch_execnz .LBB364_1420
.LBB364_1410:
	s_sext_i32_i16 s7, s0
	s_delay_alu instid0(SALU_CYCLE_1)
	s_cmp_lt_i32 s7, 6
	s_cbranch_scc1 .LBB364_1413
; %bb.1411:
	s_cmp_gt_i32 s7, 6
	s_cbranch_scc0 .LBB364_1414
; %bb.1412:
	global_load_b64 v[6:7], v[0:1], off
	s_mov_b32 s7, 0
	s_wait_loadcnt 0x0
	v_trunc_f64_e32 v[6:7], v[6:7]
	s_delay_alu instid0(VALU_DEP_1) | instskip(NEXT) | instid1(VALU_DEP_1)
	v_ldexp_f64 v[8:9], v[6:7], 0xffffffe0
	v_floor_f64_e32 v[8:9], v[8:9]
	s_delay_alu instid0(VALU_DEP_1) | instskip(SKIP_1) | instid1(VALU_DEP_2)
	v_fmamk_f64 v[6:7], v[8:9], 0xc1f00000, v[6:7]
	v_cvt_u32_f64_e32 v9, v[8:9]
	v_cvt_u32_f64_e32 v8, v[6:7]
	s_branch .LBB364_1415
.LBB364_1413:
	s_mov_b32 s7, -1
                                        ; implicit-def: $vgpr8_vgpr9
	s_branch .LBB364_1418
.LBB364_1414:
	s_mov_b32 s7, -1
                                        ; implicit-def: $vgpr8_vgpr9
.LBB364_1415:
	s_delay_alu instid0(SALU_CYCLE_1)
	s_and_not1_b32 vcc_lo, exec_lo, s7
	s_cbranch_vccnz .LBB364_1417
; %bb.1416:
	global_load_b32 v3, v[0:1], off
	s_wait_loadcnt 0x0
	v_trunc_f32_e32 v3, v3
	s_delay_alu instid0(VALU_DEP_1) | instskip(NEXT) | instid1(VALU_DEP_1)
	v_mul_f32_e32 v6, 0x2f800000, v3
	v_floor_f32_e32 v6, v6
	s_delay_alu instid0(VALU_DEP_1) | instskip(SKIP_1) | instid1(VALU_DEP_2)
	v_fmamk_f32 v3, v6, 0xcf800000, v3
	v_cvt_u32_f32_e32 v9, v6
	v_cvt_u32_f32_e32 v8, v3
.LBB364_1417:
	s_mov_b32 s7, 0
.LBB364_1418:
	s_delay_alu instid0(SALU_CYCLE_1)
	s_and_not1_b32 vcc_lo, exec_lo, s7
	s_cbranch_vccnz .LBB364_1420
; %bb.1419:
	global_load_u16 v3, v[0:1], off
	s_wait_loadcnt 0x1
	v_mov_b32_e32 v9, 0
	s_wait_loadcnt 0x0
	v_cvt_f32_f16_e32 v3, v3
	s_delay_alu instid0(VALU_DEP_1)
	v_cvt_u32_f32_e32 v8, v3
.LBB364_1420:
	s_cbranch_execnz .LBB364_1439
.LBB364_1421:
	s_sext_i32_i16 s7, s0
	s_delay_alu instid0(SALU_CYCLE_1)
	s_cmp_lt_i32 s7, 2
	s_cbranch_scc1 .LBB364_1425
; %bb.1422:
	s_cmp_lt_i32 s7, 3
	s_cbranch_scc1 .LBB364_1426
; %bb.1423:
	s_cmp_gt_i32 s7, 3
	s_cbranch_scc0 .LBB364_1427
; %bb.1424:
	s_wait_loadcnt 0x0
	global_load_b64 v[8:9], v[0:1], off
	s_mov_b32 s7, 0
	s_branch .LBB364_1428
.LBB364_1425:
                                        ; implicit-def: $vgpr8_vgpr9
	s_branch .LBB364_1434
.LBB364_1426:
	s_mov_b32 s7, -1
                                        ; implicit-def: $vgpr8_vgpr9
	s_branch .LBB364_1431
.LBB364_1427:
	s_mov_b32 s7, -1
                                        ; implicit-def: $vgpr8_vgpr9
.LBB364_1428:
	s_delay_alu instid0(SALU_CYCLE_1)
	s_and_not1_b32 vcc_lo, exec_lo, s7
	s_cbranch_vccnz .LBB364_1430
; %bb.1429:
	s_wait_loadcnt 0x0
	global_load_b32 v8, v[0:1], off
	s_wait_loadcnt 0x0
	v_ashrrev_i32_e32 v9, 31, v8
.LBB364_1430:
	s_mov_b32 s7, 0
.LBB364_1431:
	s_delay_alu instid0(SALU_CYCLE_1)
	s_and_not1_b32 vcc_lo, exec_lo, s7
	s_cbranch_vccnz .LBB364_1433
; %bb.1432:
	global_load_u16 v3, v[0:1], off
	s_wait_loadcnt 0x0
	v_bfe_i32 v8, v3, 0, 16
	s_delay_alu instid0(VALU_DEP_1)
	v_ashrrev_i32_e32 v9, 31, v8
.LBB364_1433:
	s_cbranch_execnz .LBB364_1439
.LBB364_1434:
	s_sext_i32_i16 s0, s0
	s_delay_alu instid0(SALU_CYCLE_1)
	s_cmp_gt_i32 s0, 0
	s_mov_b32 s0, 0
	s_cbranch_scc0 .LBB364_1436
; %bb.1435:
	global_load_i8 v3, v[0:1], off
	s_wait_loadcnt 0x0
	v_bfe_i32 v8, v3, 0, 16
	s_delay_alu instid0(VALU_DEP_1)
	v_ashrrev_i32_e32 v9, 31, v8
	s_branch .LBB364_1437
.LBB364_1436:
	s_mov_b32 s0, -1
                                        ; implicit-def: $vgpr8_vgpr9
.LBB364_1437:
	s_delay_alu instid0(SALU_CYCLE_1)
	s_and_not1_b32 vcc_lo, exec_lo, s0
	s_cbranch_vccnz .LBB364_1439
; %bb.1438:
	global_load_u8 v0, v[0:1], off
	s_mov_b32 s0, 0
	s_wait_loadcnt 0x1
	v_mov_b32_e32 v9, s0
	s_wait_loadcnt 0x0
	v_and_b32_e32 v8, 0xffff, v0
.LBB364_1439:
	s_or_b32 s12, s12, exec_lo
.LBB364_1440:
	s_wait_xcnt 0x0
	s_or_b32 exec_lo, exec_lo, s6
	s_mov_b32 s0, 0
	s_mov_b32 s9, 0
                                        ; implicit-def: $sgpr6
                                        ; implicit-def: $sgpr7
                                        ; implicit-def: $vgpr0_vgpr1
	s_and_saveexec_b32 s8, s12
	s_cbranch_execz .LBB364_1448
; %bb.1441:
	v_mov_b32_e32 v3, 0
	s_wait_loadcnt 0x0
	s_delay_alu instid0(VALU_DEP_2) | instskip(SKIP_1) | instid1(VALU_DEP_2)
	v_cmp_ne_u64_e32 vcc_lo, v[4:5], v[8:9]
	s_and_b32 s7, s11, 0xff
	v_add_nc_u64_e32 v[0:1], s[4:5], v[2:3]
	s_xor_b32 s6, s10, vcc_lo
	s_cmp_lt_i32 s7, 11
	s_cbranch_scc1 .LBB364_1451
; %bb.1442:
	s_and_b32 s4, 0xffff, s7
	s_mov_b32 s5, -1
	s_cmp_gt_i32 s4, 25
	s_mov_b32 s0, s39
	s_cbranch_scc0 .LBB364_1479
; %bb.1443:
	s_cmp_gt_i32 s4, 28
	s_mov_b32 s0, s39
	s_cbranch_scc0 .LBB364_1463
; %bb.1444:
	;; [unrolled: 4-line block ×4, first 2 shown]
	s_cmp_eq_u32 s4, 46
	s_mov_b32 s0, -1
	s_cbranch_scc0 .LBB364_1452
; %bb.1447:
	v_cndmask_b32_e64 v2, 0, 1.0, s6
	s_mov_b32 s0, 0
	s_mov_b32 s5, 0
	s_delay_alu instid0(VALU_DEP_1) | instskip(NEXT) | instid1(VALU_DEP_1)
	v_bfe_u32 v3, v2, 16, 1
	v_add3_u32 v2, v2, v3, 0x7fff
	s_delay_alu instid0(VALU_DEP_1)
	v_lshrrev_b32_e32 v2, 16, v2
	global_store_b32 v[0:1], v2, off
	s_branch .LBB364_1453
.LBB364_1448:
	s_or_b32 exec_lo, exec_lo, s8
	s_and_saveexec_b32 s4, s39
	s_cbranch_execnz .LBB364_1521
.LBB364_1449:
	s_or_b32 exec_lo, exec_lo, s4
	s_and_saveexec_b32 s4, s0
	s_delay_alu instid0(SALU_CYCLE_1)
	s_xor_b32 s0, exec_lo, s4
	s_cbranch_execz .LBB364_1522
.LBB364_1450:
	v_cndmask_b32_e64 v2, 0, 1, s6
	global_store_b8 v[0:1], v2, off
	s_wait_xcnt 0x0
	s_or_b32 exec_lo, exec_lo, s0
	s_and_saveexec_b32 s0, s9
	s_delay_alu instid0(SALU_CYCLE_1)
	s_xor_b32 s0, exec_lo, s0
	s_cbranch_execz .LBB364_1560
	s_branch .LBB364_1523
.LBB364_1451:
	s_mov_b32 s10, 0
	s_mov_b32 s5, -1
	s_mov_b32 s0, s39
	s_branch .LBB364_1520
.LBB364_1452:
	s_mov_b32 s5, 0
.LBB364_1453:
	s_delay_alu instid0(SALU_CYCLE_1)
	s_and_b32 vcc_lo, exec_lo, s5
	s_cbranch_vccz .LBB364_1458
; %bb.1454:
	s_cmp_eq_u32 s4, 44
	s_mov_b32 s0, -1
	s_cbranch_scc0 .LBB364_1458
; %bb.1455:
	v_cndmask_b32_e64 v4, 0, 1.0, s6
	s_mov_b32 s5, exec_lo
	s_wait_xcnt 0x0
	s_delay_alu instid0(VALU_DEP_1) | instskip(NEXT) | instid1(VALU_DEP_1)
	v_dual_mov_b32 v3, 0xff :: v_dual_lshrrev_b32 v2, 23, v4
	v_cmpx_ne_u32_e32 0xff, v2
; %bb.1456:
	v_and_b32_e32 v3, 0x400000, v4
	v_and_or_b32 v4, 0x3fffff, v4, v2
	s_delay_alu instid0(VALU_DEP_2) | instskip(NEXT) | instid1(VALU_DEP_2)
	v_cmp_ne_u32_e32 vcc_lo, 0, v3
	v_cmp_ne_u32_e64 s0, 0, v4
	s_and_b32 s0, vcc_lo, s0
	s_delay_alu instid0(SALU_CYCLE_1) | instskip(NEXT) | instid1(VALU_DEP_1)
	v_cndmask_b32_e64 v3, 0, 1, s0
	v_add_nc_u32_e32 v3, v2, v3
; %bb.1457:
	s_or_b32 exec_lo, exec_lo, s5
	s_mov_b32 s0, 0
	global_store_b8 v[0:1], v3, off
.LBB364_1458:
	s_mov_b32 s5, 0
.LBB364_1459:
	s_delay_alu instid0(SALU_CYCLE_1)
	s_and_b32 vcc_lo, exec_lo, s5
	s_cbranch_vccz .LBB364_1462
; %bb.1460:
	s_cmp_eq_u32 s4, 29
	s_mov_b32 s0, -1
	s_cbranch_scc0 .LBB364_1462
; %bb.1461:
	s_mov_b32 s0, 0
	s_wait_xcnt 0x0
	v_cndmask_b32_e64 v2, 0, 1, s6
	v_mov_b32_e32 v3, s0
	s_mov_b32 s5, 0
	global_store_b64 v[0:1], v[2:3], off
	s_branch .LBB364_1463
.LBB364_1462:
	s_mov_b32 s5, 0
.LBB364_1463:
	s_delay_alu instid0(SALU_CYCLE_1)
	s_and_b32 vcc_lo, exec_lo, s5
	s_cbranch_vccz .LBB364_1478
; %bb.1464:
	s_cmp_lt_i32 s4, 27
	s_mov_b32 s5, -1
	s_cbranch_scc1 .LBB364_1470
; %bb.1465:
	s_cmp_gt_i32 s4, 27
	s_cbranch_scc0 .LBB364_1467
; %bb.1466:
	s_wait_xcnt 0x0
	v_cndmask_b32_e64 v2, 0, 1, s6
	s_mov_b32 s5, 0
	global_store_b32 v[0:1], v2, off
.LBB364_1467:
	s_and_not1_b32 vcc_lo, exec_lo, s5
	s_cbranch_vccnz .LBB364_1469
; %bb.1468:
	s_wait_xcnt 0x0
	v_cndmask_b32_e64 v2, 0, 1, s6
	global_store_b16 v[0:1], v2, off
.LBB364_1469:
	s_mov_b32 s5, 0
.LBB364_1470:
	s_delay_alu instid0(SALU_CYCLE_1)
	s_and_not1_b32 vcc_lo, exec_lo, s5
	s_cbranch_vccnz .LBB364_1478
; %bb.1471:
	s_wait_xcnt 0x0
	v_cndmask_b32_e64 v3, 0, 1.0, s6
	v_mov_b32_e32 v4, 0x80
	s_mov_b32 s5, exec_lo
	s_delay_alu instid0(VALU_DEP_2)
	v_cmpx_gt_u32_e32 0x43800000, v3
	s_cbranch_execz .LBB364_1477
; %bb.1472:
	s_mov_b32 s10, exec_lo
                                        ; implicit-def: $vgpr2
	v_cmpx_lt_u32_e32 0x3bffffff, v3
	s_xor_b32 s10, exec_lo, s10
	s_cbranch_execz .LBB364_1619
; %bb.1473:
	v_bfe_u32 v2, v3, 20, 1
	s_mov_b32 s9, exec_lo
	s_delay_alu instid0(VALU_DEP_1) | instskip(NEXT) | instid1(VALU_DEP_1)
	v_add3_u32 v2, v3, v2, 0x487ffff
                                        ; implicit-def: $vgpr3
	v_lshrrev_b32_e32 v2, 20, v2
	s_and_not1_saveexec_b32 s10, s10
	s_cbranch_execnz .LBB364_1620
.LBB364_1474:
	s_or_b32 exec_lo, exec_lo, s10
	v_mov_b32_e32 v4, 0
	s_and_saveexec_b32 s10, s9
.LBB364_1475:
	v_mov_b32_e32 v4, v2
.LBB364_1476:
	s_or_b32 exec_lo, exec_lo, s10
.LBB364_1477:
	s_delay_alu instid0(SALU_CYCLE_1)
	s_or_b32 exec_lo, exec_lo, s5
	global_store_b8 v[0:1], v4, off
.LBB364_1478:
	s_mov_b32 s5, 0
.LBB364_1479:
	s_delay_alu instid0(SALU_CYCLE_1)
	s_and_b32 vcc_lo, exec_lo, s5
	s_mov_b32 s5, 0
	s_cbranch_vccz .LBB364_1519
; %bb.1480:
	s_cmp_gt_i32 s4, 22
	s_mov_b32 s9, -1
	s_cbranch_scc0 .LBB364_1512
; %bb.1481:
	s_cmp_lt_i32 s4, 24
	s_cbranch_scc1 .LBB364_1501
; %bb.1482:
	s_cmp_gt_i32 s4, 24
	s_cbranch_scc0 .LBB364_1490
; %bb.1483:
	s_wait_xcnt 0x0
	v_cndmask_b32_e64 v3, 0, 1.0, s6
	v_mov_b32_e32 v4, 0x80
	s_mov_b32 s9, exec_lo
	s_delay_alu instid0(VALU_DEP_2)
	v_cmpx_gt_u32_e32 0x47800000, v3
	s_cbranch_execz .LBB364_1489
; %bb.1484:
	s_mov_b32 s10, 0
	s_mov_b32 s11, exec_lo
                                        ; implicit-def: $vgpr2
	v_cmpx_lt_u32_e32 0x37ffffff, v3
	s_xor_b32 s11, exec_lo, s11
	s_cbranch_execz .LBB364_1740
; %bb.1485:
	v_bfe_u32 v2, v3, 21, 1
	s_mov_b32 s10, exec_lo
	s_delay_alu instid0(VALU_DEP_1) | instskip(NEXT) | instid1(VALU_DEP_1)
	v_add3_u32 v2, v3, v2, 0x88fffff
                                        ; implicit-def: $vgpr3
	v_lshrrev_b32_e32 v2, 21, v2
	s_and_not1_saveexec_b32 s11, s11
	s_cbranch_execnz .LBB364_1741
.LBB364_1486:
	s_or_b32 exec_lo, exec_lo, s11
	v_mov_b32_e32 v4, 0
	s_and_saveexec_b32 s11, s10
.LBB364_1487:
	v_mov_b32_e32 v4, v2
.LBB364_1488:
	s_or_b32 exec_lo, exec_lo, s11
.LBB364_1489:
	s_delay_alu instid0(SALU_CYCLE_1)
	s_or_b32 exec_lo, exec_lo, s9
	s_mov_b32 s9, 0
	global_store_b8 v[0:1], v4, off
.LBB364_1490:
	s_and_b32 vcc_lo, exec_lo, s9
	s_cbranch_vccz .LBB364_1500
; %bb.1491:
	s_wait_xcnt 0x0
	v_cndmask_b32_e64 v3, 0, 1.0, s6
	s_mov_b32 s9, exec_lo
                                        ; implicit-def: $vgpr2
	s_delay_alu instid0(VALU_DEP_1)
	v_cmpx_gt_u32_e32 0x43f00000, v3
	s_xor_b32 s9, exec_lo, s9
	s_cbranch_execz .LBB364_1497
; %bb.1492:
	s_mov_b32 s10, exec_lo
                                        ; implicit-def: $vgpr2
	v_cmpx_lt_u32_e32 0x3c7fffff, v3
	s_xor_b32 s10, exec_lo, s10
; %bb.1493:
	v_bfe_u32 v2, v3, 20, 1
	s_delay_alu instid0(VALU_DEP_1) | instskip(NEXT) | instid1(VALU_DEP_1)
	v_add3_u32 v2, v3, v2, 0x407ffff
	v_and_b32_e32 v3, 0xff00000, v2
	v_lshrrev_b32_e32 v2, 20, v2
	s_delay_alu instid0(VALU_DEP_2) | instskip(NEXT) | instid1(VALU_DEP_2)
	v_cmp_ne_u32_e32 vcc_lo, 0x7f00000, v3
                                        ; implicit-def: $vgpr3
	v_cndmask_b32_e32 v2, 0x7e, v2, vcc_lo
; %bb.1494:
	s_and_not1_saveexec_b32 s10, s10
; %bb.1495:
	v_add_f32_e32 v2, 0x46800000, v3
; %bb.1496:
	s_or_b32 exec_lo, exec_lo, s10
                                        ; implicit-def: $vgpr3
.LBB364_1497:
	s_and_not1_saveexec_b32 s9, s9
; %bb.1498:
	v_mov_b32_e32 v2, 0x7f
	v_cmp_lt_u32_e32 vcc_lo, 0x7f800000, v3
	s_delay_alu instid0(VALU_DEP_2)
	v_cndmask_b32_e32 v2, 0x7e, v2, vcc_lo
; %bb.1499:
	s_or_b32 exec_lo, exec_lo, s9
	global_store_b8 v[0:1], v2, off
.LBB364_1500:
	s_mov_b32 s9, 0
.LBB364_1501:
	s_delay_alu instid0(SALU_CYCLE_1)
	s_and_not1_b32 vcc_lo, exec_lo, s9
	s_cbranch_vccnz .LBB364_1511
; %bb.1502:
	s_wait_xcnt 0x0
	v_cndmask_b32_e64 v3, 0, 1.0, s6
	s_mov_b32 s9, exec_lo
                                        ; implicit-def: $vgpr2
	s_delay_alu instid0(VALU_DEP_1)
	v_cmpx_gt_u32_e32 0x47800000, v3
	s_xor_b32 s9, exec_lo, s9
	s_cbranch_execz .LBB364_1508
; %bb.1503:
	s_mov_b32 s10, exec_lo
                                        ; implicit-def: $vgpr2
	v_cmpx_lt_u32_e32 0x387fffff, v3
	s_xor_b32 s10, exec_lo, s10
; %bb.1504:
	v_bfe_u32 v2, v3, 21, 1
	s_delay_alu instid0(VALU_DEP_1) | instskip(NEXT) | instid1(VALU_DEP_1)
	v_add3_u32 v2, v3, v2, 0x80fffff
                                        ; implicit-def: $vgpr3
	v_lshrrev_b32_e32 v2, 21, v2
; %bb.1505:
	s_and_not1_saveexec_b32 s10, s10
; %bb.1506:
	v_add_f32_e32 v2, 0x43000000, v3
; %bb.1507:
	s_or_b32 exec_lo, exec_lo, s10
                                        ; implicit-def: $vgpr3
.LBB364_1508:
	s_and_not1_saveexec_b32 s9, s9
; %bb.1509:
	v_mov_b32_e32 v2, 0x7f
	v_cmp_lt_u32_e32 vcc_lo, 0x7f800000, v3
	s_delay_alu instid0(VALU_DEP_2)
	v_cndmask_b32_e32 v2, 0x7c, v2, vcc_lo
; %bb.1510:
	s_or_b32 exec_lo, exec_lo, s9
	global_store_b8 v[0:1], v2, off
.LBB364_1511:
	s_mov_b32 s9, 0
.LBB364_1512:
	s_delay_alu instid0(SALU_CYCLE_1)
	s_and_not1_b32 vcc_lo, exec_lo, s9
	s_mov_b32 s10, 0
	s_cbranch_vccnz .LBB364_1520
; %bb.1513:
	s_cmp_gt_i32 s4, 14
	s_mov_b32 s9, -1
	s_cbranch_scc0 .LBB364_1517
; %bb.1514:
	s_cmp_eq_u32 s4, 15
	s_mov_b32 s0, -1
	s_cbranch_scc0 .LBB364_1516
; %bb.1515:
	s_wait_xcnt 0x0
	v_cndmask_b32_e64 v2, 0, 1.0, s6
	s_mov_b32 s0, 0
	s_delay_alu instid0(VALU_DEP_1) | instskip(NEXT) | instid1(VALU_DEP_1)
	v_bfe_u32 v3, v2, 16, 1
	v_add3_u32 v2, v2, v3, 0x7fff
	global_store_d16_hi_b16 v[0:1], v2, off
.LBB364_1516:
	s_mov_b32 s9, 0
.LBB364_1517:
	s_delay_alu instid0(SALU_CYCLE_1)
	s_and_b32 vcc_lo, exec_lo, s9
	s_cbranch_vccz .LBB364_1520
; %bb.1518:
	s_cmp_lg_u32 s4, 11
	s_mov_b32 s10, -1
	s_cselect_b32 s4, -1, 0
	s_and_not1_b32 s0, s0, exec_lo
	s_and_b32 s4, s4, exec_lo
	s_delay_alu instid0(SALU_CYCLE_1)
	s_or_b32 s0, s0, s4
	s_branch .LBB364_1520
.LBB364_1519:
	s_mov_b32 s10, 0
.LBB364_1520:
	s_and_b32 s9, s5, exec_lo
	s_and_not1_b32 s4, s39, exec_lo
	s_and_b32 s5, s0, exec_lo
	s_and_b32 s0, s10, exec_lo
	s_or_b32 s39, s4, s5
	s_wait_xcnt 0x0
	s_or_b32 exec_lo, exec_lo, s8
	s_and_saveexec_b32 s4, s39
	s_cbranch_execz .LBB364_1449
.LBB364_1521:
	s_or_b32 s1, s1, exec_lo
	s_and_not1_b32 s0, s0, exec_lo
	s_trap 2
	s_or_b32 exec_lo, exec_lo, s4
	s_and_saveexec_b32 s4, s0
	s_delay_alu instid0(SALU_CYCLE_1)
	s_xor_b32 s0, exec_lo, s4
	s_cbranch_execnz .LBB364_1450
.LBB364_1522:
	s_or_b32 exec_lo, exec_lo, s0
	s_and_saveexec_b32 s0, s9
	s_delay_alu instid0(SALU_CYCLE_1)
	s_xor_b32 s0, exec_lo, s0
	s_cbranch_execz .LBB364_1560
.LBB364_1523:
	s_sext_i32_i16 s5, s7
	s_mov_b32 s4, -1
	s_cmp_lt_i32 s5, 5
	s_cbranch_scc1 .LBB364_1544
; %bb.1524:
	s_cmp_lt_i32 s5, 8
	s_cbranch_scc1 .LBB364_1534
; %bb.1525:
	;; [unrolled: 3-line block ×3, first 2 shown]
	s_cmp_gt_i32 s5, 9
	s_cbranch_scc0 .LBB364_1528
; %bb.1527:
	v_cndmask_b32_e64 v2, 0, 1, s6
	s_wait_loadcnt 0x0
	v_mov_b32_e32 v4, 0
	s_mov_b32 s4, 0
	s_delay_alu instid0(VALU_DEP_2) | instskip(NEXT) | instid1(VALU_DEP_2)
	v_cvt_f64_u32_e32 v[2:3], v2
	v_mov_b32_e32 v5, v4
	global_store_b128 v[0:1], v[2:5], off
.LBB364_1528:
	s_and_not1_b32 vcc_lo, exec_lo, s4
	s_cbranch_vccnz .LBB364_1530
; %bb.1529:
	s_wait_xcnt 0x0
	v_cndmask_b32_e64 v2, 0, 1.0, s6
	v_mov_b32_e32 v3, 0
	global_store_b64 v[0:1], v[2:3], off
.LBB364_1530:
	s_mov_b32 s4, 0
.LBB364_1531:
	s_delay_alu instid0(SALU_CYCLE_1)
	s_and_not1_b32 vcc_lo, exec_lo, s4
	s_cbranch_vccnz .LBB364_1533
; %bb.1532:
	s_wait_xcnt 0x0
	v_cndmask_b32_e64 v2, 0, 1.0, s6
	s_delay_alu instid0(VALU_DEP_1) | instskip(NEXT) | instid1(VALU_DEP_1)
	v_cvt_f16_f32_e32 v2, v2
	v_and_b32_e32 v2, 0xffff, v2
	global_store_b32 v[0:1], v2, off
.LBB364_1533:
	s_mov_b32 s4, 0
.LBB364_1534:
	s_delay_alu instid0(SALU_CYCLE_1)
	s_and_not1_b32 vcc_lo, exec_lo, s4
	s_cbranch_vccnz .LBB364_1543
; %bb.1535:
	s_sext_i32_i16 s5, s7
	s_mov_b32 s4, -1
	s_cmp_lt_i32 s5, 6
	s_cbranch_scc1 .LBB364_1541
; %bb.1536:
	s_cmp_gt_i32 s5, 6
	s_cbranch_scc0 .LBB364_1538
; %bb.1537:
	s_wait_xcnt 0x0
	v_cndmask_b32_e64 v2, 0, 1, s6
	s_mov_b32 s4, 0
	s_delay_alu instid0(VALU_DEP_1)
	v_cvt_f64_u32_e32 v[2:3], v2
	global_store_b64 v[0:1], v[2:3], off
.LBB364_1538:
	s_and_not1_b32 vcc_lo, exec_lo, s4
	s_cbranch_vccnz .LBB364_1540
; %bb.1539:
	s_wait_xcnt 0x0
	v_cndmask_b32_e64 v2, 0, 1.0, s6
	global_store_b32 v[0:1], v2, off
.LBB364_1540:
	s_mov_b32 s4, 0
.LBB364_1541:
	s_delay_alu instid0(SALU_CYCLE_1)
	s_and_not1_b32 vcc_lo, exec_lo, s4
	s_cbranch_vccnz .LBB364_1543
; %bb.1542:
	s_wait_xcnt 0x0
	v_cndmask_b32_e64 v2, 0, 1.0, s6
	s_delay_alu instid0(VALU_DEP_1)
	v_cvt_f16_f32_e32 v2, v2
	global_store_b16 v[0:1], v2, off
.LBB364_1543:
	s_mov_b32 s4, 0
.LBB364_1544:
	s_delay_alu instid0(SALU_CYCLE_1)
	s_and_not1_b32 vcc_lo, exec_lo, s4
	s_cbranch_vccnz .LBB364_1560
; %bb.1545:
	s_sext_i32_i16 s5, s7
	s_mov_b32 s4, -1
	s_cmp_lt_i32 s5, 2
	s_cbranch_scc1 .LBB364_1555
; %bb.1546:
	s_cmp_lt_i32 s5, 3
	s_cbranch_scc1 .LBB364_1552
; %bb.1547:
	s_cmp_gt_i32 s5, 3
	s_cbranch_scc0 .LBB364_1549
; %bb.1548:
	s_mov_b32 s4, 0
	s_wait_xcnt 0x0
	v_cndmask_b32_e64 v2, 0, 1, s6
	v_mov_b32_e32 v3, s4
	global_store_b64 v[0:1], v[2:3], off
.LBB364_1549:
	s_and_not1_b32 vcc_lo, exec_lo, s4
	s_cbranch_vccnz .LBB364_1551
; %bb.1550:
	s_wait_xcnt 0x0
	v_cndmask_b32_e64 v2, 0, 1, s6
	global_store_b32 v[0:1], v2, off
.LBB364_1551:
	s_mov_b32 s4, 0
.LBB364_1552:
	s_delay_alu instid0(SALU_CYCLE_1)
	s_and_not1_b32 vcc_lo, exec_lo, s4
	s_cbranch_vccnz .LBB364_1554
; %bb.1553:
	s_wait_xcnt 0x0
	v_cndmask_b32_e64 v2, 0, 1, s6
	global_store_b16 v[0:1], v2, off
.LBB364_1554:
	s_mov_b32 s4, 0
.LBB364_1555:
	s_delay_alu instid0(SALU_CYCLE_1)
	s_and_not1_b32 vcc_lo, exec_lo, s4
	s_cbranch_vccnz .LBB364_1560
; %bb.1556:
	s_wait_xcnt 0x0
	v_cndmask_b32_e64 v2, 0, 1, s6
	s_sext_i32_i16 s4, s7
	s_delay_alu instid0(SALU_CYCLE_1)
	s_cmp_gt_i32 s4, 0
	s_mov_b32 s4, -1
	s_cbranch_scc0 .LBB364_1558
; %bb.1557:
	s_mov_b32 s4, 0
	global_store_b8 v[0:1], v2, off
.LBB364_1558:
	s_and_not1_b32 vcc_lo, exec_lo, s4
	s_cbranch_vccnz .LBB364_1560
; %bb.1559:
	global_store_b8 v[0:1], v2, off
.LBB364_1560:
	s_wait_xcnt 0x0
	s_or_b32 exec_lo, exec_lo, s0
	s_delay_alu instid0(SALU_CYCLE_1)
	s_and_b32 s8, s1, exec_lo
                                        ; implicit-def: $vgpr1
                                        ; implicit-def: $vgpr0
.LBB364_1561:
	s_or_saveexec_b32 s9, s33
	s_mov_b32 s0, 0
                                        ; implicit-def: $sgpr4
                                        ; implicit-def: $vgpr2_vgpr3
                                        ; implicit-def: $sgpr1
	s_xor_b32 exec_lo, exec_lo, s9
	s_cbranch_execz .LBB364_3049
; %bb.1562:
	v_cndmask_b32_e64 v3, 0, 1, s31
	s_and_not1_b32 vcc_lo, exec_lo, s31
	s_cbranch_vccnz .LBB364_1568
; %bb.1563:
	s_cmp_lg_u32 s28, 0
	s_mov_b32 s4, 0
	s_cbranch_scc0 .LBB364_1572
; %bb.1564:
	s_min_u32 s5, s29, 15
	v_dual_mov_b32 v6, 0 :: v_dual_mov_b32 v2, v0
	s_wait_loadcnt 0x0
	v_dual_mov_b32 v8, 0 :: v_dual_mov_b32 v12, 0
	s_add_co_i32 s6, s5, 1
	s_mov_b64 s[0:1], 0xffffffffffffffe8
	s_and_b32 s6, s6, 30
	s_add_nc_u64 s[0:1], s[2:3], s[0:1]
.LBB364_1565:                           ; =>This Inner Loop Header: Depth=1
	s_clause 0x1
	s_load_b128 s[12:15], s[0:1], 0x1c
	s_load_b64 s[10:11], s[0:1], 0x2c
	s_add_co_i32 s6, s6, -2
	s_delay_alu instid0(SALU_CYCLE_1) | instskip(SKIP_2) | instid1(VALU_DEP_1)
	s_cmp_lg_u32 s6, 0
	s_wait_kmcnt 0x0
	v_mul_hi_u32 v4, s13, v2
	v_add_nc_u32_e32 v4, v2, v4
	s_delay_alu instid0(VALU_DEP_1) | instskip(NEXT) | instid1(VALU_DEP_1)
	v_lshrrev_b32_e32 v4, s14, v4
	v_mul_hi_u32 v5, s10, v4
	v_mul_lo_u32 v7, v4, s12
	s_clause 0x1
	s_load_b128 s[16:19], s[0:1], 0xdc
	s_load_b64 s[12:13], s[0:1], 0xec
	s_wait_xcnt 0x0
	s_add_nc_u64 s[0:1], s[0:1], 24
	s_delay_alu instid0(VALU_DEP_1) | instskip(NEXT) | instid1(VALU_DEP_1)
	v_dual_add_nc_u32 v5, v4, v5 :: v_dual_sub_nc_u32 v7, v2, v7
	v_lshrrev_b32_e32 v2, s11, v5
	s_wait_kmcnt 0x0
	s_delay_alu instid0(VALU_DEP_2) | instskip(NEXT) | instid1(VALU_DEP_2)
	v_mad_u32 v6, v7, s16, v6
	v_mul_lo_u32 v5, v2, s15
	v_mad_u32 v9, v7, s18, v12
	v_mad_u32 v7, v7, s17, v8
	s_delay_alu instid0(VALU_DEP_3) | instskip(NEXT) | instid1(VALU_DEP_1)
	v_sub_nc_u32_e32 v4, v4, v5
	v_mad_u32 v6, v4, s19, v6
	s_delay_alu instid0(VALU_DEP_4) | instskip(NEXT) | instid1(VALU_DEP_4)
	v_mad_u32 v12, v4, s13, v9
	v_mad_u32 v8, v4, s12, v7
	s_cbranch_scc1 .LBB364_1565
; %bb.1566:
	s_bitcmp1_b32 s5, 0
	s_cselect_b32 s5, -1, 0
	s_delay_alu instid0(SALU_CYCLE_1)
	s_and_b32 vcc_lo, exec_lo, s5
	s_cbranch_vccnz .LBB364_1569
; %bb.1567:
	s_clause 0x1
	s_load_b96 s[12:14], s[0:1], 0x1c
	s_load_b96 s[16:18], s[0:1], 0xdc
	s_wait_kmcnt 0x0
	v_mul_hi_u32 v4, s13, v2
	s_delay_alu instid0(VALU_DEP_1) | instskip(NEXT) | instid1(VALU_DEP_1)
	v_add_nc_u32_e32 v4, v2, v4
	v_lshrrev_b32_e32 v4, s14, v4
	s_delay_alu instid0(VALU_DEP_1) | instskip(NEXT) | instid1(VALU_DEP_1)
	v_mul_lo_u32 v4, v4, s12
	v_sub_nc_u32_e32 v2, v2, v4
	s_delay_alu instid0(VALU_DEP_1)
	v_mad_u32 v6, v2, s16, v6
	v_mad_u32 v8, v2, s17, v8
	;; [unrolled: 1-line block ×3, first 2 shown]
	s_and_not1_b32 vcc_lo, exec_lo, s4
	s_cbranch_vccz .LBB364_1570
	s_branch .LBB364_1573
.LBB364_1568:
	s_mov_b32 s4, -1
                                        ; implicit-def: $vgpr12
                                        ; implicit-def: $vgpr8
                                        ; implicit-def: $vgpr6
.LBB364_1569:
	s_delay_alu instid0(SALU_CYCLE_1)
	s_and_not1_b32 vcc_lo, exec_lo, s4
	s_cbranch_vccnz .LBB364_1573
.LBB364_1570:
	s_clause 0x1
	s_load_b96 s[4:6], s[2:3], 0x4
	s_load_b96 s[12:14], s[2:3], 0xc4
	s_cmp_lt_u32 s28, 2
	s_wait_kmcnt 0x0
	v_mul_hi_u32 v2, s5, v0
	s_delay_alu instid0(VALU_DEP_1) | instskip(NEXT) | instid1(VALU_DEP_1)
	v_add_nc_u32_e32 v2, v0, v2
	v_lshrrev_b32_e32 v2, s6, v2
	s_wait_loadcnt 0x0
	s_delay_alu instid0(VALU_DEP_1) | instskip(NEXT) | instid1(VALU_DEP_1)
	v_mul_lo_u32 v4, v2, s4
	v_sub_nc_u32_e32 v4, v0, v4
	s_delay_alu instid0(VALU_DEP_1)
	v_mul_lo_u32 v6, v4, s12
	v_mul_lo_u32 v12, v4, s14
	;; [unrolled: 1-line block ×3, first 2 shown]
	s_cbranch_scc1 .LBB364_1573
; %bb.1571:
	s_clause 0x1
	s_load_b96 s[4:6], s[2:3], 0x10
	s_load_b96 s[12:14], s[2:3], 0xd0
	s_wait_kmcnt 0x0
	v_mul_hi_u32 v4, s5, v2
	s_delay_alu instid0(VALU_DEP_1) | instskip(NEXT) | instid1(VALU_DEP_1)
	v_add_nc_u32_e32 v4, v2, v4
	v_lshrrev_b32_e32 v4, s6, v4
	s_delay_alu instid0(VALU_DEP_1) | instskip(NEXT) | instid1(VALU_DEP_1)
	v_mul_lo_u32 v4, v4, s4
	v_sub_nc_u32_e32 v2, v2, v4
	s_delay_alu instid0(VALU_DEP_1)
	v_mad_u32 v6, v2, s12, v6
	v_mad_u32 v8, v2, s13, v8
	v_mad_u32 v12, v2, s14, v12
	s_branch .LBB364_1573
.LBB364_1572:
	s_wait_loadcnt 0x0
	v_dual_mov_b32 v12, 0 :: v_dual_mov_b32 v8, 0
	v_mov_b32_e32 v6, 0
	s_and_not1_b32 vcc_lo, exec_lo, s4
	s_cbranch_vccz .LBB364_1570
.LBB364_1573:
	v_cmp_ne_u32_e32 vcc_lo, 1, v3
	v_add_nc_u32_e32 v2, 0x80, v0
	s_cbranch_vccnz .LBB364_1579
; %bb.1574:
	s_cmp_lg_u32 s28, 0
	s_mov_b32 s4, 0
	s_cbranch_scc0 .LBB364_1583
; %bb.1575:
	s_min_u32 s5, s29, 15
	s_wait_loadcnt 0x0
	v_dual_mov_b32 v4, 0 :: v_dual_mov_b32 v5, v2
	v_dual_mov_b32 v14, 0 :: v_dual_mov_b32 v18, 0
	s_add_co_i32 s6, s5, 1
	s_mov_b64 s[0:1], 0xffffffffffffffe8
	s_and_b32 s6, s6, 30
	s_add_nc_u64 s[0:1], s[2:3], s[0:1]
.LBB364_1576:                           ; =>This Inner Loop Header: Depth=1
	s_clause 0x1
	s_load_b128 s[12:15], s[0:1], 0x1c
	s_load_b64 s[10:11], s[0:1], 0x2c
	s_add_co_i32 s6, s6, -2
	s_delay_alu instid0(SALU_CYCLE_1) | instskip(SKIP_2) | instid1(VALU_DEP_1)
	s_cmp_lg_u32 s6, 0
	s_wait_kmcnt 0x0
	v_mul_hi_u32 v7, s13, v5
	v_add_nc_u32_e32 v7, v5, v7
	s_delay_alu instid0(VALU_DEP_1) | instskip(NEXT) | instid1(VALU_DEP_1)
	v_lshrrev_b32_e32 v7, s14, v7
	v_mul_hi_u32 v9, s10, v7
	v_mul_lo_u32 v10, v7, s12
	s_clause 0x1
	s_load_b128 s[16:19], s[0:1], 0xdc
	s_load_b64 s[12:13], s[0:1], 0xec
	s_wait_xcnt 0x0
	s_add_nc_u64 s[0:1], s[0:1], 24
	s_delay_alu instid0(VALU_DEP_1) | instskip(NEXT) | instid1(VALU_DEP_1)
	v_dual_add_nc_u32 v9, v7, v9 :: v_dual_sub_nc_u32 v10, v5, v10
	v_lshrrev_b32_e32 v5, s11, v9
	s_wait_kmcnt 0x0
	s_delay_alu instid0(VALU_DEP_2) | instskip(NEXT) | instid1(VALU_DEP_2)
	v_mad_u32 v4, v10, s16, v4
	v_mul_lo_u32 v9, v5, s15
	v_mad_u32 v11, v10, s18, v18
	v_mad_u32 v10, v10, s17, v14
	s_delay_alu instid0(VALU_DEP_3) | instskip(NEXT) | instid1(VALU_DEP_1)
	v_sub_nc_u32_e32 v7, v7, v9
	v_mad_u32 v4, v7, s19, v4
	s_delay_alu instid0(VALU_DEP_4) | instskip(NEXT) | instid1(VALU_DEP_4)
	v_mad_u32 v18, v7, s13, v11
	v_mad_u32 v14, v7, s12, v10
	s_cbranch_scc1 .LBB364_1576
; %bb.1577:
	s_bitcmp1_b32 s5, 0
	s_cselect_b32 s5, -1, 0
	s_delay_alu instid0(SALU_CYCLE_1)
	s_and_b32 vcc_lo, exec_lo, s5
	s_cbranch_vccnz .LBB364_1580
; %bb.1578:
	s_clause 0x1
	s_load_b96 s[12:14], s[0:1], 0x1c
	s_load_b96 s[16:18], s[0:1], 0xdc
	s_wait_kmcnt 0x0
	v_mul_hi_u32 v7, s13, v5
	s_delay_alu instid0(VALU_DEP_1) | instskip(NEXT) | instid1(VALU_DEP_1)
	v_add_nc_u32_e32 v7, v5, v7
	v_lshrrev_b32_e32 v7, s14, v7
	s_delay_alu instid0(VALU_DEP_1) | instskip(NEXT) | instid1(VALU_DEP_1)
	v_mul_lo_u32 v7, v7, s12
	v_sub_nc_u32_e32 v5, v5, v7
	s_delay_alu instid0(VALU_DEP_1)
	v_mad_u32 v4, v5, s16, v4
	v_mad_u32 v14, v5, s17, v14
	v_mad_u32 v18, v5, s18, v18
	s_and_not1_b32 vcc_lo, exec_lo, s4
	s_cbranch_vccz .LBB364_1581
	s_branch .LBB364_1584
.LBB364_1579:
	s_mov_b32 s4, -1
                                        ; implicit-def: $vgpr18
                                        ; implicit-def: $vgpr14
                                        ; implicit-def: $vgpr4
.LBB364_1580:
	s_delay_alu instid0(SALU_CYCLE_1)
	s_and_not1_b32 vcc_lo, exec_lo, s4
	s_cbranch_vccnz .LBB364_1584
.LBB364_1581:
	s_clause 0x1
	s_load_b96 s[4:6], s[2:3], 0x4
	s_load_b96 s[12:14], s[2:3], 0xc4
	s_cmp_lt_u32 s28, 2
	s_wait_loadcnt 0x0
	s_wait_kmcnt 0x0
	v_mul_hi_u32 v4, s5, v2
	s_delay_alu instid0(VALU_DEP_1) | instskip(NEXT) | instid1(VALU_DEP_1)
	v_add_nc_u32_e32 v4, v2, v4
	v_lshrrev_b32_e32 v5, s6, v4
	s_delay_alu instid0(VALU_DEP_1) | instskip(NEXT) | instid1(VALU_DEP_1)
	v_mul_lo_u32 v4, v5, s4
	v_sub_nc_u32_e32 v2, v2, v4
	s_delay_alu instid0(VALU_DEP_1)
	v_mul_lo_u32 v4, v2, s12
	v_mul_lo_u32 v18, v2, s14
	;; [unrolled: 1-line block ×3, first 2 shown]
	s_cbranch_scc1 .LBB364_1584
; %bb.1582:
	s_clause 0x1
	s_load_b96 s[4:6], s[2:3], 0x10
	s_load_b96 s[12:14], s[2:3], 0xd0
	s_wait_kmcnt 0x0
	v_mul_hi_u32 v2, s5, v5
	s_delay_alu instid0(VALU_DEP_1) | instskip(NEXT) | instid1(VALU_DEP_1)
	v_add_nc_u32_e32 v2, v5, v2
	v_lshrrev_b32_e32 v2, s6, v2
	s_delay_alu instid0(VALU_DEP_1) | instskip(NEXT) | instid1(VALU_DEP_1)
	v_mul_lo_u32 v2, v2, s4
	v_sub_nc_u32_e32 v2, v5, v2
	s_delay_alu instid0(VALU_DEP_1)
	v_mad_u32 v4, v2, s12, v4
	v_mad_u32 v14, v2, s13, v14
	;; [unrolled: 1-line block ×3, first 2 shown]
	s_branch .LBB364_1584
.LBB364_1583:
	v_dual_mov_b32 v18, 0 :: v_dual_mov_b32 v14, 0
	s_wait_loadcnt 0x0
	v_mov_b32_e32 v4, 0
	s_and_not1_b32 vcc_lo, exec_lo, s4
	s_cbranch_vccz .LBB364_1581
.LBB364_1584:
	v_cmp_ne_u32_e32 vcc_lo, 1, v3
	v_add_nc_u32_e32 v0, 0x100, v0
	s_cbranch_vccnz .LBB364_1590
; %bb.1585:
	s_cmp_lg_u32 s28, 0
	s_mov_b32 s4, 0
	s_cbranch_scc0 .LBB364_1594
; %bb.1586:
	s_min_u32 s5, s29, 15
	s_wait_loadcnt 0x0
	v_dual_mov_b32 v2, 0 :: v_dual_mov_b32 v5, v0
	v_dual_mov_b32 v20, 0 :: v_dual_mov_b32 v22, 0
	s_add_co_i32 s6, s5, 1
	s_mov_b64 s[0:1], 0xffffffffffffffe8
	s_and_b32 s6, s6, 30
	s_add_nc_u64 s[0:1], s[2:3], s[0:1]
.LBB364_1587:                           ; =>This Inner Loop Header: Depth=1
	s_clause 0x1
	s_load_b128 s[12:15], s[0:1], 0x1c
	s_load_b64 s[10:11], s[0:1], 0x2c
	s_add_co_i32 s6, s6, -2
	s_delay_alu instid0(SALU_CYCLE_1) | instskip(SKIP_2) | instid1(VALU_DEP_1)
	s_cmp_lg_u32 s6, 0
	s_wait_kmcnt 0x0
	v_mul_hi_u32 v7, s13, v5
	v_add_nc_u32_e32 v7, v5, v7
	s_delay_alu instid0(VALU_DEP_1) | instskip(NEXT) | instid1(VALU_DEP_1)
	v_lshrrev_b32_e32 v7, s14, v7
	v_mul_hi_u32 v9, s10, v7
	v_mul_lo_u32 v10, v7, s12
	s_clause 0x1
	s_load_b128 s[16:19], s[0:1], 0xdc
	s_load_b64 s[12:13], s[0:1], 0xec
	s_wait_xcnt 0x0
	s_add_nc_u64 s[0:1], s[0:1], 24
	s_delay_alu instid0(VALU_DEP_1) | instskip(NEXT) | instid1(VALU_DEP_1)
	v_dual_add_nc_u32 v9, v7, v9 :: v_dual_sub_nc_u32 v10, v5, v10
	v_lshrrev_b32_e32 v5, s11, v9
	s_wait_kmcnt 0x0
	s_delay_alu instid0(VALU_DEP_2) | instskip(NEXT) | instid1(VALU_DEP_2)
	v_mad_u32 v2, v10, s16, v2
	v_mul_lo_u32 v9, v5, s15
	v_mad_u32 v11, v10, s18, v22
	v_mad_u32 v10, v10, s17, v20
	s_delay_alu instid0(VALU_DEP_3) | instskip(NEXT) | instid1(VALU_DEP_1)
	v_sub_nc_u32_e32 v7, v7, v9
	v_mad_u32 v2, v7, s19, v2
	s_delay_alu instid0(VALU_DEP_4) | instskip(NEXT) | instid1(VALU_DEP_4)
	v_mad_u32 v22, v7, s13, v11
	v_mad_u32 v20, v7, s12, v10
	s_cbranch_scc1 .LBB364_1587
; %bb.1588:
	s_bitcmp1_b32 s5, 0
	s_cselect_b32 s5, -1, 0
	s_delay_alu instid0(SALU_CYCLE_1)
	s_and_b32 vcc_lo, exec_lo, s5
	s_cbranch_vccnz .LBB364_1591
; %bb.1589:
	s_clause 0x1
	s_load_b96 s[12:14], s[0:1], 0x1c
	s_load_b96 s[16:18], s[0:1], 0xdc
	s_wait_kmcnt 0x0
	v_mul_hi_u32 v7, s13, v5
	s_delay_alu instid0(VALU_DEP_1) | instskip(NEXT) | instid1(VALU_DEP_1)
	v_add_nc_u32_e32 v7, v5, v7
	v_lshrrev_b32_e32 v7, s14, v7
	s_delay_alu instid0(VALU_DEP_1) | instskip(NEXT) | instid1(VALU_DEP_1)
	v_mul_lo_u32 v7, v7, s12
	v_sub_nc_u32_e32 v5, v5, v7
	s_delay_alu instid0(VALU_DEP_1)
	v_mad_u32 v2, v5, s16, v2
	v_mad_u32 v20, v5, s17, v20
	;; [unrolled: 1-line block ×3, first 2 shown]
	s_and_not1_b32 vcc_lo, exec_lo, s4
	s_cbranch_vccz .LBB364_1592
	s_branch .LBB364_1595
.LBB364_1590:
	s_mov_b32 s4, -1
                                        ; implicit-def: $vgpr22
                                        ; implicit-def: $vgpr20
                                        ; implicit-def: $vgpr2
.LBB364_1591:
	s_delay_alu instid0(SALU_CYCLE_1)
	s_and_not1_b32 vcc_lo, exec_lo, s4
	s_cbranch_vccnz .LBB364_1595
.LBB364_1592:
	s_clause 0x1
	s_load_b96 s[4:6], s[2:3], 0x4
	s_load_b96 s[12:14], s[2:3], 0xc4
	s_cmp_lt_u32 s28, 2
	s_wait_kmcnt 0x0
	v_mul_hi_u32 v2, s5, v0
	s_delay_alu instid0(VALU_DEP_1) | instskip(SKIP_1) | instid1(VALU_DEP_1)
	v_add_nc_u32_e32 v2, v0, v2
	s_wait_loadcnt 0x0
	v_lshrrev_b32_e32 v5, s6, v2
	s_delay_alu instid0(VALU_DEP_1) | instskip(NEXT) | instid1(VALU_DEP_1)
	v_mul_lo_u32 v2, v5, s4
	v_sub_nc_u32_e32 v0, v0, v2
	s_delay_alu instid0(VALU_DEP_1)
	v_mul_lo_u32 v2, v0, s12
	v_mul_lo_u32 v22, v0, s14
	;; [unrolled: 1-line block ×3, first 2 shown]
	s_cbranch_scc1 .LBB364_1595
; %bb.1593:
	s_clause 0x1
	s_load_b96 s[4:6], s[2:3], 0x10
	s_load_b96 s[12:14], s[2:3], 0xd0
	s_wait_kmcnt 0x0
	v_mul_hi_u32 v0, s5, v5
	s_delay_alu instid0(VALU_DEP_1) | instskip(NEXT) | instid1(VALU_DEP_1)
	v_add_nc_u32_e32 v0, v5, v0
	v_lshrrev_b32_e32 v0, s6, v0
	s_delay_alu instid0(VALU_DEP_1) | instskip(NEXT) | instid1(VALU_DEP_1)
	v_mul_lo_u32 v0, v0, s4
	v_sub_nc_u32_e32 v0, v5, v0
	s_delay_alu instid0(VALU_DEP_1)
	v_mad_u32 v2, v0, s12, v2
	v_mad_u32 v20, v0, s13, v20
	;; [unrolled: 1-line block ×3, first 2 shown]
	s_branch .LBB364_1595
.LBB364_1594:
	v_dual_mov_b32 v22, 0 :: v_dual_mov_b32 v20, 0
	v_mov_b32_e32 v2, 0
	s_and_not1_b32 vcc_lo, exec_lo, s4
	s_cbranch_vccz .LBB364_1592
.LBB364_1595:
	v_cmp_ne_u32_e32 vcc_lo, 1, v3
	s_cbranch_vccnz .LBB364_1601
; %bb.1596:
	s_cmp_lg_u32 s28, 0
	s_mov_b32 s4, 0
	s_cbranch_scc0 .LBB364_1605
; %bb.1597:
	s_min_u32 s5, s29, 15
	v_dual_mov_b32 v0, 0 :: v_dual_mov_b32 v3, v1
	v_dual_mov_b32 v16, 0 :: v_dual_mov_b32 v10, 0
	s_add_co_i32 s6, s5, 1
	s_mov_b64 s[0:1], 0xffffffffffffffe8
	s_and_b32 s6, s6, 30
	s_add_nc_u64 s[0:1], s[2:3], s[0:1]
.LBB364_1598:                           ; =>This Inner Loop Header: Depth=1
	s_clause 0x1
	s_load_b128 s[12:15], s[0:1], 0x1c
	s_load_b64 s[10:11], s[0:1], 0x2c
	s_add_co_i32 s6, s6, -2
	s_delay_alu instid0(SALU_CYCLE_1) | instskip(SKIP_3) | instid1(VALU_DEP_1)
	s_cmp_lg_u32 s6, 0
	s_wait_loadcnt 0x0
	s_wait_kmcnt 0x0
	v_mul_hi_u32 v5, s13, v3
	v_add_nc_u32_e32 v5, v3, v5
	s_delay_alu instid0(VALU_DEP_1) | instskip(NEXT) | instid1(VALU_DEP_1)
	v_lshrrev_b32_e32 v5, s14, v5
	v_mul_hi_u32 v7, s10, v5
	v_mul_lo_u32 v9, v5, s12
	s_clause 0x1
	s_load_b128 s[16:19], s[0:1], 0xdc
	s_load_b64 s[12:13], s[0:1], 0xec
	s_wait_xcnt 0x0
	s_add_nc_u64 s[0:1], s[0:1], 24
	s_delay_alu instid0(VALU_DEP_1) | instskip(NEXT) | instid1(VALU_DEP_1)
	v_dual_add_nc_u32 v7, v5, v7 :: v_dual_sub_nc_u32 v9, v3, v9
	v_lshrrev_b32_e32 v3, s11, v7
	s_wait_kmcnt 0x0
	s_delay_alu instid0(VALU_DEP_2) | instskip(NEXT) | instid1(VALU_DEP_2)
	v_mad_u32 v0, v9, s16, v0
	v_mul_lo_u32 v7, v3, s15
	v_mad_u32 v10, v9, s18, v10
	v_mad_u32 v9, v9, s17, v16
	s_delay_alu instid0(VALU_DEP_3) | instskip(NEXT) | instid1(VALU_DEP_1)
	v_sub_nc_u32_e32 v5, v5, v7
	v_mad_u32 v0, v5, s19, v0
	s_delay_alu instid0(VALU_DEP_4) | instskip(NEXT) | instid1(VALU_DEP_4)
	v_mad_u32 v10, v5, s13, v10
	v_mad_u32 v16, v5, s12, v9
	s_cbranch_scc1 .LBB364_1598
; %bb.1599:
	s_bitcmp1_b32 s5, 0
	s_cselect_b32 s5, -1, 0
	s_delay_alu instid0(SALU_CYCLE_1)
	s_and_b32 vcc_lo, exec_lo, s5
	s_cbranch_vccnz .LBB364_1602
; %bb.1600:
	s_clause 0x1
	s_load_b96 s[12:14], s[0:1], 0x1c
	s_load_b96 s[16:18], s[0:1], 0xdc
	s_wait_kmcnt 0x0
	v_mul_hi_u32 v5, s13, v3
	s_delay_alu instid0(VALU_DEP_1) | instskip(NEXT) | instid1(VALU_DEP_1)
	v_add_nc_u32_e32 v5, v3, v5
	v_lshrrev_b32_e32 v5, s14, v5
	s_delay_alu instid0(VALU_DEP_1) | instskip(NEXT) | instid1(VALU_DEP_1)
	v_mul_lo_u32 v5, v5, s12
	v_sub_nc_u32_e32 v3, v3, v5
	s_delay_alu instid0(VALU_DEP_1)
	v_mad_u32 v0, v3, s16, v0
	v_mad_u32 v16, v3, s17, v16
	;; [unrolled: 1-line block ×3, first 2 shown]
	s_and_not1_b32 vcc_lo, exec_lo, s4
	s_cbranch_vccz .LBB364_1603
	s_branch .LBB364_1606
.LBB364_1601:
	s_mov_b32 s4, -1
                                        ; implicit-def: $vgpr10
                                        ; implicit-def: $vgpr16
                                        ; implicit-def: $vgpr0
.LBB364_1602:
	s_delay_alu instid0(SALU_CYCLE_1)
	s_and_not1_b32 vcc_lo, exec_lo, s4
	s_cbranch_vccnz .LBB364_1606
.LBB364_1603:
	s_clause 0x1
	s_load_b96 s[4:6], s[2:3], 0x4
	s_load_b96 s[12:14], s[2:3], 0xc4
	s_cmp_lt_u32 s28, 2
	s_wait_kmcnt 0x0
	v_mul_hi_u32 v0, s5, v1
	s_delay_alu instid0(VALU_DEP_1) | instskip(NEXT) | instid1(VALU_DEP_1)
	v_add_nc_u32_e32 v0, v1, v0
	v_lshrrev_b32_e32 v3, s6, v0
	s_delay_alu instid0(VALU_DEP_1) | instskip(NEXT) | instid1(VALU_DEP_1)
	v_mul_lo_u32 v0, v3, s4
	v_sub_nc_u32_e32 v1, v1, v0
	s_delay_alu instid0(VALU_DEP_1)
	v_mul_lo_u32 v0, v1, s12
	v_mul_lo_u32 v10, v1, s14
	;; [unrolled: 1-line block ×3, first 2 shown]
	s_cbranch_scc1 .LBB364_1606
; %bb.1604:
	s_clause 0x1
	s_load_b96 s[4:6], s[2:3], 0x10
	s_load_b96 s[12:14], s[2:3], 0xd0
	s_wait_kmcnt 0x0
	v_mul_hi_u32 v1, s5, v3
	s_delay_alu instid0(VALU_DEP_1) | instskip(NEXT) | instid1(VALU_DEP_1)
	v_add_nc_u32_e32 v1, v3, v1
	v_lshrrev_b32_e32 v1, s6, v1
	s_delay_alu instid0(VALU_DEP_1) | instskip(NEXT) | instid1(VALU_DEP_1)
	v_mul_lo_u32 v1, v1, s4
	v_sub_nc_u32_e32 v1, v3, v1
	s_delay_alu instid0(VALU_DEP_1)
	v_mad_u32 v0, v1, s12, v0
	v_mad_u32 v16, v1, s13, v16
	;; [unrolled: 1-line block ×3, first 2 shown]
	s_branch .LBB364_1606
.LBB364_1605:
	v_dual_mov_b32 v10, 0 :: v_dual_mov_b32 v16, 0
	v_mov_b32_e32 v0, 0
	s_and_not1_b32 vcc_lo, exec_lo, s4
	s_cbranch_vccz .LBB364_1603
.LBB364_1606:
	s_wait_loadcnt 0x0
	v_mov_b32_e32 v9, 0
	s_load_b128 s[4:7], s[2:3], 0x188
	global_load_u8 v1, v9, s[2:3] offset:421
	s_wait_kmcnt 0x0
	v_add_nc_u64_e32 v[24:25], s[6:7], v[8:9]
	s_wait_loadcnt 0x0
	v_and_b32_e32 v3, 0xffff, v1
	v_readfirstlane_b32 s11, v1
	s_delay_alu instid0(VALU_DEP_2)
	v_cmp_gt_i32_e32 vcc_lo, 11, v3
	s_cbranch_vccnz .LBB364_1613
; %bb.1607:
	s_and_b32 s0, 0xffff, s11
	s_mov_b32 s12, 0
	s_cmp_gt_i32 s0, 25
	s_cbranch_scc0 .LBB364_1615
; %bb.1608:
	s_cmp_gt_i32 s0, 28
	s_cbranch_scc0 .LBB364_1616
; %bb.1609:
	;; [unrolled: 3-line block ×4, first 2 shown]
	s_cmp_eq_u32 s0, 46
	s_mov_b32 s10, 0
	s_cbranch_scc0 .LBB364_1621
; %bb.1612:
	global_load_b32 v1, v[24:25], off
	s_mov_b32 s1, 0
	s_mov_b32 s13, -1
	s_wait_loadcnt 0x0
	v_lshlrev_b32_e32 v1, 16, v1
	s_delay_alu instid0(VALU_DEP_1) | instskip(NEXT) | instid1(VALU_DEP_1)
	v_trunc_f32_e32 v1, v1
	v_mul_f32_e32 v3, 0x2f800000, v1
	s_delay_alu instid0(VALU_DEP_1) | instskip(NEXT) | instid1(VALU_DEP_1)
	v_floor_f32_e32 v3, v3
	v_fmamk_f32 v1, v3, 0xcf800000, v1
	s_wait_xcnt 0x1
	v_cvt_u32_f32_e32 v9, v3
	s_delay_alu instid0(VALU_DEP_2)
	v_cvt_u32_f32_e32 v8, v1
	s_branch .LBB364_1623
.LBB364_1613:
	s_mov_b32 s13, 0
	s_mov_b32 s10, s8
                                        ; implicit-def: $vgpr8_vgpr9
	s_cbranch_execnz .LBB364_1681
.LBB364_1614:
	s_and_not1_b32 vcc_lo, exec_lo, s13
	s_cbranch_vccz .LBB364_1726
	s_branch .LBB364_3047
.LBB364_1615:
	s_mov_b32 s13, 0
	s_mov_b32 s1, 0
                                        ; implicit-def: $vgpr8_vgpr9
	s_cbranch_execnz .LBB364_1648
	s_branch .LBB364_1677
.LBB364_1616:
	s_mov_b32 s13, 0
	s_mov_b32 s1, 0
                                        ; implicit-def: $vgpr8_vgpr9
	s_cbranch_execz .LBB364_1647
	s_branch .LBB364_1632
.LBB364_1617:
	s_mov_b32 s13, 0
	s_mov_b32 s1, 0
                                        ; implicit-def: $vgpr8_vgpr9
	s_cbranch_execnz .LBB364_1628
	s_branch .LBB364_1631
.LBB364_1618:
	s_mov_b32 s10, -1
	s_mov_b32 s13, 0
	s_mov_b32 s1, 0
	s_branch .LBB364_1622
.LBB364_1619:
	s_and_not1_saveexec_b32 s10, s10
	s_cbranch_execz .LBB364_1474
.LBB364_1620:
	v_add_f32_e32 v2, 0x46000000, v3
	s_and_not1_b32 s9, s9, exec_lo
	s_delay_alu instid0(VALU_DEP_1) | instskip(NEXT) | instid1(VALU_DEP_1)
	v_and_b32_e32 v2, 0xff, v2
	v_cmp_ne_u32_e32 vcc_lo, 0, v2
	s_and_b32 s11, vcc_lo, exec_lo
	s_delay_alu instid0(SALU_CYCLE_1)
	s_or_b32 s9, s9, s11
	s_or_b32 exec_lo, exec_lo, s10
	v_mov_b32_e32 v4, 0
	s_and_saveexec_b32 s10, s9
	s_cbranch_execnz .LBB364_1475
	s_branch .LBB364_1476
.LBB364_1621:
	s_mov_b32 s1, -1
	s_mov_b32 s13, 0
.LBB364_1622:
                                        ; implicit-def: $vgpr8_vgpr9
.LBB364_1623:
	s_and_b32 vcc_lo, exec_lo, s10
	s_cbranch_vccz .LBB364_1626
; %bb.1624:
	s_cmp_eq_u32 s0, 44
	s_cbranch_scc0 .LBB364_1627
; %bb.1625:
	global_load_u8 v1, v[24:25], off
	s_mov_b32 s1, 0
	s_mov_b32 s13, -1
	s_wait_loadcnt 0x0
	v_lshlrev_b32_e32 v3, 23, v1
	v_cmp_ne_u32_e32 vcc_lo, 0, v1
	s_delay_alu instid0(VALU_DEP_2) | instskip(NEXT) | instid1(VALU_DEP_1)
	v_trunc_f32_e32 v3, v3
	v_mul_f32_e32 v5, 0x2f800000, v3
	s_delay_alu instid0(VALU_DEP_1) | instskip(NEXT) | instid1(VALU_DEP_1)
	v_floor_f32_e32 v5, v5
	v_fmamk_f32 v3, v5, 0xcf800000, v3
	v_cvt_u32_f32_e32 v5, v5
	s_delay_alu instid0(VALU_DEP_2) | instskip(SKIP_1) | instid1(VALU_DEP_1)
	v_cvt_u32_f32_e32 v3, v3
	s_wait_xcnt 0x1
	v_dual_cndmask_b32 v9, 0, v5 :: v_dual_cndmask_b32 v8, 0, v3
.LBB364_1626:
	s_branch .LBB364_1631
.LBB364_1627:
	s_mov_b32 s1, -1
                                        ; implicit-def: $vgpr8_vgpr9
	s_branch .LBB364_1631
.LBB364_1628:
	s_cmp_eq_u32 s0, 29
	s_cbranch_scc0 .LBB364_1630
; %bb.1629:
	global_load_b64 v[8:9], v[24:25], off
	s_mov_b32 s1, 0
	s_mov_b32 s13, -1
	s_branch .LBB364_1631
.LBB364_1630:
	s_mov_b32 s1, -1
                                        ; implicit-def: $vgpr8_vgpr9
.LBB364_1631:
	s_branch .LBB364_1647
.LBB364_1632:
	s_cmp_lt_i32 s0, 27
	s_cbranch_scc1 .LBB364_1635
; %bb.1633:
	s_cmp_gt_i32 s0, 27
	s_cbranch_scc0 .LBB364_1636
; %bb.1634:
	s_wait_loadcnt 0x0
	global_load_b32 v8, v[24:25], off
	s_wait_xcnt 0x1
	v_mov_b32_e32 v9, 0
	s_mov_b32 s10, 0
	s_branch .LBB364_1637
.LBB364_1635:
	s_mov_b32 s10, -1
                                        ; implicit-def: $vgpr8_vgpr9
	s_branch .LBB364_1640
.LBB364_1636:
	s_mov_b32 s10, -1
                                        ; implicit-def: $vgpr8_vgpr9
.LBB364_1637:
	s_delay_alu instid0(SALU_CYCLE_1)
	s_and_not1_b32 vcc_lo, exec_lo, s10
	s_cbranch_vccnz .LBB364_1639
; %bb.1638:
	global_load_u16 v1, v[24:25], off
	s_mov_b32 s10, 0
	s_wait_loadcnt 0x1
	s_wait_xcnt 0x1
	v_mov_b32_e32 v9, s10
	s_wait_loadcnt 0x0
	v_and_b32_e32 v8, 0xffff, v1
.LBB364_1639:
	s_mov_b32 s10, 0
.LBB364_1640:
	s_delay_alu instid0(SALU_CYCLE_1)
	s_and_not1_b32 vcc_lo, exec_lo, s10
	s_cbranch_vccnz .LBB364_1646
; %bb.1641:
	global_load_u8 v1, v[24:25], off
	s_mov_b32 s13, 0
	s_mov_b32 s10, exec_lo
	s_wait_loadcnt 0x0
	v_cmpx_lt_i16_e32 0x7f, v1
	s_xor_b32 s10, exec_lo, s10
	s_cbranch_execz .LBB364_1657
; %bb.1642:
	v_cmp_ne_u16_e32 vcc_lo, 0x80, v1
	s_and_b32 s13, vcc_lo, exec_lo
	s_and_not1_saveexec_b32 s10, s10
	s_cbranch_execnz .LBB364_1658
.LBB364_1643:
	s_or_b32 exec_lo, exec_lo, s10
	v_mov_b64_e32 v[8:9], 0
	s_and_saveexec_b32 s10, s13
	s_cbranch_execz .LBB364_1645
.LBB364_1644:
	v_and_b32_e32 v3, 0xffff, v1
	s_delay_alu instid0(VALU_DEP_1) | instskip(SKIP_1) | instid1(VALU_DEP_2)
	v_dual_lshlrev_b32 v1, 24, v1 :: v_dual_bitop2_b32 v5, 7, v3 bitop3:0x40
	v_bfe_u32 v9, v3, 3, 4
	v_and_b32_e32 v1, 0x80000000, v1
	s_delay_alu instid0(VALU_DEP_3) | instskip(NEXT) | instid1(VALU_DEP_3)
	v_clz_i32_u32_e32 v7, v5
	v_cmp_eq_u32_e32 vcc_lo, 0, v9
	s_delay_alu instid0(VALU_DEP_2) | instskip(NEXT) | instid1(VALU_DEP_1)
	v_min_u32_e32 v7, 32, v7
	v_subrev_nc_u32_e32 v8, 28, v7
	v_sub_nc_u32_e32 v7, 29, v7
	s_delay_alu instid0(VALU_DEP_2) | instskip(NEXT) | instid1(VALU_DEP_2)
	v_lshlrev_b32_e32 v3, v8, v3
	v_cndmask_b32_e32 v7, v9, v7, vcc_lo
	s_delay_alu instid0(VALU_DEP_2) | instskip(NEXT) | instid1(VALU_DEP_1)
	v_and_b32_e32 v3, 7, v3
	v_cndmask_b32_e32 v3, v5, v3, vcc_lo
	s_delay_alu instid0(VALU_DEP_3) | instskip(NEXT) | instid1(VALU_DEP_2)
	v_lshl_add_u32 v5, v7, 23, 0x3b800000
	v_lshlrev_b32_e32 v3, 20, v3
	s_delay_alu instid0(VALU_DEP_1) | instskip(NEXT) | instid1(VALU_DEP_1)
	v_or3_b32 v1, v1, v5, v3
	v_trunc_f32_e32 v1, v1
	s_delay_alu instid0(VALU_DEP_1) | instskip(NEXT) | instid1(VALU_DEP_1)
	v_mul_f32_e32 v3, 0x2f800000, v1
	v_floor_f32_e32 v3, v3
	s_delay_alu instid0(VALU_DEP_1) | instskip(SKIP_1) | instid1(VALU_DEP_2)
	v_fmamk_f32 v1, v3, 0xcf800000, v1
	v_cvt_u32_f32_e32 v9, v3
	v_cvt_u32_f32_e32 v8, v1
.LBB364_1645:
	s_or_b32 exec_lo, exec_lo, s10
.LBB364_1646:
	s_mov_b32 s13, -1
.LBB364_1647:
	s_branch .LBB364_1677
.LBB364_1648:
	s_cmp_gt_i32 s0, 22
	s_cbranch_scc0 .LBB364_1656
; %bb.1649:
	s_cmp_lt_i32 s0, 24
	s_cbranch_scc1 .LBB364_1659
; %bb.1650:
	s_cmp_gt_i32 s0, 24
	s_cbranch_scc0 .LBB364_1660
; %bb.1651:
	global_load_u8 v1, v[24:25], off
	s_mov_b32 s10, exec_lo
	s_wait_loadcnt 0x0
	v_cmpx_lt_i16_e32 0x7f, v1
	s_xor_b32 s10, exec_lo, s10
	s_cbranch_execz .LBB364_1671
; %bb.1652:
	v_cmp_ne_u16_e32 vcc_lo, 0x80, v1
	s_and_b32 s12, vcc_lo, exec_lo
	s_and_not1_saveexec_b32 s10, s10
	s_cbranch_execnz .LBB364_1672
.LBB364_1653:
	s_or_b32 exec_lo, exec_lo, s10
	v_mov_b64_e32 v[8:9], 0
	s_and_saveexec_b32 s10, s12
	s_cbranch_execz .LBB364_1655
.LBB364_1654:
	v_and_b32_e32 v3, 0xffff, v1
	s_delay_alu instid0(VALU_DEP_1) | instskip(SKIP_1) | instid1(VALU_DEP_2)
	v_dual_lshlrev_b32 v1, 24, v1 :: v_dual_bitop2_b32 v5, 3, v3 bitop3:0x40
	v_bfe_u32 v9, v3, 2, 5
	v_and_b32_e32 v1, 0x80000000, v1
	s_delay_alu instid0(VALU_DEP_3) | instskip(NEXT) | instid1(VALU_DEP_3)
	v_clz_i32_u32_e32 v7, v5
	v_cmp_eq_u32_e32 vcc_lo, 0, v9
	s_delay_alu instid0(VALU_DEP_2) | instskip(NEXT) | instid1(VALU_DEP_1)
	v_min_u32_e32 v7, 32, v7
	v_subrev_nc_u32_e32 v8, 29, v7
	v_sub_nc_u32_e32 v7, 30, v7
	s_delay_alu instid0(VALU_DEP_2) | instskip(NEXT) | instid1(VALU_DEP_2)
	v_lshlrev_b32_e32 v3, v8, v3
	v_cndmask_b32_e32 v7, v9, v7, vcc_lo
	s_delay_alu instid0(VALU_DEP_2) | instskip(NEXT) | instid1(VALU_DEP_1)
	v_and_b32_e32 v3, 3, v3
	v_cndmask_b32_e32 v3, v5, v3, vcc_lo
	s_delay_alu instid0(VALU_DEP_3) | instskip(NEXT) | instid1(VALU_DEP_2)
	v_lshl_add_u32 v5, v7, 23, 0x37800000
	v_lshlrev_b32_e32 v3, 21, v3
	s_delay_alu instid0(VALU_DEP_1) | instskip(NEXT) | instid1(VALU_DEP_1)
	v_or3_b32 v1, v1, v5, v3
	v_trunc_f32_e32 v1, v1
	s_delay_alu instid0(VALU_DEP_1) | instskip(NEXT) | instid1(VALU_DEP_1)
	v_mul_f32_e32 v3, 0x2f800000, v1
	v_floor_f32_e32 v3, v3
	s_delay_alu instid0(VALU_DEP_1) | instskip(SKIP_1) | instid1(VALU_DEP_2)
	v_fmamk_f32 v1, v3, 0xcf800000, v1
	v_cvt_u32_f32_e32 v9, v3
	v_cvt_u32_f32_e32 v8, v1
.LBB364_1655:
	s_or_b32 exec_lo, exec_lo, s10
	s_mov_b32 s10, 0
	s_branch .LBB364_1661
.LBB364_1656:
                                        ; implicit-def: $vgpr8_vgpr9
	s_mov_b32 s12, 0
	s_branch .LBB364_1667
.LBB364_1657:
	s_and_not1_saveexec_b32 s10, s10
	s_cbranch_execz .LBB364_1643
.LBB364_1658:
	v_cmp_ne_u16_e32 vcc_lo, 0, v1
	s_and_not1_b32 s13, s13, exec_lo
	s_and_b32 s14, vcc_lo, exec_lo
	s_delay_alu instid0(SALU_CYCLE_1)
	s_or_b32 s13, s13, s14
	s_or_b32 exec_lo, exec_lo, s10
	v_mov_b64_e32 v[8:9], 0
	s_and_saveexec_b32 s10, s13
	s_cbranch_execnz .LBB364_1644
	s_branch .LBB364_1645
.LBB364_1659:
	s_mov_b32 s10, -1
                                        ; implicit-def: $vgpr8_vgpr9
	s_branch .LBB364_1664
.LBB364_1660:
	s_mov_b32 s10, -1
                                        ; implicit-def: $vgpr8_vgpr9
.LBB364_1661:
	s_delay_alu instid0(SALU_CYCLE_1)
	s_and_b32 vcc_lo, exec_lo, s10
	s_cbranch_vccz .LBB364_1663
; %bb.1662:
	global_load_u8 v1, v[24:25], off
	s_wait_loadcnt 0x0
	v_lshlrev_b32_e32 v1, 24, v1
	s_delay_alu instid0(VALU_DEP_1) | instskip(NEXT) | instid1(VALU_DEP_1)
	v_and_b32_e32 v3, 0x7f000000, v1
	v_clz_i32_u32_e32 v5, v3
	v_cmp_ne_u32_e32 vcc_lo, 0, v3
	v_add_nc_u32_e32 v8, 0x1000000, v3
	s_delay_alu instid0(VALU_DEP_3) | instskip(NEXT) | instid1(VALU_DEP_1)
	v_min_u32_e32 v5, 32, v5
	v_sub_nc_u32_e64 v5, v5, 4 clamp
	s_delay_alu instid0(VALU_DEP_1) | instskip(NEXT) | instid1(VALU_DEP_1)
	v_dual_lshlrev_b32 v7, v5, v3 :: v_dual_lshlrev_b32 v5, 23, v5
	v_lshrrev_b32_e32 v7, 4, v7
	s_delay_alu instid0(VALU_DEP_1) | instskip(NEXT) | instid1(VALU_DEP_1)
	v_dual_sub_nc_u32 v5, v7, v5 :: v_dual_ashrrev_i32 v7, 8, v8
	v_add_nc_u32_e32 v5, 0x3c000000, v5
	s_delay_alu instid0(VALU_DEP_1) | instskip(NEXT) | instid1(VALU_DEP_1)
	v_and_or_b32 v5, 0x7f800000, v7, v5
	v_cndmask_b32_e32 v3, 0, v5, vcc_lo
	s_delay_alu instid0(VALU_DEP_1) | instskip(NEXT) | instid1(VALU_DEP_1)
	v_and_or_b32 v1, 0x80000000, v1, v3
	v_trunc_f32_e32 v1, v1
	s_delay_alu instid0(VALU_DEP_1) | instskip(NEXT) | instid1(VALU_DEP_1)
	v_mul_f32_e32 v3, 0x2f800000, v1
	v_floor_f32_e32 v3, v3
	s_delay_alu instid0(VALU_DEP_1) | instskip(SKIP_2) | instid1(VALU_DEP_2)
	v_fmamk_f32 v1, v3, 0xcf800000, v1
	s_wait_xcnt 0x1
	v_cvt_u32_f32_e32 v9, v3
	v_cvt_u32_f32_e32 v8, v1
.LBB364_1663:
	s_mov_b32 s10, 0
.LBB364_1664:
	s_delay_alu instid0(SALU_CYCLE_1)
	s_and_not1_b32 vcc_lo, exec_lo, s10
	s_cbranch_vccnz .LBB364_1666
; %bb.1665:
	global_load_u8 v1, v[24:25], off
	s_wait_loadcnt 0x0
	v_lshlrev_b32_e32 v3, 25, v1
	v_lshlrev_b16 v1, 8, v1
	s_delay_alu instid0(VALU_DEP_1) | instskip(SKIP_1) | instid1(VALU_DEP_2)
	v_and_or_b32 v7, 0x7f00, v1, 0.5
	v_bfe_i32 v1, v1, 0, 16
	v_add_f32_e32 v7, -0.5, v7
	v_lshrrev_b32_e32 v5, 4, v3
	v_cmp_gt_u32_e32 vcc_lo, 0x8000000, v3
	s_delay_alu instid0(VALU_DEP_2) | instskip(NEXT) | instid1(VALU_DEP_1)
	v_or_b32_e32 v5, 0x70000000, v5
	v_mul_f32_e32 v5, 0x7800000, v5
	s_delay_alu instid0(VALU_DEP_1) | instskip(NEXT) | instid1(VALU_DEP_1)
	v_cndmask_b32_e32 v3, v5, v7, vcc_lo
	v_and_or_b32 v1, 0x80000000, v1, v3
	s_delay_alu instid0(VALU_DEP_1) | instskip(NEXT) | instid1(VALU_DEP_1)
	v_trunc_f32_e32 v1, v1
	v_mul_f32_e32 v3, 0x2f800000, v1
	s_delay_alu instid0(VALU_DEP_1) | instskip(NEXT) | instid1(VALU_DEP_1)
	v_floor_f32_e32 v3, v3
	v_fmamk_f32 v1, v3, 0xcf800000, v1
	s_wait_xcnt 0x1
	v_cvt_u32_f32_e32 v9, v3
	s_delay_alu instid0(VALU_DEP_2)
	v_cvt_u32_f32_e32 v8, v1
.LBB364_1666:
	s_mov_b32 s13, -1
	s_mov_b32 s12, 0
	s_cbranch_execnz .LBB364_1677
.LBB364_1667:
	s_cmp_gt_i32 s0, 14
	s_cbranch_scc0 .LBB364_1670
; %bb.1668:
	s_cmp_eq_u32 s0, 15
	s_cbranch_scc0 .LBB364_1673
; %bb.1669:
	global_load_u16 v1, v[24:25], off
	s_mov_b32 s1, 0
	s_mov_b32 s13, -1
	s_wait_loadcnt 0x0
	v_lshlrev_b32_e32 v1, 16, v1
	s_delay_alu instid0(VALU_DEP_1) | instskip(NEXT) | instid1(VALU_DEP_1)
	v_trunc_f32_e32 v1, v1
	v_mul_f32_e32 v3, 0x2f800000, v1
	s_delay_alu instid0(VALU_DEP_1) | instskip(NEXT) | instid1(VALU_DEP_1)
	v_floor_f32_e32 v3, v3
	v_fmamk_f32 v1, v3, 0xcf800000, v1
	s_wait_xcnt 0x1
	v_cvt_u32_f32_e32 v9, v3
	s_delay_alu instid0(VALU_DEP_2)
	v_cvt_u32_f32_e32 v8, v1
	s_branch .LBB364_1674
.LBB364_1670:
	s_mov_b32 s10, -1
                                        ; implicit-def: $vgpr8_vgpr9
	s_branch .LBB364_1675
.LBB364_1671:
	s_and_not1_saveexec_b32 s10, s10
	s_cbranch_execz .LBB364_1653
.LBB364_1672:
	v_cmp_ne_u16_e32 vcc_lo, 0, v1
	s_and_not1_b32 s12, s12, exec_lo
	s_and_b32 s13, vcc_lo, exec_lo
	s_delay_alu instid0(SALU_CYCLE_1)
	s_or_b32 s12, s12, s13
	s_or_b32 exec_lo, exec_lo, s10
	v_mov_b64_e32 v[8:9], 0
	s_and_saveexec_b32 s10, s12
	s_cbranch_execnz .LBB364_1654
	s_branch .LBB364_1655
.LBB364_1673:
	s_mov_b32 s1, -1
                                        ; implicit-def: $vgpr8_vgpr9
.LBB364_1674:
	s_mov_b32 s10, 0
.LBB364_1675:
	s_delay_alu instid0(SALU_CYCLE_1)
	s_and_b32 vcc_lo, exec_lo, s10
	s_cbranch_vccz .LBB364_1677
; %bb.1676:
	s_cmp_lg_u32 s0, 11
	s_mov_b32 s12, -1
	s_cselect_b32 s1, -1, 0
.LBB364_1677:
	s_delay_alu instid0(SALU_CYCLE_1)
	s_and_b32 vcc_lo, exec_lo, s1
	s_mov_b32 s10, s8
	s_cbranch_vccnz .LBB364_1738
; %bb.1678:
	s_and_not1_b32 vcc_lo, exec_lo, s12
	s_cbranch_vccnz .LBB364_1680
.LBB364_1679:
	global_load_u8 v1, v[24:25], off
	s_mov_b32 s0, 0
	s_mov_b32 s13, -1
	s_wait_loadcnt 0x1
	s_wait_xcnt 0x1
	v_mov_b32_e32 v9, s0
	s_wait_loadcnt 0x0
	v_cmp_ne_u16_e32 vcc_lo, 0, v1
	v_cndmask_b32_e64 v8, 0, 1, vcc_lo
.LBB364_1680:
	s_branch .LBB364_1614
.LBB364_1681:
	s_and_b32 s0, 0xffff, s11
	s_delay_alu instid0(SALU_CYCLE_1)
	s_cmp_lt_i32 s0, 5
	s_cbranch_scc1 .LBB364_1686
; %bb.1682:
	s_cmp_lt_i32 s0, 8
	s_cbranch_scc1 .LBB364_1687
; %bb.1683:
	;; [unrolled: 3-line block ×3, first 2 shown]
	s_cmp_gt_i32 s0, 9
	s_cbranch_scc0 .LBB364_1689
; %bb.1685:
	s_wait_loadcnt 0x0
	global_load_b64 v[8:9], v[24:25], off
	s_mov_b32 s1, 0
	s_wait_loadcnt 0x0
	v_trunc_f64_e32 v[8:9], v[8:9]
	s_delay_alu instid0(VALU_DEP_1) | instskip(NEXT) | instid1(VALU_DEP_1)
	v_ldexp_f64 v[26:27], v[8:9], 0xffffffe0
	v_floor_f64_e32 v[26:27], v[26:27]
	s_delay_alu instid0(VALU_DEP_1) | instskip(SKIP_1) | instid1(VALU_DEP_2)
	v_fmamk_f64 v[28:29], v[26:27], 0xc1f00000, v[8:9]
	v_cvt_u32_f64_e32 v9, v[26:27]
	v_cvt_u32_f64_e32 v8, v[28:29]
	s_branch .LBB364_1690
.LBB364_1686:
                                        ; implicit-def: $vgpr8_vgpr9
	s_branch .LBB364_1707
.LBB364_1687:
                                        ; implicit-def: $vgpr8_vgpr9
	s_branch .LBB364_1696
.LBB364_1688:
	s_mov_b32 s1, -1
                                        ; implicit-def: $vgpr8_vgpr9
	s_branch .LBB364_1693
.LBB364_1689:
	s_mov_b32 s1, -1
                                        ; implicit-def: $vgpr8_vgpr9
.LBB364_1690:
	s_delay_alu instid0(SALU_CYCLE_1)
	s_and_not1_b32 vcc_lo, exec_lo, s1
	s_cbranch_vccnz .LBB364_1692
; %bb.1691:
	global_load_b32 v1, v[24:25], off
	s_wait_loadcnt 0x0
	v_trunc_f32_e32 v1, v1
	s_delay_alu instid0(VALU_DEP_1) | instskip(NEXT) | instid1(VALU_DEP_1)
	v_mul_f32_e32 v3, 0x2f800000, v1
	v_floor_f32_e32 v3, v3
	s_delay_alu instid0(VALU_DEP_1) | instskip(SKIP_2) | instid1(VALU_DEP_2)
	v_fmamk_f32 v1, v3, 0xcf800000, v1
	s_wait_xcnt 0x1
	v_cvt_u32_f32_e32 v9, v3
	v_cvt_u32_f32_e32 v8, v1
.LBB364_1692:
	s_mov_b32 s1, 0
.LBB364_1693:
	s_delay_alu instid0(SALU_CYCLE_1)
	s_and_not1_b32 vcc_lo, exec_lo, s1
	s_cbranch_vccnz .LBB364_1695
; %bb.1694:
	global_load_b32 v1, v[24:25], off
	s_wait_loadcnt 0x1
	s_wait_xcnt 0x1
	v_mov_b32_e32 v9, 0
	s_wait_loadcnt 0x0
	v_cvt_f32_f16_e32 v1, v1
	s_delay_alu instid0(VALU_DEP_1)
	v_cvt_u32_f32_e32 v8, v1
.LBB364_1695:
	s_cbranch_execnz .LBB364_1706
.LBB364_1696:
	s_cmp_lt_i32 s0, 6
	s_cbranch_scc1 .LBB364_1699
; %bb.1697:
	s_cmp_gt_i32 s0, 6
	s_cbranch_scc0 .LBB364_1700
; %bb.1698:
	s_wait_loadcnt 0x0
	global_load_b64 v[8:9], v[24:25], off
	s_mov_b32 s1, 0
	s_wait_loadcnt 0x0
	v_trunc_f64_e32 v[8:9], v[8:9]
	s_delay_alu instid0(VALU_DEP_1) | instskip(NEXT) | instid1(VALU_DEP_1)
	v_ldexp_f64 v[26:27], v[8:9], 0xffffffe0
	v_floor_f64_e32 v[26:27], v[26:27]
	s_delay_alu instid0(VALU_DEP_1) | instskip(SKIP_1) | instid1(VALU_DEP_2)
	v_fmamk_f64 v[28:29], v[26:27], 0xc1f00000, v[8:9]
	v_cvt_u32_f64_e32 v9, v[26:27]
	v_cvt_u32_f64_e32 v8, v[28:29]
	s_branch .LBB364_1701
.LBB364_1699:
	s_mov_b32 s1, -1
                                        ; implicit-def: $vgpr8_vgpr9
	s_branch .LBB364_1704
.LBB364_1700:
	s_mov_b32 s1, -1
                                        ; implicit-def: $vgpr8_vgpr9
.LBB364_1701:
	s_delay_alu instid0(SALU_CYCLE_1)
	s_and_not1_b32 vcc_lo, exec_lo, s1
	s_cbranch_vccnz .LBB364_1703
; %bb.1702:
	global_load_b32 v1, v[24:25], off
	s_wait_loadcnt 0x0
	v_trunc_f32_e32 v1, v1
	s_delay_alu instid0(VALU_DEP_1) | instskip(NEXT) | instid1(VALU_DEP_1)
	v_mul_f32_e32 v3, 0x2f800000, v1
	v_floor_f32_e32 v3, v3
	s_delay_alu instid0(VALU_DEP_1) | instskip(SKIP_2) | instid1(VALU_DEP_2)
	v_fmamk_f32 v1, v3, 0xcf800000, v1
	s_wait_xcnt 0x1
	v_cvt_u32_f32_e32 v9, v3
	v_cvt_u32_f32_e32 v8, v1
.LBB364_1703:
	s_mov_b32 s1, 0
.LBB364_1704:
	s_delay_alu instid0(SALU_CYCLE_1)
	s_and_not1_b32 vcc_lo, exec_lo, s1
	s_cbranch_vccnz .LBB364_1706
; %bb.1705:
	global_load_u16 v1, v[24:25], off
	s_wait_loadcnt 0x1
	s_wait_xcnt 0x1
	v_mov_b32_e32 v9, 0
	s_wait_loadcnt 0x0
	v_cvt_f32_f16_e32 v1, v1
	s_delay_alu instid0(VALU_DEP_1)
	v_cvt_u32_f32_e32 v8, v1
.LBB364_1706:
	s_cbranch_execnz .LBB364_1725
.LBB364_1707:
	s_cmp_lt_i32 s0, 2
	s_cbranch_scc1 .LBB364_1711
; %bb.1708:
	s_cmp_lt_i32 s0, 3
	s_cbranch_scc1 .LBB364_1712
; %bb.1709:
	s_cmp_gt_i32 s0, 3
	s_cbranch_scc0 .LBB364_1713
; %bb.1710:
	s_wait_loadcnt 0x0
	global_load_b64 v[8:9], v[24:25], off
	s_mov_b32 s1, 0
	s_branch .LBB364_1714
.LBB364_1711:
                                        ; implicit-def: $vgpr8_vgpr9
	s_branch .LBB364_1720
.LBB364_1712:
	s_mov_b32 s1, -1
                                        ; implicit-def: $vgpr8_vgpr9
	s_branch .LBB364_1717
.LBB364_1713:
	s_mov_b32 s1, -1
                                        ; implicit-def: $vgpr8_vgpr9
.LBB364_1714:
	s_delay_alu instid0(SALU_CYCLE_1)
	s_and_not1_b32 vcc_lo, exec_lo, s1
	s_cbranch_vccnz .LBB364_1716
; %bb.1715:
	s_wait_loadcnt 0x0
	global_load_b32 v8, v[24:25], off
	s_wait_loadcnt 0x0
	s_wait_xcnt 0x1
	v_ashrrev_i32_e32 v9, 31, v8
.LBB364_1716:
	s_mov_b32 s1, 0
.LBB364_1717:
	s_delay_alu instid0(SALU_CYCLE_1)
	s_and_not1_b32 vcc_lo, exec_lo, s1
	s_cbranch_vccnz .LBB364_1719
; %bb.1718:
	global_load_u16 v1, v[24:25], off
	s_wait_loadcnt 0x0
	v_bfe_i32 v8, v1, 0, 16
	s_wait_xcnt 0x1
	s_delay_alu instid0(VALU_DEP_1)
	v_ashrrev_i32_e32 v9, 31, v8
.LBB364_1719:
	s_cbranch_execnz .LBB364_1725
.LBB364_1720:
	s_cmp_gt_i32 s0, 0
	s_mov_b32 s0, 0
	s_cbranch_scc0 .LBB364_1722
; %bb.1721:
	global_load_i8 v1, v[24:25], off
	s_wait_loadcnt 0x0
	v_bfe_i32 v8, v1, 0, 16
	s_wait_xcnt 0x1
	s_delay_alu instid0(VALU_DEP_1)
	v_ashrrev_i32_e32 v9, 31, v8
	s_branch .LBB364_1723
.LBB364_1722:
	s_mov_b32 s0, -1
                                        ; implicit-def: $vgpr8_vgpr9
.LBB364_1723:
	s_delay_alu instid0(SALU_CYCLE_1)
	s_and_not1_b32 vcc_lo, exec_lo, s0
	s_cbranch_vccnz .LBB364_1725
; %bb.1724:
	global_load_u8 v1, v[24:25], off
	s_mov_b32 s0, 0
	s_wait_loadcnt 0x1
	s_wait_xcnt 0x1
	v_mov_b32_e32 v9, s0
	s_wait_loadcnt 0x0
	v_and_b32_e32 v8, 0xffff, v1
.LBB364_1725:
.LBB364_1726:
	v_mov_b32_e32 v13, 0
	s_load_b64 s[0:1], s[2:3], 0x198
	global_load_u8 v1, v13, s[2:3] offset:422
	s_wait_kmcnt 0x0
	v_add_nc_u64_e32 v[24:25], s[0:1], v[12:13]
	s_wait_loadcnt 0x0
	v_and_b32_e32 v3, 0xffff, v1
	v_readfirstlane_b32 s12, v1
	s_delay_alu instid0(VALU_DEP_2)
	v_cmp_gt_i32_e32 vcc_lo, 11, v3
	s_cbranch_vccnz .LBB364_1733
; %bb.1727:
	s_and_b32 s13, 0xffff, s12
	s_mov_b32 s15, 0
	s_cmp_gt_i32 s13, 25
	s_cbranch_scc0 .LBB364_1735
; %bb.1728:
	s_cmp_gt_i32 s13, 28
	s_cbranch_scc0 .LBB364_1736
; %bb.1729:
	;; [unrolled: 3-line block ×4, first 2 shown]
	s_cmp_eq_u32 s13, 46
	s_mov_b32 s17, 0
	s_cbranch_scc0 .LBB364_1742
; %bb.1732:
	global_load_b32 v1, v[24:25], off
	s_mov_b32 s14, 0
	s_mov_b32 s16, -1
	s_wait_loadcnt 0x0
	v_lshlrev_b32_e32 v1, 16, v1
	s_delay_alu instid0(VALU_DEP_1) | instskip(NEXT) | instid1(VALU_DEP_1)
	v_trunc_f32_e32 v1, v1
	v_mul_f32_e32 v3, 0x2f800000, v1
	s_delay_alu instid0(VALU_DEP_1) | instskip(NEXT) | instid1(VALU_DEP_1)
	v_floor_f32_e32 v3, v3
	v_fmamk_f32 v1, v3, 0xcf800000, v1
	s_wait_xcnt 0x1
	v_cvt_u32_f32_e32 v13, v3
	s_delay_alu instid0(VALU_DEP_2)
	v_cvt_u32_f32_e32 v12, v1
	s_branch .LBB364_1744
.LBB364_1733:
	s_mov_b32 s16, 0
                                        ; implicit-def: $vgpr12_vgpr13
	s_cbranch_execnz .LBB364_1805
.LBB364_1734:
	s_and_not1_b32 vcc_lo, exec_lo, s16
	s_cbranch_vccnz .LBB364_3047
	s_branch .LBB364_1852
.LBB364_1735:
	s_mov_b32 s16, 0
	s_mov_b32 s14, 0
                                        ; implicit-def: $vgpr12_vgpr13
	s_cbranch_execnz .LBB364_1771
	s_branch .LBB364_1801
.LBB364_1736:
	s_mov_b32 s17, -1
	s_mov_b32 s16, 0
	s_mov_b32 s14, 0
                                        ; implicit-def: $vgpr12_vgpr13
	s_branch .LBB364_1754
.LBB364_1737:
	s_mov_b32 s17, -1
	s_mov_b32 s16, 0
	s_mov_b32 s14, 0
                                        ; implicit-def: $vgpr12_vgpr13
	s_branch .LBB364_1749
.LBB364_1738:
	s_or_b32 s10, s8, exec_lo
	s_trap 2
	s_cbranch_execz .LBB364_1679
	s_branch .LBB364_1680
.LBB364_1739:
	s_mov_b32 s17, -1
	s_mov_b32 s16, 0
	s_mov_b32 s14, 0
	s_branch .LBB364_1743
.LBB364_1740:
	s_and_not1_saveexec_b32 s11, s11
	s_cbranch_execz .LBB364_1486
.LBB364_1741:
	v_add_f32_e32 v2, 0x42800000, v3
	s_and_not1_b32 s10, s10, exec_lo
	s_delay_alu instid0(VALU_DEP_1) | instskip(NEXT) | instid1(VALU_DEP_1)
	v_and_b32_e32 v2, 0xff, v2
	v_cmp_ne_u32_e32 vcc_lo, 0, v2
	s_and_b32 s12, vcc_lo, exec_lo
	s_delay_alu instid0(SALU_CYCLE_1)
	s_or_b32 s10, s10, s12
	s_or_b32 exec_lo, exec_lo, s11
	v_mov_b32_e32 v4, 0
	s_and_saveexec_b32 s11, s10
	s_cbranch_execnz .LBB364_1487
	s_branch .LBB364_1488
.LBB364_1742:
	s_mov_b32 s14, -1
	s_mov_b32 s16, 0
.LBB364_1743:
                                        ; implicit-def: $vgpr12_vgpr13
.LBB364_1744:
	s_and_b32 vcc_lo, exec_lo, s17
	s_cbranch_vccz .LBB364_1748
; %bb.1745:
	s_cmp_eq_u32 s13, 44
	s_cbranch_scc0 .LBB364_1747
; %bb.1746:
	global_load_u8 v1, v[24:25], off
	s_mov_b32 s14, 0
	s_mov_b32 s16, -1
	s_wait_loadcnt 0x0
	v_lshlrev_b32_e32 v3, 23, v1
	v_cmp_ne_u32_e32 vcc_lo, 0, v1
	s_delay_alu instid0(VALU_DEP_2) | instskip(NEXT) | instid1(VALU_DEP_1)
	v_trunc_f32_e32 v3, v3
	v_mul_f32_e32 v5, 0x2f800000, v3
	s_delay_alu instid0(VALU_DEP_1) | instskip(NEXT) | instid1(VALU_DEP_1)
	v_floor_f32_e32 v5, v5
	v_fmamk_f32 v3, v5, 0xcf800000, v3
	v_cvt_u32_f32_e32 v5, v5
	s_delay_alu instid0(VALU_DEP_2) | instskip(SKIP_1) | instid1(VALU_DEP_1)
	v_cvt_u32_f32_e32 v3, v3
	s_wait_xcnt 0x1
	v_dual_cndmask_b32 v13, 0, v5 :: v_dual_cndmask_b32 v12, 0, v3
	s_branch .LBB364_1748
.LBB364_1747:
	s_mov_b32 s14, -1
                                        ; implicit-def: $vgpr12_vgpr13
.LBB364_1748:
	s_mov_b32 s17, 0
.LBB364_1749:
	s_delay_alu instid0(SALU_CYCLE_1)
	s_and_b32 vcc_lo, exec_lo, s17
	s_cbranch_vccz .LBB364_1753
; %bb.1750:
	s_cmp_eq_u32 s13, 29
	s_cbranch_scc0 .LBB364_1752
; %bb.1751:
	global_load_b64 v[12:13], v[24:25], off
	s_mov_b32 s14, 0
	s_mov_b32 s16, -1
	s_branch .LBB364_1753
.LBB364_1752:
	s_mov_b32 s14, -1
                                        ; implicit-def: $vgpr12_vgpr13
.LBB364_1753:
	s_mov_b32 s17, 0
.LBB364_1754:
	s_delay_alu instid0(SALU_CYCLE_1)
	s_and_b32 vcc_lo, exec_lo, s17
	s_cbranch_vccz .LBB364_1770
; %bb.1755:
	s_cmp_lt_i32 s13, 27
	s_cbranch_scc1 .LBB364_1758
; %bb.1756:
	s_cmp_gt_i32 s13, 27
	s_cbranch_scc0 .LBB364_1759
; %bb.1757:
	s_wait_loadcnt 0x0
	global_load_b32 v12, v[24:25], off
	s_wait_xcnt 0x1
	v_mov_b32_e32 v13, 0
	s_mov_b32 s16, 0
	s_branch .LBB364_1760
.LBB364_1758:
	s_mov_b32 s16, -1
                                        ; implicit-def: $vgpr12_vgpr13
	s_branch .LBB364_1763
.LBB364_1759:
	s_mov_b32 s16, -1
                                        ; implicit-def: $vgpr12_vgpr13
.LBB364_1760:
	s_delay_alu instid0(SALU_CYCLE_1)
	s_and_not1_b32 vcc_lo, exec_lo, s16
	s_cbranch_vccnz .LBB364_1762
; %bb.1761:
	global_load_u16 v1, v[24:25], off
	s_mov_b32 s16, 0
	s_wait_loadcnt 0x1
	s_wait_xcnt 0x1
	v_mov_b32_e32 v13, s16
	s_wait_loadcnt 0x0
	v_and_b32_e32 v12, 0xffff, v1
.LBB364_1762:
	s_mov_b32 s16, 0
.LBB364_1763:
	s_delay_alu instid0(SALU_CYCLE_1)
	s_and_not1_b32 vcc_lo, exec_lo, s16
	s_cbranch_vccnz .LBB364_1769
; %bb.1764:
	global_load_u8 v1, v[24:25], off
	s_mov_b32 s17, 0
	s_mov_b32 s16, exec_lo
	s_wait_loadcnt 0x0
	v_cmpx_lt_i16_e32 0x7f, v1
	s_xor_b32 s16, exec_lo, s16
	s_cbranch_execz .LBB364_1780
; %bb.1765:
	v_cmp_ne_u16_e32 vcc_lo, 0x80, v1
	s_and_b32 s17, vcc_lo, exec_lo
	s_and_not1_saveexec_b32 s16, s16
	s_cbranch_execnz .LBB364_1781
.LBB364_1766:
	s_or_b32 exec_lo, exec_lo, s16
	v_mov_b64_e32 v[12:13], 0
	s_and_saveexec_b32 s16, s17
	s_cbranch_execz .LBB364_1768
.LBB364_1767:
	v_and_b32_e32 v3, 0xffff, v1
	s_delay_alu instid0(VALU_DEP_1) | instskip(SKIP_1) | instid1(VALU_DEP_2)
	v_dual_lshlrev_b32 v1, 24, v1 :: v_dual_bitop2_b32 v5, 7, v3 bitop3:0x40
	v_bfe_u32 v12, v3, 3, 4
	v_and_b32_e32 v1, 0x80000000, v1
	s_delay_alu instid0(VALU_DEP_3) | instskip(NEXT) | instid1(VALU_DEP_3)
	v_clz_i32_u32_e32 v7, v5
	v_cmp_eq_u32_e32 vcc_lo, 0, v12
	s_delay_alu instid0(VALU_DEP_2) | instskip(NEXT) | instid1(VALU_DEP_1)
	v_min_u32_e32 v7, 32, v7
	v_subrev_nc_u32_e32 v11, 28, v7
	v_sub_nc_u32_e32 v7, 29, v7
	s_delay_alu instid0(VALU_DEP_2) | instskip(NEXT) | instid1(VALU_DEP_2)
	v_lshlrev_b32_e32 v3, v11, v3
	v_cndmask_b32_e32 v7, v12, v7, vcc_lo
	s_delay_alu instid0(VALU_DEP_2) | instskip(NEXT) | instid1(VALU_DEP_1)
	v_and_b32_e32 v3, 7, v3
	v_cndmask_b32_e32 v3, v5, v3, vcc_lo
	s_delay_alu instid0(VALU_DEP_3) | instskip(NEXT) | instid1(VALU_DEP_2)
	v_lshl_add_u32 v5, v7, 23, 0x3b800000
	v_lshlrev_b32_e32 v3, 20, v3
	s_delay_alu instid0(VALU_DEP_1) | instskip(NEXT) | instid1(VALU_DEP_1)
	v_or3_b32 v1, v1, v5, v3
	v_trunc_f32_e32 v1, v1
	s_delay_alu instid0(VALU_DEP_1) | instskip(NEXT) | instid1(VALU_DEP_1)
	v_mul_f32_e32 v3, 0x2f800000, v1
	v_floor_f32_e32 v3, v3
	s_delay_alu instid0(VALU_DEP_1) | instskip(SKIP_1) | instid1(VALU_DEP_2)
	v_fmamk_f32 v1, v3, 0xcf800000, v1
	v_cvt_u32_f32_e32 v13, v3
	v_cvt_u32_f32_e32 v12, v1
.LBB364_1768:
	s_or_b32 exec_lo, exec_lo, s16
.LBB364_1769:
	s_mov_b32 s16, -1
.LBB364_1770:
	s_branch .LBB364_1801
.LBB364_1771:
	s_cmp_gt_i32 s13, 22
	s_cbranch_scc0 .LBB364_1779
; %bb.1772:
	s_cmp_lt_i32 s13, 24
	s_cbranch_scc1 .LBB364_1782
; %bb.1773:
	s_cmp_gt_i32 s13, 24
	s_cbranch_scc0 .LBB364_1783
; %bb.1774:
	global_load_u8 v1, v[24:25], off
	s_mov_b32 s16, 0
	s_mov_b32 s15, exec_lo
	s_wait_loadcnt 0x0
	v_cmpx_lt_i16_e32 0x7f, v1
	s_xor_b32 s15, exec_lo, s15
	s_cbranch_execz .LBB364_1795
; %bb.1775:
	v_cmp_ne_u16_e32 vcc_lo, 0x80, v1
	s_and_b32 s16, vcc_lo, exec_lo
	s_and_not1_saveexec_b32 s15, s15
	s_cbranch_execnz .LBB364_1796
.LBB364_1776:
	s_or_b32 exec_lo, exec_lo, s15
	v_mov_b64_e32 v[12:13], 0
	s_and_saveexec_b32 s15, s16
	s_cbranch_execz .LBB364_1778
.LBB364_1777:
	v_and_b32_e32 v3, 0xffff, v1
	s_delay_alu instid0(VALU_DEP_1) | instskip(SKIP_1) | instid1(VALU_DEP_2)
	v_dual_lshlrev_b32 v1, 24, v1 :: v_dual_bitop2_b32 v5, 3, v3 bitop3:0x40
	v_bfe_u32 v12, v3, 2, 5
	v_and_b32_e32 v1, 0x80000000, v1
	s_delay_alu instid0(VALU_DEP_3) | instskip(NEXT) | instid1(VALU_DEP_3)
	v_clz_i32_u32_e32 v7, v5
	v_cmp_eq_u32_e32 vcc_lo, 0, v12
	s_delay_alu instid0(VALU_DEP_2) | instskip(NEXT) | instid1(VALU_DEP_1)
	v_min_u32_e32 v7, 32, v7
	v_subrev_nc_u32_e32 v11, 29, v7
	v_sub_nc_u32_e32 v7, 30, v7
	s_delay_alu instid0(VALU_DEP_2) | instskip(NEXT) | instid1(VALU_DEP_2)
	v_lshlrev_b32_e32 v3, v11, v3
	v_cndmask_b32_e32 v7, v12, v7, vcc_lo
	s_delay_alu instid0(VALU_DEP_2) | instskip(NEXT) | instid1(VALU_DEP_1)
	v_and_b32_e32 v3, 3, v3
	v_cndmask_b32_e32 v3, v5, v3, vcc_lo
	s_delay_alu instid0(VALU_DEP_3) | instskip(NEXT) | instid1(VALU_DEP_2)
	v_lshl_add_u32 v5, v7, 23, 0x37800000
	v_lshlrev_b32_e32 v3, 21, v3
	s_delay_alu instid0(VALU_DEP_1) | instskip(NEXT) | instid1(VALU_DEP_1)
	v_or3_b32 v1, v1, v5, v3
	v_trunc_f32_e32 v1, v1
	s_delay_alu instid0(VALU_DEP_1) | instskip(NEXT) | instid1(VALU_DEP_1)
	v_mul_f32_e32 v3, 0x2f800000, v1
	v_floor_f32_e32 v3, v3
	s_delay_alu instid0(VALU_DEP_1) | instskip(SKIP_1) | instid1(VALU_DEP_2)
	v_fmamk_f32 v1, v3, 0xcf800000, v1
	v_cvt_u32_f32_e32 v13, v3
	v_cvt_u32_f32_e32 v12, v1
.LBB364_1778:
	s_or_b32 exec_lo, exec_lo, s15
	s_mov_b32 s15, 0
	s_branch .LBB364_1784
.LBB364_1779:
	s_mov_b32 s15, -1
                                        ; implicit-def: $vgpr12_vgpr13
	s_branch .LBB364_1790
.LBB364_1780:
	s_and_not1_saveexec_b32 s16, s16
	s_cbranch_execz .LBB364_1766
.LBB364_1781:
	v_cmp_ne_u16_e32 vcc_lo, 0, v1
	s_and_not1_b32 s17, s17, exec_lo
	s_and_b32 s18, vcc_lo, exec_lo
	s_delay_alu instid0(SALU_CYCLE_1)
	s_or_b32 s17, s17, s18
	s_or_b32 exec_lo, exec_lo, s16
	v_mov_b64_e32 v[12:13], 0
	s_and_saveexec_b32 s16, s17
	s_cbranch_execnz .LBB364_1767
	s_branch .LBB364_1768
.LBB364_1782:
	s_mov_b32 s15, -1
                                        ; implicit-def: $vgpr12_vgpr13
	s_branch .LBB364_1787
.LBB364_1783:
	s_mov_b32 s15, -1
                                        ; implicit-def: $vgpr12_vgpr13
.LBB364_1784:
	s_delay_alu instid0(SALU_CYCLE_1)
	s_and_b32 vcc_lo, exec_lo, s15
	s_cbranch_vccz .LBB364_1786
; %bb.1785:
	global_load_u8 v1, v[24:25], off
	s_wait_loadcnt 0x0
	v_lshlrev_b32_e32 v1, 24, v1
	s_delay_alu instid0(VALU_DEP_1) | instskip(NEXT) | instid1(VALU_DEP_1)
	v_and_b32_e32 v3, 0x7f000000, v1
	v_clz_i32_u32_e32 v5, v3
	v_add_nc_u32_e32 v11, 0x1000000, v3
	v_cmp_ne_u32_e32 vcc_lo, 0, v3
	s_delay_alu instid0(VALU_DEP_3) | instskip(NEXT) | instid1(VALU_DEP_1)
	v_min_u32_e32 v5, 32, v5
	v_sub_nc_u32_e64 v5, v5, 4 clamp
	s_delay_alu instid0(VALU_DEP_1) | instskip(NEXT) | instid1(VALU_DEP_1)
	v_dual_lshlrev_b32 v7, v5, v3 :: v_dual_lshlrev_b32 v5, 23, v5
	v_lshrrev_b32_e32 v7, 4, v7
	s_delay_alu instid0(VALU_DEP_1) | instskip(NEXT) | instid1(VALU_DEP_1)
	v_dual_sub_nc_u32 v5, v7, v5 :: v_dual_ashrrev_i32 v7, 8, v11
	v_add_nc_u32_e32 v5, 0x3c000000, v5
	s_delay_alu instid0(VALU_DEP_1) | instskip(NEXT) | instid1(VALU_DEP_1)
	v_and_or_b32 v5, 0x7f800000, v7, v5
	v_cndmask_b32_e32 v3, 0, v5, vcc_lo
	s_delay_alu instid0(VALU_DEP_1) | instskip(NEXT) | instid1(VALU_DEP_1)
	v_and_or_b32 v1, 0x80000000, v1, v3
	v_trunc_f32_e32 v1, v1
	s_delay_alu instid0(VALU_DEP_1) | instskip(NEXT) | instid1(VALU_DEP_1)
	v_mul_f32_e32 v3, 0x2f800000, v1
	v_floor_f32_e32 v3, v3
	s_delay_alu instid0(VALU_DEP_1) | instskip(SKIP_2) | instid1(VALU_DEP_2)
	v_fmamk_f32 v1, v3, 0xcf800000, v1
	s_wait_xcnt 0x1
	v_cvt_u32_f32_e32 v13, v3
	v_cvt_u32_f32_e32 v12, v1
.LBB364_1786:
	s_mov_b32 s15, 0
.LBB364_1787:
	s_delay_alu instid0(SALU_CYCLE_1)
	s_and_not1_b32 vcc_lo, exec_lo, s15
	s_cbranch_vccnz .LBB364_1789
; %bb.1788:
	global_load_u8 v1, v[24:25], off
	s_wait_loadcnt 0x0
	v_lshlrev_b32_e32 v3, 25, v1
	v_lshlrev_b16 v1, 8, v1
	s_delay_alu instid0(VALU_DEP_1) | instskip(SKIP_1) | instid1(VALU_DEP_2)
	v_and_or_b32 v7, 0x7f00, v1, 0.5
	v_bfe_i32 v1, v1, 0, 16
	v_add_f32_e32 v7, -0.5, v7
	v_lshrrev_b32_e32 v5, 4, v3
	v_cmp_gt_u32_e32 vcc_lo, 0x8000000, v3
	s_delay_alu instid0(VALU_DEP_2) | instskip(NEXT) | instid1(VALU_DEP_1)
	v_or_b32_e32 v5, 0x70000000, v5
	v_mul_f32_e32 v5, 0x7800000, v5
	s_delay_alu instid0(VALU_DEP_1) | instskip(NEXT) | instid1(VALU_DEP_1)
	v_cndmask_b32_e32 v3, v5, v7, vcc_lo
	v_and_or_b32 v1, 0x80000000, v1, v3
	s_delay_alu instid0(VALU_DEP_1) | instskip(NEXT) | instid1(VALU_DEP_1)
	v_trunc_f32_e32 v1, v1
	v_mul_f32_e32 v3, 0x2f800000, v1
	s_delay_alu instid0(VALU_DEP_1) | instskip(NEXT) | instid1(VALU_DEP_1)
	v_floor_f32_e32 v3, v3
	v_fmamk_f32 v1, v3, 0xcf800000, v1
	s_wait_xcnt 0x1
	v_cvt_u32_f32_e32 v13, v3
	s_delay_alu instid0(VALU_DEP_2)
	v_cvt_u32_f32_e32 v12, v1
.LBB364_1789:
	s_mov_b32 s15, 0
	s_mov_b32 s16, -1
.LBB364_1790:
	s_and_not1_b32 vcc_lo, exec_lo, s15
	s_mov_b32 s15, 0
	s_cbranch_vccnz .LBB364_1801
; %bb.1791:
	s_cmp_gt_i32 s13, 14
	s_cbranch_scc0 .LBB364_1794
; %bb.1792:
	s_cmp_eq_u32 s13, 15
	s_cbranch_scc0 .LBB364_1797
; %bb.1793:
	global_load_u16 v1, v[24:25], off
	s_mov_b32 s14, 0
	s_mov_b32 s16, -1
	s_wait_loadcnt 0x0
	v_lshlrev_b32_e32 v1, 16, v1
	s_delay_alu instid0(VALU_DEP_1) | instskip(NEXT) | instid1(VALU_DEP_1)
	v_trunc_f32_e32 v1, v1
	v_mul_f32_e32 v3, 0x2f800000, v1
	s_delay_alu instid0(VALU_DEP_1) | instskip(NEXT) | instid1(VALU_DEP_1)
	v_floor_f32_e32 v3, v3
	v_fmamk_f32 v1, v3, 0xcf800000, v1
	s_wait_xcnt 0x1
	v_cvt_u32_f32_e32 v13, v3
	s_delay_alu instid0(VALU_DEP_2)
	v_cvt_u32_f32_e32 v12, v1
	s_branch .LBB364_1799
.LBB364_1794:
	s_mov_b32 s15, -1
	s_branch .LBB364_1798
.LBB364_1795:
	s_and_not1_saveexec_b32 s15, s15
	s_cbranch_execz .LBB364_1776
.LBB364_1796:
	v_cmp_ne_u16_e32 vcc_lo, 0, v1
	s_and_not1_b32 s16, s16, exec_lo
	s_and_b32 s17, vcc_lo, exec_lo
	s_delay_alu instid0(SALU_CYCLE_1)
	s_or_b32 s16, s16, s17
	s_or_b32 exec_lo, exec_lo, s15
	v_mov_b64_e32 v[12:13], 0
	s_and_saveexec_b32 s15, s16
	s_cbranch_execnz .LBB364_1777
	s_branch .LBB364_1778
.LBB364_1797:
	s_mov_b32 s14, -1
.LBB364_1798:
                                        ; implicit-def: $vgpr12_vgpr13
.LBB364_1799:
	s_and_b32 vcc_lo, exec_lo, s15
	s_mov_b32 s15, 0
	s_cbranch_vccz .LBB364_1801
; %bb.1800:
	s_cmp_lg_u32 s13, 11
	s_mov_b32 s15, -1
	s_cselect_b32 s14, -1, 0
.LBB364_1801:
	s_delay_alu instid0(SALU_CYCLE_1)
	s_and_b32 vcc_lo, exec_lo, s14
	s_cbranch_vccnz .LBB364_1864
; %bb.1802:
	s_and_not1_b32 vcc_lo, exec_lo, s15
	s_cbranch_vccnz .LBB364_1804
.LBB364_1803:
	global_load_u8 v1, v[24:25], off
	s_mov_b32 s13, 0
	s_mov_b32 s16, -1
	s_wait_loadcnt 0x1
	s_wait_xcnt 0x1
	v_mov_b32_e32 v13, s13
	s_wait_loadcnt 0x0
	v_cmp_ne_u16_e32 vcc_lo, 0, v1
	v_cndmask_b32_e64 v12, 0, 1, vcc_lo
.LBB364_1804:
	s_branch .LBB364_1734
.LBB364_1805:
	s_and_b32 s13, 0xffff, s12
	s_delay_alu instid0(SALU_CYCLE_1)
	s_cmp_lt_i32 s13, 5
	s_cbranch_scc1 .LBB364_1810
; %bb.1806:
	s_cmp_lt_i32 s13, 8
	s_cbranch_scc1 .LBB364_1811
; %bb.1807:
	;; [unrolled: 3-line block ×3, first 2 shown]
	s_cmp_gt_i32 s13, 9
	s_cbranch_scc0 .LBB364_1813
; %bb.1809:
	s_wait_loadcnt 0x0
	global_load_b64 v[12:13], v[24:25], off
	s_mov_b32 s14, 0
	s_wait_loadcnt 0x0
	v_trunc_f64_e32 v[12:13], v[12:13]
	s_delay_alu instid0(VALU_DEP_1) | instskip(NEXT) | instid1(VALU_DEP_1)
	v_ldexp_f64 v[26:27], v[12:13], 0xffffffe0
	v_floor_f64_e32 v[26:27], v[26:27]
	s_delay_alu instid0(VALU_DEP_1) | instskip(SKIP_1) | instid1(VALU_DEP_2)
	v_fmamk_f64 v[28:29], v[26:27], 0xc1f00000, v[12:13]
	v_cvt_u32_f64_e32 v13, v[26:27]
	v_cvt_u32_f64_e32 v12, v[28:29]
	s_branch .LBB364_1814
.LBB364_1810:
                                        ; implicit-def: $vgpr12_vgpr13
	s_branch .LBB364_1832
.LBB364_1811:
	s_mov_b32 s14, -1
                                        ; implicit-def: $vgpr12_vgpr13
	s_branch .LBB364_1820
.LBB364_1812:
	s_mov_b32 s14, -1
                                        ; implicit-def: $vgpr12_vgpr13
	s_branch .LBB364_1817
.LBB364_1813:
	s_mov_b32 s14, -1
                                        ; implicit-def: $vgpr12_vgpr13
.LBB364_1814:
	s_delay_alu instid0(SALU_CYCLE_1)
	s_and_not1_b32 vcc_lo, exec_lo, s14
	s_cbranch_vccnz .LBB364_1816
; %bb.1815:
	global_load_b32 v1, v[24:25], off
	s_wait_loadcnt 0x0
	v_trunc_f32_e32 v1, v1
	s_delay_alu instid0(VALU_DEP_1) | instskip(NEXT) | instid1(VALU_DEP_1)
	v_mul_f32_e32 v3, 0x2f800000, v1
	v_floor_f32_e32 v3, v3
	s_delay_alu instid0(VALU_DEP_1) | instskip(SKIP_2) | instid1(VALU_DEP_2)
	v_fmamk_f32 v1, v3, 0xcf800000, v1
	s_wait_xcnt 0x1
	v_cvt_u32_f32_e32 v13, v3
	v_cvt_u32_f32_e32 v12, v1
.LBB364_1816:
	s_mov_b32 s14, 0
.LBB364_1817:
	s_delay_alu instid0(SALU_CYCLE_1)
	s_and_not1_b32 vcc_lo, exec_lo, s14
	s_cbranch_vccnz .LBB364_1819
; %bb.1818:
	global_load_b32 v1, v[24:25], off
	s_wait_loadcnt 0x1
	s_wait_xcnt 0x1
	v_mov_b32_e32 v13, 0
	s_wait_loadcnt 0x0
	v_cvt_f32_f16_e32 v1, v1
	s_delay_alu instid0(VALU_DEP_1)
	v_cvt_u32_f32_e32 v12, v1
.LBB364_1819:
	s_mov_b32 s14, 0
.LBB364_1820:
	s_delay_alu instid0(SALU_CYCLE_1)
	s_and_not1_b32 vcc_lo, exec_lo, s14
	s_cbranch_vccnz .LBB364_1831
; %bb.1821:
	s_cmp_lt_i32 s13, 6
	s_cbranch_scc1 .LBB364_1824
; %bb.1822:
	s_cmp_gt_i32 s13, 6
	s_cbranch_scc0 .LBB364_1825
; %bb.1823:
	s_wait_loadcnt 0x0
	global_load_b64 v[12:13], v[24:25], off
	s_mov_b32 s14, 0
	s_wait_loadcnt 0x0
	v_trunc_f64_e32 v[12:13], v[12:13]
	s_delay_alu instid0(VALU_DEP_1) | instskip(NEXT) | instid1(VALU_DEP_1)
	v_ldexp_f64 v[26:27], v[12:13], 0xffffffe0
	v_floor_f64_e32 v[26:27], v[26:27]
	s_delay_alu instid0(VALU_DEP_1) | instskip(SKIP_1) | instid1(VALU_DEP_2)
	v_fmamk_f64 v[28:29], v[26:27], 0xc1f00000, v[12:13]
	v_cvt_u32_f64_e32 v13, v[26:27]
	v_cvt_u32_f64_e32 v12, v[28:29]
	s_branch .LBB364_1826
.LBB364_1824:
	s_mov_b32 s14, -1
                                        ; implicit-def: $vgpr12_vgpr13
	s_branch .LBB364_1829
.LBB364_1825:
	s_mov_b32 s14, -1
                                        ; implicit-def: $vgpr12_vgpr13
.LBB364_1826:
	s_delay_alu instid0(SALU_CYCLE_1)
	s_and_not1_b32 vcc_lo, exec_lo, s14
	s_cbranch_vccnz .LBB364_1828
; %bb.1827:
	global_load_b32 v1, v[24:25], off
	s_wait_loadcnt 0x0
	v_trunc_f32_e32 v1, v1
	s_delay_alu instid0(VALU_DEP_1) | instskip(NEXT) | instid1(VALU_DEP_1)
	v_mul_f32_e32 v3, 0x2f800000, v1
	v_floor_f32_e32 v3, v3
	s_delay_alu instid0(VALU_DEP_1) | instskip(SKIP_2) | instid1(VALU_DEP_2)
	v_fmamk_f32 v1, v3, 0xcf800000, v1
	s_wait_xcnt 0x1
	v_cvt_u32_f32_e32 v13, v3
	v_cvt_u32_f32_e32 v12, v1
.LBB364_1828:
	s_mov_b32 s14, 0
.LBB364_1829:
	s_delay_alu instid0(SALU_CYCLE_1)
	s_and_not1_b32 vcc_lo, exec_lo, s14
	s_cbranch_vccnz .LBB364_1831
; %bb.1830:
	global_load_u16 v1, v[24:25], off
	s_wait_loadcnt 0x1
	s_wait_xcnt 0x1
	v_mov_b32_e32 v13, 0
	s_wait_loadcnt 0x0
	v_cvt_f32_f16_e32 v1, v1
	s_delay_alu instid0(VALU_DEP_1)
	v_cvt_u32_f32_e32 v12, v1
.LBB364_1831:
	s_cbranch_execnz .LBB364_1851
.LBB364_1832:
	s_cmp_lt_i32 s13, 2
	s_cbranch_scc1 .LBB364_1836
; %bb.1833:
	s_cmp_lt_i32 s13, 3
	s_cbranch_scc1 .LBB364_1837
; %bb.1834:
	s_cmp_gt_i32 s13, 3
	s_cbranch_scc0 .LBB364_1838
; %bb.1835:
	s_wait_loadcnt 0x0
	global_load_b64 v[12:13], v[24:25], off
	s_mov_b32 s14, 0
	s_branch .LBB364_1839
.LBB364_1836:
	s_mov_b32 s14, -1
                                        ; implicit-def: $vgpr12_vgpr13
	s_branch .LBB364_1845
.LBB364_1837:
	s_mov_b32 s14, -1
                                        ; implicit-def: $vgpr12_vgpr13
	s_branch .LBB364_1842
.LBB364_1838:
	s_mov_b32 s14, -1
                                        ; implicit-def: $vgpr12_vgpr13
.LBB364_1839:
	s_delay_alu instid0(SALU_CYCLE_1)
	s_and_not1_b32 vcc_lo, exec_lo, s14
	s_cbranch_vccnz .LBB364_1841
; %bb.1840:
	s_wait_loadcnt 0x0
	global_load_b32 v12, v[24:25], off
	s_wait_loadcnt 0x0
	s_wait_xcnt 0x1
	v_ashrrev_i32_e32 v13, 31, v12
.LBB364_1841:
	s_mov_b32 s14, 0
.LBB364_1842:
	s_delay_alu instid0(SALU_CYCLE_1)
	s_and_not1_b32 vcc_lo, exec_lo, s14
	s_cbranch_vccnz .LBB364_1844
; %bb.1843:
	global_load_u16 v1, v[24:25], off
	s_wait_loadcnt 0x0
	v_bfe_i32 v12, v1, 0, 16
	s_wait_xcnt 0x1
	s_delay_alu instid0(VALU_DEP_1)
	v_ashrrev_i32_e32 v13, 31, v12
.LBB364_1844:
	s_mov_b32 s14, 0
.LBB364_1845:
	s_delay_alu instid0(SALU_CYCLE_1)
	s_and_not1_b32 vcc_lo, exec_lo, s14
	s_cbranch_vccnz .LBB364_1851
; %bb.1846:
	s_cmp_gt_i32 s13, 0
	s_mov_b32 s13, 0
	s_cbranch_scc0 .LBB364_1848
; %bb.1847:
	global_load_i8 v1, v[24:25], off
	s_wait_loadcnt 0x0
	v_bfe_i32 v12, v1, 0, 16
	s_wait_xcnt 0x1
	s_delay_alu instid0(VALU_DEP_1)
	v_ashrrev_i32_e32 v13, 31, v12
	s_branch .LBB364_1849
.LBB364_1848:
	s_mov_b32 s13, -1
                                        ; implicit-def: $vgpr12_vgpr13
.LBB364_1849:
	s_delay_alu instid0(SALU_CYCLE_1)
	s_and_not1_b32 vcc_lo, exec_lo, s13
	s_cbranch_vccnz .LBB364_1851
; %bb.1850:
	global_load_u8 v1, v[24:25], off
	s_mov_b32 s13, 0
	s_wait_loadcnt 0x1
	s_wait_xcnt 0x1
	v_mov_b32_e32 v13, s13
	s_wait_loadcnt 0x0
	v_and_b32_e32 v12, 0xffff, v1
.LBB364_1851:
.LBB364_1852:
	v_mov_b32_e32 v15, 0
	s_and_b32 s11, 0xffff, s11
	s_delay_alu instid0(SALU_CYCLE_1) | instskip(SKIP_1) | instid1(VALU_DEP_1)
	s_cmp_lt_i32 s11, 11
	s_wait_xcnt 0x0
	v_add_nc_u64_e32 v[24:25], s[6:7], v[14:15]
	s_cbranch_scc1 .LBB364_1859
; %bb.1853:
	s_cmp_gt_i32 s11, 25
	s_mov_b32 s14, 0
	s_cbranch_scc0 .LBB364_1861
; %bb.1854:
	s_cmp_gt_i32 s11, 28
	s_cbranch_scc0 .LBB364_1862
; %bb.1855:
	s_cmp_gt_i32 s11, 43
	;; [unrolled: 3-line block ×3, first 2 shown]
	s_cbranch_scc0 .LBB364_1865
; %bb.1857:
	s_cmp_eq_u32 s11, 46
	s_mov_b32 s16, 0
	s_cbranch_scc0 .LBB364_1866
; %bb.1858:
	global_load_b32 v1, v[24:25], off
	s_mov_b32 s13, 0
	s_mov_b32 s15, -1
	s_wait_loadcnt 0x0
	v_lshlrev_b32_e32 v1, 16, v1
	s_delay_alu instid0(VALU_DEP_1) | instskip(NEXT) | instid1(VALU_DEP_1)
	v_trunc_f32_e32 v1, v1
	v_mul_f32_e32 v3, 0x2f800000, v1
	s_delay_alu instid0(VALU_DEP_1) | instskip(NEXT) | instid1(VALU_DEP_1)
	v_floor_f32_e32 v3, v3
	v_fmamk_f32 v1, v3, 0xcf800000, v1
	v_cvt_u32_f32_e32 v15, v3
	s_delay_alu instid0(VALU_DEP_2)
	v_cvt_u32_f32_e32 v14, v1
	s_branch .LBB364_1868
.LBB364_1859:
	s_mov_b32 s15, 0
                                        ; implicit-def: $vgpr14_vgpr15
	s_cbranch_execnz .LBB364_1930
.LBB364_1860:
	s_and_not1_b32 vcc_lo, exec_lo, s15
	s_cbranch_vccnz .LBB364_3047
	s_branch .LBB364_1978
.LBB364_1861:
	s_mov_b32 s16, -1
	s_mov_b32 s15, 0
	s_mov_b32 s13, 0
                                        ; implicit-def: $vgpr14_vgpr15
	s_branch .LBB364_1895
.LBB364_1862:
	s_mov_b32 s16, -1
	s_mov_b32 s15, 0
	s_mov_b32 s13, 0
                                        ; implicit-def: $vgpr14_vgpr15
	s_branch .LBB364_1878
.LBB364_1863:
	s_mov_b32 s16, -1
	s_mov_b32 s15, 0
	s_mov_b32 s13, 0
                                        ; implicit-def: $vgpr14_vgpr15
	s_branch .LBB364_1873
.LBB364_1864:
	s_or_b32 s10, s10, exec_lo
	s_trap 2
	s_cbranch_execz .LBB364_1803
	s_branch .LBB364_1804
.LBB364_1865:
	s_mov_b32 s16, -1
	s_mov_b32 s15, 0
	s_mov_b32 s13, 0
	s_branch .LBB364_1867
.LBB364_1866:
	s_mov_b32 s13, -1
	s_mov_b32 s15, 0
.LBB364_1867:
                                        ; implicit-def: $vgpr14_vgpr15
.LBB364_1868:
	s_and_b32 vcc_lo, exec_lo, s16
	s_cbranch_vccz .LBB364_1872
; %bb.1869:
	s_cmp_eq_u32 s11, 44
	s_cbranch_scc0 .LBB364_1871
; %bb.1870:
	global_load_u8 v1, v[24:25], off
	s_mov_b32 s13, 0
	s_mov_b32 s15, -1
	s_wait_loadcnt 0x0
	v_lshlrev_b32_e32 v3, 23, v1
	v_cmp_ne_u32_e32 vcc_lo, 0, v1
	s_delay_alu instid0(VALU_DEP_2) | instskip(NEXT) | instid1(VALU_DEP_1)
	v_trunc_f32_e32 v3, v3
	v_mul_f32_e32 v5, 0x2f800000, v3
	s_delay_alu instid0(VALU_DEP_1) | instskip(NEXT) | instid1(VALU_DEP_1)
	v_floor_f32_e32 v5, v5
	v_fmamk_f32 v3, v5, 0xcf800000, v3
	v_cvt_u32_f32_e32 v5, v5
	s_delay_alu instid0(VALU_DEP_2) | instskip(NEXT) | instid1(VALU_DEP_1)
	v_cvt_u32_f32_e32 v3, v3
	v_dual_cndmask_b32 v15, 0, v5 :: v_dual_cndmask_b32 v14, 0, v3
	s_branch .LBB364_1872
.LBB364_1871:
	s_mov_b32 s13, -1
                                        ; implicit-def: $vgpr14_vgpr15
.LBB364_1872:
	s_mov_b32 s16, 0
.LBB364_1873:
	s_delay_alu instid0(SALU_CYCLE_1)
	s_and_b32 vcc_lo, exec_lo, s16
	s_cbranch_vccz .LBB364_1877
; %bb.1874:
	s_cmp_eq_u32 s11, 29
	s_cbranch_scc0 .LBB364_1876
; %bb.1875:
	global_load_b64 v[14:15], v[24:25], off
	s_mov_b32 s13, 0
	s_mov_b32 s15, -1
	s_branch .LBB364_1877
.LBB364_1876:
	s_mov_b32 s13, -1
                                        ; implicit-def: $vgpr14_vgpr15
.LBB364_1877:
	s_mov_b32 s16, 0
.LBB364_1878:
	s_delay_alu instid0(SALU_CYCLE_1)
	s_and_b32 vcc_lo, exec_lo, s16
	s_cbranch_vccz .LBB364_1894
; %bb.1879:
	s_cmp_lt_i32 s11, 27
	s_cbranch_scc1 .LBB364_1882
; %bb.1880:
	s_cmp_gt_i32 s11, 27
	s_cbranch_scc0 .LBB364_1883
; %bb.1881:
	s_wait_loadcnt 0x0
	global_load_b32 v14, v[24:25], off
	v_mov_b32_e32 v15, 0
	s_mov_b32 s15, 0
	s_branch .LBB364_1884
.LBB364_1882:
	s_mov_b32 s15, -1
                                        ; implicit-def: $vgpr14_vgpr15
	s_branch .LBB364_1887
.LBB364_1883:
	s_mov_b32 s15, -1
                                        ; implicit-def: $vgpr14_vgpr15
.LBB364_1884:
	s_delay_alu instid0(SALU_CYCLE_1)
	s_and_not1_b32 vcc_lo, exec_lo, s15
	s_cbranch_vccnz .LBB364_1886
; %bb.1885:
	global_load_u16 v1, v[24:25], off
	s_mov_b32 s15, 0
	s_wait_loadcnt 0x1
	v_mov_b32_e32 v15, s15
	s_wait_loadcnt 0x0
	v_and_b32_e32 v14, 0xffff, v1
.LBB364_1886:
	s_mov_b32 s15, 0
.LBB364_1887:
	s_delay_alu instid0(SALU_CYCLE_1)
	s_and_not1_b32 vcc_lo, exec_lo, s15
	s_cbranch_vccnz .LBB364_1893
; %bb.1888:
	global_load_u8 v1, v[24:25], off
	s_mov_b32 s16, 0
	s_mov_b32 s15, exec_lo
	s_wait_loadcnt 0x0
	v_cmpx_lt_i16_e32 0x7f, v1
	s_xor_b32 s15, exec_lo, s15
	s_cbranch_execz .LBB364_1905
; %bb.1889:
	v_cmp_ne_u16_e32 vcc_lo, 0x80, v1
	s_and_b32 s16, vcc_lo, exec_lo
	s_and_not1_saveexec_b32 s15, s15
	s_cbranch_execnz .LBB364_1906
.LBB364_1890:
	s_or_b32 exec_lo, exec_lo, s15
	v_mov_b64_e32 v[14:15], 0
	s_and_saveexec_b32 s15, s16
	s_cbranch_execz .LBB364_1892
.LBB364_1891:
	v_and_b32_e32 v3, 0xffff, v1
	s_delay_alu instid0(VALU_DEP_1) | instskip(SKIP_1) | instid1(VALU_DEP_2)
	v_dual_lshlrev_b32 v1, 24, v1 :: v_dual_bitop2_b32 v5, 7, v3 bitop3:0x40
	v_bfe_u32 v14, v3, 3, 4
	v_and_b32_e32 v1, 0x80000000, v1
	s_delay_alu instid0(VALU_DEP_3) | instskip(NEXT) | instid1(VALU_DEP_3)
	v_clz_i32_u32_e32 v7, v5
	v_cmp_eq_u32_e32 vcc_lo, 0, v14
	s_delay_alu instid0(VALU_DEP_2) | instskip(NEXT) | instid1(VALU_DEP_1)
	v_min_u32_e32 v7, 32, v7
	v_subrev_nc_u32_e32 v11, 28, v7
	v_sub_nc_u32_e32 v7, 29, v7
	s_delay_alu instid0(VALU_DEP_2) | instskip(NEXT) | instid1(VALU_DEP_2)
	v_lshlrev_b32_e32 v3, v11, v3
	v_cndmask_b32_e32 v7, v14, v7, vcc_lo
	s_delay_alu instid0(VALU_DEP_2) | instskip(NEXT) | instid1(VALU_DEP_1)
	v_and_b32_e32 v3, 7, v3
	v_cndmask_b32_e32 v3, v5, v3, vcc_lo
	s_delay_alu instid0(VALU_DEP_3) | instskip(NEXT) | instid1(VALU_DEP_2)
	v_lshl_add_u32 v5, v7, 23, 0x3b800000
	v_lshlrev_b32_e32 v3, 20, v3
	s_delay_alu instid0(VALU_DEP_1) | instskip(NEXT) | instid1(VALU_DEP_1)
	v_or3_b32 v1, v1, v5, v3
	v_trunc_f32_e32 v1, v1
	s_delay_alu instid0(VALU_DEP_1) | instskip(NEXT) | instid1(VALU_DEP_1)
	v_mul_f32_e32 v3, 0x2f800000, v1
	v_floor_f32_e32 v3, v3
	s_delay_alu instid0(VALU_DEP_1) | instskip(SKIP_1) | instid1(VALU_DEP_2)
	v_fmamk_f32 v1, v3, 0xcf800000, v1
	v_cvt_u32_f32_e32 v15, v3
	v_cvt_u32_f32_e32 v14, v1
.LBB364_1892:
	s_or_b32 exec_lo, exec_lo, s15
.LBB364_1893:
	s_mov_b32 s15, -1
.LBB364_1894:
	s_mov_b32 s16, 0
.LBB364_1895:
	s_delay_alu instid0(SALU_CYCLE_1)
	s_and_b32 vcc_lo, exec_lo, s16
	s_cbranch_vccz .LBB364_1926
; %bb.1896:
	s_cmp_gt_i32 s11, 22
	s_cbranch_scc0 .LBB364_1904
; %bb.1897:
	s_cmp_lt_i32 s11, 24
	s_cbranch_scc1 .LBB364_1907
; %bb.1898:
	s_cmp_gt_i32 s11, 24
	s_cbranch_scc0 .LBB364_1908
; %bb.1899:
	global_load_u8 v1, v[24:25], off
	s_mov_b32 s15, 0
	s_mov_b32 s14, exec_lo
	s_wait_loadcnt 0x0
	v_cmpx_lt_i16_e32 0x7f, v1
	s_xor_b32 s14, exec_lo, s14
	s_cbranch_execz .LBB364_1920
; %bb.1900:
	v_cmp_ne_u16_e32 vcc_lo, 0x80, v1
	s_and_b32 s15, vcc_lo, exec_lo
	s_and_not1_saveexec_b32 s14, s14
	s_cbranch_execnz .LBB364_1921
.LBB364_1901:
	s_or_b32 exec_lo, exec_lo, s14
	v_mov_b64_e32 v[14:15], 0
	s_and_saveexec_b32 s14, s15
	s_cbranch_execz .LBB364_1903
.LBB364_1902:
	v_and_b32_e32 v3, 0xffff, v1
	s_delay_alu instid0(VALU_DEP_1) | instskip(SKIP_1) | instid1(VALU_DEP_2)
	v_dual_lshlrev_b32 v1, 24, v1 :: v_dual_bitop2_b32 v5, 3, v3 bitop3:0x40
	v_bfe_u32 v14, v3, 2, 5
	v_and_b32_e32 v1, 0x80000000, v1
	s_delay_alu instid0(VALU_DEP_3) | instskip(NEXT) | instid1(VALU_DEP_3)
	v_clz_i32_u32_e32 v7, v5
	v_cmp_eq_u32_e32 vcc_lo, 0, v14
	s_delay_alu instid0(VALU_DEP_2) | instskip(NEXT) | instid1(VALU_DEP_1)
	v_min_u32_e32 v7, 32, v7
	v_subrev_nc_u32_e32 v11, 29, v7
	v_sub_nc_u32_e32 v7, 30, v7
	s_delay_alu instid0(VALU_DEP_2) | instskip(NEXT) | instid1(VALU_DEP_2)
	v_lshlrev_b32_e32 v3, v11, v3
	v_cndmask_b32_e32 v7, v14, v7, vcc_lo
	s_delay_alu instid0(VALU_DEP_2) | instskip(NEXT) | instid1(VALU_DEP_1)
	v_and_b32_e32 v3, 3, v3
	v_cndmask_b32_e32 v3, v5, v3, vcc_lo
	s_delay_alu instid0(VALU_DEP_3) | instskip(NEXT) | instid1(VALU_DEP_2)
	v_lshl_add_u32 v5, v7, 23, 0x37800000
	v_lshlrev_b32_e32 v3, 21, v3
	s_delay_alu instid0(VALU_DEP_1) | instskip(NEXT) | instid1(VALU_DEP_1)
	v_or3_b32 v1, v1, v5, v3
	v_trunc_f32_e32 v1, v1
	s_delay_alu instid0(VALU_DEP_1) | instskip(NEXT) | instid1(VALU_DEP_1)
	v_mul_f32_e32 v3, 0x2f800000, v1
	v_floor_f32_e32 v3, v3
	s_delay_alu instid0(VALU_DEP_1) | instskip(SKIP_1) | instid1(VALU_DEP_2)
	v_fmamk_f32 v1, v3, 0xcf800000, v1
	v_cvt_u32_f32_e32 v15, v3
	v_cvt_u32_f32_e32 v14, v1
.LBB364_1903:
	s_or_b32 exec_lo, exec_lo, s14
	s_mov_b32 s14, 0
	s_branch .LBB364_1909
.LBB364_1904:
	s_mov_b32 s14, -1
                                        ; implicit-def: $vgpr14_vgpr15
	s_branch .LBB364_1915
.LBB364_1905:
	s_and_not1_saveexec_b32 s15, s15
	s_cbranch_execz .LBB364_1890
.LBB364_1906:
	v_cmp_ne_u16_e32 vcc_lo, 0, v1
	s_and_not1_b32 s16, s16, exec_lo
	s_and_b32 s17, vcc_lo, exec_lo
	s_delay_alu instid0(SALU_CYCLE_1)
	s_or_b32 s16, s16, s17
	s_or_b32 exec_lo, exec_lo, s15
	v_mov_b64_e32 v[14:15], 0
	s_and_saveexec_b32 s15, s16
	s_cbranch_execnz .LBB364_1891
	s_branch .LBB364_1892
.LBB364_1907:
	s_mov_b32 s14, -1
                                        ; implicit-def: $vgpr14_vgpr15
	s_branch .LBB364_1912
.LBB364_1908:
	s_mov_b32 s14, -1
                                        ; implicit-def: $vgpr14_vgpr15
.LBB364_1909:
	s_delay_alu instid0(SALU_CYCLE_1)
	s_and_b32 vcc_lo, exec_lo, s14
	s_cbranch_vccz .LBB364_1911
; %bb.1910:
	global_load_u8 v1, v[24:25], off
	s_wait_loadcnt 0x0
	v_lshlrev_b32_e32 v1, 24, v1
	s_delay_alu instid0(VALU_DEP_1) | instskip(NEXT) | instid1(VALU_DEP_1)
	v_and_b32_e32 v3, 0x7f000000, v1
	v_clz_i32_u32_e32 v5, v3
	v_add_nc_u32_e32 v11, 0x1000000, v3
	v_cmp_ne_u32_e32 vcc_lo, 0, v3
	s_delay_alu instid0(VALU_DEP_3) | instskip(NEXT) | instid1(VALU_DEP_1)
	v_min_u32_e32 v5, 32, v5
	v_sub_nc_u32_e64 v5, v5, 4 clamp
	s_delay_alu instid0(VALU_DEP_1) | instskip(NEXT) | instid1(VALU_DEP_1)
	v_dual_lshlrev_b32 v7, v5, v3 :: v_dual_lshlrev_b32 v5, 23, v5
	v_lshrrev_b32_e32 v7, 4, v7
	s_delay_alu instid0(VALU_DEP_1) | instskip(NEXT) | instid1(VALU_DEP_1)
	v_dual_sub_nc_u32 v5, v7, v5 :: v_dual_ashrrev_i32 v7, 8, v11
	v_add_nc_u32_e32 v5, 0x3c000000, v5
	s_delay_alu instid0(VALU_DEP_1) | instskip(NEXT) | instid1(VALU_DEP_1)
	v_and_or_b32 v5, 0x7f800000, v7, v5
	v_cndmask_b32_e32 v3, 0, v5, vcc_lo
	s_delay_alu instid0(VALU_DEP_1) | instskip(NEXT) | instid1(VALU_DEP_1)
	v_and_or_b32 v1, 0x80000000, v1, v3
	v_trunc_f32_e32 v1, v1
	s_delay_alu instid0(VALU_DEP_1) | instskip(NEXT) | instid1(VALU_DEP_1)
	v_mul_f32_e32 v3, 0x2f800000, v1
	v_floor_f32_e32 v3, v3
	s_delay_alu instid0(VALU_DEP_1) | instskip(SKIP_1) | instid1(VALU_DEP_2)
	v_fmamk_f32 v1, v3, 0xcf800000, v1
	v_cvt_u32_f32_e32 v15, v3
	v_cvt_u32_f32_e32 v14, v1
.LBB364_1911:
	s_mov_b32 s14, 0
.LBB364_1912:
	s_delay_alu instid0(SALU_CYCLE_1)
	s_and_not1_b32 vcc_lo, exec_lo, s14
	s_cbranch_vccnz .LBB364_1914
; %bb.1913:
	global_load_u8 v1, v[24:25], off
	s_wait_loadcnt 0x0
	v_lshlrev_b32_e32 v3, 25, v1
	v_lshlrev_b16 v1, 8, v1
	s_delay_alu instid0(VALU_DEP_1) | instskip(SKIP_1) | instid1(VALU_DEP_2)
	v_and_or_b32 v7, 0x7f00, v1, 0.5
	v_bfe_i32 v1, v1, 0, 16
	v_add_f32_e32 v7, -0.5, v7
	v_lshrrev_b32_e32 v5, 4, v3
	v_cmp_gt_u32_e32 vcc_lo, 0x8000000, v3
	s_delay_alu instid0(VALU_DEP_2) | instskip(NEXT) | instid1(VALU_DEP_1)
	v_or_b32_e32 v5, 0x70000000, v5
	v_mul_f32_e32 v5, 0x7800000, v5
	s_delay_alu instid0(VALU_DEP_1) | instskip(NEXT) | instid1(VALU_DEP_1)
	v_cndmask_b32_e32 v3, v5, v7, vcc_lo
	v_and_or_b32 v1, 0x80000000, v1, v3
	s_delay_alu instid0(VALU_DEP_1) | instskip(NEXT) | instid1(VALU_DEP_1)
	v_trunc_f32_e32 v1, v1
	v_mul_f32_e32 v3, 0x2f800000, v1
	s_delay_alu instid0(VALU_DEP_1) | instskip(NEXT) | instid1(VALU_DEP_1)
	v_floor_f32_e32 v3, v3
	v_fmamk_f32 v1, v3, 0xcf800000, v1
	v_cvt_u32_f32_e32 v15, v3
	s_delay_alu instid0(VALU_DEP_2)
	v_cvt_u32_f32_e32 v14, v1
.LBB364_1914:
	s_mov_b32 s14, 0
	s_mov_b32 s15, -1
.LBB364_1915:
	s_and_not1_b32 vcc_lo, exec_lo, s14
	s_mov_b32 s14, 0
	s_cbranch_vccnz .LBB364_1926
; %bb.1916:
	s_cmp_gt_i32 s11, 14
	s_cbranch_scc0 .LBB364_1919
; %bb.1917:
	s_cmp_eq_u32 s11, 15
	s_cbranch_scc0 .LBB364_1922
; %bb.1918:
	global_load_u16 v1, v[24:25], off
	s_mov_b32 s13, 0
	s_mov_b32 s15, -1
	s_wait_loadcnt 0x0
	v_lshlrev_b32_e32 v1, 16, v1
	s_delay_alu instid0(VALU_DEP_1) | instskip(NEXT) | instid1(VALU_DEP_1)
	v_trunc_f32_e32 v1, v1
	v_mul_f32_e32 v3, 0x2f800000, v1
	s_delay_alu instid0(VALU_DEP_1) | instskip(NEXT) | instid1(VALU_DEP_1)
	v_floor_f32_e32 v3, v3
	v_fmamk_f32 v1, v3, 0xcf800000, v1
	v_cvt_u32_f32_e32 v15, v3
	s_delay_alu instid0(VALU_DEP_2)
	v_cvt_u32_f32_e32 v14, v1
	s_branch .LBB364_1924
.LBB364_1919:
	s_mov_b32 s14, -1
	s_branch .LBB364_1923
.LBB364_1920:
	s_and_not1_saveexec_b32 s14, s14
	s_cbranch_execz .LBB364_1901
.LBB364_1921:
	v_cmp_ne_u16_e32 vcc_lo, 0, v1
	s_and_not1_b32 s15, s15, exec_lo
	s_and_b32 s16, vcc_lo, exec_lo
	s_delay_alu instid0(SALU_CYCLE_1)
	s_or_b32 s15, s15, s16
	s_or_b32 exec_lo, exec_lo, s14
	v_mov_b64_e32 v[14:15], 0
	s_and_saveexec_b32 s14, s15
	s_cbranch_execnz .LBB364_1902
	s_branch .LBB364_1903
.LBB364_1922:
	s_mov_b32 s13, -1
.LBB364_1923:
                                        ; implicit-def: $vgpr14_vgpr15
.LBB364_1924:
	s_and_b32 vcc_lo, exec_lo, s14
	s_mov_b32 s14, 0
	s_cbranch_vccz .LBB364_1926
; %bb.1925:
	s_cmp_lg_u32 s11, 11
	s_mov_b32 s14, -1
	s_cselect_b32 s13, -1, 0
.LBB364_1926:
	s_delay_alu instid0(SALU_CYCLE_1)
	s_and_b32 vcc_lo, exec_lo, s13
	s_cbranch_vccnz .LBB364_1989
; %bb.1927:
	s_and_not1_b32 vcc_lo, exec_lo, s14
	s_cbranch_vccnz .LBB364_1929
.LBB364_1928:
	global_load_u8 v1, v[24:25], off
	s_mov_b32 s13, 0
	s_mov_b32 s15, -1
	s_wait_loadcnt 0x1
	v_mov_b32_e32 v15, s13
	s_wait_loadcnt 0x0
	v_cmp_ne_u16_e32 vcc_lo, 0, v1
	v_cndmask_b32_e64 v14, 0, 1, vcc_lo
.LBB364_1929:
	s_branch .LBB364_1860
.LBB364_1930:
	s_cmp_lt_i32 s11, 5
	s_cbranch_scc1 .LBB364_1935
; %bb.1931:
	s_cmp_lt_i32 s11, 8
	s_cbranch_scc1 .LBB364_1936
; %bb.1932:
	;; [unrolled: 3-line block ×3, first 2 shown]
	s_cmp_gt_i32 s11, 9
	s_cbranch_scc0 .LBB364_1938
; %bb.1934:
	s_wait_loadcnt 0x0
	global_load_b64 v[14:15], v[24:25], off
	s_mov_b32 s13, 0
	s_wait_loadcnt 0x0
	v_trunc_f64_e32 v[14:15], v[14:15]
	s_delay_alu instid0(VALU_DEP_1) | instskip(NEXT) | instid1(VALU_DEP_1)
	v_ldexp_f64 v[26:27], v[14:15], 0xffffffe0
	v_floor_f64_e32 v[26:27], v[26:27]
	s_delay_alu instid0(VALU_DEP_1) | instskip(SKIP_1) | instid1(VALU_DEP_2)
	v_fmamk_f64 v[28:29], v[26:27], 0xc1f00000, v[14:15]
	v_cvt_u32_f64_e32 v15, v[26:27]
	v_cvt_u32_f64_e32 v14, v[28:29]
	s_branch .LBB364_1939
.LBB364_1935:
	s_mov_b32 s13, -1
                                        ; implicit-def: $vgpr14_vgpr15
	s_branch .LBB364_1957
.LBB364_1936:
	s_mov_b32 s13, -1
                                        ; implicit-def: $vgpr14_vgpr15
	s_branch .LBB364_1945
.LBB364_1937:
	s_mov_b32 s13, -1
                                        ; implicit-def: $vgpr14_vgpr15
	s_branch .LBB364_1942
.LBB364_1938:
	s_mov_b32 s13, -1
                                        ; implicit-def: $vgpr14_vgpr15
.LBB364_1939:
	s_delay_alu instid0(SALU_CYCLE_1)
	s_and_not1_b32 vcc_lo, exec_lo, s13
	s_cbranch_vccnz .LBB364_1941
; %bb.1940:
	global_load_b32 v1, v[24:25], off
	s_wait_loadcnt 0x0
	v_trunc_f32_e32 v1, v1
	s_delay_alu instid0(VALU_DEP_1) | instskip(NEXT) | instid1(VALU_DEP_1)
	v_mul_f32_e32 v3, 0x2f800000, v1
	v_floor_f32_e32 v3, v3
	s_delay_alu instid0(VALU_DEP_1) | instskip(SKIP_1) | instid1(VALU_DEP_2)
	v_fmamk_f32 v1, v3, 0xcf800000, v1
	v_cvt_u32_f32_e32 v15, v3
	v_cvt_u32_f32_e32 v14, v1
.LBB364_1941:
	s_mov_b32 s13, 0
.LBB364_1942:
	s_delay_alu instid0(SALU_CYCLE_1)
	s_and_not1_b32 vcc_lo, exec_lo, s13
	s_cbranch_vccnz .LBB364_1944
; %bb.1943:
	global_load_b32 v1, v[24:25], off
	s_wait_loadcnt 0x1
	v_mov_b32_e32 v15, 0
	s_wait_loadcnt 0x0
	v_cvt_f32_f16_e32 v1, v1
	s_delay_alu instid0(VALU_DEP_1)
	v_cvt_u32_f32_e32 v14, v1
.LBB364_1944:
	s_mov_b32 s13, 0
.LBB364_1945:
	s_delay_alu instid0(SALU_CYCLE_1)
	s_and_not1_b32 vcc_lo, exec_lo, s13
	s_cbranch_vccnz .LBB364_1956
; %bb.1946:
	s_cmp_lt_i32 s11, 6
	s_cbranch_scc1 .LBB364_1949
; %bb.1947:
	s_cmp_gt_i32 s11, 6
	s_cbranch_scc0 .LBB364_1950
; %bb.1948:
	s_wait_loadcnt 0x0
	global_load_b64 v[14:15], v[24:25], off
	s_mov_b32 s13, 0
	s_wait_loadcnt 0x0
	v_trunc_f64_e32 v[14:15], v[14:15]
	s_delay_alu instid0(VALU_DEP_1) | instskip(NEXT) | instid1(VALU_DEP_1)
	v_ldexp_f64 v[26:27], v[14:15], 0xffffffe0
	v_floor_f64_e32 v[26:27], v[26:27]
	s_delay_alu instid0(VALU_DEP_1) | instskip(SKIP_1) | instid1(VALU_DEP_2)
	v_fmamk_f64 v[28:29], v[26:27], 0xc1f00000, v[14:15]
	v_cvt_u32_f64_e32 v15, v[26:27]
	v_cvt_u32_f64_e32 v14, v[28:29]
	s_branch .LBB364_1951
.LBB364_1949:
	s_mov_b32 s13, -1
                                        ; implicit-def: $vgpr14_vgpr15
	s_branch .LBB364_1954
.LBB364_1950:
	s_mov_b32 s13, -1
                                        ; implicit-def: $vgpr14_vgpr15
.LBB364_1951:
	s_delay_alu instid0(SALU_CYCLE_1)
	s_and_not1_b32 vcc_lo, exec_lo, s13
	s_cbranch_vccnz .LBB364_1953
; %bb.1952:
	global_load_b32 v1, v[24:25], off
	s_wait_loadcnt 0x0
	v_trunc_f32_e32 v1, v1
	s_delay_alu instid0(VALU_DEP_1) | instskip(NEXT) | instid1(VALU_DEP_1)
	v_mul_f32_e32 v3, 0x2f800000, v1
	v_floor_f32_e32 v3, v3
	s_delay_alu instid0(VALU_DEP_1) | instskip(SKIP_1) | instid1(VALU_DEP_2)
	v_fmamk_f32 v1, v3, 0xcf800000, v1
	v_cvt_u32_f32_e32 v15, v3
	v_cvt_u32_f32_e32 v14, v1
.LBB364_1953:
	s_mov_b32 s13, 0
.LBB364_1954:
	s_delay_alu instid0(SALU_CYCLE_1)
	s_and_not1_b32 vcc_lo, exec_lo, s13
	s_cbranch_vccnz .LBB364_1956
; %bb.1955:
	global_load_u16 v1, v[24:25], off
	s_wait_loadcnt 0x1
	v_mov_b32_e32 v15, 0
	s_wait_loadcnt 0x0
	v_cvt_f32_f16_e32 v1, v1
	s_delay_alu instid0(VALU_DEP_1)
	v_cvt_u32_f32_e32 v14, v1
.LBB364_1956:
	s_mov_b32 s13, 0
.LBB364_1957:
	s_delay_alu instid0(SALU_CYCLE_1)
	s_and_not1_b32 vcc_lo, exec_lo, s13
	s_cbranch_vccnz .LBB364_1977
; %bb.1958:
	s_cmp_lt_i32 s11, 2
	s_cbranch_scc1 .LBB364_1962
; %bb.1959:
	s_cmp_lt_i32 s11, 3
	s_cbranch_scc1 .LBB364_1963
; %bb.1960:
	s_cmp_gt_i32 s11, 3
	s_cbranch_scc0 .LBB364_1964
; %bb.1961:
	s_wait_loadcnt 0x0
	global_load_b64 v[14:15], v[24:25], off
	s_mov_b32 s13, 0
	s_branch .LBB364_1965
.LBB364_1962:
	s_mov_b32 s13, -1
                                        ; implicit-def: $vgpr14_vgpr15
	s_branch .LBB364_1971
.LBB364_1963:
	s_mov_b32 s13, -1
                                        ; implicit-def: $vgpr14_vgpr15
	s_branch .LBB364_1968
.LBB364_1964:
	s_mov_b32 s13, -1
                                        ; implicit-def: $vgpr14_vgpr15
.LBB364_1965:
	s_delay_alu instid0(SALU_CYCLE_1)
	s_and_not1_b32 vcc_lo, exec_lo, s13
	s_cbranch_vccnz .LBB364_1967
; %bb.1966:
	s_wait_loadcnt 0x0
	global_load_b32 v14, v[24:25], off
	s_wait_loadcnt 0x0
	v_ashrrev_i32_e32 v15, 31, v14
.LBB364_1967:
	s_mov_b32 s13, 0
.LBB364_1968:
	s_delay_alu instid0(SALU_CYCLE_1)
	s_and_not1_b32 vcc_lo, exec_lo, s13
	s_cbranch_vccnz .LBB364_1970
; %bb.1969:
	global_load_u16 v1, v[24:25], off
	s_wait_loadcnt 0x0
	v_bfe_i32 v14, v1, 0, 16
	s_delay_alu instid0(VALU_DEP_1)
	v_ashrrev_i32_e32 v15, 31, v14
.LBB364_1970:
	s_mov_b32 s13, 0
.LBB364_1971:
	s_delay_alu instid0(SALU_CYCLE_1)
	s_and_not1_b32 vcc_lo, exec_lo, s13
	s_cbranch_vccnz .LBB364_1977
; %bb.1972:
	s_cmp_gt_i32 s11, 0
	s_mov_b32 s13, 0
	s_cbranch_scc0 .LBB364_1974
; %bb.1973:
	global_load_i8 v1, v[24:25], off
	s_wait_loadcnt 0x0
	v_bfe_i32 v14, v1, 0, 16
	s_delay_alu instid0(VALU_DEP_1)
	v_ashrrev_i32_e32 v15, 31, v14
	s_branch .LBB364_1975
.LBB364_1974:
	s_mov_b32 s13, -1
                                        ; implicit-def: $vgpr14_vgpr15
.LBB364_1975:
	s_delay_alu instid0(SALU_CYCLE_1)
	s_and_not1_b32 vcc_lo, exec_lo, s13
	s_cbranch_vccnz .LBB364_1977
; %bb.1976:
	global_load_u8 v1, v[24:25], off
	s_mov_b32 s13, 0
	s_wait_loadcnt 0x1
	v_mov_b32_e32 v15, s13
	s_wait_loadcnt 0x0
	v_and_b32_e32 v14, 0xffff, v1
.LBB364_1977:
.LBB364_1978:
	v_mov_b32_e32 v19, 0
	s_and_b32 s12, 0xffff, s12
	s_delay_alu instid0(SALU_CYCLE_1) | instskip(SKIP_1) | instid1(VALU_DEP_1)
	s_cmp_lt_i32 s12, 11
	s_wait_xcnt 0x0
	v_add_nc_u64_e32 v[24:25], s[0:1], v[18:19]
	s_cbranch_scc1 .LBB364_1985
; %bb.1979:
	s_cmp_gt_i32 s12, 25
	s_mov_b32 s14, 0
	s_cbranch_scc0 .LBB364_1986
; %bb.1980:
	s_cmp_gt_i32 s12, 28
	s_cbranch_scc0 .LBB364_1987
; %bb.1981:
	s_cmp_gt_i32 s12, 43
	s_cbranch_scc0 .LBB364_1988
; %bb.1982:
	s_cmp_gt_i32 s12, 45
	s_cbranch_scc0 .LBB364_1990
; %bb.1983:
	s_cmp_eq_u32 s12, 46
	s_mov_b32 s16, 0
	s_cbranch_scc0 .LBB364_1991
; %bb.1984:
	global_load_b32 v1, v[24:25], off
	s_mov_b32 s13, 0
	s_mov_b32 s15, -1
	s_wait_loadcnt 0x0
	v_lshlrev_b32_e32 v1, 16, v1
	s_delay_alu instid0(VALU_DEP_1) | instskip(NEXT) | instid1(VALU_DEP_1)
	v_trunc_f32_e32 v1, v1
	v_mul_f32_e32 v3, 0x2f800000, v1
	s_delay_alu instid0(VALU_DEP_1) | instskip(NEXT) | instid1(VALU_DEP_1)
	v_floor_f32_e32 v3, v3
	v_fmamk_f32 v1, v3, 0xcf800000, v1
	v_cvt_u32_f32_e32 v19, v3
	s_delay_alu instid0(VALU_DEP_2)
	v_cvt_u32_f32_e32 v18, v1
	s_branch .LBB364_1993
.LBB364_1985:
	s_mov_b32 s13, -1
	s_mov_b32 s15, 0
                                        ; implicit-def: $vgpr18_vgpr19
	s_branch .LBB364_2055
.LBB364_1986:
	s_mov_b32 s16, -1
	s_mov_b32 s15, 0
	s_mov_b32 s13, 0
                                        ; implicit-def: $vgpr18_vgpr19
	s_branch .LBB364_2020
.LBB364_1987:
	s_mov_b32 s16, -1
	s_mov_b32 s15, 0
	s_mov_b32 s13, 0
                                        ; implicit-def: $vgpr18_vgpr19
	s_branch .LBB364_2003
.LBB364_1988:
	s_mov_b32 s16, -1
	s_mov_b32 s15, 0
	s_mov_b32 s13, 0
                                        ; implicit-def: $vgpr18_vgpr19
	s_branch .LBB364_1998
.LBB364_1989:
	s_or_b32 s10, s10, exec_lo
	s_trap 2
	s_cbranch_execz .LBB364_1928
	s_branch .LBB364_1929
.LBB364_1990:
	s_mov_b32 s16, -1
	s_mov_b32 s15, 0
	s_mov_b32 s13, 0
	s_branch .LBB364_1992
.LBB364_1991:
	s_mov_b32 s13, -1
	s_mov_b32 s15, 0
.LBB364_1992:
                                        ; implicit-def: $vgpr18_vgpr19
.LBB364_1993:
	s_and_b32 vcc_lo, exec_lo, s16
	s_cbranch_vccz .LBB364_1997
; %bb.1994:
	s_cmp_eq_u32 s12, 44
	s_cbranch_scc0 .LBB364_1996
; %bb.1995:
	global_load_u8 v1, v[24:25], off
	s_mov_b32 s13, 0
	s_mov_b32 s15, -1
	s_wait_loadcnt 0x0
	v_lshlrev_b32_e32 v3, 23, v1
	v_cmp_ne_u32_e32 vcc_lo, 0, v1
	s_delay_alu instid0(VALU_DEP_2) | instskip(NEXT) | instid1(VALU_DEP_1)
	v_trunc_f32_e32 v3, v3
	v_mul_f32_e32 v5, 0x2f800000, v3
	s_delay_alu instid0(VALU_DEP_1) | instskip(NEXT) | instid1(VALU_DEP_1)
	v_floor_f32_e32 v5, v5
	v_fmamk_f32 v3, v5, 0xcf800000, v3
	v_cvt_u32_f32_e32 v5, v5
	s_delay_alu instid0(VALU_DEP_2) | instskip(NEXT) | instid1(VALU_DEP_1)
	v_cvt_u32_f32_e32 v3, v3
	v_dual_cndmask_b32 v19, 0, v5 :: v_dual_cndmask_b32 v18, 0, v3
	s_branch .LBB364_1997
.LBB364_1996:
	s_mov_b32 s13, -1
                                        ; implicit-def: $vgpr18_vgpr19
.LBB364_1997:
	s_mov_b32 s16, 0
.LBB364_1998:
	s_delay_alu instid0(SALU_CYCLE_1)
	s_and_b32 vcc_lo, exec_lo, s16
	s_cbranch_vccz .LBB364_2002
; %bb.1999:
	s_cmp_eq_u32 s12, 29
	s_cbranch_scc0 .LBB364_2001
; %bb.2000:
	global_load_b64 v[18:19], v[24:25], off
	s_mov_b32 s13, 0
	s_mov_b32 s15, -1
	s_branch .LBB364_2002
.LBB364_2001:
	s_mov_b32 s13, -1
                                        ; implicit-def: $vgpr18_vgpr19
.LBB364_2002:
	s_mov_b32 s16, 0
.LBB364_2003:
	s_delay_alu instid0(SALU_CYCLE_1)
	s_and_b32 vcc_lo, exec_lo, s16
	s_cbranch_vccz .LBB364_2019
; %bb.2004:
	s_cmp_lt_i32 s12, 27
	s_cbranch_scc1 .LBB364_2007
; %bb.2005:
	s_cmp_gt_i32 s12, 27
	s_cbranch_scc0 .LBB364_2008
; %bb.2006:
	s_wait_loadcnt 0x0
	global_load_b32 v18, v[24:25], off
	v_mov_b32_e32 v19, 0
	s_mov_b32 s15, 0
	s_branch .LBB364_2009
.LBB364_2007:
	s_mov_b32 s15, -1
                                        ; implicit-def: $vgpr18_vgpr19
	s_branch .LBB364_2012
.LBB364_2008:
	s_mov_b32 s15, -1
                                        ; implicit-def: $vgpr18_vgpr19
.LBB364_2009:
	s_delay_alu instid0(SALU_CYCLE_1)
	s_and_not1_b32 vcc_lo, exec_lo, s15
	s_cbranch_vccnz .LBB364_2011
; %bb.2010:
	global_load_u16 v1, v[24:25], off
	s_mov_b32 s15, 0
	s_wait_loadcnt 0x1
	v_mov_b32_e32 v19, s15
	s_wait_loadcnt 0x0
	v_and_b32_e32 v18, 0xffff, v1
.LBB364_2011:
	s_mov_b32 s15, 0
.LBB364_2012:
	s_delay_alu instid0(SALU_CYCLE_1)
	s_and_not1_b32 vcc_lo, exec_lo, s15
	s_cbranch_vccnz .LBB364_2018
; %bb.2013:
	global_load_u8 v1, v[24:25], off
	s_mov_b32 s16, 0
	s_mov_b32 s15, exec_lo
	s_wait_loadcnt 0x0
	v_cmpx_lt_i16_e32 0x7f, v1
	s_xor_b32 s15, exec_lo, s15
	s_cbranch_execz .LBB364_2030
; %bb.2014:
	v_cmp_ne_u16_e32 vcc_lo, 0x80, v1
	s_and_b32 s16, vcc_lo, exec_lo
	s_and_not1_saveexec_b32 s15, s15
	s_cbranch_execnz .LBB364_2031
.LBB364_2015:
	s_or_b32 exec_lo, exec_lo, s15
	v_mov_b64_e32 v[18:19], 0
	s_and_saveexec_b32 s15, s16
	s_cbranch_execz .LBB364_2017
.LBB364_2016:
	v_and_b32_e32 v3, 0xffff, v1
	s_delay_alu instid0(VALU_DEP_1) | instskip(SKIP_1) | instid1(VALU_DEP_2)
	v_dual_lshlrev_b32 v1, 24, v1 :: v_dual_bitop2_b32 v5, 7, v3 bitop3:0x40
	v_bfe_u32 v17, v3, 3, 4
	v_and_b32_e32 v1, 0x80000000, v1
	s_delay_alu instid0(VALU_DEP_3) | instskip(NEXT) | instid1(VALU_DEP_3)
	v_clz_i32_u32_e32 v7, v5
	v_cmp_eq_u32_e32 vcc_lo, 0, v17
	s_delay_alu instid0(VALU_DEP_2) | instskip(NEXT) | instid1(VALU_DEP_1)
	v_min_u32_e32 v7, 32, v7
	v_subrev_nc_u32_e32 v11, 28, v7
	v_sub_nc_u32_e32 v7, 29, v7
	s_delay_alu instid0(VALU_DEP_2) | instskip(NEXT) | instid1(VALU_DEP_2)
	v_lshlrev_b32_e32 v3, v11, v3
	v_cndmask_b32_e32 v7, v17, v7, vcc_lo
	s_delay_alu instid0(VALU_DEP_2) | instskip(NEXT) | instid1(VALU_DEP_1)
	v_and_b32_e32 v3, 7, v3
	v_cndmask_b32_e32 v3, v5, v3, vcc_lo
	s_delay_alu instid0(VALU_DEP_3) | instskip(NEXT) | instid1(VALU_DEP_2)
	v_lshl_add_u32 v5, v7, 23, 0x3b800000
	v_lshlrev_b32_e32 v3, 20, v3
	s_delay_alu instid0(VALU_DEP_1) | instskip(NEXT) | instid1(VALU_DEP_1)
	v_or3_b32 v1, v1, v5, v3
	v_trunc_f32_e32 v1, v1
	s_delay_alu instid0(VALU_DEP_1) | instskip(NEXT) | instid1(VALU_DEP_1)
	v_mul_f32_e32 v3, 0x2f800000, v1
	v_floor_f32_e32 v3, v3
	s_delay_alu instid0(VALU_DEP_1) | instskip(SKIP_1) | instid1(VALU_DEP_2)
	v_fmamk_f32 v1, v3, 0xcf800000, v1
	v_cvt_u32_f32_e32 v19, v3
	v_cvt_u32_f32_e32 v18, v1
.LBB364_2017:
	s_or_b32 exec_lo, exec_lo, s15
.LBB364_2018:
	s_mov_b32 s15, -1
.LBB364_2019:
	s_mov_b32 s16, 0
.LBB364_2020:
	s_delay_alu instid0(SALU_CYCLE_1)
	s_and_b32 vcc_lo, exec_lo, s16
	s_cbranch_vccz .LBB364_2051
; %bb.2021:
	s_cmp_gt_i32 s12, 22
	s_cbranch_scc0 .LBB364_2029
; %bb.2022:
	s_cmp_lt_i32 s12, 24
	s_cbranch_scc1 .LBB364_2032
; %bb.2023:
	s_cmp_gt_i32 s12, 24
	s_cbranch_scc0 .LBB364_2033
; %bb.2024:
	global_load_u8 v1, v[24:25], off
	s_mov_b32 s15, 0
	s_mov_b32 s14, exec_lo
	s_wait_loadcnt 0x0
	v_cmpx_lt_i16_e32 0x7f, v1
	s_xor_b32 s14, exec_lo, s14
	s_cbranch_execz .LBB364_2045
; %bb.2025:
	v_cmp_ne_u16_e32 vcc_lo, 0x80, v1
	s_and_b32 s15, vcc_lo, exec_lo
	s_and_not1_saveexec_b32 s14, s14
	s_cbranch_execnz .LBB364_2046
.LBB364_2026:
	s_or_b32 exec_lo, exec_lo, s14
	v_mov_b64_e32 v[18:19], 0
	s_and_saveexec_b32 s14, s15
	s_cbranch_execz .LBB364_2028
.LBB364_2027:
	v_and_b32_e32 v3, 0xffff, v1
	s_delay_alu instid0(VALU_DEP_1) | instskip(SKIP_1) | instid1(VALU_DEP_2)
	v_dual_lshlrev_b32 v1, 24, v1 :: v_dual_bitop2_b32 v5, 3, v3 bitop3:0x40
	v_bfe_u32 v17, v3, 2, 5
	v_and_b32_e32 v1, 0x80000000, v1
	s_delay_alu instid0(VALU_DEP_3) | instskip(NEXT) | instid1(VALU_DEP_3)
	v_clz_i32_u32_e32 v7, v5
	v_cmp_eq_u32_e32 vcc_lo, 0, v17
	s_delay_alu instid0(VALU_DEP_2) | instskip(NEXT) | instid1(VALU_DEP_1)
	v_min_u32_e32 v7, 32, v7
	v_subrev_nc_u32_e32 v11, 29, v7
	v_sub_nc_u32_e32 v7, 30, v7
	s_delay_alu instid0(VALU_DEP_2) | instskip(NEXT) | instid1(VALU_DEP_2)
	v_lshlrev_b32_e32 v3, v11, v3
	v_cndmask_b32_e32 v7, v17, v7, vcc_lo
	s_delay_alu instid0(VALU_DEP_2) | instskip(NEXT) | instid1(VALU_DEP_1)
	v_and_b32_e32 v3, 3, v3
	v_cndmask_b32_e32 v3, v5, v3, vcc_lo
	s_delay_alu instid0(VALU_DEP_3) | instskip(NEXT) | instid1(VALU_DEP_2)
	v_lshl_add_u32 v5, v7, 23, 0x37800000
	v_lshlrev_b32_e32 v3, 21, v3
	s_delay_alu instid0(VALU_DEP_1) | instskip(NEXT) | instid1(VALU_DEP_1)
	v_or3_b32 v1, v1, v5, v3
	v_trunc_f32_e32 v1, v1
	s_delay_alu instid0(VALU_DEP_1) | instskip(NEXT) | instid1(VALU_DEP_1)
	v_mul_f32_e32 v3, 0x2f800000, v1
	v_floor_f32_e32 v3, v3
	s_delay_alu instid0(VALU_DEP_1) | instskip(SKIP_1) | instid1(VALU_DEP_2)
	v_fmamk_f32 v1, v3, 0xcf800000, v1
	v_cvt_u32_f32_e32 v19, v3
	v_cvt_u32_f32_e32 v18, v1
.LBB364_2028:
	s_or_b32 exec_lo, exec_lo, s14
	s_mov_b32 s14, 0
	s_branch .LBB364_2034
.LBB364_2029:
	s_mov_b32 s14, -1
                                        ; implicit-def: $vgpr18_vgpr19
	s_branch .LBB364_2040
.LBB364_2030:
	s_and_not1_saveexec_b32 s15, s15
	s_cbranch_execz .LBB364_2015
.LBB364_2031:
	v_cmp_ne_u16_e32 vcc_lo, 0, v1
	s_and_not1_b32 s16, s16, exec_lo
	s_and_b32 s17, vcc_lo, exec_lo
	s_delay_alu instid0(SALU_CYCLE_1)
	s_or_b32 s16, s16, s17
	s_or_b32 exec_lo, exec_lo, s15
	v_mov_b64_e32 v[18:19], 0
	s_and_saveexec_b32 s15, s16
	s_cbranch_execnz .LBB364_2016
	s_branch .LBB364_2017
.LBB364_2032:
	s_mov_b32 s14, -1
                                        ; implicit-def: $vgpr18_vgpr19
	s_branch .LBB364_2037
.LBB364_2033:
	s_mov_b32 s14, -1
                                        ; implicit-def: $vgpr18_vgpr19
.LBB364_2034:
	s_delay_alu instid0(SALU_CYCLE_1)
	s_and_b32 vcc_lo, exec_lo, s14
	s_cbranch_vccz .LBB364_2036
; %bb.2035:
	global_load_u8 v1, v[24:25], off
	s_wait_loadcnt 0x0
	v_lshlrev_b32_e32 v1, 24, v1
	s_delay_alu instid0(VALU_DEP_1) | instskip(NEXT) | instid1(VALU_DEP_1)
	v_and_b32_e32 v3, 0x7f000000, v1
	v_clz_i32_u32_e32 v5, v3
	v_add_nc_u32_e32 v11, 0x1000000, v3
	v_cmp_ne_u32_e32 vcc_lo, 0, v3
	s_delay_alu instid0(VALU_DEP_3) | instskip(NEXT) | instid1(VALU_DEP_1)
	v_min_u32_e32 v5, 32, v5
	v_sub_nc_u32_e64 v5, v5, 4 clamp
	s_delay_alu instid0(VALU_DEP_1) | instskip(NEXT) | instid1(VALU_DEP_1)
	v_dual_lshlrev_b32 v7, v5, v3 :: v_dual_lshlrev_b32 v5, 23, v5
	v_lshrrev_b32_e32 v7, 4, v7
	s_delay_alu instid0(VALU_DEP_1) | instskip(NEXT) | instid1(VALU_DEP_1)
	v_dual_sub_nc_u32 v5, v7, v5 :: v_dual_ashrrev_i32 v7, 8, v11
	v_add_nc_u32_e32 v5, 0x3c000000, v5
	s_delay_alu instid0(VALU_DEP_1) | instskip(NEXT) | instid1(VALU_DEP_1)
	v_and_or_b32 v5, 0x7f800000, v7, v5
	v_cndmask_b32_e32 v3, 0, v5, vcc_lo
	s_delay_alu instid0(VALU_DEP_1) | instskip(NEXT) | instid1(VALU_DEP_1)
	v_and_or_b32 v1, 0x80000000, v1, v3
	v_trunc_f32_e32 v1, v1
	s_delay_alu instid0(VALU_DEP_1) | instskip(NEXT) | instid1(VALU_DEP_1)
	v_mul_f32_e32 v3, 0x2f800000, v1
	v_floor_f32_e32 v3, v3
	s_delay_alu instid0(VALU_DEP_1) | instskip(SKIP_1) | instid1(VALU_DEP_2)
	v_fmamk_f32 v1, v3, 0xcf800000, v1
	v_cvt_u32_f32_e32 v19, v3
	v_cvt_u32_f32_e32 v18, v1
.LBB364_2036:
	s_mov_b32 s14, 0
.LBB364_2037:
	s_delay_alu instid0(SALU_CYCLE_1)
	s_and_not1_b32 vcc_lo, exec_lo, s14
	s_cbranch_vccnz .LBB364_2039
; %bb.2038:
	global_load_u8 v1, v[24:25], off
	s_wait_loadcnt 0x0
	v_lshlrev_b32_e32 v3, 25, v1
	v_lshlrev_b16 v1, 8, v1
	s_delay_alu instid0(VALU_DEP_1) | instskip(SKIP_1) | instid1(VALU_DEP_2)
	v_and_or_b32 v7, 0x7f00, v1, 0.5
	v_bfe_i32 v1, v1, 0, 16
	v_add_f32_e32 v7, -0.5, v7
	v_lshrrev_b32_e32 v5, 4, v3
	v_cmp_gt_u32_e32 vcc_lo, 0x8000000, v3
	s_delay_alu instid0(VALU_DEP_2) | instskip(NEXT) | instid1(VALU_DEP_1)
	v_or_b32_e32 v5, 0x70000000, v5
	v_mul_f32_e32 v5, 0x7800000, v5
	s_delay_alu instid0(VALU_DEP_1) | instskip(NEXT) | instid1(VALU_DEP_1)
	v_cndmask_b32_e32 v3, v5, v7, vcc_lo
	v_and_or_b32 v1, 0x80000000, v1, v3
	s_delay_alu instid0(VALU_DEP_1) | instskip(NEXT) | instid1(VALU_DEP_1)
	v_trunc_f32_e32 v1, v1
	v_mul_f32_e32 v3, 0x2f800000, v1
	s_delay_alu instid0(VALU_DEP_1) | instskip(NEXT) | instid1(VALU_DEP_1)
	v_floor_f32_e32 v3, v3
	v_fmamk_f32 v1, v3, 0xcf800000, v1
	v_cvt_u32_f32_e32 v19, v3
	s_delay_alu instid0(VALU_DEP_2)
	v_cvt_u32_f32_e32 v18, v1
.LBB364_2039:
	s_mov_b32 s14, 0
	s_mov_b32 s15, -1
.LBB364_2040:
	s_and_not1_b32 vcc_lo, exec_lo, s14
	s_mov_b32 s14, 0
	s_cbranch_vccnz .LBB364_2051
; %bb.2041:
	s_cmp_gt_i32 s12, 14
	s_cbranch_scc0 .LBB364_2044
; %bb.2042:
	s_cmp_eq_u32 s12, 15
	s_cbranch_scc0 .LBB364_2047
; %bb.2043:
	global_load_u16 v1, v[24:25], off
	s_mov_b32 s13, 0
	s_mov_b32 s15, -1
	s_wait_loadcnt 0x0
	v_lshlrev_b32_e32 v1, 16, v1
	s_delay_alu instid0(VALU_DEP_1) | instskip(NEXT) | instid1(VALU_DEP_1)
	v_trunc_f32_e32 v1, v1
	v_mul_f32_e32 v3, 0x2f800000, v1
	s_delay_alu instid0(VALU_DEP_1) | instskip(NEXT) | instid1(VALU_DEP_1)
	v_floor_f32_e32 v3, v3
	v_fmamk_f32 v1, v3, 0xcf800000, v1
	v_cvt_u32_f32_e32 v19, v3
	s_delay_alu instid0(VALU_DEP_2)
	v_cvt_u32_f32_e32 v18, v1
	s_branch .LBB364_2049
.LBB364_2044:
	s_mov_b32 s14, -1
	s_branch .LBB364_2048
.LBB364_2045:
	s_and_not1_saveexec_b32 s14, s14
	s_cbranch_execz .LBB364_2026
.LBB364_2046:
	v_cmp_ne_u16_e32 vcc_lo, 0, v1
	s_and_not1_b32 s15, s15, exec_lo
	s_and_b32 s16, vcc_lo, exec_lo
	s_delay_alu instid0(SALU_CYCLE_1)
	s_or_b32 s15, s15, s16
	s_or_b32 exec_lo, exec_lo, s14
	v_mov_b64_e32 v[18:19], 0
	s_and_saveexec_b32 s14, s15
	s_cbranch_execnz .LBB364_2027
	s_branch .LBB364_2028
.LBB364_2047:
	s_mov_b32 s13, -1
.LBB364_2048:
                                        ; implicit-def: $vgpr18_vgpr19
.LBB364_2049:
	s_and_b32 vcc_lo, exec_lo, s14
	s_mov_b32 s14, 0
	s_cbranch_vccz .LBB364_2051
; %bb.2050:
	s_cmp_lg_u32 s12, 11
	s_mov_b32 s14, -1
	s_cselect_b32 s13, -1, 0
.LBB364_2051:
	s_delay_alu instid0(SALU_CYCLE_1)
	s_and_b32 vcc_lo, exec_lo, s13
	s_cbranch_vccnz .LBB364_2116
; %bb.2052:
	s_and_not1_b32 vcc_lo, exec_lo, s14
	s_cbranch_vccnz .LBB364_2054
.LBB364_2053:
	global_load_u8 v1, v[24:25], off
	s_mov_b32 s13, 0
	s_mov_b32 s15, -1
	s_wait_loadcnt 0x1
	v_mov_b32_e32 v19, s13
	s_wait_loadcnt 0x0
	v_cmp_ne_u16_e32 vcc_lo, 0, v1
	v_cndmask_b32_e64 v18, 0, 1, vcc_lo
.LBB364_2054:
	s_mov_b32 s13, 0
.LBB364_2055:
	s_delay_alu instid0(SALU_CYCLE_1)
	s_and_b32 vcc_lo, exec_lo, s13
	s_cbranch_vccz .LBB364_2104
; %bb.2056:
	s_cmp_lt_i32 s12, 5
	s_cbranch_scc1 .LBB364_2061
; %bb.2057:
	s_cmp_lt_i32 s12, 8
	s_cbranch_scc1 .LBB364_2062
	;; [unrolled: 3-line block ×3, first 2 shown]
; %bb.2059:
	s_cmp_gt_i32 s12, 9
	s_cbranch_scc0 .LBB364_2064
; %bb.2060:
	s_wait_loadcnt 0x0
	global_load_b64 v[18:19], v[24:25], off
	s_mov_b32 s13, 0
	s_wait_loadcnt 0x0
	v_trunc_f64_e32 v[18:19], v[18:19]
	s_delay_alu instid0(VALU_DEP_1) | instskip(NEXT) | instid1(VALU_DEP_1)
	v_ldexp_f64 v[26:27], v[18:19], 0xffffffe0
	v_floor_f64_e32 v[26:27], v[26:27]
	s_delay_alu instid0(VALU_DEP_1) | instskip(SKIP_1) | instid1(VALU_DEP_2)
	v_fmamk_f64 v[28:29], v[26:27], 0xc1f00000, v[18:19]
	v_cvt_u32_f64_e32 v19, v[26:27]
	v_cvt_u32_f64_e32 v18, v[28:29]
	s_branch .LBB364_2065
.LBB364_2061:
	s_mov_b32 s13, -1
                                        ; implicit-def: $vgpr18_vgpr19
	s_branch .LBB364_2083
.LBB364_2062:
	s_mov_b32 s13, -1
                                        ; implicit-def: $vgpr18_vgpr19
	s_branch .LBB364_2071
.LBB364_2063:
	s_mov_b32 s13, -1
                                        ; implicit-def: $vgpr18_vgpr19
	s_branch .LBB364_2068
.LBB364_2064:
	s_mov_b32 s13, -1
                                        ; implicit-def: $vgpr18_vgpr19
.LBB364_2065:
	s_delay_alu instid0(SALU_CYCLE_1)
	s_and_not1_b32 vcc_lo, exec_lo, s13
	s_cbranch_vccnz .LBB364_2067
; %bb.2066:
	global_load_b32 v1, v[24:25], off
	s_wait_loadcnt 0x0
	v_trunc_f32_e32 v1, v1
	s_delay_alu instid0(VALU_DEP_1) | instskip(NEXT) | instid1(VALU_DEP_1)
	v_mul_f32_e32 v3, 0x2f800000, v1
	v_floor_f32_e32 v3, v3
	s_delay_alu instid0(VALU_DEP_1) | instskip(SKIP_1) | instid1(VALU_DEP_2)
	v_fmamk_f32 v1, v3, 0xcf800000, v1
	v_cvt_u32_f32_e32 v19, v3
	v_cvt_u32_f32_e32 v18, v1
.LBB364_2067:
	s_mov_b32 s13, 0
.LBB364_2068:
	s_delay_alu instid0(SALU_CYCLE_1)
	s_and_not1_b32 vcc_lo, exec_lo, s13
	s_cbranch_vccnz .LBB364_2070
; %bb.2069:
	global_load_b32 v1, v[24:25], off
	s_wait_loadcnt 0x1
	v_mov_b32_e32 v19, 0
	s_wait_loadcnt 0x0
	v_cvt_f32_f16_e32 v1, v1
	s_delay_alu instid0(VALU_DEP_1)
	v_cvt_u32_f32_e32 v18, v1
.LBB364_2070:
	s_mov_b32 s13, 0
.LBB364_2071:
	s_delay_alu instid0(SALU_CYCLE_1)
	s_and_not1_b32 vcc_lo, exec_lo, s13
	s_cbranch_vccnz .LBB364_2082
; %bb.2072:
	s_cmp_lt_i32 s12, 6
	s_cbranch_scc1 .LBB364_2075
; %bb.2073:
	s_cmp_gt_i32 s12, 6
	s_cbranch_scc0 .LBB364_2076
; %bb.2074:
	s_wait_loadcnt 0x0
	global_load_b64 v[18:19], v[24:25], off
	s_mov_b32 s13, 0
	s_wait_loadcnt 0x0
	v_trunc_f64_e32 v[18:19], v[18:19]
	s_delay_alu instid0(VALU_DEP_1) | instskip(NEXT) | instid1(VALU_DEP_1)
	v_ldexp_f64 v[26:27], v[18:19], 0xffffffe0
	v_floor_f64_e32 v[26:27], v[26:27]
	s_delay_alu instid0(VALU_DEP_1) | instskip(SKIP_1) | instid1(VALU_DEP_2)
	v_fmamk_f64 v[28:29], v[26:27], 0xc1f00000, v[18:19]
	v_cvt_u32_f64_e32 v19, v[26:27]
	v_cvt_u32_f64_e32 v18, v[28:29]
	s_branch .LBB364_2077
.LBB364_2075:
	s_mov_b32 s13, -1
                                        ; implicit-def: $vgpr18_vgpr19
	s_branch .LBB364_2080
.LBB364_2076:
	s_mov_b32 s13, -1
                                        ; implicit-def: $vgpr18_vgpr19
.LBB364_2077:
	s_delay_alu instid0(SALU_CYCLE_1)
	s_and_not1_b32 vcc_lo, exec_lo, s13
	s_cbranch_vccnz .LBB364_2079
; %bb.2078:
	global_load_b32 v1, v[24:25], off
	s_wait_loadcnt 0x0
	v_trunc_f32_e32 v1, v1
	s_delay_alu instid0(VALU_DEP_1) | instskip(NEXT) | instid1(VALU_DEP_1)
	v_mul_f32_e32 v3, 0x2f800000, v1
	v_floor_f32_e32 v3, v3
	s_delay_alu instid0(VALU_DEP_1) | instskip(SKIP_1) | instid1(VALU_DEP_2)
	v_fmamk_f32 v1, v3, 0xcf800000, v1
	v_cvt_u32_f32_e32 v19, v3
	v_cvt_u32_f32_e32 v18, v1
.LBB364_2079:
	s_mov_b32 s13, 0
.LBB364_2080:
	s_delay_alu instid0(SALU_CYCLE_1)
	s_and_not1_b32 vcc_lo, exec_lo, s13
	s_cbranch_vccnz .LBB364_2082
; %bb.2081:
	global_load_u16 v1, v[24:25], off
	s_wait_loadcnt 0x1
	v_mov_b32_e32 v19, 0
	s_wait_loadcnt 0x0
	v_cvt_f32_f16_e32 v1, v1
	s_delay_alu instid0(VALU_DEP_1)
	v_cvt_u32_f32_e32 v18, v1
.LBB364_2082:
	s_mov_b32 s13, 0
.LBB364_2083:
	s_delay_alu instid0(SALU_CYCLE_1)
	s_and_not1_b32 vcc_lo, exec_lo, s13
	s_cbranch_vccnz .LBB364_2103
; %bb.2084:
	s_cmp_lt_i32 s12, 2
	s_cbranch_scc1 .LBB364_2088
; %bb.2085:
	s_cmp_lt_i32 s12, 3
	s_cbranch_scc1 .LBB364_2089
; %bb.2086:
	s_cmp_gt_i32 s12, 3
	s_cbranch_scc0 .LBB364_2090
; %bb.2087:
	s_wait_loadcnt 0x0
	global_load_b64 v[18:19], v[24:25], off
	s_mov_b32 s13, 0
	s_branch .LBB364_2091
.LBB364_2088:
	s_mov_b32 s13, -1
                                        ; implicit-def: $vgpr18_vgpr19
	s_branch .LBB364_2097
.LBB364_2089:
	s_mov_b32 s13, -1
                                        ; implicit-def: $vgpr18_vgpr19
	s_branch .LBB364_2094
.LBB364_2090:
	s_mov_b32 s13, -1
                                        ; implicit-def: $vgpr18_vgpr19
.LBB364_2091:
	s_delay_alu instid0(SALU_CYCLE_1)
	s_and_not1_b32 vcc_lo, exec_lo, s13
	s_cbranch_vccnz .LBB364_2093
; %bb.2092:
	s_wait_loadcnt 0x0
	global_load_b32 v18, v[24:25], off
	s_wait_loadcnt 0x0
	v_ashrrev_i32_e32 v19, 31, v18
.LBB364_2093:
	s_mov_b32 s13, 0
.LBB364_2094:
	s_delay_alu instid0(SALU_CYCLE_1)
	s_and_not1_b32 vcc_lo, exec_lo, s13
	s_cbranch_vccnz .LBB364_2096
; %bb.2095:
	global_load_u16 v1, v[24:25], off
	s_wait_loadcnt 0x0
	v_bfe_i32 v18, v1, 0, 16
	s_delay_alu instid0(VALU_DEP_1)
	v_ashrrev_i32_e32 v19, 31, v18
.LBB364_2096:
	s_mov_b32 s13, 0
.LBB364_2097:
	s_delay_alu instid0(SALU_CYCLE_1)
	s_and_not1_b32 vcc_lo, exec_lo, s13
	s_cbranch_vccnz .LBB364_2103
; %bb.2098:
	s_cmp_gt_i32 s12, 0
	s_mov_b32 s13, 0
	s_cbranch_scc0 .LBB364_2100
; %bb.2099:
	global_load_i8 v1, v[24:25], off
	s_wait_loadcnt 0x0
	v_bfe_i32 v18, v1, 0, 16
	s_delay_alu instid0(VALU_DEP_1)
	v_ashrrev_i32_e32 v19, 31, v18
	s_branch .LBB364_2101
.LBB364_2100:
	s_mov_b32 s13, -1
                                        ; implicit-def: $vgpr18_vgpr19
.LBB364_2101:
	s_delay_alu instid0(SALU_CYCLE_1)
	s_and_not1_b32 vcc_lo, exec_lo, s13
	s_cbranch_vccnz .LBB364_2103
; %bb.2102:
	global_load_u8 v1, v[24:25], off
	s_mov_b32 s13, 0
	s_wait_loadcnt 0x1
	v_mov_b32_e32 v19, s13
	s_wait_loadcnt 0x0
	v_and_b32_e32 v18, 0xffff, v1
.LBB364_2103:
	s_mov_b32 s15, -1
.LBB364_2104:
	s_delay_alu instid0(SALU_CYCLE_1)
	s_and_not1_b32 vcc_lo, exec_lo, s15
	s_cbranch_vccnz .LBB364_3047
; %bb.2105:
	v_mov_b32_e32 v21, 0
	s_cmp_lt_i32 s11, 11
	s_wait_xcnt 0x0
	s_delay_alu instid0(VALU_DEP_1)
	v_add_nc_u64_e32 v[24:25], s[6:7], v[20:21]
	s_cbranch_scc1 .LBB364_2112
; %bb.2106:
	s_cmp_gt_i32 s11, 25
	s_mov_b32 s14, 0
	s_cbranch_scc0 .LBB364_2113
; %bb.2107:
	s_cmp_gt_i32 s11, 28
	s_cbranch_scc0 .LBB364_2114
; %bb.2108:
	s_cmp_gt_i32 s11, 43
	;; [unrolled: 3-line block ×3, first 2 shown]
	s_cbranch_scc0 .LBB364_2117
; %bb.2110:
	s_cmp_eq_u32 s11, 46
	s_mov_b32 s16, 0
	s_cbranch_scc0 .LBB364_2118
; %bb.2111:
	global_load_b32 v1, v[24:25], off
	s_mov_b32 s13, 0
	s_mov_b32 s15, -1
	s_wait_loadcnt 0x0
	v_lshlrev_b32_e32 v1, 16, v1
	s_delay_alu instid0(VALU_DEP_1) | instskip(NEXT) | instid1(VALU_DEP_1)
	v_trunc_f32_e32 v1, v1
	v_mul_f32_e32 v3, 0x2f800000, v1
	s_delay_alu instid0(VALU_DEP_1) | instskip(NEXT) | instid1(VALU_DEP_1)
	v_floor_f32_e32 v3, v3
	v_fmamk_f32 v1, v3, 0xcf800000, v1
	v_cvt_u32_f32_e32 v21, v3
	s_delay_alu instid0(VALU_DEP_2)
	v_cvt_u32_f32_e32 v20, v1
	s_branch .LBB364_2120
.LBB364_2112:
	s_mov_b32 s13, -1
	s_mov_b32 s15, 0
                                        ; implicit-def: $vgpr20_vgpr21
	s_branch .LBB364_2182
.LBB364_2113:
	s_mov_b32 s16, -1
	s_mov_b32 s15, 0
	s_mov_b32 s13, 0
                                        ; implicit-def: $vgpr20_vgpr21
	s_branch .LBB364_2147
.LBB364_2114:
	s_mov_b32 s16, -1
	s_mov_b32 s15, 0
	s_mov_b32 s13, 0
                                        ; implicit-def: $vgpr20_vgpr21
	s_branch .LBB364_2130
.LBB364_2115:
	s_mov_b32 s16, -1
	s_mov_b32 s15, 0
	s_mov_b32 s13, 0
                                        ; implicit-def: $vgpr20_vgpr21
	s_branch .LBB364_2125
.LBB364_2116:
	s_or_b32 s10, s10, exec_lo
	s_trap 2
	s_cbranch_execz .LBB364_2053
	s_branch .LBB364_2054
.LBB364_2117:
	s_mov_b32 s16, -1
	s_mov_b32 s15, 0
	s_mov_b32 s13, 0
	s_branch .LBB364_2119
.LBB364_2118:
	s_mov_b32 s13, -1
	s_mov_b32 s15, 0
.LBB364_2119:
                                        ; implicit-def: $vgpr20_vgpr21
.LBB364_2120:
	s_and_b32 vcc_lo, exec_lo, s16
	s_cbranch_vccz .LBB364_2124
; %bb.2121:
	s_cmp_eq_u32 s11, 44
	s_cbranch_scc0 .LBB364_2123
; %bb.2122:
	global_load_u8 v1, v[24:25], off
	s_mov_b32 s13, 0
	s_mov_b32 s15, -1
	s_wait_loadcnt 0x0
	v_lshlrev_b32_e32 v3, 23, v1
	v_cmp_ne_u32_e32 vcc_lo, 0, v1
	s_delay_alu instid0(VALU_DEP_2) | instskip(NEXT) | instid1(VALU_DEP_1)
	v_trunc_f32_e32 v3, v3
	v_mul_f32_e32 v5, 0x2f800000, v3
	s_delay_alu instid0(VALU_DEP_1) | instskip(NEXT) | instid1(VALU_DEP_1)
	v_floor_f32_e32 v5, v5
	v_fmamk_f32 v3, v5, 0xcf800000, v3
	v_cvt_u32_f32_e32 v5, v5
	s_delay_alu instid0(VALU_DEP_2) | instskip(NEXT) | instid1(VALU_DEP_1)
	v_cvt_u32_f32_e32 v3, v3
	v_dual_cndmask_b32 v21, 0, v5 :: v_dual_cndmask_b32 v20, 0, v3
	s_branch .LBB364_2124
.LBB364_2123:
	s_mov_b32 s13, -1
                                        ; implicit-def: $vgpr20_vgpr21
.LBB364_2124:
	s_mov_b32 s16, 0
.LBB364_2125:
	s_delay_alu instid0(SALU_CYCLE_1)
	s_and_b32 vcc_lo, exec_lo, s16
	s_cbranch_vccz .LBB364_2129
; %bb.2126:
	s_cmp_eq_u32 s11, 29
	s_cbranch_scc0 .LBB364_2128
; %bb.2127:
	global_load_b64 v[20:21], v[24:25], off
	s_mov_b32 s13, 0
	s_mov_b32 s15, -1
	s_branch .LBB364_2129
.LBB364_2128:
	s_mov_b32 s13, -1
                                        ; implicit-def: $vgpr20_vgpr21
.LBB364_2129:
	s_mov_b32 s16, 0
.LBB364_2130:
	s_delay_alu instid0(SALU_CYCLE_1)
	s_and_b32 vcc_lo, exec_lo, s16
	s_cbranch_vccz .LBB364_2146
; %bb.2131:
	s_cmp_lt_i32 s11, 27
	s_cbranch_scc1 .LBB364_2134
; %bb.2132:
	s_cmp_gt_i32 s11, 27
	s_cbranch_scc0 .LBB364_2135
; %bb.2133:
	s_wait_loadcnt 0x0
	global_load_b32 v20, v[24:25], off
	v_mov_b32_e32 v21, 0
	s_mov_b32 s15, 0
	s_branch .LBB364_2136
.LBB364_2134:
	s_mov_b32 s15, -1
                                        ; implicit-def: $vgpr20_vgpr21
	s_branch .LBB364_2139
.LBB364_2135:
	s_mov_b32 s15, -1
                                        ; implicit-def: $vgpr20_vgpr21
.LBB364_2136:
	s_delay_alu instid0(SALU_CYCLE_1)
	s_and_not1_b32 vcc_lo, exec_lo, s15
	s_cbranch_vccnz .LBB364_2138
; %bb.2137:
	global_load_u16 v1, v[24:25], off
	s_mov_b32 s15, 0
	s_wait_loadcnt 0x1
	v_mov_b32_e32 v21, s15
	s_wait_loadcnt 0x0
	v_and_b32_e32 v20, 0xffff, v1
.LBB364_2138:
	s_mov_b32 s15, 0
.LBB364_2139:
	s_delay_alu instid0(SALU_CYCLE_1)
	s_and_not1_b32 vcc_lo, exec_lo, s15
	s_cbranch_vccnz .LBB364_2145
; %bb.2140:
	global_load_u8 v1, v[24:25], off
	s_mov_b32 s16, 0
	s_mov_b32 s15, exec_lo
	s_wait_loadcnt 0x0
	v_cmpx_lt_i16_e32 0x7f, v1
	s_xor_b32 s15, exec_lo, s15
	s_cbranch_execz .LBB364_2157
; %bb.2141:
	v_cmp_ne_u16_e32 vcc_lo, 0x80, v1
	s_and_b32 s16, vcc_lo, exec_lo
	s_and_not1_saveexec_b32 s15, s15
	s_cbranch_execnz .LBB364_2158
.LBB364_2142:
	s_or_b32 exec_lo, exec_lo, s15
	v_mov_b64_e32 v[20:21], 0
	s_and_saveexec_b32 s15, s16
	s_cbranch_execz .LBB364_2144
.LBB364_2143:
	v_and_b32_e32 v3, 0xffff, v1
	s_delay_alu instid0(VALU_DEP_1) | instskip(SKIP_1) | instid1(VALU_DEP_2)
	v_dual_lshlrev_b32 v1, 24, v1 :: v_dual_bitop2_b32 v5, 7, v3 bitop3:0x40
	v_bfe_u32 v17, v3, 3, 4
	v_and_b32_e32 v1, 0x80000000, v1
	s_delay_alu instid0(VALU_DEP_3) | instskip(NEXT) | instid1(VALU_DEP_3)
	v_clz_i32_u32_e32 v7, v5
	v_cmp_eq_u32_e32 vcc_lo, 0, v17
	s_delay_alu instid0(VALU_DEP_2) | instskip(NEXT) | instid1(VALU_DEP_1)
	v_min_u32_e32 v7, 32, v7
	v_subrev_nc_u32_e32 v11, 28, v7
	v_sub_nc_u32_e32 v7, 29, v7
	s_delay_alu instid0(VALU_DEP_2) | instskip(NEXT) | instid1(VALU_DEP_2)
	v_lshlrev_b32_e32 v3, v11, v3
	v_cndmask_b32_e32 v7, v17, v7, vcc_lo
	s_delay_alu instid0(VALU_DEP_2) | instskip(NEXT) | instid1(VALU_DEP_1)
	v_and_b32_e32 v3, 7, v3
	v_cndmask_b32_e32 v3, v5, v3, vcc_lo
	s_delay_alu instid0(VALU_DEP_3) | instskip(NEXT) | instid1(VALU_DEP_2)
	v_lshl_add_u32 v5, v7, 23, 0x3b800000
	v_lshlrev_b32_e32 v3, 20, v3
	s_delay_alu instid0(VALU_DEP_1) | instskip(NEXT) | instid1(VALU_DEP_1)
	v_or3_b32 v1, v1, v5, v3
	v_trunc_f32_e32 v1, v1
	s_delay_alu instid0(VALU_DEP_1) | instskip(NEXT) | instid1(VALU_DEP_1)
	v_mul_f32_e32 v3, 0x2f800000, v1
	v_floor_f32_e32 v3, v3
	s_delay_alu instid0(VALU_DEP_1) | instskip(SKIP_1) | instid1(VALU_DEP_2)
	v_fmamk_f32 v1, v3, 0xcf800000, v1
	v_cvt_u32_f32_e32 v21, v3
	v_cvt_u32_f32_e32 v20, v1
.LBB364_2144:
	s_or_b32 exec_lo, exec_lo, s15
.LBB364_2145:
	s_mov_b32 s15, -1
.LBB364_2146:
	s_mov_b32 s16, 0
.LBB364_2147:
	s_delay_alu instid0(SALU_CYCLE_1)
	s_and_b32 vcc_lo, exec_lo, s16
	s_cbranch_vccz .LBB364_2178
; %bb.2148:
	s_cmp_gt_i32 s11, 22
	s_cbranch_scc0 .LBB364_2156
; %bb.2149:
	s_cmp_lt_i32 s11, 24
	s_cbranch_scc1 .LBB364_2159
; %bb.2150:
	s_cmp_gt_i32 s11, 24
	s_cbranch_scc0 .LBB364_2160
; %bb.2151:
	global_load_u8 v1, v[24:25], off
	s_mov_b32 s15, 0
	s_mov_b32 s14, exec_lo
	s_wait_loadcnt 0x0
	v_cmpx_lt_i16_e32 0x7f, v1
	s_xor_b32 s14, exec_lo, s14
	s_cbranch_execz .LBB364_2172
; %bb.2152:
	v_cmp_ne_u16_e32 vcc_lo, 0x80, v1
	s_and_b32 s15, vcc_lo, exec_lo
	s_and_not1_saveexec_b32 s14, s14
	s_cbranch_execnz .LBB364_2173
.LBB364_2153:
	s_or_b32 exec_lo, exec_lo, s14
	v_mov_b64_e32 v[20:21], 0
	s_and_saveexec_b32 s14, s15
	s_cbranch_execz .LBB364_2155
.LBB364_2154:
	v_and_b32_e32 v3, 0xffff, v1
	s_delay_alu instid0(VALU_DEP_1) | instskip(SKIP_1) | instid1(VALU_DEP_2)
	v_dual_lshlrev_b32 v1, 24, v1 :: v_dual_bitop2_b32 v5, 3, v3 bitop3:0x40
	v_bfe_u32 v17, v3, 2, 5
	v_and_b32_e32 v1, 0x80000000, v1
	s_delay_alu instid0(VALU_DEP_3) | instskip(NEXT) | instid1(VALU_DEP_3)
	v_clz_i32_u32_e32 v7, v5
	v_cmp_eq_u32_e32 vcc_lo, 0, v17
	s_delay_alu instid0(VALU_DEP_2) | instskip(NEXT) | instid1(VALU_DEP_1)
	v_min_u32_e32 v7, 32, v7
	v_subrev_nc_u32_e32 v11, 29, v7
	v_sub_nc_u32_e32 v7, 30, v7
	s_delay_alu instid0(VALU_DEP_2) | instskip(NEXT) | instid1(VALU_DEP_2)
	v_lshlrev_b32_e32 v3, v11, v3
	v_cndmask_b32_e32 v7, v17, v7, vcc_lo
	s_delay_alu instid0(VALU_DEP_2) | instskip(NEXT) | instid1(VALU_DEP_1)
	v_and_b32_e32 v3, 3, v3
	v_cndmask_b32_e32 v3, v5, v3, vcc_lo
	s_delay_alu instid0(VALU_DEP_3) | instskip(NEXT) | instid1(VALU_DEP_2)
	v_lshl_add_u32 v5, v7, 23, 0x37800000
	v_lshlrev_b32_e32 v3, 21, v3
	s_delay_alu instid0(VALU_DEP_1) | instskip(NEXT) | instid1(VALU_DEP_1)
	v_or3_b32 v1, v1, v5, v3
	v_trunc_f32_e32 v1, v1
	s_delay_alu instid0(VALU_DEP_1) | instskip(NEXT) | instid1(VALU_DEP_1)
	v_mul_f32_e32 v3, 0x2f800000, v1
	v_floor_f32_e32 v3, v3
	s_delay_alu instid0(VALU_DEP_1) | instskip(SKIP_1) | instid1(VALU_DEP_2)
	v_fmamk_f32 v1, v3, 0xcf800000, v1
	v_cvt_u32_f32_e32 v21, v3
	v_cvt_u32_f32_e32 v20, v1
.LBB364_2155:
	s_or_b32 exec_lo, exec_lo, s14
	s_mov_b32 s14, 0
	s_branch .LBB364_2161
.LBB364_2156:
	s_mov_b32 s14, -1
                                        ; implicit-def: $vgpr20_vgpr21
	s_branch .LBB364_2167
.LBB364_2157:
	s_and_not1_saveexec_b32 s15, s15
	s_cbranch_execz .LBB364_2142
.LBB364_2158:
	v_cmp_ne_u16_e32 vcc_lo, 0, v1
	s_and_not1_b32 s16, s16, exec_lo
	s_and_b32 s17, vcc_lo, exec_lo
	s_delay_alu instid0(SALU_CYCLE_1)
	s_or_b32 s16, s16, s17
	s_or_b32 exec_lo, exec_lo, s15
	v_mov_b64_e32 v[20:21], 0
	s_and_saveexec_b32 s15, s16
	s_cbranch_execnz .LBB364_2143
	s_branch .LBB364_2144
.LBB364_2159:
	s_mov_b32 s14, -1
                                        ; implicit-def: $vgpr20_vgpr21
	s_branch .LBB364_2164
.LBB364_2160:
	s_mov_b32 s14, -1
                                        ; implicit-def: $vgpr20_vgpr21
.LBB364_2161:
	s_delay_alu instid0(SALU_CYCLE_1)
	s_and_b32 vcc_lo, exec_lo, s14
	s_cbranch_vccz .LBB364_2163
; %bb.2162:
	global_load_u8 v1, v[24:25], off
	s_wait_loadcnt 0x0
	v_lshlrev_b32_e32 v1, 24, v1
	s_delay_alu instid0(VALU_DEP_1) | instskip(NEXT) | instid1(VALU_DEP_1)
	v_and_b32_e32 v3, 0x7f000000, v1
	v_clz_i32_u32_e32 v5, v3
	v_add_nc_u32_e32 v11, 0x1000000, v3
	v_cmp_ne_u32_e32 vcc_lo, 0, v3
	s_delay_alu instid0(VALU_DEP_3) | instskip(NEXT) | instid1(VALU_DEP_1)
	v_min_u32_e32 v5, 32, v5
	v_sub_nc_u32_e64 v5, v5, 4 clamp
	s_delay_alu instid0(VALU_DEP_1) | instskip(NEXT) | instid1(VALU_DEP_1)
	v_dual_lshlrev_b32 v7, v5, v3 :: v_dual_lshlrev_b32 v5, 23, v5
	v_lshrrev_b32_e32 v7, 4, v7
	s_delay_alu instid0(VALU_DEP_1) | instskip(NEXT) | instid1(VALU_DEP_1)
	v_dual_sub_nc_u32 v5, v7, v5 :: v_dual_ashrrev_i32 v7, 8, v11
	v_add_nc_u32_e32 v5, 0x3c000000, v5
	s_delay_alu instid0(VALU_DEP_1) | instskip(NEXT) | instid1(VALU_DEP_1)
	v_and_or_b32 v5, 0x7f800000, v7, v5
	v_cndmask_b32_e32 v3, 0, v5, vcc_lo
	s_delay_alu instid0(VALU_DEP_1) | instskip(NEXT) | instid1(VALU_DEP_1)
	v_and_or_b32 v1, 0x80000000, v1, v3
	v_trunc_f32_e32 v1, v1
	s_delay_alu instid0(VALU_DEP_1) | instskip(NEXT) | instid1(VALU_DEP_1)
	v_mul_f32_e32 v3, 0x2f800000, v1
	v_floor_f32_e32 v3, v3
	s_delay_alu instid0(VALU_DEP_1) | instskip(SKIP_1) | instid1(VALU_DEP_2)
	v_fmamk_f32 v1, v3, 0xcf800000, v1
	v_cvt_u32_f32_e32 v21, v3
	v_cvt_u32_f32_e32 v20, v1
.LBB364_2163:
	s_mov_b32 s14, 0
.LBB364_2164:
	s_delay_alu instid0(SALU_CYCLE_1)
	s_and_not1_b32 vcc_lo, exec_lo, s14
	s_cbranch_vccnz .LBB364_2166
; %bb.2165:
	global_load_u8 v1, v[24:25], off
	s_wait_loadcnt 0x0
	v_lshlrev_b32_e32 v3, 25, v1
	v_lshlrev_b16 v1, 8, v1
	s_delay_alu instid0(VALU_DEP_1) | instskip(SKIP_1) | instid1(VALU_DEP_2)
	v_and_or_b32 v7, 0x7f00, v1, 0.5
	v_bfe_i32 v1, v1, 0, 16
	v_add_f32_e32 v7, -0.5, v7
	v_lshrrev_b32_e32 v5, 4, v3
	v_cmp_gt_u32_e32 vcc_lo, 0x8000000, v3
	s_delay_alu instid0(VALU_DEP_2) | instskip(NEXT) | instid1(VALU_DEP_1)
	v_or_b32_e32 v5, 0x70000000, v5
	v_mul_f32_e32 v5, 0x7800000, v5
	s_delay_alu instid0(VALU_DEP_1) | instskip(NEXT) | instid1(VALU_DEP_1)
	v_cndmask_b32_e32 v3, v5, v7, vcc_lo
	v_and_or_b32 v1, 0x80000000, v1, v3
	s_delay_alu instid0(VALU_DEP_1) | instskip(NEXT) | instid1(VALU_DEP_1)
	v_trunc_f32_e32 v1, v1
	v_mul_f32_e32 v3, 0x2f800000, v1
	s_delay_alu instid0(VALU_DEP_1) | instskip(NEXT) | instid1(VALU_DEP_1)
	v_floor_f32_e32 v3, v3
	v_fmamk_f32 v1, v3, 0xcf800000, v1
	v_cvt_u32_f32_e32 v21, v3
	s_delay_alu instid0(VALU_DEP_2)
	v_cvt_u32_f32_e32 v20, v1
.LBB364_2166:
	s_mov_b32 s14, 0
	s_mov_b32 s15, -1
.LBB364_2167:
	s_and_not1_b32 vcc_lo, exec_lo, s14
	s_mov_b32 s14, 0
	s_cbranch_vccnz .LBB364_2178
; %bb.2168:
	s_cmp_gt_i32 s11, 14
	s_cbranch_scc0 .LBB364_2171
; %bb.2169:
	s_cmp_eq_u32 s11, 15
	s_cbranch_scc0 .LBB364_2174
; %bb.2170:
	global_load_u16 v1, v[24:25], off
	s_mov_b32 s13, 0
	s_mov_b32 s15, -1
	s_wait_loadcnt 0x0
	v_lshlrev_b32_e32 v1, 16, v1
	s_delay_alu instid0(VALU_DEP_1) | instskip(NEXT) | instid1(VALU_DEP_1)
	v_trunc_f32_e32 v1, v1
	v_mul_f32_e32 v3, 0x2f800000, v1
	s_delay_alu instid0(VALU_DEP_1) | instskip(NEXT) | instid1(VALU_DEP_1)
	v_floor_f32_e32 v3, v3
	v_fmamk_f32 v1, v3, 0xcf800000, v1
	v_cvt_u32_f32_e32 v21, v3
	s_delay_alu instid0(VALU_DEP_2)
	v_cvt_u32_f32_e32 v20, v1
	s_branch .LBB364_2176
.LBB364_2171:
	s_mov_b32 s14, -1
	s_branch .LBB364_2175
.LBB364_2172:
	s_and_not1_saveexec_b32 s14, s14
	s_cbranch_execz .LBB364_2153
.LBB364_2173:
	v_cmp_ne_u16_e32 vcc_lo, 0, v1
	s_and_not1_b32 s15, s15, exec_lo
	s_and_b32 s16, vcc_lo, exec_lo
	s_delay_alu instid0(SALU_CYCLE_1)
	s_or_b32 s15, s15, s16
	s_or_b32 exec_lo, exec_lo, s14
	v_mov_b64_e32 v[20:21], 0
	s_and_saveexec_b32 s14, s15
	s_cbranch_execnz .LBB364_2154
	s_branch .LBB364_2155
.LBB364_2174:
	s_mov_b32 s13, -1
.LBB364_2175:
                                        ; implicit-def: $vgpr20_vgpr21
.LBB364_2176:
	s_and_b32 vcc_lo, exec_lo, s14
	s_mov_b32 s14, 0
	s_cbranch_vccz .LBB364_2178
; %bb.2177:
	s_cmp_lg_u32 s11, 11
	s_mov_b32 s14, -1
	s_cselect_b32 s13, -1, 0
.LBB364_2178:
	s_delay_alu instid0(SALU_CYCLE_1)
	s_and_b32 vcc_lo, exec_lo, s13
	s_cbranch_vccnz .LBB364_2243
; %bb.2179:
	s_and_not1_b32 vcc_lo, exec_lo, s14
	s_cbranch_vccnz .LBB364_2181
.LBB364_2180:
	global_load_u8 v1, v[24:25], off
	s_mov_b32 s13, 0
	s_mov_b32 s15, -1
	s_wait_loadcnt 0x1
	v_mov_b32_e32 v21, s13
	s_wait_loadcnt 0x0
	v_cmp_ne_u16_e32 vcc_lo, 0, v1
	v_cndmask_b32_e64 v20, 0, 1, vcc_lo
.LBB364_2181:
	s_mov_b32 s13, 0
.LBB364_2182:
	s_delay_alu instid0(SALU_CYCLE_1)
	s_and_b32 vcc_lo, exec_lo, s13
	s_cbranch_vccz .LBB364_2231
; %bb.2183:
	s_cmp_lt_i32 s11, 5
	s_cbranch_scc1 .LBB364_2188
; %bb.2184:
	s_cmp_lt_i32 s11, 8
	s_cbranch_scc1 .LBB364_2189
	;; [unrolled: 3-line block ×3, first 2 shown]
; %bb.2186:
	s_cmp_gt_i32 s11, 9
	s_cbranch_scc0 .LBB364_2191
; %bb.2187:
	s_wait_loadcnt 0x0
	global_load_b64 v[20:21], v[24:25], off
	s_mov_b32 s13, 0
	s_wait_loadcnt 0x0
	v_trunc_f64_e32 v[20:21], v[20:21]
	s_delay_alu instid0(VALU_DEP_1) | instskip(NEXT) | instid1(VALU_DEP_1)
	v_ldexp_f64 v[26:27], v[20:21], 0xffffffe0
	v_floor_f64_e32 v[26:27], v[26:27]
	s_delay_alu instid0(VALU_DEP_1) | instskip(SKIP_1) | instid1(VALU_DEP_2)
	v_fmamk_f64 v[28:29], v[26:27], 0xc1f00000, v[20:21]
	v_cvt_u32_f64_e32 v21, v[26:27]
	v_cvt_u32_f64_e32 v20, v[28:29]
	s_branch .LBB364_2192
.LBB364_2188:
	s_mov_b32 s13, -1
                                        ; implicit-def: $vgpr20_vgpr21
	s_branch .LBB364_2210
.LBB364_2189:
	s_mov_b32 s13, -1
                                        ; implicit-def: $vgpr20_vgpr21
	s_branch .LBB364_2198
.LBB364_2190:
	s_mov_b32 s13, -1
                                        ; implicit-def: $vgpr20_vgpr21
	s_branch .LBB364_2195
.LBB364_2191:
	s_mov_b32 s13, -1
                                        ; implicit-def: $vgpr20_vgpr21
.LBB364_2192:
	s_delay_alu instid0(SALU_CYCLE_1)
	s_and_not1_b32 vcc_lo, exec_lo, s13
	s_cbranch_vccnz .LBB364_2194
; %bb.2193:
	global_load_b32 v1, v[24:25], off
	s_wait_loadcnt 0x0
	v_trunc_f32_e32 v1, v1
	s_delay_alu instid0(VALU_DEP_1) | instskip(NEXT) | instid1(VALU_DEP_1)
	v_mul_f32_e32 v3, 0x2f800000, v1
	v_floor_f32_e32 v3, v3
	s_delay_alu instid0(VALU_DEP_1) | instskip(SKIP_1) | instid1(VALU_DEP_2)
	v_fmamk_f32 v1, v3, 0xcf800000, v1
	v_cvt_u32_f32_e32 v21, v3
	v_cvt_u32_f32_e32 v20, v1
.LBB364_2194:
	s_mov_b32 s13, 0
.LBB364_2195:
	s_delay_alu instid0(SALU_CYCLE_1)
	s_and_not1_b32 vcc_lo, exec_lo, s13
	s_cbranch_vccnz .LBB364_2197
; %bb.2196:
	global_load_b32 v1, v[24:25], off
	s_wait_loadcnt 0x1
	v_mov_b32_e32 v21, 0
	s_wait_loadcnt 0x0
	v_cvt_f32_f16_e32 v1, v1
	s_delay_alu instid0(VALU_DEP_1)
	v_cvt_u32_f32_e32 v20, v1
.LBB364_2197:
	s_mov_b32 s13, 0
.LBB364_2198:
	s_delay_alu instid0(SALU_CYCLE_1)
	s_and_not1_b32 vcc_lo, exec_lo, s13
	s_cbranch_vccnz .LBB364_2209
; %bb.2199:
	s_cmp_lt_i32 s11, 6
	s_cbranch_scc1 .LBB364_2202
; %bb.2200:
	s_cmp_gt_i32 s11, 6
	s_cbranch_scc0 .LBB364_2203
; %bb.2201:
	s_wait_loadcnt 0x0
	global_load_b64 v[20:21], v[24:25], off
	s_mov_b32 s13, 0
	s_wait_loadcnt 0x0
	v_trunc_f64_e32 v[20:21], v[20:21]
	s_delay_alu instid0(VALU_DEP_1) | instskip(NEXT) | instid1(VALU_DEP_1)
	v_ldexp_f64 v[26:27], v[20:21], 0xffffffe0
	v_floor_f64_e32 v[26:27], v[26:27]
	s_delay_alu instid0(VALU_DEP_1) | instskip(SKIP_1) | instid1(VALU_DEP_2)
	v_fmamk_f64 v[28:29], v[26:27], 0xc1f00000, v[20:21]
	v_cvt_u32_f64_e32 v21, v[26:27]
	v_cvt_u32_f64_e32 v20, v[28:29]
	s_branch .LBB364_2204
.LBB364_2202:
	s_mov_b32 s13, -1
                                        ; implicit-def: $vgpr20_vgpr21
	s_branch .LBB364_2207
.LBB364_2203:
	s_mov_b32 s13, -1
                                        ; implicit-def: $vgpr20_vgpr21
.LBB364_2204:
	s_delay_alu instid0(SALU_CYCLE_1)
	s_and_not1_b32 vcc_lo, exec_lo, s13
	s_cbranch_vccnz .LBB364_2206
; %bb.2205:
	global_load_b32 v1, v[24:25], off
	s_wait_loadcnt 0x0
	v_trunc_f32_e32 v1, v1
	s_delay_alu instid0(VALU_DEP_1) | instskip(NEXT) | instid1(VALU_DEP_1)
	v_mul_f32_e32 v3, 0x2f800000, v1
	v_floor_f32_e32 v3, v3
	s_delay_alu instid0(VALU_DEP_1) | instskip(SKIP_1) | instid1(VALU_DEP_2)
	v_fmamk_f32 v1, v3, 0xcf800000, v1
	v_cvt_u32_f32_e32 v21, v3
	v_cvt_u32_f32_e32 v20, v1
.LBB364_2206:
	s_mov_b32 s13, 0
.LBB364_2207:
	s_delay_alu instid0(SALU_CYCLE_1)
	s_and_not1_b32 vcc_lo, exec_lo, s13
	s_cbranch_vccnz .LBB364_2209
; %bb.2208:
	global_load_u16 v1, v[24:25], off
	s_wait_loadcnt 0x1
	v_mov_b32_e32 v21, 0
	s_wait_loadcnt 0x0
	v_cvt_f32_f16_e32 v1, v1
	s_delay_alu instid0(VALU_DEP_1)
	v_cvt_u32_f32_e32 v20, v1
.LBB364_2209:
	s_mov_b32 s13, 0
.LBB364_2210:
	s_delay_alu instid0(SALU_CYCLE_1)
	s_and_not1_b32 vcc_lo, exec_lo, s13
	s_cbranch_vccnz .LBB364_2230
; %bb.2211:
	s_cmp_lt_i32 s11, 2
	s_cbranch_scc1 .LBB364_2215
; %bb.2212:
	s_cmp_lt_i32 s11, 3
	s_cbranch_scc1 .LBB364_2216
; %bb.2213:
	s_cmp_gt_i32 s11, 3
	s_cbranch_scc0 .LBB364_2217
; %bb.2214:
	s_wait_loadcnt 0x0
	global_load_b64 v[20:21], v[24:25], off
	s_mov_b32 s13, 0
	s_branch .LBB364_2218
.LBB364_2215:
	s_mov_b32 s13, -1
                                        ; implicit-def: $vgpr20_vgpr21
	s_branch .LBB364_2224
.LBB364_2216:
	s_mov_b32 s13, -1
                                        ; implicit-def: $vgpr20_vgpr21
	s_branch .LBB364_2221
.LBB364_2217:
	s_mov_b32 s13, -1
                                        ; implicit-def: $vgpr20_vgpr21
.LBB364_2218:
	s_delay_alu instid0(SALU_CYCLE_1)
	s_and_not1_b32 vcc_lo, exec_lo, s13
	s_cbranch_vccnz .LBB364_2220
; %bb.2219:
	s_wait_loadcnt 0x0
	global_load_b32 v20, v[24:25], off
	s_wait_loadcnt 0x0
	v_ashrrev_i32_e32 v21, 31, v20
.LBB364_2220:
	s_mov_b32 s13, 0
.LBB364_2221:
	s_delay_alu instid0(SALU_CYCLE_1)
	s_and_not1_b32 vcc_lo, exec_lo, s13
	s_cbranch_vccnz .LBB364_2223
; %bb.2222:
	global_load_u16 v1, v[24:25], off
	s_wait_loadcnt 0x0
	v_bfe_i32 v20, v1, 0, 16
	s_delay_alu instid0(VALU_DEP_1)
	v_ashrrev_i32_e32 v21, 31, v20
.LBB364_2223:
	s_mov_b32 s13, 0
.LBB364_2224:
	s_delay_alu instid0(SALU_CYCLE_1)
	s_and_not1_b32 vcc_lo, exec_lo, s13
	s_cbranch_vccnz .LBB364_2230
; %bb.2225:
	s_cmp_gt_i32 s11, 0
	s_mov_b32 s13, 0
	s_cbranch_scc0 .LBB364_2227
; %bb.2226:
	global_load_i8 v1, v[24:25], off
	s_wait_loadcnt 0x0
	v_bfe_i32 v20, v1, 0, 16
	s_delay_alu instid0(VALU_DEP_1)
	v_ashrrev_i32_e32 v21, 31, v20
	s_branch .LBB364_2228
.LBB364_2227:
	s_mov_b32 s13, -1
                                        ; implicit-def: $vgpr20_vgpr21
.LBB364_2228:
	s_delay_alu instid0(SALU_CYCLE_1)
	s_and_not1_b32 vcc_lo, exec_lo, s13
	s_cbranch_vccnz .LBB364_2230
; %bb.2229:
	global_load_u8 v1, v[24:25], off
	s_mov_b32 s13, 0
	s_wait_loadcnt 0x1
	v_mov_b32_e32 v21, s13
	s_wait_loadcnt 0x0
	v_and_b32_e32 v20, 0xffff, v1
.LBB364_2230:
	s_mov_b32 s15, -1
.LBB364_2231:
	s_delay_alu instid0(SALU_CYCLE_1)
	s_and_not1_b32 vcc_lo, exec_lo, s15
	s_cbranch_vccnz .LBB364_3047
; %bb.2232:
	v_mov_b32_e32 v23, 0
	s_cmp_lt_i32 s12, 11
	s_wait_xcnt 0x0
	s_delay_alu instid0(VALU_DEP_1)
	v_add_nc_u64_e32 v[24:25], s[0:1], v[22:23]
	s_cbranch_scc1 .LBB364_2239
; %bb.2233:
	s_cmp_gt_i32 s12, 25
	s_mov_b32 s14, 0
	s_cbranch_scc0 .LBB364_2240
; %bb.2234:
	s_cmp_gt_i32 s12, 28
	s_cbranch_scc0 .LBB364_2241
; %bb.2235:
	s_cmp_gt_i32 s12, 43
	;; [unrolled: 3-line block ×3, first 2 shown]
	s_cbranch_scc0 .LBB364_2244
; %bb.2237:
	s_cmp_eq_u32 s12, 46
	s_mov_b32 s16, 0
	s_cbranch_scc0 .LBB364_2247
; %bb.2238:
	global_load_b32 v1, v[24:25], off
	s_mov_b32 s13, 0
	s_mov_b32 s15, -1
	s_wait_loadcnt 0x0
	v_lshlrev_b32_e32 v1, 16, v1
	s_delay_alu instid0(VALU_DEP_1) | instskip(NEXT) | instid1(VALU_DEP_1)
	v_trunc_f32_e32 v1, v1
	v_mul_f32_e32 v3, 0x2f800000, v1
	s_delay_alu instid0(VALU_DEP_1) | instskip(NEXT) | instid1(VALU_DEP_1)
	v_floor_f32_e32 v3, v3
	v_fmamk_f32 v1, v3, 0xcf800000, v1
	v_cvt_u32_f32_e32 v23, v3
	s_delay_alu instid0(VALU_DEP_2)
	v_cvt_u32_f32_e32 v22, v1
	s_branch .LBB364_2249
.LBB364_2239:
	s_mov_b32 s13, -1
	s_mov_b32 s15, 0
                                        ; implicit-def: $vgpr22_vgpr23
	s_branch .LBB364_2311
.LBB364_2240:
	s_mov_b32 s16, -1
	s_mov_b32 s15, 0
	s_mov_b32 s13, 0
                                        ; implicit-def: $vgpr22_vgpr23
	s_branch .LBB364_2276
.LBB364_2241:
	s_mov_b32 s16, -1
	s_mov_b32 s15, 0
	s_mov_b32 s13, 0
                                        ; implicit-def: $vgpr22_vgpr23
	s_branch .LBB364_2259
.LBB364_2242:
	s_mov_b32 s16, -1
	s_mov_b32 s15, 0
	s_mov_b32 s13, 0
                                        ; implicit-def: $vgpr22_vgpr23
	s_branch .LBB364_2254
.LBB364_2243:
	s_or_b32 s10, s10, exec_lo
	s_trap 2
	s_cbranch_execz .LBB364_2180
	s_branch .LBB364_2181
.LBB364_2244:
	s_mov_b32 s16, -1
	s_mov_b32 s15, 0
	s_mov_b32 s13, 0
	s_branch .LBB364_2248
.LBB364_2245:
	s_and_not1_saveexec_b32 s53, s53
	s_cbranch_execz .LBB364_1097
.LBB364_2246:
	v_add_f32_e32 v1, 0x42800000, v4
	s_and_not1_b32 s52, s52, exec_lo
	s_delay_alu instid0(VALU_DEP_1) | instskip(NEXT) | instid1(VALU_DEP_1)
	v_and_b32_e32 v1, 0xff, v1
	v_cmp_ne_u32_e32 vcc_lo, 0, v1
	s_and_b32 s54, vcc_lo, exec_lo
	s_delay_alu instid0(SALU_CYCLE_1)
	s_or_b32 s52, s52, s54
	s_or_b32 exec_lo, exec_lo, s53
	v_mov_b32_e32 v5, 0
	s_and_saveexec_b32 s53, s52
	s_cbranch_execnz .LBB364_1098
	s_branch .LBB364_1099
.LBB364_2247:
	s_mov_b32 s13, -1
	s_mov_b32 s15, 0
.LBB364_2248:
                                        ; implicit-def: $vgpr22_vgpr23
.LBB364_2249:
	s_and_b32 vcc_lo, exec_lo, s16
	s_cbranch_vccz .LBB364_2253
; %bb.2250:
	s_cmp_eq_u32 s12, 44
	s_cbranch_scc0 .LBB364_2252
; %bb.2251:
	global_load_u8 v1, v[24:25], off
	s_mov_b32 s13, 0
	s_mov_b32 s15, -1
	s_wait_loadcnt 0x0
	v_lshlrev_b32_e32 v3, 23, v1
	v_cmp_ne_u32_e32 vcc_lo, 0, v1
	s_delay_alu instid0(VALU_DEP_2) | instskip(NEXT) | instid1(VALU_DEP_1)
	v_trunc_f32_e32 v3, v3
	v_mul_f32_e32 v5, 0x2f800000, v3
	s_delay_alu instid0(VALU_DEP_1) | instskip(NEXT) | instid1(VALU_DEP_1)
	v_floor_f32_e32 v5, v5
	v_fmamk_f32 v3, v5, 0xcf800000, v3
	v_cvt_u32_f32_e32 v5, v5
	s_delay_alu instid0(VALU_DEP_2) | instskip(NEXT) | instid1(VALU_DEP_1)
	v_cvt_u32_f32_e32 v3, v3
	v_dual_cndmask_b32 v23, 0, v5 :: v_dual_cndmask_b32 v22, 0, v3
	s_branch .LBB364_2253
.LBB364_2252:
	s_mov_b32 s13, -1
                                        ; implicit-def: $vgpr22_vgpr23
.LBB364_2253:
	s_mov_b32 s16, 0
.LBB364_2254:
	s_delay_alu instid0(SALU_CYCLE_1)
	s_and_b32 vcc_lo, exec_lo, s16
	s_cbranch_vccz .LBB364_2258
; %bb.2255:
	s_cmp_eq_u32 s12, 29
	s_cbranch_scc0 .LBB364_2257
; %bb.2256:
	global_load_b64 v[22:23], v[24:25], off
	s_mov_b32 s13, 0
	s_mov_b32 s15, -1
	s_branch .LBB364_2258
.LBB364_2257:
	s_mov_b32 s13, -1
                                        ; implicit-def: $vgpr22_vgpr23
.LBB364_2258:
	s_mov_b32 s16, 0
.LBB364_2259:
	s_delay_alu instid0(SALU_CYCLE_1)
	s_and_b32 vcc_lo, exec_lo, s16
	s_cbranch_vccz .LBB364_2275
; %bb.2260:
	s_cmp_lt_i32 s12, 27
	s_cbranch_scc1 .LBB364_2263
; %bb.2261:
	s_cmp_gt_i32 s12, 27
	s_cbranch_scc0 .LBB364_2264
; %bb.2262:
	s_wait_loadcnt 0x0
	global_load_b32 v22, v[24:25], off
	v_mov_b32_e32 v23, 0
	s_mov_b32 s15, 0
	s_branch .LBB364_2265
.LBB364_2263:
	s_mov_b32 s15, -1
                                        ; implicit-def: $vgpr22_vgpr23
	s_branch .LBB364_2268
.LBB364_2264:
	s_mov_b32 s15, -1
                                        ; implicit-def: $vgpr22_vgpr23
.LBB364_2265:
	s_delay_alu instid0(SALU_CYCLE_1)
	s_and_not1_b32 vcc_lo, exec_lo, s15
	s_cbranch_vccnz .LBB364_2267
; %bb.2266:
	global_load_u16 v1, v[24:25], off
	s_mov_b32 s15, 0
	s_wait_loadcnt 0x1
	v_mov_b32_e32 v23, s15
	s_wait_loadcnt 0x0
	v_and_b32_e32 v22, 0xffff, v1
.LBB364_2267:
	s_mov_b32 s15, 0
.LBB364_2268:
	s_delay_alu instid0(SALU_CYCLE_1)
	s_and_not1_b32 vcc_lo, exec_lo, s15
	s_cbranch_vccnz .LBB364_2274
; %bb.2269:
	global_load_u8 v1, v[24:25], off
	s_mov_b32 s16, 0
	s_mov_b32 s15, exec_lo
	s_wait_loadcnt 0x0
	v_cmpx_lt_i16_e32 0x7f, v1
	s_xor_b32 s15, exec_lo, s15
	s_cbranch_execz .LBB364_2286
; %bb.2270:
	v_cmp_ne_u16_e32 vcc_lo, 0x80, v1
	s_and_b32 s16, vcc_lo, exec_lo
	s_and_not1_saveexec_b32 s15, s15
	s_cbranch_execnz .LBB364_2287
.LBB364_2271:
	s_or_b32 exec_lo, exec_lo, s15
	v_mov_b64_e32 v[22:23], 0
	s_and_saveexec_b32 s15, s16
	s_cbranch_execz .LBB364_2273
.LBB364_2272:
	v_and_b32_e32 v3, 0xffff, v1
	s_delay_alu instid0(VALU_DEP_1) | instskip(SKIP_1) | instid1(VALU_DEP_2)
	v_dual_lshlrev_b32 v1, 24, v1 :: v_dual_bitop2_b32 v5, 7, v3 bitop3:0x40
	v_bfe_u32 v17, v3, 3, 4
	v_and_b32_e32 v1, 0x80000000, v1
	s_delay_alu instid0(VALU_DEP_3) | instskip(NEXT) | instid1(VALU_DEP_3)
	v_clz_i32_u32_e32 v7, v5
	v_cmp_eq_u32_e32 vcc_lo, 0, v17
	s_delay_alu instid0(VALU_DEP_2) | instskip(NEXT) | instid1(VALU_DEP_1)
	v_min_u32_e32 v7, 32, v7
	v_subrev_nc_u32_e32 v11, 28, v7
	v_sub_nc_u32_e32 v7, 29, v7
	s_delay_alu instid0(VALU_DEP_2) | instskip(NEXT) | instid1(VALU_DEP_2)
	v_lshlrev_b32_e32 v3, v11, v3
	v_cndmask_b32_e32 v7, v17, v7, vcc_lo
	s_delay_alu instid0(VALU_DEP_2) | instskip(NEXT) | instid1(VALU_DEP_1)
	v_and_b32_e32 v3, 7, v3
	v_cndmask_b32_e32 v3, v5, v3, vcc_lo
	s_delay_alu instid0(VALU_DEP_3) | instskip(NEXT) | instid1(VALU_DEP_2)
	v_lshl_add_u32 v5, v7, 23, 0x3b800000
	v_lshlrev_b32_e32 v3, 20, v3
	s_delay_alu instid0(VALU_DEP_1) | instskip(NEXT) | instid1(VALU_DEP_1)
	v_or3_b32 v1, v1, v5, v3
	v_trunc_f32_e32 v1, v1
	s_delay_alu instid0(VALU_DEP_1) | instskip(NEXT) | instid1(VALU_DEP_1)
	v_mul_f32_e32 v3, 0x2f800000, v1
	v_floor_f32_e32 v3, v3
	s_delay_alu instid0(VALU_DEP_1) | instskip(SKIP_1) | instid1(VALU_DEP_2)
	v_fmamk_f32 v1, v3, 0xcf800000, v1
	v_cvt_u32_f32_e32 v23, v3
	v_cvt_u32_f32_e32 v22, v1
.LBB364_2273:
	s_or_b32 exec_lo, exec_lo, s15
.LBB364_2274:
	s_mov_b32 s15, -1
.LBB364_2275:
	s_mov_b32 s16, 0
.LBB364_2276:
	s_delay_alu instid0(SALU_CYCLE_1)
	s_and_b32 vcc_lo, exec_lo, s16
	s_cbranch_vccz .LBB364_2307
; %bb.2277:
	s_cmp_gt_i32 s12, 22
	s_cbranch_scc0 .LBB364_2285
; %bb.2278:
	s_cmp_lt_i32 s12, 24
	s_cbranch_scc1 .LBB364_2288
; %bb.2279:
	s_cmp_gt_i32 s12, 24
	s_cbranch_scc0 .LBB364_2289
; %bb.2280:
	global_load_u8 v1, v[24:25], off
	s_mov_b32 s15, 0
	s_mov_b32 s14, exec_lo
	s_wait_loadcnt 0x0
	v_cmpx_lt_i16_e32 0x7f, v1
	s_xor_b32 s14, exec_lo, s14
	s_cbranch_execz .LBB364_2301
; %bb.2281:
	v_cmp_ne_u16_e32 vcc_lo, 0x80, v1
	s_and_b32 s15, vcc_lo, exec_lo
	s_and_not1_saveexec_b32 s14, s14
	s_cbranch_execnz .LBB364_2302
.LBB364_2282:
	s_or_b32 exec_lo, exec_lo, s14
	v_mov_b64_e32 v[22:23], 0
	s_and_saveexec_b32 s14, s15
	s_cbranch_execz .LBB364_2284
.LBB364_2283:
	v_and_b32_e32 v3, 0xffff, v1
	s_delay_alu instid0(VALU_DEP_1) | instskip(SKIP_1) | instid1(VALU_DEP_2)
	v_dual_lshlrev_b32 v1, 24, v1 :: v_dual_bitop2_b32 v5, 3, v3 bitop3:0x40
	v_bfe_u32 v17, v3, 2, 5
	v_and_b32_e32 v1, 0x80000000, v1
	s_delay_alu instid0(VALU_DEP_3) | instskip(NEXT) | instid1(VALU_DEP_3)
	v_clz_i32_u32_e32 v7, v5
	v_cmp_eq_u32_e32 vcc_lo, 0, v17
	s_delay_alu instid0(VALU_DEP_2) | instskip(NEXT) | instid1(VALU_DEP_1)
	v_min_u32_e32 v7, 32, v7
	v_subrev_nc_u32_e32 v11, 29, v7
	v_sub_nc_u32_e32 v7, 30, v7
	s_delay_alu instid0(VALU_DEP_2) | instskip(NEXT) | instid1(VALU_DEP_2)
	v_lshlrev_b32_e32 v3, v11, v3
	v_cndmask_b32_e32 v7, v17, v7, vcc_lo
	s_delay_alu instid0(VALU_DEP_2) | instskip(NEXT) | instid1(VALU_DEP_1)
	v_and_b32_e32 v3, 3, v3
	v_cndmask_b32_e32 v3, v5, v3, vcc_lo
	s_delay_alu instid0(VALU_DEP_3) | instskip(NEXT) | instid1(VALU_DEP_2)
	v_lshl_add_u32 v5, v7, 23, 0x37800000
	v_lshlrev_b32_e32 v3, 21, v3
	s_delay_alu instid0(VALU_DEP_1) | instskip(NEXT) | instid1(VALU_DEP_1)
	v_or3_b32 v1, v1, v5, v3
	v_trunc_f32_e32 v1, v1
	s_delay_alu instid0(VALU_DEP_1) | instskip(NEXT) | instid1(VALU_DEP_1)
	v_mul_f32_e32 v3, 0x2f800000, v1
	v_floor_f32_e32 v3, v3
	s_delay_alu instid0(VALU_DEP_1) | instskip(SKIP_1) | instid1(VALU_DEP_2)
	v_fmamk_f32 v1, v3, 0xcf800000, v1
	v_cvt_u32_f32_e32 v23, v3
	v_cvt_u32_f32_e32 v22, v1
.LBB364_2284:
	s_or_b32 exec_lo, exec_lo, s14
	s_mov_b32 s14, 0
	s_branch .LBB364_2290
.LBB364_2285:
	s_mov_b32 s14, -1
                                        ; implicit-def: $vgpr22_vgpr23
	s_branch .LBB364_2296
.LBB364_2286:
	s_and_not1_saveexec_b32 s15, s15
	s_cbranch_execz .LBB364_2271
.LBB364_2287:
	v_cmp_ne_u16_e32 vcc_lo, 0, v1
	s_and_not1_b32 s16, s16, exec_lo
	s_and_b32 s17, vcc_lo, exec_lo
	s_delay_alu instid0(SALU_CYCLE_1)
	s_or_b32 s16, s16, s17
	s_or_b32 exec_lo, exec_lo, s15
	v_mov_b64_e32 v[22:23], 0
	s_and_saveexec_b32 s15, s16
	s_cbranch_execnz .LBB364_2272
	s_branch .LBB364_2273
.LBB364_2288:
	s_mov_b32 s14, -1
                                        ; implicit-def: $vgpr22_vgpr23
	s_branch .LBB364_2293
.LBB364_2289:
	s_mov_b32 s14, -1
                                        ; implicit-def: $vgpr22_vgpr23
.LBB364_2290:
	s_delay_alu instid0(SALU_CYCLE_1)
	s_and_b32 vcc_lo, exec_lo, s14
	s_cbranch_vccz .LBB364_2292
; %bb.2291:
	global_load_u8 v1, v[24:25], off
	s_wait_loadcnt 0x0
	v_lshlrev_b32_e32 v1, 24, v1
	s_delay_alu instid0(VALU_DEP_1) | instskip(NEXT) | instid1(VALU_DEP_1)
	v_and_b32_e32 v3, 0x7f000000, v1
	v_clz_i32_u32_e32 v5, v3
	v_add_nc_u32_e32 v11, 0x1000000, v3
	v_cmp_ne_u32_e32 vcc_lo, 0, v3
	s_delay_alu instid0(VALU_DEP_3) | instskip(NEXT) | instid1(VALU_DEP_1)
	v_min_u32_e32 v5, 32, v5
	v_sub_nc_u32_e64 v5, v5, 4 clamp
	s_delay_alu instid0(VALU_DEP_1) | instskip(NEXT) | instid1(VALU_DEP_1)
	v_dual_lshlrev_b32 v7, v5, v3 :: v_dual_lshlrev_b32 v5, 23, v5
	v_lshrrev_b32_e32 v7, 4, v7
	s_delay_alu instid0(VALU_DEP_1) | instskip(NEXT) | instid1(VALU_DEP_1)
	v_dual_sub_nc_u32 v5, v7, v5 :: v_dual_ashrrev_i32 v7, 8, v11
	v_add_nc_u32_e32 v5, 0x3c000000, v5
	s_delay_alu instid0(VALU_DEP_1) | instskip(NEXT) | instid1(VALU_DEP_1)
	v_and_or_b32 v5, 0x7f800000, v7, v5
	v_cndmask_b32_e32 v3, 0, v5, vcc_lo
	s_delay_alu instid0(VALU_DEP_1) | instskip(NEXT) | instid1(VALU_DEP_1)
	v_and_or_b32 v1, 0x80000000, v1, v3
	v_trunc_f32_e32 v1, v1
	s_delay_alu instid0(VALU_DEP_1) | instskip(NEXT) | instid1(VALU_DEP_1)
	v_mul_f32_e32 v3, 0x2f800000, v1
	v_floor_f32_e32 v3, v3
	s_delay_alu instid0(VALU_DEP_1) | instskip(SKIP_1) | instid1(VALU_DEP_2)
	v_fmamk_f32 v1, v3, 0xcf800000, v1
	v_cvt_u32_f32_e32 v23, v3
	v_cvt_u32_f32_e32 v22, v1
.LBB364_2292:
	s_mov_b32 s14, 0
.LBB364_2293:
	s_delay_alu instid0(SALU_CYCLE_1)
	s_and_not1_b32 vcc_lo, exec_lo, s14
	s_cbranch_vccnz .LBB364_2295
; %bb.2294:
	global_load_u8 v1, v[24:25], off
	s_wait_loadcnt 0x0
	v_lshlrev_b32_e32 v3, 25, v1
	v_lshlrev_b16 v1, 8, v1
	s_delay_alu instid0(VALU_DEP_1) | instskip(SKIP_1) | instid1(VALU_DEP_2)
	v_and_or_b32 v7, 0x7f00, v1, 0.5
	v_bfe_i32 v1, v1, 0, 16
	v_add_f32_e32 v7, -0.5, v7
	v_lshrrev_b32_e32 v5, 4, v3
	v_cmp_gt_u32_e32 vcc_lo, 0x8000000, v3
	s_delay_alu instid0(VALU_DEP_2) | instskip(NEXT) | instid1(VALU_DEP_1)
	v_or_b32_e32 v5, 0x70000000, v5
	v_mul_f32_e32 v5, 0x7800000, v5
	s_delay_alu instid0(VALU_DEP_1) | instskip(NEXT) | instid1(VALU_DEP_1)
	v_cndmask_b32_e32 v3, v5, v7, vcc_lo
	v_and_or_b32 v1, 0x80000000, v1, v3
	s_delay_alu instid0(VALU_DEP_1) | instskip(NEXT) | instid1(VALU_DEP_1)
	v_trunc_f32_e32 v1, v1
	v_mul_f32_e32 v3, 0x2f800000, v1
	s_delay_alu instid0(VALU_DEP_1) | instskip(NEXT) | instid1(VALU_DEP_1)
	v_floor_f32_e32 v3, v3
	v_fmamk_f32 v1, v3, 0xcf800000, v1
	v_cvt_u32_f32_e32 v23, v3
	s_delay_alu instid0(VALU_DEP_2)
	v_cvt_u32_f32_e32 v22, v1
.LBB364_2295:
	s_mov_b32 s14, 0
	s_mov_b32 s15, -1
.LBB364_2296:
	s_and_not1_b32 vcc_lo, exec_lo, s14
	s_mov_b32 s14, 0
	s_cbranch_vccnz .LBB364_2307
; %bb.2297:
	s_cmp_gt_i32 s12, 14
	s_cbranch_scc0 .LBB364_2300
; %bb.2298:
	s_cmp_eq_u32 s12, 15
	s_cbranch_scc0 .LBB364_2303
; %bb.2299:
	global_load_u16 v1, v[24:25], off
	s_mov_b32 s13, 0
	s_mov_b32 s15, -1
	s_wait_loadcnt 0x0
	v_lshlrev_b32_e32 v1, 16, v1
	s_delay_alu instid0(VALU_DEP_1) | instskip(NEXT) | instid1(VALU_DEP_1)
	v_trunc_f32_e32 v1, v1
	v_mul_f32_e32 v3, 0x2f800000, v1
	s_delay_alu instid0(VALU_DEP_1) | instskip(NEXT) | instid1(VALU_DEP_1)
	v_floor_f32_e32 v3, v3
	v_fmamk_f32 v1, v3, 0xcf800000, v1
	v_cvt_u32_f32_e32 v23, v3
	s_delay_alu instid0(VALU_DEP_2)
	v_cvt_u32_f32_e32 v22, v1
	s_branch .LBB364_2305
.LBB364_2300:
	s_mov_b32 s14, -1
	s_branch .LBB364_2304
.LBB364_2301:
	s_and_not1_saveexec_b32 s14, s14
	s_cbranch_execz .LBB364_2282
.LBB364_2302:
	v_cmp_ne_u16_e32 vcc_lo, 0, v1
	s_and_not1_b32 s15, s15, exec_lo
	s_and_b32 s16, vcc_lo, exec_lo
	s_delay_alu instid0(SALU_CYCLE_1)
	s_or_b32 s15, s15, s16
	s_or_b32 exec_lo, exec_lo, s14
	v_mov_b64_e32 v[22:23], 0
	s_and_saveexec_b32 s14, s15
	s_cbranch_execnz .LBB364_2283
	s_branch .LBB364_2284
.LBB364_2303:
	s_mov_b32 s13, -1
.LBB364_2304:
                                        ; implicit-def: $vgpr22_vgpr23
.LBB364_2305:
	s_and_b32 vcc_lo, exec_lo, s14
	s_mov_b32 s14, 0
	s_cbranch_vccz .LBB364_2307
; %bb.2306:
	s_cmp_lg_u32 s12, 11
	s_mov_b32 s14, -1
	s_cselect_b32 s13, -1, 0
.LBB364_2307:
	s_delay_alu instid0(SALU_CYCLE_1)
	s_and_b32 vcc_lo, exec_lo, s13
	s_cbranch_vccnz .LBB364_2372
; %bb.2308:
	s_and_not1_b32 vcc_lo, exec_lo, s14
	s_cbranch_vccnz .LBB364_2310
.LBB364_2309:
	global_load_u8 v1, v[24:25], off
	s_mov_b32 s13, 0
	s_mov_b32 s15, -1
	s_wait_loadcnt 0x1
	v_mov_b32_e32 v23, s13
	s_wait_loadcnt 0x0
	v_cmp_ne_u16_e32 vcc_lo, 0, v1
	v_cndmask_b32_e64 v22, 0, 1, vcc_lo
.LBB364_2310:
	s_mov_b32 s13, 0
.LBB364_2311:
	s_delay_alu instid0(SALU_CYCLE_1)
	s_and_b32 vcc_lo, exec_lo, s13
	s_cbranch_vccz .LBB364_2360
; %bb.2312:
	s_cmp_lt_i32 s12, 5
	s_cbranch_scc1 .LBB364_2317
; %bb.2313:
	s_cmp_lt_i32 s12, 8
	s_cbranch_scc1 .LBB364_2318
	;; [unrolled: 3-line block ×3, first 2 shown]
; %bb.2315:
	s_cmp_gt_i32 s12, 9
	s_cbranch_scc0 .LBB364_2320
; %bb.2316:
	s_wait_loadcnt 0x0
	global_load_b64 v[22:23], v[24:25], off
	s_mov_b32 s13, 0
	s_wait_loadcnt 0x0
	v_trunc_f64_e32 v[22:23], v[22:23]
	s_delay_alu instid0(VALU_DEP_1) | instskip(NEXT) | instid1(VALU_DEP_1)
	v_ldexp_f64 v[26:27], v[22:23], 0xffffffe0
	v_floor_f64_e32 v[26:27], v[26:27]
	s_delay_alu instid0(VALU_DEP_1) | instskip(SKIP_1) | instid1(VALU_DEP_2)
	v_fmamk_f64 v[28:29], v[26:27], 0xc1f00000, v[22:23]
	v_cvt_u32_f64_e32 v23, v[26:27]
	v_cvt_u32_f64_e32 v22, v[28:29]
	s_branch .LBB364_2321
.LBB364_2317:
	s_mov_b32 s13, -1
                                        ; implicit-def: $vgpr22_vgpr23
	s_branch .LBB364_2339
.LBB364_2318:
	s_mov_b32 s13, -1
                                        ; implicit-def: $vgpr22_vgpr23
	s_branch .LBB364_2327
.LBB364_2319:
	s_mov_b32 s13, -1
                                        ; implicit-def: $vgpr22_vgpr23
	s_branch .LBB364_2324
.LBB364_2320:
	s_mov_b32 s13, -1
                                        ; implicit-def: $vgpr22_vgpr23
.LBB364_2321:
	s_delay_alu instid0(SALU_CYCLE_1)
	s_and_not1_b32 vcc_lo, exec_lo, s13
	s_cbranch_vccnz .LBB364_2323
; %bb.2322:
	global_load_b32 v1, v[24:25], off
	s_wait_loadcnt 0x0
	v_trunc_f32_e32 v1, v1
	s_delay_alu instid0(VALU_DEP_1) | instskip(NEXT) | instid1(VALU_DEP_1)
	v_mul_f32_e32 v3, 0x2f800000, v1
	v_floor_f32_e32 v3, v3
	s_delay_alu instid0(VALU_DEP_1) | instskip(SKIP_1) | instid1(VALU_DEP_2)
	v_fmamk_f32 v1, v3, 0xcf800000, v1
	v_cvt_u32_f32_e32 v23, v3
	v_cvt_u32_f32_e32 v22, v1
.LBB364_2323:
	s_mov_b32 s13, 0
.LBB364_2324:
	s_delay_alu instid0(SALU_CYCLE_1)
	s_and_not1_b32 vcc_lo, exec_lo, s13
	s_cbranch_vccnz .LBB364_2326
; %bb.2325:
	global_load_b32 v1, v[24:25], off
	s_wait_loadcnt 0x1
	v_mov_b32_e32 v23, 0
	s_wait_loadcnt 0x0
	v_cvt_f32_f16_e32 v1, v1
	s_delay_alu instid0(VALU_DEP_1)
	v_cvt_u32_f32_e32 v22, v1
.LBB364_2326:
	s_mov_b32 s13, 0
.LBB364_2327:
	s_delay_alu instid0(SALU_CYCLE_1)
	s_and_not1_b32 vcc_lo, exec_lo, s13
	s_cbranch_vccnz .LBB364_2338
; %bb.2328:
	s_cmp_lt_i32 s12, 6
	s_cbranch_scc1 .LBB364_2331
; %bb.2329:
	s_cmp_gt_i32 s12, 6
	s_cbranch_scc0 .LBB364_2332
; %bb.2330:
	s_wait_loadcnt 0x0
	global_load_b64 v[22:23], v[24:25], off
	s_mov_b32 s13, 0
	s_wait_loadcnt 0x0
	v_trunc_f64_e32 v[22:23], v[22:23]
	s_delay_alu instid0(VALU_DEP_1) | instskip(NEXT) | instid1(VALU_DEP_1)
	v_ldexp_f64 v[26:27], v[22:23], 0xffffffe0
	v_floor_f64_e32 v[26:27], v[26:27]
	s_delay_alu instid0(VALU_DEP_1) | instskip(SKIP_1) | instid1(VALU_DEP_2)
	v_fmamk_f64 v[28:29], v[26:27], 0xc1f00000, v[22:23]
	v_cvt_u32_f64_e32 v23, v[26:27]
	v_cvt_u32_f64_e32 v22, v[28:29]
	s_branch .LBB364_2333
.LBB364_2331:
	s_mov_b32 s13, -1
                                        ; implicit-def: $vgpr22_vgpr23
	s_branch .LBB364_2336
.LBB364_2332:
	s_mov_b32 s13, -1
                                        ; implicit-def: $vgpr22_vgpr23
.LBB364_2333:
	s_delay_alu instid0(SALU_CYCLE_1)
	s_and_not1_b32 vcc_lo, exec_lo, s13
	s_cbranch_vccnz .LBB364_2335
; %bb.2334:
	global_load_b32 v1, v[24:25], off
	s_wait_loadcnt 0x0
	v_trunc_f32_e32 v1, v1
	s_delay_alu instid0(VALU_DEP_1) | instskip(NEXT) | instid1(VALU_DEP_1)
	v_mul_f32_e32 v3, 0x2f800000, v1
	v_floor_f32_e32 v3, v3
	s_delay_alu instid0(VALU_DEP_1) | instskip(SKIP_1) | instid1(VALU_DEP_2)
	v_fmamk_f32 v1, v3, 0xcf800000, v1
	v_cvt_u32_f32_e32 v23, v3
	v_cvt_u32_f32_e32 v22, v1
.LBB364_2335:
	s_mov_b32 s13, 0
.LBB364_2336:
	s_delay_alu instid0(SALU_CYCLE_1)
	s_and_not1_b32 vcc_lo, exec_lo, s13
	s_cbranch_vccnz .LBB364_2338
; %bb.2337:
	global_load_u16 v1, v[24:25], off
	s_wait_loadcnt 0x1
	v_mov_b32_e32 v23, 0
	s_wait_loadcnt 0x0
	v_cvt_f32_f16_e32 v1, v1
	s_delay_alu instid0(VALU_DEP_1)
	v_cvt_u32_f32_e32 v22, v1
.LBB364_2338:
	s_mov_b32 s13, 0
.LBB364_2339:
	s_delay_alu instid0(SALU_CYCLE_1)
	s_and_not1_b32 vcc_lo, exec_lo, s13
	s_cbranch_vccnz .LBB364_2359
; %bb.2340:
	s_cmp_lt_i32 s12, 2
	s_cbranch_scc1 .LBB364_2344
; %bb.2341:
	s_cmp_lt_i32 s12, 3
	s_cbranch_scc1 .LBB364_2345
; %bb.2342:
	s_cmp_gt_i32 s12, 3
	s_cbranch_scc0 .LBB364_2346
; %bb.2343:
	s_wait_loadcnt 0x0
	global_load_b64 v[22:23], v[24:25], off
	s_mov_b32 s13, 0
	s_branch .LBB364_2347
.LBB364_2344:
	s_mov_b32 s13, -1
                                        ; implicit-def: $vgpr22_vgpr23
	s_branch .LBB364_2353
.LBB364_2345:
	s_mov_b32 s13, -1
                                        ; implicit-def: $vgpr22_vgpr23
	s_branch .LBB364_2350
.LBB364_2346:
	s_mov_b32 s13, -1
                                        ; implicit-def: $vgpr22_vgpr23
.LBB364_2347:
	s_delay_alu instid0(SALU_CYCLE_1)
	s_and_not1_b32 vcc_lo, exec_lo, s13
	s_cbranch_vccnz .LBB364_2349
; %bb.2348:
	s_wait_loadcnt 0x0
	global_load_b32 v22, v[24:25], off
	s_wait_loadcnt 0x0
	v_ashrrev_i32_e32 v23, 31, v22
.LBB364_2349:
	s_mov_b32 s13, 0
.LBB364_2350:
	s_delay_alu instid0(SALU_CYCLE_1)
	s_and_not1_b32 vcc_lo, exec_lo, s13
	s_cbranch_vccnz .LBB364_2352
; %bb.2351:
	global_load_u16 v1, v[24:25], off
	s_wait_loadcnt 0x0
	v_bfe_i32 v22, v1, 0, 16
	s_delay_alu instid0(VALU_DEP_1)
	v_ashrrev_i32_e32 v23, 31, v22
.LBB364_2352:
	s_mov_b32 s13, 0
.LBB364_2353:
	s_delay_alu instid0(SALU_CYCLE_1)
	s_and_not1_b32 vcc_lo, exec_lo, s13
	s_cbranch_vccnz .LBB364_2359
; %bb.2354:
	s_cmp_gt_i32 s12, 0
	s_mov_b32 s13, 0
	s_cbranch_scc0 .LBB364_2356
; %bb.2355:
	global_load_i8 v1, v[24:25], off
	s_wait_loadcnt 0x0
	v_bfe_i32 v22, v1, 0, 16
	s_delay_alu instid0(VALU_DEP_1)
	v_ashrrev_i32_e32 v23, 31, v22
	s_branch .LBB364_2357
.LBB364_2356:
	s_mov_b32 s13, -1
                                        ; implicit-def: $vgpr22_vgpr23
.LBB364_2357:
	s_delay_alu instid0(SALU_CYCLE_1)
	s_and_not1_b32 vcc_lo, exec_lo, s13
	s_cbranch_vccnz .LBB364_2359
; %bb.2358:
	global_load_u8 v1, v[24:25], off
	s_mov_b32 s13, 0
	s_wait_loadcnt 0x1
	v_mov_b32_e32 v23, s13
	s_wait_loadcnt 0x0
	v_and_b32_e32 v22, 0xffff, v1
.LBB364_2359:
	s_mov_b32 s15, -1
.LBB364_2360:
	s_delay_alu instid0(SALU_CYCLE_1)
	s_and_not1_b32 vcc_lo, exec_lo, s15
	s_cbranch_vccnz .LBB364_3047
; %bb.2361:
	v_mov_b32_e32 v17, 0
	s_cmp_lt_i32 s11, 11
	s_wait_xcnt 0x0
	s_delay_alu instid0(VALU_DEP_1)
	v_add_nc_u64_e32 v[24:25], s[6:7], v[16:17]
	s_cbranch_scc1 .LBB364_2368
; %bb.2362:
	s_cmp_gt_i32 s11, 25
	s_mov_b32 s7, 0
	s_cbranch_scc0 .LBB364_2369
; %bb.2363:
	s_cmp_gt_i32 s11, 28
	s_cbranch_scc0 .LBB364_2370
; %bb.2364:
	s_cmp_gt_i32 s11, 43
	;; [unrolled: 3-line block ×3, first 2 shown]
	s_cbranch_scc0 .LBB364_2373
; %bb.2366:
	s_cmp_eq_u32 s11, 46
	s_mov_b32 s14, 0
	s_cbranch_scc0 .LBB364_2374
; %bb.2367:
	global_load_b32 v1, v[24:25], off
	s_mov_b32 s6, 0
	s_mov_b32 s13, -1
	s_wait_loadcnt 0x0
	v_lshlrev_b32_e32 v1, 16, v1
	s_delay_alu instid0(VALU_DEP_1) | instskip(NEXT) | instid1(VALU_DEP_1)
	v_trunc_f32_e32 v1, v1
	v_mul_f32_e32 v3, 0x2f800000, v1
	s_delay_alu instid0(VALU_DEP_1) | instskip(NEXT) | instid1(VALU_DEP_1)
	v_floor_f32_e32 v3, v3
	v_fmamk_f32 v1, v3, 0xcf800000, v1
	v_cvt_u32_f32_e32 v17, v3
	s_delay_alu instid0(VALU_DEP_2)
	v_cvt_u32_f32_e32 v16, v1
	s_branch .LBB364_2376
.LBB364_2368:
	s_mov_b32 s6, -1
	s_mov_b32 s13, 0
                                        ; implicit-def: $vgpr16_vgpr17
	s_branch .LBB364_2438
.LBB364_2369:
	s_mov_b32 s14, -1
	s_mov_b32 s13, 0
	s_mov_b32 s6, 0
                                        ; implicit-def: $vgpr16_vgpr17
	s_branch .LBB364_2403
.LBB364_2370:
	s_mov_b32 s14, -1
	s_mov_b32 s13, 0
	s_mov_b32 s6, 0
                                        ; implicit-def: $vgpr16_vgpr17
	s_branch .LBB364_2386
.LBB364_2371:
	s_mov_b32 s14, -1
	s_mov_b32 s13, 0
	s_mov_b32 s6, 0
                                        ; implicit-def: $vgpr16_vgpr17
	s_branch .LBB364_2381
.LBB364_2372:
	s_or_b32 s10, s10, exec_lo
	s_trap 2
	s_cbranch_execz .LBB364_2309
	s_branch .LBB364_2310
.LBB364_2373:
	s_mov_b32 s14, -1
	s_mov_b32 s13, 0
	s_mov_b32 s6, 0
	s_branch .LBB364_2375
.LBB364_2374:
	s_mov_b32 s6, -1
	s_mov_b32 s13, 0
.LBB364_2375:
                                        ; implicit-def: $vgpr16_vgpr17
.LBB364_2376:
	s_and_b32 vcc_lo, exec_lo, s14
	s_cbranch_vccz .LBB364_2380
; %bb.2377:
	s_cmp_eq_u32 s11, 44
	s_cbranch_scc0 .LBB364_2379
; %bb.2378:
	global_load_u8 v1, v[24:25], off
	s_mov_b32 s6, 0
	s_mov_b32 s13, -1
	s_wait_loadcnt 0x0
	v_lshlrev_b32_e32 v3, 23, v1
	v_cmp_ne_u32_e32 vcc_lo, 0, v1
	s_delay_alu instid0(VALU_DEP_2) | instskip(NEXT) | instid1(VALU_DEP_1)
	v_trunc_f32_e32 v3, v3
	v_mul_f32_e32 v5, 0x2f800000, v3
	s_delay_alu instid0(VALU_DEP_1) | instskip(NEXT) | instid1(VALU_DEP_1)
	v_floor_f32_e32 v5, v5
	v_fmamk_f32 v3, v5, 0xcf800000, v3
	v_cvt_u32_f32_e32 v5, v5
	s_delay_alu instid0(VALU_DEP_2) | instskip(NEXT) | instid1(VALU_DEP_1)
	v_cvt_u32_f32_e32 v3, v3
	v_dual_cndmask_b32 v17, 0, v5 :: v_dual_cndmask_b32 v16, 0, v3
	s_branch .LBB364_2380
.LBB364_2379:
	s_mov_b32 s6, -1
                                        ; implicit-def: $vgpr16_vgpr17
.LBB364_2380:
	s_mov_b32 s14, 0
.LBB364_2381:
	s_delay_alu instid0(SALU_CYCLE_1)
	s_and_b32 vcc_lo, exec_lo, s14
	s_cbranch_vccz .LBB364_2385
; %bb.2382:
	s_cmp_eq_u32 s11, 29
	s_cbranch_scc0 .LBB364_2384
; %bb.2383:
	global_load_b64 v[16:17], v[24:25], off
	s_mov_b32 s6, 0
	s_mov_b32 s13, -1
	s_branch .LBB364_2385
.LBB364_2384:
	s_mov_b32 s6, -1
                                        ; implicit-def: $vgpr16_vgpr17
.LBB364_2385:
	s_mov_b32 s14, 0
.LBB364_2386:
	s_delay_alu instid0(SALU_CYCLE_1)
	s_and_b32 vcc_lo, exec_lo, s14
	s_cbranch_vccz .LBB364_2402
; %bb.2387:
	s_cmp_lt_i32 s11, 27
	s_cbranch_scc1 .LBB364_2390
; %bb.2388:
	s_cmp_gt_i32 s11, 27
	s_cbranch_scc0 .LBB364_2391
; %bb.2389:
	s_wait_loadcnt 0x0
	global_load_b32 v16, v[24:25], off
	v_mov_b32_e32 v17, 0
	s_mov_b32 s13, 0
	s_branch .LBB364_2392
.LBB364_2390:
	s_mov_b32 s13, -1
                                        ; implicit-def: $vgpr16_vgpr17
	s_branch .LBB364_2395
.LBB364_2391:
	s_mov_b32 s13, -1
                                        ; implicit-def: $vgpr16_vgpr17
.LBB364_2392:
	s_delay_alu instid0(SALU_CYCLE_1)
	s_and_not1_b32 vcc_lo, exec_lo, s13
	s_cbranch_vccnz .LBB364_2394
; %bb.2393:
	global_load_u16 v1, v[24:25], off
	s_mov_b32 s13, 0
	s_wait_loadcnt 0x1
	v_mov_b32_e32 v17, s13
	s_wait_loadcnt 0x0
	v_and_b32_e32 v16, 0xffff, v1
.LBB364_2394:
	s_mov_b32 s13, 0
.LBB364_2395:
	s_delay_alu instid0(SALU_CYCLE_1)
	s_and_not1_b32 vcc_lo, exec_lo, s13
	s_cbranch_vccnz .LBB364_2401
; %bb.2396:
	global_load_u8 v1, v[24:25], off
	s_mov_b32 s14, 0
	s_mov_b32 s13, exec_lo
	s_wait_loadcnt 0x0
	v_cmpx_lt_i16_e32 0x7f, v1
	s_xor_b32 s13, exec_lo, s13
	s_cbranch_execz .LBB364_2413
; %bb.2397:
	v_cmp_ne_u16_e32 vcc_lo, 0x80, v1
	s_and_b32 s14, vcc_lo, exec_lo
	s_and_not1_saveexec_b32 s13, s13
	s_cbranch_execnz .LBB364_2414
.LBB364_2398:
	s_or_b32 exec_lo, exec_lo, s13
	v_mov_b64_e32 v[16:17], 0
	s_and_saveexec_b32 s13, s14
	s_cbranch_execz .LBB364_2400
.LBB364_2399:
	v_and_b32_e32 v3, 0xffff, v1
	s_delay_alu instid0(VALU_DEP_1) | instskip(SKIP_1) | instid1(VALU_DEP_2)
	v_dual_lshlrev_b32 v1, 24, v1 :: v_dual_bitop2_b32 v5, 7, v3 bitop3:0x40
	v_bfe_u32 v16, v3, 3, 4
	v_and_b32_e32 v1, 0x80000000, v1
	s_delay_alu instid0(VALU_DEP_3) | instskip(NEXT) | instid1(VALU_DEP_3)
	v_clz_i32_u32_e32 v7, v5
	v_cmp_eq_u32_e32 vcc_lo, 0, v16
	s_delay_alu instid0(VALU_DEP_2) | instskip(NEXT) | instid1(VALU_DEP_1)
	v_min_u32_e32 v7, 32, v7
	v_subrev_nc_u32_e32 v11, 28, v7
	v_sub_nc_u32_e32 v7, 29, v7
	s_delay_alu instid0(VALU_DEP_2) | instskip(NEXT) | instid1(VALU_DEP_2)
	v_lshlrev_b32_e32 v3, v11, v3
	v_cndmask_b32_e32 v7, v16, v7, vcc_lo
	s_delay_alu instid0(VALU_DEP_2) | instskip(NEXT) | instid1(VALU_DEP_1)
	v_and_b32_e32 v3, 7, v3
	v_cndmask_b32_e32 v3, v5, v3, vcc_lo
	s_delay_alu instid0(VALU_DEP_3) | instskip(NEXT) | instid1(VALU_DEP_2)
	v_lshl_add_u32 v5, v7, 23, 0x3b800000
	v_lshlrev_b32_e32 v3, 20, v3
	s_delay_alu instid0(VALU_DEP_1) | instskip(NEXT) | instid1(VALU_DEP_1)
	v_or3_b32 v1, v1, v5, v3
	v_trunc_f32_e32 v1, v1
	s_delay_alu instid0(VALU_DEP_1) | instskip(NEXT) | instid1(VALU_DEP_1)
	v_mul_f32_e32 v3, 0x2f800000, v1
	v_floor_f32_e32 v3, v3
	s_delay_alu instid0(VALU_DEP_1) | instskip(SKIP_1) | instid1(VALU_DEP_2)
	v_fmamk_f32 v1, v3, 0xcf800000, v1
	v_cvt_u32_f32_e32 v17, v3
	v_cvt_u32_f32_e32 v16, v1
.LBB364_2400:
	s_or_b32 exec_lo, exec_lo, s13
.LBB364_2401:
	s_mov_b32 s13, -1
.LBB364_2402:
	s_mov_b32 s14, 0
.LBB364_2403:
	s_delay_alu instid0(SALU_CYCLE_1)
	s_and_b32 vcc_lo, exec_lo, s14
	s_cbranch_vccz .LBB364_2434
; %bb.2404:
	s_cmp_gt_i32 s11, 22
	s_cbranch_scc0 .LBB364_2412
; %bb.2405:
	s_cmp_lt_i32 s11, 24
	s_cbranch_scc1 .LBB364_2415
; %bb.2406:
	s_cmp_gt_i32 s11, 24
	s_cbranch_scc0 .LBB364_2416
; %bb.2407:
	global_load_u8 v1, v[24:25], off
	s_mov_b32 s13, 0
	s_mov_b32 s7, exec_lo
	s_wait_loadcnt 0x0
	v_cmpx_lt_i16_e32 0x7f, v1
	s_xor_b32 s7, exec_lo, s7
	s_cbranch_execz .LBB364_2428
; %bb.2408:
	v_cmp_ne_u16_e32 vcc_lo, 0x80, v1
	s_and_b32 s13, vcc_lo, exec_lo
	s_and_not1_saveexec_b32 s7, s7
	s_cbranch_execnz .LBB364_2429
.LBB364_2409:
	s_or_b32 exec_lo, exec_lo, s7
	v_mov_b64_e32 v[16:17], 0
	s_and_saveexec_b32 s7, s13
	s_cbranch_execz .LBB364_2411
.LBB364_2410:
	v_and_b32_e32 v3, 0xffff, v1
	s_delay_alu instid0(VALU_DEP_1) | instskip(SKIP_1) | instid1(VALU_DEP_2)
	v_dual_lshlrev_b32 v1, 24, v1 :: v_dual_bitop2_b32 v5, 3, v3 bitop3:0x40
	v_bfe_u32 v16, v3, 2, 5
	v_and_b32_e32 v1, 0x80000000, v1
	s_delay_alu instid0(VALU_DEP_3) | instskip(NEXT) | instid1(VALU_DEP_3)
	v_clz_i32_u32_e32 v7, v5
	v_cmp_eq_u32_e32 vcc_lo, 0, v16
	s_delay_alu instid0(VALU_DEP_2) | instskip(NEXT) | instid1(VALU_DEP_1)
	v_min_u32_e32 v7, 32, v7
	v_subrev_nc_u32_e32 v11, 29, v7
	v_sub_nc_u32_e32 v7, 30, v7
	s_delay_alu instid0(VALU_DEP_2) | instskip(NEXT) | instid1(VALU_DEP_2)
	v_lshlrev_b32_e32 v3, v11, v3
	v_cndmask_b32_e32 v7, v16, v7, vcc_lo
	s_delay_alu instid0(VALU_DEP_2) | instskip(NEXT) | instid1(VALU_DEP_1)
	v_and_b32_e32 v3, 3, v3
	v_cndmask_b32_e32 v3, v5, v3, vcc_lo
	s_delay_alu instid0(VALU_DEP_3) | instskip(NEXT) | instid1(VALU_DEP_2)
	v_lshl_add_u32 v5, v7, 23, 0x37800000
	v_lshlrev_b32_e32 v3, 21, v3
	s_delay_alu instid0(VALU_DEP_1) | instskip(NEXT) | instid1(VALU_DEP_1)
	v_or3_b32 v1, v1, v5, v3
	v_trunc_f32_e32 v1, v1
	s_delay_alu instid0(VALU_DEP_1) | instskip(NEXT) | instid1(VALU_DEP_1)
	v_mul_f32_e32 v3, 0x2f800000, v1
	v_floor_f32_e32 v3, v3
	s_delay_alu instid0(VALU_DEP_1) | instskip(SKIP_1) | instid1(VALU_DEP_2)
	v_fmamk_f32 v1, v3, 0xcf800000, v1
	v_cvt_u32_f32_e32 v17, v3
	v_cvt_u32_f32_e32 v16, v1
.LBB364_2411:
	s_or_b32 exec_lo, exec_lo, s7
	s_mov_b32 s7, 0
	s_branch .LBB364_2417
.LBB364_2412:
	s_mov_b32 s7, -1
                                        ; implicit-def: $vgpr16_vgpr17
	s_branch .LBB364_2423
.LBB364_2413:
	s_and_not1_saveexec_b32 s13, s13
	s_cbranch_execz .LBB364_2398
.LBB364_2414:
	v_cmp_ne_u16_e32 vcc_lo, 0, v1
	s_and_not1_b32 s14, s14, exec_lo
	s_and_b32 s15, vcc_lo, exec_lo
	s_delay_alu instid0(SALU_CYCLE_1)
	s_or_b32 s14, s14, s15
	s_or_b32 exec_lo, exec_lo, s13
	v_mov_b64_e32 v[16:17], 0
	s_and_saveexec_b32 s13, s14
	s_cbranch_execnz .LBB364_2399
	s_branch .LBB364_2400
.LBB364_2415:
	s_mov_b32 s7, -1
                                        ; implicit-def: $vgpr16_vgpr17
	s_branch .LBB364_2420
.LBB364_2416:
	s_mov_b32 s7, -1
                                        ; implicit-def: $vgpr16_vgpr17
.LBB364_2417:
	s_delay_alu instid0(SALU_CYCLE_1)
	s_and_b32 vcc_lo, exec_lo, s7
	s_cbranch_vccz .LBB364_2419
; %bb.2418:
	global_load_u8 v1, v[24:25], off
	s_wait_loadcnt 0x0
	v_lshlrev_b32_e32 v1, 24, v1
	s_delay_alu instid0(VALU_DEP_1) | instskip(NEXT) | instid1(VALU_DEP_1)
	v_and_b32_e32 v3, 0x7f000000, v1
	v_clz_i32_u32_e32 v5, v3
	v_add_nc_u32_e32 v11, 0x1000000, v3
	v_cmp_ne_u32_e32 vcc_lo, 0, v3
	s_delay_alu instid0(VALU_DEP_3) | instskip(NEXT) | instid1(VALU_DEP_1)
	v_min_u32_e32 v5, 32, v5
	v_sub_nc_u32_e64 v5, v5, 4 clamp
	s_delay_alu instid0(VALU_DEP_1) | instskip(NEXT) | instid1(VALU_DEP_1)
	v_dual_lshlrev_b32 v7, v5, v3 :: v_dual_lshlrev_b32 v5, 23, v5
	v_lshrrev_b32_e32 v7, 4, v7
	s_delay_alu instid0(VALU_DEP_1) | instskip(NEXT) | instid1(VALU_DEP_1)
	v_dual_sub_nc_u32 v5, v7, v5 :: v_dual_ashrrev_i32 v7, 8, v11
	v_add_nc_u32_e32 v5, 0x3c000000, v5
	s_delay_alu instid0(VALU_DEP_1) | instskip(NEXT) | instid1(VALU_DEP_1)
	v_and_or_b32 v5, 0x7f800000, v7, v5
	v_cndmask_b32_e32 v3, 0, v5, vcc_lo
	s_delay_alu instid0(VALU_DEP_1) | instskip(NEXT) | instid1(VALU_DEP_1)
	v_and_or_b32 v1, 0x80000000, v1, v3
	v_trunc_f32_e32 v1, v1
	s_delay_alu instid0(VALU_DEP_1) | instskip(NEXT) | instid1(VALU_DEP_1)
	v_mul_f32_e32 v3, 0x2f800000, v1
	v_floor_f32_e32 v3, v3
	s_delay_alu instid0(VALU_DEP_1) | instskip(SKIP_1) | instid1(VALU_DEP_2)
	v_fmamk_f32 v1, v3, 0xcf800000, v1
	v_cvt_u32_f32_e32 v17, v3
	v_cvt_u32_f32_e32 v16, v1
.LBB364_2419:
	s_mov_b32 s7, 0
.LBB364_2420:
	s_delay_alu instid0(SALU_CYCLE_1)
	s_and_not1_b32 vcc_lo, exec_lo, s7
	s_cbranch_vccnz .LBB364_2422
; %bb.2421:
	global_load_u8 v1, v[24:25], off
	s_wait_loadcnt 0x0
	v_lshlrev_b32_e32 v3, 25, v1
	v_lshlrev_b16 v1, 8, v1
	s_delay_alu instid0(VALU_DEP_1) | instskip(SKIP_1) | instid1(VALU_DEP_2)
	v_and_or_b32 v7, 0x7f00, v1, 0.5
	v_bfe_i32 v1, v1, 0, 16
	v_add_f32_e32 v7, -0.5, v7
	v_lshrrev_b32_e32 v5, 4, v3
	v_cmp_gt_u32_e32 vcc_lo, 0x8000000, v3
	s_delay_alu instid0(VALU_DEP_2) | instskip(NEXT) | instid1(VALU_DEP_1)
	v_or_b32_e32 v5, 0x70000000, v5
	v_mul_f32_e32 v5, 0x7800000, v5
	s_delay_alu instid0(VALU_DEP_1) | instskip(NEXT) | instid1(VALU_DEP_1)
	v_cndmask_b32_e32 v3, v5, v7, vcc_lo
	v_and_or_b32 v1, 0x80000000, v1, v3
	s_delay_alu instid0(VALU_DEP_1) | instskip(NEXT) | instid1(VALU_DEP_1)
	v_trunc_f32_e32 v1, v1
	v_mul_f32_e32 v3, 0x2f800000, v1
	s_delay_alu instid0(VALU_DEP_1) | instskip(NEXT) | instid1(VALU_DEP_1)
	v_floor_f32_e32 v3, v3
	v_fmamk_f32 v1, v3, 0xcf800000, v1
	v_cvt_u32_f32_e32 v17, v3
	s_delay_alu instid0(VALU_DEP_2)
	v_cvt_u32_f32_e32 v16, v1
.LBB364_2422:
	s_mov_b32 s7, 0
	s_mov_b32 s13, -1
.LBB364_2423:
	s_and_not1_b32 vcc_lo, exec_lo, s7
	s_mov_b32 s7, 0
	s_cbranch_vccnz .LBB364_2434
; %bb.2424:
	s_cmp_gt_i32 s11, 14
	s_cbranch_scc0 .LBB364_2427
; %bb.2425:
	s_cmp_eq_u32 s11, 15
	s_cbranch_scc0 .LBB364_2430
; %bb.2426:
	global_load_u16 v1, v[24:25], off
	s_mov_b32 s6, 0
	s_mov_b32 s13, -1
	s_wait_loadcnt 0x0
	v_lshlrev_b32_e32 v1, 16, v1
	s_delay_alu instid0(VALU_DEP_1) | instskip(NEXT) | instid1(VALU_DEP_1)
	v_trunc_f32_e32 v1, v1
	v_mul_f32_e32 v3, 0x2f800000, v1
	s_delay_alu instid0(VALU_DEP_1) | instskip(NEXT) | instid1(VALU_DEP_1)
	v_floor_f32_e32 v3, v3
	v_fmamk_f32 v1, v3, 0xcf800000, v1
	v_cvt_u32_f32_e32 v17, v3
	s_delay_alu instid0(VALU_DEP_2)
	v_cvt_u32_f32_e32 v16, v1
	s_branch .LBB364_2432
.LBB364_2427:
	s_mov_b32 s7, -1
	s_branch .LBB364_2431
.LBB364_2428:
	s_and_not1_saveexec_b32 s7, s7
	s_cbranch_execz .LBB364_2409
.LBB364_2429:
	v_cmp_ne_u16_e32 vcc_lo, 0, v1
	s_and_not1_b32 s13, s13, exec_lo
	s_and_b32 s14, vcc_lo, exec_lo
	s_delay_alu instid0(SALU_CYCLE_1)
	s_or_b32 s13, s13, s14
	s_or_b32 exec_lo, exec_lo, s7
	v_mov_b64_e32 v[16:17], 0
	s_and_saveexec_b32 s7, s13
	s_cbranch_execnz .LBB364_2410
	s_branch .LBB364_2411
.LBB364_2430:
	s_mov_b32 s6, -1
.LBB364_2431:
                                        ; implicit-def: $vgpr16_vgpr17
.LBB364_2432:
	s_and_b32 vcc_lo, exec_lo, s7
	s_mov_b32 s7, 0
	s_cbranch_vccz .LBB364_2434
; %bb.2433:
	s_cmp_lg_u32 s11, 11
	s_mov_b32 s7, -1
	s_cselect_b32 s6, -1, 0
.LBB364_2434:
	s_delay_alu instid0(SALU_CYCLE_1)
	s_and_b32 vcc_lo, exec_lo, s6
	s_cbranch_vccnz .LBB364_2499
; %bb.2435:
	s_and_not1_b32 vcc_lo, exec_lo, s7
	s_cbranch_vccnz .LBB364_2437
.LBB364_2436:
	global_load_u8 v1, v[24:25], off
	s_mov_b32 s6, 0
	s_mov_b32 s13, -1
	s_wait_loadcnt 0x1
	v_mov_b32_e32 v17, s6
	s_wait_loadcnt 0x0
	v_cmp_ne_u16_e32 vcc_lo, 0, v1
	v_cndmask_b32_e64 v16, 0, 1, vcc_lo
.LBB364_2437:
	s_mov_b32 s6, 0
.LBB364_2438:
	s_delay_alu instid0(SALU_CYCLE_1)
	s_and_b32 vcc_lo, exec_lo, s6
	s_cbranch_vccz .LBB364_2487
; %bb.2439:
	s_cmp_lt_i32 s11, 5
	s_cbranch_scc1 .LBB364_2444
; %bb.2440:
	s_cmp_lt_i32 s11, 8
	s_cbranch_scc1 .LBB364_2445
	;; [unrolled: 3-line block ×3, first 2 shown]
; %bb.2442:
	s_cmp_gt_i32 s11, 9
	s_cbranch_scc0 .LBB364_2447
; %bb.2443:
	s_wait_loadcnt 0x0
	global_load_b64 v[16:17], v[24:25], off
	s_mov_b32 s6, 0
	s_wait_loadcnt 0x0
	v_trunc_f64_e32 v[16:17], v[16:17]
	s_delay_alu instid0(VALU_DEP_1) | instskip(NEXT) | instid1(VALU_DEP_1)
	v_ldexp_f64 v[26:27], v[16:17], 0xffffffe0
	v_floor_f64_e32 v[26:27], v[26:27]
	s_delay_alu instid0(VALU_DEP_1) | instskip(SKIP_1) | instid1(VALU_DEP_2)
	v_fmamk_f64 v[28:29], v[26:27], 0xc1f00000, v[16:17]
	v_cvt_u32_f64_e32 v17, v[26:27]
	v_cvt_u32_f64_e32 v16, v[28:29]
	s_branch .LBB364_2448
.LBB364_2444:
	s_mov_b32 s6, -1
                                        ; implicit-def: $vgpr16_vgpr17
	s_branch .LBB364_2466
.LBB364_2445:
	s_mov_b32 s6, -1
                                        ; implicit-def: $vgpr16_vgpr17
	s_branch .LBB364_2454
.LBB364_2446:
	s_mov_b32 s6, -1
                                        ; implicit-def: $vgpr16_vgpr17
	s_branch .LBB364_2451
.LBB364_2447:
	s_mov_b32 s6, -1
                                        ; implicit-def: $vgpr16_vgpr17
.LBB364_2448:
	s_delay_alu instid0(SALU_CYCLE_1)
	s_and_not1_b32 vcc_lo, exec_lo, s6
	s_cbranch_vccnz .LBB364_2450
; %bb.2449:
	global_load_b32 v1, v[24:25], off
	s_wait_loadcnt 0x0
	v_trunc_f32_e32 v1, v1
	s_delay_alu instid0(VALU_DEP_1) | instskip(NEXT) | instid1(VALU_DEP_1)
	v_mul_f32_e32 v3, 0x2f800000, v1
	v_floor_f32_e32 v3, v3
	s_delay_alu instid0(VALU_DEP_1) | instskip(SKIP_1) | instid1(VALU_DEP_2)
	v_fmamk_f32 v1, v3, 0xcf800000, v1
	v_cvt_u32_f32_e32 v17, v3
	v_cvt_u32_f32_e32 v16, v1
.LBB364_2450:
	s_mov_b32 s6, 0
.LBB364_2451:
	s_delay_alu instid0(SALU_CYCLE_1)
	s_and_not1_b32 vcc_lo, exec_lo, s6
	s_cbranch_vccnz .LBB364_2453
; %bb.2452:
	global_load_b32 v1, v[24:25], off
	s_wait_loadcnt 0x1
	v_mov_b32_e32 v17, 0
	s_wait_loadcnt 0x0
	v_cvt_f32_f16_e32 v1, v1
	s_delay_alu instid0(VALU_DEP_1)
	v_cvt_u32_f32_e32 v16, v1
.LBB364_2453:
	s_mov_b32 s6, 0
.LBB364_2454:
	s_delay_alu instid0(SALU_CYCLE_1)
	s_and_not1_b32 vcc_lo, exec_lo, s6
	s_cbranch_vccnz .LBB364_2465
; %bb.2455:
	s_cmp_lt_i32 s11, 6
	s_cbranch_scc1 .LBB364_2458
; %bb.2456:
	s_cmp_gt_i32 s11, 6
	s_cbranch_scc0 .LBB364_2459
; %bb.2457:
	s_wait_loadcnt 0x0
	global_load_b64 v[16:17], v[24:25], off
	s_mov_b32 s6, 0
	s_wait_loadcnt 0x0
	v_trunc_f64_e32 v[16:17], v[16:17]
	s_delay_alu instid0(VALU_DEP_1) | instskip(NEXT) | instid1(VALU_DEP_1)
	v_ldexp_f64 v[26:27], v[16:17], 0xffffffe0
	v_floor_f64_e32 v[26:27], v[26:27]
	s_delay_alu instid0(VALU_DEP_1) | instskip(SKIP_1) | instid1(VALU_DEP_2)
	v_fmamk_f64 v[28:29], v[26:27], 0xc1f00000, v[16:17]
	v_cvt_u32_f64_e32 v17, v[26:27]
	v_cvt_u32_f64_e32 v16, v[28:29]
	s_branch .LBB364_2460
.LBB364_2458:
	s_mov_b32 s6, -1
                                        ; implicit-def: $vgpr16_vgpr17
	s_branch .LBB364_2463
.LBB364_2459:
	s_mov_b32 s6, -1
                                        ; implicit-def: $vgpr16_vgpr17
.LBB364_2460:
	s_delay_alu instid0(SALU_CYCLE_1)
	s_and_not1_b32 vcc_lo, exec_lo, s6
	s_cbranch_vccnz .LBB364_2462
; %bb.2461:
	global_load_b32 v1, v[24:25], off
	s_wait_loadcnt 0x0
	v_trunc_f32_e32 v1, v1
	s_delay_alu instid0(VALU_DEP_1) | instskip(NEXT) | instid1(VALU_DEP_1)
	v_mul_f32_e32 v3, 0x2f800000, v1
	v_floor_f32_e32 v3, v3
	s_delay_alu instid0(VALU_DEP_1) | instskip(SKIP_1) | instid1(VALU_DEP_2)
	v_fmamk_f32 v1, v3, 0xcf800000, v1
	v_cvt_u32_f32_e32 v17, v3
	v_cvt_u32_f32_e32 v16, v1
.LBB364_2462:
	s_mov_b32 s6, 0
.LBB364_2463:
	s_delay_alu instid0(SALU_CYCLE_1)
	s_and_not1_b32 vcc_lo, exec_lo, s6
	s_cbranch_vccnz .LBB364_2465
; %bb.2464:
	global_load_u16 v1, v[24:25], off
	s_wait_loadcnt 0x1
	v_mov_b32_e32 v17, 0
	s_wait_loadcnt 0x0
	v_cvt_f32_f16_e32 v1, v1
	s_delay_alu instid0(VALU_DEP_1)
	v_cvt_u32_f32_e32 v16, v1
.LBB364_2465:
	s_mov_b32 s6, 0
.LBB364_2466:
	s_delay_alu instid0(SALU_CYCLE_1)
	s_and_not1_b32 vcc_lo, exec_lo, s6
	s_cbranch_vccnz .LBB364_2486
; %bb.2467:
	s_cmp_lt_i32 s11, 2
	s_cbranch_scc1 .LBB364_2471
; %bb.2468:
	s_cmp_lt_i32 s11, 3
	s_cbranch_scc1 .LBB364_2472
; %bb.2469:
	s_cmp_gt_i32 s11, 3
	s_cbranch_scc0 .LBB364_2473
; %bb.2470:
	s_wait_loadcnt 0x0
	global_load_b64 v[16:17], v[24:25], off
	s_mov_b32 s6, 0
	s_branch .LBB364_2474
.LBB364_2471:
	s_mov_b32 s6, -1
                                        ; implicit-def: $vgpr16_vgpr17
	s_branch .LBB364_2480
.LBB364_2472:
	s_mov_b32 s6, -1
                                        ; implicit-def: $vgpr16_vgpr17
	s_branch .LBB364_2477
.LBB364_2473:
	s_mov_b32 s6, -1
                                        ; implicit-def: $vgpr16_vgpr17
.LBB364_2474:
	s_delay_alu instid0(SALU_CYCLE_1)
	s_and_not1_b32 vcc_lo, exec_lo, s6
	s_cbranch_vccnz .LBB364_2476
; %bb.2475:
	s_wait_loadcnt 0x0
	global_load_b32 v16, v[24:25], off
	s_wait_loadcnt 0x0
	v_ashrrev_i32_e32 v17, 31, v16
.LBB364_2476:
	s_mov_b32 s6, 0
.LBB364_2477:
	s_delay_alu instid0(SALU_CYCLE_1)
	s_and_not1_b32 vcc_lo, exec_lo, s6
	s_cbranch_vccnz .LBB364_2479
; %bb.2478:
	global_load_u16 v1, v[24:25], off
	s_wait_loadcnt 0x0
	v_bfe_i32 v16, v1, 0, 16
	s_delay_alu instid0(VALU_DEP_1)
	v_ashrrev_i32_e32 v17, 31, v16
.LBB364_2479:
	s_mov_b32 s6, 0
.LBB364_2480:
	s_delay_alu instid0(SALU_CYCLE_1)
	s_and_not1_b32 vcc_lo, exec_lo, s6
	s_cbranch_vccnz .LBB364_2486
; %bb.2481:
	s_cmp_gt_i32 s11, 0
	s_mov_b32 s6, 0
	s_cbranch_scc0 .LBB364_2483
; %bb.2482:
	global_load_i8 v1, v[24:25], off
	s_wait_loadcnt 0x0
	v_bfe_i32 v16, v1, 0, 16
	s_delay_alu instid0(VALU_DEP_1)
	v_ashrrev_i32_e32 v17, 31, v16
	s_branch .LBB364_2484
.LBB364_2483:
	s_mov_b32 s6, -1
                                        ; implicit-def: $vgpr16_vgpr17
.LBB364_2484:
	s_delay_alu instid0(SALU_CYCLE_1)
	s_and_not1_b32 vcc_lo, exec_lo, s6
	s_cbranch_vccnz .LBB364_2486
; %bb.2485:
	global_load_u8 v1, v[24:25], off
	s_mov_b32 s6, 0
	s_wait_loadcnt 0x1
	v_mov_b32_e32 v17, s6
	s_wait_loadcnt 0x0
	v_and_b32_e32 v16, 0xffff, v1
.LBB364_2486:
	s_mov_b32 s13, -1
.LBB364_2487:
	s_delay_alu instid0(SALU_CYCLE_1)
	s_and_not1_b32 vcc_lo, exec_lo, s13
	s_cbranch_vccnz .LBB364_3047
; %bb.2488:
	v_mov_b32_e32 v11, 0
	s_cmp_lt_i32 s12, 11
	s_wait_xcnt 0x0
	s_delay_alu instid0(VALU_DEP_1)
	v_add_nc_u64_e32 v[24:25], s[0:1], v[10:11]
	s_cbranch_scc1 .LBB364_2495
; %bb.2489:
	s_cmp_gt_i32 s12, 25
	s_mov_b32 s1, 0
	s_cbranch_scc0 .LBB364_2496
; %bb.2490:
	s_cmp_gt_i32 s12, 28
	s_cbranch_scc0 .LBB364_2497
; %bb.2491:
	s_cmp_gt_i32 s12, 43
	;; [unrolled: 3-line block ×3, first 2 shown]
	s_cbranch_scc0 .LBB364_2500
; %bb.2493:
	s_cmp_eq_u32 s12, 46
	s_mov_b32 s7, 0
	s_cbranch_scc0 .LBB364_2501
; %bb.2494:
	global_load_b32 v1, v[24:25], off
	s_mov_b32 s0, 0
	s_mov_b32 s6, -1
	s_wait_loadcnt 0x0
	v_lshlrev_b32_e32 v1, 16, v1
	s_delay_alu instid0(VALU_DEP_1) | instskip(NEXT) | instid1(VALU_DEP_1)
	v_trunc_f32_e32 v1, v1
	v_mul_f32_e32 v3, 0x2f800000, v1
	s_delay_alu instid0(VALU_DEP_1) | instskip(NEXT) | instid1(VALU_DEP_1)
	v_floor_f32_e32 v3, v3
	v_fmamk_f32 v1, v3, 0xcf800000, v1
	v_cvt_u32_f32_e32 v11, v3
	s_delay_alu instid0(VALU_DEP_2)
	v_cvt_u32_f32_e32 v10, v1
	s_branch .LBB364_2503
.LBB364_2495:
	s_mov_b32 s0, -1
	s_mov_b32 s6, 0
                                        ; implicit-def: $vgpr10_vgpr11
	s_branch .LBB364_2565
.LBB364_2496:
	s_mov_b32 s7, -1
	s_mov_b32 s6, 0
	s_mov_b32 s0, 0
                                        ; implicit-def: $vgpr10_vgpr11
	s_branch .LBB364_2530
.LBB364_2497:
	s_mov_b32 s7, -1
	s_mov_b32 s6, 0
	s_mov_b32 s0, 0
                                        ; implicit-def: $vgpr10_vgpr11
	s_branch .LBB364_2513
.LBB364_2498:
	s_mov_b32 s7, -1
	s_mov_b32 s6, 0
	s_mov_b32 s0, 0
                                        ; implicit-def: $vgpr10_vgpr11
	s_branch .LBB364_2508
.LBB364_2499:
	s_or_b32 s10, s10, exec_lo
	s_trap 2
	s_cbranch_execz .LBB364_2436
	s_branch .LBB364_2437
.LBB364_2500:
	s_mov_b32 s7, -1
	s_mov_b32 s6, 0
	s_mov_b32 s0, 0
	s_branch .LBB364_2502
.LBB364_2501:
	s_mov_b32 s0, -1
	s_mov_b32 s6, 0
.LBB364_2502:
                                        ; implicit-def: $vgpr10_vgpr11
.LBB364_2503:
	s_and_b32 vcc_lo, exec_lo, s7
	s_cbranch_vccz .LBB364_2507
; %bb.2504:
	s_cmp_eq_u32 s12, 44
	s_cbranch_scc0 .LBB364_2506
; %bb.2505:
	global_load_u8 v1, v[24:25], off
	s_mov_b32 s0, 0
	s_mov_b32 s6, -1
	s_wait_loadcnt 0x0
	v_lshlrev_b32_e32 v3, 23, v1
	v_cmp_ne_u32_e32 vcc_lo, 0, v1
	s_delay_alu instid0(VALU_DEP_2) | instskip(NEXT) | instid1(VALU_DEP_1)
	v_trunc_f32_e32 v3, v3
	v_mul_f32_e32 v5, 0x2f800000, v3
	s_delay_alu instid0(VALU_DEP_1) | instskip(NEXT) | instid1(VALU_DEP_1)
	v_floor_f32_e32 v5, v5
	v_fmamk_f32 v3, v5, 0xcf800000, v3
	v_cvt_u32_f32_e32 v5, v5
	s_delay_alu instid0(VALU_DEP_2) | instskip(NEXT) | instid1(VALU_DEP_1)
	v_cvt_u32_f32_e32 v3, v3
	v_dual_cndmask_b32 v11, 0, v5 :: v_dual_cndmask_b32 v10, 0, v3
	s_branch .LBB364_2507
.LBB364_2506:
	s_mov_b32 s0, -1
                                        ; implicit-def: $vgpr10_vgpr11
.LBB364_2507:
	s_mov_b32 s7, 0
.LBB364_2508:
	s_delay_alu instid0(SALU_CYCLE_1)
	s_and_b32 vcc_lo, exec_lo, s7
	s_cbranch_vccz .LBB364_2512
; %bb.2509:
	s_cmp_eq_u32 s12, 29
	s_cbranch_scc0 .LBB364_2511
; %bb.2510:
	global_load_b64 v[10:11], v[24:25], off
	s_mov_b32 s0, 0
	s_mov_b32 s6, -1
	s_branch .LBB364_2512
.LBB364_2511:
	s_mov_b32 s0, -1
                                        ; implicit-def: $vgpr10_vgpr11
.LBB364_2512:
	s_mov_b32 s7, 0
.LBB364_2513:
	s_delay_alu instid0(SALU_CYCLE_1)
	s_and_b32 vcc_lo, exec_lo, s7
	s_cbranch_vccz .LBB364_2529
; %bb.2514:
	s_cmp_lt_i32 s12, 27
	s_cbranch_scc1 .LBB364_2517
; %bb.2515:
	s_cmp_gt_i32 s12, 27
	s_cbranch_scc0 .LBB364_2518
; %bb.2516:
	s_wait_loadcnt 0x0
	global_load_b32 v10, v[24:25], off
	v_mov_b32_e32 v11, 0
	s_mov_b32 s6, 0
	s_branch .LBB364_2519
.LBB364_2517:
	s_mov_b32 s6, -1
                                        ; implicit-def: $vgpr10_vgpr11
	s_branch .LBB364_2522
.LBB364_2518:
	s_mov_b32 s6, -1
                                        ; implicit-def: $vgpr10_vgpr11
.LBB364_2519:
	s_delay_alu instid0(SALU_CYCLE_1)
	s_and_not1_b32 vcc_lo, exec_lo, s6
	s_cbranch_vccnz .LBB364_2521
; %bb.2520:
	global_load_u16 v1, v[24:25], off
	s_mov_b32 s6, 0
	s_wait_loadcnt 0x1
	v_mov_b32_e32 v11, s6
	s_wait_loadcnt 0x0
	v_and_b32_e32 v10, 0xffff, v1
.LBB364_2521:
	s_mov_b32 s6, 0
.LBB364_2522:
	s_delay_alu instid0(SALU_CYCLE_1)
	s_and_not1_b32 vcc_lo, exec_lo, s6
	s_cbranch_vccnz .LBB364_2528
; %bb.2523:
	global_load_u8 v1, v[24:25], off
	s_mov_b32 s7, 0
	s_mov_b32 s6, exec_lo
	s_wait_loadcnt 0x0
	v_cmpx_lt_i16_e32 0x7f, v1
	s_xor_b32 s6, exec_lo, s6
	s_cbranch_execz .LBB364_2540
; %bb.2524:
	v_cmp_ne_u16_e32 vcc_lo, 0x80, v1
	s_and_b32 s7, vcc_lo, exec_lo
	s_and_not1_saveexec_b32 s6, s6
	s_cbranch_execnz .LBB364_2541
.LBB364_2525:
	s_or_b32 exec_lo, exec_lo, s6
	v_mov_b64_e32 v[10:11], 0
	s_and_saveexec_b32 s6, s7
	s_cbranch_execz .LBB364_2527
.LBB364_2526:
	v_and_b32_e32 v3, 0xffff, v1
	s_delay_alu instid0(VALU_DEP_1) | instskip(SKIP_1) | instid1(VALU_DEP_2)
	v_dual_lshlrev_b32 v1, 24, v1 :: v_dual_bitop2_b32 v5, 7, v3 bitop3:0x40
	v_bfe_u32 v11, v3, 3, 4
	v_and_b32_e32 v1, 0x80000000, v1
	s_delay_alu instid0(VALU_DEP_3) | instskip(NEXT) | instid1(VALU_DEP_3)
	v_clz_i32_u32_e32 v7, v5
	v_cmp_eq_u32_e32 vcc_lo, 0, v11
	s_delay_alu instid0(VALU_DEP_2) | instskip(NEXT) | instid1(VALU_DEP_1)
	v_min_u32_e32 v7, 32, v7
	v_subrev_nc_u32_e32 v10, 28, v7
	v_sub_nc_u32_e32 v7, 29, v7
	s_delay_alu instid0(VALU_DEP_2) | instskip(NEXT) | instid1(VALU_DEP_2)
	v_lshlrev_b32_e32 v3, v10, v3
	v_cndmask_b32_e32 v7, v11, v7, vcc_lo
	s_delay_alu instid0(VALU_DEP_2) | instskip(NEXT) | instid1(VALU_DEP_1)
	v_and_b32_e32 v3, 7, v3
	v_cndmask_b32_e32 v3, v5, v3, vcc_lo
	s_delay_alu instid0(VALU_DEP_3) | instskip(NEXT) | instid1(VALU_DEP_2)
	v_lshl_add_u32 v5, v7, 23, 0x3b800000
	v_lshlrev_b32_e32 v3, 20, v3
	s_delay_alu instid0(VALU_DEP_1) | instskip(NEXT) | instid1(VALU_DEP_1)
	v_or3_b32 v1, v1, v5, v3
	v_trunc_f32_e32 v1, v1
	s_delay_alu instid0(VALU_DEP_1) | instskip(NEXT) | instid1(VALU_DEP_1)
	v_mul_f32_e32 v3, 0x2f800000, v1
	v_floor_f32_e32 v3, v3
	s_delay_alu instid0(VALU_DEP_1) | instskip(SKIP_1) | instid1(VALU_DEP_2)
	v_fmamk_f32 v1, v3, 0xcf800000, v1
	v_cvt_u32_f32_e32 v11, v3
	v_cvt_u32_f32_e32 v10, v1
.LBB364_2527:
	s_or_b32 exec_lo, exec_lo, s6
.LBB364_2528:
	s_mov_b32 s6, -1
.LBB364_2529:
	s_mov_b32 s7, 0
.LBB364_2530:
	s_delay_alu instid0(SALU_CYCLE_1)
	s_and_b32 vcc_lo, exec_lo, s7
	s_cbranch_vccz .LBB364_2561
; %bb.2531:
	s_cmp_gt_i32 s12, 22
	s_cbranch_scc0 .LBB364_2539
; %bb.2532:
	s_cmp_lt_i32 s12, 24
	s_cbranch_scc1 .LBB364_2542
; %bb.2533:
	s_cmp_gt_i32 s12, 24
	s_cbranch_scc0 .LBB364_2543
; %bb.2534:
	global_load_u8 v1, v[24:25], off
	s_mov_b32 s6, 0
	s_mov_b32 s1, exec_lo
	s_wait_loadcnt 0x0
	v_cmpx_lt_i16_e32 0x7f, v1
	s_xor_b32 s1, exec_lo, s1
	s_cbranch_execz .LBB364_2555
; %bb.2535:
	v_cmp_ne_u16_e32 vcc_lo, 0x80, v1
	s_and_b32 s6, vcc_lo, exec_lo
	s_and_not1_saveexec_b32 s1, s1
	s_cbranch_execnz .LBB364_2556
.LBB364_2536:
	s_or_b32 exec_lo, exec_lo, s1
	v_mov_b64_e32 v[10:11], 0
	s_and_saveexec_b32 s1, s6
	s_cbranch_execz .LBB364_2538
.LBB364_2537:
	v_and_b32_e32 v3, 0xffff, v1
	s_delay_alu instid0(VALU_DEP_1) | instskip(SKIP_1) | instid1(VALU_DEP_2)
	v_dual_lshlrev_b32 v1, 24, v1 :: v_dual_bitop2_b32 v5, 3, v3 bitop3:0x40
	v_bfe_u32 v11, v3, 2, 5
	v_and_b32_e32 v1, 0x80000000, v1
	s_delay_alu instid0(VALU_DEP_3) | instskip(NEXT) | instid1(VALU_DEP_3)
	v_clz_i32_u32_e32 v7, v5
	v_cmp_eq_u32_e32 vcc_lo, 0, v11
	s_delay_alu instid0(VALU_DEP_2) | instskip(NEXT) | instid1(VALU_DEP_1)
	v_min_u32_e32 v7, 32, v7
	v_subrev_nc_u32_e32 v10, 29, v7
	v_sub_nc_u32_e32 v7, 30, v7
	s_delay_alu instid0(VALU_DEP_2) | instskip(NEXT) | instid1(VALU_DEP_2)
	v_lshlrev_b32_e32 v3, v10, v3
	v_cndmask_b32_e32 v7, v11, v7, vcc_lo
	s_delay_alu instid0(VALU_DEP_2) | instskip(NEXT) | instid1(VALU_DEP_1)
	v_and_b32_e32 v3, 3, v3
	v_cndmask_b32_e32 v3, v5, v3, vcc_lo
	s_delay_alu instid0(VALU_DEP_3) | instskip(NEXT) | instid1(VALU_DEP_2)
	v_lshl_add_u32 v5, v7, 23, 0x37800000
	v_lshlrev_b32_e32 v3, 21, v3
	s_delay_alu instid0(VALU_DEP_1) | instskip(NEXT) | instid1(VALU_DEP_1)
	v_or3_b32 v1, v1, v5, v3
	v_trunc_f32_e32 v1, v1
	s_delay_alu instid0(VALU_DEP_1) | instskip(NEXT) | instid1(VALU_DEP_1)
	v_mul_f32_e32 v3, 0x2f800000, v1
	v_floor_f32_e32 v3, v3
	s_delay_alu instid0(VALU_DEP_1) | instskip(SKIP_1) | instid1(VALU_DEP_2)
	v_fmamk_f32 v1, v3, 0xcf800000, v1
	v_cvt_u32_f32_e32 v11, v3
	v_cvt_u32_f32_e32 v10, v1
.LBB364_2538:
	s_or_b32 exec_lo, exec_lo, s1
	s_mov_b32 s1, 0
	s_branch .LBB364_2544
.LBB364_2539:
	s_mov_b32 s1, -1
                                        ; implicit-def: $vgpr10_vgpr11
	s_branch .LBB364_2550
.LBB364_2540:
	s_and_not1_saveexec_b32 s6, s6
	s_cbranch_execz .LBB364_2525
.LBB364_2541:
	v_cmp_ne_u16_e32 vcc_lo, 0, v1
	s_and_not1_b32 s7, s7, exec_lo
	s_and_b32 s11, vcc_lo, exec_lo
	s_delay_alu instid0(SALU_CYCLE_1)
	s_or_b32 s7, s7, s11
	s_or_b32 exec_lo, exec_lo, s6
	v_mov_b64_e32 v[10:11], 0
	s_and_saveexec_b32 s6, s7
	s_cbranch_execnz .LBB364_2526
	s_branch .LBB364_2527
.LBB364_2542:
	s_mov_b32 s1, -1
                                        ; implicit-def: $vgpr10_vgpr11
	s_branch .LBB364_2547
.LBB364_2543:
	s_mov_b32 s1, -1
                                        ; implicit-def: $vgpr10_vgpr11
.LBB364_2544:
	s_delay_alu instid0(SALU_CYCLE_1)
	s_and_b32 vcc_lo, exec_lo, s1
	s_cbranch_vccz .LBB364_2546
; %bb.2545:
	global_load_u8 v1, v[24:25], off
	s_wait_loadcnt 0x0
	v_lshlrev_b32_e32 v1, 24, v1
	s_delay_alu instid0(VALU_DEP_1) | instskip(NEXT) | instid1(VALU_DEP_1)
	v_and_b32_e32 v3, 0x7f000000, v1
	v_clz_i32_u32_e32 v5, v3
	v_cmp_ne_u32_e32 vcc_lo, 0, v3
	v_add_nc_u32_e32 v10, 0x1000000, v3
	s_delay_alu instid0(VALU_DEP_3) | instskip(NEXT) | instid1(VALU_DEP_1)
	v_min_u32_e32 v5, 32, v5
	v_sub_nc_u32_e64 v5, v5, 4 clamp
	s_delay_alu instid0(VALU_DEP_1) | instskip(NEXT) | instid1(VALU_DEP_1)
	v_dual_lshlrev_b32 v7, v5, v3 :: v_dual_lshlrev_b32 v5, 23, v5
	v_lshrrev_b32_e32 v7, 4, v7
	s_delay_alu instid0(VALU_DEP_1) | instskip(NEXT) | instid1(VALU_DEP_1)
	v_dual_sub_nc_u32 v5, v7, v5 :: v_dual_ashrrev_i32 v7, 8, v10
	v_add_nc_u32_e32 v5, 0x3c000000, v5
	s_delay_alu instid0(VALU_DEP_1) | instskip(NEXT) | instid1(VALU_DEP_1)
	v_and_or_b32 v5, 0x7f800000, v7, v5
	v_cndmask_b32_e32 v3, 0, v5, vcc_lo
	s_delay_alu instid0(VALU_DEP_1) | instskip(NEXT) | instid1(VALU_DEP_1)
	v_and_or_b32 v1, 0x80000000, v1, v3
	v_trunc_f32_e32 v1, v1
	s_delay_alu instid0(VALU_DEP_1) | instskip(NEXT) | instid1(VALU_DEP_1)
	v_mul_f32_e32 v3, 0x2f800000, v1
	v_floor_f32_e32 v3, v3
	s_delay_alu instid0(VALU_DEP_1) | instskip(SKIP_1) | instid1(VALU_DEP_2)
	v_fmamk_f32 v1, v3, 0xcf800000, v1
	v_cvt_u32_f32_e32 v11, v3
	v_cvt_u32_f32_e32 v10, v1
.LBB364_2546:
	s_mov_b32 s1, 0
.LBB364_2547:
	s_delay_alu instid0(SALU_CYCLE_1)
	s_and_not1_b32 vcc_lo, exec_lo, s1
	s_cbranch_vccnz .LBB364_2549
; %bb.2548:
	global_load_u8 v1, v[24:25], off
	s_wait_loadcnt 0x0
	v_lshlrev_b32_e32 v3, 25, v1
	v_lshlrev_b16 v1, 8, v1
	s_delay_alu instid0(VALU_DEP_1) | instskip(SKIP_1) | instid1(VALU_DEP_2)
	v_and_or_b32 v7, 0x7f00, v1, 0.5
	v_bfe_i32 v1, v1, 0, 16
	v_add_f32_e32 v7, -0.5, v7
	v_lshrrev_b32_e32 v5, 4, v3
	v_cmp_gt_u32_e32 vcc_lo, 0x8000000, v3
	s_delay_alu instid0(VALU_DEP_2) | instskip(NEXT) | instid1(VALU_DEP_1)
	v_or_b32_e32 v5, 0x70000000, v5
	v_mul_f32_e32 v5, 0x7800000, v5
	s_delay_alu instid0(VALU_DEP_1) | instskip(NEXT) | instid1(VALU_DEP_1)
	v_cndmask_b32_e32 v3, v5, v7, vcc_lo
	v_and_or_b32 v1, 0x80000000, v1, v3
	s_delay_alu instid0(VALU_DEP_1) | instskip(NEXT) | instid1(VALU_DEP_1)
	v_trunc_f32_e32 v1, v1
	v_mul_f32_e32 v3, 0x2f800000, v1
	s_delay_alu instid0(VALU_DEP_1) | instskip(NEXT) | instid1(VALU_DEP_1)
	v_floor_f32_e32 v3, v3
	v_fmamk_f32 v1, v3, 0xcf800000, v1
	v_cvt_u32_f32_e32 v11, v3
	s_delay_alu instid0(VALU_DEP_2)
	v_cvt_u32_f32_e32 v10, v1
.LBB364_2549:
	s_mov_b32 s1, 0
	s_mov_b32 s6, -1
.LBB364_2550:
	s_and_not1_b32 vcc_lo, exec_lo, s1
	s_mov_b32 s1, 0
	s_cbranch_vccnz .LBB364_2561
; %bb.2551:
	s_cmp_gt_i32 s12, 14
	s_cbranch_scc0 .LBB364_2554
; %bb.2552:
	s_cmp_eq_u32 s12, 15
	s_cbranch_scc0 .LBB364_2557
; %bb.2553:
	global_load_u16 v1, v[24:25], off
	s_mov_b32 s0, 0
	s_mov_b32 s6, -1
	s_wait_loadcnt 0x0
	v_lshlrev_b32_e32 v1, 16, v1
	s_delay_alu instid0(VALU_DEP_1) | instskip(NEXT) | instid1(VALU_DEP_1)
	v_trunc_f32_e32 v1, v1
	v_mul_f32_e32 v3, 0x2f800000, v1
	s_delay_alu instid0(VALU_DEP_1) | instskip(NEXT) | instid1(VALU_DEP_1)
	v_floor_f32_e32 v3, v3
	v_fmamk_f32 v1, v3, 0xcf800000, v1
	v_cvt_u32_f32_e32 v11, v3
	s_delay_alu instid0(VALU_DEP_2)
	v_cvt_u32_f32_e32 v10, v1
	s_branch .LBB364_2559
.LBB364_2554:
	s_mov_b32 s1, -1
	s_branch .LBB364_2558
.LBB364_2555:
	s_and_not1_saveexec_b32 s1, s1
	s_cbranch_execz .LBB364_2536
.LBB364_2556:
	v_cmp_ne_u16_e32 vcc_lo, 0, v1
	s_and_not1_b32 s6, s6, exec_lo
	s_and_b32 s7, vcc_lo, exec_lo
	s_delay_alu instid0(SALU_CYCLE_1)
	s_or_b32 s6, s6, s7
	s_or_b32 exec_lo, exec_lo, s1
	v_mov_b64_e32 v[10:11], 0
	s_and_saveexec_b32 s1, s6
	s_cbranch_execnz .LBB364_2537
	s_branch .LBB364_2538
.LBB364_2557:
	s_mov_b32 s0, -1
.LBB364_2558:
                                        ; implicit-def: $vgpr10_vgpr11
.LBB364_2559:
	s_and_b32 vcc_lo, exec_lo, s1
	s_mov_b32 s1, 0
	s_cbranch_vccz .LBB364_2561
; %bb.2560:
	s_cmp_lg_u32 s12, 11
	s_mov_b32 s1, -1
	s_cselect_b32 s0, -1, 0
.LBB364_2561:
	s_delay_alu instid0(SALU_CYCLE_1)
	s_and_b32 vcc_lo, exec_lo, s0
	s_cbranch_vccnz .LBB364_3093
; %bb.2562:
	s_and_not1_b32 vcc_lo, exec_lo, s1
	s_cbranch_vccnz .LBB364_2564
.LBB364_2563:
	global_load_u8 v1, v[24:25], off
	s_mov_b32 s0, 0
	s_mov_b32 s6, -1
	s_wait_loadcnt 0x1
	v_mov_b32_e32 v11, s0
	s_wait_loadcnt 0x0
	v_cmp_ne_u16_e32 vcc_lo, 0, v1
	v_cndmask_b32_e64 v10, 0, 1, vcc_lo
.LBB364_2564:
	s_mov_b32 s0, 0
.LBB364_2565:
	s_delay_alu instid0(SALU_CYCLE_1)
	s_and_b32 vcc_lo, exec_lo, s0
	s_cbranch_vccz .LBB364_2614
; %bb.2566:
	s_cmp_lt_i32 s12, 5
	s_cbranch_scc1 .LBB364_2571
; %bb.2567:
	s_cmp_lt_i32 s12, 8
	s_cbranch_scc1 .LBB364_2572
	;; [unrolled: 3-line block ×3, first 2 shown]
; %bb.2569:
	s_cmp_gt_i32 s12, 9
	s_cbranch_scc0 .LBB364_2574
; %bb.2570:
	s_wait_loadcnt 0x0
	global_load_b64 v[10:11], v[24:25], off
	s_mov_b32 s0, 0
	s_wait_loadcnt 0x0
	v_trunc_f64_e32 v[10:11], v[10:11]
	s_delay_alu instid0(VALU_DEP_1) | instskip(NEXT) | instid1(VALU_DEP_1)
	v_ldexp_f64 v[26:27], v[10:11], 0xffffffe0
	v_floor_f64_e32 v[26:27], v[26:27]
	s_delay_alu instid0(VALU_DEP_1) | instskip(SKIP_1) | instid1(VALU_DEP_2)
	v_fmamk_f64 v[28:29], v[26:27], 0xc1f00000, v[10:11]
	v_cvt_u32_f64_e32 v11, v[26:27]
	v_cvt_u32_f64_e32 v10, v[28:29]
	s_branch .LBB364_2575
.LBB364_2571:
	s_mov_b32 s0, -1
                                        ; implicit-def: $vgpr10_vgpr11
	s_branch .LBB364_2593
.LBB364_2572:
	s_mov_b32 s0, -1
                                        ; implicit-def: $vgpr10_vgpr11
	s_branch .LBB364_2581
.LBB364_2573:
	s_mov_b32 s0, -1
                                        ; implicit-def: $vgpr10_vgpr11
	s_branch .LBB364_2578
.LBB364_2574:
	s_mov_b32 s0, -1
                                        ; implicit-def: $vgpr10_vgpr11
.LBB364_2575:
	s_delay_alu instid0(SALU_CYCLE_1)
	s_and_not1_b32 vcc_lo, exec_lo, s0
	s_cbranch_vccnz .LBB364_2577
; %bb.2576:
	global_load_b32 v1, v[24:25], off
	s_wait_loadcnt 0x0
	v_trunc_f32_e32 v1, v1
	s_delay_alu instid0(VALU_DEP_1) | instskip(NEXT) | instid1(VALU_DEP_1)
	v_mul_f32_e32 v3, 0x2f800000, v1
	v_floor_f32_e32 v3, v3
	s_delay_alu instid0(VALU_DEP_1) | instskip(SKIP_1) | instid1(VALU_DEP_2)
	v_fmamk_f32 v1, v3, 0xcf800000, v1
	v_cvt_u32_f32_e32 v11, v3
	v_cvt_u32_f32_e32 v10, v1
.LBB364_2577:
	s_mov_b32 s0, 0
.LBB364_2578:
	s_delay_alu instid0(SALU_CYCLE_1)
	s_and_not1_b32 vcc_lo, exec_lo, s0
	s_cbranch_vccnz .LBB364_2580
; %bb.2579:
	global_load_b32 v1, v[24:25], off
	s_wait_loadcnt 0x1
	v_mov_b32_e32 v11, 0
	s_wait_loadcnt 0x0
	v_cvt_f32_f16_e32 v1, v1
	s_delay_alu instid0(VALU_DEP_1)
	v_cvt_u32_f32_e32 v10, v1
.LBB364_2580:
	s_mov_b32 s0, 0
.LBB364_2581:
	s_delay_alu instid0(SALU_CYCLE_1)
	s_and_not1_b32 vcc_lo, exec_lo, s0
	s_cbranch_vccnz .LBB364_2592
; %bb.2582:
	s_cmp_lt_i32 s12, 6
	s_cbranch_scc1 .LBB364_2585
; %bb.2583:
	s_cmp_gt_i32 s12, 6
	s_cbranch_scc0 .LBB364_2586
; %bb.2584:
	s_wait_loadcnt 0x0
	global_load_b64 v[10:11], v[24:25], off
	s_mov_b32 s0, 0
	s_wait_loadcnt 0x0
	v_trunc_f64_e32 v[10:11], v[10:11]
	s_delay_alu instid0(VALU_DEP_1) | instskip(NEXT) | instid1(VALU_DEP_1)
	v_ldexp_f64 v[26:27], v[10:11], 0xffffffe0
	v_floor_f64_e32 v[26:27], v[26:27]
	s_delay_alu instid0(VALU_DEP_1) | instskip(SKIP_1) | instid1(VALU_DEP_2)
	v_fmamk_f64 v[28:29], v[26:27], 0xc1f00000, v[10:11]
	v_cvt_u32_f64_e32 v11, v[26:27]
	v_cvt_u32_f64_e32 v10, v[28:29]
	s_branch .LBB364_2587
.LBB364_2585:
	s_mov_b32 s0, -1
                                        ; implicit-def: $vgpr10_vgpr11
	s_branch .LBB364_2590
.LBB364_2586:
	s_mov_b32 s0, -1
                                        ; implicit-def: $vgpr10_vgpr11
.LBB364_2587:
	s_delay_alu instid0(SALU_CYCLE_1)
	s_and_not1_b32 vcc_lo, exec_lo, s0
	s_cbranch_vccnz .LBB364_2589
; %bb.2588:
	global_load_b32 v1, v[24:25], off
	s_wait_loadcnt 0x0
	v_trunc_f32_e32 v1, v1
	s_delay_alu instid0(VALU_DEP_1) | instskip(NEXT) | instid1(VALU_DEP_1)
	v_mul_f32_e32 v3, 0x2f800000, v1
	v_floor_f32_e32 v3, v3
	s_delay_alu instid0(VALU_DEP_1) | instskip(SKIP_1) | instid1(VALU_DEP_2)
	v_fmamk_f32 v1, v3, 0xcf800000, v1
	v_cvt_u32_f32_e32 v11, v3
	v_cvt_u32_f32_e32 v10, v1
.LBB364_2589:
	s_mov_b32 s0, 0
.LBB364_2590:
	s_delay_alu instid0(SALU_CYCLE_1)
	s_and_not1_b32 vcc_lo, exec_lo, s0
	s_cbranch_vccnz .LBB364_2592
; %bb.2591:
	global_load_u16 v1, v[24:25], off
	s_wait_loadcnt 0x1
	v_mov_b32_e32 v11, 0
	s_wait_loadcnt 0x0
	v_cvt_f32_f16_e32 v1, v1
	s_delay_alu instid0(VALU_DEP_1)
	v_cvt_u32_f32_e32 v10, v1
.LBB364_2592:
	s_mov_b32 s0, 0
.LBB364_2593:
	s_delay_alu instid0(SALU_CYCLE_1)
	s_and_not1_b32 vcc_lo, exec_lo, s0
	s_cbranch_vccnz .LBB364_2613
; %bb.2594:
	s_cmp_lt_i32 s12, 2
	s_cbranch_scc1 .LBB364_2598
; %bb.2595:
	s_cmp_lt_i32 s12, 3
	s_cbranch_scc1 .LBB364_2599
; %bb.2596:
	s_cmp_gt_i32 s12, 3
	s_cbranch_scc0 .LBB364_2600
; %bb.2597:
	s_wait_loadcnt 0x0
	global_load_b64 v[10:11], v[24:25], off
	s_mov_b32 s0, 0
	s_branch .LBB364_2601
.LBB364_2598:
	s_mov_b32 s0, -1
                                        ; implicit-def: $vgpr10_vgpr11
	s_branch .LBB364_2607
.LBB364_2599:
	s_mov_b32 s0, -1
                                        ; implicit-def: $vgpr10_vgpr11
	s_branch .LBB364_2604
.LBB364_2600:
	s_mov_b32 s0, -1
                                        ; implicit-def: $vgpr10_vgpr11
.LBB364_2601:
	s_delay_alu instid0(SALU_CYCLE_1)
	s_and_not1_b32 vcc_lo, exec_lo, s0
	s_cbranch_vccnz .LBB364_2603
; %bb.2602:
	s_wait_loadcnt 0x0
	global_load_b32 v10, v[24:25], off
	s_wait_loadcnt 0x0
	v_ashrrev_i32_e32 v11, 31, v10
.LBB364_2603:
	s_mov_b32 s0, 0
.LBB364_2604:
	s_delay_alu instid0(SALU_CYCLE_1)
	s_and_not1_b32 vcc_lo, exec_lo, s0
	s_cbranch_vccnz .LBB364_2606
; %bb.2605:
	global_load_u16 v1, v[24:25], off
	s_wait_loadcnt 0x0
	v_bfe_i32 v10, v1, 0, 16
	s_delay_alu instid0(VALU_DEP_1)
	v_ashrrev_i32_e32 v11, 31, v10
.LBB364_2606:
	s_mov_b32 s0, 0
.LBB364_2607:
	s_delay_alu instid0(SALU_CYCLE_1)
	s_and_not1_b32 vcc_lo, exec_lo, s0
	s_cbranch_vccnz .LBB364_2613
; %bb.2608:
	s_cmp_gt_i32 s12, 0
	s_mov_b32 s0, 0
	s_cbranch_scc0 .LBB364_2610
; %bb.2609:
	global_load_i8 v1, v[24:25], off
	s_wait_loadcnt 0x0
	v_bfe_i32 v10, v1, 0, 16
	s_delay_alu instid0(VALU_DEP_1)
	v_ashrrev_i32_e32 v11, 31, v10
	s_branch .LBB364_2611
.LBB364_2610:
	s_mov_b32 s0, -1
                                        ; implicit-def: $vgpr10_vgpr11
.LBB364_2611:
	s_delay_alu instid0(SALU_CYCLE_1)
	s_and_not1_b32 vcc_lo, exec_lo, s0
	s_cbranch_vccnz .LBB364_2613
; %bb.2612:
	global_load_u8 v1, v[24:25], off
	s_mov_b32 s0, 0
	s_wait_loadcnt 0x1
	v_mov_b32_e32 v11, s0
	s_wait_loadcnt 0x0
	v_and_b32_e32 v10, 0xffff, v1
.LBB364_2613:
	s_mov_b32 s6, -1
.LBB364_2614:
	s_delay_alu instid0(SALU_CYCLE_1)
	s_and_not1_b32 vcc_lo, exec_lo, s6
	s_cbranch_vccnz .LBB364_3047
; %bb.2615:
	s_load_b64 s[0:1], s[2:3], 0x1a0
	v_mov_b32_e32 v7, 0
	s_wait_loadcnt 0x0
	v_cmp_ne_u64_e32 vcc_lo, v[8:9], v[12:13]
	s_mov_b32 s11, 0
	s_delay_alu instid0(VALU_DEP_2)
	v_add_nc_u64_e32 v[6:7], s[4:5], v[6:7]
	s_wait_kmcnt 0x0
	s_cmp_eq_u32 s0, 0
	s_mov_b32 s0, -1
	s_cselect_b32 s2, -1, 0
	s_and_b32 s1, s1, 0xff
	s_xor_b32 s3, s2, vcc_lo
	s_cmp_lt_i32 s1, 11
	s_cbranch_scc1 .LBB364_2694
; %bb.2616:
	s_and_b32 s6, 0xffff, s1
	s_mov_b32 s12, -1
	s_mov_b32 s7, 0
	s_cmp_gt_i32 s6, 25
	s_mov_b32 s0, 0
	s_cbranch_scc0 .LBB364_2649
; %bb.2617:
	s_cmp_gt_i32 s6, 28
	s_cbranch_scc0 .LBB364_2632
; %bb.2618:
	s_cmp_gt_i32 s6, 43
	;; [unrolled: 3-line block ×3, first 2 shown]
	s_cbranch_scc0 .LBB364_2622
; %bb.2620:
	s_mov_b32 s0, -1
	s_mov_b32 s12, 0
	s_cmp_eq_u32 s6, 46
	s_cbranch_scc0 .LBB364_2622
; %bb.2621:
	v_cndmask_b32_e64 v1, 0, 1.0, s3
	s_mov_b32 s0, 0
	s_mov_b32 s11, -1
	s_delay_alu instid0(VALU_DEP_1) | instskip(NEXT) | instid1(VALU_DEP_1)
	v_bfe_u32 v3, v1, 16, 1
	v_add3_u32 v1, v1, v3, 0x7fff
	s_delay_alu instid0(VALU_DEP_1)
	v_lshrrev_b32_e32 v1, 16, v1
	global_store_b32 v[6:7], v1, off
.LBB364_2622:
	s_and_b32 vcc_lo, exec_lo, s12
	s_cbranch_vccz .LBB364_2627
; %bb.2623:
	s_cmp_eq_u32 s6, 44
	s_mov_b32 s0, -1
	s_cbranch_scc0 .LBB364_2627
; %bb.2624:
	v_cndmask_b32_e64 v5, 0, 1.0, s3
	v_mov_b32_e32 v3, 0xff
	s_mov_b32 s11, exec_lo
	s_wait_xcnt 0x0
	s_delay_alu instid0(VALU_DEP_2) | instskip(NEXT) | instid1(VALU_DEP_1)
	v_lshrrev_b32_e32 v1, 23, v5
	v_cmpx_ne_u32_e32 0xff, v1
; %bb.2625:
	v_and_b32_e32 v3, 0x400000, v5
	v_and_or_b32 v5, 0x3fffff, v5, v1
	s_delay_alu instid0(VALU_DEP_2) | instskip(NEXT) | instid1(VALU_DEP_2)
	v_cmp_ne_u32_e32 vcc_lo, 0, v3
	v_cmp_ne_u32_e64 s0, 0, v5
	s_and_b32 s0, vcc_lo, s0
	s_delay_alu instid0(SALU_CYCLE_1) | instskip(NEXT) | instid1(VALU_DEP_1)
	v_cndmask_b32_e64 v3, 0, 1, s0
	v_add_nc_u32_e32 v3, v1, v3
; %bb.2626:
	s_or_b32 exec_lo, exec_lo, s11
	s_mov_b32 s0, 0
	s_mov_b32 s11, -1
	global_store_b8 v[6:7], v3, off
.LBB364_2627:
	s_mov_b32 s12, 0
.LBB364_2628:
	s_delay_alu instid0(SALU_CYCLE_1)
	s_and_b32 vcc_lo, exec_lo, s12
	s_cbranch_vccz .LBB364_2631
; %bb.2629:
	s_cmp_eq_u32 s6, 29
	s_mov_b32 s0, -1
	s_cbranch_scc0 .LBB364_2631
; %bb.2630:
	s_mov_b32 s0, 0
	v_cndmask_b32_e64 v8, 0, 1, s3
	v_mov_b32_e32 v9, s0
	s_mov_b32 s11, -1
	global_store_b64 v[6:7], v[8:9], off
.LBB364_2631:
	s_mov_b32 s12, 0
.LBB364_2632:
	s_delay_alu instid0(SALU_CYCLE_1)
	s_and_b32 vcc_lo, exec_lo, s12
	s_cbranch_vccz .LBB364_2648
; %bb.2633:
	s_cmp_lt_i32 s6, 27
	s_mov_b32 s11, -1
	s_cbranch_scc1 .LBB364_2639
; %bb.2634:
	s_cmp_gt_i32 s6, 27
	s_cbranch_scc0 .LBB364_2636
; %bb.2635:
	s_wait_xcnt 0x0
	v_cndmask_b32_e64 v1, 0, 1, s3
	s_mov_b32 s11, 0
	global_store_b32 v[6:7], v1, off
.LBB364_2636:
	s_and_not1_b32 vcc_lo, exec_lo, s11
	s_cbranch_vccnz .LBB364_2638
; %bb.2637:
	s_wait_xcnt 0x0
	v_cndmask_b32_e64 v1, 0, 1, s3
	global_store_b16 v[6:7], v1, off
.LBB364_2638:
	s_mov_b32 s11, 0
.LBB364_2639:
	s_delay_alu instid0(SALU_CYCLE_1)
	s_and_not1_b32 vcc_lo, exec_lo, s11
	s_cbranch_vccnz .LBB364_2647
; %bb.2640:
	s_wait_xcnt 0x0
	v_cndmask_b32_e64 v3, 0, 1.0, s3
	v_mov_b32_e32 v5, 0x80
	s_mov_b32 s11, exec_lo
	s_delay_alu instid0(VALU_DEP_2)
	v_cmpx_gt_u32_e32 0x43800000, v3
	s_cbranch_execz .LBB364_2646
; %bb.2641:
	s_mov_b32 s12, 0
	s_mov_b32 s13, exec_lo
                                        ; implicit-def: $vgpr1
	v_cmpx_lt_u32_e32 0x3bffffff, v3
	s_xor_b32 s13, exec_lo, s13
	s_cbranch_execz .LBB364_3094
; %bb.2642:
	v_bfe_u32 v1, v3, 20, 1
	s_mov_b32 s12, exec_lo
	s_delay_alu instid0(VALU_DEP_1) | instskip(NEXT) | instid1(VALU_DEP_1)
	v_add3_u32 v1, v3, v1, 0x487ffff
                                        ; implicit-def: $vgpr3
	v_lshrrev_b32_e32 v1, 20, v1
	s_and_not1_saveexec_b32 s13, s13
	s_cbranch_execnz .LBB364_3095
.LBB364_2643:
	s_or_b32 exec_lo, exec_lo, s13
	v_mov_b32_e32 v5, 0
	s_and_saveexec_b32 s13, s12
.LBB364_2644:
	v_mov_b32_e32 v5, v1
.LBB364_2645:
	s_or_b32 exec_lo, exec_lo, s13
.LBB364_2646:
	s_delay_alu instid0(SALU_CYCLE_1)
	s_or_b32 exec_lo, exec_lo, s11
	global_store_b8 v[6:7], v5, off
.LBB364_2647:
	s_mov_b32 s11, -1
.LBB364_2648:
	s_mov_b32 s12, 0
.LBB364_2649:
	s_delay_alu instid0(SALU_CYCLE_1)
	s_and_b32 vcc_lo, exec_lo, s12
	s_cbranch_vccz .LBB364_2689
; %bb.2650:
	s_cmp_gt_i32 s6, 22
	s_mov_b32 s7, -1
	s_cbranch_scc0 .LBB364_2682
; %bb.2651:
	s_cmp_lt_i32 s6, 24
	s_cbranch_scc1 .LBB364_2671
; %bb.2652:
	s_cmp_gt_i32 s6, 24
	s_cbranch_scc0 .LBB364_2660
; %bb.2653:
	s_wait_xcnt 0x0
	v_cndmask_b32_e64 v3, 0, 1.0, s3
	v_mov_b32_e32 v5, 0x80
	s_mov_b32 s7, exec_lo
	s_delay_alu instid0(VALU_DEP_2)
	v_cmpx_gt_u32_e32 0x47800000, v3
	s_cbranch_execz .LBB364_2659
; %bb.2654:
	s_mov_b32 s11, 0
	s_mov_b32 s12, exec_lo
                                        ; implicit-def: $vgpr1
	v_cmpx_lt_u32_e32 0x37ffffff, v3
	s_xor_b32 s12, exec_lo, s12
	s_cbranch_execz .LBB364_3097
; %bb.2655:
	v_bfe_u32 v1, v3, 21, 1
	s_mov_b32 s11, exec_lo
	s_delay_alu instid0(VALU_DEP_1) | instskip(NEXT) | instid1(VALU_DEP_1)
	v_add3_u32 v1, v3, v1, 0x88fffff
                                        ; implicit-def: $vgpr3
	v_lshrrev_b32_e32 v1, 21, v1
	s_and_not1_saveexec_b32 s12, s12
	s_cbranch_execnz .LBB364_3098
.LBB364_2656:
	s_or_b32 exec_lo, exec_lo, s12
	v_mov_b32_e32 v5, 0
	s_and_saveexec_b32 s12, s11
.LBB364_2657:
	v_mov_b32_e32 v5, v1
.LBB364_2658:
	s_or_b32 exec_lo, exec_lo, s12
.LBB364_2659:
	s_delay_alu instid0(SALU_CYCLE_1)
	s_or_b32 exec_lo, exec_lo, s7
	s_mov_b32 s7, 0
	global_store_b8 v[6:7], v5, off
.LBB364_2660:
	s_and_b32 vcc_lo, exec_lo, s7
	s_cbranch_vccz .LBB364_2670
; %bb.2661:
	s_wait_xcnt 0x0
	v_cndmask_b32_e64 v3, 0, 1.0, s3
	s_mov_b32 s7, exec_lo
                                        ; implicit-def: $vgpr1
	s_delay_alu instid0(VALU_DEP_1)
	v_cmpx_gt_u32_e32 0x43f00000, v3
	s_xor_b32 s7, exec_lo, s7
	s_cbranch_execz .LBB364_2667
; %bb.2662:
	s_mov_b32 s11, exec_lo
                                        ; implicit-def: $vgpr1
	v_cmpx_lt_u32_e32 0x3c7fffff, v3
	s_xor_b32 s11, exec_lo, s11
; %bb.2663:
	v_bfe_u32 v1, v3, 20, 1
	s_delay_alu instid0(VALU_DEP_1) | instskip(NEXT) | instid1(VALU_DEP_1)
	v_add3_u32 v1, v3, v1, 0x407ffff
	v_and_b32_e32 v3, 0xff00000, v1
	v_lshrrev_b32_e32 v1, 20, v1
	s_delay_alu instid0(VALU_DEP_2) | instskip(NEXT) | instid1(VALU_DEP_2)
	v_cmp_ne_u32_e32 vcc_lo, 0x7f00000, v3
                                        ; implicit-def: $vgpr3
	v_cndmask_b32_e32 v1, 0x7e, v1, vcc_lo
; %bb.2664:
	s_and_not1_saveexec_b32 s11, s11
; %bb.2665:
	v_add_f32_e32 v1, 0x46800000, v3
; %bb.2666:
	s_or_b32 exec_lo, exec_lo, s11
                                        ; implicit-def: $vgpr3
.LBB364_2667:
	s_and_not1_saveexec_b32 s7, s7
; %bb.2668:
	v_mov_b32_e32 v1, 0x7f
	v_cmp_lt_u32_e32 vcc_lo, 0x7f800000, v3
	s_delay_alu instid0(VALU_DEP_2)
	v_cndmask_b32_e32 v1, 0x7e, v1, vcc_lo
; %bb.2669:
	s_or_b32 exec_lo, exec_lo, s7
	global_store_b8 v[6:7], v1, off
.LBB364_2670:
	s_mov_b32 s7, 0
.LBB364_2671:
	s_delay_alu instid0(SALU_CYCLE_1)
	s_and_not1_b32 vcc_lo, exec_lo, s7
	s_cbranch_vccnz .LBB364_2681
; %bb.2672:
	s_wait_xcnt 0x0
	v_cndmask_b32_e64 v3, 0, 1.0, s3
	s_mov_b32 s7, exec_lo
                                        ; implicit-def: $vgpr1
	s_delay_alu instid0(VALU_DEP_1)
	v_cmpx_gt_u32_e32 0x47800000, v3
	s_xor_b32 s7, exec_lo, s7
	s_cbranch_execz .LBB364_2678
; %bb.2673:
	s_mov_b32 s11, exec_lo
                                        ; implicit-def: $vgpr1
	v_cmpx_lt_u32_e32 0x387fffff, v3
	s_xor_b32 s11, exec_lo, s11
; %bb.2674:
	v_bfe_u32 v1, v3, 21, 1
	s_delay_alu instid0(VALU_DEP_1) | instskip(NEXT) | instid1(VALU_DEP_1)
	v_add3_u32 v1, v3, v1, 0x80fffff
                                        ; implicit-def: $vgpr3
	v_lshrrev_b32_e32 v1, 21, v1
; %bb.2675:
	s_and_not1_saveexec_b32 s11, s11
; %bb.2676:
	v_add_f32_e32 v1, 0x43000000, v3
; %bb.2677:
	s_or_b32 exec_lo, exec_lo, s11
                                        ; implicit-def: $vgpr3
.LBB364_2678:
	s_and_not1_saveexec_b32 s7, s7
; %bb.2679:
	v_mov_b32_e32 v1, 0x7f
	v_cmp_lt_u32_e32 vcc_lo, 0x7f800000, v3
	s_delay_alu instid0(VALU_DEP_2)
	v_cndmask_b32_e32 v1, 0x7c, v1, vcc_lo
; %bb.2680:
	s_or_b32 exec_lo, exec_lo, s7
	global_store_b8 v[6:7], v1, off
.LBB364_2681:
	s_mov_b32 s7, 0
	s_mov_b32 s11, -1
.LBB364_2682:
	s_and_not1_b32 vcc_lo, exec_lo, s7
	s_mov_b32 s7, 0
	s_cbranch_vccnz .LBB364_2689
; %bb.2683:
	s_cmp_gt_i32 s6, 14
	s_mov_b32 s7, -1
	s_cbranch_scc0 .LBB364_2687
; %bb.2684:
	s_cmp_eq_u32 s6, 15
	s_mov_b32 s0, -1
	s_cbranch_scc0 .LBB364_2686
; %bb.2685:
	s_wait_xcnt 0x0
	v_cndmask_b32_e64 v1, 0, 1.0, s3
	s_mov_b32 s0, 0
	s_mov_b32 s11, -1
	s_delay_alu instid0(VALU_DEP_1) | instskip(NEXT) | instid1(VALU_DEP_1)
	v_bfe_u32 v3, v1, 16, 1
	v_add3_u32 v1, v1, v3, 0x7fff
	global_store_d16_hi_b16 v[6:7], v1, off
.LBB364_2686:
	s_mov_b32 s7, 0
.LBB364_2687:
	s_delay_alu instid0(SALU_CYCLE_1)
	s_and_b32 vcc_lo, exec_lo, s7
	s_mov_b32 s7, 0
	s_cbranch_vccz .LBB364_2689
; %bb.2688:
	s_cmp_lg_u32 s6, 11
	s_mov_b32 s7, -1
	s_cselect_b32 s0, -1, 0
.LBB364_2689:
	s_delay_alu instid0(SALU_CYCLE_1)
	s_and_b32 vcc_lo, exec_lo, s0
	s_cbranch_vccnz .LBB364_3096
; %bb.2690:
	s_and_not1_b32 vcc_lo, exec_lo, s7
	s_cbranch_vccnz .LBB364_2692
.LBB364_2691:
	s_wait_xcnt 0x0
	v_cndmask_b32_e64 v1, 0, 1, s3
	s_mov_b32 s11, -1
	global_store_b8 v[6:7], v1, off
.LBB364_2692:
.LBB364_2693:
	s_and_not1_b32 vcc_lo, exec_lo, s11
	s_cbranch_vccnz .LBB364_3047
	s_branch .LBB364_2733
.LBB364_2694:
	s_and_b32 vcc_lo, exec_lo, s0
	s_cbranch_vccz .LBB364_2693
; %bb.2695:
	s_and_b32 s0, 0xffff, s1
	s_mov_b32 s6, -1
	s_cmp_lt_i32 s0, 5
	s_cbranch_scc1 .LBB364_2716
; %bb.2696:
	s_cmp_lt_i32 s0, 8
	s_cbranch_scc1 .LBB364_2706
; %bb.2697:
	;; [unrolled: 3-line block ×3, first 2 shown]
	s_cmp_gt_i32 s0, 9
	s_cbranch_scc0 .LBB364_2700
; %bb.2699:
	s_wait_xcnt 0x0
	v_cndmask_b32_e64 v1, 0, 1, s3
	v_mov_b32_e32 v26, 0
	s_mov_b32 s6, 0
	s_delay_alu instid0(VALU_DEP_2) | instskip(NEXT) | instid1(VALU_DEP_2)
	v_cvt_f64_u32_e32 v[24:25], v1
	v_mov_b32_e32 v27, v26
	global_store_b128 v[6:7], v[24:27], off
.LBB364_2700:
	s_and_not1_b32 vcc_lo, exec_lo, s6
	s_cbranch_vccnz .LBB364_2702
; %bb.2701:
	s_wait_xcnt 0x0
	v_cndmask_b32_e64 v8, 0, 1.0, s3
	v_mov_b32_e32 v9, 0
	global_store_b64 v[6:7], v[8:9], off
.LBB364_2702:
	s_mov_b32 s6, 0
.LBB364_2703:
	s_delay_alu instid0(SALU_CYCLE_1)
	s_and_not1_b32 vcc_lo, exec_lo, s6
	s_cbranch_vccnz .LBB364_2705
; %bb.2704:
	s_wait_xcnt 0x0
	v_cndmask_b32_e64 v1, 0, 1.0, s3
	s_delay_alu instid0(VALU_DEP_1) | instskip(NEXT) | instid1(VALU_DEP_1)
	v_cvt_f16_f32_e32 v1, v1
	v_and_b32_e32 v1, 0xffff, v1
	global_store_b32 v[6:7], v1, off
.LBB364_2705:
	s_mov_b32 s6, 0
.LBB364_2706:
	s_delay_alu instid0(SALU_CYCLE_1)
	s_and_not1_b32 vcc_lo, exec_lo, s6
	s_cbranch_vccnz .LBB364_2715
; %bb.2707:
	s_cmp_lt_i32 s0, 6
	s_mov_b32 s6, -1
	s_cbranch_scc1 .LBB364_2713
; %bb.2708:
	s_cmp_gt_i32 s0, 6
	s_cbranch_scc0 .LBB364_2710
; %bb.2709:
	s_wait_xcnt 0x0
	v_cndmask_b32_e64 v1, 0, 1, s3
	s_mov_b32 s6, 0
	s_delay_alu instid0(VALU_DEP_1)
	v_cvt_f64_u32_e32 v[8:9], v1
	global_store_b64 v[6:7], v[8:9], off
.LBB364_2710:
	s_and_not1_b32 vcc_lo, exec_lo, s6
	s_cbranch_vccnz .LBB364_2712
; %bb.2711:
	s_wait_xcnt 0x0
	v_cndmask_b32_e64 v1, 0, 1.0, s3
	global_store_b32 v[6:7], v1, off
.LBB364_2712:
	s_mov_b32 s6, 0
.LBB364_2713:
	s_delay_alu instid0(SALU_CYCLE_1)
	s_and_not1_b32 vcc_lo, exec_lo, s6
	s_cbranch_vccnz .LBB364_2715
; %bb.2714:
	s_wait_xcnt 0x0
	v_cndmask_b32_e64 v1, 0, 1.0, s3
	s_delay_alu instid0(VALU_DEP_1)
	v_cvt_f16_f32_e32 v1, v1
	global_store_b16 v[6:7], v1, off
.LBB364_2715:
	s_mov_b32 s6, 0
.LBB364_2716:
	s_delay_alu instid0(SALU_CYCLE_1)
	s_and_not1_b32 vcc_lo, exec_lo, s6
	s_cbranch_vccnz .LBB364_2732
; %bb.2717:
	s_cmp_lt_i32 s0, 2
	s_mov_b32 s6, -1
	s_cbranch_scc1 .LBB364_2727
; %bb.2718:
	s_cmp_lt_i32 s0, 3
	s_cbranch_scc1 .LBB364_2724
; %bb.2719:
	s_cmp_gt_i32 s0, 3
	s_cbranch_scc0 .LBB364_2721
; %bb.2720:
	s_mov_b32 s6, 0
	s_wait_xcnt 0x0
	v_cndmask_b32_e64 v8, 0, 1, s3
	v_mov_b32_e32 v9, s6
	global_store_b64 v[6:7], v[8:9], off
.LBB364_2721:
	s_and_not1_b32 vcc_lo, exec_lo, s6
	s_cbranch_vccnz .LBB364_2723
; %bb.2722:
	s_wait_xcnt 0x0
	v_cndmask_b32_e64 v1, 0, 1, s3
	global_store_b32 v[6:7], v1, off
.LBB364_2723:
	s_mov_b32 s6, 0
.LBB364_2724:
	s_delay_alu instid0(SALU_CYCLE_1)
	s_and_not1_b32 vcc_lo, exec_lo, s6
	s_cbranch_vccnz .LBB364_2726
; %bb.2725:
	s_wait_xcnt 0x0
	v_cndmask_b32_e64 v1, 0, 1, s3
	global_store_b16 v[6:7], v1, off
.LBB364_2726:
	s_mov_b32 s6, 0
.LBB364_2727:
	s_delay_alu instid0(SALU_CYCLE_1)
	s_and_not1_b32 vcc_lo, exec_lo, s6
	s_cbranch_vccnz .LBB364_2732
; %bb.2728:
	s_wait_xcnt 0x0
	v_cndmask_b32_e64 v1, 0, 1, s3
	s_cmp_gt_i32 s0, 0
	s_mov_b32 s0, -1
	s_cbranch_scc0 .LBB364_2730
; %bb.2729:
	s_mov_b32 s0, 0
	global_store_b8 v[6:7], v1, off
.LBB364_2730:
	s_and_not1_b32 vcc_lo, exec_lo, s0
	s_cbranch_vccnz .LBB364_2732
; %bb.2731:
	global_store_b8 v[6:7], v1, off
.LBB364_2732:
.LBB364_2733:
	s_wait_xcnt 0x0
	v_mov_b32_e32 v5, 0
	v_cmp_ne_u64_e32 vcc_lo, v[14:15], v[18:19]
	s_and_b32 s3, 0xffff, s1
	s_delay_alu instid0(VALU_DEP_2)
	v_add_nc_u64_e32 v[4:5], s[4:5], v[4:5]
	s_xor_b32 s6, s2, vcc_lo
	s_cmp_lt_i32 s3, 11
	s_cbranch_scc1 .LBB364_2811
; %bb.2734:
	s_mov_b32 s12, -1
	s_mov_b32 s7, 0
	s_cmp_gt_i32 s3, 25
	s_mov_b32 s11, 0
	s_mov_b32 s0, 0
	s_cbranch_scc0 .LBB364_2767
; %bb.2735:
	s_cmp_gt_i32 s3, 28
	s_cbranch_scc0 .LBB364_2750
; %bb.2736:
	s_cmp_gt_i32 s3, 43
	;; [unrolled: 3-line block ×3, first 2 shown]
	s_cbranch_scc0 .LBB364_2740
; %bb.2738:
	s_mov_b32 s0, -1
	s_mov_b32 s12, 0
	s_cmp_eq_u32 s3, 46
	s_cbranch_scc0 .LBB364_2740
; %bb.2739:
	v_cndmask_b32_e64 v1, 0, 1.0, s6
	s_mov_b32 s0, 0
	s_mov_b32 s11, -1
	s_delay_alu instid0(VALU_DEP_1) | instskip(NEXT) | instid1(VALU_DEP_1)
	v_bfe_u32 v3, v1, 16, 1
	v_add3_u32 v1, v1, v3, 0x7fff
	s_delay_alu instid0(VALU_DEP_1)
	v_lshrrev_b32_e32 v1, 16, v1
	global_store_b32 v[4:5], v1, off
.LBB364_2740:
	s_and_b32 vcc_lo, exec_lo, s12
	s_cbranch_vccz .LBB364_2745
; %bb.2741:
	s_cmp_eq_u32 s3, 44
	s_mov_b32 s0, -1
	s_cbranch_scc0 .LBB364_2745
; %bb.2742:
	v_cndmask_b32_e64 v6, 0, 1.0, s6
	v_mov_b32_e32 v3, 0xff
	s_mov_b32 s11, exec_lo
	s_wait_xcnt 0x0
	s_delay_alu instid0(VALU_DEP_2) | instskip(NEXT) | instid1(VALU_DEP_1)
	v_lshrrev_b32_e32 v1, 23, v6
	v_cmpx_ne_u32_e32 0xff, v1
; %bb.2743:
	v_and_b32_e32 v3, 0x400000, v6
	v_and_or_b32 v6, 0x3fffff, v6, v1
	s_delay_alu instid0(VALU_DEP_2) | instskip(NEXT) | instid1(VALU_DEP_2)
	v_cmp_ne_u32_e32 vcc_lo, 0, v3
	v_cmp_ne_u32_e64 s0, 0, v6
	s_and_b32 s0, vcc_lo, s0
	s_delay_alu instid0(SALU_CYCLE_1) | instskip(NEXT) | instid1(VALU_DEP_1)
	v_cndmask_b32_e64 v3, 0, 1, s0
	v_add_nc_u32_e32 v3, v1, v3
; %bb.2744:
	s_or_b32 exec_lo, exec_lo, s11
	s_mov_b32 s0, 0
	s_mov_b32 s11, -1
	global_store_b8 v[4:5], v3, off
.LBB364_2745:
	s_mov_b32 s12, 0
.LBB364_2746:
	s_delay_alu instid0(SALU_CYCLE_1)
	s_and_b32 vcc_lo, exec_lo, s12
	s_cbranch_vccz .LBB364_2749
; %bb.2747:
	s_cmp_eq_u32 s3, 29
	s_mov_b32 s0, -1
	s_cbranch_scc0 .LBB364_2749
; %bb.2748:
	s_mov_b32 s0, 0
	v_cndmask_b32_e64 v6, 0, 1, s6
	v_mov_b32_e32 v7, s0
	s_mov_b32 s11, -1
	global_store_b64 v[4:5], v[6:7], off
.LBB364_2749:
	s_mov_b32 s12, 0
.LBB364_2750:
	s_delay_alu instid0(SALU_CYCLE_1)
	s_and_b32 vcc_lo, exec_lo, s12
	s_cbranch_vccz .LBB364_2766
; %bb.2751:
	s_cmp_lt_i32 s3, 27
	s_mov_b32 s11, -1
	s_cbranch_scc1 .LBB364_2757
; %bb.2752:
	s_cmp_gt_i32 s3, 27
	s_cbranch_scc0 .LBB364_2754
; %bb.2753:
	s_wait_xcnt 0x0
	v_cndmask_b32_e64 v1, 0, 1, s6
	s_mov_b32 s11, 0
	global_store_b32 v[4:5], v1, off
.LBB364_2754:
	s_and_not1_b32 vcc_lo, exec_lo, s11
	s_cbranch_vccnz .LBB364_2756
; %bb.2755:
	s_wait_xcnt 0x0
	v_cndmask_b32_e64 v1, 0, 1, s6
	global_store_b16 v[4:5], v1, off
.LBB364_2756:
	s_mov_b32 s11, 0
.LBB364_2757:
	s_delay_alu instid0(SALU_CYCLE_1)
	s_and_not1_b32 vcc_lo, exec_lo, s11
	s_cbranch_vccnz .LBB364_2765
; %bb.2758:
	s_wait_xcnt 0x0
	v_cndmask_b32_e64 v3, 0, 1.0, s6
	v_mov_b32_e32 v6, 0x80
	s_mov_b32 s11, exec_lo
	s_delay_alu instid0(VALU_DEP_2)
	v_cmpx_gt_u32_e32 0x43800000, v3
	s_cbranch_execz .LBB364_2764
; %bb.2759:
	s_mov_b32 s12, 0
	s_mov_b32 s13, exec_lo
                                        ; implicit-def: $vgpr1
	v_cmpx_lt_u32_e32 0x3bffffff, v3
	s_xor_b32 s13, exec_lo, s13
	s_cbranch_execz .LBB364_3099
; %bb.2760:
	v_bfe_u32 v1, v3, 20, 1
	s_mov_b32 s12, exec_lo
	s_delay_alu instid0(VALU_DEP_1) | instskip(NEXT) | instid1(VALU_DEP_1)
	v_add3_u32 v1, v3, v1, 0x487ffff
                                        ; implicit-def: $vgpr3
	v_lshrrev_b32_e32 v1, 20, v1
	s_and_not1_saveexec_b32 s13, s13
	s_cbranch_execnz .LBB364_3100
.LBB364_2761:
	s_or_b32 exec_lo, exec_lo, s13
	v_mov_b32_e32 v6, 0
	s_and_saveexec_b32 s13, s12
.LBB364_2762:
	v_mov_b32_e32 v6, v1
.LBB364_2763:
	s_or_b32 exec_lo, exec_lo, s13
.LBB364_2764:
	s_delay_alu instid0(SALU_CYCLE_1)
	s_or_b32 exec_lo, exec_lo, s11
	global_store_b8 v[4:5], v6, off
.LBB364_2765:
	s_mov_b32 s11, -1
.LBB364_2766:
	s_mov_b32 s12, 0
.LBB364_2767:
	s_delay_alu instid0(SALU_CYCLE_1)
	s_and_b32 vcc_lo, exec_lo, s12
	s_cbranch_vccz .LBB364_2807
; %bb.2768:
	s_cmp_gt_i32 s3, 22
	s_mov_b32 s7, -1
	s_cbranch_scc0 .LBB364_2800
; %bb.2769:
	s_cmp_lt_i32 s3, 24
	s_cbranch_scc1 .LBB364_2789
; %bb.2770:
	s_cmp_gt_i32 s3, 24
	s_cbranch_scc0 .LBB364_2778
; %bb.2771:
	s_wait_xcnt 0x0
	v_cndmask_b32_e64 v3, 0, 1.0, s6
	v_mov_b32_e32 v6, 0x80
	s_mov_b32 s7, exec_lo
	s_delay_alu instid0(VALU_DEP_2)
	v_cmpx_gt_u32_e32 0x47800000, v3
	s_cbranch_execz .LBB364_2777
; %bb.2772:
	s_mov_b32 s11, 0
	s_mov_b32 s12, exec_lo
                                        ; implicit-def: $vgpr1
	v_cmpx_lt_u32_e32 0x37ffffff, v3
	s_xor_b32 s12, exec_lo, s12
	s_cbranch_execz .LBB364_3102
; %bb.2773:
	v_bfe_u32 v1, v3, 21, 1
	s_mov_b32 s11, exec_lo
	s_delay_alu instid0(VALU_DEP_1) | instskip(NEXT) | instid1(VALU_DEP_1)
	v_add3_u32 v1, v3, v1, 0x88fffff
                                        ; implicit-def: $vgpr3
	v_lshrrev_b32_e32 v1, 21, v1
	s_and_not1_saveexec_b32 s12, s12
	s_cbranch_execnz .LBB364_3103
.LBB364_2774:
	s_or_b32 exec_lo, exec_lo, s12
	v_mov_b32_e32 v6, 0
	s_and_saveexec_b32 s12, s11
.LBB364_2775:
	v_mov_b32_e32 v6, v1
.LBB364_2776:
	s_or_b32 exec_lo, exec_lo, s12
.LBB364_2777:
	s_delay_alu instid0(SALU_CYCLE_1)
	s_or_b32 exec_lo, exec_lo, s7
	s_mov_b32 s7, 0
	global_store_b8 v[4:5], v6, off
.LBB364_2778:
	s_and_b32 vcc_lo, exec_lo, s7
	s_cbranch_vccz .LBB364_2788
; %bb.2779:
	s_wait_xcnt 0x0
	v_cndmask_b32_e64 v3, 0, 1.0, s6
	s_mov_b32 s7, exec_lo
                                        ; implicit-def: $vgpr1
	s_delay_alu instid0(VALU_DEP_1)
	v_cmpx_gt_u32_e32 0x43f00000, v3
	s_xor_b32 s7, exec_lo, s7
	s_cbranch_execz .LBB364_2785
; %bb.2780:
	s_mov_b32 s11, exec_lo
                                        ; implicit-def: $vgpr1
	v_cmpx_lt_u32_e32 0x3c7fffff, v3
	s_xor_b32 s11, exec_lo, s11
; %bb.2781:
	v_bfe_u32 v1, v3, 20, 1
	s_delay_alu instid0(VALU_DEP_1) | instskip(NEXT) | instid1(VALU_DEP_1)
	v_add3_u32 v1, v3, v1, 0x407ffff
	v_and_b32_e32 v3, 0xff00000, v1
	v_lshrrev_b32_e32 v1, 20, v1
	s_delay_alu instid0(VALU_DEP_2) | instskip(NEXT) | instid1(VALU_DEP_2)
	v_cmp_ne_u32_e32 vcc_lo, 0x7f00000, v3
                                        ; implicit-def: $vgpr3
	v_cndmask_b32_e32 v1, 0x7e, v1, vcc_lo
; %bb.2782:
	s_and_not1_saveexec_b32 s11, s11
; %bb.2783:
	v_add_f32_e32 v1, 0x46800000, v3
; %bb.2784:
	s_or_b32 exec_lo, exec_lo, s11
                                        ; implicit-def: $vgpr3
.LBB364_2785:
	s_and_not1_saveexec_b32 s7, s7
; %bb.2786:
	v_mov_b32_e32 v1, 0x7f
	v_cmp_lt_u32_e32 vcc_lo, 0x7f800000, v3
	s_delay_alu instid0(VALU_DEP_2)
	v_cndmask_b32_e32 v1, 0x7e, v1, vcc_lo
; %bb.2787:
	s_or_b32 exec_lo, exec_lo, s7
	global_store_b8 v[4:5], v1, off
.LBB364_2788:
	s_mov_b32 s7, 0
.LBB364_2789:
	s_delay_alu instid0(SALU_CYCLE_1)
	s_and_not1_b32 vcc_lo, exec_lo, s7
	s_cbranch_vccnz .LBB364_2799
; %bb.2790:
	s_wait_xcnt 0x0
	v_cndmask_b32_e64 v3, 0, 1.0, s6
	s_mov_b32 s7, exec_lo
                                        ; implicit-def: $vgpr1
	s_delay_alu instid0(VALU_DEP_1)
	v_cmpx_gt_u32_e32 0x47800000, v3
	s_xor_b32 s7, exec_lo, s7
	s_cbranch_execz .LBB364_2796
; %bb.2791:
	s_mov_b32 s11, exec_lo
                                        ; implicit-def: $vgpr1
	v_cmpx_lt_u32_e32 0x387fffff, v3
	s_xor_b32 s11, exec_lo, s11
; %bb.2792:
	v_bfe_u32 v1, v3, 21, 1
	s_delay_alu instid0(VALU_DEP_1) | instskip(NEXT) | instid1(VALU_DEP_1)
	v_add3_u32 v1, v3, v1, 0x80fffff
                                        ; implicit-def: $vgpr3
	v_lshrrev_b32_e32 v1, 21, v1
; %bb.2793:
	s_and_not1_saveexec_b32 s11, s11
; %bb.2794:
	v_add_f32_e32 v1, 0x43000000, v3
; %bb.2795:
	s_or_b32 exec_lo, exec_lo, s11
                                        ; implicit-def: $vgpr3
.LBB364_2796:
	s_and_not1_saveexec_b32 s7, s7
; %bb.2797:
	v_mov_b32_e32 v1, 0x7f
	v_cmp_lt_u32_e32 vcc_lo, 0x7f800000, v3
	s_delay_alu instid0(VALU_DEP_2)
	v_cndmask_b32_e32 v1, 0x7c, v1, vcc_lo
; %bb.2798:
	s_or_b32 exec_lo, exec_lo, s7
	global_store_b8 v[4:5], v1, off
.LBB364_2799:
	s_mov_b32 s7, 0
	s_mov_b32 s11, -1
.LBB364_2800:
	s_and_not1_b32 vcc_lo, exec_lo, s7
	s_mov_b32 s7, 0
	s_cbranch_vccnz .LBB364_2807
; %bb.2801:
	s_cmp_gt_i32 s3, 14
	s_mov_b32 s7, -1
	s_cbranch_scc0 .LBB364_2805
; %bb.2802:
	s_cmp_eq_u32 s3, 15
	s_mov_b32 s0, -1
	s_cbranch_scc0 .LBB364_2804
; %bb.2803:
	s_wait_xcnt 0x0
	v_cndmask_b32_e64 v1, 0, 1.0, s6
	s_mov_b32 s0, 0
	s_mov_b32 s11, -1
	s_delay_alu instid0(VALU_DEP_1) | instskip(NEXT) | instid1(VALU_DEP_1)
	v_bfe_u32 v3, v1, 16, 1
	v_add3_u32 v1, v1, v3, 0x7fff
	global_store_d16_hi_b16 v[4:5], v1, off
.LBB364_2804:
	s_mov_b32 s7, 0
.LBB364_2805:
	s_delay_alu instid0(SALU_CYCLE_1)
	s_and_b32 vcc_lo, exec_lo, s7
	s_mov_b32 s7, 0
	s_cbranch_vccz .LBB364_2807
; %bb.2806:
	s_cmp_lg_u32 s3, 11
	s_mov_b32 s7, -1
	s_cselect_b32 s0, -1, 0
.LBB364_2807:
	s_delay_alu instid0(SALU_CYCLE_1)
	s_and_b32 vcc_lo, exec_lo, s0
	s_cbranch_vccnz .LBB364_3101
; %bb.2808:
	s_and_not1_b32 vcc_lo, exec_lo, s7
	s_cbranch_vccnz .LBB364_2810
.LBB364_2809:
	s_wait_xcnt 0x0
	v_cndmask_b32_e64 v1, 0, 1, s6
	s_mov_b32 s11, -1
	global_store_b8 v[4:5], v1, off
.LBB364_2810:
	s_mov_b32 s0, 0
	s_branch .LBB364_2812
.LBB364_2811:
	s_mov_b32 s0, -1
	s_mov_b32 s11, 0
.LBB364_2812:
	s_and_b32 vcc_lo, exec_lo, s0
	s_cbranch_vccz .LBB364_2851
; %bb.2813:
	s_cmp_lt_i32 s3, 5
	s_mov_b32 s0, -1
	s_cbranch_scc1 .LBB364_2834
; %bb.2814:
	s_cmp_lt_i32 s3, 8
	s_cbranch_scc1 .LBB364_2824
; %bb.2815:
	s_cmp_lt_i32 s3, 9
	s_cbranch_scc1 .LBB364_2821
; %bb.2816:
	s_cmp_gt_i32 s3, 9
	s_cbranch_scc0 .LBB364_2818
; %bb.2817:
	s_wait_xcnt 0x0
	v_cndmask_b32_e64 v1, 0, 1, s6
	v_mov_b32_e32 v8, 0
	s_mov_b32 s0, 0
	s_delay_alu instid0(VALU_DEP_2) | instskip(NEXT) | instid1(VALU_DEP_2)
	v_cvt_f64_u32_e32 v[6:7], v1
	v_mov_b32_e32 v9, v8
	global_store_b128 v[4:5], v[6:9], off
.LBB364_2818:
	s_and_not1_b32 vcc_lo, exec_lo, s0
	s_cbranch_vccnz .LBB364_2820
; %bb.2819:
	s_wait_xcnt 0x0
	v_cndmask_b32_e64 v6, 0, 1.0, s6
	v_mov_b32_e32 v7, 0
	global_store_b64 v[4:5], v[6:7], off
.LBB364_2820:
	s_mov_b32 s0, 0
.LBB364_2821:
	s_delay_alu instid0(SALU_CYCLE_1)
	s_and_not1_b32 vcc_lo, exec_lo, s0
	s_cbranch_vccnz .LBB364_2823
; %bb.2822:
	s_wait_xcnt 0x0
	v_cndmask_b32_e64 v1, 0, 1.0, s6
	s_delay_alu instid0(VALU_DEP_1) | instskip(NEXT) | instid1(VALU_DEP_1)
	v_cvt_f16_f32_e32 v1, v1
	v_and_b32_e32 v1, 0xffff, v1
	global_store_b32 v[4:5], v1, off
.LBB364_2823:
	s_mov_b32 s0, 0
.LBB364_2824:
	s_delay_alu instid0(SALU_CYCLE_1)
	s_and_not1_b32 vcc_lo, exec_lo, s0
	s_cbranch_vccnz .LBB364_2833
; %bb.2825:
	s_cmp_lt_i32 s3, 6
	s_mov_b32 s0, -1
	s_cbranch_scc1 .LBB364_2831
; %bb.2826:
	s_cmp_gt_i32 s3, 6
	s_cbranch_scc0 .LBB364_2828
; %bb.2827:
	s_wait_xcnt 0x0
	v_cndmask_b32_e64 v1, 0, 1, s6
	s_mov_b32 s0, 0
	s_delay_alu instid0(VALU_DEP_1)
	v_cvt_f64_u32_e32 v[6:7], v1
	global_store_b64 v[4:5], v[6:7], off
.LBB364_2828:
	s_and_not1_b32 vcc_lo, exec_lo, s0
	s_cbranch_vccnz .LBB364_2830
; %bb.2829:
	s_wait_xcnt 0x0
	v_cndmask_b32_e64 v1, 0, 1.0, s6
	global_store_b32 v[4:5], v1, off
.LBB364_2830:
	s_mov_b32 s0, 0
.LBB364_2831:
	s_delay_alu instid0(SALU_CYCLE_1)
	s_and_not1_b32 vcc_lo, exec_lo, s0
	s_cbranch_vccnz .LBB364_2833
; %bb.2832:
	s_wait_xcnt 0x0
	v_cndmask_b32_e64 v1, 0, 1.0, s6
	s_delay_alu instid0(VALU_DEP_1)
	v_cvt_f16_f32_e32 v1, v1
	global_store_b16 v[4:5], v1, off
.LBB364_2833:
	s_mov_b32 s0, 0
.LBB364_2834:
	s_delay_alu instid0(SALU_CYCLE_1)
	s_and_not1_b32 vcc_lo, exec_lo, s0
	s_cbranch_vccnz .LBB364_2850
; %bb.2835:
	s_cmp_lt_i32 s3, 2
	s_mov_b32 s0, -1
	s_cbranch_scc1 .LBB364_2845
; %bb.2836:
	s_cmp_lt_i32 s3, 3
	s_cbranch_scc1 .LBB364_2842
; %bb.2837:
	s_cmp_gt_i32 s3, 3
	s_cbranch_scc0 .LBB364_2839
; %bb.2838:
	s_mov_b32 s0, 0
	s_wait_xcnt 0x0
	v_cndmask_b32_e64 v6, 0, 1, s6
	v_mov_b32_e32 v7, s0
	global_store_b64 v[4:5], v[6:7], off
.LBB364_2839:
	s_and_not1_b32 vcc_lo, exec_lo, s0
	s_cbranch_vccnz .LBB364_2841
; %bb.2840:
	s_wait_xcnt 0x0
	v_cndmask_b32_e64 v1, 0, 1, s6
	global_store_b32 v[4:5], v1, off
.LBB364_2841:
	s_mov_b32 s0, 0
.LBB364_2842:
	s_delay_alu instid0(SALU_CYCLE_1)
	s_and_not1_b32 vcc_lo, exec_lo, s0
	s_cbranch_vccnz .LBB364_2844
; %bb.2843:
	s_wait_xcnt 0x0
	v_cndmask_b32_e64 v1, 0, 1, s6
	global_store_b16 v[4:5], v1, off
.LBB364_2844:
	s_mov_b32 s0, 0
.LBB364_2845:
	s_delay_alu instid0(SALU_CYCLE_1)
	s_and_not1_b32 vcc_lo, exec_lo, s0
	s_cbranch_vccnz .LBB364_2850
; %bb.2846:
	s_wait_xcnt 0x0
	v_cndmask_b32_e64 v1, 0, 1, s6
	s_cmp_gt_i32 s3, 0
	s_mov_b32 s0, -1
	s_cbranch_scc0 .LBB364_2848
; %bb.2847:
	s_mov_b32 s0, 0
	global_store_b8 v[4:5], v1, off
.LBB364_2848:
	s_and_not1_b32 vcc_lo, exec_lo, s0
	s_cbranch_vccnz .LBB364_2850
; %bb.2849:
	global_store_b8 v[4:5], v1, off
.LBB364_2850:
	s_mov_b32 s11, -1
.LBB364_2851:
	s_delay_alu instid0(SALU_CYCLE_1)
	s_and_not1_b32 vcc_lo, exec_lo, s11
	s_cbranch_vccnz .LBB364_3047
; %bb.2852:
	s_wait_xcnt 0x0
	v_mov_b32_e32 v3, 0
	v_cmp_ne_u64_e32 vcc_lo, v[20:21], v[22:23]
	s_delay_alu instid0(VALU_DEP_2)
	v_add_nc_u64_e32 v[2:3], s[4:5], v[2:3]
	s_xor_b32 s6, s2, vcc_lo
	s_cmp_lt_i32 s3, 11
	s_cbranch_scc1 .LBB364_2930
; %bb.2853:
	s_mov_b32 s12, -1
	s_mov_b32 s7, 0
	s_cmp_gt_i32 s3, 25
	s_mov_b32 s11, 0
	s_mov_b32 s0, 0
	s_cbranch_scc0 .LBB364_2886
; %bb.2854:
	s_cmp_gt_i32 s3, 28
	s_cbranch_scc0 .LBB364_2869
; %bb.2855:
	s_cmp_gt_i32 s3, 43
	;; [unrolled: 3-line block ×3, first 2 shown]
	s_cbranch_scc0 .LBB364_2859
; %bb.2857:
	s_mov_b32 s0, -1
	s_mov_b32 s12, 0
	s_cmp_eq_u32 s3, 46
	s_cbranch_scc0 .LBB364_2859
; %bb.2858:
	v_cndmask_b32_e64 v1, 0, 1.0, s6
	s_mov_b32 s0, 0
	s_mov_b32 s11, -1
	s_delay_alu instid0(VALU_DEP_1) | instskip(NEXT) | instid1(VALU_DEP_1)
	v_bfe_u32 v4, v1, 16, 1
	v_add3_u32 v1, v1, v4, 0x7fff
	s_delay_alu instid0(VALU_DEP_1)
	v_lshrrev_b32_e32 v1, 16, v1
	global_store_b32 v[2:3], v1, off
.LBB364_2859:
	s_and_b32 vcc_lo, exec_lo, s12
	s_cbranch_vccz .LBB364_2864
; %bb.2860:
	s_cmp_eq_u32 s3, 44
	s_mov_b32 s0, -1
	s_cbranch_scc0 .LBB364_2864
; %bb.2861:
	v_cndmask_b32_e64 v5, 0, 1.0, s6
	s_mov_b32 s11, exec_lo
	s_wait_xcnt 0x0
	s_delay_alu instid0(VALU_DEP_1) | instskip(NEXT) | instid1(VALU_DEP_1)
	v_dual_mov_b32 v4, 0xff :: v_dual_lshrrev_b32 v1, 23, v5
	v_cmpx_ne_u32_e32 0xff, v1
; %bb.2862:
	v_and_b32_e32 v4, 0x400000, v5
	v_and_or_b32 v5, 0x3fffff, v5, v1
	s_delay_alu instid0(VALU_DEP_2) | instskip(NEXT) | instid1(VALU_DEP_2)
	v_cmp_ne_u32_e32 vcc_lo, 0, v4
	v_cmp_ne_u32_e64 s0, 0, v5
	s_and_b32 s0, vcc_lo, s0
	s_delay_alu instid0(SALU_CYCLE_1) | instskip(NEXT) | instid1(VALU_DEP_1)
	v_cndmask_b32_e64 v4, 0, 1, s0
	v_add_nc_u32_e32 v4, v1, v4
; %bb.2863:
	s_or_b32 exec_lo, exec_lo, s11
	s_mov_b32 s0, 0
	s_mov_b32 s11, -1
	global_store_b8 v[2:3], v4, off
.LBB364_2864:
	s_mov_b32 s12, 0
.LBB364_2865:
	s_delay_alu instid0(SALU_CYCLE_1)
	s_and_b32 vcc_lo, exec_lo, s12
	s_cbranch_vccz .LBB364_2868
; %bb.2866:
	s_cmp_eq_u32 s3, 29
	s_mov_b32 s0, -1
	s_cbranch_scc0 .LBB364_2868
; %bb.2867:
	s_mov_b32 s0, 0
	s_wait_xcnt 0x0
	v_cndmask_b32_e64 v4, 0, 1, s6
	v_mov_b32_e32 v5, s0
	s_mov_b32 s11, -1
	global_store_b64 v[2:3], v[4:5], off
.LBB364_2868:
	s_mov_b32 s12, 0
.LBB364_2869:
	s_delay_alu instid0(SALU_CYCLE_1)
	s_and_b32 vcc_lo, exec_lo, s12
	s_cbranch_vccz .LBB364_2885
; %bb.2870:
	s_cmp_lt_i32 s3, 27
	s_mov_b32 s11, -1
	s_cbranch_scc1 .LBB364_2876
; %bb.2871:
	s_cmp_gt_i32 s3, 27
	s_cbranch_scc0 .LBB364_2873
; %bb.2872:
	s_wait_xcnt 0x0
	v_cndmask_b32_e64 v1, 0, 1, s6
	s_mov_b32 s11, 0
	global_store_b32 v[2:3], v1, off
.LBB364_2873:
	s_and_not1_b32 vcc_lo, exec_lo, s11
	s_cbranch_vccnz .LBB364_2875
; %bb.2874:
	s_wait_xcnt 0x0
	v_cndmask_b32_e64 v1, 0, 1, s6
	global_store_b16 v[2:3], v1, off
.LBB364_2875:
	s_mov_b32 s11, 0
.LBB364_2876:
	s_delay_alu instid0(SALU_CYCLE_1)
	s_and_not1_b32 vcc_lo, exec_lo, s11
	s_cbranch_vccnz .LBB364_2884
; %bb.2877:
	s_wait_xcnt 0x0
	v_cndmask_b32_e64 v4, 0, 1.0, s6
	v_mov_b32_e32 v5, 0x80
	s_mov_b32 s11, exec_lo
	s_delay_alu instid0(VALU_DEP_2)
	v_cmpx_gt_u32_e32 0x43800000, v4
	s_cbranch_execz .LBB364_2883
; %bb.2878:
	s_mov_b32 s12, 0
	s_mov_b32 s13, exec_lo
                                        ; implicit-def: $vgpr1
	v_cmpx_lt_u32_e32 0x3bffffff, v4
	s_xor_b32 s13, exec_lo, s13
	s_cbranch_execz .LBB364_3104
; %bb.2879:
	v_bfe_u32 v1, v4, 20, 1
	s_mov_b32 s12, exec_lo
	s_delay_alu instid0(VALU_DEP_1) | instskip(NEXT) | instid1(VALU_DEP_1)
	v_add3_u32 v1, v4, v1, 0x487ffff
                                        ; implicit-def: $vgpr4
	v_lshrrev_b32_e32 v1, 20, v1
	s_and_not1_saveexec_b32 s13, s13
	s_cbranch_execnz .LBB364_3105
.LBB364_2880:
	s_or_b32 exec_lo, exec_lo, s13
	v_mov_b32_e32 v5, 0
	s_and_saveexec_b32 s13, s12
.LBB364_2881:
	v_mov_b32_e32 v5, v1
.LBB364_2882:
	s_or_b32 exec_lo, exec_lo, s13
.LBB364_2883:
	s_delay_alu instid0(SALU_CYCLE_1)
	s_or_b32 exec_lo, exec_lo, s11
	global_store_b8 v[2:3], v5, off
.LBB364_2884:
	s_mov_b32 s11, -1
.LBB364_2885:
	s_mov_b32 s12, 0
.LBB364_2886:
	s_delay_alu instid0(SALU_CYCLE_1)
	s_and_b32 vcc_lo, exec_lo, s12
	s_cbranch_vccz .LBB364_2926
; %bb.2887:
	s_cmp_gt_i32 s3, 22
	s_mov_b32 s7, -1
	s_cbranch_scc0 .LBB364_2919
; %bb.2888:
	s_cmp_lt_i32 s3, 24
	s_cbranch_scc1 .LBB364_2908
; %bb.2889:
	s_cmp_gt_i32 s3, 24
	s_cbranch_scc0 .LBB364_2897
; %bb.2890:
	s_wait_xcnt 0x0
	v_cndmask_b32_e64 v4, 0, 1.0, s6
	v_mov_b32_e32 v5, 0x80
	s_mov_b32 s7, exec_lo
	s_delay_alu instid0(VALU_DEP_2)
	v_cmpx_gt_u32_e32 0x47800000, v4
	s_cbranch_execz .LBB364_2896
; %bb.2891:
	s_mov_b32 s11, 0
	s_mov_b32 s12, exec_lo
                                        ; implicit-def: $vgpr1
	v_cmpx_lt_u32_e32 0x37ffffff, v4
	s_xor_b32 s12, exec_lo, s12
	s_cbranch_execz .LBB364_3107
; %bb.2892:
	v_bfe_u32 v1, v4, 21, 1
	s_mov_b32 s11, exec_lo
	s_delay_alu instid0(VALU_DEP_1) | instskip(NEXT) | instid1(VALU_DEP_1)
	v_add3_u32 v1, v4, v1, 0x88fffff
                                        ; implicit-def: $vgpr4
	v_lshrrev_b32_e32 v1, 21, v1
	s_and_not1_saveexec_b32 s12, s12
	s_cbranch_execnz .LBB364_3108
.LBB364_2893:
	s_or_b32 exec_lo, exec_lo, s12
	v_mov_b32_e32 v5, 0
	s_and_saveexec_b32 s12, s11
.LBB364_2894:
	v_mov_b32_e32 v5, v1
.LBB364_2895:
	s_or_b32 exec_lo, exec_lo, s12
.LBB364_2896:
	s_delay_alu instid0(SALU_CYCLE_1)
	s_or_b32 exec_lo, exec_lo, s7
	s_mov_b32 s7, 0
	global_store_b8 v[2:3], v5, off
.LBB364_2897:
	s_and_b32 vcc_lo, exec_lo, s7
	s_cbranch_vccz .LBB364_2907
; %bb.2898:
	s_wait_xcnt 0x0
	v_cndmask_b32_e64 v4, 0, 1.0, s6
	s_mov_b32 s7, exec_lo
                                        ; implicit-def: $vgpr1
	s_delay_alu instid0(VALU_DEP_1)
	v_cmpx_gt_u32_e32 0x43f00000, v4
	s_xor_b32 s7, exec_lo, s7
	s_cbranch_execz .LBB364_2904
; %bb.2899:
	s_mov_b32 s11, exec_lo
                                        ; implicit-def: $vgpr1
	v_cmpx_lt_u32_e32 0x3c7fffff, v4
	s_xor_b32 s11, exec_lo, s11
; %bb.2900:
	v_bfe_u32 v1, v4, 20, 1
	s_delay_alu instid0(VALU_DEP_1) | instskip(NEXT) | instid1(VALU_DEP_1)
	v_add3_u32 v1, v4, v1, 0x407ffff
	v_and_b32_e32 v4, 0xff00000, v1
	v_lshrrev_b32_e32 v1, 20, v1
	s_delay_alu instid0(VALU_DEP_2) | instskip(NEXT) | instid1(VALU_DEP_2)
	v_cmp_ne_u32_e32 vcc_lo, 0x7f00000, v4
                                        ; implicit-def: $vgpr4
	v_cndmask_b32_e32 v1, 0x7e, v1, vcc_lo
; %bb.2901:
	s_and_not1_saveexec_b32 s11, s11
; %bb.2902:
	v_add_f32_e32 v1, 0x46800000, v4
; %bb.2903:
	s_or_b32 exec_lo, exec_lo, s11
                                        ; implicit-def: $vgpr4
.LBB364_2904:
	s_and_not1_saveexec_b32 s7, s7
; %bb.2905:
	v_mov_b32_e32 v1, 0x7f
	v_cmp_lt_u32_e32 vcc_lo, 0x7f800000, v4
	s_delay_alu instid0(VALU_DEP_2)
	v_cndmask_b32_e32 v1, 0x7e, v1, vcc_lo
; %bb.2906:
	s_or_b32 exec_lo, exec_lo, s7
	global_store_b8 v[2:3], v1, off
.LBB364_2907:
	s_mov_b32 s7, 0
.LBB364_2908:
	s_delay_alu instid0(SALU_CYCLE_1)
	s_and_not1_b32 vcc_lo, exec_lo, s7
	s_cbranch_vccnz .LBB364_2918
; %bb.2909:
	s_wait_xcnt 0x0
	v_cndmask_b32_e64 v4, 0, 1.0, s6
	s_mov_b32 s7, exec_lo
                                        ; implicit-def: $vgpr1
	s_delay_alu instid0(VALU_DEP_1)
	v_cmpx_gt_u32_e32 0x47800000, v4
	s_xor_b32 s7, exec_lo, s7
	s_cbranch_execz .LBB364_2915
; %bb.2910:
	s_mov_b32 s11, exec_lo
                                        ; implicit-def: $vgpr1
	v_cmpx_lt_u32_e32 0x387fffff, v4
	s_xor_b32 s11, exec_lo, s11
; %bb.2911:
	v_bfe_u32 v1, v4, 21, 1
	s_delay_alu instid0(VALU_DEP_1) | instskip(NEXT) | instid1(VALU_DEP_1)
	v_add3_u32 v1, v4, v1, 0x80fffff
                                        ; implicit-def: $vgpr4
	v_lshrrev_b32_e32 v1, 21, v1
; %bb.2912:
	s_and_not1_saveexec_b32 s11, s11
; %bb.2913:
	v_add_f32_e32 v1, 0x43000000, v4
; %bb.2914:
	s_or_b32 exec_lo, exec_lo, s11
                                        ; implicit-def: $vgpr4
.LBB364_2915:
	s_and_not1_saveexec_b32 s7, s7
; %bb.2916:
	v_mov_b32_e32 v1, 0x7f
	v_cmp_lt_u32_e32 vcc_lo, 0x7f800000, v4
	s_delay_alu instid0(VALU_DEP_2)
	v_cndmask_b32_e32 v1, 0x7c, v1, vcc_lo
; %bb.2917:
	s_or_b32 exec_lo, exec_lo, s7
	global_store_b8 v[2:3], v1, off
.LBB364_2918:
	s_mov_b32 s7, 0
	s_mov_b32 s11, -1
.LBB364_2919:
	s_and_not1_b32 vcc_lo, exec_lo, s7
	s_mov_b32 s7, 0
	s_cbranch_vccnz .LBB364_2926
; %bb.2920:
	s_cmp_gt_i32 s3, 14
	s_mov_b32 s7, -1
	s_cbranch_scc0 .LBB364_2924
; %bb.2921:
	s_cmp_eq_u32 s3, 15
	s_mov_b32 s0, -1
	s_cbranch_scc0 .LBB364_2923
; %bb.2922:
	s_wait_xcnt 0x0
	v_cndmask_b32_e64 v1, 0, 1.0, s6
	s_mov_b32 s0, 0
	s_mov_b32 s11, -1
	s_delay_alu instid0(VALU_DEP_1) | instskip(NEXT) | instid1(VALU_DEP_1)
	v_bfe_u32 v4, v1, 16, 1
	v_add3_u32 v1, v1, v4, 0x7fff
	global_store_d16_hi_b16 v[2:3], v1, off
.LBB364_2923:
	s_mov_b32 s7, 0
.LBB364_2924:
	s_delay_alu instid0(SALU_CYCLE_1)
	s_and_b32 vcc_lo, exec_lo, s7
	s_mov_b32 s7, 0
	s_cbranch_vccz .LBB364_2926
; %bb.2925:
	s_cmp_lg_u32 s3, 11
	s_mov_b32 s7, -1
	s_cselect_b32 s0, -1, 0
.LBB364_2926:
	s_delay_alu instid0(SALU_CYCLE_1)
	s_and_b32 vcc_lo, exec_lo, s0
	s_cbranch_vccnz .LBB364_3106
; %bb.2927:
	s_and_not1_b32 vcc_lo, exec_lo, s7
	s_cbranch_vccnz .LBB364_2929
.LBB364_2928:
	s_wait_xcnt 0x0
	v_cndmask_b32_e64 v1, 0, 1, s6
	s_mov_b32 s11, -1
	global_store_b8 v[2:3], v1, off
.LBB364_2929:
	s_mov_b32 s0, 0
	s_branch .LBB364_2931
.LBB364_2930:
	s_mov_b32 s0, -1
	s_mov_b32 s11, 0
.LBB364_2931:
	s_and_b32 vcc_lo, exec_lo, s0
	s_cbranch_vccz .LBB364_2970
; %bb.2932:
	s_cmp_lt_i32 s3, 5
	s_mov_b32 s0, -1
	s_cbranch_scc1 .LBB364_2953
; %bb.2933:
	s_cmp_lt_i32 s3, 8
	s_cbranch_scc1 .LBB364_2943
; %bb.2934:
	s_cmp_lt_i32 s3, 9
	s_cbranch_scc1 .LBB364_2940
; %bb.2935:
	s_cmp_gt_i32 s3, 9
	s_cbranch_scc0 .LBB364_2937
; %bb.2936:
	s_wait_xcnt 0x0
	v_cndmask_b32_e64 v1, 0, 1, s6
	v_mov_b32_e32 v6, 0
	s_mov_b32 s0, 0
	s_delay_alu instid0(VALU_DEP_2) | instskip(NEXT) | instid1(VALU_DEP_2)
	v_cvt_f64_u32_e32 v[4:5], v1
	v_mov_b32_e32 v7, v6
	global_store_b128 v[2:3], v[4:7], off
.LBB364_2937:
	s_and_not1_b32 vcc_lo, exec_lo, s0
	s_cbranch_vccnz .LBB364_2939
; %bb.2938:
	s_wait_xcnt 0x0
	v_cndmask_b32_e64 v4, 0, 1.0, s6
	v_mov_b32_e32 v5, 0
	global_store_b64 v[2:3], v[4:5], off
.LBB364_2939:
	s_mov_b32 s0, 0
.LBB364_2940:
	s_delay_alu instid0(SALU_CYCLE_1)
	s_and_not1_b32 vcc_lo, exec_lo, s0
	s_cbranch_vccnz .LBB364_2942
; %bb.2941:
	s_wait_xcnt 0x0
	v_cndmask_b32_e64 v1, 0, 1.0, s6
	s_delay_alu instid0(VALU_DEP_1) | instskip(NEXT) | instid1(VALU_DEP_1)
	v_cvt_f16_f32_e32 v1, v1
	v_and_b32_e32 v1, 0xffff, v1
	global_store_b32 v[2:3], v1, off
.LBB364_2942:
	s_mov_b32 s0, 0
.LBB364_2943:
	s_delay_alu instid0(SALU_CYCLE_1)
	s_and_not1_b32 vcc_lo, exec_lo, s0
	s_cbranch_vccnz .LBB364_2952
; %bb.2944:
	s_cmp_lt_i32 s3, 6
	s_mov_b32 s0, -1
	s_cbranch_scc1 .LBB364_2950
; %bb.2945:
	s_cmp_gt_i32 s3, 6
	s_cbranch_scc0 .LBB364_2947
; %bb.2946:
	s_wait_xcnt 0x0
	v_cndmask_b32_e64 v1, 0, 1, s6
	s_mov_b32 s0, 0
	s_delay_alu instid0(VALU_DEP_1)
	v_cvt_f64_u32_e32 v[4:5], v1
	global_store_b64 v[2:3], v[4:5], off
.LBB364_2947:
	s_and_not1_b32 vcc_lo, exec_lo, s0
	s_cbranch_vccnz .LBB364_2949
; %bb.2948:
	s_wait_xcnt 0x0
	v_cndmask_b32_e64 v1, 0, 1.0, s6
	global_store_b32 v[2:3], v1, off
.LBB364_2949:
	s_mov_b32 s0, 0
.LBB364_2950:
	s_delay_alu instid0(SALU_CYCLE_1)
	s_and_not1_b32 vcc_lo, exec_lo, s0
	s_cbranch_vccnz .LBB364_2952
; %bb.2951:
	s_wait_xcnt 0x0
	v_cndmask_b32_e64 v1, 0, 1.0, s6
	s_delay_alu instid0(VALU_DEP_1)
	v_cvt_f16_f32_e32 v1, v1
	global_store_b16 v[2:3], v1, off
.LBB364_2952:
	s_mov_b32 s0, 0
.LBB364_2953:
	s_delay_alu instid0(SALU_CYCLE_1)
	s_and_not1_b32 vcc_lo, exec_lo, s0
	s_cbranch_vccnz .LBB364_2969
; %bb.2954:
	s_cmp_lt_i32 s3, 2
	s_mov_b32 s0, -1
	s_cbranch_scc1 .LBB364_2964
; %bb.2955:
	s_cmp_lt_i32 s3, 3
	s_cbranch_scc1 .LBB364_2961
; %bb.2956:
	s_cmp_gt_i32 s3, 3
	s_cbranch_scc0 .LBB364_2958
; %bb.2957:
	s_mov_b32 s0, 0
	s_wait_xcnt 0x0
	v_cndmask_b32_e64 v4, 0, 1, s6
	v_mov_b32_e32 v5, s0
	global_store_b64 v[2:3], v[4:5], off
.LBB364_2958:
	s_and_not1_b32 vcc_lo, exec_lo, s0
	s_cbranch_vccnz .LBB364_2960
; %bb.2959:
	s_wait_xcnt 0x0
	v_cndmask_b32_e64 v1, 0, 1, s6
	global_store_b32 v[2:3], v1, off
.LBB364_2960:
	s_mov_b32 s0, 0
.LBB364_2961:
	s_delay_alu instid0(SALU_CYCLE_1)
	s_and_not1_b32 vcc_lo, exec_lo, s0
	s_cbranch_vccnz .LBB364_2963
; %bb.2962:
	s_wait_xcnt 0x0
	v_cndmask_b32_e64 v1, 0, 1, s6
	global_store_b16 v[2:3], v1, off
.LBB364_2963:
	s_mov_b32 s0, 0
.LBB364_2964:
	s_delay_alu instid0(SALU_CYCLE_1)
	s_and_not1_b32 vcc_lo, exec_lo, s0
	s_cbranch_vccnz .LBB364_2969
; %bb.2965:
	s_cmp_gt_i32 s3, 0
	s_mov_b32 s0, -1
	s_cbranch_scc0 .LBB364_2967
; %bb.2966:
	s_wait_xcnt 0x0
	v_cndmask_b32_e64 v1, 0, 1, s6
	s_mov_b32 s0, 0
	global_store_b8 v[2:3], v1, off
.LBB364_2967:
	s_and_not1_b32 vcc_lo, exec_lo, s0
	s_cbranch_vccnz .LBB364_2969
; %bb.2968:
	s_wait_xcnt 0x0
	v_cndmask_b32_e64 v1, 0, 1, s6
	global_store_b8 v[2:3], v1, off
.LBB364_2969:
	s_mov_b32 s11, -1
.LBB364_2970:
	s_delay_alu instid0(SALU_CYCLE_1)
	s_and_not1_b32 vcc_lo, exec_lo, s11
	s_cbranch_vccnz .LBB364_3047
; %bb.2971:
	s_wait_xcnt 0x0
	v_mov_b32_e32 v1, 0
	v_cmp_ne_u64_e32 vcc_lo, v[16:17], v[10:11]
	s_delay_alu instid0(VALU_DEP_2)
	v_add_nc_u64_e32 v[2:3], s[4:5], v[0:1]
	s_xor_b32 s4, s2, vcc_lo
	s_cmp_lt_i32 s3, 11
	s_cbranch_scc1 .LBB364_3092
; %bb.2972:
	s_mov_b32 s5, -1
	s_mov_b32 s2, 0
	s_cmp_gt_i32 s3, 25
	s_mov_b32 s0, 0
	s_cbranch_scc0 .LBB364_3005
; %bb.2973:
	s_cmp_gt_i32 s3, 28
	s_cbranch_scc0 .LBB364_2989
; %bb.2974:
	s_cmp_gt_i32 s3, 43
	;; [unrolled: 3-line block ×3, first 2 shown]
	s_cbranch_scc0 .LBB364_2979
; %bb.2976:
	s_cmp_eq_u32 s3, 46
	s_mov_b32 s0, -1
	s_cbranch_scc0 .LBB364_2978
; %bb.2977:
	v_cndmask_b32_e64 v0, 0, 1.0, s4
	s_mov_b32 s0, 0
	s_delay_alu instid0(VALU_DEP_1) | instskip(NEXT) | instid1(VALU_DEP_1)
	v_bfe_u32 v1, v0, 16, 1
	v_add3_u32 v0, v0, v1, 0x7fff
	s_delay_alu instid0(VALU_DEP_1)
	v_lshrrev_b32_e32 v0, 16, v0
	global_store_b32 v[2:3], v0, off
.LBB364_2978:
	s_mov_b32 s5, 0
.LBB364_2979:
	s_delay_alu instid0(SALU_CYCLE_1)
	s_and_b32 vcc_lo, exec_lo, s5
	s_cbranch_vccz .LBB364_2984
; %bb.2980:
	s_cmp_eq_u32 s3, 44
	s_mov_b32 s0, -1
	s_cbranch_scc0 .LBB364_2984
; %bb.2981:
	v_cndmask_b32_e64 v4, 0, 1.0, s4
	s_mov_b32 s5, exec_lo
	s_wait_xcnt 0x0
	s_delay_alu instid0(VALU_DEP_1) | instskip(NEXT) | instid1(VALU_DEP_1)
	v_dual_mov_b32 v1, 0xff :: v_dual_lshrrev_b32 v0, 23, v4
	v_cmpx_ne_u32_e32 0xff, v0
; %bb.2982:
	v_and_b32_e32 v1, 0x400000, v4
	v_and_or_b32 v4, 0x3fffff, v4, v0
	s_delay_alu instid0(VALU_DEP_2) | instskip(NEXT) | instid1(VALU_DEP_2)
	v_cmp_ne_u32_e32 vcc_lo, 0, v1
	v_cmp_ne_u32_e64 s0, 0, v4
	s_and_b32 s0, vcc_lo, s0
	s_delay_alu instid0(SALU_CYCLE_1) | instskip(NEXT) | instid1(VALU_DEP_1)
	v_cndmask_b32_e64 v1, 0, 1, s0
	v_add_nc_u32_e32 v1, v0, v1
; %bb.2983:
	s_or_b32 exec_lo, exec_lo, s5
	s_mov_b32 s0, 0
	global_store_b8 v[2:3], v1, off
.LBB364_2984:
	s_mov_b32 s5, 0
.LBB364_2985:
	s_delay_alu instid0(SALU_CYCLE_1)
	s_and_b32 vcc_lo, exec_lo, s5
	s_cbranch_vccz .LBB364_2988
; %bb.2986:
	s_cmp_eq_u32 s3, 29
	s_mov_b32 s0, -1
	s_cbranch_scc0 .LBB364_2988
; %bb.2987:
	s_mov_b32 s0, 0
	s_wait_xcnt 0x0
	v_cndmask_b32_e64 v0, 0, 1, s4
	v_mov_b32_e32 v1, s0
	global_store_b64 v[2:3], v[0:1], off
.LBB364_2988:
	s_mov_b32 s5, 0
.LBB364_2989:
	s_delay_alu instid0(SALU_CYCLE_1)
	s_and_b32 vcc_lo, exec_lo, s5
	s_cbranch_vccz .LBB364_3004
; %bb.2990:
	s_cmp_lt_i32 s3, 27
	s_mov_b32 s5, -1
	s_cbranch_scc1 .LBB364_2996
; %bb.2991:
	s_wait_xcnt 0x0
	v_cndmask_b32_e64 v0, 0, 1, s4
	s_cmp_gt_i32 s3, 27
	s_cbranch_scc0 .LBB364_2993
; %bb.2992:
	s_mov_b32 s5, 0
	global_store_b32 v[2:3], v0, off
.LBB364_2993:
	s_and_not1_b32 vcc_lo, exec_lo, s5
	s_cbranch_vccnz .LBB364_2995
; %bb.2994:
	global_store_b16 v[2:3], v0, off
.LBB364_2995:
	s_mov_b32 s5, 0
.LBB364_2996:
	s_delay_alu instid0(SALU_CYCLE_1)
	s_and_not1_b32 vcc_lo, exec_lo, s5
	s_cbranch_vccnz .LBB364_3004
; %bb.2997:
	s_wait_xcnt 0x0
	v_cndmask_b32_e64 v1, 0, 1.0, s4
	v_mov_b32_e32 v4, 0x80
	s_mov_b32 s5, exec_lo
	s_delay_alu instid0(VALU_DEP_2)
	v_cmpx_gt_u32_e32 0x43800000, v1
	s_cbranch_execz .LBB364_3003
; %bb.2998:
	s_mov_b32 s6, 0
	s_mov_b32 s7, exec_lo
                                        ; implicit-def: $vgpr0
	v_cmpx_lt_u32_e32 0x3bffffff, v1
	s_xor_b32 s7, exec_lo, s7
	s_cbranch_execz .LBB364_3109
; %bb.2999:
	v_bfe_u32 v0, v1, 20, 1
	s_mov_b32 s6, exec_lo
	s_delay_alu instid0(VALU_DEP_1) | instskip(NEXT) | instid1(VALU_DEP_1)
	v_add3_u32 v0, v1, v0, 0x487ffff
                                        ; implicit-def: $vgpr1
	v_lshrrev_b32_e32 v0, 20, v0
	s_and_not1_saveexec_b32 s7, s7
	s_cbranch_execnz .LBB364_3110
.LBB364_3000:
	s_or_b32 exec_lo, exec_lo, s7
	v_mov_b32_e32 v4, 0
	s_and_saveexec_b32 s7, s6
.LBB364_3001:
	v_mov_b32_e32 v4, v0
.LBB364_3002:
	s_or_b32 exec_lo, exec_lo, s7
.LBB364_3003:
	s_delay_alu instid0(SALU_CYCLE_1)
	s_or_b32 exec_lo, exec_lo, s5
	global_store_b8 v[2:3], v4, off
.LBB364_3004:
	s_mov_b32 s5, 0
.LBB364_3005:
	s_delay_alu instid0(SALU_CYCLE_1)
	s_and_b32 vcc_lo, exec_lo, s5
	s_cbranch_vccz .LBB364_3045
; %bb.3006:
	s_cmp_gt_i32 s3, 22
	s_mov_b32 s2, -1
	s_cbranch_scc0 .LBB364_3038
; %bb.3007:
	s_cmp_lt_i32 s3, 24
	s_cbranch_scc1 .LBB364_3027
; %bb.3008:
	s_cmp_gt_i32 s3, 24
	s_cbranch_scc0 .LBB364_3016
; %bb.3009:
	s_wait_xcnt 0x0
	v_cndmask_b32_e64 v1, 0, 1.0, s4
	v_mov_b32_e32 v4, 0x80
	s_mov_b32 s2, exec_lo
	s_delay_alu instid0(VALU_DEP_2)
	v_cmpx_gt_u32_e32 0x47800000, v1
	s_cbranch_execz .LBB364_3015
; %bb.3010:
	s_mov_b32 s5, 0
	s_mov_b32 s6, exec_lo
                                        ; implicit-def: $vgpr0
	v_cmpx_lt_u32_e32 0x37ffffff, v1
	s_xor_b32 s6, exec_lo, s6
	s_cbranch_execz .LBB364_3112
; %bb.3011:
	v_bfe_u32 v0, v1, 21, 1
	s_mov_b32 s5, exec_lo
	s_delay_alu instid0(VALU_DEP_1) | instskip(NEXT) | instid1(VALU_DEP_1)
	v_add3_u32 v0, v1, v0, 0x88fffff
                                        ; implicit-def: $vgpr1
	v_lshrrev_b32_e32 v0, 21, v0
	s_and_not1_saveexec_b32 s6, s6
	s_cbranch_execnz .LBB364_3113
.LBB364_3012:
	s_or_b32 exec_lo, exec_lo, s6
	v_mov_b32_e32 v4, 0
	s_and_saveexec_b32 s6, s5
.LBB364_3013:
	v_mov_b32_e32 v4, v0
.LBB364_3014:
	s_or_b32 exec_lo, exec_lo, s6
.LBB364_3015:
	s_delay_alu instid0(SALU_CYCLE_1)
	s_or_b32 exec_lo, exec_lo, s2
	s_mov_b32 s2, 0
	global_store_b8 v[2:3], v4, off
.LBB364_3016:
	s_and_b32 vcc_lo, exec_lo, s2
	s_cbranch_vccz .LBB364_3026
; %bb.3017:
	s_wait_xcnt 0x0
	v_cndmask_b32_e64 v1, 0, 1.0, s4
	s_mov_b32 s2, exec_lo
                                        ; implicit-def: $vgpr0
	s_delay_alu instid0(VALU_DEP_1)
	v_cmpx_gt_u32_e32 0x43f00000, v1
	s_xor_b32 s2, exec_lo, s2
	s_cbranch_execz .LBB364_3023
; %bb.3018:
	s_mov_b32 s5, exec_lo
                                        ; implicit-def: $vgpr0
	v_cmpx_lt_u32_e32 0x3c7fffff, v1
	s_xor_b32 s5, exec_lo, s5
; %bb.3019:
	v_bfe_u32 v0, v1, 20, 1
	s_delay_alu instid0(VALU_DEP_1) | instskip(NEXT) | instid1(VALU_DEP_1)
	v_add3_u32 v0, v1, v0, 0x407ffff
	v_and_b32_e32 v1, 0xff00000, v0
	v_lshrrev_b32_e32 v0, 20, v0
	s_delay_alu instid0(VALU_DEP_2) | instskip(NEXT) | instid1(VALU_DEP_2)
	v_cmp_ne_u32_e32 vcc_lo, 0x7f00000, v1
                                        ; implicit-def: $vgpr1
	v_cndmask_b32_e32 v0, 0x7e, v0, vcc_lo
; %bb.3020:
	s_and_not1_saveexec_b32 s5, s5
; %bb.3021:
	v_add_f32_e32 v0, 0x46800000, v1
; %bb.3022:
	s_or_b32 exec_lo, exec_lo, s5
                                        ; implicit-def: $vgpr1
.LBB364_3023:
	s_and_not1_saveexec_b32 s2, s2
; %bb.3024:
	v_mov_b32_e32 v0, 0x7f
	v_cmp_lt_u32_e32 vcc_lo, 0x7f800000, v1
	s_delay_alu instid0(VALU_DEP_2)
	v_cndmask_b32_e32 v0, 0x7e, v0, vcc_lo
; %bb.3025:
	s_or_b32 exec_lo, exec_lo, s2
	global_store_b8 v[2:3], v0, off
.LBB364_3026:
	s_mov_b32 s2, 0
.LBB364_3027:
	s_delay_alu instid0(SALU_CYCLE_1)
	s_and_not1_b32 vcc_lo, exec_lo, s2
	s_cbranch_vccnz .LBB364_3037
; %bb.3028:
	s_wait_xcnt 0x0
	v_cndmask_b32_e64 v1, 0, 1.0, s4
	s_mov_b32 s2, exec_lo
                                        ; implicit-def: $vgpr0
	s_delay_alu instid0(VALU_DEP_1)
	v_cmpx_gt_u32_e32 0x47800000, v1
	s_xor_b32 s2, exec_lo, s2
	s_cbranch_execz .LBB364_3034
; %bb.3029:
	s_mov_b32 s5, exec_lo
                                        ; implicit-def: $vgpr0
	v_cmpx_lt_u32_e32 0x387fffff, v1
	s_xor_b32 s5, exec_lo, s5
; %bb.3030:
	v_bfe_u32 v0, v1, 21, 1
	s_delay_alu instid0(VALU_DEP_1) | instskip(NEXT) | instid1(VALU_DEP_1)
	v_add3_u32 v0, v1, v0, 0x80fffff
                                        ; implicit-def: $vgpr1
	v_lshrrev_b32_e32 v0, 21, v0
; %bb.3031:
	s_and_not1_saveexec_b32 s5, s5
; %bb.3032:
	v_add_f32_e32 v0, 0x43000000, v1
; %bb.3033:
	s_or_b32 exec_lo, exec_lo, s5
                                        ; implicit-def: $vgpr1
.LBB364_3034:
	s_and_not1_saveexec_b32 s2, s2
; %bb.3035:
	v_mov_b32_e32 v0, 0x7f
	v_cmp_lt_u32_e32 vcc_lo, 0x7f800000, v1
	s_delay_alu instid0(VALU_DEP_2)
	v_cndmask_b32_e32 v0, 0x7c, v0, vcc_lo
; %bb.3036:
	s_or_b32 exec_lo, exec_lo, s2
	global_store_b8 v[2:3], v0, off
.LBB364_3037:
	s_mov_b32 s2, 0
.LBB364_3038:
	s_delay_alu instid0(SALU_CYCLE_1)
	s_and_not1_b32 vcc_lo, exec_lo, s2
	s_mov_b32 s2, 0
	s_cbranch_vccnz .LBB364_3045
; %bb.3039:
	s_cmp_gt_i32 s3, 14
	s_mov_b32 s2, -1
	s_cbranch_scc0 .LBB364_3043
; %bb.3040:
	s_cmp_eq_u32 s3, 15
	s_mov_b32 s0, -1
	s_cbranch_scc0 .LBB364_3042
; %bb.3041:
	s_wait_xcnt 0x0
	v_cndmask_b32_e64 v0, 0, 1.0, s4
	s_mov_b32 s0, 0
	s_delay_alu instid0(VALU_DEP_1) | instskip(NEXT) | instid1(VALU_DEP_1)
	v_bfe_u32 v1, v0, 16, 1
	v_add3_u32 v0, v0, v1, 0x7fff
	global_store_d16_hi_b16 v[2:3], v0, off
.LBB364_3042:
	s_mov_b32 s2, 0
.LBB364_3043:
	s_delay_alu instid0(SALU_CYCLE_1)
	s_and_b32 vcc_lo, exec_lo, s2
	s_mov_b32 s2, 0
	s_cbranch_vccz .LBB364_3045
; %bb.3044:
	s_cmp_lg_u32 s3, 11
	s_mov_b32 s2, -1
	s_cselect_b32 s0, -1, 0
.LBB364_3045:
	s_delay_alu instid0(SALU_CYCLE_1)
	s_and_b32 vcc_lo, exec_lo, s0
	s_cbranch_vccnz .LBB364_3111
.LBB364_3046:
	s_mov_b32 s0, 0
	s_branch .LBB364_3048
.LBB364_3047:
	s_mov_b32 s0, 0
	s_wait_xcnt 0x0
	s_mov_b32 s2, 0
                                        ; implicit-def: $sgpr4
                                        ; implicit-def: $vgpr2_vgpr3
                                        ; implicit-def: $sgpr1
.LBB364_3048:
	s_and_not1_b32 s3, s8, exec_lo
	s_and_b32 s5, s10, exec_lo
	s_and_b32 s0, s0, exec_lo
	;; [unrolled: 1-line block ×3, first 2 shown]
	s_or_b32 s8, s3, s5
.LBB364_3049:
	s_wait_xcnt 0x0
	s_or_b32 exec_lo, exec_lo, s9
	s_and_saveexec_b32 s2, s8
	s_cbranch_execz .LBB364_3052
; %bb.3050:
	; divergent unreachable
	s_or_b32 exec_lo, exec_lo, s2
	s_and_saveexec_b32 s2, s30
	s_delay_alu instid0(SALU_CYCLE_1)
	s_xor_b32 s2, exec_lo, s2
	s_cbranch_execnz .LBB364_3053
.LBB364_3051:
	s_or_b32 exec_lo, exec_lo, s2
	s_and_saveexec_b32 s2, s0
	s_cbranch_execnz .LBB364_3054
	s_branch .LBB364_3091
.LBB364_3052:
	s_or_b32 exec_lo, exec_lo, s2
	s_and_saveexec_b32 s2, s30
	s_delay_alu instid0(SALU_CYCLE_1)
	s_xor_b32 s2, exec_lo, s2
	s_cbranch_execz .LBB364_3051
.LBB364_3053:
	v_cndmask_b32_e64 v0, 0, 1, s4
	global_store_b8 v[2:3], v0, off
	s_wait_xcnt 0x0
	s_or_b32 exec_lo, exec_lo, s2
	s_and_saveexec_b32 s2, s0
	s_cbranch_execz .LBB364_3091
.LBB364_3054:
	s_sext_i32_i16 s2, s1
	s_mov_b32 s0, -1
	s_cmp_lt_i32 s2, 5
	s_cbranch_scc1 .LBB364_3075
; %bb.3055:
	s_cmp_lt_i32 s2, 8
	s_cbranch_scc1 .LBB364_3065
; %bb.3056:
	;; [unrolled: 3-line block ×3, first 2 shown]
	s_cmp_gt_i32 s2, 9
	s_cbranch_scc0 .LBB364_3059
; %bb.3058:
	v_cndmask_b32_e64 v0, 0, 1, s4
	v_mov_b32_e32 v6, 0
	s_mov_b32 s0, 0
	s_wait_loadcnt 0x0
	s_delay_alu instid0(VALU_DEP_2) | instskip(NEXT) | instid1(VALU_DEP_2)
	v_cvt_f64_u32_e32 v[4:5], v0
	v_mov_b32_e32 v7, v6
	global_store_b128 v[2:3], v[4:7], off
.LBB364_3059:
	s_and_not1_b32 vcc_lo, exec_lo, s0
	s_cbranch_vccnz .LBB364_3061
; %bb.3060:
	v_cndmask_b32_e64 v0, 0, 1.0, s4
	v_mov_b32_e32 v1, 0
	global_store_b64 v[2:3], v[0:1], off
.LBB364_3061:
	s_mov_b32 s0, 0
.LBB364_3062:
	s_delay_alu instid0(SALU_CYCLE_1)
	s_and_not1_b32 vcc_lo, exec_lo, s0
	s_cbranch_vccnz .LBB364_3064
; %bb.3063:
	s_wait_xcnt 0x0
	v_cndmask_b32_e64 v0, 0, 1.0, s4
	s_delay_alu instid0(VALU_DEP_1) | instskip(NEXT) | instid1(VALU_DEP_1)
	v_cvt_f16_f32_e32 v0, v0
	v_and_b32_e32 v0, 0xffff, v0
	global_store_b32 v[2:3], v0, off
.LBB364_3064:
	s_mov_b32 s0, 0
.LBB364_3065:
	s_delay_alu instid0(SALU_CYCLE_1)
	s_and_not1_b32 vcc_lo, exec_lo, s0
	s_cbranch_vccnz .LBB364_3074
; %bb.3066:
	s_sext_i32_i16 s2, s1
	s_mov_b32 s0, -1
	s_cmp_lt_i32 s2, 6
	s_cbranch_scc1 .LBB364_3072
; %bb.3067:
	s_cmp_gt_i32 s2, 6
	s_cbranch_scc0 .LBB364_3069
; %bb.3068:
	s_wait_xcnt 0x0
	v_cndmask_b32_e64 v0, 0, 1, s4
	s_mov_b32 s0, 0
	s_delay_alu instid0(VALU_DEP_1)
	v_cvt_f64_u32_e32 v[0:1], v0
	global_store_b64 v[2:3], v[0:1], off
.LBB364_3069:
	s_and_not1_b32 vcc_lo, exec_lo, s0
	s_cbranch_vccnz .LBB364_3071
; %bb.3070:
	s_wait_xcnt 0x0
	v_cndmask_b32_e64 v0, 0, 1.0, s4
	global_store_b32 v[2:3], v0, off
.LBB364_3071:
	s_mov_b32 s0, 0
.LBB364_3072:
	s_delay_alu instid0(SALU_CYCLE_1)
	s_and_not1_b32 vcc_lo, exec_lo, s0
	s_cbranch_vccnz .LBB364_3074
; %bb.3073:
	s_wait_xcnt 0x0
	v_cndmask_b32_e64 v0, 0, 1.0, s4
	s_delay_alu instid0(VALU_DEP_1)
	v_cvt_f16_f32_e32 v0, v0
	global_store_b16 v[2:3], v0, off
.LBB364_3074:
	s_mov_b32 s0, 0
.LBB364_3075:
	s_delay_alu instid0(SALU_CYCLE_1)
	s_and_not1_b32 vcc_lo, exec_lo, s0
	s_cbranch_vccnz .LBB364_3091
; %bb.3076:
	s_sext_i32_i16 s2, s1
	s_mov_b32 s0, -1
	s_cmp_lt_i32 s2, 2
	s_cbranch_scc1 .LBB364_3086
; %bb.3077:
	s_cmp_lt_i32 s2, 3
	s_cbranch_scc1 .LBB364_3083
; %bb.3078:
	s_cmp_gt_i32 s2, 3
	s_cbranch_scc0 .LBB364_3080
; %bb.3079:
	s_mov_b32 s0, 0
	s_wait_xcnt 0x0
	v_cndmask_b32_e64 v0, 0, 1, s4
	v_mov_b32_e32 v1, s0
	global_store_b64 v[2:3], v[0:1], off
.LBB364_3080:
	s_and_not1_b32 vcc_lo, exec_lo, s0
	s_cbranch_vccnz .LBB364_3082
; %bb.3081:
	s_wait_xcnt 0x0
	v_cndmask_b32_e64 v0, 0, 1, s4
	global_store_b32 v[2:3], v0, off
.LBB364_3082:
	s_mov_b32 s0, 0
.LBB364_3083:
	s_delay_alu instid0(SALU_CYCLE_1)
	s_and_not1_b32 vcc_lo, exec_lo, s0
	s_cbranch_vccnz .LBB364_3085
; %bb.3084:
	s_wait_xcnt 0x0
	v_cndmask_b32_e64 v0, 0, 1, s4
	global_store_b16 v[2:3], v0, off
.LBB364_3085:
	s_mov_b32 s0, 0
.LBB364_3086:
	s_delay_alu instid0(SALU_CYCLE_1)
	s_and_not1_b32 vcc_lo, exec_lo, s0
	s_cbranch_vccnz .LBB364_3091
; %bb.3087:
	s_sext_i32_i16 s0, s1
	s_delay_alu instid0(SALU_CYCLE_1)
	s_cmp_gt_i32 s0, 0
	s_mov_b32 s0, -1
	s_cbranch_scc0 .LBB364_3089
; %bb.3088:
	s_wait_xcnt 0x0
	v_cndmask_b32_e64 v0, 0, 1, s4
	s_mov_b32 s0, 0
	global_store_b8 v[2:3], v0, off
.LBB364_3089:
	s_and_not1_b32 vcc_lo, exec_lo, s0
	s_cbranch_vccnz .LBB364_3091
; %bb.3090:
	s_wait_xcnt 0x0
	v_cndmask_b32_e64 v0, 0, 1, s4
	global_store_b8 v[2:3], v0, off
	s_endpgm
.LBB364_3091:
	s_endpgm
.LBB364_3092:
	s_mov_b32 s2, 0
	s_mov_b32 s0, -1
	s_branch .LBB364_3048
.LBB364_3093:
	s_or_b32 s10, s10, exec_lo
	s_trap 2
	s_cbranch_execz .LBB364_2563
	s_branch .LBB364_2564
.LBB364_3094:
	s_and_not1_saveexec_b32 s13, s13
	s_cbranch_execz .LBB364_2643
.LBB364_3095:
	v_add_f32_e32 v1, 0x46000000, v3
	s_and_not1_b32 s12, s12, exec_lo
	s_delay_alu instid0(VALU_DEP_1) | instskip(NEXT) | instid1(VALU_DEP_1)
	v_and_b32_e32 v1, 0xff, v1
	v_cmp_ne_u32_e32 vcc_lo, 0, v1
	s_and_b32 s14, vcc_lo, exec_lo
	s_delay_alu instid0(SALU_CYCLE_1)
	s_or_b32 s12, s12, s14
	s_or_b32 exec_lo, exec_lo, s13
	v_mov_b32_e32 v5, 0
	s_and_saveexec_b32 s13, s12
	s_cbranch_execnz .LBB364_2644
	s_branch .LBB364_2645
.LBB364_3096:
	s_or_b32 s10, s10, exec_lo
	s_trap 2
	s_cbranch_execz .LBB364_2691
	s_branch .LBB364_2692
.LBB364_3097:
	s_and_not1_saveexec_b32 s12, s12
	s_cbranch_execz .LBB364_2656
.LBB364_3098:
	v_add_f32_e32 v1, 0x42800000, v3
	s_and_not1_b32 s11, s11, exec_lo
	s_delay_alu instid0(VALU_DEP_1) | instskip(NEXT) | instid1(VALU_DEP_1)
	v_and_b32_e32 v1, 0xff, v1
	v_cmp_ne_u32_e32 vcc_lo, 0, v1
	s_and_b32 s13, vcc_lo, exec_lo
	s_delay_alu instid0(SALU_CYCLE_1)
	s_or_b32 s11, s11, s13
	s_or_b32 exec_lo, exec_lo, s12
	v_mov_b32_e32 v5, 0
	s_and_saveexec_b32 s12, s11
	s_cbranch_execnz .LBB364_2657
	s_branch .LBB364_2658
.LBB364_3099:
	s_and_not1_saveexec_b32 s13, s13
	s_cbranch_execz .LBB364_2761
.LBB364_3100:
	v_add_f32_e32 v1, 0x46000000, v3
	s_and_not1_b32 s12, s12, exec_lo
	s_delay_alu instid0(VALU_DEP_1) | instskip(NEXT) | instid1(VALU_DEP_1)
	v_and_b32_e32 v1, 0xff, v1
	v_cmp_ne_u32_e32 vcc_lo, 0, v1
	s_and_b32 s14, vcc_lo, exec_lo
	s_delay_alu instid0(SALU_CYCLE_1)
	s_or_b32 s12, s12, s14
	s_or_b32 exec_lo, exec_lo, s13
	v_mov_b32_e32 v6, 0
	s_and_saveexec_b32 s13, s12
	s_cbranch_execnz .LBB364_2762
	s_branch .LBB364_2763
.LBB364_3101:
	s_or_b32 s10, s10, exec_lo
	s_trap 2
	s_cbranch_execz .LBB364_2809
	s_branch .LBB364_2810
.LBB364_3102:
	s_and_not1_saveexec_b32 s12, s12
	s_cbranch_execz .LBB364_2774
.LBB364_3103:
	v_add_f32_e32 v1, 0x42800000, v3
	s_and_not1_b32 s11, s11, exec_lo
	s_delay_alu instid0(VALU_DEP_1) | instskip(NEXT) | instid1(VALU_DEP_1)
	v_and_b32_e32 v1, 0xff, v1
	v_cmp_ne_u32_e32 vcc_lo, 0, v1
	s_and_b32 s13, vcc_lo, exec_lo
	s_delay_alu instid0(SALU_CYCLE_1)
	s_or_b32 s11, s11, s13
	s_or_b32 exec_lo, exec_lo, s12
	v_mov_b32_e32 v6, 0
	s_and_saveexec_b32 s12, s11
	s_cbranch_execnz .LBB364_2775
	s_branch .LBB364_2776
.LBB364_3104:
	s_and_not1_saveexec_b32 s13, s13
	s_cbranch_execz .LBB364_2880
.LBB364_3105:
	v_add_f32_e32 v1, 0x46000000, v4
	s_and_not1_b32 s12, s12, exec_lo
	s_delay_alu instid0(VALU_DEP_1) | instskip(NEXT) | instid1(VALU_DEP_1)
	v_and_b32_e32 v1, 0xff, v1
	v_cmp_ne_u32_e32 vcc_lo, 0, v1
	s_and_b32 s14, vcc_lo, exec_lo
	s_delay_alu instid0(SALU_CYCLE_1)
	s_or_b32 s12, s12, s14
	s_or_b32 exec_lo, exec_lo, s13
	v_mov_b32_e32 v5, 0
	s_and_saveexec_b32 s13, s12
	s_cbranch_execnz .LBB364_2881
	s_branch .LBB364_2882
.LBB364_3106:
	s_or_b32 s10, s10, exec_lo
	s_trap 2
	s_cbranch_execz .LBB364_2928
	s_branch .LBB364_2929
.LBB364_3107:
	s_and_not1_saveexec_b32 s12, s12
	s_cbranch_execz .LBB364_2893
.LBB364_3108:
	v_add_f32_e32 v1, 0x42800000, v4
	s_and_not1_b32 s11, s11, exec_lo
	s_delay_alu instid0(VALU_DEP_1) | instskip(NEXT) | instid1(VALU_DEP_1)
	v_and_b32_e32 v1, 0xff, v1
	v_cmp_ne_u32_e32 vcc_lo, 0, v1
	s_and_b32 s13, vcc_lo, exec_lo
	s_delay_alu instid0(SALU_CYCLE_1)
	s_or_b32 s11, s11, s13
	s_or_b32 exec_lo, exec_lo, s12
	v_mov_b32_e32 v5, 0
	s_and_saveexec_b32 s12, s11
	s_cbranch_execnz .LBB364_2894
	s_branch .LBB364_2895
.LBB364_3109:
	s_and_not1_saveexec_b32 s7, s7
	s_cbranch_execz .LBB364_3000
.LBB364_3110:
	v_add_f32_e32 v0, 0x46000000, v1
	s_and_not1_b32 s6, s6, exec_lo
	s_delay_alu instid0(VALU_DEP_1) | instskip(NEXT) | instid1(VALU_DEP_1)
	v_and_b32_e32 v0, 0xff, v0
	v_cmp_ne_u32_e32 vcc_lo, 0, v0
	s_and_b32 s11, vcc_lo, exec_lo
	s_delay_alu instid0(SALU_CYCLE_1)
	s_or_b32 s6, s6, s11
	s_or_b32 exec_lo, exec_lo, s7
	v_mov_b32_e32 v4, 0
	s_and_saveexec_b32 s7, s6
	s_cbranch_execnz .LBB364_3001
	s_branch .LBB364_3002
.LBB364_3111:
	s_mov_b32 s2, 0
	s_or_b32 s10, s10, exec_lo
	s_trap 2
	s_branch .LBB364_3046
.LBB364_3112:
	s_and_not1_saveexec_b32 s6, s6
	s_cbranch_execz .LBB364_3012
.LBB364_3113:
	v_add_f32_e32 v0, 0x42800000, v1
	s_and_not1_b32 s5, s5, exec_lo
	s_delay_alu instid0(VALU_DEP_1) | instskip(NEXT) | instid1(VALU_DEP_1)
	v_and_b32_e32 v0, 0xff, v0
	v_cmp_ne_u32_e32 vcc_lo, 0, v0
	s_and_b32 s7, vcc_lo, exec_lo
	s_delay_alu instid0(SALU_CYCLE_1)
	s_or_b32 s5, s5, s7
	s_or_b32 exec_lo, exec_lo, s6
	v_mov_b32_e32 v4, 0
	s_and_saveexec_b32 s6, s5
	s_cbranch_execnz .LBB364_3013
	s_branch .LBB364_3014
	.section	.rodata,"a",@progbits
	.p2align	6, 0x0
	.amdhsa_kernel _ZN2at6native32elementwise_kernel_manual_unrollILi128ELi4EZNS0_15gpu_kernel_implINS0_13BinaryFunctorImmbNS0_12_GLOBAL__N_116CompareEqFunctorImEEEEEEvRNS_18TensorIteratorBaseERKT_EUlibE0_EEviT1_
		.amdhsa_group_segment_fixed_size 0
		.amdhsa_private_segment_fixed_size 0
		.amdhsa_kernarg_size 432
		.amdhsa_user_sgpr_count 2
		.amdhsa_user_sgpr_dispatch_ptr 0
		.amdhsa_user_sgpr_queue_ptr 0
		.amdhsa_user_sgpr_kernarg_segment_ptr 1
		.amdhsa_user_sgpr_dispatch_id 0
		.amdhsa_user_sgpr_kernarg_preload_length 0
		.amdhsa_user_sgpr_kernarg_preload_offset 0
		.amdhsa_user_sgpr_private_segment_size 0
		.amdhsa_wavefront_size32 1
		.amdhsa_uses_dynamic_stack 0
		.amdhsa_enable_private_segment 0
		.amdhsa_system_sgpr_workgroup_id_x 1
		.amdhsa_system_sgpr_workgroup_id_y 0
		.amdhsa_system_sgpr_workgroup_id_z 0
		.amdhsa_system_sgpr_workgroup_info 0
		.amdhsa_system_vgpr_workitem_id 0
		.amdhsa_next_free_vgpr 30
		.amdhsa_next_free_sgpr 62
		.amdhsa_named_barrier_count 0
		.amdhsa_reserve_vcc 1
		.amdhsa_float_round_mode_32 0
		.amdhsa_float_round_mode_16_64 0
		.amdhsa_float_denorm_mode_32 3
		.amdhsa_float_denorm_mode_16_64 3
		.amdhsa_fp16_overflow 0
		.amdhsa_memory_ordered 1
		.amdhsa_forward_progress 1
		.amdhsa_inst_pref_size 255
		.amdhsa_round_robin_scheduling 0
		.amdhsa_exception_fp_ieee_invalid_op 0
		.amdhsa_exception_fp_denorm_src 0
		.amdhsa_exception_fp_ieee_div_zero 0
		.amdhsa_exception_fp_ieee_overflow 0
		.amdhsa_exception_fp_ieee_underflow 0
		.amdhsa_exception_fp_ieee_inexact 0
		.amdhsa_exception_int_div_zero 0
	.end_amdhsa_kernel
	.section	.text._ZN2at6native32elementwise_kernel_manual_unrollILi128ELi4EZNS0_15gpu_kernel_implINS0_13BinaryFunctorImmbNS0_12_GLOBAL__N_116CompareEqFunctorImEEEEEEvRNS_18TensorIteratorBaseERKT_EUlibE0_EEviT1_,"axG",@progbits,_ZN2at6native32elementwise_kernel_manual_unrollILi128ELi4EZNS0_15gpu_kernel_implINS0_13BinaryFunctorImmbNS0_12_GLOBAL__N_116CompareEqFunctorImEEEEEEvRNS_18TensorIteratorBaseERKT_EUlibE0_EEviT1_,comdat
.Lfunc_end364:
	.size	_ZN2at6native32elementwise_kernel_manual_unrollILi128ELi4EZNS0_15gpu_kernel_implINS0_13BinaryFunctorImmbNS0_12_GLOBAL__N_116CompareEqFunctorImEEEEEEvRNS_18TensorIteratorBaseERKT_EUlibE0_EEviT1_, .Lfunc_end364-_ZN2at6native32elementwise_kernel_manual_unrollILi128ELi4EZNS0_15gpu_kernel_implINS0_13BinaryFunctorImmbNS0_12_GLOBAL__N_116CompareEqFunctorImEEEEEEvRNS_18TensorIteratorBaseERKT_EUlibE0_EEviT1_
                                        ; -- End function
	.set _ZN2at6native32elementwise_kernel_manual_unrollILi128ELi4EZNS0_15gpu_kernel_implINS0_13BinaryFunctorImmbNS0_12_GLOBAL__N_116CompareEqFunctorImEEEEEEvRNS_18TensorIteratorBaseERKT_EUlibE0_EEviT1_.num_vgpr, 30
	.set _ZN2at6native32elementwise_kernel_manual_unrollILi128ELi4EZNS0_15gpu_kernel_implINS0_13BinaryFunctorImmbNS0_12_GLOBAL__N_116CompareEqFunctorImEEEEEEvRNS_18TensorIteratorBaseERKT_EUlibE0_EEviT1_.num_agpr, 0
	.set _ZN2at6native32elementwise_kernel_manual_unrollILi128ELi4EZNS0_15gpu_kernel_implINS0_13BinaryFunctorImmbNS0_12_GLOBAL__N_116CompareEqFunctorImEEEEEEvRNS_18TensorIteratorBaseERKT_EUlibE0_EEviT1_.numbered_sgpr, 62
	.set _ZN2at6native32elementwise_kernel_manual_unrollILi128ELi4EZNS0_15gpu_kernel_implINS0_13BinaryFunctorImmbNS0_12_GLOBAL__N_116CompareEqFunctorImEEEEEEvRNS_18TensorIteratorBaseERKT_EUlibE0_EEviT1_.num_named_barrier, 0
	.set _ZN2at6native32elementwise_kernel_manual_unrollILi128ELi4EZNS0_15gpu_kernel_implINS0_13BinaryFunctorImmbNS0_12_GLOBAL__N_116CompareEqFunctorImEEEEEEvRNS_18TensorIteratorBaseERKT_EUlibE0_EEviT1_.private_seg_size, 0
	.set _ZN2at6native32elementwise_kernel_manual_unrollILi128ELi4EZNS0_15gpu_kernel_implINS0_13BinaryFunctorImmbNS0_12_GLOBAL__N_116CompareEqFunctorImEEEEEEvRNS_18TensorIteratorBaseERKT_EUlibE0_EEviT1_.uses_vcc, 1
	.set _ZN2at6native32elementwise_kernel_manual_unrollILi128ELi4EZNS0_15gpu_kernel_implINS0_13BinaryFunctorImmbNS0_12_GLOBAL__N_116CompareEqFunctorImEEEEEEvRNS_18TensorIteratorBaseERKT_EUlibE0_EEviT1_.uses_flat_scratch, 0
	.set _ZN2at6native32elementwise_kernel_manual_unrollILi128ELi4EZNS0_15gpu_kernel_implINS0_13BinaryFunctorImmbNS0_12_GLOBAL__N_116CompareEqFunctorImEEEEEEvRNS_18TensorIteratorBaseERKT_EUlibE0_EEviT1_.has_dyn_sized_stack, 0
	.set _ZN2at6native32elementwise_kernel_manual_unrollILi128ELi4EZNS0_15gpu_kernel_implINS0_13BinaryFunctorImmbNS0_12_GLOBAL__N_116CompareEqFunctorImEEEEEEvRNS_18TensorIteratorBaseERKT_EUlibE0_EEviT1_.has_recursion, 0
	.set _ZN2at6native32elementwise_kernel_manual_unrollILi128ELi4EZNS0_15gpu_kernel_implINS0_13BinaryFunctorImmbNS0_12_GLOBAL__N_116CompareEqFunctorImEEEEEEvRNS_18TensorIteratorBaseERKT_EUlibE0_EEviT1_.has_indirect_call, 0
	.section	.AMDGPU.csdata,"",@progbits
; Kernel info:
; codeLenInByte = 64436
; TotalNumSgprs: 64
; NumVgprs: 30
; ScratchSize: 0
; MemoryBound: 1
; FloatMode: 240
; IeeeMode: 1
; LDSByteSize: 0 bytes/workgroup (compile time only)
; SGPRBlocks: 0
; VGPRBlocks: 1
; NumSGPRsForWavesPerEU: 64
; NumVGPRsForWavesPerEU: 30
; NamedBarCnt: 0
; Occupancy: 16
; WaveLimiterHint : 1
; COMPUTE_PGM_RSRC2:SCRATCH_EN: 0
; COMPUTE_PGM_RSRC2:USER_SGPR: 2
; COMPUTE_PGM_RSRC2:TRAP_HANDLER: 0
; COMPUTE_PGM_RSRC2:TGID_X_EN: 1
; COMPUTE_PGM_RSRC2:TGID_Y_EN: 0
; COMPUTE_PGM_RSRC2:TGID_Z_EN: 0
; COMPUTE_PGM_RSRC2:TIDIG_COMP_CNT: 0
	.section	.text._ZN2at6native29vectorized_elementwise_kernelILi16ENS0_13AUnaryFunctorImmbNS0_12_GLOBAL__N_116CompareEqFunctorImEEEESt5arrayIPcLm2EEEEviT0_T1_,"axG",@progbits,_ZN2at6native29vectorized_elementwise_kernelILi16ENS0_13AUnaryFunctorImmbNS0_12_GLOBAL__N_116CompareEqFunctorImEEEESt5arrayIPcLm2EEEEviT0_T1_,comdat
	.globl	_ZN2at6native29vectorized_elementwise_kernelILi16ENS0_13AUnaryFunctorImmbNS0_12_GLOBAL__N_116CompareEqFunctorImEEEESt5arrayIPcLm2EEEEviT0_T1_ ; -- Begin function _ZN2at6native29vectorized_elementwise_kernelILi16ENS0_13AUnaryFunctorImmbNS0_12_GLOBAL__N_116CompareEqFunctorImEEEESt5arrayIPcLm2EEEEviT0_T1_
	.p2align	8
	.type	_ZN2at6native29vectorized_elementwise_kernelILi16ENS0_13AUnaryFunctorImmbNS0_12_GLOBAL__N_116CompareEqFunctorImEEEESt5arrayIPcLm2EEEEviT0_T1_,@function
_ZN2at6native29vectorized_elementwise_kernelILi16ENS0_13AUnaryFunctorImmbNS0_12_GLOBAL__N_116CompareEqFunctorImEEEESt5arrayIPcLm2EEEEviT0_T1_: ; @_ZN2at6native29vectorized_elementwise_kernelILi16ENS0_13AUnaryFunctorImmbNS0_12_GLOBAL__N_116CompareEqFunctorImEEEESt5arrayIPcLm2EEEEviT0_T1_
; %bb.0:
	s_clause 0x3
	s_load_b32 s2, s[0:1], 0x0
	s_load_b32 s24, s[0:1], 0x8
	s_load_b128 s[16:19], s[0:1], 0x10
	s_load_b64 s[22:23], s[0:1], 0x20
	s_wait_xcnt 0x0
	s_bfe_u32 s0, ttmp6, 0x4000c
	s_and_b32 s1, ttmp6, 15
	s_add_co_i32 s0, s0, 1
	s_getreg_b32 s3, hwreg(HW_REG_IB_STS2, 6, 4)
	s_mul_i32 s0, ttmp9, s0
	s_delay_alu instid0(SALU_CYCLE_1) | instskip(SKIP_2) | instid1(SALU_CYCLE_1)
	s_add_co_i32 s1, s1, s0
	s_cmp_eq_u32 s3, 0
	s_cselect_b32 s0, ttmp9, s1
	s_lshl_b32 s20, s0, 12
	s_mov_b32 s0, -1
	s_wait_kmcnt 0x0
	s_sub_co_i32 s15, s2, s20
	s_delay_alu instid0(SALU_CYCLE_1)
	s_cmp_gt_i32 s15, 0xfff
	s_cbranch_scc0 .LBB365_2
; %bb.1:
	s_ashr_i32 s21, s20, 31
	v_lshlrev_b32_e32 v1, 7, v0
	s_lshl_b64 s[0:1], s[20:21], 3
	s_cmp_eq_u32 s24, 0
	s_add_nc_u64 s[0:1], s[22:23], s[0:1]
	s_cselect_b32 s25, -1, 0
	s_clause 0x7
	global_load_b128 v[2:5], v1, s[0:1] offset:32
	global_load_b128 v[6:9], v1, s[0:1] offset:48
	global_load_b128 v[10:13], v1, s[0:1]
	global_load_b128 v[14:17], v1, s[0:1] offset:16
	global_load_b128 v[18:21], v1, s[0:1] offset:96
	;; [unrolled: 1-line block ×5, first 2 shown]
	s_wait_loadcnt 0x7
	s_wait_xcnt 0x0
	v_cmp_ne_u64_e64 s0, s[16:17], v[2:3]
	s_wait_loadcnt 0x6
	v_cmp_ne_u64_e64 s1, s[16:17], v[8:9]
	v_cmp_ne_u64_e64 s2, s[16:17], v[6:7]
	s_wait_loadcnt 0x5
	v_cmp_ne_u64_e64 s3, s[16:17], v[12:13]
	;; [unrolled: 3-line block ×3, first 2 shown]
	v_cmp_ne_u64_e64 s6, s[16:17], v[14:15]
	s_xor_b32 s0, s25, s0
	v_cmp_ne_u64_e32 vcc_lo, s[16:17], v[4:5]
	v_cndmask_b32_e64 v2, 0, 1, s0
	s_xor_b32 s0, s25, s1
	s_wait_loadcnt 0x3
	v_cmp_ne_u64_e64 s7, s[16:17], v[20:21]
	v_cndmask_b32_e64 v3, 0, 1, s0
	s_xor_b32 s0, s25, s2
	v_cmp_ne_u64_e64 s8, s[16:17], v[18:19]
	v_cndmask_b32_e64 v4, 0, 1, s0
	s_xor_b32 s0, s25, s3
	s_wait_loadcnt 0x2
	v_cmp_ne_u64_e64 s9, s[16:17], v[24:25]
	v_cndmask_b32_e64 v5, 0, 1, s0
	s_xor_b32 s0, s25, s4
	v_cmp_ne_u64_e64 s10, s[16:17], v[22:23]
	;; [unrolled: 7-line block ×4, first 2 shown]
	v_cndmask_b32_e64 v10, 0, 1, s0
	s_xor_b32 s0, s25, s9
	s_xor_b32 s26, s25, vcc_lo
	v_cndmask_b32_e64 v11, 0, 1, s0
	s_xor_b32 s0, s25, s10
	v_cndmask_b32_e64 v1, 0, 1, s26
	v_cndmask_b32_e64 v12, 0, 1, s0
	s_xor_b32 s0, s25, s11
	v_lshlrev_b16 v3, 8, v3
	v_cndmask_b32_e64 v13, 0, 1, s0
	s_xor_b32 s0, s25, s12
	v_lshlrev_b16 v1, 8, v1
	;; [unrolled: 3-line block ×4, first 2 shown]
	v_cndmask_b32_e64 v16, 0, 1, s0
	v_lshlrev_b16 v9, 8, v9
	v_lshlrev_b16 v11, 8, v11
	;; [unrolled: 1-line block ×4, first 2 shown]
	v_or_b32_e32 v1, v2, v1
	v_or_b32_e32 v2, v4, v3
	;; [unrolled: 1-line block ×7, first 2 shown]
	v_dual_lshlrev_b32 v2, 16, v2 :: v_dual_bitop2_b32 v5, v10, v9 bitop3:0x54
	v_and_b32_e32 v1, 0xffff, v1
	v_dual_lshlrev_b32 v6, 16, v6 :: v_dual_lshlrev_b32 v4, 16, v4
	v_and_b32_e32 v9, 0xffff, v3
	v_and_b32_e32 v7, 0xffff, v7
	v_lshlrev_b32_e32 v8, 16, v8
	v_and_b32_e32 v5, 0xffff, v5
	v_or_b32_e32 v3, v1, v2
	v_or_b32_e32 v2, v9, v4
	s_add_nc_u64 s[2:3], s[18:19], s[20:21]
	v_or_b32_e32 v4, v7, v8
	v_or_b32_e32 v5, v5, v6
	s_mov_b32 s0, 0
	global_store_b128 v0, v[2:5], s[2:3] scale_offset
.LBB365_2:
	s_and_not1_b32 vcc_lo, exec_lo, s0
	s_cbranch_vccnz .LBB365_52
; %bb.3:
	s_wait_xcnt 0x0
	v_mov_b64_e32 v[2:3], 0
	v_mov_b64_e32 v[12:13], 0
	v_cmp_gt_i32_e32 vcc_lo, s15, v0
	v_dual_mov_b32 v35, v0 :: v_dual_bitop2_b32 v1, s20, v0 bitop3:0x54
	v_or_b32_e32 v34, 0x100, v0
	s_and_saveexec_b32 s0, vcc_lo
	s_cbranch_execz .LBB365_5
; %bb.4:
	global_load_b64 v[12:13], v1, s[22:23] scale_offset
	v_or_b32_e32 v35, 0x100, v0
.LBB365_5:
	s_wait_xcnt 0x0
	s_or_b32 exec_lo, exec_lo, s0
	s_delay_alu instid0(SALU_CYCLE_1) | instskip(NEXT) | instid1(VALU_DEP_1)
	s_mov_b32 s1, exec_lo
	v_cmpx_gt_i32_e64 s15, v35
	s_cbranch_execz .LBB365_7
; %bb.6:
	v_add_nc_u32_e32 v2, s20, v35
	v_add_nc_u32_e32 v35, 0x100, v35
	global_load_b64 v[2:3], v2, s[22:23] scale_offset
.LBB365_7:
	s_wait_xcnt 0x0
	s_or_b32 exec_lo, exec_lo, s1
	v_mov_b64_e32 v[4:5], 0
	v_mov_b64_e32 v[16:17], 0
	s_mov_b32 s1, exec_lo
	v_cmpx_gt_i32_e64 s15, v35
	s_cbranch_execz .LBB365_9
; %bb.8:
	v_add_nc_u32_e32 v6, s20, v35
	v_add_nc_u32_e32 v35, 0x100, v35
	global_load_b64 v[16:17], v6, s[22:23] scale_offset
.LBB365_9:
	s_wait_xcnt 0x0
	s_or_b32 exec_lo, exec_lo, s1
	s_delay_alu instid0(SALU_CYCLE_1)
	s_mov_b32 s1, exec_lo
	v_cmpx_gt_i32_e64 s15, v35
	s_cbranch_execz .LBB365_11
; %bb.10:
	v_add_nc_u32_e32 v4, s20, v35
	v_add_nc_u32_e32 v35, 0x100, v35
	global_load_b64 v[4:5], v4, s[22:23] scale_offset
.LBB365_11:
	s_wait_xcnt 0x0
	s_or_b32 exec_lo, exec_lo, s1
	v_mov_b64_e32 v[6:7], 0
	v_mov_b64_e32 v[20:21], 0
	s_mov_b32 s1, exec_lo
	v_cmpx_gt_i32_e64 s15, v35
	s_cbranch_execz .LBB365_13
; %bb.12:
	v_add_nc_u32_e32 v8, s20, v35
	v_add_nc_u32_e32 v35, 0x100, v35
	global_load_b64 v[20:21], v8, s[22:23] scale_offset
.LBB365_13:
	s_wait_xcnt 0x0
	s_or_b32 exec_lo, exec_lo, s1
	s_delay_alu instid0(SALU_CYCLE_1)
	;; [unrolled: 23-line block ×7, first 2 shown]
	s_mov_b32 s1, exec_lo
	v_cmpx_gt_i32_e64 s15, v35
	s_cbranch_execz .LBB365_35
; %bb.34:
	v_add_nc_u32_e32 v22, s20, v35
	global_load_b64 v[22:23], v22, s[22:23] scale_offset
.LBB365_35:
	s_wait_xcnt 0x0
	s_or_b32 exec_lo, exec_lo, s1
	s_cmp_eq_u32 s24, 0
	s_cselect_b32 s0, -1, 0
	s_and_saveexec_b32 s1, vcc_lo
	s_cbranch_execnz .LBB365_53
; %bb.36:
	s_or_b32 exec_lo, exec_lo, s1
	s_delay_alu instid0(SALU_CYCLE_1)
	s_mov_b32 s1, exec_lo
	v_cmpx_gt_i32_e64 s15, v0
	s_cbranch_execnz .LBB365_54
.LBB365_37:
	s_or_b32 exec_lo, exec_lo, s1
	s_delay_alu instid0(SALU_CYCLE_1)
	s_mov_b32 s1, exec_lo
	v_cmpx_gt_i32_e64 s15, v0
	s_cbranch_execnz .LBB365_55
.LBB365_38:
	s_or_b32 exec_lo, exec_lo, s1
	s_delay_alu instid0(SALU_CYCLE_1)
	s_mov_b32 s1, exec_lo
	v_cmpx_gt_i32_e64 s15, v0
	s_cbranch_execnz .LBB365_56
.LBB365_39:
	s_or_b32 exec_lo, exec_lo, s1
	s_delay_alu instid0(SALU_CYCLE_1)
	s_mov_b32 s1, exec_lo
	v_cmpx_gt_i32_e64 s15, v0
	s_cbranch_execnz .LBB365_57
.LBB365_40:
	s_or_b32 exec_lo, exec_lo, s1
	s_delay_alu instid0(SALU_CYCLE_1)
	s_mov_b32 s1, exec_lo
	v_cmpx_gt_i32_e64 s15, v0
	s_cbranch_execnz .LBB365_58
.LBB365_41:
	s_or_b32 exec_lo, exec_lo, s1
	s_delay_alu instid0(SALU_CYCLE_1)
	s_mov_b32 s1, exec_lo
	v_cmpx_gt_i32_e64 s15, v0
	s_cbranch_execnz .LBB365_59
.LBB365_42:
	s_or_b32 exec_lo, exec_lo, s1
	s_delay_alu instid0(SALU_CYCLE_1)
	s_mov_b32 s1, exec_lo
	v_cmpx_gt_i32_e64 s15, v0
	s_cbranch_execnz .LBB365_60
.LBB365_43:
	s_or_b32 exec_lo, exec_lo, s1
	s_delay_alu instid0(SALU_CYCLE_1)
	s_mov_b32 s1, exec_lo
	v_cmpx_gt_i32_e64 s15, v0
	s_cbranch_execnz .LBB365_61
.LBB365_44:
	s_or_b32 exec_lo, exec_lo, s1
	s_delay_alu instid0(SALU_CYCLE_1)
	s_mov_b32 s1, exec_lo
	v_cmpx_gt_i32_e64 s15, v0
	s_cbranch_execnz .LBB365_62
.LBB365_45:
	s_or_b32 exec_lo, exec_lo, s1
	s_delay_alu instid0(SALU_CYCLE_1)
	s_mov_b32 s1, exec_lo
	v_cmpx_gt_i32_e64 s15, v0
	s_cbranch_execnz .LBB365_63
.LBB365_46:
	s_or_b32 exec_lo, exec_lo, s1
	s_delay_alu instid0(SALU_CYCLE_1)
	s_mov_b32 s1, exec_lo
	v_cmpx_gt_i32_e64 s15, v0
	s_cbranch_execnz .LBB365_64
.LBB365_47:
	s_or_b32 exec_lo, exec_lo, s1
	s_delay_alu instid0(SALU_CYCLE_1)
	s_mov_b32 s1, exec_lo
	v_cmpx_gt_i32_e64 s15, v0
	s_cbranch_execnz .LBB365_65
.LBB365_48:
	s_or_b32 exec_lo, exec_lo, s1
	s_delay_alu instid0(SALU_CYCLE_1)
	s_mov_b32 s1, exec_lo
	v_cmpx_gt_i32_e64 s15, v0
	s_cbranch_execnz .LBB365_66
.LBB365_49:
	s_or_b32 exec_lo, exec_lo, s1
	s_delay_alu instid0(SALU_CYCLE_1)
	s_mov_b32 s1, exec_lo
	v_cmpx_gt_i32_e64 s15, v0
	s_cbranch_execnz .LBB365_67
.LBB365_50:
	s_or_b32 exec_lo, exec_lo, s1
	s_delay_alu instid0(SALU_CYCLE_1)
	s_mov_b32 s1, exec_lo
	v_cmpx_gt_i32_e64 s15, v0
	s_cbranch_execz .LBB365_52
.LBB365_51:
	s_wait_loadcnt 0x0
	v_cmp_ne_u64_e32 vcc_lo, s[16:17], v[22:23]
	v_add_nc_u32_e32 v0, s20, v0
	s_xor_b32 s0, s0, vcc_lo
	s_delay_alu instid0(SALU_CYCLE_1)
	v_cndmask_b32_e64 v1, 0, 1, s0
	global_store_b8 v0, v1, s[18:19]
.LBB365_52:
	s_endpgm
.LBB365_53:
	s_wait_loadcnt 0x0
	v_cmp_ne_u64_e32 vcc_lo, s[16:17], v[12:13]
	v_mov_b32_e32 v0, v34
	s_xor_b32 s2, s0, vcc_lo
	s_delay_alu instid0(SALU_CYCLE_1) | instskip(SKIP_3) | instid1(SALU_CYCLE_1)
	v_cndmask_b32_e64 v12, 0, 1, s2
	global_store_b8 v1, v12, s[18:19]
	s_wait_xcnt 0x0
	s_or_b32 exec_lo, exec_lo, s1
	s_mov_b32 s1, exec_lo
	v_cmpx_gt_i32_e64 s15, v0
	s_cbranch_execz .LBB365_37
.LBB365_54:
	s_wait_loadcnt 0x0
	v_cmp_ne_u64_e32 vcc_lo, s[16:17], v[2:3]
	v_add_nc_u32_e32 v2, s20, v0
	v_add_nc_u32_e32 v0, 0x100, v0
	s_xor_b32 s2, s0, vcc_lo
	s_delay_alu instid0(SALU_CYCLE_1) | instskip(SKIP_3) | instid1(SALU_CYCLE_1)
	v_cndmask_b32_e64 v1, 0, 1, s2
	global_store_b8 v2, v1, s[18:19]
	s_wait_xcnt 0x0
	s_or_b32 exec_lo, exec_lo, s1
	s_mov_b32 s1, exec_lo
	v_cmpx_gt_i32_e64 s15, v0
	s_cbranch_execz .LBB365_38
.LBB365_55:
	s_wait_loadcnt 0x0
	v_cmp_ne_u64_e32 vcc_lo, s[16:17], v[16:17]
	v_add_nc_u32_e32 v2, s20, v0
	v_add_nc_u32_e32 v0, 0x100, v0
	s_xor_b32 s2, s0, vcc_lo
	s_delay_alu instid0(SALU_CYCLE_1) | instskip(SKIP_3) | instid1(SALU_CYCLE_1)
	v_cndmask_b32_e64 v1, 0, 1, s2
	global_store_b8 v2, v1, s[18:19]
	s_wait_xcnt 0x0
	s_or_b32 exec_lo, exec_lo, s1
	s_mov_b32 s1, exec_lo
	v_cmpx_gt_i32_e64 s15, v0
	s_cbranch_execz .LBB365_39
.LBB365_56:
	s_wait_loadcnt 0x0
	v_cmp_ne_u64_e32 vcc_lo, s[16:17], v[4:5]
	v_add_nc_u32_e32 v2, s20, v0
	v_add_nc_u32_e32 v0, 0x100, v0
	s_xor_b32 s2, s0, vcc_lo
	s_delay_alu instid0(SALU_CYCLE_1) | instskip(SKIP_3) | instid1(SALU_CYCLE_1)
	v_cndmask_b32_e64 v1, 0, 1, s2
	global_store_b8 v2, v1, s[18:19]
	s_wait_xcnt 0x0
	s_or_b32 exec_lo, exec_lo, s1
	s_mov_b32 s1, exec_lo
	v_cmpx_gt_i32_e64 s15, v0
	s_cbranch_execz .LBB365_40
.LBB365_57:
	s_wait_loadcnt 0x0
	v_cmp_ne_u64_e32 vcc_lo, s[16:17], v[20:21]
	v_add_nc_u32_e32 v2, s20, v0
	v_add_nc_u32_e32 v0, 0x100, v0
	s_xor_b32 s2, s0, vcc_lo
	s_delay_alu instid0(SALU_CYCLE_1) | instskip(SKIP_3) | instid1(SALU_CYCLE_1)
	v_cndmask_b32_e64 v1, 0, 1, s2
	global_store_b8 v2, v1, s[18:19]
	s_wait_xcnt 0x0
	s_or_b32 exec_lo, exec_lo, s1
	s_mov_b32 s1, exec_lo
	v_cmpx_gt_i32_e64 s15, v0
	s_cbranch_execz .LBB365_41
.LBB365_58:
	s_wait_loadcnt 0x0
	v_cmp_ne_u64_e32 vcc_lo, s[16:17], v[6:7]
	v_add_nc_u32_e32 v2, s20, v0
	v_add_nc_u32_e32 v0, 0x100, v0
	s_xor_b32 s2, s0, vcc_lo
	s_delay_alu instid0(SALU_CYCLE_1) | instskip(SKIP_3) | instid1(SALU_CYCLE_1)
	v_cndmask_b32_e64 v1, 0, 1, s2
	global_store_b8 v2, v1, s[18:19]
	s_wait_xcnt 0x0
	s_or_b32 exec_lo, exec_lo, s1
	s_mov_b32 s1, exec_lo
	v_cmpx_gt_i32_e64 s15, v0
	s_cbranch_execz .LBB365_42
.LBB365_59:
	s_wait_loadcnt 0x0
	v_cmp_ne_u64_e32 vcc_lo, s[16:17], v[24:25]
	v_add_nc_u32_e32 v2, s20, v0
	v_add_nc_u32_e32 v0, 0x100, v0
	s_xor_b32 s2, s0, vcc_lo
	s_delay_alu instid0(SALU_CYCLE_1) | instskip(SKIP_3) | instid1(SALU_CYCLE_1)
	v_cndmask_b32_e64 v1, 0, 1, s2
	global_store_b8 v2, v1, s[18:19]
	s_wait_xcnt 0x0
	s_or_b32 exec_lo, exec_lo, s1
	s_mov_b32 s1, exec_lo
	v_cmpx_gt_i32_e64 s15, v0
	s_cbranch_execz .LBB365_43
.LBB365_60:
	s_wait_loadcnt 0x0
	v_cmp_ne_u64_e32 vcc_lo, s[16:17], v[8:9]
	v_add_nc_u32_e32 v2, s20, v0
	v_add_nc_u32_e32 v0, 0x100, v0
	s_xor_b32 s2, s0, vcc_lo
	s_delay_alu instid0(SALU_CYCLE_1) | instskip(SKIP_3) | instid1(SALU_CYCLE_1)
	v_cndmask_b32_e64 v1, 0, 1, s2
	global_store_b8 v2, v1, s[18:19]
	s_wait_xcnt 0x0
	s_or_b32 exec_lo, exec_lo, s1
	s_mov_b32 s1, exec_lo
	v_cmpx_gt_i32_e64 s15, v0
	s_cbranch_execz .LBB365_44
.LBB365_61:
	s_wait_loadcnt 0x0
	v_cmp_ne_u64_e32 vcc_lo, s[16:17], v[26:27]
	v_add_nc_u32_e32 v2, s20, v0
	v_add_nc_u32_e32 v0, 0x100, v0
	s_xor_b32 s2, s0, vcc_lo
	s_delay_alu instid0(SALU_CYCLE_1) | instskip(SKIP_3) | instid1(SALU_CYCLE_1)
	v_cndmask_b32_e64 v1, 0, 1, s2
	global_store_b8 v2, v1, s[18:19]
	s_wait_xcnt 0x0
	s_or_b32 exec_lo, exec_lo, s1
	s_mov_b32 s1, exec_lo
	v_cmpx_gt_i32_e64 s15, v0
	s_cbranch_execz .LBB365_45
.LBB365_62:
	s_wait_loadcnt 0x0
	v_cmp_ne_u64_e32 vcc_lo, s[16:17], v[10:11]
	v_add_nc_u32_e32 v2, s20, v0
	v_add_nc_u32_e32 v0, 0x100, v0
	s_xor_b32 s2, s0, vcc_lo
	s_delay_alu instid0(SALU_CYCLE_1) | instskip(SKIP_3) | instid1(SALU_CYCLE_1)
	v_cndmask_b32_e64 v1, 0, 1, s2
	global_store_b8 v2, v1, s[18:19]
	s_wait_xcnt 0x0
	s_or_b32 exec_lo, exec_lo, s1
	s_mov_b32 s1, exec_lo
	v_cmpx_gt_i32_e64 s15, v0
	s_cbranch_execz .LBB365_46
.LBB365_63:
	s_wait_loadcnt 0x0
	v_cmp_ne_u64_e32 vcc_lo, s[16:17], v[28:29]
	v_add_nc_u32_e32 v2, s20, v0
	v_add_nc_u32_e32 v0, 0x100, v0
	s_xor_b32 s2, s0, vcc_lo
	s_delay_alu instid0(SALU_CYCLE_1) | instskip(SKIP_3) | instid1(SALU_CYCLE_1)
	v_cndmask_b32_e64 v1, 0, 1, s2
	global_store_b8 v2, v1, s[18:19]
	s_wait_xcnt 0x0
	s_or_b32 exec_lo, exec_lo, s1
	s_mov_b32 s1, exec_lo
	v_cmpx_gt_i32_e64 s15, v0
	s_cbranch_execz .LBB365_47
.LBB365_64:
	s_wait_loadcnt 0x0
	v_cmp_ne_u64_e32 vcc_lo, s[16:17], v[14:15]
	v_add_nc_u32_e32 v2, s20, v0
	v_add_nc_u32_e32 v0, 0x100, v0
	s_xor_b32 s2, s0, vcc_lo
	s_delay_alu instid0(SALU_CYCLE_1) | instskip(SKIP_3) | instid1(SALU_CYCLE_1)
	v_cndmask_b32_e64 v1, 0, 1, s2
	global_store_b8 v2, v1, s[18:19]
	s_wait_xcnt 0x0
	s_or_b32 exec_lo, exec_lo, s1
	s_mov_b32 s1, exec_lo
	v_cmpx_gt_i32_e64 s15, v0
	s_cbranch_execz .LBB365_48
.LBB365_65:
	s_wait_loadcnt 0x0
	v_cmp_ne_u64_e32 vcc_lo, s[16:17], v[30:31]
	v_add_nc_u32_e32 v2, s20, v0
	v_add_nc_u32_e32 v0, 0x100, v0
	s_xor_b32 s2, s0, vcc_lo
	s_delay_alu instid0(SALU_CYCLE_1) | instskip(SKIP_3) | instid1(SALU_CYCLE_1)
	v_cndmask_b32_e64 v1, 0, 1, s2
	global_store_b8 v2, v1, s[18:19]
	s_wait_xcnt 0x0
	s_or_b32 exec_lo, exec_lo, s1
	s_mov_b32 s1, exec_lo
	v_cmpx_gt_i32_e64 s15, v0
	s_cbranch_execz .LBB365_49
.LBB365_66:
	s_wait_loadcnt 0x0
	v_cmp_ne_u64_e32 vcc_lo, s[16:17], v[18:19]
	v_add_nc_u32_e32 v2, s20, v0
	v_add_nc_u32_e32 v0, 0x100, v0
	s_xor_b32 s2, s0, vcc_lo
	s_delay_alu instid0(SALU_CYCLE_1) | instskip(SKIP_3) | instid1(SALU_CYCLE_1)
	v_cndmask_b32_e64 v1, 0, 1, s2
	global_store_b8 v2, v1, s[18:19]
	s_wait_xcnt 0x0
	s_or_b32 exec_lo, exec_lo, s1
	s_mov_b32 s1, exec_lo
	v_cmpx_gt_i32_e64 s15, v0
	s_cbranch_execz .LBB365_50
.LBB365_67:
	s_wait_loadcnt 0x0
	v_cmp_ne_u64_e32 vcc_lo, s[16:17], v[32:33]
	v_add_nc_u32_e32 v2, s20, v0
	v_add_nc_u32_e32 v0, 0x100, v0
	s_xor_b32 s2, s0, vcc_lo
	s_delay_alu instid0(SALU_CYCLE_1) | instskip(SKIP_3) | instid1(SALU_CYCLE_1)
	v_cndmask_b32_e64 v1, 0, 1, s2
	global_store_b8 v2, v1, s[18:19]
	s_wait_xcnt 0x0
	s_or_b32 exec_lo, exec_lo, s1
	s_mov_b32 s1, exec_lo
	v_cmpx_gt_i32_e64 s15, v0
	s_cbranch_execnz .LBB365_51
	s_branch .LBB365_52
	.section	.rodata,"a",@progbits
	.p2align	6, 0x0
	.amdhsa_kernel _ZN2at6native29vectorized_elementwise_kernelILi16ENS0_13AUnaryFunctorImmbNS0_12_GLOBAL__N_116CompareEqFunctorImEEEESt5arrayIPcLm2EEEEviT0_T1_
		.amdhsa_group_segment_fixed_size 0
		.amdhsa_private_segment_fixed_size 0
		.amdhsa_kernarg_size 40
		.amdhsa_user_sgpr_count 2
		.amdhsa_user_sgpr_dispatch_ptr 0
		.amdhsa_user_sgpr_queue_ptr 0
		.amdhsa_user_sgpr_kernarg_segment_ptr 1
		.amdhsa_user_sgpr_dispatch_id 0
		.amdhsa_user_sgpr_kernarg_preload_length 0
		.amdhsa_user_sgpr_kernarg_preload_offset 0
		.amdhsa_user_sgpr_private_segment_size 0
		.amdhsa_wavefront_size32 1
		.amdhsa_uses_dynamic_stack 0
		.amdhsa_enable_private_segment 0
		.amdhsa_system_sgpr_workgroup_id_x 1
		.amdhsa_system_sgpr_workgroup_id_y 0
		.amdhsa_system_sgpr_workgroup_id_z 0
		.amdhsa_system_sgpr_workgroup_info 0
		.amdhsa_system_vgpr_workitem_id 0
		.amdhsa_next_free_vgpr 36
		.amdhsa_next_free_sgpr 27
		.amdhsa_named_barrier_count 0
		.amdhsa_reserve_vcc 1
		.amdhsa_float_round_mode_32 0
		.amdhsa_float_round_mode_16_64 0
		.amdhsa_float_denorm_mode_32 3
		.amdhsa_float_denorm_mode_16_64 3
		.amdhsa_fp16_overflow 0
		.amdhsa_memory_ordered 1
		.amdhsa_forward_progress 1
		.amdhsa_inst_pref_size 25
		.amdhsa_round_robin_scheduling 0
		.amdhsa_exception_fp_ieee_invalid_op 0
		.amdhsa_exception_fp_denorm_src 0
		.amdhsa_exception_fp_ieee_div_zero 0
		.amdhsa_exception_fp_ieee_overflow 0
		.amdhsa_exception_fp_ieee_underflow 0
		.amdhsa_exception_fp_ieee_inexact 0
		.amdhsa_exception_int_div_zero 0
	.end_amdhsa_kernel
	.section	.text._ZN2at6native29vectorized_elementwise_kernelILi16ENS0_13AUnaryFunctorImmbNS0_12_GLOBAL__N_116CompareEqFunctorImEEEESt5arrayIPcLm2EEEEviT0_T1_,"axG",@progbits,_ZN2at6native29vectorized_elementwise_kernelILi16ENS0_13AUnaryFunctorImmbNS0_12_GLOBAL__N_116CompareEqFunctorImEEEESt5arrayIPcLm2EEEEviT0_T1_,comdat
.Lfunc_end365:
	.size	_ZN2at6native29vectorized_elementwise_kernelILi16ENS0_13AUnaryFunctorImmbNS0_12_GLOBAL__N_116CompareEqFunctorImEEEESt5arrayIPcLm2EEEEviT0_T1_, .Lfunc_end365-_ZN2at6native29vectorized_elementwise_kernelILi16ENS0_13AUnaryFunctorImmbNS0_12_GLOBAL__N_116CompareEqFunctorImEEEESt5arrayIPcLm2EEEEviT0_T1_
                                        ; -- End function
	.set _ZN2at6native29vectorized_elementwise_kernelILi16ENS0_13AUnaryFunctorImmbNS0_12_GLOBAL__N_116CompareEqFunctorImEEEESt5arrayIPcLm2EEEEviT0_T1_.num_vgpr, 36
	.set _ZN2at6native29vectorized_elementwise_kernelILi16ENS0_13AUnaryFunctorImmbNS0_12_GLOBAL__N_116CompareEqFunctorImEEEESt5arrayIPcLm2EEEEviT0_T1_.num_agpr, 0
	.set _ZN2at6native29vectorized_elementwise_kernelILi16ENS0_13AUnaryFunctorImmbNS0_12_GLOBAL__N_116CompareEqFunctorImEEEESt5arrayIPcLm2EEEEviT0_T1_.numbered_sgpr, 27
	.set _ZN2at6native29vectorized_elementwise_kernelILi16ENS0_13AUnaryFunctorImmbNS0_12_GLOBAL__N_116CompareEqFunctorImEEEESt5arrayIPcLm2EEEEviT0_T1_.num_named_barrier, 0
	.set _ZN2at6native29vectorized_elementwise_kernelILi16ENS0_13AUnaryFunctorImmbNS0_12_GLOBAL__N_116CompareEqFunctorImEEEESt5arrayIPcLm2EEEEviT0_T1_.private_seg_size, 0
	.set _ZN2at6native29vectorized_elementwise_kernelILi16ENS0_13AUnaryFunctorImmbNS0_12_GLOBAL__N_116CompareEqFunctorImEEEESt5arrayIPcLm2EEEEviT0_T1_.uses_vcc, 1
	.set _ZN2at6native29vectorized_elementwise_kernelILi16ENS0_13AUnaryFunctorImmbNS0_12_GLOBAL__N_116CompareEqFunctorImEEEESt5arrayIPcLm2EEEEviT0_T1_.uses_flat_scratch, 0
	.set _ZN2at6native29vectorized_elementwise_kernelILi16ENS0_13AUnaryFunctorImmbNS0_12_GLOBAL__N_116CompareEqFunctorImEEEESt5arrayIPcLm2EEEEviT0_T1_.has_dyn_sized_stack, 0
	.set _ZN2at6native29vectorized_elementwise_kernelILi16ENS0_13AUnaryFunctorImmbNS0_12_GLOBAL__N_116CompareEqFunctorImEEEESt5arrayIPcLm2EEEEviT0_T1_.has_recursion, 0
	.set _ZN2at6native29vectorized_elementwise_kernelILi16ENS0_13AUnaryFunctorImmbNS0_12_GLOBAL__N_116CompareEqFunctorImEEEESt5arrayIPcLm2EEEEviT0_T1_.has_indirect_call, 0
	.section	.AMDGPU.csdata,"",@progbits
; Kernel info:
; codeLenInByte = 3152
; TotalNumSgprs: 29
; NumVgprs: 36
; ScratchSize: 0
; MemoryBound: 1
; FloatMode: 240
; IeeeMode: 1
; LDSByteSize: 0 bytes/workgroup (compile time only)
; SGPRBlocks: 0
; VGPRBlocks: 2
; NumSGPRsForWavesPerEU: 29
; NumVGPRsForWavesPerEU: 36
; NamedBarCnt: 0
; Occupancy: 16
; WaveLimiterHint : 0
; COMPUTE_PGM_RSRC2:SCRATCH_EN: 0
; COMPUTE_PGM_RSRC2:USER_SGPR: 2
; COMPUTE_PGM_RSRC2:TRAP_HANDLER: 0
; COMPUTE_PGM_RSRC2:TGID_X_EN: 1
; COMPUTE_PGM_RSRC2:TGID_Y_EN: 0
; COMPUTE_PGM_RSRC2:TGID_Z_EN: 0
; COMPUTE_PGM_RSRC2:TIDIG_COMP_CNT: 0
	.section	.text._ZN2at6native29vectorized_elementwise_kernelILi8ENS0_13AUnaryFunctorImmbNS0_12_GLOBAL__N_116CompareEqFunctorImEEEESt5arrayIPcLm2EEEEviT0_T1_,"axG",@progbits,_ZN2at6native29vectorized_elementwise_kernelILi8ENS0_13AUnaryFunctorImmbNS0_12_GLOBAL__N_116CompareEqFunctorImEEEESt5arrayIPcLm2EEEEviT0_T1_,comdat
	.globl	_ZN2at6native29vectorized_elementwise_kernelILi8ENS0_13AUnaryFunctorImmbNS0_12_GLOBAL__N_116CompareEqFunctorImEEEESt5arrayIPcLm2EEEEviT0_T1_ ; -- Begin function _ZN2at6native29vectorized_elementwise_kernelILi8ENS0_13AUnaryFunctorImmbNS0_12_GLOBAL__N_116CompareEqFunctorImEEEESt5arrayIPcLm2EEEEviT0_T1_
	.p2align	8
	.type	_ZN2at6native29vectorized_elementwise_kernelILi8ENS0_13AUnaryFunctorImmbNS0_12_GLOBAL__N_116CompareEqFunctorImEEEESt5arrayIPcLm2EEEEviT0_T1_,@function
_ZN2at6native29vectorized_elementwise_kernelILi8ENS0_13AUnaryFunctorImmbNS0_12_GLOBAL__N_116CompareEqFunctorImEEEESt5arrayIPcLm2EEEEviT0_T1_: ; @_ZN2at6native29vectorized_elementwise_kernelILi8ENS0_13AUnaryFunctorImmbNS0_12_GLOBAL__N_116CompareEqFunctorImEEEESt5arrayIPcLm2EEEEviT0_T1_
; %bb.0:
	s_clause 0x3
	s_load_b32 s2, s[0:1], 0x0
	s_load_b32 s24, s[0:1], 0x8
	s_load_b128 s[16:19], s[0:1], 0x10
	s_load_b64 s[22:23], s[0:1], 0x20
	s_wait_xcnt 0x0
	s_bfe_u32 s0, ttmp6, 0x4000c
	s_and_b32 s1, ttmp6, 15
	s_add_co_i32 s0, s0, 1
	s_getreg_b32 s3, hwreg(HW_REG_IB_STS2, 6, 4)
	s_mul_i32 s0, ttmp9, s0
	s_delay_alu instid0(SALU_CYCLE_1) | instskip(SKIP_2) | instid1(SALU_CYCLE_1)
	s_add_co_i32 s1, s1, s0
	s_cmp_eq_u32 s3, 0
	s_cselect_b32 s0, ttmp9, s1
	s_lshl_b32 s20, s0, 12
	s_mov_b32 s0, -1
	s_wait_kmcnt 0x0
	s_sub_co_i32 s15, s2, s20
	s_delay_alu instid0(SALU_CYCLE_1)
	s_cmp_gt_i32 s15, 0xfff
	s_cbranch_scc0 .LBB366_2
; %bb.1:
	s_ashr_i32 s21, s20, 31
	v_lshlrev_b32_e32 v1, 6, v0
	s_lshl_b64 s[0:1], s[20:21], 3
	s_cmp_eq_u32 s24, 0
	s_add_nc_u64 s[0:1], s[22:23], s[0:1]
	s_cselect_b32 s25, -1, 0
	s_clause 0x7
	global_load_b128 v[2:5], v1, s[0:1]
	global_load_b128 v[6:9], v1, s[0:1] offset:16
	global_load_b128 v[10:13], v1, s[0:1] offset:32
	;; [unrolled: 1-line block ×7, first 2 shown]
	s_wait_xcnt 0x0
	v_or3_b32 v1, 0, 0, 0
	s_wait_loadcnt 0x7
	v_cmp_ne_u64_e64 s0, s[16:17], v[4:5]
	s_wait_loadcnt 0x6
	v_cmp_ne_u64_e64 s1, s[16:17], v[6:7]
	v_cmp_ne_u64_e64 s2, s[16:17], v[8:9]
	s_wait_loadcnt 0x5
	v_cmp_ne_u64_e64 s3, s[16:17], v[10:11]
	v_cmp_ne_u64_e64 s4, s[16:17], v[12:13]
	v_cmp_ne_u64_e32 vcc_lo, s[16:17], v[2:3]
	s_wait_loadcnt 0x4
	v_cmp_ne_u64_e64 s5, s[16:17], v[14:15]
	s_xor_b32 s0, s25, s0
	v_cmp_ne_u64_e64 s6, s[16:17], v[16:17]
	v_cndmask_b32_e64 v3, 0, 0x100, s0
	s_xor_b32 s0, s25, s1
	s_wait_loadcnt 0x3
	v_cmp_ne_u64_e64 s7, s[16:17], v[18:19]
	v_cndmask_b32_e64 v4, 0, 0x10000, s0
	s_xor_b32 s0, s25, s2
	v_cmp_ne_u64_e64 s8, s[16:17], v[20:21]
	v_cndmask_b32_e64 v5, 0, 0x1000000, s0
	s_xor_b32 s0, s25, s3
	s_wait_loadcnt 0x2
	v_cmp_ne_u64_e64 s9, s[16:17], v[22:23]
	v_cndmask_b32_e64 v6, 0, 1, s0
	s_xor_b32 s0, s25, s4
	v_cmp_ne_u64_e64 s10, s[16:17], v[24:25]
	v_cndmask_b32_e64 v7, 0, 0x100, s0
	s_xor_b32 s0, s25, s5
	s_xor_b32 s26, s25, vcc_lo
	v_cndmask_b32_e64 v8, 0, 0x10000, s0
	s_xor_b32 s0, s25, s6
	s_wait_loadcnt 0x1
	v_cmp_ne_u64_e64 s11, s[16:17], v[26:27]
	v_cndmask_b32_e64 v9, 0, 0x1000000, s0
	s_xor_b32 s0, s25, s7
	v_cndmask_b32_e64 v2, 0, 1, s26
	v_cndmask_b32_e64 v10, 0, 1, s0
	s_xor_b32 s0, s25, s8
	v_cmp_ne_u64_e64 s12, s[16:17], v[28:29]
	v_cndmask_b32_e64 v11, 0, 0x100, s0
	s_xor_b32 s0, s25, s9
	s_wait_loadcnt 0x0
	v_cmp_ne_u64_e64 s13, s[16:17], v[30:31]
	v_cndmask_b32_e64 v12, 0, 0x10000, s0
	s_xor_b32 s0, s25, s10
	v_or_b32_e32 v2, v3, v2
	v_cndmask_b32_e64 v13, 0, 0x1000000, s0
	v_or_b32_e32 v3, v11, v10
	v_cmp_ne_u64_e64 s14, s[16:17], v[32:33]
	s_xor_b32 s0, s25, s11
	v_or3_b32 v2, v2, v4, v5
	v_cndmask_b32_e64 v14, 0, 1, s0
	s_xor_b32 s0, s25, s12
	v_or3_b32 v3, v3, v12, v13
	v_cndmask_b32_e64 v10, 0, 0x100, s0
	;; [unrolled: 3-line block ×4, first 2 shown]
	v_or3_b32 v1, v1, v14, v10
	v_or3_b32 v6, v3, 0, 0
	;; [unrolled: 1-line block ×4, first 2 shown]
	s_add_nc_u64 s[2:3], s[18:19], s[20:21]
	v_or3_b32 v5, v1, v11, v4
	v_or3_b32 v4, v6, 0, 0
	s_mov_b32 s0, 0
	s_clause 0x1
	global_store_b64 v0, v[2:3], s[2:3] scale_offset
	global_store_b64 v0, v[4:5], s[2:3] offset:2048 scale_offset
.LBB366_2:
	s_and_not1_b32 vcc_lo, exec_lo, s0
	s_cbranch_vccnz .LBB366_52
; %bb.3:
	s_wait_xcnt 0x1
	v_mov_b64_e32 v[2:3], 0
	v_mov_b64_e32 v[12:13], 0
	v_cmp_gt_i32_e32 vcc_lo, s15, v0
	v_dual_mov_b32 v35, v0 :: v_dual_bitop2_b32 v1, s20, v0 bitop3:0x54
	v_or_b32_e32 v34, 0x100, v0
	s_wait_xcnt 0x0
	s_and_saveexec_b32 s0, vcc_lo
	s_cbranch_execz .LBB366_5
; %bb.4:
	global_load_b64 v[12:13], v1, s[22:23] scale_offset
	v_or_b32_e32 v35, 0x100, v0
.LBB366_5:
	s_wait_xcnt 0x0
	s_or_b32 exec_lo, exec_lo, s0
	s_delay_alu instid0(SALU_CYCLE_1) | instskip(NEXT) | instid1(VALU_DEP_1)
	s_mov_b32 s1, exec_lo
	v_cmpx_gt_i32_e64 s15, v35
	s_cbranch_execz .LBB366_7
; %bb.6:
	v_add_nc_u32_e32 v2, s20, v35
	v_add_nc_u32_e32 v35, 0x100, v35
	global_load_b64 v[2:3], v2, s[22:23] scale_offset
.LBB366_7:
	s_wait_xcnt 0x0
	s_or_b32 exec_lo, exec_lo, s1
	v_mov_b64_e32 v[4:5], 0
	v_mov_b64_e32 v[16:17], 0
	s_mov_b32 s1, exec_lo
	v_cmpx_gt_i32_e64 s15, v35
	s_cbranch_execz .LBB366_9
; %bb.8:
	v_add_nc_u32_e32 v6, s20, v35
	v_add_nc_u32_e32 v35, 0x100, v35
	global_load_b64 v[16:17], v6, s[22:23] scale_offset
.LBB366_9:
	s_wait_xcnt 0x0
	s_or_b32 exec_lo, exec_lo, s1
	s_delay_alu instid0(SALU_CYCLE_1)
	s_mov_b32 s1, exec_lo
	v_cmpx_gt_i32_e64 s15, v35
	s_cbranch_execz .LBB366_11
; %bb.10:
	v_add_nc_u32_e32 v4, s20, v35
	v_add_nc_u32_e32 v35, 0x100, v35
	global_load_b64 v[4:5], v4, s[22:23] scale_offset
.LBB366_11:
	s_wait_xcnt 0x0
	s_or_b32 exec_lo, exec_lo, s1
	v_mov_b64_e32 v[6:7], 0
	v_mov_b64_e32 v[20:21], 0
	s_mov_b32 s1, exec_lo
	v_cmpx_gt_i32_e64 s15, v35
	s_cbranch_execz .LBB366_13
; %bb.12:
	v_add_nc_u32_e32 v8, s20, v35
	v_add_nc_u32_e32 v35, 0x100, v35
	global_load_b64 v[20:21], v8, s[22:23] scale_offset
.LBB366_13:
	s_wait_xcnt 0x0
	s_or_b32 exec_lo, exec_lo, s1
	s_delay_alu instid0(SALU_CYCLE_1)
	;; [unrolled: 23-line block ×7, first 2 shown]
	s_mov_b32 s1, exec_lo
	v_cmpx_gt_i32_e64 s15, v35
	s_cbranch_execz .LBB366_35
; %bb.34:
	v_add_nc_u32_e32 v22, s20, v35
	global_load_b64 v[22:23], v22, s[22:23] scale_offset
.LBB366_35:
	s_wait_xcnt 0x0
	s_or_b32 exec_lo, exec_lo, s1
	s_cmp_eq_u32 s24, 0
	s_cselect_b32 s0, -1, 0
	s_and_saveexec_b32 s1, vcc_lo
	s_cbranch_execnz .LBB366_53
; %bb.36:
	s_or_b32 exec_lo, exec_lo, s1
	s_delay_alu instid0(SALU_CYCLE_1)
	s_mov_b32 s1, exec_lo
	v_cmpx_gt_i32_e64 s15, v0
	s_cbranch_execnz .LBB366_54
.LBB366_37:
	s_or_b32 exec_lo, exec_lo, s1
	s_delay_alu instid0(SALU_CYCLE_1)
	s_mov_b32 s1, exec_lo
	v_cmpx_gt_i32_e64 s15, v0
	s_cbranch_execnz .LBB366_55
.LBB366_38:
	s_or_b32 exec_lo, exec_lo, s1
	s_delay_alu instid0(SALU_CYCLE_1)
	s_mov_b32 s1, exec_lo
	v_cmpx_gt_i32_e64 s15, v0
	s_cbranch_execnz .LBB366_56
.LBB366_39:
	s_or_b32 exec_lo, exec_lo, s1
	s_delay_alu instid0(SALU_CYCLE_1)
	s_mov_b32 s1, exec_lo
	v_cmpx_gt_i32_e64 s15, v0
	s_cbranch_execnz .LBB366_57
.LBB366_40:
	s_or_b32 exec_lo, exec_lo, s1
	s_delay_alu instid0(SALU_CYCLE_1)
	s_mov_b32 s1, exec_lo
	v_cmpx_gt_i32_e64 s15, v0
	s_cbranch_execnz .LBB366_58
.LBB366_41:
	s_or_b32 exec_lo, exec_lo, s1
	s_delay_alu instid0(SALU_CYCLE_1)
	s_mov_b32 s1, exec_lo
	v_cmpx_gt_i32_e64 s15, v0
	s_cbranch_execnz .LBB366_59
.LBB366_42:
	s_or_b32 exec_lo, exec_lo, s1
	s_delay_alu instid0(SALU_CYCLE_1)
	s_mov_b32 s1, exec_lo
	v_cmpx_gt_i32_e64 s15, v0
	s_cbranch_execnz .LBB366_60
.LBB366_43:
	s_or_b32 exec_lo, exec_lo, s1
	s_delay_alu instid0(SALU_CYCLE_1)
	s_mov_b32 s1, exec_lo
	v_cmpx_gt_i32_e64 s15, v0
	s_cbranch_execnz .LBB366_61
.LBB366_44:
	s_or_b32 exec_lo, exec_lo, s1
	s_delay_alu instid0(SALU_CYCLE_1)
	s_mov_b32 s1, exec_lo
	v_cmpx_gt_i32_e64 s15, v0
	s_cbranch_execnz .LBB366_62
.LBB366_45:
	s_or_b32 exec_lo, exec_lo, s1
	s_delay_alu instid0(SALU_CYCLE_1)
	s_mov_b32 s1, exec_lo
	v_cmpx_gt_i32_e64 s15, v0
	s_cbranch_execnz .LBB366_63
.LBB366_46:
	s_or_b32 exec_lo, exec_lo, s1
	s_delay_alu instid0(SALU_CYCLE_1)
	s_mov_b32 s1, exec_lo
	v_cmpx_gt_i32_e64 s15, v0
	s_cbranch_execnz .LBB366_64
.LBB366_47:
	s_or_b32 exec_lo, exec_lo, s1
	s_delay_alu instid0(SALU_CYCLE_1)
	s_mov_b32 s1, exec_lo
	v_cmpx_gt_i32_e64 s15, v0
	s_cbranch_execnz .LBB366_65
.LBB366_48:
	s_or_b32 exec_lo, exec_lo, s1
	s_delay_alu instid0(SALU_CYCLE_1)
	s_mov_b32 s1, exec_lo
	v_cmpx_gt_i32_e64 s15, v0
	s_cbranch_execnz .LBB366_66
.LBB366_49:
	s_or_b32 exec_lo, exec_lo, s1
	s_delay_alu instid0(SALU_CYCLE_1)
	s_mov_b32 s1, exec_lo
	v_cmpx_gt_i32_e64 s15, v0
	s_cbranch_execnz .LBB366_67
.LBB366_50:
	s_or_b32 exec_lo, exec_lo, s1
	s_delay_alu instid0(SALU_CYCLE_1)
	s_mov_b32 s1, exec_lo
	v_cmpx_gt_i32_e64 s15, v0
	s_cbranch_execz .LBB366_52
.LBB366_51:
	s_wait_loadcnt 0x0
	v_cmp_ne_u64_e32 vcc_lo, s[16:17], v[22:23]
	v_add_nc_u32_e32 v0, s20, v0
	s_xor_b32 s0, s0, vcc_lo
	s_delay_alu instid0(SALU_CYCLE_1)
	v_cndmask_b32_e64 v1, 0, 1, s0
	global_store_b8 v0, v1, s[18:19]
.LBB366_52:
	s_endpgm
.LBB366_53:
	s_wait_loadcnt 0x0
	v_cmp_ne_u64_e32 vcc_lo, s[16:17], v[12:13]
	v_mov_b32_e32 v0, v34
	s_xor_b32 s2, s0, vcc_lo
	s_delay_alu instid0(SALU_CYCLE_1) | instskip(SKIP_3) | instid1(SALU_CYCLE_1)
	v_cndmask_b32_e64 v12, 0, 1, s2
	global_store_b8 v1, v12, s[18:19]
	s_wait_xcnt 0x0
	s_or_b32 exec_lo, exec_lo, s1
	s_mov_b32 s1, exec_lo
	v_cmpx_gt_i32_e64 s15, v0
	s_cbranch_execz .LBB366_37
.LBB366_54:
	s_wait_loadcnt 0x0
	v_cmp_ne_u64_e32 vcc_lo, s[16:17], v[2:3]
	v_add_nc_u32_e32 v2, s20, v0
	v_add_nc_u32_e32 v0, 0x100, v0
	s_xor_b32 s2, s0, vcc_lo
	s_delay_alu instid0(SALU_CYCLE_1) | instskip(SKIP_3) | instid1(SALU_CYCLE_1)
	v_cndmask_b32_e64 v1, 0, 1, s2
	global_store_b8 v2, v1, s[18:19]
	s_wait_xcnt 0x0
	s_or_b32 exec_lo, exec_lo, s1
	s_mov_b32 s1, exec_lo
	v_cmpx_gt_i32_e64 s15, v0
	s_cbranch_execz .LBB366_38
.LBB366_55:
	s_wait_loadcnt 0x0
	v_cmp_ne_u64_e32 vcc_lo, s[16:17], v[16:17]
	v_add_nc_u32_e32 v2, s20, v0
	v_add_nc_u32_e32 v0, 0x100, v0
	s_xor_b32 s2, s0, vcc_lo
	s_delay_alu instid0(SALU_CYCLE_1) | instskip(SKIP_3) | instid1(SALU_CYCLE_1)
	v_cndmask_b32_e64 v1, 0, 1, s2
	global_store_b8 v2, v1, s[18:19]
	s_wait_xcnt 0x0
	s_or_b32 exec_lo, exec_lo, s1
	s_mov_b32 s1, exec_lo
	v_cmpx_gt_i32_e64 s15, v0
	s_cbranch_execz .LBB366_39
.LBB366_56:
	s_wait_loadcnt 0x0
	v_cmp_ne_u64_e32 vcc_lo, s[16:17], v[4:5]
	v_add_nc_u32_e32 v2, s20, v0
	v_add_nc_u32_e32 v0, 0x100, v0
	s_xor_b32 s2, s0, vcc_lo
	s_delay_alu instid0(SALU_CYCLE_1) | instskip(SKIP_3) | instid1(SALU_CYCLE_1)
	v_cndmask_b32_e64 v1, 0, 1, s2
	global_store_b8 v2, v1, s[18:19]
	s_wait_xcnt 0x0
	s_or_b32 exec_lo, exec_lo, s1
	s_mov_b32 s1, exec_lo
	v_cmpx_gt_i32_e64 s15, v0
	s_cbranch_execz .LBB366_40
.LBB366_57:
	s_wait_loadcnt 0x0
	v_cmp_ne_u64_e32 vcc_lo, s[16:17], v[20:21]
	v_add_nc_u32_e32 v2, s20, v0
	v_add_nc_u32_e32 v0, 0x100, v0
	s_xor_b32 s2, s0, vcc_lo
	s_delay_alu instid0(SALU_CYCLE_1) | instskip(SKIP_3) | instid1(SALU_CYCLE_1)
	v_cndmask_b32_e64 v1, 0, 1, s2
	global_store_b8 v2, v1, s[18:19]
	s_wait_xcnt 0x0
	s_or_b32 exec_lo, exec_lo, s1
	s_mov_b32 s1, exec_lo
	v_cmpx_gt_i32_e64 s15, v0
	s_cbranch_execz .LBB366_41
.LBB366_58:
	s_wait_loadcnt 0x0
	v_cmp_ne_u64_e32 vcc_lo, s[16:17], v[6:7]
	v_add_nc_u32_e32 v2, s20, v0
	v_add_nc_u32_e32 v0, 0x100, v0
	s_xor_b32 s2, s0, vcc_lo
	s_delay_alu instid0(SALU_CYCLE_1) | instskip(SKIP_3) | instid1(SALU_CYCLE_1)
	v_cndmask_b32_e64 v1, 0, 1, s2
	global_store_b8 v2, v1, s[18:19]
	s_wait_xcnt 0x0
	s_or_b32 exec_lo, exec_lo, s1
	s_mov_b32 s1, exec_lo
	v_cmpx_gt_i32_e64 s15, v0
	s_cbranch_execz .LBB366_42
.LBB366_59:
	s_wait_loadcnt 0x0
	v_cmp_ne_u64_e32 vcc_lo, s[16:17], v[24:25]
	v_add_nc_u32_e32 v2, s20, v0
	v_add_nc_u32_e32 v0, 0x100, v0
	s_xor_b32 s2, s0, vcc_lo
	s_delay_alu instid0(SALU_CYCLE_1) | instskip(SKIP_3) | instid1(SALU_CYCLE_1)
	v_cndmask_b32_e64 v1, 0, 1, s2
	global_store_b8 v2, v1, s[18:19]
	s_wait_xcnt 0x0
	s_or_b32 exec_lo, exec_lo, s1
	s_mov_b32 s1, exec_lo
	v_cmpx_gt_i32_e64 s15, v0
	s_cbranch_execz .LBB366_43
.LBB366_60:
	s_wait_loadcnt 0x0
	v_cmp_ne_u64_e32 vcc_lo, s[16:17], v[8:9]
	v_add_nc_u32_e32 v2, s20, v0
	v_add_nc_u32_e32 v0, 0x100, v0
	s_xor_b32 s2, s0, vcc_lo
	s_delay_alu instid0(SALU_CYCLE_1) | instskip(SKIP_3) | instid1(SALU_CYCLE_1)
	v_cndmask_b32_e64 v1, 0, 1, s2
	global_store_b8 v2, v1, s[18:19]
	s_wait_xcnt 0x0
	s_or_b32 exec_lo, exec_lo, s1
	s_mov_b32 s1, exec_lo
	v_cmpx_gt_i32_e64 s15, v0
	s_cbranch_execz .LBB366_44
.LBB366_61:
	s_wait_loadcnt 0x0
	v_cmp_ne_u64_e32 vcc_lo, s[16:17], v[26:27]
	v_add_nc_u32_e32 v2, s20, v0
	v_add_nc_u32_e32 v0, 0x100, v0
	s_xor_b32 s2, s0, vcc_lo
	s_delay_alu instid0(SALU_CYCLE_1) | instskip(SKIP_3) | instid1(SALU_CYCLE_1)
	v_cndmask_b32_e64 v1, 0, 1, s2
	global_store_b8 v2, v1, s[18:19]
	s_wait_xcnt 0x0
	s_or_b32 exec_lo, exec_lo, s1
	s_mov_b32 s1, exec_lo
	v_cmpx_gt_i32_e64 s15, v0
	s_cbranch_execz .LBB366_45
.LBB366_62:
	s_wait_loadcnt 0x0
	v_cmp_ne_u64_e32 vcc_lo, s[16:17], v[10:11]
	v_add_nc_u32_e32 v2, s20, v0
	v_add_nc_u32_e32 v0, 0x100, v0
	s_xor_b32 s2, s0, vcc_lo
	s_delay_alu instid0(SALU_CYCLE_1) | instskip(SKIP_3) | instid1(SALU_CYCLE_1)
	v_cndmask_b32_e64 v1, 0, 1, s2
	global_store_b8 v2, v1, s[18:19]
	s_wait_xcnt 0x0
	s_or_b32 exec_lo, exec_lo, s1
	s_mov_b32 s1, exec_lo
	v_cmpx_gt_i32_e64 s15, v0
	s_cbranch_execz .LBB366_46
.LBB366_63:
	s_wait_loadcnt 0x0
	v_cmp_ne_u64_e32 vcc_lo, s[16:17], v[28:29]
	v_add_nc_u32_e32 v2, s20, v0
	v_add_nc_u32_e32 v0, 0x100, v0
	s_xor_b32 s2, s0, vcc_lo
	s_delay_alu instid0(SALU_CYCLE_1) | instskip(SKIP_3) | instid1(SALU_CYCLE_1)
	v_cndmask_b32_e64 v1, 0, 1, s2
	global_store_b8 v2, v1, s[18:19]
	s_wait_xcnt 0x0
	s_or_b32 exec_lo, exec_lo, s1
	s_mov_b32 s1, exec_lo
	v_cmpx_gt_i32_e64 s15, v0
	s_cbranch_execz .LBB366_47
.LBB366_64:
	s_wait_loadcnt 0x0
	v_cmp_ne_u64_e32 vcc_lo, s[16:17], v[14:15]
	v_add_nc_u32_e32 v2, s20, v0
	v_add_nc_u32_e32 v0, 0x100, v0
	s_xor_b32 s2, s0, vcc_lo
	s_delay_alu instid0(SALU_CYCLE_1) | instskip(SKIP_3) | instid1(SALU_CYCLE_1)
	v_cndmask_b32_e64 v1, 0, 1, s2
	global_store_b8 v2, v1, s[18:19]
	s_wait_xcnt 0x0
	s_or_b32 exec_lo, exec_lo, s1
	s_mov_b32 s1, exec_lo
	v_cmpx_gt_i32_e64 s15, v0
	s_cbranch_execz .LBB366_48
.LBB366_65:
	s_wait_loadcnt 0x0
	v_cmp_ne_u64_e32 vcc_lo, s[16:17], v[30:31]
	v_add_nc_u32_e32 v2, s20, v0
	v_add_nc_u32_e32 v0, 0x100, v0
	s_xor_b32 s2, s0, vcc_lo
	s_delay_alu instid0(SALU_CYCLE_1) | instskip(SKIP_3) | instid1(SALU_CYCLE_1)
	v_cndmask_b32_e64 v1, 0, 1, s2
	global_store_b8 v2, v1, s[18:19]
	s_wait_xcnt 0x0
	s_or_b32 exec_lo, exec_lo, s1
	s_mov_b32 s1, exec_lo
	v_cmpx_gt_i32_e64 s15, v0
	s_cbranch_execz .LBB366_49
.LBB366_66:
	s_wait_loadcnt 0x0
	v_cmp_ne_u64_e32 vcc_lo, s[16:17], v[18:19]
	v_add_nc_u32_e32 v2, s20, v0
	v_add_nc_u32_e32 v0, 0x100, v0
	s_xor_b32 s2, s0, vcc_lo
	s_delay_alu instid0(SALU_CYCLE_1) | instskip(SKIP_3) | instid1(SALU_CYCLE_1)
	v_cndmask_b32_e64 v1, 0, 1, s2
	global_store_b8 v2, v1, s[18:19]
	s_wait_xcnt 0x0
	s_or_b32 exec_lo, exec_lo, s1
	s_mov_b32 s1, exec_lo
	v_cmpx_gt_i32_e64 s15, v0
	s_cbranch_execz .LBB366_50
.LBB366_67:
	s_wait_loadcnt 0x0
	v_cmp_ne_u64_e32 vcc_lo, s[16:17], v[32:33]
	v_add_nc_u32_e32 v2, s20, v0
	v_add_nc_u32_e32 v0, 0x100, v0
	s_xor_b32 s2, s0, vcc_lo
	s_delay_alu instid0(SALU_CYCLE_1) | instskip(SKIP_3) | instid1(SALU_CYCLE_1)
	v_cndmask_b32_e64 v1, 0, 1, s2
	global_store_b8 v2, v1, s[18:19]
	s_wait_xcnt 0x0
	s_or_b32 exec_lo, exec_lo, s1
	s_mov_b32 s1, exec_lo
	v_cmpx_gt_i32_e64 s15, v0
	s_cbranch_execnz .LBB366_51
	s_branch .LBB366_52
	.section	.rodata,"a",@progbits
	.p2align	6, 0x0
	.amdhsa_kernel _ZN2at6native29vectorized_elementwise_kernelILi8ENS0_13AUnaryFunctorImmbNS0_12_GLOBAL__N_116CompareEqFunctorImEEEESt5arrayIPcLm2EEEEviT0_T1_
		.amdhsa_group_segment_fixed_size 0
		.amdhsa_private_segment_fixed_size 0
		.amdhsa_kernarg_size 40
		.amdhsa_user_sgpr_count 2
		.amdhsa_user_sgpr_dispatch_ptr 0
		.amdhsa_user_sgpr_queue_ptr 0
		.amdhsa_user_sgpr_kernarg_segment_ptr 1
		.amdhsa_user_sgpr_dispatch_id 0
		.amdhsa_user_sgpr_kernarg_preload_length 0
		.amdhsa_user_sgpr_kernarg_preload_offset 0
		.amdhsa_user_sgpr_private_segment_size 0
		.amdhsa_wavefront_size32 1
		.amdhsa_uses_dynamic_stack 0
		.amdhsa_enable_private_segment 0
		.amdhsa_system_sgpr_workgroup_id_x 1
		.amdhsa_system_sgpr_workgroup_id_y 0
		.amdhsa_system_sgpr_workgroup_id_z 0
		.amdhsa_system_sgpr_workgroup_info 0
		.amdhsa_system_vgpr_workitem_id 0
		.amdhsa_next_free_vgpr 36
		.amdhsa_next_free_sgpr 27
		.amdhsa_named_barrier_count 0
		.amdhsa_reserve_vcc 1
		.amdhsa_float_round_mode_32 0
		.amdhsa_float_round_mode_16_64 0
		.amdhsa_float_denorm_mode_32 3
		.amdhsa_float_denorm_mode_16_64 3
		.amdhsa_fp16_overflow 0
		.amdhsa_memory_ordered 1
		.amdhsa_forward_progress 1
		.amdhsa_inst_pref_size 25
		.amdhsa_round_robin_scheduling 0
		.amdhsa_exception_fp_ieee_invalid_op 0
		.amdhsa_exception_fp_denorm_src 0
		.amdhsa_exception_fp_ieee_div_zero 0
		.amdhsa_exception_fp_ieee_overflow 0
		.amdhsa_exception_fp_ieee_underflow 0
		.amdhsa_exception_fp_ieee_inexact 0
		.amdhsa_exception_int_div_zero 0
	.end_amdhsa_kernel
	.section	.text._ZN2at6native29vectorized_elementwise_kernelILi8ENS0_13AUnaryFunctorImmbNS0_12_GLOBAL__N_116CompareEqFunctorImEEEESt5arrayIPcLm2EEEEviT0_T1_,"axG",@progbits,_ZN2at6native29vectorized_elementwise_kernelILi8ENS0_13AUnaryFunctorImmbNS0_12_GLOBAL__N_116CompareEqFunctorImEEEESt5arrayIPcLm2EEEEviT0_T1_,comdat
.Lfunc_end366:
	.size	_ZN2at6native29vectorized_elementwise_kernelILi8ENS0_13AUnaryFunctorImmbNS0_12_GLOBAL__N_116CompareEqFunctorImEEEESt5arrayIPcLm2EEEEviT0_T1_, .Lfunc_end366-_ZN2at6native29vectorized_elementwise_kernelILi8ENS0_13AUnaryFunctorImmbNS0_12_GLOBAL__N_116CompareEqFunctorImEEEESt5arrayIPcLm2EEEEviT0_T1_
                                        ; -- End function
	.set _ZN2at6native29vectorized_elementwise_kernelILi8ENS0_13AUnaryFunctorImmbNS0_12_GLOBAL__N_116CompareEqFunctorImEEEESt5arrayIPcLm2EEEEviT0_T1_.num_vgpr, 36
	.set _ZN2at6native29vectorized_elementwise_kernelILi8ENS0_13AUnaryFunctorImmbNS0_12_GLOBAL__N_116CompareEqFunctorImEEEESt5arrayIPcLm2EEEEviT0_T1_.num_agpr, 0
	.set _ZN2at6native29vectorized_elementwise_kernelILi8ENS0_13AUnaryFunctorImmbNS0_12_GLOBAL__N_116CompareEqFunctorImEEEESt5arrayIPcLm2EEEEviT0_T1_.numbered_sgpr, 27
	.set _ZN2at6native29vectorized_elementwise_kernelILi8ENS0_13AUnaryFunctorImmbNS0_12_GLOBAL__N_116CompareEqFunctorImEEEESt5arrayIPcLm2EEEEviT0_T1_.num_named_barrier, 0
	.set _ZN2at6native29vectorized_elementwise_kernelILi8ENS0_13AUnaryFunctorImmbNS0_12_GLOBAL__N_116CompareEqFunctorImEEEESt5arrayIPcLm2EEEEviT0_T1_.private_seg_size, 0
	.set _ZN2at6native29vectorized_elementwise_kernelILi8ENS0_13AUnaryFunctorImmbNS0_12_GLOBAL__N_116CompareEqFunctorImEEEESt5arrayIPcLm2EEEEviT0_T1_.uses_vcc, 1
	.set _ZN2at6native29vectorized_elementwise_kernelILi8ENS0_13AUnaryFunctorImmbNS0_12_GLOBAL__N_116CompareEqFunctorImEEEESt5arrayIPcLm2EEEEviT0_T1_.uses_flat_scratch, 0
	.set _ZN2at6native29vectorized_elementwise_kernelILi8ENS0_13AUnaryFunctorImmbNS0_12_GLOBAL__N_116CompareEqFunctorImEEEESt5arrayIPcLm2EEEEviT0_T1_.has_dyn_sized_stack, 0
	.set _ZN2at6native29vectorized_elementwise_kernelILi8ENS0_13AUnaryFunctorImmbNS0_12_GLOBAL__N_116CompareEqFunctorImEEEESt5arrayIPcLm2EEEEviT0_T1_.has_recursion, 0
	.set _ZN2at6native29vectorized_elementwise_kernelILi8ENS0_13AUnaryFunctorImmbNS0_12_GLOBAL__N_116CompareEqFunctorImEEEESt5arrayIPcLm2EEEEviT0_T1_.has_indirect_call, 0
	.section	.AMDGPU.csdata,"",@progbits
; Kernel info:
; codeLenInByte = 3148
; TotalNumSgprs: 29
; NumVgprs: 36
; ScratchSize: 0
; MemoryBound: 0
; FloatMode: 240
; IeeeMode: 1
; LDSByteSize: 0 bytes/workgroup (compile time only)
; SGPRBlocks: 0
; VGPRBlocks: 2
; NumSGPRsForWavesPerEU: 29
; NumVGPRsForWavesPerEU: 36
; NamedBarCnt: 0
; Occupancy: 16
; WaveLimiterHint : 1
; COMPUTE_PGM_RSRC2:SCRATCH_EN: 0
; COMPUTE_PGM_RSRC2:USER_SGPR: 2
; COMPUTE_PGM_RSRC2:TRAP_HANDLER: 0
; COMPUTE_PGM_RSRC2:TGID_X_EN: 1
; COMPUTE_PGM_RSRC2:TGID_Y_EN: 0
; COMPUTE_PGM_RSRC2:TGID_Z_EN: 0
; COMPUTE_PGM_RSRC2:TIDIG_COMP_CNT: 0
	.section	.text._ZN2at6native29vectorized_elementwise_kernelILi4ENS0_13AUnaryFunctorImmbNS0_12_GLOBAL__N_116CompareEqFunctorImEEEESt5arrayIPcLm2EEEEviT0_T1_,"axG",@progbits,_ZN2at6native29vectorized_elementwise_kernelILi4ENS0_13AUnaryFunctorImmbNS0_12_GLOBAL__N_116CompareEqFunctorImEEEESt5arrayIPcLm2EEEEviT0_T1_,comdat
	.globl	_ZN2at6native29vectorized_elementwise_kernelILi4ENS0_13AUnaryFunctorImmbNS0_12_GLOBAL__N_116CompareEqFunctorImEEEESt5arrayIPcLm2EEEEviT0_T1_ ; -- Begin function _ZN2at6native29vectorized_elementwise_kernelILi4ENS0_13AUnaryFunctorImmbNS0_12_GLOBAL__N_116CompareEqFunctorImEEEESt5arrayIPcLm2EEEEviT0_T1_
	.p2align	8
	.type	_ZN2at6native29vectorized_elementwise_kernelILi4ENS0_13AUnaryFunctorImmbNS0_12_GLOBAL__N_116CompareEqFunctorImEEEESt5arrayIPcLm2EEEEviT0_T1_,@function
_ZN2at6native29vectorized_elementwise_kernelILi4ENS0_13AUnaryFunctorImmbNS0_12_GLOBAL__N_116CompareEqFunctorImEEEESt5arrayIPcLm2EEEEviT0_T1_: ; @_ZN2at6native29vectorized_elementwise_kernelILi4ENS0_13AUnaryFunctorImmbNS0_12_GLOBAL__N_116CompareEqFunctorImEEEESt5arrayIPcLm2EEEEviT0_T1_
; %bb.0:
	s_clause 0x3
	s_load_b32 s2, s[0:1], 0x0
	s_load_b32 s24, s[0:1], 0x8
	s_load_b128 s[16:19], s[0:1], 0x10
	s_load_b64 s[22:23], s[0:1], 0x20
	s_wait_xcnt 0x0
	s_bfe_u32 s0, ttmp6, 0x4000c
	s_and_b32 s1, ttmp6, 15
	s_add_co_i32 s0, s0, 1
	s_getreg_b32 s3, hwreg(HW_REG_IB_STS2, 6, 4)
	s_mul_i32 s0, ttmp9, s0
	s_delay_alu instid0(SALU_CYCLE_1) | instskip(SKIP_2) | instid1(SALU_CYCLE_1)
	s_add_co_i32 s1, s1, s0
	s_cmp_eq_u32 s3, 0
	s_cselect_b32 s0, ttmp9, s1
	s_lshl_b32 s20, s0, 12
	s_mov_b32 s0, -1
	s_wait_kmcnt 0x0
	s_sub_co_i32 s15, s2, s20
	s_delay_alu instid0(SALU_CYCLE_1)
	s_cmp_gt_i32 s15, 0xfff
	s_cbranch_scc0 .LBB367_2
; %bb.1:
	s_ashr_i32 s21, s20, 31
	v_lshlrev_b32_e32 v1, 5, v0
	s_lshl_b64 s[0:1], s[20:21], 3
	s_cmp_eq_u32 s24, 0
	s_add_nc_u64 s[0:1], s[22:23], s[0:1]
	s_cselect_b32 s25, -1, 0
	s_clause 0x7
	global_load_b128 v[2:5], v1, s[0:1]
	global_load_b128 v[6:9], v1, s[0:1] offset:16
	global_load_b128 v[10:13], v1, s[0:1] offset:8192
	;; [unrolled: 1-line block ×7, first 2 shown]
	s_wait_loadcnt 0x7
	s_wait_xcnt 0x0
	v_cmp_ne_u64_e64 s0, s[16:17], v[4:5]
	s_wait_loadcnt 0x6
	v_cmp_ne_u64_e64 s1, s[16:17], v[6:7]
	v_cmp_ne_u64_e64 s2, s[16:17], v[8:9]
	s_wait_loadcnt 0x5
	v_cmp_ne_u64_e64 s3, s[16:17], v[10:11]
	v_cmp_ne_u64_e64 s4, s[16:17], v[12:13]
	v_cmp_ne_u64_e32 vcc_lo, s[16:17], v[2:3]
	s_wait_loadcnt 0x4
	v_cmp_ne_u64_e64 s5, s[16:17], v[14:15]
	s_xor_b32 s0, s25, s0
	v_cmp_ne_u64_e64 s6, s[16:17], v[16:17]
	v_cndmask_b32_e64 v2, 0, 0x100, s0
	s_xor_b32 s0, s25, s1
	s_wait_loadcnt 0x3
	v_cmp_ne_u64_e64 s7, s[16:17], v[18:19]
	v_cndmask_b32_e64 v3, 0, 0x10000, s0
	s_xor_b32 s0, s25, s2
	v_cmp_ne_u64_e64 s8, s[16:17], v[20:21]
	v_cndmask_b32_e64 v4, 0, 0x1000000, s0
	s_xor_b32 s0, s25, s3
	s_wait_loadcnt 0x2
	v_cmp_ne_u64_e64 s9, s[16:17], v[22:23]
	v_cndmask_b32_e64 v5, 0, 1, s0
	;; [unrolled: 7-line block ×4, first 2 shown]
	s_xor_b32 s0, s25, s8
	s_xor_b32 s26, s25, vcc_lo
	v_cndmask_b32_e64 v10, 0, 0x100, s0
	s_xor_b32 s0, s25, s9
	v_cmp_ne_u64_e64 s14, s[16:17], v[32:33]
	v_cndmask_b32_e64 v11, 0, 0x10000, s0
	s_xor_b32 s0, s25, s10
	v_cndmask_b32_e64 v1, 0, 1, s26
	v_cndmask_b32_e64 v12, 0, 0x1000000, s0
	s_xor_b32 s0, s25, s11
	s_add_nc_u64 s[2:3], s[18:19], s[20:21]
	v_cndmask_b32_e64 v13, 0, 1, s0
	s_xor_b32 s0, s25, s12
	v_or_b32_e32 v1, v2, v1
	v_cndmask_b32_e64 v14, 0, 0x100, s0
	s_xor_b32 s0, s25, s13
	v_or_b32_e32 v2, v6, v5
	;; [unrolled: 3-line block ×3, first 2 shown]
	v_cndmask_b32_e64 v16, 0, 0x1000000, s0
	v_or_b32_e32 v6, v14, v13
	v_or3_b32 v1, v1, v3, v4
	v_or3_b32 v2, v2, v7, v8
	;; [unrolled: 1-line block ×3, first 2 shown]
	s_mov_b32 s0, 0
	v_or3_b32 v4, v6, v15, v16
	s_clause 0x3
	global_store_b32 v0, v1, s[2:3] scale_offset
	global_store_b32 v0, v2, s[2:3] offset:1024 scale_offset
	global_store_b32 v0, v3, s[2:3] offset:2048 scale_offset
	;; [unrolled: 1-line block ×3, first 2 shown]
.LBB367_2:
	s_and_not1_b32 vcc_lo, exec_lo, s0
	s_cbranch_vccnz .LBB367_52
; %bb.3:
	s_wait_xcnt 0x1
	v_mov_b64_e32 v[2:3], 0
	v_mov_b64_e32 v[12:13], 0
	v_cmp_gt_i32_e32 vcc_lo, s15, v0
	v_dual_mov_b32 v35, v0 :: v_dual_bitop2_b32 v1, s20, v0 bitop3:0x54
	v_or_b32_e32 v34, 0x100, v0
	s_wait_xcnt 0x0
	s_and_saveexec_b32 s0, vcc_lo
	s_cbranch_execz .LBB367_5
; %bb.4:
	global_load_b64 v[12:13], v1, s[22:23] scale_offset
	v_or_b32_e32 v35, 0x100, v0
.LBB367_5:
	s_wait_xcnt 0x0
	s_or_b32 exec_lo, exec_lo, s0
	s_delay_alu instid0(SALU_CYCLE_1) | instskip(NEXT) | instid1(VALU_DEP_1)
	s_mov_b32 s1, exec_lo
	v_cmpx_gt_i32_e64 s15, v35
	s_cbranch_execz .LBB367_7
; %bb.6:
	v_add_nc_u32_e32 v2, s20, v35
	v_add_nc_u32_e32 v35, 0x100, v35
	global_load_b64 v[2:3], v2, s[22:23] scale_offset
.LBB367_7:
	s_wait_xcnt 0x0
	s_or_b32 exec_lo, exec_lo, s1
	v_mov_b64_e32 v[4:5], 0
	v_mov_b64_e32 v[16:17], 0
	s_mov_b32 s1, exec_lo
	v_cmpx_gt_i32_e64 s15, v35
	s_cbranch_execz .LBB367_9
; %bb.8:
	v_add_nc_u32_e32 v6, s20, v35
	v_add_nc_u32_e32 v35, 0x100, v35
	global_load_b64 v[16:17], v6, s[22:23] scale_offset
.LBB367_9:
	s_wait_xcnt 0x0
	s_or_b32 exec_lo, exec_lo, s1
	s_delay_alu instid0(SALU_CYCLE_1)
	s_mov_b32 s1, exec_lo
	v_cmpx_gt_i32_e64 s15, v35
	s_cbranch_execz .LBB367_11
; %bb.10:
	v_add_nc_u32_e32 v4, s20, v35
	v_add_nc_u32_e32 v35, 0x100, v35
	global_load_b64 v[4:5], v4, s[22:23] scale_offset
.LBB367_11:
	s_wait_xcnt 0x0
	s_or_b32 exec_lo, exec_lo, s1
	v_mov_b64_e32 v[6:7], 0
	v_mov_b64_e32 v[20:21], 0
	s_mov_b32 s1, exec_lo
	v_cmpx_gt_i32_e64 s15, v35
	s_cbranch_execz .LBB367_13
; %bb.12:
	v_add_nc_u32_e32 v8, s20, v35
	v_add_nc_u32_e32 v35, 0x100, v35
	global_load_b64 v[20:21], v8, s[22:23] scale_offset
.LBB367_13:
	s_wait_xcnt 0x0
	s_or_b32 exec_lo, exec_lo, s1
	s_delay_alu instid0(SALU_CYCLE_1)
	;; [unrolled: 23-line block ×7, first 2 shown]
	s_mov_b32 s1, exec_lo
	v_cmpx_gt_i32_e64 s15, v35
	s_cbranch_execz .LBB367_35
; %bb.34:
	v_add_nc_u32_e32 v22, s20, v35
	global_load_b64 v[22:23], v22, s[22:23] scale_offset
.LBB367_35:
	s_wait_xcnt 0x0
	s_or_b32 exec_lo, exec_lo, s1
	s_cmp_eq_u32 s24, 0
	s_cselect_b32 s0, -1, 0
	s_and_saveexec_b32 s1, vcc_lo
	s_cbranch_execnz .LBB367_53
; %bb.36:
	s_or_b32 exec_lo, exec_lo, s1
	s_delay_alu instid0(SALU_CYCLE_1)
	s_mov_b32 s1, exec_lo
	v_cmpx_gt_i32_e64 s15, v0
	s_cbranch_execnz .LBB367_54
.LBB367_37:
	s_or_b32 exec_lo, exec_lo, s1
	s_delay_alu instid0(SALU_CYCLE_1)
	s_mov_b32 s1, exec_lo
	v_cmpx_gt_i32_e64 s15, v0
	s_cbranch_execnz .LBB367_55
.LBB367_38:
	s_or_b32 exec_lo, exec_lo, s1
	s_delay_alu instid0(SALU_CYCLE_1)
	s_mov_b32 s1, exec_lo
	v_cmpx_gt_i32_e64 s15, v0
	s_cbranch_execnz .LBB367_56
.LBB367_39:
	s_or_b32 exec_lo, exec_lo, s1
	s_delay_alu instid0(SALU_CYCLE_1)
	s_mov_b32 s1, exec_lo
	v_cmpx_gt_i32_e64 s15, v0
	s_cbranch_execnz .LBB367_57
.LBB367_40:
	s_or_b32 exec_lo, exec_lo, s1
	s_delay_alu instid0(SALU_CYCLE_1)
	s_mov_b32 s1, exec_lo
	v_cmpx_gt_i32_e64 s15, v0
	s_cbranch_execnz .LBB367_58
.LBB367_41:
	s_or_b32 exec_lo, exec_lo, s1
	s_delay_alu instid0(SALU_CYCLE_1)
	s_mov_b32 s1, exec_lo
	v_cmpx_gt_i32_e64 s15, v0
	s_cbranch_execnz .LBB367_59
.LBB367_42:
	s_or_b32 exec_lo, exec_lo, s1
	s_delay_alu instid0(SALU_CYCLE_1)
	s_mov_b32 s1, exec_lo
	v_cmpx_gt_i32_e64 s15, v0
	s_cbranch_execnz .LBB367_60
.LBB367_43:
	s_or_b32 exec_lo, exec_lo, s1
	s_delay_alu instid0(SALU_CYCLE_1)
	s_mov_b32 s1, exec_lo
	v_cmpx_gt_i32_e64 s15, v0
	s_cbranch_execnz .LBB367_61
.LBB367_44:
	s_or_b32 exec_lo, exec_lo, s1
	s_delay_alu instid0(SALU_CYCLE_1)
	s_mov_b32 s1, exec_lo
	v_cmpx_gt_i32_e64 s15, v0
	s_cbranch_execnz .LBB367_62
.LBB367_45:
	s_or_b32 exec_lo, exec_lo, s1
	s_delay_alu instid0(SALU_CYCLE_1)
	s_mov_b32 s1, exec_lo
	v_cmpx_gt_i32_e64 s15, v0
	s_cbranch_execnz .LBB367_63
.LBB367_46:
	s_or_b32 exec_lo, exec_lo, s1
	s_delay_alu instid0(SALU_CYCLE_1)
	s_mov_b32 s1, exec_lo
	v_cmpx_gt_i32_e64 s15, v0
	s_cbranch_execnz .LBB367_64
.LBB367_47:
	s_or_b32 exec_lo, exec_lo, s1
	s_delay_alu instid0(SALU_CYCLE_1)
	s_mov_b32 s1, exec_lo
	v_cmpx_gt_i32_e64 s15, v0
	s_cbranch_execnz .LBB367_65
.LBB367_48:
	s_or_b32 exec_lo, exec_lo, s1
	s_delay_alu instid0(SALU_CYCLE_1)
	s_mov_b32 s1, exec_lo
	v_cmpx_gt_i32_e64 s15, v0
	s_cbranch_execnz .LBB367_66
.LBB367_49:
	s_or_b32 exec_lo, exec_lo, s1
	s_delay_alu instid0(SALU_CYCLE_1)
	s_mov_b32 s1, exec_lo
	v_cmpx_gt_i32_e64 s15, v0
	s_cbranch_execnz .LBB367_67
.LBB367_50:
	s_or_b32 exec_lo, exec_lo, s1
	s_delay_alu instid0(SALU_CYCLE_1)
	s_mov_b32 s1, exec_lo
	v_cmpx_gt_i32_e64 s15, v0
	s_cbranch_execz .LBB367_52
.LBB367_51:
	s_wait_loadcnt 0x0
	v_cmp_ne_u64_e32 vcc_lo, s[16:17], v[22:23]
	v_add_nc_u32_e32 v0, s20, v0
	s_xor_b32 s0, s0, vcc_lo
	s_delay_alu instid0(SALU_CYCLE_1)
	v_cndmask_b32_e64 v1, 0, 1, s0
	global_store_b8 v0, v1, s[18:19]
.LBB367_52:
	s_endpgm
.LBB367_53:
	s_wait_loadcnt 0x0
	v_cmp_ne_u64_e32 vcc_lo, s[16:17], v[12:13]
	v_mov_b32_e32 v0, v34
	s_xor_b32 s2, s0, vcc_lo
	s_delay_alu instid0(SALU_CYCLE_1) | instskip(SKIP_3) | instid1(SALU_CYCLE_1)
	v_cndmask_b32_e64 v12, 0, 1, s2
	global_store_b8 v1, v12, s[18:19]
	s_wait_xcnt 0x0
	s_or_b32 exec_lo, exec_lo, s1
	s_mov_b32 s1, exec_lo
	v_cmpx_gt_i32_e64 s15, v0
	s_cbranch_execz .LBB367_37
.LBB367_54:
	s_wait_loadcnt 0x0
	v_cmp_ne_u64_e32 vcc_lo, s[16:17], v[2:3]
	v_add_nc_u32_e32 v2, s20, v0
	v_add_nc_u32_e32 v0, 0x100, v0
	s_xor_b32 s2, s0, vcc_lo
	s_delay_alu instid0(SALU_CYCLE_1) | instskip(SKIP_3) | instid1(SALU_CYCLE_1)
	v_cndmask_b32_e64 v1, 0, 1, s2
	global_store_b8 v2, v1, s[18:19]
	s_wait_xcnt 0x0
	s_or_b32 exec_lo, exec_lo, s1
	s_mov_b32 s1, exec_lo
	v_cmpx_gt_i32_e64 s15, v0
	s_cbranch_execz .LBB367_38
.LBB367_55:
	s_wait_loadcnt 0x0
	v_cmp_ne_u64_e32 vcc_lo, s[16:17], v[16:17]
	v_add_nc_u32_e32 v2, s20, v0
	v_add_nc_u32_e32 v0, 0x100, v0
	s_xor_b32 s2, s0, vcc_lo
	s_delay_alu instid0(SALU_CYCLE_1) | instskip(SKIP_3) | instid1(SALU_CYCLE_1)
	v_cndmask_b32_e64 v1, 0, 1, s2
	global_store_b8 v2, v1, s[18:19]
	s_wait_xcnt 0x0
	s_or_b32 exec_lo, exec_lo, s1
	s_mov_b32 s1, exec_lo
	v_cmpx_gt_i32_e64 s15, v0
	s_cbranch_execz .LBB367_39
.LBB367_56:
	s_wait_loadcnt 0x0
	v_cmp_ne_u64_e32 vcc_lo, s[16:17], v[4:5]
	v_add_nc_u32_e32 v2, s20, v0
	v_add_nc_u32_e32 v0, 0x100, v0
	s_xor_b32 s2, s0, vcc_lo
	s_delay_alu instid0(SALU_CYCLE_1) | instskip(SKIP_3) | instid1(SALU_CYCLE_1)
	v_cndmask_b32_e64 v1, 0, 1, s2
	global_store_b8 v2, v1, s[18:19]
	s_wait_xcnt 0x0
	s_or_b32 exec_lo, exec_lo, s1
	s_mov_b32 s1, exec_lo
	v_cmpx_gt_i32_e64 s15, v0
	s_cbranch_execz .LBB367_40
.LBB367_57:
	s_wait_loadcnt 0x0
	v_cmp_ne_u64_e32 vcc_lo, s[16:17], v[20:21]
	v_add_nc_u32_e32 v2, s20, v0
	v_add_nc_u32_e32 v0, 0x100, v0
	s_xor_b32 s2, s0, vcc_lo
	s_delay_alu instid0(SALU_CYCLE_1) | instskip(SKIP_3) | instid1(SALU_CYCLE_1)
	v_cndmask_b32_e64 v1, 0, 1, s2
	global_store_b8 v2, v1, s[18:19]
	s_wait_xcnt 0x0
	s_or_b32 exec_lo, exec_lo, s1
	s_mov_b32 s1, exec_lo
	v_cmpx_gt_i32_e64 s15, v0
	s_cbranch_execz .LBB367_41
.LBB367_58:
	s_wait_loadcnt 0x0
	v_cmp_ne_u64_e32 vcc_lo, s[16:17], v[6:7]
	v_add_nc_u32_e32 v2, s20, v0
	v_add_nc_u32_e32 v0, 0x100, v0
	s_xor_b32 s2, s0, vcc_lo
	s_delay_alu instid0(SALU_CYCLE_1) | instskip(SKIP_3) | instid1(SALU_CYCLE_1)
	v_cndmask_b32_e64 v1, 0, 1, s2
	global_store_b8 v2, v1, s[18:19]
	s_wait_xcnt 0x0
	s_or_b32 exec_lo, exec_lo, s1
	s_mov_b32 s1, exec_lo
	v_cmpx_gt_i32_e64 s15, v0
	s_cbranch_execz .LBB367_42
.LBB367_59:
	s_wait_loadcnt 0x0
	v_cmp_ne_u64_e32 vcc_lo, s[16:17], v[24:25]
	v_add_nc_u32_e32 v2, s20, v0
	v_add_nc_u32_e32 v0, 0x100, v0
	s_xor_b32 s2, s0, vcc_lo
	s_delay_alu instid0(SALU_CYCLE_1) | instskip(SKIP_3) | instid1(SALU_CYCLE_1)
	v_cndmask_b32_e64 v1, 0, 1, s2
	global_store_b8 v2, v1, s[18:19]
	s_wait_xcnt 0x0
	s_or_b32 exec_lo, exec_lo, s1
	s_mov_b32 s1, exec_lo
	v_cmpx_gt_i32_e64 s15, v0
	s_cbranch_execz .LBB367_43
.LBB367_60:
	s_wait_loadcnt 0x0
	v_cmp_ne_u64_e32 vcc_lo, s[16:17], v[8:9]
	v_add_nc_u32_e32 v2, s20, v0
	v_add_nc_u32_e32 v0, 0x100, v0
	s_xor_b32 s2, s0, vcc_lo
	s_delay_alu instid0(SALU_CYCLE_1) | instskip(SKIP_3) | instid1(SALU_CYCLE_1)
	v_cndmask_b32_e64 v1, 0, 1, s2
	global_store_b8 v2, v1, s[18:19]
	s_wait_xcnt 0x0
	s_or_b32 exec_lo, exec_lo, s1
	s_mov_b32 s1, exec_lo
	v_cmpx_gt_i32_e64 s15, v0
	s_cbranch_execz .LBB367_44
.LBB367_61:
	s_wait_loadcnt 0x0
	v_cmp_ne_u64_e32 vcc_lo, s[16:17], v[26:27]
	v_add_nc_u32_e32 v2, s20, v0
	v_add_nc_u32_e32 v0, 0x100, v0
	s_xor_b32 s2, s0, vcc_lo
	s_delay_alu instid0(SALU_CYCLE_1) | instskip(SKIP_3) | instid1(SALU_CYCLE_1)
	v_cndmask_b32_e64 v1, 0, 1, s2
	global_store_b8 v2, v1, s[18:19]
	s_wait_xcnt 0x0
	s_or_b32 exec_lo, exec_lo, s1
	s_mov_b32 s1, exec_lo
	v_cmpx_gt_i32_e64 s15, v0
	s_cbranch_execz .LBB367_45
.LBB367_62:
	s_wait_loadcnt 0x0
	v_cmp_ne_u64_e32 vcc_lo, s[16:17], v[10:11]
	v_add_nc_u32_e32 v2, s20, v0
	v_add_nc_u32_e32 v0, 0x100, v0
	s_xor_b32 s2, s0, vcc_lo
	s_delay_alu instid0(SALU_CYCLE_1) | instskip(SKIP_3) | instid1(SALU_CYCLE_1)
	v_cndmask_b32_e64 v1, 0, 1, s2
	global_store_b8 v2, v1, s[18:19]
	s_wait_xcnt 0x0
	s_or_b32 exec_lo, exec_lo, s1
	s_mov_b32 s1, exec_lo
	v_cmpx_gt_i32_e64 s15, v0
	s_cbranch_execz .LBB367_46
.LBB367_63:
	s_wait_loadcnt 0x0
	v_cmp_ne_u64_e32 vcc_lo, s[16:17], v[28:29]
	v_add_nc_u32_e32 v2, s20, v0
	v_add_nc_u32_e32 v0, 0x100, v0
	s_xor_b32 s2, s0, vcc_lo
	s_delay_alu instid0(SALU_CYCLE_1) | instskip(SKIP_3) | instid1(SALU_CYCLE_1)
	v_cndmask_b32_e64 v1, 0, 1, s2
	global_store_b8 v2, v1, s[18:19]
	s_wait_xcnt 0x0
	s_or_b32 exec_lo, exec_lo, s1
	s_mov_b32 s1, exec_lo
	v_cmpx_gt_i32_e64 s15, v0
	s_cbranch_execz .LBB367_47
.LBB367_64:
	s_wait_loadcnt 0x0
	v_cmp_ne_u64_e32 vcc_lo, s[16:17], v[14:15]
	v_add_nc_u32_e32 v2, s20, v0
	v_add_nc_u32_e32 v0, 0x100, v0
	s_xor_b32 s2, s0, vcc_lo
	s_delay_alu instid0(SALU_CYCLE_1) | instskip(SKIP_3) | instid1(SALU_CYCLE_1)
	v_cndmask_b32_e64 v1, 0, 1, s2
	global_store_b8 v2, v1, s[18:19]
	s_wait_xcnt 0x0
	s_or_b32 exec_lo, exec_lo, s1
	s_mov_b32 s1, exec_lo
	v_cmpx_gt_i32_e64 s15, v0
	s_cbranch_execz .LBB367_48
.LBB367_65:
	s_wait_loadcnt 0x0
	v_cmp_ne_u64_e32 vcc_lo, s[16:17], v[30:31]
	v_add_nc_u32_e32 v2, s20, v0
	v_add_nc_u32_e32 v0, 0x100, v0
	s_xor_b32 s2, s0, vcc_lo
	s_delay_alu instid0(SALU_CYCLE_1) | instskip(SKIP_3) | instid1(SALU_CYCLE_1)
	v_cndmask_b32_e64 v1, 0, 1, s2
	global_store_b8 v2, v1, s[18:19]
	s_wait_xcnt 0x0
	s_or_b32 exec_lo, exec_lo, s1
	s_mov_b32 s1, exec_lo
	v_cmpx_gt_i32_e64 s15, v0
	s_cbranch_execz .LBB367_49
.LBB367_66:
	s_wait_loadcnt 0x0
	v_cmp_ne_u64_e32 vcc_lo, s[16:17], v[18:19]
	v_add_nc_u32_e32 v2, s20, v0
	v_add_nc_u32_e32 v0, 0x100, v0
	s_xor_b32 s2, s0, vcc_lo
	s_delay_alu instid0(SALU_CYCLE_1) | instskip(SKIP_3) | instid1(SALU_CYCLE_1)
	v_cndmask_b32_e64 v1, 0, 1, s2
	global_store_b8 v2, v1, s[18:19]
	s_wait_xcnt 0x0
	s_or_b32 exec_lo, exec_lo, s1
	s_mov_b32 s1, exec_lo
	v_cmpx_gt_i32_e64 s15, v0
	s_cbranch_execz .LBB367_50
.LBB367_67:
	s_wait_loadcnt 0x0
	v_cmp_ne_u64_e32 vcc_lo, s[16:17], v[32:33]
	v_add_nc_u32_e32 v2, s20, v0
	v_add_nc_u32_e32 v0, 0x100, v0
	s_xor_b32 s2, s0, vcc_lo
	s_delay_alu instid0(SALU_CYCLE_1) | instskip(SKIP_3) | instid1(SALU_CYCLE_1)
	v_cndmask_b32_e64 v1, 0, 1, s2
	global_store_b8 v2, v1, s[18:19]
	s_wait_xcnt 0x0
	s_or_b32 exec_lo, exec_lo, s1
	s_mov_b32 s1, exec_lo
	v_cmpx_gt_i32_e64 s15, v0
	s_cbranch_execnz .LBB367_51
	s_branch .LBB367_52
	.section	.rodata,"a",@progbits
	.p2align	6, 0x0
	.amdhsa_kernel _ZN2at6native29vectorized_elementwise_kernelILi4ENS0_13AUnaryFunctorImmbNS0_12_GLOBAL__N_116CompareEqFunctorImEEEESt5arrayIPcLm2EEEEviT0_T1_
		.amdhsa_group_segment_fixed_size 0
		.amdhsa_private_segment_fixed_size 0
		.amdhsa_kernarg_size 40
		.amdhsa_user_sgpr_count 2
		.amdhsa_user_sgpr_dispatch_ptr 0
		.amdhsa_user_sgpr_queue_ptr 0
		.amdhsa_user_sgpr_kernarg_segment_ptr 1
		.amdhsa_user_sgpr_dispatch_id 0
		.amdhsa_user_sgpr_kernarg_preload_length 0
		.amdhsa_user_sgpr_kernarg_preload_offset 0
		.amdhsa_user_sgpr_private_segment_size 0
		.amdhsa_wavefront_size32 1
		.amdhsa_uses_dynamic_stack 0
		.amdhsa_enable_private_segment 0
		.amdhsa_system_sgpr_workgroup_id_x 1
		.amdhsa_system_sgpr_workgroup_id_y 0
		.amdhsa_system_sgpr_workgroup_id_z 0
		.amdhsa_system_sgpr_workgroup_info 0
		.amdhsa_system_vgpr_workitem_id 0
		.amdhsa_next_free_vgpr 36
		.amdhsa_next_free_sgpr 27
		.amdhsa_named_barrier_count 0
		.amdhsa_reserve_vcc 1
		.amdhsa_float_round_mode_32 0
		.amdhsa_float_round_mode_16_64 0
		.amdhsa_float_denorm_mode_32 3
		.amdhsa_float_denorm_mode_16_64 3
		.amdhsa_fp16_overflow 0
		.amdhsa_memory_ordered 1
		.amdhsa_forward_progress 1
		.amdhsa_inst_pref_size 25
		.amdhsa_round_robin_scheduling 0
		.amdhsa_exception_fp_ieee_invalid_op 0
		.amdhsa_exception_fp_denorm_src 0
		.amdhsa_exception_fp_ieee_div_zero 0
		.amdhsa_exception_fp_ieee_overflow 0
		.amdhsa_exception_fp_ieee_underflow 0
		.amdhsa_exception_fp_ieee_inexact 0
		.amdhsa_exception_int_div_zero 0
	.end_amdhsa_kernel
	.section	.text._ZN2at6native29vectorized_elementwise_kernelILi4ENS0_13AUnaryFunctorImmbNS0_12_GLOBAL__N_116CompareEqFunctorImEEEESt5arrayIPcLm2EEEEviT0_T1_,"axG",@progbits,_ZN2at6native29vectorized_elementwise_kernelILi4ENS0_13AUnaryFunctorImmbNS0_12_GLOBAL__N_116CompareEqFunctorImEEEESt5arrayIPcLm2EEEEviT0_T1_,comdat
.Lfunc_end367:
	.size	_ZN2at6native29vectorized_elementwise_kernelILi4ENS0_13AUnaryFunctorImmbNS0_12_GLOBAL__N_116CompareEqFunctorImEEEESt5arrayIPcLm2EEEEviT0_T1_, .Lfunc_end367-_ZN2at6native29vectorized_elementwise_kernelILi4ENS0_13AUnaryFunctorImmbNS0_12_GLOBAL__N_116CompareEqFunctorImEEEESt5arrayIPcLm2EEEEviT0_T1_
                                        ; -- End function
	.set _ZN2at6native29vectorized_elementwise_kernelILi4ENS0_13AUnaryFunctorImmbNS0_12_GLOBAL__N_116CompareEqFunctorImEEEESt5arrayIPcLm2EEEEviT0_T1_.num_vgpr, 36
	.set _ZN2at6native29vectorized_elementwise_kernelILi4ENS0_13AUnaryFunctorImmbNS0_12_GLOBAL__N_116CompareEqFunctorImEEEESt5arrayIPcLm2EEEEviT0_T1_.num_agpr, 0
	.set _ZN2at6native29vectorized_elementwise_kernelILi4ENS0_13AUnaryFunctorImmbNS0_12_GLOBAL__N_116CompareEqFunctorImEEEESt5arrayIPcLm2EEEEviT0_T1_.numbered_sgpr, 27
	.set _ZN2at6native29vectorized_elementwise_kernelILi4ENS0_13AUnaryFunctorImmbNS0_12_GLOBAL__N_116CompareEqFunctorImEEEESt5arrayIPcLm2EEEEviT0_T1_.num_named_barrier, 0
	.set _ZN2at6native29vectorized_elementwise_kernelILi4ENS0_13AUnaryFunctorImmbNS0_12_GLOBAL__N_116CompareEqFunctorImEEEESt5arrayIPcLm2EEEEviT0_T1_.private_seg_size, 0
	.set _ZN2at6native29vectorized_elementwise_kernelILi4ENS0_13AUnaryFunctorImmbNS0_12_GLOBAL__N_116CompareEqFunctorImEEEESt5arrayIPcLm2EEEEviT0_T1_.uses_vcc, 1
	.set _ZN2at6native29vectorized_elementwise_kernelILi4ENS0_13AUnaryFunctorImmbNS0_12_GLOBAL__N_116CompareEqFunctorImEEEESt5arrayIPcLm2EEEEviT0_T1_.uses_flat_scratch, 0
	.set _ZN2at6native29vectorized_elementwise_kernelILi4ENS0_13AUnaryFunctorImmbNS0_12_GLOBAL__N_116CompareEqFunctorImEEEESt5arrayIPcLm2EEEEviT0_T1_.has_dyn_sized_stack, 0
	.set _ZN2at6native29vectorized_elementwise_kernelILi4ENS0_13AUnaryFunctorImmbNS0_12_GLOBAL__N_116CompareEqFunctorImEEEESt5arrayIPcLm2EEEEviT0_T1_.has_recursion, 0
	.set _ZN2at6native29vectorized_elementwise_kernelILi4ENS0_13AUnaryFunctorImmbNS0_12_GLOBAL__N_116CompareEqFunctorImEEEESt5arrayIPcLm2EEEEviT0_T1_.has_indirect_call, 0
	.section	.AMDGPU.csdata,"",@progbits
; Kernel info:
; codeLenInByte = 3124
; TotalNumSgprs: 29
; NumVgprs: 36
; ScratchSize: 0
; MemoryBound: 0
; FloatMode: 240
; IeeeMode: 1
; LDSByteSize: 0 bytes/workgroup (compile time only)
; SGPRBlocks: 0
; VGPRBlocks: 2
; NumSGPRsForWavesPerEU: 29
; NumVGPRsForWavesPerEU: 36
; NamedBarCnt: 0
; Occupancy: 16
; WaveLimiterHint : 1
; COMPUTE_PGM_RSRC2:SCRATCH_EN: 0
; COMPUTE_PGM_RSRC2:USER_SGPR: 2
; COMPUTE_PGM_RSRC2:TRAP_HANDLER: 0
; COMPUTE_PGM_RSRC2:TGID_X_EN: 1
; COMPUTE_PGM_RSRC2:TGID_Y_EN: 0
; COMPUTE_PGM_RSRC2:TGID_Z_EN: 0
; COMPUTE_PGM_RSRC2:TIDIG_COMP_CNT: 0
	.section	.text._ZN2at6native29vectorized_elementwise_kernelILi2ENS0_13AUnaryFunctorImmbNS0_12_GLOBAL__N_116CompareEqFunctorImEEEESt5arrayIPcLm2EEEEviT0_T1_,"axG",@progbits,_ZN2at6native29vectorized_elementwise_kernelILi2ENS0_13AUnaryFunctorImmbNS0_12_GLOBAL__N_116CompareEqFunctorImEEEESt5arrayIPcLm2EEEEviT0_T1_,comdat
	.globl	_ZN2at6native29vectorized_elementwise_kernelILi2ENS0_13AUnaryFunctorImmbNS0_12_GLOBAL__N_116CompareEqFunctorImEEEESt5arrayIPcLm2EEEEviT0_T1_ ; -- Begin function _ZN2at6native29vectorized_elementwise_kernelILi2ENS0_13AUnaryFunctorImmbNS0_12_GLOBAL__N_116CompareEqFunctorImEEEESt5arrayIPcLm2EEEEviT0_T1_
	.p2align	8
	.type	_ZN2at6native29vectorized_elementwise_kernelILi2ENS0_13AUnaryFunctorImmbNS0_12_GLOBAL__N_116CompareEqFunctorImEEEESt5arrayIPcLm2EEEEviT0_T1_,@function
_ZN2at6native29vectorized_elementwise_kernelILi2ENS0_13AUnaryFunctorImmbNS0_12_GLOBAL__N_116CompareEqFunctorImEEEESt5arrayIPcLm2EEEEviT0_T1_: ; @_ZN2at6native29vectorized_elementwise_kernelILi2ENS0_13AUnaryFunctorImmbNS0_12_GLOBAL__N_116CompareEqFunctorImEEEESt5arrayIPcLm2EEEEviT0_T1_
; %bb.0:
	s_clause 0x3
	s_load_b32 s2, s[0:1], 0x0
	s_load_b32 s24, s[0:1], 0x8
	s_load_b128 s[16:19], s[0:1], 0x10
	s_load_b64 s[22:23], s[0:1], 0x20
	s_wait_xcnt 0x0
	s_bfe_u32 s0, ttmp6, 0x4000c
	s_and_b32 s1, ttmp6, 15
	s_add_co_i32 s0, s0, 1
	s_getreg_b32 s3, hwreg(HW_REG_IB_STS2, 6, 4)
	s_mul_i32 s0, ttmp9, s0
	s_mov_b32 s25, -1
	s_add_co_i32 s1, s1, s0
	s_cmp_eq_u32 s3, 0
	s_cselect_b32 s0, ttmp9, s1
	s_delay_alu instid0(SALU_CYCLE_1) | instskip(SKIP_2) | instid1(SALU_CYCLE_1)
	s_lshl_b32 s20, s0, 12
	s_wait_kmcnt 0x0
	s_sub_co_i32 s15, s2, s20
	s_cmp_gt_i32 s15, 0xfff
	s_cbranch_scc0 .LBB368_2
; %bb.1:
	s_ashr_i32 s21, s20, 31
	s_mov_b32 s25, 0
	s_lshl_b64 s[0:1], s[20:21], 3
	s_cmp_eq_u32 s24, 0
	s_add_nc_u64 s[0:1], s[22:23], s[0:1]
	s_add_nc_u64 s[26:27], s[18:19], s[20:21]
	s_clause 0x7
	global_load_b128 v[2:5], v0, s[0:1] scale_offset
	global_load_b128 v[6:9], v0, s[0:1] offset:4096 scale_offset
	global_load_b128 v[10:13], v0, s[0:1] offset:8192 scale_offset
	;; [unrolled: 1-line block ×7, first 2 shown]
	s_cselect_b32 s21, -1, 0
	s_wait_loadcnt 0x7
	s_wait_xcnt 0x0
	v_cmp_ne_u64_e64 s0, s[16:17], v[4:5]
	s_wait_loadcnt 0x6
	v_cmp_ne_u64_e64 s1, s[16:17], v[6:7]
	v_cmp_ne_u64_e64 s2, s[16:17], v[8:9]
	s_wait_loadcnt 0x5
	v_cmp_ne_u64_e64 s3, s[16:17], v[10:11]
	v_cmp_ne_u64_e64 s4, s[16:17], v[12:13]
	v_cmp_ne_u64_e32 vcc_lo, s[16:17], v[2:3]
	s_wait_loadcnt 0x4
	v_cmp_ne_u64_e64 s5, s[16:17], v[14:15]
	s_xor_b32 s0, s21, s0
	v_cmp_ne_u64_e64 s6, s[16:17], v[16:17]
	v_cndmask_b32_e64 v2, 0, 0x100, s0
	s_xor_b32 s0, s21, s1
	s_wait_loadcnt 0x3
	v_cmp_ne_u64_e64 s7, s[16:17], v[18:19]
	v_cndmask_b32_e64 v3, 0, 1, s0
	s_xor_b32 s0, s21, s2
	v_cmp_ne_u64_e64 s8, s[16:17], v[20:21]
	v_cndmask_b32_e64 v4, 0, 0x100, s0
	s_xor_b32 s0, s21, s3
	s_wait_loadcnt 0x2
	v_cmp_ne_u64_e64 s9, s[16:17], v[22:23]
	v_cndmask_b32_e64 v5, 0, 1, s0
	;; [unrolled: 7-line block ×4, first 2 shown]
	s_xor_b32 s0, s21, s8
	v_cmp_ne_u64_e64 s14, s[16:17], v[32:33]
	v_cndmask_b32_e64 v10, 0, 0x100, s0
	s_xor_b32 s0, s21, s9
	s_xor_b32 s28, s21, vcc_lo
	v_cndmask_b32_e64 v11, 0, 1, s0
	s_xor_b32 s0, s21, s10
	v_cndmask_b32_e64 v1, 0, 1, s28
	v_cndmask_b32_e64 v12, 0, 0x100, s0
	s_xor_b32 s0, s21, s11
	s_delay_alu instid0(SALU_CYCLE_1)
	v_cndmask_b32_e64 v13, 0, 1, s0
	s_xor_b32 s0, s21, s12
	v_or_b32_e32 v1, v2, v1
	v_cndmask_b32_e64 v14, 0, 0x100, s0
	s_xor_b32 s0, s21, s13
	v_or_b32_e32 v2, v4, v3
	;; [unrolled: 3-line block ×3, first 2 shown]
	v_cndmask_b32_e64 v16, 0, 0x100, s0
	v_or_b32_e32 v4, v8, v7
	v_or_b32_e32 v5, v10, v9
	;; [unrolled: 1-line block ×5, first 2 shown]
	s_clause 0x7
	global_store_b16 v0, v1, s[26:27] scale_offset
	global_store_b16 v0, v2, s[26:27] offset:512 scale_offset
	global_store_b16 v0, v3, s[26:27] offset:1024 scale_offset
	;; [unrolled: 1-line block ×7, first 2 shown]
.LBB368_2:
	s_and_not1_b32 vcc_lo, exec_lo, s25
	s_cbranch_vccnz .LBB368_52
; %bb.3:
	s_wait_xcnt 0x5
	v_mov_b64_e32 v[2:3], 0
	v_mov_b64_e32 v[12:13], 0
	v_cmp_gt_i32_e32 vcc_lo, s15, v0
	v_dual_mov_b32 v35, v0 :: v_dual_bitop2_b32 v1, s20, v0 bitop3:0x54
	v_or_b32_e32 v34, 0x100, v0
	s_wait_xcnt 0x0
	s_and_saveexec_b32 s0, vcc_lo
	s_cbranch_execz .LBB368_5
; %bb.4:
	global_load_b64 v[12:13], v1, s[22:23] scale_offset
	v_or_b32_e32 v35, 0x100, v0
.LBB368_5:
	s_wait_xcnt 0x0
	s_or_b32 exec_lo, exec_lo, s0
	s_delay_alu instid0(SALU_CYCLE_1) | instskip(NEXT) | instid1(VALU_DEP_1)
	s_mov_b32 s1, exec_lo
	v_cmpx_gt_i32_e64 s15, v35
	s_cbranch_execz .LBB368_7
; %bb.6:
	v_add_nc_u32_e32 v2, s20, v35
	v_add_nc_u32_e32 v35, 0x100, v35
	global_load_b64 v[2:3], v2, s[22:23] scale_offset
.LBB368_7:
	s_wait_xcnt 0x0
	s_or_b32 exec_lo, exec_lo, s1
	v_mov_b64_e32 v[4:5], 0
	v_mov_b64_e32 v[16:17], 0
	s_mov_b32 s1, exec_lo
	v_cmpx_gt_i32_e64 s15, v35
	s_cbranch_execz .LBB368_9
; %bb.8:
	v_add_nc_u32_e32 v6, s20, v35
	v_add_nc_u32_e32 v35, 0x100, v35
	global_load_b64 v[16:17], v6, s[22:23] scale_offset
.LBB368_9:
	s_wait_xcnt 0x0
	s_or_b32 exec_lo, exec_lo, s1
	s_delay_alu instid0(SALU_CYCLE_1)
	s_mov_b32 s1, exec_lo
	v_cmpx_gt_i32_e64 s15, v35
	s_cbranch_execz .LBB368_11
; %bb.10:
	v_add_nc_u32_e32 v4, s20, v35
	v_add_nc_u32_e32 v35, 0x100, v35
	global_load_b64 v[4:5], v4, s[22:23] scale_offset
.LBB368_11:
	s_wait_xcnt 0x0
	s_or_b32 exec_lo, exec_lo, s1
	v_mov_b64_e32 v[6:7], 0
	v_mov_b64_e32 v[20:21], 0
	s_mov_b32 s1, exec_lo
	v_cmpx_gt_i32_e64 s15, v35
	s_cbranch_execz .LBB368_13
; %bb.12:
	v_add_nc_u32_e32 v8, s20, v35
	v_add_nc_u32_e32 v35, 0x100, v35
	global_load_b64 v[20:21], v8, s[22:23] scale_offset
.LBB368_13:
	s_wait_xcnt 0x0
	s_or_b32 exec_lo, exec_lo, s1
	s_delay_alu instid0(SALU_CYCLE_1)
	;; [unrolled: 23-line block ×7, first 2 shown]
	s_mov_b32 s1, exec_lo
	v_cmpx_gt_i32_e64 s15, v35
	s_cbranch_execz .LBB368_35
; %bb.34:
	v_add_nc_u32_e32 v22, s20, v35
	global_load_b64 v[22:23], v22, s[22:23] scale_offset
.LBB368_35:
	s_wait_xcnt 0x0
	s_or_b32 exec_lo, exec_lo, s1
	s_cmp_eq_u32 s24, 0
	s_cselect_b32 s0, -1, 0
	s_and_saveexec_b32 s1, vcc_lo
	s_cbranch_execnz .LBB368_53
; %bb.36:
	s_or_b32 exec_lo, exec_lo, s1
	s_delay_alu instid0(SALU_CYCLE_1)
	s_mov_b32 s1, exec_lo
	v_cmpx_gt_i32_e64 s15, v0
	s_cbranch_execnz .LBB368_54
.LBB368_37:
	s_or_b32 exec_lo, exec_lo, s1
	s_delay_alu instid0(SALU_CYCLE_1)
	s_mov_b32 s1, exec_lo
	v_cmpx_gt_i32_e64 s15, v0
	s_cbranch_execnz .LBB368_55
.LBB368_38:
	s_or_b32 exec_lo, exec_lo, s1
	s_delay_alu instid0(SALU_CYCLE_1)
	s_mov_b32 s1, exec_lo
	v_cmpx_gt_i32_e64 s15, v0
	s_cbranch_execnz .LBB368_56
.LBB368_39:
	s_or_b32 exec_lo, exec_lo, s1
	s_delay_alu instid0(SALU_CYCLE_1)
	s_mov_b32 s1, exec_lo
	v_cmpx_gt_i32_e64 s15, v0
	s_cbranch_execnz .LBB368_57
.LBB368_40:
	s_or_b32 exec_lo, exec_lo, s1
	s_delay_alu instid0(SALU_CYCLE_1)
	s_mov_b32 s1, exec_lo
	v_cmpx_gt_i32_e64 s15, v0
	s_cbranch_execnz .LBB368_58
.LBB368_41:
	s_or_b32 exec_lo, exec_lo, s1
	s_delay_alu instid0(SALU_CYCLE_1)
	s_mov_b32 s1, exec_lo
	v_cmpx_gt_i32_e64 s15, v0
	s_cbranch_execnz .LBB368_59
.LBB368_42:
	s_or_b32 exec_lo, exec_lo, s1
	s_delay_alu instid0(SALU_CYCLE_1)
	s_mov_b32 s1, exec_lo
	v_cmpx_gt_i32_e64 s15, v0
	s_cbranch_execnz .LBB368_60
.LBB368_43:
	s_or_b32 exec_lo, exec_lo, s1
	s_delay_alu instid0(SALU_CYCLE_1)
	s_mov_b32 s1, exec_lo
	v_cmpx_gt_i32_e64 s15, v0
	s_cbranch_execnz .LBB368_61
.LBB368_44:
	s_or_b32 exec_lo, exec_lo, s1
	s_delay_alu instid0(SALU_CYCLE_1)
	s_mov_b32 s1, exec_lo
	v_cmpx_gt_i32_e64 s15, v0
	s_cbranch_execnz .LBB368_62
.LBB368_45:
	s_or_b32 exec_lo, exec_lo, s1
	s_delay_alu instid0(SALU_CYCLE_1)
	s_mov_b32 s1, exec_lo
	v_cmpx_gt_i32_e64 s15, v0
	s_cbranch_execnz .LBB368_63
.LBB368_46:
	s_or_b32 exec_lo, exec_lo, s1
	s_delay_alu instid0(SALU_CYCLE_1)
	s_mov_b32 s1, exec_lo
	v_cmpx_gt_i32_e64 s15, v0
	s_cbranch_execnz .LBB368_64
.LBB368_47:
	s_or_b32 exec_lo, exec_lo, s1
	s_delay_alu instid0(SALU_CYCLE_1)
	s_mov_b32 s1, exec_lo
	v_cmpx_gt_i32_e64 s15, v0
	s_cbranch_execnz .LBB368_65
.LBB368_48:
	s_or_b32 exec_lo, exec_lo, s1
	s_delay_alu instid0(SALU_CYCLE_1)
	s_mov_b32 s1, exec_lo
	v_cmpx_gt_i32_e64 s15, v0
	s_cbranch_execnz .LBB368_66
.LBB368_49:
	s_or_b32 exec_lo, exec_lo, s1
	s_delay_alu instid0(SALU_CYCLE_1)
	s_mov_b32 s1, exec_lo
	v_cmpx_gt_i32_e64 s15, v0
	s_cbranch_execnz .LBB368_67
.LBB368_50:
	s_or_b32 exec_lo, exec_lo, s1
	s_delay_alu instid0(SALU_CYCLE_1)
	s_mov_b32 s1, exec_lo
	v_cmpx_gt_i32_e64 s15, v0
	s_cbranch_execz .LBB368_52
.LBB368_51:
	s_wait_loadcnt 0x0
	v_cmp_ne_u64_e32 vcc_lo, s[16:17], v[22:23]
	v_add_nc_u32_e32 v0, s20, v0
	s_xor_b32 s0, s0, vcc_lo
	s_delay_alu instid0(SALU_CYCLE_1)
	v_cndmask_b32_e64 v1, 0, 1, s0
	global_store_b8 v0, v1, s[18:19]
.LBB368_52:
	s_endpgm
.LBB368_53:
	s_wait_loadcnt 0x0
	v_cmp_ne_u64_e32 vcc_lo, s[16:17], v[12:13]
	v_mov_b32_e32 v0, v34
	s_xor_b32 s2, s0, vcc_lo
	s_delay_alu instid0(SALU_CYCLE_1) | instskip(SKIP_3) | instid1(SALU_CYCLE_1)
	v_cndmask_b32_e64 v12, 0, 1, s2
	global_store_b8 v1, v12, s[18:19]
	s_wait_xcnt 0x0
	s_or_b32 exec_lo, exec_lo, s1
	s_mov_b32 s1, exec_lo
	v_cmpx_gt_i32_e64 s15, v0
	s_cbranch_execz .LBB368_37
.LBB368_54:
	s_wait_loadcnt 0x0
	v_cmp_ne_u64_e32 vcc_lo, s[16:17], v[2:3]
	v_add_nc_u32_e32 v2, s20, v0
	v_add_nc_u32_e32 v0, 0x100, v0
	s_xor_b32 s2, s0, vcc_lo
	s_delay_alu instid0(SALU_CYCLE_1) | instskip(SKIP_3) | instid1(SALU_CYCLE_1)
	v_cndmask_b32_e64 v1, 0, 1, s2
	global_store_b8 v2, v1, s[18:19]
	s_wait_xcnt 0x0
	s_or_b32 exec_lo, exec_lo, s1
	s_mov_b32 s1, exec_lo
	v_cmpx_gt_i32_e64 s15, v0
	s_cbranch_execz .LBB368_38
.LBB368_55:
	s_wait_loadcnt 0x0
	v_cmp_ne_u64_e32 vcc_lo, s[16:17], v[16:17]
	v_add_nc_u32_e32 v2, s20, v0
	v_add_nc_u32_e32 v0, 0x100, v0
	s_xor_b32 s2, s0, vcc_lo
	s_delay_alu instid0(SALU_CYCLE_1) | instskip(SKIP_3) | instid1(SALU_CYCLE_1)
	v_cndmask_b32_e64 v1, 0, 1, s2
	global_store_b8 v2, v1, s[18:19]
	s_wait_xcnt 0x0
	s_or_b32 exec_lo, exec_lo, s1
	s_mov_b32 s1, exec_lo
	v_cmpx_gt_i32_e64 s15, v0
	s_cbranch_execz .LBB368_39
.LBB368_56:
	s_wait_loadcnt 0x0
	v_cmp_ne_u64_e32 vcc_lo, s[16:17], v[4:5]
	v_add_nc_u32_e32 v2, s20, v0
	v_add_nc_u32_e32 v0, 0x100, v0
	s_xor_b32 s2, s0, vcc_lo
	s_delay_alu instid0(SALU_CYCLE_1) | instskip(SKIP_3) | instid1(SALU_CYCLE_1)
	v_cndmask_b32_e64 v1, 0, 1, s2
	global_store_b8 v2, v1, s[18:19]
	s_wait_xcnt 0x0
	s_or_b32 exec_lo, exec_lo, s1
	s_mov_b32 s1, exec_lo
	v_cmpx_gt_i32_e64 s15, v0
	s_cbranch_execz .LBB368_40
.LBB368_57:
	s_wait_loadcnt 0x0
	v_cmp_ne_u64_e32 vcc_lo, s[16:17], v[20:21]
	v_add_nc_u32_e32 v2, s20, v0
	v_add_nc_u32_e32 v0, 0x100, v0
	s_xor_b32 s2, s0, vcc_lo
	s_delay_alu instid0(SALU_CYCLE_1) | instskip(SKIP_3) | instid1(SALU_CYCLE_1)
	v_cndmask_b32_e64 v1, 0, 1, s2
	global_store_b8 v2, v1, s[18:19]
	s_wait_xcnt 0x0
	s_or_b32 exec_lo, exec_lo, s1
	s_mov_b32 s1, exec_lo
	v_cmpx_gt_i32_e64 s15, v0
	s_cbranch_execz .LBB368_41
.LBB368_58:
	s_wait_loadcnt 0x0
	v_cmp_ne_u64_e32 vcc_lo, s[16:17], v[6:7]
	v_add_nc_u32_e32 v2, s20, v0
	v_add_nc_u32_e32 v0, 0x100, v0
	s_xor_b32 s2, s0, vcc_lo
	s_delay_alu instid0(SALU_CYCLE_1) | instskip(SKIP_3) | instid1(SALU_CYCLE_1)
	v_cndmask_b32_e64 v1, 0, 1, s2
	global_store_b8 v2, v1, s[18:19]
	s_wait_xcnt 0x0
	s_or_b32 exec_lo, exec_lo, s1
	s_mov_b32 s1, exec_lo
	v_cmpx_gt_i32_e64 s15, v0
	s_cbranch_execz .LBB368_42
.LBB368_59:
	s_wait_loadcnt 0x0
	v_cmp_ne_u64_e32 vcc_lo, s[16:17], v[24:25]
	v_add_nc_u32_e32 v2, s20, v0
	v_add_nc_u32_e32 v0, 0x100, v0
	s_xor_b32 s2, s0, vcc_lo
	s_delay_alu instid0(SALU_CYCLE_1) | instskip(SKIP_3) | instid1(SALU_CYCLE_1)
	v_cndmask_b32_e64 v1, 0, 1, s2
	global_store_b8 v2, v1, s[18:19]
	s_wait_xcnt 0x0
	s_or_b32 exec_lo, exec_lo, s1
	s_mov_b32 s1, exec_lo
	v_cmpx_gt_i32_e64 s15, v0
	s_cbranch_execz .LBB368_43
.LBB368_60:
	s_wait_loadcnt 0x0
	v_cmp_ne_u64_e32 vcc_lo, s[16:17], v[8:9]
	v_add_nc_u32_e32 v2, s20, v0
	v_add_nc_u32_e32 v0, 0x100, v0
	s_xor_b32 s2, s0, vcc_lo
	s_delay_alu instid0(SALU_CYCLE_1) | instskip(SKIP_3) | instid1(SALU_CYCLE_1)
	v_cndmask_b32_e64 v1, 0, 1, s2
	global_store_b8 v2, v1, s[18:19]
	s_wait_xcnt 0x0
	s_or_b32 exec_lo, exec_lo, s1
	s_mov_b32 s1, exec_lo
	v_cmpx_gt_i32_e64 s15, v0
	s_cbranch_execz .LBB368_44
.LBB368_61:
	s_wait_loadcnt 0x0
	v_cmp_ne_u64_e32 vcc_lo, s[16:17], v[26:27]
	v_add_nc_u32_e32 v2, s20, v0
	v_add_nc_u32_e32 v0, 0x100, v0
	s_xor_b32 s2, s0, vcc_lo
	s_delay_alu instid0(SALU_CYCLE_1) | instskip(SKIP_3) | instid1(SALU_CYCLE_1)
	v_cndmask_b32_e64 v1, 0, 1, s2
	global_store_b8 v2, v1, s[18:19]
	s_wait_xcnt 0x0
	s_or_b32 exec_lo, exec_lo, s1
	s_mov_b32 s1, exec_lo
	v_cmpx_gt_i32_e64 s15, v0
	s_cbranch_execz .LBB368_45
.LBB368_62:
	s_wait_loadcnt 0x0
	v_cmp_ne_u64_e32 vcc_lo, s[16:17], v[10:11]
	v_add_nc_u32_e32 v2, s20, v0
	v_add_nc_u32_e32 v0, 0x100, v0
	s_xor_b32 s2, s0, vcc_lo
	s_delay_alu instid0(SALU_CYCLE_1) | instskip(SKIP_3) | instid1(SALU_CYCLE_1)
	v_cndmask_b32_e64 v1, 0, 1, s2
	global_store_b8 v2, v1, s[18:19]
	s_wait_xcnt 0x0
	s_or_b32 exec_lo, exec_lo, s1
	s_mov_b32 s1, exec_lo
	v_cmpx_gt_i32_e64 s15, v0
	s_cbranch_execz .LBB368_46
.LBB368_63:
	s_wait_loadcnt 0x0
	v_cmp_ne_u64_e32 vcc_lo, s[16:17], v[28:29]
	v_add_nc_u32_e32 v2, s20, v0
	v_add_nc_u32_e32 v0, 0x100, v0
	s_xor_b32 s2, s0, vcc_lo
	s_delay_alu instid0(SALU_CYCLE_1) | instskip(SKIP_3) | instid1(SALU_CYCLE_1)
	v_cndmask_b32_e64 v1, 0, 1, s2
	global_store_b8 v2, v1, s[18:19]
	s_wait_xcnt 0x0
	s_or_b32 exec_lo, exec_lo, s1
	s_mov_b32 s1, exec_lo
	v_cmpx_gt_i32_e64 s15, v0
	s_cbranch_execz .LBB368_47
.LBB368_64:
	s_wait_loadcnt 0x0
	v_cmp_ne_u64_e32 vcc_lo, s[16:17], v[14:15]
	v_add_nc_u32_e32 v2, s20, v0
	v_add_nc_u32_e32 v0, 0x100, v0
	s_xor_b32 s2, s0, vcc_lo
	s_delay_alu instid0(SALU_CYCLE_1) | instskip(SKIP_3) | instid1(SALU_CYCLE_1)
	v_cndmask_b32_e64 v1, 0, 1, s2
	global_store_b8 v2, v1, s[18:19]
	s_wait_xcnt 0x0
	s_or_b32 exec_lo, exec_lo, s1
	s_mov_b32 s1, exec_lo
	v_cmpx_gt_i32_e64 s15, v0
	s_cbranch_execz .LBB368_48
.LBB368_65:
	s_wait_loadcnt 0x0
	v_cmp_ne_u64_e32 vcc_lo, s[16:17], v[30:31]
	v_add_nc_u32_e32 v2, s20, v0
	v_add_nc_u32_e32 v0, 0x100, v0
	s_xor_b32 s2, s0, vcc_lo
	s_delay_alu instid0(SALU_CYCLE_1) | instskip(SKIP_3) | instid1(SALU_CYCLE_1)
	v_cndmask_b32_e64 v1, 0, 1, s2
	global_store_b8 v2, v1, s[18:19]
	s_wait_xcnt 0x0
	s_or_b32 exec_lo, exec_lo, s1
	s_mov_b32 s1, exec_lo
	v_cmpx_gt_i32_e64 s15, v0
	s_cbranch_execz .LBB368_49
.LBB368_66:
	s_wait_loadcnt 0x0
	v_cmp_ne_u64_e32 vcc_lo, s[16:17], v[18:19]
	v_add_nc_u32_e32 v2, s20, v0
	v_add_nc_u32_e32 v0, 0x100, v0
	s_xor_b32 s2, s0, vcc_lo
	s_delay_alu instid0(SALU_CYCLE_1) | instskip(SKIP_3) | instid1(SALU_CYCLE_1)
	v_cndmask_b32_e64 v1, 0, 1, s2
	global_store_b8 v2, v1, s[18:19]
	s_wait_xcnt 0x0
	s_or_b32 exec_lo, exec_lo, s1
	s_mov_b32 s1, exec_lo
	v_cmpx_gt_i32_e64 s15, v0
	s_cbranch_execz .LBB368_50
.LBB368_67:
	s_wait_loadcnt 0x0
	v_cmp_ne_u64_e32 vcc_lo, s[16:17], v[32:33]
	v_add_nc_u32_e32 v2, s20, v0
	v_add_nc_u32_e32 v0, 0x100, v0
	s_xor_b32 s2, s0, vcc_lo
	s_delay_alu instid0(SALU_CYCLE_1) | instskip(SKIP_3) | instid1(SALU_CYCLE_1)
	v_cndmask_b32_e64 v1, 0, 1, s2
	global_store_b8 v2, v1, s[18:19]
	s_wait_xcnt 0x0
	s_or_b32 exec_lo, exec_lo, s1
	s_mov_b32 s1, exec_lo
	v_cmpx_gt_i32_e64 s15, v0
	s_cbranch_execnz .LBB368_51
	s_branch .LBB368_52
	.section	.rodata,"a",@progbits
	.p2align	6, 0x0
	.amdhsa_kernel _ZN2at6native29vectorized_elementwise_kernelILi2ENS0_13AUnaryFunctorImmbNS0_12_GLOBAL__N_116CompareEqFunctorImEEEESt5arrayIPcLm2EEEEviT0_T1_
		.amdhsa_group_segment_fixed_size 0
		.amdhsa_private_segment_fixed_size 0
		.amdhsa_kernarg_size 40
		.amdhsa_user_sgpr_count 2
		.amdhsa_user_sgpr_dispatch_ptr 0
		.amdhsa_user_sgpr_queue_ptr 0
		.amdhsa_user_sgpr_kernarg_segment_ptr 1
		.amdhsa_user_sgpr_dispatch_id 0
		.amdhsa_user_sgpr_kernarg_preload_length 0
		.amdhsa_user_sgpr_kernarg_preload_offset 0
		.amdhsa_user_sgpr_private_segment_size 0
		.amdhsa_wavefront_size32 1
		.amdhsa_uses_dynamic_stack 0
		.amdhsa_enable_private_segment 0
		.amdhsa_system_sgpr_workgroup_id_x 1
		.amdhsa_system_sgpr_workgroup_id_y 0
		.amdhsa_system_sgpr_workgroup_id_z 0
		.amdhsa_system_sgpr_workgroup_info 0
		.amdhsa_system_vgpr_workitem_id 0
		.amdhsa_next_free_vgpr 36
		.amdhsa_next_free_sgpr 29
		.amdhsa_named_barrier_count 0
		.amdhsa_reserve_vcc 1
		.amdhsa_float_round_mode_32 0
		.amdhsa_float_round_mode_16_64 0
		.amdhsa_float_denorm_mode_32 3
		.amdhsa_float_denorm_mode_16_64 3
		.amdhsa_fp16_overflow 0
		.amdhsa_memory_ordered 1
		.amdhsa_forward_progress 1
		.amdhsa_inst_pref_size 25
		.amdhsa_round_robin_scheduling 0
		.amdhsa_exception_fp_ieee_invalid_op 0
		.amdhsa_exception_fp_denorm_src 0
		.amdhsa_exception_fp_ieee_div_zero 0
		.amdhsa_exception_fp_ieee_overflow 0
		.amdhsa_exception_fp_ieee_underflow 0
		.amdhsa_exception_fp_ieee_inexact 0
		.amdhsa_exception_int_div_zero 0
	.end_amdhsa_kernel
	.section	.text._ZN2at6native29vectorized_elementwise_kernelILi2ENS0_13AUnaryFunctorImmbNS0_12_GLOBAL__N_116CompareEqFunctorImEEEESt5arrayIPcLm2EEEEviT0_T1_,"axG",@progbits,_ZN2at6native29vectorized_elementwise_kernelILi2ENS0_13AUnaryFunctorImmbNS0_12_GLOBAL__N_116CompareEqFunctorImEEEESt5arrayIPcLm2EEEEviT0_T1_,comdat
.Lfunc_end368:
	.size	_ZN2at6native29vectorized_elementwise_kernelILi2ENS0_13AUnaryFunctorImmbNS0_12_GLOBAL__N_116CompareEqFunctorImEEEESt5arrayIPcLm2EEEEviT0_T1_, .Lfunc_end368-_ZN2at6native29vectorized_elementwise_kernelILi2ENS0_13AUnaryFunctorImmbNS0_12_GLOBAL__N_116CompareEqFunctorImEEEESt5arrayIPcLm2EEEEviT0_T1_
                                        ; -- End function
	.set _ZN2at6native29vectorized_elementwise_kernelILi2ENS0_13AUnaryFunctorImmbNS0_12_GLOBAL__N_116CompareEqFunctorImEEEESt5arrayIPcLm2EEEEviT0_T1_.num_vgpr, 36
	.set _ZN2at6native29vectorized_elementwise_kernelILi2ENS0_13AUnaryFunctorImmbNS0_12_GLOBAL__N_116CompareEqFunctorImEEEESt5arrayIPcLm2EEEEviT0_T1_.num_agpr, 0
	.set _ZN2at6native29vectorized_elementwise_kernelILi2ENS0_13AUnaryFunctorImmbNS0_12_GLOBAL__N_116CompareEqFunctorImEEEESt5arrayIPcLm2EEEEviT0_T1_.numbered_sgpr, 29
	.set _ZN2at6native29vectorized_elementwise_kernelILi2ENS0_13AUnaryFunctorImmbNS0_12_GLOBAL__N_116CompareEqFunctorImEEEESt5arrayIPcLm2EEEEviT0_T1_.num_named_barrier, 0
	.set _ZN2at6native29vectorized_elementwise_kernelILi2ENS0_13AUnaryFunctorImmbNS0_12_GLOBAL__N_116CompareEqFunctorImEEEESt5arrayIPcLm2EEEEviT0_T1_.private_seg_size, 0
	.set _ZN2at6native29vectorized_elementwise_kernelILi2ENS0_13AUnaryFunctorImmbNS0_12_GLOBAL__N_116CompareEqFunctorImEEEESt5arrayIPcLm2EEEEviT0_T1_.uses_vcc, 1
	.set _ZN2at6native29vectorized_elementwise_kernelILi2ENS0_13AUnaryFunctorImmbNS0_12_GLOBAL__N_116CompareEqFunctorImEEEESt5arrayIPcLm2EEEEviT0_T1_.uses_flat_scratch, 0
	.set _ZN2at6native29vectorized_elementwise_kernelILi2ENS0_13AUnaryFunctorImmbNS0_12_GLOBAL__N_116CompareEqFunctorImEEEESt5arrayIPcLm2EEEEviT0_T1_.has_dyn_sized_stack, 0
	.set _ZN2at6native29vectorized_elementwise_kernelILi2ENS0_13AUnaryFunctorImmbNS0_12_GLOBAL__N_116CompareEqFunctorImEEEESt5arrayIPcLm2EEEEviT0_T1_.has_recursion, 0
	.set _ZN2at6native29vectorized_elementwise_kernelILi2ENS0_13AUnaryFunctorImmbNS0_12_GLOBAL__N_116CompareEqFunctorImEEEESt5arrayIPcLm2EEEEviT0_T1_.has_indirect_call, 0
	.section	.AMDGPU.csdata,"",@progbits
; Kernel info:
; codeLenInByte = 3136
; TotalNumSgprs: 31
; NumVgprs: 36
; ScratchSize: 0
; MemoryBound: 0
; FloatMode: 240
; IeeeMode: 1
; LDSByteSize: 0 bytes/workgroup (compile time only)
; SGPRBlocks: 0
; VGPRBlocks: 2
; NumSGPRsForWavesPerEU: 31
; NumVGPRsForWavesPerEU: 36
; NamedBarCnt: 0
; Occupancy: 16
; WaveLimiterHint : 1
; COMPUTE_PGM_RSRC2:SCRATCH_EN: 0
; COMPUTE_PGM_RSRC2:USER_SGPR: 2
; COMPUTE_PGM_RSRC2:TRAP_HANDLER: 0
; COMPUTE_PGM_RSRC2:TGID_X_EN: 1
; COMPUTE_PGM_RSRC2:TGID_Y_EN: 0
; COMPUTE_PGM_RSRC2:TGID_Z_EN: 0
; COMPUTE_PGM_RSRC2:TIDIG_COMP_CNT: 0
	.section	.text._ZN2at6native27unrolled_elementwise_kernelINS0_13AUnaryFunctorImmbNS0_12_GLOBAL__N_116CompareEqFunctorImEEEESt5arrayIPcLm2EELi4E23TrivialOffsetCalculatorILi1EjESB_NS0_6memory15LoadWithoutCastENSC_16StoreWithoutCastEEEviT_T0_T2_T3_T4_T5_,"axG",@progbits,_ZN2at6native27unrolled_elementwise_kernelINS0_13AUnaryFunctorImmbNS0_12_GLOBAL__N_116CompareEqFunctorImEEEESt5arrayIPcLm2EELi4E23TrivialOffsetCalculatorILi1EjESB_NS0_6memory15LoadWithoutCastENSC_16StoreWithoutCastEEEviT_T0_T2_T3_T4_T5_,comdat
	.globl	_ZN2at6native27unrolled_elementwise_kernelINS0_13AUnaryFunctorImmbNS0_12_GLOBAL__N_116CompareEqFunctorImEEEESt5arrayIPcLm2EELi4E23TrivialOffsetCalculatorILi1EjESB_NS0_6memory15LoadWithoutCastENSC_16StoreWithoutCastEEEviT_T0_T2_T3_T4_T5_ ; -- Begin function _ZN2at6native27unrolled_elementwise_kernelINS0_13AUnaryFunctorImmbNS0_12_GLOBAL__N_116CompareEqFunctorImEEEESt5arrayIPcLm2EELi4E23TrivialOffsetCalculatorILi1EjESB_NS0_6memory15LoadWithoutCastENSC_16StoreWithoutCastEEEviT_T0_T2_T3_T4_T5_
	.p2align	8
	.type	_ZN2at6native27unrolled_elementwise_kernelINS0_13AUnaryFunctorImmbNS0_12_GLOBAL__N_116CompareEqFunctorImEEEESt5arrayIPcLm2EELi4E23TrivialOffsetCalculatorILi1EjESB_NS0_6memory15LoadWithoutCastENSC_16StoreWithoutCastEEEviT_T0_T2_T3_T4_T5_,@function
_ZN2at6native27unrolled_elementwise_kernelINS0_13AUnaryFunctorImmbNS0_12_GLOBAL__N_116CompareEqFunctorImEEEESt5arrayIPcLm2EELi4E23TrivialOffsetCalculatorILi1EjESB_NS0_6memory15LoadWithoutCastENSC_16StoreWithoutCastEEEviT_T0_T2_T3_T4_T5_: ; @_ZN2at6native27unrolled_elementwise_kernelINS0_13AUnaryFunctorImmbNS0_12_GLOBAL__N_116CompareEqFunctorImEEEESt5arrayIPcLm2EELi4E23TrivialOffsetCalculatorILi1EjESB_NS0_6memory15LoadWithoutCastENSC_16StoreWithoutCastEEEviT_T0_T2_T3_T4_T5_
; %bb.0:
	s_clause 0x1
	s_load_b32 s2, s[0:1], 0x0
	s_load_b64 s[8:9], s[0:1], 0x20
	s_bfe_u32 s3, ttmp6, 0x4000c
	s_and_b32 s4, ttmp6, 15
	s_add_co_i32 s3, s3, 1
	s_getreg_b32 s5, hwreg(HW_REG_IB_STS2, 6, 4)
	s_mul_i32 s3, ttmp9, s3
	v_mov_b64_e32 v[2:3], 0
	s_add_co_i32 s4, s4, s3
	s_cmp_eq_u32 s5, 0
	v_mov_b64_e32 v[4:5], 0
	s_cselect_b32 s3, ttmp9, s4
	v_or_b32_e32 v1, 0x100, v0
	s_lshl_b32 s3, s3, 10
	s_delay_alu instid0(SALU_CYCLE_1) | instskip(SKIP_2) | instid1(SALU_CYCLE_1)
	v_dual_mov_b32 v11, v0 :: v_dual_bitop2_b32 v10, s3, v0 bitop3:0x54
	s_wait_kmcnt 0x0
	s_sub_co_i32 s10, s2, s3
	v_cmp_gt_i32_e32 vcc_lo, s10, v0
	s_and_saveexec_b32 s2, vcc_lo
	s_cbranch_execz .LBB369_2
; %bb.1:
	global_load_b64 v[4:5], v10, s[8:9] scale_offset
	v_or_b32_e32 v11, 0x100, v0
.LBB369_2:
	s_wait_xcnt 0x0
	s_or_b32 exec_lo, exec_lo, s2
	s_load_b128 s[4:7], s[0:1], 0x10
	s_mov_b32 s11, exec_lo
	v_cmpx_gt_i32_e64 s10, v11
	s_cbranch_execz .LBB369_4
; %bb.3:
	v_add_nc_u32_e32 v2, s3, v11
	v_add_nc_u32_e32 v11, 0x100, v11
	global_load_b64 v[2:3], v2, s[8:9] scale_offset
.LBB369_4:
	s_wait_xcnt 0x0
	s_or_b32 exec_lo, exec_lo, s11
	v_mov_b64_e32 v[6:7], 0
	v_mov_b64_e32 v[8:9], 0
	s_mov_b32 s11, exec_lo
	v_cmpx_gt_i32_e64 s10, v11
	s_cbranch_execz .LBB369_6
; %bb.5:
	v_add_nc_u32_e32 v8, s3, v11
	v_add_nc_u32_e32 v11, 0x100, v11
	global_load_b64 v[8:9], v8, s[8:9] scale_offset
.LBB369_6:
	s_wait_xcnt 0x0
	s_or_b32 exec_lo, exec_lo, s11
	s_load_b32 s2, s[0:1], 0x8
	s_wait_xcnt 0x0
	s_mov_b32 s1, exec_lo
	v_cmpx_gt_i32_e64 s10, v11
	s_cbranch_execz .LBB369_8
; %bb.7:
	v_add_nc_u32_e32 v6, s3, v11
	global_load_b64 v[6:7], v6, s[8:9] scale_offset
.LBB369_8:
	s_wait_xcnt 0x0
	s_or_b32 exec_lo, exec_lo, s1
	s_wait_loadcnt 0x0
	s_wait_kmcnt 0x0
	v_cmp_ne_u64_e64 s0, s[4:5], v[4:5]
	v_cmp_ne_u64_e64 s1, s[4:5], v[2:3]
	s_cmp_eq_u32 s2, 0
	s_cselect_b32 s2, -1, 0
	s_delay_alu instid0(SALU_CYCLE_1) | instskip(NEXT) | instid1(SALU_CYCLE_1)
	s_xor_b32 s0, s2, s0
	v_cndmask_b32_e64 v2, 0, 1, s0
	s_xor_b32 s0, s2, s1
	s_delay_alu instid0(SALU_CYCLE_1) | instskip(SKIP_1) | instid1(VALU_DEP_2)
	v_cndmask_b32_e64 v3, 0, 1, s0
	v_cmp_ne_u64_e64 s0, s[4:5], v[8:9]
	v_lshlrev_b16 v3, 8, v3
	s_xor_b32 s0, s2, s0
	s_delay_alu instid0(SALU_CYCLE_1) | instskip(SKIP_2) | instid1(VALU_DEP_2)
	v_cndmask_b32_e64 v4, 0, 1, s0
	v_cndmask_b32_e32 v2, 0, v2, vcc_lo
	v_cmp_gt_i32_e64 s0, s10, v1
	v_dual_lshlrev_b32 v4, 16, v4 :: v_dual_bitop2_b32 v3, v2, v3 bitop3:0x54
	s_delay_alu instid0(VALU_DEP_1) | instskip(NEXT) | instid1(VALU_DEP_1)
	v_and_b32_e32 v3, 0xffff, v3
	v_cndmask_b32_e64 v2, v2, v3, s0
	v_or_b32_e32 v3, 0x200, v0
	v_cmp_ne_u64_e64 s0, s[4:5], v[6:7]
	s_delay_alu instid0(VALU_DEP_3) | instskip(NEXT) | instid1(VALU_DEP_3)
	v_or_b32_e32 v4, v2, v4
	v_cmp_gt_i32_e64 s1, s10, v3
	s_xor_b32 s0, s2, s0
	v_cndmask_b32_e64 v2, v2, v4, s1
	v_cndmask_b32_e64 v3, 0, 1, s0
	s_delay_alu instid0(VALU_DEP_2) | instskip(NEXT) | instid1(VALU_DEP_2)
	v_lshrrev_b32_e32 v4, 16, v2
	v_lshlrev_b16 v3, 8, v3
	s_delay_alu instid0(VALU_DEP_1) | instskip(SKIP_1) | instid1(VALU_DEP_2)
	v_bitop3_b16 v3, v4, v3, 0xff bitop3:0xec
	v_or_b32_e32 v4, 0x300, v0
	v_lshlrev_b32_e32 v3, 16, v3
	s_delay_alu instid0(VALU_DEP_2) | instskip(NEXT) | instid1(VALU_DEP_2)
	v_cmp_gt_i32_e64 s0, s10, v4
	v_and_or_b32 v3, 0xffff, v2, v3
	s_delay_alu instid0(VALU_DEP_1)
	v_cndmask_b32_e64 v2, v2, v3, s0
	s_and_saveexec_b32 s0, vcc_lo
	s_cbranch_execnz .LBB369_13
; %bb.9:
	s_or_b32 exec_lo, exec_lo, s0
	s_delay_alu instid0(SALU_CYCLE_1)
	s_mov_b32 s0, exec_lo
	v_cmpx_gt_i32_e64 s10, v0
	s_cbranch_execnz .LBB369_14
.LBB369_10:
	s_or_b32 exec_lo, exec_lo, s0
	s_delay_alu instid0(SALU_CYCLE_1)
	s_mov_b32 s0, exec_lo
	v_cmpx_gt_i32_e64 s10, v0
	s_cbranch_execnz .LBB369_15
.LBB369_11:
	s_or_b32 exec_lo, exec_lo, s0
	s_delay_alu instid0(SALU_CYCLE_1)
	s_mov_b32 s0, exec_lo
	v_cmpx_gt_i32_e64 s10, v0
	s_cbranch_execnz .LBB369_16
.LBB369_12:
	s_endpgm
.LBB369_13:
	v_mov_b32_e32 v0, v1
	global_store_b8 v10, v2, s[6:7]
	s_wait_xcnt 0x0
	s_or_b32 exec_lo, exec_lo, s0
	s_delay_alu instid0(SALU_CYCLE_1)
	s_mov_b32 s0, exec_lo
	v_cmpx_gt_i32_e64 s10, v0
	s_cbranch_execz .LBB369_10
.LBB369_14:
	v_add_nc_u32_e32 v1, 0x100, v0
	v_dual_add_nc_u32 v3, s3, v0 :: v_dual_lshrrev_b32 v4, 8, v2
	s_delay_alu instid0(VALU_DEP_2) | instskip(SKIP_3) | instid1(SALU_CYCLE_1)
	v_mov_b32_e32 v0, v1
	global_store_b8 v3, v4, s[6:7]
	s_wait_xcnt 0x0
	s_or_b32 exec_lo, exec_lo, s0
	s_mov_b32 s0, exec_lo
	v_cmpx_gt_i32_e64 s10, v0
	s_cbranch_execz .LBB369_11
.LBB369_15:
	v_add_nc_u32_e32 v1, 0x100, v0
	s_delay_alu instid0(VALU_DEP_1) | instskip(SKIP_3) | instid1(SALU_CYCLE_1)
	v_dual_mov_b32 v0, v1 :: v_dual_add_nc_u32 v3, s3, v0
	global_store_d16_hi_b8 v3, v2, s[6:7]
	s_wait_xcnt 0x0
	s_or_b32 exec_lo, exec_lo, s0
	s_mov_b32 s0, exec_lo
	v_cmpx_gt_i32_e64 s10, v0
	s_cbranch_execz .LBB369_12
.LBB369_16:
	v_dual_add_nc_u32 v0, s3, v0 :: v_dual_lshrrev_b32 v1, 24, v2
	global_store_b8 v0, v1, s[6:7]
	s_endpgm
	.section	.rodata,"a",@progbits
	.p2align	6, 0x0
	.amdhsa_kernel _ZN2at6native27unrolled_elementwise_kernelINS0_13AUnaryFunctorImmbNS0_12_GLOBAL__N_116CompareEqFunctorImEEEESt5arrayIPcLm2EELi4E23TrivialOffsetCalculatorILi1EjESB_NS0_6memory15LoadWithoutCastENSC_16StoreWithoutCastEEEviT_T0_T2_T3_T4_T5_
		.amdhsa_group_segment_fixed_size 0
		.amdhsa_private_segment_fixed_size 0
		.amdhsa_kernarg_size 44
		.amdhsa_user_sgpr_count 2
		.amdhsa_user_sgpr_dispatch_ptr 0
		.amdhsa_user_sgpr_queue_ptr 0
		.amdhsa_user_sgpr_kernarg_segment_ptr 1
		.amdhsa_user_sgpr_dispatch_id 0
		.amdhsa_user_sgpr_kernarg_preload_length 0
		.amdhsa_user_sgpr_kernarg_preload_offset 0
		.amdhsa_user_sgpr_private_segment_size 0
		.amdhsa_wavefront_size32 1
		.amdhsa_uses_dynamic_stack 0
		.amdhsa_enable_private_segment 0
		.amdhsa_system_sgpr_workgroup_id_x 1
		.amdhsa_system_sgpr_workgroup_id_y 0
		.amdhsa_system_sgpr_workgroup_id_z 0
		.amdhsa_system_sgpr_workgroup_info 0
		.amdhsa_system_vgpr_workitem_id 0
		.amdhsa_next_free_vgpr 12
		.amdhsa_next_free_sgpr 12
		.amdhsa_named_barrier_count 0
		.amdhsa_reserve_vcc 1
		.amdhsa_float_round_mode_32 0
		.amdhsa_float_round_mode_16_64 0
		.amdhsa_float_denorm_mode_32 3
		.amdhsa_float_denorm_mode_16_64 3
		.amdhsa_fp16_overflow 0
		.amdhsa_memory_ordered 1
		.amdhsa_forward_progress 1
		.amdhsa_inst_pref_size 7
		.amdhsa_round_robin_scheduling 0
		.amdhsa_exception_fp_ieee_invalid_op 0
		.amdhsa_exception_fp_denorm_src 0
		.amdhsa_exception_fp_ieee_div_zero 0
		.amdhsa_exception_fp_ieee_overflow 0
		.amdhsa_exception_fp_ieee_underflow 0
		.amdhsa_exception_fp_ieee_inexact 0
		.amdhsa_exception_int_div_zero 0
	.end_amdhsa_kernel
	.section	.text._ZN2at6native27unrolled_elementwise_kernelINS0_13AUnaryFunctorImmbNS0_12_GLOBAL__N_116CompareEqFunctorImEEEESt5arrayIPcLm2EELi4E23TrivialOffsetCalculatorILi1EjESB_NS0_6memory15LoadWithoutCastENSC_16StoreWithoutCastEEEviT_T0_T2_T3_T4_T5_,"axG",@progbits,_ZN2at6native27unrolled_elementwise_kernelINS0_13AUnaryFunctorImmbNS0_12_GLOBAL__N_116CompareEqFunctorImEEEESt5arrayIPcLm2EELi4E23TrivialOffsetCalculatorILi1EjESB_NS0_6memory15LoadWithoutCastENSC_16StoreWithoutCastEEEviT_T0_T2_T3_T4_T5_,comdat
.Lfunc_end369:
	.size	_ZN2at6native27unrolled_elementwise_kernelINS0_13AUnaryFunctorImmbNS0_12_GLOBAL__N_116CompareEqFunctorImEEEESt5arrayIPcLm2EELi4E23TrivialOffsetCalculatorILi1EjESB_NS0_6memory15LoadWithoutCastENSC_16StoreWithoutCastEEEviT_T0_T2_T3_T4_T5_, .Lfunc_end369-_ZN2at6native27unrolled_elementwise_kernelINS0_13AUnaryFunctorImmbNS0_12_GLOBAL__N_116CompareEqFunctorImEEEESt5arrayIPcLm2EELi4E23TrivialOffsetCalculatorILi1EjESB_NS0_6memory15LoadWithoutCastENSC_16StoreWithoutCastEEEviT_T0_T2_T3_T4_T5_
                                        ; -- End function
	.set _ZN2at6native27unrolled_elementwise_kernelINS0_13AUnaryFunctorImmbNS0_12_GLOBAL__N_116CompareEqFunctorImEEEESt5arrayIPcLm2EELi4E23TrivialOffsetCalculatorILi1EjESB_NS0_6memory15LoadWithoutCastENSC_16StoreWithoutCastEEEviT_T0_T2_T3_T4_T5_.num_vgpr, 12
	.set _ZN2at6native27unrolled_elementwise_kernelINS0_13AUnaryFunctorImmbNS0_12_GLOBAL__N_116CompareEqFunctorImEEEESt5arrayIPcLm2EELi4E23TrivialOffsetCalculatorILi1EjESB_NS0_6memory15LoadWithoutCastENSC_16StoreWithoutCastEEEviT_T0_T2_T3_T4_T5_.num_agpr, 0
	.set _ZN2at6native27unrolled_elementwise_kernelINS0_13AUnaryFunctorImmbNS0_12_GLOBAL__N_116CompareEqFunctorImEEEESt5arrayIPcLm2EELi4E23TrivialOffsetCalculatorILi1EjESB_NS0_6memory15LoadWithoutCastENSC_16StoreWithoutCastEEEviT_T0_T2_T3_T4_T5_.numbered_sgpr, 12
	.set _ZN2at6native27unrolled_elementwise_kernelINS0_13AUnaryFunctorImmbNS0_12_GLOBAL__N_116CompareEqFunctorImEEEESt5arrayIPcLm2EELi4E23TrivialOffsetCalculatorILi1EjESB_NS0_6memory15LoadWithoutCastENSC_16StoreWithoutCastEEEviT_T0_T2_T3_T4_T5_.num_named_barrier, 0
	.set _ZN2at6native27unrolled_elementwise_kernelINS0_13AUnaryFunctorImmbNS0_12_GLOBAL__N_116CompareEqFunctorImEEEESt5arrayIPcLm2EELi4E23TrivialOffsetCalculatorILi1EjESB_NS0_6memory15LoadWithoutCastENSC_16StoreWithoutCastEEEviT_T0_T2_T3_T4_T5_.private_seg_size, 0
	.set _ZN2at6native27unrolled_elementwise_kernelINS0_13AUnaryFunctorImmbNS0_12_GLOBAL__N_116CompareEqFunctorImEEEESt5arrayIPcLm2EELi4E23TrivialOffsetCalculatorILi1EjESB_NS0_6memory15LoadWithoutCastENSC_16StoreWithoutCastEEEviT_T0_T2_T3_T4_T5_.uses_vcc, 1
	.set _ZN2at6native27unrolled_elementwise_kernelINS0_13AUnaryFunctorImmbNS0_12_GLOBAL__N_116CompareEqFunctorImEEEESt5arrayIPcLm2EELi4E23TrivialOffsetCalculatorILi1EjESB_NS0_6memory15LoadWithoutCastENSC_16StoreWithoutCastEEEviT_T0_T2_T3_T4_T5_.uses_flat_scratch, 0
	.set _ZN2at6native27unrolled_elementwise_kernelINS0_13AUnaryFunctorImmbNS0_12_GLOBAL__N_116CompareEqFunctorImEEEESt5arrayIPcLm2EELi4E23TrivialOffsetCalculatorILi1EjESB_NS0_6memory15LoadWithoutCastENSC_16StoreWithoutCastEEEviT_T0_T2_T3_T4_T5_.has_dyn_sized_stack, 0
	.set _ZN2at6native27unrolled_elementwise_kernelINS0_13AUnaryFunctorImmbNS0_12_GLOBAL__N_116CompareEqFunctorImEEEESt5arrayIPcLm2EELi4E23TrivialOffsetCalculatorILi1EjESB_NS0_6memory15LoadWithoutCastENSC_16StoreWithoutCastEEEviT_T0_T2_T3_T4_T5_.has_recursion, 0
	.set _ZN2at6native27unrolled_elementwise_kernelINS0_13AUnaryFunctorImmbNS0_12_GLOBAL__N_116CompareEqFunctorImEEEESt5arrayIPcLm2EELi4E23TrivialOffsetCalculatorILi1EjESB_NS0_6memory15LoadWithoutCastENSC_16StoreWithoutCastEEEviT_T0_T2_T3_T4_T5_.has_indirect_call, 0
	.section	.AMDGPU.csdata,"",@progbits
; Kernel info:
; codeLenInByte = 852
; TotalNumSgprs: 14
; NumVgprs: 12
; ScratchSize: 0
; MemoryBound: 0
; FloatMode: 240
; IeeeMode: 1
; LDSByteSize: 0 bytes/workgroup (compile time only)
; SGPRBlocks: 0
; VGPRBlocks: 0
; NumSGPRsForWavesPerEU: 14
; NumVGPRsForWavesPerEU: 12
; NamedBarCnt: 0
; Occupancy: 16
; WaveLimiterHint : 0
; COMPUTE_PGM_RSRC2:SCRATCH_EN: 0
; COMPUTE_PGM_RSRC2:USER_SGPR: 2
; COMPUTE_PGM_RSRC2:TRAP_HANDLER: 0
; COMPUTE_PGM_RSRC2:TGID_X_EN: 1
; COMPUTE_PGM_RSRC2:TGID_Y_EN: 0
; COMPUTE_PGM_RSRC2:TGID_Z_EN: 0
; COMPUTE_PGM_RSRC2:TIDIG_COMP_CNT: 0
	.section	.text._ZN2at6native32elementwise_kernel_manual_unrollILi128ELi8EZNS0_22gpu_kernel_impl_nocastINS0_13AUnaryFunctorImmbNS0_12_GLOBAL__N_116CompareEqFunctorImEEEEEEvRNS_18TensorIteratorBaseERKT_EUlibE_EEviT1_,"axG",@progbits,_ZN2at6native32elementwise_kernel_manual_unrollILi128ELi8EZNS0_22gpu_kernel_impl_nocastINS0_13AUnaryFunctorImmbNS0_12_GLOBAL__N_116CompareEqFunctorImEEEEEEvRNS_18TensorIteratorBaseERKT_EUlibE_EEviT1_,comdat
	.globl	_ZN2at6native32elementwise_kernel_manual_unrollILi128ELi8EZNS0_22gpu_kernel_impl_nocastINS0_13AUnaryFunctorImmbNS0_12_GLOBAL__N_116CompareEqFunctorImEEEEEEvRNS_18TensorIteratorBaseERKT_EUlibE_EEviT1_ ; -- Begin function _ZN2at6native32elementwise_kernel_manual_unrollILi128ELi8EZNS0_22gpu_kernel_impl_nocastINS0_13AUnaryFunctorImmbNS0_12_GLOBAL__N_116CompareEqFunctorImEEEEEEvRNS_18TensorIteratorBaseERKT_EUlibE_EEviT1_
	.p2align	8
	.type	_ZN2at6native32elementwise_kernel_manual_unrollILi128ELi8EZNS0_22gpu_kernel_impl_nocastINS0_13AUnaryFunctorImmbNS0_12_GLOBAL__N_116CompareEqFunctorImEEEEEEvRNS_18TensorIteratorBaseERKT_EUlibE_EEviT1_,@function
_ZN2at6native32elementwise_kernel_manual_unrollILi128ELi8EZNS0_22gpu_kernel_impl_nocastINS0_13AUnaryFunctorImmbNS0_12_GLOBAL__N_116CompareEqFunctorImEEEEEEvRNS_18TensorIteratorBaseERKT_EUlibE_EEviT1_: ; @_ZN2at6native32elementwise_kernel_manual_unrollILi128ELi8EZNS0_22gpu_kernel_impl_nocastINS0_13AUnaryFunctorImmbNS0_12_GLOBAL__N_116CompareEqFunctorImEEEEEEvRNS_18TensorIteratorBaseERKT_EUlibE_EEviT1_
; %bb.0:
	s_clause 0x1
	s_load_b32 s30, s[0:1], 0x8
	s_load_b32 s36, s[0:1], 0x0
	s_bfe_u32 s2, ttmp6, 0x4000c
	s_and_b32 s3, ttmp6, 15
	s_add_co_i32 s2, s2, 1
	s_getreg_b32 s4, hwreg(HW_REG_IB_STS2, 6, 4)
	s_mul_i32 s2, ttmp9, s2
	s_add_nc_u64 s[12:13], s[0:1], 8
	s_add_co_i32 s3, s3, s2
	s_cmp_eq_u32 s4, 0
	s_mov_b32 s19, 0
	s_cselect_b32 s2, ttmp9, s3
	s_wait_xcnt 0x0
	s_mov_b32 s0, exec_lo
	v_lshl_or_b32 v0, s2, 10, v0
	s_delay_alu instid0(VALU_DEP_1) | instskip(SKIP_2) | instid1(SALU_CYCLE_1)
	v_or_b32_e32 v16, 0x380, v0
	s_wait_kmcnt 0x0
	s_add_co_i32 s31, s30, -1
	s_cmp_gt_u32 s31, 1
	s_cselect_b32 s33, -1, 0
	v_cmpx_le_i32_e64 s36, v16
	s_xor_b32 s34, exec_lo, s0
	s_cbranch_execz .LBB370_7
; %bb.1:
	s_clause 0x5
	s_load_b128 s[4:7], s[12:13], 0x4
	s_load_b64 s[16:17], s[12:13], 0x14
	s_load_b32 s21, s[12:13], 0x158
	s_load_b128 s[8:11], s[12:13], 0xc4
	s_load_b128 s[0:3], s[12:13], 0x148
	s_load_b64 s[14:15], s[12:13], 0x160
	s_cmp_lg_u32 s30, 0
	s_add_nc_u64 s[22:23], s[12:13], 0xc4
	s_cselect_b32 s38, -1, 0
	s_min_u32 s37, s31, 15
	s_cmp_gt_u32 s30, 1
	s_cselect_b32 s35, -1, 0
	s_wait_kmcnt 0x0
	s_mov_b32 s18, s5
	s_mov_b32 s20, s16
	s_cmp_eq_u32 s21, 0
	s_mov_b32 s21, s19
	s_cselect_b32 s5, -1, 0
	s_mov_b32 s16, exec_lo
	v_cmpx_gt_i32_e64 s36, v0
	s_cbranch_execz .LBB370_14
; %bb.2:
	s_and_not1_b32 vcc_lo, exec_lo, s33
	s_cbranch_vccnz .LBB370_21
; %bb.3:
	s_and_not1_b32 vcc_lo, exec_lo, s38
	s_cbranch_vccnz .LBB370_129
; %bb.4:
	s_add_co_i32 s25, s37, 1
	s_cmp_eq_u32 s31, 2
	s_cbranch_scc1 .LBB370_131
; %bb.5:
	v_dual_mov_b32 v2, 0 :: v_dual_mov_b32 v3, 0
	v_mov_b32_e32 v1, v0
	s_and_b32 s24, s25, 28
	s_mov_b32 s39, 0
	s_mov_b64 s[26:27], s[12:13]
	s_mov_b64 s[28:29], s[22:23]
.LBB370_6:                              ; =>This Inner Loop Header: Depth=1
	s_clause 0x1
	s_load_b256 s[40:47], s[26:27], 0x4
	s_load_b128 s[56:59], s[26:27], 0x24
	s_load_b256 s[48:55], s[28:29], 0x0
	s_add_co_i32 s39, s39, 4
	s_wait_xcnt 0x0
	s_add_nc_u64 s[26:27], s[26:27], 48
	s_cmp_lg_u32 s24, s39
	s_add_nc_u64 s[28:29], s[28:29], 32
	s_wait_kmcnt 0x0
	v_mul_hi_u32 v4, s41, v1
	s_delay_alu instid0(VALU_DEP_1) | instskip(NEXT) | instid1(VALU_DEP_1)
	v_add_nc_u32_e32 v4, v1, v4
	v_lshrrev_b32_e32 v4, s42, v4
	s_delay_alu instid0(VALU_DEP_1) | instskip(NEXT) | instid1(VALU_DEP_1)
	v_mul_hi_u32 v5, s44, v4
	v_add_nc_u32_e32 v5, v4, v5
	s_delay_alu instid0(VALU_DEP_1) | instskip(NEXT) | instid1(VALU_DEP_1)
	v_lshrrev_b32_e32 v5, s45, v5
	v_mul_hi_u32 v6, s47, v5
	s_delay_alu instid0(VALU_DEP_1) | instskip(SKIP_1) | instid1(VALU_DEP_1)
	v_add_nc_u32_e32 v6, v5, v6
	v_mul_lo_u32 v7, v4, s40
	v_sub_nc_u32_e32 v1, v1, v7
	v_mul_lo_u32 v7, v5, s43
	s_delay_alu instid0(VALU_DEP_4) | instskip(NEXT) | instid1(VALU_DEP_3)
	v_lshrrev_b32_e32 v6, s56, v6
	v_mad_u32 v3, v1, s49, v3
	v_mad_u32 v1, v1, s48, v2
	s_delay_alu instid0(VALU_DEP_4) | instskip(NEXT) | instid1(VALU_DEP_4)
	v_sub_nc_u32_e32 v2, v4, v7
	v_mul_hi_u32 v8, s58, v6
	v_mul_lo_u32 v4, v6, s46
	s_delay_alu instid0(VALU_DEP_3) | instskip(SKIP_1) | instid1(VALU_DEP_4)
	v_mad_u32 v3, v2, s51, v3
	v_mad_u32 v2, v2, s50, v1
	v_add_nc_u32_e32 v7, v6, v8
	s_delay_alu instid0(VALU_DEP_1) | instskip(NEXT) | instid1(VALU_DEP_1)
	v_dual_sub_nc_u32 v4, v5, v4 :: v_dual_lshrrev_b32 v1, s59, v7
	v_mad_u32 v3, v4, s53, v3
	s_delay_alu instid0(VALU_DEP_4) | instskip(NEXT) | instid1(VALU_DEP_3)
	v_mad_u32 v2, v4, s52, v2
	v_mul_lo_u32 v5, v1, s57
	s_delay_alu instid0(VALU_DEP_1) | instskip(NEXT) | instid1(VALU_DEP_1)
	v_sub_nc_u32_e32 v4, v6, v5
	v_mad_u32 v3, v4, s55, v3
	s_delay_alu instid0(VALU_DEP_4)
	v_mad_u32 v2, v4, s54, v2
	s_cbranch_scc1 .LBB370_6
	s_branch .LBB370_132
.LBB370_7:
	s_and_not1_saveexec_b32 s0, s34
	s_cbranch_execz .LBB370_221
.LBB370_8:
	v_cndmask_b32_e64 v14, 0, 1, s33
	s_and_not1_b32 vcc_lo, exec_lo, s33
	s_cbranch_vccnz .LBB370_20
; %bb.9:
	s_cmp_lg_u32 s30, 0
	s_mov_b32 s6, 0
	s_cbranch_scc0 .LBB370_23
; %bb.10:
	s_min_u32 s1, s31, 15
	s_delay_alu instid0(SALU_CYCLE_1)
	s_add_co_i32 s1, s1, 1
	s_cmp_eq_u32 s31, 2
	s_cbranch_scc1 .LBB370_24
; %bb.11:
	v_dual_mov_b32 v2, 0 :: v_dual_mov_b32 v3, 0
	v_mov_b32_e32 v1, v0
	s_and_b32 s0, s1, 28
	s_add_nc_u64 s[2:3], s[12:13], 0xc4
	s_mov_b32 s7, 0
	s_mov_b64 s[4:5], s[12:13]
.LBB370_12:                             ; =>This Inner Loop Header: Depth=1
	s_clause 0x1
	s_load_b256 s[16:23], s[4:5], 0x4
	s_load_b128 s[8:11], s[4:5], 0x24
	s_load_b256 s[36:43], s[2:3], 0x0
	s_add_co_i32 s7, s7, 4
	s_wait_xcnt 0x0
	s_add_nc_u64 s[4:5], s[4:5], 48
	s_cmp_lg_u32 s0, s7
	s_add_nc_u64 s[2:3], s[2:3], 32
	s_wait_kmcnt 0x0
	v_mul_hi_u32 v4, s17, v1
	s_delay_alu instid0(VALU_DEP_1) | instskip(NEXT) | instid1(VALU_DEP_1)
	v_add_nc_u32_e32 v4, v1, v4
	v_lshrrev_b32_e32 v4, s18, v4
	s_delay_alu instid0(VALU_DEP_1) | instskip(NEXT) | instid1(VALU_DEP_1)
	v_mul_hi_u32 v5, s20, v4
	v_add_nc_u32_e32 v5, v4, v5
	s_delay_alu instid0(VALU_DEP_1) | instskip(NEXT) | instid1(VALU_DEP_1)
	v_lshrrev_b32_e32 v5, s21, v5
	v_mul_hi_u32 v6, s23, v5
	s_delay_alu instid0(VALU_DEP_1) | instskip(SKIP_1) | instid1(VALU_DEP_1)
	v_add_nc_u32_e32 v6, v5, v6
	v_mul_lo_u32 v7, v4, s16
	v_sub_nc_u32_e32 v1, v1, v7
	v_mul_lo_u32 v7, v5, s19
	s_delay_alu instid0(VALU_DEP_4) | instskip(NEXT) | instid1(VALU_DEP_3)
	v_lshrrev_b32_e32 v6, s8, v6
	v_mad_u32 v3, v1, s37, v3
	v_mad_u32 v1, v1, s36, v2
	s_delay_alu instid0(VALU_DEP_4) | instskip(NEXT) | instid1(VALU_DEP_4)
	v_sub_nc_u32_e32 v2, v4, v7
	v_mul_hi_u32 v8, s10, v6
	v_mul_lo_u32 v4, v6, s22
	s_delay_alu instid0(VALU_DEP_3) | instskip(SKIP_1) | instid1(VALU_DEP_4)
	v_mad_u32 v3, v2, s39, v3
	v_mad_u32 v2, v2, s38, v1
	v_add_nc_u32_e32 v7, v6, v8
	s_delay_alu instid0(VALU_DEP_1) | instskip(NEXT) | instid1(VALU_DEP_1)
	v_dual_sub_nc_u32 v4, v5, v4 :: v_dual_lshrrev_b32 v1, s11, v7
	v_mad_u32 v3, v4, s41, v3
	s_delay_alu instid0(VALU_DEP_4) | instskip(NEXT) | instid1(VALU_DEP_3)
	v_mad_u32 v2, v4, s40, v2
	v_mul_lo_u32 v5, v1, s9
	s_delay_alu instid0(VALU_DEP_1) | instskip(NEXT) | instid1(VALU_DEP_1)
	v_sub_nc_u32_e32 v4, v6, v5
	v_mad_u32 v3, v4, s43, v3
	s_delay_alu instid0(VALU_DEP_4)
	v_mad_u32 v2, v4, s42, v2
	s_cbranch_scc1 .LBB370_12
; %bb.13:
	s_and_b32 s4, s1, 3
	s_mov_b32 s1, 0
	s_cmp_eq_u32 s4, 0
	s_cbranch_scc0 .LBB370_25
	s_branch .LBB370_27
.LBB370_14:
	s_or_b32 exec_lo, exec_lo, s16
	s_delay_alu instid0(SALU_CYCLE_1)
	s_mov_b32 s16, exec_lo
	v_cmpx_gt_i32_e64 s36, v0
	s_cbranch_execz .LBB370_139
.LBB370_15:
	s_and_not1_b32 vcc_lo, exec_lo, s33
	s_cbranch_vccnz .LBB370_22
; %bb.16:
	s_and_not1_b32 vcc_lo, exec_lo, s38
	s_cbranch_vccnz .LBB370_130
; %bb.17:
	s_add_co_i32 s25, s37, 1
	s_cmp_eq_u32 s31, 2
	s_cbranch_scc1 .LBB370_147
; %bb.18:
	v_dual_mov_b32 v2, 0 :: v_dual_mov_b32 v3, 0
	v_mov_b32_e32 v1, v0
	s_and_b32 s24, s25, 28
	s_mov_b32 s39, 0
	s_mov_b64 s[26:27], s[12:13]
	s_mov_b64 s[28:29], s[22:23]
.LBB370_19:                             ; =>This Inner Loop Header: Depth=1
	s_clause 0x1
	s_load_b256 s[40:47], s[26:27], 0x4
	s_load_b128 s[56:59], s[26:27], 0x24
	s_load_b256 s[48:55], s[28:29], 0x0
	s_add_co_i32 s39, s39, 4
	s_wait_xcnt 0x0
	s_add_nc_u64 s[26:27], s[26:27], 48
	s_cmp_eq_u32 s24, s39
	s_add_nc_u64 s[28:29], s[28:29], 32
	s_wait_kmcnt 0x0
	v_mul_hi_u32 v4, s41, v1
	s_delay_alu instid0(VALU_DEP_1) | instskip(NEXT) | instid1(VALU_DEP_1)
	v_add_nc_u32_e32 v4, v1, v4
	v_lshrrev_b32_e32 v4, s42, v4
	s_delay_alu instid0(VALU_DEP_1) | instskip(NEXT) | instid1(VALU_DEP_1)
	v_mul_hi_u32 v5, s44, v4
	v_add_nc_u32_e32 v5, v4, v5
	s_delay_alu instid0(VALU_DEP_1) | instskip(NEXT) | instid1(VALU_DEP_1)
	v_lshrrev_b32_e32 v5, s45, v5
	v_mul_hi_u32 v6, s47, v5
	s_delay_alu instid0(VALU_DEP_1) | instskip(SKIP_1) | instid1(VALU_DEP_1)
	v_add_nc_u32_e32 v6, v5, v6
	v_mul_lo_u32 v7, v4, s40
	v_sub_nc_u32_e32 v1, v1, v7
	v_mul_lo_u32 v7, v5, s43
	s_delay_alu instid0(VALU_DEP_4) | instskip(NEXT) | instid1(VALU_DEP_3)
	v_lshrrev_b32_e32 v6, s56, v6
	v_mad_u32 v3, v1, s49, v3
	v_mad_u32 v1, v1, s48, v2
	s_delay_alu instid0(VALU_DEP_4) | instskip(NEXT) | instid1(VALU_DEP_4)
	v_sub_nc_u32_e32 v2, v4, v7
	v_mul_hi_u32 v8, s58, v6
	v_mul_lo_u32 v4, v6, s46
	s_delay_alu instid0(VALU_DEP_3) | instskip(SKIP_1) | instid1(VALU_DEP_4)
	v_mad_u32 v3, v2, s51, v3
	v_mad_u32 v2, v2, s50, v1
	v_add_nc_u32_e32 v7, v6, v8
	s_delay_alu instid0(VALU_DEP_1) | instskip(NEXT) | instid1(VALU_DEP_1)
	v_dual_sub_nc_u32 v4, v5, v4 :: v_dual_lshrrev_b32 v1, s59, v7
	v_mad_u32 v3, v4, s53, v3
	s_delay_alu instid0(VALU_DEP_4) | instskip(NEXT) | instid1(VALU_DEP_3)
	v_mad_u32 v2, v4, s52, v2
	v_mul_lo_u32 v5, v1, s57
	s_delay_alu instid0(VALU_DEP_1) | instskip(NEXT) | instid1(VALU_DEP_1)
	v_sub_nc_u32_e32 v4, v6, v5
	v_mad_u32 v3, v4, s55, v3
	s_delay_alu instid0(VALU_DEP_4)
	v_mad_u32 v2, v4, s54, v2
	s_cbranch_scc0 .LBB370_19
	s_branch .LBB370_148
.LBB370_20:
	s_mov_b32 s6, -1
                                        ; implicit-def: $vgpr3
	s_branch .LBB370_27
.LBB370_21:
                                        ; implicit-def: $vgpr3
	s_branch .LBB370_136
.LBB370_22:
                                        ; implicit-def: $vgpr3
	s_branch .LBB370_152
.LBB370_23:
	v_dual_mov_b32 v3, 0 :: v_dual_mov_b32 v2, 0
	s_branch .LBB370_27
.LBB370_24:
	v_mov_b64_e32 v[2:3], 0
	v_mov_b32_e32 v1, v0
	s_mov_b32 s0, 0
	s_and_b32 s4, s1, 3
	s_mov_b32 s1, 0
	s_cmp_eq_u32 s4, 0
	s_cbranch_scc1 .LBB370_27
.LBB370_25:
	s_lshl_b32 s2, s0, 3
	s_mov_b32 s3, s1
	s_mul_u64 s[8:9], s[0:1], 12
	s_add_nc_u64 s[2:3], s[12:13], s[2:3]
	s_delay_alu instid0(SALU_CYCLE_1)
	s_add_nc_u64 s[0:1], s[2:3], 0xc4
	s_add_nc_u64 s[2:3], s[12:13], s[8:9]
.LBB370_26:                             ; =>This Inner Loop Header: Depth=1
	s_load_b96 s[8:10], s[2:3], 0x4
	s_add_co_i32 s4, s4, -1
	s_wait_xcnt 0x0
	s_add_nc_u64 s[2:3], s[2:3], 12
	s_cmp_lg_u32 s4, 0
	s_wait_kmcnt 0x0
	v_mul_hi_u32 v4, s9, v1
	s_delay_alu instid0(VALU_DEP_1) | instskip(NEXT) | instid1(VALU_DEP_1)
	v_add_nc_u32_e32 v4, v1, v4
	v_lshrrev_b32_e32 v4, s10, v4
	s_load_b64 s[10:11], s[0:1], 0x0
	s_wait_xcnt 0x0
	s_add_nc_u64 s[0:1], s[0:1], 8
	s_delay_alu instid0(VALU_DEP_1) | instskip(NEXT) | instid1(VALU_DEP_1)
	v_mul_lo_u32 v5, v4, s8
	v_sub_nc_u32_e32 v1, v1, v5
	s_wait_kmcnt 0x0
	s_delay_alu instid0(VALU_DEP_1)
	v_mad_u32 v3, v1, s11, v3
	v_mad_u32 v2, v1, s10, v2
	v_mov_b32_e32 v1, v4
	s_cbranch_scc1 .LBB370_26
.LBB370_27:
	s_and_not1_b32 vcc_lo, exec_lo, s6
	s_cbranch_vccnz .LBB370_30
; %bb.28:
	s_clause 0x1
	s_load_b96 s[0:2], s[12:13], 0x4
	s_load_b64 s[4:5], s[12:13], 0xc4
	s_cmp_lt_u32 s30, 2
	s_wait_kmcnt 0x0
	v_mul_hi_u32 v1, s1, v0
	s_delay_alu instid0(VALU_DEP_1) | instskip(NEXT) | instid1(VALU_DEP_1)
	v_add_nc_u32_e32 v1, v0, v1
	v_lshrrev_b32_e32 v1, s2, v1
	s_delay_alu instid0(VALU_DEP_1) | instskip(NEXT) | instid1(VALU_DEP_1)
	v_mul_lo_u32 v2, v1, s0
	v_sub_nc_u32_e32 v2, v0, v2
	s_delay_alu instid0(VALU_DEP_1)
	v_mul_lo_u32 v3, v2, s5
	v_mul_lo_u32 v2, v2, s4
	s_cbranch_scc1 .LBB370_30
; %bb.29:
	s_clause 0x1
	s_load_b96 s[0:2], s[12:13], 0x10
	s_load_b64 s[4:5], s[12:13], 0xcc
	s_wait_kmcnt 0x0
	v_mul_hi_u32 v4, s1, v1
	s_delay_alu instid0(VALU_DEP_1) | instskip(NEXT) | instid1(VALU_DEP_1)
	v_add_nc_u32_e32 v4, v1, v4
	v_lshrrev_b32_e32 v4, s2, v4
	s_delay_alu instid0(VALU_DEP_1) | instskip(NEXT) | instid1(VALU_DEP_1)
	v_mul_lo_u32 v4, v4, s0
	v_sub_nc_u32_e32 v1, v1, v4
	s_delay_alu instid0(VALU_DEP_1)
	v_mad_u32 v2, v1, s4, v2
	v_mad_u32 v3, v1, s5, v3
.LBB370_30:
	v_cmp_ne_u32_e32 vcc_lo, 1, v14
	v_add_nc_u32_e32 v1, 0x80, v0
	s_cbranch_vccnz .LBB370_36
; %bb.31:
	s_cmp_lg_u32 s30, 0
	s_mov_b32 s6, 0
	s_cbranch_scc0 .LBB370_37
; %bb.32:
	s_min_u32 s1, s31, 15
	s_delay_alu instid0(SALU_CYCLE_1)
	s_add_co_i32 s1, s1, 1
	s_cmp_eq_u32 s31, 2
	s_cbranch_scc1 .LBB370_38
; %bb.33:
	v_dual_mov_b32 v4, 0 :: v_dual_mov_b32 v5, 0
	v_mov_b32_e32 v6, v1
	s_and_b32 s0, s1, 28
	s_add_nc_u64 s[2:3], s[12:13], 0xc4
	s_mov_b32 s7, 0
	s_mov_b64 s[4:5], s[12:13]
.LBB370_34:                             ; =>This Inner Loop Header: Depth=1
	s_clause 0x1
	s_load_b256 s[16:23], s[4:5], 0x4
	s_load_b128 s[8:11], s[4:5], 0x24
	s_load_b256 s[36:43], s[2:3], 0x0
	s_add_co_i32 s7, s7, 4
	s_wait_xcnt 0x0
	s_add_nc_u64 s[4:5], s[4:5], 48
	s_cmp_lg_u32 s0, s7
	s_add_nc_u64 s[2:3], s[2:3], 32
	s_wait_kmcnt 0x0
	v_mul_hi_u32 v7, s17, v6
	s_delay_alu instid0(VALU_DEP_1) | instskip(NEXT) | instid1(VALU_DEP_1)
	v_add_nc_u32_e32 v7, v6, v7
	v_lshrrev_b32_e32 v7, s18, v7
	s_delay_alu instid0(VALU_DEP_1) | instskip(NEXT) | instid1(VALU_DEP_1)
	v_mul_hi_u32 v8, s20, v7
	v_add_nc_u32_e32 v8, v7, v8
	s_delay_alu instid0(VALU_DEP_1) | instskip(NEXT) | instid1(VALU_DEP_1)
	v_lshrrev_b32_e32 v8, s21, v8
	v_mul_hi_u32 v9, s23, v8
	s_delay_alu instid0(VALU_DEP_1) | instskip(SKIP_1) | instid1(VALU_DEP_1)
	v_add_nc_u32_e32 v9, v8, v9
	v_mul_lo_u32 v10, v7, s16
	v_sub_nc_u32_e32 v6, v6, v10
	v_mul_lo_u32 v10, v8, s19
	s_delay_alu instid0(VALU_DEP_4) | instskip(NEXT) | instid1(VALU_DEP_3)
	v_lshrrev_b32_e32 v9, s8, v9
	v_mad_u32 v5, v6, s37, v5
	v_mad_u32 v4, v6, s36, v4
	s_delay_alu instid0(VALU_DEP_4) | instskip(NEXT) | instid1(VALU_DEP_4)
	v_sub_nc_u32_e32 v6, v7, v10
	v_mul_hi_u32 v11, s10, v9
	v_mul_lo_u32 v7, v9, s22
	s_delay_alu instid0(VALU_DEP_3) | instskip(SKIP_1) | instid1(VALU_DEP_4)
	v_mad_u32 v5, v6, s39, v5
	v_mad_u32 v4, v6, s38, v4
	v_add_nc_u32_e32 v10, v9, v11
	s_delay_alu instid0(VALU_DEP_1) | instskip(NEXT) | instid1(VALU_DEP_1)
	v_dual_sub_nc_u32 v7, v8, v7 :: v_dual_lshrrev_b32 v6, s11, v10
	v_mad_u32 v5, v7, s41, v5
	s_delay_alu instid0(VALU_DEP_4) | instskip(NEXT) | instid1(VALU_DEP_3)
	v_mad_u32 v4, v7, s40, v4
	v_mul_lo_u32 v8, v6, s9
	s_delay_alu instid0(VALU_DEP_1) | instskip(NEXT) | instid1(VALU_DEP_1)
	v_sub_nc_u32_e32 v7, v9, v8
	v_mad_u32 v5, v7, s43, v5
	s_delay_alu instid0(VALU_DEP_4)
	v_mad_u32 v4, v7, s42, v4
	s_cbranch_scc1 .LBB370_34
; %bb.35:
	s_and_b32 s4, s1, 3
	s_mov_b32 s1, 0
	s_cmp_eq_u32 s4, 0
	s_cbranch_scc0 .LBB370_39
	s_branch .LBB370_41
.LBB370_36:
	s_mov_b32 s6, -1
                                        ; implicit-def: $vgpr5
	s_branch .LBB370_41
.LBB370_37:
	v_dual_mov_b32 v5, 0 :: v_dual_mov_b32 v4, 0
	s_branch .LBB370_41
.LBB370_38:
	v_mov_b64_e32 v[4:5], 0
	v_mov_b32_e32 v6, v1
	s_mov_b32 s0, 0
	s_and_b32 s4, s1, 3
	s_mov_b32 s1, 0
	s_cmp_eq_u32 s4, 0
	s_cbranch_scc1 .LBB370_41
.LBB370_39:
	s_lshl_b32 s2, s0, 3
	s_mov_b32 s3, s1
	s_mul_u64 s[8:9], s[0:1], 12
	s_add_nc_u64 s[2:3], s[12:13], s[2:3]
	s_delay_alu instid0(SALU_CYCLE_1)
	s_add_nc_u64 s[0:1], s[2:3], 0xc4
	s_add_nc_u64 s[2:3], s[12:13], s[8:9]
.LBB370_40:                             ; =>This Inner Loop Header: Depth=1
	s_load_b96 s[8:10], s[2:3], 0x4
	s_add_co_i32 s4, s4, -1
	s_wait_xcnt 0x0
	s_add_nc_u64 s[2:3], s[2:3], 12
	s_cmp_lg_u32 s4, 0
	s_wait_kmcnt 0x0
	v_mul_hi_u32 v7, s9, v6
	s_delay_alu instid0(VALU_DEP_1) | instskip(NEXT) | instid1(VALU_DEP_1)
	v_add_nc_u32_e32 v7, v6, v7
	v_lshrrev_b32_e32 v7, s10, v7
	s_load_b64 s[10:11], s[0:1], 0x0
	s_wait_xcnt 0x0
	s_add_nc_u64 s[0:1], s[0:1], 8
	s_delay_alu instid0(VALU_DEP_1) | instskip(NEXT) | instid1(VALU_DEP_1)
	v_mul_lo_u32 v8, v7, s8
	v_sub_nc_u32_e32 v6, v6, v8
	s_wait_kmcnt 0x0
	s_delay_alu instid0(VALU_DEP_1)
	v_mad_u32 v5, v6, s11, v5
	v_mad_u32 v4, v6, s10, v4
	v_mov_b32_e32 v6, v7
	s_cbranch_scc1 .LBB370_40
.LBB370_41:
	s_and_not1_b32 vcc_lo, exec_lo, s6
	s_cbranch_vccnz .LBB370_44
; %bb.42:
	s_clause 0x1
	s_load_b96 s[0:2], s[12:13], 0x4
	s_load_b64 s[4:5], s[12:13], 0xc4
	s_cmp_lt_u32 s30, 2
	s_wait_kmcnt 0x0
	v_mul_hi_u32 v4, s1, v1
	s_delay_alu instid0(VALU_DEP_1) | instskip(NEXT) | instid1(VALU_DEP_1)
	v_add_nc_u32_e32 v4, v1, v4
	v_lshrrev_b32_e32 v6, s2, v4
	s_delay_alu instid0(VALU_DEP_1) | instskip(NEXT) | instid1(VALU_DEP_1)
	v_mul_lo_u32 v4, v6, s0
	v_sub_nc_u32_e32 v1, v1, v4
	s_delay_alu instid0(VALU_DEP_1)
	v_mul_lo_u32 v5, v1, s5
	v_mul_lo_u32 v4, v1, s4
	s_cbranch_scc1 .LBB370_44
; %bb.43:
	s_clause 0x1
	s_load_b96 s[0:2], s[12:13], 0x10
	s_load_b64 s[4:5], s[12:13], 0xcc
	s_wait_kmcnt 0x0
	v_mul_hi_u32 v1, s1, v6
	s_delay_alu instid0(VALU_DEP_1) | instskip(NEXT) | instid1(VALU_DEP_1)
	v_add_nc_u32_e32 v1, v6, v1
	v_lshrrev_b32_e32 v1, s2, v1
	s_delay_alu instid0(VALU_DEP_1) | instskip(NEXT) | instid1(VALU_DEP_1)
	v_mul_lo_u32 v1, v1, s0
	v_sub_nc_u32_e32 v1, v6, v1
	s_delay_alu instid0(VALU_DEP_1)
	v_mad_u32 v4, v1, s4, v4
	v_mad_u32 v5, v1, s5, v5
.LBB370_44:
	v_cmp_ne_u32_e32 vcc_lo, 1, v14
	v_add_nc_u32_e32 v1, 0x100, v0
	s_cbranch_vccnz .LBB370_50
; %bb.45:
	s_cmp_lg_u32 s30, 0
	s_mov_b32 s6, 0
	s_cbranch_scc0 .LBB370_51
; %bb.46:
	s_min_u32 s1, s31, 15
	s_delay_alu instid0(SALU_CYCLE_1)
	s_add_co_i32 s1, s1, 1
	s_cmp_eq_u32 s31, 2
	s_cbranch_scc1 .LBB370_52
; %bb.47:
	v_dual_mov_b32 v6, 0 :: v_dual_mov_b32 v7, 0
	v_mov_b32_e32 v8, v1
	s_and_b32 s0, s1, 28
	s_add_nc_u64 s[2:3], s[12:13], 0xc4
	s_mov_b32 s7, 0
	s_mov_b64 s[4:5], s[12:13]
.LBB370_48:                             ; =>This Inner Loop Header: Depth=1
	s_clause 0x1
	s_load_b256 s[16:23], s[4:5], 0x4
	s_load_b128 s[8:11], s[4:5], 0x24
	s_load_b256 s[36:43], s[2:3], 0x0
	s_add_co_i32 s7, s7, 4
	s_wait_xcnt 0x0
	s_add_nc_u64 s[4:5], s[4:5], 48
	s_cmp_lg_u32 s0, s7
	s_add_nc_u64 s[2:3], s[2:3], 32
	s_wait_kmcnt 0x0
	v_mul_hi_u32 v9, s17, v8
	s_delay_alu instid0(VALU_DEP_1) | instskip(NEXT) | instid1(VALU_DEP_1)
	v_add_nc_u32_e32 v9, v8, v9
	v_lshrrev_b32_e32 v9, s18, v9
	s_delay_alu instid0(VALU_DEP_1) | instskip(NEXT) | instid1(VALU_DEP_1)
	v_mul_hi_u32 v10, s20, v9
	v_add_nc_u32_e32 v10, v9, v10
	s_delay_alu instid0(VALU_DEP_1) | instskip(NEXT) | instid1(VALU_DEP_1)
	v_lshrrev_b32_e32 v10, s21, v10
	v_mul_hi_u32 v11, s23, v10
	s_delay_alu instid0(VALU_DEP_1) | instskip(SKIP_1) | instid1(VALU_DEP_1)
	v_add_nc_u32_e32 v11, v10, v11
	v_mul_lo_u32 v12, v9, s16
	v_sub_nc_u32_e32 v8, v8, v12
	v_mul_lo_u32 v12, v10, s19
	s_delay_alu instid0(VALU_DEP_4) | instskip(NEXT) | instid1(VALU_DEP_3)
	v_lshrrev_b32_e32 v11, s8, v11
	v_mad_u32 v7, v8, s37, v7
	v_mad_u32 v6, v8, s36, v6
	s_delay_alu instid0(VALU_DEP_4) | instskip(NEXT) | instid1(VALU_DEP_4)
	v_sub_nc_u32_e32 v8, v9, v12
	v_mul_hi_u32 v13, s10, v11
	v_mul_lo_u32 v9, v11, s22
	s_delay_alu instid0(VALU_DEP_3) | instskip(SKIP_1) | instid1(VALU_DEP_4)
	v_mad_u32 v7, v8, s39, v7
	v_mad_u32 v6, v8, s38, v6
	v_add_nc_u32_e32 v12, v11, v13
	s_delay_alu instid0(VALU_DEP_1) | instskip(NEXT) | instid1(VALU_DEP_1)
	v_dual_sub_nc_u32 v9, v10, v9 :: v_dual_lshrrev_b32 v8, s11, v12
	v_mad_u32 v7, v9, s41, v7
	s_delay_alu instid0(VALU_DEP_4) | instskip(NEXT) | instid1(VALU_DEP_3)
	v_mad_u32 v6, v9, s40, v6
	v_mul_lo_u32 v10, v8, s9
	s_delay_alu instid0(VALU_DEP_1) | instskip(NEXT) | instid1(VALU_DEP_1)
	v_sub_nc_u32_e32 v9, v11, v10
	v_mad_u32 v7, v9, s43, v7
	s_delay_alu instid0(VALU_DEP_4)
	v_mad_u32 v6, v9, s42, v6
	s_cbranch_scc1 .LBB370_48
; %bb.49:
	s_and_b32 s4, s1, 3
	s_mov_b32 s1, 0
	s_cmp_eq_u32 s4, 0
	s_cbranch_scc0 .LBB370_53
	s_branch .LBB370_55
.LBB370_50:
	s_mov_b32 s6, -1
                                        ; implicit-def: $vgpr7
	s_branch .LBB370_55
.LBB370_51:
	v_dual_mov_b32 v7, 0 :: v_dual_mov_b32 v6, 0
	s_branch .LBB370_55
.LBB370_52:
	v_mov_b64_e32 v[6:7], 0
	v_mov_b32_e32 v8, v1
	s_mov_b32 s0, 0
	s_and_b32 s4, s1, 3
	s_mov_b32 s1, 0
	s_cmp_eq_u32 s4, 0
	s_cbranch_scc1 .LBB370_55
.LBB370_53:
	s_lshl_b32 s2, s0, 3
	s_mov_b32 s3, s1
	s_mul_u64 s[8:9], s[0:1], 12
	s_add_nc_u64 s[2:3], s[12:13], s[2:3]
	s_delay_alu instid0(SALU_CYCLE_1)
	s_add_nc_u64 s[0:1], s[2:3], 0xc4
	s_add_nc_u64 s[2:3], s[12:13], s[8:9]
.LBB370_54:                             ; =>This Inner Loop Header: Depth=1
	s_load_b96 s[8:10], s[2:3], 0x4
	s_add_co_i32 s4, s4, -1
	s_wait_xcnt 0x0
	s_add_nc_u64 s[2:3], s[2:3], 12
	s_cmp_lg_u32 s4, 0
	s_wait_kmcnt 0x0
	v_mul_hi_u32 v9, s9, v8
	s_delay_alu instid0(VALU_DEP_1) | instskip(NEXT) | instid1(VALU_DEP_1)
	v_add_nc_u32_e32 v9, v8, v9
	v_lshrrev_b32_e32 v9, s10, v9
	s_load_b64 s[10:11], s[0:1], 0x0
	s_wait_xcnt 0x0
	s_add_nc_u64 s[0:1], s[0:1], 8
	s_delay_alu instid0(VALU_DEP_1) | instskip(NEXT) | instid1(VALU_DEP_1)
	v_mul_lo_u32 v10, v9, s8
	v_sub_nc_u32_e32 v8, v8, v10
	s_wait_kmcnt 0x0
	s_delay_alu instid0(VALU_DEP_1)
	v_mad_u32 v7, v8, s11, v7
	v_mad_u32 v6, v8, s10, v6
	v_mov_b32_e32 v8, v9
	s_cbranch_scc1 .LBB370_54
.LBB370_55:
	s_and_not1_b32 vcc_lo, exec_lo, s6
	s_cbranch_vccnz .LBB370_58
; %bb.56:
	s_clause 0x1
	s_load_b96 s[0:2], s[12:13], 0x4
	s_load_b64 s[4:5], s[12:13], 0xc4
	s_cmp_lt_u32 s30, 2
	s_wait_kmcnt 0x0
	v_mul_hi_u32 v6, s1, v1
	s_delay_alu instid0(VALU_DEP_1) | instskip(NEXT) | instid1(VALU_DEP_1)
	v_add_nc_u32_e32 v6, v1, v6
	v_lshrrev_b32_e32 v8, s2, v6
	s_delay_alu instid0(VALU_DEP_1) | instskip(NEXT) | instid1(VALU_DEP_1)
	v_mul_lo_u32 v6, v8, s0
	v_sub_nc_u32_e32 v1, v1, v6
	s_delay_alu instid0(VALU_DEP_1)
	v_mul_lo_u32 v7, v1, s5
	v_mul_lo_u32 v6, v1, s4
	s_cbranch_scc1 .LBB370_58
; %bb.57:
	s_clause 0x1
	s_load_b96 s[0:2], s[12:13], 0x10
	s_load_b64 s[4:5], s[12:13], 0xcc
	s_wait_kmcnt 0x0
	v_mul_hi_u32 v1, s1, v8
	s_delay_alu instid0(VALU_DEP_1) | instskip(NEXT) | instid1(VALU_DEP_1)
	v_add_nc_u32_e32 v1, v8, v1
	v_lshrrev_b32_e32 v1, s2, v1
	s_delay_alu instid0(VALU_DEP_1) | instskip(NEXT) | instid1(VALU_DEP_1)
	v_mul_lo_u32 v1, v1, s0
	v_sub_nc_u32_e32 v1, v8, v1
	s_delay_alu instid0(VALU_DEP_1)
	v_mad_u32 v6, v1, s4, v6
	v_mad_u32 v7, v1, s5, v7
.LBB370_58:
	v_cmp_ne_u32_e32 vcc_lo, 1, v14
	v_add_nc_u32_e32 v1, 0x180, v0
	s_cbranch_vccnz .LBB370_64
; %bb.59:
	s_cmp_lg_u32 s30, 0
	s_mov_b32 s6, 0
	s_cbranch_scc0 .LBB370_65
; %bb.60:
	s_min_u32 s1, s31, 15
	s_delay_alu instid0(SALU_CYCLE_1)
	s_add_co_i32 s1, s1, 1
	s_cmp_eq_u32 s31, 2
	s_cbranch_scc1 .LBB370_66
; %bb.61:
	v_dual_mov_b32 v8, 0 :: v_dual_mov_b32 v9, 0
	v_mov_b32_e32 v10, v1
	s_and_b32 s0, s1, 28
	s_add_nc_u64 s[2:3], s[12:13], 0xc4
	s_mov_b32 s7, 0
	s_mov_b64 s[4:5], s[12:13]
.LBB370_62:                             ; =>This Inner Loop Header: Depth=1
	s_clause 0x1
	s_load_b256 s[16:23], s[4:5], 0x4
	s_load_b128 s[8:11], s[4:5], 0x24
	s_load_b256 s[36:43], s[2:3], 0x0
	s_add_co_i32 s7, s7, 4
	s_wait_xcnt 0x0
	s_add_nc_u64 s[4:5], s[4:5], 48
	s_cmp_lg_u32 s0, s7
	s_add_nc_u64 s[2:3], s[2:3], 32
	s_wait_kmcnt 0x0
	v_mul_hi_u32 v11, s17, v10
	s_delay_alu instid0(VALU_DEP_1) | instskip(NEXT) | instid1(VALU_DEP_1)
	v_add_nc_u32_e32 v11, v10, v11
	v_lshrrev_b32_e32 v11, s18, v11
	s_delay_alu instid0(VALU_DEP_1) | instskip(NEXT) | instid1(VALU_DEP_1)
	v_mul_hi_u32 v12, s20, v11
	v_add_nc_u32_e32 v12, v11, v12
	s_delay_alu instid0(VALU_DEP_1) | instskip(NEXT) | instid1(VALU_DEP_1)
	v_lshrrev_b32_e32 v12, s21, v12
	v_mul_hi_u32 v13, s23, v12
	s_delay_alu instid0(VALU_DEP_1) | instskip(SKIP_1) | instid1(VALU_DEP_1)
	v_add_nc_u32_e32 v13, v12, v13
	v_mul_lo_u32 v15, v11, s16
	v_sub_nc_u32_e32 v10, v10, v15
	v_mul_lo_u32 v15, v12, s19
	s_delay_alu instid0(VALU_DEP_4) | instskip(NEXT) | instid1(VALU_DEP_3)
	v_lshrrev_b32_e32 v13, s8, v13
	v_mad_u32 v9, v10, s37, v9
	v_mad_u32 v8, v10, s36, v8
	s_delay_alu instid0(VALU_DEP_4) | instskip(NEXT) | instid1(VALU_DEP_4)
	v_sub_nc_u32_e32 v10, v11, v15
	v_mul_hi_u32 v17, s10, v13
	v_mul_lo_u32 v11, v13, s22
	s_delay_alu instid0(VALU_DEP_3) | instskip(SKIP_1) | instid1(VALU_DEP_3)
	v_mad_u32 v9, v10, s39, v9
	v_mad_u32 v8, v10, s38, v8
	v_dual_add_nc_u32 v15, v13, v17 :: v_dual_sub_nc_u32 v11, v12, v11
	s_delay_alu instid0(VALU_DEP_1) | instskip(NEXT) | instid1(VALU_DEP_2)
	v_lshrrev_b32_e32 v10, s11, v15
	v_mad_u32 v9, v11, s41, v9
	s_delay_alu instid0(VALU_DEP_4) | instskip(NEXT) | instid1(VALU_DEP_3)
	v_mad_u32 v8, v11, s40, v8
	v_mul_lo_u32 v12, v10, s9
	s_delay_alu instid0(VALU_DEP_1) | instskip(NEXT) | instid1(VALU_DEP_1)
	v_sub_nc_u32_e32 v11, v13, v12
	v_mad_u32 v9, v11, s43, v9
	s_delay_alu instid0(VALU_DEP_4)
	v_mad_u32 v8, v11, s42, v8
	s_cbranch_scc1 .LBB370_62
; %bb.63:
	s_and_b32 s4, s1, 3
	s_mov_b32 s1, 0
	s_cmp_eq_u32 s4, 0
	s_cbranch_scc0 .LBB370_67
	s_branch .LBB370_69
.LBB370_64:
	s_mov_b32 s6, -1
                                        ; implicit-def: $vgpr9
	s_branch .LBB370_69
.LBB370_65:
	v_dual_mov_b32 v9, 0 :: v_dual_mov_b32 v8, 0
	s_branch .LBB370_69
.LBB370_66:
	v_mov_b64_e32 v[8:9], 0
	v_mov_b32_e32 v10, v1
	s_mov_b32 s0, 0
	s_and_b32 s4, s1, 3
	s_mov_b32 s1, 0
	s_cmp_eq_u32 s4, 0
	s_cbranch_scc1 .LBB370_69
.LBB370_67:
	s_lshl_b32 s2, s0, 3
	s_mov_b32 s3, s1
	s_mul_u64 s[8:9], s[0:1], 12
	s_add_nc_u64 s[2:3], s[12:13], s[2:3]
	s_delay_alu instid0(SALU_CYCLE_1)
	s_add_nc_u64 s[0:1], s[2:3], 0xc4
	s_add_nc_u64 s[2:3], s[12:13], s[8:9]
.LBB370_68:                             ; =>This Inner Loop Header: Depth=1
	s_load_b96 s[8:10], s[2:3], 0x4
	s_add_co_i32 s4, s4, -1
	s_wait_xcnt 0x0
	s_add_nc_u64 s[2:3], s[2:3], 12
	s_cmp_lg_u32 s4, 0
	s_wait_kmcnt 0x0
	v_mul_hi_u32 v11, s9, v10
	s_delay_alu instid0(VALU_DEP_1) | instskip(NEXT) | instid1(VALU_DEP_1)
	v_add_nc_u32_e32 v11, v10, v11
	v_lshrrev_b32_e32 v11, s10, v11
	s_load_b64 s[10:11], s[0:1], 0x0
	s_wait_xcnt 0x0
	s_add_nc_u64 s[0:1], s[0:1], 8
	s_delay_alu instid0(VALU_DEP_1) | instskip(NEXT) | instid1(VALU_DEP_1)
	v_mul_lo_u32 v12, v11, s8
	v_sub_nc_u32_e32 v10, v10, v12
	s_wait_kmcnt 0x0
	s_delay_alu instid0(VALU_DEP_1)
	v_mad_u32 v9, v10, s11, v9
	v_mad_u32 v8, v10, s10, v8
	v_mov_b32_e32 v10, v11
	s_cbranch_scc1 .LBB370_68
.LBB370_69:
	s_and_not1_b32 vcc_lo, exec_lo, s6
	s_cbranch_vccnz .LBB370_72
; %bb.70:
	s_clause 0x1
	s_load_b96 s[0:2], s[12:13], 0x4
	s_load_b64 s[4:5], s[12:13], 0xc4
	s_cmp_lt_u32 s30, 2
	s_wait_kmcnt 0x0
	v_mul_hi_u32 v8, s1, v1
	s_delay_alu instid0(VALU_DEP_1) | instskip(NEXT) | instid1(VALU_DEP_1)
	v_add_nc_u32_e32 v8, v1, v8
	v_lshrrev_b32_e32 v10, s2, v8
	s_delay_alu instid0(VALU_DEP_1) | instskip(NEXT) | instid1(VALU_DEP_1)
	v_mul_lo_u32 v8, v10, s0
	v_sub_nc_u32_e32 v1, v1, v8
	s_delay_alu instid0(VALU_DEP_1)
	v_mul_lo_u32 v9, v1, s5
	v_mul_lo_u32 v8, v1, s4
	s_cbranch_scc1 .LBB370_72
; %bb.71:
	s_clause 0x1
	s_load_b96 s[0:2], s[12:13], 0x10
	s_load_b64 s[4:5], s[12:13], 0xcc
	s_wait_kmcnt 0x0
	v_mul_hi_u32 v1, s1, v10
	s_delay_alu instid0(VALU_DEP_1) | instskip(NEXT) | instid1(VALU_DEP_1)
	v_add_nc_u32_e32 v1, v10, v1
	v_lshrrev_b32_e32 v1, s2, v1
	s_delay_alu instid0(VALU_DEP_1) | instskip(NEXT) | instid1(VALU_DEP_1)
	v_mul_lo_u32 v1, v1, s0
	v_sub_nc_u32_e32 v1, v10, v1
	s_delay_alu instid0(VALU_DEP_1)
	v_mad_u32 v8, v1, s4, v8
	v_mad_u32 v9, v1, s5, v9
.LBB370_72:
	v_cmp_ne_u32_e32 vcc_lo, 1, v14
	v_add_nc_u32_e32 v1, 0x200, v0
	s_cbranch_vccnz .LBB370_78
; %bb.73:
	s_cmp_lg_u32 s30, 0
	s_mov_b32 s6, 0
	s_cbranch_scc0 .LBB370_79
; %bb.74:
	s_min_u32 s1, s31, 15
	s_delay_alu instid0(SALU_CYCLE_1)
	s_add_co_i32 s1, s1, 1
	s_cmp_eq_u32 s31, 2
	s_cbranch_scc1 .LBB370_80
; %bb.75:
	v_dual_mov_b32 v10, 0 :: v_dual_mov_b32 v11, 0
	v_mov_b32_e32 v12, v1
	s_and_b32 s0, s1, 28
	s_add_nc_u64 s[2:3], s[12:13], 0xc4
	s_mov_b32 s7, 0
	s_mov_b64 s[4:5], s[12:13]
.LBB370_76:                             ; =>This Inner Loop Header: Depth=1
	s_clause 0x1
	s_load_b256 s[16:23], s[4:5], 0x4
	s_load_b128 s[8:11], s[4:5], 0x24
	s_load_b256 s[36:43], s[2:3], 0x0
	s_add_co_i32 s7, s7, 4
	s_wait_xcnt 0x0
	s_add_nc_u64 s[4:5], s[4:5], 48
	s_cmp_lg_u32 s0, s7
	s_add_nc_u64 s[2:3], s[2:3], 32
	s_wait_kmcnt 0x0
	v_mul_hi_u32 v13, s17, v12
	s_delay_alu instid0(VALU_DEP_1) | instskip(NEXT) | instid1(VALU_DEP_1)
	v_add_nc_u32_e32 v13, v12, v13
	v_lshrrev_b32_e32 v13, s18, v13
	s_delay_alu instid0(VALU_DEP_1) | instskip(NEXT) | instid1(VALU_DEP_1)
	v_mul_lo_u32 v18, v13, s16
	v_sub_nc_u32_e32 v12, v12, v18
	v_mul_hi_u32 v15, s20, v13
	s_delay_alu instid0(VALU_DEP_2) | instskip(SKIP_1) | instid1(VALU_DEP_3)
	v_mad_u32 v11, v12, s37, v11
	v_mad_u32 v10, v12, s36, v10
	v_add_nc_u32_e32 v15, v13, v15
	s_delay_alu instid0(VALU_DEP_1) | instskip(NEXT) | instid1(VALU_DEP_1)
	v_lshrrev_b32_e32 v15, s21, v15
	v_mul_hi_u32 v17, s23, v15
	v_mul_lo_u32 v18, v15, s19
	s_delay_alu instid0(VALU_DEP_1) | instskip(NEXT) | instid1(VALU_DEP_1)
	v_dual_add_nc_u32 v17, v15, v17 :: v_dual_sub_nc_u32 v12, v13, v18
	v_lshrrev_b32_e32 v17, s8, v17
	s_delay_alu instid0(VALU_DEP_2) | instskip(SKIP_1) | instid1(VALU_DEP_3)
	v_mad_u32 v11, v12, s39, v11
	v_mad_u32 v10, v12, s38, v10
	v_mul_hi_u32 v19, s10, v17
	v_mul_lo_u32 v13, v17, s22
	s_delay_alu instid0(VALU_DEP_1) | instskip(NEXT) | instid1(VALU_DEP_1)
	v_dual_add_nc_u32 v18, v17, v19 :: v_dual_sub_nc_u32 v13, v15, v13
	v_lshrrev_b32_e32 v12, s11, v18
	s_delay_alu instid0(VALU_DEP_2) | instskip(SKIP_1) | instid1(VALU_DEP_3)
	v_mad_u32 v11, v13, s41, v11
	v_mad_u32 v10, v13, s40, v10
	v_mul_lo_u32 v15, v12, s9
	s_delay_alu instid0(VALU_DEP_1) | instskip(NEXT) | instid1(VALU_DEP_1)
	v_sub_nc_u32_e32 v13, v17, v15
	v_mad_u32 v11, v13, s43, v11
	s_delay_alu instid0(VALU_DEP_4)
	v_mad_u32 v10, v13, s42, v10
	s_cbranch_scc1 .LBB370_76
; %bb.77:
	s_and_b32 s4, s1, 3
	s_mov_b32 s1, 0
	s_cmp_eq_u32 s4, 0
	s_cbranch_scc0 .LBB370_81
	s_branch .LBB370_83
.LBB370_78:
	s_mov_b32 s6, -1
                                        ; implicit-def: $vgpr11
	s_branch .LBB370_83
.LBB370_79:
	v_dual_mov_b32 v11, 0 :: v_dual_mov_b32 v10, 0
	s_branch .LBB370_83
.LBB370_80:
	v_mov_b64_e32 v[10:11], 0
	v_mov_b32_e32 v12, v1
	s_mov_b32 s0, 0
	s_and_b32 s4, s1, 3
	s_mov_b32 s1, 0
	s_cmp_eq_u32 s4, 0
	s_cbranch_scc1 .LBB370_83
.LBB370_81:
	s_lshl_b32 s2, s0, 3
	s_mov_b32 s3, s1
	s_mul_u64 s[8:9], s[0:1], 12
	s_add_nc_u64 s[2:3], s[12:13], s[2:3]
	s_delay_alu instid0(SALU_CYCLE_1)
	s_add_nc_u64 s[0:1], s[2:3], 0xc4
	s_add_nc_u64 s[2:3], s[12:13], s[8:9]
.LBB370_82:                             ; =>This Inner Loop Header: Depth=1
	s_load_b96 s[8:10], s[2:3], 0x4
	s_add_co_i32 s4, s4, -1
	s_wait_xcnt 0x0
	s_add_nc_u64 s[2:3], s[2:3], 12
	s_cmp_lg_u32 s4, 0
	s_wait_kmcnt 0x0
	v_mul_hi_u32 v13, s9, v12
	s_delay_alu instid0(VALU_DEP_1) | instskip(NEXT) | instid1(VALU_DEP_1)
	v_add_nc_u32_e32 v13, v12, v13
	v_lshrrev_b32_e32 v13, s10, v13
	s_load_b64 s[10:11], s[0:1], 0x0
	s_wait_xcnt 0x0
	s_add_nc_u64 s[0:1], s[0:1], 8
	s_delay_alu instid0(VALU_DEP_1) | instskip(NEXT) | instid1(VALU_DEP_1)
	v_mul_lo_u32 v15, v13, s8
	v_sub_nc_u32_e32 v12, v12, v15
	s_wait_kmcnt 0x0
	s_delay_alu instid0(VALU_DEP_1)
	v_mad_u32 v11, v12, s11, v11
	v_mad_u32 v10, v12, s10, v10
	v_mov_b32_e32 v12, v13
	s_cbranch_scc1 .LBB370_82
.LBB370_83:
	s_and_not1_b32 vcc_lo, exec_lo, s6
	s_cbranch_vccnz .LBB370_86
; %bb.84:
	s_clause 0x1
	s_load_b96 s[0:2], s[12:13], 0x4
	s_load_b64 s[4:5], s[12:13], 0xc4
	s_cmp_lt_u32 s30, 2
	s_wait_kmcnt 0x0
	v_mul_hi_u32 v10, s1, v1
	s_delay_alu instid0(VALU_DEP_1) | instskip(NEXT) | instid1(VALU_DEP_1)
	v_add_nc_u32_e32 v10, v1, v10
	v_lshrrev_b32_e32 v12, s2, v10
	s_delay_alu instid0(VALU_DEP_1) | instskip(NEXT) | instid1(VALU_DEP_1)
	v_mul_lo_u32 v10, v12, s0
	v_sub_nc_u32_e32 v1, v1, v10
	s_delay_alu instid0(VALU_DEP_1)
	v_mul_lo_u32 v11, v1, s5
	v_mul_lo_u32 v10, v1, s4
	s_cbranch_scc1 .LBB370_86
; %bb.85:
	s_clause 0x1
	s_load_b96 s[0:2], s[12:13], 0x10
	s_load_b64 s[4:5], s[12:13], 0xcc
	s_wait_kmcnt 0x0
	v_mul_hi_u32 v1, s1, v12
	s_delay_alu instid0(VALU_DEP_1) | instskip(NEXT) | instid1(VALU_DEP_1)
	v_add_nc_u32_e32 v1, v12, v1
	v_lshrrev_b32_e32 v1, s2, v1
	s_delay_alu instid0(VALU_DEP_1) | instskip(NEXT) | instid1(VALU_DEP_1)
	v_mul_lo_u32 v1, v1, s0
	v_sub_nc_u32_e32 v1, v12, v1
	s_delay_alu instid0(VALU_DEP_1)
	v_mad_u32 v10, v1, s4, v10
	v_mad_u32 v11, v1, s5, v11
.LBB370_86:
	v_cmp_ne_u32_e32 vcc_lo, 1, v14
	v_add_nc_u32_e32 v1, 0x280, v0
	s_cbranch_vccnz .LBB370_92
; %bb.87:
	s_cmp_lg_u32 s30, 0
	s_mov_b32 s6, 0
	s_cbranch_scc0 .LBB370_93
; %bb.88:
	s_min_u32 s1, s31, 15
	s_delay_alu instid0(SALU_CYCLE_1)
	s_add_co_i32 s1, s1, 1
	s_cmp_eq_u32 s31, 2
	s_cbranch_scc1 .LBB370_94
; %bb.89:
	v_dual_mov_b32 v12, 0 :: v_dual_mov_b32 v13, 0
	v_mov_b32_e32 v15, v1
	s_and_b32 s0, s1, 28
	s_add_nc_u64 s[2:3], s[12:13], 0xc4
	s_mov_b32 s7, 0
	s_mov_b64 s[4:5], s[12:13]
.LBB370_90:                             ; =>This Inner Loop Header: Depth=1
	s_clause 0x1
	s_load_b256 s[16:23], s[4:5], 0x4
	s_load_b128 s[8:11], s[4:5], 0x24
	s_load_b256 s[36:43], s[2:3], 0x0
	s_add_co_i32 s7, s7, 4
	s_wait_xcnt 0x0
	s_add_nc_u64 s[4:5], s[4:5], 48
	s_cmp_lg_u32 s0, s7
	s_add_nc_u64 s[2:3], s[2:3], 32
	s_wait_kmcnt 0x0
	v_mul_hi_u32 v17, s17, v15
	s_delay_alu instid0(VALU_DEP_1) | instskip(NEXT) | instid1(VALU_DEP_1)
	v_add_nc_u32_e32 v17, v15, v17
	v_lshrrev_b32_e32 v17, s18, v17
	s_delay_alu instid0(VALU_DEP_1) | instskip(NEXT) | instid1(VALU_DEP_1)
	v_mul_hi_u32 v18, s20, v17
	v_add_nc_u32_e32 v18, v17, v18
	s_delay_alu instid0(VALU_DEP_1) | instskip(NEXT) | instid1(VALU_DEP_1)
	v_lshrrev_b32_e32 v18, s21, v18
	v_mul_hi_u32 v19, s23, v18
	s_delay_alu instid0(VALU_DEP_1) | instskip(SKIP_1) | instid1(VALU_DEP_1)
	v_add_nc_u32_e32 v19, v18, v19
	v_mul_lo_u32 v20, v17, s16
	v_sub_nc_u32_e32 v15, v15, v20
	v_mul_lo_u32 v20, v18, s19
	s_delay_alu instid0(VALU_DEP_4) | instskip(NEXT) | instid1(VALU_DEP_3)
	v_lshrrev_b32_e32 v19, s8, v19
	v_mad_u32 v13, v15, s37, v13
	v_mad_u32 v12, v15, s36, v12
	s_delay_alu instid0(VALU_DEP_4) | instskip(NEXT) | instid1(VALU_DEP_4)
	v_sub_nc_u32_e32 v15, v17, v20
	v_mul_hi_u32 v21, s10, v19
	v_mul_lo_u32 v17, v19, s22
	s_delay_alu instid0(VALU_DEP_3) | instskip(SKIP_1) | instid1(VALU_DEP_4)
	v_mad_u32 v13, v15, s39, v13
	v_mad_u32 v12, v15, s38, v12
	v_add_nc_u32_e32 v20, v19, v21
	s_delay_alu instid0(VALU_DEP_1) | instskip(NEXT) | instid1(VALU_DEP_1)
	v_dual_sub_nc_u32 v17, v18, v17 :: v_dual_lshrrev_b32 v15, s11, v20
	v_mad_u32 v13, v17, s41, v13
	s_delay_alu instid0(VALU_DEP_4) | instskip(NEXT) | instid1(VALU_DEP_3)
	v_mad_u32 v12, v17, s40, v12
	v_mul_lo_u32 v18, v15, s9
	s_delay_alu instid0(VALU_DEP_1) | instskip(NEXT) | instid1(VALU_DEP_1)
	v_sub_nc_u32_e32 v17, v19, v18
	v_mad_u32 v13, v17, s43, v13
	s_delay_alu instid0(VALU_DEP_4)
	v_mad_u32 v12, v17, s42, v12
	s_cbranch_scc1 .LBB370_90
; %bb.91:
	s_and_b32 s4, s1, 3
	s_mov_b32 s1, 0
	s_cmp_eq_u32 s4, 0
	s_cbranch_scc0 .LBB370_95
	s_branch .LBB370_97
.LBB370_92:
	s_mov_b32 s6, -1
                                        ; implicit-def: $vgpr13
	s_branch .LBB370_97
.LBB370_93:
	v_dual_mov_b32 v13, 0 :: v_dual_mov_b32 v12, 0
	s_branch .LBB370_97
.LBB370_94:
	v_mov_b64_e32 v[12:13], 0
	v_mov_b32_e32 v15, v1
	s_mov_b32 s0, 0
	s_and_b32 s4, s1, 3
	s_mov_b32 s1, 0
	s_cmp_eq_u32 s4, 0
	s_cbranch_scc1 .LBB370_97
.LBB370_95:
	s_lshl_b32 s2, s0, 3
	s_mov_b32 s3, s1
	s_mul_u64 s[8:9], s[0:1], 12
	s_add_nc_u64 s[2:3], s[12:13], s[2:3]
	s_delay_alu instid0(SALU_CYCLE_1)
	s_add_nc_u64 s[0:1], s[2:3], 0xc4
	s_add_nc_u64 s[2:3], s[12:13], s[8:9]
.LBB370_96:                             ; =>This Inner Loop Header: Depth=1
	s_load_b96 s[8:10], s[2:3], 0x4
	s_add_co_i32 s4, s4, -1
	s_wait_xcnt 0x0
	s_add_nc_u64 s[2:3], s[2:3], 12
	s_cmp_lg_u32 s4, 0
	s_wait_kmcnt 0x0
	v_mul_hi_u32 v17, s9, v15
	s_delay_alu instid0(VALU_DEP_1) | instskip(NEXT) | instid1(VALU_DEP_1)
	v_add_nc_u32_e32 v17, v15, v17
	v_lshrrev_b32_e32 v17, s10, v17
	s_load_b64 s[10:11], s[0:1], 0x0
	s_wait_xcnt 0x0
	s_add_nc_u64 s[0:1], s[0:1], 8
	s_delay_alu instid0(VALU_DEP_1) | instskip(NEXT) | instid1(VALU_DEP_1)
	v_mul_lo_u32 v18, v17, s8
	v_sub_nc_u32_e32 v15, v15, v18
	s_wait_kmcnt 0x0
	s_delay_alu instid0(VALU_DEP_1)
	v_mad_u32 v13, v15, s11, v13
	v_mad_u32 v12, v15, s10, v12
	v_mov_b32_e32 v15, v17
	s_cbranch_scc1 .LBB370_96
.LBB370_97:
	s_and_not1_b32 vcc_lo, exec_lo, s6
	s_cbranch_vccnz .LBB370_100
; %bb.98:
	s_clause 0x1
	s_load_b96 s[0:2], s[12:13], 0x4
	s_load_b64 s[4:5], s[12:13], 0xc4
	s_cmp_lt_u32 s30, 2
	s_wait_kmcnt 0x0
	v_mul_hi_u32 v12, s1, v1
	s_delay_alu instid0(VALU_DEP_1) | instskip(NEXT) | instid1(VALU_DEP_1)
	v_add_nc_u32_e32 v12, v1, v12
	v_lshrrev_b32_e32 v15, s2, v12
	s_delay_alu instid0(VALU_DEP_1) | instskip(NEXT) | instid1(VALU_DEP_1)
	v_mul_lo_u32 v12, v15, s0
	v_sub_nc_u32_e32 v1, v1, v12
	s_delay_alu instid0(VALU_DEP_1)
	v_mul_lo_u32 v13, v1, s5
	v_mul_lo_u32 v12, v1, s4
	s_cbranch_scc1 .LBB370_100
; %bb.99:
	s_clause 0x1
	s_load_b96 s[0:2], s[12:13], 0x10
	s_load_b64 s[4:5], s[12:13], 0xcc
	s_wait_kmcnt 0x0
	v_mul_hi_u32 v1, s1, v15
	s_delay_alu instid0(VALU_DEP_1) | instskip(NEXT) | instid1(VALU_DEP_1)
	v_add_nc_u32_e32 v1, v15, v1
	v_lshrrev_b32_e32 v1, s2, v1
	s_delay_alu instid0(VALU_DEP_1) | instskip(NEXT) | instid1(VALU_DEP_1)
	v_mul_lo_u32 v1, v1, s0
	v_sub_nc_u32_e32 v1, v15, v1
	s_delay_alu instid0(VALU_DEP_1)
	v_mad_u32 v12, v1, s4, v12
	v_mad_u32 v13, v1, s5, v13
.LBB370_100:
	v_cmp_ne_u32_e32 vcc_lo, 1, v14
	v_add_nc_u32_e32 v15, 0x300, v0
	s_cbranch_vccnz .LBB370_106
; %bb.101:
	s_cmp_lg_u32 s30, 0
	s_mov_b32 s6, 0
	s_cbranch_scc0 .LBB370_107
; %bb.102:
	s_min_u32 s1, s31, 15
	s_delay_alu instid0(SALU_CYCLE_1)
	s_add_co_i32 s1, s1, 1
	s_cmp_eq_u32 s31, 2
	s_cbranch_scc1 .LBB370_108
; %bb.103:
	v_dual_mov_b32 v0, 0 :: v_dual_mov_b32 v1, 0
	v_mov_b32_e32 v17, v15
	s_and_b32 s0, s1, 28
	s_add_nc_u64 s[2:3], s[12:13], 0xc4
	s_mov_b32 s7, 0
	s_mov_b64 s[4:5], s[12:13]
.LBB370_104:                            ; =>This Inner Loop Header: Depth=1
	s_clause 0x1
	s_load_b256 s[16:23], s[4:5], 0x4
	s_load_b128 s[8:11], s[4:5], 0x24
	s_load_b256 s[36:43], s[2:3], 0x0
	s_add_co_i32 s7, s7, 4
	s_wait_xcnt 0x0
	s_add_nc_u64 s[4:5], s[4:5], 48
	s_cmp_lg_u32 s0, s7
	s_add_nc_u64 s[2:3], s[2:3], 32
	s_wait_kmcnt 0x0
	v_mul_hi_u32 v18, s17, v17
	s_delay_alu instid0(VALU_DEP_1) | instskip(NEXT) | instid1(VALU_DEP_1)
	v_add_nc_u32_e32 v18, v17, v18
	v_lshrrev_b32_e32 v18, s18, v18
	s_delay_alu instid0(VALU_DEP_1) | instskip(NEXT) | instid1(VALU_DEP_1)
	v_mul_hi_u32 v19, s20, v18
	v_add_nc_u32_e32 v19, v18, v19
	s_delay_alu instid0(VALU_DEP_1) | instskip(NEXT) | instid1(VALU_DEP_1)
	v_lshrrev_b32_e32 v19, s21, v19
	v_mul_hi_u32 v20, s23, v19
	s_delay_alu instid0(VALU_DEP_1) | instskip(SKIP_1) | instid1(VALU_DEP_1)
	v_add_nc_u32_e32 v20, v19, v20
	v_mul_lo_u32 v21, v18, s16
	v_sub_nc_u32_e32 v17, v17, v21
	v_mul_lo_u32 v21, v19, s19
	s_delay_alu instid0(VALU_DEP_4) | instskip(NEXT) | instid1(VALU_DEP_3)
	v_lshrrev_b32_e32 v20, s8, v20
	v_mad_u32 v1, v17, s37, v1
	v_mad_u32 v0, v17, s36, v0
	s_delay_alu instid0(VALU_DEP_4) | instskip(NEXT) | instid1(VALU_DEP_4)
	v_sub_nc_u32_e32 v17, v18, v21
	v_mul_hi_u32 v22, s10, v20
	v_mul_lo_u32 v18, v20, s22
	s_delay_alu instid0(VALU_DEP_3) | instskip(SKIP_1) | instid1(VALU_DEP_4)
	v_mad_u32 v1, v17, s39, v1
	v_mad_u32 v0, v17, s38, v0
	v_add_nc_u32_e32 v21, v20, v22
	s_delay_alu instid0(VALU_DEP_1) | instskip(NEXT) | instid1(VALU_DEP_1)
	v_dual_sub_nc_u32 v18, v19, v18 :: v_dual_lshrrev_b32 v17, s11, v21
	v_mad_u32 v1, v18, s41, v1
	s_delay_alu instid0(VALU_DEP_4) | instskip(NEXT) | instid1(VALU_DEP_3)
	v_mad_u32 v0, v18, s40, v0
	v_mul_lo_u32 v19, v17, s9
	s_delay_alu instid0(VALU_DEP_1) | instskip(NEXT) | instid1(VALU_DEP_1)
	v_sub_nc_u32_e32 v18, v20, v19
	v_mad_u32 v1, v18, s43, v1
	s_delay_alu instid0(VALU_DEP_4)
	v_mad_u32 v0, v18, s42, v0
	s_cbranch_scc1 .LBB370_104
; %bb.105:
	s_and_b32 s4, s1, 3
	s_mov_b32 s1, 0
	s_cmp_eq_u32 s4, 0
	s_cbranch_scc0 .LBB370_109
	s_branch .LBB370_111
.LBB370_106:
	s_mov_b32 s6, -1
                                        ; implicit-def: $vgpr1
	s_branch .LBB370_111
.LBB370_107:
	v_dual_mov_b32 v1, 0 :: v_dual_mov_b32 v0, 0
	s_branch .LBB370_111
.LBB370_108:
	v_mov_b64_e32 v[0:1], 0
	v_mov_b32_e32 v17, v15
	s_mov_b32 s0, 0
	s_and_b32 s4, s1, 3
	s_mov_b32 s1, 0
	s_cmp_eq_u32 s4, 0
	s_cbranch_scc1 .LBB370_111
.LBB370_109:
	s_lshl_b32 s2, s0, 3
	s_mov_b32 s3, s1
	s_mul_u64 s[8:9], s[0:1], 12
	s_add_nc_u64 s[2:3], s[12:13], s[2:3]
	s_delay_alu instid0(SALU_CYCLE_1)
	s_add_nc_u64 s[0:1], s[2:3], 0xc4
	s_add_nc_u64 s[2:3], s[12:13], s[8:9]
.LBB370_110:                            ; =>This Inner Loop Header: Depth=1
	s_load_b96 s[8:10], s[2:3], 0x4
	s_add_co_i32 s4, s4, -1
	s_wait_xcnt 0x0
	s_add_nc_u64 s[2:3], s[2:3], 12
	s_cmp_lg_u32 s4, 0
	s_wait_kmcnt 0x0
	v_mul_hi_u32 v18, s9, v17
	s_delay_alu instid0(VALU_DEP_1) | instskip(NEXT) | instid1(VALU_DEP_1)
	v_add_nc_u32_e32 v18, v17, v18
	v_lshrrev_b32_e32 v18, s10, v18
	s_load_b64 s[10:11], s[0:1], 0x0
	s_wait_xcnt 0x0
	s_add_nc_u64 s[0:1], s[0:1], 8
	s_delay_alu instid0(VALU_DEP_1) | instskip(NEXT) | instid1(VALU_DEP_1)
	v_mul_lo_u32 v19, v18, s8
	v_sub_nc_u32_e32 v17, v17, v19
	s_wait_kmcnt 0x0
	s_delay_alu instid0(VALU_DEP_1)
	v_mad_u32 v1, v17, s11, v1
	v_mad_u32 v0, v17, s10, v0
	v_mov_b32_e32 v17, v18
	s_cbranch_scc1 .LBB370_110
.LBB370_111:
	s_and_not1_b32 vcc_lo, exec_lo, s6
	s_cbranch_vccnz .LBB370_114
; %bb.112:
	s_clause 0x1
	s_load_b96 s[0:2], s[12:13], 0x4
	s_load_b64 s[4:5], s[12:13], 0xc4
	s_cmp_lt_u32 s30, 2
	s_wait_kmcnt 0x0
	v_mul_hi_u32 v0, s1, v15
	s_delay_alu instid0(VALU_DEP_1) | instskip(NEXT) | instid1(VALU_DEP_1)
	v_add_nc_u32_e32 v0, v15, v0
	v_lshrrev_b32_e32 v17, s2, v0
	s_delay_alu instid0(VALU_DEP_1) | instskip(NEXT) | instid1(VALU_DEP_1)
	v_mul_lo_u32 v0, v17, s0
	v_sub_nc_u32_e32 v0, v15, v0
	s_delay_alu instid0(VALU_DEP_1)
	v_mul_lo_u32 v1, v0, s5
	v_mul_lo_u32 v0, v0, s4
	s_cbranch_scc1 .LBB370_114
; %bb.113:
	s_clause 0x1
	s_load_b96 s[0:2], s[12:13], 0x10
	s_load_b64 s[4:5], s[12:13], 0xcc
	s_wait_kmcnt 0x0
	v_mul_hi_u32 v15, s1, v17
	s_delay_alu instid0(VALU_DEP_1) | instskip(NEXT) | instid1(VALU_DEP_1)
	v_add_nc_u32_e32 v15, v17, v15
	v_lshrrev_b32_e32 v15, s2, v15
	s_delay_alu instid0(VALU_DEP_1) | instskip(NEXT) | instid1(VALU_DEP_1)
	v_mul_lo_u32 v15, v15, s0
	v_sub_nc_u32_e32 v15, v17, v15
	s_delay_alu instid0(VALU_DEP_1)
	v_mad_u32 v0, v15, s4, v0
	v_mad_u32 v1, v15, s5, v1
.LBB370_114:
	v_cmp_ne_u32_e32 vcc_lo, 1, v14
	s_cbranch_vccnz .LBB370_120
; %bb.115:
	s_cmp_lg_u32 s30, 0
	s_mov_b32 s6, 0
	s_cbranch_scc0 .LBB370_121
; %bb.116:
	s_min_u32 s1, s31, 15
	s_delay_alu instid0(SALU_CYCLE_1)
	s_add_co_i32 s1, s1, 1
	s_cmp_eq_u32 s31, 2
	s_cbranch_scc1 .LBB370_122
; %bb.117:
	v_dual_mov_b32 v14, 0 :: v_dual_mov_b32 v15, 0
	v_mov_b32_e32 v17, v16
	s_and_b32 s0, s1, 28
	s_add_nc_u64 s[2:3], s[12:13], 0xc4
	s_mov_b32 s7, 0
	s_mov_b64 s[4:5], s[12:13]
.LBB370_118:                            ; =>This Inner Loop Header: Depth=1
	s_clause 0x1
	s_load_b256 s[16:23], s[4:5], 0x4
	s_load_b128 s[8:11], s[4:5], 0x24
	s_load_b256 s[36:43], s[2:3], 0x0
	s_add_co_i32 s7, s7, 4
	s_wait_xcnt 0x0
	s_add_nc_u64 s[4:5], s[4:5], 48
	s_cmp_lg_u32 s0, s7
	s_add_nc_u64 s[2:3], s[2:3], 32
	s_wait_kmcnt 0x0
	v_mul_hi_u32 v18, s17, v17
	s_delay_alu instid0(VALU_DEP_1) | instskip(NEXT) | instid1(VALU_DEP_1)
	v_add_nc_u32_e32 v18, v17, v18
	v_lshrrev_b32_e32 v18, s18, v18
	s_delay_alu instid0(VALU_DEP_1) | instskip(NEXT) | instid1(VALU_DEP_1)
	v_mul_hi_u32 v19, s20, v18
	v_add_nc_u32_e32 v19, v18, v19
	s_delay_alu instid0(VALU_DEP_1) | instskip(NEXT) | instid1(VALU_DEP_1)
	v_lshrrev_b32_e32 v19, s21, v19
	v_mul_hi_u32 v20, s23, v19
	s_delay_alu instid0(VALU_DEP_1) | instskip(SKIP_1) | instid1(VALU_DEP_1)
	v_add_nc_u32_e32 v20, v19, v20
	v_mul_lo_u32 v21, v18, s16
	v_sub_nc_u32_e32 v17, v17, v21
	v_mul_lo_u32 v21, v19, s19
	s_delay_alu instid0(VALU_DEP_4) | instskip(NEXT) | instid1(VALU_DEP_3)
	v_lshrrev_b32_e32 v20, s8, v20
	v_mad_u32 v15, v17, s37, v15
	v_mad_u32 v14, v17, s36, v14
	s_delay_alu instid0(VALU_DEP_4) | instskip(NEXT) | instid1(VALU_DEP_4)
	v_sub_nc_u32_e32 v17, v18, v21
	v_mul_hi_u32 v22, s10, v20
	v_mul_lo_u32 v18, v20, s22
	s_delay_alu instid0(VALU_DEP_3) | instskip(SKIP_1) | instid1(VALU_DEP_4)
	v_mad_u32 v15, v17, s39, v15
	v_mad_u32 v14, v17, s38, v14
	v_add_nc_u32_e32 v21, v20, v22
	s_delay_alu instid0(VALU_DEP_1) | instskip(NEXT) | instid1(VALU_DEP_1)
	v_dual_sub_nc_u32 v18, v19, v18 :: v_dual_lshrrev_b32 v17, s11, v21
	v_mad_u32 v15, v18, s41, v15
	s_delay_alu instid0(VALU_DEP_4) | instskip(NEXT) | instid1(VALU_DEP_3)
	v_mad_u32 v14, v18, s40, v14
	v_mul_lo_u32 v19, v17, s9
	s_delay_alu instid0(VALU_DEP_1) | instskip(NEXT) | instid1(VALU_DEP_1)
	v_sub_nc_u32_e32 v18, v20, v19
	v_mad_u32 v15, v18, s43, v15
	s_delay_alu instid0(VALU_DEP_4)
	v_mad_u32 v14, v18, s42, v14
	s_cbranch_scc1 .LBB370_118
; %bb.119:
	s_and_b32 s4, s1, 3
	s_mov_b32 s1, 0
	s_cmp_eq_u32 s4, 0
	s_cbranch_scc0 .LBB370_123
	s_branch .LBB370_125
.LBB370_120:
	s_mov_b32 s6, -1
                                        ; implicit-def: $vgpr15
	s_branch .LBB370_125
.LBB370_121:
	v_dual_mov_b32 v15, 0 :: v_dual_mov_b32 v14, 0
	s_branch .LBB370_125
.LBB370_122:
	v_mov_b64_e32 v[14:15], 0
	v_mov_b32_e32 v17, v16
	s_mov_b32 s0, 0
	s_and_b32 s4, s1, 3
	s_mov_b32 s1, 0
	s_cmp_eq_u32 s4, 0
	s_cbranch_scc1 .LBB370_125
.LBB370_123:
	s_lshl_b32 s2, s0, 3
	s_mov_b32 s3, s1
	s_mul_u64 s[8:9], s[0:1], 12
	s_add_nc_u64 s[2:3], s[12:13], s[2:3]
	s_delay_alu instid0(SALU_CYCLE_1)
	s_add_nc_u64 s[0:1], s[2:3], 0xc4
	s_add_nc_u64 s[2:3], s[12:13], s[8:9]
.LBB370_124:                            ; =>This Inner Loop Header: Depth=1
	s_load_b96 s[8:10], s[2:3], 0x4
	s_add_co_i32 s4, s4, -1
	s_wait_xcnt 0x0
	s_add_nc_u64 s[2:3], s[2:3], 12
	s_cmp_lg_u32 s4, 0
	s_wait_kmcnt 0x0
	v_mul_hi_u32 v18, s9, v17
	s_delay_alu instid0(VALU_DEP_1) | instskip(NEXT) | instid1(VALU_DEP_1)
	v_add_nc_u32_e32 v18, v17, v18
	v_lshrrev_b32_e32 v18, s10, v18
	s_load_b64 s[10:11], s[0:1], 0x0
	s_wait_xcnt 0x0
	s_add_nc_u64 s[0:1], s[0:1], 8
	s_delay_alu instid0(VALU_DEP_1) | instskip(NEXT) | instid1(VALU_DEP_1)
	v_mul_lo_u32 v19, v18, s8
	v_sub_nc_u32_e32 v17, v17, v19
	s_wait_kmcnt 0x0
	s_delay_alu instid0(VALU_DEP_1)
	v_mad_u32 v15, v17, s11, v15
	v_mad_u32 v14, v17, s10, v14
	v_mov_b32_e32 v17, v18
	s_cbranch_scc1 .LBB370_124
.LBB370_125:
	s_and_not1_b32 vcc_lo, exec_lo, s6
	s_cbranch_vccnz .LBB370_128
; %bb.126:
	s_clause 0x1
	s_load_b96 s[0:2], s[12:13], 0x4
	s_load_b64 s[4:5], s[12:13], 0xc4
	s_cmp_lt_u32 s30, 2
	s_wait_kmcnt 0x0
	v_mul_hi_u32 v14, s1, v16
	s_delay_alu instid0(VALU_DEP_1) | instskip(NEXT) | instid1(VALU_DEP_1)
	v_add_nc_u32_e32 v14, v16, v14
	v_lshrrev_b32_e32 v17, s2, v14
	s_delay_alu instid0(VALU_DEP_1) | instskip(NEXT) | instid1(VALU_DEP_1)
	v_mul_lo_u32 v14, v17, s0
	v_sub_nc_u32_e32 v14, v16, v14
	s_delay_alu instid0(VALU_DEP_1)
	v_mul_lo_u32 v15, v14, s5
	v_mul_lo_u32 v14, v14, s4
	s_cbranch_scc1 .LBB370_128
; %bb.127:
	s_clause 0x1
	s_load_b96 s[0:2], s[12:13], 0x10
	s_load_b64 s[4:5], s[12:13], 0xcc
	s_wait_kmcnt 0x0
	v_mul_hi_u32 v16, s1, v17
	s_delay_alu instid0(VALU_DEP_1) | instskip(NEXT) | instid1(VALU_DEP_1)
	v_add_nc_u32_e32 v16, v17, v16
	v_lshrrev_b32_e32 v16, s2, v16
	s_delay_alu instid0(VALU_DEP_1) | instskip(NEXT) | instid1(VALU_DEP_1)
	v_mul_lo_u32 v16, v16, s0
	v_sub_nc_u32_e32 v16, v17, v16
	s_delay_alu instid0(VALU_DEP_1)
	v_mad_u32 v14, v16, s4, v14
	v_mad_u32 v15, v16, s5, v15
.LBB370_128:
	s_clause 0x2
	s_load_b128 s[8:11], s[12:13], 0x148
	s_load_b32 s0, s[12:13], 0x158
	s_load_b64 s[6:7], s[12:13], 0x160
	s_wait_kmcnt 0x0
	s_clause 0x7
	global_load_b64 v[16:17], v3, s[10:11]
	global_load_b64 v[18:19], v5, s[10:11]
	;; [unrolled: 1-line block ×8, first 2 shown]
	s_cmp_eq_u32 s0, 0
	s_wait_xcnt 0x0
	s_cselect_b32 s10, -1, 0
	s_wait_loadcnt 0x7
	v_cmp_ne_u64_e32 vcc_lo, s[6:7], v[16:17]
	s_wait_loadcnt 0x6
	v_cmp_ne_u64_e64 s0, s[6:7], v[18:19]
	s_wait_loadcnt 0x5
	v_cmp_ne_u64_e64 s1, s[6:7], v[20:21]
	;; [unrolled: 2-line block ×7, first 2 shown]
	s_xor_b32 s0, s10, s0
	s_xor_b32 s7, s10, vcc_lo
	v_cndmask_b32_e64 v3, 0, 1, s0
	s_xor_b32 s0, s10, s1
	v_cndmask_b32_e64 v1, 0, 1, s7
	v_cndmask_b32_e64 v5, 0, 1, s0
	s_xor_b32 s0, s10, s2
	s_delay_alu instid0(SALU_CYCLE_1) | instskip(SKIP_1) | instid1(SALU_CYCLE_1)
	v_cndmask_b32_e64 v7, 0, 1, s0
	s_xor_b32 s0, s10, s3
	v_cndmask_b32_e64 v9, 0, 1, s0
	s_xor_b32 s0, s10, s4
	s_delay_alu instid0(SALU_CYCLE_1) | instskip(SKIP_1) | instid1(SALU_CYCLE_1)
	v_cndmask_b32_e64 v11, 0, 1, s0
	s_xor_b32 s0, s10, s5
	v_cndmask_b32_e64 v13, 0, 1, s0
	s_xor_b32 s0, s10, s6
	s_delay_alu instid0(SALU_CYCLE_1)
	v_cndmask_b32_e64 v15, 0, 1, s0
	s_clause 0x7
	global_store_b8 v2, v1, s[8:9]
	global_store_b8 v4, v3, s[8:9]
	;; [unrolled: 1-line block ×8, first 2 shown]
	s_endpgm
.LBB370_129:
	v_dual_mov_b32 v3, 0 :: v_dual_mov_b32 v2, 0
	s_branch .LBB370_135
.LBB370_130:
	v_dual_mov_b32 v3, 0 :: v_dual_mov_b32 v2, 0
	s_branch .LBB370_151
.LBB370_131:
	v_mov_b64_e32 v[2:3], 0
	v_mov_b32_e32 v1, v0
	s_mov_b32 s24, 0
.LBB370_132:
	s_and_b32 s28, s25, 3
	s_mov_b32 s25, 0
	s_cmp_eq_u32 s28, 0
	s_cbranch_scc1 .LBB370_135
; %bb.133:
	s_lshl_b32 s26, s24, 3
	s_mov_b32 s27, s25
	s_mul_u64 s[40:41], s[24:25], 12
	s_add_nc_u64 s[26:27], s[12:13], s[26:27]
	s_delay_alu instid0(SALU_CYCLE_1)
	s_add_nc_u64 s[24:25], s[26:27], 0xc4
	s_add_nc_u64 s[26:27], s[12:13], s[40:41]
.LBB370_134:                            ; =>This Inner Loop Header: Depth=1
	s_load_b96 s[40:42], s[26:27], 0x4
	s_add_co_i32 s28, s28, -1
	s_wait_xcnt 0x0
	s_add_nc_u64 s[26:27], s[26:27], 12
	s_cmp_lg_u32 s28, 0
	s_wait_kmcnt 0x0
	v_mul_hi_u32 v4, s41, v1
	s_delay_alu instid0(VALU_DEP_1) | instskip(NEXT) | instid1(VALU_DEP_1)
	v_add_nc_u32_e32 v4, v1, v4
	v_lshrrev_b32_e32 v4, s42, v4
	s_load_b64 s[42:43], s[24:25], 0x0
	s_wait_xcnt 0x0
	s_add_nc_u64 s[24:25], s[24:25], 8
	s_delay_alu instid0(VALU_DEP_1) | instskip(NEXT) | instid1(VALU_DEP_1)
	v_mul_lo_u32 v5, v4, s40
	v_sub_nc_u32_e32 v1, v1, v5
	s_wait_kmcnt 0x0
	s_delay_alu instid0(VALU_DEP_1)
	v_mad_u32 v3, v1, s43, v3
	v_mad_u32 v2, v1, s42, v2
	v_mov_b32_e32 v1, v4
	s_cbranch_scc1 .LBB370_134
.LBB370_135:
	s_cbranch_execnz .LBB370_138
.LBB370_136:
	v_mov_b32_e32 v1, 0
	s_and_not1_b32 vcc_lo, exec_lo, s35
	s_delay_alu instid0(VALU_DEP_1) | instskip(NEXT) | instid1(VALU_DEP_1)
	v_mul_u64_e32 v[2:3], s[18:19], v[0:1]
	v_add_nc_u32_e32 v2, v0, v3
	s_delay_alu instid0(VALU_DEP_1) | instskip(NEXT) | instid1(VALU_DEP_1)
	v_lshrrev_b32_e32 v4, s6, v2
	v_mul_lo_u32 v2, v4, s4
	s_delay_alu instid0(VALU_DEP_1) | instskip(NEXT) | instid1(VALU_DEP_1)
	v_sub_nc_u32_e32 v2, v0, v2
	v_mul_lo_u32 v3, v2, s9
	v_mul_lo_u32 v2, v2, s8
	s_cbranch_vccnz .LBB370_138
; %bb.137:
	v_mov_b32_e32 v5, v1
	s_delay_alu instid0(VALU_DEP_1) | instskip(NEXT) | instid1(VALU_DEP_1)
	v_mul_u64_e32 v[6:7], s[20:21], v[4:5]
	v_add_nc_u32_e32 v1, v4, v7
	s_delay_alu instid0(VALU_DEP_1) | instskip(NEXT) | instid1(VALU_DEP_1)
	v_lshrrev_b32_e32 v1, s17, v1
	v_mul_lo_u32 v1, v1, s7
	s_delay_alu instid0(VALU_DEP_1) | instskip(NEXT) | instid1(VALU_DEP_1)
	v_sub_nc_u32_e32 v1, v4, v1
	v_mad_u32 v2, v1, s10, v2
	v_mad_u32 v3, v1, s11, v3
.LBB370_138:
	global_load_b64 v[4:5], v3, s[2:3]
	v_add_nc_u32_e32 v0, 0x80, v0
	s_wait_loadcnt 0x0
	v_cmp_ne_u64_e32 vcc_lo, s[14:15], v[4:5]
	s_xor_b32 s24, s5, vcc_lo
	s_delay_alu instid0(SALU_CYCLE_1) | instskip(SKIP_3) | instid1(SALU_CYCLE_1)
	v_cndmask_b32_e64 v1, 0, 1, s24
	global_store_b8 v2, v1, s[0:1]
	s_wait_xcnt 0x0
	s_or_b32 exec_lo, exec_lo, s16
	s_mov_b32 s16, exec_lo
	v_cmpx_gt_i32_e64 s36, v0
	s_cbranch_execnz .LBB370_15
.LBB370_139:
	s_or_b32 exec_lo, exec_lo, s16
	s_delay_alu instid0(SALU_CYCLE_1)
	s_mov_b32 s16, exec_lo
	v_cmpx_gt_i32_e64 s36, v0
	s_cbranch_execz .LBB370_155
.LBB370_140:
	s_and_not1_b32 vcc_lo, exec_lo, s33
	s_cbranch_vccnz .LBB370_145
; %bb.141:
	s_and_not1_b32 vcc_lo, exec_lo, s38
	s_cbranch_vccnz .LBB370_146
; %bb.142:
	s_add_co_i32 s25, s37, 1
	s_cmp_eq_u32 s31, 2
	s_cbranch_scc1 .LBB370_163
; %bb.143:
	v_dual_mov_b32 v2, 0 :: v_dual_mov_b32 v3, 0
	v_mov_b32_e32 v1, v0
	s_and_b32 s24, s25, 28
	s_mov_b32 s39, 0
	s_mov_b64 s[26:27], s[12:13]
	s_mov_b64 s[28:29], s[22:23]
.LBB370_144:                            ; =>This Inner Loop Header: Depth=1
	s_clause 0x1
	s_load_b256 s[40:47], s[26:27], 0x4
	s_load_b128 s[56:59], s[26:27], 0x24
	s_load_b256 s[48:55], s[28:29], 0x0
	s_add_co_i32 s39, s39, 4
	s_wait_xcnt 0x0
	s_add_nc_u64 s[26:27], s[26:27], 48
	s_cmp_eq_u32 s24, s39
	s_add_nc_u64 s[28:29], s[28:29], 32
	s_wait_kmcnt 0x0
	v_mul_hi_u32 v4, s41, v1
	s_delay_alu instid0(VALU_DEP_1) | instskip(NEXT) | instid1(VALU_DEP_1)
	v_add_nc_u32_e32 v4, v1, v4
	v_lshrrev_b32_e32 v4, s42, v4
	s_delay_alu instid0(VALU_DEP_1) | instskip(NEXT) | instid1(VALU_DEP_1)
	v_mul_hi_u32 v5, s44, v4
	v_add_nc_u32_e32 v5, v4, v5
	s_delay_alu instid0(VALU_DEP_1) | instskip(NEXT) | instid1(VALU_DEP_1)
	v_lshrrev_b32_e32 v5, s45, v5
	v_mul_hi_u32 v6, s47, v5
	s_delay_alu instid0(VALU_DEP_1) | instskip(SKIP_1) | instid1(VALU_DEP_1)
	v_add_nc_u32_e32 v6, v5, v6
	v_mul_lo_u32 v7, v4, s40
	v_sub_nc_u32_e32 v1, v1, v7
	v_mul_lo_u32 v7, v5, s43
	s_delay_alu instid0(VALU_DEP_4) | instskip(NEXT) | instid1(VALU_DEP_3)
	v_lshrrev_b32_e32 v6, s56, v6
	v_mad_u32 v3, v1, s49, v3
	v_mad_u32 v1, v1, s48, v2
	s_delay_alu instid0(VALU_DEP_4) | instskip(NEXT) | instid1(VALU_DEP_4)
	v_sub_nc_u32_e32 v2, v4, v7
	v_mul_hi_u32 v8, s58, v6
	v_mul_lo_u32 v4, v6, s46
	s_delay_alu instid0(VALU_DEP_3) | instskip(SKIP_1) | instid1(VALU_DEP_4)
	v_mad_u32 v3, v2, s51, v3
	v_mad_u32 v2, v2, s50, v1
	v_add_nc_u32_e32 v7, v6, v8
	s_delay_alu instid0(VALU_DEP_1) | instskip(NEXT) | instid1(VALU_DEP_1)
	v_dual_sub_nc_u32 v4, v5, v4 :: v_dual_lshrrev_b32 v1, s59, v7
	v_mad_u32 v3, v4, s53, v3
	s_delay_alu instid0(VALU_DEP_4) | instskip(NEXT) | instid1(VALU_DEP_3)
	v_mad_u32 v2, v4, s52, v2
	v_mul_lo_u32 v5, v1, s57
	s_delay_alu instid0(VALU_DEP_1) | instskip(NEXT) | instid1(VALU_DEP_1)
	v_sub_nc_u32_e32 v4, v6, v5
	v_mad_u32 v3, v4, s55, v3
	s_delay_alu instid0(VALU_DEP_4)
	v_mad_u32 v2, v4, s54, v2
	s_cbranch_scc0 .LBB370_144
	s_branch .LBB370_164
.LBB370_145:
                                        ; implicit-def: $vgpr3
	s_branch .LBB370_168
.LBB370_146:
	v_dual_mov_b32 v3, 0 :: v_dual_mov_b32 v2, 0
	s_branch .LBB370_167
.LBB370_147:
	v_mov_b64_e32 v[2:3], 0
	v_mov_b32_e32 v1, v0
	s_mov_b32 s24, 0
.LBB370_148:
	s_and_b32 s28, s25, 3
	s_mov_b32 s25, 0
	s_cmp_eq_u32 s28, 0
	s_cbranch_scc1 .LBB370_151
; %bb.149:
	s_lshl_b32 s26, s24, 3
	s_mov_b32 s27, s25
	s_mul_u64 s[40:41], s[24:25], 12
	s_add_nc_u64 s[26:27], s[12:13], s[26:27]
	s_delay_alu instid0(SALU_CYCLE_1)
	s_add_nc_u64 s[24:25], s[26:27], 0xc4
	s_add_nc_u64 s[26:27], s[12:13], s[40:41]
.LBB370_150:                            ; =>This Inner Loop Header: Depth=1
	s_load_b96 s[40:42], s[26:27], 0x4
	s_add_co_i32 s28, s28, -1
	s_wait_xcnt 0x0
	s_add_nc_u64 s[26:27], s[26:27], 12
	s_cmp_lg_u32 s28, 0
	s_wait_kmcnt 0x0
	v_mul_hi_u32 v4, s41, v1
	s_delay_alu instid0(VALU_DEP_1) | instskip(NEXT) | instid1(VALU_DEP_1)
	v_add_nc_u32_e32 v4, v1, v4
	v_lshrrev_b32_e32 v4, s42, v4
	s_load_b64 s[42:43], s[24:25], 0x0
	s_wait_xcnt 0x0
	s_add_nc_u64 s[24:25], s[24:25], 8
	s_delay_alu instid0(VALU_DEP_1) | instskip(NEXT) | instid1(VALU_DEP_1)
	v_mul_lo_u32 v5, v4, s40
	v_sub_nc_u32_e32 v1, v1, v5
	s_wait_kmcnt 0x0
	s_delay_alu instid0(VALU_DEP_1)
	v_mad_u32 v3, v1, s43, v3
	v_mad_u32 v2, v1, s42, v2
	v_mov_b32_e32 v1, v4
	s_cbranch_scc1 .LBB370_150
.LBB370_151:
	s_cbranch_execnz .LBB370_154
.LBB370_152:
	v_mov_b32_e32 v1, 0
	s_and_not1_b32 vcc_lo, exec_lo, s35
	s_delay_alu instid0(VALU_DEP_1) | instskip(NEXT) | instid1(VALU_DEP_1)
	v_mul_u64_e32 v[2:3], s[18:19], v[0:1]
	v_add_nc_u32_e32 v2, v0, v3
	s_delay_alu instid0(VALU_DEP_1) | instskip(NEXT) | instid1(VALU_DEP_1)
	v_lshrrev_b32_e32 v4, s6, v2
	v_mul_lo_u32 v2, v4, s4
	s_delay_alu instid0(VALU_DEP_1) | instskip(NEXT) | instid1(VALU_DEP_1)
	v_sub_nc_u32_e32 v2, v0, v2
	v_mul_lo_u32 v3, v2, s9
	v_mul_lo_u32 v2, v2, s8
	s_cbranch_vccnz .LBB370_154
; %bb.153:
	v_mov_b32_e32 v5, v1
	s_delay_alu instid0(VALU_DEP_1) | instskip(NEXT) | instid1(VALU_DEP_1)
	v_mul_u64_e32 v[6:7], s[20:21], v[4:5]
	v_add_nc_u32_e32 v1, v4, v7
	s_delay_alu instid0(VALU_DEP_1) | instskip(NEXT) | instid1(VALU_DEP_1)
	v_lshrrev_b32_e32 v1, s17, v1
	v_mul_lo_u32 v1, v1, s7
	s_delay_alu instid0(VALU_DEP_1) | instskip(NEXT) | instid1(VALU_DEP_1)
	v_sub_nc_u32_e32 v1, v4, v1
	v_mad_u32 v2, v1, s10, v2
	v_mad_u32 v3, v1, s11, v3
.LBB370_154:
	global_load_b64 v[4:5], v3, s[2:3]
	v_add_nc_u32_e32 v0, 0x80, v0
	s_wait_loadcnt 0x0
	v_cmp_ne_u64_e32 vcc_lo, s[14:15], v[4:5]
	s_xor_b32 s24, s5, vcc_lo
	s_delay_alu instid0(SALU_CYCLE_1) | instskip(SKIP_3) | instid1(SALU_CYCLE_1)
	v_cndmask_b32_e64 v1, 0, 1, s24
	global_store_b8 v2, v1, s[0:1]
	s_wait_xcnt 0x0
	s_or_b32 exec_lo, exec_lo, s16
	s_mov_b32 s16, exec_lo
	v_cmpx_gt_i32_e64 s36, v0
	s_cbranch_execnz .LBB370_140
.LBB370_155:
	s_or_b32 exec_lo, exec_lo, s16
	s_delay_alu instid0(SALU_CYCLE_1)
	s_mov_b32 s16, exec_lo
	v_cmpx_gt_i32_e64 s36, v0
	s_cbranch_execz .LBB370_171
.LBB370_156:
	s_and_not1_b32 vcc_lo, exec_lo, s33
	s_cbranch_vccnz .LBB370_161
; %bb.157:
	s_and_not1_b32 vcc_lo, exec_lo, s38
	s_cbranch_vccnz .LBB370_162
; %bb.158:
	s_add_co_i32 s25, s37, 1
	s_cmp_eq_u32 s31, 2
	s_cbranch_scc1 .LBB370_179
; %bb.159:
	v_dual_mov_b32 v2, 0 :: v_dual_mov_b32 v3, 0
	v_mov_b32_e32 v1, v0
	s_and_b32 s24, s25, 28
	s_mov_b32 s39, 0
	s_mov_b64 s[26:27], s[12:13]
	s_mov_b64 s[28:29], s[22:23]
.LBB370_160:                            ; =>This Inner Loop Header: Depth=1
	s_clause 0x1
	s_load_b256 s[40:47], s[26:27], 0x4
	s_load_b128 s[56:59], s[26:27], 0x24
	s_load_b256 s[48:55], s[28:29], 0x0
	s_add_co_i32 s39, s39, 4
	s_wait_xcnt 0x0
	s_add_nc_u64 s[26:27], s[26:27], 48
	s_cmp_eq_u32 s24, s39
	s_add_nc_u64 s[28:29], s[28:29], 32
	s_wait_kmcnt 0x0
	v_mul_hi_u32 v4, s41, v1
	s_delay_alu instid0(VALU_DEP_1) | instskip(NEXT) | instid1(VALU_DEP_1)
	v_add_nc_u32_e32 v4, v1, v4
	v_lshrrev_b32_e32 v4, s42, v4
	s_delay_alu instid0(VALU_DEP_1) | instskip(NEXT) | instid1(VALU_DEP_1)
	v_mul_hi_u32 v5, s44, v4
	v_add_nc_u32_e32 v5, v4, v5
	s_delay_alu instid0(VALU_DEP_1) | instskip(NEXT) | instid1(VALU_DEP_1)
	v_lshrrev_b32_e32 v5, s45, v5
	v_mul_hi_u32 v6, s47, v5
	s_delay_alu instid0(VALU_DEP_1) | instskip(SKIP_1) | instid1(VALU_DEP_1)
	v_add_nc_u32_e32 v6, v5, v6
	v_mul_lo_u32 v7, v4, s40
	v_sub_nc_u32_e32 v1, v1, v7
	v_mul_lo_u32 v7, v5, s43
	s_delay_alu instid0(VALU_DEP_4) | instskip(NEXT) | instid1(VALU_DEP_3)
	v_lshrrev_b32_e32 v6, s56, v6
	v_mad_u32 v3, v1, s49, v3
	v_mad_u32 v1, v1, s48, v2
	s_delay_alu instid0(VALU_DEP_4) | instskip(NEXT) | instid1(VALU_DEP_4)
	v_sub_nc_u32_e32 v2, v4, v7
	v_mul_hi_u32 v8, s58, v6
	v_mul_lo_u32 v4, v6, s46
	s_delay_alu instid0(VALU_DEP_3) | instskip(SKIP_1) | instid1(VALU_DEP_4)
	v_mad_u32 v3, v2, s51, v3
	v_mad_u32 v2, v2, s50, v1
	v_add_nc_u32_e32 v7, v6, v8
	s_delay_alu instid0(VALU_DEP_1) | instskip(NEXT) | instid1(VALU_DEP_1)
	v_dual_sub_nc_u32 v4, v5, v4 :: v_dual_lshrrev_b32 v1, s59, v7
	v_mad_u32 v3, v4, s53, v3
	s_delay_alu instid0(VALU_DEP_4) | instskip(NEXT) | instid1(VALU_DEP_3)
	v_mad_u32 v2, v4, s52, v2
	v_mul_lo_u32 v5, v1, s57
	s_delay_alu instid0(VALU_DEP_1) | instskip(NEXT) | instid1(VALU_DEP_1)
	v_sub_nc_u32_e32 v4, v6, v5
	v_mad_u32 v3, v4, s55, v3
	s_delay_alu instid0(VALU_DEP_4)
	v_mad_u32 v2, v4, s54, v2
	s_cbranch_scc0 .LBB370_160
	s_branch .LBB370_180
.LBB370_161:
                                        ; implicit-def: $vgpr3
	s_branch .LBB370_184
.LBB370_162:
	v_dual_mov_b32 v3, 0 :: v_dual_mov_b32 v2, 0
	s_branch .LBB370_183
.LBB370_163:
	v_mov_b64_e32 v[2:3], 0
	v_mov_b32_e32 v1, v0
	s_mov_b32 s24, 0
.LBB370_164:
	s_and_b32 s28, s25, 3
	s_mov_b32 s25, 0
	s_cmp_eq_u32 s28, 0
	s_cbranch_scc1 .LBB370_167
; %bb.165:
	s_lshl_b32 s26, s24, 3
	s_mov_b32 s27, s25
	s_mul_u64 s[40:41], s[24:25], 12
	s_add_nc_u64 s[26:27], s[12:13], s[26:27]
	s_delay_alu instid0(SALU_CYCLE_1)
	s_add_nc_u64 s[24:25], s[26:27], 0xc4
	s_add_nc_u64 s[26:27], s[12:13], s[40:41]
.LBB370_166:                            ; =>This Inner Loop Header: Depth=1
	s_load_b96 s[40:42], s[26:27], 0x4
	s_add_co_i32 s28, s28, -1
	s_wait_xcnt 0x0
	s_add_nc_u64 s[26:27], s[26:27], 12
	s_cmp_lg_u32 s28, 0
	s_wait_kmcnt 0x0
	v_mul_hi_u32 v4, s41, v1
	s_delay_alu instid0(VALU_DEP_1) | instskip(NEXT) | instid1(VALU_DEP_1)
	v_add_nc_u32_e32 v4, v1, v4
	v_lshrrev_b32_e32 v4, s42, v4
	s_load_b64 s[42:43], s[24:25], 0x0
	s_wait_xcnt 0x0
	s_add_nc_u64 s[24:25], s[24:25], 8
	s_delay_alu instid0(VALU_DEP_1) | instskip(NEXT) | instid1(VALU_DEP_1)
	v_mul_lo_u32 v5, v4, s40
	v_sub_nc_u32_e32 v1, v1, v5
	s_wait_kmcnt 0x0
	s_delay_alu instid0(VALU_DEP_1)
	v_mad_u32 v3, v1, s43, v3
	v_mad_u32 v2, v1, s42, v2
	v_mov_b32_e32 v1, v4
	s_cbranch_scc1 .LBB370_166
.LBB370_167:
	s_cbranch_execnz .LBB370_170
.LBB370_168:
	v_mov_b32_e32 v1, 0
	s_and_not1_b32 vcc_lo, exec_lo, s35
	s_delay_alu instid0(VALU_DEP_1) | instskip(NEXT) | instid1(VALU_DEP_1)
	v_mul_u64_e32 v[2:3], s[18:19], v[0:1]
	v_add_nc_u32_e32 v2, v0, v3
	s_delay_alu instid0(VALU_DEP_1) | instskip(NEXT) | instid1(VALU_DEP_1)
	v_lshrrev_b32_e32 v4, s6, v2
	v_mul_lo_u32 v2, v4, s4
	s_delay_alu instid0(VALU_DEP_1) | instskip(NEXT) | instid1(VALU_DEP_1)
	v_sub_nc_u32_e32 v2, v0, v2
	v_mul_lo_u32 v3, v2, s9
	v_mul_lo_u32 v2, v2, s8
	s_cbranch_vccnz .LBB370_170
; %bb.169:
	v_mov_b32_e32 v5, v1
	s_delay_alu instid0(VALU_DEP_1) | instskip(NEXT) | instid1(VALU_DEP_1)
	v_mul_u64_e32 v[6:7], s[20:21], v[4:5]
	v_add_nc_u32_e32 v1, v4, v7
	s_delay_alu instid0(VALU_DEP_1) | instskip(NEXT) | instid1(VALU_DEP_1)
	v_lshrrev_b32_e32 v1, s17, v1
	v_mul_lo_u32 v1, v1, s7
	s_delay_alu instid0(VALU_DEP_1) | instskip(NEXT) | instid1(VALU_DEP_1)
	v_sub_nc_u32_e32 v1, v4, v1
	v_mad_u32 v2, v1, s10, v2
	v_mad_u32 v3, v1, s11, v3
.LBB370_170:
	global_load_b64 v[4:5], v3, s[2:3]
	v_add_nc_u32_e32 v0, 0x80, v0
	s_wait_loadcnt 0x0
	v_cmp_ne_u64_e32 vcc_lo, s[14:15], v[4:5]
	s_xor_b32 s24, s5, vcc_lo
	s_delay_alu instid0(SALU_CYCLE_1) | instskip(SKIP_3) | instid1(SALU_CYCLE_1)
	v_cndmask_b32_e64 v1, 0, 1, s24
	global_store_b8 v2, v1, s[0:1]
	s_wait_xcnt 0x0
	s_or_b32 exec_lo, exec_lo, s16
	s_mov_b32 s16, exec_lo
	v_cmpx_gt_i32_e64 s36, v0
	s_cbranch_execnz .LBB370_156
.LBB370_171:
	s_or_b32 exec_lo, exec_lo, s16
	s_delay_alu instid0(SALU_CYCLE_1)
	s_mov_b32 s16, exec_lo
	v_cmpx_gt_i32_e64 s36, v0
	s_cbranch_execz .LBB370_187
.LBB370_172:
	s_and_not1_b32 vcc_lo, exec_lo, s33
	s_cbranch_vccnz .LBB370_177
; %bb.173:
	s_and_not1_b32 vcc_lo, exec_lo, s38
	s_cbranch_vccnz .LBB370_178
; %bb.174:
	s_add_co_i32 s25, s37, 1
	s_cmp_eq_u32 s31, 2
	s_cbranch_scc1 .LBB370_195
; %bb.175:
	v_dual_mov_b32 v2, 0 :: v_dual_mov_b32 v3, 0
	v_mov_b32_e32 v1, v0
	s_and_b32 s24, s25, 28
	s_mov_b32 s39, 0
	s_mov_b64 s[26:27], s[12:13]
	s_mov_b64 s[28:29], s[22:23]
.LBB370_176:                            ; =>This Inner Loop Header: Depth=1
	s_clause 0x1
	s_load_b256 s[40:47], s[26:27], 0x4
	s_load_b128 s[56:59], s[26:27], 0x24
	s_load_b256 s[48:55], s[28:29], 0x0
	s_add_co_i32 s39, s39, 4
	s_wait_xcnt 0x0
	s_add_nc_u64 s[26:27], s[26:27], 48
	s_cmp_eq_u32 s24, s39
	s_add_nc_u64 s[28:29], s[28:29], 32
	s_wait_kmcnt 0x0
	v_mul_hi_u32 v4, s41, v1
	s_delay_alu instid0(VALU_DEP_1) | instskip(NEXT) | instid1(VALU_DEP_1)
	v_add_nc_u32_e32 v4, v1, v4
	v_lshrrev_b32_e32 v4, s42, v4
	s_delay_alu instid0(VALU_DEP_1) | instskip(NEXT) | instid1(VALU_DEP_1)
	v_mul_hi_u32 v5, s44, v4
	v_add_nc_u32_e32 v5, v4, v5
	s_delay_alu instid0(VALU_DEP_1) | instskip(NEXT) | instid1(VALU_DEP_1)
	v_lshrrev_b32_e32 v5, s45, v5
	v_mul_hi_u32 v6, s47, v5
	s_delay_alu instid0(VALU_DEP_1) | instskip(SKIP_1) | instid1(VALU_DEP_1)
	v_add_nc_u32_e32 v6, v5, v6
	v_mul_lo_u32 v7, v4, s40
	v_sub_nc_u32_e32 v1, v1, v7
	v_mul_lo_u32 v7, v5, s43
	s_delay_alu instid0(VALU_DEP_4) | instskip(NEXT) | instid1(VALU_DEP_3)
	v_lshrrev_b32_e32 v6, s56, v6
	v_mad_u32 v3, v1, s49, v3
	v_mad_u32 v1, v1, s48, v2
	s_delay_alu instid0(VALU_DEP_4) | instskip(NEXT) | instid1(VALU_DEP_4)
	v_sub_nc_u32_e32 v2, v4, v7
	v_mul_hi_u32 v8, s58, v6
	v_mul_lo_u32 v4, v6, s46
	s_delay_alu instid0(VALU_DEP_3) | instskip(SKIP_1) | instid1(VALU_DEP_4)
	v_mad_u32 v3, v2, s51, v3
	v_mad_u32 v2, v2, s50, v1
	v_add_nc_u32_e32 v7, v6, v8
	s_delay_alu instid0(VALU_DEP_1) | instskip(NEXT) | instid1(VALU_DEP_1)
	v_dual_sub_nc_u32 v4, v5, v4 :: v_dual_lshrrev_b32 v1, s59, v7
	v_mad_u32 v3, v4, s53, v3
	s_delay_alu instid0(VALU_DEP_4) | instskip(NEXT) | instid1(VALU_DEP_3)
	v_mad_u32 v2, v4, s52, v2
	v_mul_lo_u32 v5, v1, s57
	s_delay_alu instid0(VALU_DEP_1) | instskip(NEXT) | instid1(VALU_DEP_1)
	v_sub_nc_u32_e32 v4, v6, v5
	v_mad_u32 v3, v4, s55, v3
	s_delay_alu instid0(VALU_DEP_4)
	v_mad_u32 v2, v4, s54, v2
	s_cbranch_scc0 .LBB370_176
	s_branch .LBB370_196
.LBB370_177:
                                        ; implicit-def: $vgpr3
	s_branch .LBB370_200
.LBB370_178:
	v_dual_mov_b32 v3, 0 :: v_dual_mov_b32 v2, 0
	s_branch .LBB370_199
.LBB370_179:
	v_mov_b64_e32 v[2:3], 0
	v_mov_b32_e32 v1, v0
	s_mov_b32 s24, 0
.LBB370_180:
	s_and_b32 s28, s25, 3
	s_mov_b32 s25, 0
	s_cmp_eq_u32 s28, 0
	s_cbranch_scc1 .LBB370_183
; %bb.181:
	s_lshl_b32 s26, s24, 3
	s_mov_b32 s27, s25
	s_mul_u64 s[40:41], s[24:25], 12
	s_add_nc_u64 s[26:27], s[12:13], s[26:27]
	s_delay_alu instid0(SALU_CYCLE_1)
	s_add_nc_u64 s[24:25], s[26:27], 0xc4
	s_add_nc_u64 s[26:27], s[12:13], s[40:41]
.LBB370_182:                            ; =>This Inner Loop Header: Depth=1
	s_load_b96 s[40:42], s[26:27], 0x4
	s_add_co_i32 s28, s28, -1
	s_wait_xcnt 0x0
	s_add_nc_u64 s[26:27], s[26:27], 12
	s_cmp_lg_u32 s28, 0
	s_wait_kmcnt 0x0
	v_mul_hi_u32 v4, s41, v1
	s_delay_alu instid0(VALU_DEP_1) | instskip(NEXT) | instid1(VALU_DEP_1)
	v_add_nc_u32_e32 v4, v1, v4
	v_lshrrev_b32_e32 v4, s42, v4
	s_load_b64 s[42:43], s[24:25], 0x0
	s_wait_xcnt 0x0
	s_add_nc_u64 s[24:25], s[24:25], 8
	s_delay_alu instid0(VALU_DEP_1) | instskip(NEXT) | instid1(VALU_DEP_1)
	v_mul_lo_u32 v5, v4, s40
	v_sub_nc_u32_e32 v1, v1, v5
	s_wait_kmcnt 0x0
	s_delay_alu instid0(VALU_DEP_1)
	v_mad_u32 v3, v1, s43, v3
	v_mad_u32 v2, v1, s42, v2
	v_mov_b32_e32 v1, v4
	s_cbranch_scc1 .LBB370_182
.LBB370_183:
	s_cbranch_execnz .LBB370_186
.LBB370_184:
	v_mov_b32_e32 v1, 0
	s_and_not1_b32 vcc_lo, exec_lo, s35
	s_delay_alu instid0(VALU_DEP_1) | instskip(NEXT) | instid1(VALU_DEP_1)
	v_mul_u64_e32 v[2:3], s[18:19], v[0:1]
	v_add_nc_u32_e32 v2, v0, v3
	s_delay_alu instid0(VALU_DEP_1) | instskip(NEXT) | instid1(VALU_DEP_1)
	v_lshrrev_b32_e32 v4, s6, v2
	v_mul_lo_u32 v2, v4, s4
	s_delay_alu instid0(VALU_DEP_1) | instskip(NEXT) | instid1(VALU_DEP_1)
	v_sub_nc_u32_e32 v2, v0, v2
	v_mul_lo_u32 v3, v2, s9
	v_mul_lo_u32 v2, v2, s8
	s_cbranch_vccnz .LBB370_186
; %bb.185:
	v_mov_b32_e32 v5, v1
	s_delay_alu instid0(VALU_DEP_1) | instskip(NEXT) | instid1(VALU_DEP_1)
	v_mul_u64_e32 v[6:7], s[20:21], v[4:5]
	v_add_nc_u32_e32 v1, v4, v7
	s_delay_alu instid0(VALU_DEP_1) | instskip(NEXT) | instid1(VALU_DEP_1)
	v_lshrrev_b32_e32 v1, s17, v1
	v_mul_lo_u32 v1, v1, s7
	s_delay_alu instid0(VALU_DEP_1) | instskip(NEXT) | instid1(VALU_DEP_1)
	v_sub_nc_u32_e32 v1, v4, v1
	v_mad_u32 v2, v1, s10, v2
	v_mad_u32 v3, v1, s11, v3
.LBB370_186:
	global_load_b64 v[4:5], v3, s[2:3]
	v_add_nc_u32_e32 v0, 0x80, v0
	s_wait_loadcnt 0x0
	v_cmp_ne_u64_e32 vcc_lo, s[14:15], v[4:5]
	s_xor_b32 s24, s5, vcc_lo
	s_delay_alu instid0(SALU_CYCLE_1) | instskip(SKIP_3) | instid1(SALU_CYCLE_1)
	v_cndmask_b32_e64 v1, 0, 1, s24
	global_store_b8 v2, v1, s[0:1]
	s_wait_xcnt 0x0
	s_or_b32 exec_lo, exec_lo, s16
	s_mov_b32 s16, exec_lo
	v_cmpx_gt_i32_e64 s36, v0
	s_cbranch_execnz .LBB370_172
.LBB370_187:
	s_or_b32 exec_lo, exec_lo, s16
	s_delay_alu instid0(SALU_CYCLE_1)
	s_mov_b32 s16, exec_lo
	v_cmpx_gt_i32_e64 s36, v0
	s_cbranch_execz .LBB370_203
.LBB370_188:
	s_and_not1_b32 vcc_lo, exec_lo, s33
	s_cbranch_vccnz .LBB370_193
; %bb.189:
	s_and_not1_b32 vcc_lo, exec_lo, s38
	s_cbranch_vccnz .LBB370_194
; %bb.190:
	s_add_co_i32 s25, s37, 1
	s_cmp_eq_u32 s31, 2
	s_cbranch_scc1 .LBB370_211
; %bb.191:
	v_dual_mov_b32 v2, 0 :: v_dual_mov_b32 v3, 0
	v_mov_b32_e32 v1, v0
	s_and_b32 s24, s25, 28
	s_mov_b32 s39, 0
	s_mov_b64 s[26:27], s[12:13]
	s_mov_b64 s[28:29], s[22:23]
.LBB370_192:                            ; =>This Inner Loop Header: Depth=1
	s_clause 0x1
	s_load_b256 s[40:47], s[26:27], 0x4
	s_load_b128 s[56:59], s[26:27], 0x24
	s_load_b256 s[48:55], s[28:29], 0x0
	s_add_co_i32 s39, s39, 4
	s_wait_xcnt 0x0
	s_add_nc_u64 s[26:27], s[26:27], 48
	s_cmp_eq_u32 s24, s39
	s_add_nc_u64 s[28:29], s[28:29], 32
	s_wait_kmcnt 0x0
	v_mul_hi_u32 v4, s41, v1
	s_delay_alu instid0(VALU_DEP_1) | instskip(NEXT) | instid1(VALU_DEP_1)
	v_add_nc_u32_e32 v4, v1, v4
	v_lshrrev_b32_e32 v4, s42, v4
	s_delay_alu instid0(VALU_DEP_1) | instskip(NEXT) | instid1(VALU_DEP_1)
	v_mul_hi_u32 v5, s44, v4
	v_add_nc_u32_e32 v5, v4, v5
	s_delay_alu instid0(VALU_DEP_1) | instskip(NEXT) | instid1(VALU_DEP_1)
	v_lshrrev_b32_e32 v5, s45, v5
	v_mul_hi_u32 v6, s47, v5
	s_delay_alu instid0(VALU_DEP_1) | instskip(SKIP_1) | instid1(VALU_DEP_1)
	v_add_nc_u32_e32 v6, v5, v6
	v_mul_lo_u32 v7, v4, s40
	v_sub_nc_u32_e32 v1, v1, v7
	v_mul_lo_u32 v7, v5, s43
	s_delay_alu instid0(VALU_DEP_4) | instskip(NEXT) | instid1(VALU_DEP_3)
	v_lshrrev_b32_e32 v6, s56, v6
	v_mad_u32 v3, v1, s49, v3
	v_mad_u32 v1, v1, s48, v2
	s_delay_alu instid0(VALU_DEP_4) | instskip(NEXT) | instid1(VALU_DEP_4)
	v_sub_nc_u32_e32 v2, v4, v7
	v_mul_hi_u32 v8, s58, v6
	v_mul_lo_u32 v4, v6, s46
	s_delay_alu instid0(VALU_DEP_3) | instskip(SKIP_1) | instid1(VALU_DEP_4)
	v_mad_u32 v3, v2, s51, v3
	v_mad_u32 v2, v2, s50, v1
	v_add_nc_u32_e32 v7, v6, v8
	s_delay_alu instid0(VALU_DEP_1) | instskip(NEXT) | instid1(VALU_DEP_1)
	v_dual_sub_nc_u32 v4, v5, v4 :: v_dual_lshrrev_b32 v1, s59, v7
	v_mad_u32 v3, v4, s53, v3
	s_delay_alu instid0(VALU_DEP_4) | instskip(NEXT) | instid1(VALU_DEP_3)
	v_mad_u32 v2, v4, s52, v2
	v_mul_lo_u32 v5, v1, s57
	s_delay_alu instid0(VALU_DEP_1) | instskip(NEXT) | instid1(VALU_DEP_1)
	v_sub_nc_u32_e32 v4, v6, v5
	v_mad_u32 v3, v4, s55, v3
	s_delay_alu instid0(VALU_DEP_4)
	v_mad_u32 v2, v4, s54, v2
	s_cbranch_scc0 .LBB370_192
	s_branch .LBB370_212
.LBB370_193:
                                        ; implicit-def: $vgpr3
	s_branch .LBB370_216
.LBB370_194:
	v_dual_mov_b32 v3, 0 :: v_dual_mov_b32 v2, 0
	s_branch .LBB370_215
.LBB370_195:
	v_mov_b64_e32 v[2:3], 0
	v_mov_b32_e32 v1, v0
	s_mov_b32 s24, 0
.LBB370_196:
	s_and_b32 s28, s25, 3
	s_mov_b32 s25, 0
	s_cmp_eq_u32 s28, 0
	s_cbranch_scc1 .LBB370_199
; %bb.197:
	s_lshl_b32 s26, s24, 3
	s_mov_b32 s27, s25
	s_mul_u64 s[40:41], s[24:25], 12
	s_add_nc_u64 s[26:27], s[12:13], s[26:27]
	s_delay_alu instid0(SALU_CYCLE_1)
	s_add_nc_u64 s[24:25], s[26:27], 0xc4
	s_add_nc_u64 s[26:27], s[12:13], s[40:41]
.LBB370_198:                            ; =>This Inner Loop Header: Depth=1
	s_load_b96 s[40:42], s[26:27], 0x4
	s_add_co_i32 s28, s28, -1
	s_wait_xcnt 0x0
	s_add_nc_u64 s[26:27], s[26:27], 12
	s_cmp_lg_u32 s28, 0
	s_wait_kmcnt 0x0
	v_mul_hi_u32 v4, s41, v1
	s_delay_alu instid0(VALU_DEP_1) | instskip(NEXT) | instid1(VALU_DEP_1)
	v_add_nc_u32_e32 v4, v1, v4
	v_lshrrev_b32_e32 v4, s42, v4
	s_load_b64 s[42:43], s[24:25], 0x0
	s_wait_xcnt 0x0
	s_add_nc_u64 s[24:25], s[24:25], 8
	s_delay_alu instid0(VALU_DEP_1) | instskip(NEXT) | instid1(VALU_DEP_1)
	v_mul_lo_u32 v5, v4, s40
	v_sub_nc_u32_e32 v1, v1, v5
	s_wait_kmcnt 0x0
	s_delay_alu instid0(VALU_DEP_1)
	v_mad_u32 v3, v1, s43, v3
	v_mad_u32 v2, v1, s42, v2
	v_mov_b32_e32 v1, v4
	s_cbranch_scc1 .LBB370_198
.LBB370_199:
	s_cbranch_execnz .LBB370_202
.LBB370_200:
	v_mov_b32_e32 v1, 0
	s_and_not1_b32 vcc_lo, exec_lo, s35
	s_delay_alu instid0(VALU_DEP_1) | instskip(NEXT) | instid1(VALU_DEP_1)
	v_mul_u64_e32 v[2:3], s[18:19], v[0:1]
	v_add_nc_u32_e32 v2, v0, v3
	s_delay_alu instid0(VALU_DEP_1) | instskip(NEXT) | instid1(VALU_DEP_1)
	v_lshrrev_b32_e32 v4, s6, v2
	v_mul_lo_u32 v2, v4, s4
	s_delay_alu instid0(VALU_DEP_1) | instskip(NEXT) | instid1(VALU_DEP_1)
	v_sub_nc_u32_e32 v2, v0, v2
	v_mul_lo_u32 v3, v2, s9
	v_mul_lo_u32 v2, v2, s8
	s_cbranch_vccnz .LBB370_202
; %bb.201:
	v_mov_b32_e32 v5, v1
	s_delay_alu instid0(VALU_DEP_1) | instskip(NEXT) | instid1(VALU_DEP_1)
	v_mul_u64_e32 v[6:7], s[20:21], v[4:5]
	v_add_nc_u32_e32 v1, v4, v7
	s_delay_alu instid0(VALU_DEP_1) | instskip(NEXT) | instid1(VALU_DEP_1)
	v_lshrrev_b32_e32 v1, s17, v1
	v_mul_lo_u32 v1, v1, s7
	s_delay_alu instid0(VALU_DEP_1) | instskip(NEXT) | instid1(VALU_DEP_1)
	v_sub_nc_u32_e32 v1, v4, v1
	v_mad_u32 v2, v1, s10, v2
	v_mad_u32 v3, v1, s11, v3
.LBB370_202:
	global_load_b64 v[4:5], v3, s[2:3]
	v_add_nc_u32_e32 v0, 0x80, v0
	s_wait_loadcnt 0x0
	v_cmp_ne_u64_e32 vcc_lo, s[14:15], v[4:5]
	s_xor_b32 s24, s5, vcc_lo
	s_delay_alu instid0(SALU_CYCLE_1) | instskip(SKIP_3) | instid1(SALU_CYCLE_1)
	v_cndmask_b32_e64 v1, 0, 1, s24
	global_store_b8 v2, v1, s[0:1]
	s_wait_xcnt 0x0
	s_or_b32 exec_lo, exec_lo, s16
	s_mov_b32 s16, exec_lo
	v_cmpx_gt_i32_e64 s36, v0
	s_cbranch_execnz .LBB370_188
.LBB370_203:
	s_or_b32 exec_lo, exec_lo, s16
	s_delay_alu instid0(SALU_CYCLE_1)
	s_mov_b32 s16, exec_lo
	v_cmpx_gt_i32_e64 s36, v0
	s_cbranch_execz .LBB370_219
.LBB370_204:
	s_and_not1_b32 vcc_lo, exec_lo, s33
	s_cbranch_vccnz .LBB370_209
; %bb.205:
	s_and_not1_b32 vcc_lo, exec_lo, s38
	s_cbranch_vccnz .LBB370_210
; %bb.206:
	s_add_co_i32 s25, s37, 1
	s_cmp_eq_u32 s31, 2
	s_cbranch_scc1 .LBB370_222
; %bb.207:
	v_dual_mov_b32 v2, 0 :: v_dual_mov_b32 v3, 0
	v_mov_b32_e32 v1, v0
	s_and_b32 s24, s25, 28
	s_mov_b32 s39, 0
	s_mov_b64 s[26:27], s[12:13]
	s_mov_b64 s[28:29], s[22:23]
.LBB370_208:                            ; =>This Inner Loop Header: Depth=1
	s_clause 0x1
	s_load_b256 s[40:47], s[26:27], 0x4
	s_load_b128 s[56:59], s[26:27], 0x24
	s_load_b256 s[48:55], s[28:29], 0x0
	s_add_co_i32 s39, s39, 4
	s_wait_xcnt 0x0
	s_add_nc_u64 s[26:27], s[26:27], 48
	s_cmp_eq_u32 s24, s39
	s_add_nc_u64 s[28:29], s[28:29], 32
	s_wait_kmcnt 0x0
	v_mul_hi_u32 v4, s41, v1
	s_delay_alu instid0(VALU_DEP_1) | instskip(NEXT) | instid1(VALU_DEP_1)
	v_add_nc_u32_e32 v4, v1, v4
	v_lshrrev_b32_e32 v4, s42, v4
	s_delay_alu instid0(VALU_DEP_1) | instskip(NEXT) | instid1(VALU_DEP_1)
	v_mul_hi_u32 v5, s44, v4
	v_add_nc_u32_e32 v5, v4, v5
	s_delay_alu instid0(VALU_DEP_1) | instskip(NEXT) | instid1(VALU_DEP_1)
	v_lshrrev_b32_e32 v5, s45, v5
	v_mul_hi_u32 v6, s47, v5
	s_delay_alu instid0(VALU_DEP_1) | instskip(SKIP_1) | instid1(VALU_DEP_1)
	v_add_nc_u32_e32 v6, v5, v6
	v_mul_lo_u32 v7, v4, s40
	v_sub_nc_u32_e32 v1, v1, v7
	v_mul_lo_u32 v7, v5, s43
	s_delay_alu instid0(VALU_DEP_4) | instskip(NEXT) | instid1(VALU_DEP_3)
	v_lshrrev_b32_e32 v6, s56, v6
	v_mad_u32 v3, v1, s49, v3
	v_mad_u32 v1, v1, s48, v2
	s_delay_alu instid0(VALU_DEP_4) | instskip(NEXT) | instid1(VALU_DEP_4)
	v_sub_nc_u32_e32 v2, v4, v7
	v_mul_hi_u32 v8, s58, v6
	v_mul_lo_u32 v4, v6, s46
	s_delay_alu instid0(VALU_DEP_3) | instskip(SKIP_1) | instid1(VALU_DEP_4)
	v_mad_u32 v3, v2, s51, v3
	v_mad_u32 v2, v2, s50, v1
	v_add_nc_u32_e32 v7, v6, v8
	s_delay_alu instid0(VALU_DEP_1) | instskip(NEXT) | instid1(VALU_DEP_1)
	v_dual_sub_nc_u32 v4, v5, v4 :: v_dual_lshrrev_b32 v1, s59, v7
	v_mad_u32 v3, v4, s53, v3
	s_delay_alu instid0(VALU_DEP_4) | instskip(NEXT) | instid1(VALU_DEP_3)
	v_mad_u32 v2, v4, s52, v2
	v_mul_lo_u32 v5, v1, s57
	s_delay_alu instid0(VALU_DEP_1) | instskip(NEXT) | instid1(VALU_DEP_1)
	v_sub_nc_u32_e32 v4, v6, v5
	v_mad_u32 v3, v4, s55, v3
	s_delay_alu instid0(VALU_DEP_4)
	v_mad_u32 v2, v4, s54, v2
	s_cbranch_scc0 .LBB370_208
	s_branch .LBB370_223
.LBB370_209:
                                        ; implicit-def: $vgpr3
	s_branch .LBB370_227
.LBB370_210:
	v_dual_mov_b32 v3, 0 :: v_dual_mov_b32 v2, 0
	s_branch .LBB370_226
.LBB370_211:
	v_mov_b64_e32 v[2:3], 0
	v_mov_b32_e32 v1, v0
	s_mov_b32 s24, 0
.LBB370_212:
	s_and_b32 s28, s25, 3
	s_mov_b32 s25, 0
	s_cmp_eq_u32 s28, 0
	s_cbranch_scc1 .LBB370_215
; %bb.213:
	s_lshl_b32 s26, s24, 3
	s_mov_b32 s27, s25
	s_mul_u64 s[40:41], s[24:25], 12
	s_add_nc_u64 s[26:27], s[12:13], s[26:27]
	s_delay_alu instid0(SALU_CYCLE_1)
	s_add_nc_u64 s[24:25], s[26:27], 0xc4
	s_add_nc_u64 s[26:27], s[12:13], s[40:41]
.LBB370_214:                            ; =>This Inner Loop Header: Depth=1
	s_load_b96 s[40:42], s[26:27], 0x4
	s_add_co_i32 s28, s28, -1
	s_wait_xcnt 0x0
	s_add_nc_u64 s[26:27], s[26:27], 12
	s_cmp_lg_u32 s28, 0
	s_wait_kmcnt 0x0
	v_mul_hi_u32 v4, s41, v1
	s_delay_alu instid0(VALU_DEP_1) | instskip(NEXT) | instid1(VALU_DEP_1)
	v_add_nc_u32_e32 v4, v1, v4
	v_lshrrev_b32_e32 v4, s42, v4
	s_load_b64 s[42:43], s[24:25], 0x0
	s_wait_xcnt 0x0
	s_add_nc_u64 s[24:25], s[24:25], 8
	s_delay_alu instid0(VALU_DEP_1) | instskip(NEXT) | instid1(VALU_DEP_1)
	v_mul_lo_u32 v5, v4, s40
	v_sub_nc_u32_e32 v1, v1, v5
	s_wait_kmcnt 0x0
	s_delay_alu instid0(VALU_DEP_1)
	v_mad_u32 v3, v1, s43, v3
	v_mad_u32 v2, v1, s42, v2
	v_mov_b32_e32 v1, v4
	s_cbranch_scc1 .LBB370_214
.LBB370_215:
	s_cbranch_execnz .LBB370_218
.LBB370_216:
	v_mov_b32_e32 v1, 0
	s_and_not1_b32 vcc_lo, exec_lo, s35
	s_delay_alu instid0(VALU_DEP_1) | instskip(NEXT) | instid1(VALU_DEP_1)
	v_mul_u64_e32 v[2:3], s[18:19], v[0:1]
	v_add_nc_u32_e32 v2, v0, v3
	s_delay_alu instid0(VALU_DEP_1) | instskip(NEXT) | instid1(VALU_DEP_1)
	v_lshrrev_b32_e32 v4, s6, v2
	v_mul_lo_u32 v2, v4, s4
	s_delay_alu instid0(VALU_DEP_1) | instskip(NEXT) | instid1(VALU_DEP_1)
	v_sub_nc_u32_e32 v2, v0, v2
	v_mul_lo_u32 v3, v2, s9
	v_mul_lo_u32 v2, v2, s8
	s_cbranch_vccnz .LBB370_218
; %bb.217:
	v_mov_b32_e32 v5, v1
	s_delay_alu instid0(VALU_DEP_1) | instskip(NEXT) | instid1(VALU_DEP_1)
	v_mul_u64_e32 v[6:7], s[20:21], v[4:5]
	v_add_nc_u32_e32 v1, v4, v7
	s_delay_alu instid0(VALU_DEP_1) | instskip(NEXT) | instid1(VALU_DEP_1)
	v_lshrrev_b32_e32 v1, s17, v1
	v_mul_lo_u32 v1, v1, s7
	s_delay_alu instid0(VALU_DEP_1) | instskip(NEXT) | instid1(VALU_DEP_1)
	v_sub_nc_u32_e32 v1, v4, v1
	v_mad_u32 v2, v1, s10, v2
	v_mad_u32 v3, v1, s11, v3
.LBB370_218:
	global_load_b64 v[4:5], v3, s[2:3]
	v_add_nc_u32_e32 v0, 0x80, v0
	s_wait_loadcnt 0x0
	v_cmp_ne_u64_e32 vcc_lo, s[14:15], v[4:5]
	s_xor_b32 s24, s5, vcc_lo
	s_delay_alu instid0(SALU_CYCLE_1) | instskip(SKIP_3) | instid1(SALU_CYCLE_1)
	v_cndmask_b32_e64 v1, 0, 1, s24
	global_store_b8 v2, v1, s[0:1]
	s_wait_xcnt 0x0
	s_or_b32 exec_lo, exec_lo, s16
	s_mov_b32 s16, exec_lo
	v_cmpx_gt_i32_e64 s36, v0
	s_cbranch_execnz .LBB370_204
.LBB370_219:
	s_or_b32 exec_lo, exec_lo, s16
	s_delay_alu instid0(SALU_CYCLE_1)
	s_mov_b32 s16, exec_lo
	v_cmpx_gt_i32_e64 s36, v0
	s_cbranch_execnz .LBB370_230
.LBB370_220:
	s_or_b32 exec_lo, exec_lo, s16
                                        ; implicit-def: $vgpr16
                                        ; implicit-def: $vgpr0
	s_and_not1_saveexec_b32 s0, s34
	s_cbranch_execnz .LBB370_8
.LBB370_221:
	s_endpgm
.LBB370_222:
	v_mov_b64_e32 v[2:3], 0
	v_mov_b32_e32 v1, v0
	s_mov_b32 s24, 0
.LBB370_223:
	s_and_b32 s28, s25, 3
	s_mov_b32 s25, 0
	s_cmp_eq_u32 s28, 0
	s_cbranch_scc1 .LBB370_226
; %bb.224:
	s_lshl_b32 s26, s24, 3
	s_mov_b32 s27, s25
	s_mul_u64 s[40:41], s[24:25], 12
	s_add_nc_u64 s[26:27], s[12:13], s[26:27]
	s_delay_alu instid0(SALU_CYCLE_1)
	s_add_nc_u64 s[24:25], s[26:27], 0xc4
	s_add_nc_u64 s[26:27], s[12:13], s[40:41]
.LBB370_225:                            ; =>This Inner Loop Header: Depth=1
	s_load_b96 s[40:42], s[26:27], 0x4
	s_add_co_i32 s28, s28, -1
	s_wait_xcnt 0x0
	s_add_nc_u64 s[26:27], s[26:27], 12
	s_cmp_lg_u32 s28, 0
	s_wait_kmcnt 0x0
	v_mul_hi_u32 v4, s41, v1
	s_delay_alu instid0(VALU_DEP_1) | instskip(NEXT) | instid1(VALU_DEP_1)
	v_add_nc_u32_e32 v4, v1, v4
	v_lshrrev_b32_e32 v4, s42, v4
	s_load_b64 s[42:43], s[24:25], 0x0
	s_wait_xcnt 0x0
	s_add_nc_u64 s[24:25], s[24:25], 8
	s_delay_alu instid0(VALU_DEP_1) | instskip(NEXT) | instid1(VALU_DEP_1)
	v_mul_lo_u32 v5, v4, s40
	v_sub_nc_u32_e32 v1, v1, v5
	s_wait_kmcnt 0x0
	s_delay_alu instid0(VALU_DEP_1)
	v_mad_u32 v3, v1, s43, v3
	v_mad_u32 v2, v1, s42, v2
	v_mov_b32_e32 v1, v4
	s_cbranch_scc1 .LBB370_225
.LBB370_226:
	s_cbranch_execnz .LBB370_229
.LBB370_227:
	v_mov_b32_e32 v1, 0
	s_and_not1_b32 vcc_lo, exec_lo, s35
	s_delay_alu instid0(VALU_DEP_1) | instskip(NEXT) | instid1(VALU_DEP_1)
	v_mul_u64_e32 v[2:3], s[18:19], v[0:1]
	v_add_nc_u32_e32 v2, v0, v3
	s_delay_alu instid0(VALU_DEP_1) | instskip(NEXT) | instid1(VALU_DEP_1)
	v_lshrrev_b32_e32 v4, s6, v2
	v_mul_lo_u32 v2, v4, s4
	s_delay_alu instid0(VALU_DEP_1) | instskip(NEXT) | instid1(VALU_DEP_1)
	v_sub_nc_u32_e32 v2, v0, v2
	v_mul_lo_u32 v3, v2, s9
	v_mul_lo_u32 v2, v2, s8
	s_cbranch_vccnz .LBB370_229
; %bb.228:
	v_mov_b32_e32 v5, v1
	s_delay_alu instid0(VALU_DEP_1) | instskip(NEXT) | instid1(VALU_DEP_1)
	v_mul_u64_e32 v[6:7], s[20:21], v[4:5]
	v_add_nc_u32_e32 v1, v4, v7
	s_delay_alu instid0(VALU_DEP_1) | instskip(NEXT) | instid1(VALU_DEP_1)
	v_lshrrev_b32_e32 v1, s17, v1
	v_mul_lo_u32 v1, v1, s7
	s_delay_alu instid0(VALU_DEP_1) | instskip(NEXT) | instid1(VALU_DEP_1)
	v_sub_nc_u32_e32 v1, v4, v1
	v_mad_u32 v2, v1, s10, v2
	v_mad_u32 v3, v1, s11, v3
.LBB370_229:
	global_load_b64 v[4:5], v3, s[2:3]
	v_add_nc_u32_e32 v0, 0x80, v0
	s_wait_loadcnt 0x0
	v_cmp_ne_u64_e32 vcc_lo, s[14:15], v[4:5]
	s_xor_b32 s24, s5, vcc_lo
	s_delay_alu instid0(SALU_CYCLE_1) | instskip(SKIP_3) | instid1(SALU_CYCLE_1)
	v_cndmask_b32_e64 v1, 0, 1, s24
	global_store_b8 v2, v1, s[0:1]
	s_wait_xcnt 0x0
	s_or_b32 exec_lo, exec_lo, s16
	s_mov_b32 s16, exec_lo
	v_cmpx_gt_i32_e64 s36, v0
	s_cbranch_execz .LBB370_220
.LBB370_230:
	s_and_not1_b32 vcc_lo, exec_lo, s33
	s_cbranch_vccnz .LBB370_235
; %bb.231:
	s_and_not1_b32 vcc_lo, exec_lo, s38
	s_cbranch_vccnz .LBB370_236
; %bb.232:
	s_add_co_i32 s37, s37, 1
	s_cmp_eq_u32 s31, 2
	s_cbranch_scc1 .LBB370_237
; %bb.233:
	v_dual_mov_b32 v2, 0 :: v_dual_mov_b32 v3, 0
	v_mov_b32_e32 v1, v0
	s_and_b32 s24, s37, 28
	s_mov_b32 s25, 0
	s_mov_b64 s[26:27], s[12:13]
.LBB370_234:                            ; =>This Inner Loop Header: Depth=1
	s_clause 0x1
	s_load_b256 s[40:47], s[26:27], 0x4
	s_load_b128 s[56:59], s[26:27], 0x24
	s_load_b256 s[48:55], s[22:23], 0x0
	s_add_co_i32 s25, s25, 4
	s_wait_xcnt 0x0
	s_add_nc_u64 s[26:27], s[26:27], 48
	s_cmp_eq_u32 s24, s25
	s_add_nc_u64 s[22:23], s[22:23], 32
	s_wait_kmcnt 0x0
	v_mul_hi_u32 v4, s41, v1
	s_delay_alu instid0(VALU_DEP_1) | instskip(NEXT) | instid1(VALU_DEP_1)
	v_add_nc_u32_e32 v4, v1, v4
	v_lshrrev_b32_e32 v4, s42, v4
	s_delay_alu instid0(VALU_DEP_1) | instskip(NEXT) | instid1(VALU_DEP_1)
	v_mul_hi_u32 v5, s44, v4
	v_add_nc_u32_e32 v5, v4, v5
	s_delay_alu instid0(VALU_DEP_1) | instskip(NEXT) | instid1(VALU_DEP_1)
	v_lshrrev_b32_e32 v5, s45, v5
	v_mul_hi_u32 v6, s47, v5
	s_delay_alu instid0(VALU_DEP_1) | instskip(SKIP_1) | instid1(VALU_DEP_1)
	v_add_nc_u32_e32 v6, v5, v6
	v_mul_lo_u32 v7, v4, s40
	v_sub_nc_u32_e32 v1, v1, v7
	v_mul_lo_u32 v7, v5, s43
	s_delay_alu instid0(VALU_DEP_4) | instskip(NEXT) | instid1(VALU_DEP_3)
	v_lshrrev_b32_e32 v6, s56, v6
	v_mad_u32 v3, v1, s49, v3
	v_mad_u32 v1, v1, s48, v2
	s_delay_alu instid0(VALU_DEP_4) | instskip(NEXT) | instid1(VALU_DEP_4)
	v_sub_nc_u32_e32 v2, v4, v7
	v_mul_hi_u32 v8, s58, v6
	v_mul_lo_u32 v4, v6, s46
	s_delay_alu instid0(VALU_DEP_3) | instskip(SKIP_1) | instid1(VALU_DEP_4)
	v_mad_u32 v3, v2, s51, v3
	v_mad_u32 v2, v2, s50, v1
	v_add_nc_u32_e32 v7, v6, v8
	s_delay_alu instid0(VALU_DEP_1) | instskip(NEXT) | instid1(VALU_DEP_1)
	v_dual_sub_nc_u32 v4, v5, v4 :: v_dual_lshrrev_b32 v1, s59, v7
	v_mad_u32 v3, v4, s53, v3
	s_delay_alu instid0(VALU_DEP_4) | instskip(NEXT) | instid1(VALU_DEP_3)
	v_mad_u32 v2, v4, s52, v2
	v_mul_lo_u32 v5, v1, s57
	s_delay_alu instid0(VALU_DEP_1) | instskip(NEXT) | instid1(VALU_DEP_1)
	v_sub_nc_u32_e32 v4, v6, v5
	v_mad_u32 v3, v4, s55, v3
	s_delay_alu instid0(VALU_DEP_4)
	v_mad_u32 v2, v4, s54, v2
	s_cbranch_scc0 .LBB370_234
	s_branch .LBB370_238
.LBB370_235:
                                        ; implicit-def: $vgpr3
	s_branch .LBB370_242
.LBB370_236:
	v_dual_mov_b32 v3, 0 :: v_dual_mov_b32 v2, 0
	s_branch .LBB370_241
.LBB370_237:
	v_mov_b64_e32 v[2:3], 0
	v_mov_b32_e32 v1, v0
	s_mov_b32 s24, 0
.LBB370_238:
	s_and_b32 s26, s37, 3
	s_mov_b32 s25, 0
	s_cmp_eq_u32 s26, 0
	s_cbranch_scc1 .LBB370_241
; %bb.239:
	s_lshl_b32 s22, s24, 3
	s_mov_b32 s23, s25
	s_mul_u64 s[24:25], s[24:25], 12
	s_add_nc_u64 s[22:23], s[12:13], s[22:23]
	s_add_nc_u64 s[24:25], s[12:13], s[24:25]
	;; [unrolled: 1-line block ×3, first 2 shown]
.LBB370_240:                            ; =>This Inner Loop Header: Depth=1
	s_load_b96 s[36:38], s[24:25], 0x4
	s_load_b64 s[28:29], s[22:23], 0x0
	s_add_co_i32 s26, s26, -1
	s_wait_xcnt 0x0
	s_add_nc_u64 s[24:25], s[24:25], 12
	s_cmp_lg_u32 s26, 0
	s_add_nc_u64 s[22:23], s[22:23], 8
	s_wait_kmcnt 0x0
	v_mul_hi_u32 v4, s37, v1
	s_delay_alu instid0(VALU_DEP_1) | instskip(NEXT) | instid1(VALU_DEP_1)
	v_add_nc_u32_e32 v4, v1, v4
	v_lshrrev_b32_e32 v4, s38, v4
	s_delay_alu instid0(VALU_DEP_1) | instskip(NEXT) | instid1(VALU_DEP_1)
	v_mul_lo_u32 v5, v4, s36
	v_sub_nc_u32_e32 v1, v1, v5
	s_delay_alu instid0(VALU_DEP_1)
	v_mad_u32 v3, v1, s29, v3
	v_mad_u32 v2, v1, s28, v2
	v_mov_b32_e32 v1, v4
	s_cbranch_scc1 .LBB370_240
.LBB370_241:
	s_cbranch_execnz .LBB370_244
.LBB370_242:
	v_mov_b32_e32 v1, 0
	s_and_not1_b32 vcc_lo, exec_lo, s35
	s_delay_alu instid0(VALU_DEP_1) | instskip(NEXT) | instid1(VALU_DEP_1)
	v_mul_u64_e32 v[2:3], s[18:19], v[0:1]
	v_add_nc_u32_e32 v2, v0, v3
	s_delay_alu instid0(VALU_DEP_1) | instskip(NEXT) | instid1(VALU_DEP_1)
	v_lshrrev_b32_e32 v4, s6, v2
	v_mul_lo_u32 v2, v4, s4
	s_delay_alu instid0(VALU_DEP_1) | instskip(NEXT) | instid1(VALU_DEP_1)
	v_sub_nc_u32_e32 v0, v0, v2
	v_mul_lo_u32 v3, v0, s9
	v_mul_lo_u32 v2, v0, s8
	s_cbranch_vccnz .LBB370_244
; %bb.243:
	v_mov_b32_e32 v5, v1
	s_delay_alu instid0(VALU_DEP_1) | instskip(NEXT) | instid1(VALU_DEP_1)
	v_mul_u64_e32 v[0:1], s[20:21], v[4:5]
	v_add_nc_u32_e32 v0, v4, v1
	s_delay_alu instid0(VALU_DEP_1) | instskip(NEXT) | instid1(VALU_DEP_1)
	v_lshrrev_b32_e32 v0, s17, v0
	v_mul_lo_u32 v0, v0, s7
	s_delay_alu instid0(VALU_DEP_1) | instskip(NEXT) | instid1(VALU_DEP_1)
	v_sub_nc_u32_e32 v0, v4, v0
	v_mad_u32 v2, v0, s10, v2
	v_mad_u32 v3, v0, s11, v3
.LBB370_244:
	global_load_b64 v[0:1], v3, s[2:3]
	s_wait_loadcnt 0x0
	v_cmp_ne_u64_e32 vcc_lo, s[14:15], v[0:1]
	s_wait_xcnt 0x0
	s_xor_b32 s2, s5, vcc_lo
	s_delay_alu instid0(SALU_CYCLE_1)
	v_cndmask_b32_e64 v0, 0, 1, s2
	global_store_b8 v2, v0, s[0:1]
	s_wait_xcnt 0x0
	s_or_b32 exec_lo, exec_lo, s16
                                        ; implicit-def: $vgpr16
                                        ; implicit-def: $vgpr0
	s_and_not1_saveexec_b32 s0, s34
	s_cbranch_execz .LBB370_221
	s_branch .LBB370_8
	.section	.rodata,"a",@progbits
	.p2align	6, 0x0
	.amdhsa_kernel _ZN2at6native32elementwise_kernel_manual_unrollILi128ELi8EZNS0_22gpu_kernel_impl_nocastINS0_13AUnaryFunctorImmbNS0_12_GLOBAL__N_116CompareEqFunctorImEEEEEEvRNS_18TensorIteratorBaseERKT_EUlibE_EEviT1_
		.amdhsa_group_segment_fixed_size 0
		.amdhsa_private_segment_fixed_size 0
		.amdhsa_kernarg_size 368
		.amdhsa_user_sgpr_count 2
		.amdhsa_user_sgpr_dispatch_ptr 0
		.amdhsa_user_sgpr_queue_ptr 0
		.amdhsa_user_sgpr_kernarg_segment_ptr 1
		.amdhsa_user_sgpr_dispatch_id 0
		.amdhsa_user_sgpr_kernarg_preload_length 0
		.amdhsa_user_sgpr_kernarg_preload_offset 0
		.amdhsa_user_sgpr_private_segment_size 0
		.amdhsa_wavefront_size32 1
		.amdhsa_uses_dynamic_stack 0
		.amdhsa_enable_private_segment 0
		.amdhsa_system_sgpr_workgroup_id_x 1
		.amdhsa_system_sgpr_workgroup_id_y 0
		.amdhsa_system_sgpr_workgroup_id_z 0
		.amdhsa_system_sgpr_workgroup_info 0
		.amdhsa_system_vgpr_workitem_id 0
		.amdhsa_next_free_vgpr 32
		.amdhsa_next_free_sgpr 60
		.amdhsa_named_barrier_count 0
		.amdhsa_reserve_vcc 1
		.amdhsa_float_round_mode_32 0
		.amdhsa_float_round_mode_16_64 0
		.amdhsa_float_denorm_mode_32 3
		.amdhsa_float_denorm_mode_16_64 3
		.amdhsa_fp16_overflow 0
		.amdhsa_memory_ordered 1
		.amdhsa_forward_progress 1
		.amdhsa_inst_pref_size 100
		.amdhsa_round_robin_scheduling 0
		.amdhsa_exception_fp_ieee_invalid_op 0
		.amdhsa_exception_fp_denorm_src 0
		.amdhsa_exception_fp_ieee_div_zero 0
		.amdhsa_exception_fp_ieee_overflow 0
		.amdhsa_exception_fp_ieee_underflow 0
		.amdhsa_exception_fp_ieee_inexact 0
		.amdhsa_exception_int_div_zero 0
	.end_amdhsa_kernel
	.section	.text._ZN2at6native32elementwise_kernel_manual_unrollILi128ELi8EZNS0_22gpu_kernel_impl_nocastINS0_13AUnaryFunctorImmbNS0_12_GLOBAL__N_116CompareEqFunctorImEEEEEEvRNS_18TensorIteratorBaseERKT_EUlibE_EEviT1_,"axG",@progbits,_ZN2at6native32elementwise_kernel_manual_unrollILi128ELi8EZNS0_22gpu_kernel_impl_nocastINS0_13AUnaryFunctorImmbNS0_12_GLOBAL__N_116CompareEqFunctorImEEEEEEvRNS_18TensorIteratorBaseERKT_EUlibE_EEviT1_,comdat
.Lfunc_end370:
	.size	_ZN2at6native32elementwise_kernel_manual_unrollILi128ELi8EZNS0_22gpu_kernel_impl_nocastINS0_13AUnaryFunctorImmbNS0_12_GLOBAL__N_116CompareEqFunctorImEEEEEEvRNS_18TensorIteratorBaseERKT_EUlibE_EEviT1_, .Lfunc_end370-_ZN2at6native32elementwise_kernel_manual_unrollILi128ELi8EZNS0_22gpu_kernel_impl_nocastINS0_13AUnaryFunctorImmbNS0_12_GLOBAL__N_116CompareEqFunctorImEEEEEEvRNS_18TensorIteratorBaseERKT_EUlibE_EEviT1_
                                        ; -- End function
	.set _ZN2at6native32elementwise_kernel_manual_unrollILi128ELi8EZNS0_22gpu_kernel_impl_nocastINS0_13AUnaryFunctorImmbNS0_12_GLOBAL__N_116CompareEqFunctorImEEEEEEvRNS_18TensorIteratorBaseERKT_EUlibE_EEviT1_.num_vgpr, 32
	.set _ZN2at6native32elementwise_kernel_manual_unrollILi128ELi8EZNS0_22gpu_kernel_impl_nocastINS0_13AUnaryFunctorImmbNS0_12_GLOBAL__N_116CompareEqFunctorImEEEEEEvRNS_18TensorIteratorBaseERKT_EUlibE_EEviT1_.num_agpr, 0
	.set _ZN2at6native32elementwise_kernel_manual_unrollILi128ELi8EZNS0_22gpu_kernel_impl_nocastINS0_13AUnaryFunctorImmbNS0_12_GLOBAL__N_116CompareEqFunctorImEEEEEEvRNS_18TensorIteratorBaseERKT_EUlibE_EEviT1_.numbered_sgpr, 60
	.set _ZN2at6native32elementwise_kernel_manual_unrollILi128ELi8EZNS0_22gpu_kernel_impl_nocastINS0_13AUnaryFunctorImmbNS0_12_GLOBAL__N_116CompareEqFunctorImEEEEEEvRNS_18TensorIteratorBaseERKT_EUlibE_EEviT1_.num_named_barrier, 0
	.set _ZN2at6native32elementwise_kernel_manual_unrollILi128ELi8EZNS0_22gpu_kernel_impl_nocastINS0_13AUnaryFunctorImmbNS0_12_GLOBAL__N_116CompareEqFunctorImEEEEEEvRNS_18TensorIteratorBaseERKT_EUlibE_EEviT1_.private_seg_size, 0
	.set _ZN2at6native32elementwise_kernel_manual_unrollILi128ELi8EZNS0_22gpu_kernel_impl_nocastINS0_13AUnaryFunctorImmbNS0_12_GLOBAL__N_116CompareEqFunctorImEEEEEEvRNS_18TensorIteratorBaseERKT_EUlibE_EEviT1_.uses_vcc, 1
	.set _ZN2at6native32elementwise_kernel_manual_unrollILi128ELi8EZNS0_22gpu_kernel_impl_nocastINS0_13AUnaryFunctorImmbNS0_12_GLOBAL__N_116CompareEqFunctorImEEEEEEvRNS_18TensorIteratorBaseERKT_EUlibE_EEviT1_.uses_flat_scratch, 0
	.set _ZN2at6native32elementwise_kernel_manual_unrollILi128ELi8EZNS0_22gpu_kernel_impl_nocastINS0_13AUnaryFunctorImmbNS0_12_GLOBAL__N_116CompareEqFunctorImEEEEEEvRNS_18TensorIteratorBaseERKT_EUlibE_EEviT1_.has_dyn_sized_stack, 0
	.set _ZN2at6native32elementwise_kernel_manual_unrollILi128ELi8EZNS0_22gpu_kernel_impl_nocastINS0_13AUnaryFunctorImmbNS0_12_GLOBAL__N_116CompareEqFunctorImEEEEEEvRNS_18TensorIteratorBaseERKT_EUlibE_EEviT1_.has_recursion, 0
	.set _ZN2at6native32elementwise_kernel_manual_unrollILi128ELi8EZNS0_22gpu_kernel_impl_nocastINS0_13AUnaryFunctorImmbNS0_12_GLOBAL__N_116CompareEqFunctorImEEEEEEvRNS_18TensorIteratorBaseERKT_EUlibE_EEviT1_.has_indirect_call, 0
	.section	.AMDGPU.csdata,"",@progbits
; Kernel info:
; codeLenInByte = 12692
; TotalNumSgprs: 62
; NumVgprs: 32
; ScratchSize: 0
; MemoryBound: 0
; FloatMode: 240
; IeeeMode: 1
; LDSByteSize: 0 bytes/workgroup (compile time only)
; SGPRBlocks: 0
; VGPRBlocks: 1
; NumSGPRsForWavesPerEU: 62
; NumVGPRsForWavesPerEU: 32
; NamedBarCnt: 0
; Occupancy: 16
; WaveLimiterHint : 1
; COMPUTE_PGM_RSRC2:SCRATCH_EN: 0
; COMPUTE_PGM_RSRC2:USER_SGPR: 2
; COMPUTE_PGM_RSRC2:TRAP_HANDLER: 0
; COMPUTE_PGM_RSRC2:TGID_X_EN: 1
; COMPUTE_PGM_RSRC2:TGID_Y_EN: 0
; COMPUTE_PGM_RSRC2:TGID_Z_EN: 0
; COMPUTE_PGM_RSRC2:TIDIG_COMP_CNT: 0
	.section	.text._ZN2at6native32elementwise_kernel_manual_unrollILi128ELi4EZNS0_15gpu_kernel_implINS0_13AUnaryFunctorImmbNS0_12_GLOBAL__N_116CompareEqFunctorImEEEEEEvRNS_18TensorIteratorBaseERKT_EUlibE_EEviT1_,"axG",@progbits,_ZN2at6native32elementwise_kernel_manual_unrollILi128ELi4EZNS0_15gpu_kernel_implINS0_13AUnaryFunctorImmbNS0_12_GLOBAL__N_116CompareEqFunctorImEEEEEEvRNS_18TensorIteratorBaseERKT_EUlibE_EEviT1_,comdat
	.globl	_ZN2at6native32elementwise_kernel_manual_unrollILi128ELi4EZNS0_15gpu_kernel_implINS0_13AUnaryFunctorImmbNS0_12_GLOBAL__N_116CompareEqFunctorImEEEEEEvRNS_18TensorIteratorBaseERKT_EUlibE_EEviT1_ ; -- Begin function _ZN2at6native32elementwise_kernel_manual_unrollILi128ELi4EZNS0_15gpu_kernel_implINS0_13AUnaryFunctorImmbNS0_12_GLOBAL__N_116CompareEqFunctorImEEEEEEvRNS_18TensorIteratorBaseERKT_EUlibE_EEviT1_
	.p2align	8
	.type	_ZN2at6native32elementwise_kernel_manual_unrollILi128ELi4EZNS0_15gpu_kernel_implINS0_13AUnaryFunctorImmbNS0_12_GLOBAL__N_116CompareEqFunctorImEEEEEEvRNS_18TensorIteratorBaseERKT_EUlibE_EEviT1_,@function
_ZN2at6native32elementwise_kernel_manual_unrollILi128ELi4EZNS0_15gpu_kernel_implINS0_13AUnaryFunctorImmbNS0_12_GLOBAL__N_116CompareEqFunctorImEEEEEEvRNS_18TensorIteratorBaseERKT_EUlibE_EEviT1_: ; @_ZN2at6native32elementwise_kernel_manual_unrollILi128ELi4EZNS0_15gpu_kernel_implINS0_13AUnaryFunctorImmbNS0_12_GLOBAL__N_116CompareEqFunctorImEEEEEEvRNS_18TensorIteratorBaseERKT_EUlibE_EEviT1_
; %bb.0:
	s_clause 0x1
	s_load_b96 s[8:10], s[0:1], 0x28
	s_load_b96 s[12:14], s[0:1], 0x18
	s_bfe_u32 s2, ttmp6, 0x4000c
	s_clause 0x1
	s_load_b32 s15, s[0:1], 0x0
	s_load_b128 s[4:7], s[0:1], 0x8
	s_add_co_i32 s2, s2, 1
	s_and_b32 s3, ttmp6, 15
	s_wait_xcnt 0x0
	s_mul_i32 s0, ttmp9, s2
	s_getreg_b32 s11, hwreg(HW_REG_IB_STS2, 6, 4)
	s_add_co_i32 s3, s3, s0
	s_mov_b32 s1, 0
	s_wait_kmcnt 0x0
	s_bfe_u32 s2, s10, 0x80008
	s_cmp_eq_u32 s11, 0
	s_mov_b32 s11, 0
	s_cselect_b32 s0, ttmp9, s3
	s_delay_alu instid0(SALU_CYCLE_1) | instskip(SKIP_1) | instid1(VALU_DEP_1)
	v_lshl_or_b32 v10, s0, 9, v0
	s_mov_b32 s0, exec_lo
	v_or_b32_e32 v0, 0x180, v10
	s_delay_alu instid0(VALU_DEP_1)
	v_cmpx_le_i32_e64 s15, v0
	s_xor_b32 s3, exec_lo, s0
	s_cbranch_execz .LBB371_1015
; %bb.1:
	s_cmp_eq_u32 s14, 0
	s_mov_b32 s19, 0
	s_cselect_b32 s11, -1, 0
	s_mov_b32 s21, -1
	s_mov_b32 s17, 0
	s_mov_b32 s16, 0
	s_mov_b32 s18, exec_lo
	v_cmpx_gt_i32_e64 s15, v10
	s_cbranch_execz .LBB371_248
; %bb.2:
	v_mul_lo_u32 v0, v10, s13
	s_and_b32 s0, 0xffff, s2
	s_delay_alu instid0(SALU_CYCLE_1) | instskip(NEXT) | instid1(VALU_DEP_1)
	s_cmp_lt_i32 s0, 11
	v_ashrrev_i32_e32 v1, 31, v0
	s_delay_alu instid0(VALU_DEP_1)
	v_add_nc_u64_e32 v[0:1], s[6:7], v[0:1]
	s_cbranch_scc1 .LBB371_9
; %bb.3:
	s_cmp_gt_i32 s0, 25
	s_cbranch_scc0 .LBB371_18
; %bb.4:
	s_cmp_gt_i32 s0, 28
	s_cbranch_scc0 .LBB371_21
; %bb.5:
	s_cmp_gt_i32 s0, 43
	s_cbranch_scc0 .LBB371_23
; %bb.6:
	s_cmp_gt_i32 s0, 45
	s_cbranch_scc0 .LBB371_25
; %bb.7:
	s_cmp_eq_u32 s0, 46
	s_mov_b32 s20, 0
	s_cbranch_scc0 .LBB371_27
; %bb.8:
	global_load_b32 v2, v[0:1], off
	s_mov_b32 s16, -1
	s_wait_loadcnt 0x0
	v_lshlrev_b32_e32 v2, 16, v2
	s_delay_alu instid0(VALU_DEP_1) | instskip(NEXT) | instid1(VALU_DEP_1)
	v_trunc_f32_e32 v2, v2
	v_mul_f32_e32 v3, 0x2f800000, v2
	s_delay_alu instid0(VALU_DEP_1) | instskip(NEXT) | instid1(VALU_DEP_1)
	v_floor_f32_e32 v3, v3
	v_fmamk_f32 v2, v3, 0xcf800000, v2
	v_cvt_u32_f32_e32 v3, v3
	s_delay_alu instid0(VALU_DEP_2)
	v_cvt_u32_f32_e32 v2, v2
	s_branch .LBB371_29
.LBB371_9:
                                        ; implicit-def: $vgpr2_vgpr3
	s_cbranch_execnz .LBB371_198
.LBB371_10:
	s_and_not1_b32 vcc_lo, exec_lo, s16
	s_cbranch_vccnz .LBB371_245
.LBB371_11:
	s_wait_xcnt 0x0
	v_mul_lo_u32 v0, v10, s12
	s_wait_loadcnt 0x0
	s_delay_alu instid0(VALU_DEP_2) | instskip(SKIP_3) | instid1(VALU_DEP_2)
	v_cmp_ne_u64_e32 vcc_lo, s[8:9], v[2:3]
	s_and_b32 s20, s10, 0xff
	s_xor_b32 s16, s11, vcc_lo
	s_cmp_lt_i32 s20, 11
	v_ashrrev_i32_e32 v1, 31, v0
	s_delay_alu instid0(VALU_DEP_1)
	v_add_nc_u64_e32 v[0:1], s[4:5], v[0:1]
	s_cbranch_scc1 .LBB371_19
; %bb.12:
	s_and_b32 s21, 0xffff, s20
	s_delay_alu instid0(SALU_CYCLE_1)
	s_cmp_gt_i32 s21, 25
	s_cbranch_scc0 .LBB371_22
; %bb.13:
	s_cmp_gt_i32 s21, 28
	s_cbranch_scc0 .LBB371_24
; %bb.14:
	;; [unrolled: 3-line block ×4, first 2 shown]
	s_mov_b32 s23, 0
	s_mov_b32 s0, -1
	s_cmp_eq_u32 s21, 46
	s_mov_b32 s22, 0
	s_cbranch_scc0 .LBB371_33
; %bb.17:
	v_cndmask_b32_e64 v2, 0, 1.0, s16
	s_mov_b32 s22, -1
	s_mov_b32 s0, 0
	s_delay_alu instid0(VALU_DEP_1) | instskip(NEXT) | instid1(VALU_DEP_1)
	v_bfe_u32 v3, v2, 16, 1
	v_add3_u32 v2, v2, v3, 0x7fff
	s_delay_alu instid0(VALU_DEP_1)
	v_lshrrev_b32_e32 v2, 16, v2
	global_store_b32 v[0:1], v2, off
	s_branch .LBB371_33
.LBB371_18:
                                        ; implicit-def: $vgpr2_vgpr3
	s_cbranch_execnz .LBB371_165
	s_branch .LBB371_197
.LBB371_19:
	s_mov_b32 s0, 0
	s_mov_b32 s22, 0
	s_cbranch_execnz .LBB371_102
.LBB371_20:
	s_and_not1_b32 vcc_lo, exec_lo, s22
	s_cbranch_vccnz .LBB371_246
	s_branch .LBB371_140
.LBB371_21:
	s_mov_b32 s20, -1
                                        ; implicit-def: $vgpr2_vgpr3
	s_branch .LBB371_148
.LBB371_22:
	s_mov_b32 s23, -1
	s_mov_b32 s0, 0
	s_mov_b32 s22, 0
	s_branch .LBB371_60
.LBB371_23:
	s_mov_b32 s20, -1
                                        ; implicit-def: $vgpr2_vgpr3
	s_branch .LBB371_143
.LBB371_24:
	s_mov_b32 s23, -1
	s_mov_b32 s0, 0
	s_mov_b32 s22, 0
	s_branch .LBB371_43
.LBB371_25:
	s_mov_b32 s20, -1
	s_branch .LBB371_28
.LBB371_26:
	s_mov_b32 s23, -1
	s_mov_b32 s0, 0
	s_mov_b32 s22, 0
	s_branch .LBB371_39
.LBB371_27:
	s_mov_b32 s17, -1
.LBB371_28:
                                        ; implicit-def: $vgpr2_vgpr3
.LBB371_29:
	s_and_b32 vcc_lo, exec_lo, s20
	s_cbranch_vccz .LBB371_142
; %bb.30:
	s_cmp_eq_u32 s0, 44
	s_cbranch_scc0 .LBB371_141
; %bb.31:
	global_load_u8 v2, v[0:1], off
	s_mov_b32 s17, 0
	s_mov_b32 s16, -1
	s_wait_loadcnt 0x0
	v_cmp_ne_u32_e32 vcc_lo, 0, v2
	v_lshlrev_b32_e32 v3, 23, v2
	s_delay_alu instid0(VALU_DEP_1) | instskip(NEXT) | instid1(VALU_DEP_1)
	v_trunc_f32_e32 v3, v3
	v_mul_f32_e32 v4, 0x2f800000, v3
	s_delay_alu instid0(VALU_DEP_1) | instskip(NEXT) | instid1(VALU_DEP_1)
	v_floor_f32_e32 v4, v4
	v_fmamk_f32 v3, v4, 0xcf800000, v3
	v_cvt_u32_f32_e32 v4, v4
	s_delay_alu instid0(VALU_DEP_2) | instskip(NEXT) | instid1(VALU_DEP_1)
	v_cvt_u32_f32_e32 v5, v3
	v_dual_cndmask_b32 v3, 0, v4 :: v_dual_cndmask_b32 v2, 0, v5
	s_branch .LBB371_142
.LBB371_32:
	s_mov_b32 s23, -1
	s_mov_b32 s0, 0
	s_mov_b32 s22, 0
.LBB371_33:
	s_and_b32 vcc_lo, exec_lo, s23
	s_cbranch_vccz .LBB371_38
; %bb.34:
	s_cmp_eq_u32 s21, 44
	s_mov_b32 s0, -1
	s_cbranch_scc0 .LBB371_38
; %bb.35:
	v_cndmask_b32_e64 v4, 0, 1.0, s16
	s_mov_b32 s22, exec_lo
	s_wait_xcnt 0x0
	s_delay_alu instid0(VALU_DEP_1) | instskip(NEXT) | instid1(VALU_DEP_1)
	v_dual_mov_b32 v3, 0xff :: v_dual_lshrrev_b32 v2, 23, v4
	v_cmpx_ne_u32_e32 0xff, v2
; %bb.36:
	v_and_b32_e32 v3, 0x400000, v4
	v_and_or_b32 v4, 0x3fffff, v4, v2
	s_delay_alu instid0(VALU_DEP_2) | instskip(NEXT) | instid1(VALU_DEP_2)
	v_cmp_ne_u32_e32 vcc_lo, 0, v3
	v_cmp_ne_u32_e64 s0, 0, v4
	s_and_b32 s0, vcc_lo, s0
	s_delay_alu instid0(SALU_CYCLE_1) | instskip(NEXT) | instid1(VALU_DEP_1)
	v_cndmask_b32_e64 v3, 0, 1, s0
	v_add_nc_u32_e32 v3, v2, v3
; %bb.37:
	s_or_b32 exec_lo, exec_lo, s22
	s_mov_b32 s22, -1
	s_mov_b32 s0, 0
	global_store_b8 v[0:1], v3, off
.LBB371_38:
	s_mov_b32 s23, 0
.LBB371_39:
	s_delay_alu instid0(SALU_CYCLE_1)
	s_and_b32 vcc_lo, exec_lo, s23
	s_cbranch_vccz .LBB371_42
; %bb.40:
	s_cmp_eq_u32 s21, 29
	s_mov_b32 s0, -1
	s_cbranch_scc0 .LBB371_42
; %bb.41:
	s_mov_b32 s0, 0
	s_wait_xcnt 0x0
	v_cndmask_b32_e64 v2, 0, 1, s16
	v_mov_b32_e32 v3, s0
	s_mov_b32 s22, -1
	s_mov_b32 s23, 0
	global_store_b64 v[0:1], v[2:3], off
	s_branch .LBB371_43
.LBB371_42:
	s_mov_b32 s23, 0
.LBB371_43:
	s_delay_alu instid0(SALU_CYCLE_1)
	s_and_b32 vcc_lo, exec_lo, s23
	s_cbranch_vccz .LBB371_59
; %bb.44:
	s_cmp_lt_i32 s21, 27
	s_mov_b32 s22, -1
	s_cbranch_scc1 .LBB371_50
; %bb.45:
	s_cmp_gt_i32 s21, 27
	s_cbranch_scc0 .LBB371_47
; %bb.46:
	s_wait_xcnt 0x0
	v_cndmask_b32_e64 v2, 0, 1, s16
	s_mov_b32 s22, 0
	global_store_b32 v[0:1], v2, off
.LBB371_47:
	s_and_not1_b32 vcc_lo, exec_lo, s22
	s_cbranch_vccnz .LBB371_49
; %bb.48:
	s_wait_xcnt 0x0
	v_cndmask_b32_e64 v2, 0, 1, s16
	global_store_b16 v[0:1], v2, off
.LBB371_49:
	s_mov_b32 s22, 0
.LBB371_50:
	s_delay_alu instid0(SALU_CYCLE_1)
	s_and_not1_b32 vcc_lo, exec_lo, s22
	s_cbranch_vccnz .LBB371_58
; %bb.51:
	s_wait_xcnt 0x0
	v_cndmask_b32_e64 v3, 0, 1.0, s16
	v_mov_b32_e32 v4, 0x80
	s_mov_b32 s22, exec_lo
	s_delay_alu instid0(VALU_DEP_2)
	v_cmpx_gt_u32_e32 0x43800000, v3
	s_cbranch_execz .LBB371_57
; %bb.52:
	s_mov_b32 s23, 0
	s_mov_b32 s24, exec_lo
                                        ; implicit-def: $vgpr2
	v_cmpx_lt_u32_e32 0x3bffffff, v3
	s_xor_b32 s24, exec_lo, s24
	s_cbranch_execz .LBB371_275
; %bb.53:
	v_bfe_u32 v2, v3, 20, 1
	s_mov_b32 s23, exec_lo
	s_delay_alu instid0(VALU_DEP_1) | instskip(NEXT) | instid1(VALU_DEP_1)
	v_add3_u32 v2, v3, v2, 0x487ffff
                                        ; implicit-def: $vgpr3
	v_lshrrev_b32_e32 v2, 20, v2
	s_and_not1_saveexec_b32 s24, s24
	s_cbranch_execnz .LBB371_276
.LBB371_54:
	s_or_b32 exec_lo, exec_lo, s24
	v_mov_b32_e32 v4, 0
	s_and_saveexec_b32 s24, s23
.LBB371_55:
	v_mov_b32_e32 v4, v2
.LBB371_56:
	s_or_b32 exec_lo, exec_lo, s24
.LBB371_57:
	s_delay_alu instid0(SALU_CYCLE_1)
	s_or_b32 exec_lo, exec_lo, s22
	global_store_b8 v[0:1], v4, off
.LBB371_58:
	s_mov_b32 s22, -1
.LBB371_59:
	s_mov_b32 s23, 0
.LBB371_60:
	s_delay_alu instid0(SALU_CYCLE_1)
	s_and_b32 vcc_lo, exec_lo, s23
	s_cbranch_vccz .LBB371_101
; %bb.61:
	s_cmp_gt_i32 s21, 22
	s_mov_b32 s23, -1
	s_cbranch_scc0 .LBB371_93
; %bb.62:
	s_cmp_lt_i32 s21, 24
	s_mov_b32 s22, -1
	s_cbranch_scc1 .LBB371_82
; %bb.63:
	s_cmp_gt_i32 s21, 24
	s_cbranch_scc0 .LBB371_71
; %bb.64:
	s_wait_xcnt 0x0
	v_cndmask_b32_e64 v3, 0, 1.0, s16
	v_mov_b32_e32 v4, 0x80
	s_mov_b32 s22, exec_lo
	s_delay_alu instid0(VALU_DEP_2)
	v_cmpx_gt_u32_e32 0x47800000, v3
	s_cbranch_execz .LBB371_70
; %bb.65:
	s_mov_b32 s23, 0
	s_mov_b32 s24, exec_lo
                                        ; implicit-def: $vgpr2
	v_cmpx_lt_u32_e32 0x37ffffff, v3
	s_xor_b32 s24, exec_lo, s24
	s_cbranch_execz .LBB371_279
; %bb.66:
	v_bfe_u32 v2, v3, 21, 1
	s_mov_b32 s23, exec_lo
	s_delay_alu instid0(VALU_DEP_1) | instskip(NEXT) | instid1(VALU_DEP_1)
	v_add3_u32 v2, v3, v2, 0x88fffff
                                        ; implicit-def: $vgpr3
	v_lshrrev_b32_e32 v2, 21, v2
	s_and_not1_saveexec_b32 s24, s24
	s_cbranch_execnz .LBB371_280
.LBB371_67:
	s_or_b32 exec_lo, exec_lo, s24
	v_mov_b32_e32 v4, 0
	s_and_saveexec_b32 s24, s23
.LBB371_68:
	v_mov_b32_e32 v4, v2
.LBB371_69:
	s_or_b32 exec_lo, exec_lo, s24
.LBB371_70:
	s_delay_alu instid0(SALU_CYCLE_1)
	s_or_b32 exec_lo, exec_lo, s22
	s_mov_b32 s22, 0
	global_store_b8 v[0:1], v4, off
.LBB371_71:
	s_and_b32 vcc_lo, exec_lo, s22
	s_cbranch_vccz .LBB371_81
; %bb.72:
	s_wait_xcnt 0x0
	v_cndmask_b32_e64 v3, 0, 1.0, s16
	s_mov_b32 s22, exec_lo
                                        ; implicit-def: $vgpr2
	s_delay_alu instid0(VALU_DEP_1)
	v_cmpx_gt_u32_e32 0x43f00000, v3
	s_xor_b32 s22, exec_lo, s22
	s_cbranch_execz .LBB371_78
; %bb.73:
	s_mov_b32 s23, exec_lo
                                        ; implicit-def: $vgpr2
	v_cmpx_lt_u32_e32 0x3c7fffff, v3
	s_xor_b32 s23, exec_lo, s23
; %bb.74:
	v_bfe_u32 v2, v3, 20, 1
	s_delay_alu instid0(VALU_DEP_1) | instskip(NEXT) | instid1(VALU_DEP_1)
	v_add3_u32 v2, v3, v2, 0x407ffff
	v_and_b32_e32 v3, 0xff00000, v2
	v_lshrrev_b32_e32 v2, 20, v2
	s_delay_alu instid0(VALU_DEP_2) | instskip(NEXT) | instid1(VALU_DEP_2)
	v_cmp_ne_u32_e32 vcc_lo, 0x7f00000, v3
                                        ; implicit-def: $vgpr3
	v_cndmask_b32_e32 v2, 0x7e, v2, vcc_lo
; %bb.75:
	s_and_not1_saveexec_b32 s23, s23
; %bb.76:
	v_add_f32_e32 v2, 0x46800000, v3
; %bb.77:
	s_or_b32 exec_lo, exec_lo, s23
                                        ; implicit-def: $vgpr3
.LBB371_78:
	s_and_not1_saveexec_b32 s22, s22
; %bb.79:
	v_mov_b32_e32 v2, 0x7f
	v_cmp_lt_u32_e32 vcc_lo, 0x7f800000, v3
	s_delay_alu instid0(VALU_DEP_2)
	v_cndmask_b32_e32 v2, 0x7e, v2, vcc_lo
; %bb.80:
	s_or_b32 exec_lo, exec_lo, s22
	global_store_b8 v[0:1], v2, off
.LBB371_81:
	s_mov_b32 s22, 0
.LBB371_82:
	s_delay_alu instid0(SALU_CYCLE_1)
	s_and_not1_b32 vcc_lo, exec_lo, s22
	s_cbranch_vccnz .LBB371_92
; %bb.83:
	s_wait_xcnt 0x0
	v_cndmask_b32_e64 v3, 0, 1.0, s16
	s_mov_b32 s22, exec_lo
                                        ; implicit-def: $vgpr2
	s_delay_alu instid0(VALU_DEP_1)
	v_cmpx_gt_u32_e32 0x47800000, v3
	s_xor_b32 s22, exec_lo, s22
	s_cbranch_execz .LBB371_89
; %bb.84:
	s_mov_b32 s23, exec_lo
                                        ; implicit-def: $vgpr2
	v_cmpx_lt_u32_e32 0x387fffff, v3
	s_xor_b32 s23, exec_lo, s23
; %bb.85:
	v_bfe_u32 v2, v3, 21, 1
	s_delay_alu instid0(VALU_DEP_1) | instskip(NEXT) | instid1(VALU_DEP_1)
	v_add3_u32 v2, v3, v2, 0x80fffff
                                        ; implicit-def: $vgpr3
	v_lshrrev_b32_e32 v2, 21, v2
; %bb.86:
	s_and_not1_saveexec_b32 s23, s23
; %bb.87:
	v_add_f32_e32 v2, 0x43000000, v3
; %bb.88:
	s_or_b32 exec_lo, exec_lo, s23
                                        ; implicit-def: $vgpr3
.LBB371_89:
	s_and_not1_saveexec_b32 s22, s22
; %bb.90:
	v_mov_b32_e32 v2, 0x7f
	v_cmp_lt_u32_e32 vcc_lo, 0x7f800000, v3
	s_delay_alu instid0(VALU_DEP_2)
	v_cndmask_b32_e32 v2, 0x7c, v2, vcc_lo
; %bb.91:
	s_or_b32 exec_lo, exec_lo, s22
	global_store_b8 v[0:1], v2, off
.LBB371_92:
	s_mov_b32 s23, 0
	s_mov_b32 s22, -1
.LBB371_93:
	s_and_not1_b32 vcc_lo, exec_lo, s23
	s_cbranch_vccnz .LBB371_101
; %bb.94:
	s_cmp_gt_i32 s21, 14
	s_mov_b32 s23, -1
	s_cbranch_scc0 .LBB371_98
; %bb.95:
	s_cmp_eq_u32 s21, 15
	s_mov_b32 s0, -1
	s_cbranch_scc0 .LBB371_97
; %bb.96:
	s_wait_xcnt 0x0
	v_cndmask_b32_e64 v2, 0, 1.0, s16
	s_mov_b32 s22, -1
	s_mov_b32 s0, 0
	s_delay_alu instid0(VALU_DEP_1) | instskip(NEXT) | instid1(VALU_DEP_1)
	v_bfe_u32 v3, v2, 16, 1
	v_add3_u32 v2, v2, v3, 0x7fff
	global_store_d16_hi_b16 v[0:1], v2, off
.LBB371_97:
	s_mov_b32 s23, 0
.LBB371_98:
	s_delay_alu instid0(SALU_CYCLE_1)
	s_and_b32 vcc_lo, exec_lo, s23
	s_cbranch_vccz .LBB371_101
; %bb.99:
	s_cmp_eq_u32 s21, 11
	s_mov_b32 s0, -1
	s_cbranch_scc0 .LBB371_101
; %bb.100:
	s_wait_xcnt 0x0
	v_cndmask_b32_e64 v2, 0, 1, s16
	s_mov_b32 s22, -1
	s_mov_b32 s0, 0
	global_store_b8 v[0:1], v2, off
.LBB371_101:
	s_branch .LBB371_20
.LBB371_102:
	s_and_b32 s20, 0xffff, s20
	s_mov_b32 s21, -1
	s_cmp_lt_i32 s20, 5
	s_cbranch_scc1 .LBB371_123
; %bb.103:
	s_cmp_lt_i32 s20, 8
	s_cbranch_scc1 .LBB371_113
; %bb.104:
	s_cmp_lt_i32 s20, 9
	s_cbranch_scc1 .LBB371_110
; %bb.105:
	s_cmp_gt_i32 s20, 9
	s_cbranch_scc0 .LBB371_107
; %bb.106:
	s_wait_xcnt 0x0
	v_cndmask_b32_e64 v2, 0, 1, s16
	v_mov_b32_e32 v4, 0
	s_mov_b32 s21, 0
	s_delay_alu instid0(VALU_DEP_2) | instskip(NEXT) | instid1(VALU_DEP_2)
	v_cvt_f64_u32_e32 v[2:3], v2
	v_mov_b32_e32 v5, v4
	global_store_b128 v[0:1], v[2:5], off
.LBB371_107:
	s_and_not1_b32 vcc_lo, exec_lo, s21
	s_cbranch_vccnz .LBB371_109
; %bb.108:
	s_wait_xcnt 0x0
	v_cndmask_b32_e64 v2, 0, 1.0, s16
	v_mov_b32_e32 v3, 0
	global_store_b64 v[0:1], v[2:3], off
.LBB371_109:
	s_mov_b32 s21, 0
.LBB371_110:
	s_delay_alu instid0(SALU_CYCLE_1)
	s_and_not1_b32 vcc_lo, exec_lo, s21
	s_cbranch_vccnz .LBB371_112
; %bb.111:
	s_wait_xcnt 0x0
	v_cndmask_b32_e64 v2, 0, 1.0, s16
	s_delay_alu instid0(VALU_DEP_1) | instskip(NEXT) | instid1(VALU_DEP_1)
	v_cvt_f16_f32_e32 v2, v2
	v_and_b32_e32 v2, 0xffff, v2
	global_store_b32 v[0:1], v2, off
.LBB371_112:
	s_mov_b32 s21, 0
.LBB371_113:
	s_delay_alu instid0(SALU_CYCLE_1)
	s_and_not1_b32 vcc_lo, exec_lo, s21
	s_cbranch_vccnz .LBB371_122
; %bb.114:
	s_cmp_lt_i32 s20, 6
	s_mov_b32 s21, -1
	s_cbranch_scc1 .LBB371_120
; %bb.115:
	s_cmp_gt_i32 s20, 6
	s_cbranch_scc0 .LBB371_117
; %bb.116:
	s_wait_xcnt 0x0
	v_cndmask_b32_e64 v2, 0, 1, s16
	s_mov_b32 s21, 0
	s_delay_alu instid0(VALU_DEP_1)
	v_cvt_f64_u32_e32 v[2:3], v2
	global_store_b64 v[0:1], v[2:3], off
.LBB371_117:
	s_and_not1_b32 vcc_lo, exec_lo, s21
	s_cbranch_vccnz .LBB371_119
; %bb.118:
	s_wait_xcnt 0x0
	v_cndmask_b32_e64 v2, 0, 1.0, s16
	global_store_b32 v[0:1], v2, off
.LBB371_119:
	s_mov_b32 s21, 0
.LBB371_120:
	s_delay_alu instid0(SALU_CYCLE_1)
	s_and_not1_b32 vcc_lo, exec_lo, s21
	s_cbranch_vccnz .LBB371_122
; %bb.121:
	s_wait_xcnt 0x0
	v_cndmask_b32_e64 v2, 0, 1.0, s16
	s_delay_alu instid0(VALU_DEP_1)
	v_cvt_f16_f32_e32 v2, v2
	global_store_b16 v[0:1], v2, off
.LBB371_122:
	s_mov_b32 s21, 0
.LBB371_123:
	s_delay_alu instid0(SALU_CYCLE_1)
	s_and_not1_b32 vcc_lo, exec_lo, s21
	s_cbranch_vccnz .LBB371_139
; %bb.124:
	s_cmp_lt_i32 s20, 2
	s_mov_b32 s21, -1
	s_cbranch_scc1 .LBB371_134
; %bb.125:
	s_cmp_lt_i32 s20, 3
	s_cbranch_scc1 .LBB371_131
; %bb.126:
	s_cmp_gt_i32 s20, 3
	s_cbranch_scc0 .LBB371_128
; %bb.127:
	s_mov_b32 s21, 0
	s_wait_xcnt 0x0
	v_cndmask_b32_e64 v2, 0, 1, s16
	v_mov_b32_e32 v3, s21
	global_store_b64 v[0:1], v[2:3], off
.LBB371_128:
	s_and_not1_b32 vcc_lo, exec_lo, s21
	s_cbranch_vccnz .LBB371_130
; %bb.129:
	s_wait_xcnt 0x0
	v_cndmask_b32_e64 v2, 0, 1, s16
	global_store_b32 v[0:1], v2, off
.LBB371_130:
	s_mov_b32 s21, 0
.LBB371_131:
	s_delay_alu instid0(SALU_CYCLE_1)
	s_and_not1_b32 vcc_lo, exec_lo, s21
	s_cbranch_vccnz .LBB371_133
; %bb.132:
	s_wait_xcnt 0x0
	v_cndmask_b32_e64 v2, 0, 1, s16
	global_store_b16 v[0:1], v2, off
.LBB371_133:
	s_mov_b32 s21, 0
.LBB371_134:
	s_delay_alu instid0(SALU_CYCLE_1)
	s_and_not1_b32 vcc_lo, exec_lo, s21
	s_cbranch_vccnz .LBB371_139
; %bb.135:
	s_wait_xcnt 0x0
	v_cndmask_b32_e64 v2, 0, 1, s16
	s_cmp_gt_i32 s20, 0
	s_mov_b32 s16, -1
	s_cbranch_scc0 .LBB371_137
; %bb.136:
	s_mov_b32 s16, 0
	global_store_b8 v[0:1], v2, off
.LBB371_137:
	s_and_not1_b32 vcc_lo, exec_lo, s16
	s_cbranch_vccnz .LBB371_139
; %bb.138:
	global_store_b8 v[0:1], v2, off
.LBB371_139:
.LBB371_140:
	v_add_nc_u32_e32 v10, 0x80, v10
	s_mov_b32 s20, -1
	s_branch .LBB371_247
.LBB371_141:
	s_mov_b32 s17, -1
                                        ; implicit-def: $vgpr2_vgpr3
.LBB371_142:
	s_mov_b32 s20, 0
.LBB371_143:
	s_delay_alu instid0(SALU_CYCLE_1)
	s_and_b32 vcc_lo, exec_lo, s20
	s_cbranch_vccz .LBB371_147
; %bb.144:
	s_cmp_eq_u32 s0, 29
	s_cbranch_scc0 .LBB371_146
; %bb.145:
	global_load_b64 v[2:3], v[0:1], off
	s_mov_b32 s16, -1
	s_mov_b32 s17, 0
	s_branch .LBB371_147
.LBB371_146:
	s_mov_b32 s17, -1
                                        ; implicit-def: $vgpr2_vgpr3
.LBB371_147:
	s_mov_b32 s20, 0
.LBB371_148:
	s_delay_alu instid0(SALU_CYCLE_1)
	s_and_b32 vcc_lo, exec_lo, s20
	s_cbranch_vccz .LBB371_164
; %bb.149:
	s_cmp_lt_i32 s0, 27
	s_cbranch_scc1 .LBB371_152
; %bb.150:
	s_cmp_gt_i32 s0, 27
	s_cbranch_scc0 .LBB371_153
; %bb.151:
	s_wait_loadcnt 0x0
	global_load_b32 v2, v[0:1], off
	v_mov_b32_e32 v3, 0
	s_mov_b32 s16, 0
	s_branch .LBB371_154
.LBB371_152:
	s_mov_b32 s16, -1
                                        ; implicit-def: $vgpr2_vgpr3
	s_branch .LBB371_157
.LBB371_153:
	s_mov_b32 s16, -1
                                        ; implicit-def: $vgpr2_vgpr3
.LBB371_154:
	s_delay_alu instid0(SALU_CYCLE_1)
	s_and_not1_b32 vcc_lo, exec_lo, s16
	s_cbranch_vccnz .LBB371_156
; %bb.155:
	s_wait_loadcnt 0x0
	global_load_u16 v2, v[0:1], off
	s_mov_b32 s16, 0
	s_delay_alu instid0(SALU_CYCLE_1)
	v_mov_b32_e32 v3, s16
	s_wait_loadcnt 0x0
	v_and_b32_e32 v2, 0xffff, v2
.LBB371_156:
	s_mov_b32 s16, 0
.LBB371_157:
	s_delay_alu instid0(SALU_CYCLE_1)
	s_and_not1_b32 vcc_lo, exec_lo, s16
	s_cbranch_vccnz .LBB371_163
; %bb.158:
	global_load_u8 v4, v[0:1], off
	s_mov_b32 s20, 0
	s_mov_b32 s16, exec_lo
	s_wait_loadcnt 0x0
	v_cmpx_lt_i16_e32 0x7f, v4
	s_xor_b32 s16, exec_lo, s16
	s_cbranch_execz .LBB371_174
; %bb.159:
	v_cmp_ne_u16_e32 vcc_lo, 0x80, v4
	s_and_b32 s20, vcc_lo, exec_lo
	s_and_not1_saveexec_b32 s16, s16
	s_cbranch_execnz .LBB371_175
.LBB371_160:
	s_or_b32 exec_lo, exec_lo, s16
	v_mov_b64_e32 v[2:3], 0
	s_and_saveexec_b32 s16, s20
	s_cbranch_execz .LBB371_162
.LBB371_161:
	v_and_b32_e32 v2, 0xffff, v4
	s_delay_alu instid0(VALU_DEP_1) | instskip(SKIP_1) | instid1(VALU_DEP_2)
	v_and_b32_e32 v3, 7, v2
	v_bfe_u32 v7, v2, 3, 4
	v_clz_i32_u32_e32 v5, v3
	s_delay_alu instid0(VALU_DEP_2) | instskip(NEXT) | instid1(VALU_DEP_2)
	v_cmp_eq_u32_e32 vcc_lo, 0, v7
	v_min_u32_e32 v5, 32, v5
	s_delay_alu instid0(VALU_DEP_1) | instskip(NEXT) | instid1(VALU_DEP_1)
	v_subrev_nc_u32_e32 v6, 28, v5
	v_dual_lshlrev_b32 v2, v6, v2 :: v_dual_sub_nc_u32 v5, 29, v5
	s_delay_alu instid0(VALU_DEP_1) | instskip(NEXT) | instid1(VALU_DEP_2)
	v_dual_lshlrev_b32 v4, 24, v4 :: v_dual_bitop2_b32 v2, 7, v2 bitop3:0x40
	v_cndmask_b32_e32 v5, v7, v5, vcc_lo
	s_delay_alu instid0(VALU_DEP_2) | instskip(NEXT) | instid1(VALU_DEP_3)
	v_cndmask_b32_e32 v2, v3, v2, vcc_lo
	v_and_b32_e32 v3, 0x80000000, v4
	s_delay_alu instid0(VALU_DEP_3) | instskip(NEXT) | instid1(VALU_DEP_3)
	v_lshl_add_u32 v4, v5, 23, 0x3b800000
	v_lshlrev_b32_e32 v2, 20, v2
	s_delay_alu instid0(VALU_DEP_1) | instskip(NEXT) | instid1(VALU_DEP_1)
	v_or3_b32 v2, v3, v4, v2
	v_trunc_f32_e32 v2, v2
	s_delay_alu instid0(VALU_DEP_1) | instskip(NEXT) | instid1(VALU_DEP_1)
	v_mul_f32_e32 v3, 0x2f800000, v2
	v_floor_f32_e32 v3, v3
	s_delay_alu instid0(VALU_DEP_1) | instskip(SKIP_1) | instid1(VALU_DEP_2)
	v_fmamk_f32 v2, v3, 0xcf800000, v2
	v_cvt_u32_f32_e32 v3, v3
	v_cvt_u32_f32_e32 v2, v2
.LBB371_162:
	s_or_b32 exec_lo, exec_lo, s16
.LBB371_163:
	s_mov_b32 s16, -1
.LBB371_164:
	s_branch .LBB371_197
.LBB371_165:
	s_cmp_gt_i32 s0, 22
	s_cbranch_scc0 .LBB371_173
; %bb.166:
	s_cmp_lt_i32 s0, 24
	s_cbranch_scc1 .LBB371_176
; %bb.167:
	s_cmp_gt_i32 s0, 24
	s_cbranch_scc0 .LBB371_177
; %bb.168:
	global_load_u8 v4, v[0:1], off
	s_mov_b32 s20, 0
	s_mov_b32 s16, exec_lo
	s_wait_loadcnt 0x0
	v_cmpx_lt_i16_e32 0x7f, v4
	s_xor_b32 s16, exec_lo, s16
	s_cbranch_execz .LBB371_189
; %bb.169:
	v_cmp_ne_u16_e32 vcc_lo, 0x80, v4
	s_and_b32 s20, vcc_lo, exec_lo
	s_and_not1_saveexec_b32 s16, s16
	s_cbranch_execnz .LBB371_190
.LBB371_170:
	s_or_b32 exec_lo, exec_lo, s16
	v_mov_b64_e32 v[2:3], 0
	s_and_saveexec_b32 s16, s20
	s_cbranch_execz .LBB371_172
.LBB371_171:
	v_and_b32_e32 v2, 0xffff, v4
	s_delay_alu instid0(VALU_DEP_1) | instskip(SKIP_1) | instid1(VALU_DEP_2)
	v_and_b32_e32 v3, 3, v2
	v_bfe_u32 v7, v2, 2, 5
	v_clz_i32_u32_e32 v5, v3
	s_delay_alu instid0(VALU_DEP_2) | instskip(NEXT) | instid1(VALU_DEP_2)
	v_cmp_eq_u32_e32 vcc_lo, 0, v7
	v_min_u32_e32 v5, 32, v5
	s_delay_alu instid0(VALU_DEP_1) | instskip(NEXT) | instid1(VALU_DEP_1)
	v_subrev_nc_u32_e32 v6, 29, v5
	v_dual_lshlrev_b32 v2, v6, v2 :: v_dual_sub_nc_u32 v5, 30, v5
	s_delay_alu instid0(VALU_DEP_1) | instskip(NEXT) | instid1(VALU_DEP_2)
	v_dual_lshlrev_b32 v4, 24, v4 :: v_dual_bitop2_b32 v2, 3, v2 bitop3:0x40
	v_cndmask_b32_e32 v5, v7, v5, vcc_lo
	s_delay_alu instid0(VALU_DEP_2) | instskip(NEXT) | instid1(VALU_DEP_3)
	v_cndmask_b32_e32 v2, v3, v2, vcc_lo
	v_and_b32_e32 v3, 0x80000000, v4
	s_delay_alu instid0(VALU_DEP_3) | instskip(NEXT) | instid1(VALU_DEP_3)
	v_lshl_add_u32 v4, v5, 23, 0x37800000
	v_lshlrev_b32_e32 v2, 21, v2
	s_delay_alu instid0(VALU_DEP_1) | instskip(NEXT) | instid1(VALU_DEP_1)
	v_or3_b32 v2, v3, v4, v2
	v_trunc_f32_e32 v2, v2
	s_delay_alu instid0(VALU_DEP_1) | instskip(NEXT) | instid1(VALU_DEP_1)
	v_mul_f32_e32 v3, 0x2f800000, v2
	v_floor_f32_e32 v3, v3
	s_delay_alu instid0(VALU_DEP_1) | instskip(SKIP_1) | instid1(VALU_DEP_2)
	v_fmamk_f32 v2, v3, 0xcf800000, v2
	v_cvt_u32_f32_e32 v3, v3
	v_cvt_u32_f32_e32 v2, v2
.LBB371_172:
	s_or_b32 exec_lo, exec_lo, s16
	s_mov_b32 s16, 0
	s_branch .LBB371_178
.LBB371_173:
	s_mov_b32 s20, -1
                                        ; implicit-def: $vgpr2_vgpr3
	s_branch .LBB371_184
.LBB371_174:
	s_and_not1_saveexec_b32 s16, s16
	s_cbranch_execz .LBB371_160
.LBB371_175:
	v_cmp_ne_u16_e32 vcc_lo, 0, v4
	s_and_not1_b32 s20, s20, exec_lo
	s_and_b32 s21, vcc_lo, exec_lo
	s_delay_alu instid0(SALU_CYCLE_1)
	s_or_b32 s20, s20, s21
	s_or_b32 exec_lo, exec_lo, s16
	v_mov_b64_e32 v[2:3], 0
	s_and_saveexec_b32 s16, s20
	s_cbranch_execnz .LBB371_161
	s_branch .LBB371_162
.LBB371_176:
	s_mov_b32 s16, -1
                                        ; implicit-def: $vgpr2_vgpr3
	s_branch .LBB371_181
.LBB371_177:
	s_mov_b32 s16, -1
                                        ; implicit-def: $vgpr2_vgpr3
.LBB371_178:
	s_delay_alu instid0(SALU_CYCLE_1)
	s_and_b32 vcc_lo, exec_lo, s16
	s_cbranch_vccz .LBB371_180
; %bb.179:
	s_wait_loadcnt 0x0
	global_load_u8 v2, v[0:1], off
	s_wait_loadcnt 0x0
	v_lshlrev_b32_e32 v2, 24, v2
	s_delay_alu instid0(VALU_DEP_1) | instskip(NEXT) | instid1(VALU_DEP_1)
	v_and_b32_e32 v3, 0x7f000000, v2
	v_clz_i32_u32_e32 v4, v3
	v_cmp_ne_u32_e32 vcc_lo, 0, v3
	v_add_nc_u32_e32 v6, 0x1000000, v3
	s_delay_alu instid0(VALU_DEP_3) | instskip(NEXT) | instid1(VALU_DEP_1)
	v_min_u32_e32 v4, 32, v4
	v_sub_nc_u32_e64 v4, v4, 4 clamp
	s_delay_alu instid0(VALU_DEP_1) | instskip(NEXT) | instid1(VALU_DEP_1)
	v_dual_lshlrev_b32 v5, v4, v3 :: v_dual_lshlrev_b32 v4, 23, v4
	v_lshrrev_b32_e32 v5, 4, v5
	s_delay_alu instid0(VALU_DEP_1) | instskip(NEXT) | instid1(VALU_DEP_1)
	v_dual_sub_nc_u32 v4, v5, v4 :: v_dual_ashrrev_i32 v5, 8, v6
	v_add_nc_u32_e32 v4, 0x3c000000, v4
	s_delay_alu instid0(VALU_DEP_1) | instskip(NEXT) | instid1(VALU_DEP_1)
	v_and_or_b32 v4, 0x7f800000, v5, v4
	v_cndmask_b32_e32 v3, 0, v4, vcc_lo
	s_delay_alu instid0(VALU_DEP_1) | instskip(NEXT) | instid1(VALU_DEP_1)
	v_and_or_b32 v2, 0x80000000, v2, v3
	v_trunc_f32_e32 v2, v2
	s_delay_alu instid0(VALU_DEP_1) | instskip(NEXT) | instid1(VALU_DEP_1)
	v_mul_f32_e32 v3, 0x2f800000, v2
	v_floor_f32_e32 v3, v3
	s_delay_alu instid0(VALU_DEP_1) | instskip(SKIP_1) | instid1(VALU_DEP_2)
	v_fmamk_f32 v2, v3, 0xcf800000, v2
	v_cvt_u32_f32_e32 v3, v3
	v_cvt_u32_f32_e32 v2, v2
.LBB371_180:
	s_mov_b32 s16, 0
.LBB371_181:
	s_delay_alu instid0(SALU_CYCLE_1)
	s_and_not1_b32 vcc_lo, exec_lo, s16
	s_cbranch_vccnz .LBB371_183
; %bb.182:
	s_wait_loadcnt 0x0
	global_load_u8 v2, v[0:1], off
	s_wait_loadcnt 0x0
	v_lshlrev_b32_e32 v3, 25, v2
	v_lshlrev_b16 v2, 8, v2
	s_delay_alu instid0(VALU_DEP_1) | instskip(SKIP_1) | instid1(VALU_DEP_2)
	v_and_or_b32 v5, 0x7f00, v2, 0.5
	v_bfe_i32 v2, v2, 0, 16
	v_dual_add_f32 v5, -0.5, v5 :: v_dual_lshrrev_b32 v4, 4, v3
	v_cmp_gt_u32_e32 vcc_lo, 0x8000000, v3
	s_delay_alu instid0(VALU_DEP_2) | instskip(NEXT) | instid1(VALU_DEP_1)
	v_or_b32_e32 v4, 0x70000000, v4
	v_mul_f32_e32 v4, 0x7800000, v4
	s_delay_alu instid0(VALU_DEP_1) | instskip(NEXT) | instid1(VALU_DEP_1)
	v_cndmask_b32_e32 v3, v4, v5, vcc_lo
	v_and_or_b32 v2, 0x80000000, v2, v3
	s_delay_alu instid0(VALU_DEP_1) | instskip(NEXT) | instid1(VALU_DEP_1)
	v_trunc_f32_e32 v2, v2
	v_mul_f32_e32 v3, 0x2f800000, v2
	s_delay_alu instid0(VALU_DEP_1) | instskip(NEXT) | instid1(VALU_DEP_1)
	v_floor_f32_e32 v3, v3
	v_fmamk_f32 v2, v3, 0xcf800000, v2
	v_cvt_u32_f32_e32 v3, v3
	s_delay_alu instid0(VALU_DEP_2)
	v_cvt_u32_f32_e32 v2, v2
.LBB371_183:
	s_mov_b32 s20, 0
	s_mov_b32 s16, -1
.LBB371_184:
	s_and_not1_b32 vcc_lo, exec_lo, s20
	s_cbranch_vccnz .LBB371_197
; %bb.185:
	s_cmp_gt_i32 s0, 14
	s_cbranch_scc0 .LBB371_188
; %bb.186:
	s_cmp_eq_u32 s0, 15
	s_cbranch_scc0 .LBB371_191
; %bb.187:
	s_wait_loadcnt 0x0
	global_load_u16 v2, v[0:1], off
	s_mov_b32 s16, -1
	s_mov_b32 s17, 0
	s_wait_loadcnt 0x0
	v_lshlrev_b32_e32 v2, 16, v2
	s_delay_alu instid0(VALU_DEP_1) | instskip(NEXT) | instid1(VALU_DEP_1)
	v_trunc_f32_e32 v2, v2
	v_mul_f32_e32 v3, 0x2f800000, v2
	s_delay_alu instid0(VALU_DEP_1) | instskip(NEXT) | instid1(VALU_DEP_1)
	v_floor_f32_e32 v3, v3
	v_fmamk_f32 v2, v3, 0xcf800000, v2
	v_cvt_u32_f32_e32 v3, v3
	s_delay_alu instid0(VALU_DEP_2)
	v_cvt_u32_f32_e32 v2, v2
	s_branch .LBB371_192
.LBB371_188:
	s_mov_b32 s20, -1
                                        ; implicit-def: $vgpr2_vgpr3
	s_branch .LBB371_193
.LBB371_189:
	s_and_not1_saveexec_b32 s16, s16
	s_cbranch_execz .LBB371_170
.LBB371_190:
	v_cmp_ne_u16_e32 vcc_lo, 0, v4
	s_and_not1_b32 s20, s20, exec_lo
	s_and_b32 s21, vcc_lo, exec_lo
	s_delay_alu instid0(SALU_CYCLE_1)
	s_or_b32 s20, s20, s21
	s_or_b32 exec_lo, exec_lo, s16
	v_mov_b64_e32 v[2:3], 0
	s_and_saveexec_b32 s16, s20
	s_cbranch_execnz .LBB371_171
	s_branch .LBB371_172
.LBB371_191:
	s_mov_b32 s17, -1
                                        ; implicit-def: $vgpr2_vgpr3
.LBB371_192:
	s_mov_b32 s20, 0
.LBB371_193:
	s_delay_alu instid0(SALU_CYCLE_1)
	s_and_b32 vcc_lo, exec_lo, s20
	s_cbranch_vccz .LBB371_197
; %bb.194:
	s_cmp_eq_u32 s0, 11
	s_cbranch_scc0 .LBB371_196
; %bb.195:
	s_wait_loadcnt 0x0
	global_load_u8 v2, v[0:1], off
	s_mov_b32 s17, 0
	s_mov_b32 s16, -1
	v_mov_b32_e32 v3, s17
	s_wait_loadcnt 0x0
	v_cmp_ne_u16_e32 vcc_lo, 0, v2
	v_cndmask_b32_e64 v2, 0, 1, vcc_lo
	s_branch .LBB371_197
.LBB371_196:
	s_mov_b32 s17, -1
                                        ; implicit-def: $vgpr2_vgpr3
.LBB371_197:
	s_branch .LBB371_10
.LBB371_198:
	s_cmp_lt_i32 s0, 5
	s_cbranch_scc1 .LBB371_203
; %bb.199:
	s_cmp_lt_i32 s0, 8
	s_cbranch_scc1 .LBB371_204
; %bb.200:
	;; [unrolled: 3-line block ×3, first 2 shown]
	s_cmp_gt_i32 s0, 9
	s_cbranch_scc0 .LBB371_206
; %bb.202:
	s_wait_loadcnt 0x0
	global_load_b64 v[2:3], v[0:1], off
	s_mov_b32 s16, 0
	s_wait_loadcnt 0x0
	v_trunc_f64_e32 v[2:3], v[2:3]
	s_delay_alu instid0(VALU_DEP_1) | instskip(NEXT) | instid1(VALU_DEP_1)
	v_ldexp_f64 v[4:5], v[2:3], 0xffffffe0
	v_floor_f64_e32 v[4:5], v[4:5]
	s_delay_alu instid0(VALU_DEP_1) | instskip(SKIP_1) | instid1(VALU_DEP_2)
	v_fmamk_f64 v[6:7], v[4:5], 0xc1f00000, v[2:3]
	v_cvt_u32_f64_e32 v3, v[4:5]
	v_cvt_u32_f64_e32 v2, v[6:7]
	s_branch .LBB371_207
.LBB371_203:
                                        ; implicit-def: $vgpr2_vgpr3
	s_branch .LBB371_225
.LBB371_204:
	s_mov_b32 s16, -1
                                        ; implicit-def: $vgpr2_vgpr3
	s_branch .LBB371_213
.LBB371_205:
	s_mov_b32 s16, -1
                                        ; implicit-def: $vgpr2_vgpr3
	s_branch .LBB371_210
.LBB371_206:
	s_mov_b32 s16, -1
                                        ; implicit-def: $vgpr2_vgpr3
.LBB371_207:
	s_delay_alu instid0(SALU_CYCLE_1)
	s_and_not1_b32 vcc_lo, exec_lo, s16
	s_cbranch_vccnz .LBB371_209
; %bb.208:
	s_wait_loadcnt 0x0
	global_load_b32 v2, v[0:1], off
	s_wait_loadcnt 0x0
	v_trunc_f32_e32 v2, v2
	s_delay_alu instid0(VALU_DEP_1) | instskip(NEXT) | instid1(VALU_DEP_1)
	v_mul_f32_e32 v3, 0x2f800000, v2
	v_floor_f32_e32 v3, v3
	s_delay_alu instid0(VALU_DEP_1) | instskip(SKIP_1) | instid1(VALU_DEP_2)
	v_fmamk_f32 v2, v3, 0xcf800000, v2
	v_cvt_u32_f32_e32 v3, v3
	v_cvt_u32_f32_e32 v2, v2
.LBB371_209:
	s_mov_b32 s16, 0
.LBB371_210:
	s_delay_alu instid0(SALU_CYCLE_1)
	s_and_not1_b32 vcc_lo, exec_lo, s16
	s_cbranch_vccnz .LBB371_212
; %bb.211:
	s_wait_loadcnt 0x0
	global_load_b32 v2, v[0:1], off
	v_mov_b32_e32 v3, 0
	s_wait_loadcnt 0x0
	v_cvt_f32_f16_e32 v2, v2
	s_delay_alu instid0(VALU_DEP_1)
	v_cvt_u32_f32_e32 v2, v2
.LBB371_212:
	s_mov_b32 s16, 0
.LBB371_213:
	s_delay_alu instid0(SALU_CYCLE_1)
	s_and_not1_b32 vcc_lo, exec_lo, s16
	s_cbranch_vccnz .LBB371_224
; %bb.214:
	s_cmp_lt_i32 s0, 6
	s_cbranch_scc1 .LBB371_217
; %bb.215:
	s_cmp_gt_i32 s0, 6
	s_cbranch_scc0 .LBB371_218
; %bb.216:
	s_wait_loadcnt 0x0
	global_load_b64 v[2:3], v[0:1], off
	s_mov_b32 s16, 0
	s_wait_loadcnt 0x0
	v_trunc_f64_e32 v[2:3], v[2:3]
	s_delay_alu instid0(VALU_DEP_1) | instskip(NEXT) | instid1(VALU_DEP_1)
	v_ldexp_f64 v[4:5], v[2:3], 0xffffffe0
	v_floor_f64_e32 v[4:5], v[4:5]
	s_delay_alu instid0(VALU_DEP_1) | instskip(SKIP_1) | instid1(VALU_DEP_2)
	v_fmamk_f64 v[6:7], v[4:5], 0xc1f00000, v[2:3]
	v_cvt_u32_f64_e32 v3, v[4:5]
	v_cvt_u32_f64_e32 v2, v[6:7]
	s_branch .LBB371_219
.LBB371_217:
	s_mov_b32 s16, -1
                                        ; implicit-def: $vgpr2_vgpr3
	s_branch .LBB371_222
.LBB371_218:
	s_mov_b32 s16, -1
                                        ; implicit-def: $vgpr2_vgpr3
.LBB371_219:
	s_delay_alu instid0(SALU_CYCLE_1)
	s_and_not1_b32 vcc_lo, exec_lo, s16
	s_cbranch_vccnz .LBB371_221
; %bb.220:
	s_wait_loadcnt 0x0
	global_load_b32 v2, v[0:1], off
	s_wait_loadcnt 0x0
	v_trunc_f32_e32 v2, v2
	s_delay_alu instid0(VALU_DEP_1) | instskip(NEXT) | instid1(VALU_DEP_1)
	v_mul_f32_e32 v3, 0x2f800000, v2
	v_floor_f32_e32 v3, v3
	s_delay_alu instid0(VALU_DEP_1) | instskip(SKIP_1) | instid1(VALU_DEP_2)
	v_fmamk_f32 v2, v3, 0xcf800000, v2
	v_cvt_u32_f32_e32 v3, v3
	v_cvt_u32_f32_e32 v2, v2
.LBB371_221:
	s_mov_b32 s16, 0
.LBB371_222:
	s_delay_alu instid0(SALU_CYCLE_1)
	s_and_not1_b32 vcc_lo, exec_lo, s16
	s_cbranch_vccnz .LBB371_224
; %bb.223:
	s_wait_loadcnt 0x0
	global_load_u16 v2, v[0:1], off
	v_mov_b32_e32 v3, 0
	s_wait_loadcnt 0x0
	v_cvt_f32_f16_e32 v2, v2
	s_delay_alu instid0(VALU_DEP_1)
	v_cvt_u32_f32_e32 v2, v2
.LBB371_224:
	s_cbranch_execnz .LBB371_244
.LBB371_225:
	s_cmp_lt_i32 s0, 2
	s_cbranch_scc1 .LBB371_229
; %bb.226:
	s_cmp_lt_i32 s0, 3
	s_cbranch_scc1 .LBB371_230
; %bb.227:
	s_cmp_gt_i32 s0, 3
	s_cbranch_scc0 .LBB371_231
; %bb.228:
	s_wait_loadcnt 0x0
	global_load_b64 v[2:3], v[0:1], off
	s_mov_b32 s16, 0
	s_branch .LBB371_232
.LBB371_229:
	s_mov_b32 s16, -1
                                        ; implicit-def: $vgpr2_vgpr3
	s_branch .LBB371_238
.LBB371_230:
	s_mov_b32 s16, -1
                                        ; implicit-def: $vgpr2_vgpr3
	s_branch .LBB371_235
.LBB371_231:
	s_mov_b32 s16, -1
                                        ; implicit-def: $vgpr2_vgpr3
.LBB371_232:
	s_delay_alu instid0(SALU_CYCLE_1)
	s_and_not1_b32 vcc_lo, exec_lo, s16
	s_cbranch_vccnz .LBB371_234
; %bb.233:
	s_wait_loadcnt 0x0
	global_load_b32 v2, v[0:1], off
	s_wait_loadcnt 0x0
	v_ashrrev_i32_e32 v3, 31, v2
.LBB371_234:
	s_mov_b32 s16, 0
.LBB371_235:
	s_delay_alu instid0(SALU_CYCLE_1)
	s_and_not1_b32 vcc_lo, exec_lo, s16
	s_cbranch_vccnz .LBB371_237
; %bb.236:
	s_wait_loadcnt 0x0
	global_load_u16 v2, v[0:1], off
	s_wait_loadcnt 0x0
	v_bfe_i32 v2, v2, 0, 16
	s_delay_alu instid0(VALU_DEP_1)
	v_ashrrev_i32_e32 v3, 31, v2
.LBB371_237:
	s_mov_b32 s16, 0
.LBB371_238:
	s_delay_alu instid0(SALU_CYCLE_1)
	s_and_not1_b32 vcc_lo, exec_lo, s16
	s_cbranch_vccnz .LBB371_244
; %bb.239:
	s_cmp_gt_i32 s0, 0
	s_mov_b32 s0, 0
	s_cbranch_scc0 .LBB371_241
; %bb.240:
	s_wait_loadcnt 0x0
	global_load_i8 v2, v[0:1], off
	s_wait_loadcnt 0x0
	v_bfe_i32 v2, v2, 0, 16
	s_delay_alu instid0(VALU_DEP_1)
	v_ashrrev_i32_e32 v3, 31, v2
	s_branch .LBB371_242
.LBB371_241:
	s_mov_b32 s0, -1
                                        ; implicit-def: $vgpr2_vgpr3
.LBB371_242:
	s_delay_alu instid0(SALU_CYCLE_1)
	s_and_not1_b32 vcc_lo, exec_lo, s0
	s_cbranch_vccnz .LBB371_244
; %bb.243:
	global_load_u8 v0, v[0:1], off
	s_mov_b32 s0, 0
	s_wait_loadcnt 0x1
	v_mov_b32_e32 v3, s0
	s_wait_loadcnt 0x0
	v_and_b32_e32 v2, 0xffff, v0
.LBB371_244:
	s_branch .LBB371_11
.LBB371_245:
	s_mov_b32 s0, 0
.LBB371_246:
	s_mov_b32 s20, 0
                                        ; implicit-def: $vgpr10
.LBB371_247:
	s_and_b32 s16, s0, exec_lo
	s_and_b32 s17, s17, exec_lo
	s_or_not1_b32 s21, s20, exec_lo
.LBB371_248:
	s_wait_xcnt 0x0
	s_or_b32 exec_lo, exec_lo, s18
	s_mov_b32 s20, 0
	s_mov_b32 s0, 0
                                        ; implicit-def: $vgpr0_vgpr1
                                        ; implicit-def: $vgpr2_vgpr3
	s_and_saveexec_b32 s18, s21
	s_cbranch_execz .LBB371_257
; %bb.249:
	s_mov_b32 s0, -1
	s_mov_b32 s19, s17
	s_mov_b32 s20, s16
	s_mov_b32 s21, exec_lo
	v_cmpx_gt_i32_e64 s15, v10
	s_cbranch_execz .LBB371_507
; %bb.250:
	v_mul_lo_u32 v0, v10, s13
	s_and_b32 s0, 0xffff, s2
	s_delay_alu instid0(SALU_CYCLE_1) | instskip(NEXT) | instid1(VALU_DEP_1)
	s_cmp_lt_i32 s0, 11
	v_ashrrev_i32_e32 v1, 31, v0
	s_delay_alu instid0(VALU_DEP_1)
	v_add_nc_u64_e32 v[0:1], s[6:7], v[0:1]
	s_cbranch_scc1 .LBB371_260
; %bb.251:
	s_cmp_gt_i32 s0, 25
	s_cbranch_scc0 .LBB371_269
; %bb.252:
	s_cmp_gt_i32 s0, 28
	s_cbranch_scc0 .LBB371_271
	;; [unrolled: 3-line block ×4, first 2 shown]
; %bb.255:
	s_cmp_eq_u32 s0, 46
	s_mov_b32 s22, 0
	s_cbranch_scc0 .LBB371_281
; %bb.256:
	s_wait_loadcnt 0x0
	global_load_b32 v2, v[0:1], off
	s_mov_b32 s20, -1
	s_mov_b32 s19, 0
	s_wait_loadcnt 0x0
	v_lshlrev_b32_e32 v2, 16, v2
	s_delay_alu instid0(VALU_DEP_1) | instskip(NEXT) | instid1(VALU_DEP_1)
	v_trunc_f32_e32 v2, v2
	v_mul_f32_e32 v3, 0x2f800000, v2
	s_delay_alu instid0(VALU_DEP_1) | instskip(NEXT) | instid1(VALU_DEP_1)
	v_floor_f32_e32 v3, v3
	v_fmamk_f32 v2, v3, 0xcf800000, v2
	v_cvt_u32_f32_e32 v3, v3
	s_delay_alu instid0(VALU_DEP_2)
	v_cvt_u32_f32_e32 v2, v2
	s_branch .LBB371_283
.LBB371_257:
	s_or_b32 exec_lo, exec_lo, s18
	s_mov_b32 s15, 0
	s_and_saveexec_b32 s18, s17
	s_cbranch_execnz .LBB371_847
.LBB371_258:
	s_or_b32 exec_lo, exec_lo, s18
	s_and_saveexec_b32 s17, s19
	s_delay_alu instid0(SALU_CYCLE_1)
	s_xor_b32 s17, exec_lo, s17
	s_cbranch_execz .LBB371_848
.LBB371_259:
	s_wait_loadcnt 0x0
	global_load_u8 v2, v[0:1], off
	s_mov_b32 s18, 0
	s_or_b32 s0, s0, exec_lo
	v_mov_b32_e32 v3, s18
	s_wait_loadcnt 0x0
	v_cmp_ne_u16_e32 vcc_lo, 0, v2
	v_cndmask_b32_e64 v2, 0, 1, vcc_lo
	s_wait_xcnt 0x0
	s_or_b32 exec_lo, exec_lo, s17
	s_and_saveexec_b32 s17, s20
	s_cbranch_execz .LBB371_894
	s_branch .LBB371_849
.LBB371_260:
	s_mov_b32 s20, 0
	s_mov_b32 s19, s17
                                        ; implicit-def: $vgpr2_vgpr3
	s_cbranch_execnz .LBB371_456
.LBB371_261:
	s_and_not1_b32 vcc_lo, exec_lo, s20
	s_cbranch_vccnz .LBB371_504
.LBB371_262:
	s_wait_xcnt 0x0
	v_mul_lo_u32 v0, v10, s12
	s_wait_loadcnt 0x0
	s_delay_alu instid0(VALU_DEP_2) | instskip(SKIP_3) | instid1(VALU_DEP_2)
	v_cmp_ne_u64_e32 vcc_lo, s[8:9], v[2:3]
	s_and_b32 s22, s10, 0xff
	s_xor_b32 s20, s11, vcc_lo
	s_cmp_lt_i32 s22, 11
	v_ashrrev_i32_e32 v1, 31, v0
	s_delay_alu instid0(VALU_DEP_1)
	v_add_nc_u64_e32 v[0:1], s[4:5], v[0:1]
	s_cbranch_scc1 .LBB371_270
; %bb.263:
	s_and_b32 s23, 0xffff, s22
	s_delay_alu instid0(SALU_CYCLE_1)
	s_cmp_gt_i32 s23, 25
	s_cbranch_scc0 .LBB371_272
; %bb.264:
	s_cmp_gt_i32 s23, 28
	s_cbranch_scc0 .LBB371_274
; %bb.265:
	s_cmp_gt_i32 s23, 43
	s_cbranch_scc0 .LBB371_278
; %bb.266:
	s_cmp_gt_i32 s23, 45
	s_cbranch_scc0 .LBB371_286
; %bb.267:
	s_mov_b32 s25, 0
	s_mov_b32 s0, -1
	s_cmp_eq_u32 s23, 46
	s_mov_b32 s24, 0
	s_cbranch_scc0 .LBB371_287
; %bb.268:
	v_cndmask_b32_e64 v2, 0, 1.0, s20
	s_mov_b32 s24, -1
	s_mov_b32 s0, 0
	s_delay_alu instid0(VALU_DEP_1) | instskip(NEXT) | instid1(VALU_DEP_1)
	v_bfe_u32 v3, v2, 16, 1
	v_add3_u32 v2, v2, v3, 0x7fff
	s_delay_alu instid0(VALU_DEP_1)
	v_lshrrev_b32_e32 v2, 16, v2
	global_store_b32 v[0:1], v2, off
	s_branch .LBB371_287
.LBB371_269:
	s_mov_b32 s22, -1
	s_mov_b32 s20, 0
	s_mov_b32 s19, s17
                                        ; implicit-def: $vgpr2_vgpr3
	s_branch .LBB371_422
.LBB371_270:
	s_mov_b32 s23, -1
	s_mov_b32 s24, 0
	s_mov_b32 s0, s16
	s_branch .LBB371_356
.LBB371_271:
	s_mov_b32 s22, -1
	s_mov_b32 s20, 0
	s_mov_b32 s19, s17
                                        ; implicit-def: $vgpr2_vgpr3
	s_branch .LBB371_405
.LBB371_272:
	s_mov_b32 s25, -1
	s_mov_b32 s24, 0
	s_mov_b32 s0, s16
	s_branch .LBB371_314
.LBB371_273:
	s_mov_b32 s22, -1
	s_mov_b32 s20, 0
	s_mov_b32 s19, s17
                                        ; implicit-def: $vgpr2_vgpr3
	s_branch .LBB371_400
.LBB371_274:
	s_mov_b32 s25, -1
	s_mov_b32 s24, 0
	s_mov_b32 s0, s16
	s_branch .LBB371_297
.LBB371_275:
	s_and_not1_saveexec_b32 s24, s24
	s_cbranch_execz .LBB371_54
.LBB371_276:
	v_add_f32_e32 v2, 0x46000000, v3
	s_and_not1_b32 s23, s23, exec_lo
	s_delay_alu instid0(VALU_DEP_1) | instskip(NEXT) | instid1(VALU_DEP_1)
	v_and_b32_e32 v2, 0xff, v2
	v_cmp_ne_u32_e32 vcc_lo, 0, v2
	s_and_b32 s25, vcc_lo, exec_lo
	s_delay_alu instid0(SALU_CYCLE_1)
	s_or_b32 s23, s23, s25
	s_or_b32 exec_lo, exec_lo, s24
	v_mov_b32_e32 v4, 0
	s_and_saveexec_b32 s24, s23
	s_cbranch_execnz .LBB371_55
	s_branch .LBB371_56
.LBB371_277:
	s_mov_b32 s22, -1
	s_mov_b32 s20, 0
	s_mov_b32 s19, s17
	s_branch .LBB371_282
.LBB371_278:
	s_mov_b32 s25, -1
	s_mov_b32 s24, 0
	s_mov_b32 s0, s16
	s_branch .LBB371_293
.LBB371_279:
	s_and_not1_saveexec_b32 s24, s24
	s_cbranch_execz .LBB371_67
.LBB371_280:
	v_add_f32_e32 v2, 0x42800000, v3
	s_and_not1_b32 s23, s23, exec_lo
	s_delay_alu instid0(VALU_DEP_1) | instskip(NEXT) | instid1(VALU_DEP_1)
	v_and_b32_e32 v2, 0xff, v2
	v_cmp_ne_u32_e32 vcc_lo, 0, v2
	s_and_b32 s25, vcc_lo, exec_lo
	s_delay_alu instid0(SALU_CYCLE_1)
	s_or_b32 s23, s23, s25
	s_or_b32 exec_lo, exec_lo, s24
	v_mov_b32_e32 v4, 0
	s_and_saveexec_b32 s24, s23
	s_cbranch_execnz .LBB371_68
	s_branch .LBB371_69
.LBB371_281:
	s_mov_b32 s19, -1
	s_mov_b32 s20, 0
.LBB371_282:
                                        ; implicit-def: $vgpr2_vgpr3
.LBB371_283:
	s_and_b32 vcc_lo, exec_lo, s22
	s_cbranch_vccz .LBB371_399
; %bb.284:
	s_cmp_eq_u32 s0, 44
	s_cbranch_scc0 .LBB371_398
; %bb.285:
	s_wait_loadcnt 0x0
	global_load_u8 v2, v[0:1], off
	s_mov_b32 s19, 0
	s_mov_b32 s20, -1
	s_wait_loadcnt 0x0
	v_cmp_ne_u32_e32 vcc_lo, 0, v2
	v_lshlrev_b32_e32 v3, 23, v2
	s_delay_alu instid0(VALU_DEP_1) | instskip(NEXT) | instid1(VALU_DEP_1)
	v_trunc_f32_e32 v3, v3
	v_mul_f32_e32 v4, 0x2f800000, v3
	s_delay_alu instid0(VALU_DEP_1) | instskip(NEXT) | instid1(VALU_DEP_1)
	v_floor_f32_e32 v4, v4
	v_fmamk_f32 v3, v4, 0xcf800000, v3
	v_cvt_u32_f32_e32 v4, v4
	s_delay_alu instid0(VALU_DEP_2) | instskip(NEXT) | instid1(VALU_DEP_1)
	v_cvt_u32_f32_e32 v5, v3
	v_dual_cndmask_b32 v3, 0, v4 :: v_dual_cndmask_b32 v2, 0, v5
	s_branch .LBB371_399
.LBB371_286:
	s_mov_b32 s25, -1
	s_mov_b32 s24, 0
	s_mov_b32 s0, s16
.LBB371_287:
	s_and_b32 vcc_lo, exec_lo, s25
	s_cbranch_vccz .LBB371_292
; %bb.288:
	s_cmp_eq_u32 s23, 44
	s_mov_b32 s0, -1
	s_cbranch_scc0 .LBB371_292
; %bb.289:
	v_cndmask_b32_e64 v4, 0, 1.0, s20
	s_mov_b32 s24, exec_lo
	s_wait_xcnt 0x0
	s_delay_alu instid0(VALU_DEP_1) | instskip(NEXT) | instid1(VALU_DEP_1)
	v_dual_mov_b32 v3, 0xff :: v_dual_lshrrev_b32 v2, 23, v4
	v_cmpx_ne_u32_e32 0xff, v2
; %bb.290:
	v_and_b32_e32 v3, 0x400000, v4
	v_and_or_b32 v4, 0x3fffff, v4, v2
	s_delay_alu instid0(VALU_DEP_2) | instskip(NEXT) | instid1(VALU_DEP_2)
	v_cmp_ne_u32_e32 vcc_lo, 0, v3
	v_cmp_ne_u32_e64 s0, 0, v4
	s_and_b32 s0, vcc_lo, s0
	s_delay_alu instid0(SALU_CYCLE_1) | instskip(NEXT) | instid1(VALU_DEP_1)
	v_cndmask_b32_e64 v3, 0, 1, s0
	v_add_nc_u32_e32 v3, v2, v3
; %bb.291:
	s_or_b32 exec_lo, exec_lo, s24
	s_mov_b32 s24, -1
	s_mov_b32 s0, 0
	global_store_b8 v[0:1], v3, off
.LBB371_292:
	s_mov_b32 s25, 0
.LBB371_293:
	s_delay_alu instid0(SALU_CYCLE_1)
	s_and_b32 vcc_lo, exec_lo, s25
	s_cbranch_vccz .LBB371_296
; %bb.294:
	s_cmp_eq_u32 s23, 29
	s_mov_b32 s0, -1
	s_cbranch_scc0 .LBB371_296
; %bb.295:
	s_mov_b32 s0, 0
	s_wait_xcnt 0x0
	v_cndmask_b32_e64 v2, 0, 1, s20
	v_mov_b32_e32 v3, s0
	s_mov_b32 s24, -1
	s_mov_b32 s25, 0
	global_store_b64 v[0:1], v[2:3], off
	s_branch .LBB371_297
.LBB371_296:
	s_mov_b32 s25, 0
.LBB371_297:
	s_delay_alu instid0(SALU_CYCLE_1)
	s_and_b32 vcc_lo, exec_lo, s25
	s_cbranch_vccz .LBB371_313
; %bb.298:
	s_cmp_lt_i32 s23, 27
	s_mov_b32 s24, -1
	s_cbranch_scc1 .LBB371_304
; %bb.299:
	s_cmp_gt_i32 s23, 27
	s_cbranch_scc0 .LBB371_301
; %bb.300:
	s_wait_xcnt 0x0
	v_cndmask_b32_e64 v2, 0, 1, s20
	s_mov_b32 s24, 0
	global_store_b32 v[0:1], v2, off
.LBB371_301:
	s_and_not1_b32 vcc_lo, exec_lo, s24
	s_cbranch_vccnz .LBB371_303
; %bb.302:
	s_wait_xcnt 0x0
	v_cndmask_b32_e64 v2, 0, 1, s20
	global_store_b16 v[0:1], v2, off
.LBB371_303:
	s_mov_b32 s24, 0
.LBB371_304:
	s_delay_alu instid0(SALU_CYCLE_1)
	s_and_not1_b32 vcc_lo, exec_lo, s24
	s_cbranch_vccnz .LBB371_312
; %bb.305:
	s_wait_xcnt 0x0
	v_cndmask_b32_e64 v3, 0, 1.0, s20
	v_mov_b32_e32 v4, 0x80
	s_mov_b32 s24, exec_lo
	s_delay_alu instid0(VALU_DEP_2)
	v_cmpx_gt_u32_e32 0x43800000, v3
	s_cbranch_execz .LBB371_311
; %bb.306:
	s_mov_b32 s25, 0
	s_mov_b32 s26, exec_lo
                                        ; implicit-def: $vgpr2
	v_cmpx_lt_u32_e32 0x3bffffff, v3
	s_xor_b32 s26, exec_lo, s26
	s_cbranch_execz .LBB371_520
; %bb.307:
	v_bfe_u32 v2, v3, 20, 1
	s_mov_b32 s25, exec_lo
	s_delay_alu instid0(VALU_DEP_1) | instskip(NEXT) | instid1(VALU_DEP_1)
	v_add3_u32 v2, v3, v2, 0x487ffff
                                        ; implicit-def: $vgpr3
	v_lshrrev_b32_e32 v2, 20, v2
	s_and_not1_saveexec_b32 s26, s26
	s_cbranch_execnz .LBB371_521
.LBB371_308:
	s_or_b32 exec_lo, exec_lo, s26
	v_mov_b32_e32 v4, 0
	s_and_saveexec_b32 s26, s25
.LBB371_309:
	v_mov_b32_e32 v4, v2
.LBB371_310:
	s_or_b32 exec_lo, exec_lo, s26
.LBB371_311:
	s_delay_alu instid0(SALU_CYCLE_1)
	s_or_b32 exec_lo, exec_lo, s24
	global_store_b8 v[0:1], v4, off
.LBB371_312:
	s_mov_b32 s24, -1
.LBB371_313:
	s_mov_b32 s25, 0
.LBB371_314:
	s_delay_alu instid0(SALU_CYCLE_1)
	s_and_b32 vcc_lo, exec_lo, s25
	s_cbranch_vccz .LBB371_355
; %bb.315:
	s_cmp_gt_i32 s23, 22
	s_mov_b32 s25, -1
	s_cbranch_scc0 .LBB371_347
; %bb.316:
	s_cmp_lt_i32 s23, 24
	s_mov_b32 s24, -1
	s_cbranch_scc1 .LBB371_336
; %bb.317:
	s_cmp_gt_i32 s23, 24
	s_cbranch_scc0 .LBB371_325
; %bb.318:
	s_wait_xcnt 0x0
	v_cndmask_b32_e64 v3, 0, 1.0, s20
	v_mov_b32_e32 v4, 0x80
	s_mov_b32 s24, exec_lo
	s_delay_alu instid0(VALU_DEP_2)
	v_cmpx_gt_u32_e32 0x47800000, v3
	s_cbranch_execz .LBB371_324
; %bb.319:
	s_mov_b32 s25, 0
	s_mov_b32 s26, exec_lo
                                        ; implicit-def: $vgpr2
	v_cmpx_lt_u32_e32 0x37ffffff, v3
	s_xor_b32 s26, exec_lo, s26
	s_cbranch_execz .LBB371_523
; %bb.320:
	v_bfe_u32 v2, v3, 21, 1
	s_mov_b32 s25, exec_lo
	s_delay_alu instid0(VALU_DEP_1) | instskip(NEXT) | instid1(VALU_DEP_1)
	v_add3_u32 v2, v3, v2, 0x88fffff
                                        ; implicit-def: $vgpr3
	v_lshrrev_b32_e32 v2, 21, v2
	s_and_not1_saveexec_b32 s26, s26
	s_cbranch_execnz .LBB371_524
.LBB371_321:
	s_or_b32 exec_lo, exec_lo, s26
	v_mov_b32_e32 v4, 0
	s_and_saveexec_b32 s26, s25
.LBB371_322:
	v_mov_b32_e32 v4, v2
.LBB371_323:
	s_or_b32 exec_lo, exec_lo, s26
.LBB371_324:
	s_delay_alu instid0(SALU_CYCLE_1)
	s_or_b32 exec_lo, exec_lo, s24
	s_mov_b32 s24, 0
	global_store_b8 v[0:1], v4, off
.LBB371_325:
	s_and_b32 vcc_lo, exec_lo, s24
	s_cbranch_vccz .LBB371_335
; %bb.326:
	s_wait_xcnt 0x0
	v_cndmask_b32_e64 v3, 0, 1.0, s20
	s_mov_b32 s24, exec_lo
                                        ; implicit-def: $vgpr2
	s_delay_alu instid0(VALU_DEP_1)
	v_cmpx_gt_u32_e32 0x43f00000, v3
	s_xor_b32 s24, exec_lo, s24
	s_cbranch_execz .LBB371_332
; %bb.327:
	s_mov_b32 s25, exec_lo
                                        ; implicit-def: $vgpr2
	v_cmpx_lt_u32_e32 0x3c7fffff, v3
	s_xor_b32 s25, exec_lo, s25
; %bb.328:
	v_bfe_u32 v2, v3, 20, 1
	s_delay_alu instid0(VALU_DEP_1) | instskip(NEXT) | instid1(VALU_DEP_1)
	v_add3_u32 v2, v3, v2, 0x407ffff
	v_and_b32_e32 v3, 0xff00000, v2
	v_lshrrev_b32_e32 v2, 20, v2
	s_delay_alu instid0(VALU_DEP_2) | instskip(NEXT) | instid1(VALU_DEP_2)
	v_cmp_ne_u32_e32 vcc_lo, 0x7f00000, v3
                                        ; implicit-def: $vgpr3
	v_cndmask_b32_e32 v2, 0x7e, v2, vcc_lo
; %bb.329:
	s_and_not1_saveexec_b32 s25, s25
; %bb.330:
	v_add_f32_e32 v2, 0x46800000, v3
; %bb.331:
	s_or_b32 exec_lo, exec_lo, s25
                                        ; implicit-def: $vgpr3
.LBB371_332:
	s_and_not1_saveexec_b32 s24, s24
; %bb.333:
	v_mov_b32_e32 v2, 0x7f
	v_cmp_lt_u32_e32 vcc_lo, 0x7f800000, v3
	s_delay_alu instid0(VALU_DEP_2)
	v_cndmask_b32_e32 v2, 0x7e, v2, vcc_lo
; %bb.334:
	s_or_b32 exec_lo, exec_lo, s24
	global_store_b8 v[0:1], v2, off
.LBB371_335:
	s_mov_b32 s24, 0
.LBB371_336:
	s_delay_alu instid0(SALU_CYCLE_1)
	s_and_not1_b32 vcc_lo, exec_lo, s24
	s_cbranch_vccnz .LBB371_346
; %bb.337:
	s_wait_xcnt 0x0
	v_cndmask_b32_e64 v3, 0, 1.0, s20
	s_mov_b32 s24, exec_lo
                                        ; implicit-def: $vgpr2
	s_delay_alu instid0(VALU_DEP_1)
	v_cmpx_gt_u32_e32 0x47800000, v3
	s_xor_b32 s24, exec_lo, s24
	s_cbranch_execz .LBB371_343
; %bb.338:
	s_mov_b32 s25, exec_lo
                                        ; implicit-def: $vgpr2
	v_cmpx_lt_u32_e32 0x387fffff, v3
	s_xor_b32 s25, exec_lo, s25
; %bb.339:
	v_bfe_u32 v2, v3, 21, 1
	s_delay_alu instid0(VALU_DEP_1) | instskip(NEXT) | instid1(VALU_DEP_1)
	v_add3_u32 v2, v3, v2, 0x80fffff
                                        ; implicit-def: $vgpr3
	v_lshrrev_b32_e32 v2, 21, v2
; %bb.340:
	s_and_not1_saveexec_b32 s25, s25
; %bb.341:
	v_add_f32_e32 v2, 0x43000000, v3
; %bb.342:
	s_or_b32 exec_lo, exec_lo, s25
                                        ; implicit-def: $vgpr3
.LBB371_343:
	s_and_not1_saveexec_b32 s24, s24
; %bb.344:
	v_mov_b32_e32 v2, 0x7f
	v_cmp_lt_u32_e32 vcc_lo, 0x7f800000, v3
	s_delay_alu instid0(VALU_DEP_2)
	v_cndmask_b32_e32 v2, 0x7c, v2, vcc_lo
; %bb.345:
	s_or_b32 exec_lo, exec_lo, s24
	global_store_b8 v[0:1], v2, off
.LBB371_346:
	s_mov_b32 s25, 0
	s_mov_b32 s24, -1
.LBB371_347:
	s_and_not1_b32 vcc_lo, exec_lo, s25
	s_cbranch_vccnz .LBB371_355
; %bb.348:
	s_cmp_gt_i32 s23, 14
	s_mov_b32 s25, -1
	s_cbranch_scc0 .LBB371_352
; %bb.349:
	s_cmp_eq_u32 s23, 15
	s_mov_b32 s0, -1
	s_cbranch_scc0 .LBB371_351
; %bb.350:
	s_wait_xcnt 0x0
	v_cndmask_b32_e64 v2, 0, 1.0, s20
	s_mov_b32 s24, -1
	s_mov_b32 s0, 0
	s_delay_alu instid0(VALU_DEP_1) | instskip(NEXT) | instid1(VALU_DEP_1)
	v_bfe_u32 v3, v2, 16, 1
	v_add3_u32 v2, v2, v3, 0x7fff
	global_store_d16_hi_b16 v[0:1], v2, off
.LBB371_351:
	s_mov_b32 s25, 0
.LBB371_352:
	s_delay_alu instid0(SALU_CYCLE_1)
	s_and_b32 vcc_lo, exec_lo, s25
	s_cbranch_vccz .LBB371_355
; %bb.353:
	s_cmp_eq_u32 s23, 11
	s_mov_b32 s0, -1
	s_cbranch_scc0 .LBB371_355
; %bb.354:
	s_wait_xcnt 0x0
	v_cndmask_b32_e64 v2, 0, 1, s20
	s_mov_b32 s24, -1
	s_mov_b32 s0, 0
	global_store_b8 v[0:1], v2, off
.LBB371_355:
	s_mov_b32 s23, 0
.LBB371_356:
	s_delay_alu instid0(SALU_CYCLE_1)
	s_and_b32 vcc_lo, exec_lo, s23
	s_cbranch_vccz .LBB371_395
; %bb.357:
	s_and_b32 s22, 0xffff, s22
	s_mov_b32 s23, -1
	s_cmp_lt_i32 s22, 5
	s_cbranch_scc1 .LBB371_378
; %bb.358:
	s_cmp_lt_i32 s22, 8
	s_cbranch_scc1 .LBB371_368
; %bb.359:
	s_cmp_lt_i32 s22, 9
	s_cbranch_scc1 .LBB371_365
; %bb.360:
	s_cmp_gt_i32 s22, 9
	s_cbranch_scc0 .LBB371_362
; %bb.361:
	s_wait_xcnt 0x0
	v_cndmask_b32_e64 v2, 0, 1, s20
	v_mov_b32_e32 v4, 0
	s_mov_b32 s23, 0
	s_delay_alu instid0(VALU_DEP_2) | instskip(NEXT) | instid1(VALU_DEP_2)
	v_cvt_f64_u32_e32 v[2:3], v2
	v_mov_b32_e32 v5, v4
	global_store_b128 v[0:1], v[2:5], off
.LBB371_362:
	s_and_not1_b32 vcc_lo, exec_lo, s23
	s_cbranch_vccnz .LBB371_364
; %bb.363:
	s_wait_xcnt 0x0
	v_cndmask_b32_e64 v2, 0, 1.0, s20
	v_mov_b32_e32 v3, 0
	global_store_b64 v[0:1], v[2:3], off
.LBB371_364:
	s_mov_b32 s23, 0
.LBB371_365:
	s_delay_alu instid0(SALU_CYCLE_1)
	s_and_not1_b32 vcc_lo, exec_lo, s23
	s_cbranch_vccnz .LBB371_367
; %bb.366:
	s_wait_xcnt 0x0
	v_cndmask_b32_e64 v2, 0, 1.0, s20
	s_delay_alu instid0(VALU_DEP_1) | instskip(NEXT) | instid1(VALU_DEP_1)
	v_cvt_f16_f32_e32 v2, v2
	v_and_b32_e32 v2, 0xffff, v2
	global_store_b32 v[0:1], v2, off
.LBB371_367:
	s_mov_b32 s23, 0
.LBB371_368:
	s_delay_alu instid0(SALU_CYCLE_1)
	s_and_not1_b32 vcc_lo, exec_lo, s23
	s_cbranch_vccnz .LBB371_377
; %bb.369:
	s_cmp_lt_i32 s22, 6
	s_mov_b32 s23, -1
	s_cbranch_scc1 .LBB371_375
; %bb.370:
	s_cmp_gt_i32 s22, 6
	s_cbranch_scc0 .LBB371_372
; %bb.371:
	s_wait_xcnt 0x0
	v_cndmask_b32_e64 v2, 0, 1, s20
	s_mov_b32 s23, 0
	s_delay_alu instid0(VALU_DEP_1)
	v_cvt_f64_u32_e32 v[2:3], v2
	global_store_b64 v[0:1], v[2:3], off
.LBB371_372:
	s_and_not1_b32 vcc_lo, exec_lo, s23
	s_cbranch_vccnz .LBB371_374
; %bb.373:
	s_wait_xcnt 0x0
	v_cndmask_b32_e64 v2, 0, 1.0, s20
	global_store_b32 v[0:1], v2, off
.LBB371_374:
	s_mov_b32 s23, 0
.LBB371_375:
	s_delay_alu instid0(SALU_CYCLE_1)
	s_and_not1_b32 vcc_lo, exec_lo, s23
	s_cbranch_vccnz .LBB371_377
; %bb.376:
	s_wait_xcnt 0x0
	v_cndmask_b32_e64 v2, 0, 1.0, s20
	s_delay_alu instid0(VALU_DEP_1)
	v_cvt_f16_f32_e32 v2, v2
	global_store_b16 v[0:1], v2, off
.LBB371_377:
	s_mov_b32 s23, 0
.LBB371_378:
	s_delay_alu instid0(SALU_CYCLE_1)
	s_and_not1_b32 vcc_lo, exec_lo, s23
	s_cbranch_vccnz .LBB371_394
; %bb.379:
	s_cmp_lt_i32 s22, 2
	s_mov_b32 s23, -1
	s_cbranch_scc1 .LBB371_389
; %bb.380:
	s_cmp_lt_i32 s22, 3
	s_cbranch_scc1 .LBB371_386
; %bb.381:
	s_cmp_gt_i32 s22, 3
	s_cbranch_scc0 .LBB371_383
; %bb.382:
	s_mov_b32 s23, 0
	s_wait_xcnt 0x0
	v_cndmask_b32_e64 v2, 0, 1, s20
	v_mov_b32_e32 v3, s23
	global_store_b64 v[0:1], v[2:3], off
.LBB371_383:
	s_and_not1_b32 vcc_lo, exec_lo, s23
	s_cbranch_vccnz .LBB371_385
; %bb.384:
	s_wait_xcnt 0x0
	v_cndmask_b32_e64 v2, 0, 1, s20
	global_store_b32 v[0:1], v2, off
.LBB371_385:
	s_mov_b32 s23, 0
.LBB371_386:
	s_delay_alu instid0(SALU_CYCLE_1)
	s_and_not1_b32 vcc_lo, exec_lo, s23
	s_cbranch_vccnz .LBB371_388
; %bb.387:
	s_wait_xcnt 0x0
	v_cndmask_b32_e64 v2, 0, 1, s20
	global_store_b16 v[0:1], v2, off
.LBB371_388:
	s_mov_b32 s23, 0
.LBB371_389:
	s_delay_alu instid0(SALU_CYCLE_1)
	s_and_not1_b32 vcc_lo, exec_lo, s23
	s_cbranch_vccnz .LBB371_394
; %bb.390:
	s_wait_xcnt 0x0
	v_cndmask_b32_e64 v2, 0, 1, s20
	s_cmp_gt_i32 s22, 0
	s_mov_b32 s20, -1
	s_cbranch_scc0 .LBB371_392
; %bb.391:
	s_mov_b32 s20, 0
	global_store_b8 v[0:1], v2, off
.LBB371_392:
	s_and_not1_b32 vcc_lo, exec_lo, s20
	s_cbranch_vccnz .LBB371_394
; %bb.393:
	global_store_b8 v[0:1], v2, off
.LBB371_394:
	s_mov_b32 s24, -1
.LBB371_395:
	s_delay_alu instid0(SALU_CYCLE_1)
	s_and_not1_b32 vcc_lo, exec_lo, s24
	s_cbranch_vccnz .LBB371_397
; %bb.396:
	v_add_nc_u32_e32 v10, 0x80, v10
	s_mov_b32 s22, -1
	s_branch .LBB371_506
.LBB371_397:
	s_mov_b32 s22, 0
	s_branch .LBB371_505
.LBB371_398:
	s_mov_b32 s19, -1
                                        ; implicit-def: $vgpr2_vgpr3
.LBB371_399:
	s_mov_b32 s22, 0
.LBB371_400:
	s_delay_alu instid0(SALU_CYCLE_1)
	s_and_b32 vcc_lo, exec_lo, s22
	s_cbranch_vccz .LBB371_404
; %bb.401:
	s_cmp_eq_u32 s0, 29
	s_cbranch_scc0 .LBB371_403
; %bb.402:
	s_wait_loadcnt 0x0
	global_load_b64 v[2:3], v[0:1], off
	s_mov_b32 s20, -1
	s_mov_b32 s19, 0
	s_branch .LBB371_404
.LBB371_403:
	s_mov_b32 s19, -1
                                        ; implicit-def: $vgpr2_vgpr3
.LBB371_404:
	s_mov_b32 s22, 0
.LBB371_405:
	s_delay_alu instid0(SALU_CYCLE_1)
	s_and_b32 vcc_lo, exec_lo, s22
	s_cbranch_vccz .LBB371_421
; %bb.406:
	s_cmp_lt_i32 s0, 27
	s_cbranch_scc1 .LBB371_409
; %bb.407:
	s_cmp_gt_i32 s0, 27
	s_cbranch_scc0 .LBB371_410
; %bb.408:
	s_wait_loadcnt 0x0
	global_load_b32 v2, v[0:1], off
	v_mov_b32_e32 v3, 0
	s_mov_b32 s20, 0
	s_branch .LBB371_411
.LBB371_409:
	s_mov_b32 s20, -1
                                        ; implicit-def: $vgpr2_vgpr3
	s_branch .LBB371_414
.LBB371_410:
	s_mov_b32 s20, -1
                                        ; implicit-def: $vgpr2_vgpr3
.LBB371_411:
	s_delay_alu instid0(SALU_CYCLE_1)
	s_and_not1_b32 vcc_lo, exec_lo, s20
	s_cbranch_vccnz .LBB371_413
; %bb.412:
	s_wait_loadcnt 0x0
	global_load_u16 v2, v[0:1], off
	s_mov_b32 s20, 0
	s_delay_alu instid0(SALU_CYCLE_1)
	v_mov_b32_e32 v3, s20
	s_wait_loadcnt 0x0
	v_and_b32_e32 v2, 0xffff, v2
.LBB371_413:
	s_mov_b32 s20, 0
.LBB371_414:
	s_delay_alu instid0(SALU_CYCLE_1)
	s_and_not1_b32 vcc_lo, exec_lo, s20
	s_cbranch_vccnz .LBB371_420
; %bb.415:
	global_load_u8 v4, v[0:1], off
	s_mov_b32 s22, 0
	s_mov_b32 s20, exec_lo
	s_wait_loadcnt 0x0
	v_cmpx_lt_i16_e32 0x7f, v4
	s_xor_b32 s20, exec_lo, s20
	s_cbranch_execz .LBB371_432
; %bb.416:
	v_cmp_ne_u16_e32 vcc_lo, 0x80, v4
	s_and_b32 s22, vcc_lo, exec_lo
	s_and_not1_saveexec_b32 s20, s20
	s_cbranch_execnz .LBB371_433
.LBB371_417:
	s_or_b32 exec_lo, exec_lo, s20
	v_mov_b64_e32 v[2:3], 0
	s_and_saveexec_b32 s20, s22
	s_cbranch_execz .LBB371_419
.LBB371_418:
	v_and_b32_e32 v2, 0xffff, v4
	s_delay_alu instid0(VALU_DEP_1) | instskip(SKIP_1) | instid1(VALU_DEP_2)
	v_and_b32_e32 v3, 7, v2
	v_bfe_u32 v7, v2, 3, 4
	v_clz_i32_u32_e32 v5, v3
	s_delay_alu instid0(VALU_DEP_2) | instskip(NEXT) | instid1(VALU_DEP_2)
	v_cmp_eq_u32_e32 vcc_lo, 0, v7
	v_min_u32_e32 v5, 32, v5
	s_delay_alu instid0(VALU_DEP_1) | instskip(NEXT) | instid1(VALU_DEP_1)
	v_subrev_nc_u32_e32 v6, 28, v5
	v_dual_lshlrev_b32 v2, v6, v2 :: v_dual_sub_nc_u32 v5, 29, v5
	s_delay_alu instid0(VALU_DEP_1) | instskip(NEXT) | instid1(VALU_DEP_2)
	v_dual_lshlrev_b32 v4, 24, v4 :: v_dual_bitop2_b32 v2, 7, v2 bitop3:0x40
	v_cndmask_b32_e32 v5, v7, v5, vcc_lo
	s_delay_alu instid0(VALU_DEP_2) | instskip(NEXT) | instid1(VALU_DEP_3)
	v_cndmask_b32_e32 v2, v3, v2, vcc_lo
	v_and_b32_e32 v3, 0x80000000, v4
	s_delay_alu instid0(VALU_DEP_3) | instskip(NEXT) | instid1(VALU_DEP_3)
	v_lshl_add_u32 v4, v5, 23, 0x3b800000
	v_lshlrev_b32_e32 v2, 20, v2
	s_delay_alu instid0(VALU_DEP_1) | instskip(NEXT) | instid1(VALU_DEP_1)
	v_or3_b32 v2, v3, v4, v2
	v_trunc_f32_e32 v2, v2
	s_delay_alu instid0(VALU_DEP_1) | instskip(NEXT) | instid1(VALU_DEP_1)
	v_mul_f32_e32 v3, 0x2f800000, v2
	v_floor_f32_e32 v3, v3
	s_delay_alu instid0(VALU_DEP_1) | instskip(SKIP_1) | instid1(VALU_DEP_2)
	v_fmamk_f32 v2, v3, 0xcf800000, v2
	v_cvt_u32_f32_e32 v3, v3
	v_cvt_u32_f32_e32 v2, v2
.LBB371_419:
	s_or_b32 exec_lo, exec_lo, s20
.LBB371_420:
	s_mov_b32 s20, -1
.LBB371_421:
	s_mov_b32 s22, 0
.LBB371_422:
	s_delay_alu instid0(SALU_CYCLE_1)
	s_and_b32 vcc_lo, exec_lo, s22
	s_cbranch_vccz .LBB371_455
; %bb.423:
	s_cmp_gt_i32 s0, 22
	s_cbranch_scc0 .LBB371_431
; %bb.424:
	s_cmp_lt_i32 s0, 24
	s_cbranch_scc1 .LBB371_434
; %bb.425:
	s_cmp_gt_i32 s0, 24
	s_cbranch_scc0 .LBB371_435
; %bb.426:
	global_load_u8 v4, v[0:1], off
	s_mov_b32 s22, 0
	s_mov_b32 s20, exec_lo
	s_wait_loadcnt 0x0
	v_cmpx_lt_i16_e32 0x7f, v4
	s_xor_b32 s20, exec_lo, s20
	s_cbranch_execz .LBB371_447
; %bb.427:
	v_cmp_ne_u16_e32 vcc_lo, 0x80, v4
	s_and_b32 s22, vcc_lo, exec_lo
	s_and_not1_saveexec_b32 s20, s20
	s_cbranch_execnz .LBB371_448
.LBB371_428:
	s_or_b32 exec_lo, exec_lo, s20
	v_mov_b64_e32 v[2:3], 0
	s_and_saveexec_b32 s20, s22
	s_cbranch_execz .LBB371_430
.LBB371_429:
	v_and_b32_e32 v2, 0xffff, v4
	s_delay_alu instid0(VALU_DEP_1) | instskip(SKIP_1) | instid1(VALU_DEP_2)
	v_and_b32_e32 v3, 3, v2
	v_bfe_u32 v7, v2, 2, 5
	v_clz_i32_u32_e32 v5, v3
	s_delay_alu instid0(VALU_DEP_2) | instskip(NEXT) | instid1(VALU_DEP_2)
	v_cmp_eq_u32_e32 vcc_lo, 0, v7
	v_min_u32_e32 v5, 32, v5
	s_delay_alu instid0(VALU_DEP_1) | instskip(NEXT) | instid1(VALU_DEP_1)
	v_subrev_nc_u32_e32 v6, 29, v5
	v_dual_lshlrev_b32 v2, v6, v2 :: v_dual_sub_nc_u32 v5, 30, v5
	s_delay_alu instid0(VALU_DEP_1) | instskip(NEXT) | instid1(VALU_DEP_2)
	v_dual_lshlrev_b32 v4, 24, v4 :: v_dual_bitop2_b32 v2, 3, v2 bitop3:0x40
	v_cndmask_b32_e32 v5, v7, v5, vcc_lo
	s_delay_alu instid0(VALU_DEP_2) | instskip(NEXT) | instid1(VALU_DEP_3)
	v_cndmask_b32_e32 v2, v3, v2, vcc_lo
	v_and_b32_e32 v3, 0x80000000, v4
	s_delay_alu instid0(VALU_DEP_3) | instskip(NEXT) | instid1(VALU_DEP_3)
	v_lshl_add_u32 v4, v5, 23, 0x37800000
	v_lshlrev_b32_e32 v2, 21, v2
	s_delay_alu instid0(VALU_DEP_1) | instskip(NEXT) | instid1(VALU_DEP_1)
	v_or3_b32 v2, v3, v4, v2
	v_trunc_f32_e32 v2, v2
	s_delay_alu instid0(VALU_DEP_1) | instskip(NEXT) | instid1(VALU_DEP_1)
	v_mul_f32_e32 v3, 0x2f800000, v2
	v_floor_f32_e32 v3, v3
	s_delay_alu instid0(VALU_DEP_1) | instskip(SKIP_1) | instid1(VALU_DEP_2)
	v_fmamk_f32 v2, v3, 0xcf800000, v2
	v_cvt_u32_f32_e32 v3, v3
	v_cvt_u32_f32_e32 v2, v2
.LBB371_430:
	s_or_b32 exec_lo, exec_lo, s20
	s_mov_b32 s20, 0
	s_branch .LBB371_436
.LBB371_431:
	s_mov_b32 s22, -1
                                        ; implicit-def: $vgpr2_vgpr3
	s_branch .LBB371_442
.LBB371_432:
	s_and_not1_saveexec_b32 s20, s20
	s_cbranch_execz .LBB371_417
.LBB371_433:
	v_cmp_ne_u16_e32 vcc_lo, 0, v4
	s_and_not1_b32 s22, s22, exec_lo
	s_and_b32 s23, vcc_lo, exec_lo
	s_delay_alu instid0(SALU_CYCLE_1)
	s_or_b32 s22, s22, s23
	s_or_b32 exec_lo, exec_lo, s20
	v_mov_b64_e32 v[2:3], 0
	s_and_saveexec_b32 s20, s22
	s_cbranch_execnz .LBB371_418
	s_branch .LBB371_419
.LBB371_434:
	s_mov_b32 s20, -1
                                        ; implicit-def: $vgpr2_vgpr3
	s_branch .LBB371_439
.LBB371_435:
	s_mov_b32 s20, -1
                                        ; implicit-def: $vgpr2_vgpr3
.LBB371_436:
	s_delay_alu instid0(SALU_CYCLE_1)
	s_and_b32 vcc_lo, exec_lo, s20
	s_cbranch_vccz .LBB371_438
; %bb.437:
	s_wait_loadcnt 0x0
	global_load_u8 v2, v[0:1], off
	s_wait_loadcnt 0x0
	v_lshlrev_b32_e32 v2, 24, v2
	s_delay_alu instid0(VALU_DEP_1) | instskip(NEXT) | instid1(VALU_DEP_1)
	v_and_b32_e32 v3, 0x7f000000, v2
	v_clz_i32_u32_e32 v4, v3
	v_cmp_ne_u32_e32 vcc_lo, 0, v3
	v_add_nc_u32_e32 v6, 0x1000000, v3
	s_delay_alu instid0(VALU_DEP_3) | instskip(NEXT) | instid1(VALU_DEP_1)
	v_min_u32_e32 v4, 32, v4
	v_sub_nc_u32_e64 v4, v4, 4 clamp
	s_delay_alu instid0(VALU_DEP_1) | instskip(NEXT) | instid1(VALU_DEP_1)
	v_dual_lshlrev_b32 v5, v4, v3 :: v_dual_lshlrev_b32 v4, 23, v4
	v_lshrrev_b32_e32 v5, 4, v5
	s_delay_alu instid0(VALU_DEP_1) | instskip(NEXT) | instid1(VALU_DEP_1)
	v_dual_sub_nc_u32 v4, v5, v4 :: v_dual_ashrrev_i32 v5, 8, v6
	v_add_nc_u32_e32 v4, 0x3c000000, v4
	s_delay_alu instid0(VALU_DEP_1) | instskip(NEXT) | instid1(VALU_DEP_1)
	v_and_or_b32 v4, 0x7f800000, v5, v4
	v_cndmask_b32_e32 v3, 0, v4, vcc_lo
	s_delay_alu instid0(VALU_DEP_1) | instskip(NEXT) | instid1(VALU_DEP_1)
	v_and_or_b32 v2, 0x80000000, v2, v3
	v_trunc_f32_e32 v2, v2
	s_delay_alu instid0(VALU_DEP_1) | instskip(NEXT) | instid1(VALU_DEP_1)
	v_mul_f32_e32 v3, 0x2f800000, v2
	v_floor_f32_e32 v3, v3
	s_delay_alu instid0(VALU_DEP_1) | instskip(SKIP_1) | instid1(VALU_DEP_2)
	v_fmamk_f32 v2, v3, 0xcf800000, v2
	v_cvt_u32_f32_e32 v3, v3
	v_cvt_u32_f32_e32 v2, v2
.LBB371_438:
	s_mov_b32 s20, 0
.LBB371_439:
	s_delay_alu instid0(SALU_CYCLE_1)
	s_and_not1_b32 vcc_lo, exec_lo, s20
	s_cbranch_vccnz .LBB371_441
; %bb.440:
	s_wait_loadcnt 0x0
	global_load_u8 v2, v[0:1], off
	s_wait_loadcnt 0x0
	v_lshlrev_b32_e32 v3, 25, v2
	v_lshlrev_b16 v2, 8, v2
	s_delay_alu instid0(VALU_DEP_1) | instskip(SKIP_1) | instid1(VALU_DEP_2)
	v_and_or_b32 v5, 0x7f00, v2, 0.5
	v_bfe_i32 v2, v2, 0, 16
	v_dual_add_f32 v5, -0.5, v5 :: v_dual_lshrrev_b32 v4, 4, v3
	v_cmp_gt_u32_e32 vcc_lo, 0x8000000, v3
	s_delay_alu instid0(VALU_DEP_2) | instskip(NEXT) | instid1(VALU_DEP_1)
	v_or_b32_e32 v4, 0x70000000, v4
	v_mul_f32_e32 v4, 0x7800000, v4
	s_delay_alu instid0(VALU_DEP_1) | instskip(NEXT) | instid1(VALU_DEP_1)
	v_cndmask_b32_e32 v3, v4, v5, vcc_lo
	v_and_or_b32 v2, 0x80000000, v2, v3
	s_delay_alu instid0(VALU_DEP_1) | instskip(NEXT) | instid1(VALU_DEP_1)
	v_trunc_f32_e32 v2, v2
	v_mul_f32_e32 v3, 0x2f800000, v2
	s_delay_alu instid0(VALU_DEP_1) | instskip(NEXT) | instid1(VALU_DEP_1)
	v_floor_f32_e32 v3, v3
	v_fmamk_f32 v2, v3, 0xcf800000, v2
	v_cvt_u32_f32_e32 v3, v3
	s_delay_alu instid0(VALU_DEP_2)
	v_cvt_u32_f32_e32 v2, v2
.LBB371_441:
	s_mov_b32 s22, 0
	s_mov_b32 s20, -1
.LBB371_442:
	s_and_not1_b32 vcc_lo, exec_lo, s22
	s_cbranch_vccnz .LBB371_455
; %bb.443:
	s_cmp_gt_i32 s0, 14
	s_cbranch_scc0 .LBB371_446
; %bb.444:
	s_cmp_eq_u32 s0, 15
	s_cbranch_scc0 .LBB371_449
; %bb.445:
	s_wait_loadcnt 0x0
	global_load_u16 v2, v[0:1], off
	s_mov_b32 s20, -1
	s_mov_b32 s19, 0
	s_wait_loadcnt 0x0
	v_lshlrev_b32_e32 v2, 16, v2
	s_delay_alu instid0(VALU_DEP_1) | instskip(NEXT) | instid1(VALU_DEP_1)
	v_trunc_f32_e32 v2, v2
	v_mul_f32_e32 v3, 0x2f800000, v2
	s_delay_alu instid0(VALU_DEP_1) | instskip(NEXT) | instid1(VALU_DEP_1)
	v_floor_f32_e32 v3, v3
	v_fmamk_f32 v2, v3, 0xcf800000, v2
	v_cvt_u32_f32_e32 v3, v3
	s_delay_alu instid0(VALU_DEP_2)
	v_cvt_u32_f32_e32 v2, v2
	s_branch .LBB371_450
.LBB371_446:
	s_mov_b32 s22, -1
                                        ; implicit-def: $vgpr2_vgpr3
	s_branch .LBB371_451
.LBB371_447:
	s_and_not1_saveexec_b32 s20, s20
	s_cbranch_execz .LBB371_428
.LBB371_448:
	v_cmp_ne_u16_e32 vcc_lo, 0, v4
	s_and_not1_b32 s22, s22, exec_lo
	s_and_b32 s23, vcc_lo, exec_lo
	s_delay_alu instid0(SALU_CYCLE_1)
	s_or_b32 s22, s22, s23
	s_or_b32 exec_lo, exec_lo, s20
	v_mov_b64_e32 v[2:3], 0
	s_and_saveexec_b32 s20, s22
	s_cbranch_execnz .LBB371_429
	s_branch .LBB371_430
.LBB371_449:
	s_mov_b32 s19, -1
                                        ; implicit-def: $vgpr2_vgpr3
.LBB371_450:
	s_mov_b32 s22, 0
.LBB371_451:
	s_delay_alu instid0(SALU_CYCLE_1)
	s_and_b32 vcc_lo, exec_lo, s22
	s_cbranch_vccz .LBB371_455
; %bb.452:
	s_cmp_eq_u32 s0, 11
	s_cbranch_scc0 .LBB371_454
; %bb.453:
	s_wait_loadcnt 0x0
	global_load_u8 v2, v[0:1], off
	s_mov_b32 s19, 0
	s_mov_b32 s20, -1
	v_mov_b32_e32 v3, s19
	s_wait_loadcnt 0x0
	v_cmp_ne_u16_e32 vcc_lo, 0, v2
	v_cndmask_b32_e64 v2, 0, 1, vcc_lo
	s_branch .LBB371_455
.LBB371_454:
	s_mov_b32 s19, -1
                                        ; implicit-def: $vgpr2_vgpr3
.LBB371_455:
	s_branch .LBB371_261
.LBB371_456:
	s_cmp_lt_i32 s0, 5
	s_cbranch_scc1 .LBB371_461
; %bb.457:
	s_cmp_lt_i32 s0, 8
	s_cbranch_scc1 .LBB371_462
; %bb.458:
	;; [unrolled: 3-line block ×3, first 2 shown]
	s_cmp_gt_i32 s0, 9
	s_cbranch_scc0 .LBB371_464
; %bb.460:
	s_wait_loadcnt 0x0
	global_load_b64 v[2:3], v[0:1], off
	s_mov_b32 s20, 0
	s_wait_loadcnt 0x0
	v_trunc_f64_e32 v[2:3], v[2:3]
	s_delay_alu instid0(VALU_DEP_1) | instskip(NEXT) | instid1(VALU_DEP_1)
	v_ldexp_f64 v[4:5], v[2:3], 0xffffffe0
	v_floor_f64_e32 v[4:5], v[4:5]
	s_delay_alu instid0(VALU_DEP_1) | instskip(SKIP_1) | instid1(VALU_DEP_2)
	v_fmamk_f64 v[6:7], v[4:5], 0xc1f00000, v[2:3]
	v_cvt_u32_f64_e32 v3, v[4:5]
	v_cvt_u32_f64_e32 v2, v[6:7]
	s_branch .LBB371_465
.LBB371_461:
	s_mov_b32 s20, -1
                                        ; implicit-def: $vgpr2_vgpr3
	s_branch .LBB371_483
.LBB371_462:
	s_mov_b32 s20, -1
                                        ; implicit-def: $vgpr2_vgpr3
	s_branch .LBB371_471
.LBB371_463:
	s_mov_b32 s20, -1
                                        ; implicit-def: $vgpr2_vgpr3
	s_branch .LBB371_468
.LBB371_464:
	s_mov_b32 s20, -1
                                        ; implicit-def: $vgpr2_vgpr3
.LBB371_465:
	s_delay_alu instid0(SALU_CYCLE_1)
	s_and_not1_b32 vcc_lo, exec_lo, s20
	s_cbranch_vccnz .LBB371_467
; %bb.466:
	s_wait_loadcnt 0x0
	global_load_b32 v2, v[0:1], off
	s_wait_loadcnt 0x0
	v_trunc_f32_e32 v2, v2
	s_delay_alu instid0(VALU_DEP_1) | instskip(NEXT) | instid1(VALU_DEP_1)
	v_mul_f32_e32 v3, 0x2f800000, v2
	v_floor_f32_e32 v3, v3
	s_delay_alu instid0(VALU_DEP_1) | instskip(SKIP_1) | instid1(VALU_DEP_2)
	v_fmamk_f32 v2, v3, 0xcf800000, v2
	v_cvt_u32_f32_e32 v3, v3
	v_cvt_u32_f32_e32 v2, v2
.LBB371_467:
	s_mov_b32 s20, 0
.LBB371_468:
	s_delay_alu instid0(SALU_CYCLE_1)
	s_and_not1_b32 vcc_lo, exec_lo, s20
	s_cbranch_vccnz .LBB371_470
; %bb.469:
	s_wait_loadcnt 0x0
	global_load_b32 v2, v[0:1], off
	v_mov_b32_e32 v3, 0
	s_wait_loadcnt 0x0
	v_cvt_f32_f16_e32 v2, v2
	s_delay_alu instid0(VALU_DEP_1)
	v_cvt_u32_f32_e32 v2, v2
.LBB371_470:
	s_mov_b32 s20, 0
.LBB371_471:
	s_delay_alu instid0(SALU_CYCLE_1)
	s_and_not1_b32 vcc_lo, exec_lo, s20
	s_cbranch_vccnz .LBB371_482
; %bb.472:
	s_cmp_lt_i32 s0, 6
	s_cbranch_scc1 .LBB371_475
; %bb.473:
	s_cmp_gt_i32 s0, 6
	s_cbranch_scc0 .LBB371_476
; %bb.474:
	s_wait_loadcnt 0x0
	global_load_b64 v[2:3], v[0:1], off
	s_mov_b32 s20, 0
	s_wait_loadcnt 0x0
	v_trunc_f64_e32 v[2:3], v[2:3]
	s_delay_alu instid0(VALU_DEP_1) | instskip(NEXT) | instid1(VALU_DEP_1)
	v_ldexp_f64 v[4:5], v[2:3], 0xffffffe0
	v_floor_f64_e32 v[4:5], v[4:5]
	s_delay_alu instid0(VALU_DEP_1) | instskip(SKIP_1) | instid1(VALU_DEP_2)
	v_fmamk_f64 v[6:7], v[4:5], 0xc1f00000, v[2:3]
	v_cvt_u32_f64_e32 v3, v[4:5]
	v_cvt_u32_f64_e32 v2, v[6:7]
	s_branch .LBB371_477
.LBB371_475:
	s_mov_b32 s20, -1
                                        ; implicit-def: $vgpr2_vgpr3
	s_branch .LBB371_480
.LBB371_476:
	s_mov_b32 s20, -1
                                        ; implicit-def: $vgpr2_vgpr3
.LBB371_477:
	s_delay_alu instid0(SALU_CYCLE_1)
	s_and_not1_b32 vcc_lo, exec_lo, s20
	s_cbranch_vccnz .LBB371_479
; %bb.478:
	s_wait_loadcnt 0x0
	global_load_b32 v2, v[0:1], off
	s_wait_loadcnt 0x0
	v_trunc_f32_e32 v2, v2
	s_delay_alu instid0(VALU_DEP_1) | instskip(NEXT) | instid1(VALU_DEP_1)
	v_mul_f32_e32 v3, 0x2f800000, v2
	v_floor_f32_e32 v3, v3
	s_delay_alu instid0(VALU_DEP_1) | instskip(SKIP_1) | instid1(VALU_DEP_2)
	v_fmamk_f32 v2, v3, 0xcf800000, v2
	v_cvt_u32_f32_e32 v3, v3
	v_cvt_u32_f32_e32 v2, v2
.LBB371_479:
	s_mov_b32 s20, 0
.LBB371_480:
	s_delay_alu instid0(SALU_CYCLE_1)
	s_and_not1_b32 vcc_lo, exec_lo, s20
	s_cbranch_vccnz .LBB371_482
; %bb.481:
	s_wait_loadcnt 0x0
	global_load_u16 v2, v[0:1], off
	v_mov_b32_e32 v3, 0
	s_wait_loadcnt 0x0
	v_cvt_f32_f16_e32 v2, v2
	s_delay_alu instid0(VALU_DEP_1)
	v_cvt_u32_f32_e32 v2, v2
.LBB371_482:
	s_mov_b32 s20, 0
.LBB371_483:
	s_delay_alu instid0(SALU_CYCLE_1)
	s_and_not1_b32 vcc_lo, exec_lo, s20
	s_cbranch_vccnz .LBB371_503
; %bb.484:
	s_cmp_lt_i32 s0, 2
	s_cbranch_scc1 .LBB371_488
; %bb.485:
	s_cmp_lt_i32 s0, 3
	s_cbranch_scc1 .LBB371_489
; %bb.486:
	s_cmp_gt_i32 s0, 3
	s_cbranch_scc0 .LBB371_490
; %bb.487:
	s_wait_loadcnt 0x0
	global_load_b64 v[2:3], v[0:1], off
	s_mov_b32 s20, 0
	s_branch .LBB371_491
.LBB371_488:
	s_mov_b32 s20, -1
                                        ; implicit-def: $vgpr2_vgpr3
	s_branch .LBB371_497
.LBB371_489:
	s_mov_b32 s20, -1
                                        ; implicit-def: $vgpr2_vgpr3
	s_branch .LBB371_494
.LBB371_490:
	s_mov_b32 s20, -1
                                        ; implicit-def: $vgpr2_vgpr3
.LBB371_491:
	s_delay_alu instid0(SALU_CYCLE_1)
	s_and_not1_b32 vcc_lo, exec_lo, s20
	s_cbranch_vccnz .LBB371_493
; %bb.492:
	s_wait_loadcnt 0x0
	global_load_b32 v2, v[0:1], off
	s_wait_loadcnt 0x0
	v_ashrrev_i32_e32 v3, 31, v2
.LBB371_493:
	s_mov_b32 s20, 0
.LBB371_494:
	s_delay_alu instid0(SALU_CYCLE_1)
	s_and_not1_b32 vcc_lo, exec_lo, s20
	s_cbranch_vccnz .LBB371_496
; %bb.495:
	s_wait_loadcnt 0x0
	global_load_u16 v2, v[0:1], off
	s_wait_loadcnt 0x0
	v_bfe_i32 v2, v2, 0, 16
	s_delay_alu instid0(VALU_DEP_1)
	v_ashrrev_i32_e32 v3, 31, v2
.LBB371_496:
	s_mov_b32 s20, 0
.LBB371_497:
	s_delay_alu instid0(SALU_CYCLE_1)
	s_and_not1_b32 vcc_lo, exec_lo, s20
	s_cbranch_vccnz .LBB371_503
; %bb.498:
	s_cmp_gt_i32 s0, 0
	s_mov_b32 s0, 0
	s_cbranch_scc0 .LBB371_500
; %bb.499:
	s_wait_loadcnt 0x0
	global_load_i8 v2, v[0:1], off
	s_wait_loadcnt 0x0
	v_bfe_i32 v2, v2, 0, 16
	s_delay_alu instid0(VALU_DEP_1)
	v_ashrrev_i32_e32 v3, 31, v2
	s_branch .LBB371_501
.LBB371_500:
	s_mov_b32 s0, -1
                                        ; implicit-def: $vgpr2_vgpr3
.LBB371_501:
	s_delay_alu instid0(SALU_CYCLE_1)
	s_and_not1_b32 vcc_lo, exec_lo, s0
	s_cbranch_vccnz .LBB371_503
; %bb.502:
	global_load_u8 v0, v[0:1], off
	s_mov_b32 s0, 0
	s_wait_loadcnt 0x1
	v_mov_b32_e32 v3, s0
	s_wait_loadcnt 0x0
	v_and_b32_e32 v2, 0xffff, v0
.LBB371_503:
	s_branch .LBB371_262
.LBB371_504:
	s_mov_b32 s22, 0
	s_mov_b32 s0, s16
.LBB371_505:
                                        ; implicit-def: $vgpr10
.LBB371_506:
	s_and_not1_b32 s20, s16, exec_lo
	s_and_b32 s0, s0, exec_lo
	s_and_not1_b32 s23, s17, exec_lo
	s_and_b32 s19, s19, exec_lo
	s_or_b32 s20, s20, s0
	s_or_b32 s19, s23, s19
	s_or_not1_b32 s0, s22, exec_lo
.LBB371_507:
	s_wait_xcnt 0x0
	s_or_b32 exec_lo, exec_lo, s21
	s_mov_b32 s22, 0
	s_mov_b32 s23, 0
	;; [unrolled: 1-line block ×3, first 2 shown]
                                        ; implicit-def: $vgpr0_vgpr1
                                        ; implicit-def: $vgpr2_vgpr3
	s_and_saveexec_b32 s21, s0
	s_cbranch_execz .LBB371_846
; %bb.508:
	s_mov_b32 s24, -1
	s_mov_b32 s0, s19
	s_mov_b32 s23, s20
	s_mov_b32 s22, exec_lo
	v_cmpx_gt_i32_e64 s15, v10
	s_cbranch_execz .LBB371_764
; %bb.509:
	v_mul_lo_u32 v0, v10, s13
	s_and_b32 s0, 0xffff, s2
	s_delay_alu instid0(SALU_CYCLE_1) | instskip(NEXT) | instid1(VALU_DEP_1)
	s_cmp_lt_i32 s0, 11
	v_ashrrev_i32_e32 v1, 31, v0
	s_delay_alu instid0(VALU_DEP_1)
	v_add_nc_u64_e32 v[0:1], s[6:7], v[0:1]
	s_cbranch_scc1 .LBB371_516
; %bb.510:
	s_cmp_gt_i32 s0, 25
	s_cbranch_scc0 .LBB371_517
; %bb.511:
	s_cmp_gt_i32 s0, 28
	s_cbranch_scc0 .LBB371_518
	;; [unrolled: 3-line block ×4, first 2 shown]
; %bb.514:
	s_cmp_eq_u32 s0, 46
	s_mov_b32 s25, 0
	s_cbranch_scc0 .LBB371_525
; %bb.515:
	s_wait_loadcnt 0x0
	global_load_b32 v2, v[0:1], off
	s_mov_b32 s23, 0
	s_wait_loadcnt 0x0
	v_lshlrev_b32_e32 v2, 16, v2
	s_delay_alu instid0(VALU_DEP_1) | instskip(NEXT) | instid1(VALU_DEP_1)
	v_trunc_f32_e32 v2, v2
	v_mul_f32_e32 v3, 0x2f800000, v2
	s_delay_alu instid0(VALU_DEP_1) | instskip(NEXT) | instid1(VALU_DEP_1)
	v_floor_f32_e32 v3, v3
	v_fmamk_f32 v2, v3, 0xcf800000, v2
	v_cvt_u32_f32_e32 v3, v3
	s_delay_alu instid0(VALU_DEP_2)
	v_cvt_u32_f32_e32 v2, v2
	s_branch .LBB371_527
.LBB371_516:
	s_mov_b32 s25, -1
	s_mov_b32 s24, 0
	s_mov_b32 s23, s19
                                        ; implicit-def: $vgpr2_vgpr3
	s_branch .LBB371_588
.LBB371_517:
	s_mov_b32 s25, -1
	s_mov_b32 s24, 0
	s_mov_b32 s23, s19
                                        ; implicit-def: $vgpr2_vgpr3
	s_branch .LBB371_554
.LBB371_518:
	s_mov_b32 s25, -1
	s_mov_b32 s24, 0
	s_mov_b32 s23, s19
                                        ; implicit-def: $vgpr2_vgpr3
	s_branch .LBB371_537
.LBB371_519:
	s_mov_b32 s25, -1
	s_mov_b32 s24, 0
	s_mov_b32 s23, s19
                                        ; implicit-def: $vgpr2_vgpr3
	s_branch .LBB371_532
.LBB371_520:
	s_and_not1_saveexec_b32 s26, s26
	s_cbranch_execz .LBB371_308
.LBB371_521:
	v_add_f32_e32 v2, 0x46000000, v3
	s_and_not1_b32 s25, s25, exec_lo
	s_delay_alu instid0(VALU_DEP_1) | instskip(NEXT) | instid1(VALU_DEP_1)
	v_and_b32_e32 v2, 0xff, v2
	v_cmp_ne_u32_e32 vcc_lo, 0, v2
	s_and_b32 s27, vcc_lo, exec_lo
	s_delay_alu instid0(SALU_CYCLE_1)
	s_or_b32 s25, s25, s27
	s_or_b32 exec_lo, exec_lo, s26
	v_mov_b32_e32 v4, 0
	s_and_saveexec_b32 s26, s25
	s_cbranch_execnz .LBB371_309
	s_branch .LBB371_310
.LBB371_522:
	s_mov_b32 s25, -1
	s_mov_b32 s24, 0
	s_mov_b32 s23, s19
	s_branch .LBB371_526
.LBB371_523:
	s_and_not1_saveexec_b32 s26, s26
	s_cbranch_execz .LBB371_321
.LBB371_524:
	v_add_f32_e32 v2, 0x42800000, v3
	s_and_not1_b32 s25, s25, exec_lo
	s_delay_alu instid0(VALU_DEP_1) | instskip(NEXT) | instid1(VALU_DEP_1)
	v_and_b32_e32 v2, 0xff, v2
	v_cmp_ne_u32_e32 vcc_lo, 0, v2
	s_and_b32 s27, vcc_lo, exec_lo
	s_delay_alu instid0(SALU_CYCLE_1)
	s_or_b32 s25, s25, s27
	s_or_b32 exec_lo, exec_lo, s26
	v_mov_b32_e32 v4, 0
	s_and_saveexec_b32 s26, s25
	s_cbranch_execnz .LBB371_322
	s_branch .LBB371_323
.LBB371_525:
	s_mov_b32 s23, -1
	s_mov_b32 s24, 0
.LBB371_526:
                                        ; implicit-def: $vgpr2_vgpr3
.LBB371_527:
	s_and_b32 vcc_lo, exec_lo, s25
	s_cbranch_vccz .LBB371_531
; %bb.528:
	s_cmp_eq_u32 s0, 44
	s_cbranch_scc0 .LBB371_530
; %bb.529:
	s_wait_loadcnt 0x0
	global_load_u8 v2, v[0:1], off
	s_mov_b32 s23, 0
	s_mov_b32 s24, -1
	s_wait_loadcnt 0x0
	v_cmp_ne_u32_e32 vcc_lo, 0, v2
	v_lshlrev_b32_e32 v3, 23, v2
	s_delay_alu instid0(VALU_DEP_1) | instskip(NEXT) | instid1(VALU_DEP_1)
	v_trunc_f32_e32 v3, v3
	v_mul_f32_e32 v4, 0x2f800000, v3
	s_delay_alu instid0(VALU_DEP_1) | instskip(NEXT) | instid1(VALU_DEP_1)
	v_floor_f32_e32 v4, v4
	v_fmamk_f32 v3, v4, 0xcf800000, v3
	v_cvt_u32_f32_e32 v4, v4
	s_delay_alu instid0(VALU_DEP_2) | instskip(NEXT) | instid1(VALU_DEP_1)
	v_cvt_u32_f32_e32 v5, v3
	v_dual_cndmask_b32 v3, 0, v4 :: v_dual_cndmask_b32 v2, 0, v5
	s_branch .LBB371_531
.LBB371_530:
	s_mov_b32 s23, -1
                                        ; implicit-def: $vgpr2_vgpr3
.LBB371_531:
	s_mov_b32 s25, 0
.LBB371_532:
	s_delay_alu instid0(SALU_CYCLE_1)
	s_and_b32 vcc_lo, exec_lo, s25
	s_cbranch_vccz .LBB371_536
; %bb.533:
	s_cmp_eq_u32 s0, 29
	s_cbranch_scc0 .LBB371_535
; %bb.534:
	s_wait_loadcnt 0x0
	global_load_b64 v[2:3], v[0:1], off
	s_mov_b32 s24, -1
	s_mov_b32 s23, 0
	s_branch .LBB371_536
.LBB371_535:
	s_mov_b32 s23, -1
                                        ; implicit-def: $vgpr2_vgpr3
.LBB371_536:
	s_mov_b32 s25, 0
.LBB371_537:
	s_delay_alu instid0(SALU_CYCLE_1)
	s_and_b32 vcc_lo, exec_lo, s25
	s_cbranch_vccz .LBB371_553
; %bb.538:
	s_cmp_lt_i32 s0, 27
	s_cbranch_scc1 .LBB371_541
; %bb.539:
	s_cmp_gt_i32 s0, 27
	s_cbranch_scc0 .LBB371_542
; %bb.540:
	s_wait_loadcnt 0x0
	global_load_b32 v2, v[0:1], off
	v_mov_b32_e32 v3, 0
	s_mov_b32 s24, 0
	s_branch .LBB371_543
.LBB371_541:
	s_mov_b32 s24, -1
                                        ; implicit-def: $vgpr2_vgpr3
	s_branch .LBB371_546
.LBB371_542:
	s_mov_b32 s24, -1
                                        ; implicit-def: $vgpr2_vgpr3
.LBB371_543:
	s_delay_alu instid0(SALU_CYCLE_1)
	s_and_not1_b32 vcc_lo, exec_lo, s24
	s_cbranch_vccnz .LBB371_545
; %bb.544:
	s_wait_loadcnt 0x0
	global_load_u16 v2, v[0:1], off
	s_mov_b32 s24, 0
	s_delay_alu instid0(SALU_CYCLE_1)
	v_mov_b32_e32 v3, s24
	s_wait_loadcnt 0x0
	v_and_b32_e32 v2, 0xffff, v2
.LBB371_545:
	s_mov_b32 s24, 0
.LBB371_546:
	s_delay_alu instid0(SALU_CYCLE_1)
	s_and_not1_b32 vcc_lo, exec_lo, s24
	s_cbranch_vccnz .LBB371_552
; %bb.547:
	global_load_u8 v4, v[0:1], off
	s_mov_b32 s25, 0
	s_mov_b32 s24, exec_lo
	s_wait_loadcnt 0x0
	v_cmpx_lt_i16_e32 0x7f, v4
	s_xor_b32 s24, exec_lo, s24
	s_cbranch_execz .LBB371_564
; %bb.548:
	v_cmp_ne_u16_e32 vcc_lo, 0x80, v4
	s_and_b32 s25, vcc_lo, exec_lo
	s_and_not1_saveexec_b32 s24, s24
	s_cbranch_execnz .LBB371_565
.LBB371_549:
	s_or_b32 exec_lo, exec_lo, s24
	v_mov_b64_e32 v[2:3], 0
	s_and_saveexec_b32 s24, s25
	s_cbranch_execz .LBB371_551
.LBB371_550:
	v_and_b32_e32 v2, 0xffff, v4
	s_delay_alu instid0(VALU_DEP_1) | instskip(SKIP_1) | instid1(VALU_DEP_2)
	v_and_b32_e32 v3, 7, v2
	v_bfe_u32 v7, v2, 3, 4
	v_clz_i32_u32_e32 v5, v3
	s_delay_alu instid0(VALU_DEP_2) | instskip(NEXT) | instid1(VALU_DEP_2)
	v_cmp_eq_u32_e32 vcc_lo, 0, v7
	v_min_u32_e32 v5, 32, v5
	s_delay_alu instid0(VALU_DEP_1) | instskip(NEXT) | instid1(VALU_DEP_1)
	v_subrev_nc_u32_e32 v6, 28, v5
	v_dual_lshlrev_b32 v2, v6, v2 :: v_dual_sub_nc_u32 v5, 29, v5
	s_delay_alu instid0(VALU_DEP_1) | instskip(NEXT) | instid1(VALU_DEP_2)
	v_dual_lshlrev_b32 v4, 24, v4 :: v_dual_bitop2_b32 v2, 7, v2 bitop3:0x40
	v_cndmask_b32_e32 v5, v7, v5, vcc_lo
	s_delay_alu instid0(VALU_DEP_2) | instskip(NEXT) | instid1(VALU_DEP_3)
	v_cndmask_b32_e32 v2, v3, v2, vcc_lo
	v_and_b32_e32 v3, 0x80000000, v4
	s_delay_alu instid0(VALU_DEP_3) | instskip(NEXT) | instid1(VALU_DEP_3)
	v_lshl_add_u32 v4, v5, 23, 0x3b800000
	v_lshlrev_b32_e32 v2, 20, v2
	s_delay_alu instid0(VALU_DEP_1) | instskip(NEXT) | instid1(VALU_DEP_1)
	v_or3_b32 v2, v3, v4, v2
	v_trunc_f32_e32 v2, v2
	s_delay_alu instid0(VALU_DEP_1) | instskip(NEXT) | instid1(VALU_DEP_1)
	v_mul_f32_e32 v3, 0x2f800000, v2
	v_floor_f32_e32 v3, v3
	s_delay_alu instid0(VALU_DEP_1) | instskip(SKIP_1) | instid1(VALU_DEP_2)
	v_fmamk_f32 v2, v3, 0xcf800000, v2
	v_cvt_u32_f32_e32 v3, v3
	v_cvt_u32_f32_e32 v2, v2
.LBB371_551:
	s_or_b32 exec_lo, exec_lo, s24
.LBB371_552:
	s_mov_b32 s24, -1
.LBB371_553:
	s_mov_b32 s25, 0
.LBB371_554:
	s_delay_alu instid0(SALU_CYCLE_1)
	s_and_b32 vcc_lo, exec_lo, s25
	s_cbranch_vccz .LBB371_587
; %bb.555:
	s_cmp_gt_i32 s0, 22
	s_cbranch_scc0 .LBB371_563
; %bb.556:
	s_cmp_lt_i32 s0, 24
	s_cbranch_scc1 .LBB371_566
; %bb.557:
	s_cmp_gt_i32 s0, 24
	s_cbranch_scc0 .LBB371_567
; %bb.558:
	global_load_u8 v4, v[0:1], off
	s_mov_b32 s25, 0
	s_mov_b32 s24, exec_lo
	s_wait_loadcnt 0x0
	v_cmpx_lt_i16_e32 0x7f, v4
	s_xor_b32 s24, exec_lo, s24
	s_cbranch_execz .LBB371_579
; %bb.559:
	v_cmp_ne_u16_e32 vcc_lo, 0x80, v4
	s_and_b32 s25, vcc_lo, exec_lo
	s_and_not1_saveexec_b32 s24, s24
	s_cbranch_execnz .LBB371_580
.LBB371_560:
	s_or_b32 exec_lo, exec_lo, s24
	v_mov_b64_e32 v[2:3], 0
	s_and_saveexec_b32 s24, s25
	s_cbranch_execz .LBB371_562
.LBB371_561:
	v_and_b32_e32 v2, 0xffff, v4
	s_delay_alu instid0(VALU_DEP_1) | instskip(SKIP_1) | instid1(VALU_DEP_2)
	v_and_b32_e32 v3, 3, v2
	v_bfe_u32 v7, v2, 2, 5
	v_clz_i32_u32_e32 v5, v3
	s_delay_alu instid0(VALU_DEP_2) | instskip(NEXT) | instid1(VALU_DEP_2)
	v_cmp_eq_u32_e32 vcc_lo, 0, v7
	v_min_u32_e32 v5, 32, v5
	s_delay_alu instid0(VALU_DEP_1) | instskip(NEXT) | instid1(VALU_DEP_1)
	v_subrev_nc_u32_e32 v6, 29, v5
	v_dual_lshlrev_b32 v2, v6, v2 :: v_dual_sub_nc_u32 v5, 30, v5
	s_delay_alu instid0(VALU_DEP_1) | instskip(NEXT) | instid1(VALU_DEP_2)
	v_dual_lshlrev_b32 v4, 24, v4 :: v_dual_bitop2_b32 v2, 3, v2 bitop3:0x40
	v_cndmask_b32_e32 v5, v7, v5, vcc_lo
	s_delay_alu instid0(VALU_DEP_2) | instskip(NEXT) | instid1(VALU_DEP_3)
	v_cndmask_b32_e32 v2, v3, v2, vcc_lo
	v_and_b32_e32 v3, 0x80000000, v4
	s_delay_alu instid0(VALU_DEP_3) | instskip(NEXT) | instid1(VALU_DEP_3)
	v_lshl_add_u32 v4, v5, 23, 0x37800000
	v_lshlrev_b32_e32 v2, 21, v2
	s_delay_alu instid0(VALU_DEP_1) | instskip(NEXT) | instid1(VALU_DEP_1)
	v_or3_b32 v2, v3, v4, v2
	v_trunc_f32_e32 v2, v2
	s_delay_alu instid0(VALU_DEP_1) | instskip(NEXT) | instid1(VALU_DEP_1)
	v_mul_f32_e32 v3, 0x2f800000, v2
	v_floor_f32_e32 v3, v3
	s_delay_alu instid0(VALU_DEP_1) | instskip(SKIP_1) | instid1(VALU_DEP_2)
	v_fmamk_f32 v2, v3, 0xcf800000, v2
	v_cvt_u32_f32_e32 v3, v3
	v_cvt_u32_f32_e32 v2, v2
.LBB371_562:
	s_or_b32 exec_lo, exec_lo, s24
	s_mov_b32 s24, 0
	s_branch .LBB371_568
.LBB371_563:
	s_mov_b32 s25, -1
                                        ; implicit-def: $vgpr2_vgpr3
	s_branch .LBB371_574
.LBB371_564:
	s_and_not1_saveexec_b32 s24, s24
	s_cbranch_execz .LBB371_549
.LBB371_565:
	v_cmp_ne_u16_e32 vcc_lo, 0, v4
	s_and_not1_b32 s25, s25, exec_lo
	s_and_b32 s26, vcc_lo, exec_lo
	s_delay_alu instid0(SALU_CYCLE_1)
	s_or_b32 s25, s25, s26
	s_or_b32 exec_lo, exec_lo, s24
	v_mov_b64_e32 v[2:3], 0
	s_and_saveexec_b32 s24, s25
	s_cbranch_execnz .LBB371_550
	s_branch .LBB371_551
.LBB371_566:
	s_mov_b32 s24, -1
                                        ; implicit-def: $vgpr2_vgpr3
	s_branch .LBB371_571
.LBB371_567:
	s_mov_b32 s24, -1
                                        ; implicit-def: $vgpr2_vgpr3
.LBB371_568:
	s_delay_alu instid0(SALU_CYCLE_1)
	s_and_b32 vcc_lo, exec_lo, s24
	s_cbranch_vccz .LBB371_570
; %bb.569:
	s_wait_loadcnt 0x0
	global_load_u8 v2, v[0:1], off
	s_wait_loadcnt 0x0
	v_lshlrev_b32_e32 v2, 24, v2
	s_delay_alu instid0(VALU_DEP_1) | instskip(NEXT) | instid1(VALU_DEP_1)
	v_and_b32_e32 v3, 0x7f000000, v2
	v_clz_i32_u32_e32 v4, v3
	v_cmp_ne_u32_e32 vcc_lo, 0, v3
	v_add_nc_u32_e32 v6, 0x1000000, v3
	s_delay_alu instid0(VALU_DEP_3) | instskip(NEXT) | instid1(VALU_DEP_1)
	v_min_u32_e32 v4, 32, v4
	v_sub_nc_u32_e64 v4, v4, 4 clamp
	s_delay_alu instid0(VALU_DEP_1) | instskip(NEXT) | instid1(VALU_DEP_1)
	v_dual_lshlrev_b32 v5, v4, v3 :: v_dual_lshlrev_b32 v4, 23, v4
	v_lshrrev_b32_e32 v5, 4, v5
	s_delay_alu instid0(VALU_DEP_1) | instskip(NEXT) | instid1(VALU_DEP_1)
	v_dual_sub_nc_u32 v4, v5, v4 :: v_dual_ashrrev_i32 v5, 8, v6
	v_add_nc_u32_e32 v4, 0x3c000000, v4
	s_delay_alu instid0(VALU_DEP_1) | instskip(NEXT) | instid1(VALU_DEP_1)
	v_and_or_b32 v4, 0x7f800000, v5, v4
	v_cndmask_b32_e32 v3, 0, v4, vcc_lo
	s_delay_alu instid0(VALU_DEP_1) | instskip(NEXT) | instid1(VALU_DEP_1)
	v_and_or_b32 v2, 0x80000000, v2, v3
	v_trunc_f32_e32 v2, v2
	s_delay_alu instid0(VALU_DEP_1) | instskip(NEXT) | instid1(VALU_DEP_1)
	v_mul_f32_e32 v3, 0x2f800000, v2
	v_floor_f32_e32 v3, v3
	s_delay_alu instid0(VALU_DEP_1) | instskip(SKIP_1) | instid1(VALU_DEP_2)
	v_fmamk_f32 v2, v3, 0xcf800000, v2
	v_cvt_u32_f32_e32 v3, v3
	v_cvt_u32_f32_e32 v2, v2
.LBB371_570:
	s_mov_b32 s24, 0
.LBB371_571:
	s_delay_alu instid0(SALU_CYCLE_1)
	s_and_not1_b32 vcc_lo, exec_lo, s24
	s_cbranch_vccnz .LBB371_573
; %bb.572:
	s_wait_loadcnt 0x0
	global_load_u8 v2, v[0:1], off
	s_wait_loadcnt 0x0
	v_lshlrev_b32_e32 v3, 25, v2
	v_lshlrev_b16 v2, 8, v2
	s_delay_alu instid0(VALU_DEP_1) | instskip(SKIP_1) | instid1(VALU_DEP_2)
	v_and_or_b32 v5, 0x7f00, v2, 0.5
	v_bfe_i32 v2, v2, 0, 16
	v_dual_add_f32 v5, -0.5, v5 :: v_dual_lshrrev_b32 v4, 4, v3
	v_cmp_gt_u32_e32 vcc_lo, 0x8000000, v3
	s_delay_alu instid0(VALU_DEP_2) | instskip(NEXT) | instid1(VALU_DEP_1)
	v_or_b32_e32 v4, 0x70000000, v4
	v_mul_f32_e32 v4, 0x7800000, v4
	s_delay_alu instid0(VALU_DEP_1) | instskip(NEXT) | instid1(VALU_DEP_1)
	v_cndmask_b32_e32 v3, v4, v5, vcc_lo
	v_and_or_b32 v2, 0x80000000, v2, v3
	s_delay_alu instid0(VALU_DEP_1) | instskip(NEXT) | instid1(VALU_DEP_1)
	v_trunc_f32_e32 v2, v2
	v_mul_f32_e32 v3, 0x2f800000, v2
	s_delay_alu instid0(VALU_DEP_1) | instskip(NEXT) | instid1(VALU_DEP_1)
	v_floor_f32_e32 v3, v3
	v_fmamk_f32 v2, v3, 0xcf800000, v2
	v_cvt_u32_f32_e32 v3, v3
	s_delay_alu instid0(VALU_DEP_2)
	v_cvt_u32_f32_e32 v2, v2
.LBB371_573:
	s_mov_b32 s25, 0
	s_mov_b32 s24, -1
.LBB371_574:
	s_and_not1_b32 vcc_lo, exec_lo, s25
	s_cbranch_vccnz .LBB371_587
; %bb.575:
	s_cmp_gt_i32 s0, 14
	s_cbranch_scc0 .LBB371_578
; %bb.576:
	s_cmp_eq_u32 s0, 15
	s_cbranch_scc0 .LBB371_581
; %bb.577:
	s_wait_loadcnt 0x0
	global_load_u16 v2, v[0:1], off
	s_mov_b32 s24, -1
	s_mov_b32 s23, 0
	s_wait_loadcnt 0x0
	v_lshlrev_b32_e32 v2, 16, v2
	s_delay_alu instid0(VALU_DEP_1) | instskip(NEXT) | instid1(VALU_DEP_1)
	v_trunc_f32_e32 v2, v2
	v_mul_f32_e32 v3, 0x2f800000, v2
	s_delay_alu instid0(VALU_DEP_1) | instskip(NEXT) | instid1(VALU_DEP_1)
	v_floor_f32_e32 v3, v3
	v_fmamk_f32 v2, v3, 0xcf800000, v2
	v_cvt_u32_f32_e32 v3, v3
	s_delay_alu instid0(VALU_DEP_2)
	v_cvt_u32_f32_e32 v2, v2
	s_branch .LBB371_582
.LBB371_578:
	s_mov_b32 s25, -1
                                        ; implicit-def: $vgpr2_vgpr3
	s_branch .LBB371_583
.LBB371_579:
	s_and_not1_saveexec_b32 s24, s24
	s_cbranch_execz .LBB371_560
.LBB371_580:
	v_cmp_ne_u16_e32 vcc_lo, 0, v4
	s_and_not1_b32 s25, s25, exec_lo
	s_and_b32 s26, vcc_lo, exec_lo
	s_delay_alu instid0(SALU_CYCLE_1)
	s_or_b32 s25, s25, s26
	s_or_b32 exec_lo, exec_lo, s24
	v_mov_b64_e32 v[2:3], 0
	s_and_saveexec_b32 s24, s25
	s_cbranch_execnz .LBB371_561
	s_branch .LBB371_562
.LBB371_581:
	s_mov_b32 s23, -1
                                        ; implicit-def: $vgpr2_vgpr3
.LBB371_582:
	s_mov_b32 s25, 0
.LBB371_583:
	s_delay_alu instid0(SALU_CYCLE_1)
	s_and_b32 vcc_lo, exec_lo, s25
	s_cbranch_vccz .LBB371_587
; %bb.584:
	s_cmp_eq_u32 s0, 11
	s_cbranch_scc0 .LBB371_586
; %bb.585:
	s_wait_loadcnt 0x0
	global_load_u8 v2, v[0:1], off
	s_mov_b32 s23, 0
	s_mov_b32 s24, -1
	v_mov_b32_e32 v3, s23
	s_wait_loadcnt 0x0
	v_cmp_ne_u16_e32 vcc_lo, 0, v2
	v_cndmask_b32_e64 v2, 0, 1, vcc_lo
	s_branch .LBB371_587
.LBB371_586:
	s_mov_b32 s23, -1
                                        ; implicit-def: $vgpr2_vgpr3
.LBB371_587:
	s_mov_b32 s25, 0
.LBB371_588:
	s_delay_alu instid0(SALU_CYCLE_1)
	s_and_b32 vcc_lo, exec_lo, s25
	s_cbranch_vccz .LBB371_637
; %bb.589:
	s_cmp_lt_i32 s0, 5
	s_cbranch_scc1 .LBB371_594
; %bb.590:
	s_cmp_lt_i32 s0, 8
	s_cbranch_scc1 .LBB371_595
; %bb.591:
	s_cmp_lt_i32 s0, 9
	s_cbranch_scc1 .LBB371_596
; %bb.592:
	s_cmp_gt_i32 s0, 9
	s_cbranch_scc0 .LBB371_597
; %bb.593:
	s_wait_loadcnt 0x0
	global_load_b64 v[2:3], v[0:1], off
	s_mov_b32 s24, 0
	s_wait_loadcnt 0x0
	v_trunc_f64_e32 v[2:3], v[2:3]
	s_delay_alu instid0(VALU_DEP_1) | instskip(NEXT) | instid1(VALU_DEP_1)
	v_ldexp_f64 v[4:5], v[2:3], 0xffffffe0
	v_floor_f64_e32 v[4:5], v[4:5]
	s_delay_alu instid0(VALU_DEP_1) | instskip(SKIP_1) | instid1(VALU_DEP_2)
	v_fmamk_f64 v[6:7], v[4:5], 0xc1f00000, v[2:3]
	v_cvt_u32_f64_e32 v3, v[4:5]
	v_cvt_u32_f64_e32 v2, v[6:7]
	s_branch .LBB371_598
.LBB371_594:
	s_mov_b32 s24, -1
                                        ; implicit-def: $vgpr2_vgpr3
	s_branch .LBB371_616
.LBB371_595:
	s_mov_b32 s24, -1
                                        ; implicit-def: $vgpr2_vgpr3
	s_branch .LBB371_604
.LBB371_596:
	s_mov_b32 s24, -1
                                        ; implicit-def: $vgpr2_vgpr3
	s_branch .LBB371_601
.LBB371_597:
	s_mov_b32 s24, -1
                                        ; implicit-def: $vgpr2_vgpr3
.LBB371_598:
	s_delay_alu instid0(SALU_CYCLE_1)
	s_and_not1_b32 vcc_lo, exec_lo, s24
	s_cbranch_vccnz .LBB371_600
; %bb.599:
	s_wait_loadcnt 0x0
	global_load_b32 v2, v[0:1], off
	s_wait_loadcnt 0x0
	v_trunc_f32_e32 v2, v2
	s_delay_alu instid0(VALU_DEP_1) | instskip(NEXT) | instid1(VALU_DEP_1)
	v_mul_f32_e32 v3, 0x2f800000, v2
	v_floor_f32_e32 v3, v3
	s_delay_alu instid0(VALU_DEP_1) | instskip(SKIP_1) | instid1(VALU_DEP_2)
	v_fmamk_f32 v2, v3, 0xcf800000, v2
	v_cvt_u32_f32_e32 v3, v3
	v_cvt_u32_f32_e32 v2, v2
.LBB371_600:
	s_mov_b32 s24, 0
.LBB371_601:
	s_delay_alu instid0(SALU_CYCLE_1)
	s_and_not1_b32 vcc_lo, exec_lo, s24
	s_cbranch_vccnz .LBB371_603
; %bb.602:
	s_wait_loadcnt 0x0
	global_load_b32 v2, v[0:1], off
	v_mov_b32_e32 v3, 0
	s_wait_loadcnt 0x0
	v_cvt_f32_f16_e32 v2, v2
	s_delay_alu instid0(VALU_DEP_1)
	v_cvt_u32_f32_e32 v2, v2
.LBB371_603:
	s_mov_b32 s24, 0
.LBB371_604:
	s_delay_alu instid0(SALU_CYCLE_1)
	s_and_not1_b32 vcc_lo, exec_lo, s24
	s_cbranch_vccnz .LBB371_615
; %bb.605:
	s_cmp_lt_i32 s0, 6
	s_cbranch_scc1 .LBB371_608
; %bb.606:
	s_cmp_gt_i32 s0, 6
	s_cbranch_scc0 .LBB371_609
; %bb.607:
	s_wait_loadcnt 0x0
	global_load_b64 v[2:3], v[0:1], off
	s_mov_b32 s24, 0
	s_wait_loadcnt 0x0
	v_trunc_f64_e32 v[2:3], v[2:3]
	s_delay_alu instid0(VALU_DEP_1) | instskip(NEXT) | instid1(VALU_DEP_1)
	v_ldexp_f64 v[4:5], v[2:3], 0xffffffe0
	v_floor_f64_e32 v[4:5], v[4:5]
	s_delay_alu instid0(VALU_DEP_1) | instskip(SKIP_1) | instid1(VALU_DEP_2)
	v_fmamk_f64 v[6:7], v[4:5], 0xc1f00000, v[2:3]
	v_cvt_u32_f64_e32 v3, v[4:5]
	v_cvt_u32_f64_e32 v2, v[6:7]
	s_branch .LBB371_610
.LBB371_608:
	s_mov_b32 s24, -1
                                        ; implicit-def: $vgpr2_vgpr3
	s_branch .LBB371_613
.LBB371_609:
	s_mov_b32 s24, -1
                                        ; implicit-def: $vgpr2_vgpr3
.LBB371_610:
	s_delay_alu instid0(SALU_CYCLE_1)
	s_and_not1_b32 vcc_lo, exec_lo, s24
	s_cbranch_vccnz .LBB371_612
; %bb.611:
	s_wait_loadcnt 0x0
	global_load_b32 v2, v[0:1], off
	s_wait_loadcnt 0x0
	v_trunc_f32_e32 v2, v2
	s_delay_alu instid0(VALU_DEP_1) | instskip(NEXT) | instid1(VALU_DEP_1)
	v_mul_f32_e32 v3, 0x2f800000, v2
	v_floor_f32_e32 v3, v3
	s_delay_alu instid0(VALU_DEP_1) | instskip(SKIP_1) | instid1(VALU_DEP_2)
	v_fmamk_f32 v2, v3, 0xcf800000, v2
	v_cvt_u32_f32_e32 v3, v3
	v_cvt_u32_f32_e32 v2, v2
.LBB371_612:
	s_mov_b32 s24, 0
.LBB371_613:
	s_delay_alu instid0(SALU_CYCLE_1)
	s_and_not1_b32 vcc_lo, exec_lo, s24
	s_cbranch_vccnz .LBB371_615
; %bb.614:
	s_wait_loadcnt 0x0
	global_load_u16 v2, v[0:1], off
	v_mov_b32_e32 v3, 0
	s_wait_loadcnt 0x0
	v_cvt_f32_f16_e32 v2, v2
	s_delay_alu instid0(VALU_DEP_1)
	v_cvt_u32_f32_e32 v2, v2
.LBB371_615:
	s_mov_b32 s24, 0
.LBB371_616:
	s_delay_alu instid0(SALU_CYCLE_1)
	s_and_not1_b32 vcc_lo, exec_lo, s24
	s_cbranch_vccnz .LBB371_636
; %bb.617:
	s_cmp_lt_i32 s0, 2
	s_cbranch_scc1 .LBB371_621
; %bb.618:
	s_cmp_lt_i32 s0, 3
	s_cbranch_scc1 .LBB371_622
; %bb.619:
	s_cmp_gt_i32 s0, 3
	s_cbranch_scc0 .LBB371_623
; %bb.620:
	s_wait_loadcnt 0x0
	global_load_b64 v[2:3], v[0:1], off
	s_mov_b32 s24, 0
	s_branch .LBB371_624
.LBB371_621:
	s_mov_b32 s24, -1
                                        ; implicit-def: $vgpr2_vgpr3
	s_branch .LBB371_630
.LBB371_622:
	s_mov_b32 s24, -1
                                        ; implicit-def: $vgpr2_vgpr3
	s_branch .LBB371_627
.LBB371_623:
	s_mov_b32 s24, -1
                                        ; implicit-def: $vgpr2_vgpr3
.LBB371_624:
	s_delay_alu instid0(SALU_CYCLE_1)
	s_and_not1_b32 vcc_lo, exec_lo, s24
	s_cbranch_vccnz .LBB371_626
; %bb.625:
	s_wait_loadcnt 0x0
	global_load_b32 v2, v[0:1], off
	s_wait_loadcnt 0x0
	v_ashrrev_i32_e32 v3, 31, v2
.LBB371_626:
	s_mov_b32 s24, 0
.LBB371_627:
	s_delay_alu instid0(SALU_CYCLE_1)
	s_and_not1_b32 vcc_lo, exec_lo, s24
	s_cbranch_vccnz .LBB371_629
; %bb.628:
	s_wait_loadcnt 0x0
	global_load_u16 v2, v[0:1], off
	s_wait_loadcnt 0x0
	v_bfe_i32 v2, v2, 0, 16
	s_delay_alu instid0(VALU_DEP_1)
	v_ashrrev_i32_e32 v3, 31, v2
.LBB371_629:
	s_mov_b32 s24, 0
.LBB371_630:
	s_delay_alu instid0(SALU_CYCLE_1)
	s_and_not1_b32 vcc_lo, exec_lo, s24
	s_cbranch_vccnz .LBB371_636
; %bb.631:
	s_cmp_gt_i32 s0, 0
	s_mov_b32 s0, 0
	s_cbranch_scc0 .LBB371_633
; %bb.632:
	s_wait_loadcnt 0x0
	global_load_i8 v2, v[0:1], off
	s_wait_loadcnt 0x0
	v_bfe_i32 v2, v2, 0, 16
	s_delay_alu instid0(VALU_DEP_1)
	v_ashrrev_i32_e32 v3, 31, v2
	s_branch .LBB371_634
.LBB371_633:
	s_mov_b32 s0, -1
                                        ; implicit-def: $vgpr2_vgpr3
.LBB371_634:
	s_delay_alu instid0(SALU_CYCLE_1)
	s_and_not1_b32 vcc_lo, exec_lo, s0
	s_cbranch_vccnz .LBB371_636
; %bb.635:
	global_load_u8 v0, v[0:1], off
	s_mov_b32 s0, 0
	s_wait_loadcnt 0x1
	v_mov_b32_e32 v3, s0
	s_wait_loadcnt 0x0
	v_and_b32_e32 v2, 0xffff, v0
.LBB371_636:
	s_mov_b32 s24, -1
.LBB371_637:
	s_delay_alu instid0(SALU_CYCLE_1)
	s_and_not1_b32 vcc_lo, exec_lo, s24
	s_cbranch_vccnz .LBB371_645
; %bb.638:
	s_wait_xcnt 0x0
	v_mul_lo_u32 v0, v10, s12
	s_wait_loadcnt 0x0
	s_delay_alu instid0(VALU_DEP_2) | instskip(SKIP_3) | instid1(VALU_DEP_2)
	v_cmp_ne_u64_e32 vcc_lo, s[8:9], v[2:3]
	s_and_b32 s25, s10, 0xff
	s_xor_b32 s24, s11, vcc_lo
	s_cmp_lt_i32 s25, 11
	v_ashrrev_i32_e32 v1, 31, v0
	s_delay_alu instid0(VALU_DEP_1)
	v_add_nc_u64_e32 v[0:1], s[4:5], v[0:1]
	s_cbranch_scc1 .LBB371_646
; %bb.639:
	s_and_b32 s26, 0xffff, s25
	s_delay_alu instid0(SALU_CYCLE_1)
	s_cmp_gt_i32 s26, 25
	s_cbranch_scc0 .LBB371_647
; %bb.640:
	s_cmp_gt_i32 s26, 28
	s_cbranch_scc0 .LBB371_648
; %bb.641:
	;; [unrolled: 3-line block ×4, first 2 shown]
	s_mov_b32 s28, 0
	s_mov_b32 s0, -1
	s_cmp_eq_u32 s26, 46
	s_mov_b32 s27, 0
	s_cbranch_scc0 .LBB371_651
; %bb.644:
	v_cndmask_b32_e64 v2, 0, 1.0, s24
	s_mov_b32 s27, -1
	s_mov_b32 s0, 0
	s_delay_alu instid0(VALU_DEP_1) | instskip(NEXT) | instid1(VALU_DEP_1)
	v_bfe_u32 v3, v2, 16, 1
	v_add3_u32 v2, v2, v3, 0x7fff
	s_delay_alu instid0(VALU_DEP_1)
	v_lshrrev_b32_e32 v2, 16, v2
	global_store_b32 v[0:1], v2, off
	s_branch .LBB371_651
.LBB371_645:
	s_mov_b32 s24, 0
	s_mov_b32 s0, s20
	s_branch .LBB371_762
.LBB371_646:
	s_mov_b32 s26, -1
	s_mov_b32 s27, 0
	s_mov_b32 s0, s20
	s_branch .LBB371_720
.LBB371_647:
	s_mov_b32 s28, -1
	s_mov_b32 s27, 0
	s_mov_b32 s0, s20
	s_branch .LBB371_678
.LBB371_648:
	s_mov_b32 s28, -1
	s_mov_b32 s27, 0
	s_mov_b32 s0, s20
	s_branch .LBB371_661
.LBB371_649:
	s_mov_b32 s28, -1
	s_mov_b32 s27, 0
	s_mov_b32 s0, s20
	s_branch .LBB371_657
.LBB371_650:
	s_mov_b32 s28, -1
	s_mov_b32 s27, 0
	s_mov_b32 s0, s20
.LBB371_651:
	s_and_b32 vcc_lo, exec_lo, s28
	s_cbranch_vccz .LBB371_656
; %bb.652:
	s_cmp_eq_u32 s26, 44
	s_mov_b32 s0, -1
	s_cbranch_scc0 .LBB371_656
; %bb.653:
	v_cndmask_b32_e64 v4, 0, 1.0, s24
	s_mov_b32 s27, exec_lo
	s_wait_xcnt 0x0
	s_delay_alu instid0(VALU_DEP_1) | instskip(NEXT) | instid1(VALU_DEP_1)
	v_dual_mov_b32 v3, 0xff :: v_dual_lshrrev_b32 v2, 23, v4
	v_cmpx_ne_u32_e32 0xff, v2
; %bb.654:
	v_and_b32_e32 v3, 0x400000, v4
	v_and_or_b32 v4, 0x3fffff, v4, v2
	s_delay_alu instid0(VALU_DEP_2) | instskip(NEXT) | instid1(VALU_DEP_2)
	v_cmp_ne_u32_e32 vcc_lo, 0, v3
	v_cmp_ne_u32_e64 s0, 0, v4
	s_and_b32 s0, vcc_lo, s0
	s_delay_alu instid0(SALU_CYCLE_1) | instskip(NEXT) | instid1(VALU_DEP_1)
	v_cndmask_b32_e64 v3, 0, 1, s0
	v_add_nc_u32_e32 v3, v2, v3
; %bb.655:
	s_or_b32 exec_lo, exec_lo, s27
	s_mov_b32 s27, -1
	s_mov_b32 s0, 0
	global_store_b8 v[0:1], v3, off
.LBB371_656:
	s_mov_b32 s28, 0
.LBB371_657:
	s_delay_alu instid0(SALU_CYCLE_1)
	s_and_b32 vcc_lo, exec_lo, s28
	s_cbranch_vccz .LBB371_660
; %bb.658:
	s_cmp_eq_u32 s26, 29
	s_mov_b32 s0, -1
	s_cbranch_scc0 .LBB371_660
; %bb.659:
	s_mov_b32 s0, 0
	s_wait_xcnt 0x0
	v_cndmask_b32_e64 v2, 0, 1, s24
	v_mov_b32_e32 v3, s0
	s_mov_b32 s27, -1
	s_mov_b32 s28, 0
	global_store_b64 v[0:1], v[2:3], off
	s_branch .LBB371_661
.LBB371_660:
	s_mov_b32 s28, 0
.LBB371_661:
	s_delay_alu instid0(SALU_CYCLE_1)
	s_and_b32 vcc_lo, exec_lo, s28
	s_cbranch_vccz .LBB371_677
; %bb.662:
	s_cmp_lt_i32 s26, 27
	s_mov_b32 s27, -1
	s_cbranch_scc1 .LBB371_668
; %bb.663:
	s_cmp_gt_i32 s26, 27
	s_cbranch_scc0 .LBB371_665
; %bb.664:
	s_wait_xcnt 0x0
	v_cndmask_b32_e64 v2, 0, 1, s24
	s_mov_b32 s27, 0
	global_store_b32 v[0:1], v2, off
.LBB371_665:
	s_and_not1_b32 vcc_lo, exec_lo, s27
	s_cbranch_vccnz .LBB371_667
; %bb.666:
	s_wait_xcnt 0x0
	v_cndmask_b32_e64 v2, 0, 1, s24
	global_store_b16 v[0:1], v2, off
.LBB371_667:
	s_mov_b32 s27, 0
.LBB371_668:
	s_delay_alu instid0(SALU_CYCLE_1)
	s_and_not1_b32 vcc_lo, exec_lo, s27
	s_cbranch_vccnz .LBB371_676
; %bb.669:
	s_wait_xcnt 0x0
	v_cndmask_b32_e64 v3, 0, 1.0, s24
	v_mov_b32_e32 v4, 0x80
	s_mov_b32 s27, exec_lo
	s_delay_alu instid0(VALU_DEP_2)
	v_cmpx_gt_u32_e32 0x43800000, v3
	s_cbranch_execz .LBB371_675
; %bb.670:
	s_mov_b32 s28, 0
	s_mov_b32 s29, exec_lo
                                        ; implicit-def: $vgpr2
	v_cmpx_lt_u32_e32 0x3bffffff, v3
	s_xor_b32 s29, exec_lo, s29
	s_cbranch_execz .LBB371_777
; %bb.671:
	v_bfe_u32 v2, v3, 20, 1
	s_mov_b32 s28, exec_lo
	s_delay_alu instid0(VALU_DEP_1) | instskip(NEXT) | instid1(VALU_DEP_1)
	v_add3_u32 v2, v3, v2, 0x487ffff
                                        ; implicit-def: $vgpr3
	v_lshrrev_b32_e32 v2, 20, v2
	s_and_not1_saveexec_b32 s29, s29
	s_cbranch_execnz .LBB371_778
.LBB371_672:
	s_or_b32 exec_lo, exec_lo, s29
	v_mov_b32_e32 v4, 0
	s_and_saveexec_b32 s29, s28
.LBB371_673:
	v_mov_b32_e32 v4, v2
.LBB371_674:
	s_or_b32 exec_lo, exec_lo, s29
.LBB371_675:
	s_delay_alu instid0(SALU_CYCLE_1)
	s_or_b32 exec_lo, exec_lo, s27
	global_store_b8 v[0:1], v4, off
.LBB371_676:
	s_mov_b32 s27, -1
.LBB371_677:
	s_mov_b32 s28, 0
.LBB371_678:
	s_delay_alu instid0(SALU_CYCLE_1)
	s_and_b32 vcc_lo, exec_lo, s28
	s_cbranch_vccz .LBB371_719
; %bb.679:
	s_cmp_gt_i32 s26, 22
	s_mov_b32 s28, -1
	s_cbranch_scc0 .LBB371_711
; %bb.680:
	s_cmp_lt_i32 s26, 24
	s_mov_b32 s27, -1
	s_cbranch_scc1 .LBB371_700
; %bb.681:
	s_cmp_gt_i32 s26, 24
	s_cbranch_scc0 .LBB371_689
; %bb.682:
	s_wait_xcnt 0x0
	v_cndmask_b32_e64 v3, 0, 1.0, s24
	v_mov_b32_e32 v4, 0x80
	s_mov_b32 s27, exec_lo
	s_delay_alu instid0(VALU_DEP_2)
	v_cmpx_gt_u32_e32 0x47800000, v3
	s_cbranch_execz .LBB371_688
; %bb.683:
	s_mov_b32 s28, 0
	s_mov_b32 s29, exec_lo
                                        ; implicit-def: $vgpr2
	v_cmpx_lt_u32_e32 0x37ffffff, v3
	s_xor_b32 s29, exec_lo, s29
	s_cbranch_execz .LBB371_780
; %bb.684:
	v_bfe_u32 v2, v3, 21, 1
	s_mov_b32 s28, exec_lo
	s_delay_alu instid0(VALU_DEP_1) | instskip(NEXT) | instid1(VALU_DEP_1)
	v_add3_u32 v2, v3, v2, 0x88fffff
                                        ; implicit-def: $vgpr3
	v_lshrrev_b32_e32 v2, 21, v2
	s_and_not1_saveexec_b32 s29, s29
	s_cbranch_execnz .LBB371_781
.LBB371_685:
	s_or_b32 exec_lo, exec_lo, s29
	v_mov_b32_e32 v4, 0
	s_and_saveexec_b32 s29, s28
.LBB371_686:
	v_mov_b32_e32 v4, v2
.LBB371_687:
	s_or_b32 exec_lo, exec_lo, s29
.LBB371_688:
	s_delay_alu instid0(SALU_CYCLE_1)
	s_or_b32 exec_lo, exec_lo, s27
	s_mov_b32 s27, 0
	global_store_b8 v[0:1], v4, off
.LBB371_689:
	s_and_b32 vcc_lo, exec_lo, s27
	s_cbranch_vccz .LBB371_699
; %bb.690:
	s_wait_xcnt 0x0
	v_cndmask_b32_e64 v3, 0, 1.0, s24
	s_mov_b32 s27, exec_lo
                                        ; implicit-def: $vgpr2
	s_delay_alu instid0(VALU_DEP_1)
	v_cmpx_gt_u32_e32 0x43f00000, v3
	s_xor_b32 s27, exec_lo, s27
	s_cbranch_execz .LBB371_696
; %bb.691:
	s_mov_b32 s28, exec_lo
                                        ; implicit-def: $vgpr2
	v_cmpx_lt_u32_e32 0x3c7fffff, v3
	s_xor_b32 s28, exec_lo, s28
; %bb.692:
	v_bfe_u32 v2, v3, 20, 1
	s_delay_alu instid0(VALU_DEP_1) | instskip(NEXT) | instid1(VALU_DEP_1)
	v_add3_u32 v2, v3, v2, 0x407ffff
	v_and_b32_e32 v3, 0xff00000, v2
	v_lshrrev_b32_e32 v2, 20, v2
	s_delay_alu instid0(VALU_DEP_2) | instskip(NEXT) | instid1(VALU_DEP_2)
	v_cmp_ne_u32_e32 vcc_lo, 0x7f00000, v3
                                        ; implicit-def: $vgpr3
	v_cndmask_b32_e32 v2, 0x7e, v2, vcc_lo
; %bb.693:
	s_and_not1_saveexec_b32 s28, s28
; %bb.694:
	v_add_f32_e32 v2, 0x46800000, v3
; %bb.695:
	s_or_b32 exec_lo, exec_lo, s28
                                        ; implicit-def: $vgpr3
.LBB371_696:
	s_and_not1_saveexec_b32 s27, s27
; %bb.697:
	v_mov_b32_e32 v2, 0x7f
	v_cmp_lt_u32_e32 vcc_lo, 0x7f800000, v3
	s_delay_alu instid0(VALU_DEP_2)
	v_cndmask_b32_e32 v2, 0x7e, v2, vcc_lo
; %bb.698:
	s_or_b32 exec_lo, exec_lo, s27
	global_store_b8 v[0:1], v2, off
.LBB371_699:
	s_mov_b32 s27, 0
.LBB371_700:
	s_delay_alu instid0(SALU_CYCLE_1)
	s_and_not1_b32 vcc_lo, exec_lo, s27
	s_cbranch_vccnz .LBB371_710
; %bb.701:
	s_wait_xcnt 0x0
	v_cndmask_b32_e64 v3, 0, 1.0, s24
	s_mov_b32 s27, exec_lo
                                        ; implicit-def: $vgpr2
	s_delay_alu instid0(VALU_DEP_1)
	v_cmpx_gt_u32_e32 0x47800000, v3
	s_xor_b32 s27, exec_lo, s27
	s_cbranch_execz .LBB371_707
; %bb.702:
	s_mov_b32 s28, exec_lo
                                        ; implicit-def: $vgpr2
	v_cmpx_lt_u32_e32 0x387fffff, v3
	s_xor_b32 s28, exec_lo, s28
; %bb.703:
	v_bfe_u32 v2, v3, 21, 1
	s_delay_alu instid0(VALU_DEP_1) | instskip(NEXT) | instid1(VALU_DEP_1)
	v_add3_u32 v2, v3, v2, 0x80fffff
                                        ; implicit-def: $vgpr3
	v_lshrrev_b32_e32 v2, 21, v2
; %bb.704:
	s_and_not1_saveexec_b32 s28, s28
; %bb.705:
	v_add_f32_e32 v2, 0x43000000, v3
; %bb.706:
	s_or_b32 exec_lo, exec_lo, s28
                                        ; implicit-def: $vgpr3
.LBB371_707:
	s_and_not1_saveexec_b32 s27, s27
; %bb.708:
	v_mov_b32_e32 v2, 0x7f
	v_cmp_lt_u32_e32 vcc_lo, 0x7f800000, v3
	s_delay_alu instid0(VALU_DEP_2)
	v_cndmask_b32_e32 v2, 0x7c, v2, vcc_lo
; %bb.709:
	s_or_b32 exec_lo, exec_lo, s27
	global_store_b8 v[0:1], v2, off
.LBB371_710:
	s_mov_b32 s28, 0
	s_mov_b32 s27, -1
.LBB371_711:
	s_and_not1_b32 vcc_lo, exec_lo, s28
	s_cbranch_vccnz .LBB371_719
; %bb.712:
	s_cmp_gt_i32 s26, 14
	s_mov_b32 s28, -1
	s_cbranch_scc0 .LBB371_716
; %bb.713:
	s_cmp_eq_u32 s26, 15
	s_mov_b32 s0, -1
	s_cbranch_scc0 .LBB371_715
; %bb.714:
	s_wait_xcnt 0x0
	v_cndmask_b32_e64 v2, 0, 1.0, s24
	s_mov_b32 s27, -1
	s_mov_b32 s0, 0
	s_delay_alu instid0(VALU_DEP_1) | instskip(NEXT) | instid1(VALU_DEP_1)
	v_bfe_u32 v3, v2, 16, 1
	v_add3_u32 v2, v2, v3, 0x7fff
	global_store_d16_hi_b16 v[0:1], v2, off
.LBB371_715:
	s_mov_b32 s28, 0
.LBB371_716:
	s_delay_alu instid0(SALU_CYCLE_1)
	s_and_b32 vcc_lo, exec_lo, s28
	s_cbranch_vccz .LBB371_719
; %bb.717:
	s_cmp_eq_u32 s26, 11
	s_mov_b32 s0, -1
	s_cbranch_scc0 .LBB371_719
; %bb.718:
	s_wait_xcnt 0x0
	v_cndmask_b32_e64 v2, 0, 1, s24
	s_mov_b32 s27, -1
	s_mov_b32 s0, 0
	global_store_b8 v[0:1], v2, off
.LBB371_719:
	s_mov_b32 s26, 0
.LBB371_720:
	s_delay_alu instid0(SALU_CYCLE_1)
	s_and_b32 vcc_lo, exec_lo, s26
	s_cbranch_vccz .LBB371_759
; %bb.721:
	s_and_b32 s25, 0xffff, s25
	s_mov_b32 s26, -1
	s_cmp_lt_i32 s25, 5
	s_cbranch_scc1 .LBB371_742
; %bb.722:
	s_cmp_lt_i32 s25, 8
	s_cbranch_scc1 .LBB371_732
; %bb.723:
	;; [unrolled: 3-line block ×3, first 2 shown]
	s_cmp_gt_i32 s25, 9
	s_cbranch_scc0 .LBB371_726
; %bb.725:
	s_wait_xcnt 0x0
	v_cndmask_b32_e64 v2, 0, 1, s24
	v_mov_b32_e32 v4, 0
	s_mov_b32 s26, 0
	s_delay_alu instid0(VALU_DEP_2) | instskip(NEXT) | instid1(VALU_DEP_2)
	v_cvt_f64_u32_e32 v[2:3], v2
	v_mov_b32_e32 v5, v4
	global_store_b128 v[0:1], v[2:5], off
.LBB371_726:
	s_and_not1_b32 vcc_lo, exec_lo, s26
	s_cbranch_vccnz .LBB371_728
; %bb.727:
	s_wait_xcnt 0x0
	v_cndmask_b32_e64 v2, 0, 1.0, s24
	v_mov_b32_e32 v3, 0
	global_store_b64 v[0:1], v[2:3], off
.LBB371_728:
	s_mov_b32 s26, 0
.LBB371_729:
	s_delay_alu instid0(SALU_CYCLE_1)
	s_and_not1_b32 vcc_lo, exec_lo, s26
	s_cbranch_vccnz .LBB371_731
; %bb.730:
	s_wait_xcnt 0x0
	v_cndmask_b32_e64 v2, 0, 1.0, s24
	s_delay_alu instid0(VALU_DEP_1) | instskip(NEXT) | instid1(VALU_DEP_1)
	v_cvt_f16_f32_e32 v2, v2
	v_and_b32_e32 v2, 0xffff, v2
	global_store_b32 v[0:1], v2, off
.LBB371_731:
	s_mov_b32 s26, 0
.LBB371_732:
	s_delay_alu instid0(SALU_CYCLE_1)
	s_and_not1_b32 vcc_lo, exec_lo, s26
	s_cbranch_vccnz .LBB371_741
; %bb.733:
	s_cmp_lt_i32 s25, 6
	s_mov_b32 s26, -1
	s_cbranch_scc1 .LBB371_739
; %bb.734:
	s_cmp_gt_i32 s25, 6
	s_cbranch_scc0 .LBB371_736
; %bb.735:
	s_wait_xcnt 0x0
	v_cndmask_b32_e64 v2, 0, 1, s24
	s_mov_b32 s26, 0
	s_delay_alu instid0(VALU_DEP_1)
	v_cvt_f64_u32_e32 v[2:3], v2
	global_store_b64 v[0:1], v[2:3], off
.LBB371_736:
	s_and_not1_b32 vcc_lo, exec_lo, s26
	s_cbranch_vccnz .LBB371_738
; %bb.737:
	s_wait_xcnt 0x0
	v_cndmask_b32_e64 v2, 0, 1.0, s24
	global_store_b32 v[0:1], v2, off
.LBB371_738:
	s_mov_b32 s26, 0
.LBB371_739:
	s_delay_alu instid0(SALU_CYCLE_1)
	s_and_not1_b32 vcc_lo, exec_lo, s26
	s_cbranch_vccnz .LBB371_741
; %bb.740:
	s_wait_xcnt 0x0
	v_cndmask_b32_e64 v2, 0, 1.0, s24
	s_delay_alu instid0(VALU_DEP_1)
	v_cvt_f16_f32_e32 v2, v2
	global_store_b16 v[0:1], v2, off
.LBB371_741:
	s_mov_b32 s26, 0
.LBB371_742:
	s_delay_alu instid0(SALU_CYCLE_1)
	s_and_not1_b32 vcc_lo, exec_lo, s26
	s_cbranch_vccnz .LBB371_758
; %bb.743:
	s_cmp_lt_i32 s25, 2
	s_mov_b32 s26, -1
	s_cbranch_scc1 .LBB371_753
; %bb.744:
	s_cmp_lt_i32 s25, 3
	s_cbranch_scc1 .LBB371_750
; %bb.745:
	s_cmp_gt_i32 s25, 3
	s_cbranch_scc0 .LBB371_747
; %bb.746:
	s_mov_b32 s26, 0
	s_wait_xcnt 0x0
	v_cndmask_b32_e64 v2, 0, 1, s24
	v_mov_b32_e32 v3, s26
	global_store_b64 v[0:1], v[2:3], off
.LBB371_747:
	s_and_not1_b32 vcc_lo, exec_lo, s26
	s_cbranch_vccnz .LBB371_749
; %bb.748:
	s_wait_xcnt 0x0
	v_cndmask_b32_e64 v2, 0, 1, s24
	global_store_b32 v[0:1], v2, off
.LBB371_749:
	s_mov_b32 s26, 0
.LBB371_750:
	s_delay_alu instid0(SALU_CYCLE_1)
	s_and_not1_b32 vcc_lo, exec_lo, s26
	s_cbranch_vccnz .LBB371_752
; %bb.751:
	s_wait_xcnt 0x0
	v_cndmask_b32_e64 v2, 0, 1, s24
	global_store_b16 v[0:1], v2, off
.LBB371_752:
	s_mov_b32 s26, 0
.LBB371_753:
	s_delay_alu instid0(SALU_CYCLE_1)
	s_and_not1_b32 vcc_lo, exec_lo, s26
	s_cbranch_vccnz .LBB371_758
; %bb.754:
	s_wait_xcnt 0x0
	v_cndmask_b32_e64 v2, 0, 1, s24
	s_cmp_gt_i32 s25, 0
	s_mov_b32 s24, -1
	s_cbranch_scc0 .LBB371_756
; %bb.755:
	s_mov_b32 s24, 0
	global_store_b8 v[0:1], v2, off
.LBB371_756:
	s_and_not1_b32 vcc_lo, exec_lo, s24
	s_cbranch_vccnz .LBB371_758
; %bb.757:
	global_store_b8 v[0:1], v2, off
.LBB371_758:
	s_mov_b32 s27, -1
.LBB371_759:
	s_delay_alu instid0(SALU_CYCLE_1)
	s_and_not1_b32 vcc_lo, exec_lo, s27
	s_cbranch_vccnz .LBB371_761
; %bb.760:
	v_add_nc_u32_e32 v10, 0x80, v10
	s_mov_b32 s24, -1
	s_branch .LBB371_763
.LBB371_761:
	s_mov_b32 s24, 0
.LBB371_762:
                                        ; implicit-def: $vgpr10
.LBB371_763:
	s_and_not1_b32 s25, s20, exec_lo
	s_and_b32 s0, s0, exec_lo
	s_and_not1_b32 s26, s19, exec_lo
	s_and_b32 s27, s23, exec_lo
	s_or_b32 s23, s25, s0
	s_or_b32 s0, s26, s27
	s_or_not1_b32 s24, s24, exec_lo
.LBB371_764:
	s_wait_xcnt 0x0
	s_or_b32 exec_lo, exec_lo, s22
	s_mov_b32 s25, 0
	s_mov_b32 s26, 0
	;; [unrolled: 1-line block ×3, first 2 shown]
                                        ; implicit-def: $vgpr0_vgpr1
                                        ; implicit-def: $vgpr2_vgpr3
	s_and_saveexec_b32 s22, s24
	s_cbranch_execz .LBB371_845
; %bb.765:
	v_cmp_gt_i32_e32 vcc_lo, s15, v10
	s_mov_b32 s24, 0
	s_mov_b32 s25, s0
	;; [unrolled: 1-line block ×3, first 2 shown]
                                        ; implicit-def: $vgpr0_vgpr1
                                        ; implicit-def: $vgpr2_vgpr3
	s_and_saveexec_b32 s15, vcc_lo
	s_cbranch_execz .LBB371_844
; %bb.766:
	v_mul_lo_u32 v0, v10, s13
	s_and_b32 s24, 0xffff, s2
	s_delay_alu instid0(SALU_CYCLE_1) | instskip(NEXT) | instid1(VALU_DEP_1)
	s_cmp_lt_i32 s24, 11
	v_ashrrev_i32_e32 v1, 31, v0
	s_delay_alu instid0(VALU_DEP_1)
	v_add_nc_u64_e32 v[0:1], s[6:7], v[0:1]
	s_cbranch_scc1 .LBB371_773
; %bb.767:
	s_cmp_gt_i32 s24, 25
	s_cbranch_scc0 .LBB371_774
; %bb.768:
	s_cmp_gt_i32 s24, 28
	s_cbranch_scc0 .LBB371_775
	;; [unrolled: 3-line block ×4, first 2 shown]
; %bb.771:
	s_cmp_eq_u32 s24, 46
	s_cbranch_scc0 .LBB371_782
; %bb.772:
	s_wait_loadcnt 0x0
	global_load_b32 v2, v[0:1], off
	s_mov_b32 s25, 0
	s_mov_b32 s27, -1
	s_wait_loadcnt 0x0
	v_lshlrev_b32_e32 v2, 16, v2
	s_delay_alu instid0(VALU_DEP_1) | instskip(NEXT) | instid1(VALU_DEP_1)
	v_trunc_f32_e32 v2, v2
	v_mul_f32_e32 v3, 0x2f800000, v2
	s_delay_alu instid0(VALU_DEP_1) | instskip(NEXT) | instid1(VALU_DEP_1)
	v_floor_f32_e32 v3, v3
	v_fmamk_f32 v2, v3, 0xcf800000, v2
	v_cvt_u32_f32_e32 v3, v3
	s_delay_alu instid0(VALU_DEP_2)
	v_cvt_u32_f32_e32 v2, v2
	s_branch .LBB371_784
.LBB371_773:
	s_mov_b32 s24, -1
	s_mov_b32 s25, s0
                                        ; implicit-def: $vgpr2_vgpr3
	s_branch .LBB371_843
.LBB371_774:
	s_mov_b32 s28, -1
	s_mov_b32 s25, s0
                                        ; implicit-def: $vgpr2_vgpr3
	s_branch .LBB371_811
.LBB371_775:
	s_mov_b32 s28, -1
	s_mov_b32 s25, s0
                                        ; implicit-def: $vgpr2_vgpr3
	s_branch .LBB371_794
.LBB371_776:
	s_mov_b32 s28, -1
	s_mov_b32 s25, s0
                                        ; implicit-def: $vgpr2_vgpr3
	s_branch .LBB371_789
.LBB371_777:
	s_and_not1_saveexec_b32 s29, s29
	s_cbranch_execz .LBB371_672
.LBB371_778:
	v_add_f32_e32 v2, 0x46000000, v3
	s_and_not1_b32 s28, s28, exec_lo
	s_delay_alu instid0(VALU_DEP_1) | instskip(NEXT) | instid1(VALU_DEP_1)
	v_and_b32_e32 v2, 0xff, v2
	v_cmp_ne_u32_e32 vcc_lo, 0, v2
	s_and_b32 s30, vcc_lo, exec_lo
	s_delay_alu instid0(SALU_CYCLE_1)
	s_or_b32 s28, s28, s30
	s_or_b32 exec_lo, exec_lo, s29
	v_mov_b32_e32 v4, 0
	s_and_saveexec_b32 s29, s28
	s_cbranch_execnz .LBB371_673
	s_branch .LBB371_674
.LBB371_779:
	s_mov_b32 s28, -1
	s_mov_b32 s25, s0
	s_branch .LBB371_783
.LBB371_780:
	s_and_not1_saveexec_b32 s29, s29
	s_cbranch_execz .LBB371_685
.LBB371_781:
	v_add_f32_e32 v2, 0x42800000, v3
	s_and_not1_b32 s28, s28, exec_lo
	s_delay_alu instid0(VALU_DEP_1) | instskip(NEXT) | instid1(VALU_DEP_1)
	v_and_b32_e32 v2, 0xff, v2
	v_cmp_ne_u32_e32 vcc_lo, 0, v2
	s_and_b32 s30, vcc_lo, exec_lo
	s_delay_alu instid0(SALU_CYCLE_1)
	s_or_b32 s28, s28, s30
	s_or_b32 exec_lo, exec_lo, s29
	v_mov_b32_e32 v4, 0
	s_and_saveexec_b32 s29, s28
	s_cbranch_execnz .LBB371_686
	s_branch .LBB371_687
.LBB371_782:
	s_mov_b32 s25, -1
.LBB371_783:
                                        ; implicit-def: $vgpr2_vgpr3
.LBB371_784:
	s_and_b32 vcc_lo, exec_lo, s28
	s_cbranch_vccz .LBB371_788
; %bb.785:
	s_cmp_eq_u32 s24, 44
	s_cbranch_scc0 .LBB371_787
; %bb.786:
	s_wait_loadcnt 0x0
	global_load_u8 v2, v[0:1], off
	s_mov_b32 s25, 0
	s_mov_b32 s27, -1
	s_wait_loadcnt 0x0
	v_cmp_ne_u32_e32 vcc_lo, 0, v2
	v_lshlrev_b32_e32 v3, 23, v2
	s_delay_alu instid0(VALU_DEP_1) | instskip(NEXT) | instid1(VALU_DEP_1)
	v_trunc_f32_e32 v3, v3
	v_mul_f32_e32 v4, 0x2f800000, v3
	s_delay_alu instid0(VALU_DEP_1) | instskip(NEXT) | instid1(VALU_DEP_1)
	v_floor_f32_e32 v4, v4
	v_fmamk_f32 v3, v4, 0xcf800000, v3
	v_cvt_u32_f32_e32 v4, v4
	s_delay_alu instid0(VALU_DEP_2) | instskip(NEXT) | instid1(VALU_DEP_1)
	v_cvt_u32_f32_e32 v5, v3
	v_dual_cndmask_b32 v3, 0, v4 :: v_dual_cndmask_b32 v2, 0, v5
	s_branch .LBB371_788
.LBB371_787:
	s_mov_b32 s25, -1
                                        ; implicit-def: $vgpr2_vgpr3
.LBB371_788:
	s_mov_b32 s28, 0
.LBB371_789:
	s_delay_alu instid0(SALU_CYCLE_1)
	s_and_b32 vcc_lo, exec_lo, s28
	s_cbranch_vccz .LBB371_793
; %bb.790:
	s_cmp_eq_u32 s24, 29
	s_cbranch_scc0 .LBB371_792
; %bb.791:
	s_wait_loadcnt 0x0
	global_load_b64 v[2:3], v[0:1], off
	s_mov_b32 s25, 0
	s_mov_b32 s27, -1
	s_branch .LBB371_793
.LBB371_792:
	s_mov_b32 s25, -1
                                        ; implicit-def: $vgpr2_vgpr3
.LBB371_793:
	s_mov_b32 s28, 0
.LBB371_794:
	s_delay_alu instid0(SALU_CYCLE_1)
	s_and_b32 vcc_lo, exec_lo, s28
	s_cbranch_vccz .LBB371_810
; %bb.795:
	s_cmp_lt_i32 s24, 27
	s_cbranch_scc1 .LBB371_798
; %bb.796:
	s_cmp_gt_i32 s24, 27
	s_cbranch_scc0 .LBB371_799
; %bb.797:
	s_wait_loadcnt 0x0
	global_load_b32 v2, v[0:1], off
	v_mov_b32_e32 v3, 0
	s_mov_b32 s27, 0
	s_branch .LBB371_800
.LBB371_798:
	s_mov_b32 s27, -1
                                        ; implicit-def: $vgpr2_vgpr3
	s_branch .LBB371_803
.LBB371_799:
	s_mov_b32 s27, -1
                                        ; implicit-def: $vgpr2_vgpr3
.LBB371_800:
	s_delay_alu instid0(SALU_CYCLE_1)
	s_and_not1_b32 vcc_lo, exec_lo, s27
	s_cbranch_vccnz .LBB371_802
; %bb.801:
	s_wait_loadcnt 0x0
	global_load_u16 v2, v[0:1], off
	s_mov_b32 s27, 0
	s_delay_alu instid0(SALU_CYCLE_1)
	v_mov_b32_e32 v3, s27
	s_wait_loadcnt 0x0
	v_and_b32_e32 v2, 0xffff, v2
.LBB371_802:
	s_mov_b32 s27, 0
.LBB371_803:
	s_delay_alu instid0(SALU_CYCLE_1)
	s_and_not1_b32 vcc_lo, exec_lo, s27
	s_cbranch_vccnz .LBB371_809
; %bb.804:
	global_load_u8 v4, v[0:1], off
	s_mov_b32 s28, 0
	s_mov_b32 s27, exec_lo
	s_wait_loadcnt 0x0
	v_cmpx_lt_i16_e32 0x7f, v4
	s_xor_b32 s27, exec_lo, s27
	s_cbranch_execz .LBB371_821
; %bb.805:
	v_cmp_ne_u16_e32 vcc_lo, 0x80, v4
	s_and_b32 s28, vcc_lo, exec_lo
	s_and_not1_saveexec_b32 s27, s27
	s_cbranch_execnz .LBB371_822
.LBB371_806:
	s_or_b32 exec_lo, exec_lo, s27
	v_mov_b64_e32 v[2:3], 0
	s_and_saveexec_b32 s27, s28
	s_cbranch_execz .LBB371_808
.LBB371_807:
	v_and_b32_e32 v2, 0xffff, v4
	s_delay_alu instid0(VALU_DEP_1) | instskip(SKIP_1) | instid1(VALU_DEP_2)
	v_and_b32_e32 v3, 7, v2
	v_bfe_u32 v7, v2, 3, 4
	v_clz_i32_u32_e32 v5, v3
	s_delay_alu instid0(VALU_DEP_2) | instskip(NEXT) | instid1(VALU_DEP_2)
	v_cmp_eq_u32_e32 vcc_lo, 0, v7
	v_min_u32_e32 v5, 32, v5
	s_delay_alu instid0(VALU_DEP_1) | instskip(NEXT) | instid1(VALU_DEP_1)
	v_subrev_nc_u32_e32 v6, 28, v5
	v_dual_lshlrev_b32 v2, v6, v2 :: v_dual_sub_nc_u32 v5, 29, v5
	s_delay_alu instid0(VALU_DEP_1) | instskip(NEXT) | instid1(VALU_DEP_2)
	v_dual_lshlrev_b32 v4, 24, v4 :: v_dual_bitop2_b32 v2, 7, v2 bitop3:0x40
	v_cndmask_b32_e32 v5, v7, v5, vcc_lo
	s_delay_alu instid0(VALU_DEP_2) | instskip(NEXT) | instid1(VALU_DEP_3)
	v_cndmask_b32_e32 v2, v3, v2, vcc_lo
	v_and_b32_e32 v3, 0x80000000, v4
	s_delay_alu instid0(VALU_DEP_3) | instskip(NEXT) | instid1(VALU_DEP_3)
	v_lshl_add_u32 v4, v5, 23, 0x3b800000
	v_lshlrev_b32_e32 v2, 20, v2
	s_delay_alu instid0(VALU_DEP_1) | instskip(NEXT) | instid1(VALU_DEP_1)
	v_or3_b32 v2, v3, v4, v2
	v_trunc_f32_e32 v2, v2
	s_delay_alu instid0(VALU_DEP_1) | instskip(NEXT) | instid1(VALU_DEP_1)
	v_mul_f32_e32 v3, 0x2f800000, v2
	v_floor_f32_e32 v3, v3
	s_delay_alu instid0(VALU_DEP_1) | instskip(SKIP_1) | instid1(VALU_DEP_2)
	v_fmamk_f32 v2, v3, 0xcf800000, v2
	v_cvt_u32_f32_e32 v3, v3
	v_cvt_u32_f32_e32 v2, v2
.LBB371_808:
	s_or_b32 exec_lo, exec_lo, s27
.LBB371_809:
	s_mov_b32 s27, -1
.LBB371_810:
	s_mov_b32 s28, 0
.LBB371_811:
	s_delay_alu instid0(SALU_CYCLE_1)
	s_and_b32 vcc_lo, exec_lo, s28
	s_cbranch_vccz .LBB371_842
; %bb.812:
	s_cmp_gt_i32 s24, 22
	s_cbranch_scc0 .LBB371_820
; %bb.813:
	s_cmp_lt_i32 s24, 24
	s_cbranch_scc1 .LBB371_823
; %bb.814:
	s_cmp_gt_i32 s24, 24
	s_cbranch_scc0 .LBB371_824
; %bb.815:
	global_load_u8 v4, v[0:1], off
	s_mov_b32 s27, 0
	s_mov_b32 s26, exec_lo
	s_wait_loadcnt 0x0
	v_cmpx_lt_i16_e32 0x7f, v4
	s_xor_b32 s26, exec_lo, s26
	s_cbranch_execz .LBB371_836
; %bb.816:
	v_cmp_ne_u16_e32 vcc_lo, 0x80, v4
	s_and_b32 s27, vcc_lo, exec_lo
	s_and_not1_saveexec_b32 s26, s26
	s_cbranch_execnz .LBB371_837
.LBB371_817:
	s_or_b32 exec_lo, exec_lo, s26
	v_mov_b64_e32 v[2:3], 0
	s_and_saveexec_b32 s26, s27
	s_cbranch_execz .LBB371_819
.LBB371_818:
	v_and_b32_e32 v2, 0xffff, v4
	s_delay_alu instid0(VALU_DEP_1) | instskip(SKIP_1) | instid1(VALU_DEP_2)
	v_and_b32_e32 v3, 3, v2
	v_bfe_u32 v7, v2, 2, 5
	v_clz_i32_u32_e32 v5, v3
	s_delay_alu instid0(VALU_DEP_2) | instskip(NEXT) | instid1(VALU_DEP_2)
	v_cmp_eq_u32_e32 vcc_lo, 0, v7
	v_min_u32_e32 v5, 32, v5
	s_delay_alu instid0(VALU_DEP_1) | instskip(NEXT) | instid1(VALU_DEP_1)
	v_subrev_nc_u32_e32 v6, 29, v5
	v_dual_lshlrev_b32 v2, v6, v2 :: v_dual_sub_nc_u32 v5, 30, v5
	s_delay_alu instid0(VALU_DEP_1) | instskip(NEXT) | instid1(VALU_DEP_2)
	v_dual_lshlrev_b32 v4, 24, v4 :: v_dual_bitop2_b32 v2, 3, v2 bitop3:0x40
	v_cndmask_b32_e32 v5, v7, v5, vcc_lo
	s_delay_alu instid0(VALU_DEP_2) | instskip(NEXT) | instid1(VALU_DEP_3)
	v_cndmask_b32_e32 v2, v3, v2, vcc_lo
	v_and_b32_e32 v3, 0x80000000, v4
	s_delay_alu instid0(VALU_DEP_3) | instskip(NEXT) | instid1(VALU_DEP_3)
	v_lshl_add_u32 v4, v5, 23, 0x37800000
	v_lshlrev_b32_e32 v2, 21, v2
	s_delay_alu instid0(VALU_DEP_1) | instskip(NEXT) | instid1(VALU_DEP_1)
	v_or3_b32 v2, v3, v4, v2
	v_trunc_f32_e32 v2, v2
	s_delay_alu instid0(VALU_DEP_1) | instskip(NEXT) | instid1(VALU_DEP_1)
	v_mul_f32_e32 v3, 0x2f800000, v2
	v_floor_f32_e32 v3, v3
	s_delay_alu instid0(VALU_DEP_1) | instskip(SKIP_1) | instid1(VALU_DEP_2)
	v_fmamk_f32 v2, v3, 0xcf800000, v2
	v_cvt_u32_f32_e32 v3, v3
	v_cvt_u32_f32_e32 v2, v2
.LBB371_819:
	s_or_b32 exec_lo, exec_lo, s26
	s_mov_b32 s26, 0
	s_branch .LBB371_825
.LBB371_820:
	s_mov_b32 s26, -1
                                        ; implicit-def: $vgpr2_vgpr3
	s_branch .LBB371_831
.LBB371_821:
	s_and_not1_saveexec_b32 s27, s27
	s_cbranch_execz .LBB371_806
.LBB371_822:
	v_cmp_ne_u16_e32 vcc_lo, 0, v4
	s_and_not1_b32 s28, s28, exec_lo
	s_and_b32 s29, vcc_lo, exec_lo
	s_delay_alu instid0(SALU_CYCLE_1)
	s_or_b32 s28, s28, s29
	s_or_b32 exec_lo, exec_lo, s27
	v_mov_b64_e32 v[2:3], 0
	s_and_saveexec_b32 s27, s28
	s_cbranch_execnz .LBB371_807
	s_branch .LBB371_808
.LBB371_823:
	s_mov_b32 s26, -1
                                        ; implicit-def: $vgpr2_vgpr3
	s_branch .LBB371_828
.LBB371_824:
	s_mov_b32 s26, -1
                                        ; implicit-def: $vgpr2_vgpr3
.LBB371_825:
	s_delay_alu instid0(SALU_CYCLE_1)
	s_and_b32 vcc_lo, exec_lo, s26
	s_cbranch_vccz .LBB371_827
; %bb.826:
	s_wait_loadcnt 0x0
	global_load_u8 v2, v[0:1], off
	s_wait_loadcnt 0x0
	v_lshlrev_b32_e32 v2, 24, v2
	s_delay_alu instid0(VALU_DEP_1) | instskip(NEXT) | instid1(VALU_DEP_1)
	v_and_b32_e32 v3, 0x7f000000, v2
	v_clz_i32_u32_e32 v4, v3
	v_cmp_ne_u32_e32 vcc_lo, 0, v3
	v_add_nc_u32_e32 v6, 0x1000000, v3
	s_delay_alu instid0(VALU_DEP_3) | instskip(NEXT) | instid1(VALU_DEP_1)
	v_min_u32_e32 v4, 32, v4
	v_sub_nc_u32_e64 v4, v4, 4 clamp
	s_delay_alu instid0(VALU_DEP_1) | instskip(NEXT) | instid1(VALU_DEP_1)
	v_dual_lshlrev_b32 v5, v4, v3 :: v_dual_lshlrev_b32 v4, 23, v4
	v_lshrrev_b32_e32 v5, 4, v5
	s_delay_alu instid0(VALU_DEP_1) | instskip(NEXT) | instid1(VALU_DEP_1)
	v_dual_sub_nc_u32 v4, v5, v4 :: v_dual_ashrrev_i32 v5, 8, v6
	v_add_nc_u32_e32 v4, 0x3c000000, v4
	s_delay_alu instid0(VALU_DEP_1) | instskip(NEXT) | instid1(VALU_DEP_1)
	v_and_or_b32 v4, 0x7f800000, v5, v4
	v_cndmask_b32_e32 v3, 0, v4, vcc_lo
	s_delay_alu instid0(VALU_DEP_1) | instskip(NEXT) | instid1(VALU_DEP_1)
	v_and_or_b32 v2, 0x80000000, v2, v3
	v_trunc_f32_e32 v2, v2
	s_delay_alu instid0(VALU_DEP_1) | instskip(NEXT) | instid1(VALU_DEP_1)
	v_mul_f32_e32 v3, 0x2f800000, v2
	v_floor_f32_e32 v3, v3
	s_delay_alu instid0(VALU_DEP_1) | instskip(SKIP_1) | instid1(VALU_DEP_2)
	v_fmamk_f32 v2, v3, 0xcf800000, v2
	v_cvt_u32_f32_e32 v3, v3
	v_cvt_u32_f32_e32 v2, v2
.LBB371_827:
	s_mov_b32 s26, 0
.LBB371_828:
	s_delay_alu instid0(SALU_CYCLE_1)
	s_and_not1_b32 vcc_lo, exec_lo, s26
	s_cbranch_vccnz .LBB371_830
; %bb.829:
	s_wait_loadcnt 0x0
	global_load_u8 v2, v[0:1], off
	s_wait_loadcnt 0x0
	v_lshlrev_b32_e32 v3, 25, v2
	v_lshlrev_b16 v2, 8, v2
	s_delay_alu instid0(VALU_DEP_1) | instskip(SKIP_1) | instid1(VALU_DEP_2)
	v_and_or_b32 v5, 0x7f00, v2, 0.5
	v_bfe_i32 v2, v2, 0, 16
	v_dual_add_f32 v5, -0.5, v5 :: v_dual_lshrrev_b32 v4, 4, v3
	v_cmp_gt_u32_e32 vcc_lo, 0x8000000, v3
	s_delay_alu instid0(VALU_DEP_2) | instskip(NEXT) | instid1(VALU_DEP_1)
	v_or_b32_e32 v4, 0x70000000, v4
	v_mul_f32_e32 v4, 0x7800000, v4
	s_delay_alu instid0(VALU_DEP_1) | instskip(NEXT) | instid1(VALU_DEP_1)
	v_cndmask_b32_e32 v3, v4, v5, vcc_lo
	v_and_or_b32 v2, 0x80000000, v2, v3
	s_delay_alu instid0(VALU_DEP_1) | instskip(NEXT) | instid1(VALU_DEP_1)
	v_trunc_f32_e32 v2, v2
	v_mul_f32_e32 v3, 0x2f800000, v2
	s_delay_alu instid0(VALU_DEP_1) | instskip(NEXT) | instid1(VALU_DEP_1)
	v_floor_f32_e32 v3, v3
	v_fmamk_f32 v2, v3, 0xcf800000, v2
	v_cvt_u32_f32_e32 v3, v3
	s_delay_alu instid0(VALU_DEP_2)
	v_cvt_u32_f32_e32 v2, v2
.LBB371_830:
	s_mov_b32 s26, 0
	s_mov_b32 s27, -1
.LBB371_831:
	s_and_not1_b32 vcc_lo, exec_lo, s26
	s_mov_b32 s26, 0
	s_cbranch_vccnz .LBB371_842
; %bb.832:
	s_cmp_gt_i32 s24, 14
	s_cbranch_scc0 .LBB371_835
; %bb.833:
	s_cmp_eq_u32 s24, 15
	s_cbranch_scc0 .LBB371_838
; %bb.834:
	s_wait_loadcnt 0x0
	global_load_u16 v2, v[0:1], off
	s_mov_b32 s25, 0
	s_mov_b32 s27, -1
	s_wait_loadcnt 0x0
	v_lshlrev_b32_e32 v2, 16, v2
	s_delay_alu instid0(VALU_DEP_1) | instskip(NEXT) | instid1(VALU_DEP_1)
	v_trunc_f32_e32 v2, v2
	v_mul_f32_e32 v3, 0x2f800000, v2
	s_delay_alu instid0(VALU_DEP_1) | instskip(NEXT) | instid1(VALU_DEP_1)
	v_floor_f32_e32 v3, v3
	v_fmamk_f32 v2, v3, 0xcf800000, v2
	v_cvt_u32_f32_e32 v3, v3
	s_delay_alu instid0(VALU_DEP_2)
	v_cvt_u32_f32_e32 v2, v2
	s_branch .LBB371_840
.LBB371_835:
	s_mov_b32 s26, -1
	s_branch .LBB371_839
.LBB371_836:
	s_and_not1_saveexec_b32 s26, s26
	s_cbranch_execz .LBB371_817
.LBB371_837:
	v_cmp_ne_u16_e32 vcc_lo, 0, v4
	s_and_not1_b32 s27, s27, exec_lo
	s_and_b32 s28, vcc_lo, exec_lo
	s_delay_alu instid0(SALU_CYCLE_1)
	s_or_b32 s27, s27, s28
	s_or_b32 exec_lo, exec_lo, s26
	v_mov_b64_e32 v[2:3], 0
	s_and_saveexec_b32 s26, s27
	s_cbranch_execnz .LBB371_818
	s_branch .LBB371_819
.LBB371_838:
	s_mov_b32 s25, -1
.LBB371_839:
                                        ; implicit-def: $vgpr2_vgpr3
.LBB371_840:
	s_and_b32 vcc_lo, exec_lo, s26
	s_mov_b32 s26, 0
	s_cbranch_vccz .LBB371_842
; %bb.841:
	s_cmp_lg_u32 s24, 11
	s_mov_b32 s26, -1
	s_cselect_b32 s24, -1, 0
	s_and_not1_b32 s25, s25, exec_lo
	s_and_b32 s24, s24, exec_lo
	s_delay_alu instid0(SALU_CYCLE_1)
	s_or_b32 s25, s25, s24
.LBB371_842:
	s_mov_b32 s24, 0
.LBB371_843:
	s_and_not1_b32 s29, s0, exec_lo
	s_and_b32 s25, s25, exec_lo
	s_and_b32 s27, s27, exec_lo
	;; [unrolled: 1-line block ×4, first 2 shown]
	s_or_b32 s25, s29, s25
.LBB371_844:
	s_wait_xcnt 0x0
	s_or_b32 exec_lo, exec_lo, s15
	s_delay_alu instid0(SALU_CYCLE_1)
	s_and_not1_b32 s0, s0, exec_lo
	s_and_b32 s15, s25, exec_lo
	s_and_b32 s27, s27, exec_lo
	;; [unrolled: 1-line block ×4, first 2 shown]
	s_or_b32 s0, s0, s15
.LBB371_845:
	s_or_b32 exec_lo, exec_lo, s22
	s_delay_alu instid0(SALU_CYCLE_1)
	s_and_not1_b32 s15, s20, exec_lo
	s_and_b32 s20, s23, exec_lo
	s_and_b32 s0, s0, exec_lo
	s_or_b32 s20, s15, s20
	s_and_not1_b32 s15, s19, exec_lo
	s_and_b32 s24, s27, exec_lo
	s_and_b32 s23, s26, exec_lo
	;; [unrolled: 1-line block ×3, first 2 shown]
	s_or_b32 s19, s15, s0
.LBB371_846:
	s_or_b32 exec_lo, exec_lo, s21
	s_delay_alu instid0(SALU_CYCLE_1)
	s_and_not1_b32 s0, s16, exec_lo
	s_and_b32 s15, s20, exec_lo
	s_and_b32 s20, s23, exec_lo
	s_or_b32 s16, s0, s15
	s_and_not1_b32 s15, s17, exec_lo
	s_and_b32 s17, s19, exec_lo
	s_and_b32 s0, s24, exec_lo
	;; [unrolled: 1-line block ×3, first 2 shown]
	s_or_b32 s17, s15, s17
	s_or_b32 exec_lo, exec_lo, s18
	s_mov_b32 s15, 0
	s_and_saveexec_b32 s18, s17
	s_cbranch_execz .LBB371_258
.LBB371_847:
	s_mov_b32 s15, exec_lo
	s_and_not1_b32 s19, s19, exec_lo
	s_trap 2
	s_or_b32 exec_lo, exec_lo, s18
	s_and_saveexec_b32 s17, s19
	s_delay_alu instid0(SALU_CYCLE_1)
	s_xor_b32 s17, exec_lo, s17
	s_cbranch_execnz .LBB371_259
.LBB371_848:
	s_or_b32 exec_lo, exec_lo, s17
	s_and_saveexec_b32 s17, s20
	s_cbranch_execz .LBB371_894
.LBB371_849:
	s_sext_i32_i16 s18, s2
	s_delay_alu instid0(SALU_CYCLE_1)
	s_cmp_lt_i32 s18, 5
	s_cbranch_scc1 .LBB371_854
; %bb.850:
	s_cmp_lt_i32 s18, 8
	s_cbranch_scc1 .LBB371_855
; %bb.851:
	;; [unrolled: 3-line block ×3, first 2 shown]
	s_cmp_gt_i32 s18, 9
	s_cbranch_scc0 .LBB371_857
; %bb.853:
	s_wait_loadcnt 0x0
	global_load_b64 v[2:3], v[0:1], off
	s_mov_b32 s18, 0
	s_wait_loadcnt 0x0
	v_trunc_f64_e32 v[2:3], v[2:3]
	s_delay_alu instid0(VALU_DEP_1) | instskip(NEXT) | instid1(VALU_DEP_1)
	v_ldexp_f64 v[4:5], v[2:3], 0xffffffe0
	v_floor_f64_e32 v[4:5], v[4:5]
	s_delay_alu instid0(VALU_DEP_1) | instskip(SKIP_1) | instid1(VALU_DEP_2)
	v_fmamk_f64 v[6:7], v[4:5], 0xc1f00000, v[2:3]
	v_cvt_u32_f64_e32 v3, v[4:5]
	v_cvt_u32_f64_e32 v2, v[6:7]
	s_branch .LBB371_858
.LBB371_854:
                                        ; implicit-def: $vgpr2_vgpr3
	s_branch .LBB371_875
.LBB371_855:
                                        ; implicit-def: $vgpr2_vgpr3
	s_branch .LBB371_864
.LBB371_856:
	s_mov_b32 s18, -1
                                        ; implicit-def: $vgpr2_vgpr3
	s_branch .LBB371_861
.LBB371_857:
	s_mov_b32 s18, -1
                                        ; implicit-def: $vgpr2_vgpr3
.LBB371_858:
	s_delay_alu instid0(SALU_CYCLE_1)
	s_and_not1_b32 vcc_lo, exec_lo, s18
	s_cbranch_vccnz .LBB371_860
; %bb.859:
	s_wait_loadcnt 0x0
	global_load_b32 v2, v[0:1], off
	s_wait_loadcnt 0x0
	v_trunc_f32_e32 v2, v2
	s_delay_alu instid0(VALU_DEP_1) | instskip(NEXT) | instid1(VALU_DEP_1)
	v_mul_f32_e32 v3, 0x2f800000, v2
	v_floor_f32_e32 v3, v3
	s_delay_alu instid0(VALU_DEP_1) | instskip(SKIP_1) | instid1(VALU_DEP_2)
	v_fmamk_f32 v2, v3, 0xcf800000, v2
	v_cvt_u32_f32_e32 v3, v3
	v_cvt_u32_f32_e32 v2, v2
.LBB371_860:
	s_mov_b32 s18, 0
.LBB371_861:
	s_delay_alu instid0(SALU_CYCLE_1)
	s_and_not1_b32 vcc_lo, exec_lo, s18
	s_cbranch_vccnz .LBB371_863
; %bb.862:
	s_wait_loadcnt 0x0
	global_load_b32 v2, v[0:1], off
	v_mov_b32_e32 v3, 0
	s_wait_loadcnt 0x0
	v_cvt_f32_f16_e32 v2, v2
	s_delay_alu instid0(VALU_DEP_1)
	v_cvt_u32_f32_e32 v2, v2
.LBB371_863:
	s_cbranch_execnz .LBB371_874
.LBB371_864:
	s_sext_i32_i16 s18, s2
	s_delay_alu instid0(SALU_CYCLE_1)
	s_cmp_lt_i32 s18, 6
	s_cbranch_scc1 .LBB371_867
; %bb.865:
	s_cmp_gt_i32 s18, 6
	s_cbranch_scc0 .LBB371_868
; %bb.866:
	s_wait_loadcnt 0x0
	global_load_b64 v[2:3], v[0:1], off
	s_mov_b32 s18, 0
	s_wait_loadcnt 0x0
	v_trunc_f64_e32 v[2:3], v[2:3]
	s_delay_alu instid0(VALU_DEP_1) | instskip(NEXT) | instid1(VALU_DEP_1)
	v_ldexp_f64 v[4:5], v[2:3], 0xffffffe0
	v_floor_f64_e32 v[4:5], v[4:5]
	s_delay_alu instid0(VALU_DEP_1) | instskip(SKIP_1) | instid1(VALU_DEP_2)
	v_fmamk_f64 v[6:7], v[4:5], 0xc1f00000, v[2:3]
	v_cvt_u32_f64_e32 v3, v[4:5]
	v_cvt_u32_f64_e32 v2, v[6:7]
	s_branch .LBB371_869
.LBB371_867:
	s_mov_b32 s18, -1
                                        ; implicit-def: $vgpr2_vgpr3
	s_branch .LBB371_872
.LBB371_868:
	s_mov_b32 s18, -1
                                        ; implicit-def: $vgpr2_vgpr3
.LBB371_869:
	s_delay_alu instid0(SALU_CYCLE_1)
	s_and_not1_b32 vcc_lo, exec_lo, s18
	s_cbranch_vccnz .LBB371_871
; %bb.870:
	s_wait_loadcnt 0x0
	global_load_b32 v2, v[0:1], off
	s_wait_loadcnt 0x0
	v_trunc_f32_e32 v2, v2
	s_delay_alu instid0(VALU_DEP_1) | instskip(NEXT) | instid1(VALU_DEP_1)
	v_mul_f32_e32 v3, 0x2f800000, v2
	v_floor_f32_e32 v3, v3
	s_delay_alu instid0(VALU_DEP_1) | instskip(SKIP_1) | instid1(VALU_DEP_2)
	v_fmamk_f32 v2, v3, 0xcf800000, v2
	v_cvt_u32_f32_e32 v3, v3
	v_cvt_u32_f32_e32 v2, v2
.LBB371_871:
	s_mov_b32 s18, 0
.LBB371_872:
	s_delay_alu instid0(SALU_CYCLE_1)
	s_and_not1_b32 vcc_lo, exec_lo, s18
	s_cbranch_vccnz .LBB371_874
; %bb.873:
	s_wait_loadcnt 0x0
	global_load_u16 v2, v[0:1], off
	v_mov_b32_e32 v3, 0
	s_wait_loadcnt 0x0
	v_cvt_f32_f16_e32 v2, v2
	s_delay_alu instid0(VALU_DEP_1)
	v_cvt_u32_f32_e32 v2, v2
.LBB371_874:
	s_cbranch_execnz .LBB371_893
.LBB371_875:
	s_sext_i32_i16 s18, s2
	s_delay_alu instid0(SALU_CYCLE_1)
	s_cmp_lt_i32 s18, 2
	s_cbranch_scc1 .LBB371_879
; %bb.876:
	s_cmp_lt_i32 s18, 3
	s_cbranch_scc1 .LBB371_880
; %bb.877:
	s_cmp_gt_i32 s18, 3
	s_cbranch_scc0 .LBB371_881
; %bb.878:
	s_wait_loadcnt 0x0
	global_load_b64 v[2:3], v[0:1], off
	s_mov_b32 s18, 0
	s_branch .LBB371_882
.LBB371_879:
                                        ; implicit-def: $vgpr2_vgpr3
	s_branch .LBB371_888
.LBB371_880:
	s_mov_b32 s18, -1
                                        ; implicit-def: $vgpr2_vgpr3
	s_branch .LBB371_885
.LBB371_881:
	s_mov_b32 s18, -1
                                        ; implicit-def: $vgpr2_vgpr3
.LBB371_882:
	s_delay_alu instid0(SALU_CYCLE_1)
	s_and_not1_b32 vcc_lo, exec_lo, s18
	s_cbranch_vccnz .LBB371_884
; %bb.883:
	s_wait_loadcnt 0x0
	global_load_b32 v2, v[0:1], off
	s_wait_loadcnt 0x0
	v_ashrrev_i32_e32 v3, 31, v2
.LBB371_884:
	s_mov_b32 s18, 0
.LBB371_885:
	s_delay_alu instid0(SALU_CYCLE_1)
	s_and_not1_b32 vcc_lo, exec_lo, s18
	s_cbranch_vccnz .LBB371_887
; %bb.886:
	s_wait_loadcnt 0x0
	global_load_u16 v2, v[0:1], off
	s_wait_loadcnt 0x0
	v_bfe_i32 v2, v2, 0, 16
	s_delay_alu instid0(VALU_DEP_1)
	v_ashrrev_i32_e32 v3, 31, v2
.LBB371_887:
	s_cbranch_execnz .LBB371_893
.LBB371_888:
	s_sext_i32_i16 s18, s2
	s_delay_alu instid0(SALU_CYCLE_1)
	s_cmp_gt_i32 s18, 0
	s_mov_b32 s18, 0
	s_cbranch_scc0 .LBB371_890
; %bb.889:
	s_wait_loadcnt 0x0
	global_load_i8 v2, v[0:1], off
	s_wait_loadcnt 0x0
	v_bfe_i32 v2, v2, 0, 16
	s_delay_alu instid0(VALU_DEP_1)
	v_ashrrev_i32_e32 v3, 31, v2
	s_branch .LBB371_891
.LBB371_890:
	s_mov_b32 s18, -1
                                        ; implicit-def: $vgpr2_vgpr3
.LBB371_891:
	s_delay_alu instid0(SALU_CYCLE_1)
	s_and_not1_b32 vcc_lo, exec_lo, s18
	s_cbranch_vccnz .LBB371_893
; %bb.892:
	global_load_u8 v0, v[0:1], off
	s_mov_b32 s18, 0
	s_wait_loadcnt 0x1
	v_mov_b32_e32 v3, s18
	s_wait_loadcnt 0x0
	v_and_b32_e32 v2, 0xffff, v0
.LBB371_893:
	s_or_b32 s0, s0, exec_lo
.LBB371_894:
	s_wait_xcnt 0x0
	s_or_b32 exec_lo, exec_lo, s17
	s_mov_b32 s21, 0
	s_mov_b32 s20, 0
                                        ; implicit-def: $sgpr17
                                        ; implicit-def: $sgpr18
                                        ; implicit-def: $vgpr0_vgpr1
	s_and_saveexec_b32 s19, s0
	s_cbranch_execz .LBB371_902
; %bb.895:
	v_mul_lo_u32 v0, v10, s12
	s_wait_loadcnt 0x0
	s_delay_alu instid0(VALU_DEP_2) | instskip(SKIP_3) | instid1(VALU_DEP_2)
	v_cmp_ne_u64_e32 vcc_lo, s[8:9], v[2:3]
	s_and_b32 s18, s10, 0xff
	s_xor_b32 s17, s11, vcc_lo
	s_cmp_lt_i32 s18, 11
	v_ashrrev_i32_e32 v1, 31, v0
	s_delay_alu instid0(VALU_DEP_1)
	v_add_nc_u64_e32 v[0:1], s[4:5], v[0:1]
	s_cbranch_scc1 .LBB371_905
; %bb.896:
	s_and_b32 s11, 0xffff, s18
	s_mov_b32 s20, -1
	s_cmp_gt_i32 s11, 25
	s_mov_b32 s0, s16
	s_cbranch_scc0 .LBB371_933
; %bb.897:
	s_cmp_gt_i32 s11, 28
	s_mov_b32 s0, s16
	s_cbranch_scc0 .LBB371_917
; %bb.898:
	;; [unrolled: 4-line block ×4, first 2 shown]
	s_cmp_eq_u32 s11, 46
	s_mov_b32 s0, -1
	s_cbranch_scc0 .LBB371_906
; %bb.901:
	v_cndmask_b32_e64 v2, 0, 1.0, s17
	s_mov_b32 s0, 0
	s_mov_b32 s20, 0
	s_delay_alu instid0(VALU_DEP_1) | instskip(NEXT) | instid1(VALU_DEP_1)
	v_bfe_u32 v3, v2, 16, 1
	v_add3_u32 v2, v2, v3, 0x7fff
	s_delay_alu instid0(VALU_DEP_1)
	v_lshrrev_b32_e32 v2, 16, v2
	global_store_b32 v[0:1], v2, off
	s_branch .LBB371_907
.LBB371_902:
	s_or_b32 exec_lo, exec_lo, s19
	s_and_saveexec_b32 s0, s16
	s_cbranch_execnz .LBB371_975
.LBB371_903:
	s_or_b32 exec_lo, exec_lo, s0
	s_and_saveexec_b32 s0, s21
	s_delay_alu instid0(SALU_CYCLE_1)
	s_xor_b32 s0, exec_lo, s0
	s_cbranch_execz .LBB371_976
.LBB371_904:
	s_wait_loadcnt 0x0
	v_cndmask_b32_e64 v2, 0, 1, s17
	global_store_b8 v[0:1], v2, off
	s_wait_xcnt 0x0
	s_or_b32 exec_lo, exec_lo, s0
	s_and_saveexec_b32 s0, s20
	s_delay_alu instid0(SALU_CYCLE_1)
	s_xor_b32 s0, exec_lo, s0
	s_cbranch_execz .LBB371_1014
	s_branch .LBB371_977
.LBB371_905:
	s_mov_b32 s20, -1
	s_mov_b32 s0, s16
	s_branch .LBB371_974
.LBB371_906:
	s_mov_b32 s20, 0
.LBB371_907:
	s_delay_alu instid0(SALU_CYCLE_1)
	s_and_b32 vcc_lo, exec_lo, s20
	s_cbranch_vccz .LBB371_912
; %bb.908:
	s_cmp_eq_u32 s11, 44
	s_mov_b32 s0, -1
	s_cbranch_scc0 .LBB371_912
; %bb.909:
	v_cndmask_b32_e64 v4, 0, 1.0, s17
	s_mov_b32 s20, exec_lo
	s_wait_xcnt 0x0
	s_delay_alu instid0(VALU_DEP_1) | instskip(NEXT) | instid1(VALU_DEP_1)
	v_dual_mov_b32 v3, 0xff :: v_dual_lshrrev_b32 v2, 23, v4
	v_cmpx_ne_u32_e32 0xff, v2
; %bb.910:
	v_and_b32_e32 v3, 0x400000, v4
	v_and_or_b32 v4, 0x3fffff, v4, v2
	s_delay_alu instid0(VALU_DEP_2) | instskip(NEXT) | instid1(VALU_DEP_2)
	v_cmp_ne_u32_e32 vcc_lo, 0, v3
	v_cmp_ne_u32_e64 s0, 0, v4
	s_and_b32 s0, vcc_lo, s0
	s_delay_alu instid0(SALU_CYCLE_1) | instskip(NEXT) | instid1(VALU_DEP_1)
	v_cndmask_b32_e64 v3, 0, 1, s0
	v_add_nc_u32_e32 v3, v2, v3
; %bb.911:
	s_or_b32 exec_lo, exec_lo, s20
	s_mov_b32 s0, 0
	global_store_b8 v[0:1], v3, off
.LBB371_912:
	s_mov_b32 s20, 0
.LBB371_913:
	s_delay_alu instid0(SALU_CYCLE_1)
	s_and_b32 vcc_lo, exec_lo, s20
	s_cbranch_vccz .LBB371_916
; %bb.914:
	s_cmp_eq_u32 s11, 29
	s_mov_b32 s0, -1
	s_cbranch_scc0 .LBB371_916
; %bb.915:
	s_mov_b32 s0, 0
	s_wait_xcnt 0x0
	v_cndmask_b32_e64 v2, 0, 1, s17
	v_mov_b32_e32 v3, s0
	s_mov_b32 s20, 0
	global_store_b64 v[0:1], v[2:3], off
	s_branch .LBB371_917
.LBB371_916:
	s_mov_b32 s20, 0
.LBB371_917:
	s_delay_alu instid0(SALU_CYCLE_1)
	s_and_b32 vcc_lo, exec_lo, s20
	s_cbranch_vccz .LBB371_932
; %bb.918:
	s_cmp_lt_i32 s11, 27
	s_mov_b32 s20, -1
	s_cbranch_scc1 .LBB371_924
; %bb.919:
	s_wait_xcnt 0x0
	v_cndmask_b32_e64 v2, 0, 1, s17
	s_cmp_gt_i32 s11, 27
	s_cbranch_scc0 .LBB371_921
; %bb.920:
	s_mov_b32 s20, 0
	global_store_b32 v[0:1], v2, off
.LBB371_921:
	s_and_not1_b32 vcc_lo, exec_lo, s20
	s_cbranch_vccnz .LBB371_923
; %bb.922:
	global_store_b16 v[0:1], v2, off
.LBB371_923:
	s_mov_b32 s20, 0
.LBB371_924:
	s_delay_alu instid0(SALU_CYCLE_1)
	s_and_not1_b32 vcc_lo, exec_lo, s20
	s_cbranch_vccnz .LBB371_932
; %bb.925:
	s_wait_xcnt 0x0
	v_cndmask_b32_e64 v3, 0, 1.0, s17
	v_mov_b32_e32 v4, 0x80
	s_mov_b32 s20, exec_lo
	s_delay_alu instid0(VALU_DEP_2)
	v_cmpx_gt_u32_e32 0x43800000, v3
	s_cbranch_execz .LBB371_931
; %bb.926:
	s_mov_b32 s22, exec_lo
                                        ; implicit-def: $vgpr2
	v_cmpx_lt_u32_e32 0x3bffffff, v3
	s_xor_b32 s22, exec_lo, s22
	s_cbranch_execz .LBB371_1029
; %bb.927:
	v_bfe_u32 v2, v3, 20, 1
	s_mov_b32 s21, exec_lo
	s_delay_alu instid0(VALU_DEP_1) | instskip(NEXT) | instid1(VALU_DEP_1)
	v_add3_u32 v2, v3, v2, 0x487ffff
                                        ; implicit-def: $vgpr3
	v_lshrrev_b32_e32 v2, 20, v2
	s_and_not1_saveexec_b32 s22, s22
	s_cbranch_execnz .LBB371_1030
.LBB371_928:
	s_or_b32 exec_lo, exec_lo, s22
	v_mov_b32_e32 v4, 0
	s_and_saveexec_b32 s22, s21
.LBB371_929:
	v_mov_b32_e32 v4, v2
.LBB371_930:
	s_or_b32 exec_lo, exec_lo, s22
.LBB371_931:
	s_delay_alu instid0(SALU_CYCLE_1)
	s_or_b32 exec_lo, exec_lo, s20
	global_store_b8 v[0:1], v4, off
.LBB371_932:
	s_mov_b32 s20, 0
.LBB371_933:
	s_delay_alu instid0(SALU_CYCLE_1)
	s_and_b32 vcc_lo, exec_lo, s20
	s_mov_b32 s20, 0
	s_cbranch_vccz .LBB371_973
; %bb.934:
	s_cmp_gt_i32 s11, 22
	s_mov_b32 s21, -1
	s_cbranch_scc0 .LBB371_966
; %bb.935:
	s_cmp_lt_i32 s11, 24
	s_cbranch_scc1 .LBB371_955
; %bb.936:
	s_cmp_gt_i32 s11, 24
	s_cbranch_scc0 .LBB371_944
; %bb.937:
	s_wait_xcnt 0x0
	v_cndmask_b32_e64 v3, 0, 1.0, s17
	v_mov_b32_e32 v4, 0x80
	s_mov_b32 s21, exec_lo
	s_delay_alu instid0(VALU_DEP_2)
	v_cmpx_gt_u32_e32 0x47800000, v3
	s_cbranch_execz .LBB371_943
; %bb.938:
	s_mov_b32 s22, 0
	s_mov_b32 s23, exec_lo
                                        ; implicit-def: $vgpr2
	v_cmpx_lt_u32_e32 0x37ffffff, v3
	s_xor_b32 s23, exec_lo, s23
	s_cbranch_execz .LBB371_1150
; %bb.939:
	v_bfe_u32 v2, v3, 21, 1
	s_mov_b32 s22, exec_lo
	s_delay_alu instid0(VALU_DEP_1) | instskip(NEXT) | instid1(VALU_DEP_1)
	v_add3_u32 v2, v3, v2, 0x88fffff
                                        ; implicit-def: $vgpr3
	v_lshrrev_b32_e32 v2, 21, v2
	s_and_not1_saveexec_b32 s23, s23
	s_cbranch_execnz .LBB371_1151
.LBB371_940:
	s_or_b32 exec_lo, exec_lo, s23
	v_mov_b32_e32 v4, 0
	s_and_saveexec_b32 s23, s22
.LBB371_941:
	v_mov_b32_e32 v4, v2
.LBB371_942:
	s_or_b32 exec_lo, exec_lo, s23
.LBB371_943:
	s_delay_alu instid0(SALU_CYCLE_1)
	s_or_b32 exec_lo, exec_lo, s21
	s_mov_b32 s21, 0
	global_store_b8 v[0:1], v4, off
.LBB371_944:
	s_and_b32 vcc_lo, exec_lo, s21
	s_cbranch_vccz .LBB371_954
; %bb.945:
	s_wait_xcnt 0x0
	v_cndmask_b32_e64 v3, 0, 1.0, s17
	s_mov_b32 s21, exec_lo
                                        ; implicit-def: $vgpr2
	s_delay_alu instid0(VALU_DEP_1)
	v_cmpx_gt_u32_e32 0x43f00000, v3
	s_xor_b32 s21, exec_lo, s21
	s_cbranch_execz .LBB371_951
; %bb.946:
	s_mov_b32 s22, exec_lo
                                        ; implicit-def: $vgpr2
	v_cmpx_lt_u32_e32 0x3c7fffff, v3
	s_xor_b32 s22, exec_lo, s22
; %bb.947:
	v_bfe_u32 v2, v3, 20, 1
	s_delay_alu instid0(VALU_DEP_1) | instskip(NEXT) | instid1(VALU_DEP_1)
	v_add3_u32 v2, v3, v2, 0x407ffff
	v_and_b32_e32 v3, 0xff00000, v2
	v_lshrrev_b32_e32 v2, 20, v2
	s_delay_alu instid0(VALU_DEP_2) | instskip(NEXT) | instid1(VALU_DEP_2)
	v_cmp_ne_u32_e32 vcc_lo, 0x7f00000, v3
                                        ; implicit-def: $vgpr3
	v_cndmask_b32_e32 v2, 0x7e, v2, vcc_lo
; %bb.948:
	s_and_not1_saveexec_b32 s22, s22
; %bb.949:
	v_add_f32_e32 v2, 0x46800000, v3
; %bb.950:
	s_or_b32 exec_lo, exec_lo, s22
                                        ; implicit-def: $vgpr3
.LBB371_951:
	s_and_not1_saveexec_b32 s21, s21
; %bb.952:
	v_mov_b32_e32 v2, 0x7f
	v_cmp_lt_u32_e32 vcc_lo, 0x7f800000, v3
	s_delay_alu instid0(VALU_DEP_2)
	v_cndmask_b32_e32 v2, 0x7e, v2, vcc_lo
; %bb.953:
	s_or_b32 exec_lo, exec_lo, s21
	global_store_b8 v[0:1], v2, off
.LBB371_954:
	s_mov_b32 s21, 0
.LBB371_955:
	s_delay_alu instid0(SALU_CYCLE_1)
	s_and_not1_b32 vcc_lo, exec_lo, s21
	s_cbranch_vccnz .LBB371_965
; %bb.956:
	s_wait_xcnt 0x0
	v_cndmask_b32_e64 v3, 0, 1.0, s17
	s_mov_b32 s21, exec_lo
                                        ; implicit-def: $vgpr2
	s_delay_alu instid0(VALU_DEP_1)
	v_cmpx_gt_u32_e32 0x47800000, v3
	s_xor_b32 s21, exec_lo, s21
	s_cbranch_execz .LBB371_962
; %bb.957:
	s_mov_b32 s22, exec_lo
                                        ; implicit-def: $vgpr2
	v_cmpx_lt_u32_e32 0x387fffff, v3
	s_xor_b32 s22, exec_lo, s22
; %bb.958:
	v_bfe_u32 v2, v3, 21, 1
	s_delay_alu instid0(VALU_DEP_1) | instskip(NEXT) | instid1(VALU_DEP_1)
	v_add3_u32 v2, v3, v2, 0x80fffff
                                        ; implicit-def: $vgpr3
	v_lshrrev_b32_e32 v2, 21, v2
; %bb.959:
	s_and_not1_saveexec_b32 s22, s22
; %bb.960:
	v_add_f32_e32 v2, 0x43000000, v3
; %bb.961:
	s_or_b32 exec_lo, exec_lo, s22
                                        ; implicit-def: $vgpr3
.LBB371_962:
	s_and_not1_saveexec_b32 s21, s21
; %bb.963:
	v_mov_b32_e32 v2, 0x7f
	v_cmp_lt_u32_e32 vcc_lo, 0x7f800000, v3
	s_delay_alu instid0(VALU_DEP_2)
	v_cndmask_b32_e32 v2, 0x7c, v2, vcc_lo
; %bb.964:
	s_or_b32 exec_lo, exec_lo, s21
	global_store_b8 v[0:1], v2, off
.LBB371_965:
	s_mov_b32 s21, 0
.LBB371_966:
	s_delay_alu instid0(SALU_CYCLE_1)
	s_and_not1_b32 vcc_lo, exec_lo, s21
	s_mov_b32 s21, 0
	s_cbranch_vccnz .LBB371_974
; %bb.967:
	s_cmp_gt_i32 s11, 14
	s_mov_b32 s21, -1
	s_cbranch_scc0 .LBB371_971
; %bb.968:
	s_cmp_eq_u32 s11, 15
	s_mov_b32 s0, -1
	s_cbranch_scc0 .LBB371_970
; %bb.969:
	s_wait_xcnt 0x0
	v_cndmask_b32_e64 v2, 0, 1.0, s17
	s_mov_b32 s0, 0
	s_delay_alu instid0(VALU_DEP_1) | instskip(NEXT) | instid1(VALU_DEP_1)
	v_bfe_u32 v3, v2, 16, 1
	v_add3_u32 v2, v2, v3, 0x7fff
	global_store_d16_hi_b16 v[0:1], v2, off
.LBB371_970:
	s_mov_b32 s21, 0
.LBB371_971:
	s_delay_alu instid0(SALU_CYCLE_1)
	s_and_b32 vcc_lo, exec_lo, s21
	s_mov_b32 s21, 0
	s_cbranch_vccz .LBB371_974
; %bb.972:
	s_cmp_lg_u32 s11, 11
	s_mov_b32 s21, -1
	s_cselect_b32 s11, -1, 0
	s_and_not1_b32 s0, s0, exec_lo
	s_and_b32 s11, s11, exec_lo
	s_delay_alu instid0(SALU_CYCLE_1)
	s_or_b32 s0, s0, s11
	s_branch .LBB371_974
.LBB371_973:
	s_mov_b32 s21, 0
.LBB371_974:
	s_and_not1_b32 s11, s16, exec_lo
	s_and_b32 s0, s0, exec_lo
	s_and_b32 s20, s20, exec_lo
	;; [unrolled: 1-line block ×3, first 2 shown]
	s_or_b32 s16, s11, s0
	s_wait_xcnt 0x0
	s_or_b32 exec_lo, exec_lo, s19
	s_and_saveexec_b32 s0, s16
	s_cbranch_execz .LBB371_903
.LBB371_975:
	s_or_b32 s15, s15, exec_lo
	s_and_not1_b32 s21, s21, exec_lo
	s_trap 2
	s_or_b32 exec_lo, exec_lo, s0
	s_and_saveexec_b32 s0, s21
	s_delay_alu instid0(SALU_CYCLE_1)
	s_xor_b32 s0, exec_lo, s0
	s_cbranch_execnz .LBB371_904
.LBB371_976:
	s_or_b32 exec_lo, exec_lo, s0
	s_and_saveexec_b32 s0, s20
	s_delay_alu instid0(SALU_CYCLE_1)
	s_xor_b32 s0, exec_lo, s0
	s_cbranch_execz .LBB371_1014
.LBB371_977:
	s_sext_i32_i16 s16, s18
	s_mov_b32 s11, -1
	s_cmp_lt_i32 s16, 5
	s_cbranch_scc1 .LBB371_998
; %bb.978:
	s_cmp_lt_i32 s16, 8
	s_cbranch_scc1 .LBB371_988
; %bb.979:
	;; [unrolled: 3-line block ×3, first 2 shown]
	s_cmp_gt_i32 s16, 9
	s_cbranch_scc0 .LBB371_982
; %bb.981:
	s_wait_loadcnt 0x0
	v_cndmask_b32_e64 v2, 0, 1, s17
	v_mov_b32_e32 v4, 0
	s_mov_b32 s11, 0
	s_delay_alu instid0(VALU_DEP_2) | instskip(NEXT) | instid1(VALU_DEP_2)
	v_cvt_f64_u32_e32 v[2:3], v2
	v_mov_b32_e32 v5, v4
	global_store_b128 v[0:1], v[2:5], off
.LBB371_982:
	s_and_not1_b32 vcc_lo, exec_lo, s11
	s_cbranch_vccnz .LBB371_984
; %bb.983:
	s_wait_loadcnt 0x0
	v_cndmask_b32_e64 v2, 0, 1.0, s17
	v_mov_b32_e32 v3, 0
	global_store_b64 v[0:1], v[2:3], off
.LBB371_984:
	s_mov_b32 s11, 0
.LBB371_985:
	s_delay_alu instid0(SALU_CYCLE_1)
	s_and_not1_b32 vcc_lo, exec_lo, s11
	s_cbranch_vccnz .LBB371_987
; %bb.986:
	s_wait_loadcnt 0x0
	v_cndmask_b32_e64 v2, 0, 1.0, s17
	s_delay_alu instid0(VALU_DEP_1) | instskip(NEXT) | instid1(VALU_DEP_1)
	v_cvt_f16_f32_e32 v2, v2
	v_and_b32_e32 v2, 0xffff, v2
	global_store_b32 v[0:1], v2, off
.LBB371_987:
	s_mov_b32 s11, 0
.LBB371_988:
	s_delay_alu instid0(SALU_CYCLE_1)
	s_and_not1_b32 vcc_lo, exec_lo, s11
	s_cbranch_vccnz .LBB371_997
; %bb.989:
	s_sext_i32_i16 s16, s18
	s_mov_b32 s11, -1
	s_cmp_lt_i32 s16, 6
	s_cbranch_scc1 .LBB371_995
; %bb.990:
	s_cmp_gt_i32 s16, 6
	s_cbranch_scc0 .LBB371_992
; %bb.991:
	s_wait_loadcnt 0x0
	v_cndmask_b32_e64 v2, 0, 1, s17
	s_mov_b32 s11, 0
	s_delay_alu instid0(VALU_DEP_1)
	v_cvt_f64_u32_e32 v[2:3], v2
	global_store_b64 v[0:1], v[2:3], off
.LBB371_992:
	s_and_not1_b32 vcc_lo, exec_lo, s11
	s_cbranch_vccnz .LBB371_994
; %bb.993:
	s_wait_loadcnt 0x0
	v_cndmask_b32_e64 v2, 0, 1.0, s17
	global_store_b32 v[0:1], v2, off
.LBB371_994:
	s_mov_b32 s11, 0
.LBB371_995:
	s_delay_alu instid0(SALU_CYCLE_1)
	s_and_not1_b32 vcc_lo, exec_lo, s11
	s_cbranch_vccnz .LBB371_997
; %bb.996:
	s_wait_loadcnt 0x0
	v_cndmask_b32_e64 v2, 0, 1.0, s17
	s_delay_alu instid0(VALU_DEP_1)
	v_cvt_f16_f32_e32 v2, v2
	global_store_b16 v[0:1], v2, off
.LBB371_997:
	s_mov_b32 s11, 0
.LBB371_998:
	s_delay_alu instid0(SALU_CYCLE_1)
	s_and_not1_b32 vcc_lo, exec_lo, s11
	s_cbranch_vccnz .LBB371_1014
; %bb.999:
	s_sext_i32_i16 s16, s18
	s_mov_b32 s11, -1
	s_cmp_lt_i32 s16, 2
	s_cbranch_scc1 .LBB371_1009
; %bb.1000:
	s_cmp_lt_i32 s16, 3
	s_cbranch_scc1 .LBB371_1006
; %bb.1001:
	s_cmp_gt_i32 s16, 3
	s_cbranch_scc0 .LBB371_1003
; %bb.1002:
	s_mov_b32 s11, 0
	s_wait_loadcnt 0x0
	v_cndmask_b32_e64 v2, 0, 1, s17
	v_mov_b32_e32 v3, s11
	global_store_b64 v[0:1], v[2:3], off
.LBB371_1003:
	s_and_not1_b32 vcc_lo, exec_lo, s11
	s_cbranch_vccnz .LBB371_1005
; %bb.1004:
	s_wait_loadcnt 0x0
	v_cndmask_b32_e64 v2, 0, 1, s17
	global_store_b32 v[0:1], v2, off
.LBB371_1005:
	s_mov_b32 s11, 0
.LBB371_1006:
	s_delay_alu instid0(SALU_CYCLE_1)
	s_and_not1_b32 vcc_lo, exec_lo, s11
	s_cbranch_vccnz .LBB371_1008
; %bb.1007:
	s_wait_loadcnt 0x0
	v_cndmask_b32_e64 v2, 0, 1, s17
	global_store_b16 v[0:1], v2, off
.LBB371_1008:
	s_mov_b32 s11, 0
.LBB371_1009:
	s_delay_alu instid0(SALU_CYCLE_1)
	s_and_not1_b32 vcc_lo, exec_lo, s11
	s_cbranch_vccnz .LBB371_1014
; %bb.1010:
	s_wait_loadcnt 0x0
	v_cndmask_b32_e64 v2, 0, 1, s17
	s_sext_i32_i16 s11, s18
	s_delay_alu instid0(SALU_CYCLE_1)
	s_cmp_gt_i32 s11, 0
	s_mov_b32 s11, -1
	s_cbranch_scc0 .LBB371_1012
; %bb.1011:
	s_mov_b32 s11, 0
	global_store_b8 v[0:1], v2, off
.LBB371_1012:
	s_and_not1_b32 vcc_lo, exec_lo, s11
	s_cbranch_vccnz .LBB371_1014
; %bb.1013:
	global_store_b8 v[0:1], v2, off
.LBB371_1014:
	s_wait_xcnt 0x0
	s_or_b32 exec_lo, exec_lo, s0
	s_delay_alu instid0(SALU_CYCLE_1)
	s_and_b32 s11, s15, exec_lo
                                        ; implicit-def: $vgpr10
.LBB371_1015:
	s_or_saveexec_b32 s3, s3
	s_mov_b32 s0, 0
                                        ; implicit-def: $sgpr16
                                        ; implicit-def: $sgpr15
                                        ; implicit-def: $vgpr0_vgpr1
	s_xor_b32 exec_lo, exec_lo, s3
	s_cbranch_execz .LBB371_1949
; %bb.1016:
	s_wait_loadcnt 0x0
	v_mul_lo_u32 v2, s13, v10
	s_and_b32 s0, 0xffff, s2
	s_delay_alu instid0(SALU_CYCLE_1) | instskip(NEXT) | instid1(VALU_DEP_1)
	s_cmp_lt_i32 s0, 11
	v_ashrrev_i32_e32 v3, 31, v2
	s_delay_alu instid0(VALU_DEP_1)
	v_add_nc_u64_e32 v[4:5], s[6:7], v[2:3]
	s_cbranch_scc1 .LBB371_1023
; %bb.1017:
	s_cmp_gt_i32 s0, 25
	s_mov_b32 s2, 0
	s_cbranch_scc0 .LBB371_1025
; %bb.1018:
	s_cmp_gt_i32 s0, 28
	s_cbranch_scc0 .LBB371_1026
; %bb.1019:
	s_cmp_gt_i32 s0, 43
	;; [unrolled: 3-line block ×3, first 2 shown]
	s_cbranch_scc0 .LBB371_1028
; %bb.1021:
	s_cmp_eq_u32 s0, 46
	s_mov_b32 s16, 0
	s_cbranch_scc0 .LBB371_1031
; %bb.1022:
	global_load_b32 v0, v[4:5], off
	s_mov_b32 s15, -1
	s_wait_loadcnt 0x0
	v_lshlrev_b32_e32 v0, 16, v0
	s_delay_alu instid0(VALU_DEP_1) | instskip(NEXT) | instid1(VALU_DEP_1)
	v_trunc_f32_e32 v0, v0
	v_mul_f32_e32 v1, 0x2f800000, v0
	s_delay_alu instid0(VALU_DEP_1) | instskip(NEXT) | instid1(VALU_DEP_1)
	v_floor_f32_e32 v1, v1
	v_fmamk_f32 v0, v1, 0xcf800000, v0
	v_cvt_u32_f32_e32 v1, v1
	s_delay_alu instid0(VALU_DEP_2)
	v_cvt_u32_f32_e32 v0, v0
	s_branch .LBB371_1033
.LBB371_1023:
	s_mov_b32 s15, 0
	s_mov_b32 s1, s11
                                        ; implicit-def: $vgpr0_vgpr1
	s_cbranch_execnz .LBB371_1091
.LBB371_1024:
	s_and_not1_b32 vcc_lo, exec_lo, s15
	s_cbranch_vccz .LBB371_1136
	s_branch .LBB371_1947
.LBB371_1025:
	s_mov_b32 s15, 0
                                        ; implicit-def: $vgpr0_vgpr1
	s_cbranch_execnz .LBB371_1058
	s_branch .LBB371_1087
.LBB371_1026:
	s_mov_b32 s15, 0
                                        ; implicit-def: $vgpr0_vgpr1
	s_cbranch_execz .LBB371_1057
	s_branch .LBB371_1042
.LBB371_1027:
	s_mov_b32 s15, 0
                                        ; implicit-def: $vgpr0_vgpr1
	s_cbranch_execnz .LBB371_1038
	s_branch .LBB371_1041
.LBB371_1028:
	s_mov_b32 s16, -1
	s_branch .LBB371_1032
.LBB371_1029:
	s_and_not1_saveexec_b32 s22, s22
	s_cbranch_execz .LBB371_928
.LBB371_1030:
	v_add_f32_e32 v2, 0x46000000, v3
	s_and_not1_b32 s21, s21, exec_lo
	s_delay_alu instid0(VALU_DEP_1) | instskip(NEXT) | instid1(VALU_DEP_1)
	v_and_b32_e32 v2, 0xff, v2
	v_cmp_ne_u32_e32 vcc_lo, 0, v2
	s_and_b32 s23, vcc_lo, exec_lo
	s_delay_alu instid0(SALU_CYCLE_1)
	s_or_b32 s21, s21, s23
	s_or_b32 exec_lo, exec_lo, s22
	v_mov_b32_e32 v4, 0
	s_and_saveexec_b32 s22, s21
	s_cbranch_execnz .LBB371_929
	s_branch .LBB371_930
.LBB371_1031:
	s_mov_b32 s1, -1
.LBB371_1032:
	s_mov_b32 s15, 0
                                        ; implicit-def: $vgpr0_vgpr1
.LBB371_1033:
	s_and_b32 vcc_lo, exec_lo, s16
	s_cbranch_vccz .LBB371_1036
; %bb.1034:
	s_cmp_eq_u32 s0, 44
	s_cbranch_scc0 .LBB371_1037
; %bb.1035:
	global_load_u8 v0, v[4:5], off
	s_mov_b32 s1, 0
	s_mov_b32 s15, -1
	s_wait_loadcnt 0x0
	v_cmp_ne_u32_e32 vcc_lo, 0, v0
	v_lshlrev_b32_e32 v1, 23, v0
	s_delay_alu instid0(VALU_DEP_1) | instskip(NEXT) | instid1(VALU_DEP_1)
	v_trunc_f32_e32 v1, v1
	v_mul_f32_e32 v3, 0x2f800000, v1
	s_delay_alu instid0(VALU_DEP_1) | instskip(NEXT) | instid1(VALU_DEP_1)
	v_floor_f32_e32 v3, v3
	v_fmamk_f32 v1, v3, 0xcf800000, v1
	v_cvt_u32_f32_e32 v3, v3
	s_delay_alu instid0(VALU_DEP_2) | instskip(NEXT) | instid1(VALU_DEP_1)
	v_cvt_u32_f32_e32 v6, v1
	v_dual_cndmask_b32 v1, 0, v3 :: v_dual_cndmask_b32 v0, 0, v6
.LBB371_1036:
	s_branch .LBB371_1041
.LBB371_1037:
	s_mov_b32 s1, -1
                                        ; implicit-def: $vgpr0_vgpr1
	s_branch .LBB371_1041
.LBB371_1038:
	s_cmp_eq_u32 s0, 29
	s_cbranch_scc0 .LBB371_1040
; %bb.1039:
	global_load_b64 v[0:1], v[4:5], off
	s_mov_b32 s1, 0
	s_mov_b32 s15, -1
	s_branch .LBB371_1041
.LBB371_1040:
	s_mov_b32 s1, -1
                                        ; implicit-def: $vgpr0_vgpr1
.LBB371_1041:
	s_branch .LBB371_1057
.LBB371_1042:
	s_cmp_lt_i32 s0, 27
	s_cbranch_scc1 .LBB371_1045
; %bb.1043:
	s_cmp_gt_i32 s0, 27
	s_cbranch_scc0 .LBB371_1046
; %bb.1044:
	s_wait_loadcnt 0x0
	global_load_b32 v0, v[4:5], off
	v_mov_b32_e32 v1, 0
	s_mov_b32 s15, 0
	s_branch .LBB371_1047
.LBB371_1045:
	s_mov_b32 s15, -1
                                        ; implicit-def: $vgpr0_vgpr1
	s_branch .LBB371_1050
.LBB371_1046:
	s_mov_b32 s15, -1
                                        ; implicit-def: $vgpr0_vgpr1
.LBB371_1047:
	s_delay_alu instid0(SALU_CYCLE_1)
	s_and_not1_b32 vcc_lo, exec_lo, s15
	s_cbranch_vccnz .LBB371_1049
; %bb.1048:
	s_wait_loadcnt 0x0
	global_load_u16 v0, v[4:5], off
	s_mov_b32 s15, 0
	s_delay_alu instid0(SALU_CYCLE_1)
	v_mov_b32_e32 v1, s15
	s_wait_loadcnt 0x0
	v_and_b32_e32 v0, 0xffff, v0
.LBB371_1049:
	s_mov_b32 s15, 0
.LBB371_1050:
	s_delay_alu instid0(SALU_CYCLE_1)
	s_and_not1_b32 vcc_lo, exec_lo, s15
	s_cbranch_vccnz .LBB371_1056
; %bb.1051:
	global_load_u8 v3, v[4:5], off
	s_mov_b32 s16, 0
	s_mov_b32 s15, exec_lo
	s_wait_loadcnt 0x0
	v_cmpx_lt_i16_e32 0x7f, v3
	s_xor_b32 s15, exec_lo, s15
	s_cbranch_execz .LBB371_1067
; %bb.1052:
	v_cmp_ne_u16_e32 vcc_lo, 0x80, v3
	s_and_b32 s16, vcc_lo, exec_lo
	s_and_not1_saveexec_b32 s15, s15
	s_cbranch_execnz .LBB371_1068
.LBB371_1053:
	s_or_b32 exec_lo, exec_lo, s15
	v_mov_b64_e32 v[0:1], 0
	s_and_saveexec_b32 s15, s16
	s_cbranch_execz .LBB371_1055
.LBB371_1054:
	v_and_b32_e32 v0, 0xffff, v3
	s_delay_alu instid0(VALU_DEP_1) | instskip(SKIP_1) | instid1(VALU_DEP_2)
	v_and_b32_e32 v1, 7, v0
	v_bfe_u32 v8, v0, 3, 4
	v_clz_i32_u32_e32 v6, v1
	s_delay_alu instid0(VALU_DEP_2) | instskip(NEXT) | instid1(VALU_DEP_2)
	v_cmp_eq_u32_e32 vcc_lo, 0, v8
	v_min_u32_e32 v6, 32, v6
	s_delay_alu instid0(VALU_DEP_1) | instskip(NEXT) | instid1(VALU_DEP_1)
	v_subrev_nc_u32_e32 v7, 28, v6
	v_dual_lshlrev_b32 v0, v7, v0 :: v_dual_sub_nc_u32 v6, 29, v6
	s_delay_alu instid0(VALU_DEP_1) | instskip(NEXT) | instid1(VALU_DEP_1)
	v_dual_lshlrev_b32 v3, 24, v3 :: v_dual_bitop2_b32 v0, 7, v0 bitop3:0x40
	v_dual_cndmask_b32 v6, v8, v6, vcc_lo :: v_dual_cndmask_b32 v0, v1, v0, vcc_lo
	s_delay_alu instid0(VALU_DEP_2) | instskip(NEXT) | instid1(VALU_DEP_2)
	v_and_b32_e32 v1, 0x80000000, v3
	v_lshl_add_u32 v3, v6, 23, 0x3b800000
	s_delay_alu instid0(VALU_DEP_3) | instskip(NEXT) | instid1(VALU_DEP_1)
	v_lshlrev_b32_e32 v0, 20, v0
	v_or3_b32 v0, v1, v3, v0
	s_delay_alu instid0(VALU_DEP_1) | instskip(NEXT) | instid1(VALU_DEP_1)
	v_trunc_f32_e32 v0, v0
	v_mul_f32_e32 v1, 0x2f800000, v0
	s_delay_alu instid0(VALU_DEP_1) | instskip(NEXT) | instid1(VALU_DEP_1)
	v_floor_f32_e32 v1, v1
	v_fmamk_f32 v0, v1, 0xcf800000, v0
	v_cvt_u32_f32_e32 v1, v1
	s_delay_alu instid0(VALU_DEP_2)
	v_cvt_u32_f32_e32 v0, v0
.LBB371_1055:
	s_or_b32 exec_lo, exec_lo, s15
.LBB371_1056:
	s_mov_b32 s15, -1
.LBB371_1057:
	s_branch .LBB371_1087
.LBB371_1058:
	s_cmp_gt_i32 s0, 22
	s_cbranch_scc0 .LBB371_1066
; %bb.1059:
	s_cmp_lt_i32 s0, 24
	s_cbranch_scc1 .LBB371_1069
; %bb.1060:
	s_cmp_gt_i32 s0, 24
	s_cbranch_scc0 .LBB371_1070
; %bb.1061:
	global_load_u8 v3, v[4:5], off
	s_mov_b32 s15, 0
	s_mov_b32 s2, exec_lo
	s_wait_loadcnt 0x0
	v_cmpx_lt_i16_e32 0x7f, v3
	s_xor_b32 s2, exec_lo, s2
	s_cbranch_execz .LBB371_1081
; %bb.1062:
	v_cmp_ne_u16_e32 vcc_lo, 0x80, v3
	s_and_b32 s15, vcc_lo, exec_lo
	s_and_not1_saveexec_b32 s2, s2
	s_cbranch_execnz .LBB371_1082
.LBB371_1063:
	s_or_b32 exec_lo, exec_lo, s2
	v_mov_b64_e32 v[0:1], 0
	s_and_saveexec_b32 s2, s15
	s_cbranch_execz .LBB371_1065
.LBB371_1064:
	v_and_b32_e32 v0, 0xffff, v3
	s_delay_alu instid0(VALU_DEP_1) | instskip(SKIP_1) | instid1(VALU_DEP_2)
	v_and_b32_e32 v1, 3, v0
	v_bfe_u32 v8, v0, 2, 5
	v_clz_i32_u32_e32 v6, v1
	s_delay_alu instid0(VALU_DEP_2) | instskip(NEXT) | instid1(VALU_DEP_2)
	v_cmp_eq_u32_e32 vcc_lo, 0, v8
	v_min_u32_e32 v6, 32, v6
	s_delay_alu instid0(VALU_DEP_1) | instskip(NEXT) | instid1(VALU_DEP_1)
	v_subrev_nc_u32_e32 v7, 29, v6
	v_dual_lshlrev_b32 v0, v7, v0 :: v_dual_sub_nc_u32 v6, 30, v6
	s_delay_alu instid0(VALU_DEP_1) | instskip(NEXT) | instid1(VALU_DEP_1)
	v_dual_lshlrev_b32 v3, 24, v3 :: v_dual_bitop2_b32 v0, 3, v0 bitop3:0x40
	v_dual_cndmask_b32 v6, v8, v6, vcc_lo :: v_dual_cndmask_b32 v0, v1, v0, vcc_lo
	s_delay_alu instid0(VALU_DEP_2) | instskip(NEXT) | instid1(VALU_DEP_2)
	v_and_b32_e32 v1, 0x80000000, v3
	v_lshl_add_u32 v3, v6, 23, 0x37800000
	s_delay_alu instid0(VALU_DEP_3) | instskip(NEXT) | instid1(VALU_DEP_1)
	v_lshlrev_b32_e32 v0, 21, v0
	v_or3_b32 v0, v1, v3, v0
	s_delay_alu instid0(VALU_DEP_1) | instskip(NEXT) | instid1(VALU_DEP_1)
	v_trunc_f32_e32 v0, v0
	v_mul_f32_e32 v1, 0x2f800000, v0
	s_delay_alu instid0(VALU_DEP_1) | instskip(NEXT) | instid1(VALU_DEP_1)
	v_floor_f32_e32 v1, v1
	v_fmamk_f32 v0, v1, 0xcf800000, v0
	v_cvt_u32_f32_e32 v1, v1
	s_delay_alu instid0(VALU_DEP_2)
	v_cvt_u32_f32_e32 v0, v0
.LBB371_1065:
	s_or_b32 exec_lo, exec_lo, s2
	s_mov_b32 s2, 0
	s_branch .LBB371_1071
.LBB371_1066:
                                        ; implicit-def: $vgpr0_vgpr1
	s_mov_b32 s2, 0
	s_branch .LBB371_1077
.LBB371_1067:
	s_and_not1_saveexec_b32 s15, s15
	s_cbranch_execz .LBB371_1053
.LBB371_1068:
	v_cmp_ne_u16_e32 vcc_lo, 0, v3
	s_and_not1_b32 s16, s16, exec_lo
	s_and_b32 s17, vcc_lo, exec_lo
	s_delay_alu instid0(SALU_CYCLE_1)
	s_or_b32 s16, s16, s17
	s_or_b32 exec_lo, exec_lo, s15
	v_mov_b64_e32 v[0:1], 0
	s_and_saveexec_b32 s15, s16
	s_cbranch_execnz .LBB371_1054
	s_branch .LBB371_1055
.LBB371_1069:
	s_mov_b32 s2, -1
                                        ; implicit-def: $vgpr0_vgpr1
	s_branch .LBB371_1074
.LBB371_1070:
	s_mov_b32 s2, -1
                                        ; implicit-def: $vgpr0_vgpr1
.LBB371_1071:
	s_delay_alu instid0(SALU_CYCLE_1)
	s_and_b32 vcc_lo, exec_lo, s2
	s_cbranch_vccz .LBB371_1073
; %bb.1072:
	s_wait_loadcnt 0x0
	global_load_u8 v0, v[4:5], off
	s_wait_loadcnt 0x0
	v_lshlrev_b32_e32 v0, 24, v0
	s_delay_alu instid0(VALU_DEP_1) | instskip(NEXT) | instid1(VALU_DEP_1)
	v_and_b32_e32 v1, 0x7f000000, v0
	v_clz_i32_u32_e32 v3, v1
	v_add_nc_u32_e32 v7, 0x1000000, v1
	v_cmp_ne_u32_e32 vcc_lo, 0, v1
	s_delay_alu instid0(VALU_DEP_3) | instskip(NEXT) | instid1(VALU_DEP_1)
	v_min_u32_e32 v3, 32, v3
	v_sub_nc_u32_e64 v3, v3, 4 clamp
	s_delay_alu instid0(VALU_DEP_1) | instskip(NEXT) | instid1(VALU_DEP_1)
	v_dual_lshlrev_b32 v6, v3, v1 :: v_dual_lshlrev_b32 v3, 23, v3
	v_lshrrev_b32_e32 v6, 4, v6
	s_delay_alu instid0(VALU_DEP_1) | instskip(SKIP_1) | instid1(VALU_DEP_2)
	v_sub_nc_u32_e32 v3, v6, v3
	v_ashrrev_i32_e32 v6, 8, v7
	v_add_nc_u32_e32 v3, 0x3c000000, v3
	s_delay_alu instid0(VALU_DEP_1) | instskip(NEXT) | instid1(VALU_DEP_1)
	v_and_or_b32 v3, 0x7f800000, v6, v3
	v_cndmask_b32_e32 v1, 0, v3, vcc_lo
	s_delay_alu instid0(VALU_DEP_1) | instskip(NEXT) | instid1(VALU_DEP_1)
	v_and_or_b32 v0, 0x80000000, v0, v1
	v_trunc_f32_e32 v0, v0
	s_delay_alu instid0(VALU_DEP_1) | instskip(NEXT) | instid1(VALU_DEP_1)
	v_mul_f32_e32 v1, 0x2f800000, v0
	v_floor_f32_e32 v1, v1
	s_delay_alu instid0(VALU_DEP_1) | instskip(SKIP_1) | instid1(VALU_DEP_2)
	v_fmamk_f32 v0, v1, 0xcf800000, v0
	v_cvt_u32_f32_e32 v1, v1
	v_cvt_u32_f32_e32 v0, v0
.LBB371_1073:
	s_mov_b32 s2, 0
.LBB371_1074:
	s_delay_alu instid0(SALU_CYCLE_1)
	s_and_not1_b32 vcc_lo, exec_lo, s2
	s_cbranch_vccnz .LBB371_1076
; %bb.1075:
	s_wait_loadcnt 0x0
	global_load_u8 v0, v[4:5], off
	s_wait_loadcnt 0x0
	v_lshlrev_b32_e32 v1, 25, v0
	v_lshlrev_b16 v0, 8, v0
	s_delay_alu instid0(VALU_DEP_1) | instskip(SKIP_1) | instid1(VALU_DEP_2)
	v_and_or_b32 v6, 0x7f00, v0, 0.5
	v_bfe_i32 v0, v0, 0, 16
	v_dual_add_f32 v6, -0.5, v6 :: v_dual_lshrrev_b32 v3, 4, v1
	v_cmp_gt_u32_e32 vcc_lo, 0x8000000, v1
	s_delay_alu instid0(VALU_DEP_2) | instskip(NEXT) | instid1(VALU_DEP_1)
	v_or_b32_e32 v3, 0x70000000, v3
	v_mul_f32_e32 v3, 0x7800000, v3
	s_delay_alu instid0(VALU_DEP_1) | instskip(NEXT) | instid1(VALU_DEP_1)
	v_cndmask_b32_e32 v1, v3, v6, vcc_lo
	v_and_or_b32 v0, 0x80000000, v0, v1
	s_delay_alu instid0(VALU_DEP_1) | instskip(NEXT) | instid1(VALU_DEP_1)
	v_trunc_f32_e32 v0, v0
	v_mul_f32_e32 v1, 0x2f800000, v0
	s_delay_alu instid0(VALU_DEP_1) | instskip(NEXT) | instid1(VALU_DEP_1)
	v_floor_f32_e32 v1, v1
	v_fmamk_f32 v0, v1, 0xcf800000, v0
	v_cvt_u32_f32_e32 v1, v1
	s_delay_alu instid0(VALU_DEP_2)
	v_cvt_u32_f32_e32 v0, v0
.LBB371_1076:
	s_mov_b32 s15, -1
	s_mov_b32 s2, 0
	s_cbranch_execnz .LBB371_1087
.LBB371_1077:
	s_cmp_gt_i32 s0, 14
	s_cbranch_scc0 .LBB371_1080
; %bb.1078:
	s_cmp_eq_u32 s0, 15
	s_cbranch_scc0 .LBB371_1083
; %bb.1079:
	s_wait_loadcnt 0x0
	global_load_u16 v0, v[4:5], off
	s_mov_b32 s1, 0
	s_mov_b32 s15, -1
	s_wait_loadcnt 0x0
	v_lshlrev_b32_e32 v0, 16, v0
	s_delay_alu instid0(VALU_DEP_1) | instskip(NEXT) | instid1(VALU_DEP_1)
	v_trunc_f32_e32 v0, v0
	v_mul_f32_e32 v1, 0x2f800000, v0
	s_delay_alu instid0(VALU_DEP_1) | instskip(NEXT) | instid1(VALU_DEP_1)
	v_floor_f32_e32 v1, v1
	v_fmamk_f32 v0, v1, 0xcf800000, v0
	v_cvt_u32_f32_e32 v1, v1
	s_delay_alu instid0(VALU_DEP_2)
	v_cvt_u32_f32_e32 v0, v0
	s_branch .LBB371_1085
.LBB371_1080:
	s_mov_b32 s2, -1
	s_branch .LBB371_1084
.LBB371_1081:
	s_and_not1_saveexec_b32 s2, s2
	s_cbranch_execz .LBB371_1063
.LBB371_1082:
	v_cmp_ne_u16_e32 vcc_lo, 0, v3
	s_and_not1_b32 s15, s15, exec_lo
	s_and_b32 s16, vcc_lo, exec_lo
	s_delay_alu instid0(SALU_CYCLE_1)
	s_or_b32 s15, s15, s16
	s_or_b32 exec_lo, exec_lo, s2
	v_mov_b64_e32 v[0:1], 0
	s_and_saveexec_b32 s2, s15
	s_cbranch_execnz .LBB371_1064
	s_branch .LBB371_1065
.LBB371_1083:
	s_mov_b32 s1, -1
.LBB371_1084:
                                        ; implicit-def: $vgpr0_vgpr1
.LBB371_1085:
	s_and_b32 vcc_lo, exec_lo, s2
	s_mov_b32 s2, 0
	s_cbranch_vccz .LBB371_1087
; %bb.1086:
	s_cmp_lg_u32 s0, 11
	s_mov_b32 s2, -1
	s_cselect_b32 s1, -1, 0
.LBB371_1087:
	s_delay_alu instid0(SALU_CYCLE_1)
	s_and_b32 vcc_lo, exec_lo, s1
	s_mov_b32 s1, s11
	s_cbranch_vccnz .LBB371_1148
; %bb.1088:
	s_and_not1_b32 vcc_lo, exec_lo, s2
	s_cbranch_vccnz .LBB371_1090
.LBB371_1089:
	s_wait_loadcnt 0x0
	global_load_u8 v0, v[4:5], off
	s_mov_b32 s2, 0
	s_mov_b32 s15, -1
	v_mov_b32_e32 v1, s2
	s_wait_loadcnt 0x0
	v_cmp_ne_u16_e32 vcc_lo, 0, v0
	v_cndmask_b32_e64 v0, 0, 1, vcc_lo
.LBB371_1090:
	s_branch .LBB371_1024
.LBB371_1091:
	s_cmp_lt_i32 s0, 5
	s_cbranch_scc1 .LBB371_1096
; %bb.1092:
	s_cmp_lt_i32 s0, 8
	s_cbranch_scc1 .LBB371_1097
; %bb.1093:
	;; [unrolled: 3-line block ×3, first 2 shown]
	s_cmp_gt_i32 s0, 9
	s_cbranch_scc0 .LBB371_1099
; %bb.1095:
	s_wait_loadcnt 0x0
	global_load_b64 v[0:1], v[4:5], off
	s_mov_b32 s2, 0
	s_wait_loadcnt 0x0
	v_trunc_f64_e32 v[0:1], v[0:1]
	s_delay_alu instid0(VALU_DEP_1) | instskip(NEXT) | instid1(VALU_DEP_1)
	v_ldexp_f64 v[6:7], v[0:1], 0xffffffe0
	v_floor_f64_e32 v[6:7], v[6:7]
	s_delay_alu instid0(VALU_DEP_1) | instskip(SKIP_1) | instid1(VALU_DEP_2)
	v_fmamk_f64 v[8:9], v[6:7], 0xc1f00000, v[0:1]
	v_cvt_u32_f64_e32 v1, v[6:7]
	v_cvt_u32_f64_e32 v0, v[8:9]
	s_branch .LBB371_1100
.LBB371_1096:
                                        ; implicit-def: $vgpr0_vgpr1
	s_branch .LBB371_1117
.LBB371_1097:
                                        ; implicit-def: $vgpr0_vgpr1
	s_branch .LBB371_1106
.LBB371_1098:
	s_mov_b32 s2, -1
                                        ; implicit-def: $vgpr0_vgpr1
	s_branch .LBB371_1103
.LBB371_1099:
	s_mov_b32 s2, -1
                                        ; implicit-def: $vgpr0_vgpr1
.LBB371_1100:
	s_delay_alu instid0(SALU_CYCLE_1)
	s_and_not1_b32 vcc_lo, exec_lo, s2
	s_cbranch_vccnz .LBB371_1102
; %bb.1101:
	s_wait_loadcnt 0x0
	global_load_b32 v0, v[4:5], off
	s_wait_loadcnt 0x0
	v_trunc_f32_e32 v0, v0
	s_delay_alu instid0(VALU_DEP_1) | instskip(NEXT) | instid1(VALU_DEP_1)
	v_mul_f32_e32 v1, 0x2f800000, v0
	v_floor_f32_e32 v1, v1
	s_delay_alu instid0(VALU_DEP_1) | instskip(SKIP_1) | instid1(VALU_DEP_2)
	v_fmamk_f32 v0, v1, 0xcf800000, v0
	v_cvt_u32_f32_e32 v1, v1
	v_cvt_u32_f32_e32 v0, v0
.LBB371_1102:
	s_mov_b32 s2, 0
.LBB371_1103:
	s_delay_alu instid0(SALU_CYCLE_1)
	s_and_not1_b32 vcc_lo, exec_lo, s2
	s_cbranch_vccnz .LBB371_1105
; %bb.1104:
	s_wait_loadcnt 0x0
	global_load_b32 v0, v[4:5], off
	v_mov_b32_e32 v1, 0
	s_wait_loadcnt 0x0
	v_cvt_f32_f16_e32 v0, v0
	s_delay_alu instid0(VALU_DEP_1)
	v_cvt_u32_f32_e32 v0, v0
.LBB371_1105:
	s_cbranch_execnz .LBB371_1116
.LBB371_1106:
	s_cmp_lt_i32 s0, 6
	s_cbranch_scc1 .LBB371_1109
; %bb.1107:
	s_cmp_gt_i32 s0, 6
	s_cbranch_scc0 .LBB371_1110
; %bb.1108:
	s_wait_loadcnt 0x0
	global_load_b64 v[0:1], v[4:5], off
	s_mov_b32 s2, 0
	s_wait_loadcnt 0x0
	v_trunc_f64_e32 v[0:1], v[0:1]
	s_delay_alu instid0(VALU_DEP_1) | instskip(NEXT) | instid1(VALU_DEP_1)
	v_ldexp_f64 v[6:7], v[0:1], 0xffffffe0
	v_floor_f64_e32 v[6:7], v[6:7]
	s_delay_alu instid0(VALU_DEP_1) | instskip(SKIP_1) | instid1(VALU_DEP_2)
	v_fmamk_f64 v[8:9], v[6:7], 0xc1f00000, v[0:1]
	v_cvt_u32_f64_e32 v1, v[6:7]
	v_cvt_u32_f64_e32 v0, v[8:9]
	s_branch .LBB371_1111
.LBB371_1109:
	s_mov_b32 s2, -1
                                        ; implicit-def: $vgpr0_vgpr1
	s_branch .LBB371_1114
.LBB371_1110:
	s_mov_b32 s2, -1
                                        ; implicit-def: $vgpr0_vgpr1
.LBB371_1111:
	s_delay_alu instid0(SALU_CYCLE_1)
	s_and_not1_b32 vcc_lo, exec_lo, s2
	s_cbranch_vccnz .LBB371_1113
; %bb.1112:
	s_wait_loadcnt 0x0
	global_load_b32 v0, v[4:5], off
	s_wait_loadcnt 0x0
	v_trunc_f32_e32 v0, v0
	s_delay_alu instid0(VALU_DEP_1) | instskip(NEXT) | instid1(VALU_DEP_1)
	v_mul_f32_e32 v1, 0x2f800000, v0
	v_floor_f32_e32 v1, v1
	s_delay_alu instid0(VALU_DEP_1) | instskip(SKIP_1) | instid1(VALU_DEP_2)
	v_fmamk_f32 v0, v1, 0xcf800000, v0
	v_cvt_u32_f32_e32 v1, v1
	v_cvt_u32_f32_e32 v0, v0
.LBB371_1113:
	s_mov_b32 s2, 0
.LBB371_1114:
	s_delay_alu instid0(SALU_CYCLE_1)
	s_and_not1_b32 vcc_lo, exec_lo, s2
	s_cbranch_vccnz .LBB371_1116
; %bb.1115:
	s_wait_loadcnt 0x0
	global_load_u16 v0, v[4:5], off
	v_mov_b32_e32 v1, 0
	s_wait_loadcnt 0x0
	v_cvt_f32_f16_e32 v0, v0
	s_delay_alu instid0(VALU_DEP_1)
	v_cvt_u32_f32_e32 v0, v0
.LBB371_1116:
	s_cbranch_execnz .LBB371_1135
.LBB371_1117:
	s_cmp_lt_i32 s0, 2
	s_cbranch_scc1 .LBB371_1121
; %bb.1118:
	s_cmp_lt_i32 s0, 3
	s_cbranch_scc1 .LBB371_1122
; %bb.1119:
	s_cmp_gt_i32 s0, 3
	s_cbranch_scc0 .LBB371_1123
; %bb.1120:
	s_wait_loadcnt 0x0
	global_load_b64 v[0:1], v[4:5], off
	s_mov_b32 s2, 0
	s_branch .LBB371_1124
.LBB371_1121:
                                        ; implicit-def: $vgpr0_vgpr1
	s_branch .LBB371_1130
.LBB371_1122:
	s_mov_b32 s2, -1
                                        ; implicit-def: $vgpr0_vgpr1
	s_branch .LBB371_1127
.LBB371_1123:
	s_mov_b32 s2, -1
                                        ; implicit-def: $vgpr0_vgpr1
.LBB371_1124:
	s_delay_alu instid0(SALU_CYCLE_1)
	s_and_not1_b32 vcc_lo, exec_lo, s2
	s_cbranch_vccnz .LBB371_1126
; %bb.1125:
	s_wait_loadcnt 0x0
	global_load_b32 v0, v[4:5], off
	s_wait_loadcnt 0x0
	v_ashrrev_i32_e32 v1, 31, v0
.LBB371_1126:
	s_mov_b32 s2, 0
.LBB371_1127:
	s_delay_alu instid0(SALU_CYCLE_1)
	s_and_not1_b32 vcc_lo, exec_lo, s2
	s_cbranch_vccnz .LBB371_1129
; %bb.1128:
	s_wait_loadcnt 0x0
	global_load_u16 v0, v[4:5], off
	s_wait_loadcnt 0x0
	v_bfe_i32 v0, v0, 0, 16
	s_delay_alu instid0(VALU_DEP_1)
	v_ashrrev_i32_e32 v1, 31, v0
.LBB371_1129:
	s_cbranch_execnz .LBB371_1135
.LBB371_1130:
	s_cmp_gt_i32 s0, 0
	s_mov_b32 s2, 0
	s_cbranch_scc0 .LBB371_1132
; %bb.1131:
	s_wait_loadcnt 0x0
	global_load_i8 v0, v[4:5], off
	s_wait_loadcnt 0x0
	v_bfe_i32 v0, v0, 0, 16
	s_delay_alu instid0(VALU_DEP_1)
	v_ashrrev_i32_e32 v1, 31, v0
	s_branch .LBB371_1133
.LBB371_1132:
	s_mov_b32 s2, -1
                                        ; implicit-def: $vgpr0_vgpr1
.LBB371_1133:
	s_delay_alu instid0(SALU_CYCLE_1)
	s_and_not1_b32 vcc_lo, exec_lo, s2
	s_cbranch_vccnz .LBB371_1135
; %bb.1134:
	s_wait_loadcnt 0x0
	global_load_u8 v0, v[4:5], off
	s_mov_b32 s2, 0
	s_delay_alu instid0(SALU_CYCLE_1)
	v_mov_b32_e32 v1, s2
	s_wait_loadcnt 0x0
	v_and_b32_e32 v0, 0xffff, v0
.LBB371_1135:
.LBB371_1136:
	s_lshl_b32 s2, s13, 7
	s_cmp_lt_i32 s0, 11
	s_wait_xcnt 0x0
	v_add_nc_u32_e32 v4, s2, v2
	s_delay_alu instid0(VALU_DEP_1) | instskip(NEXT) | instid1(VALU_DEP_1)
	v_ashrrev_i32_e32 v5, 31, v4
	v_add_nc_u64_e32 v[6:7], s[6:7], v[4:5]
	s_cbranch_scc1 .LBB371_1143
; %bb.1137:
	s_cmp_gt_i32 s0, 25
	s_mov_b32 s15, 0
	s_cbranch_scc0 .LBB371_1145
; %bb.1138:
	s_cmp_gt_i32 s0, 28
	s_cbranch_scc0 .LBB371_1146
; %bb.1139:
	s_cmp_gt_i32 s0, 43
	s_cbranch_scc0 .LBB371_1147
; %bb.1140:
	s_cmp_gt_i32 s0, 45
	s_cbranch_scc0 .LBB371_1149
; %bb.1141:
	s_cmp_eq_u32 s0, 46
	s_mov_b32 s17, 0
	s_cbranch_scc0 .LBB371_1152
; %bb.1142:
	global_load_b32 v2, v[6:7], off
	s_mov_b32 s13, 0
	s_mov_b32 s16, -1
	s_wait_loadcnt 0x0
	v_lshlrev_b32_e32 v2, 16, v2
	s_delay_alu instid0(VALU_DEP_1) | instskip(NEXT) | instid1(VALU_DEP_1)
	v_trunc_f32_e32 v2, v2
	v_mul_f32_e32 v3, 0x2f800000, v2
	s_delay_alu instid0(VALU_DEP_1) | instskip(NEXT) | instid1(VALU_DEP_1)
	v_floor_f32_e32 v3, v3
	v_fmamk_f32 v2, v3, 0xcf800000, v2
	v_cvt_u32_f32_e32 v3, v3
	s_delay_alu instid0(VALU_DEP_2)
	v_cvt_u32_f32_e32 v2, v2
	s_branch .LBB371_1154
.LBB371_1143:
	s_mov_b32 s16, 0
                                        ; implicit-def: $vgpr2_vgpr3
	s_cbranch_execnz .LBB371_1215
.LBB371_1144:
	s_and_not1_b32 vcc_lo, exec_lo, s16
	s_cbranch_vccnz .LBB371_1947
	s_branch .LBB371_1262
.LBB371_1145:
	s_mov_b32 s16, 0
	s_mov_b32 s13, 0
                                        ; implicit-def: $vgpr2_vgpr3
	s_cbranch_execnz .LBB371_1181
	s_branch .LBB371_1211
.LBB371_1146:
	s_mov_b32 s17, -1
	s_mov_b32 s16, 0
	s_mov_b32 s13, 0
                                        ; implicit-def: $vgpr2_vgpr3
	s_branch .LBB371_1164
.LBB371_1147:
	s_mov_b32 s17, -1
	s_mov_b32 s16, 0
	s_mov_b32 s13, 0
                                        ; implicit-def: $vgpr2_vgpr3
	s_branch .LBB371_1159
.LBB371_1148:
	s_or_b32 s1, s11, exec_lo
	s_trap 2
	s_cbranch_execz .LBB371_1089
	s_branch .LBB371_1090
.LBB371_1149:
	s_mov_b32 s17, -1
	s_mov_b32 s16, 0
	s_mov_b32 s13, 0
	s_branch .LBB371_1153
.LBB371_1150:
	s_and_not1_saveexec_b32 s23, s23
	s_cbranch_execz .LBB371_940
.LBB371_1151:
	v_add_f32_e32 v2, 0x42800000, v3
	s_and_not1_b32 s22, s22, exec_lo
	s_delay_alu instid0(VALU_DEP_1) | instskip(NEXT) | instid1(VALU_DEP_1)
	v_and_b32_e32 v2, 0xff, v2
	v_cmp_ne_u32_e32 vcc_lo, 0, v2
	s_and_b32 s24, vcc_lo, exec_lo
	s_delay_alu instid0(SALU_CYCLE_1)
	s_or_b32 s22, s22, s24
	s_or_b32 exec_lo, exec_lo, s23
	v_mov_b32_e32 v4, 0
	s_and_saveexec_b32 s23, s22
	s_cbranch_execnz .LBB371_941
	s_branch .LBB371_942
.LBB371_1152:
	s_mov_b32 s13, -1
	s_mov_b32 s16, 0
.LBB371_1153:
                                        ; implicit-def: $vgpr2_vgpr3
.LBB371_1154:
	s_and_b32 vcc_lo, exec_lo, s17
	s_cbranch_vccz .LBB371_1158
; %bb.1155:
	s_cmp_eq_u32 s0, 44
	s_cbranch_scc0 .LBB371_1157
; %bb.1156:
	global_load_u8 v2, v[6:7], off
	s_mov_b32 s13, 0
	s_mov_b32 s16, -1
	s_wait_loadcnt 0x0
	v_cmp_ne_u32_e32 vcc_lo, 0, v2
	v_lshlrev_b32_e32 v3, 23, v2
	s_delay_alu instid0(VALU_DEP_1) | instskip(NEXT) | instid1(VALU_DEP_1)
	v_trunc_f32_e32 v3, v3
	v_mul_f32_e32 v5, 0x2f800000, v3
	s_delay_alu instid0(VALU_DEP_1) | instskip(NEXT) | instid1(VALU_DEP_1)
	v_floor_f32_e32 v5, v5
	v_fmamk_f32 v3, v5, 0xcf800000, v3
	v_cvt_u32_f32_e32 v5, v5
	s_delay_alu instid0(VALU_DEP_2) | instskip(NEXT) | instid1(VALU_DEP_1)
	v_cvt_u32_f32_e32 v8, v3
	v_dual_cndmask_b32 v3, 0, v5 :: v_dual_cndmask_b32 v2, 0, v8
	s_branch .LBB371_1158
.LBB371_1157:
	s_mov_b32 s13, -1
                                        ; implicit-def: $vgpr2_vgpr3
.LBB371_1158:
	s_mov_b32 s17, 0
.LBB371_1159:
	s_delay_alu instid0(SALU_CYCLE_1)
	s_and_b32 vcc_lo, exec_lo, s17
	s_cbranch_vccz .LBB371_1163
; %bb.1160:
	s_cmp_eq_u32 s0, 29
	s_cbranch_scc0 .LBB371_1162
; %bb.1161:
	global_load_b64 v[2:3], v[6:7], off
	s_mov_b32 s13, 0
	s_mov_b32 s16, -1
	s_branch .LBB371_1163
.LBB371_1162:
	s_mov_b32 s13, -1
                                        ; implicit-def: $vgpr2_vgpr3
.LBB371_1163:
	s_mov_b32 s17, 0
.LBB371_1164:
	s_delay_alu instid0(SALU_CYCLE_1)
	s_and_b32 vcc_lo, exec_lo, s17
	s_cbranch_vccz .LBB371_1180
; %bb.1165:
	s_cmp_lt_i32 s0, 27
	s_cbranch_scc1 .LBB371_1168
; %bb.1166:
	s_cmp_gt_i32 s0, 27
	s_cbranch_scc0 .LBB371_1169
; %bb.1167:
	s_wait_loadcnt 0x0
	global_load_b32 v2, v[6:7], off
	v_mov_b32_e32 v3, 0
	s_mov_b32 s16, 0
	s_branch .LBB371_1170
.LBB371_1168:
	s_mov_b32 s16, -1
                                        ; implicit-def: $vgpr2_vgpr3
	s_branch .LBB371_1173
.LBB371_1169:
	s_mov_b32 s16, -1
                                        ; implicit-def: $vgpr2_vgpr3
.LBB371_1170:
	s_delay_alu instid0(SALU_CYCLE_1)
	s_and_not1_b32 vcc_lo, exec_lo, s16
	s_cbranch_vccnz .LBB371_1172
; %bb.1171:
	s_wait_loadcnt 0x0
	global_load_u16 v2, v[6:7], off
	s_mov_b32 s16, 0
	s_delay_alu instid0(SALU_CYCLE_1)
	v_mov_b32_e32 v3, s16
	s_wait_loadcnt 0x0
	v_and_b32_e32 v2, 0xffff, v2
.LBB371_1172:
	s_mov_b32 s16, 0
.LBB371_1173:
	s_delay_alu instid0(SALU_CYCLE_1)
	s_and_not1_b32 vcc_lo, exec_lo, s16
	s_cbranch_vccnz .LBB371_1179
; %bb.1174:
	global_load_u8 v5, v[6:7], off
	s_mov_b32 s17, 0
	s_mov_b32 s16, exec_lo
	s_wait_loadcnt 0x0
	v_cmpx_lt_i16_e32 0x7f, v5
	s_xor_b32 s16, exec_lo, s16
	s_cbranch_execz .LBB371_1190
; %bb.1175:
	v_cmp_ne_u16_e32 vcc_lo, 0x80, v5
	s_and_b32 s17, vcc_lo, exec_lo
	s_and_not1_saveexec_b32 s16, s16
	s_cbranch_execnz .LBB371_1191
.LBB371_1176:
	s_or_b32 exec_lo, exec_lo, s16
	v_mov_b64_e32 v[2:3], 0
	s_and_saveexec_b32 s16, s17
	s_cbranch_execz .LBB371_1178
.LBB371_1177:
	v_and_b32_e32 v2, 0xffff, v5
	s_delay_alu instid0(VALU_DEP_1) | instskip(SKIP_1) | instid1(VALU_DEP_2)
	v_and_b32_e32 v3, 7, v2
	v_bfe_u32 v11, v2, 3, 4
	v_clz_i32_u32_e32 v8, v3
	s_delay_alu instid0(VALU_DEP_2) | instskip(NEXT) | instid1(VALU_DEP_2)
	v_cmp_eq_u32_e32 vcc_lo, 0, v11
	v_min_u32_e32 v8, 32, v8
	s_delay_alu instid0(VALU_DEP_1) | instskip(NEXT) | instid1(VALU_DEP_1)
	v_subrev_nc_u32_e32 v9, 28, v8
	v_dual_lshlrev_b32 v2, v9, v2 :: v_dual_sub_nc_u32 v8, 29, v8
	s_delay_alu instid0(VALU_DEP_1) | instskip(NEXT) | instid1(VALU_DEP_2)
	v_dual_lshlrev_b32 v5, 24, v5 :: v_dual_bitop2_b32 v2, 7, v2 bitop3:0x40
	v_cndmask_b32_e32 v8, v11, v8, vcc_lo
	s_delay_alu instid0(VALU_DEP_2) | instskip(NEXT) | instid1(VALU_DEP_3)
	v_cndmask_b32_e32 v2, v3, v2, vcc_lo
	v_and_b32_e32 v3, 0x80000000, v5
	s_delay_alu instid0(VALU_DEP_3) | instskip(NEXT) | instid1(VALU_DEP_3)
	v_lshl_add_u32 v5, v8, 23, 0x3b800000
	v_lshlrev_b32_e32 v2, 20, v2
	s_delay_alu instid0(VALU_DEP_1) | instskip(NEXT) | instid1(VALU_DEP_1)
	v_or3_b32 v2, v3, v5, v2
	v_trunc_f32_e32 v2, v2
	s_delay_alu instid0(VALU_DEP_1) | instskip(NEXT) | instid1(VALU_DEP_1)
	v_mul_f32_e32 v3, 0x2f800000, v2
	v_floor_f32_e32 v3, v3
	s_delay_alu instid0(VALU_DEP_1) | instskip(SKIP_1) | instid1(VALU_DEP_2)
	v_fmamk_f32 v2, v3, 0xcf800000, v2
	v_cvt_u32_f32_e32 v3, v3
	v_cvt_u32_f32_e32 v2, v2
.LBB371_1178:
	s_or_b32 exec_lo, exec_lo, s16
.LBB371_1179:
	s_mov_b32 s16, -1
.LBB371_1180:
	s_branch .LBB371_1211
.LBB371_1181:
	s_cmp_gt_i32 s0, 22
	s_cbranch_scc0 .LBB371_1189
; %bb.1182:
	s_cmp_lt_i32 s0, 24
	s_cbranch_scc1 .LBB371_1192
; %bb.1183:
	s_cmp_gt_i32 s0, 24
	s_cbranch_scc0 .LBB371_1193
; %bb.1184:
	global_load_u8 v5, v[6:7], off
	s_mov_b32 s16, 0
	s_mov_b32 s15, exec_lo
	s_wait_loadcnt 0x0
	v_cmpx_lt_i16_e32 0x7f, v5
	s_xor_b32 s15, exec_lo, s15
	s_cbranch_execz .LBB371_1205
; %bb.1185:
	v_cmp_ne_u16_e32 vcc_lo, 0x80, v5
	s_and_b32 s16, vcc_lo, exec_lo
	s_and_not1_saveexec_b32 s15, s15
	s_cbranch_execnz .LBB371_1206
.LBB371_1186:
	s_or_b32 exec_lo, exec_lo, s15
	v_mov_b64_e32 v[2:3], 0
	s_and_saveexec_b32 s15, s16
	s_cbranch_execz .LBB371_1188
.LBB371_1187:
	v_and_b32_e32 v2, 0xffff, v5
	s_delay_alu instid0(VALU_DEP_1) | instskip(SKIP_1) | instid1(VALU_DEP_2)
	v_and_b32_e32 v3, 3, v2
	v_bfe_u32 v11, v2, 2, 5
	v_clz_i32_u32_e32 v8, v3
	s_delay_alu instid0(VALU_DEP_2) | instskip(NEXT) | instid1(VALU_DEP_2)
	v_cmp_eq_u32_e32 vcc_lo, 0, v11
	v_min_u32_e32 v8, 32, v8
	s_delay_alu instid0(VALU_DEP_1) | instskip(NEXT) | instid1(VALU_DEP_1)
	v_subrev_nc_u32_e32 v9, 29, v8
	v_dual_lshlrev_b32 v2, v9, v2 :: v_dual_sub_nc_u32 v8, 30, v8
	s_delay_alu instid0(VALU_DEP_1) | instskip(NEXT) | instid1(VALU_DEP_2)
	v_dual_lshlrev_b32 v5, 24, v5 :: v_dual_bitop2_b32 v2, 3, v2 bitop3:0x40
	v_cndmask_b32_e32 v8, v11, v8, vcc_lo
	s_delay_alu instid0(VALU_DEP_2) | instskip(NEXT) | instid1(VALU_DEP_3)
	v_cndmask_b32_e32 v2, v3, v2, vcc_lo
	v_and_b32_e32 v3, 0x80000000, v5
	s_delay_alu instid0(VALU_DEP_3) | instskip(NEXT) | instid1(VALU_DEP_3)
	v_lshl_add_u32 v5, v8, 23, 0x37800000
	v_lshlrev_b32_e32 v2, 21, v2
	s_delay_alu instid0(VALU_DEP_1) | instskip(NEXT) | instid1(VALU_DEP_1)
	v_or3_b32 v2, v3, v5, v2
	v_trunc_f32_e32 v2, v2
	s_delay_alu instid0(VALU_DEP_1) | instskip(NEXT) | instid1(VALU_DEP_1)
	v_mul_f32_e32 v3, 0x2f800000, v2
	v_floor_f32_e32 v3, v3
	s_delay_alu instid0(VALU_DEP_1) | instskip(SKIP_1) | instid1(VALU_DEP_2)
	v_fmamk_f32 v2, v3, 0xcf800000, v2
	v_cvt_u32_f32_e32 v3, v3
	v_cvt_u32_f32_e32 v2, v2
.LBB371_1188:
	s_or_b32 exec_lo, exec_lo, s15
	s_mov_b32 s15, 0
	s_branch .LBB371_1194
.LBB371_1189:
	s_mov_b32 s15, -1
                                        ; implicit-def: $vgpr2_vgpr3
	s_branch .LBB371_1200
.LBB371_1190:
	s_and_not1_saveexec_b32 s16, s16
	s_cbranch_execz .LBB371_1176
.LBB371_1191:
	v_cmp_ne_u16_e32 vcc_lo, 0, v5
	s_and_not1_b32 s17, s17, exec_lo
	s_and_b32 s18, vcc_lo, exec_lo
	s_delay_alu instid0(SALU_CYCLE_1)
	s_or_b32 s17, s17, s18
	s_or_b32 exec_lo, exec_lo, s16
	v_mov_b64_e32 v[2:3], 0
	s_and_saveexec_b32 s16, s17
	s_cbranch_execnz .LBB371_1177
	s_branch .LBB371_1178
.LBB371_1192:
	s_mov_b32 s15, -1
                                        ; implicit-def: $vgpr2_vgpr3
	s_branch .LBB371_1197
.LBB371_1193:
	s_mov_b32 s15, -1
                                        ; implicit-def: $vgpr2_vgpr3
.LBB371_1194:
	s_delay_alu instid0(SALU_CYCLE_1)
	s_and_b32 vcc_lo, exec_lo, s15
	s_cbranch_vccz .LBB371_1196
; %bb.1195:
	s_wait_loadcnt 0x0
	global_load_u8 v2, v[6:7], off
	s_wait_loadcnt 0x0
	v_lshlrev_b32_e32 v2, 24, v2
	s_delay_alu instid0(VALU_DEP_1) | instskip(NEXT) | instid1(VALU_DEP_1)
	v_and_b32_e32 v3, 0x7f000000, v2
	v_clz_i32_u32_e32 v5, v3
	v_add_nc_u32_e32 v9, 0x1000000, v3
	v_cmp_ne_u32_e32 vcc_lo, 0, v3
	s_delay_alu instid0(VALU_DEP_3) | instskip(NEXT) | instid1(VALU_DEP_1)
	v_min_u32_e32 v5, 32, v5
	v_sub_nc_u32_e64 v5, v5, 4 clamp
	s_delay_alu instid0(VALU_DEP_1) | instskip(NEXT) | instid1(VALU_DEP_1)
	v_dual_lshlrev_b32 v8, v5, v3 :: v_dual_lshlrev_b32 v5, 23, v5
	v_lshrrev_b32_e32 v8, 4, v8
	s_delay_alu instid0(VALU_DEP_1) | instskip(SKIP_1) | instid1(VALU_DEP_2)
	v_sub_nc_u32_e32 v5, v8, v5
	v_ashrrev_i32_e32 v8, 8, v9
	v_add_nc_u32_e32 v5, 0x3c000000, v5
	s_delay_alu instid0(VALU_DEP_1) | instskip(NEXT) | instid1(VALU_DEP_1)
	v_and_or_b32 v5, 0x7f800000, v8, v5
	v_cndmask_b32_e32 v3, 0, v5, vcc_lo
	s_delay_alu instid0(VALU_DEP_1) | instskip(NEXT) | instid1(VALU_DEP_1)
	v_and_or_b32 v2, 0x80000000, v2, v3
	v_trunc_f32_e32 v2, v2
	s_delay_alu instid0(VALU_DEP_1) | instskip(NEXT) | instid1(VALU_DEP_1)
	v_mul_f32_e32 v3, 0x2f800000, v2
	v_floor_f32_e32 v3, v3
	s_delay_alu instid0(VALU_DEP_1) | instskip(SKIP_1) | instid1(VALU_DEP_2)
	v_fmamk_f32 v2, v3, 0xcf800000, v2
	v_cvt_u32_f32_e32 v3, v3
	v_cvt_u32_f32_e32 v2, v2
.LBB371_1196:
	s_mov_b32 s15, 0
.LBB371_1197:
	s_delay_alu instid0(SALU_CYCLE_1)
	s_and_not1_b32 vcc_lo, exec_lo, s15
	s_cbranch_vccnz .LBB371_1199
; %bb.1198:
	s_wait_loadcnt 0x0
	global_load_u8 v2, v[6:7], off
	s_wait_loadcnt 0x0
	v_lshlrev_b32_e32 v3, 25, v2
	v_lshlrev_b16 v2, 8, v2
	s_delay_alu instid0(VALU_DEP_1) | instskip(SKIP_1) | instid1(VALU_DEP_2)
	v_and_or_b32 v8, 0x7f00, v2, 0.5
	v_bfe_i32 v2, v2, 0, 16
	v_dual_add_f32 v8, -0.5, v8 :: v_dual_lshrrev_b32 v5, 4, v3
	v_cmp_gt_u32_e32 vcc_lo, 0x8000000, v3
	s_delay_alu instid0(VALU_DEP_2) | instskip(NEXT) | instid1(VALU_DEP_1)
	v_or_b32_e32 v5, 0x70000000, v5
	v_mul_f32_e32 v5, 0x7800000, v5
	s_delay_alu instid0(VALU_DEP_1) | instskip(NEXT) | instid1(VALU_DEP_1)
	v_cndmask_b32_e32 v3, v5, v8, vcc_lo
	v_and_or_b32 v2, 0x80000000, v2, v3
	s_delay_alu instid0(VALU_DEP_1) | instskip(NEXT) | instid1(VALU_DEP_1)
	v_trunc_f32_e32 v2, v2
	v_mul_f32_e32 v3, 0x2f800000, v2
	s_delay_alu instid0(VALU_DEP_1) | instskip(NEXT) | instid1(VALU_DEP_1)
	v_floor_f32_e32 v3, v3
	v_fmamk_f32 v2, v3, 0xcf800000, v2
	v_cvt_u32_f32_e32 v3, v3
	s_delay_alu instid0(VALU_DEP_2)
	v_cvt_u32_f32_e32 v2, v2
.LBB371_1199:
	s_mov_b32 s15, 0
	s_mov_b32 s16, -1
.LBB371_1200:
	s_and_not1_b32 vcc_lo, exec_lo, s15
	s_mov_b32 s15, 0
	s_cbranch_vccnz .LBB371_1211
; %bb.1201:
	s_cmp_gt_i32 s0, 14
	s_cbranch_scc0 .LBB371_1204
; %bb.1202:
	s_cmp_eq_u32 s0, 15
	s_cbranch_scc0 .LBB371_1207
; %bb.1203:
	s_wait_loadcnt 0x0
	global_load_u16 v2, v[6:7], off
	s_mov_b32 s13, 0
	s_mov_b32 s16, -1
	s_wait_loadcnt 0x0
	v_lshlrev_b32_e32 v2, 16, v2
	s_delay_alu instid0(VALU_DEP_1) | instskip(NEXT) | instid1(VALU_DEP_1)
	v_trunc_f32_e32 v2, v2
	v_mul_f32_e32 v3, 0x2f800000, v2
	s_delay_alu instid0(VALU_DEP_1) | instskip(NEXT) | instid1(VALU_DEP_1)
	v_floor_f32_e32 v3, v3
	v_fmamk_f32 v2, v3, 0xcf800000, v2
	v_cvt_u32_f32_e32 v3, v3
	s_delay_alu instid0(VALU_DEP_2)
	v_cvt_u32_f32_e32 v2, v2
	s_branch .LBB371_1209
.LBB371_1204:
	s_mov_b32 s15, -1
	s_branch .LBB371_1208
.LBB371_1205:
	s_and_not1_saveexec_b32 s15, s15
	s_cbranch_execz .LBB371_1186
.LBB371_1206:
	v_cmp_ne_u16_e32 vcc_lo, 0, v5
	s_and_not1_b32 s16, s16, exec_lo
	s_and_b32 s17, vcc_lo, exec_lo
	s_delay_alu instid0(SALU_CYCLE_1)
	s_or_b32 s16, s16, s17
	s_or_b32 exec_lo, exec_lo, s15
	v_mov_b64_e32 v[2:3], 0
	s_and_saveexec_b32 s15, s16
	s_cbranch_execnz .LBB371_1187
	s_branch .LBB371_1188
.LBB371_1207:
	s_mov_b32 s13, -1
.LBB371_1208:
                                        ; implicit-def: $vgpr2_vgpr3
.LBB371_1209:
	s_and_b32 vcc_lo, exec_lo, s15
	s_mov_b32 s15, 0
	s_cbranch_vccz .LBB371_1211
; %bb.1210:
	s_cmp_lg_u32 s0, 11
	s_mov_b32 s15, -1
	s_cselect_b32 s13, -1, 0
.LBB371_1211:
	s_delay_alu instid0(SALU_CYCLE_1)
	s_and_b32 vcc_lo, exec_lo, s13
	s_cbranch_vccnz .LBB371_1274
; %bb.1212:
	s_and_not1_b32 vcc_lo, exec_lo, s15
	s_cbranch_vccnz .LBB371_1214
.LBB371_1213:
	s_wait_loadcnt 0x0
	global_load_u8 v2, v[6:7], off
	s_mov_b32 s13, 0
	s_mov_b32 s16, -1
	v_mov_b32_e32 v3, s13
	s_wait_loadcnt 0x0
	v_cmp_ne_u16_e32 vcc_lo, 0, v2
	v_cndmask_b32_e64 v2, 0, 1, vcc_lo
.LBB371_1214:
	s_branch .LBB371_1144
.LBB371_1215:
	s_cmp_lt_i32 s0, 5
	s_cbranch_scc1 .LBB371_1220
; %bb.1216:
	s_cmp_lt_i32 s0, 8
	s_cbranch_scc1 .LBB371_1221
; %bb.1217:
	s_cmp_lt_i32 s0, 9
	s_cbranch_scc1 .LBB371_1222
; %bb.1218:
	s_cmp_gt_i32 s0, 9
	s_cbranch_scc0 .LBB371_1223
; %bb.1219:
	s_wait_loadcnt 0x0
	global_load_b64 v[2:3], v[6:7], off
	s_mov_b32 s13, 0
	s_wait_loadcnt 0x0
	v_trunc_f64_e32 v[2:3], v[2:3]
	s_delay_alu instid0(VALU_DEP_1) | instskip(NEXT) | instid1(VALU_DEP_1)
	v_ldexp_f64 v[8:9], v[2:3], 0xffffffe0
	v_floor_f64_e32 v[8:9], v[8:9]
	s_delay_alu instid0(VALU_DEP_1) | instskip(SKIP_1) | instid1(VALU_DEP_2)
	v_fmamk_f64 v[12:13], v[8:9], 0xc1f00000, v[2:3]
	v_cvt_u32_f64_e32 v3, v[8:9]
	v_cvt_u32_f64_e32 v2, v[12:13]
	s_branch .LBB371_1224
.LBB371_1220:
                                        ; implicit-def: $vgpr2_vgpr3
	s_branch .LBB371_1242
.LBB371_1221:
	s_mov_b32 s13, -1
                                        ; implicit-def: $vgpr2_vgpr3
	s_branch .LBB371_1230
.LBB371_1222:
	s_mov_b32 s13, -1
                                        ; implicit-def: $vgpr2_vgpr3
	s_branch .LBB371_1227
.LBB371_1223:
	s_mov_b32 s13, -1
                                        ; implicit-def: $vgpr2_vgpr3
.LBB371_1224:
	s_delay_alu instid0(SALU_CYCLE_1)
	s_and_not1_b32 vcc_lo, exec_lo, s13
	s_cbranch_vccnz .LBB371_1226
; %bb.1225:
	s_wait_loadcnt 0x0
	global_load_b32 v2, v[6:7], off
	s_wait_loadcnt 0x0
	v_trunc_f32_e32 v2, v2
	s_delay_alu instid0(VALU_DEP_1) | instskip(NEXT) | instid1(VALU_DEP_1)
	v_mul_f32_e32 v3, 0x2f800000, v2
	v_floor_f32_e32 v3, v3
	s_delay_alu instid0(VALU_DEP_1) | instskip(SKIP_1) | instid1(VALU_DEP_2)
	v_fmamk_f32 v2, v3, 0xcf800000, v2
	v_cvt_u32_f32_e32 v3, v3
	v_cvt_u32_f32_e32 v2, v2
.LBB371_1226:
	s_mov_b32 s13, 0
.LBB371_1227:
	s_delay_alu instid0(SALU_CYCLE_1)
	s_and_not1_b32 vcc_lo, exec_lo, s13
	s_cbranch_vccnz .LBB371_1229
; %bb.1228:
	s_wait_loadcnt 0x0
	global_load_b32 v2, v[6:7], off
	v_mov_b32_e32 v3, 0
	s_wait_loadcnt 0x0
	v_cvt_f32_f16_e32 v2, v2
	s_delay_alu instid0(VALU_DEP_1)
	v_cvt_u32_f32_e32 v2, v2
.LBB371_1229:
	s_mov_b32 s13, 0
.LBB371_1230:
	s_delay_alu instid0(SALU_CYCLE_1)
	s_and_not1_b32 vcc_lo, exec_lo, s13
	s_cbranch_vccnz .LBB371_1241
; %bb.1231:
	s_cmp_lt_i32 s0, 6
	s_cbranch_scc1 .LBB371_1234
; %bb.1232:
	s_cmp_gt_i32 s0, 6
	s_cbranch_scc0 .LBB371_1235
; %bb.1233:
	s_wait_loadcnt 0x0
	global_load_b64 v[2:3], v[6:7], off
	s_mov_b32 s13, 0
	s_wait_loadcnt 0x0
	v_trunc_f64_e32 v[2:3], v[2:3]
	s_delay_alu instid0(VALU_DEP_1) | instskip(NEXT) | instid1(VALU_DEP_1)
	v_ldexp_f64 v[8:9], v[2:3], 0xffffffe0
	v_floor_f64_e32 v[8:9], v[8:9]
	s_delay_alu instid0(VALU_DEP_1) | instskip(SKIP_1) | instid1(VALU_DEP_2)
	v_fmamk_f64 v[12:13], v[8:9], 0xc1f00000, v[2:3]
	v_cvt_u32_f64_e32 v3, v[8:9]
	v_cvt_u32_f64_e32 v2, v[12:13]
	s_branch .LBB371_1236
.LBB371_1234:
	s_mov_b32 s13, -1
                                        ; implicit-def: $vgpr2_vgpr3
	s_branch .LBB371_1239
.LBB371_1235:
	s_mov_b32 s13, -1
                                        ; implicit-def: $vgpr2_vgpr3
.LBB371_1236:
	s_delay_alu instid0(SALU_CYCLE_1)
	s_and_not1_b32 vcc_lo, exec_lo, s13
	s_cbranch_vccnz .LBB371_1238
; %bb.1237:
	s_wait_loadcnt 0x0
	global_load_b32 v2, v[6:7], off
	s_wait_loadcnt 0x0
	v_trunc_f32_e32 v2, v2
	s_delay_alu instid0(VALU_DEP_1) | instskip(NEXT) | instid1(VALU_DEP_1)
	v_mul_f32_e32 v3, 0x2f800000, v2
	v_floor_f32_e32 v3, v3
	s_delay_alu instid0(VALU_DEP_1) | instskip(SKIP_1) | instid1(VALU_DEP_2)
	v_fmamk_f32 v2, v3, 0xcf800000, v2
	v_cvt_u32_f32_e32 v3, v3
	v_cvt_u32_f32_e32 v2, v2
.LBB371_1238:
	s_mov_b32 s13, 0
.LBB371_1239:
	s_delay_alu instid0(SALU_CYCLE_1)
	s_and_not1_b32 vcc_lo, exec_lo, s13
	s_cbranch_vccnz .LBB371_1241
; %bb.1240:
	s_wait_loadcnt 0x0
	global_load_u16 v2, v[6:7], off
	v_mov_b32_e32 v3, 0
	s_wait_loadcnt 0x0
	v_cvt_f32_f16_e32 v2, v2
	s_delay_alu instid0(VALU_DEP_1)
	v_cvt_u32_f32_e32 v2, v2
.LBB371_1241:
	s_cbranch_execnz .LBB371_1261
.LBB371_1242:
	s_cmp_lt_i32 s0, 2
	s_cbranch_scc1 .LBB371_1246
; %bb.1243:
	s_cmp_lt_i32 s0, 3
	s_cbranch_scc1 .LBB371_1247
; %bb.1244:
	s_cmp_gt_i32 s0, 3
	s_cbranch_scc0 .LBB371_1248
; %bb.1245:
	s_wait_loadcnt 0x0
	global_load_b64 v[2:3], v[6:7], off
	s_mov_b32 s13, 0
	s_branch .LBB371_1249
.LBB371_1246:
	s_mov_b32 s13, -1
                                        ; implicit-def: $vgpr2_vgpr3
	s_branch .LBB371_1255
.LBB371_1247:
	s_mov_b32 s13, -1
                                        ; implicit-def: $vgpr2_vgpr3
	s_branch .LBB371_1252
.LBB371_1248:
	s_mov_b32 s13, -1
                                        ; implicit-def: $vgpr2_vgpr3
.LBB371_1249:
	s_delay_alu instid0(SALU_CYCLE_1)
	s_and_not1_b32 vcc_lo, exec_lo, s13
	s_cbranch_vccnz .LBB371_1251
; %bb.1250:
	s_wait_loadcnt 0x0
	global_load_b32 v2, v[6:7], off
	s_wait_loadcnt 0x0
	v_ashrrev_i32_e32 v3, 31, v2
.LBB371_1251:
	s_mov_b32 s13, 0
.LBB371_1252:
	s_delay_alu instid0(SALU_CYCLE_1)
	s_and_not1_b32 vcc_lo, exec_lo, s13
	s_cbranch_vccnz .LBB371_1254
; %bb.1253:
	s_wait_loadcnt 0x0
	global_load_u16 v2, v[6:7], off
	s_wait_loadcnt 0x0
	v_bfe_i32 v2, v2, 0, 16
	s_delay_alu instid0(VALU_DEP_1)
	v_ashrrev_i32_e32 v3, 31, v2
.LBB371_1254:
	s_mov_b32 s13, 0
.LBB371_1255:
	s_delay_alu instid0(SALU_CYCLE_1)
	s_and_not1_b32 vcc_lo, exec_lo, s13
	s_cbranch_vccnz .LBB371_1261
; %bb.1256:
	s_cmp_gt_i32 s0, 0
	s_mov_b32 s13, 0
	s_cbranch_scc0 .LBB371_1258
; %bb.1257:
	s_wait_loadcnt 0x0
	global_load_i8 v2, v[6:7], off
	s_wait_loadcnt 0x0
	v_bfe_i32 v2, v2, 0, 16
	s_delay_alu instid0(VALU_DEP_1)
	v_ashrrev_i32_e32 v3, 31, v2
	s_branch .LBB371_1259
.LBB371_1258:
	s_mov_b32 s13, -1
                                        ; implicit-def: $vgpr2_vgpr3
.LBB371_1259:
	s_delay_alu instid0(SALU_CYCLE_1)
	s_and_not1_b32 vcc_lo, exec_lo, s13
	s_cbranch_vccnz .LBB371_1261
; %bb.1260:
	s_wait_loadcnt 0x0
	global_load_u8 v2, v[6:7], off
	s_mov_b32 s13, 0
	s_delay_alu instid0(SALU_CYCLE_1)
	v_mov_b32_e32 v3, s13
	s_wait_loadcnt 0x0
	v_and_b32_e32 v2, 0xffff, v2
.LBB371_1261:
.LBB371_1262:
	s_wait_xcnt 0x0
	v_add_nc_u32_e32 v6, s2, v4
	s_cmp_lt_i32 s0, 11
	s_delay_alu instid0(VALU_DEP_1) | instskip(NEXT) | instid1(VALU_DEP_1)
	v_ashrrev_i32_e32 v7, 31, v6
	v_add_nc_u64_e32 v[8:9], s[6:7], v[6:7]
	s_cbranch_scc1 .LBB371_1269
; %bb.1263:
	s_cmp_gt_i32 s0, 25
	s_mov_b32 s15, 0
	s_cbranch_scc0 .LBB371_1271
; %bb.1264:
	s_cmp_gt_i32 s0, 28
	s_cbranch_scc0 .LBB371_1272
; %bb.1265:
	s_cmp_gt_i32 s0, 43
	;; [unrolled: 3-line block ×3, first 2 shown]
	s_cbranch_scc0 .LBB371_1275
; %bb.1267:
	s_cmp_eq_u32 s0, 46
	s_mov_b32 s17, 0
	s_cbranch_scc0 .LBB371_1276
; %bb.1268:
	global_load_b32 v4, v[8:9], off
	s_mov_b32 s13, 0
	s_mov_b32 s16, -1
	s_wait_loadcnt 0x0
	v_lshlrev_b32_e32 v4, 16, v4
	s_delay_alu instid0(VALU_DEP_1) | instskip(NEXT) | instid1(VALU_DEP_1)
	v_trunc_f32_e32 v4, v4
	v_mul_f32_e32 v5, 0x2f800000, v4
	s_delay_alu instid0(VALU_DEP_1) | instskip(NEXT) | instid1(VALU_DEP_1)
	v_floor_f32_e32 v5, v5
	v_fmamk_f32 v4, v5, 0xcf800000, v4
	v_cvt_u32_f32_e32 v5, v5
	s_delay_alu instid0(VALU_DEP_2)
	v_cvt_u32_f32_e32 v4, v4
	s_branch .LBB371_1278
.LBB371_1269:
	s_mov_b32 s16, 0
                                        ; implicit-def: $vgpr4_vgpr5
	s_cbranch_execnz .LBB371_1340
.LBB371_1270:
	s_and_not1_b32 vcc_lo, exec_lo, s16
	s_cbranch_vccnz .LBB371_1947
	s_branch .LBB371_1388
.LBB371_1271:
	s_mov_b32 s17, -1
	s_mov_b32 s16, 0
	s_mov_b32 s13, 0
                                        ; implicit-def: $vgpr4_vgpr5
	s_branch .LBB371_1305
.LBB371_1272:
	s_mov_b32 s17, -1
	s_mov_b32 s16, 0
	s_mov_b32 s13, 0
                                        ; implicit-def: $vgpr4_vgpr5
	s_branch .LBB371_1288
.LBB371_1273:
	s_mov_b32 s17, -1
	s_mov_b32 s16, 0
	s_mov_b32 s13, 0
                                        ; implicit-def: $vgpr4_vgpr5
	s_branch .LBB371_1283
.LBB371_1274:
	s_or_b32 s1, s1, exec_lo
	s_trap 2
	s_cbranch_execz .LBB371_1213
	s_branch .LBB371_1214
.LBB371_1275:
	s_mov_b32 s17, -1
	s_mov_b32 s16, 0
	s_mov_b32 s13, 0
	s_branch .LBB371_1277
.LBB371_1276:
	s_mov_b32 s13, -1
	s_mov_b32 s16, 0
.LBB371_1277:
                                        ; implicit-def: $vgpr4_vgpr5
.LBB371_1278:
	s_and_b32 vcc_lo, exec_lo, s17
	s_cbranch_vccz .LBB371_1282
; %bb.1279:
	s_cmp_eq_u32 s0, 44
	s_cbranch_scc0 .LBB371_1281
; %bb.1280:
	global_load_u8 v4, v[8:9], off
	s_mov_b32 s13, 0
	s_mov_b32 s16, -1
	s_wait_loadcnt 0x0
	v_cmp_ne_u32_e32 vcc_lo, 0, v4
	v_lshlrev_b32_e32 v5, 23, v4
	s_delay_alu instid0(VALU_DEP_1) | instskip(NEXT) | instid1(VALU_DEP_1)
	v_trunc_f32_e32 v5, v5
	v_mul_f32_e32 v7, 0x2f800000, v5
	s_delay_alu instid0(VALU_DEP_1) | instskip(NEXT) | instid1(VALU_DEP_1)
	v_floor_f32_e32 v7, v7
	v_fmamk_f32 v5, v7, 0xcf800000, v5
	v_cvt_u32_f32_e32 v7, v7
	s_delay_alu instid0(VALU_DEP_2) | instskip(NEXT) | instid1(VALU_DEP_2)
	v_cvt_u32_f32_e32 v11, v5
	v_cndmask_b32_e32 v5, 0, v7, vcc_lo
	s_delay_alu instid0(VALU_DEP_2)
	v_cndmask_b32_e32 v4, 0, v11, vcc_lo
	s_branch .LBB371_1282
.LBB371_1281:
	s_mov_b32 s13, -1
                                        ; implicit-def: $vgpr4_vgpr5
.LBB371_1282:
	s_mov_b32 s17, 0
.LBB371_1283:
	s_delay_alu instid0(SALU_CYCLE_1)
	s_and_b32 vcc_lo, exec_lo, s17
	s_cbranch_vccz .LBB371_1287
; %bb.1284:
	s_cmp_eq_u32 s0, 29
	s_cbranch_scc0 .LBB371_1286
; %bb.1285:
	global_load_b64 v[4:5], v[8:9], off
	s_mov_b32 s13, 0
	s_mov_b32 s16, -1
	s_branch .LBB371_1287
.LBB371_1286:
	s_mov_b32 s13, -1
                                        ; implicit-def: $vgpr4_vgpr5
.LBB371_1287:
	s_mov_b32 s17, 0
.LBB371_1288:
	s_delay_alu instid0(SALU_CYCLE_1)
	s_and_b32 vcc_lo, exec_lo, s17
	s_cbranch_vccz .LBB371_1304
; %bb.1289:
	s_cmp_lt_i32 s0, 27
	s_cbranch_scc1 .LBB371_1292
; %bb.1290:
	s_cmp_gt_i32 s0, 27
	s_cbranch_scc0 .LBB371_1293
; %bb.1291:
	s_wait_loadcnt 0x0
	global_load_b32 v4, v[8:9], off
	v_mov_b32_e32 v5, 0
	s_mov_b32 s16, 0
	s_branch .LBB371_1294
.LBB371_1292:
	s_mov_b32 s16, -1
                                        ; implicit-def: $vgpr4_vgpr5
	s_branch .LBB371_1297
.LBB371_1293:
	s_mov_b32 s16, -1
                                        ; implicit-def: $vgpr4_vgpr5
.LBB371_1294:
	s_delay_alu instid0(SALU_CYCLE_1)
	s_and_not1_b32 vcc_lo, exec_lo, s16
	s_cbranch_vccnz .LBB371_1296
; %bb.1295:
	s_wait_loadcnt 0x0
	global_load_u16 v4, v[8:9], off
	s_mov_b32 s16, 0
	s_delay_alu instid0(SALU_CYCLE_1)
	v_mov_b32_e32 v5, s16
	s_wait_loadcnt 0x0
	v_and_b32_e32 v4, 0xffff, v4
.LBB371_1296:
	s_mov_b32 s16, 0
.LBB371_1297:
	s_delay_alu instid0(SALU_CYCLE_1)
	s_and_not1_b32 vcc_lo, exec_lo, s16
	s_cbranch_vccnz .LBB371_1303
; %bb.1298:
	global_load_u8 v7, v[8:9], off
	s_mov_b32 s17, 0
	s_mov_b32 s16, exec_lo
	s_wait_loadcnt 0x0
	v_cmpx_lt_i16_e32 0x7f, v7
	s_xor_b32 s16, exec_lo, s16
	s_cbranch_execz .LBB371_1315
; %bb.1299:
	v_cmp_ne_u16_e32 vcc_lo, 0x80, v7
	s_and_b32 s17, vcc_lo, exec_lo
	s_and_not1_saveexec_b32 s16, s16
	s_cbranch_execnz .LBB371_1316
.LBB371_1300:
	s_or_b32 exec_lo, exec_lo, s16
	v_mov_b64_e32 v[4:5], 0
	s_and_saveexec_b32 s16, s17
	s_cbranch_execz .LBB371_1302
.LBB371_1301:
	v_and_b32_e32 v4, 0xffff, v7
	s_delay_alu instid0(VALU_DEP_1) | instskip(SKIP_1) | instid1(VALU_DEP_2)
	v_and_b32_e32 v5, 7, v4
	v_bfe_u32 v13, v4, 3, 4
	v_clz_i32_u32_e32 v11, v5
	s_delay_alu instid0(VALU_DEP_2) | instskip(NEXT) | instid1(VALU_DEP_2)
	v_cmp_eq_u32_e32 vcc_lo, 0, v13
	v_min_u32_e32 v11, 32, v11
	s_delay_alu instid0(VALU_DEP_1) | instskip(NEXT) | instid1(VALU_DEP_1)
	v_subrev_nc_u32_e32 v12, 28, v11
	v_dual_lshlrev_b32 v4, v12, v4 :: v_dual_sub_nc_u32 v11, 29, v11
	s_delay_alu instid0(VALU_DEP_1) | instskip(NEXT) | instid1(VALU_DEP_1)
	v_dual_lshlrev_b32 v7, 24, v7 :: v_dual_bitop2_b32 v4, 7, v4 bitop3:0x40
	v_cndmask_b32_e32 v4, v5, v4, vcc_lo
	s_delay_alu instid0(VALU_DEP_3) | instskip(NEXT) | instid1(VALU_DEP_3)
	v_cndmask_b32_e32 v11, v13, v11, vcc_lo
	v_and_b32_e32 v5, 0x80000000, v7
	s_delay_alu instid0(VALU_DEP_3) | instskip(NEXT) | instid1(VALU_DEP_3)
	v_lshlrev_b32_e32 v4, 20, v4
	v_lshl_add_u32 v7, v11, 23, 0x3b800000
	s_delay_alu instid0(VALU_DEP_1) | instskip(NEXT) | instid1(VALU_DEP_1)
	v_or3_b32 v4, v5, v7, v4
	v_trunc_f32_e32 v4, v4
	s_delay_alu instid0(VALU_DEP_1) | instskip(NEXT) | instid1(VALU_DEP_1)
	v_mul_f32_e32 v5, 0x2f800000, v4
	v_floor_f32_e32 v5, v5
	s_delay_alu instid0(VALU_DEP_1) | instskip(SKIP_1) | instid1(VALU_DEP_2)
	v_fmamk_f32 v4, v5, 0xcf800000, v4
	v_cvt_u32_f32_e32 v5, v5
	v_cvt_u32_f32_e32 v4, v4
.LBB371_1302:
	s_or_b32 exec_lo, exec_lo, s16
.LBB371_1303:
	s_mov_b32 s16, -1
.LBB371_1304:
	s_mov_b32 s17, 0
.LBB371_1305:
	s_delay_alu instid0(SALU_CYCLE_1)
	s_and_b32 vcc_lo, exec_lo, s17
	s_cbranch_vccz .LBB371_1336
; %bb.1306:
	s_cmp_gt_i32 s0, 22
	s_cbranch_scc0 .LBB371_1314
; %bb.1307:
	s_cmp_lt_i32 s0, 24
	s_cbranch_scc1 .LBB371_1317
; %bb.1308:
	s_cmp_gt_i32 s0, 24
	s_cbranch_scc0 .LBB371_1318
; %bb.1309:
	global_load_u8 v7, v[8:9], off
	s_mov_b32 s16, 0
	s_mov_b32 s15, exec_lo
	s_wait_loadcnt 0x0
	v_cmpx_lt_i16_e32 0x7f, v7
	s_xor_b32 s15, exec_lo, s15
	s_cbranch_execz .LBB371_1330
; %bb.1310:
	v_cmp_ne_u16_e32 vcc_lo, 0x80, v7
	s_and_b32 s16, vcc_lo, exec_lo
	s_and_not1_saveexec_b32 s15, s15
	s_cbranch_execnz .LBB371_1331
.LBB371_1311:
	s_or_b32 exec_lo, exec_lo, s15
	v_mov_b64_e32 v[4:5], 0
	s_and_saveexec_b32 s15, s16
	s_cbranch_execz .LBB371_1313
.LBB371_1312:
	v_and_b32_e32 v4, 0xffff, v7
	s_delay_alu instid0(VALU_DEP_1) | instskip(SKIP_1) | instid1(VALU_DEP_2)
	v_and_b32_e32 v5, 3, v4
	v_bfe_u32 v13, v4, 2, 5
	v_clz_i32_u32_e32 v11, v5
	s_delay_alu instid0(VALU_DEP_2) | instskip(NEXT) | instid1(VALU_DEP_2)
	v_cmp_eq_u32_e32 vcc_lo, 0, v13
	v_min_u32_e32 v11, 32, v11
	s_delay_alu instid0(VALU_DEP_1) | instskip(NEXT) | instid1(VALU_DEP_1)
	v_subrev_nc_u32_e32 v12, 29, v11
	v_dual_lshlrev_b32 v4, v12, v4 :: v_dual_sub_nc_u32 v11, 30, v11
	s_delay_alu instid0(VALU_DEP_1) | instskip(NEXT) | instid1(VALU_DEP_1)
	v_dual_lshlrev_b32 v7, 24, v7 :: v_dual_bitop2_b32 v4, 3, v4 bitop3:0x40
	v_cndmask_b32_e32 v4, v5, v4, vcc_lo
	s_delay_alu instid0(VALU_DEP_3) | instskip(NEXT) | instid1(VALU_DEP_3)
	v_cndmask_b32_e32 v11, v13, v11, vcc_lo
	v_and_b32_e32 v5, 0x80000000, v7
	s_delay_alu instid0(VALU_DEP_3) | instskip(NEXT) | instid1(VALU_DEP_3)
	v_lshlrev_b32_e32 v4, 21, v4
	v_lshl_add_u32 v7, v11, 23, 0x37800000
	s_delay_alu instid0(VALU_DEP_1) | instskip(NEXT) | instid1(VALU_DEP_1)
	v_or3_b32 v4, v5, v7, v4
	v_trunc_f32_e32 v4, v4
	s_delay_alu instid0(VALU_DEP_1) | instskip(NEXT) | instid1(VALU_DEP_1)
	v_mul_f32_e32 v5, 0x2f800000, v4
	v_floor_f32_e32 v5, v5
	s_delay_alu instid0(VALU_DEP_1) | instskip(SKIP_1) | instid1(VALU_DEP_2)
	v_fmamk_f32 v4, v5, 0xcf800000, v4
	v_cvt_u32_f32_e32 v5, v5
	v_cvt_u32_f32_e32 v4, v4
.LBB371_1313:
	s_or_b32 exec_lo, exec_lo, s15
	s_mov_b32 s15, 0
	s_branch .LBB371_1319
.LBB371_1314:
	s_mov_b32 s15, -1
                                        ; implicit-def: $vgpr4_vgpr5
	s_branch .LBB371_1325
.LBB371_1315:
	s_and_not1_saveexec_b32 s16, s16
	s_cbranch_execz .LBB371_1300
.LBB371_1316:
	v_cmp_ne_u16_e32 vcc_lo, 0, v7
	s_and_not1_b32 s17, s17, exec_lo
	s_and_b32 s18, vcc_lo, exec_lo
	s_delay_alu instid0(SALU_CYCLE_1)
	s_or_b32 s17, s17, s18
	s_or_b32 exec_lo, exec_lo, s16
	v_mov_b64_e32 v[4:5], 0
	s_and_saveexec_b32 s16, s17
	s_cbranch_execnz .LBB371_1301
	s_branch .LBB371_1302
.LBB371_1317:
	s_mov_b32 s15, -1
                                        ; implicit-def: $vgpr4_vgpr5
	s_branch .LBB371_1322
.LBB371_1318:
	s_mov_b32 s15, -1
                                        ; implicit-def: $vgpr4_vgpr5
.LBB371_1319:
	s_delay_alu instid0(SALU_CYCLE_1)
	s_and_b32 vcc_lo, exec_lo, s15
	s_cbranch_vccz .LBB371_1321
; %bb.1320:
	s_wait_loadcnt 0x0
	global_load_u8 v4, v[8:9], off
	s_wait_loadcnt 0x0
	v_lshlrev_b32_e32 v4, 24, v4
	s_delay_alu instid0(VALU_DEP_1) | instskip(NEXT) | instid1(VALU_DEP_1)
	v_and_b32_e32 v5, 0x7f000000, v4
	v_clz_i32_u32_e32 v7, v5
	v_cmp_ne_u32_e32 vcc_lo, 0, v5
	v_add_nc_u32_e32 v12, 0x1000000, v5
	s_delay_alu instid0(VALU_DEP_3) | instskip(NEXT) | instid1(VALU_DEP_1)
	v_min_u32_e32 v7, 32, v7
	v_sub_nc_u32_e64 v7, v7, 4 clamp
	s_delay_alu instid0(VALU_DEP_1) | instskip(NEXT) | instid1(VALU_DEP_1)
	v_dual_lshlrev_b32 v11, v7, v5 :: v_dual_lshlrev_b32 v7, 23, v7
	v_lshrrev_b32_e32 v11, 4, v11
	s_delay_alu instid0(VALU_DEP_1) | instskip(NEXT) | instid1(VALU_DEP_1)
	v_dual_sub_nc_u32 v7, v11, v7 :: v_dual_ashrrev_i32 v11, 8, v12
	v_add_nc_u32_e32 v7, 0x3c000000, v7
	s_delay_alu instid0(VALU_DEP_1) | instskip(NEXT) | instid1(VALU_DEP_1)
	v_and_or_b32 v7, 0x7f800000, v11, v7
	v_cndmask_b32_e32 v5, 0, v7, vcc_lo
	s_delay_alu instid0(VALU_DEP_1) | instskip(NEXT) | instid1(VALU_DEP_1)
	v_and_or_b32 v4, 0x80000000, v4, v5
	v_trunc_f32_e32 v4, v4
	s_delay_alu instid0(VALU_DEP_1) | instskip(NEXT) | instid1(VALU_DEP_1)
	v_mul_f32_e32 v5, 0x2f800000, v4
	v_floor_f32_e32 v5, v5
	s_delay_alu instid0(VALU_DEP_1) | instskip(SKIP_1) | instid1(VALU_DEP_2)
	v_fmamk_f32 v4, v5, 0xcf800000, v4
	v_cvt_u32_f32_e32 v5, v5
	v_cvt_u32_f32_e32 v4, v4
.LBB371_1321:
	s_mov_b32 s15, 0
.LBB371_1322:
	s_delay_alu instid0(SALU_CYCLE_1)
	s_and_not1_b32 vcc_lo, exec_lo, s15
	s_cbranch_vccnz .LBB371_1324
; %bb.1323:
	s_wait_loadcnt 0x0
	global_load_u8 v4, v[8:9], off
	s_wait_loadcnt 0x0
	v_lshlrev_b32_e32 v5, 25, v4
	v_lshlrev_b16 v4, 8, v4
	s_delay_alu instid0(VALU_DEP_1) | instskip(SKIP_1) | instid1(VALU_DEP_2)
	v_and_or_b32 v11, 0x7f00, v4, 0.5
	v_bfe_i32 v4, v4, 0, 16
	v_dual_add_f32 v11, -0.5, v11 :: v_dual_lshrrev_b32 v7, 4, v5
	v_cmp_gt_u32_e32 vcc_lo, 0x8000000, v5
	s_delay_alu instid0(VALU_DEP_2) | instskip(NEXT) | instid1(VALU_DEP_1)
	v_or_b32_e32 v7, 0x70000000, v7
	v_mul_f32_e32 v7, 0x7800000, v7
	s_delay_alu instid0(VALU_DEP_1) | instskip(NEXT) | instid1(VALU_DEP_1)
	v_cndmask_b32_e32 v5, v7, v11, vcc_lo
	v_and_or_b32 v4, 0x80000000, v4, v5
	s_delay_alu instid0(VALU_DEP_1) | instskip(NEXT) | instid1(VALU_DEP_1)
	v_trunc_f32_e32 v4, v4
	v_mul_f32_e32 v5, 0x2f800000, v4
	s_delay_alu instid0(VALU_DEP_1) | instskip(NEXT) | instid1(VALU_DEP_1)
	v_floor_f32_e32 v5, v5
	v_fmamk_f32 v4, v5, 0xcf800000, v4
	v_cvt_u32_f32_e32 v5, v5
	s_delay_alu instid0(VALU_DEP_2)
	v_cvt_u32_f32_e32 v4, v4
.LBB371_1324:
	s_mov_b32 s15, 0
	s_mov_b32 s16, -1
.LBB371_1325:
	s_and_not1_b32 vcc_lo, exec_lo, s15
	s_mov_b32 s15, 0
	s_cbranch_vccnz .LBB371_1336
; %bb.1326:
	s_cmp_gt_i32 s0, 14
	s_cbranch_scc0 .LBB371_1329
; %bb.1327:
	s_cmp_eq_u32 s0, 15
	s_cbranch_scc0 .LBB371_1332
; %bb.1328:
	s_wait_loadcnt 0x0
	global_load_u16 v4, v[8:9], off
	s_mov_b32 s13, 0
	s_mov_b32 s16, -1
	s_wait_loadcnt 0x0
	v_lshlrev_b32_e32 v4, 16, v4
	s_delay_alu instid0(VALU_DEP_1) | instskip(NEXT) | instid1(VALU_DEP_1)
	v_trunc_f32_e32 v4, v4
	v_mul_f32_e32 v5, 0x2f800000, v4
	s_delay_alu instid0(VALU_DEP_1) | instskip(NEXT) | instid1(VALU_DEP_1)
	v_floor_f32_e32 v5, v5
	v_fmamk_f32 v4, v5, 0xcf800000, v4
	v_cvt_u32_f32_e32 v5, v5
	s_delay_alu instid0(VALU_DEP_2)
	v_cvt_u32_f32_e32 v4, v4
	s_branch .LBB371_1334
.LBB371_1329:
	s_mov_b32 s15, -1
	s_branch .LBB371_1333
.LBB371_1330:
	s_and_not1_saveexec_b32 s15, s15
	s_cbranch_execz .LBB371_1311
.LBB371_1331:
	v_cmp_ne_u16_e32 vcc_lo, 0, v7
	s_and_not1_b32 s16, s16, exec_lo
	s_and_b32 s17, vcc_lo, exec_lo
	s_delay_alu instid0(SALU_CYCLE_1)
	s_or_b32 s16, s16, s17
	s_or_b32 exec_lo, exec_lo, s15
	v_mov_b64_e32 v[4:5], 0
	s_and_saveexec_b32 s15, s16
	s_cbranch_execnz .LBB371_1312
	s_branch .LBB371_1313
.LBB371_1332:
	s_mov_b32 s13, -1
.LBB371_1333:
                                        ; implicit-def: $vgpr4_vgpr5
.LBB371_1334:
	s_and_b32 vcc_lo, exec_lo, s15
	s_mov_b32 s15, 0
	s_cbranch_vccz .LBB371_1336
; %bb.1335:
	s_cmp_lg_u32 s0, 11
	s_mov_b32 s15, -1
	s_cselect_b32 s13, -1, 0
.LBB371_1336:
	s_delay_alu instid0(SALU_CYCLE_1)
	s_and_b32 vcc_lo, exec_lo, s13
	s_cbranch_vccnz .LBB371_1399
; %bb.1337:
	s_and_not1_b32 vcc_lo, exec_lo, s15
	s_cbranch_vccnz .LBB371_1339
.LBB371_1338:
	s_wait_loadcnt 0x0
	global_load_u8 v4, v[8:9], off
	s_mov_b32 s13, 0
	s_mov_b32 s16, -1
	v_mov_b32_e32 v5, s13
	s_wait_loadcnt 0x0
	v_cmp_ne_u16_e32 vcc_lo, 0, v4
	v_cndmask_b32_e64 v4, 0, 1, vcc_lo
.LBB371_1339:
	s_branch .LBB371_1270
.LBB371_1340:
	s_cmp_lt_i32 s0, 5
	s_cbranch_scc1 .LBB371_1345
; %bb.1341:
	s_cmp_lt_i32 s0, 8
	s_cbranch_scc1 .LBB371_1346
; %bb.1342:
	;; [unrolled: 3-line block ×3, first 2 shown]
	s_cmp_gt_i32 s0, 9
	s_cbranch_scc0 .LBB371_1348
; %bb.1344:
	s_wait_loadcnt 0x0
	global_load_b64 v[4:5], v[8:9], off
	s_mov_b32 s13, 0
	s_wait_loadcnt 0x0
	v_trunc_f64_e32 v[4:5], v[4:5]
	s_delay_alu instid0(VALU_DEP_1) | instskip(NEXT) | instid1(VALU_DEP_1)
	v_ldexp_f64 v[12:13], v[4:5], 0xffffffe0
	v_floor_f64_e32 v[12:13], v[12:13]
	s_delay_alu instid0(VALU_DEP_1) | instskip(SKIP_1) | instid1(VALU_DEP_2)
	v_fmamk_f64 v[14:15], v[12:13], 0xc1f00000, v[4:5]
	v_cvt_u32_f64_e32 v5, v[12:13]
	v_cvt_u32_f64_e32 v4, v[14:15]
	s_branch .LBB371_1349
.LBB371_1345:
	s_mov_b32 s13, -1
                                        ; implicit-def: $vgpr4_vgpr5
	s_branch .LBB371_1367
.LBB371_1346:
	s_mov_b32 s13, -1
                                        ; implicit-def: $vgpr4_vgpr5
	s_branch .LBB371_1355
.LBB371_1347:
	s_mov_b32 s13, -1
                                        ; implicit-def: $vgpr4_vgpr5
	s_branch .LBB371_1352
.LBB371_1348:
	s_mov_b32 s13, -1
                                        ; implicit-def: $vgpr4_vgpr5
.LBB371_1349:
	s_delay_alu instid0(SALU_CYCLE_1)
	s_and_not1_b32 vcc_lo, exec_lo, s13
	s_cbranch_vccnz .LBB371_1351
; %bb.1350:
	s_wait_loadcnt 0x0
	global_load_b32 v4, v[8:9], off
	s_wait_loadcnt 0x0
	v_trunc_f32_e32 v4, v4
	s_delay_alu instid0(VALU_DEP_1) | instskip(NEXT) | instid1(VALU_DEP_1)
	v_mul_f32_e32 v5, 0x2f800000, v4
	v_floor_f32_e32 v5, v5
	s_delay_alu instid0(VALU_DEP_1) | instskip(SKIP_1) | instid1(VALU_DEP_2)
	v_fmamk_f32 v4, v5, 0xcf800000, v4
	v_cvt_u32_f32_e32 v5, v5
	v_cvt_u32_f32_e32 v4, v4
.LBB371_1351:
	s_mov_b32 s13, 0
.LBB371_1352:
	s_delay_alu instid0(SALU_CYCLE_1)
	s_and_not1_b32 vcc_lo, exec_lo, s13
	s_cbranch_vccnz .LBB371_1354
; %bb.1353:
	s_wait_loadcnt 0x0
	global_load_b32 v4, v[8:9], off
	v_mov_b32_e32 v5, 0
	s_wait_loadcnt 0x0
	v_cvt_f32_f16_e32 v4, v4
	s_delay_alu instid0(VALU_DEP_1)
	v_cvt_u32_f32_e32 v4, v4
.LBB371_1354:
	s_mov_b32 s13, 0
.LBB371_1355:
	s_delay_alu instid0(SALU_CYCLE_1)
	s_and_not1_b32 vcc_lo, exec_lo, s13
	s_cbranch_vccnz .LBB371_1366
; %bb.1356:
	s_cmp_lt_i32 s0, 6
	s_cbranch_scc1 .LBB371_1359
; %bb.1357:
	s_cmp_gt_i32 s0, 6
	s_cbranch_scc0 .LBB371_1360
; %bb.1358:
	s_wait_loadcnt 0x0
	global_load_b64 v[4:5], v[8:9], off
	s_mov_b32 s13, 0
	s_wait_loadcnt 0x0
	v_trunc_f64_e32 v[4:5], v[4:5]
	s_delay_alu instid0(VALU_DEP_1) | instskip(NEXT) | instid1(VALU_DEP_1)
	v_ldexp_f64 v[12:13], v[4:5], 0xffffffe0
	v_floor_f64_e32 v[12:13], v[12:13]
	s_delay_alu instid0(VALU_DEP_1) | instskip(SKIP_1) | instid1(VALU_DEP_2)
	v_fmamk_f64 v[14:15], v[12:13], 0xc1f00000, v[4:5]
	v_cvt_u32_f64_e32 v5, v[12:13]
	v_cvt_u32_f64_e32 v4, v[14:15]
	s_branch .LBB371_1361
.LBB371_1359:
	s_mov_b32 s13, -1
                                        ; implicit-def: $vgpr4_vgpr5
	s_branch .LBB371_1364
.LBB371_1360:
	s_mov_b32 s13, -1
                                        ; implicit-def: $vgpr4_vgpr5
.LBB371_1361:
	s_delay_alu instid0(SALU_CYCLE_1)
	s_and_not1_b32 vcc_lo, exec_lo, s13
	s_cbranch_vccnz .LBB371_1363
; %bb.1362:
	s_wait_loadcnt 0x0
	global_load_b32 v4, v[8:9], off
	s_wait_loadcnt 0x0
	v_trunc_f32_e32 v4, v4
	s_delay_alu instid0(VALU_DEP_1) | instskip(NEXT) | instid1(VALU_DEP_1)
	v_mul_f32_e32 v5, 0x2f800000, v4
	v_floor_f32_e32 v5, v5
	s_delay_alu instid0(VALU_DEP_1) | instskip(SKIP_1) | instid1(VALU_DEP_2)
	v_fmamk_f32 v4, v5, 0xcf800000, v4
	v_cvt_u32_f32_e32 v5, v5
	v_cvt_u32_f32_e32 v4, v4
.LBB371_1363:
	s_mov_b32 s13, 0
.LBB371_1364:
	s_delay_alu instid0(SALU_CYCLE_1)
	s_and_not1_b32 vcc_lo, exec_lo, s13
	s_cbranch_vccnz .LBB371_1366
; %bb.1365:
	s_wait_loadcnt 0x0
	global_load_u16 v4, v[8:9], off
	v_mov_b32_e32 v5, 0
	s_wait_loadcnt 0x0
	v_cvt_f32_f16_e32 v4, v4
	s_delay_alu instid0(VALU_DEP_1)
	v_cvt_u32_f32_e32 v4, v4
.LBB371_1366:
	s_mov_b32 s13, 0
.LBB371_1367:
	s_delay_alu instid0(SALU_CYCLE_1)
	s_and_not1_b32 vcc_lo, exec_lo, s13
	s_cbranch_vccnz .LBB371_1387
; %bb.1368:
	s_cmp_lt_i32 s0, 2
	s_cbranch_scc1 .LBB371_1372
; %bb.1369:
	s_cmp_lt_i32 s0, 3
	s_cbranch_scc1 .LBB371_1373
; %bb.1370:
	s_cmp_gt_i32 s0, 3
	s_cbranch_scc0 .LBB371_1374
; %bb.1371:
	s_wait_loadcnt 0x0
	global_load_b64 v[4:5], v[8:9], off
	s_mov_b32 s13, 0
	s_branch .LBB371_1375
.LBB371_1372:
	s_mov_b32 s13, -1
                                        ; implicit-def: $vgpr4_vgpr5
	s_branch .LBB371_1381
.LBB371_1373:
	s_mov_b32 s13, -1
                                        ; implicit-def: $vgpr4_vgpr5
	s_branch .LBB371_1378
.LBB371_1374:
	s_mov_b32 s13, -1
                                        ; implicit-def: $vgpr4_vgpr5
.LBB371_1375:
	s_delay_alu instid0(SALU_CYCLE_1)
	s_and_not1_b32 vcc_lo, exec_lo, s13
	s_cbranch_vccnz .LBB371_1377
; %bb.1376:
	s_wait_loadcnt 0x0
	global_load_b32 v4, v[8:9], off
	s_wait_loadcnt 0x0
	v_ashrrev_i32_e32 v5, 31, v4
.LBB371_1377:
	s_mov_b32 s13, 0
.LBB371_1378:
	s_delay_alu instid0(SALU_CYCLE_1)
	s_and_not1_b32 vcc_lo, exec_lo, s13
	s_cbranch_vccnz .LBB371_1380
; %bb.1379:
	s_wait_loadcnt 0x0
	global_load_u16 v4, v[8:9], off
	s_wait_loadcnt 0x0
	v_bfe_i32 v4, v4, 0, 16
	s_delay_alu instid0(VALU_DEP_1)
	v_ashrrev_i32_e32 v5, 31, v4
.LBB371_1380:
	s_mov_b32 s13, 0
.LBB371_1381:
	s_delay_alu instid0(SALU_CYCLE_1)
	s_and_not1_b32 vcc_lo, exec_lo, s13
	s_cbranch_vccnz .LBB371_1387
; %bb.1382:
	s_cmp_gt_i32 s0, 0
	s_mov_b32 s13, 0
	s_cbranch_scc0 .LBB371_1384
; %bb.1383:
	s_wait_loadcnt 0x0
	global_load_i8 v4, v[8:9], off
	s_wait_loadcnt 0x0
	v_bfe_i32 v4, v4, 0, 16
	s_delay_alu instid0(VALU_DEP_1)
	v_ashrrev_i32_e32 v5, 31, v4
	s_branch .LBB371_1385
.LBB371_1384:
	s_mov_b32 s13, -1
                                        ; implicit-def: $vgpr4_vgpr5
.LBB371_1385:
	s_delay_alu instid0(SALU_CYCLE_1)
	s_and_not1_b32 vcc_lo, exec_lo, s13
	s_cbranch_vccnz .LBB371_1387
; %bb.1386:
	s_wait_loadcnt 0x0
	global_load_u8 v4, v[8:9], off
	s_mov_b32 s13, 0
	s_delay_alu instid0(SALU_CYCLE_1)
	v_mov_b32_e32 v5, s13
	s_wait_loadcnt 0x0
	v_and_b32_e32 v4, 0xffff, v4
.LBB371_1387:
.LBB371_1388:
	v_add_nc_u32_e32 v6, s2, v6
	s_cmp_lt_i32 s0, 11
	s_delay_alu instid0(VALU_DEP_1) | instskip(SKIP_1) | instid1(VALU_DEP_1)
	v_ashrrev_i32_e32 v7, 31, v6
	s_wait_xcnt 0x0
	v_add_nc_u64_e32 v[8:9], s[6:7], v[6:7]
	s_cbranch_scc1 .LBB371_1395
; %bb.1389:
	s_cmp_gt_i32 s0, 25
	s_mov_b32 s6, 0
	s_cbranch_scc0 .LBB371_1396
; %bb.1390:
	s_cmp_gt_i32 s0, 28
	s_cbranch_scc0 .LBB371_1397
; %bb.1391:
	s_cmp_gt_i32 s0, 43
	s_cbranch_scc0 .LBB371_1398
; %bb.1392:
	s_cmp_gt_i32 s0, 45
	s_cbranch_scc0 .LBB371_1400
; %bb.1393:
	s_cmp_eq_u32 s0, 46
	s_mov_b32 s13, 0
	s_cbranch_scc0 .LBB371_1401
; %bb.1394:
	global_load_b32 v6, v[8:9], off
	s_mov_b32 s2, 0
	s_mov_b32 s7, -1
	s_wait_loadcnt 0x0
	v_lshlrev_b32_e32 v6, 16, v6
	s_delay_alu instid0(VALU_DEP_1) | instskip(NEXT) | instid1(VALU_DEP_1)
	v_trunc_f32_e32 v6, v6
	v_mul_f32_e32 v7, 0x2f800000, v6
	s_delay_alu instid0(VALU_DEP_1) | instskip(NEXT) | instid1(VALU_DEP_1)
	v_floor_f32_e32 v7, v7
	v_fmamk_f32 v6, v7, 0xcf800000, v6
	v_cvt_u32_f32_e32 v7, v7
	s_delay_alu instid0(VALU_DEP_2)
	v_cvt_u32_f32_e32 v6, v6
	s_branch .LBB371_1403
.LBB371_1395:
	s_mov_b32 s2, -1
	s_mov_b32 s7, 0
                                        ; implicit-def: $vgpr6_vgpr7
	s_branch .LBB371_1465
.LBB371_1396:
	s_mov_b32 s13, -1
	s_mov_b32 s7, 0
	s_mov_b32 s2, 0
                                        ; implicit-def: $vgpr6_vgpr7
	s_branch .LBB371_1430
.LBB371_1397:
	s_mov_b32 s13, -1
	s_mov_b32 s7, 0
	s_mov_b32 s2, 0
                                        ; implicit-def: $vgpr6_vgpr7
	s_branch .LBB371_1413
.LBB371_1398:
	s_mov_b32 s13, -1
	s_mov_b32 s7, 0
	s_mov_b32 s2, 0
                                        ; implicit-def: $vgpr6_vgpr7
	s_branch .LBB371_1408
.LBB371_1399:
	s_or_b32 s1, s1, exec_lo
	s_trap 2
	s_cbranch_execz .LBB371_1338
	s_branch .LBB371_1339
.LBB371_1400:
	s_mov_b32 s13, -1
	s_mov_b32 s7, 0
	s_mov_b32 s2, 0
	s_branch .LBB371_1402
.LBB371_1401:
	s_mov_b32 s2, -1
	s_mov_b32 s7, 0
.LBB371_1402:
                                        ; implicit-def: $vgpr6_vgpr7
.LBB371_1403:
	s_and_b32 vcc_lo, exec_lo, s13
	s_cbranch_vccz .LBB371_1407
; %bb.1404:
	s_cmp_eq_u32 s0, 44
	s_cbranch_scc0 .LBB371_1406
; %bb.1405:
	global_load_u8 v6, v[8:9], off
	s_mov_b32 s2, 0
	s_mov_b32 s7, -1
	s_wait_loadcnt 0x0
	v_cmp_ne_u32_e32 vcc_lo, 0, v6
	v_lshlrev_b32_e32 v7, 23, v6
	s_delay_alu instid0(VALU_DEP_1) | instskip(NEXT) | instid1(VALU_DEP_1)
	v_trunc_f32_e32 v7, v7
	v_mul_f32_e32 v11, 0x2f800000, v7
	s_delay_alu instid0(VALU_DEP_1) | instskip(NEXT) | instid1(VALU_DEP_1)
	v_floor_f32_e32 v11, v11
	v_fmamk_f32 v7, v11, 0xcf800000, v7
	v_cvt_u32_f32_e32 v11, v11
	s_delay_alu instid0(VALU_DEP_2) | instskip(NEXT) | instid1(VALU_DEP_1)
	v_cvt_u32_f32_e32 v12, v7
	v_dual_cndmask_b32 v7, 0, v11 :: v_dual_cndmask_b32 v6, 0, v12
	s_branch .LBB371_1407
.LBB371_1406:
	s_mov_b32 s2, -1
                                        ; implicit-def: $vgpr6_vgpr7
.LBB371_1407:
	s_mov_b32 s13, 0
.LBB371_1408:
	s_delay_alu instid0(SALU_CYCLE_1)
	s_and_b32 vcc_lo, exec_lo, s13
	s_cbranch_vccz .LBB371_1412
; %bb.1409:
	s_cmp_eq_u32 s0, 29
	s_cbranch_scc0 .LBB371_1411
; %bb.1410:
	global_load_b64 v[6:7], v[8:9], off
	s_mov_b32 s2, 0
	s_mov_b32 s7, -1
	s_branch .LBB371_1412
.LBB371_1411:
	s_mov_b32 s2, -1
                                        ; implicit-def: $vgpr6_vgpr7
.LBB371_1412:
	s_mov_b32 s13, 0
.LBB371_1413:
	s_delay_alu instid0(SALU_CYCLE_1)
	s_and_b32 vcc_lo, exec_lo, s13
	s_cbranch_vccz .LBB371_1429
; %bb.1414:
	s_cmp_lt_i32 s0, 27
	s_cbranch_scc1 .LBB371_1417
; %bb.1415:
	s_cmp_gt_i32 s0, 27
	s_cbranch_scc0 .LBB371_1418
; %bb.1416:
	s_wait_loadcnt 0x0
	global_load_b32 v6, v[8:9], off
	v_mov_b32_e32 v7, 0
	s_mov_b32 s7, 0
	s_branch .LBB371_1419
.LBB371_1417:
	s_mov_b32 s7, -1
                                        ; implicit-def: $vgpr6_vgpr7
	s_branch .LBB371_1422
.LBB371_1418:
	s_mov_b32 s7, -1
                                        ; implicit-def: $vgpr6_vgpr7
.LBB371_1419:
	s_delay_alu instid0(SALU_CYCLE_1)
	s_and_not1_b32 vcc_lo, exec_lo, s7
	s_cbranch_vccnz .LBB371_1421
; %bb.1420:
	s_wait_loadcnt 0x0
	global_load_u16 v6, v[8:9], off
	s_mov_b32 s7, 0
	s_delay_alu instid0(SALU_CYCLE_1)
	v_mov_b32_e32 v7, s7
	s_wait_loadcnt 0x0
	v_and_b32_e32 v6, 0xffff, v6
.LBB371_1421:
	s_mov_b32 s7, 0
.LBB371_1422:
	s_delay_alu instid0(SALU_CYCLE_1)
	s_and_not1_b32 vcc_lo, exec_lo, s7
	s_cbranch_vccnz .LBB371_1428
; %bb.1423:
	global_load_u8 v11, v[8:9], off
	s_mov_b32 s13, 0
	s_mov_b32 s7, exec_lo
	s_wait_loadcnt 0x0
	v_cmpx_lt_i16_e32 0x7f, v11
	s_xor_b32 s7, exec_lo, s7
	s_cbranch_execz .LBB371_1440
; %bb.1424:
	v_cmp_ne_u16_e32 vcc_lo, 0x80, v11
	s_and_b32 s13, vcc_lo, exec_lo
	s_and_not1_saveexec_b32 s7, s7
	s_cbranch_execnz .LBB371_1441
.LBB371_1425:
	s_or_b32 exec_lo, exec_lo, s7
	v_mov_b64_e32 v[6:7], 0
	s_and_saveexec_b32 s7, s13
	s_cbranch_execz .LBB371_1427
.LBB371_1426:
	v_and_b32_e32 v6, 0xffff, v11
	s_delay_alu instid0(VALU_DEP_1) | instskip(SKIP_1) | instid1(VALU_DEP_2)
	v_and_b32_e32 v7, 7, v6
	v_bfe_u32 v14, v6, 3, 4
	v_clz_i32_u32_e32 v12, v7
	s_delay_alu instid0(VALU_DEP_2) | instskip(NEXT) | instid1(VALU_DEP_2)
	v_cmp_eq_u32_e32 vcc_lo, 0, v14
	v_min_u32_e32 v12, 32, v12
	s_delay_alu instid0(VALU_DEP_1) | instskip(NEXT) | instid1(VALU_DEP_1)
	v_subrev_nc_u32_e32 v13, 28, v12
	v_dual_lshlrev_b32 v6, v13, v6 :: v_dual_sub_nc_u32 v12, 29, v12
	s_delay_alu instid0(VALU_DEP_1) | instskip(NEXT) | instid1(VALU_DEP_1)
	v_dual_lshlrev_b32 v11, 24, v11 :: v_dual_bitop2_b32 v6, 7, v6 bitop3:0x40
	v_dual_cndmask_b32 v12, v14, v12, vcc_lo :: v_dual_cndmask_b32 v6, v7, v6, vcc_lo
	s_delay_alu instid0(VALU_DEP_2) | instskip(NEXT) | instid1(VALU_DEP_2)
	v_and_b32_e32 v7, 0x80000000, v11
	v_lshl_add_u32 v11, v12, 23, 0x3b800000
	s_delay_alu instid0(VALU_DEP_3) | instskip(NEXT) | instid1(VALU_DEP_1)
	v_lshlrev_b32_e32 v6, 20, v6
	v_or3_b32 v6, v7, v11, v6
	s_delay_alu instid0(VALU_DEP_1) | instskip(NEXT) | instid1(VALU_DEP_1)
	v_trunc_f32_e32 v6, v6
	v_mul_f32_e32 v7, 0x2f800000, v6
	s_delay_alu instid0(VALU_DEP_1) | instskip(NEXT) | instid1(VALU_DEP_1)
	v_floor_f32_e32 v7, v7
	v_fmamk_f32 v6, v7, 0xcf800000, v6
	v_cvt_u32_f32_e32 v7, v7
	s_delay_alu instid0(VALU_DEP_2)
	v_cvt_u32_f32_e32 v6, v6
.LBB371_1427:
	s_or_b32 exec_lo, exec_lo, s7
.LBB371_1428:
	s_mov_b32 s7, -1
.LBB371_1429:
	s_mov_b32 s13, 0
.LBB371_1430:
	s_delay_alu instid0(SALU_CYCLE_1)
	s_and_b32 vcc_lo, exec_lo, s13
	s_cbranch_vccz .LBB371_1461
; %bb.1431:
	s_cmp_gt_i32 s0, 22
	s_cbranch_scc0 .LBB371_1439
; %bb.1432:
	s_cmp_lt_i32 s0, 24
	s_cbranch_scc1 .LBB371_1442
; %bb.1433:
	s_cmp_gt_i32 s0, 24
	s_cbranch_scc0 .LBB371_1443
; %bb.1434:
	global_load_u8 v11, v[8:9], off
	s_mov_b32 s7, 0
	s_mov_b32 s6, exec_lo
	s_wait_loadcnt 0x0
	v_cmpx_lt_i16_e32 0x7f, v11
	s_xor_b32 s6, exec_lo, s6
	s_cbranch_execz .LBB371_1455
; %bb.1435:
	v_cmp_ne_u16_e32 vcc_lo, 0x80, v11
	s_and_b32 s7, vcc_lo, exec_lo
	s_and_not1_saveexec_b32 s6, s6
	s_cbranch_execnz .LBB371_1456
.LBB371_1436:
	s_or_b32 exec_lo, exec_lo, s6
	v_mov_b64_e32 v[6:7], 0
	s_and_saveexec_b32 s6, s7
	s_cbranch_execz .LBB371_1438
.LBB371_1437:
	v_and_b32_e32 v6, 0xffff, v11
	s_delay_alu instid0(VALU_DEP_1) | instskip(SKIP_1) | instid1(VALU_DEP_2)
	v_and_b32_e32 v7, 3, v6
	v_bfe_u32 v14, v6, 2, 5
	v_clz_i32_u32_e32 v12, v7
	s_delay_alu instid0(VALU_DEP_2) | instskip(NEXT) | instid1(VALU_DEP_2)
	v_cmp_eq_u32_e32 vcc_lo, 0, v14
	v_min_u32_e32 v12, 32, v12
	s_delay_alu instid0(VALU_DEP_1) | instskip(NEXT) | instid1(VALU_DEP_1)
	v_subrev_nc_u32_e32 v13, 29, v12
	v_dual_lshlrev_b32 v6, v13, v6 :: v_dual_sub_nc_u32 v12, 30, v12
	s_delay_alu instid0(VALU_DEP_1) | instskip(NEXT) | instid1(VALU_DEP_1)
	v_dual_lshlrev_b32 v11, 24, v11 :: v_dual_bitop2_b32 v6, 3, v6 bitop3:0x40
	v_dual_cndmask_b32 v12, v14, v12, vcc_lo :: v_dual_cndmask_b32 v6, v7, v6, vcc_lo
	s_delay_alu instid0(VALU_DEP_2) | instskip(NEXT) | instid1(VALU_DEP_2)
	v_and_b32_e32 v7, 0x80000000, v11
	v_lshl_add_u32 v11, v12, 23, 0x37800000
	s_delay_alu instid0(VALU_DEP_3) | instskip(NEXT) | instid1(VALU_DEP_1)
	v_lshlrev_b32_e32 v6, 21, v6
	v_or3_b32 v6, v7, v11, v6
	s_delay_alu instid0(VALU_DEP_1) | instskip(NEXT) | instid1(VALU_DEP_1)
	v_trunc_f32_e32 v6, v6
	v_mul_f32_e32 v7, 0x2f800000, v6
	s_delay_alu instid0(VALU_DEP_1) | instskip(NEXT) | instid1(VALU_DEP_1)
	v_floor_f32_e32 v7, v7
	v_fmamk_f32 v6, v7, 0xcf800000, v6
	v_cvt_u32_f32_e32 v7, v7
	s_delay_alu instid0(VALU_DEP_2)
	v_cvt_u32_f32_e32 v6, v6
.LBB371_1438:
	s_or_b32 exec_lo, exec_lo, s6
	s_mov_b32 s6, 0
	s_branch .LBB371_1444
.LBB371_1439:
	s_mov_b32 s6, -1
                                        ; implicit-def: $vgpr6_vgpr7
	s_branch .LBB371_1450
.LBB371_1440:
	s_and_not1_saveexec_b32 s7, s7
	s_cbranch_execz .LBB371_1425
.LBB371_1441:
	v_cmp_ne_u16_e32 vcc_lo, 0, v11
	s_and_not1_b32 s13, s13, exec_lo
	s_and_b32 s15, vcc_lo, exec_lo
	s_delay_alu instid0(SALU_CYCLE_1)
	s_or_b32 s13, s13, s15
	s_or_b32 exec_lo, exec_lo, s7
	v_mov_b64_e32 v[6:7], 0
	s_and_saveexec_b32 s7, s13
	s_cbranch_execnz .LBB371_1426
	s_branch .LBB371_1427
.LBB371_1442:
	s_mov_b32 s6, -1
                                        ; implicit-def: $vgpr6_vgpr7
	s_branch .LBB371_1447
.LBB371_1443:
	s_mov_b32 s6, -1
                                        ; implicit-def: $vgpr6_vgpr7
.LBB371_1444:
	s_delay_alu instid0(SALU_CYCLE_1)
	s_and_b32 vcc_lo, exec_lo, s6
	s_cbranch_vccz .LBB371_1446
; %bb.1445:
	s_wait_loadcnt 0x0
	global_load_u8 v6, v[8:9], off
	s_wait_loadcnt 0x0
	v_lshlrev_b32_e32 v6, 24, v6
	s_delay_alu instid0(VALU_DEP_1) | instskip(NEXT) | instid1(VALU_DEP_1)
	v_and_b32_e32 v7, 0x7f000000, v6
	v_clz_i32_u32_e32 v11, v7
	v_add_nc_u32_e32 v13, 0x1000000, v7
	v_cmp_ne_u32_e32 vcc_lo, 0, v7
	s_delay_alu instid0(VALU_DEP_3) | instskip(NEXT) | instid1(VALU_DEP_1)
	v_min_u32_e32 v11, 32, v11
	v_sub_nc_u32_e64 v11, v11, 4 clamp
	s_delay_alu instid0(VALU_DEP_1) | instskip(NEXT) | instid1(VALU_DEP_1)
	v_lshlrev_b32_e32 v12, v11, v7
	v_dual_lshlrev_b32 v11, 23, v11 :: v_dual_lshrrev_b32 v12, 4, v12
	s_delay_alu instid0(VALU_DEP_1) | instskip(NEXT) | instid1(VALU_DEP_1)
	v_dual_sub_nc_u32 v11, v12, v11 :: v_dual_ashrrev_i32 v12, 8, v13
	v_add_nc_u32_e32 v11, 0x3c000000, v11
	s_delay_alu instid0(VALU_DEP_1) | instskip(NEXT) | instid1(VALU_DEP_1)
	v_and_or_b32 v11, 0x7f800000, v12, v11
	v_cndmask_b32_e32 v7, 0, v11, vcc_lo
	s_delay_alu instid0(VALU_DEP_1) | instskip(NEXT) | instid1(VALU_DEP_1)
	v_and_or_b32 v6, 0x80000000, v6, v7
	v_trunc_f32_e32 v6, v6
	s_delay_alu instid0(VALU_DEP_1) | instskip(NEXT) | instid1(VALU_DEP_1)
	v_mul_f32_e32 v7, 0x2f800000, v6
	v_floor_f32_e32 v7, v7
	s_delay_alu instid0(VALU_DEP_1) | instskip(SKIP_1) | instid1(VALU_DEP_2)
	v_fmamk_f32 v6, v7, 0xcf800000, v6
	v_cvt_u32_f32_e32 v7, v7
	v_cvt_u32_f32_e32 v6, v6
.LBB371_1446:
	s_mov_b32 s6, 0
.LBB371_1447:
	s_delay_alu instid0(SALU_CYCLE_1)
	s_and_not1_b32 vcc_lo, exec_lo, s6
	s_cbranch_vccnz .LBB371_1449
; %bb.1448:
	s_wait_loadcnt 0x0
	global_load_u8 v6, v[8:9], off
	s_wait_loadcnt 0x0
	v_lshlrev_b32_e32 v7, 25, v6
	v_lshlrev_b16 v6, 8, v6
	s_delay_alu instid0(VALU_DEP_1) | instskip(SKIP_1) | instid1(VALU_DEP_2)
	v_and_or_b32 v12, 0x7f00, v6, 0.5
	v_bfe_i32 v6, v6, 0, 16
	v_dual_add_f32 v12, -0.5, v12 :: v_dual_lshrrev_b32 v11, 4, v7
	v_cmp_gt_u32_e32 vcc_lo, 0x8000000, v7
	s_delay_alu instid0(VALU_DEP_2) | instskip(NEXT) | instid1(VALU_DEP_1)
	v_or_b32_e32 v11, 0x70000000, v11
	v_mul_f32_e32 v11, 0x7800000, v11
	s_delay_alu instid0(VALU_DEP_1) | instskip(NEXT) | instid1(VALU_DEP_1)
	v_cndmask_b32_e32 v7, v11, v12, vcc_lo
	v_and_or_b32 v6, 0x80000000, v6, v7
	s_delay_alu instid0(VALU_DEP_1) | instskip(NEXT) | instid1(VALU_DEP_1)
	v_trunc_f32_e32 v6, v6
	v_mul_f32_e32 v7, 0x2f800000, v6
	s_delay_alu instid0(VALU_DEP_1) | instskip(NEXT) | instid1(VALU_DEP_1)
	v_floor_f32_e32 v7, v7
	v_fmamk_f32 v6, v7, 0xcf800000, v6
	v_cvt_u32_f32_e32 v7, v7
	s_delay_alu instid0(VALU_DEP_2)
	v_cvt_u32_f32_e32 v6, v6
.LBB371_1449:
	s_mov_b32 s6, 0
	s_mov_b32 s7, -1
.LBB371_1450:
	s_and_not1_b32 vcc_lo, exec_lo, s6
	s_mov_b32 s6, 0
	s_cbranch_vccnz .LBB371_1461
; %bb.1451:
	s_cmp_gt_i32 s0, 14
	s_cbranch_scc0 .LBB371_1454
; %bb.1452:
	s_cmp_eq_u32 s0, 15
	s_cbranch_scc0 .LBB371_1457
; %bb.1453:
	s_wait_loadcnt 0x0
	global_load_u16 v6, v[8:9], off
	s_mov_b32 s2, 0
	s_mov_b32 s7, -1
	s_wait_loadcnt 0x0
	v_lshlrev_b32_e32 v6, 16, v6
	s_delay_alu instid0(VALU_DEP_1) | instskip(NEXT) | instid1(VALU_DEP_1)
	v_trunc_f32_e32 v6, v6
	v_mul_f32_e32 v7, 0x2f800000, v6
	s_delay_alu instid0(VALU_DEP_1) | instskip(NEXT) | instid1(VALU_DEP_1)
	v_floor_f32_e32 v7, v7
	v_fmamk_f32 v6, v7, 0xcf800000, v6
	v_cvt_u32_f32_e32 v7, v7
	s_delay_alu instid0(VALU_DEP_2)
	v_cvt_u32_f32_e32 v6, v6
	s_branch .LBB371_1459
.LBB371_1454:
	s_mov_b32 s6, -1
	s_branch .LBB371_1458
.LBB371_1455:
	s_and_not1_saveexec_b32 s6, s6
	s_cbranch_execz .LBB371_1436
.LBB371_1456:
	v_cmp_ne_u16_e32 vcc_lo, 0, v11
	s_and_not1_b32 s7, s7, exec_lo
	s_and_b32 s13, vcc_lo, exec_lo
	s_delay_alu instid0(SALU_CYCLE_1)
	s_or_b32 s7, s7, s13
	s_or_b32 exec_lo, exec_lo, s6
	v_mov_b64_e32 v[6:7], 0
	s_and_saveexec_b32 s6, s7
	s_cbranch_execnz .LBB371_1437
	s_branch .LBB371_1438
.LBB371_1457:
	s_mov_b32 s2, -1
.LBB371_1458:
                                        ; implicit-def: $vgpr6_vgpr7
.LBB371_1459:
	s_and_b32 vcc_lo, exec_lo, s6
	s_mov_b32 s6, 0
	s_cbranch_vccz .LBB371_1461
; %bb.1460:
	s_cmp_lg_u32 s0, 11
	s_mov_b32 s6, -1
	s_cselect_b32 s2, -1, 0
.LBB371_1461:
	s_delay_alu instid0(SALU_CYCLE_1)
	s_and_b32 vcc_lo, exec_lo, s2
	s_cbranch_vccnz .LBB371_1993
; %bb.1462:
	s_and_not1_b32 vcc_lo, exec_lo, s6
	s_cbranch_vccnz .LBB371_1464
.LBB371_1463:
	s_wait_loadcnt 0x0
	global_load_u8 v6, v[8:9], off
	s_mov_b32 s2, 0
	s_mov_b32 s7, -1
	v_mov_b32_e32 v7, s2
	s_wait_loadcnt 0x0
	v_cmp_ne_u16_e32 vcc_lo, 0, v6
	v_cndmask_b32_e64 v6, 0, 1, vcc_lo
.LBB371_1464:
	s_mov_b32 s2, 0
.LBB371_1465:
	s_delay_alu instid0(SALU_CYCLE_1)
	s_and_b32 vcc_lo, exec_lo, s2
	s_cbranch_vccz .LBB371_1514
; %bb.1466:
	s_cmp_lt_i32 s0, 5
	s_cbranch_scc1 .LBB371_1471
; %bb.1467:
	s_cmp_lt_i32 s0, 8
	s_cbranch_scc1 .LBB371_1472
	;; [unrolled: 3-line block ×3, first 2 shown]
; %bb.1469:
	s_cmp_gt_i32 s0, 9
	s_cbranch_scc0 .LBB371_1474
; %bb.1470:
	s_wait_loadcnt 0x0
	global_load_b64 v[6:7], v[8:9], off
	s_mov_b32 s2, 0
	s_wait_loadcnt 0x0
	v_trunc_f64_e32 v[6:7], v[6:7]
	s_delay_alu instid0(VALU_DEP_1) | instskip(NEXT) | instid1(VALU_DEP_1)
	v_ldexp_f64 v[12:13], v[6:7], 0xffffffe0
	v_floor_f64_e32 v[12:13], v[12:13]
	s_delay_alu instid0(VALU_DEP_1) | instskip(SKIP_1) | instid1(VALU_DEP_2)
	v_fmamk_f64 v[14:15], v[12:13], 0xc1f00000, v[6:7]
	v_cvt_u32_f64_e32 v7, v[12:13]
	v_cvt_u32_f64_e32 v6, v[14:15]
	s_branch .LBB371_1475
.LBB371_1471:
	s_mov_b32 s2, -1
                                        ; implicit-def: $vgpr6_vgpr7
	s_branch .LBB371_1493
.LBB371_1472:
	s_mov_b32 s2, -1
                                        ; implicit-def: $vgpr6_vgpr7
	s_branch .LBB371_1481
.LBB371_1473:
	s_mov_b32 s2, -1
                                        ; implicit-def: $vgpr6_vgpr7
	s_branch .LBB371_1478
.LBB371_1474:
	s_mov_b32 s2, -1
                                        ; implicit-def: $vgpr6_vgpr7
.LBB371_1475:
	s_delay_alu instid0(SALU_CYCLE_1)
	s_and_not1_b32 vcc_lo, exec_lo, s2
	s_cbranch_vccnz .LBB371_1477
; %bb.1476:
	s_wait_loadcnt 0x0
	global_load_b32 v6, v[8:9], off
	s_wait_loadcnt 0x0
	v_trunc_f32_e32 v6, v6
	s_delay_alu instid0(VALU_DEP_1) | instskip(NEXT) | instid1(VALU_DEP_1)
	v_mul_f32_e32 v7, 0x2f800000, v6
	v_floor_f32_e32 v7, v7
	s_delay_alu instid0(VALU_DEP_1) | instskip(SKIP_1) | instid1(VALU_DEP_2)
	v_fmamk_f32 v6, v7, 0xcf800000, v6
	v_cvt_u32_f32_e32 v7, v7
	v_cvt_u32_f32_e32 v6, v6
.LBB371_1477:
	s_mov_b32 s2, 0
.LBB371_1478:
	s_delay_alu instid0(SALU_CYCLE_1)
	s_and_not1_b32 vcc_lo, exec_lo, s2
	s_cbranch_vccnz .LBB371_1480
; %bb.1479:
	s_wait_loadcnt 0x0
	global_load_b32 v6, v[8:9], off
	v_mov_b32_e32 v7, 0
	s_wait_loadcnt 0x0
	v_cvt_f32_f16_e32 v6, v6
	s_delay_alu instid0(VALU_DEP_1)
	v_cvt_u32_f32_e32 v6, v6
.LBB371_1480:
	s_mov_b32 s2, 0
.LBB371_1481:
	s_delay_alu instid0(SALU_CYCLE_1)
	s_and_not1_b32 vcc_lo, exec_lo, s2
	s_cbranch_vccnz .LBB371_1492
; %bb.1482:
	s_cmp_lt_i32 s0, 6
	s_cbranch_scc1 .LBB371_1485
; %bb.1483:
	s_cmp_gt_i32 s0, 6
	s_cbranch_scc0 .LBB371_1486
; %bb.1484:
	s_wait_loadcnt 0x0
	global_load_b64 v[6:7], v[8:9], off
	s_mov_b32 s2, 0
	s_wait_loadcnt 0x0
	v_trunc_f64_e32 v[6:7], v[6:7]
	s_delay_alu instid0(VALU_DEP_1) | instskip(NEXT) | instid1(VALU_DEP_1)
	v_ldexp_f64 v[12:13], v[6:7], 0xffffffe0
	v_floor_f64_e32 v[12:13], v[12:13]
	s_delay_alu instid0(VALU_DEP_1) | instskip(SKIP_1) | instid1(VALU_DEP_2)
	v_fmamk_f64 v[14:15], v[12:13], 0xc1f00000, v[6:7]
	v_cvt_u32_f64_e32 v7, v[12:13]
	v_cvt_u32_f64_e32 v6, v[14:15]
	s_branch .LBB371_1487
.LBB371_1485:
	s_mov_b32 s2, -1
                                        ; implicit-def: $vgpr6_vgpr7
	s_branch .LBB371_1490
.LBB371_1486:
	s_mov_b32 s2, -1
                                        ; implicit-def: $vgpr6_vgpr7
.LBB371_1487:
	s_delay_alu instid0(SALU_CYCLE_1)
	s_and_not1_b32 vcc_lo, exec_lo, s2
	s_cbranch_vccnz .LBB371_1489
; %bb.1488:
	s_wait_loadcnt 0x0
	global_load_b32 v6, v[8:9], off
	s_wait_loadcnt 0x0
	v_trunc_f32_e32 v6, v6
	s_delay_alu instid0(VALU_DEP_1) | instskip(NEXT) | instid1(VALU_DEP_1)
	v_mul_f32_e32 v7, 0x2f800000, v6
	v_floor_f32_e32 v7, v7
	s_delay_alu instid0(VALU_DEP_1) | instskip(SKIP_1) | instid1(VALU_DEP_2)
	v_fmamk_f32 v6, v7, 0xcf800000, v6
	v_cvt_u32_f32_e32 v7, v7
	v_cvt_u32_f32_e32 v6, v6
.LBB371_1489:
	s_mov_b32 s2, 0
.LBB371_1490:
	s_delay_alu instid0(SALU_CYCLE_1)
	s_and_not1_b32 vcc_lo, exec_lo, s2
	s_cbranch_vccnz .LBB371_1492
; %bb.1491:
	s_wait_loadcnt 0x0
	global_load_u16 v6, v[8:9], off
	v_mov_b32_e32 v7, 0
	s_wait_loadcnt 0x0
	v_cvt_f32_f16_e32 v6, v6
	s_delay_alu instid0(VALU_DEP_1)
	v_cvt_u32_f32_e32 v6, v6
.LBB371_1492:
	s_mov_b32 s2, 0
.LBB371_1493:
	s_delay_alu instid0(SALU_CYCLE_1)
	s_and_not1_b32 vcc_lo, exec_lo, s2
	s_cbranch_vccnz .LBB371_1513
; %bb.1494:
	s_cmp_lt_i32 s0, 2
	s_cbranch_scc1 .LBB371_1498
; %bb.1495:
	s_cmp_lt_i32 s0, 3
	s_cbranch_scc1 .LBB371_1499
; %bb.1496:
	s_cmp_gt_i32 s0, 3
	s_cbranch_scc0 .LBB371_1500
; %bb.1497:
	s_wait_loadcnt 0x0
	global_load_b64 v[6:7], v[8:9], off
	s_mov_b32 s2, 0
	s_branch .LBB371_1501
.LBB371_1498:
	s_mov_b32 s2, -1
                                        ; implicit-def: $vgpr6_vgpr7
	s_branch .LBB371_1507
.LBB371_1499:
	s_mov_b32 s2, -1
                                        ; implicit-def: $vgpr6_vgpr7
	s_branch .LBB371_1504
.LBB371_1500:
	s_mov_b32 s2, -1
                                        ; implicit-def: $vgpr6_vgpr7
.LBB371_1501:
	s_delay_alu instid0(SALU_CYCLE_1)
	s_and_not1_b32 vcc_lo, exec_lo, s2
	s_cbranch_vccnz .LBB371_1503
; %bb.1502:
	s_wait_loadcnt 0x0
	global_load_b32 v6, v[8:9], off
	s_wait_loadcnt 0x0
	v_ashrrev_i32_e32 v7, 31, v6
.LBB371_1503:
	s_mov_b32 s2, 0
.LBB371_1504:
	s_delay_alu instid0(SALU_CYCLE_1)
	s_and_not1_b32 vcc_lo, exec_lo, s2
	s_cbranch_vccnz .LBB371_1506
; %bb.1505:
	s_wait_loadcnt 0x0
	global_load_u16 v6, v[8:9], off
	s_wait_loadcnt 0x0
	v_bfe_i32 v6, v6, 0, 16
	s_delay_alu instid0(VALU_DEP_1)
	v_ashrrev_i32_e32 v7, 31, v6
.LBB371_1506:
	s_mov_b32 s2, 0
.LBB371_1507:
	s_delay_alu instid0(SALU_CYCLE_1)
	s_and_not1_b32 vcc_lo, exec_lo, s2
	s_cbranch_vccnz .LBB371_1513
; %bb.1508:
	s_cmp_gt_i32 s0, 0
	s_mov_b32 s0, 0
	s_cbranch_scc0 .LBB371_1510
; %bb.1509:
	s_wait_loadcnt 0x0
	global_load_i8 v6, v[8:9], off
	s_wait_loadcnt 0x0
	v_bfe_i32 v6, v6, 0, 16
	s_delay_alu instid0(VALU_DEP_1)
	v_ashrrev_i32_e32 v7, 31, v6
	s_branch .LBB371_1511
.LBB371_1510:
	s_mov_b32 s0, -1
                                        ; implicit-def: $vgpr6_vgpr7
.LBB371_1511:
	s_delay_alu instid0(SALU_CYCLE_1)
	s_and_not1_b32 vcc_lo, exec_lo, s0
	s_cbranch_vccnz .LBB371_1513
; %bb.1512:
	s_wait_loadcnt 0x0
	global_load_u8 v6, v[8:9], off
	s_mov_b32 s0, 0
	s_delay_alu instid0(SALU_CYCLE_1)
	v_mov_b32_e32 v7, s0
	s_wait_loadcnt 0x0
	v_and_b32_e32 v6, 0xffff, v6
.LBB371_1513:
	s_mov_b32 s7, -1
.LBB371_1514:
	s_delay_alu instid0(SALU_CYCLE_1)
	s_and_not1_b32 vcc_lo, exec_lo, s7
	s_cbranch_vccnz .LBB371_1947
; %bb.1515:
	s_wait_xcnt 0x0
	v_mul_lo_u32 v8, s12, v10
	s_wait_loadcnt 0x0
	v_cmp_ne_u64_e32 vcc_lo, s[8:9], v[0:1]
	s_cmp_eq_u32 s14, 0
	s_mov_b32 s13, 0
	s_cselect_b32 s2, -1, 0
	s_and_b32 s15, s10, 0xff
	s_mov_b32 s0, -1
	s_xor_b32 s6, s2, vcc_lo
	s_cmp_lt_i32 s15, 11
	s_delay_alu instid0(VALU_DEP_2) | instskip(NEXT) | instid1(VALU_DEP_1)
	v_ashrrev_i32_e32 v9, 31, v8
	v_add_nc_u64_e32 v[0:1], s[4:5], v[8:9]
	s_cbranch_scc1 .LBB371_1594
; %bb.1516:
	s_and_b32 s7, 0xffff, s15
	s_mov_b32 s14, -1
	s_mov_b32 s10, 0
	s_cmp_gt_i32 s7, 25
	s_mov_b32 s0, 0
	s_cbranch_scc0 .LBB371_1549
; %bb.1517:
	s_cmp_gt_i32 s7, 28
	s_cbranch_scc0 .LBB371_1532
; %bb.1518:
	s_cmp_gt_i32 s7, 43
	;; [unrolled: 3-line block ×3, first 2 shown]
	s_cbranch_scc0 .LBB371_1522
; %bb.1520:
	s_mov_b32 s0, -1
	s_mov_b32 s14, 0
	s_cmp_eq_u32 s7, 46
	s_cbranch_scc0 .LBB371_1522
; %bb.1521:
	v_cndmask_b32_e64 v9, 0, 1.0, s6
	s_mov_b32 s0, 0
	s_mov_b32 s13, -1
	s_delay_alu instid0(VALU_DEP_1) | instskip(NEXT) | instid1(VALU_DEP_1)
	v_bfe_u32 v10, v9, 16, 1
	v_add3_u32 v9, v9, v10, 0x7fff
	s_delay_alu instid0(VALU_DEP_1)
	v_lshrrev_b32_e32 v9, 16, v9
	global_store_b32 v[0:1], v9, off
.LBB371_1522:
	s_and_b32 vcc_lo, exec_lo, s14
	s_cbranch_vccz .LBB371_1527
; %bb.1523:
	s_cmp_eq_u32 s7, 44
	s_mov_b32 s0, -1
	s_cbranch_scc0 .LBB371_1527
; %bb.1524:
	v_cndmask_b32_e64 v11, 0, 1.0, s6
	s_mov_b32 s13, exec_lo
	s_wait_xcnt 0x0
	s_delay_alu instid0(VALU_DEP_1) | instskip(NEXT) | instid1(VALU_DEP_1)
	v_dual_mov_b32 v10, 0xff :: v_dual_lshrrev_b32 v9, 23, v11
	v_cmpx_ne_u32_e32 0xff, v9
; %bb.1525:
	v_and_b32_e32 v10, 0x400000, v11
	v_and_or_b32 v11, 0x3fffff, v11, v9
	s_delay_alu instid0(VALU_DEP_2) | instskip(NEXT) | instid1(VALU_DEP_2)
	v_cmp_ne_u32_e32 vcc_lo, 0, v10
	v_cmp_ne_u32_e64 s0, 0, v11
	s_and_b32 s0, vcc_lo, s0
	s_delay_alu instid0(SALU_CYCLE_1) | instskip(NEXT) | instid1(VALU_DEP_1)
	v_cndmask_b32_e64 v10, 0, 1, s0
	v_add_nc_u32_e32 v10, v9, v10
; %bb.1526:
	s_or_b32 exec_lo, exec_lo, s13
	s_mov_b32 s0, 0
	s_mov_b32 s13, -1
	global_store_b8 v[0:1], v10, off
.LBB371_1527:
	s_mov_b32 s14, 0
.LBB371_1528:
	s_delay_alu instid0(SALU_CYCLE_1)
	s_and_b32 vcc_lo, exec_lo, s14
	s_cbranch_vccz .LBB371_1531
; %bb.1529:
	s_cmp_eq_u32 s7, 29
	s_mov_b32 s0, -1
	s_cbranch_scc0 .LBB371_1531
; %bb.1530:
	s_mov_b32 s0, 0
	s_wait_xcnt 0x0
	v_cndmask_b32_e64 v10, 0, 1, s6
	v_mov_b32_e32 v11, s0
	s_mov_b32 s13, -1
	global_store_b64 v[0:1], v[10:11], off
.LBB371_1531:
	s_mov_b32 s14, 0
.LBB371_1532:
	s_delay_alu instid0(SALU_CYCLE_1)
	s_and_b32 vcc_lo, exec_lo, s14
	s_cbranch_vccz .LBB371_1548
; %bb.1533:
	s_cmp_lt_i32 s7, 27
	s_mov_b32 s13, -1
	s_cbranch_scc1 .LBB371_1539
; %bb.1534:
	s_cmp_gt_i32 s7, 27
	s_cbranch_scc0 .LBB371_1536
; %bb.1535:
	s_wait_xcnt 0x0
	v_cndmask_b32_e64 v9, 0, 1, s6
	s_mov_b32 s13, 0
	global_store_b32 v[0:1], v9, off
.LBB371_1536:
	s_and_not1_b32 vcc_lo, exec_lo, s13
	s_cbranch_vccnz .LBB371_1538
; %bb.1537:
	s_wait_xcnt 0x0
	v_cndmask_b32_e64 v9, 0, 1, s6
	global_store_b16 v[0:1], v9, off
.LBB371_1538:
	s_mov_b32 s13, 0
.LBB371_1539:
	s_delay_alu instid0(SALU_CYCLE_1)
	s_and_not1_b32 vcc_lo, exec_lo, s13
	s_cbranch_vccnz .LBB371_1547
; %bb.1540:
	s_wait_xcnt 0x0
	v_cndmask_b32_e64 v10, 0, 1.0, s6
	v_mov_b32_e32 v11, 0x80
	s_mov_b32 s13, exec_lo
	s_delay_alu instid0(VALU_DEP_2)
	v_cmpx_gt_u32_e32 0x43800000, v10
	s_cbranch_execz .LBB371_1546
; %bb.1541:
	s_mov_b32 s14, 0
	s_mov_b32 s16, exec_lo
                                        ; implicit-def: $vgpr9
	v_cmpx_lt_u32_e32 0x3bffffff, v10
	s_xor_b32 s16, exec_lo, s16
	s_cbranch_execz .LBB371_1994
; %bb.1542:
	v_bfe_u32 v9, v10, 20, 1
	s_mov_b32 s14, exec_lo
	s_delay_alu instid0(VALU_DEP_1) | instskip(NEXT) | instid1(VALU_DEP_1)
	v_add3_u32 v9, v10, v9, 0x487ffff
                                        ; implicit-def: $vgpr10
	v_lshrrev_b32_e32 v9, 20, v9
	s_and_not1_saveexec_b32 s16, s16
	s_cbranch_execnz .LBB371_1995
.LBB371_1543:
	s_or_b32 exec_lo, exec_lo, s16
	v_mov_b32_e32 v11, 0
	s_and_saveexec_b32 s16, s14
.LBB371_1544:
	v_mov_b32_e32 v11, v9
.LBB371_1545:
	s_or_b32 exec_lo, exec_lo, s16
.LBB371_1546:
	s_delay_alu instid0(SALU_CYCLE_1)
	s_or_b32 exec_lo, exec_lo, s13
	global_store_b8 v[0:1], v11, off
.LBB371_1547:
	s_mov_b32 s13, -1
.LBB371_1548:
	s_mov_b32 s14, 0
.LBB371_1549:
	s_delay_alu instid0(SALU_CYCLE_1)
	s_and_b32 vcc_lo, exec_lo, s14
	s_cbranch_vccz .LBB371_1589
; %bb.1550:
	s_cmp_gt_i32 s7, 22
	s_mov_b32 s10, -1
	s_cbranch_scc0 .LBB371_1582
; %bb.1551:
	s_cmp_lt_i32 s7, 24
	s_cbranch_scc1 .LBB371_1571
; %bb.1552:
	s_cmp_gt_i32 s7, 24
	s_cbranch_scc0 .LBB371_1560
; %bb.1553:
	s_wait_xcnt 0x0
	v_cndmask_b32_e64 v10, 0, 1.0, s6
	v_mov_b32_e32 v11, 0x80
	s_mov_b32 s10, exec_lo
	s_delay_alu instid0(VALU_DEP_2)
	v_cmpx_gt_u32_e32 0x47800000, v10
	s_cbranch_execz .LBB371_1559
; %bb.1554:
	s_mov_b32 s13, 0
	s_mov_b32 s14, exec_lo
                                        ; implicit-def: $vgpr9
	v_cmpx_lt_u32_e32 0x37ffffff, v10
	s_xor_b32 s14, exec_lo, s14
	s_cbranch_execz .LBB371_1997
; %bb.1555:
	v_bfe_u32 v9, v10, 21, 1
	s_mov_b32 s13, exec_lo
	s_delay_alu instid0(VALU_DEP_1) | instskip(NEXT) | instid1(VALU_DEP_1)
	v_add3_u32 v9, v10, v9, 0x88fffff
                                        ; implicit-def: $vgpr10
	v_lshrrev_b32_e32 v9, 21, v9
	s_and_not1_saveexec_b32 s14, s14
	s_cbranch_execnz .LBB371_1998
.LBB371_1556:
	s_or_b32 exec_lo, exec_lo, s14
	v_mov_b32_e32 v11, 0
	s_and_saveexec_b32 s14, s13
.LBB371_1557:
	v_mov_b32_e32 v11, v9
.LBB371_1558:
	s_or_b32 exec_lo, exec_lo, s14
.LBB371_1559:
	s_delay_alu instid0(SALU_CYCLE_1)
	s_or_b32 exec_lo, exec_lo, s10
	s_mov_b32 s10, 0
	global_store_b8 v[0:1], v11, off
.LBB371_1560:
	s_and_b32 vcc_lo, exec_lo, s10
	s_cbranch_vccz .LBB371_1570
; %bb.1561:
	s_wait_xcnt 0x0
	v_cndmask_b32_e64 v10, 0, 1.0, s6
	s_mov_b32 s10, exec_lo
                                        ; implicit-def: $vgpr9
	s_delay_alu instid0(VALU_DEP_1)
	v_cmpx_gt_u32_e32 0x43f00000, v10
	s_xor_b32 s10, exec_lo, s10
	s_cbranch_execz .LBB371_1567
; %bb.1562:
	s_mov_b32 s13, exec_lo
                                        ; implicit-def: $vgpr9
	v_cmpx_lt_u32_e32 0x3c7fffff, v10
	s_xor_b32 s13, exec_lo, s13
; %bb.1563:
	v_bfe_u32 v9, v10, 20, 1
	s_delay_alu instid0(VALU_DEP_1) | instskip(NEXT) | instid1(VALU_DEP_1)
	v_add3_u32 v9, v10, v9, 0x407ffff
	v_and_b32_e32 v10, 0xff00000, v9
	v_lshrrev_b32_e32 v9, 20, v9
	s_delay_alu instid0(VALU_DEP_2) | instskip(NEXT) | instid1(VALU_DEP_2)
	v_cmp_ne_u32_e32 vcc_lo, 0x7f00000, v10
                                        ; implicit-def: $vgpr10
	v_cndmask_b32_e32 v9, 0x7e, v9, vcc_lo
; %bb.1564:
	s_and_not1_saveexec_b32 s13, s13
; %bb.1565:
	v_add_f32_e32 v9, 0x46800000, v10
; %bb.1566:
	s_or_b32 exec_lo, exec_lo, s13
                                        ; implicit-def: $vgpr10
.LBB371_1567:
	s_and_not1_saveexec_b32 s10, s10
; %bb.1568:
	v_mov_b32_e32 v9, 0x7f
	v_cmp_lt_u32_e32 vcc_lo, 0x7f800000, v10
	s_delay_alu instid0(VALU_DEP_2)
	v_cndmask_b32_e32 v9, 0x7e, v9, vcc_lo
; %bb.1569:
	s_or_b32 exec_lo, exec_lo, s10
	global_store_b8 v[0:1], v9, off
.LBB371_1570:
	s_mov_b32 s10, 0
.LBB371_1571:
	s_delay_alu instid0(SALU_CYCLE_1)
	s_and_not1_b32 vcc_lo, exec_lo, s10
	s_cbranch_vccnz .LBB371_1581
; %bb.1572:
	s_wait_xcnt 0x0
	v_cndmask_b32_e64 v10, 0, 1.0, s6
	s_mov_b32 s10, exec_lo
                                        ; implicit-def: $vgpr9
	s_delay_alu instid0(VALU_DEP_1)
	v_cmpx_gt_u32_e32 0x47800000, v10
	s_xor_b32 s10, exec_lo, s10
	s_cbranch_execz .LBB371_1578
; %bb.1573:
	s_mov_b32 s13, exec_lo
                                        ; implicit-def: $vgpr9
	v_cmpx_lt_u32_e32 0x387fffff, v10
	s_xor_b32 s13, exec_lo, s13
; %bb.1574:
	v_bfe_u32 v9, v10, 21, 1
	s_delay_alu instid0(VALU_DEP_1) | instskip(NEXT) | instid1(VALU_DEP_1)
	v_add3_u32 v9, v10, v9, 0x80fffff
                                        ; implicit-def: $vgpr10
	v_lshrrev_b32_e32 v9, 21, v9
; %bb.1575:
	s_and_not1_saveexec_b32 s13, s13
; %bb.1576:
	v_add_f32_e32 v9, 0x43000000, v10
; %bb.1577:
	s_or_b32 exec_lo, exec_lo, s13
                                        ; implicit-def: $vgpr10
.LBB371_1578:
	s_and_not1_saveexec_b32 s10, s10
; %bb.1579:
	v_mov_b32_e32 v9, 0x7f
	v_cmp_lt_u32_e32 vcc_lo, 0x7f800000, v10
	s_delay_alu instid0(VALU_DEP_2)
	v_cndmask_b32_e32 v9, 0x7c, v9, vcc_lo
; %bb.1580:
	s_or_b32 exec_lo, exec_lo, s10
	global_store_b8 v[0:1], v9, off
.LBB371_1581:
	s_mov_b32 s10, 0
	s_mov_b32 s13, -1
.LBB371_1582:
	s_and_not1_b32 vcc_lo, exec_lo, s10
	s_mov_b32 s10, 0
	s_cbranch_vccnz .LBB371_1589
; %bb.1583:
	s_cmp_gt_i32 s7, 14
	s_mov_b32 s10, -1
	s_cbranch_scc0 .LBB371_1587
; %bb.1584:
	s_cmp_eq_u32 s7, 15
	s_mov_b32 s0, -1
	s_cbranch_scc0 .LBB371_1586
; %bb.1585:
	s_wait_xcnt 0x0
	v_cndmask_b32_e64 v9, 0, 1.0, s6
	s_mov_b32 s0, 0
	s_mov_b32 s13, -1
	s_delay_alu instid0(VALU_DEP_1) | instskip(NEXT) | instid1(VALU_DEP_1)
	v_bfe_u32 v10, v9, 16, 1
	v_add3_u32 v9, v9, v10, 0x7fff
	global_store_d16_hi_b16 v[0:1], v9, off
.LBB371_1586:
	s_mov_b32 s10, 0
.LBB371_1587:
	s_delay_alu instid0(SALU_CYCLE_1)
	s_and_b32 vcc_lo, exec_lo, s10
	s_mov_b32 s10, 0
	s_cbranch_vccz .LBB371_1589
; %bb.1588:
	s_cmp_lg_u32 s7, 11
	s_mov_b32 s10, -1
	s_cselect_b32 s0, -1, 0
.LBB371_1589:
	s_delay_alu instid0(SALU_CYCLE_1)
	s_and_b32 vcc_lo, exec_lo, s0
	s_cbranch_vccnz .LBB371_1996
; %bb.1590:
	s_and_not1_b32 vcc_lo, exec_lo, s10
	s_cbranch_vccnz .LBB371_1592
.LBB371_1591:
	s_wait_xcnt 0x0
	v_cndmask_b32_e64 v9, 0, 1, s6
	s_mov_b32 s13, -1
	global_store_b8 v[0:1], v9, off
.LBB371_1592:
.LBB371_1593:
	s_and_not1_b32 vcc_lo, exec_lo, s13
	s_cbranch_vccnz .LBB371_1947
	s_branch .LBB371_1633
.LBB371_1594:
	s_and_b32 vcc_lo, exec_lo, s0
	s_cbranch_vccz .LBB371_1593
; %bb.1595:
	s_and_b32 s0, 0xffff, s15
	s_mov_b32 s7, -1
	s_cmp_lt_i32 s0, 5
	s_cbranch_scc1 .LBB371_1616
; %bb.1596:
	s_cmp_lt_i32 s0, 8
	s_cbranch_scc1 .LBB371_1606
; %bb.1597:
	;; [unrolled: 3-line block ×3, first 2 shown]
	s_cmp_gt_i32 s0, 9
	s_cbranch_scc0 .LBB371_1600
; %bb.1599:
	s_wait_xcnt 0x0
	v_cndmask_b32_e64 v9, 0, 1, s6
	v_mov_b32_e32 v12, 0
	s_mov_b32 s7, 0
	s_delay_alu instid0(VALU_DEP_2) | instskip(NEXT) | instid1(VALU_DEP_2)
	v_cvt_f64_u32_e32 v[10:11], v9
	v_mov_b32_e32 v13, v12
	global_store_b128 v[0:1], v[10:13], off
.LBB371_1600:
	s_and_not1_b32 vcc_lo, exec_lo, s7
	s_cbranch_vccnz .LBB371_1602
; %bb.1601:
	s_wait_xcnt 0x0
	v_cndmask_b32_e64 v10, 0, 1.0, s6
	v_mov_b32_e32 v11, 0
	global_store_b64 v[0:1], v[10:11], off
.LBB371_1602:
	s_mov_b32 s7, 0
.LBB371_1603:
	s_delay_alu instid0(SALU_CYCLE_1)
	s_and_not1_b32 vcc_lo, exec_lo, s7
	s_cbranch_vccnz .LBB371_1605
; %bb.1604:
	s_wait_xcnt 0x0
	v_cndmask_b32_e64 v9, 0, 1.0, s6
	s_delay_alu instid0(VALU_DEP_1) | instskip(NEXT) | instid1(VALU_DEP_1)
	v_cvt_f16_f32_e32 v9, v9
	v_and_b32_e32 v9, 0xffff, v9
	global_store_b32 v[0:1], v9, off
.LBB371_1605:
	s_mov_b32 s7, 0
.LBB371_1606:
	s_delay_alu instid0(SALU_CYCLE_1)
	s_and_not1_b32 vcc_lo, exec_lo, s7
	s_cbranch_vccnz .LBB371_1615
; %bb.1607:
	s_cmp_lt_i32 s0, 6
	s_mov_b32 s7, -1
	s_cbranch_scc1 .LBB371_1613
; %bb.1608:
	s_cmp_gt_i32 s0, 6
	s_cbranch_scc0 .LBB371_1610
; %bb.1609:
	s_wait_xcnt 0x0
	v_cndmask_b32_e64 v9, 0, 1, s6
	s_mov_b32 s7, 0
	s_delay_alu instid0(VALU_DEP_1)
	v_cvt_f64_u32_e32 v[10:11], v9
	global_store_b64 v[0:1], v[10:11], off
.LBB371_1610:
	s_and_not1_b32 vcc_lo, exec_lo, s7
	s_cbranch_vccnz .LBB371_1612
; %bb.1611:
	s_wait_xcnt 0x0
	v_cndmask_b32_e64 v9, 0, 1.0, s6
	global_store_b32 v[0:1], v9, off
.LBB371_1612:
	s_mov_b32 s7, 0
.LBB371_1613:
	s_delay_alu instid0(SALU_CYCLE_1)
	s_and_not1_b32 vcc_lo, exec_lo, s7
	s_cbranch_vccnz .LBB371_1615
; %bb.1614:
	s_wait_xcnt 0x0
	v_cndmask_b32_e64 v9, 0, 1.0, s6
	s_delay_alu instid0(VALU_DEP_1)
	v_cvt_f16_f32_e32 v9, v9
	global_store_b16 v[0:1], v9, off
.LBB371_1615:
	s_mov_b32 s7, 0
.LBB371_1616:
	s_delay_alu instid0(SALU_CYCLE_1)
	s_and_not1_b32 vcc_lo, exec_lo, s7
	s_cbranch_vccnz .LBB371_1632
; %bb.1617:
	s_cmp_lt_i32 s0, 2
	s_mov_b32 s7, -1
	s_cbranch_scc1 .LBB371_1627
; %bb.1618:
	s_cmp_lt_i32 s0, 3
	s_cbranch_scc1 .LBB371_1624
; %bb.1619:
	s_cmp_gt_i32 s0, 3
	s_cbranch_scc0 .LBB371_1621
; %bb.1620:
	s_mov_b32 s7, 0
	s_wait_xcnt 0x0
	v_cndmask_b32_e64 v10, 0, 1, s6
	v_mov_b32_e32 v11, s7
	global_store_b64 v[0:1], v[10:11], off
.LBB371_1621:
	s_and_not1_b32 vcc_lo, exec_lo, s7
	s_cbranch_vccnz .LBB371_1623
; %bb.1622:
	s_wait_xcnt 0x0
	v_cndmask_b32_e64 v9, 0, 1, s6
	global_store_b32 v[0:1], v9, off
.LBB371_1623:
	s_mov_b32 s7, 0
.LBB371_1624:
	s_delay_alu instid0(SALU_CYCLE_1)
	s_and_not1_b32 vcc_lo, exec_lo, s7
	s_cbranch_vccnz .LBB371_1626
; %bb.1625:
	s_wait_xcnt 0x0
	v_cndmask_b32_e64 v9, 0, 1, s6
	global_store_b16 v[0:1], v9, off
.LBB371_1626:
	s_mov_b32 s7, 0
.LBB371_1627:
	s_delay_alu instid0(SALU_CYCLE_1)
	s_and_not1_b32 vcc_lo, exec_lo, s7
	s_cbranch_vccnz .LBB371_1632
; %bb.1628:
	s_wait_xcnt 0x0
	v_cndmask_b32_e64 v9, 0, 1, s6
	s_cmp_gt_i32 s0, 0
	s_mov_b32 s0, -1
	s_cbranch_scc0 .LBB371_1630
; %bb.1629:
	s_mov_b32 s0, 0
	global_store_b8 v[0:1], v9, off
.LBB371_1630:
	s_and_not1_b32 vcc_lo, exec_lo, s0
	s_cbranch_vccnz .LBB371_1632
; %bb.1631:
	global_store_b8 v[0:1], v9, off
.LBB371_1632:
.LBB371_1633:
	s_lshl_b32 s6, s12, 7
	v_cmp_ne_u64_e32 vcc_lo, s[8:9], v[2:3]
	s_wait_xcnt 0x0
	v_add_nc_u32_e32 v0, s6, v8
	s_delay_alu instid0(VALU_DEP_1) | instskip(SKIP_2) | instid1(VALU_DEP_1)
	v_ashrrev_i32_e32 v1, 31, v0
	s_xor_b32 s7, s2, vcc_lo
	s_cmp_lt_i32 s15, 11
	v_add_nc_u64_e32 v[2:3], s[4:5], v[0:1]
	s_cbranch_scc1 .LBB371_1711
; %bb.1634:
	s_and_b32 s10, 0xffff, s15
	s_mov_b32 s14, -1
	s_mov_b32 s12, 0
	s_cmp_gt_i32 s10, 25
	s_mov_b32 s13, 0
	s_mov_b32 s0, 0
	s_cbranch_scc0 .LBB371_1667
; %bb.1635:
	s_cmp_gt_i32 s10, 28
	s_cbranch_scc0 .LBB371_1650
; %bb.1636:
	s_cmp_gt_i32 s10, 43
	;; [unrolled: 3-line block ×3, first 2 shown]
	s_cbranch_scc0 .LBB371_1640
; %bb.1638:
	s_mov_b32 s0, -1
	s_mov_b32 s14, 0
	s_cmp_eq_u32 s10, 46
	s_cbranch_scc0 .LBB371_1640
; %bb.1639:
	v_cndmask_b32_e64 v1, 0, 1.0, s7
	s_mov_b32 s0, 0
	s_mov_b32 s13, -1
	s_delay_alu instid0(VALU_DEP_1) | instskip(NEXT) | instid1(VALU_DEP_1)
	v_bfe_u32 v8, v1, 16, 1
	v_add3_u32 v1, v1, v8, 0x7fff
	s_delay_alu instid0(VALU_DEP_1)
	v_lshrrev_b32_e32 v1, 16, v1
	global_store_b32 v[2:3], v1, off
.LBB371_1640:
	s_and_b32 vcc_lo, exec_lo, s14
	s_cbranch_vccz .LBB371_1645
; %bb.1641:
	s_cmp_eq_u32 s10, 44
	s_mov_b32 s0, -1
	s_cbranch_scc0 .LBB371_1645
; %bb.1642:
	v_cndmask_b32_e64 v9, 0, 1.0, s7
	s_mov_b32 s13, exec_lo
	s_wait_xcnt 0x0
	s_delay_alu instid0(VALU_DEP_1) | instskip(NEXT) | instid1(VALU_DEP_1)
	v_dual_mov_b32 v8, 0xff :: v_dual_lshrrev_b32 v1, 23, v9
	v_cmpx_ne_u32_e32 0xff, v1
; %bb.1643:
	v_and_b32_e32 v8, 0x400000, v9
	v_and_or_b32 v9, 0x3fffff, v9, v1
	s_delay_alu instid0(VALU_DEP_2) | instskip(NEXT) | instid1(VALU_DEP_2)
	v_cmp_ne_u32_e32 vcc_lo, 0, v8
	v_cmp_ne_u32_e64 s0, 0, v9
	s_and_b32 s0, vcc_lo, s0
	s_delay_alu instid0(SALU_CYCLE_1) | instskip(NEXT) | instid1(VALU_DEP_1)
	v_cndmask_b32_e64 v8, 0, 1, s0
	v_add_nc_u32_e32 v8, v1, v8
; %bb.1644:
	s_or_b32 exec_lo, exec_lo, s13
	s_mov_b32 s0, 0
	s_mov_b32 s13, -1
	global_store_b8 v[2:3], v8, off
.LBB371_1645:
	s_mov_b32 s14, 0
.LBB371_1646:
	s_delay_alu instid0(SALU_CYCLE_1)
	s_and_b32 vcc_lo, exec_lo, s14
	s_cbranch_vccz .LBB371_1649
; %bb.1647:
	s_cmp_eq_u32 s10, 29
	s_mov_b32 s0, -1
	s_cbranch_scc0 .LBB371_1649
; %bb.1648:
	s_mov_b32 s0, 0
	s_wait_xcnt 0x0
	v_cndmask_b32_e64 v8, 0, 1, s7
	v_mov_b32_e32 v9, s0
	s_mov_b32 s13, -1
	global_store_b64 v[2:3], v[8:9], off
.LBB371_1649:
	s_mov_b32 s14, 0
.LBB371_1650:
	s_delay_alu instid0(SALU_CYCLE_1)
	s_and_b32 vcc_lo, exec_lo, s14
	s_cbranch_vccz .LBB371_1666
; %bb.1651:
	s_cmp_lt_i32 s10, 27
	s_mov_b32 s13, -1
	s_cbranch_scc1 .LBB371_1657
; %bb.1652:
	s_cmp_gt_i32 s10, 27
	s_cbranch_scc0 .LBB371_1654
; %bb.1653:
	s_wait_xcnt 0x0
	v_cndmask_b32_e64 v1, 0, 1, s7
	s_mov_b32 s13, 0
	global_store_b32 v[2:3], v1, off
.LBB371_1654:
	s_and_not1_b32 vcc_lo, exec_lo, s13
	s_cbranch_vccnz .LBB371_1656
; %bb.1655:
	s_wait_xcnt 0x0
	v_cndmask_b32_e64 v1, 0, 1, s7
	global_store_b16 v[2:3], v1, off
.LBB371_1656:
	s_mov_b32 s13, 0
.LBB371_1657:
	s_delay_alu instid0(SALU_CYCLE_1)
	s_and_not1_b32 vcc_lo, exec_lo, s13
	s_cbranch_vccnz .LBB371_1665
; %bb.1658:
	s_wait_xcnt 0x0
	v_cndmask_b32_e64 v8, 0, 1.0, s7
	v_mov_b32_e32 v9, 0x80
	s_mov_b32 s13, exec_lo
	s_delay_alu instid0(VALU_DEP_2)
	v_cmpx_gt_u32_e32 0x43800000, v8
	s_cbranch_execz .LBB371_1664
; %bb.1659:
	s_mov_b32 s14, 0
	s_mov_b32 s16, exec_lo
                                        ; implicit-def: $vgpr1
	v_cmpx_lt_u32_e32 0x3bffffff, v8
	s_xor_b32 s16, exec_lo, s16
	s_cbranch_execz .LBB371_1999
; %bb.1660:
	v_bfe_u32 v1, v8, 20, 1
	s_mov_b32 s14, exec_lo
	s_delay_alu instid0(VALU_DEP_1) | instskip(NEXT) | instid1(VALU_DEP_1)
	v_add3_u32 v1, v8, v1, 0x487ffff
                                        ; implicit-def: $vgpr8
	v_lshrrev_b32_e32 v1, 20, v1
	s_and_not1_saveexec_b32 s16, s16
	s_cbranch_execnz .LBB371_2000
.LBB371_1661:
	s_or_b32 exec_lo, exec_lo, s16
	v_mov_b32_e32 v9, 0
	s_and_saveexec_b32 s16, s14
.LBB371_1662:
	v_mov_b32_e32 v9, v1
.LBB371_1663:
	s_or_b32 exec_lo, exec_lo, s16
.LBB371_1664:
	s_delay_alu instid0(SALU_CYCLE_1)
	s_or_b32 exec_lo, exec_lo, s13
	global_store_b8 v[2:3], v9, off
.LBB371_1665:
	s_mov_b32 s13, -1
.LBB371_1666:
	s_mov_b32 s14, 0
.LBB371_1667:
	s_delay_alu instid0(SALU_CYCLE_1)
	s_and_b32 vcc_lo, exec_lo, s14
	s_cbranch_vccz .LBB371_1707
; %bb.1668:
	s_cmp_gt_i32 s10, 22
	s_mov_b32 s12, -1
	s_cbranch_scc0 .LBB371_1700
; %bb.1669:
	s_cmp_lt_i32 s10, 24
	s_cbranch_scc1 .LBB371_1689
; %bb.1670:
	s_cmp_gt_i32 s10, 24
	s_cbranch_scc0 .LBB371_1678
; %bb.1671:
	s_wait_xcnt 0x0
	v_cndmask_b32_e64 v8, 0, 1.0, s7
	v_mov_b32_e32 v9, 0x80
	s_mov_b32 s12, exec_lo
	s_delay_alu instid0(VALU_DEP_2)
	v_cmpx_gt_u32_e32 0x47800000, v8
	s_cbranch_execz .LBB371_1677
; %bb.1672:
	s_mov_b32 s13, 0
	s_mov_b32 s14, exec_lo
                                        ; implicit-def: $vgpr1
	v_cmpx_lt_u32_e32 0x37ffffff, v8
	s_xor_b32 s14, exec_lo, s14
	s_cbranch_execz .LBB371_2002
; %bb.1673:
	v_bfe_u32 v1, v8, 21, 1
	s_mov_b32 s13, exec_lo
	s_delay_alu instid0(VALU_DEP_1) | instskip(NEXT) | instid1(VALU_DEP_1)
	v_add3_u32 v1, v8, v1, 0x88fffff
                                        ; implicit-def: $vgpr8
	v_lshrrev_b32_e32 v1, 21, v1
	s_and_not1_saveexec_b32 s14, s14
	s_cbranch_execnz .LBB371_2003
.LBB371_1674:
	s_or_b32 exec_lo, exec_lo, s14
	v_mov_b32_e32 v9, 0
	s_and_saveexec_b32 s14, s13
.LBB371_1675:
	v_mov_b32_e32 v9, v1
.LBB371_1676:
	s_or_b32 exec_lo, exec_lo, s14
.LBB371_1677:
	s_delay_alu instid0(SALU_CYCLE_1)
	s_or_b32 exec_lo, exec_lo, s12
	s_mov_b32 s12, 0
	global_store_b8 v[2:3], v9, off
.LBB371_1678:
	s_and_b32 vcc_lo, exec_lo, s12
	s_cbranch_vccz .LBB371_1688
; %bb.1679:
	s_wait_xcnt 0x0
	v_cndmask_b32_e64 v8, 0, 1.0, s7
	s_mov_b32 s12, exec_lo
                                        ; implicit-def: $vgpr1
	s_delay_alu instid0(VALU_DEP_1)
	v_cmpx_gt_u32_e32 0x43f00000, v8
	s_xor_b32 s12, exec_lo, s12
	s_cbranch_execz .LBB371_1685
; %bb.1680:
	s_mov_b32 s13, exec_lo
                                        ; implicit-def: $vgpr1
	v_cmpx_lt_u32_e32 0x3c7fffff, v8
	s_xor_b32 s13, exec_lo, s13
; %bb.1681:
	v_bfe_u32 v1, v8, 20, 1
	s_delay_alu instid0(VALU_DEP_1) | instskip(NEXT) | instid1(VALU_DEP_1)
	v_add3_u32 v1, v8, v1, 0x407ffff
	v_and_b32_e32 v8, 0xff00000, v1
	v_lshrrev_b32_e32 v1, 20, v1
	s_delay_alu instid0(VALU_DEP_2) | instskip(NEXT) | instid1(VALU_DEP_2)
	v_cmp_ne_u32_e32 vcc_lo, 0x7f00000, v8
                                        ; implicit-def: $vgpr8
	v_cndmask_b32_e32 v1, 0x7e, v1, vcc_lo
; %bb.1682:
	s_and_not1_saveexec_b32 s13, s13
; %bb.1683:
	v_add_f32_e32 v1, 0x46800000, v8
; %bb.1684:
	s_or_b32 exec_lo, exec_lo, s13
                                        ; implicit-def: $vgpr8
.LBB371_1685:
	s_and_not1_saveexec_b32 s12, s12
; %bb.1686:
	v_mov_b32_e32 v1, 0x7f
	v_cmp_lt_u32_e32 vcc_lo, 0x7f800000, v8
	s_delay_alu instid0(VALU_DEP_2)
	v_cndmask_b32_e32 v1, 0x7e, v1, vcc_lo
; %bb.1687:
	s_or_b32 exec_lo, exec_lo, s12
	global_store_b8 v[2:3], v1, off
.LBB371_1688:
	s_mov_b32 s12, 0
.LBB371_1689:
	s_delay_alu instid0(SALU_CYCLE_1)
	s_and_not1_b32 vcc_lo, exec_lo, s12
	s_cbranch_vccnz .LBB371_1699
; %bb.1690:
	s_wait_xcnt 0x0
	v_cndmask_b32_e64 v8, 0, 1.0, s7
	s_mov_b32 s12, exec_lo
                                        ; implicit-def: $vgpr1
	s_delay_alu instid0(VALU_DEP_1)
	v_cmpx_gt_u32_e32 0x47800000, v8
	s_xor_b32 s12, exec_lo, s12
	s_cbranch_execz .LBB371_1696
; %bb.1691:
	s_mov_b32 s13, exec_lo
                                        ; implicit-def: $vgpr1
	v_cmpx_lt_u32_e32 0x387fffff, v8
	s_xor_b32 s13, exec_lo, s13
; %bb.1692:
	v_bfe_u32 v1, v8, 21, 1
	s_delay_alu instid0(VALU_DEP_1) | instskip(NEXT) | instid1(VALU_DEP_1)
	v_add3_u32 v1, v8, v1, 0x80fffff
                                        ; implicit-def: $vgpr8
	v_lshrrev_b32_e32 v1, 21, v1
; %bb.1693:
	s_and_not1_saveexec_b32 s13, s13
; %bb.1694:
	v_add_f32_e32 v1, 0x43000000, v8
; %bb.1695:
	s_or_b32 exec_lo, exec_lo, s13
                                        ; implicit-def: $vgpr8
.LBB371_1696:
	s_and_not1_saveexec_b32 s12, s12
; %bb.1697:
	v_mov_b32_e32 v1, 0x7f
	v_cmp_lt_u32_e32 vcc_lo, 0x7f800000, v8
	s_delay_alu instid0(VALU_DEP_2)
	v_cndmask_b32_e32 v1, 0x7c, v1, vcc_lo
; %bb.1698:
	s_or_b32 exec_lo, exec_lo, s12
	global_store_b8 v[2:3], v1, off
.LBB371_1699:
	s_mov_b32 s12, 0
	s_mov_b32 s13, -1
.LBB371_1700:
	s_and_not1_b32 vcc_lo, exec_lo, s12
	s_mov_b32 s12, 0
	s_cbranch_vccnz .LBB371_1707
; %bb.1701:
	s_cmp_gt_i32 s10, 14
	s_mov_b32 s12, -1
	s_cbranch_scc0 .LBB371_1705
; %bb.1702:
	s_cmp_eq_u32 s10, 15
	s_mov_b32 s0, -1
	s_cbranch_scc0 .LBB371_1704
; %bb.1703:
	s_wait_xcnt 0x0
	v_cndmask_b32_e64 v1, 0, 1.0, s7
	s_mov_b32 s0, 0
	s_mov_b32 s13, -1
	s_delay_alu instid0(VALU_DEP_1) | instskip(NEXT) | instid1(VALU_DEP_1)
	v_bfe_u32 v8, v1, 16, 1
	v_add3_u32 v1, v1, v8, 0x7fff
	global_store_d16_hi_b16 v[2:3], v1, off
.LBB371_1704:
	s_mov_b32 s12, 0
.LBB371_1705:
	s_delay_alu instid0(SALU_CYCLE_1)
	s_and_b32 vcc_lo, exec_lo, s12
	s_mov_b32 s12, 0
	s_cbranch_vccz .LBB371_1707
; %bb.1706:
	s_cmp_lg_u32 s10, 11
	s_mov_b32 s12, -1
	s_cselect_b32 s0, -1, 0
.LBB371_1707:
	s_delay_alu instid0(SALU_CYCLE_1)
	s_and_b32 vcc_lo, exec_lo, s0
	s_cbranch_vccnz .LBB371_2001
; %bb.1708:
	s_and_not1_b32 vcc_lo, exec_lo, s12
	s_cbranch_vccnz .LBB371_1710
.LBB371_1709:
	s_wait_xcnt 0x0
	v_cndmask_b32_e64 v1, 0, 1, s7
	s_mov_b32 s13, -1
	global_store_b8 v[2:3], v1, off
.LBB371_1710:
	s_mov_b32 s0, 0
	s_branch .LBB371_1712
.LBB371_1711:
	s_mov_b32 s0, -1
	s_mov_b32 s13, 0
.LBB371_1712:
	s_and_b32 vcc_lo, exec_lo, s0
	s_cbranch_vccz .LBB371_1751
; %bb.1713:
	s_and_b32 s0, 0xffff, s15
	s_mov_b32 s10, -1
	s_cmp_lt_i32 s0, 5
	s_cbranch_scc1 .LBB371_1734
; %bb.1714:
	s_cmp_lt_i32 s0, 8
	s_cbranch_scc1 .LBB371_1724
; %bb.1715:
	;; [unrolled: 3-line block ×3, first 2 shown]
	s_cmp_gt_i32 s0, 9
	s_cbranch_scc0 .LBB371_1718
; %bb.1717:
	s_wait_xcnt 0x0
	v_cndmask_b32_e64 v1, 0, 1, s7
	v_mov_b32_e32 v10, 0
	s_mov_b32 s10, 0
	s_delay_alu instid0(VALU_DEP_2) | instskip(NEXT) | instid1(VALU_DEP_2)
	v_cvt_f64_u32_e32 v[8:9], v1
	v_mov_b32_e32 v11, v10
	global_store_b128 v[2:3], v[8:11], off
.LBB371_1718:
	s_and_not1_b32 vcc_lo, exec_lo, s10
	s_cbranch_vccnz .LBB371_1720
; %bb.1719:
	s_wait_xcnt 0x0
	v_cndmask_b32_e64 v8, 0, 1.0, s7
	v_mov_b32_e32 v9, 0
	global_store_b64 v[2:3], v[8:9], off
.LBB371_1720:
	s_mov_b32 s10, 0
.LBB371_1721:
	s_delay_alu instid0(SALU_CYCLE_1)
	s_and_not1_b32 vcc_lo, exec_lo, s10
	s_cbranch_vccnz .LBB371_1723
; %bb.1722:
	s_wait_xcnt 0x0
	v_cndmask_b32_e64 v1, 0, 1.0, s7
	s_delay_alu instid0(VALU_DEP_1) | instskip(NEXT) | instid1(VALU_DEP_1)
	v_cvt_f16_f32_e32 v1, v1
	v_and_b32_e32 v1, 0xffff, v1
	global_store_b32 v[2:3], v1, off
.LBB371_1723:
	s_mov_b32 s10, 0
.LBB371_1724:
	s_delay_alu instid0(SALU_CYCLE_1)
	s_and_not1_b32 vcc_lo, exec_lo, s10
	s_cbranch_vccnz .LBB371_1733
; %bb.1725:
	s_cmp_lt_i32 s0, 6
	s_mov_b32 s10, -1
	s_cbranch_scc1 .LBB371_1731
; %bb.1726:
	s_cmp_gt_i32 s0, 6
	s_cbranch_scc0 .LBB371_1728
; %bb.1727:
	s_wait_xcnt 0x0
	v_cndmask_b32_e64 v1, 0, 1, s7
	s_mov_b32 s10, 0
	s_delay_alu instid0(VALU_DEP_1)
	v_cvt_f64_u32_e32 v[8:9], v1
	global_store_b64 v[2:3], v[8:9], off
.LBB371_1728:
	s_and_not1_b32 vcc_lo, exec_lo, s10
	s_cbranch_vccnz .LBB371_1730
; %bb.1729:
	s_wait_xcnt 0x0
	v_cndmask_b32_e64 v1, 0, 1.0, s7
	global_store_b32 v[2:3], v1, off
.LBB371_1730:
	s_mov_b32 s10, 0
.LBB371_1731:
	s_delay_alu instid0(SALU_CYCLE_1)
	s_and_not1_b32 vcc_lo, exec_lo, s10
	s_cbranch_vccnz .LBB371_1733
; %bb.1732:
	s_wait_xcnt 0x0
	v_cndmask_b32_e64 v1, 0, 1.0, s7
	s_delay_alu instid0(VALU_DEP_1)
	v_cvt_f16_f32_e32 v1, v1
	global_store_b16 v[2:3], v1, off
.LBB371_1733:
	s_mov_b32 s10, 0
.LBB371_1734:
	s_delay_alu instid0(SALU_CYCLE_1)
	s_and_not1_b32 vcc_lo, exec_lo, s10
	s_cbranch_vccnz .LBB371_1750
; %bb.1735:
	s_cmp_lt_i32 s0, 2
	s_mov_b32 s10, -1
	s_cbranch_scc1 .LBB371_1745
; %bb.1736:
	s_cmp_lt_i32 s0, 3
	s_cbranch_scc1 .LBB371_1742
; %bb.1737:
	s_cmp_gt_i32 s0, 3
	s_cbranch_scc0 .LBB371_1739
; %bb.1738:
	s_mov_b32 s10, 0
	s_wait_xcnt 0x0
	v_cndmask_b32_e64 v8, 0, 1, s7
	v_mov_b32_e32 v9, s10
	global_store_b64 v[2:3], v[8:9], off
.LBB371_1739:
	s_and_not1_b32 vcc_lo, exec_lo, s10
	s_cbranch_vccnz .LBB371_1741
; %bb.1740:
	s_wait_xcnt 0x0
	v_cndmask_b32_e64 v1, 0, 1, s7
	global_store_b32 v[2:3], v1, off
.LBB371_1741:
	s_mov_b32 s10, 0
.LBB371_1742:
	s_delay_alu instid0(SALU_CYCLE_1)
	s_and_not1_b32 vcc_lo, exec_lo, s10
	s_cbranch_vccnz .LBB371_1744
; %bb.1743:
	s_wait_xcnt 0x0
	v_cndmask_b32_e64 v1, 0, 1, s7
	global_store_b16 v[2:3], v1, off
.LBB371_1744:
	s_mov_b32 s10, 0
.LBB371_1745:
	s_delay_alu instid0(SALU_CYCLE_1)
	s_and_not1_b32 vcc_lo, exec_lo, s10
	s_cbranch_vccnz .LBB371_1750
; %bb.1746:
	s_wait_xcnt 0x0
	v_cndmask_b32_e64 v1, 0, 1, s7
	s_cmp_gt_i32 s0, 0
	s_mov_b32 s0, -1
	s_cbranch_scc0 .LBB371_1748
; %bb.1747:
	s_mov_b32 s0, 0
	global_store_b8 v[2:3], v1, off
.LBB371_1748:
	s_and_not1_b32 vcc_lo, exec_lo, s0
	s_cbranch_vccnz .LBB371_1750
; %bb.1749:
	global_store_b8 v[2:3], v1, off
.LBB371_1750:
	s_mov_b32 s13, -1
.LBB371_1751:
	s_delay_alu instid0(SALU_CYCLE_1)
	s_and_not1_b32 vcc_lo, exec_lo, s13
	s_cbranch_vccnz .LBB371_1947
; %bb.1752:
	v_add_nc_u32_e32 v0, s6, v0
	v_cmp_ne_u64_e32 vcc_lo, s[8:9], v[4:5]
	s_wait_xcnt 0x0
	s_delay_alu instid0(VALU_DEP_2) | instskip(SKIP_2) | instid1(VALU_DEP_1)
	v_ashrrev_i32_e32 v1, 31, v0
	s_xor_b32 s7, s2, vcc_lo
	s_cmp_lt_i32 s15, 11
	v_add_nc_u64_e32 v[2:3], s[4:5], v[0:1]
	s_cbranch_scc1 .LBB371_1830
; %bb.1753:
	s_and_b32 s10, 0xffff, s15
	s_mov_b32 s14, -1
	s_mov_b32 s12, 0
	s_cmp_gt_i32 s10, 25
	s_mov_b32 s13, 0
	s_mov_b32 s0, 0
	s_cbranch_scc0 .LBB371_1786
; %bb.1754:
	s_cmp_gt_i32 s10, 28
	s_cbranch_scc0 .LBB371_1769
; %bb.1755:
	s_cmp_gt_i32 s10, 43
	;; [unrolled: 3-line block ×3, first 2 shown]
	s_cbranch_scc0 .LBB371_1759
; %bb.1757:
	s_mov_b32 s0, -1
	s_mov_b32 s14, 0
	s_cmp_eq_u32 s10, 46
	s_cbranch_scc0 .LBB371_1759
; %bb.1758:
	v_cndmask_b32_e64 v1, 0, 1.0, s7
	s_mov_b32 s0, 0
	s_mov_b32 s13, -1
	s_delay_alu instid0(VALU_DEP_1) | instskip(NEXT) | instid1(VALU_DEP_1)
	v_bfe_u32 v4, v1, 16, 1
	v_add3_u32 v1, v1, v4, 0x7fff
	s_delay_alu instid0(VALU_DEP_1)
	v_lshrrev_b32_e32 v1, 16, v1
	global_store_b32 v[2:3], v1, off
.LBB371_1759:
	s_and_b32 vcc_lo, exec_lo, s14
	s_cbranch_vccz .LBB371_1764
; %bb.1760:
	s_cmp_eq_u32 s10, 44
	s_mov_b32 s0, -1
	s_cbranch_scc0 .LBB371_1764
; %bb.1761:
	v_cndmask_b32_e64 v5, 0, 1.0, s7
	s_mov_b32 s13, exec_lo
	s_wait_xcnt 0x0
	s_delay_alu instid0(VALU_DEP_1) | instskip(NEXT) | instid1(VALU_DEP_1)
	v_dual_mov_b32 v4, 0xff :: v_dual_lshrrev_b32 v1, 23, v5
	v_cmpx_ne_u32_e32 0xff, v1
; %bb.1762:
	v_and_b32_e32 v4, 0x400000, v5
	v_and_or_b32 v5, 0x3fffff, v5, v1
	s_delay_alu instid0(VALU_DEP_2) | instskip(NEXT) | instid1(VALU_DEP_2)
	v_cmp_ne_u32_e32 vcc_lo, 0, v4
	v_cmp_ne_u32_e64 s0, 0, v5
	s_and_b32 s0, vcc_lo, s0
	s_delay_alu instid0(SALU_CYCLE_1) | instskip(NEXT) | instid1(VALU_DEP_1)
	v_cndmask_b32_e64 v4, 0, 1, s0
	v_add_nc_u32_e32 v4, v1, v4
; %bb.1763:
	s_or_b32 exec_lo, exec_lo, s13
	s_mov_b32 s0, 0
	s_mov_b32 s13, -1
	global_store_b8 v[2:3], v4, off
.LBB371_1764:
	s_mov_b32 s14, 0
.LBB371_1765:
	s_delay_alu instid0(SALU_CYCLE_1)
	s_and_b32 vcc_lo, exec_lo, s14
	s_cbranch_vccz .LBB371_1768
; %bb.1766:
	s_cmp_eq_u32 s10, 29
	s_mov_b32 s0, -1
	s_cbranch_scc0 .LBB371_1768
; %bb.1767:
	s_mov_b32 s0, 0
	s_wait_xcnt 0x0
	v_cndmask_b32_e64 v4, 0, 1, s7
	v_mov_b32_e32 v5, s0
	s_mov_b32 s13, -1
	global_store_b64 v[2:3], v[4:5], off
.LBB371_1768:
	s_mov_b32 s14, 0
.LBB371_1769:
	s_delay_alu instid0(SALU_CYCLE_1)
	s_and_b32 vcc_lo, exec_lo, s14
	s_cbranch_vccz .LBB371_1785
; %bb.1770:
	s_cmp_lt_i32 s10, 27
	s_mov_b32 s13, -1
	s_cbranch_scc1 .LBB371_1776
; %bb.1771:
	s_cmp_gt_i32 s10, 27
	s_cbranch_scc0 .LBB371_1773
; %bb.1772:
	s_wait_xcnt 0x0
	v_cndmask_b32_e64 v1, 0, 1, s7
	s_mov_b32 s13, 0
	global_store_b32 v[2:3], v1, off
.LBB371_1773:
	s_and_not1_b32 vcc_lo, exec_lo, s13
	s_cbranch_vccnz .LBB371_1775
; %bb.1774:
	s_wait_xcnt 0x0
	v_cndmask_b32_e64 v1, 0, 1, s7
	global_store_b16 v[2:3], v1, off
.LBB371_1775:
	s_mov_b32 s13, 0
.LBB371_1776:
	s_delay_alu instid0(SALU_CYCLE_1)
	s_and_not1_b32 vcc_lo, exec_lo, s13
	s_cbranch_vccnz .LBB371_1784
; %bb.1777:
	s_wait_xcnt 0x0
	v_cndmask_b32_e64 v4, 0, 1.0, s7
	v_mov_b32_e32 v5, 0x80
	s_mov_b32 s13, exec_lo
	s_delay_alu instid0(VALU_DEP_2)
	v_cmpx_gt_u32_e32 0x43800000, v4
	s_cbranch_execz .LBB371_1783
; %bb.1778:
	s_mov_b32 s14, 0
	s_mov_b32 s16, exec_lo
                                        ; implicit-def: $vgpr1
	v_cmpx_lt_u32_e32 0x3bffffff, v4
	s_xor_b32 s16, exec_lo, s16
	s_cbranch_execz .LBB371_2004
; %bb.1779:
	v_bfe_u32 v1, v4, 20, 1
	s_mov_b32 s14, exec_lo
	s_delay_alu instid0(VALU_DEP_1) | instskip(NEXT) | instid1(VALU_DEP_1)
	v_add3_u32 v1, v4, v1, 0x487ffff
                                        ; implicit-def: $vgpr4
	v_lshrrev_b32_e32 v1, 20, v1
	s_and_not1_saveexec_b32 s16, s16
	s_cbranch_execnz .LBB371_2005
.LBB371_1780:
	s_or_b32 exec_lo, exec_lo, s16
	v_mov_b32_e32 v5, 0
	s_and_saveexec_b32 s16, s14
.LBB371_1781:
	v_mov_b32_e32 v5, v1
.LBB371_1782:
	s_or_b32 exec_lo, exec_lo, s16
.LBB371_1783:
	s_delay_alu instid0(SALU_CYCLE_1)
	s_or_b32 exec_lo, exec_lo, s13
	global_store_b8 v[2:3], v5, off
.LBB371_1784:
	s_mov_b32 s13, -1
.LBB371_1785:
	s_mov_b32 s14, 0
.LBB371_1786:
	s_delay_alu instid0(SALU_CYCLE_1)
	s_and_b32 vcc_lo, exec_lo, s14
	s_cbranch_vccz .LBB371_1826
; %bb.1787:
	s_cmp_gt_i32 s10, 22
	s_mov_b32 s12, -1
	s_cbranch_scc0 .LBB371_1819
; %bb.1788:
	s_cmp_lt_i32 s10, 24
	s_cbranch_scc1 .LBB371_1808
; %bb.1789:
	s_cmp_gt_i32 s10, 24
	s_cbranch_scc0 .LBB371_1797
; %bb.1790:
	s_wait_xcnt 0x0
	v_cndmask_b32_e64 v4, 0, 1.0, s7
	v_mov_b32_e32 v5, 0x80
	s_mov_b32 s12, exec_lo
	s_delay_alu instid0(VALU_DEP_2)
	v_cmpx_gt_u32_e32 0x47800000, v4
	s_cbranch_execz .LBB371_1796
; %bb.1791:
	s_mov_b32 s13, 0
	s_mov_b32 s14, exec_lo
                                        ; implicit-def: $vgpr1
	v_cmpx_lt_u32_e32 0x37ffffff, v4
	s_xor_b32 s14, exec_lo, s14
	s_cbranch_execz .LBB371_2007
; %bb.1792:
	v_bfe_u32 v1, v4, 21, 1
	s_mov_b32 s13, exec_lo
	s_delay_alu instid0(VALU_DEP_1) | instskip(NEXT) | instid1(VALU_DEP_1)
	v_add3_u32 v1, v4, v1, 0x88fffff
                                        ; implicit-def: $vgpr4
	v_lshrrev_b32_e32 v1, 21, v1
	s_and_not1_saveexec_b32 s14, s14
	s_cbranch_execnz .LBB371_2008
.LBB371_1793:
	s_or_b32 exec_lo, exec_lo, s14
	v_mov_b32_e32 v5, 0
	s_and_saveexec_b32 s14, s13
.LBB371_1794:
	v_mov_b32_e32 v5, v1
.LBB371_1795:
	s_or_b32 exec_lo, exec_lo, s14
.LBB371_1796:
	s_delay_alu instid0(SALU_CYCLE_1)
	s_or_b32 exec_lo, exec_lo, s12
	s_mov_b32 s12, 0
	global_store_b8 v[2:3], v5, off
.LBB371_1797:
	s_and_b32 vcc_lo, exec_lo, s12
	s_cbranch_vccz .LBB371_1807
; %bb.1798:
	s_wait_xcnt 0x0
	v_cndmask_b32_e64 v4, 0, 1.0, s7
	s_mov_b32 s12, exec_lo
                                        ; implicit-def: $vgpr1
	s_delay_alu instid0(VALU_DEP_1)
	v_cmpx_gt_u32_e32 0x43f00000, v4
	s_xor_b32 s12, exec_lo, s12
	s_cbranch_execz .LBB371_1804
; %bb.1799:
	s_mov_b32 s13, exec_lo
                                        ; implicit-def: $vgpr1
	v_cmpx_lt_u32_e32 0x3c7fffff, v4
	s_xor_b32 s13, exec_lo, s13
; %bb.1800:
	v_bfe_u32 v1, v4, 20, 1
	s_delay_alu instid0(VALU_DEP_1) | instskip(NEXT) | instid1(VALU_DEP_1)
	v_add3_u32 v1, v4, v1, 0x407ffff
	v_and_b32_e32 v4, 0xff00000, v1
	v_lshrrev_b32_e32 v1, 20, v1
	s_delay_alu instid0(VALU_DEP_2) | instskip(NEXT) | instid1(VALU_DEP_2)
	v_cmp_ne_u32_e32 vcc_lo, 0x7f00000, v4
                                        ; implicit-def: $vgpr4
	v_cndmask_b32_e32 v1, 0x7e, v1, vcc_lo
; %bb.1801:
	s_and_not1_saveexec_b32 s13, s13
; %bb.1802:
	v_add_f32_e32 v1, 0x46800000, v4
; %bb.1803:
	s_or_b32 exec_lo, exec_lo, s13
                                        ; implicit-def: $vgpr4
.LBB371_1804:
	s_and_not1_saveexec_b32 s12, s12
; %bb.1805:
	v_mov_b32_e32 v1, 0x7f
	v_cmp_lt_u32_e32 vcc_lo, 0x7f800000, v4
	s_delay_alu instid0(VALU_DEP_2)
	v_cndmask_b32_e32 v1, 0x7e, v1, vcc_lo
; %bb.1806:
	s_or_b32 exec_lo, exec_lo, s12
	global_store_b8 v[2:3], v1, off
.LBB371_1807:
	s_mov_b32 s12, 0
.LBB371_1808:
	s_delay_alu instid0(SALU_CYCLE_1)
	s_and_not1_b32 vcc_lo, exec_lo, s12
	s_cbranch_vccnz .LBB371_1818
; %bb.1809:
	s_wait_xcnt 0x0
	v_cndmask_b32_e64 v4, 0, 1.0, s7
	s_mov_b32 s12, exec_lo
                                        ; implicit-def: $vgpr1
	s_delay_alu instid0(VALU_DEP_1)
	v_cmpx_gt_u32_e32 0x47800000, v4
	s_xor_b32 s12, exec_lo, s12
	s_cbranch_execz .LBB371_1815
; %bb.1810:
	s_mov_b32 s13, exec_lo
                                        ; implicit-def: $vgpr1
	v_cmpx_lt_u32_e32 0x387fffff, v4
	s_xor_b32 s13, exec_lo, s13
; %bb.1811:
	v_bfe_u32 v1, v4, 21, 1
	s_delay_alu instid0(VALU_DEP_1) | instskip(NEXT) | instid1(VALU_DEP_1)
	v_add3_u32 v1, v4, v1, 0x80fffff
                                        ; implicit-def: $vgpr4
	v_lshrrev_b32_e32 v1, 21, v1
; %bb.1812:
	s_and_not1_saveexec_b32 s13, s13
; %bb.1813:
	v_add_f32_e32 v1, 0x43000000, v4
; %bb.1814:
	s_or_b32 exec_lo, exec_lo, s13
                                        ; implicit-def: $vgpr4
.LBB371_1815:
	s_and_not1_saveexec_b32 s12, s12
; %bb.1816:
	v_mov_b32_e32 v1, 0x7f
	v_cmp_lt_u32_e32 vcc_lo, 0x7f800000, v4
	s_delay_alu instid0(VALU_DEP_2)
	v_cndmask_b32_e32 v1, 0x7c, v1, vcc_lo
; %bb.1817:
	s_or_b32 exec_lo, exec_lo, s12
	global_store_b8 v[2:3], v1, off
.LBB371_1818:
	s_mov_b32 s12, 0
	s_mov_b32 s13, -1
.LBB371_1819:
	s_and_not1_b32 vcc_lo, exec_lo, s12
	s_mov_b32 s12, 0
	s_cbranch_vccnz .LBB371_1826
; %bb.1820:
	s_cmp_gt_i32 s10, 14
	s_mov_b32 s12, -1
	s_cbranch_scc0 .LBB371_1824
; %bb.1821:
	s_cmp_eq_u32 s10, 15
	s_mov_b32 s0, -1
	s_cbranch_scc0 .LBB371_1823
; %bb.1822:
	s_wait_xcnt 0x0
	v_cndmask_b32_e64 v1, 0, 1.0, s7
	s_mov_b32 s0, 0
	s_mov_b32 s13, -1
	s_delay_alu instid0(VALU_DEP_1) | instskip(NEXT) | instid1(VALU_DEP_1)
	v_bfe_u32 v4, v1, 16, 1
	v_add3_u32 v1, v1, v4, 0x7fff
	global_store_d16_hi_b16 v[2:3], v1, off
.LBB371_1823:
	s_mov_b32 s12, 0
.LBB371_1824:
	s_delay_alu instid0(SALU_CYCLE_1)
	s_and_b32 vcc_lo, exec_lo, s12
	s_mov_b32 s12, 0
	s_cbranch_vccz .LBB371_1826
; %bb.1825:
	s_cmp_lg_u32 s10, 11
	s_mov_b32 s12, -1
	s_cselect_b32 s0, -1, 0
.LBB371_1826:
	s_delay_alu instid0(SALU_CYCLE_1)
	s_and_b32 vcc_lo, exec_lo, s0
	s_cbranch_vccnz .LBB371_2006
; %bb.1827:
	s_and_not1_b32 vcc_lo, exec_lo, s12
	s_cbranch_vccnz .LBB371_1829
.LBB371_1828:
	s_wait_xcnt 0x0
	v_cndmask_b32_e64 v1, 0, 1, s7
	s_mov_b32 s13, -1
	global_store_b8 v[2:3], v1, off
.LBB371_1829:
	s_mov_b32 s0, 0
	s_branch .LBB371_1831
.LBB371_1830:
	s_mov_b32 s0, -1
	s_mov_b32 s13, 0
.LBB371_1831:
	s_and_b32 vcc_lo, exec_lo, s0
	s_cbranch_vccz .LBB371_1870
; %bb.1832:
	s_and_b32 s0, 0xffff, s15
	s_mov_b32 s10, -1
	s_cmp_lt_i32 s0, 5
	s_cbranch_scc1 .LBB371_1853
; %bb.1833:
	s_cmp_lt_i32 s0, 8
	s_cbranch_scc1 .LBB371_1843
; %bb.1834:
	;; [unrolled: 3-line block ×3, first 2 shown]
	s_cmp_gt_i32 s0, 9
	s_cbranch_scc0 .LBB371_1837
; %bb.1836:
	s_wait_xcnt 0x0
	v_cndmask_b32_e64 v1, 0, 1, s7
	v_mov_b32_e32 v10, 0
	s_mov_b32 s10, 0
	s_delay_alu instid0(VALU_DEP_2) | instskip(NEXT) | instid1(VALU_DEP_2)
	v_cvt_f64_u32_e32 v[8:9], v1
	v_mov_b32_e32 v11, v10
	global_store_b128 v[2:3], v[8:11], off
.LBB371_1837:
	s_and_not1_b32 vcc_lo, exec_lo, s10
	s_cbranch_vccnz .LBB371_1839
; %bb.1838:
	s_wait_xcnt 0x0
	v_cndmask_b32_e64 v4, 0, 1.0, s7
	v_mov_b32_e32 v5, 0
	global_store_b64 v[2:3], v[4:5], off
.LBB371_1839:
	s_mov_b32 s10, 0
.LBB371_1840:
	s_delay_alu instid0(SALU_CYCLE_1)
	s_and_not1_b32 vcc_lo, exec_lo, s10
	s_cbranch_vccnz .LBB371_1842
; %bb.1841:
	s_wait_xcnt 0x0
	v_cndmask_b32_e64 v1, 0, 1.0, s7
	s_delay_alu instid0(VALU_DEP_1) | instskip(NEXT) | instid1(VALU_DEP_1)
	v_cvt_f16_f32_e32 v1, v1
	v_and_b32_e32 v1, 0xffff, v1
	global_store_b32 v[2:3], v1, off
.LBB371_1842:
	s_mov_b32 s10, 0
.LBB371_1843:
	s_delay_alu instid0(SALU_CYCLE_1)
	s_and_not1_b32 vcc_lo, exec_lo, s10
	s_cbranch_vccnz .LBB371_1852
; %bb.1844:
	s_cmp_lt_i32 s0, 6
	s_mov_b32 s10, -1
	s_cbranch_scc1 .LBB371_1850
; %bb.1845:
	s_cmp_gt_i32 s0, 6
	s_cbranch_scc0 .LBB371_1847
; %bb.1846:
	s_wait_xcnt 0x0
	v_cndmask_b32_e64 v1, 0, 1, s7
	s_mov_b32 s10, 0
	s_delay_alu instid0(VALU_DEP_1)
	v_cvt_f64_u32_e32 v[4:5], v1
	global_store_b64 v[2:3], v[4:5], off
.LBB371_1847:
	s_and_not1_b32 vcc_lo, exec_lo, s10
	s_cbranch_vccnz .LBB371_1849
; %bb.1848:
	s_wait_xcnt 0x0
	v_cndmask_b32_e64 v1, 0, 1.0, s7
	global_store_b32 v[2:3], v1, off
.LBB371_1849:
	s_mov_b32 s10, 0
.LBB371_1850:
	s_delay_alu instid0(SALU_CYCLE_1)
	s_and_not1_b32 vcc_lo, exec_lo, s10
	s_cbranch_vccnz .LBB371_1852
; %bb.1851:
	s_wait_xcnt 0x0
	v_cndmask_b32_e64 v1, 0, 1.0, s7
	s_delay_alu instid0(VALU_DEP_1)
	v_cvt_f16_f32_e32 v1, v1
	global_store_b16 v[2:3], v1, off
.LBB371_1852:
	s_mov_b32 s10, 0
.LBB371_1853:
	s_delay_alu instid0(SALU_CYCLE_1)
	s_and_not1_b32 vcc_lo, exec_lo, s10
	s_cbranch_vccnz .LBB371_1869
; %bb.1854:
	s_cmp_lt_i32 s0, 2
	s_mov_b32 s10, -1
	s_cbranch_scc1 .LBB371_1864
; %bb.1855:
	s_cmp_lt_i32 s0, 3
	s_cbranch_scc1 .LBB371_1861
; %bb.1856:
	s_cmp_gt_i32 s0, 3
	s_cbranch_scc0 .LBB371_1858
; %bb.1857:
	s_mov_b32 s10, 0
	s_wait_xcnt 0x0
	v_cndmask_b32_e64 v4, 0, 1, s7
	v_mov_b32_e32 v5, s10
	global_store_b64 v[2:3], v[4:5], off
.LBB371_1858:
	s_and_not1_b32 vcc_lo, exec_lo, s10
	s_cbranch_vccnz .LBB371_1860
; %bb.1859:
	s_wait_xcnt 0x0
	v_cndmask_b32_e64 v1, 0, 1, s7
	global_store_b32 v[2:3], v1, off
.LBB371_1860:
	s_mov_b32 s10, 0
.LBB371_1861:
	s_delay_alu instid0(SALU_CYCLE_1)
	s_and_not1_b32 vcc_lo, exec_lo, s10
	s_cbranch_vccnz .LBB371_1863
; %bb.1862:
	s_wait_xcnt 0x0
	v_cndmask_b32_e64 v1, 0, 1, s7
	global_store_b16 v[2:3], v1, off
.LBB371_1863:
	s_mov_b32 s10, 0
.LBB371_1864:
	s_delay_alu instid0(SALU_CYCLE_1)
	s_and_not1_b32 vcc_lo, exec_lo, s10
	s_cbranch_vccnz .LBB371_1869
; %bb.1865:
	s_wait_xcnt 0x0
	v_cndmask_b32_e64 v1, 0, 1, s7
	s_cmp_gt_i32 s0, 0
	s_mov_b32 s0, -1
	s_cbranch_scc0 .LBB371_1867
; %bb.1866:
	s_mov_b32 s0, 0
	global_store_b8 v[2:3], v1, off
.LBB371_1867:
	s_and_not1_b32 vcc_lo, exec_lo, s0
	s_cbranch_vccnz .LBB371_1869
; %bb.1868:
	global_store_b8 v[2:3], v1, off
.LBB371_1869:
	s_mov_b32 s13, -1
.LBB371_1870:
	s_delay_alu instid0(SALU_CYCLE_1)
	s_and_not1_b32 vcc_lo, exec_lo, s13
	s_cbranch_vccnz .LBB371_1947
; %bb.1871:
	v_add_nc_u32_e32 v0, s6, v0
	v_cmp_ne_u64_e32 vcc_lo, s[8:9], v[6:7]
	s_wait_xcnt 0x0
	s_delay_alu instid0(VALU_DEP_2) | instskip(SKIP_2) | instid1(VALU_DEP_1)
	v_ashrrev_i32_e32 v1, 31, v0
	s_xor_b32 s16, s2, vcc_lo
	s_cmp_lt_i32 s15, 11
	v_add_nc_u64_e32 v[0:1], s[4:5], v[0:1]
	s_cbranch_scc1 .LBB371_1992
; %bb.1872:
	s_and_b32 s2, 0xffff, s15
	s_mov_b32 s5, -1
	s_mov_b32 s4, 0
	s_cmp_gt_i32 s2, 25
	s_mov_b32 s0, 0
	s_cbranch_scc0 .LBB371_1905
; %bb.1873:
	s_cmp_gt_i32 s2, 28
	s_cbranch_scc0 .LBB371_1889
; %bb.1874:
	s_cmp_gt_i32 s2, 43
	;; [unrolled: 3-line block ×3, first 2 shown]
	s_cbranch_scc0 .LBB371_1879
; %bb.1876:
	s_cmp_eq_u32 s2, 46
	s_mov_b32 s0, -1
	s_cbranch_scc0 .LBB371_1878
; %bb.1877:
	v_cndmask_b32_e64 v2, 0, 1.0, s16
	s_mov_b32 s0, 0
	s_delay_alu instid0(VALU_DEP_1) | instskip(NEXT) | instid1(VALU_DEP_1)
	v_bfe_u32 v3, v2, 16, 1
	v_add3_u32 v2, v2, v3, 0x7fff
	s_delay_alu instid0(VALU_DEP_1)
	v_lshrrev_b32_e32 v2, 16, v2
	global_store_b32 v[0:1], v2, off
.LBB371_1878:
	s_mov_b32 s5, 0
.LBB371_1879:
	s_delay_alu instid0(SALU_CYCLE_1)
	s_and_b32 vcc_lo, exec_lo, s5
	s_cbranch_vccz .LBB371_1884
; %bb.1880:
	s_cmp_eq_u32 s2, 44
	s_mov_b32 s0, -1
	s_cbranch_scc0 .LBB371_1884
; %bb.1881:
	v_cndmask_b32_e64 v4, 0, 1.0, s16
	s_mov_b32 s5, exec_lo
	s_wait_xcnt 0x0
	s_delay_alu instid0(VALU_DEP_1) | instskip(NEXT) | instid1(VALU_DEP_1)
	v_dual_mov_b32 v3, 0xff :: v_dual_lshrrev_b32 v2, 23, v4
	v_cmpx_ne_u32_e32 0xff, v2
; %bb.1882:
	v_and_b32_e32 v3, 0x400000, v4
	v_and_or_b32 v4, 0x3fffff, v4, v2
	s_delay_alu instid0(VALU_DEP_2) | instskip(NEXT) | instid1(VALU_DEP_2)
	v_cmp_ne_u32_e32 vcc_lo, 0, v3
	v_cmp_ne_u32_e64 s0, 0, v4
	s_and_b32 s0, vcc_lo, s0
	s_delay_alu instid0(SALU_CYCLE_1) | instskip(NEXT) | instid1(VALU_DEP_1)
	v_cndmask_b32_e64 v3, 0, 1, s0
	v_add_nc_u32_e32 v3, v2, v3
; %bb.1883:
	s_or_b32 exec_lo, exec_lo, s5
	s_mov_b32 s0, 0
	global_store_b8 v[0:1], v3, off
.LBB371_1884:
	s_mov_b32 s5, 0
.LBB371_1885:
	s_delay_alu instid0(SALU_CYCLE_1)
	s_and_b32 vcc_lo, exec_lo, s5
	s_cbranch_vccz .LBB371_1888
; %bb.1886:
	s_cmp_eq_u32 s2, 29
	s_mov_b32 s0, -1
	s_cbranch_scc0 .LBB371_1888
; %bb.1887:
	s_mov_b32 s0, 0
	s_wait_xcnt 0x0
	v_cndmask_b32_e64 v2, 0, 1, s16
	v_mov_b32_e32 v3, s0
	global_store_b64 v[0:1], v[2:3], off
.LBB371_1888:
	s_mov_b32 s5, 0
.LBB371_1889:
	s_delay_alu instid0(SALU_CYCLE_1)
	s_and_b32 vcc_lo, exec_lo, s5
	s_cbranch_vccz .LBB371_1904
; %bb.1890:
	s_cmp_lt_i32 s2, 27
	s_mov_b32 s5, -1
	s_cbranch_scc1 .LBB371_1896
; %bb.1891:
	s_wait_xcnt 0x0
	v_cndmask_b32_e64 v2, 0, 1, s16
	s_cmp_gt_i32 s2, 27
	s_cbranch_scc0 .LBB371_1893
; %bb.1892:
	s_mov_b32 s5, 0
	global_store_b32 v[0:1], v2, off
.LBB371_1893:
	s_and_not1_b32 vcc_lo, exec_lo, s5
	s_cbranch_vccnz .LBB371_1895
; %bb.1894:
	global_store_b16 v[0:1], v2, off
.LBB371_1895:
	s_mov_b32 s5, 0
.LBB371_1896:
	s_delay_alu instid0(SALU_CYCLE_1)
	s_and_not1_b32 vcc_lo, exec_lo, s5
	s_cbranch_vccnz .LBB371_1904
; %bb.1897:
	s_wait_xcnt 0x0
	v_cndmask_b32_e64 v3, 0, 1.0, s16
	v_mov_b32_e32 v4, 0x80
	s_mov_b32 s5, exec_lo
	s_delay_alu instid0(VALU_DEP_2)
	v_cmpx_gt_u32_e32 0x43800000, v3
	s_cbranch_execz .LBB371_1903
; %bb.1898:
	s_mov_b32 s6, 0
	s_mov_b32 s7, exec_lo
                                        ; implicit-def: $vgpr2
	v_cmpx_lt_u32_e32 0x3bffffff, v3
	s_xor_b32 s7, exec_lo, s7
	s_cbranch_execz .LBB371_2009
; %bb.1899:
	v_bfe_u32 v2, v3, 20, 1
	s_mov_b32 s6, exec_lo
	s_delay_alu instid0(VALU_DEP_1) | instskip(NEXT) | instid1(VALU_DEP_1)
	v_add3_u32 v2, v3, v2, 0x487ffff
                                        ; implicit-def: $vgpr3
	v_lshrrev_b32_e32 v2, 20, v2
	s_and_not1_saveexec_b32 s7, s7
	s_cbranch_execnz .LBB371_2010
.LBB371_1900:
	s_or_b32 exec_lo, exec_lo, s7
	v_mov_b32_e32 v4, 0
	s_and_saveexec_b32 s7, s6
.LBB371_1901:
	v_mov_b32_e32 v4, v2
.LBB371_1902:
	s_or_b32 exec_lo, exec_lo, s7
.LBB371_1903:
	s_delay_alu instid0(SALU_CYCLE_1)
	s_or_b32 exec_lo, exec_lo, s5
	global_store_b8 v[0:1], v4, off
.LBB371_1904:
	s_mov_b32 s5, 0
.LBB371_1905:
	s_delay_alu instid0(SALU_CYCLE_1)
	s_and_b32 vcc_lo, exec_lo, s5
	s_cbranch_vccz .LBB371_1945
; %bb.1906:
	s_cmp_gt_i32 s2, 22
	s_mov_b32 s4, -1
	s_cbranch_scc0 .LBB371_1938
; %bb.1907:
	s_cmp_lt_i32 s2, 24
	s_cbranch_scc1 .LBB371_1927
; %bb.1908:
	s_cmp_gt_i32 s2, 24
	s_cbranch_scc0 .LBB371_1916
; %bb.1909:
	s_wait_xcnt 0x0
	v_cndmask_b32_e64 v3, 0, 1.0, s16
	v_mov_b32_e32 v4, 0x80
	s_mov_b32 s4, exec_lo
	s_delay_alu instid0(VALU_DEP_2)
	v_cmpx_gt_u32_e32 0x47800000, v3
	s_cbranch_execz .LBB371_1915
; %bb.1910:
	s_mov_b32 s5, 0
	s_mov_b32 s6, exec_lo
                                        ; implicit-def: $vgpr2
	v_cmpx_lt_u32_e32 0x37ffffff, v3
	s_xor_b32 s6, exec_lo, s6
	s_cbranch_execz .LBB371_2012
; %bb.1911:
	v_bfe_u32 v2, v3, 21, 1
	s_mov_b32 s5, exec_lo
	s_delay_alu instid0(VALU_DEP_1) | instskip(NEXT) | instid1(VALU_DEP_1)
	v_add3_u32 v2, v3, v2, 0x88fffff
                                        ; implicit-def: $vgpr3
	v_lshrrev_b32_e32 v2, 21, v2
	s_and_not1_saveexec_b32 s6, s6
	s_cbranch_execnz .LBB371_2013
.LBB371_1912:
	s_or_b32 exec_lo, exec_lo, s6
	v_mov_b32_e32 v4, 0
	s_and_saveexec_b32 s6, s5
.LBB371_1913:
	v_mov_b32_e32 v4, v2
.LBB371_1914:
	s_or_b32 exec_lo, exec_lo, s6
.LBB371_1915:
	s_delay_alu instid0(SALU_CYCLE_1)
	s_or_b32 exec_lo, exec_lo, s4
	s_mov_b32 s4, 0
	global_store_b8 v[0:1], v4, off
.LBB371_1916:
	s_and_b32 vcc_lo, exec_lo, s4
	s_cbranch_vccz .LBB371_1926
; %bb.1917:
	s_wait_xcnt 0x0
	v_cndmask_b32_e64 v3, 0, 1.0, s16
	s_mov_b32 s4, exec_lo
                                        ; implicit-def: $vgpr2
	s_delay_alu instid0(VALU_DEP_1)
	v_cmpx_gt_u32_e32 0x43f00000, v3
	s_xor_b32 s4, exec_lo, s4
	s_cbranch_execz .LBB371_1923
; %bb.1918:
	s_mov_b32 s5, exec_lo
                                        ; implicit-def: $vgpr2
	v_cmpx_lt_u32_e32 0x3c7fffff, v3
	s_xor_b32 s5, exec_lo, s5
; %bb.1919:
	v_bfe_u32 v2, v3, 20, 1
	s_delay_alu instid0(VALU_DEP_1) | instskip(NEXT) | instid1(VALU_DEP_1)
	v_add3_u32 v2, v3, v2, 0x407ffff
	v_and_b32_e32 v3, 0xff00000, v2
	v_lshrrev_b32_e32 v2, 20, v2
	s_delay_alu instid0(VALU_DEP_2) | instskip(NEXT) | instid1(VALU_DEP_2)
	v_cmp_ne_u32_e32 vcc_lo, 0x7f00000, v3
                                        ; implicit-def: $vgpr3
	v_cndmask_b32_e32 v2, 0x7e, v2, vcc_lo
; %bb.1920:
	s_and_not1_saveexec_b32 s5, s5
; %bb.1921:
	v_add_f32_e32 v2, 0x46800000, v3
; %bb.1922:
	s_or_b32 exec_lo, exec_lo, s5
                                        ; implicit-def: $vgpr3
.LBB371_1923:
	s_and_not1_saveexec_b32 s4, s4
; %bb.1924:
	v_mov_b32_e32 v2, 0x7f
	v_cmp_lt_u32_e32 vcc_lo, 0x7f800000, v3
	s_delay_alu instid0(VALU_DEP_2)
	v_cndmask_b32_e32 v2, 0x7e, v2, vcc_lo
; %bb.1925:
	s_or_b32 exec_lo, exec_lo, s4
	global_store_b8 v[0:1], v2, off
.LBB371_1926:
	s_mov_b32 s4, 0
.LBB371_1927:
	s_delay_alu instid0(SALU_CYCLE_1)
	s_and_not1_b32 vcc_lo, exec_lo, s4
	s_cbranch_vccnz .LBB371_1937
; %bb.1928:
	s_wait_xcnt 0x0
	v_cndmask_b32_e64 v3, 0, 1.0, s16
	s_mov_b32 s4, exec_lo
                                        ; implicit-def: $vgpr2
	s_delay_alu instid0(VALU_DEP_1)
	v_cmpx_gt_u32_e32 0x47800000, v3
	s_xor_b32 s4, exec_lo, s4
	s_cbranch_execz .LBB371_1934
; %bb.1929:
	s_mov_b32 s5, exec_lo
                                        ; implicit-def: $vgpr2
	v_cmpx_lt_u32_e32 0x387fffff, v3
	s_xor_b32 s5, exec_lo, s5
; %bb.1930:
	v_bfe_u32 v2, v3, 21, 1
	s_delay_alu instid0(VALU_DEP_1) | instskip(NEXT) | instid1(VALU_DEP_1)
	v_add3_u32 v2, v3, v2, 0x80fffff
                                        ; implicit-def: $vgpr3
	v_lshrrev_b32_e32 v2, 21, v2
; %bb.1931:
	s_and_not1_saveexec_b32 s5, s5
; %bb.1932:
	v_add_f32_e32 v2, 0x43000000, v3
; %bb.1933:
	s_or_b32 exec_lo, exec_lo, s5
                                        ; implicit-def: $vgpr3
.LBB371_1934:
	s_and_not1_saveexec_b32 s4, s4
; %bb.1935:
	v_mov_b32_e32 v2, 0x7f
	v_cmp_lt_u32_e32 vcc_lo, 0x7f800000, v3
	s_delay_alu instid0(VALU_DEP_2)
	v_cndmask_b32_e32 v2, 0x7c, v2, vcc_lo
; %bb.1936:
	s_or_b32 exec_lo, exec_lo, s4
	global_store_b8 v[0:1], v2, off
.LBB371_1937:
	s_mov_b32 s4, 0
.LBB371_1938:
	s_delay_alu instid0(SALU_CYCLE_1)
	s_and_not1_b32 vcc_lo, exec_lo, s4
	s_mov_b32 s4, 0
	s_cbranch_vccnz .LBB371_1945
; %bb.1939:
	s_cmp_gt_i32 s2, 14
	s_mov_b32 s4, -1
	s_cbranch_scc0 .LBB371_1943
; %bb.1940:
	s_cmp_eq_u32 s2, 15
	s_mov_b32 s0, -1
	s_cbranch_scc0 .LBB371_1942
; %bb.1941:
	s_wait_xcnt 0x0
	v_cndmask_b32_e64 v2, 0, 1.0, s16
	s_mov_b32 s0, 0
	s_delay_alu instid0(VALU_DEP_1) | instskip(NEXT) | instid1(VALU_DEP_1)
	v_bfe_u32 v3, v2, 16, 1
	v_add3_u32 v2, v2, v3, 0x7fff
	global_store_d16_hi_b16 v[0:1], v2, off
.LBB371_1942:
	s_mov_b32 s4, 0
.LBB371_1943:
	s_delay_alu instid0(SALU_CYCLE_1)
	s_and_b32 vcc_lo, exec_lo, s4
	s_mov_b32 s4, 0
	s_cbranch_vccz .LBB371_1945
; %bb.1944:
	s_cmp_lg_u32 s2, 11
	s_mov_b32 s4, -1
	s_cselect_b32 s0, -1, 0
.LBB371_1945:
	s_delay_alu instid0(SALU_CYCLE_1)
	s_and_b32 vcc_lo, exec_lo, s0
	s_cbranch_vccnz .LBB371_2011
.LBB371_1946:
	s_mov_b32 s0, 0
	s_branch .LBB371_1948
.LBB371_1947:
	s_mov_b32 s0, 0
	s_mov_b32 s4, 0
                                        ; implicit-def: $sgpr16
                                        ; implicit-def: $sgpr15
                                        ; implicit-def: $vgpr0_vgpr1
.LBB371_1948:
	s_and_not1_b32 s2, s11, exec_lo
	s_and_b32 s5, s1, exec_lo
	s_and_b32 s0, s0, exec_lo
	;; [unrolled: 1-line block ×3, first 2 shown]
	s_or_b32 s11, s2, s5
.LBB371_1949:
	s_wait_xcnt 0x0
	s_or_b32 exec_lo, exec_lo, s3
	s_and_saveexec_b32 s2, s11
	s_cbranch_execz .LBB371_1952
; %bb.1950:
	; divergent unreachable
	s_or_b32 exec_lo, exec_lo, s2
	s_and_saveexec_b32 s2, s1
	s_delay_alu instid0(SALU_CYCLE_1)
	s_xor_b32 s1, exec_lo, s2
	s_cbranch_execnz .LBB371_1953
.LBB371_1951:
	s_or_b32 exec_lo, exec_lo, s1
	s_and_saveexec_b32 s1, s0
	s_cbranch_execnz .LBB371_1954
	s_branch .LBB371_1991
.LBB371_1952:
	s_or_b32 exec_lo, exec_lo, s2
	s_and_saveexec_b32 s2, s1
	s_delay_alu instid0(SALU_CYCLE_1)
	s_xor_b32 s1, exec_lo, s2
	s_cbranch_execz .LBB371_1951
.LBB371_1953:
	s_wait_loadcnt 0x0
	v_cndmask_b32_e64 v2, 0, 1, s16
	global_store_b8 v[0:1], v2, off
	s_wait_xcnt 0x0
	s_or_b32 exec_lo, exec_lo, s1
	s_and_saveexec_b32 s1, s0
	s_cbranch_execz .LBB371_1991
.LBB371_1954:
	s_sext_i32_i16 s1, s15
	s_mov_b32 s0, -1
	s_cmp_lt_i32 s1, 5
	s_cbranch_scc1 .LBB371_1975
; %bb.1955:
	s_cmp_lt_i32 s1, 8
	s_cbranch_scc1 .LBB371_1965
; %bb.1956:
	;; [unrolled: 3-line block ×3, first 2 shown]
	s_cmp_gt_i32 s1, 9
	s_cbranch_scc0 .LBB371_1959
; %bb.1958:
	s_wait_loadcnt 0x0
	v_cndmask_b32_e64 v2, 0, 1, s16
	v_mov_b32_e32 v4, 0
	s_mov_b32 s0, 0
	s_delay_alu instid0(VALU_DEP_2) | instskip(NEXT) | instid1(VALU_DEP_2)
	v_cvt_f64_u32_e32 v[2:3], v2
	v_mov_b32_e32 v5, v4
	global_store_b128 v[0:1], v[2:5], off
.LBB371_1959:
	s_and_not1_b32 vcc_lo, exec_lo, s0
	s_cbranch_vccnz .LBB371_1961
; %bb.1960:
	s_wait_loadcnt 0x0
	v_cndmask_b32_e64 v2, 0, 1.0, s16
	v_mov_b32_e32 v3, 0
	global_store_b64 v[0:1], v[2:3], off
.LBB371_1961:
	s_mov_b32 s0, 0
.LBB371_1962:
	s_delay_alu instid0(SALU_CYCLE_1)
	s_and_not1_b32 vcc_lo, exec_lo, s0
	s_cbranch_vccnz .LBB371_1964
; %bb.1963:
	s_wait_loadcnt 0x0
	v_cndmask_b32_e64 v2, 0, 1.0, s16
	s_delay_alu instid0(VALU_DEP_1) | instskip(NEXT) | instid1(VALU_DEP_1)
	v_cvt_f16_f32_e32 v2, v2
	v_and_b32_e32 v2, 0xffff, v2
	global_store_b32 v[0:1], v2, off
.LBB371_1964:
	s_mov_b32 s0, 0
.LBB371_1965:
	s_delay_alu instid0(SALU_CYCLE_1)
	s_and_not1_b32 vcc_lo, exec_lo, s0
	s_cbranch_vccnz .LBB371_1974
; %bb.1966:
	s_sext_i32_i16 s1, s15
	s_mov_b32 s0, -1
	s_cmp_lt_i32 s1, 6
	s_cbranch_scc1 .LBB371_1972
; %bb.1967:
	s_cmp_gt_i32 s1, 6
	s_cbranch_scc0 .LBB371_1969
; %bb.1968:
	s_wait_loadcnt 0x0
	v_cndmask_b32_e64 v2, 0, 1, s16
	s_mov_b32 s0, 0
	s_delay_alu instid0(VALU_DEP_1)
	v_cvt_f64_u32_e32 v[2:3], v2
	global_store_b64 v[0:1], v[2:3], off
.LBB371_1969:
	s_and_not1_b32 vcc_lo, exec_lo, s0
	s_cbranch_vccnz .LBB371_1971
; %bb.1970:
	s_wait_loadcnt 0x0
	v_cndmask_b32_e64 v2, 0, 1.0, s16
	global_store_b32 v[0:1], v2, off
.LBB371_1971:
	s_mov_b32 s0, 0
.LBB371_1972:
	s_delay_alu instid0(SALU_CYCLE_1)
	s_and_not1_b32 vcc_lo, exec_lo, s0
	s_cbranch_vccnz .LBB371_1974
; %bb.1973:
	s_wait_loadcnt 0x0
	v_cndmask_b32_e64 v2, 0, 1.0, s16
	s_delay_alu instid0(VALU_DEP_1)
	v_cvt_f16_f32_e32 v2, v2
	global_store_b16 v[0:1], v2, off
.LBB371_1974:
	s_mov_b32 s0, 0
.LBB371_1975:
	s_delay_alu instid0(SALU_CYCLE_1)
	s_and_not1_b32 vcc_lo, exec_lo, s0
	s_cbranch_vccnz .LBB371_1991
; %bb.1976:
	s_sext_i32_i16 s1, s15
	s_mov_b32 s0, -1
	s_cmp_lt_i32 s1, 2
	s_cbranch_scc1 .LBB371_1986
; %bb.1977:
	s_cmp_lt_i32 s1, 3
	s_cbranch_scc1 .LBB371_1983
; %bb.1978:
	s_cmp_gt_i32 s1, 3
	s_cbranch_scc0 .LBB371_1980
; %bb.1979:
	s_mov_b32 s0, 0
	s_wait_loadcnt 0x0
	v_cndmask_b32_e64 v2, 0, 1, s16
	v_mov_b32_e32 v3, s0
	global_store_b64 v[0:1], v[2:3], off
.LBB371_1980:
	s_and_not1_b32 vcc_lo, exec_lo, s0
	s_cbranch_vccnz .LBB371_1982
; %bb.1981:
	s_wait_loadcnt 0x0
	v_cndmask_b32_e64 v2, 0, 1, s16
	global_store_b32 v[0:1], v2, off
.LBB371_1982:
	s_mov_b32 s0, 0
.LBB371_1983:
	s_delay_alu instid0(SALU_CYCLE_1)
	s_and_not1_b32 vcc_lo, exec_lo, s0
	s_cbranch_vccnz .LBB371_1985
; %bb.1984:
	s_wait_loadcnt 0x0
	v_cndmask_b32_e64 v2, 0, 1, s16
	global_store_b16 v[0:1], v2, off
.LBB371_1985:
	s_mov_b32 s0, 0
.LBB371_1986:
	s_delay_alu instid0(SALU_CYCLE_1)
	s_and_not1_b32 vcc_lo, exec_lo, s0
	s_cbranch_vccnz .LBB371_1991
; %bb.1987:
	s_wait_loadcnt 0x0
	v_cndmask_b32_e64 v2, 0, 1, s16
	s_sext_i32_i16 s0, s15
	s_delay_alu instid0(SALU_CYCLE_1)
	s_cmp_gt_i32 s0, 0
	s_mov_b32 s0, -1
	s_cbranch_scc0 .LBB371_1989
; %bb.1988:
	s_mov_b32 s0, 0
	global_store_b8 v[0:1], v2, off
.LBB371_1989:
	s_and_not1_b32 vcc_lo, exec_lo, s0
	s_cbranch_vccnz .LBB371_1991
; %bb.1990:
	global_store_b8 v[0:1], v2, off
	s_endpgm
.LBB371_1991:
	s_endpgm
.LBB371_1992:
	s_mov_b32 s4, 0
	s_mov_b32 s0, -1
	s_branch .LBB371_1948
.LBB371_1993:
	s_or_b32 s1, s1, exec_lo
	s_trap 2
	s_cbranch_execz .LBB371_1463
	s_branch .LBB371_1464
.LBB371_1994:
	s_and_not1_saveexec_b32 s16, s16
	s_cbranch_execz .LBB371_1543
.LBB371_1995:
	v_add_f32_e32 v9, 0x46000000, v10
	s_and_not1_b32 s14, s14, exec_lo
	s_delay_alu instid0(VALU_DEP_1) | instskip(NEXT) | instid1(VALU_DEP_1)
	v_and_b32_e32 v9, 0xff, v9
	v_cmp_ne_u32_e32 vcc_lo, 0, v9
	s_and_b32 s17, vcc_lo, exec_lo
	s_delay_alu instid0(SALU_CYCLE_1)
	s_or_b32 s14, s14, s17
	s_or_b32 exec_lo, exec_lo, s16
	v_mov_b32_e32 v11, 0
	s_and_saveexec_b32 s16, s14
	s_cbranch_execnz .LBB371_1544
	s_branch .LBB371_1545
.LBB371_1996:
	s_or_b32 s1, s1, exec_lo
	s_trap 2
	s_cbranch_execz .LBB371_1591
	s_branch .LBB371_1592
.LBB371_1997:
	s_and_not1_saveexec_b32 s14, s14
	s_cbranch_execz .LBB371_1556
.LBB371_1998:
	v_add_f32_e32 v9, 0x42800000, v10
	s_and_not1_b32 s13, s13, exec_lo
	s_delay_alu instid0(VALU_DEP_1) | instskip(NEXT) | instid1(VALU_DEP_1)
	v_and_b32_e32 v9, 0xff, v9
	v_cmp_ne_u32_e32 vcc_lo, 0, v9
	s_and_b32 s16, vcc_lo, exec_lo
	s_delay_alu instid0(SALU_CYCLE_1)
	s_or_b32 s13, s13, s16
	s_or_b32 exec_lo, exec_lo, s14
	v_mov_b32_e32 v11, 0
	s_and_saveexec_b32 s14, s13
	s_cbranch_execnz .LBB371_1557
	s_branch .LBB371_1558
.LBB371_1999:
	s_and_not1_saveexec_b32 s16, s16
	s_cbranch_execz .LBB371_1661
.LBB371_2000:
	v_add_f32_e32 v1, 0x46000000, v8
	s_and_not1_b32 s14, s14, exec_lo
	s_delay_alu instid0(VALU_DEP_1) | instskip(NEXT) | instid1(VALU_DEP_1)
	v_and_b32_e32 v1, 0xff, v1
	v_cmp_ne_u32_e32 vcc_lo, 0, v1
	s_and_b32 s17, vcc_lo, exec_lo
	s_delay_alu instid0(SALU_CYCLE_1)
	s_or_b32 s14, s14, s17
	s_or_b32 exec_lo, exec_lo, s16
	v_mov_b32_e32 v9, 0
	s_and_saveexec_b32 s16, s14
	s_cbranch_execnz .LBB371_1662
	s_branch .LBB371_1663
.LBB371_2001:
	s_or_b32 s1, s1, exec_lo
	s_trap 2
	s_cbranch_execz .LBB371_1709
	s_branch .LBB371_1710
.LBB371_2002:
	s_and_not1_saveexec_b32 s14, s14
	s_cbranch_execz .LBB371_1674
.LBB371_2003:
	v_add_f32_e32 v1, 0x42800000, v8
	s_and_not1_b32 s13, s13, exec_lo
	s_delay_alu instid0(VALU_DEP_1) | instskip(NEXT) | instid1(VALU_DEP_1)
	v_and_b32_e32 v1, 0xff, v1
	v_cmp_ne_u32_e32 vcc_lo, 0, v1
	s_and_b32 s16, vcc_lo, exec_lo
	s_delay_alu instid0(SALU_CYCLE_1)
	s_or_b32 s13, s13, s16
	s_or_b32 exec_lo, exec_lo, s14
	v_mov_b32_e32 v9, 0
	s_and_saveexec_b32 s14, s13
	s_cbranch_execnz .LBB371_1675
	s_branch .LBB371_1676
.LBB371_2004:
	s_and_not1_saveexec_b32 s16, s16
	s_cbranch_execz .LBB371_1780
.LBB371_2005:
	v_add_f32_e32 v1, 0x46000000, v4
	s_and_not1_b32 s14, s14, exec_lo
	s_delay_alu instid0(VALU_DEP_1) | instskip(NEXT) | instid1(VALU_DEP_1)
	v_and_b32_e32 v1, 0xff, v1
	v_cmp_ne_u32_e32 vcc_lo, 0, v1
	s_and_b32 s17, vcc_lo, exec_lo
	s_delay_alu instid0(SALU_CYCLE_1)
	s_or_b32 s14, s14, s17
	s_or_b32 exec_lo, exec_lo, s16
	v_mov_b32_e32 v5, 0
	s_and_saveexec_b32 s16, s14
	s_cbranch_execnz .LBB371_1781
	s_branch .LBB371_1782
.LBB371_2006:
	s_or_b32 s1, s1, exec_lo
	s_trap 2
	s_cbranch_execz .LBB371_1828
	s_branch .LBB371_1829
.LBB371_2007:
	s_and_not1_saveexec_b32 s14, s14
	s_cbranch_execz .LBB371_1793
.LBB371_2008:
	v_add_f32_e32 v1, 0x42800000, v4
	s_and_not1_b32 s13, s13, exec_lo
	s_delay_alu instid0(VALU_DEP_1) | instskip(NEXT) | instid1(VALU_DEP_1)
	v_and_b32_e32 v1, 0xff, v1
	v_cmp_ne_u32_e32 vcc_lo, 0, v1
	s_and_b32 s16, vcc_lo, exec_lo
	s_delay_alu instid0(SALU_CYCLE_1)
	s_or_b32 s13, s13, s16
	s_or_b32 exec_lo, exec_lo, s14
	v_mov_b32_e32 v5, 0
	s_and_saveexec_b32 s14, s13
	s_cbranch_execnz .LBB371_1794
	s_branch .LBB371_1795
.LBB371_2009:
	s_and_not1_saveexec_b32 s7, s7
	s_cbranch_execz .LBB371_1900
.LBB371_2010:
	v_add_f32_e32 v2, 0x46000000, v3
	s_and_not1_b32 s6, s6, exec_lo
	s_delay_alu instid0(VALU_DEP_1) | instskip(NEXT) | instid1(VALU_DEP_1)
	v_and_b32_e32 v2, 0xff, v2
	v_cmp_ne_u32_e32 vcc_lo, 0, v2
	s_and_b32 s8, vcc_lo, exec_lo
	s_delay_alu instid0(SALU_CYCLE_1)
	s_or_b32 s6, s6, s8
	s_or_b32 exec_lo, exec_lo, s7
	v_mov_b32_e32 v4, 0
	s_and_saveexec_b32 s7, s6
	s_cbranch_execnz .LBB371_1901
	s_branch .LBB371_1902
.LBB371_2011:
	s_mov_b32 s4, 0
	s_or_b32 s1, s1, exec_lo
	s_trap 2
	s_branch .LBB371_1946
.LBB371_2012:
	s_and_not1_saveexec_b32 s6, s6
	s_cbranch_execz .LBB371_1912
.LBB371_2013:
	v_add_f32_e32 v2, 0x42800000, v3
	s_and_not1_b32 s5, s5, exec_lo
	s_delay_alu instid0(VALU_DEP_1) | instskip(NEXT) | instid1(VALU_DEP_1)
	v_and_b32_e32 v2, 0xff, v2
	v_cmp_ne_u32_e32 vcc_lo, 0, v2
	s_and_b32 s7, vcc_lo, exec_lo
	s_delay_alu instid0(SALU_CYCLE_1)
	s_or_b32 s5, s5, s7
	s_or_b32 exec_lo, exec_lo, s6
	v_mov_b32_e32 v4, 0
	s_and_saveexec_b32 s6, s5
	s_cbranch_execnz .LBB371_1913
	s_branch .LBB371_1914
	.section	.rodata,"a",@progbits
	.p2align	6, 0x0
	.amdhsa_kernel _ZN2at6native32elementwise_kernel_manual_unrollILi128ELi4EZNS0_15gpu_kernel_implINS0_13AUnaryFunctorImmbNS0_12_GLOBAL__N_116CompareEqFunctorImEEEEEEvRNS_18TensorIteratorBaseERKT_EUlibE_EEviT1_
		.amdhsa_group_segment_fixed_size 0
		.amdhsa_private_segment_fixed_size 0
		.amdhsa_kernarg_size 56
		.amdhsa_user_sgpr_count 2
		.amdhsa_user_sgpr_dispatch_ptr 0
		.amdhsa_user_sgpr_queue_ptr 0
		.amdhsa_user_sgpr_kernarg_segment_ptr 1
		.amdhsa_user_sgpr_dispatch_id 0
		.amdhsa_user_sgpr_kernarg_preload_length 0
		.amdhsa_user_sgpr_kernarg_preload_offset 0
		.amdhsa_user_sgpr_private_segment_size 0
		.amdhsa_wavefront_size32 1
		.amdhsa_uses_dynamic_stack 0
		.amdhsa_enable_private_segment 0
		.amdhsa_system_sgpr_workgroup_id_x 1
		.amdhsa_system_sgpr_workgroup_id_y 0
		.amdhsa_system_sgpr_workgroup_id_z 0
		.amdhsa_system_sgpr_workgroup_info 0
		.amdhsa_system_vgpr_workitem_id 0
		.amdhsa_next_free_vgpr 16
		.amdhsa_next_free_sgpr 31
		.amdhsa_named_barrier_count 0
		.amdhsa_reserve_vcc 1
		.amdhsa_float_round_mode_32 0
		.amdhsa_float_round_mode_16_64 0
		.amdhsa_float_denorm_mode_32 3
		.amdhsa_float_denorm_mode_16_64 3
		.amdhsa_fp16_overflow 0
		.amdhsa_memory_ordered 1
		.amdhsa_forward_progress 1
		.amdhsa_inst_pref_size 255
		.amdhsa_round_robin_scheduling 0
		.amdhsa_exception_fp_ieee_invalid_op 0
		.amdhsa_exception_fp_denorm_src 0
		.amdhsa_exception_fp_ieee_div_zero 0
		.amdhsa_exception_fp_ieee_overflow 0
		.amdhsa_exception_fp_ieee_underflow 0
		.amdhsa_exception_fp_ieee_inexact 0
		.amdhsa_exception_int_div_zero 0
	.end_amdhsa_kernel
	.section	.text._ZN2at6native32elementwise_kernel_manual_unrollILi128ELi4EZNS0_15gpu_kernel_implINS0_13AUnaryFunctorImmbNS0_12_GLOBAL__N_116CompareEqFunctorImEEEEEEvRNS_18TensorIteratorBaseERKT_EUlibE_EEviT1_,"axG",@progbits,_ZN2at6native32elementwise_kernel_manual_unrollILi128ELi4EZNS0_15gpu_kernel_implINS0_13AUnaryFunctorImmbNS0_12_GLOBAL__N_116CompareEqFunctorImEEEEEEvRNS_18TensorIteratorBaseERKT_EUlibE_EEviT1_,comdat
.Lfunc_end371:
	.size	_ZN2at6native32elementwise_kernel_manual_unrollILi128ELi4EZNS0_15gpu_kernel_implINS0_13AUnaryFunctorImmbNS0_12_GLOBAL__N_116CompareEqFunctorImEEEEEEvRNS_18TensorIteratorBaseERKT_EUlibE_EEviT1_, .Lfunc_end371-_ZN2at6native32elementwise_kernel_manual_unrollILi128ELi4EZNS0_15gpu_kernel_implINS0_13AUnaryFunctorImmbNS0_12_GLOBAL__N_116CompareEqFunctorImEEEEEEvRNS_18TensorIteratorBaseERKT_EUlibE_EEviT1_
                                        ; -- End function
	.set _ZN2at6native32elementwise_kernel_manual_unrollILi128ELi4EZNS0_15gpu_kernel_implINS0_13AUnaryFunctorImmbNS0_12_GLOBAL__N_116CompareEqFunctorImEEEEEEvRNS_18TensorIteratorBaseERKT_EUlibE_EEviT1_.num_vgpr, 16
	.set _ZN2at6native32elementwise_kernel_manual_unrollILi128ELi4EZNS0_15gpu_kernel_implINS0_13AUnaryFunctorImmbNS0_12_GLOBAL__N_116CompareEqFunctorImEEEEEEvRNS_18TensorIteratorBaseERKT_EUlibE_EEviT1_.num_agpr, 0
	.set _ZN2at6native32elementwise_kernel_manual_unrollILi128ELi4EZNS0_15gpu_kernel_implINS0_13AUnaryFunctorImmbNS0_12_GLOBAL__N_116CompareEqFunctorImEEEEEEvRNS_18TensorIteratorBaseERKT_EUlibE_EEviT1_.numbered_sgpr, 31
	.set _ZN2at6native32elementwise_kernel_manual_unrollILi128ELi4EZNS0_15gpu_kernel_implINS0_13AUnaryFunctorImmbNS0_12_GLOBAL__N_116CompareEqFunctorImEEEEEEvRNS_18TensorIteratorBaseERKT_EUlibE_EEviT1_.num_named_barrier, 0
	.set _ZN2at6native32elementwise_kernel_manual_unrollILi128ELi4EZNS0_15gpu_kernel_implINS0_13AUnaryFunctorImmbNS0_12_GLOBAL__N_116CompareEqFunctorImEEEEEEvRNS_18TensorIteratorBaseERKT_EUlibE_EEviT1_.private_seg_size, 0
	.set _ZN2at6native32elementwise_kernel_manual_unrollILi128ELi4EZNS0_15gpu_kernel_implINS0_13AUnaryFunctorImmbNS0_12_GLOBAL__N_116CompareEqFunctorImEEEEEEvRNS_18TensorIteratorBaseERKT_EUlibE_EEviT1_.uses_vcc, 1
	.set _ZN2at6native32elementwise_kernel_manual_unrollILi128ELi4EZNS0_15gpu_kernel_implINS0_13AUnaryFunctorImmbNS0_12_GLOBAL__N_116CompareEqFunctorImEEEEEEvRNS_18TensorIteratorBaseERKT_EUlibE_EEviT1_.uses_flat_scratch, 0
	.set _ZN2at6native32elementwise_kernel_manual_unrollILi128ELi4EZNS0_15gpu_kernel_implINS0_13AUnaryFunctorImmbNS0_12_GLOBAL__N_116CompareEqFunctorImEEEEEEvRNS_18TensorIteratorBaseERKT_EUlibE_EEviT1_.has_dyn_sized_stack, 0
	.set _ZN2at6native32elementwise_kernel_manual_unrollILi128ELi4EZNS0_15gpu_kernel_implINS0_13AUnaryFunctorImmbNS0_12_GLOBAL__N_116CompareEqFunctorImEEEEEEvRNS_18TensorIteratorBaseERKT_EUlibE_EEviT1_.has_recursion, 0
	.set _ZN2at6native32elementwise_kernel_manual_unrollILi128ELi4EZNS0_15gpu_kernel_implINS0_13AUnaryFunctorImmbNS0_12_GLOBAL__N_116CompareEqFunctorImEEEEEEvRNS_18TensorIteratorBaseERKT_EUlibE_EEviT1_.has_indirect_call, 0
	.section	.AMDGPU.csdata,"",@progbits
; Kernel info:
; codeLenInByte = 38604
; TotalNumSgprs: 33
; NumVgprs: 16
; ScratchSize: 0
; MemoryBound: 1
; FloatMode: 240
; IeeeMode: 1
; LDSByteSize: 0 bytes/workgroup (compile time only)
; SGPRBlocks: 0
; VGPRBlocks: 0
; NumSGPRsForWavesPerEU: 33
; NumVGPRsForWavesPerEU: 16
; NamedBarCnt: 0
; Occupancy: 16
; WaveLimiterHint : 0
; COMPUTE_PGM_RSRC2:SCRATCH_EN: 0
; COMPUTE_PGM_RSRC2:USER_SGPR: 2
; COMPUTE_PGM_RSRC2:TRAP_HANDLER: 0
; COMPUTE_PGM_RSRC2:TGID_X_EN: 1
; COMPUTE_PGM_RSRC2:TGID_Y_EN: 0
; COMPUTE_PGM_RSRC2:TGID_Z_EN: 0
; COMPUTE_PGM_RSRC2:TIDIG_COMP_CNT: 0
	.section	.text._ZN2at6native32elementwise_kernel_manual_unrollILi128ELi4EZNS0_15gpu_kernel_implINS0_13AUnaryFunctorImmbNS0_12_GLOBAL__N_116CompareEqFunctorImEEEEEEvRNS_18TensorIteratorBaseERKT_EUlibE0_EEviT1_,"axG",@progbits,_ZN2at6native32elementwise_kernel_manual_unrollILi128ELi4EZNS0_15gpu_kernel_implINS0_13AUnaryFunctorImmbNS0_12_GLOBAL__N_116CompareEqFunctorImEEEEEEvRNS_18TensorIteratorBaseERKT_EUlibE0_EEviT1_,comdat
	.globl	_ZN2at6native32elementwise_kernel_manual_unrollILi128ELi4EZNS0_15gpu_kernel_implINS0_13AUnaryFunctorImmbNS0_12_GLOBAL__N_116CompareEqFunctorImEEEEEEvRNS_18TensorIteratorBaseERKT_EUlibE0_EEviT1_ ; -- Begin function _ZN2at6native32elementwise_kernel_manual_unrollILi128ELi4EZNS0_15gpu_kernel_implINS0_13AUnaryFunctorImmbNS0_12_GLOBAL__N_116CompareEqFunctorImEEEEEEvRNS_18TensorIteratorBaseERKT_EUlibE0_EEviT1_
	.p2align	8
	.type	_ZN2at6native32elementwise_kernel_manual_unrollILi128ELi4EZNS0_15gpu_kernel_implINS0_13AUnaryFunctorImmbNS0_12_GLOBAL__N_116CompareEqFunctorImEEEEEEvRNS_18TensorIteratorBaseERKT_EUlibE0_EEviT1_,@function
_ZN2at6native32elementwise_kernel_manual_unrollILi128ELi4EZNS0_15gpu_kernel_implINS0_13AUnaryFunctorImmbNS0_12_GLOBAL__N_116CompareEqFunctorImEEEEEEvRNS_18TensorIteratorBaseERKT_EUlibE0_EEviT1_: ; @_ZN2at6native32elementwise_kernel_manual_unrollILi128ELi4EZNS0_15gpu_kernel_implINS0_13AUnaryFunctorImmbNS0_12_GLOBAL__N_116CompareEqFunctorImEEEEEEvRNS_18TensorIteratorBaseERKT_EUlibE0_EEviT1_
; %bb.0:
	s_clause 0x1
	s_load_b32 s19, s[0:1], 0x8
	s_load_b32 s39, s[0:1], 0x0
	s_bfe_u32 s2, ttmp6, 0x4000c
	s_and_b32 s3, ttmp6, 15
	s_add_co_i32 s2, s2, 1
	s_getreg_b32 s4, hwreg(HW_REG_IB_STS2, 6, 4)
	s_mul_i32 s2, ttmp9, s2
	s_mov_b32 s34, 0
	s_add_co_i32 s3, s3, s2
	s_cmp_eq_u32 s4, 0
	s_mov_b32 s27, -1
	s_cselect_b32 s2, ttmp9, s3
	s_mov_b32 s11, 0
	v_lshl_or_b32 v0, s2, 9, v0
	s_add_nc_u64 s[2:3], s[0:1], 8
	s_wait_xcnt 0x0
	s_mov_b32 s0, exec_lo
	s_delay_alu instid0(VALU_DEP_1) | instskip(SKIP_2) | instid1(SALU_CYCLE_1)
	v_or_b32_e32 v9, 0x180, v0
	s_wait_kmcnt 0x0
	s_add_co_i32 s33, s19, -1
	s_cmp_gt_u32 s33, 1
	s_cselect_b32 s35, -1, 0
	v_cmpx_le_i32_e64 s39, v9
	s_xor_b32 s36, exec_lo, s0
	s_cbranch_execz .LBB372_1080
; %bb.1:
	s_clause 0x5
	s_load_b128 s[8:11], s[2:3], 0x4
	s_load_b96 s[16:18], s[2:3], 0x160
	s_load_b32 s22, s[2:3], 0x158
	s_load_b64 s[0:1], s[2:3], 0x14
	s_load_b128 s[12:15], s[2:3], 0xc4
	s_load_b128 s[4:7], s[2:3], 0x148
	s_cmp_lg_u32 s19, 0
	s_mov_b32 s21, 0
	s_cselect_b32 s41, -1, 0
	s_min_u32 s40, s33, 15
	s_cmp_gt_u32 s19, 1
	s_add_nc_u64 s[24:25], s[2:3], 0xc4
	s_cselect_b32 s38, -1, 0
	s_mov_b32 s23, s21
	s_mov_b32 s43, s21
	;; [unrolled: 1-line block ×3, first 2 shown]
	s_mov_b32 s44, exec_lo
	s_wait_kmcnt 0x0
	s_mov_b32 s20, s9
	s_bfe_u32 s37, s18, 0x80008
	s_cmp_eq_u32 s22, 0
	s_mov_b32 s22, s0
	s_cselect_b32 s9, -1, 0
	v_cmpx_gt_i32_e64 s39, v0
	s_cbranch_execz .LBB372_263
; %bb.2:
	s_and_not1_b32 vcc_lo, exec_lo, s35
	s_cbranch_vccnz .LBB372_8
; %bb.3:
	s_and_not1_b32 vcc_lo, exec_lo, s41
	s_cbranch_vccnz .LBB372_9
; %bb.4:
	s_add_co_i32 s0, s40, 1
	s_cmp_eq_u32 s33, 2
	s_cbranch_scc1 .LBB372_10
; %bb.5:
	v_dual_mov_b32 v2, 0 :: v_dual_mov_b32 v4, 0
	v_mov_b32_e32 v1, v0
	s_and_b32 s26, s0, 28
	s_mov_b32 s27, 0
	s_mov_b64 s[28:29], s[2:3]
	s_mov_b64 s[30:31], s[24:25]
.LBB372_6:                              ; =>This Inner Loop Header: Depth=1
	s_clause 0x1
	s_load_b256 s[48:55], s[28:29], 0x4
	s_load_b128 s[64:67], s[28:29], 0x24
	s_load_b256 s[56:63], s[30:31], 0x0
	s_add_co_i32 s27, s27, 4
	s_wait_xcnt 0x0
	s_add_nc_u64 s[28:29], s[28:29], 48
	s_cmp_lg_u32 s26, s27
	s_add_nc_u64 s[30:31], s[30:31], 32
	s_wait_kmcnt 0x0
	v_mul_hi_u32 v3, s49, v1
	s_delay_alu instid0(VALU_DEP_1) | instskip(NEXT) | instid1(VALU_DEP_1)
	v_add_nc_u32_e32 v3, v1, v3
	v_lshrrev_b32_e32 v3, s50, v3
	s_delay_alu instid0(VALU_DEP_1) | instskip(NEXT) | instid1(VALU_DEP_1)
	v_mul_hi_u32 v5, s52, v3
	v_add_nc_u32_e32 v5, v3, v5
	s_delay_alu instid0(VALU_DEP_1) | instskip(NEXT) | instid1(VALU_DEP_1)
	v_lshrrev_b32_e32 v5, s53, v5
	v_mul_hi_u32 v6, s55, v5
	s_delay_alu instid0(VALU_DEP_1) | instskip(SKIP_1) | instid1(VALU_DEP_1)
	v_add_nc_u32_e32 v6, v5, v6
	v_mul_lo_u32 v7, v3, s48
	v_sub_nc_u32_e32 v1, v1, v7
	v_mul_lo_u32 v7, v5, s51
	s_delay_alu instid0(VALU_DEP_4) | instskip(NEXT) | instid1(VALU_DEP_3)
	v_lshrrev_b32_e32 v6, s64, v6
	v_mad_u32 v4, v1, s57, v4
	v_mad_u32 v1, v1, s56, v2
	s_delay_alu instid0(VALU_DEP_4) | instskip(NEXT) | instid1(VALU_DEP_4)
	v_sub_nc_u32_e32 v2, v3, v7
	v_mul_hi_u32 v8, s66, v6
	v_mul_lo_u32 v3, v6, s54
	s_delay_alu instid0(VALU_DEP_3) | instskip(SKIP_1) | instid1(VALU_DEP_3)
	v_mad_u32 v4, v2, s59, v4
	v_mad_u32 v2, v2, s58, v1
	v_dual_add_nc_u32 v7, v6, v8 :: v_dual_sub_nc_u32 v3, v5, v3
	s_delay_alu instid0(VALU_DEP_1) | instskip(NEXT) | instid1(VALU_DEP_2)
	v_lshrrev_b32_e32 v1, s67, v7
	v_mad_u32 v4, v3, s61, v4
	s_delay_alu instid0(VALU_DEP_4) | instskip(NEXT) | instid1(VALU_DEP_3)
	v_mad_u32 v2, v3, s60, v2
	v_mul_lo_u32 v5, v1, s65
	s_delay_alu instid0(VALU_DEP_1) | instskip(NEXT) | instid1(VALU_DEP_1)
	v_sub_nc_u32_e32 v3, v6, v5
	v_mad_u32 v4, v3, s63, v4
	s_delay_alu instid0(VALU_DEP_4)
	v_mad_u32 v2, v3, s62, v2
	s_cbranch_scc1 .LBB372_6
; %bb.7:
	s_delay_alu instid0(VALU_DEP_2)
	v_mov_b32_e32 v3, v4
	s_and_b32 s0, s0, 3
	s_mov_b32 s27, 0
	s_cmp_eq_u32 s0, 0
	s_cbranch_scc0 .LBB372_11
	s_branch .LBB372_14
.LBB372_8:
                                        ; implicit-def: $vgpr4
                                        ; implicit-def: $vgpr2
	s_branch .LBB372_15
.LBB372_9:
	v_dual_mov_b32 v4, 0 :: v_dual_mov_b32 v2, 0
	s_branch .LBB372_14
.LBB372_10:
	v_mov_b64_e32 v[2:3], 0
	v_mov_b32_e32 v1, v0
	s_mov_b32 s26, 0
                                        ; implicit-def: $vgpr4
	s_and_b32 s0, s0, 3
	s_mov_b32 s27, 0
	s_cmp_eq_u32 s0, 0
	s_cbranch_scc1 .LBB372_14
.LBB372_11:
	s_lshl_b32 s28, s26, 3
	s_mov_b32 s29, s27
	s_mul_u64 s[30:31], s[26:27], 12
	s_add_nc_u64 s[28:29], s[2:3], s[28:29]
	s_delay_alu instid0(SALU_CYCLE_1)
	s_add_nc_u64 s[26:27], s[28:29], 0xc4
	s_add_nc_u64 s[28:29], s[2:3], s[30:31]
.LBB372_12:                             ; =>This Inner Loop Header: Depth=1
	s_load_b96 s[48:50], s[28:29], 0x4
	s_load_b64 s[30:31], s[26:27], 0x0
	s_add_co_i32 s0, s0, -1
	s_wait_xcnt 0x0
	s_add_nc_u64 s[28:29], s[28:29], 12
	s_cmp_lg_u32 s0, 0
	s_add_nc_u64 s[26:27], s[26:27], 8
	s_wait_kmcnt 0x0
	v_mul_hi_u32 v4, s49, v1
	s_delay_alu instid0(VALU_DEP_1) | instskip(NEXT) | instid1(VALU_DEP_1)
	v_add_nc_u32_e32 v4, v1, v4
	v_lshrrev_b32_e32 v4, s50, v4
	s_delay_alu instid0(VALU_DEP_1) | instskip(NEXT) | instid1(VALU_DEP_1)
	v_mul_lo_u32 v5, v4, s48
	v_sub_nc_u32_e32 v1, v1, v5
	s_delay_alu instid0(VALU_DEP_1)
	v_mad_u32 v3, v1, s31, v3
	v_mad_u32 v2, v1, s30, v2
	v_mov_b32_e32 v1, v4
	s_cbranch_scc1 .LBB372_12
; %bb.13:
	s_delay_alu instid0(VALU_DEP_3)
	v_mov_b32_e32 v4, v3
.LBB372_14:
	s_cbranch_execnz .LBB372_17
.LBB372_15:
	v_mov_b32_e32 v1, 0
	s_and_not1_b32 vcc_lo, exec_lo, s38
	s_delay_alu instid0(VALU_DEP_1) | instskip(NEXT) | instid1(VALU_DEP_1)
	v_mul_u64_e32 v[2:3], s[20:21], v[0:1]
	v_add_nc_u32_e32 v2, v0, v3
	s_delay_alu instid0(VALU_DEP_1) | instskip(NEXT) | instid1(VALU_DEP_1)
	v_lshrrev_b32_e32 v6, s10, v2
	v_mul_lo_u32 v2, v6, s8
	s_delay_alu instid0(VALU_DEP_1) | instskip(NEXT) | instid1(VALU_DEP_1)
	v_sub_nc_u32_e32 v2, v0, v2
	v_mul_lo_u32 v4, v2, s13
	v_mul_lo_u32 v2, v2, s12
	s_cbranch_vccnz .LBB372_17
; %bb.16:
	v_mov_b32_e32 v7, v1
	s_delay_alu instid0(VALU_DEP_1) | instskip(NEXT) | instid1(VALU_DEP_1)
	v_mul_u64_e32 v[8:9], s[22:23], v[6:7]
	v_add_nc_u32_e32 v1, v6, v9
	s_delay_alu instid0(VALU_DEP_1) | instskip(NEXT) | instid1(VALU_DEP_1)
	v_lshrrev_b32_e32 v1, s1, v1
	v_mul_lo_u32 v1, v1, s11
	s_delay_alu instid0(VALU_DEP_1) | instskip(NEXT) | instid1(VALU_DEP_1)
	v_sub_nc_u32_e32 v1, v6, v1
	v_mad_u32 v2, v1, s14, v2
	v_mad_u32 v4, v1, s15, v4
.LBB372_17:
	v_mov_b32_e32 v5, 0
	s_and_b32 s0, 0xffff, s37
	s_delay_alu instid0(SALU_CYCLE_1) | instskip(NEXT) | instid1(VALU_DEP_1)
	s_cmp_lt_i32 s0, 11
	v_add_nc_u64_e32 v[4:5], s[6:7], v[4:5]
	s_cbranch_scc1 .LBB372_24
; %bb.18:
	s_cmp_gt_i32 s0, 25
	s_cbranch_scc0 .LBB372_33
; %bb.19:
	s_cmp_gt_i32 s0, 28
	s_cbranch_scc0 .LBB372_36
	;; [unrolled: 3-line block ×4, first 2 shown]
; %bb.22:
	s_cmp_eq_u32 s0, 46
	s_mov_b32 s28, 0
	s_cbranch_scc0 .LBB372_42
; %bb.23:
	global_load_b32 v1, v[4:5], off
	s_mov_b32 s27, -1
	s_mov_b32 s26, 0
	s_wait_loadcnt 0x0
	v_lshlrev_b32_e32 v1, 16, v1
	s_delay_alu instid0(VALU_DEP_1) | instskip(NEXT) | instid1(VALU_DEP_1)
	v_trunc_f32_e32 v1, v1
	v_mul_f32_e32 v3, 0x2f800000, v1
	s_delay_alu instid0(VALU_DEP_1) | instskip(NEXT) | instid1(VALU_DEP_1)
	v_floor_f32_e32 v3, v3
	v_fmamk_f32 v1, v3, 0xcf800000, v1
	v_cvt_u32_f32_e32 v7, v3
	s_delay_alu instid0(VALU_DEP_2)
	v_cvt_u32_f32_e32 v6, v1
	s_branch .LBB372_44
.LBB372_24:
	s_mov_b32 s26, 0
	s_mov_b32 s27, 0
                                        ; implicit-def: $vgpr6_vgpr7
	s_cbranch_execnz .LBB372_213
.LBB372_25:
	s_and_not1_b32 vcc_lo, exec_lo, s27
	s_cbranch_vccnz .LBB372_260
.LBB372_26:
	v_mov_b32_e32 v3, 0
	s_wait_loadcnt 0x0
	s_delay_alu instid0(VALU_DEP_2) | instskip(SKIP_1) | instid1(VALU_DEP_2)
	v_cmp_ne_u64_e32 vcc_lo, s[16:17], v[6:7]
	s_and_b32 s28, s18, 0xff
	v_add_nc_u64_e32 v[2:3], s[4:5], v[2:3]
	s_xor_b32 s27, s9, vcc_lo
	s_cmp_lt_i32 s28, 11
	s_cbranch_scc1 .LBB372_34
; %bb.27:
	s_and_b32 s29, 0xffff, s28
	s_delay_alu instid0(SALU_CYCLE_1)
	s_cmp_gt_i32 s29, 25
	s_cbranch_scc0 .LBB372_37
; %bb.28:
	s_cmp_gt_i32 s29, 28
	s_cbranch_scc0 .LBB372_39
; %bb.29:
	;; [unrolled: 3-line block ×4, first 2 shown]
	s_mov_b32 s31, 0
	s_mov_b32 s0, -1
	s_cmp_eq_u32 s29, 46
	s_mov_b32 s30, 0
	s_cbranch_scc0 .LBB372_48
; %bb.32:
	v_cndmask_b32_e64 v1, 0, 1.0, s27
	s_mov_b32 s30, -1
	s_mov_b32 s0, 0
	s_delay_alu instid0(VALU_DEP_1) | instskip(NEXT) | instid1(VALU_DEP_1)
	v_bfe_u32 v4, v1, 16, 1
	v_add3_u32 v1, v1, v4, 0x7fff
	s_delay_alu instid0(VALU_DEP_1)
	v_lshrrev_b32_e32 v1, 16, v1
	global_store_b32 v[2:3], v1, off
	s_branch .LBB372_48
.LBB372_33:
	s_mov_b32 s26, 0
	s_mov_b32 s27, 0
                                        ; implicit-def: $vgpr6_vgpr7
	s_cbranch_execnz .LBB372_180
	s_branch .LBB372_212
.LBB372_34:
	s_mov_b32 s0, 0
	s_mov_b32 s30, 0
	s_cbranch_execnz .LBB372_117
.LBB372_35:
	s_and_not1_b32 vcc_lo, exec_lo, s30
	s_cbranch_vccz .LBB372_155
	s_branch .LBB372_261
.LBB372_36:
	s_mov_b32 s28, -1
	s_mov_b32 s26, 0
	s_mov_b32 s27, 0
                                        ; implicit-def: $vgpr6_vgpr7
	s_branch .LBB372_163
.LBB372_37:
	s_mov_b32 s31, -1
	s_mov_b32 s0, 0
	s_mov_b32 s30, 0
	s_branch .LBB372_75
.LBB372_38:
	s_mov_b32 s28, -1
	s_mov_b32 s26, 0
	s_mov_b32 s27, 0
                                        ; implicit-def: $vgpr6_vgpr7
	s_branch .LBB372_158
.LBB372_39:
	s_mov_b32 s31, -1
	s_mov_b32 s0, 0
	s_mov_b32 s30, 0
	s_branch .LBB372_58
.LBB372_40:
	s_mov_b32 s28, -1
	s_mov_b32 s26, 0
	s_branch .LBB372_43
.LBB372_41:
	s_mov_b32 s31, -1
	s_mov_b32 s0, 0
	s_mov_b32 s30, 0
	s_branch .LBB372_54
.LBB372_42:
	s_mov_b32 s26, -1
.LBB372_43:
	s_mov_b32 s27, 0
                                        ; implicit-def: $vgpr6_vgpr7
.LBB372_44:
	s_and_b32 vcc_lo, exec_lo, s28
	s_cbranch_vccz .LBB372_157
; %bb.45:
	s_cmp_eq_u32 s0, 44
	s_cbranch_scc0 .LBB372_156
; %bb.46:
	global_load_u8 v1, v[4:5], off
	s_mov_b32 s26, 0
	s_mov_b32 s27, -1
	s_wait_loadcnt 0x0
	v_cmp_ne_u32_e32 vcc_lo, 0, v1
	v_lshlrev_b32_e32 v3, 23, v1
	s_delay_alu instid0(VALU_DEP_1) | instskip(NEXT) | instid1(VALU_DEP_1)
	v_trunc_f32_e32 v3, v3
	v_mul_f32_e32 v6, 0x2f800000, v3
	s_delay_alu instid0(VALU_DEP_1) | instskip(NEXT) | instid1(VALU_DEP_1)
	v_floor_f32_e32 v6, v6
	v_fmamk_f32 v3, v6, 0xcf800000, v3
	v_cvt_u32_f32_e32 v6, v6
	s_delay_alu instid0(VALU_DEP_2) | instskip(NEXT) | instid1(VALU_DEP_1)
	v_cvt_u32_f32_e32 v3, v3
	v_dual_cndmask_b32 v7, 0, v6 :: v_dual_cndmask_b32 v6, 0, v3
	s_branch .LBB372_157
.LBB372_47:
	s_mov_b32 s31, -1
	s_mov_b32 s0, 0
	s_mov_b32 s30, 0
.LBB372_48:
	s_and_b32 vcc_lo, exec_lo, s31
	s_cbranch_vccz .LBB372_53
; %bb.49:
	s_cmp_eq_u32 s29, 44
	s_mov_b32 s0, -1
	s_cbranch_scc0 .LBB372_53
; %bb.50:
	v_cndmask_b32_e64 v5, 0, 1.0, s27
	s_mov_b32 s30, exec_lo
	s_wait_xcnt 0x0
	s_delay_alu instid0(VALU_DEP_1) | instskip(NEXT) | instid1(VALU_DEP_1)
	v_dual_mov_b32 v4, 0xff :: v_dual_lshrrev_b32 v1, 23, v5
	v_cmpx_ne_u32_e32 0xff, v1
; %bb.51:
	v_and_b32_e32 v4, 0x400000, v5
	v_and_or_b32 v5, 0x3fffff, v5, v1
	s_delay_alu instid0(VALU_DEP_2) | instskip(NEXT) | instid1(VALU_DEP_2)
	v_cmp_ne_u32_e32 vcc_lo, 0, v4
	v_cmp_ne_u32_e64 s0, 0, v5
	s_and_b32 s0, vcc_lo, s0
	s_delay_alu instid0(SALU_CYCLE_1) | instskip(NEXT) | instid1(VALU_DEP_1)
	v_cndmask_b32_e64 v4, 0, 1, s0
	v_add_nc_u32_e32 v4, v1, v4
; %bb.52:
	s_or_b32 exec_lo, exec_lo, s30
	s_mov_b32 s30, -1
	s_mov_b32 s0, 0
	global_store_b8 v[2:3], v4, off
.LBB372_53:
	s_mov_b32 s31, 0
.LBB372_54:
	s_delay_alu instid0(SALU_CYCLE_1)
	s_and_b32 vcc_lo, exec_lo, s31
	s_cbranch_vccz .LBB372_57
; %bb.55:
	s_cmp_eq_u32 s29, 29
	s_mov_b32 s0, -1
	s_cbranch_scc0 .LBB372_57
; %bb.56:
	s_mov_b32 s0, 0
	s_wait_xcnt 0x0
	v_cndmask_b32_e64 v4, 0, 1, s27
	v_mov_b32_e32 v5, s0
	s_mov_b32 s30, -1
	s_mov_b32 s31, 0
	global_store_b64 v[2:3], v[4:5], off
	s_branch .LBB372_58
.LBB372_57:
	s_mov_b32 s31, 0
.LBB372_58:
	s_delay_alu instid0(SALU_CYCLE_1)
	s_and_b32 vcc_lo, exec_lo, s31
	s_cbranch_vccz .LBB372_74
; %bb.59:
	s_cmp_lt_i32 s29, 27
	s_mov_b32 s30, -1
	s_cbranch_scc1 .LBB372_65
; %bb.60:
	s_cmp_gt_i32 s29, 27
	s_cbranch_scc0 .LBB372_62
; %bb.61:
	s_wait_xcnt 0x0
	v_cndmask_b32_e64 v1, 0, 1, s27
	s_mov_b32 s30, 0
	global_store_b32 v[2:3], v1, off
.LBB372_62:
	s_and_not1_b32 vcc_lo, exec_lo, s30
	s_cbranch_vccnz .LBB372_64
; %bb.63:
	s_wait_xcnt 0x0
	v_cndmask_b32_e64 v1, 0, 1, s27
	global_store_b16 v[2:3], v1, off
.LBB372_64:
	s_mov_b32 s30, 0
.LBB372_65:
	s_delay_alu instid0(SALU_CYCLE_1)
	s_and_not1_b32 vcc_lo, exec_lo, s30
	s_cbranch_vccnz .LBB372_73
; %bb.66:
	s_wait_xcnt 0x0
	v_cndmask_b32_e64 v4, 0, 1.0, s27
	v_mov_b32_e32 v5, 0x80
	s_mov_b32 s30, exec_lo
	s_delay_alu instid0(VALU_DEP_2)
	v_cmpx_gt_u32_e32 0x43800000, v4
	s_cbranch_execz .LBB372_72
; %bb.67:
	s_mov_b32 s31, 0
	s_mov_b32 s42, exec_lo
                                        ; implicit-def: $vgpr1
	v_cmpx_lt_u32_e32 0x3bffffff, v4
	s_xor_b32 s42, exec_lo, s42
	s_cbranch_execz .LBB372_306
; %bb.68:
	v_bfe_u32 v1, v4, 20, 1
	s_mov_b32 s31, exec_lo
	s_delay_alu instid0(VALU_DEP_1) | instskip(NEXT) | instid1(VALU_DEP_1)
	v_add3_u32 v1, v4, v1, 0x487ffff
                                        ; implicit-def: $vgpr4
	v_lshrrev_b32_e32 v1, 20, v1
	s_and_not1_saveexec_b32 s42, s42
	s_cbranch_execnz .LBB372_307
.LBB372_69:
	s_or_b32 exec_lo, exec_lo, s42
	v_mov_b32_e32 v5, 0
	s_and_saveexec_b32 s42, s31
.LBB372_70:
	v_mov_b32_e32 v5, v1
.LBB372_71:
	s_or_b32 exec_lo, exec_lo, s42
.LBB372_72:
	s_delay_alu instid0(SALU_CYCLE_1)
	s_or_b32 exec_lo, exec_lo, s30
	global_store_b8 v[2:3], v5, off
.LBB372_73:
	s_mov_b32 s30, -1
.LBB372_74:
	s_mov_b32 s31, 0
.LBB372_75:
	s_delay_alu instid0(SALU_CYCLE_1)
	s_and_b32 vcc_lo, exec_lo, s31
	s_cbranch_vccz .LBB372_116
; %bb.76:
	s_cmp_gt_i32 s29, 22
	s_mov_b32 s31, -1
	s_cbranch_scc0 .LBB372_108
; %bb.77:
	s_cmp_lt_i32 s29, 24
	s_mov_b32 s30, -1
	s_cbranch_scc1 .LBB372_97
; %bb.78:
	s_cmp_gt_i32 s29, 24
	s_cbranch_scc0 .LBB372_86
; %bb.79:
	s_wait_xcnt 0x0
	v_cndmask_b32_e64 v4, 0, 1.0, s27
	v_mov_b32_e32 v5, 0x80
	s_mov_b32 s30, exec_lo
	s_delay_alu instid0(VALU_DEP_2)
	v_cmpx_gt_u32_e32 0x47800000, v4
	s_cbranch_execz .LBB372_85
; %bb.80:
	s_mov_b32 s31, 0
	s_mov_b32 s42, exec_lo
                                        ; implicit-def: $vgpr1
	v_cmpx_lt_u32_e32 0x37ffffff, v4
	s_xor_b32 s42, exec_lo, s42
	s_cbranch_execz .LBB372_310
; %bb.81:
	v_bfe_u32 v1, v4, 21, 1
	s_mov_b32 s31, exec_lo
	s_delay_alu instid0(VALU_DEP_1) | instskip(NEXT) | instid1(VALU_DEP_1)
	v_add3_u32 v1, v4, v1, 0x88fffff
                                        ; implicit-def: $vgpr4
	v_lshrrev_b32_e32 v1, 21, v1
	s_and_not1_saveexec_b32 s42, s42
	s_cbranch_execnz .LBB372_311
.LBB372_82:
	s_or_b32 exec_lo, exec_lo, s42
	v_mov_b32_e32 v5, 0
	s_and_saveexec_b32 s42, s31
.LBB372_83:
	v_mov_b32_e32 v5, v1
.LBB372_84:
	s_or_b32 exec_lo, exec_lo, s42
.LBB372_85:
	s_delay_alu instid0(SALU_CYCLE_1)
	s_or_b32 exec_lo, exec_lo, s30
	s_mov_b32 s30, 0
	global_store_b8 v[2:3], v5, off
.LBB372_86:
	s_and_b32 vcc_lo, exec_lo, s30
	s_cbranch_vccz .LBB372_96
; %bb.87:
	s_wait_xcnt 0x0
	v_cndmask_b32_e64 v4, 0, 1.0, s27
	s_mov_b32 s30, exec_lo
                                        ; implicit-def: $vgpr1
	s_delay_alu instid0(VALU_DEP_1)
	v_cmpx_gt_u32_e32 0x43f00000, v4
	s_xor_b32 s30, exec_lo, s30
	s_cbranch_execz .LBB372_93
; %bb.88:
	s_mov_b32 s31, exec_lo
                                        ; implicit-def: $vgpr1
	v_cmpx_lt_u32_e32 0x3c7fffff, v4
	s_xor_b32 s31, exec_lo, s31
; %bb.89:
	v_bfe_u32 v1, v4, 20, 1
	s_delay_alu instid0(VALU_DEP_1) | instskip(NEXT) | instid1(VALU_DEP_1)
	v_add3_u32 v1, v4, v1, 0x407ffff
	v_and_b32_e32 v4, 0xff00000, v1
	v_lshrrev_b32_e32 v1, 20, v1
	s_delay_alu instid0(VALU_DEP_2) | instskip(NEXT) | instid1(VALU_DEP_2)
	v_cmp_ne_u32_e32 vcc_lo, 0x7f00000, v4
                                        ; implicit-def: $vgpr4
	v_cndmask_b32_e32 v1, 0x7e, v1, vcc_lo
; %bb.90:
	s_and_not1_saveexec_b32 s31, s31
; %bb.91:
	v_add_f32_e32 v1, 0x46800000, v4
; %bb.92:
	s_or_b32 exec_lo, exec_lo, s31
                                        ; implicit-def: $vgpr4
.LBB372_93:
	s_and_not1_saveexec_b32 s30, s30
; %bb.94:
	v_mov_b32_e32 v1, 0x7f
	v_cmp_lt_u32_e32 vcc_lo, 0x7f800000, v4
	s_delay_alu instid0(VALU_DEP_2)
	v_cndmask_b32_e32 v1, 0x7e, v1, vcc_lo
; %bb.95:
	s_or_b32 exec_lo, exec_lo, s30
	global_store_b8 v[2:3], v1, off
.LBB372_96:
	s_mov_b32 s30, 0
.LBB372_97:
	s_delay_alu instid0(SALU_CYCLE_1)
	s_and_not1_b32 vcc_lo, exec_lo, s30
	s_cbranch_vccnz .LBB372_107
; %bb.98:
	s_wait_xcnt 0x0
	v_cndmask_b32_e64 v4, 0, 1.0, s27
	s_mov_b32 s30, exec_lo
                                        ; implicit-def: $vgpr1
	s_delay_alu instid0(VALU_DEP_1)
	v_cmpx_gt_u32_e32 0x47800000, v4
	s_xor_b32 s30, exec_lo, s30
	s_cbranch_execz .LBB372_104
; %bb.99:
	s_mov_b32 s31, exec_lo
                                        ; implicit-def: $vgpr1
	v_cmpx_lt_u32_e32 0x387fffff, v4
	s_xor_b32 s31, exec_lo, s31
; %bb.100:
	v_bfe_u32 v1, v4, 21, 1
	s_delay_alu instid0(VALU_DEP_1) | instskip(NEXT) | instid1(VALU_DEP_1)
	v_add3_u32 v1, v4, v1, 0x80fffff
                                        ; implicit-def: $vgpr4
	v_lshrrev_b32_e32 v1, 21, v1
; %bb.101:
	s_and_not1_saveexec_b32 s31, s31
; %bb.102:
	v_add_f32_e32 v1, 0x43000000, v4
; %bb.103:
	s_or_b32 exec_lo, exec_lo, s31
                                        ; implicit-def: $vgpr4
.LBB372_104:
	s_and_not1_saveexec_b32 s30, s30
; %bb.105:
	v_mov_b32_e32 v1, 0x7f
	v_cmp_lt_u32_e32 vcc_lo, 0x7f800000, v4
	s_delay_alu instid0(VALU_DEP_2)
	v_cndmask_b32_e32 v1, 0x7c, v1, vcc_lo
; %bb.106:
	s_or_b32 exec_lo, exec_lo, s30
	global_store_b8 v[2:3], v1, off
.LBB372_107:
	s_mov_b32 s31, 0
	s_mov_b32 s30, -1
.LBB372_108:
	s_and_not1_b32 vcc_lo, exec_lo, s31
	s_cbranch_vccnz .LBB372_116
; %bb.109:
	s_cmp_gt_i32 s29, 14
	s_mov_b32 s31, -1
	s_cbranch_scc0 .LBB372_113
; %bb.110:
	s_cmp_eq_u32 s29, 15
	s_mov_b32 s0, -1
	s_cbranch_scc0 .LBB372_112
; %bb.111:
	s_wait_xcnt 0x0
	v_cndmask_b32_e64 v1, 0, 1.0, s27
	s_mov_b32 s30, -1
	s_mov_b32 s0, 0
	s_delay_alu instid0(VALU_DEP_1) | instskip(NEXT) | instid1(VALU_DEP_1)
	v_bfe_u32 v4, v1, 16, 1
	v_add3_u32 v1, v1, v4, 0x7fff
	global_store_d16_hi_b16 v[2:3], v1, off
.LBB372_112:
	s_mov_b32 s31, 0
.LBB372_113:
	s_delay_alu instid0(SALU_CYCLE_1)
	s_and_b32 vcc_lo, exec_lo, s31
	s_cbranch_vccz .LBB372_116
; %bb.114:
	s_cmp_eq_u32 s29, 11
	s_mov_b32 s0, -1
	s_cbranch_scc0 .LBB372_116
; %bb.115:
	s_wait_xcnt 0x0
	v_cndmask_b32_e64 v1, 0, 1, s27
	s_mov_b32 s30, -1
	s_mov_b32 s0, 0
	global_store_b8 v[2:3], v1, off
.LBB372_116:
	s_branch .LBB372_35
.LBB372_117:
	s_and_b32 s28, 0xffff, s28
	s_mov_b32 s29, -1
	s_cmp_lt_i32 s28, 5
	s_cbranch_scc1 .LBB372_138
; %bb.118:
	s_cmp_lt_i32 s28, 8
	s_cbranch_scc1 .LBB372_128
; %bb.119:
	;; [unrolled: 3-line block ×3, first 2 shown]
	s_cmp_gt_i32 s28, 9
	s_cbranch_scc0 .LBB372_122
; %bb.121:
	s_wait_xcnt 0x0
	v_cndmask_b32_e64 v1, 0, 1, s27
	v_mov_b32_e32 v6, 0
	s_mov_b32 s29, 0
	s_delay_alu instid0(VALU_DEP_2) | instskip(NEXT) | instid1(VALU_DEP_2)
	v_cvt_f64_u32_e32 v[4:5], v1
	v_mov_b32_e32 v7, v6
	global_store_b128 v[2:3], v[4:7], off
.LBB372_122:
	s_and_not1_b32 vcc_lo, exec_lo, s29
	s_cbranch_vccnz .LBB372_124
; %bb.123:
	s_wait_xcnt 0x0
	v_cndmask_b32_e64 v4, 0, 1.0, s27
	v_mov_b32_e32 v5, 0
	global_store_b64 v[2:3], v[4:5], off
.LBB372_124:
	s_mov_b32 s29, 0
.LBB372_125:
	s_delay_alu instid0(SALU_CYCLE_1)
	s_and_not1_b32 vcc_lo, exec_lo, s29
	s_cbranch_vccnz .LBB372_127
; %bb.126:
	s_wait_xcnt 0x0
	v_cndmask_b32_e64 v1, 0, 1.0, s27
	s_delay_alu instid0(VALU_DEP_1) | instskip(NEXT) | instid1(VALU_DEP_1)
	v_cvt_f16_f32_e32 v1, v1
	v_and_b32_e32 v1, 0xffff, v1
	global_store_b32 v[2:3], v1, off
.LBB372_127:
	s_mov_b32 s29, 0
.LBB372_128:
	s_delay_alu instid0(SALU_CYCLE_1)
	s_and_not1_b32 vcc_lo, exec_lo, s29
	s_cbranch_vccnz .LBB372_137
; %bb.129:
	s_cmp_lt_i32 s28, 6
	s_mov_b32 s29, -1
	s_cbranch_scc1 .LBB372_135
; %bb.130:
	s_cmp_gt_i32 s28, 6
	s_cbranch_scc0 .LBB372_132
; %bb.131:
	s_wait_xcnt 0x0
	v_cndmask_b32_e64 v1, 0, 1, s27
	s_mov_b32 s29, 0
	s_delay_alu instid0(VALU_DEP_1)
	v_cvt_f64_u32_e32 v[4:5], v1
	global_store_b64 v[2:3], v[4:5], off
.LBB372_132:
	s_and_not1_b32 vcc_lo, exec_lo, s29
	s_cbranch_vccnz .LBB372_134
; %bb.133:
	s_wait_xcnt 0x0
	v_cndmask_b32_e64 v1, 0, 1.0, s27
	global_store_b32 v[2:3], v1, off
.LBB372_134:
	s_mov_b32 s29, 0
.LBB372_135:
	s_delay_alu instid0(SALU_CYCLE_1)
	s_and_not1_b32 vcc_lo, exec_lo, s29
	s_cbranch_vccnz .LBB372_137
; %bb.136:
	s_wait_xcnt 0x0
	v_cndmask_b32_e64 v1, 0, 1.0, s27
	s_delay_alu instid0(VALU_DEP_1)
	v_cvt_f16_f32_e32 v1, v1
	global_store_b16 v[2:3], v1, off
.LBB372_137:
	s_mov_b32 s29, 0
.LBB372_138:
	s_delay_alu instid0(SALU_CYCLE_1)
	s_and_not1_b32 vcc_lo, exec_lo, s29
	s_cbranch_vccnz .LBB372_154
; %bb.139:
	s_cmp_lt_i32 s28, 2
	s_mov_b32 s29, -1
	s_cbranch_scc1 .LBB372_149
; %bb.140:
	s_cmp_lt_i32 s28, 3
	s_cbranch_scc1 .LBB372_146
; %bb.141:
	s_cmp_gt_i32 s28, 3
	s_cbranch_scc0 .LBB372_143
; %bb.142:
	s_mov_b32 s29, 0
	s_wait_xcnt 0x0
	v_cndmask_b32_e64 v4, 0, 1, s27
	v_mov_b32_e32 v5, s29
	global_store_b64 v[2:3], v[4:5], off
.LBB372_143:
	s_and_not1_b32 vcc_lo, exec_lo, s29
	s_cbranch_vccnz .LBB372_145
; %bb.144:
	s_wait_xcnt 0x0
	v_cndmask_b32_e64 v1, 0, 1, s27
	global_store_b32 v[2:3], v1, off
.LBB372_145:
	s_mov_b32 s29, 0
.LBB372_146:
	s_delay_alu instid0(SALU_CYCLE_1)
	s_and_not1_b32 vcc_lo, exec_lo, s29
	s_cbranch_vccnz .LBB372_148
; %bb.147:
	s_wait_xcnt 0x0
	v_cndmask_b32_e64 v1, 0, 1, s27
	global_store_b16 v[2:3], v1, off
.LBB372_148:
	s_mov_b32 s29, 0
.LBB372_149:
	s_delay_alu instid0(SALU_CYCLE_1)
	s_and_not1_b32 vcc_lo, exec_lo, s29
	s_cbranch_vccnz .LBB372_154
; %bb.150:
	s_cmp_gt_i32 s28, 0
	s_mov_b32 s28, -1
	s_cbranch_scc0 .LBB372_152
; %bb.151:
	s_wait_xcnt 0x0
	v_cndmask_b32_e64 v1, 0, 1, s27
	s_mov_b32 s28, 0
	global_store_b8 v[2:3], v1, off
.LBB372_152:
	s_and_not1_b32 vcc_lo, exec_lo, s28
	s_cbranch_vccnz .LBB372_154
; %bb.153:
	s_wait_xcnt 0x0
	v_cndmask_b32_e64 v1, 0, 1, s27
	global_store_b8 v[2:3], v1, off
.LBB372_154:
.LBB372_155:
	v_add_nc_u32_e32 v0, 0x80, v0
	s_mov_b32 s27, -1
	s_branch .LBB372_262
.LBB372_156:
	s_mov_b32 s26, -1
                                        ; implicit-def: $vgpr6_vgpr7
.LBB372_157:
	s_mov_b32 s28, 0
.LBB372_158:
	s_delay_alu instid0(SALU_CYCLE_1)
	s_and_b32 vcc_lo, exec_lo, s28
	s_cbranch_vccz .LBB372_162
; %bb.159:
	s_cmp_eq_u32 s0, 29
	s_cbranch_scc0 .LBB372_161
; %bb.160:
	global_load_b64 v[6:7], v[4:5], off
	s_mov_b32 s27, -1
	s_mov_b32 s26, 0
	s_branch .LBB372_162
.LBB372_161:
	s_mov_b32 s26, -1
                                        ; implicit-def: $vgpr6_vgpr7
.LBB372_162:
	s_mov_b32 s28, 0
.LBB372_163:
	s_delay_alu instid0(SALU_CYCLE_1)
	s_and_b32 vcc_lo, exec_lo, s28
	s_cbranch_vccz .LBB372_179
; %bb.164:
	s_cmp_lt_i32 s0, 27
	s_cbranch_scc1 .LBB372_167
; %bb.165:
	s_cmp_gt_i32 s0, 27
	s_cbranch_scc0 .LBB372_168
; %bb.166:
	s_wait_loadcnt 0x0
	global_load_b32 v6, v[4:5], off
	v_mov_b32_e32 v7, 0
	s_mov_b32 s27, 0
	s_branch .LBB372_169
.LBB372_167:
	s_mov_b32 s27, -1
                                        ; implicit-def: $vgpr6_vgpr7
	s_branch .LBB372_172
.LBB372_168:
	s_mov_b32 s27, -1
                                        ; implicit-def: $vgpr6_vgpr7
.LBB372_169:
	s_delay_alu instid0(SALU_CYCLE_1)
	s_and_not1_b32 vcc_lo, exec_lo, s27
	s_cbranch_vccnz .LBB372_171
; %bb.170:
	global_load_u16 v1, v[4:5], off
	s_mov_b32 s27, 0
	s_wait_loadcnt 0x1
	v_mov_b32_e32 v7, s27
	s_wait_loadcnt 0x0
	v_and_b32_e32 v6, 0xffff, v1
.LBB372_171:
	s_mov_b32 s27, 0
.LBB372_172:
	s_delay_alu instid0(SALU_CYCLE_1)
	s_and_not1_b32 vcc_lo, exec_lo, s27
	s_cbranch_vccnz .LBB372_178
; %bb.173:
	global_load_u8 v1, v[4:5], off
	s_mov_b32 s28, 0
	s_mov_b32 s27, exec_lo
	s_wait_loadcnt 0x0
	v_cmpx_lt_i16_e32 0x7f, v1
	s_xor_b32 s27, exec_lo, s27
	s_cbranch_execz .LBB372_189
; %bb.174:
	v_cmp_ne_u16_e32 vcc_lo, 0x80, v1
	s_and_b32 s28, vcc_lo, exec_lo
	s_and_not1_saveexec_b32 s27, s27
	s_cbranch_execnz .LBB372_190
.LBB372_175:
	s_or_b32 exec_lo, exec_lo, s27
	v_mov_b64_e32 v[6:7], 0
	s_and_saveexec_b32 s27, s28
	s_cbranch_execz .LBB372_177
.LBB372_176:
	v_and_b32_e32 v3, 0xffff, v1
	s_delay_alu instid0(VALU_DEP_1) | instskip(SKIP_1) | instid1(VALU_DEP_2)
	v_dual_lshlrev_b32 v1, 24, v1 :: v_dual_bitop2_b32 v6, 7, v3 bitop3:0x40
	v_bfe_u32 v9, v3, 3, 4
	v_and_b32_e32 v1, 0x80000000, v1
	s_delay_alu instid0(VALU_DEP_3) | instskip(NEXT) | instid1(VALU_DEP_3)
	v_clz_i32_u32_e32 v7, v6
	v_cmp_eq_u32_e32 vcc_lo, 0, v9
	s_delay_alu instid0(VALU_DEP_2) | instskip(NEXT) | instid1(VALU_DEP_1)
	v_min_u32_e32 v7, 32, v7
	v_subrev_nc_u32_e32 v8, 28, v7
	v_sub_nc_u32_e32 v7, 29, v7
	s_delay_alu instid0(VALU_DEP_2) | instskip(NEXT) | instid1(VALU_DEP_2)
	v_lshlrev_b32_e32 v3, v8, v3
	v_cndmask_b32_e32 v7, v9, v7, vcc_lo
	s_delay_alu instid0(VALU_DEP_2) | instskip(NEXT) | instid1(VALU_DEP_1)
	v_and_b32_e32 v3, 7, v3
	v_cndmask_b32_e32 v3, v6, v3, vcc_lo
	s_delay_alu instid0(VALU_DEP_3) | instskip(NEXT) | instid1(VALU_DEP_2)
	v_lshl_add_u32 v6, v7, 23, 0x3b800000
	v_lshlrev_b32_e32 v3, 20, v3
	s_delay_alu instid0(VALU_DEP_1) | instskip(NEXT) | instid1(VALU_DEP_1)
	v_or3_b32 v1, v1, v6, v3
	v_trunc_f32_e32 v1, v1
	s_delay_alu instid0(VALU_DEP_1) | instskip(NEXT) | instid1(VALU_DEP_1)
	v_mul_f32_e32 v3, 0x2f800000, v1
	v_floor_f32_e32 v3, v3
	s_delay_alu instid0(VALU_DEP_1) | instskip(SKIP_1) | instid1(VALU_DEP_2)
	v_fmamk_f32 v1, v3, 0xcf800000, v1
	v_cvt_u32_f32_e32 v7, v3
	v_cvt_u32_f32_e32 v6, v1
.LBB372_177:
	s_or_b32 exec_lo, exec_lo, s27
.LBB372_178:
	s_mov_b32 s27, -1
.LBB372_179:
	s_branch .LBB372_212
.LBB372_180:
	s_cmp_gt_i32 s0, 22
	s_cbranch_scc0 .LBB372_188
; %bb.181:
	s_cmp_lt_i32 s0, 24
	s_cbranch_scc1 .LBB372_191
; %bb.182:
	s_cmp_gt_i32 s0, 24
	s_cbranch_scc0 .LBB372_192
; %bb.183:
	global_load_u8 v1, v[4:5], off
	s_mov_b32 s28, 0
	s_mov_b32 s27, exec_lo
	s_wait_loadcnt 0x0
	v_cmpx_lt_i16_e32 0x7f, v1
	s_xor_b32 s27, exec_lo, s27
	s_cbranch_execz .LBB372_204
; %bb.184:
	v_cmp_ne_u16_e32 vcc_lo, 0x80, v1
	s_and_b32 s28, vcc_lo, exec_lo
	s_and_not1_saveexec_b32 s27, s27
	s_cbranch_execnz .LBB372_205
.LBB372_185:
	s_or_b32 exec_lo, exec_lo, s27
	v_mov_b64_e32 v[6:7], 0
	s_and_saveexec_b32 s27, s28
	s_cbranch_execz .LBB372_187
.LBB372_186:
	v_and_b32_e32 v3, 0xffff, v1
	s_delay_alu instid0(VALU_DEP_1) | instskip(SKIP_1) | instid1(VALU_DEP_2)
	v_dual_lshlrev_b32 v1, 24, v1 :: v_dual_bitop2_b32 v6, 3, v3 bitop3:0x40
	v_bfe_u32 v9, v3, 2, 5
	v_and_b32_e32 v1, 0x80000000, v1
	s_delay_alu instid0(VALU_DEP_3) | instskip(NEXT) | instid1(VALU_DEP_3)
	v_clz_i32_u32_e32 v7, v6
	v_cmp_eq_u32_e32 vcc_lo, 0, v9
	s_delay_alu instid0(VALU_DEP_2) | instskip(NEXT) | instid1(VALU_DEP_1)
	v_min_u32_e32 v7, 32, v7
	v_subrev_nc_u32_e32 v8, 29, v7
	v_sub_nc_u32_e32 v7, 30, v7
	s_delay_alu instid0(VALU_DEP_2) | instskip(NEXT) | instid1(VALU_DEP_2)
	v_lshlrev_b32_e32 v3, v8, v3
	v_cndmask_b32_e32 v7, v9, v7, vcc_lo
	s_delay_alu instid0(VALU_DEP_2) | instskip(NEXT) | instid1(VALU_DEP_1)
	v_and_b32_e32 v3, 3, v3
	v_cndmask_b32_e32 v3, v6, v3, vcc_lo
	s_delay_alu instid0(VALU_DEP_3) | instskip(NEXT) | instid1(VALU_DEP_2)
	v_lshl_add_u32 v6, v7, 23, 0x37800000
	v_lshlrev_b32_e32 v3, 21, v3
	s_delay_alu instid0(VALU_DEP_1) | instskip(NEXT) | instid1(VALU_DEP_1)
	v_or3_b32 v1, v1, v6, v3
	v_trunc_f32_e32 v1, v1
	s_delay_alu instid0(VALU_DEP_1) | instskip(NEXT) | instid1(VALU_DEP_1)
	v_mul_f32_e32 v3, 0x2f800000, v1
	v_floor_f32_e32 v3, v3
	s_delay_alu instid0(VALU_DEP_1) | instskip(SKIP_1) | instid1(VALU_DEP_2)
	v_fmamk_f32 v1, v3, 0xcf800000, v1
	v_cvt_u32_f32_e32 v7, v3
	v_cvt_u32_f32_e32 v6, v1
.LBB372_187:
	s_or_b32 exec_lo, exec_lo, s27
	s_mov_b32 s27, 0
	s_branch .LBB372_193
.LBB372_188:
	s_mov_b32 s28, -1
                                        ; implicit-def: $vgpr6_vgpr7
	s_branch .LBB372_199
.LBB372_189:
	s_and_not1_saveexec_b32 s27, s27
	s_cbranch_execz .LBB372_175
.LBB372_190:
	v_cmp_ne_u16_e32 vcc_lo, 0, v1
	s_and_not1_b32 s28, s28, exec_lo
	s_and_b32 s29, vcc_lo, exec_lo
	s_delay_alu instid0(SALU_CYCLE_1)
	s_or_b32 s28, s28, s29
	s_or_b32 exec_lo, exec_lo, s27
	v_mov_b64_e32 v[6:7], 0
	s_and_saveexec_b32 s27, s28
	s_cbranch_execnz .LBB372_176
	s_branch .LBB372_177
.LBB372_191:
	s_mov_b32 s27, -1
                                        ; implicit-def: $vgpr6_vgpr7
	s_branch .LBB372_196
.LBB372_192:
	s_mov_b32 s27, -1
                                        ; implicit-def: $vgpr6_vgpr7
.LBB372_193:
	s_delay_alu instid0(SALU_CYCLE_1)
	s_and_b32 vcc_lo, exec_lo, s27
	s_cbranch_vccz .LBB372_195
; %bb.194:
	global_load_u8 v1, v[4:5], off
	s_wait_loadcnt 0x0
	v_lshlrev_b32_e32 v1, 24, v1
	s_delay_alu instid0(VALU_DEP_1) | instskip(NEXT) | instid1(VALU_DEP_1)
	v_and_b32_e32 v3, 0x7f000000, v1
	v_clz_i32_u32_e32 v6, v3
	v_cmp_ne_u32_e32 vcc_lo, 0, v3
	v_add_nc_u32_e32 v8, 0x1000000, v3
	s_delay_alu instid0(VALU_DEP_3) | instskip(NEXT) | instid1(VALU_DEP_1)
	v_min_u32_e32 v6, 32, v6
	v_sub_nc_u32_e64 v6, v6, 4 clamp
	s_delay_alu instid0(VALU_DEP_1) | instskip(NEXT) | instid1(VALU_DEP_1)
	v_dual_lshlrev_b32 v7, v6, v3 :: v_dual_lshlrev_b32 v6, 23, v6
	v_lshrrev_b32_e32 v7, 4, v7
	s_delay_alu instid0(VALU_DEP_1) | instskip(NEXT) | instid1(VALU_DEP_1)
	v_dual_sub_nc_u32 v6, v7, v6 :: v_dual_ashrrev_i32 v7, 8, v8
	v_add_nc_u32_e32 v6, 0x3c000000, v6
	s_delay_alu instid0(VALU_DEP_1) | instskip(NEXT) | instid1(VALU_DEP_1)
	v_and_or_b32 v6, 0x7f800000, v7, v6
	v_cndmask_b32_e32 v3, 0, v6, vcc_lo
	s_delay_alu instid0(VALU_DEP_1) | instskip(NEXT) | instid1(VALU_DEP_1)
	v_and_or_b32 v1, 0x80000000, v1, v3
	v_trunc_f32_e32 v1, v1
	s_delay_alu instid0(VALU_DEP_1) | instskip(NEXT) | instid1(VALU_DEP_1)
	v_mul_f32_e32 v3, 0x2f800000, v1
	v_floor_f32_e32 v3, v3
	s_delay_alu instid0(VALU_DEP_1) | instskip(SKIP_1) | instid1(VALU_DEP_2)
	v_fmamk_f32 v1, v3, 0xcf800000, v1
	v_cvt_u32_f32_e32 v7, v3
	v_cvt_u32_f32_e32 v6, v1
.LBB372_195:
	s_mov_b32 s27, 0
.LBB372_196:
	s_delay_alu instid0(SALU_CYCLE_1)
	s_and_not1_b32 vcc_lo, exec_lo, s27
	s_cbranch_vccnz .LBB372_198
; %bb.197:
	global_load_u8 v1, v[4:5], off
	s_wait_loadcnt 0x0
	v_lshlrev_b32_e32 v3, 25, v1
	v_lshlrev_b16 v1, 8, v1
	s_delay_alu instid0(VALU_DEP_1) | instskip(SKIP_1) | instid1(VALU_DEP_2)
	v_and_or_b32 v7, 0x7f00, v1, 0.5
	v_bfe_i32 v1, v1, 0, 16
	v_add_f32_e32 v7, -0.5, v7
	v_lshrrev_b32_e32 v6, 4, v3
	v_cmp_gt_u32_e32 vcc_lo, 0x8000000, v3
	s_delay_alu instid0(VALU_DEP_2) | instskip(NEXT) | instid1(VALU_DEP_1)
	v_or_b32_e32 v6, 0x70000000, v6
	v_mul_f32_e32 v6, 0x7800000, v6
	s_delay_alu instid0(VALU_DEP_1) | instskip(NEXT) | instid1(VALU_DEP_1)
	v_cndmask_b32_e32 v3, v6, v7, vcc_lo
	v_and_or_b32 v1, 0x80000000, v1, v3
	s_delay_alu instid0(VALU_DEP_1) | instskip(NEXT) | instid1(VALU_DEP_1)
	v_trunc_f32_e32 v1, v1
	v_mul_f32_e32 v3, 0x2f800000, v1
	s_delay_alu instid0(VALU_DEP_1) | instskip(NEXT) | instid1(VALU_DEP_1)
	v_floor_f32_e32 v3, v3
	v_fmamk_f32 v1, v3, 0xcf800000, v1
	v_cvt_u32_f32_e32 v7, v3
	s_delay_alu instid0(VALU_DEP_2)
	v_cvt_u32_f32_e32 v6, v1
.LBB372_198:
	s_mov_b32 s28, 0
	s_mov_b32 s27, -1
.LBB372_199:
	s_and_not1_b32 vcc_lo, exec_lo, s28
	s_cbranch_vccnz .LBB372_212
; %bb.200:
	s_cmp_gt_i32 s0, 14
	s_cbranch_scc0 .LBB372_203
; %bb.201:
	s_cmp_eq_u32 s0, 15
	s_cbranch_scc0 .LBB372_206
; %bb.202:
	global_load_u16 v1, v[4:5], off
	s_mov_b32 s27, -1
	s_mov_b32 s26, 0
	s_wait_loadcnt 0x0
	v_lshlrev_b32_e32 v1, 16, v1
	s_delay_alu instid0(VALU_DEP_1) | instskip(NEXT) | instid1(VALU_DEP_1)
	v_trunc_f32_e32 v1, v1
	v_mul_f32_e32 v3, 0x2f800000, v1
	s_delay_alu instid0(VALU_DEP_1) | instskip(NEXT) | instid1(VALU_DEP_1)
	v_floor_f32_e32 v3, v3
	v_fmamk_f32 v1, v3, 0xcf800000, v1
	v_cvt_u32_f32_e32 v7, v3
	s_delay_alu instid0(VALU_DEP_2)
	v_cvt_u32_f32_e32 v6, v1
	s_branch .LBB372_207
.LBB372_203:
	s_mov_b32 s28, -1
                                        ; implicit-def: $vgpr6_vgpr7
	s_branch .LBB372_208
.LBB372_204:
	s_and_not1_saveexec_b32 s27, s27
	s_cbranch_execz .LBB372_185
.LBB372_205:
	v_cmp_ne_u16_e32 vcc_lo, 0, v1
	s_and_not1_b32 s28, s28, exec_lo
	s_and_b32 s29, vcc_lo, exec_lo
	s_delay_alu instid0(SALU_CYCLE_1)
	s_or_b32 s28, s28, s29
	s_or_b32 exec_lo, exec_lo, s27
	v_mov_b64_e32 v[6:7], 0
	s_and_saveexec_b32 s27, s28
	s_cbranch_execnz .LBB372_186
	s_branch .LBB372_187
.LBB372_206:
	s_mov_b32 s26, -1
                                        ; implicit-def: $vgpr6_vgpr7
.LBB372_207:
	s_mov_b32 s28, 0
.LBB372_208:
	s_delay_alu instid0(SALU_CYCLE_1)
	s_and_b32 vcc_lo, exec_lo, s28
	s_cbranch_vccz .LBB372_212
; %bb.209:
	s_cmp_eq_u32 s0, 11
	s_cbranch_scc0 .LBB372_211
; %bb.210:
	global_load_u8 v1, v[4:5], off
	s_mov_b32 s26, 0
	s_mov_b32 s27, -1
	s_wait_loadcnt 0x1
	v_mov_b32_e32 v7, s26
	s_wait_loadcnt 0x0
	v_cmp_ne_u16_e32 vcc_lo, 0, v1
	v_cndmask_b32_e64 v6, 0, 1, vcc_lo
	s_branch .LBB372_212
.LBB372_211:
	s_mov_b32 s26, -1
                                        ; implicit-def: $vgpr6_vgpr7
.LBB372_212:
	s_branch .LBB372_25
.LBB372_213:
	s_cmp_lt_i32 s0, 5
	s_cbranch_scc1 .LBB372_218
; %bb.214:
	s_cmp_lt_i32 s0, 8
	s_cbranch_scc1 .LBB372_219
; %bb.215:
	;; [unrolled: 3-line block ×3, first 2 shown]
	s_cmp_gt_i32 s0, 9
	s_cbranch_scc0 .LBB372_221
; %bb.217:
	s_wait_loadcnt 0x0
	global_load_b64 v[6:7], v[4:5], off
	s_mov_b32 s27, 0
	s_wait_loadcnt 0x0
	v_trunc_f64_e32 v[6:7], v[6:7]
	s_delay_alu instid0(VALU_DEP_1) | instskip(NEXT) | instid1(VALU_DEP_1)
	v_ldexp_f64 v[8:9], v[6:7], 0xffffffe0
	v_floor_f64_e32 v[8:9], v[8:9]
	s_delay_alu instid0(VALU_DEP_1) | instskip(SKIP_1) | instid1(VALU_DEP_2)
	v_fmamk_f64 v[10:11], v[8:9], 0xc1f00000, v[6:7]
	v_cvt_u32_f64_e32 v7, v[8:9]
	v_cvt_u32_f64_e32 v6, v[10:11]
	s_branch .LBB372_222
.LBB372_218:
                                        ; implicit-def: $vgpr6_vgpr7
	s_branch .LBB372_240
.LBB372_219:
	s_mov_b32 s27, -1
                                        ; implicit-def: $vgpr6_vgpr7
	s_branch .LBB372_228
.LBB372_220:
	s_mov_b32 s27, -1
                                        ; implicit-def: $vgpr6_vgpr7
	s_branch .LBB372_225
.LBB372_221:
	s_mov_b32 s27, -1
                                        ; implicit-def: $vgpr6_vgpr7
.LBB372_222:
	s_delay_alu instid0(SALU_CYCLE_1)
	s_and_not1_b32 vcc_lo, exec_lo, s27
	s_cbranch_vccnz .LBB372_224
; %bb.223:
	global_load_b32 v1, v[4:5], off
	s_wait_loadcnt 0x0
	v_trunc_f32_e32 v1, v1
	s_delay_alu instid0(VALU_DEP_1) | instskip(NEXT) | instid1(VALU_DEP_1)
	v_mul_f32_e32 v3, 0x2f800000, v1
	v_floor_f32_e32 v3, v3
	s_delay_alu instid0(VALU_DEP_1) | instskip(SKIP_1) | instid1(VALU_DEP_2)
	v_fmamk_f32 v1, v3, 0xcf800000, v1
	v_cvt_u32_f32_e32 v7, v3
	v_cvt_u32_f32_e32 v6, v1
.LBB372_224:
	s_mov_b32 s27, 0
.LBB372_225:
	s_delay_alu instid0(SALU_CYCLE_1)
	s_and_not1_b32 vcc_lo, exec_lo, s27
	s_cbranch_vccnz .LBB372_227
; %bb.226:
	global_load_b32 v1, v[4:5], off
	s_wait_loadcnt 0x1
	v_mov_b32_e32 v7, 0
	s_wait_loadcnt 0x0
	v_cvt_f32_f16_e32 v1, v1
	s_delay_alu instid0(VALU_DEP_1)
	v_cvt_u32_f32_e32 v6, v1
.LBB372_227:
	s_mov_b32 s27, 0
.LBB372_228:
	s_delay_alu instid0(SALU_CYCLE_1)
	s_and_not1_b32 vcc_lo, exec_lo, s27
	s_cbranch_vccnz .LBB372_239
; %bb.229:
	s_cmp_lt_i32 s0, 6
	s_cbranch_scc1 .LBB372_232
; %bb.230:
	s_cmp_gt_i32 s0, 6
	s_cbranch_scc0 .LBB372_233
; %bb.231:
	s_wait_loadcnt 0x0
	global_load_b64 v[6:7], v[4:5], off
	s_mov_b32 s27, 0
	s_wait_loadcnt 0x0
	v_trunc_f64_e32 v[6:7], v[6:7]
	s_delay_alu instid0(VALU_DEP_1) | instskip(NEXT) | instid1(VALU_DEP_1)
	v_ldexp_f64 v[8:9], v[6:7], 0xffffffe0
	v_floor_f64_e32 v[8:9], v[8:9]
	s_delay_alu instid0(VALU_DEP_1) | instskip(SKIP_1) | instid1(VALU_DEP_2)
	v_fmamk_f64 v[10:11], v[8:9], 0xc1f00000, v[6:7]
	v_cvt_u32_f64_e32 v7, v[8:9]
	v_cvt_u32_f64_e32 v6, v[10:11]
	s_branch .LBB372_234
.LBB372_232:
	s_mov_b32 s27, -1
                                        ; implicit-def: $vgpr6_vgpr7
	s_branch .LBB372_237
.LBB372_233:
	s_mov_b32 s27, -1
                                        ; implicit-def: $vgpr6_vgpr7
.LBB372_234:
	s_delay_alu instid0(SALU_CYCLE_1)
	s_and_not1_b32 vcc_lo, exec_lo, s27
	s_cbranch_vccnz .LBB372_236
; %bb.235:
	global_load_b32 v1, v[4:5], off
	s_wait_loadcnt 0x0
	v_trunc_f32_e32 v1, v1
	s_delay_alu instid0(VALU_DEP_1) | instskip(NEXT) | instid1(VALU_DEP_1)
	v_mul_f32_e32 v3, 0x2f800000, v1
	v_floor_f32_e32 v3, v3
	s_delay_alu instid0(VALU_DEP_1) | instskip(SKIP_1) | instid1(VALU_DEP_2)
	v_fmamk_f32 v1, v3, 0xcf800000, v1
	v_cvt_u32_f32_e32 v7, v3
	v_cvt_u32_f32_e32 v6, v1
.LBB372_236:
	s_mov_b32 s27, 0
.LBB372_237:
	s_delay_alu instid0(SALU_CYCLE_1)
	s_and_not1_b32 vcc_lo, exec_lo, s27
	s_cbranch_vccnz .LBB372_239
; %bb.238:
	global_load_u16 v1, v[4:5], off
	s_wait_loadcnt 0x1
	v_mov_b32_e32 v7, 0
	s_wait_loadcnt 0x0
	v_cvt_f32_f16_e32 v1, v1
	s_delay_alu instid0(VALU_DEP_1)
	v_cvt_u32_f32_e32 v6, v1
.LBB372_239:
	s_cbranch_execnz .LBB372_259
.LBB372_240:
	s_cmp_lt_i32 s0, 2
	s_cbranch_scc1 .LBB372_244
; %bb.241:
	s_cmp_lt_i32 s0, 3
	s_cbranch_scc1 .LBB372_245
; %bb.242:
	s_cmp_gt_i32 s0, 3
	s_cbranch_scc0 .LBB372_246
; %bb.243:
	s_wait_loadcnt 0x0
	global_load_b64 v[6:7], v[4:5], off
	s_mov_b32 s27, 0
	s_branch .LBB372_247
.LBB372_244:
	s_mov_b32 s27, -1
                                        ; implicit-def: $vgpr6_vgpr7
	s_branch .LBB372_253
.LBB372_245:
	s_mov_b32 s27, -1
                                        ; implicit-def: $vgpr6_vgpr7
	s_branch .LBB372_250
.LBB372_246:
	s_mov_b32 s27, -1
                                        ; implicit-def: $vgpr6_vgpr7
.LBB372_247:
	s_delay_alu instid0(SALU_CYCLE_1)
	s_and_not1_b32 vcc_lo, exec_lo, s27
	s_cbranch_vccnz .LBB372_249
; %bb.248:
	s_wait_loadcnt 0x0
	global_load_b32 v6, v[4:5], off
	s_wait_loadcnt 0x0
	v_ashrrev_i32_e32 v7, 31, v6
.LBB372_249:
	s_mov_b32 s27, 0
.LBB372_250:
	s_delay_alu instid0(SALU_CYCLE_1)
	s_and_not1_b32 vcc_lo, exec_lo, s27
	s_cbranch_vccnz .LBB372_252
; %bb.251:
	global_load_u16 v1, v[4:5], off
	s_wait_loadcnt 0x0
	v_bfe_i32 v6, v1, 0, 16
	s_delay_alu instid0(VALU_DEP_1)
	v_ashrrev_i32_e32 v7, 31, v6
.LBB372_252:
	s_mov_b32 s27, 0
.LBB372_253:
	s_delay_alu instid0(SALU_CYCLE_1)
	s_and_not1_b32 vcc_lo, exec_lo, s27
	s_cbranch_vccnz .LBB372_259
; %bb.254:
	s_cmp_gt_i32 s0, 0
	s_mov_b32 s0, 0
	s_cbranch_scc0 .LBB372_256
; %bb.255:
	global_load_i8 v1, v[4:5], off
	s_wait_loadcnt 0x0
	v_bfe_i32 v6, v1, 0, 16
	s_delay_alu instid0(VALU_DEP_1)
	v_ashrrev_i32_e32 v7, 31, v6
	s_branch .LBB372_257
.LBB372_256:
	s_mov_b32 s0, -1
                                        ; implicit-def: $vgpr6_vgpr7
.LBB372_257:
	s_delay_alu instid0(SALU_CYCLE_1)
	s_and_not1_b32 vcc_lo, exec_lo, s0
	s_cbranch_vccnz .LBB372_259
; %bb.258:
	global_load_u8 v1, v[4:5], off
	s_mov_b32 s0, 0
	s_wait_loadcnt 0x1
	v_mov_b32_e32 v7, s0
	s_wait_loadcnt 0x0
	v_and_b32_e32 v6, 0xffff, v1
.LBB372_259:
	s_branch .LBB372_26
.LBB372_260:
	s_mov_b32 s0, 0
.LBB372_261:
	s_mov_b32 s27, 0
                                        ; implicit-def: $vgpr0
.LBB372_262:
	s_and_b32 s42, s0, exec_lo
	s_and_b32 s43, s26, exec_lo
	s_or_not1_b32 s27, s27, exec_lo
.LBB372_263:
	s_wait_xcnt 0x0
	s_or_b32 exec_lo, exec_lo, s44
	s_mov_b32 s26, 0
	s_mov_b32 s0, 0
                                        ; implicit-def: $vgpr4_vgpr5
                                        ; implicit-def: $vgpr2
                                        ; implicit-def: $vgpr6_vgpr7
	s_and_saveexec_b32 s44, s27
	s_cbranch_execz .LBB372_271
; %bb.264:
	s_mov_b32 s0, -1
	s_mov_b32 s45, s43
	s_mov_b32 s46, s42
	s_mov_b32 s47, exec_lo
	v_cmpx_gt_i32_e64 s39, v0
	s_cbranch_execz .LBB372_538
; %bb.265:
	s_and_not1_b32 vcc_lo, exec_lo, s35
	s_cbranch_vccnz .LBB372_274
; %bb.266:
	s_and_not1_b32 vcc_lo, exec_lo, s41
	s_cbranch_vccnz .LBB372_275
; %bb.267:
	s_add_co_i32 s0, s40, 1
	s_cmp_eq_u32 s33, 2
	s_cbranch_scc1 .LBB372_276
; %bb.268:
	v_dual_mov_b32 v2, 0 :: v_dual_mov_b32 v4, 0
	v_mov_b32_e32 v1, v0
	s_and_b32 s26, s0, 28
	s_mov_b32 s27, 0
	s_mov_b64 s[28:29], s[2:3]
	s_mov_b64 s[30:31], s[24:25]
.LBB372_269:                            ; =>This Inner Loop Header: Depth=1
	s_clause 0x1
	s_load_b256 s[48:55], s[28:29], 0x4
	s_load_b128 s[64:67], s[28:29], 0x24
	s_load_b256 s[56:63], s[30:31], 0x0
	s_add_co_i32 s27, s27, 4
	s_wait_xcnt 0x0
	s_add_nc_u64 s[28:29], s[28:29], 48
	s_cmp_eq_u32 s26, s27
	s_add_nc_u64 s[30:31], s[30:31], 32
	s_wait_kmcnt 0x0
	v_mul_hi_u32 v3, s49, v1
	s_delay_alu instid0(VALU_DEP_1) | instskip(NEXT) | instid1(VALU_DEP_1)
	v_add_nc_u32_e32 v3, v1, v3
	v_lshrrev_b32_e32 v3, s50, v3
	s_delay_alu instid0(VALU_DEP_1) | instskip(NEXT) | instid1(VALU_DEP_1)
	v_mul_hi_u32 v5, s52, v3
	v_add_nc_u32_e32 v5, v3, v5
	s_delay_alu instid0(VALU_DEP_1) | instskip(SKIP_1) | instid1(VALU_DEP_1)
	v_lshrrev_b32_e32 v5, s53, v5
	s_wait_loadcnt 0x0
	v_mul_hi_u32 v6, s55, v5
	s_delay_alu instid0(VALU_DEP_1) | instskip(SKIP_1) | instid1(VALU_DEP_1)
	v_add_nc_u32_e32 v6, v5, v6
	v_mul_lo_u32 v7, v3, s48
	v_sub_nc_u32_e32 v1, v1, v7
	v_mul_lo_u32 v7, v5, s51
	s_delay_alu instid0(VALU_DEP_4) | instskip(NEXT) | instid1(VALU_DEP_3)
	v_lshrrev_b32_e32 v6, s64, v6
	v_mad_u32 v4, v1, s57, v4
	v_mad_u32 v1, v1, s56, v2
	s_delay_alu instid0(VALU_DEP_4) | instskip(NEXT) | instid1(VALU_DEP_4)
	v_sub_nc_u32_e32 v2, v3, v7
	v_mul_hi_u32 v8, s66, v6
	v_mul_lo_u32 v3, v6, s54
	s_delay_alu instid0(VALU_DEP_3) | instskip(SKIP_1) | instid1(VALU_DEP_3)
	v_mad_u32 v4, v2, s59, v4
	v_mad_u32 v2, v2, s58, v1
	v_dual_add_nc_u32 v7, v6, v8 :: v_dual_sub_nc_u32 v3, v5, v3
	s_delay_alu instid0(VALU_DEP_1) | instskip(NEXT) | instid1(VALU_DEP_2)
	v_lshrrev_b32_e32 v1, s67, v7
	v_mad_u32 v4, v3, s61, v4
	s_delay_alu instid0(VALU_DEP_4) | instskip(NEXT) | instid1(VALU_DEP_3)
	v_mad_u32 v2, v3, s60, v2
	v_mul_lo_u32 v5, v1, s65
	s_delay_alu instid0(VALU_DEP_1) | instskip(NEXT) | instid1(VALU_DEP_1)
	v_sub_nc_u32_e32 v3, v6, v5
	v_mad_u32 v4, v3, s63, v4
	s_delay_alu instid0(VALU_DEP_4)
	v_mad_u32 v2, v3, s62, v2
	s_cbranch_scc0 .LBB372_269
; %bb.270:
	s_delay_alu instid0(VALU_DEP_2)
	v_mov_b32_e32 v3, v4
	s_branch .LBB372_277
.LBB372_271:
	s_or_b32 exec_lo, exec_lo, s44
	s_mov_b32 s1, 0
	s_and_saveexec_b32 s6, s43
	s_cbranch_execnz .LBB372_912
.LBB372_272:
	s_or_b32 exec_lo, exec_lo, s6
	s_and_saveexec_b32 s6, s21
	s_delay_alu instid0(SALU_CYCLE_1)
	s_xor_b32 s6, exec_lo, s6
	s_cbranch_execz .LBB372_913
.LBB372_273:
	global_load_u8 v0, v[4:5], off
	s_mov_b32 s7, 0
	s_or_b32 s0, s0, exec_lo
	s_wait_loadcnt 0x1
	v_mov_b32_e32 v7, s7
	s_wait_loadcnt 0x0
	v_cmp_ne_u16_e32 vcc_lo, 0, v0
	v_cndmask_b32_e64 v6, 0, 1, vcc_lo
	s_wait_xcnt 0x0
	s_or_b32 exec_lo, exec_lo, s6
	s_and_saveexec_b32 s6, s26
	s_cbranch_execz .LBB372_959
	s_branch .LBB372_914
.LBB372_274:
                                        ; implicit-def: $vgpr4
                                        ; implicit-def: $vgpr2
	s_and_not1_b32 vcc_lo, exec_lo, s0
	s_cbranch_vccnz .LBB372_284
	s_branch .LBB372_282
.LBB372_275:
	v_dual_mov_b32 v4, 0 :: v_dual_mov_b32 v2, 0
	s_branch .LBB372_281
.LBB372_276:
	v_mov_b64_e32 v[2:3], 0
	v_mov_b32_e32 v1, v0
                                        ; implicit-def: $vgpr4
.LBB372_277:
	s_and_b32 s0, s0, 3
	s_mov_b32 s27, 0
	s_cmp_eq_u32 s0, 0
	s_cbranch_scc1 .LBB372_281
; %bb.278:
	s_lshl_b32 s28, s26, 3
	s_mov_b32 s29, s27
	s_mul_u64 s[30:31], s[26:27], 12
	s_add_nc_u64 s[28:29], s[2:3], s[28:29]
	s_delay_alu instid0(SALU_CYCLE_1)
	s_add_nc_u64 s[26:27], s[28:29], 0xc4
	s_add_nc_u64 s[28:29], s[2:3], s[30:31]
.LBB372_279:                            ; =>This Inner Loop Header: Depth=1
	s_load_b96 s[48:50], s[28:29], 0x4
	s_load_b64 s[30:31], s[26:27], 0x0
	s_add_co_i32 s0, s0, -1
	s_wait_xcnt 0x0
	s_add_nc_u64 s[28:29], s[28:29], 12
	s_cmp_lg_u32 s0, 0
	s_add_nc_u64 s[26:27], s[26:27], 8
	s_wait_kmcnt 0x0
	v_mul_hi_u32 v4, s49, v1
	s_delay_alu instid0(VALU_DEP_1) | instskip(NEXT) | instid1(VALU_DEP_1)
	v_add_nc_u32_e32 v4, v1, v4
	v_lshrrev_b32_e32 v4, s50, v4
	s_delay_alu instid0(VALU_DEP_1) | instskip(NEXT) | instid1(VALU_DEP_1)
	v_mul_lo_u32 v5, v4, s48
	v_sub_nc_u32_e32 v1, v1, v5
	s_delay_alu instid0(VALU_DEP_1)
	v_mad_u32 v3, v1, s31, v3
	v_mad_u32 v2, v1, s30, v2
	v_mov_b32_e32 v1, v4
	s_cbranch_scc1 .LBB372_279
; %bb.280:
	s_delay_alu instid0(VALU_DEP_3)
	v_mov_b32_e32 v4, v3
.LBB372_281:
	s_cbranch_execnz .LBB372_284
.LBB372_282:
	v_mov_b32_e32 v1, 0
	s_and_not1_b32 vcc_lo, exec_lo, s38
	s_delay_alu instid0(VALU_DEP_1) | instskip(NEXT) | instid1(VALU_DEP_1)
	v_mul_u64_e32 v[2:3], s[20:21], v[0:1]
	v_add_nc_u32_e32 v2, v0, v3
	s_wait_loadcnt 0x0
	s_delay_alu instid0(VALU_DEP_1) | instskip(NEXT) | instid1(VALU_DEP_1)
	v_lshrrev_b32_e32 v6, s10, v2
	v_mul_lo_u32 v2, v6, s8
	s_delay_alu instid0(VALU_DEP_1) | instskip(NEXT) | instid1(VALU_DEP_1)
	v_sub_nc_u32_e32 v2, v0, v2
	v_mul_lo_u32 v4, v2, s13
	v_mul_lo_u32 v2, v2, s12
	s_cbranch_vccnz .LBB372_284
; %bb.283:
	v_mov_b32_e32 v7, v1
	s_delay_alu instid0(VALU_DEP_1) | instskip(NEXT) | instid1(VALU_DEP_1)
	v_mul_u64_e32 v[8:9], s[22:23], v[6:7]
	v_add_nc_u32_e32 v1, v6, v9
	s_delay_alu instid0(VALU_DEP_1) | instskip(NEXT) | instid1(VALU_DEP_1)
	v_lshrrev_b32_e32 v1, s1, v1
	v_mul_lo_u32 v1, v1, s11
	s_delay_alu instid0(VALU_DEP_1) | instskip(NEXT) | instid1(VALU_DEP_1)
	v_sub_nc_u32_e32 v1, v6, v1
	v_mad_u32 v2, v1, s14, v2
	v_mad_u32 v4, v1, s15, v4
.LBB372_284:
	v_mov_b32_e32 v5, 0
	s_and_b32 s0, 0xffff, s37
	s_delay_alu instid0(SALU_CYCLE_1) | instskip(NEXT) | instid1(VALU_DEP_1)
	s_cmp_lt_i32 s0, 11
	v_add_nc_u64_e32 v[4:5], s[6:7], v[4:5]
	s_cbranch_scc1 .LBB372_291
; %bb.285:
	s_cmp_gt_i32 s0, 25
	s_cbranch_scc0 .LBB372_300
; %bb.286:
	s_cmp_gt_i32 s0, 28
	s_cbranch_scc0 .LBB372_302
	;; [unrolled: 3-line block ×4, first 2 shown]
; %bb.289:
	s_cmp_eq_u32 s0, 46
	s_mov_b32 s28, 0
	s_cbranch_scc0 .LBB372_312
; %bb.290:
	global_load_b32 v1, v[4:5], off
	s_mov_b32 s27, -1
	s_mov_b32 s26, 0
	s_wait_loadcnt 0x0
	v_lshlrev_b32_e32 v1, 16, v1
	s_delay_alu instid0(VALU_DEP_1) | instskip(NEXT) | instid1(VALU_DEP_1)
	v_trunc_f32_e32 v1, v1
	v_mul_f32_e32 v3, 0x2f800000, v1
	s_delay_alu instid0(VALU_DEP_1) | instskip(NEXT) | instid1(VALU_DEP_1)
	v_floor_f32_e32 v3, v3
	v_fmamk_f32 v1, v3, 0xcf800000, v1
	v_cvt_u32_f32_e32 v7, v3
	s_delay_alu instid0(VALU_DEP_2)
	v_cvt_u32_f32_e32 v6, v1
	s_branch .LBB372_314
.LBB372_291:
	s_mov_b32 s27, 0
	s_mov_b32 s26, s43
                                        ; implicit-def: $vgpr6_vgpr7
	s_cbranch_execnz .LBB372_487
.LBB372_292:
	s_and_not1_b32 vcc_lo, exec_lo, s27
	s_cbranch_vccnz .LBB372_535
.LBB372_293:
	v_mov_b32_e32 v3, 0
	s_wait_loadcnt 0x0
	s_delay_alu instid0(VALU_DEP_2) | instskip(SKIP_1) | instid1(VALU_DEP_2)
	v_cmp_ne_u64_e32 vcc_lo, s[16:17], v[6:7]
	s_and_b32 s28, s18, 0xff
	v_add_nc_u64_e32 v[2:3], s[4:5], v[2:3]
	s_xor_b32 s27, s9, vcc_lo
	s_cmp_lt_i32 s28, 11
	s_cbranch_scc1 .LBB372_301
; %bb.294:
	s_and_b32 s29, 0xffff, s28
	s_delay_alu instid0(SALU_CYCLE_1)
	s_cmp_gt_i32 s29, 25
	s_cbranch_scc0 .LBB372_303
; %bb.295:
	s_cmp_gt_i32 s29, 28
	s_cbranch_scc0 .LBB372_305
; %bb.296:
	;; [unrolled: 3-line block ×4, first 2 shown]
	s_mov_b32 s31, 0
	s_mov_b32 s0, -1
	s_cmp_eq_u32 s29, 46
	s_mov_b32 s30, 0
	s_cbranch_scc0 .LBB372_318
; %bb.299:
	v_cndmask_b32_e64 v1, 0, 1.0, s27
	s_mov_b32 s30, -1
	s_mov_b32 s0, 0
	s_wait_xcnt 0x0
	s_delay_alu instid0(VALU_DEP_1) | instskip(NEXT) | instid1(VALU_DEP_1)
	v_bfe_u32 v4, v1, 16, 1
	v_add3_u32 v1, v1, v4, 0x7fff
	s_delay_alu instid0(VALU_DEP_1)
	v_lshrrev_b32_e32 v1, 16, v1
	global_store_b32 v[2:3], v1, off
	s_branch .LBB372_318
.LBB372_300:
	s_mov_b32 s28, -1
	s_mov_b32 s27, 0
	s_mov_b32 s26, s43
                                        ; implicit-def: $vgpr6_vgpr7
	s_branch .LBB372_453
.LBB372_301:
	s_mov_b32 s29, -1
	s_mov_b32 s30, 0
	s_mov_b32 s0, s42
	s_branch .LBB372_387
.LBB372_302:
	s_mov_b32 s28, -1
	s_mov_b32 s27, 0
	s_mov_b32 s26, s43
                                        ; implicit-def: $vgpr6_vgpr7
	s_branch .LBB372_436
.LBB372_303:
	s_mov_b32 s31, -1
	s_mov_b32 s30, 0
	s_mov_b32 s0, s42
	s_branch .LBB372_345
.LBB372_304:
	s_mov_b32 s28, -1
	s_mov_b32 s27, 0
	s_mov_b32 s26, s43
                                        ; implicit-def: $vgpr6_vgpr7
	s_branch .LBB372_431
.LBB372_305:
	s_mov_b32 s31, -1
	s_mov_b32 s30, 0
	s_mov_b32 s0, s42
	s_branch .LBB372_328
.LBB372_306:
	s_and_not1_saveexec_b32 s42, s42
	s_cbranch_execz .LBB372_69
.LBB372_307:
	v_add_f32_e32 v1, 0x46000000, v4
	s_and_not1_b32 s31, s31, exec_lo
	s_delay_alu instid0(VALU_DEP_1) | instskip(NEXT) | instid1(VALU_DEP_1)
	v_and_b32_e32 v1, 0xff, v1
	v_cmp_ne_u32_e32 vcc_lo, 0, v1
	s_and_b32 s43, vcc_lo, exec_lo
	s_delay_alu instid0(SALU_CYCLE_1)
	s_or_b32 s31, s31, s43
	s_or_b32 exec_lo, exec_lo, s42
	v_mov_b32_e32 v5, 0
	s_and_saveexec_b32 s42, s31
	s_cbranch_execnz .LBB372_70
	s_branch .LBB372_71
.LBB372_308:
	s_mov_b32 s28, -1
	s_mov_b32 s27, 0
	s_mov_b32 s26, s43
	s_branch .LBB372_313
.LBB372_309:
	s_mov_b32 s31, -1
	s_mov_b32 s30, 0
	s_mov_b32 s0, s42
	s_branch .LBB372_324
.LBB372_310:
	s_and_not1_saveexec_b32 s42, s42
	s_cbranch_execz .LBB372_82
.LBB372_311:
	v_add_f32_e32 v1, 0x42800000, v4
	s_and_not1_b32 s31, s31, exec_lo
	s_delay_alu instid0(VALU_DEP_1) | instskip(NEXT) | instid1(VALU_DEP_1)
	v_and_b32_e32 v1, 0xff, v1
	v_cmp_ne_u32_e32 vcc_lo, 0, v1
	s_and_b32 s43, vcc_lo, exec_lo
	s_delay_alu instid0(SALU_CYCLE_1)
	s_or_b32 s31, s31, s43
	s_or_b32 exec_lo, exec_lo, s42
	v_mov_b32_e32 v5, 0
	s_and_saveexec_b32 s42, s31
	s_cbranch_execnz .LBB372_83
	s_branch .LBB372_84
.LBB372_312:
	s_mov_b32 s26, -1
	s_mov_b32 s27, 0
.LBB372_313:
                                        ; implicit-def: $vgpr6_vgpr7
.LBB372_314:
	s_and_b32 vcc_lo, exec_lo, s28
	s_cbranch_vccz .LBB372_430
; %bb.315:
	s_cmp_eq_u32 s0, 44
	s_cbranch_scc0 .LBB372_429
; %bb.316:
	global_load_u8 v1, v[4:5], off
	s_mov_b32 s26, 0
	s_mov_b32 s27, -1
	s_wait_loadcnt 0x0
	v_cmp_ne_u32_e32 vcc_lo, 0, v1
	v_lshlrev_b32_e32 v3, 23, v1
	s_delay_alu instid0(VALU_DEP_1) | instskip(NEXT) | instid1(VALU_DEP_1)
	v_trunc_f32_e32 v3, v3
	v_mul_f32_e32 v6, 0x2f800000, v3
	s_delay_alu instid0(VALU_DEP_1) | instskip(NEXT) | instid1(VALU_DEP_1)
	v_floor_f32_e32 v6, v6
	v_fmamk_f32 v3, v6, 0xcf800000, v3
	v_cvt_u32_f32_e32 v6, v6
	s_delay_alu instid0(VALU_DEP_2) | instskip(NEXT) | instid1(VALU_DEP_1)
	v_cvt_u32_f32_e32 v3, v3
	v_dual_cndmask_b32 v7, 0, v6 :: v_dual_cndmask_b32 v6, 0, v3
	s_branch .LBB372_430
.LBB372_317:
	s_mov_b32 s31, -1
	s_mov_b32 s30, 0
	s_mov_b32 s0, s42
.LBB372_318:
	s_and_b32 vcc_lo, exec_lo, s31
	s_cbranch_vccz .LBB372_323
; %bb.319:
	s_cmp_eq_u32 s29, 44
	s_mov_b32 s0, -1
	s_cbranch_scc0 .LBB372_323
; %bb.320:
	s_wait_xcnt 0x0
	v_cndmask_b32_e64 v5, 0, 1.0, s27
	s_mov_b32 s30, exec_lo
	s_delay_alu instid0(VALU_DEP_1) | instskip(NEXT) | instid1(VALU_DEP_1)
	v_dual_mov_b32 v4, 0xff :: v_dual_lshrrev_b32 v1, 23, v5
	v_cmpx_ne_u32_e32 0xff, v1
; %bb.321:
	v_and_b32_e32 v4, 0x400000, v5
	v_and_or_b32 v5, 0x3fffff, v5, v1
	s_delay_alu instid0(VALU_DEP_2) | instskip(NEXT) | instid1(VALU_DEP_2)
	v_cmp_ne_u32_e32 vcc_lo, 0, v4
	v_cmp_ne_u32_e64 s0, 0, v5
	s_and_b32 s0, vcc_lo, s0
	s_delay_alu instid0(SALU_CYCLE_1) | instskip(NEXT) | instid1(VALU_DEP_1)
	v_cndmask_b32_e64 v4, 0, 1, s0
	v_add_nc_u32_e32 v4, v1, v4
; %bb.322:
	s_or_b32 exec_lo, exec_lo, s30
	s_mov_b32 s30, -1
	s_mov_b32 s0, 0
	global_store_b8 v[2:3], v4, off
.LBB372_323:
	s_mov_b32 s31, 0
.LBB372_324:
	s_delay_alu instid0(SALU_CYCLE_1)
	s_and_b32 vcc_lo, exec_lo, s31
	s_cbranch_vccz .LBB372_327
; %bb.325:
	s_cmp_eq_u32 s29, 29
	s_mov_b32 s0, -1
	s_cbranch_scc0 .LBB372_327
; %bb.326:
	s_mov_b32 s0, 0
	s_wait_xcnt 0x0
	v_cndmask_b32_e64 v4, 0, 1, s27
	v_mov_b32_e32 v5, s0
	s_mov_b32 s30, -1
	s_mov_b32 s31, 0
	global_store_b64 v[2:3], v[4:5], off
	s_branch .LBB372_328
.LBB372_327:
	s_mov_b32 s31, 0
.LBB372_328:
	s_delay_alu instid0(SALU_CYCLE_1)
	s_and_b32 vcc_lo, exec_lo, s31
	s_cbranch_vccz .LBB372_344
; %bb.329:
	s_cmp_lt_i32 s29, 27
	s_mov_b32 s30, -1
	s_cbranch_scc1 .LBB372_335
; %bb.330:
	s_cmp_gt_i32 s29, 27
	s_cbranch_scc0 .LBB372_332
; %bb.331:
	s_wait_xcnt 0x0
	v_cndmask_b32_e64 v1, 0, 1, s27
	s_mov_b32 s30, 0
	global_store_b32 v[2:3], v1, off
.LBB372_332:
	s_and_not1_b32 vcc_lo, exec_lo, s30
	s_cbranch_vccnz .LBB372_334
; %bb.333:
	s_wait_xcnt 0x0
	v_cndmask_b32_e64 v1, 0, 1, s27
	global_store_b16 v[2:3], v1, off
.LBB372_334:
	s_mov_b32 s30, 0
.LBB372_335:
	s_delay_alu instid0(SALU_CYCLE_1)
	s_and_not1_b32 vcc_lo, exec_lo, s30
	s_cbranch_vccnz .LBB372_343
; %bb.336:
	s_wait_xcnt 0x0
	v_cndmask_b32_e64 v4, 0, 1.0, s27
	v_mov_b32_e32 v5, 0x80
	s_mov_b32 s30, exec_lo
	s_delay_alu instid0(VALU_DEP_2)
	v_cmpx_gt_u32_e32 0x43800000, v4
	s_cbranch_execz .LBB372_342
; %bb.337:
	s_mov_b32 s31, 0
	s_mov_b32 s45, exec_lo
                                        ; implicit-def: $vgpr1
	v_cmpx_lt_u32_e32 0x3bffffff, v4
	s_xor_b32 s45, exec_lo, s45
	s_cbranch_execz .LBB372_568
; %bb.338:
	v_bfe_u32 v1, v4, 20, 1
	s_mov_b32 s31, exec_lo
	s_delay_alu instid0(VALU_DEP_1) | instskip(NEXT) | instid1(VALU_DEP_1)
	v_add3_u32 v1, v4, v1, 0x487ffff
                                        ; implicit-def: $vgpr4
	v_lshrrev_b32_e32 v1, 20, v1
	s_and_not1_saveexec_b32 s45, s45
	s_cbranch_execnz .LBB372_569
.LBB372_339:
	s_or_b32 exec_lo, exec_lo, s45
	v_mov_b32_e32 v5, 0
	s_and_saveexec_b32 s45, s31
.LBB372_340:
	v_mov_b32_e32 v5, v1
.LBB372_341:
	s_or_b32 exec_lo, exec_lo, s45
.LBB372_342:
	s_delay_alu instid0(SALU_CYCLE_1)
	s_or_b32 exec_lo, exec_lo, s30
	global_store_b8 v[2:3], v5, off
.LBB372_343:
	s_mov_b32 s30, -1
.LBB372_344:
	s_mov_b32 s31, 0
.LBB372_345:
	s_delay_alu instid0(SALU_CYCLE_1)
	s_and_b32 vcc_lo, exec_lo, s31
	s_cbranch_vccz .LBB372_386
; %bb.346:
	s_cmp_gt_i32 s29, 22
	s_mov_b32 s31, -1
	s_cbranch_scc0 .LBB372_378
; %bb.347:
	s_cmp_lt_i32 s29, 24
	s_mov_b32 s30, -1
	s_cbranch_scc1 .LBB372_367
; %bb.348:
	s_cmp_gt_i32 s29, 24
	s_cbranch_scc0 .LBB372_356
; %bb.349:
	s_wait_xcnt 0x0
	v_cndmask_b32_e64 v4, 0, 1.0, s27
	v_mov_b32_e32 v5, 0x80
	s_mov_b32 s30, exec_lo
	s_delay_alu instid0(VALU_DEP_2)
	v_cmpx_gt_u32_e32 0x47800000, v4
	s_cbranch_execz .LBB372_355
; %bb.350:
	s_mov_b32 s31, 0
	s_mov_b32 s45, exec_lo
                                        ; implicit-def: $vgpr1
	v_cmpx_lt_u32_e32 0x37ffffff, v4
	s_xor_b32 s45, exec_lo, s45
	s_cbranch_execz .LBB372_571
; %bb.351:
	v_bfe_u32 v1, v4, 21, 1
	s_mov_b32 s31, exec_lo
	s_delay_alu instid0(VALU_DEP_1) | instskip(NEXT) | instid1(VALU_DEP_1)
	v_add3_u32 v1, v4, v1, 0x88fffff
                                        ; implicit-def: $vgpr4
	v_lshrrev_b32_e32 v1, 21, v1
	s_and_not1_saveexec_b32 s45, s45
	s_cbranch_execnz .LBB372_572
.LBB372_352:
	s_or_b32 exec_lo, exec_lo, s45
	v_mov_b32_e32 v5, 0
	s_and_saveexec_b32 s45, s31
.LBB372_353:
	v_mov_b32_e32 v5, v1
.LBB372_354:
	s_or_b32 exec_lo, exec_lo, s45
.LBB372_355:
	s_delay_alu instid0(SALU_CYCLE_1)
	s_or_b32 exec_lo, exec_lo, s30
	s_mov_b32 s30, 0
	global_store_b8 v[2:3], v5, off
.LBB372_356:
	s_and_b32 vcc_lo, exec_lo, s30
	s_cbranch_vccz .LBB372_366
; %bb.357:
	s_wait_xcnt 0x0
	v_cndmask_b32_e64 v4, 0, 1.0, s27
	s_mov_b32 s30, exec_lo
                                        ; implicit-def: $vgpr1
	s_delay_alu instid0(VALU_DEP_1)
	v_cmpx_gt_u32_e32 0x43f00000, v4
	s_xor_b32 s30, exec_lo, s30
	s_cbranch_execz .LBB372_363
; %bb.358:
	s_mov_b32 s31, exec_lo
                                        ; implicit-def: $vgpr1
	v_cmpx_lt_u32_e32 0x3c7fffff, v4
	s_xor_b32 s31, exec_lo, s31
; %bb.359:
	v_bfe_u32 v1, v4, 20, 1
	s_delay_alu instid0(VALU_DEP_1) | instskip(NEXT) | instid1(VALU_DEP_1)
	v_add3_u32 v1, v4, v1, 0x407ffff
	v_and_b32_e32 v4, 0xff00000, v1
	v_lshrrev_b32_e32 v1, 20, v1
	s_delay_alu instid0(VALU_DEP_2) | instskip(NEXT) | instid1(VALU_DEP_2)
	v_cmp_ne_u32_e32 vcc_lo, 0x7f00000, v4
                                        ; implicit-def: $vgpr4
	v_cndmask_b32_e32 v1, 0x7e, v1, vcc_lo
; %bb.360:
	s_and_not1_saveexec_b32 s31, s31
; %bb.361:
	v_add_f32_e32 v1, 0x46800000, v4
; %bb.362:
	s_or_b32 exec_lo, exec_lo, s31
                                        ; implicit-def: $vgpr4
.LBB372_363:
	s_and_not1_saveexec_b32 s30, s30
; %bb.364:
	v_mov_b32_e32 v1, 0x7f
	v_cmp_lt_u32_e32 vcc_lo, 0x7f800000, v4
	s_delay_alu instid0(VALU_DEP_2)
	v_cndmask_b32_e32 v1, 0x7e, v1, vcc_lo
; %bb.365:
	s_or_b32 exec_lo, exec_lo, s30
	global_store_b8 v[2:3], v1, off
.LBB372_366:
	s_mov_b32 s30, 0
.LBB372_367:
	s_delay_alu instid0(SALU_CYCLE_1)
	s_and_not1_b32 vcc_lo, exec_lo, s30
	s_cbranch_vccnz .LBB372_377
; %bb.368:
	s_wait_xcnt 0x0
	v_cndmask_b32_e64 v4, 0, 1.0, s27
	s_mov_b32 s30, exec_lo
                                        ; implicit-def: $vgpr1
	s_delay_alu instid0(VALU_DEP_1)
	v_cmpx_gt_u32_e32 0x47800000, v4
	s_xor_b32 s30, exec_lo, s30
	s_cbranch_execz .LBB372_374
; %bb.369:
	s_mov_b32 s31, exec_lo
                                        ; implicit-def: $vgpr1
	v_cmpx_lt_u32_e32 0x387fffff, v4
	s_xor_b32 s31, exec_lo, s31
; %bb.370:
	v_bfe_u32 v1, v4, 21, 1
	s_delay_alu instid0(VALU_DEP_1) | instskip(NEXT) | instid1(VALU_DEP_1)
	v_add3_u32 v1, v4, v1, 0x80fffff
                                        ; implicit-def: $vgpr4
	v_lshrrev_b32_e32 v1, 21, v1
; %bb.371:
	s_and_not1_saveexec_b32 s31, s31
; %bb.372:
	v_add_f32_e32 v1, 0x43000000, v4
; %bb.373:
	s_or_b32 exec_lo, exec_lo, s31
                                        ; implicit-def: $vgpr4
.LBB372_374:
	s_and_not1_saveexec_b32 s30, s30
; %bb.375:
	v_mov_b32_e32 v1, 0x7f
	v_cmp_lt_u32_e32 vcc_lo, 0x7f800000, v4
	s_delay_alu instid0(VALU_DEP_2)
	v_cndmask_b32_e32 v1, 0x7c, v1, vcc_lo
; %bb.376:
	s_or_b32 exec_lo, exec_lo, s30
	global_store_b8 v[2:3], v1, off
.LBB372_377:
	s_mov_b32 s31, 0
	s_mov_b32 s30, -1
.LBB372_378:
	s_and_not1_b32 vcc_lo, exec_lo, s31
	s_cbranch_vccnz .LBB372_386
; %bb.379:
	s_cmp_gt_i32 s29, 14
	s_mov_b32 s31, -1
	s_cbranch_scc0 .LBB372_383
; %bb.380:
	s_cmp_eq_u32 s29, 15
	s_mov_b32 s0, -1
	s_cbranch_scc0 .LBB372_382
; %bb.381:
	s_wait_xcnt 0x0
	v_cndmask_b32_e64 v1, 0, 1.0, s27
	s_mov_b32 s30, -1
	s_mov_b32 s0, 0
	s_delay_alu instid0(VALU_DEP_1) | instskip(NEXT) | instid1(VALU_DEP_1)
	v_bfe_u32 v4, v1, 16, 1
	v_add3_u32 v1, v1, v4, 0x7fff
	global_store_d16_hi_b16 v[2:3], v1, off
.LBB372_382:
	s_mov_b32 s31, 0
.LBB372_383:
	s_delay_alu instid0(SALU_CYCLE_1)
	s_and_b32 vcc_lo, exec_lo, s31
	s_cbranch_vccz .LBB372_386
; %bb.384:
	s_cmp_eq_u32 s29, 11
	s_mov_b32 s0, -1
	s_cbranch_scc0 .LBB372_386
; %bb.385:
	s_wait_xcnt 0x0
	v_cndmask_b32_e64 v1, 0, 1, s27
	s_mov_b32 s30, -1
	s_mov_b32 s0, 0
	global_store_b8 v[2:3], v1, off
.LBB372_386:
	s_mov_b32 s29, 0
.LBB372_387:
	s_delay_alu instid0(SALU_CYCLE_1)
	s_and_b32 vcc_lo, exec_lo, s29
	s_cbranch_vccz .LBB372_426
; %bb.388:
	s_and_b32 s28, 0xffff, s28
	s_mov_b32 s29, -1
	s_cmp_lt_i32 s28, 5
	s_cbranch_scc1 .LBB372_409
; %bb.389:
	s_cmp_lt_i32 s28, 8
	s_cbranch_scc1 .LBB372_399
; %bb.390:
	;; [unrolled: 3-line block ×3, first 2 shown]
	s_cmp_gt_i32 s28, 9
	s_cbranch_scc0 .LBB372_393
; %bb.392:
	s_wait_xcnt 0x0
	v_cndmask_b32_e64 v1, 0, 1, s27
	v_mov_b32_e32 v6, 0
	s_mov_b32 s29, 0
	s_delay_alu instid0(VALU_DEP_2) | instskip(NEXT) | instid1(VALU_DEP_2)
	v_cvt_f64_u32_e32 v[4:5], v1
	v_mov_b32_e32 v7, v6
	global_store_b128 v[2:3], v[4:7], off
.LBB372_393:
	s_and_not1_b32 vcc_lo, exec_lo, s29
	s_cbranch_vccnz .LBB372_395
; %bb.394:
	s_wait_xcnt 0x0
	v_cndmask_b32_e64 v4, 0, 1.0, s27
	v_mov_b32_e32 v5, 0
	global_store_b64 v[2:3], v[4:5], off
.LBB372_395:
	s_mov_b32 s29, 0
.LBB372_396:
	s_delay_alu instid0(SALU_CYCLE_1)
	s_and_not1_b32 vcc_lo, exec_lo, s29
	s_cbranch_vccnz .LBB372_398
; %bb.397:
	s_wait_xcnt 0x0
	v_cndmask_b32_e64 v1, 0, 1.0, s27
	s_delay_alu instid0(VALU_DEP_1) | instskip(NEXT) | instid1(VALU_DEP_1)
	v_cvt_f16_f32_e32 v1, v1
	v_and_b32_e32 v1, 0xffff, v1
	global_store_b32 v[2:3], v1, off
.LBB372_398:
	s_mov_b32 s29, 0
.LBB372_399:
	s_delay_alu instid0(SALU_CYCLE_1)
	s_and_not1_b32 vcc_lo, exec_lo, s29
	s_cbranch_vccnz .LBB372_408
; %bb.400:
	s_cmp_lt_i32 s28, 6
	s_mov_b32 s29, -1
	s_cbranch_scc1 .LBB372_406
; %bb.401:
	s_cmp_gt_i32 s28, 6
	s_cbranch_scc0 .LBB372_403
; %bb.402:
	s_wait_xcnt 0x0
	v_cndmask_b32_e64 v1, 0, 1, s27
	s_mov_b32 s29, 0
	s_delay_alu instid0(VALU_DEP_1)
	v_cvt_f64_u32_e32 v[4:5], v1
	global_store_b64 v[2:3], v[4:5], off
.LBB372_403:
	s_and_not1_b32 vcc_lo, exec_lo, s29
	s_cbranch_vccnz .LBB372_405
; %bb.404:
	s_wait_xcnt 0x0
	v_cndmask_b32_e64 v1, 0, 1.0, s27
	global_store_b32 v[2:3], v1, off
.LBB372_405:
	s_mov_b32 s29, 0
.LBB372_406:
	s_delay_alu instid0(SALU_CYCLE_1)
	s_and_not1_b32 vcc_lo, exec_lo, s29
	s_cbranch_vccnz .LBB372_408
; %bb.407:
	s_wait_xcnt 0x0
	v_cndmask_b32_e64 v1, 0, 1.0, s27
	s_delay_alu instid0(VALU_DEP_1)
	v_cvt_f16_f32_e32 v1, v1
	global_store_b16 v[2:3], v1, off
.LBB372_408:
	s_mov_b32 s29, 0
.LBB372_409:
	s_delay_alu instid0(SALU_CYCLE_1)
	s_and_not1_b32 vcc_lo, exec_lo, s29
	s_cbranch_vccnz .LBB372_425
; %bb.410:
	s_cmp_lt_i32 s28, 2
	s_mov_b32 s29, -1
	s_cbranch_scc1 .LBB372_420
; %bb.411:
	s_cmp_lt_i32 s28, 3
	s_cbranch_scc1 .LBB372_417
; %bb.412:
	s_cmp_gt_i32 s28, 3
	s_cbranch_scc0 .LBB372_414
; %bb.413:
	s_mov_b32 s29, 0
	s_wait_xcnt 0x0
	v_cndmask_b32_e64 v4, 0, 1, s27
	v_mov_b32_e32 v5, s29
	global_store_b64 v[2:3], v[4:5], off
.LBB372_414:
	s_and_not1_b32 vcc_lo, exec_lo, s29
	s_cbranch_vccnz .LBB372_416
; %bb.415:
	s_wait_xcnt 0x0
	v_cndmask_b32_e64 v1, 0, 1, s27
	global_store_b32 v[2:3], v1, off
.LBB372_416:
	s_mov_b32 s29, 0
.LBB372_417:
	s_delay_alu instid0(SALU_CYCLE_1)
	s_and_not1_b32 vcc_lo, exec_lo, s29
	s_cbranch_vccnz .LBB372_419
; %bb.418:
	s_wait_xcnt 0x0
	v_cndmask_b32_e64 v1, 0, 1, s27
	global_store_b16 v[2:3], v1, off
.LBB372_419:
	s_mov_b32 s29, 0
.LBB372_420:
	s_delay_alu instid0(SALU_CYCLE_1)
	s_and_not1_b32 vcc_lo, exec_lo, s29
	s_cbranch_vccnz .LBB372_425
; %bb.421:
	s_wait_xcnt 0x0
	v_cndmask_b32_e64 v1, 0, 1, s27
	s_cmp_gt_i32 s28, 0
	s_mov_b32 s27, -1
	s_cbranch_scc0 .LBB372_423
; %bb.422:
	s_mov_b32 s27, 0
	global_store_b8 v[2:3], v1, off
.LBB372_423:
	s_and_not1_b32 vcc_lo, exec_lo, s27
	s_cbranch_vccnz .LBB372_425
; %bb.424:
	global_store_b8 v[2:3], v1, off
.LBB372_425:
	s_mov_b32 s30, -1
.LBB372_426:
	s_delay_alu instid0(SALU_CYCLE_1)
	s_and_not1_b32 vcc_lo, exec_lo, s30
	s_cbranch_vccnz .LBB372_428
; %bb.427:
	v_add_nc_u32_e32 v0, 0x80, v0
	s_mov_b32 s27, -1
	s_branch .LBB372_537
.LBB372_428:
	s_mov_b32 s27, 0
	s_branch .LBB372_536
.LBB372_429:
	s_mov_b32 s26, -1
                                        ; implicit-def: $vgpr6_vgpr7
.LBB372_430:
	s_mov_b32 s28, 0
.LBB372_431:
	s_delay_alu instid0(SALU_CYCLE_1)
	s_and_b32 vcc_lo, exec_lo, s28
	s_cbranch_vccz .LBB372_435
; %bb.432:
	s_cmp_eq_u32 s0, 29
	s_cbranch_scc0 .LBB372_434
; %bb.433:
	s_wait_loadcnt 0x0
	global_load_b64 v[6:7], v[4:5], off
	s_mov_b32 s27, -1
	s_mov_b32 s26, 0
	s_branch .LBB372_435
.LBB372_434:
	s_mov_b32 s26, -1
                                        ; implicit-def: $vgpr6_vgpr7
.LBB372_435:
	s_mov_b32 s28, 0
.LBB372_436:
	s_delay_alu instid0(SALU_CYCLE_1)
	s_and_b32 vcc_lo, exec_lo, s28
	s_cbranch_vccz .LBB372_452
; %bb.437:
	s_cmp_lt_i32 s0, 27
	s_cbranch_scc1 .LBB372_440
; %bb.438:
	s_cmp_gt_i32 s0, 27
	s_cbranch_scc0 .LBB372_441
; %bb.439:
	s_wait_loadcnt 0x0
	global_load_b32 v6, v[4:5], off
	v_mov_b32_e32 v7, 0
	s_mov_b32 s27, 0
	s_branch .LBB372_442
.LBB372_440:
	s_mov_b32 s27, -1
                                        ; implicit-def: $vgpr6_vgpr7
	s_branch .LBB372_445
.LBB372_441:
	s_mov_b32 s27, -1
                                        ; implicit-def: $vgpr6_vgpr7
.LBB372_442:
	s_delay_alu instid0(SALU_CYCLE_1)
	s_and_not1_b32 vcc_lo, exec_lo, s27
	s_cbranch_vccnz .LBB372_444
; %bb.443:
	global_load_u16 v1, v[4:5], off
	s_mov_b32 s27, 0
	s_wait_loadcnt 0x1
	v_mov_b32_e32 v7, s27
	s_wait_loadcnt 0x0
	v_and_b32_e32 v6, 0xffff, v1
.LBB372_444:
	s_mov_b32 s27, 0
.LBB372_445:
	s_delay_alu instid0(SALU_CYCLE_1)
	s_and_not1_b32 vcc_lo, exec_lo, s27
	s_cbranch_vccnz .LBB372_451
; %bb.446:
	global_load_u8 v1, v[4:5], off
	s_mov_b32 s28, 0
	s_mov_b32 s27, exec_lo
	s_wait_loadcnt 0x0
	v_cmpx_lt_i16_e32 0x7f, v1
	s_xor_b32 s27, exec_lo, s27
	s_cbranch_execz .LBB372_463
; %bb.447:
	v_cmp_ne_u16_e32 vcc_lo, 0x80, v1
	s_and_b32 s28, vcc_lo, exec_lo
	s_and_not1_saveexec_b32 s27, s27
	s_cbranch_execnz .LBB372_464
.LBB372_448:
	s_or_b32 exec_lo, exec_lo, s27
	v_mov_b64_e32 v[6:7], 0
	s_and_saveexec_b32 s27, s28
	s_cbranch_execz .LBB372_450
.LBB372_449:
	v_and_b32_e32 v3, 0xffff, v1
	s_delay_alu instid0(VALU_DEP_1) | instskip(SKIP_1) | instid1(VALU_DEP_2)
	v_dual_lshlrev_b32 v1, 24, v1 :: v_dual_bitop2_b32 v6, 7, v3 bitop3:0x40
	v_bfe_u32 v9, v3, 3, 4
	v_and_b32_e32 v1, 0x80000000, v1
	s_delay_alu instid0(VALU_DEP_3) | instskip(NEXT) | instid1(VALU_DEP_3)
	v_clz_i32_u32_e32 v7, v6
	v_cmp_eq_u32_e32 vcc_lo, 0, v9
	s_delay_alu instid0(VALU_DEP_2) | instskip(NEXT) | instid1(VALU_DEP_1)
	v_min_u32_e32 v7, 32, v7
	v_subrev_nc_u32_e32 v8, 28, v7
	v_sub_nc_u32_e32 v7, 29, v7
	s_delay_alu instid0(VALU_DEP_2) | instskip(NEXT) | instid1(VALU_DEP_2)
	v_lshlrev_b32_e32 v3, v8, v3
	v_cndmask_b32_e32 v7, v9, v7, vcc_lo
	s_delay_alu instid0(VALU_DEP_2) | instskip(NEXT) | instid1(VALU_DEP_1)
	v_and_b32_e32 v3, 7, v3
	v_cndmask_b32_e32 v3, v6, v3, vcc_lo
	s_delay_alu instid0(VALU_DEP_3) | instskip(NEXT) | instid1(VALU_DEP_2)
	v_lshl_add_u32 v6, v7, 23, 0x3b800000
	v_lshlrev_b32_e32 v3, 20, v3
	s_delay_alu instid0(VALU_DEP_1) | instskip(NEXT) | instid1(VALU_DEP_1)
	v_or3_b32 v1, v1, v6, v3
	v_trunc_f32_e32 v1, v1
	s_delay_alu instid0(VALU_DEP_1) | instskip(NEXT) | instid1(VALU_DEP_1)
	v_mul_f32_e32 v3, 0x2f800000, v1
	v_floor_f32_e32 v3, v3
	s_delay_alu instid0(VALU_DEP_1) | instskip(SKIP_1) | instid1(VALU_DEP_2)
	v_fmamk_f32 v1, v3, 0xcf800000, v1
	v_cvt_u32_f32_e32 v7, v3
	v_cvt_u32_f32_e32 v6, v1
.LBB372_450:
	s_or_b32 exec_lo, exec_lo, s27
.LBB372_451:
	s_mov_b32 s27, -1
.LBB372_452:
	s_mov_b32 s28, 0
.LBB372_453:
	s_delay_alu instid0(SALU_CYCLE_1)
	s_and_b32 vcc_lo, exec_lo, s28
	s_cbranch_vccz .LBB372_486
; %bb.454:
	s_cmp_gt_i32 s0, 22
	s_cbranch_scc0 .LBB372_462
; %bb.455:
	s_cmp_lt_i32 s0, 24
	s_cbranch_scc1 .LBB372_465
; %bb.456:
	s_cmp_gt_i32 s0, 24
	s_cbranch_scc0 .LBB372_466
; %bb.457:
	global_load_u8 v1, v[4:5], off
	s_mov_b32 s28, 0
	s_mov_b32 s27, exec_lo
	s_wait_loadcnt 0x0
	v_cmpx_lt_i16_e32 0x7f, v1
	s_xor_b32 s27, exec_lo, s27
	s_cbranch_execz .LBB372_478
; %bb.458:
	v_cmp_ne_u16_e32 vcc_lo, 0x80, v1
	s_and_b32 s28, vcc_lo, exec_lo
	s_and_not1_saveexec_b32 s27, s27
	s_cbranch_execnz .LBB372_479
.LBB372_459:
	s_or_b32 exec_lo, exec_lo, s27
	v_mov_b64_e32 v[6:7], 0
	s_and_saveexec_b32 s27, s28
	s_cbranch_execz .LBB372_461
.LBB372_460:
	v_and_b32_e32 v3, 0xffff, v1
	s_delay_alu instid0(VALU_DEP_1) | instskip(SKIP_1) | instid1(VALU_DEP_2)
	v_dual_lshlrev_b32 v1, 24, v1 :: v_dual_bitop2_b32 v6, 3, v3 bitop3:0x40
	v_bfe_u32 v9, v3, 2, 5
	v_and_b32_e32 v1, 0x80000000, v1
	s_delay_alu instid0(VALU_DEP_3) | instskip(NEXT) | instid1(VALU_DEP_3)
	v_clz_i32_u32_e32 v7, v6
	v_cmp_eq_u32_e32 vcc_lo, 0, v9
	s_delay_alu instid0(VALU_DEP_2) | instskip(NEXT) | instid1(VALU_DEP_1)
	v_min_u32_e32 v7, 32, v7
	v_subrev_nc_u32_e32 v8, 29, v7
	v_sub_nc_u32_e32 v7, 30, v7
	s_delay_alu instid0(VALU_DEP_2) | instskip(NEXT) | instid1(VALU_DEP_2)
	v_lshlrev_b32_e32 v3, v8, v3
	v_cndmask_b32_e32 v7, v9, v7, vcc_lo
	s_delay_alu instid0(VALU_DEP_2) | instskip(NEXT) | instid1(VALU_DEP_1)
	v_and_b32_e32 v3, 3, v3
	v_cndmask_b32_e32 v3, v6, v3, vcc_lo
	s_delay_alu instid0(VALU_DEP_3) | instskip(NEXT) | instid1(VALU_DEP_2)
	v_lshl_add_u32 v6, v7, 23, 0x37800000
	v_lshlrev_b32_e32 v3, 21, v3
	s_delay_alu instid0(VALU_DEP_1) | instskip(NEXT) | instid1(VALU_DEP_1)
	v_or3_b32 v1, v1, v6, v3
	v_trunc_f32_e32 v1, v1
	s_delay_alu instid0(VALU_DEP_1) | instskip(NEXT) | instid1(VALU_DEP_1)
	v_mul_f32_e32 v3, 0x2f800000, v1
	v_floor_f32_e32 v3, v3
	s_delay_alu instid0(VALU_DEP_1) | instskip(SKIP_1) | instid1(VALU_DEP_2)
	v_fmamk_f32 v1, v3, 0xcf800000, v1
	v_cvt_u32_f32_e32 v7, v3
	v_cvt_u32_f32_e32 v6, v1
.LBB372_461:
	s_or_b32 exec_lo, exec_lo, s27
	s_mov_b32 s27, 0
	s_branch .LBB372_467
.LBB372_462:
	s_mov_b32 s28, -1
                                        ; implicit-def: $vgpr6_vgpr7
	s_branch .LBB372_473
.LBB372_463:
	s_and_not1_saveexec_b32 s27, s27
	s_cbranch_execz .LBB372_448
.LBB372_464:
	v_cmp_ne_u16_e32 vcc_lo, 0, v1
	s_and_not1_b32 s28, s28, exec_lo
	s_and_b32 s29, vcc_lo, exec_lo
	s_delay_alu instid0(SALU_CYCLE_1)
	s_or_b32 s28, s28, s29
	s_or_b32 exec_lo, exec_lo, s27
	v_mov_b64_e32 v[6:7], 0
	s_and_saveexec_b32 s27, s28
	s_cbranch_execnz .LBB372_449
	s_branch .LBB372_450
.LBB372_465:
	s_mov_b32 s27, -1
                                        ; implicit-def: $vgpr6_vgpr7
	s_branch .LBB372_470
.LBB372_466:
	s_mov_b32 s27, -1
                                        ; implicit-def: $vgpr6_vgpr7
.LBB372_467:
	s_delay_alu instid0(SALU_CYCLE_1)
	s_and_b32 vcc_lo, exec_lo, s27
	s_cbranch_vccz .LBB372_469
; %bb.468:
	global_load_u8 v1, v[4:5], off
	s_wait_loadcnt 0x0
	v_lshlrev_b32_e32 v1, 24, v1
	s_delay_alu instid0(VALU_DEP_1) | instskip(NEXT) | instid1(VALU_DEP_1)
	v_and_b32_e32 v3, 0x7f000000, v1
	v_clz_i32_u32_e32 v6, v3
	v_cmp_ne_u32_e32 vcc_lo, 0, v3
	v_add_nc_u32_e32 v8, 0x1000000, v3
	s_delay_alu instid0(VALU_DEP_3) | instskip(NEXT) | instid1(VALU_DEP_1)
	v_min_u32_e32 v6, 32, v6
	v_sub_nc_u32_e64 v6, v6, 4 clamp
	s_delay_alu instid0(VALU_DEP_1) | instskip(NEXT) | instid1(VALU_DEP_1)
	v_dual_lshlrev_b32 v7, v6, v3 :: v_dual_lshlrev_b32 v6, 23, v6
	v_lshrrev_b32_e32 v7, 4, v7
	s_delay_alu instid0(VALU_DEP_1) | instskip(NEXT) | instid1(VALU_DEP_1)
	v_dual_sub_nc_u32 v6, v7, v6 :: v_dual_ashrrev_i32 v7, 8, v8
	v_add_nc_u32_e32 v6, 0x3c000000, v6
	s_delay_alu instid0(VALU_DEP_1) | instskip(NEXT) | instid1(VALU_DEP_1)
	v_and_or_b32 v6, 0x7f800000, v7, v6
	v_cndmask_b32_e32 v3, 0, v6, vcc_lo
	s_delay_alu instid0(VALU_DEP_1) | instskip(NEXT) | instid1(VALU_DEP_1)
	v_and_or_b32 v1, 0x80000000, v1, v3
	v_trunc_f32_e32 v1, v1
	s_delay_alu instid0(VALU_DEP_1) | instskip(NEXT) | instid1(VALU_DEP_1)
	v_mul_f32_e32 v3, 0x2f800000, v1
	v_floor_f32_e32 v3, v3
	s_delay_alu instid0(VALU_DEP_1) | instskip(SKIP_1) | instid1(VALU_DEP_2)
	v_fmamk_f32 v1, v3, 0xcf800000, v1
	v_cvt_u32_f32_e32 v7, v3
	v_cvt_u32_f32_e32 v6, v1
.LBB372_469:
	s_mov_b32 s27, 0
.LBB372_470:
	s_delay_alu instid0(SALU_CYCLE_1)
	s_and_not1_b32 vcc_lo, exec_lo, s27
	s_cbranch_vccnz .LBB372_472
; %bb.471:
	global_load_u8 v1, v[4:5], off
	s_wait_loadcnt 0x0
	v_lshlrev_b32_e32 v3, 25, v1
	v_lshlrev_b16 v1, 8, v1
	s_delay_alu instid0(VALU_DEP_1) | instskip(SKIP_1) | instid1(VALU_DEP_2)
	v_and_or_b32 v7, 0x7f00, v1, 0.5
	v_bfe_i32 v1, v1, 0, 16
	v_add_f32_e32 v7, -0.5, v7
	v_lshrrev_b32_e32 v6, 4, v3
	v_cmp_gt_u32_e32 vcc_lo, 0x8000000, v3
	s_delay_alu instid0(VALU_DEP_2) | instskip(NEXT) | instid1(VALU_DEP_1)
	v_or_b32_e32 v6, 0x70000000, v6
	v_mul_f32_e32 v6, 0x7800000, v6
	s_delay_alu instid0(VALU_DEP_1) | instskip(NEXT) | instid1(VALU_DEP_1)
	v_cndmask_b32_e32 v3, v6, v7, vcc_lo
	v_and_or_b32 v1, 0x80000000, v1, v3
	s_delay_alu instid0(VALU_DEP_1) | instskip(NEXT) | instid1(VALU_DEP_1)
	v_trunc_f32_e32 v1, v1
	v_mul_f32_e32 v3, 0x2f800000, v1
	s_delay_alu instid0(VALU_DEP_1) | instskip(NEXT) | instid1(VALU_DEP_1)
	v_floor_f32_e32 v3, v3
	v_fmamk_f32 v1, v3, 0xcf800000, v1
	v_cvt_u32_f32_e32 v7, v3
	s_delay_alu instid0(VALU_DEP_2)
	v_cvt_u32_f32_e32 v6, v1
.LBB372_472:
	s_mov_b32 s28, 0
	s_mov_b32 s27, -1
.LBB372_473:
	s_and_not1_b32 vcc_lo, exec_lo, s28
	s_cbranch_vccnz .LBB372_486
; %bb.474:
	s_cmp_gt_i32 s0, 14
	s_cbranch_scc0 .LBB372_477
; %bb.475:
	s_cmp_eq_u32 s0, 15
	s_cbranch_scc0 .LBB372_480
; %bb.476:
	global_load_u16 v1, v[4:5], off
	s_mov_b32 s27, -1
	s_mov_b32 s26, 0
	s_wait_loadcnt 0x0
	v_lshlrev_b32_e32 v1, 16, v1
	s_delay_alu instid0(VALU_DEP_1) | instskip(NEXT) | instid1(VALU_DEP_1)
	v_trunc_f32_e32 v1, v1
	v_mul_f32_e32 v3, 0x2f800000, v1
	s_delay_alu instid0(VALU_DEP_1) | instskip(NEXT) | instid1(VALU_DEP_1)
	v_floor_f32_e32 v3, v3
	v_fmamk_f32 v1, v3, 0xcf800000, v1
	v_cvt_u32_f32_e32 v7, v3
	s_delay_alu instid0(VALU_DEP_2)
	v_cvt_u32_f32_e32 v6, v1
	s_branch .LBB372_481
.LBB372_477:
	s_mov_b32 s28, -1
                                        ; implicit-def: $vgpr6_vgpr7
	s_branch .LBB372_482
.LBB372_478:
	s_and_not1_saveexec_b32 s27, s27
	s_cbranch_execz .LBB372_459
.LBB372_479:
	v_cmp_ne_u16_e32 vcc_lo, 0, v1
	s_and_not1_b32 s28, s28, exec_lo
	s_and_b32 s29, vcc_lo, exec_lo
	s_delay_alu instid0(SALU_CYCLE_1)
	s_or_b32 s28, s28, s29
	s_or_b32 exec_lo, exec_lo, s27
	v_mov_b64_e32 v[6:7], 0
	s_and_saveexec_b32 s27, s28
	s_cbranch_execnz .LBB372_460
	s_branch .LBB372_461
.LBB372_480:
	s_mov_b32 s26, -1
                                        ; implicit-def: $vgpr6_vgpr7
.LBB372_481:
	s_mov_b32 s28, 0
.LBB372_482:
	s_delay_alu instid0(SALU_CYCLE_1)
	s_and_b32 vcc_lo, exec_lo, s28
	s_cbranch_vccz .LBB372_486
; %bb.483:
	s_cmp_eq_u32 s0, 11
	s_cbranch_scc0 .LBB372_485
; %bb.484:
	global_load_u8 v1, v[4:5], off
	s_mov_b32 s26, 0
	s_mov_b32 s27, -1
	s_wait_loadcnt 0x1
	v_mov_b32_e32 v7, s26
	s_wait_loadcnt 0x0
	v_cmp_ne_u16_e32 vcc_lo, 0, v1
	v_cndmask_b32_e64 v6, 0, 1, vcc_lo
	s_branch .LBB372_486
.LBB372_485:
	s_mov_b32 s26, -1
                                        ; implicit-def: $vgpr6_vgpr7
.LBB372_486:
	s_branch .LBB372_292
.LBB372_487:
	s_cmp_lt_i32 s0, 5
	s_cbranch_scc1 .LBB372_492
; %bb.488:
	s_cmp_lt_i32 s0, 8
	s_cbranch_scc1 .LBB372_493
; %bb.489:
	;; [unrolled: 3-line block ×3, first 2 shown]
	s_cmp_gt_i32 s0, 9
	s_cbranch_scc0 .LBB372_495
; %bb.491:
	s_wait_loadcnt 0x0
	global_load_b64 v[6:7], v[4:5], off
	s_mov_b32 s27, 0
	s_wait_loadcnt 0x0
	v_trunc_f64_e32 v[6:7], v[6:7]
	s_delay_alu instid0(VALU_DEP_1) | instskip(NEXT) | instid1(VALU_DEP_1)
	v_ldexp_f64 v[8:9], v[6:7], 0xffffffe0
	v_floor_f64_e32 v[8:9], v[8:9]
	s_delay_alu instid0(VALU_DEP_1) | instskip(SKIP_1) | instid1(VALU_DEP_2)
	v_fmamk_f64 v[10:11], v[8:9], 0xc1f00000, v[6:7]
	v_cvt_u32_f64_e32 v7, v[8:9]
	v_cvt_u32_f64_e32 v6, v[10:11]
	s_branch .LBB372_496
.LBB372_492:
	s_mov_b32 s27, -1
                                        ; implicit-def: $vgpr6_vgpr7
	s_branch .LBB372_514
.LBB372_493:
	s_mov_b32 s27, -1
                                        ; implicit-def: $vgpr6_vgpr7
	s_branch .LBB372_502
.LBB372_494:
	s_mov_b32 s27, -1
                                        ; implicit-def: $vgpr6_vgpr7
	s_branch .LBB372_499
.LBB372_495:
	s_mov_b32 s27, -1
                                        ; implicit-def: $vgpr6_vgpr7
.LBB372_496:
	s_delay_alu instid0(SALU_CYCLE_1)
	s_and_not1_b32 vcc_lo, exec_lo, s27
	s_cbranch_vccnz .LBB372_498
; %bb.497:
	global_load_b32 v1, v[4:5], off
	s_wait_loadcnt 0x0
	v_trunc_f32_e32 v1, v1
	s_delay_alu instid0(VALU_DEP_1) | instskip(NEXT) | instid1(VALU_DEP_1)
	v_mul_f32_e32 v3, 0x2f800000, v1
	v_floor_f32_e32 v3, v3
	s_delay_alu instid0(VALU_DEP_1) | instskip(SKIP_1) | instid1(VALU_DEP_2)
	v_fmamk_f32 v1, v3, 0xcf800000, v1
	v_cvt_u32_f32_e32 v7, v3
	v_cvt_u32_f32_e32 v6, v1
.LBB372_498:
	s_mov_b32 s27, 0
.LBB372_499:
	s_delay_alu instid0(SALU_CYCLE_1)
	s_and_not1_b32 vcc_lo, exec_lo, s27
	s_cbranch_vccnz .LBB372_501
; %bb.500:
	global_load_b32 v1, v[4:5], off
	s_wait_loadcnt 0x1
	v_mov_b32_e32 v7, 0
	s_wait_loadcnt 0x0
	v_cvt_f32_f16_e32 v1, v1
	s_delay_alu instid0(VALU_DEP_1)
	v_cvt_u32_f32_e32 v6, v1
.LBB372_501:
	s_mov_b32 s27, 0
.LBB372_502:
	s_delay_alu instid0(SALU_CYCLE_1)
	s_and_not1_b32 vcc_lo, exec_lo, s27
	s_cbranch_vccnz .LBB372_513
; %bb.503:
	s_cmp_lt_i32 s0, 6
	s_cbranch_scc1 .LBB372_506
; %bb.504:
	s_cmp_gt_i32 s0, 6
	s_cbranch_scc0 .LBB372_507
; %bb.505:
	s_wait_loadcnt 0x0
	global_load_b64 v[6:7], v[4:5], off
	s_mov_b32 s27, 0
	s_wait_loadcnt 0x0
	v_trunc_f64_e32 v[6:7], v[6:7]
	s_delay_alu instid0(VALU_DEP_1) | instskip(NEXT) | instid1(VALU_DEP_1)
	v_ldexp_f64 v[8:9], v[6:7], 0xffffffe0
	v_floor_f64_e32 v[8:9], v[8:9]
	s_delay_alu instid0(VALU_DEP_1) | instskip(SKIP_1) | instid1(VALU_DEP_2)
	v_fmamk_f64 v[10:11], v[8:9], 0xc1f00000, v[6:7]
	v_cvt_u32_f64_e32 v7, v[8:9]
	v_cvt_u32_f64_e32 v6, v[10:11]
	s_branch .LBB372_508
.LBB372_506:
	s_mov_b32 s27, -1
                                        ; implicit-def: $vgpr6_vgpr7
	s_branch .LBB372_511
.LBB372_507:
	s_mov_b32 s27, -1
                                        ; implicit-def: $vgpr6_vgpr7
.LBB372_508:
	s_delay_alu instid0(SALU_CYCLE_1)
	s_and_not1_b32 vcc_lo, exec_lo, s27
	s_cbranch_vccnz .LBB372_510
; %bb.509:
	global_load_b32 v1, v[4:5], off
	s_wait_loadcnt 0x0
	v_trunc_f32_e32 v1, v1
	s_delay_alu instid0(VALU_DEP_1) | instskip(NEXT) | instid1(VALU_DEP_1)
	v_mul_f32_e32 v3, 0x2f800000, v1
	v_floor_f32_e32 v3, v3
	s_delay_alu instid0(VALU_DEP_1) | instskip(SKIP_1) | instid1(VALU_DEP_2)
	v_fmamk_f32 v1, v3, 0xcf800000, v1
	v_cvt_u32_f32_e32 v7, v3
	v_cvt_u32_f32_e32 v6, v1
.LBB372_510:
	s_mov_b32 s27, 0
.LBB372_511:
	s_delay_alu instid0(SALU_CYCLE_1)
	s_and_not1_b32 vcc_lo, exec_lo, s27
	s_cbranch_vccnz .LBB372_513
; %bb.512:
	global_load_u16 v1, v[4:5], off
	s_wait_loadcnt 0x1
	v_mov_b32_e32 v7, 0
	s_wait_loadcnt 0x0
	v_cvt_f32_f16_e32 v1, v1
	s_delay_alu instid0(VALU_DEP_1)
	v_cvt_u32_f32_e32 v6, v1
.LBB372_513:
	s_mov_b32 s27, 0
.LBB372_514:
	s_delay_alu instid0(SALU_CYCLE_1)
	s_and_not1_b32 vcc_lo, exec_lo, s27
	s_cbranch_vccnz .LBB372_534
; %bb.515:
	s_cmp_lt_i32 s0, 2
	s_cbranch_scc1 .LBB372_519
; %bb.516:
	s_cmp_lt_i32 s0, 3
	s_cbranch_scc1 .LBB372_520
; %bb.517:
	s_cmp_gt_i32 s0, 3
	s_cbranch_scc0 .LBB372_521
; %bb.518:
	s_wait_loadcnt 0x0
	global_load_b64 v[6:7], v[4:5], off
	s_mov_b32 s27, 0
	s_branch .LBB372_522
.LBB372_519:
	s_mov_b32 s27, -1
                                        ; implicit-def: $vgpr6_vgpr7
	s_branch .LBB372_528
.LBB372_520:
	s_mov_b32 s27, -1
                                        ; implicit-def: $vgpr6_vgpr7
	s_branch .LBB372_525
.LBB372_521:
	s_mov_b32 s27, -1
                                        ; implicit-def: $vgpr6_vgpr7
.LBB372_522:
	s_delay_alu instid0(SALU_CYCLE_1)
	s_and_not1_b32 vcc_lo, exec_lo, s27
	s_cbranch_vccnz .LBB372_524
; %bb.523:
	s_wait_loadcnt 0x0
	global_load_b32 v6, v[4:5], off
	s_wait_loadcnt 0x0
	v_ashrrev_i32_e32 v7, 31, v6
.LBB372_524:
	s_mov_b32 s27, 0
.LBB372_525:
	s_delay_alu instid0(SALU_CYCLE_1)
	s_and_not1_b32 vcc_lo, exec_lo, s27
	s_cbranch_vccnz .LBB372_527
; %bb.526:
	global_load_u16 v1, v[4:5], off
	s_wait_loadcnt 0x0
	v_bfe_i32 v6, v1, 0, 16
	s_delay_alu instid0(VALU_DEP_1)
	v_ashrrev_i32_e32 v7, 31, v6
.LBB372_527:
	s_mov_b32 s27, 0
.LBB372_528:
	s_delay_alu instid0(SALU_CYCLE_1)
	s_and_not1_b32 vcc_lo, exec_lo, s27
	s_cbranch_vccnz .LBB372_534
; %bb.529:
	s_cmp_gt_i32 s0, 0
	s_mov_b32 s0, 0
	s_cbranch_scc0 .LBB372_531
; %bb.530:
	global_load_i8 v1, v[4:5], off
	s_wait_loadcnt 0x0
	v_bfe_i32 v6, v1, 0, 16
	s_delay_alu instid0(VALU_DEP_1)
	v_ashrrev_i32_e32 v7, 31, v6
	s_branch .LBB372_532
.LBB372_531:
	s_mov_b32 s0, -1
                                        ; implicit-def: $vgpr6_vgpr7
.LBB372_532:
	s_delay_alu instid0(SALU_CYCLE_1)
	s_and_not1_b32 vcc_lo, exec_lo, s0
	s_cbranch_vccnz .LBB372_534
; %bb.533:
	global_load_u8 v1, v[4:5], off
	s_mov_b32 s0, 0
	s_wait_loadcnt 0x1
	v_mov_b32_e32 v7, s0
	s_wait_loadcnt 0x0
	v_and_b32_e32 v6, 0xffff, v1
.LBB372_534:
	s_branch .LBB372_293
.LBB372_535:
	s_mov_b32 s27, 0
	s_mov_b32 s0, s42
.LBB372_536:
                                        ; implicit-def: $vgpr0
.LBB372_537:
	s_and_not1_b32 s28, s42, exec_lo
	s_and_b32 s0, s0, exec_lo
	s_and_not1_b32 s29, s43, exec_lo
	s_and_b32 s26, s26, exec_lo
	s_or_b32 s46, s28, s0
	s_or_b32 s45, s29, s26
	s_or_not1_b32 s0, s27, exec_lo
.LBB372_538:
	s_wait_xcnt 0x0
	s_or_b32 exec_lo, exec_lo, s47
	s_mov_b32 s27, 0
	s_mov_b32 s26, 0
	;; [unrolled: 1-line block ×3, first 2 shown]
                                        ; implicit-def: $vgpr4_vgpr5
                                        ; implicit-def: $vgpr2
                                        ; implicit-def: $vgpr6_vgpr7
	s_and_saveexec_b32 s47, s0
	s_cbranch_execz .LBB372_911
; %bb.539:
	s_mov_b32 s29, -1
	s_mov_b32 s0, s45
	s_mov_b32 s30, s46
	s_mov_b32 s48, exec_lo
	v_cmpx_gt_i32_e64 s39, v0
	s_cbranch_execz .LBB372_812
; %bb.540:
	s_and_not1_b32 vcc_lo, exec_lo, s35
	s_cbranch_vccnz .LBB372_546
; %bb.541:
	s_and_not1_b32 vcc_lo, exec_lo, s41
	s_cbranch_vccnz .LBB372_547
; %bb.542:
	s_add_co_i32 s0, s40, 1
	s_cmp_eq_u32 s33, 2
	s_cbranch_scc1 .LBB372_548
; %bb.543:
	v_dual_mov_b32 v2, 0 :: v_dual_mov_b32 v4, 0
	v_mov_b32_e32 v1, v0
	s_and_b32 s26, s0, 28
	s_mov_b64 s[28:29], s[2:3]
	s_mov_b64 s[30:31], s[24:25]
.LBB372_544:                            ; =>This Inner Loop Header: Depth=1
	s_clause 0x1
	s_load_b256 s[52:59], s[28:29], 0x4
	s_load_b128 s[68:71], s[28:29], 0x24
	s_load_b256 s[60:67], s[30:31], 0x0
	s_add_co_i32 s27, s27, 4
	s_wait_xcnt 0x0
	s_add_nc_u64 s[28:29], s[28:29], 48
	s_cmp_eq_u32 s26, s27
	s_add_nc_u64 s[30:31], s[30:31], 32
	s_wait_kmcnt 0x0
	v_mul_hi_u32 v3, s53, v1
	s_delay_alu instid0(VALU_DEP_1) | instskip(NEXT) | instid1(VALU_DEP_1)
	v_add_nc_u32_e32 v3, v1, v3
	v_lshrrev_b32_e32 v3, s54, v3
	s_delay_alu instid0(VALU_DEP_1) | instskip(NEXT) | instid1(VALU_DEP_1)
	v_mul_hi_u32 v5, s56, v3
	v_add_nc_u32_e32 v5, v3, v5
	s_delay_alu instid0(VALU_DEP_1) | instskip(SKIP_1) | instid1(VALU_DEP_1)
	v_lshrrev_b32_e32 v5, s57, v5
	s_wait_loadcnt 0x0
	v_mul_hi_u32 v6, s59, v5
	s_delay_alu instid0(VALU_DEP_1) | instskip(SKIP_1) | instid1(VALU_DEP_1)
	v_add_nc_u32_e32 v6, v5, v6
	v_mul_lo_u32 v7, v3, s52
	v_sub_nc_u32_e32 v1, v1, v7
	v_mul_lo_u32 v7, v5, s55
	s_delay_alu instid0(VALU_DEP_4) | instskip(NEXT) | instid1(VALU_DEP_3)
	v_lshrrev_b32_e32 v6, s68, v6
	v_mad_u32 v4, v1, s61, v4
	v_mad_u32 v1, v1, s60, v2
	s_delay_alu instid0(VALU_DEP_4) | instskip(NEXT) | instid1(VALU_DEP_4)
	v_sub_nc_u32_e32 v2, v3, v7
	v_mul_hi_u32 v8, s70, v6
	v_mul_lo_u32 v3, v6, s58
	s_delay_alu instid0(VALU_DEP_3) | instskip(SKIP_1) | instid1(VALU_DEP_3)
	v_mad_u32 v4, v2, s63, v4
	v_mad_u32 v2, v2, s62, v1
	v_dual_add_nc_u32 v7, v6, v8 :: v_dual_sub_nc_u32 v3, v5, v3
	s_delay_alu instid0(VALU_DEP_1) | instskip(NEXT) | instid1(VALU_DEP_2)
	v_lshrrev_b32_e32 v1, s71, v7
	v_mad_u32 v4, v3, s65, v4
	s_delay_alu instid0(VALU_DEP_4) | instskip(NEXT) | instid1(VALU_DEP_3)
	v_mad_u32 v2, v3, s64, v2
	v_mul_lo_u32 v5, v1, s69
	s_delay_alu instid0(VALU_DEP_1) | instskip(NEXT) | instid1(VALU_DEP_1)
	v_sub_nc_u32_e32 v3, v6, v5
	v_mad_u32 v4, v3, s67, v4
	s_delay_alu instid0(VALU_DEP_4)
	v_mad_u32 v2, v3, s66, v2
	s_cbranch_scc0 .LBB372_544
; %bb.545:
	s_delay_alu instid0(VALU_DEP_2)
	v_mov_b32_e32 v3, v4
	s_branch .LBB372_549
.LBB372_546:
	s_mov_b32 s0, -1
                                        ; implicit-def: $vgpr4
                                        ; implicit-def: $vgpr2
	s_branch .LBB372_554
.LBB372_547:
	v_dual_mov_b32 v4, 0 :: v_dual_mov_b32 v2, 0
	s_branch .LBB372_553
.LBB372_548:
	v_mov_b64_e32 v[2:3], 0
	v_mov_b32_e32 v1, v0
                                        ; implicit-def: $vgpr4
.LBB372_549:
	s_and_b32 s0, s0, 3
	s_mov_b32 s27, 0
	s_cmp_eq_u32 s0, 0
	s_cbranch_scc1 .LBB372_553
; %bb.550:
	s_lshl_b32 s28, s26, 3
	s_mov_b32 s29, s27
	s_mul_u64 s[30:31], s[26:27], 12
	s_add_nc_u64 s[28:29], s[2:3], s[28:29]
	s_delay_alu instid0(SALU_CYCLE_1)
	s_add_nc_u64 s[26:27], s[28:29], 0xc4
	s_add_nc_u64 s[28:29], s[2:3], s[30:31]
.LBB372_551:                            ; =>This Inner Loop Header: Depth=1
	s_load_b96 s[52:54], s[28:29], 0x4
	s_load_b64 s[30:31], s[26:27], 0x0
	s_add_co_i32 s0, s0, -1
	s_wait_xcnt 0x0
	s_add_nc_u64 s[28:29], s[28:29], 12
	s_cmp_lg_u32 s0, 0
	s_add_nc_u64 s[26:27], s[26:27], 8
	s_wait_kmcnt 0x0
	v_mul_hi_u32 v4, s53, v1
	s_delay_alu instid0(VALU_DEP_1) | instskip(NEXT) | instid1(VALU_DEP_1)
	v_add_nc_u32_e32 v4, v1, v4
	v_lshrrev_b32_e32 v4, s54, v4
	s_delay_alu instid0(VALU_DEP_1) | instskip(NEXT) | instid1(VALU_DEP_1)
	v_mul_lo_u32 v5, v4, s52
	v_sub_nc_u32_e32 v1, v1, v5
	s_delay_alu instid0(VALU_DEP_1)
	v_mad_u32 v3, v1, s31, v3
	v_mad_u32 v2, v1, s30, v2
	v_mov_b32_e32 v1, v4
	s_cbranch_scc1 .LBB372_551
; %bb.552:
	s_delay_alu instid0(VALU_DEP_3)
	v_mov_b32_e32 v4, v3
.LBB372_553:
	s_mov_b32 s0, 0
.LBB372_554:
	s_delay_alu instid0(SALU_CYCLE_1)
	s_and_not1_b32 vcc_lo, exec_lo, s0
	s_cbranch_vccnz .LBB372_557
; %bb.555:
	v_mov_b32_e32 v1, 0
	s_and_not1_b32 vcc_lo, exec_lo, s38
	s_delay_alu instid0(VALU_DEP_1) | instskip(NEXT) | instid1(VALU_DEP_1)
	v_mul_u64_e32 v[2:3], s[20:21], v[0:1]
	v_add_nc_u32_e32 v2, v0, v3
	s_wait_loadcnt 0x0
	s_delay_alu instid0(VALU_DEP_1) | instskip(NEXT) | instid1(VALU_DEP_1)
	v_lshrrev_b32_e32 v6, s10, v2
	v_mul_lo_u32 v2, v6, s8
	s_delay_alu instid0(VALU_DEP_1) | instskip(NEXT) | instid1(VALU_DEP_1)
	v_sub_nc_u32_e32 v2, v0, v2
	v_mul_lo_u32 v4, v2, s13
	v_mul_lo_u32 v2, v2, s12
	s_cbranch_vccnz .LBB372_557
; %bb.556:
	v_mov_b32_e32 v7, v1
	s_delay_alu instid0(VALU_DEP_1) | instskip(NEXT) | instid1(VALU_DEP_1)
	v_mul_u64_e32 v[8:9], s[22:23], v[6:7]
	v_add_nc_u32_e32 v1, v6, v9
	s_delay_alu instid0(VALU_DEP_1) | instskip(NEXT) | instid1(VALU_DEP_1)
	v_lshrrev_b32_e32 v1, s1, v1
	v_mul_lo_u32 v1, v1, s11
	s_delay_alu instid0(VALU_DEP_1) | instskip(NEXT) | instid1(VALU_DEP_1)
	v_sub_nc_u32_e32 v1, v6, v1
	v_mad_u32 v2, v1, s14, v2
	v_mad_u32 v4, v1, s15, v4
.LBB372_557:
	v_mov_b32_e32 v5, 0
	s_and_b32 s0, 0xffff, s37
	s_delay_alu instid0(SALU_CYCLE_1) | instskip(NEXT) | instid1(VALU_DEP_1)
	s_cmp_lt_i32 s0, 11
	v_add_nc_u64_e32 v[4:5], s[6:7], v[4:5]
	s_cbranch_scc1 .LBB372_564
; %bb.558:
	s_cmp_gt_i32 s0, 25
	s_cbranch_scc0 .LBB372_565
; %bb.559:
	s_cmp_gt_i32 s0, 28
	s_cbranch_scc0 .LBB372_566
	;; [unrolled: 3-line block ×4, first 2 shown]
; %bb.562:
	s_cmp_eq_u32 s0, 46
	s_mov_b32 s28, 0
	s_cbranch_scc0 .LBB372_573
; %bb.563:
	global_load_b32 v1, v[4:5], off
	s_mov_b32 s27, -1
	s_mov_b32 s26, 0
	s_wait_loadcnt 0x0
	v_lshlrev_b32_e32 v1, 16, v1
	s_delay_alu instid0(VALU_DEP_1) | instskip(NEXT) | instid1(VALU_DEP_1)
	v_trunc_f32_e32 v1, v1
	v_mul_f32_e32 v3, 0x2f800000, v1
	s_delay_alu instid0(VALU_DEP_1) | instskip(NEXT) | instid1(VALU_DEP_1)
	v_floor_f32_e32 v3, v3
	v_fmamk_f32 v1, v3, 0xcf800000, v1
	v_cvt_u32_f32_e32 v7, v3
	s_delay_alu instid0(VALU_DEP_2)
	v_cvt_u32_f32_e32 v6, v1
	s_branch .LBB372_575
.LBB372_564:
	s_mov_b32 s28, -1
	s_mov_b32 s27, 0
	s_mov_b32 s26, s45
                                        ; implicit-def: $vgpr6_vgpr7
	s_branch .LBB372_636
.LBB372_565:
	s_mov_b32 s28, -1
	s_mov_b32 s27, 0
	s_mov_b32 s26, s45
                                        ; implicit-def: $vgpr6_vgpr7
	s_branch .LBB372_602
.LBB372_566:
	s_mov_b32 s28, -1
	s_mov_b32 s27, 0
	s_mov_b32 s26, s45
                                        ; implicit-def: $vgpr6_vgpr7
	s_branch .LBB372_585
.LBB372_567:
	s_mov_b32 s28, -1
	s_mov_b32 s27, 0
	s_mov_b32 s26, s45
                                        ; implicit-def: $vgpr6_vgpr7
	s_branch .LBB372_580
.LBB372_568:
	s_and_not1_saveexec_b32 s45, s45
	s_cbranch_execz .LBB372_339
.LBB372_569:
	v_add_f32_e32 v1, 0x46000000, v4
	s_and_not1_b32 s31, s31, exec_lo
	s_delay_alu instid0(VALU_DEP_1) | instskip(NEXT) | instid1(VALU_DEP_1)
	v_and_b32_e32 v1, 0xff, v1
	v_cmp_ne_u32_e32 vcc_lo, 0, v1
	s_and_b32 s46, vcc_lo, exec_lo
	s_delay_alu instid0(SALU_CYCLE_1)
	s_or_b32 s31, s31, s46
	s_or_b32 exec_lo, exec_lo, s45
	v_mov_b32_e32 v5, 0
	s_and_saveexec_b32 s45, s31
	s_cbranch_execnz .LBB372_340
	s_branch .LBB372_341
.LBB372_570:
	s_mov_b32 s28, -1
	s_mov_b32 s27, 0
	s_mov_b32 s26, s45
	s_branch .LBB372_574
.LBB372_571:
	s_and_not1_saveexec_b32 s45, s45
	s_cbranch_execz .LBB372_352
.LBB372_572:
	v_add_f32_e32 v1, 0x42800000, v4
	s_and_not1_b32 s31, s31, exec_lo
	s_delay_alu instid0(VALU_DEP_1) | instskip(NEXT) | instid1(VALU_DEP_1)
	v_and_b32_e32 v1, 0xff, v1
	v_cmp_ne_u32_e32 vcc_lo, 0, v1
	s_and_b32 s46, vcc_lo, exec_lo
	s_delay_alu instid0(SALU_CYCLE_1)
	s_or_b32 s31, s31, s46
	s_or_b32 exec_lo, exec_lo, s45
	v_mov_b32_e32 v5, 0
	s_and_saveexec_b32 s45, s31
	s_cbranch_execnz .LBB372_353
	s_branch .LBB372_354
.LBB372_573:
	s_mov_b32 s26, -1
	s_mov_b32 s27, 0
.LBB372_574:
                                        ; implicit-def: $vgpr6_vgpr7
.LBB372_575:
	s_and_b32 vcc_lo, exec_lo, s28
	s_cbranch_vccz .LBB372_579
; %bb.576:
	s_cmp_eq_u32 s0, 44
	s_cbranch_scc0 .LBB372_578
; %bb.577:
	global_load_u8 v1, v[4:5], off
	s_mov_b32 s26, 0
	s_mov_b32 s27, -1
	s_wait_loadcnt 0x0
	v_cmp_ne_u32_e32 vcc_lo, 0, v1
	v_lshlrev_b32_e32 v3, 23, v1
	s_delay_alu instid0(VALU_DEP_1) | instskip(NEXT) | instid1(VALU_DEP_1)
	v_trunc_f32_e32 v3, v3
	v_mul_f32_e32 v6, 0x2f800000, v3
	s_delay_alu instid0(VALU_DEP_1) | instskip(NEXT) | instid1(VALU_DEP_1)
	v_floor_f32_e32 v6, v6
	v_fmamk_f32 v3, v6, 0xcf800000, v3
	v_cvt_u32_f32_e32 v6, v6
	s_delay_alu instid0(VALU_DEP_2) | instskip(NEXT) | instid1(VALU_DEP_1)
	v_cvt_u32_f32_e32 v3, v3
	v_dual_cndmask_b32 v7, 0, v6 :: v_dual_cndmask_b32 v6, 0, v3
	s_branch .LBB372_579
.LBB372_578:
	s_mov_b32 s26, -1
                                        ; implicit-def: $vgpr6_vgpr7
.LBB372_579:
	s_mov_b32 s28, 0
.LBB372_580:
	s_delay_alu instid0(SALU_CYCLE_1)
	s_and_b32 vcc_lo, exec_lo, s28
	s_cbranch_vccz .LBB372_584
; %bb.581:
	s_cmp_eq_u32 s0, 29
	s_cbranch_scc0 .LBB372_583
; %bb.582:
	s_wait_loadcnt 0x0
	global_load_b64 v[6:7], v[4:5], off
	s_mov_b32 s27, -1
	s_mov_b32 s26, 0
	s_branch .LBB372_584
.LBB372_583:
	s_mov_b32 s26, -1
                                        ; implicit-def: $vgpr6_vgpr7
.LBB372_584:
	s_mov_b32 s28, 0
.LBB372_585:
	s_delay_alu instid0(SALU_CYCLE_1)
	s_and_b32 vcc_lo, exec_lo, s28
	s_cbranch_vccz .LBB372_601
; %bb.586:
	s_cmp_lt_i32 s0, 27
	s_cbranch_scc1 .LBB372_589
; %bb.587:
	s_cmp_gt_i32 s0, 27
	s_cbranch_scc0 .LBB372_590
; %bb.588:
	s_wait_loadcnt 0x0
	global_load_b32 v6, v[4:5], off
	v_mov_b32_e32 v7, 0
	s_mov_b32 s27, 0
	s_branch .LBB372_591
.LBB372_589:
	s_mov_b32 s27, -1
                                        ; implicit-def: $vgpr6_vgpr7
	s_branch .LBB372_594
.LBB372_590:
	s_mov_b32 s27, -1
                                        ; implicit-def: $vgpr6_vgpr7
.LBB372_591:
	s_delay_alu instid0(SALU_CYCLE_1)
	s_and_not1_b32 vcc_lo, exec_lo, s27
	s_cbranch_vccnz .LBB372_593
; %bb.592:
	global_load_u16 v1, v[4:5], off
	s_mov_b32 s27, 0
	s_wait_loadcnt 0x1
	v_mov_b32_e32 v7, s27
	s_wait_loadcnt 0x0
	v_and_b32_e32 v6, 0xffff, v1
.LBB372_593:
	s_mov_b32 s27, 0
.LBB372_594:
	s_delay_alu instid0(SALU_CYCLE_1)
	s_and_not1_b32 vcc_lo, exec_lo, s27
	s_cbranch_vccnz .LBB372_600
; %bb.595:
	global_load_u8 v1, v[4:5], off
	s_mov_b32 s28, 0
	s_mov_b32 s27, exec_lo
	s_wait_loadcnt 0x0
	v_cmpx_lt_i16_e32 0x7f, v1
	s_xor_b32 s27, exec_lo, s27
	s_cbranch_execz .LBB372_612
; %bb.596:
	v_cmp_ne_u16_e32 vcc_lo, 0x80, v1
	s_and_b32 s28, vcc_lo, exec_lo
	s_and_not1_saveexec_b32 s27, s27
	s_cbranch_execnz .LBB372_613
.LBB372_597:
	s_or_b32 exec_lo, exec_lo, s27
	v_mov_b64_e32 v[6:7], 0
	s_and_saveexec_b32 s27, s28
	s_cbranch_execz .LBB372_599
.LBB372_598:
	v_and_b32_e32 v3, 0xffff, v1
	s_delay_alu instid0(VALU_DEP_1) | instskip(SKIP_1) | instid1(VALU_DEP_2)
	v_dual_lshlrev_b32 v1, 24, v1 :: v_dual_bitop2_b32 v6, 7, v3 bitop3:0x40
	v_bfe_u32 v9, v3, 3, 4
	v_and_b32_e32 v1, 0x80000000, v1
	s_delay_alu instid0(VALU_DEP_3) | instskip(NEXT) | instid1(VALU_DEP_3)
	v_clz_i32_u32_e32 v7, v6
	v_cmp_eq_u32_e32 vcc_lo, 0, v9
	s_delay_alu instid0(VALU_DEP_2) | instskip(NEXT) | instid1(VALU_DEP_1)
	v_min_u32_e32 v7, 32, v7
	v_subrev_nc_u32_e32 v8, 28, v7
	v_sub_nc_u32_e32 v7, 29, v7
	s_delay_alu instid0(VALU_DEP_2) | instskip(NEXT) | instid1(VALU_DEP_2)
	v_lshlrev_b32_e32 v3, v8, v3
	v_cndmask_b32_e32 v7, v9, v7, vcc_lo
	s_delay_alu instid0(VALU_DEP_2) | instskip(NEXT) | instid1(VALU_DEP_1)
	v_and_b32_e32 v3, 7, v3
	v_cndmask_b32_e32 v3, v6, v3, vcc_lo
	s_delay_alu instid0(VALU_DEP_3) | instskip(NEXT) | instid1(VALU_DEP_2)
	v_lshl_add_u32 v6, v7, 23, 0x3b800000
	v_lshlrev_b32_e32 v3, 20, v3
	s_delay_alu instid0(VALU_DEP_1) | instskip(NEXT) | instid1(VALU_DEP_1)
	v_or3_b32 v1, v1, v6, v3
	v_trunc_f32_e32 v1, v1
	s_delay_alu instid0(VALU_DEP_1) | instskip(NEXT) | instid1(VALU_DEP_1)
	v_mul_f32_e32 v3, 0x2f800000, v1
	v_floor_f32_e32 v3, v3
	s_delay_alu instid0(VALU_DEP_1) | instskip(SKIP_1) | instid1(VALU_DEP_2)
	v_fmamk_f32 v1, v3, 0xcf800000, v1
	v_cvt_u32_f32_e32 v7, v3
	v_cvt_u32_f32_e32 v6, v1
.LBB372_599:
	s_or_b32 exec_lo, exec_lo, s27
.LBB372_600:
	s_mov_b32 s27, -1
.LBB372_601:
	s_mov_b32 s28, 0
.LBB372_602:
	s_delay_alu instid0(SALU_CYCLE_1)
	s_and_b32 vcc_lo, exec_lo, s28
	s_cbranch_vccz .LBB372_635
; %bb.603:
	s_cmp_gt_i32 s0, 22
	s_cbranch_scc0 .LBB372_611
; %bb.604:
	s_cmp_lt_i32 s0, 24
	s_cbranch_scc1 .LBB372_614
; %bb.605:
	s_cmp_gt_i32 s0, 24
	s_cbranch_scc0 .LBB372_615
; %bb.606:
	global_load_u8 v1, v[4:5], off
	s_mov_b32 s28, 0
	s_mov_b32 s27, exec_lo
	s_wait_loadcnt 0x0
	v_cmpx_lt_i16_e32 0x7f, v1
	s_xor_b32 s27, exec_lo, s27
	s_cbranch_execz .LBB372_627
; %bb.607:
	v_cmp_ne_u16_e32 vcc_lo, 0x80, v1
	s_and_b32 s28, vcc_lo, exec_lo
	s_and_not1_saveexec_b32 s27, s27
	s_cbranch_execnz .LBB372_628
.LBB372_608:
	s_or_b32 exec_lo, exec_lo, s27
	v_mov_b64_e32 v[6:7], 0
	s_and_saveexec_b32 s27, s28
	s_cbranch_execz .LBB372_610
.LBB372_609:
	v_and_b32_e32 v3, 0xffff, v1
	s_delay_alu instid0(VALU_DEP_1) | instskip(SKIP_1) | instid1(VALU_DEP_2)
	v_dual_lshlrev_b32 v1, 24, v1 :: v_dual_bitop2_b32 v6, 3, v3 bitop3:0x40
	v_bfe_u32 v9, v3, 2, 5
	v_and_b32_e32 v1, 0x80000000, v1
	s_delay_alu instid0(VALU_DEP_3) | instskip(NEXT) | instid1(VALU_DEP_3)
	v_clz_i32_u32_e32 v7, v6
	v_cmp_eq_u32_e32 vcc_lo, 0, v9
	s_delay_alu instid0(VALU_DEP_2) | instskip(NEXT) | instid1(VALU_DEP_1)
	v_min_u32_e32 v7, 32, v7
	v_subrev_nc_u32_e32 v8, 29, v7
	v_sub_nc_u32_e32 v7, 30, v7
	s_delay_alu instid0(VALU_DEP_2) | instskip(NEXT) | instid1(VALU_DEP_2)
	v_lshlrev_b32_e32 v3, v8, v3
	v_cndmask_b32_e32 v7, v9, v7, vcc_lo
	s_delay_alu instid0(VALU_DEP_2) | instskip(NEXT) | instid1(VALU_DEP_1)
	v_and_b32_e32 v3, 3, v3
	v_cndmask_b32_e32 v3, v6, v3, vcc_lo
	s_delay_alu instid0(VALU_DEP_3) | instskip(NEXT) | instid1(VALU_DEP_2)
	v_lshl_add_u32 v6, v7, 23, 0x37800000
	v_lshlrev_b32_e32 v3, 21, v3
	s_delay_alu instid0(VALU_DEP_1) | instskip(NEXT) | instid1(VALU_DEP_1)
	v_or3_b32 v1, v1, v6, v3
	v_trunc_f32_e32 v1, v1
	s_delay_alu instid0(VALU_DEP_1) | instskip(NEXT) | instid1(VALU_DEP_1)
	v_mul_f32_e32 v3, 0x2f800000, v1
	v_floor_f32_e32 v3, v3
	s_delay_alu instid0(VALU_DEP_1) | instskip(SKIP_1) | instid1(VALU_DEP_2)
	v_fmamk_f32 v1, v3, 0xcf800000, v1
	v_cvt_u32_f32_e32 v7, v3
	v_cvt_u32_f32_e32 v6, v1
.LBB372_610:
	s_or_b32 exec_lo, exec_lo, s27
	s_mov_b32 s27, 0
	s_branch .LBB372_616
.LBB372_611:
	s_mov_b32 s28, -1
                                        ; implicit-def: $vgpr6_vgpr7
	s_branch .LBB372_622
.LBB372_612:
	s_and_not1_saveexec_b32 s27, s27
	s_cbranch_execz .LBB372_597
.LBB372_613:
	v_cmp_ne_u16_e32 vcc_lo, 0, v1
	s_and_not1_b32 s28, s28, exec_lo
	s_and_b32 s29, vcc_lo, exec_lo
	s_delay_alu instid0(SALU_CYCLE_1)
	s_or_b32 s28, s28, s29
	s_or_b32 exec_lo, exec_lo, s27
	v_mov_b64_e32 v[6:7], 0
	s_and_saveexec_b32 s27, s28
	s_cbranch_execnz .LBB372_598
	s_branch .LBB372_599
.LBB372_614:
	s_mov_b32 s27, -1
                                        ; implicit-def: $vgpr6_vgpr7
	s_branch .LBB372_619
.LBB372_615:
	s_mov_b32 s27, -1
                                        ; implicit-def: $vgpr6_vgpr7
.LBB372_616:
	s_delay_alu instid0(SALU_CYCLE_1)
	s_and_b32 vcc_lo, exec_lo, s27
	s_cbranch_vccz .LBB372_618
; %bb.617:
	global_load_u8 v1, v[4:5], off
	s_wait_loadcnt 0x0
	v_lshlrev_b32_e32 v1, 24, v1
	s_delay_alu instid0(VALU_DEP_1) | instskip(NEXT) | instid1(VALU_DEP_1)
	v_and_b32_e32 v3, 0x7f000000, v1
	v_clz_i32_u32_e32 v6, v3
	v_cmp_ne_u32_e32 vcc_lo, 0, v3
	v_add_nc_u32_e32 v8, 0x1000000, v3
	s_delay_alu instid0(VALU_DEP_3) | instskip(NEXT) | instid1(VALU_DEP_1)
	v_min_u32_e32 v6, 32, v6
	v_sub_nc_u32_e64 v6, v6, 4 clamp
	s_delay_alu instid0(VALU_DEP_1) | instskip(NEXT) | instid1(VALU_DEP_1)
	v_dual_lshlrev_b32 v7, v6, v3 :: v_dual_lshlrev_b32 v6, 23, v6
	v_lshrrev_b32_e32 v7, 4, v7
	s_delay_alu instid0(VALU_DEP_1) | instskip(NEXT) | instid1(VALU_DEP_1)
	v_dual_sub_nc_u32 v6, v7, v6 :: v_dual_ashrrev_i32 v7, 8, v8
	v_add_nc_u32_e32 v6, 0x3c000000, v6
	s_delay_alu instid0(VALU_DEP_1) | instskip(NEXT) | instid1(VALU_DEP_1)
	v_and_or_b32 v6, 0x7f800000, v7, v6
	v_cndmask_b32_e32 v3, 0, v6, vcc_lo
	s_delay_alu instid0(VALU_DEP_1) | instskip(NEXT) | instid1(VALU_DEP_1)
	v_and_or_b32 v1, 0x80000000, v1, v3
	v_trunc_f32_e32 v1, v1
	s_delay_alu instid0(VALU_DEP_1) | instskip(NEXT) | instid1(VALU_DEP_1)
	v_mul_f32_e32 v3, 0x2f800000, v1
	v_floor_f32_e32 v3, v3
	s_delay_alu instid0(VALU_DEP_1) | instskip(SKIP_1) | instid1(VALU_DEP_2)
	v_fmamk_f32 v1, v3, 0xcf800000, v1
	v_cvt_u32_f32_e32 v7, v3
	v_cvt_u32_f32_e32 v6, v1
.LBB372_618:
	s_mov_b32 s27, 0
.LBB372_619:
	s_delay_alu instid0(SALU_CYCLE_1)
	s_and_not1_b32 vcc_lo, exec_lo, s27
	s_cbranch_vccnz .LBB372_621
; %bb.620:
	global_load_u8 v1, v[4:5], off
	s_wait_loadcnt 0x0
	v_lshlrev_b32_e32 v3, 25, v1
	v_lshlrev_b16 v1, 8, v1
	s_delay_alu instid0(VALU_DEP_1) | instskip(SKIP_1) | instid1(VALU_DEP_2)
	v_and_or_b32 v7, 0x7f00, v1, 0.5
	v_bfe_i32 v1, v1, 0, 16
	v_add_f32_e32 v7, -0.5, v7
	v_lshrrev_b32_e32 v6, 4, v3
	v_cmp_gt_u32_e32 vcc_lo, 0x8000000, v3
	s_delay_alu instid0(VALU_DEP_2) | instskip(NEXT) | instid1(VALU_DEP_1)
	v_or_b32_e32 v6, 0x70000000, v6
	v_mul_f32_e32 v6, 0x7800000, v6
	s_delay_alu instid0(VALU_DEP_1) | instskip(NEXT) | instid1(VALU_DEP_1)
	v_cndmask_b32_e32 v3, v6, v7, vcc_lo
	v_and_or_b32 v1, 0x80000000, v1, v3
	s_delay_alu instid0(VALU_DEP_1) | instskip(NEXT) | instid1(VALU_DEP_1)
	v_trunc_f32_e32 v1, v1
	v_mul_f32_e32 v3, 0x2f800000, v1
	s_delay_alu instid0(VALU_DEP_1) | instskip(NEXT) | instid1(VALU_DEP_1)
	v_floor_f32_e32 v3, v3
	v_fmamk_f32 v1, v3, 0xcf800000, v1
	v_cvt_u32_f32_e32 v7, v3
	s_delay_alu instid0(VALU_DEP_2)
	v_cvt_u32_f32_e32 v6, v1
.LBB372_621:
	s_mov_b32 s28, 0
	s_mov_b32 s27, -1
.LBB372_622:
	s_and_not1_b32 vcc_lo, exec_lo, s28
	s_cbranch_vccnz .LBB372_635
; %bb.623:
	s_cmp_gt_i32 s0, 14
	s_cbranch_scc0 .LBB372_626
; %bb.624:
	s_cmp_eq_u32 s0, 15
	s_cbranch_scc0 .LBB372_629
; %bb.625:
	global_load_u16 v1, v[4:5], off
	s_mov_b32 s27, -1
	s_mov_b32 s26, 0
	s_wait_loadcnt 0x0
	v_lshlrev_b32_e32 v1, 16, v1
	s_delay_alu instid0(VALU_DEP_1) | instskip(NEXT) | instid1(VALU_DEP_1)
	v_trunc_f32_e32 v1, v1
	v_mul_f32_e32 v3, 0x2f800000, v1
	s_delay_alu instid0(VALU_DEP_1) | instskip(NEXT) | instid1(VALU_DEP_1)
	v_floor_f32_e32 v3, v3
	v_fmamk_f32 v1, v3, 0xcf800000, v1
	v_cvt_u32_f32_e32 v7, v3
	s_delay_alu instid0(VALU_DEP_2)
	v_cvt_u32_f32_e32 v6, v1
	s_branch .LBB372_630
.LBB372_626:
	s_mov_b32 s28, -1
                                        ; implicit-def: $vgpr6_vgpr7
	s_branch .LBB372_631
.LBB372_627:
	s_and_not1_saveexec_b32 s27, s27
	s_cbranch_execz .LBB372_608
.LBB372_628:
	v_cmp_ne_u16_e32 vcc_lo, 0, v1
	s_and_not1_b32 s28, s28, exec_lo
	s_and_b32 s29, vcc_lo, exec_lo
	s_delay_alu instid0(SALU_CYCLE_1)
	s_or_b32 s28, s28, s29
	s_or_b32 exec_lo, exec_lo, s27
	v_mov_b64_e32 v[6:7], 0
	s_and_saveexec_b32 s27, s28
	s_cbranch_execnz .LBB372_609
	s_branch .LBB372_610
.LBB372_629:
	s_mov_b32 s26, -1
                                        ; implicit-def: $vgpr6_vgpr7
.LBB372_630:
	s_mov_b32 s28, 0
.LBB372_631:
	s_delay_alu instid0(SALU_CYCLE_1)
	s_and_b32 vcc_lo, exec_lo, s28
	s_cbranch_vccz .LBB372_635
; %bb.632:
	s_cmp_eq_u32 s0, 11
	s_cbranch_scc0 .LBB372_634
; %bb.633:
	global_load_u8 v1, v[4:5], off
	s_mov_b32 s26, 0
	s_mov_b32 s27, -1
	s_wait_loadcnt 0x1
	v_mov_b32_e32 v7, s26
	s_wait_loadcnt 0x0
	v_cmp_ne_u16_e32 vcc_lo, 0, v1
	v_cndmask_b32_e64 v6, 0, 1, vcc_lo
	s_branch .LBB372_635
.LBB372_634:
	s_mov_b32 s26, -1
                                        ; implicit-def: $vgpr6_vgpr7
.LBB372_635:
	s_mov_b32 s28, 0
.LBB372_636:
	s_delay_alu instid0(SALU_CYCLE_1)
	s_and_b32 vcc_lo, exec_lo, s28
	s_cbranch_vccz .LBB372_685
; %bb.637:
	s_cmp_lt_i32 s0, 5
	s_cbranch_scc1 .LBB372_642
; %bb.638:
	s_cmp_lt_i32 s0, 8
	s_cbranch_scc1 .LBB372_643
	;; [unrolled: 3-line block ×3, first 2 shown]
; %bb.640:
	s_cmp_gt_i32 s0, 9
	s_cbranch_scc0 .LBB372_645
; %bb.641:
	s_wait_loadcnt 0x0
	global_load_b64 v[6:7], v[4:5], off
	s_mov_b32 s27, 0
	s_wait_loadcnt 0x0
	v_trunc_f64_e32 v[6:7], v[6:7]
	s_delay_alu instid0(VALU_DEP_1) | instskip(NEXT) | instid1(VALU_DEP_1)
	v_ldexp_f64 v[8:9], v[6:7], 0xffffffe0
	v_floor_f64_e32 v[8:9], v[8:9]
	s_delay_alu instid0(VALU_DEP_1) | instskip(SKIP_1) | instid1(VALU_DEP_2)
	v_fmamk_f64 v[10:11], v[8:9], 0xc1f00000, v[6:7]
	v_cvt_u32_f64_e32 v7, v[8:9]
	v_cvt_u32_f64_e32 v6, v[10:11]
	s_branch .LBB372_646
.LBB372_642:
	s_mov_b32 s27, -1
                                        ; implicit-def: $vgpr6_vgpr7
	s_branch .LBB372_664
.LBB372_643:
	s_mov_b32 s27, -1
                                        ; implicit-def: $vgpr6_vgpr7
	s_branch .LBB372_652
.LBB372_644:
	s_mov_b32 s27, -1
                                        ; implicit-def: $vgpr6_vgpr7
	s_branch .LBB372_649
.LBB372_645:
	s_mov_b32 s27, -1
                                        ; implicit-def: $vgpr6_vgpr7
.LBB372_646:
	s_delay_alu instid0(SALU_CYCLE_1)
	s_and_not1_b32 vcc_lo, exec_lo, s27
	s_cbranch_vccnz .LBB372_648
; %bb.647:
	global_load_b32 v1, v[4:5], off
	s_wait_loadcnt 0x0
	v_trunc_f32_e32 v1, v1
	s_delay_alu instid0(VALU_DEP_1) | instskip(NEXT) | instid1(VALU_DEP_1)
	v_mul_f32_e32 v3, 0x2f800000, v1
	v_floor_f32_e32 v3, v3
	s_delay_alu instid0(VALU_DEP_1) | instskip(SKIP_1) | instid1(VALU_DEP_2)
	v_fmamk_f32 v1, v3, 0xcf800000, v1
	v_cvt_u32_f32_e32 v7, v3
	v_cvt_u32_f32_e32 v6, v1
.LBB372_648:
	s_mov_b32 s27, 0
.LBB372_649:
	s_delay_alu instid0(SALU_CYCLE_1)
	s_and_not1_b32 vcc_lo, exec_lo, s27
	s_cbranch_vccnz .LBB372_651
; %bb.650:
	global_load_b32 v1, v[4:5], off
	s_wait_loadcnt 0x1
	v_mov_b32_e32 v7, 0
	s_wait_loadcnt 0x0
	v_cvt_f32_f16_e32 v1, v1
	s_delay_alu instid0(VALU_DEP_1)
	v_cvt_u32_f32_e32 v6, v1
.LBB372_651:
	s_mov_b32 s27, 0
.LBB372_652:
	s_delay_alu instid0(SALU_CYCLE_1)
	s_and_not1_b32 vcc_lo, exec_lo, s27
	s_cbranch_vccnz .LBB372_663
; %bb.653:
	s_cmp_lt_i32 s0, 6
	s_cbranch_scc1 .LBB372_656
; %bb.654:
	s_cmp_gt_i32 s0, 6
	s_cbranch_scc0 .LBB372_657
; %bb.655:
	s_wait_loadcnt 0x0
	global_load_b64 v[6:7], v[4:5], off
	s_mov_b32 s27, 0
	s_wait_loadcnt 0x0
	v_trunc_f64_e32 v[6:7], v[6:7]
	s_delay_alu instid0(VALU_DEP_1) | instskip(NEXT) | instid1(VALU_DEP_1)
	v_ldexp_f64 v[8:9], v[6:7], 0xffffffe0
	v_floor_f64_e32 v[8:9], v[8:9]
	s_delay_alu instid0(VALU_DEP_1) | instskip(SKIP_1) | instid1(VALU_DEP_2)
	v_fmamk_f64 v[10:11], v[8:9], 0xc1f00000, v[6:7]
	v_cvt_u32_f64_e32 v7, v[8:9]
	v_cvt_u32_f64_e32 v6, v[10:11]
	s_branch .LBB372_658
.LBB372_656:
	s_mov_b32 s27, -1
                                        ; implicit-def: $vgpr6_vgpr7
	s_branch .LBB372_661
.LBB372_657:
	s_mov_b32 s27, -1
                                        ; implicit-def: $vgpr6_vgpr7
.LBB372_658:
	s_delay_alu instid0(SALU_CYCLE_1)
	s_and_not1_b32 vcc_lo, exec_lo, s27
	s_cbranch_vccnz .LBB372_660
; %bb.659:
	global_load_b32 v1, v[4:5], off
	s_wait_loadcnt 0x0
	v_trunc_f32_e32 v1, v1
	s_delay_alu instid0(VALU_DEP_1) | instskip(NEXT) | instid1(VALU_DEP_1)
	v_mul_f32_e32 v3, 0x2f800000, v1
	v_floor_f32_e32 v3, v3
	s_delay_alu instid0(VALU_DEP_1) | instskip(SKIP_1) | instid1(VALU_DEP_2)
	v_fmamk_f32 v1, v3, 0xcf800000, v1
	v_cvt_u32_f32_e32 v7, v3
	v_cvt_u32_f32_e32 v6, v1
.LBB372_660:
	s_mov_b32 s27, 0
.LBB372_661:
	s_delay_alu instid0(SALU_CYCLE_1)
	s_and_not1_b32 vcc_lo, exec_lo, s27
	s_cbranch_vccnz .LBB372_663
; %bb.662:
	global_load_u16 v1, v[4:5], off
	s_wait_loadcnt 0x1
	v_mov_b32_e32 v7, 0
	s_wait_loadcnt 0x0
	v_cvt_f32_f16_e32 v1, v1
	s_delay_alu instid0(VALU_DEP_1)
	v_cvt_u32_f32_e32 v6, v1
.LBB372_663:
	s_mov_b32 s27, 0
.LBB372_664:
	s_delay_alu instid0(SALU_CYCLE_1)
	s_and_not1_b32 vcc_lo, exec_lo, s27
	s_cbranch_vccnz .LBB372_684
; %bb.665:
	s_cmp_lt_i32 s0, 2
	s_cbranch_scc1 .LBB372_669
; %bb.666:
	s_cmp_lt_i32 s0, 3
	s_cbranch_scc1 .LBB372_670
; %bb.667:
	s_cmp_gt_i32 s0, 3
	s_cbranch_scc0 .LBB372_671
; %bb.668:
	s_wait_loadcnt 0x0
	global_load_b64 v[6:7], v[4:5], off
	s_mov_b32 s27, 0
	s_branch .LBB372_672
.LBB372_669:
	s_mov_b32 s27, -1
                                        ; implicit-def: $vgpr6_vgpr7
	s_branch .LBB372_678
.LBB372_670:
	s_mov_b32 s27, -1
                                        ; implicit-def: $vgpr6_vgpr7
	s_branch .LBB372_675
.LBB372_671:
	s_mov_b32 s27, -1
                                        ; implicit-def: $vgpr6_vgpr7
.LBB372_672:
	s_delay_alu instid0(SALU_CYCLE_1)
	s_and_not1_b32 vcc_lo, exec_lo, s27
	s_cbranch_vccnz .LBB372_674
; %bb.673:
	s_wait_loadcnt 0x0
	global_load_b32 v6, v[4:5], off
	s_wait_loadcnt 0x0
	v_ashrrev_i32_e32 v7, 31, v6
.LBB372_674:
	s_mov_b32 s27, 0
.LBB372_675:
	s_delay_alu instid0(SALU_CYCLE_1)
	s_and_not1_b32 vcc_lo, exec_lo, s27
	s_cbranch_vccnz .LBB372_677
; %bb.676:
	global_load_u16 v1, v[4:5], off
	s_wait_loadcnt 0x0
	v_bfe_i32 v6, v1, 0, 16
	s_delay_alu instid0(VALU_DEP_1)
	v_ashrrev_i32_e32 v7, 31, v6
.LBB372_677:
	s_mov_b32 s27, 0
.LBB372_678:
	s_delay_alu instid0(SALU_CYCLE_1)
	s_and_not1_b32 vcc_lo, exec_lo, s27
	s_cbranch_vccnz .LBB372_684
; %bb.679:
	s_cmp_gt_i32 s0, 0
	s_mov_b32 s0, 0
	s_cbranch_scc0 .LBB372_681
; %bb.680:
	global_load_i8 v1, v[4:5], off
	s_wait_loadcnt 0x0
	v_bfe_i32 v6, v1, 0, 16
	s_delay_alu instid0(VALU_DEP_1)
	v_ashrrev_i32_e32 v7, 31, v6
	s_branch .LBB372_682
.LBB372_681:
	s_mov_b32 s0, -1
                                        ; implicit-def: $vgpr6_vgpr7
.LBB372_682:
	s_delay_alu instid0(SALU_CYCLE_1)
	s_and_not1_b32 vcc_lo, exec_lo, s0
	s_cbranch_vccnz .LBB372_684
; %bb.683:
	global_load_u8 v1, v[4:5], off
	s_mov_b32 s0, 0
	s_wait_loadcnt 0x1
	v_mov_b32_e32 v7, s0
	s_wait_loadcnt 0x0
	v_and_b32_e32 v6, 0xffff, v1
.LBB372_684:
	s_mov_b32 s27, -1
.LBB372_685:
	s_delay_alu instid0(SALU_CYCLE_1)
	s_and_not1_b32 vcc_lo, exec_lo, s27
	s_cbranch_vccnz .LBB372_693
; %bb.686:
	v_mov_b32_e32 v3, 0
	s_wait_loadcnt 0x0
	s_delay_alu instid0(VALU_DEP_2) | instskip(SKIP_1) | instid1(VALU_DEP_2)
	v_cmp_ne_u64_e32 vcc_lo, s[16:17], v[6:7]
	s_and_b32 s28, s18, 0xff
	v_add_nc_u64_e32 v[2:3], s[4:5], v[2:3]
	s_xor_b32 s27, s9, vcc_lo
	s_cmp_lt_i32 s28, 11
	s_cbranch_scc1 .LBB372_694
; %bb.687:
	s_and_b32 s29, 0xffff, s28
	s_delay_alu instid0(SALU_CYCLE_1)
	s_cmp_gt_i32 s29, 25
	s_cbranch_scc0 .LBB372_695
; %bb.688:
	s_cmp_gt_i32 s29, 28
	s_cbranch_scc0 .LBB372_696
; %bb.689:
	;; [unrolled: 3-line block ×4, first 2 shown]
	s_mov_b32 s31, 0
	s_mov_b32 s0, -1
	s_cmp_eq_u32 s29, 46
	s_mov_b32 s30, 0
	s_cbranch_scc0 .LBB372_699
; %bb.692:
	v_cndmask_b32_e64 v1, 0, 1.0, s27
	s_mov_b32 s30, -1
	s_mov_b32 s0, 0
	s_wait_xcnt 0x0
	s_delay_alu instid0(VALU_DEP_1) | instskip(NEXT) | instid1(VALU_DEP_1)
	v_bfe_u32 v4, v1, 16, 1
	v_add3_u32 v1, v1, v4, 0x7fff
	s_delay_alu instid0(VALU_DEP_1)
	v_lshrrev_b32_e32 v1, 16, v1
	global_store_b32 v[2:3], v1, off
	s_branch .LBB372_699
.LBB372_693:
	s_mov_b32 s27, 0
	s_mov_b32 s0, s46
	s_branch .LBB372_810
.LBB372_694:
	s_mov_b32 s29, -1
	s_mov_b32 s30, 0
	s_mov_b32 s0, s46
	s_branch .LBB372_768
.LBB372_695:
	s_mov_b32 s31, -1
	s_mov_b32 s30, 0
	s_mov_b32 s0, s46
	s_branch .LBB372_726
.LBB372_696:
	s_mov_b32 s31, -1
	s_mov_b32 s30, 0
	s_mov_b32 s0, s46
	s_branch .LBB372_709
.LBB372_697:
	s_mov_b32 s31, -1
	s_mov_b32 s30, 0
	s_mov_b32 s0, s46
	s_branch .LBB372_705
.LBB372_698:
	s_mov_b32 s31, -1
	s_mov_b32 s30, 0
	s_mov_b32 s0, s46
.LBB372_699:
	s_and_b32 vcc_lo, exec_lo, s31
	s_cbranch_vccz .LBB372_704
; %bb.700:
	s_cmp_eq_u32 s29, 44
	s_mov_b32 s0, -1
	s_cbranch_scc0 .LBB372_704
; %bb.701:
	s_wait_xcnt 0x0
	v_cndmask_b32_e64 v5, 0, 1.0, s27
	s_mov_b32 s30, exec_lo
	s_delay_alu instid0(VALU_DEP_1) | instskip(NEXT) | instid1(VALU_DEP_1)
	v_dual_mov_b32 v4, 0xff :: v_dual_lshrrev_b32 v1, 23, v5
	v_cmpx_ne_u32_e32 0xff, v1
; %bb.702:
	v_and_b32_e32 v4, 0x400000, v5
	v_and_or_b32 v5, 0x3fffff, v5, v1
	s_delay_alu instid0(VALU_DEP_2) | instskip(NEXT) | instid1(VALU_DEP_2)
	v_cmp_ne_u32_e32 vcc_lo, 0, v4
	v_cmp_ne_u32_e64 s0, 0, v5
	s_and_b32 s0, vcc_lo, s0
	s_delay_alu instid0(SALU_CYCLE_1) | instskip(NEXT) | instid1(VALU_DEP_1)
	v_cndmask_b32_e64 v4, 0, 1, s0
	v_add_nc_u32_e32 v4, v1, v4
; %bb.703:
	s_or_b32 exec_lo, exec_lo, s30
	s_mov_b32 s30, -1
	s_mov_b32 s0, 0
	global_store_b8 v[2:3], v4, off
.LBB372_704:
	s_mov_b32 s31, 0
.LBB372_705:
	s_delay_alu instid0(SALU_CYCLE_1)
	s_and_b32 vcc_lo, exec_lo, s31
	s_cbranch_vccz .LBB372_708
; %bb.706:
	s_cmp_eq_u32 s29, 29
	s_mov_b32 s0, -1
	s_cbranch_scc0 .LBB372_708
; %bb.707:
	s_mov_b32 s0, 0
	s_wait_xcnt 0x0
	v_cndmask_b32_e64 v4, 0, 1, s27
	v_mov_b32_e32 v5, s0
	s_mov_b32 s30, -1
	s_mov_b32 s31, 0
	global_store_b64 v[2:3], v[4:5], off
	s_branch .LBB372_709
.LBB372_708:
	s_mov_b32 s31, 0
.LBB372_709:
	s_delay_alu instid0(SALU_CYCLE_1)
	s_and_b32 vcc_lo, exec_lo, s31
	s_cbranch_vccz .LBB372_725
; %bb.710:
	s_cmp_lt_i32 s29, 27
	s_mov_b32 s30, -1
	s_cbranch_scc1 .LBB372_716
; %bb.711:
	s_cmp_gt_i32 s29, 27
	s_cbranch_scc0 .LBB372_713
; %bb.712:
	s_wait_xcnt 0x0
	v_cndmask_b32_e64 v1, 0, 1, s27
	s_mov_b32 s30, 0
	global_store_b32 v[2:3], v1, off
.LBB372_713:
	s_and_not1_b32 vcc_lo, exec_lo, s30
	s_cbranch_vccnz .LBB372_715
; %bb.714:
	s_wait_xcnt 0x0
	v_cndmask_b32_e64 v1, 0, 1, s27
	global_store_b16 v[2:3], v1, off
.LBB372_715:
	s_mov_b32 s30, 0
.LBB372_716:
	s_delay_alu instid0(SALU_CYCLE_1)
	s_and_not1_b32 vcc_lo, exec_lo, s30
	s_cbranch_vccnz .LBB372_724
; %bb.717:
	s_wait_xcnt 0x0
	v_cndmask_b32_e64 v4, 0, 1.0, s27
	v_mov_b32_e32 v5, 0x80
	s_mov_b32 s30, exec_lo
	s_delay_alu instid0(VALU_DEP_2)
	v_cmpx_gt_u32_e32 0x43800000, v4
	s_cbranch_execz .LBB372_723
; %bb.718:
	s_mov_b32 s31, 0
	s_mov_b32 s49, exec_lo
                                        ; implicit-def: $vgpr1
	v_cmpx_lt_u32_e32 0x3bffffff, v4
	s_xor_b32 s49, exec_lo, s49
	s_cbranch_execz .LBB372_842
; %bb.719:
	v_bfe_u32 v1, v4, 20, 1
	s_mov_b32 s31, exec_lo
	s_delay_alu instid0(VALU_DEP_1) | instskip(NEXT) | instid1(VALU_DEP_1)
	v_add3_u32 v1, v4, v1, 0x487ffff
                                        ; implicit-def: $vgpr4
	v_lshrrev_b32_e32 v1, 20, v1
	s_and_not1_saveexec_b32 s49, s49
	s_cbranch_execnz .LBB372_843
.LBB372_720:
	s_or_b32 exec_lo, exec_lo, s49
	v_mov_b32_e32 v5, 0
	s_and_saveexec_b32 s49, s31
.LBB372_721:
	v_mov_b32_e32 v5, v1
.LBB372_722:
	s_or_b32 exec_lo, exec_lo, s49
.LBB372_723:
	s_delay_alu instid0(SALU_CYCLE_1)
	s_or_b32 exec_lo, exec_lo, s30
	global_store_b8 v[2:3], v5, off
.LBB372_724:
	s_mov_b32 s30, -1
.LBB372_725:
	s_mov_b32 s31, 0
.LBB372_726:
	s_delay_alu instid0(SALU_CYCLE_1)
	s_and_b32 vcc_lo, exec_lo, s31
	s_cbranch_vccz .LBB372_767
; %bb.727:
	s_cmp_gt_i32 s29, 22
	s_mov_b32 s31, -1
	s_cbranch_scc0 .LBB372_759
; %bb.728:
	s_cmp_lt_i32 s29, 24
	s_mov_b32 s30, -1
	s_cbranch_scc1 .LBB372_748
; %bb.729:
	s_cmp_gt_i32 s29, 24
	s_cbranch_scc0 .LBB372_737
; %bb.730:
	s_wait_xcnt 0x0
	v_cndmask_b32_e64 v4, 0, 1.0, s27
	v_mov_b32_e32 v5, 0x80
	s_mov_b32 s30, exec_lo
	s_delay_alu instid0(VALU_DEP_2)
	v_cmpx_gt_u32_e32 0x47800000, v4
	s_cbranch_execz .LBB372_736
; %bb.731:
	s_mov_b32 s31, 0
	s_mov_b32 s49, exec_lo
                                        ; implicit-def: $vgpr1
	v_cmpx_lt_u32_e32 0x37ffffff, v4
	s_xor_b32 s49, exec_lo, s49
	s_cbranch_execz .LBB372_845
; %bb.732:
	v_bfe_u32 v1, v4, 21, 1
	s_mov_b32 s31, exec_lo
	s_delay_alu instid0(VALU_DEP_1) | instskip(NEXT) | instid1(VALU_DEP_1)
	v_add3_u32 v1, v4, v1, 0x88fffff
                                        ; implicit-def: $vgpr4
	v_lshrrev_b32_e32 v1, 21, v1
	s_and_not1_saveexec_b32 s49, s49
	s_cbranch_execnz .LBB372_846
.LBB372_733:
	s_or_b32 exec_lo, exec_lo, s49
	v_mov_b32_e32 v5, 0
	s_and_saveexec_b32 s49, s31
.LBB372_734:
	v_mov_b32_e32 v5, v1
.LBB372_735:
	s_or_b32 exec_lo, exec_lo, s49
.LBB372_736:
	s_delay_alu instid0(SALU_CYCLE_1)
	s_or_b32 exec_lo, exec_lo, s30
	s_mov_b32 s30, 0
	global_store_b8 v[2:3], v5, off
.LBB372_737:
	s_and_b32 vcc_lo, exec_lo, s30
	s_cbranch_vccz .LBB372_747
; %bb.738:
	s_wait_xcnt 0x0
	v_cndmask_b32_e64 v4, 0, 1.0, s27
	s_mov_b32 s30, exec_lo
                                        ; implicit-def: $vgpr1
	s_delay_alu instid0(VALU_DEP_1)
	v_cmpx_gt_u32_e32 0x43f00000, v4
	s_xor_b32 s30, exec_lo, s30
	s_cbranch_execz .LBB372_744
; %bb.739:
	s_mov_b32 s31, exec_lo
                                        ; implicit-def: $vgpr1
	v_cmpx_lt_u32_e32 0x3c7fffff, v4
	s_xor_b32 s31, exec_lo, s31
; %bb.740:
	v_bfe_u32 v1, v4, 20, 1
	s_delay_alu instid0(VALU_DEP_1) | instskip(NEXT) | instid1(VALU_DEP_1)
	v_add3_u32 v1, v4, v1, 0x407ffff
	v_and_b32_e32 v4, 0xff00000, v1
	v_lshrrev_b32_e32 v1, 20, v1
	s_delay_alu instid0(VALU_DEP_2) | instskip(NEXT) | instid1(VALU_DEP_2)
	v_cmp_ne_u32_e32 vcc_lo, 0x7f00000, v4
                                        ; implicit-def: $vgpr4
	v_cndmask_b32_e32 v1, 0x7e, v1, vcc_lo
; %bb.741:
	s_and_not1_saveexec_b32 s31, s31
; %bb.742:
	v_add_f32_e32 v1, 0x46800000, v4
; %bb.743:
	s_or_b32 exec_lo, exec_lo, s31
                                        ; implicit-def: $vgpr4
.LBB372_744:
	s_and_not1_saveexec_b32 s30, s30
; %bb.745:
	v_mov_b32_e32 v1, 0x7f
	v_cmp_lt_u32_e32 vcc_lo, 0x7f800000, v4
	s_delay_alu instid0(VALU_DEP_2)
	v_cndmask_b32_e32 v1, 0x7e, v1, vcc_lo
; %bb.746:
	s_or_b32 exec_lo, exec_lo, s30
	global_store_b8 v[2:3], v1, off
.LBB372_747:
	s_mov_b32 s30, 0
.LBB372_748:
	s_delay_alu instid0(SALU_CYCLE_1)
	s_and_not1_b32 vcc_lo, exec_lo, s30
	s_cbranch_vccnz .LBB372_758
; %bb.749:
	s_wait_xcnt 0x0
	v_cndmask_b32_e64 v4, 0, 1.0, s27
	s_mov_b32 s30, exec_lo
                                        ; implicit-def: $vgpr1
	s_delay_alu instid0(VALU_DEP_1)
	v_cmpx_gt_u32_e32 0x47800000, v4
	s_xor_b32 s30, exec_lo, s30
	s_cbranch_execz .LBB372_755
; %bb.750:
	s_mov_b32 s31, exec_lo
                                        ; implicit-def: $vgpr1
	v_cmpx_lt_u32_e32 0x387fffff, v4
	s_xor_b32 s31, exec_lo, s31
; %bb.751:
	v_bfe_u32 v1, v4, 21, 1
	s_delay_alu instid0(VALU_DEP_1) | instskip(NEXT) | instid1(VALU_DEP_1)
	v_add3_u32 v1, v4, v1, 0x80fffff
                                        ; implicit-def: $vgpr4
	v_lshrrev_b32_e32 v1, 21, v1
; %bb.752:
	s_and_not1_saveexec_b32 s31, s31
; %bb.753:
	v_add_f32_e32 v1, 0x43000000, v4
; %bb.754:
	s_or_b32 exec_lo, exec_lo, s31
                                        ; implicit-def: $vgpr4
.LBB372_755:
	s_and_not1_saveexec_b32 s30, s30
; %bb.756:
	v_mov_b32_e32 v1, 0x7f
	v_cmp_lt_u32_e32 vcc_lo, 0x7f800000, v4
	s_delay_alu instid0(VALU_DEP_2)
	v_cndmask_b32_e32 v1, 0x7c, v1, vcc_lo
; %bb.757:
	s_or_b32 exec_lo, exec_lo, s30
	global_store_b8 v[2:3], v1, off
.LBB372_758:
	s_mov_b32 s31, 0
	s_mov_b32 s30, -1
.LBB372_759:
	s_and_not1_b32 vcc_lo, exec_lo, s31
	s_cbranch_vccnz .LBB372_767
; %bb.760:
	s_cmp_gt_i32 s29, 14
	s_mov_b32 s31, -1
	s_cbranch_scc0 .LBB372_764
; %bb.761:
	s_cmp_eq_u32 s29, 15
	s_mov_b32 s0, -1
	s_cbranch_scc0 .LBB372_763
; %bb.762:
	s_wait_xcnt 0x0
	v_cndmask_b32_e64 v1, 0, 1.0, s27
	s_mov_b32 s30, -1
	s_mov_b32 s0, 0
	s_delay_alu instid0(VALU_DEP_1) | instskip(NEXT) | instid1(VALU_DEP_1)
	v_bfe_u32 v4, v1, 16, 1
	v_add3_u32 v1, v1, v4, 0x7fff
	global_store_d16_hi_b16 v[2:3], v1, off
.LBB372_763:
	s_mov_b32 s31, 0
.LBB372_764:
	s_delay_alu instid0(SALU_CYCLE_1)
	s_and_b32 vcc_lo, exec_lo, s31
	s_cbranch_vccz .LBB372_767
; %bb.765:
	s_cmp_eq_u32 s29, 11
	s_mov_b32 s0, -1
	s_cbranch_scc0 .LBB372_767
; %bb.766:
	s_wait_xcnt 0x0
	v_cndmask_b32_e64 v1, 0, 1, s27
	s_mov_b32 s30, -1
	s_mov_b32 s0, 0
	global_store_b8 v[2:3], v1, off
.LBB372_767:
	s_mov_b32 s29, 0
.LBB372_768:
	s_delay_alu instid0(SALU_CYCLE_1)
	s_and_b32 vcc_lo, exec_lo, s29
	s_cbranch_vccz .LBB372_807
; %bb.769:
	s_and_b32 s28, 0xffff, s28
	s_mov_b32 s29, -1
	s_cmp_lt_i32 s28, 5
	s_cbranch_scc1 .LBB372_790
; %bb.770:
	s_cmp_lt_i32 s28, 8
	s_cbranch_scc1 .LBB372_780
; %bb.771:
	;; [unrolled: 3-line block ×3, first 2 shown]
	s_cmp_gt_i32 s28, 9
	s_cbranch_scc0 .LBB372_774
; %bb.773:
	s_wait_xcnt 0x0
	v_cndmask_b32_e64 v1, 0, 1, s27
	v_mov_b32_e32 v6, 0
	s_mov_b32 s29, 0
	s_delay_alu instid0(VALU_DEP_2) | instskip(NEXT) | instid1(VALU_DEP_2)
	v_cvt_f64_u32_e32 v[4:5], v1
	v_mov_b32_e32 v7, v6
	global_store_b128 v[2:3], v[4:7], off
.LBB372_774:
	s_and_not1_b32 vcc_lo, exec_lo, s29
	s_cbranch_vccnz .LBB372_776
; %bb.775:
	s_wait_xcnt 0x0
	v_cndmask_b32_e64 v4, 0, 1.0, s27
	v_mov_b32_e32 v5, 0
	global_store_b64 v[2:3], v[4:5], off
.LBB372_776:
	s_mov_b32 s29, 0
.LBB372_777:
	s_delay_alu instid0(SALU_CYCLE_1)
	s_and_not1_b32 vcc_lo, exec_lo, s29
	s_cbranch_vccnz .LBB372_779
; %bb.778:
	s_wait_xcnt 0x0
	v_cndmask_b32_e64 v1, 0, 1.0, s27
	s_delay_alu instid0(VALU_DEP_1) | instskip(NEXT) | instid1(VALU_DEP_1)
	v_cvt_f16_f32_e32 v1, v1
	v_and_b32_e32 v1, 0xffff, v1
	global_store_b32 v[2:3], v1, off
.LBB372_779:
	s_mov_b32 s29, 0
.LBB372_780:
	s_delay_alu instid0(SALU_CYCLE_1)
	s_and_not1_b32 vcc_lo, exec_lo, s29
	s_cbranch_vccnz .LBB372_789
; %bb.781:
	s_cmp_lt_i32 s28, 6
	s_mov_b32 s29, -1
	s_cbranch_scc1 .LBB372_787
; %bb.782:
	s_cmp_gt_i32 s28, 6
	s_cbranch_scc0 .LBB372_784
; %bb.783:
	s_wait_xcnt 0x0
	v_cndmask_b32_e64 v1, 0, 1, s27
	s_mov_b32 s29, 0
	s_delay_alu instid0(VALU_DEP_1)
	v_cvt_f64_u32_e32 v[4:5], v1
	global_store_b64 v[2:3], v[4:5], off
.LBB372_784:
	s_and_not1_b32 vcc_lo, exec_lo, s29
	s_cbranch_vccnz .LBB372_786
; %bb.785:
	s_wait_xcnt 0x0
	v_cndmask_b32_e64 v1, 0, 1.0, s27
	global_store_b32 v[2:3], v1, off
.LBB372_786:
	s_mov_b32 s29, 0
.LBB372_787:
	s_delay_alu instid0(SALU_CYCLE_1)
	s_and_not1_b32 vcc_lo, exec_lo, s29
	s_cbranch_vccnz .LBB372_789
; %bb.788:
	s_wait_xcnt 0x0
	v_cndmask_b32_e64 v1, 0, 1.0, s27
	s_delay_alu instid0(VALU_DEP_1)
	v_cvt_f16_f32_e32 v1, v1
	global_store_b16 v[2:3], v1, off
.LBB372_789:
	s_mov_b32 s29, 0
.LBB372_790:
	s_delay_alu instid0(SALU_CYCLE_1)
	s_and_not1_b32 vcc_lo, exec_lo, s29
	s_cbranch_vccnz .LBB372_806
; %bb.791:
	s_cmp_lt_i32 s28, 2
	s_mov_b32 s29, -1
	s_cbranch_scc1 .LBB372_801
; %bb.792:
	s_cmp_lt_i32 s28, 3
	s_cbranch_scc1 .LBB372_798
; %bb.793:
	s_cmp_gt_i32 s28, 3
	s_cbranch_scc0 .LBB372_795
; %bb.794:
	s_mov_b32 s29, 0
	s_wait_xcnt 0x0
	v_cndmask_b32_e64 v4, 0, 1, s27
	v_mov_b32_e32 v5, s29
	global_store_b64 v[2:3], v[4:5], off
.LBB372_795:
	s_and_not1_b32 vcc_lo, exec_lo, s29
	s_cbranch_vccnz .LBB372_797
; %bb.796:
	s_wait_xcnt 0x0
	v_cndmask_b32_e64 v1, 0, 1, s27
	global_store_b32 v[2:3], v1, off
.LBB372_797:
	s_mov_b32 s29, 0
.LBB372_798:
	s_delay_alu instid0(SALU_CYCLE_1)
	s_and_not1_b32 vcc_lo, exec_lo, s29
	s_cbranch_vccnz .LBB372_800
; %bb.799:
	s_wait_xcnt 0x0
	v_cndmask_b32_e64 v1, 0, 1, s27
	global_store_b16 v[2:3], v1, off
.LBB372_800:
	s_mov_b32 s29, 0
.LBB372_801:
	s_delay_alu instid0(SALU_CYCLE_1)
	s_and_not1_b32 vcc_lo, exec_lo, s29
	s_cbranch_vccnz .LBB372_806
; %bb.802:
	s_wait_xcnt 0x0
	v_cndmask_b32_e64 v1, 0, 1, s27
	s_cmp_gt_i32 s28, 0
	s_mov_b32 s27, -1
	s_cbranch_scc0 .LBB372_804
; %bb.803:
	s_mov_b32 s27, 0
	global_store_b8 v[2:3], v1, off
.LBB372_804:
	s_and_not1_b32 vcc_lo, exec_lo, s27
	s_cbranch_vccnz .LBB372_806
; %bb.805:
	global_store_b8 v[2:3], v1, off
.LBB372_806:
	s_mov_b32 s30, -1
.LBB372_807:
	s_delay_alu instid0(SALU_CYCLE_1)
	s_and_not1_b32 vcc_lo, exec_lo, s30
	s_cbranch_vccnz .LBB372_809
; %bb.808:
	v_add_nc_u32_e32 v0, 0x80, v0
	s_mov_b32 s27, -1
	s_branch .LBB372_811
.LBB372_809:
	s_mov_b32 s27, 0
.LBB372_810:
                                        ; implicit-def: $vgpr0
.LBB372_811:
	s_and_not1_b32 s28, s46, exec_lo
	s_and_b32 s0, s0, exec_lo
	s_and_not1_b32 s29, s45, exec_lo
	s_and_b32 s26, s26, exec_lo
	s_or_b32 s30, s28, s0
	s_or_b32 s0, s29, s26
	s_or_not1_b32 s29, s27, exec_lo
.LBB372_812:
	s_wait_xcnt 0x0
	s_or_b32 exec_lo, exec_lo, s48
	s_mov_b32 s27, 0
	s_mov_b32 s26, 0
	;; [unrolled: 1-line block ×3, first 2 shown]
                                        ; implicit-def: $vgpr4_vgpr5
                                        ; implicit-def: $vgpr2
                                        ; implicit-def: $vgpr6_vgpr7
	s_and_saveexec_b32 s31, s29
	s_cbranch_execz .LBB372_910
; %bb.813:
	v_cmp_gt_i32_e32 vcc_lo, s39, v0
	s_mov_b32 s29, s0
                                        ; implicit-def: $vgpr4_vgpr5
                                        ; implicit-def: $vgpr2
                                        ; implicit-def: $vgpr6_vgpr7
	s_and_saveexec_b32 s39, vcc_lo
	s_cbranch_execz .LBB372_909
; %bb.814:
	s_and_not1_b32 vcc_lo, exec_lo, s35
	s_cbranch_vccnz .LBB372_820
; %bb.815:
	s_and_not1_b32 vcc_lo, exec_lo, s41
	s_cbranch_vccnz .LBB372_821
; %bb.816:
	s_add_co_i32 s40, s40, 1
	s_cmp_eq_u32 s33, 2
	s_cbranch_scc1 .LBB372_822
; %bb.817:
	v_dual_mov_b32 v2, 0 :: v_dual_mov_b32 v4, 0
	v_mov_b32_e32 v1, v0
	s_and_b32 s26, s40, 28
	s_mov_b64 s[28:29], s[2:3]
.LBB372_818:                            ; =>This Inner Loop Header: Depth=1
	s_clause 0x1
	s_load_b256 s[48:55], s[28:29], 0x4
	s_load_b128 s[64:67], s[28:29], 0x24
	s_load_b256 s[56:63], s[24:25], 0x0
	s_add_co_i32 s27, s27, 4
	s_wait_xcnt 0x0
	s_add_nc_u64 s[28:29], s[28:29], 48
	s_cmp_eq_u32 s26, s27
	s_add_nc_u64 s[24:25], s[24:25], 32
	s_wait_kmcnt 0x0
	v_mul_hi_u32 v3, s49, v1
	s_delay_alu instid0(VALU_DEP_1) | instskip(NEXT) | instid1(VALU_DEP_1)
	v_add_nc_u32_e32 v3, v1, v3
	v_lshrrev_b32_e32 v3, s50, v3
	s_delay_alu instid0(VALU_DEP_1) | instskip(NEXT) | instid1(VALU_DEP_1)
	v_mul_hi_u32 v5, s52, v3
	v_add_nc_u32_e32 v5, v3, v5
	s_delay_alu instid0(VALU_DEP_1) | instskip(SKIP_1) | instid1(VALU_DEP_1)
	v_lshrrev_b32_e32 v5, s53, v5
	s_wait_loadcnt 0x0
	v_mul_hi_u32 v6, s55, v5
	s_delay_alu instid0(VALU_DEP_1) | instskip(SKIP_1) | instid1(VALU_DEP_1)
	v_add_nc_u32_e32 v6, v5, v6
	v_mul_lo_u32 v7, v3, s48
	v_sub_nc_u32_e32 v1, v1, v7
	v_mul_lo_u32 v7, v5, s51
	s_delay_alu instid0(VALU_DEP_4) | instskip(NEXT) | instid1(VALU_DEP_3)
	v_lshrrev_b32_e32 v6, s64, v6
	v_mad_u32 v4, v1, s57, v4
	v_mad_u32 v1, v1, s56, v2
	s_delay_alu instid0(VALU_DEP_4) | instskip(NEXT) | instid1(VALU_DEP_4)
	v_sub_nc_u32_e32 v2, v3, v7
	v_mul_hi_u32 v8, s66, v6
	v_mul_lo_u32 v3, v6, s54
	s_delay_alu instid0(VALU_DEP_3) | instskip(SKIP_1) | instid1(VALU_DEP_3)
	v_mad_u32 v4, v2, s59, v4
	v_mad_u32 v2, v2, s58, v1
	v_dual_add_nc_u32 v7, v6, v8 :: v_dual_sub_nc_u32 v3, v5, v3
	s_delay_alu instid0(VALU_DEP_1) | instskip(NEXT) | instid1(VALU_DEP_2)
	v_lshrrev_b32_e32 v1, s67, v7
	v_mad_u32 v4, v3, s61, v4
	s_delay_alu instid0(VALU_DEP_4) | instskip(NEXT) | instid1(VALU_DEP_3)
	v_mad_u32 v2, v3, s60, v2
	v_mul_lo_u32 v5, v1, s65
	s_delay_alu instid0(VALU_DEP_1) | instskip(NEXT) | instid1(VALU_DEP_1)
	v_sub_nc_u32_e32 v3, v6, v5
	v_mad_u32 v4, v3, s63, v4
	s_delay_alu instid0(VALU_DEP_4)
	v_mad_u32 v2, v3, s62, v2
	s_cbranch_scc0 .LBB372_818
; %bb.819:
	s_delay_alu instid0(VALU_DEP_2)
	v_mov_b32_e32 v3, v4
	s_branch .LBB372_823
.LBB372_820:
	s_mov_b32 s24, -1
                                        ; implicit-def: $vgpr4
                                        ; implicit-def: $vgpr2
	s_branch .LBB372_828
.LBB372_821:
	v_dual_mov_b32 v4, 0 :: v_dual_mov_b32 v2, 0
	s_branch .LBB372_827
.LBB372_822:
	v_mov_b64_e32 v[2:3], 0
	v_mov_b32_e32 v1, v0
                                        ; implicit-def: $vgpr4
.LBB372_823:
	s_and_b32 s28, s40, 3
	s_mov_b32 s27, 0
	s_cmp_eq_u32 s28, 0
	s_cbranch_scc1 .LBB372_827
; %bb.824:
	s_lshl_b32 s24, s26, 3
	s_mov_b32 s25, s27
	s_mul_u64 s[26:27], s[26:27], 12
	s_add_nc_u64 s[24:25], s[2:3], s[24:25]
	s_add_nc_u64 s[26:27], s[2:3], s[26:27]
	;; [unrolled: 1-line block ×3, first 2 shown]
.LBB372_825:                            ; =>This Inner Loop Header: Depth=1
	s_load_b96 s[48:50], s[26:27], 0x4
	s_load_b64 s[40:41], s[24:25], 0x0
	s_add_co_i32 s28, s28, -1
	s_wait_xcnt 0x0
	s_add_nc_u64 s[26:27], s[26:27], 12
	s_cmp_lg_u32 s28, 0
	s_add_nc_u64 s[24:25], s[24:25], 8
	s_wait_kmcnt 0x0
	v_mul_hi_u32 v4, s49, v1
	s_delay_alu instid0(VALU_DEP_1) | instskip(NEXT) | instid1(VALU_DEP_1)
	v_add_nc_u32_e32 v4, v1, v4
	v_lshrrev_b32_e32 v4, s50, v4
	s_delay_alu instid0(VALU_DEP_1) | instskip(NEXT) | instid1(VALU_DEP_1)
	v_mul_lo_u32 v5, v4, s48
	v_sub_nc_u32_e32 v1, v1, v5
	s_delay_alu instid0(VALU_DEP_1)
	v_mad_u32 v3, v1, s41, v3
	v_mad_u32 v2, v1, s40, v2
	v_mov_b32_e32 v1, v4
	s_cbranch_scc1 .LBB372_825
; %bb.826:
	s_delay_alu instid0(VALU_DEP_3)
	v_mov_b32_e32 v4, v3
.LBB372_827:
	s_mov_b32 s24, 0
.LBB372_828:
	s_delay_alu instid0(SALU_CYCLE_1)
	s_and_not1_b32 vcc_lo, exec_lo, s24
	s_cbranch_vccnz .LBB372_831
; %bb.829:
	v_mov_b32_e32 v1, 0
	s_and_not1_b32 vcc_lo, exec_lo, s38
	s_delay_alu instid0(VALU_DEP_1) | instskip(NEXT) | instid1(VALU_DEP_1)
	v_mul_u64_e32 v[2:3], s[20:21], v[0:1]
	v_add_nc_u32_e32 v2, v0, v3
	s_wait_loadcnt 0x0
	s_delay_alu instid0(VALU_DEP_1) | instskip(NEXT) | instid1(VALU_DEP_1)
	v_lshrrev_b32_e32 v6, s10, v2
	v_mul_lo_u32 v2, v6, s8
	s_delay_alu instid0(VALU_DEP_1) | instskip(NEXT) | instid1(VALU_DEP_1)
	v_sub_nc_u32_e32 v0, v0, v2
	v_mul_lo_u32 v4, v0, s13
	v_mul_lo_u32 v2, v0, s12
	s_cbranch_vccnz .LBB372_831
; %bb.830:
	v_mov_b32_e32 v7, v1
	s_delay_alu instid0(VALU_DEP_1) | instskip(NEXT) | instid1(VALU_DEP_1)
	v_mul_u64_e32 v[0:1], s[22:23], v[6:7]
	v_add_nc_u32_e32 v0, v6, v1
	s_delay_alu instid0(VALU_DEP_1) | instskip(NEXT) | instid1(VALU_DEP_1)
	v_lshrrev_b32_e32 v0, s1, v0
	v_mul_lo_u32 v0, v0, s11
	s_delay_alu instid0(VALU_DEP_1) | instskip(NEXT) | instid1(VALU_DEP_1)
	v_sub_nc_u32_e32 v0, v6, v0
	v_mad_u32 v2, v0, s14, v2
	v_mad_u32 v4, v0, s15, v4
.LBB372_831:
	v_mov_b32_e32 v5, 0
	s_and_b32 s1, 0xffff, s37
	s_delay_alu instid0(SALU_CYCLE_1) | instskip(NEXT) | instid1(VALU_DEP_1)
	s_cmp_lt_i32 s1, 11
	v_add_nc_u64_e32 v[4:5], s[6:7], v[4:5]
	s_cbranch_scc1 .LBB372_838
; %bb.832:
	s_cmp_gt_i32 s1, 25
	s_mov_b32 s7, 0
	s_cbranch_scc0 .LBB372_839
; %bb.833:
	s_cmp_gt_i32 s1, 28
	s_cbranch_scc0 .LBB372_840
; %bb.834:
	s_cmp_gt_i32 s1, 43
	;; [unrolled: 3-line block ×3, first 2 shown]
	s_cbranch_scc0 .LBB372_844
; %bb.836:
	s_cmp_eq_u32 s1, 46
	s_mov_b32 s10, 0
	s_cbranch_scc0 .LBB372_847
; %bb.837:
	global_load_b32 v0, v[4:5], off
	s_mov_b32 s6, 0
	s_mov_b32 s8, -1
	s_wait_loadcnt 0x0
	v_lshlrev_b32_e32 v0, 16, v0
	s_delay_alu instid0(VALU_DEP_1) | instskip(NEXT) | instid1(VALU_DEP_1)
	v_trunc_f32_e32 v0, v0
	v_mul_f32_e32 v1, 0x2f800000, v0
	s_delay_alu instid0(VALU_DEP_1) | instskip(NEXT) | instid1(VALU_DEP_1)
	v_floor_f32_e32 v1, v1
	v_fmamk_f32 v0, v1, 0xcf800000, v0
	v_cvt_u32_f32_e32 v7, v1
	s_delay_alu instid0(VALU_DEP_2)
	v_cvt_u32_f32_e32 v6, v0
	s_branch .LBB372_849
.LBB372_838:
	s_mov_b32 s1, -1
	s_mov_b32 s8, 0
	s_mov_b32 s7, 0
	;; [unrolled: 1-line block ×3, first 2 shown]
                                        ; implicit-def: $vgpr6_vgpr7
	s_branch .LBB372_908
.LBB372_839:
	s_mov_b32 s10, -1
	s_mov_b32 s8, 0
	s_mov_b32 s6, s0
                                        ; implicit-def: $vgpr6_vgpr7
	s_branch .LBB372_876
.LBB372_840:
	s_mov_b32 s10, -1
	s_mov_b32 s8, 0
	s_mov_b32 s6, s0
                                        ; implicit-def: $vgpr6_vgpr7
	s_branch .LBB372_859
.LBB372_841:
	s_mov_b32 s10, -1
	s_mov_b32 s8, 0
	s_mov_b32 s6, s0
                                        ; implicit-def: $vgpr6_vgpr7
	s_branch .LBB372_854
.LBB372_842:
	s_and_not1_saveexec_b32 s49, s49
	s_cbranch_execz .LBB372_720
.LBB372_843:
	v_add_f32_e32 v1, 0x46000000, v4
	s_and_not1_b32 s31, s31, exec_lo
	s_delay_alu instid0(VALU_DEP_1) | instskip(NEXT) | instid1(VALU_DEP_1)
	v_and_b32_e32 v1, 0xff, v1
	v_cmp_ne_u32_e32 vcc_lo, 0, v1
	s_and_b32 s50, vcc_lo, exec_lo
	s_delay_alu instid0(SALU_CYCLE_1)
	s_or_b32 s31, s31, s50
	s_or_b32 exec_lo, exec_lo, s49
	v_mov_b32_e32 v5, 0
	s_and_saveexec_b32 s49, s31
	s_cbranch_execnz .LBB372_721
	s_branch .LBB372_722
.LBB372_844:
	s_mov_b32 s10, -1
	s_mov_b32 s8, 0
	s_mov_b32 s6, s0
	s_branch .LBB372_848
.LBB372_845:
	s_and_not1_saveexec_b32 s49, s49
	s_cbranch_execz .LBB372_733
.LBB372_846:
	v_add_f32_e32 v1, 0x42800000, v4
	s_and_not1_b32 s31, s31, exec_lo
	s_delay_alu instid0(VALU_DEP_1) | instskip(NEXT) | instid1(VALU_DEP_1)
	v_and_b32_e32 v1, 0xff, v1
	v_cmp_ne_u32_e32 vcc_lo, 0, v1
	s_and_b32 s50, vcc_lo, exec_lo
	s_delay_alu instid0(SALU_CYCLE_1)
	s_or_b32 s31, s31, s50
	s_or_b32 exec_lo, exec_lo, s49
	v_mov_b32_e32 v5, 0
	s_and_saveexec_b32 s49, s31
	s_cbranch_execnz .LBB372_734
	s_branch .LBB372_735
.LBB372_847:
	s_mov_b32 s6, -1
	s_mov_b32 s8, 0
.LBB372_848:
                                        ; implicit-def: $vgpr6_vgpr7
.LBB372_849:
	s_and_b32 vcc_lo, exec_lo, s10
	s_cbranch_vccz .LBB372_853
; %bb.850:
	s_cmp_eq_u32 s1, 44
	s_cbranch_scc0 .LBB372_852
; %bb.851:
	global_load_u8 v0, v[4:5], off
	s_mov_b32 s6, 0
	s_mov_b32 s8, -1
	s_wait_loadcnt 0x0
	v_cmp_ne_u32_e32 vcc_lo, 0, v0
	v_lshlrev_b32_e32 v1, 23, v0
	s_delay_alu instid0(VALU_DEP_1) | instskip(NEXT) | instid1(VALU_DEP_1)
	v_trunc_f32_e32 v1, v1
	v_mul_f32_e32 v3, 0x2f800000, v1
	s_delay_alu instid0(VALU_DEP_1) | instskip(NEXT) | instid1(VALU_DEP_1)
	v_floor_f32_e32 v3, v3
	v_fmamk_f32 v1, v3, 0xcf800000, v1
	v_cvt_u32_f32_e32 v3, v3
	s_delay_alu instid0(VALU_DEP_2) | instskip(NEXT) | instid1(VALU_DEP_1)
	v_cvt_u32_f32_e32 v1, v1
	v_dual_cndmask_b32 v7, 0, v3 :: v_dual_cndmask_b32 v6, 0, v1
	s_branch .LBB372_853
.LBB372_852:
	s_mov_b32 s6, -1
                                        ; implicit-def: $vgpr6_vgpr7
.LBB372_853:
	s_mov_b32 s10, 0
.LBB372_854:
	s_delay_alu instid0(SALU_CYCLE_1)
	s_and_b32 vcc_lo, exec_lo, s10
	s_cbranch_vccz .LBB372_858
; %bb.855:
	s_cmp_eq_u32 s1, 29
	s_cbranch_scc0 .LBB372_857
; %bb.856:
	s_wait_loadcnt 0x0
	global_load_b64 v[6:7], v[4:5], off
	s_mov_b32 s6, 0
	s_mov_b32 s8, -1
	s_branch .LBB372_858
.LBB372_857:
	s_mov_b32 s6, -1
                                        ; implicit-def: $vgpr6_vgpr7
.LBB372_858:
	s_mov_b32 s10, 0
.LBB372_859:
	s_delay_alu instid0(SALU_CYCLE_1)
	s_and_b32 vcc_lo, exec_lo, s10
	s_cbranch_vccz .LBB372_875
; %bb.860:
	s_cmp_lt_i32 s1, 27
	s_cbranch_scc1 .LBB372_863
; %bb.861:
	s_cmp_gt_i32 s1, 27
	s_cbranch_scc0 .LBB372_864
; %bb.862:
	s_wait_loadcnt 0x0
	global_load_b32 v6, v[4:5], off
	v_mov_b32_e32 v7, 0
	s_mov_b32 s8, 0
	s_branch .LBB372_865
.LBB372_863:
	s_mov_b32 s8, -1
                                        ; implicit-def: $vgpr6_vgpr7
	s_branch .LBB372_868
.LBB372_864:
	s_mov_b32 s8, -1
                                        ; implicit-def: $vgpr6_vgpr7
.LBB372_865:
	s_delay_alu instid0(SALU_CYCLE_1)
	s_and_not1_b32 vcc_lo, exec_lo, s8
	s_cbranch_vccnz .LBB372_867
; %bb.866:
	global_load_u16 v0, v[4:5], off
	s_mov_b32 s8, 0
	s_wait_loadcnt 0x1
	v_mov_b32_e32 v7, s8
	s_wait_loadcnt 0x0
	v_and_b32_e32 v6, 0xffff, v0
.LBB372_867:
	s_mov_b32 s8, 0
.LBB372_868:
	s_delay_alu instid0(SALU_CYCLE_1)
	s_and_not1_b32 vcc_lo, exec_lo, s8
	s_cbranch_vccnz .LBB372_874
; %bb.869:
	global_load_u8 v0, v[4:5], off
	s_mov_b32 s10, 0
	s_mov_b32 s8, exec_lo
	s_wait_loadcnt 0x0
	v_cmpx_lt_i16_e32 0x7f, v0
	s_xor_b32 s8, exec_lo, s8
	s_cbranch_execz .LBB372_886
; %bb.870:
	v_cmp_ne_u16_e32 vcc_lo, 0x80, v0
	s_and_b32 s10, vcc_lo, exec_lo
	s_and_not1_saveexec_b32 s8, s8
	s_cbranch_execnz .LBB372_887
.LBB372_871:
	s_or_b32 exec_lo, exec_lo, s8
	v_mov_b64_e32 v[6:7], 0
	s_and_saveexec_b32 s8, s10
	s_cbranch_execz .LBB372_873
.LBB372_872:
	v_and_b32_e32 v1, 0xffff, v0
	s_delay_alu instid0(VALU_DEP_1) | instskip(SKIP_1) | instid1(VALU_DEP_2)
	v_and_b32_e32 v3, 7, v1
	v_bfe_u32 v8, v1, 3, 4
	v_clz_i32_u32_e32 v6, v3
	s_delay_alu instid0(VALU_DEP_2) | instskip(NEXT) | instid1(VALU_DEP_2)
	v_cmp_eq_u32_e32 vcc_lo, 0, v8
	v_min_u32_e32 v6, 32, v6
	s_delay_alu instid0(VALU_DEP_1) | instskip(NEXT) | instid1(VALU_DEP_1)
	v_subrev_nc_u32_e32 v7, 28, v6
	v_dual_lshlrev_b32 v1, v7, v1 :: v_dual_sub_nc_u32 v6, 29, v6
	s_delay_alu instid0(VALU_DEP_1) | instskip(NEXT) | instid1(VALU_DEP_1)
	v_dual_lshlrev_b32 v0, 24, v0 :: v_dual_bitop2_b32 v1, 7, v1 bitop3:0x40
	v_dual_cndmask_b32 v6, v8, v6 :: v_dual_cndmask_b32 v1, v3, v1
	s_delay_alu instid0(VALU_DEP_2) | instskip(NEXT) | instid1(VALU_DEP_2)
	v_and_b32_e32 v0, 0x80000000, v0
	v_lshl_add_u32 v3, v6, 23, 0x3b800000
	s_delay_alu instid0(VALU_DEP_3) | instskip(NEXT) | instid1(VALU_DEP_1)
	v_lshlrev_b32_e32 v1, 20, v1
	v_or3_b32 v0, v0, v3, v1
	s_delay_alu instid0(VALU_DEP_1) | instskip(NEXT) | instid1(VALU_DEP_1)
	v_trunc_f32_e32 v0, v0
	v_mul_f32_e32 v1, 0x2f800000, v0
	s_delay_alu instid0(VALU_DEP_1) | instskip(NEXT) | instid1(VALU_DEP_1)
	v_floor_f32_e32 v1, v1
	v_fmamk_f32 v0, v1, 0xcf800000, v0
	v_cvt_u32_f32_e32 v7, v1
	s_delay_alu instid0(VALU_DEP_2)
	v_cvt_u32_f32_e32 v6, v0
.LBB372_873:
	s_or_b32 exec_lo, exec_lo, s8
.LBB372_874:
	s_mov_b32 s8, -1
.LBB372_875:
	s_mov_b32 s10, 0
.LBB372_876:
	s_delay_alu instid0(SALU_CYCLE_1)
	s_and_b32 vcc_lo, exec_lo, s10
	s_cbranch_vccz .LBB372_907
; %bb.877:
	s_cmp_gt_i32 s1, 22
	s_cbranch_scc0 .LBB372_885
; %bb.878:
	s_cmp_lt_i32 s1, 24
	s_cbranch_scc1 .LBB372_888
; %bb.879:
	s_cmp_gt_i32 s1, 24
	s_cbranch_scc0 .LBB372_889
; %bb.880:
	global_load_u8 v0, v[4:5], off
	s_mov_b32 s8, 0
	s_mov_b32 s7, exec_lo
	s_wait_loadcnt 0x0
	v_cmpx_lt_i16_e32 0x7f, v0
	s_xor_b32 s7, exec_lo, s7
	s_cbranch_execz .LBB372_901
; %bb.881:
	v_cmp_ne_u16_e32 vcc_lo, 0x80, v0
	s_and_b32 s8, vcc_lo, exec_lo
	s_and_not1_saveexec_b32 s7, s7
	s_cbranch_execnz .LBB372_902
.LBB372_882:
	s_or_b32 exec_lo, exec_lo, s7
	v_mov_b64_e32 v[6:7], 0
	s_and_saveexec_b32 s7, s8
	s_cbranch_execz .LBB372_884
.LBB372_883:
	v_and_b32_e32 v1, 0xffff, v0
	s_delay_alu instid0(VALU_DEP_1) | instskip(SKIP_1) | instid1(VALU_DEP_2)
	v_and_b32_e32 v3, 3, v1
	v_bfe_u32 v8, v1, 2, 5
	v_clz_i32_u32_e32 v6, v3
	s_delay_alu instid0(VALU_DEP_2) | instskip(NEXT) | instid1(VALU_DEP_2)
	v_cmp_eq_u32_e32 vcc_lo, 0, v8
	v_min_u32_e32 v6, 32, v6
	s_delay_alu instid0(VALU_DEP_1) | instskip(NEXT) | instid1(VALU_DEP_1)
	v_subrev_nc_u32_e32 v7, 29, v6
	v_dual_lshlrev_b32 v1, v7, v1 :: v_dual_sub_nc_u32 v6, 30, v6
	s_delay_alu instid0(VALU_DEP_1) | instskip(NEXT) | instid1(VALU_DEP_1)
	v_dual_lshlrev_b32 v0, 24, v0 :: v_dual_bitop2_b32 v1, 3, v1 bitop3:0x40
	v_dual_cndmask_b32 v6, v8, v6 :: v_dual_cndmask_b32 v1, v3, v1
	s_delay_alu instid0(VALU_DEP_2) | instskip(NEXT) | instid1(VALU_DEP_2)
	v_and_b32_e32 v0, 0x80000000, v0
	v_lshl_add_u32 v3, v6, 23, 0x37800000
	s_delay_alu instid0(VALU_DEP_3) | instskip(NEXT) | instid1(VALU_DEP_1)
	v_lshlrev_b32_e32 v1, 21, v1
	v_or3_b32 v0, v0, v3, v1
	s_delay_alu instid0(VALU_DEP_1) | instskip(NEXT) | instid1(VALU_DEP_1)
	v_trunc_f32_e32 v0, v0
	v_mul_f32_e32 v1, 0x2f800000, v0
	s_delay_alu instid0(VALU_DEP_1) | instskip(NEXT) | instid1(VALU_DEP_1)
	v_floor_f32_e32 v1, v1
	v_fmamk_f32 v0, v1, 0xcf800000, v0
	v_cvt_u32_f32_e32 v7, v1
	s_delay_alu instid0(VALU_DEP_2)
	v_cvt_u32_f32_e32 v6, v0
.LBB372_884:
	s_or_b32 exec_lo, exec_lo, s7
	s_mov_b32 s7, 0
	s_branch .LBB372_890
.LBB372_885:
	s_mov_b32 s7, -1
                                        ; implicit-def: $vgpr6_vgpr7
	s_branch .LBB372_896
.LBB372_886:
	s_and_not1_saveexec_b32 s8, s8
	s_cbranch_execz .LBB372_871
.LBB372_887:
	v_cmp_ne_u16_e32 vcc_lo, 0, v0
	s_and_not1_b32 s10, s10, exec_lo
	s_and_b32 s11, vcc_lo, exec_lo
	s_delay_alu instid0(SALU_CYCLE_1)
	s_or_b32 s10, s10, s11
	s_or_b32 exec_lo, exec_lo, s8
	v_mov_b64_e32 v[6:7], 0
	s_and_saveexec_b32 s8, s10
	s_cbranch_execnz .LBB372_872
	s_branch .LBB372_873
.LBB372_888:
	s_mov_b32 s7, -1
                                        ; implicit-def: $vgpr6_vgpr7
	s_branch .LBB372_893
.LBB372_889:
	s_mov_b32 s7, -1
                                        ; implicit-def: $vgpr6_vgpr7
.LBB372_890:
	s_delay_alu instid0(SALU_CYCLE_1)
	s_and_b32 vcc_lo, exec_lo, s7
	s_cbranch_vccz .LBB372_892
; %bb.891:
	global_load_u8 v0, v[4:5], off
	s_wait_loadcnt 0x0
	v_lshlrev_b32_e32 v0, 24, v0
	s_delay_alu instid0(VALU_DEP_1) | instskip(NEXT) | instid1(VALU_DEP_1)
	v_and_b32_e32 v1, 0x7f000000, v0
	v_clz_i32_u32_e32 v3, v1
	v_add_nc_u32_e32 v7, 0x1000000, v1
	v_cmp_ne_u32_e32 vcc_lo, 0, v1
	s_delay_alu instid0(VALU_DEP_3) | instskip(NEXT) | instid1(VALU_DEP_1)
	v_min_u32_e32 v3, 32, v3
	v_sub_nc_u32_e64 v3, v3, 4 clamp
	s_delay_alu instid0(VALU_DEP_1) | instskip(NEXT) | instid1(VALU_DEP_1)
	v_dual_lshlrev_b32 v6, v3, v1 :: v_dual_lshlrev_b32 v3, 23, v3
	v_lshrrev_b32_e32 v6, 4, v6
	s_delay_alu instid0(VALU_DEP_1) | instskip(SKIP_1) | instid1(VALU_DEP_2)
	v_sub_nc_u32_e32 v3, v6, v3
	v_ashrrev_i32_e32 v6, 8, v7
	v_add_nc_u32_e32 v3, 0x3c000000, v3
	s_delay_alu instid0(VALU_DEP_1) | instskip(NEXT) | instid1(VALU_DEP_1)
	v_and_or_b32 v3, 0x7f800000, v6, v3
	v_cndmask_b32_e32 v1, 0, v3, vcc_lo
	s_delay_alu instid0(VALU_DEP_1) | instskip(NEXT) | instid1(VALU_DEP_1)
	v_and_or_b32 v0, 0x80000000, v0, v1
	v_trunc_f32_e32 v0, v0
	s_delay_alu instid0(VALU_DEP_1) | instskip(NEXT) | instid1(VALU_DEP_1)
	v_mul_f32_e32 v1, 0x2f800000, v0
	v_floor_f32_e32 v1, v1
	s_delay_alu instid0(VALU_DEP_1) | instskip(SKIP_1) | instid1(VALU_DEP_2)
	v_fmamk_f32 v0, v1, 0xcf800000, v0
	v_cvt_u32_f32_e32 v7, v1
	v_cvt_u32_f32_e32 v6, v0
.LBB372_892:
	s_mov_b32 s7, 0
.LBB372_893:
	s_delay_alu instid0(SALU_CYCLE_1)
	s_and_not1_b32 vcc_lo, exec_lo, s7
	s_cbranch_vccnz .LBB372_895
; %bb.894:
	global_load_u8 v0, v[4:5], off
	s_wait_loadcnt 0x0
	v_lshlrev_b32_e32 v1, 25, v0
	v_lshlrev_b16 v0, 8, v0
	s_delay_alu instid0(VALU_DEP_1) | instskip(SKIP_1) | instid1(VALU_DEP_2)
	v_and_or_b32 v6, 0x7f00, v0, 0.5
	v_bfe_i32 v0, v0, 0, 16
	v_dual_add_f32 v6, -0.5, v6 :: v_dual_lshrrev_b32 v3, 4, v1
	v_cmp_gt_u32_e32 vcc_lo, 0x8000000, v1
	s_delay_alu instid0(VALU_DEP_2) | instskip(NEXT) | instid1(VALU_DEP_1)
	v_or_b32_e32 v3, 0x70000000, v3
	v_mul_f32_e32 v3, 0x7800000, v3
	s_delay_alu instid0(VALU_DEP_1) | instskip(NEXT) | instid1(VALU_DEP_1)
	v_cndmask_b32_e32 v1, v3, v6, vcc_lo
	v_and_or_b32 v0, 0x80000000, v0, v1
	s_delay_alu instid0(VALU_DEP_1) | instskip(NEXT) | instid1(VALU_DEP_1)
	v_trunc_f32_e32 v0, v0
	v_mul_f32_e32 v1, 0x2f800000, v0
	s_delay_alu instid0(VALU_DEP_1) | instskip(NEXT) | instid1(VALU_DEP_1)
	v_floor_f32_e32 v1, v1
	v_fmamk_f32 v0, v1, 0xcf800000, v0
	v_cvt_u32_f32_e32 v7, v1
	s_delay_alu instid0(VALU_DEP_2)
	v_cvt_u32_f32_e32 v6, v0
.LBB372_895:
	s_mov_b32 s7, 0
	s_mov_b32 s8, -1
.LBB372_896:
	s_and_not1_b32 vcc_lo, exec_lo, s7
	s_mov_b32 s7, 0
	s_cbranch_vccnz .LBB372_907
; %bb.897:
	s_cmp_gt_i32 s1, 14
	s_cbranch_scc0 .LBB372_900
; %bb.898:
	s_cmp_eq_u32 s1, 15
	s_cbranch_scc0 .LBB372_903
; %bb.899:
	global_load_u16 v0, v[4:5], off
	s_mov_b32 s6, 0
	s_mov_b32 s8, -1
	s_wait_loadcnt 0x0
	v_lshlrev_b32_e32 v0, 16, v0
	s_delay_alu instid0(VALU_DEP_1) | instskip(NEXT) | instid1(VALU_DEP_1)
	v_trunc_f32_e32 v0, v0
	v_mul_f32_e32 v1, 0x2f800000, v0
	s_delay_alu instid0(VALU_DEP_1) | instskip(NEXT) | instid1(VALU_DEP_1)
	v_floor_f32_e32 v1, v1
	v_fmamk_f32 v0, v1, 0xcf800000, v0
	v_cvt_u32_f32_e32 v7, v1
	s_delay_alu instid0(VALU_DEP_2)
	v_cvt_u32_f32_e32 v6, v0
	s_branch .LBB372_905
.LBB372_900:
	s_mov_b32 s7, -1
	s_branch .LBB372_904
.LBB372_901:
	s_and_not1_saveexec_b32 s7, s7
	s_cbranch_execz .LBB372_882
.LBB372_902:
	v_cmp_ne_u16_e32 vcc_lo, 0, v0
	s_and_not1_b32 s8, s8, exec_lo
	s_and_b32 s10, vcc_lo, exec_lo
	s_delay_alu instid0(SALU_CYCLE_1)
	s_or_b32 s8, s8, s10
	s_or_b32 exec_lo, exec_lo, s7
	v_mov_b64_e32 v[6:7], 0
	s_and_saveexec_b32 s7, s8
	s_cbranch_execnz .LBB372_883
	s_branch .LBB372_884
.LBB372_903:
	s_mov_b32 s6, -1
.LBB372_904:
                                        ; implicit-def: $vgpr6_vgpr7
.LBB372_905:
	s_and_b32 vcc_lo, exec_lo, s7
	s_mov_b32 s7, 0
	s_cbranch_vccz .LBB372_907
; %bb.906:
	s_cmp_lg_u32 s1, 11
	s_mov_b32 s7, -1
	s_cselect_b32 s1, -1, 0
	s_and_not1_b32 s6, s6, exec_lo
	s_and_b32 s1, s1, exec_lo
	s_delay_alu instid0(SALU_CYCLE_1)
	s_or_b32 s6, s6, s1
.LBB372_907:
	s_mov_b32 s1, 0
.LBB372_908:
	s_delay_alu instid0(SALU_CYCLE_1)
	s_and_b32 s26, s1, exec_lo
	s_and_not1_b32 s1, s0, exec_lo
	s_and_b32 s6, s6, exec_lo
	s_and_b32 s28, s8, exec_lo
	s_and_b32 s27, s7, exec_lo
	s_or_b32 s29, s1, s6
.LBB372_909:
	s_wait_xcnt 0x0
	s_or_b32 exec_lo, exec_lo, s39
	s_delay_alu instid0(SALU_CYCLE_1)
	s_and_not1_b32 s0, s0, exec_lo
	s_and_b32 s1, s29, exec_lo
	s_and_b32 s28, s28, exec_lo
	;; [unrolled: 1-line block ×4, first 2 shown]
	s_or_b32 s0, s0, s1
.LBB372_910:
	s_or_b32 exec_lo, exec_lo, s31
	s_delay_alu instid0(SALU_CYCLE_1)
	s_and_not1_b32 s1, s46, exec_lo
	s_and_b32 s6, s30, exec_lo
	s_and_b32 s0, s0, exec_lo
	s_or_b32 s46, s1, s6
	s_and_not1_b32 s1, s45, exec_lo
	s_and_b32 s28, s28, exec_lo
	s_and_b32 s26, s26, exec_lo
	;; [unrolled: 1-line block ×3, first 2 shown]
	s_or_b32 s45, s1, s0
.LBB372_911:
	s_or_b32 exec_lo, exec_lo, s47
	s_delay_alu instid0(SALU_CYCLE_1)
	s_and_not1_b32 s0, s42, exec_lo
	s_and_b32 s1, s46, exec_lo
	s_and_b32 s6, s45, exec_lo
	s_or_b32 s42, s0, s1
	s_and_not1_b32 s1, s43, exec_lo
	s_and_b32 s0, s28, exec_lo
	s_and_b32 s26, s26, exec_lo
	;; [unrolled: 1-line block ×3, first 2 shown]
	s_or_b32 s43, s1, s6
	s_or_b32 exec_lo, exec_lo, s44
	s_mov_b32 s1, 0
	s_and_saveexec_b32 s6, s43
	s_cbranch_execz .LBB372_272
.LBB372_912:
	s_mov_b32 s1, exec_lo
	s_and_not1_b32 s21, s21, exec_lo
	s_trap 2
	s_or_b32 exec_lo, exec_lo, s6
	s_and_saveexec_b32 s6, s21
	s_delay_alu instid0(SALU_CYCLE_1)
	s_xor_b32 s6, exec_lo, s6
	s_cbranch_execnz .LBB372_273
.LBB372_913:
	s_or_b32 exec_lo, exec_lo, s6
	s_and_saveexec_b32 s6, s26
	s_cbranch_execz .LBB372_959
.LBB372_914:
	s_sext_i32_i16 s7, s37
	s_delay_alu instid0(SALU_CYCLE_1)
	s_cmp_lt_i32 s7, 5
	s_cbranch_scc1 .LBB372_919
; %bb.915:
	s_cmp_lt_i32 s7, 8
	s_cbranch_scc1 .LBB372_920
; %bb.916:
	;; [unrolled: 3-line block ×3, first 2 shown]
	s_cmp_gt_i32 s7, 9
	s_cbranch_scc0 .LBB372_922
; %bb.918:
	global_load_b64 v[0:1], v[4:5], off
	s_mov_b32 s7, 0
	s_wait_loadcnt 0x0
	v_trunc_f64_e32 v[0:1], v[0:1]
	s_delay_alu instid0(VALU_DEP_1) | instskip(NEXT) | instid1(VALU_DEP_1)
	v_ldexp_f64 v[6:7], v[0:1], 0xffffffe0
	v_floor_f64_e32 v[6:7], v[6:7]
	s_delay_alu instid0(VALU_DEP_1) | instskip(SKIP_1) | instid1(VALU_DEP_2)
	v_fmamk_f64 v[0:1], v[6:7], 0xc1f00000, v[0:1]
	v_cvt_u32_f64_e32 v7, v[6:7]
	v_cvt_u32_f64_e32 v6, v[0:1]
	s_branch .LBB372_923
.LBB372_919:
                                        ; implicit-def: $vgpr6_vgpr7
	s_branch .LBB372_940
.LBB372_920:
                                        ; implicit-def: $vgpr6_vgpr7
	s_branch .LBB372_929
.LBB372_921:
	s_mov_b32 s7, -1
                                        ; implicit-def: $vgpr6_vgpr7
	s_branch .LBB372_926
.LBB372_922:
	s_mov_b32 s7, -1
                                        ; implicit-def: $vgpr6_vgpr7
.LBB372_923:
	s_delay_alu instid0(SALU_CYCLE_1)
	s_and_not1_b32 vcc_lo, exec_lo, s7
	s_cbranch_vccnz .LBB372_925
; %bb.924:
	global_load_b32 v0, v[4:5], off
	s_wait_loadcnt 0x0
	v_trunc_f32_e32 v0, v0
	s_delay_alu instid0(VALU_DEP_1) | instskip(NEXT) | instid1(VALU_DEP_1)
	v_mul_f32_e32 v1, 0x2f800000, v0
	v_floor_f32_e32 v1, v1
	s_delay_alu instid0(VALU_DEP_1) | instskip(SKIP_1) | instid1(VALU_DEP_2)
	v_fmamk_f32 v0, v1, 0xcf800000, v0
	v_cvt_u32_f32_e32 v7, v1
	v_cvt_u32_f32_e32 v6, v0
.LBB372_925:
	s_mov_b32 s7, 0
.LBB372_926:
	s_delay_alu instid0(SALU_CYCLE_1)
	s_and_not1_b32 vcc_lo, exec_lo, s7
	s_cbranch_vccnz .LBB372_928
; %bb.927:
	global_load_b32 v0, v[4:5], off
	s_wait_loadcnt 0x1
	v_mov_b32_e32 v7, 0
	s_wait_loadcnt 0x0
	v_cvt_f32_f16_e32 v0, v0
	s_delay_alu instid0(VALU_DEP_1)
	v_cvt_u32_f32_e32 v6, v0
.LBB372_928:
	s_cbranch_execnz .LBB372_939
.LBB372_929:
	s_sext_i32_i16 s7, s37
	s_delay_alu instid0(SALU_CYCLE_1)
	s_cmp_lt_i32 s7, 6
	s_cbranch_scc1 .LBB372_932
; %bb.930:
	s_cmp_gt_i32 s7, 6
	s_cbranch_scc0 .LBB372_933
; %bb.931:
	global_load_b64 v[0:1], v[4:5], off
	s_mov_b32 s7, 0
	s_wait_loadcnt 0x0
	v_trunc_f64_e32 v[0:1], v[0:1]
	s_delay_alu instid0(VALU_DEP_1) | instskip(NEXT) | instid1(VALU_DEP_1)
	v_ldexp_f64 v[6:7], v[0:1], 0xffffffe0
	v_floor_f64_e32 v[6:7], v[6:7]
	s_delay_alu instid0(VALU_DEP_1) | instskip(SKIP_1) | instid1(VALU_DEP_2)
	v_fmamk_f64 v[0:1], v[6:7], 0xc1f00000, v[0:1]
	v_cvt_u32_f64_e32 v7, v[6:7]
	v_cvt_u32_f64_e32 v6, v[0:1]
	s_branch .LBB372_934
.LBB372_932:
	s_mov_b32 s7, -1
                                        ; implicit-def: $vgpr6_vgpr7
	s_branch .LBB372_937
.LBB372_933:
	s_mov_b32 s7, -1
                                        ; implicit-def: $vgpr6_vgpr7
.LBB372_934:
	s_delay_alu instid0(SALU_CYCLE_1)
	s_and_not1_b32 vcc_lo, exec_lo, s7
	s_cbranch_vccnz .LBB372_936
; %bb.935:
	global_load_b32 v0, v[4:5], off
	s_wait_loadcnt 0x0
	v_trunc_f32_e32 v0, v0
	s_delay_alu instid0(VALU_DEP_1) | instskip(NEXT) | instid1(VALU_DEP_1)
	v_mul_f32_e32 v1, 0x2f800000, v0
	v_floor_f32_e32 v1, v1
	s_delay_alu instid0(VALU_DEP_1) | instskip(SKIP_1) | instid1(VALU_DEP_2)
	v_fmamk_f32 v0, v1, 0xcf800000, v0
	v_cvt_u32_f32_e32 v7, v1
	v_cvt_u32_f32_e32 v6, v0
.LBB372_936:
	s_mov_b32 s7, 0
.LBB372_937:
	s_delay_alu instid0(SALU_CYCLE_1)
	s_and_not1_b32 vcc_lo, exec_lo, s7
	s_cbranch_vccnz .LBB372_939
; %bb.938:
	global_load_u16 v0, v[4:5], off
	s_wait_loadcnt 0x1
	v_mov_b32_e32 v7, 0
	s_wait_loadcnt 0x0
	v_cvt_f32_f16_e32 v0, v0
	s_delay_alu instid0(VALU_DEP_1)
	v_cvt_u32_f32_e32 v6, v0
.LBB372_939:
	s_cbranch_execnz .LBB372_958
.LBB372_940:
	s_sext_i32_i16 s7, s37
	s_delay_alu instid0(SALU_CYCLE_1)
	s_cmp_lt_i32 s7, 2
	s_cbranch_scc1 .LBB372_944
; %bb.941:
	s_cmp_lt_i32 s7, 3
	s_cbranch_scc1 .LBB372_945
; %bb.942:
	s_cmp_gt_i32 s7, 3
	s_cbranch_scc0 .LBB372_946
; %bb.943:
	s_wait_loadcnt 0x0
	global_load_b64 v[6:7], v[4:5], off
	s_mov_b32 s7, 0
	s_branch .LBB372_947
.LBB372_944:
                                        ; implicit-def: $vgpr6_vgpr7
	s_branch .LBB372_953
.LBB372_945:
	s_mov_b32 s7, -1
                                        ; implicit-def: $vgpr6_vgpr7
	s_branch .LBB372_950
.LBB372_946:
	s_mov_b32 s7, -1
                                        ; implicit-def: $vgpr6_vgpr7
.LBB372_947:
	s_delay_alu instid0(SALU_CYCLE_1)
	s_and_not1_b32 vcc_lo, exec_lo, s7
	s_cbranch_vccnz .LBB372_949
; %bb.948:
	s_wait_loadcnt 0x0
	global_load_b32 v6, v[4:5], off
	s_wait_loadcnt 0x0
	v_ashrrev_i32_e32 v7, 31, v6
.LBB372_949:
	s_mov_b32 s7, 0
.LBB372_950:
	s_delay_alu instid0(SALU_CYCLE_1)
	s_and_not1_b32 vcc_lo, exec_lo, s7
	s_cbranch_vccnz .LBB372_952
; %bb.951:
	global_load_u16 v0, v[4:5], off
	s_wait_loadcnt 0x0
	v_bfe_i32 v6, v0, 0, 16
	s_delay_alu instid0(VALU_DEP_1)
	v_ashrrev_i32_e32 v7, 31, v6
.LBB372_952:
	s_cbranch_execnz .LBB372_958
.LBB372_953:
	s_sext_i32_i16 s7, s37
	s_delay_alu instid0(SALU_CYCLE_1)
	s_cmp_gt_i32 s7, 0
	s_mov_b32 s7, 0
	s_cbranch_scc0 .LBB372_955
; %bb.954:
	global_load_i8 v0, v[4:5], off
	s_wait_loadcnt 0x0
	v_bfe_i32 v6, v0, 0, 16
	s_delay_alu instid0(VALU_DEP_1)
	v_ashrrev_i32_e32 v7, 31, v6
	s_branch .LBB372_956
.LBB372_955:
	s_mov_b32 s7, -1
                                        ; implicit-def: $vgpr6_vgpr7
.LBB372_956:
	s_delay_alu instid0(SALU_CYCLE_1)
	s_and_not1_b32 vcc_lo, exec_lo, s7
	s_cbranch_vccnz .LBB372_958
; %bb.957:
	global_load_u8 v0, v[4:5], off
	s_mov_b32 s7, 0
	s_wait_loadcnt 0x1
	v_mov_b32_e32 v7, s7
	s_wait_loadcnt 0x0
	v_and_b32_e32 v6, 0xffff, v0
.LBB372_958:
	s_or_b32 s0, s0, exec_lo
.LBB372_959:
	s_wait_xcnt 0x0
	s_or_b32 exec_lo, exec_lo, s6
	s_mov_b32 s11, 0
	s_mov_b32 s10, 0
                                        ; implicit-def: $sgpr6
                                        ; implicit-def: $sgpr7
                                        ; implicit-def: $vgpr0_vgpr1
	s_and_saveexec_b32 s8, s0
	s_cbranch_execz .LBB372_967
; %bb.960:
	v_mov_b32_e32 v3, 0
	s_wait_loadcnt 0x0
	s_delay_alu instid0(VALU_DEP_2) | instskip(SKIP_1) | instid1(VALU_DEP_2)
	v_cmp_ne_u64_e32 vcc_lo, s[16:17], v[6:7]
	s_and_b32 s7, s18, 0xff
	v_add_nc_u64_e32 v[0:1], s[4:5], v[2:3]
	s_xor_b32 s6, s9, vcc_lo
	s_cmp_lt_i32 s7, 11
	s_cbranch_scc1 .LBB372_970
; %bb.961:
	s_and_b32 s4, 0xffff, s7
	s_mov_b32 s5, -1
	s_cmp_gt_i32 s4, 25
	s_mov_b32 s0, s42
	s_cbranch_scc0 .LBB372_998
; %bb.962:
	s_cmp_gt_i32 s4, 28
	s_mov_b32 s0, s42
	s_cbranch_scc0 .LBB372_982
; %bb.963:
	;; [unrolled: 4-line block ×4, first 2 shown]
	s_cmp_eq_u32 s4, 46
	s_mov_b32 s0, -1
	s_cbranch_scc0 .LBB372_971
; %bb.966:
	v_cndmask_b32_e64 v2, 0, 1.0, s6
	s_mov_b32 s0, 0
	s_mov_b32 s5, 0
	s_delay_alu instid0(VALU_DEP_1) | instskip(NEXT) | instid1(VALU_DEP_1)
	v_bfe_u32 v3, v2, 16, 1
	v_add3_u32 v2, v2, v3, 0x7fff
	s_delay_alu instid0(VALU_DEP_1)
	v_lshrrev_b32_e32 v2, 16, v2
	global_store_b32 v[0:1], v2, off
	s_branch .LBB372_972
.LBB372_967:
	s_or_b32 exec_lo, exec_lo, s8
	s_and_saveexec_b32 s0, s42
	s_cbranch_execnz .LBB372_1040
.LBB372_968:
	s_or_b32 exec_lo, exec_lo, s0
	s_and_saveexec_b32 s0, s11
	s_delay_alu instid0(SALU_CYCLE_1)
	s_xor_b32 s0, exec_lo, s0
	s_cbranch_execz .LBB372_1041
.LBB372_969:
	v_cndmask_b32_e64 v2, 0, 1, s6
	global_store_b8 v[0:1], v2, off
	s_wait_xcnt 0x0
	s_or_b32 exec_lo, exec_lo, s0
	s_and_saveexec_b32 s0, s10
	s_delay_alu instid0(SALU_CYCLE_1)
	s_xor_b32 s0, exec_lo, s0
	s_cbranch_execz .LBB372_1079
	s_branch .LBB372_1042
.LBB372_970:
	s_mov_b32 s9, 0
	s_mov_b32 s5, -1
	s_mov_b32 s0, s42
	s_branch .LBB372_1039
.LBB372_971:
	s_mov_b32 s5, 0
.LBB372_972:
	s_delay_alu instid0(SALU_CYCLE_1)
	s_and_b32 vcc_lo, exec_lo, s5
	s_cbranch_vccz .LBB372_977
; %bb.973:
	s_cmp_eq_u32 s4, 44
	s_mov_b32 s0, -1
	s_cbranch_scc0 .LBB372_977
; %bb.974:
	v_cndmask_b32_e64 v4, 0, 1.0, s6
	s_mov_b32 s5, exec_lo
	s_wait_xcnt 0x0
	s_delay_alu instid0(VALU_DEP_1) | instskip(NEXT) | instid1(VALU_DEP_1)
	v_dual_mov_b32 v3, 0xff :: v_dual_lshrrev_b32 v2, 23, v4
	v_cmpx_ne_u32_e32 0xff, v2
; %bb.975:
	v_and_b32_e32 v3, 0x400000, v4
	v_and_or_b32 v4, 0x3fffff, v4, v2
	s_delay_alu instid0(VALU_DEP_2) | instskip(NEXT) | instid1(VALU_DEP_2)
	v_cmp_ne_u32_e32 vcc_lo, 0, v3
	v_cmp_ne_u32_e64 s0, 0, v4
	s_and_b32 s0, vcc_lo, s0
	s_delay_alu instid0(SALU_CYCLE_1) | instskip(NEXT) | instid1(VALU_DEP_1)
	v_cndmask_b32_e64 v3, 0, 1, s0
	v_add_nc_u32_e32 v3, v2, v3
; %bb.976:
	s_or_b32 exec_lo, exec_lo, s5
	s_mov_b32 s0, 0
	global_store_b8 v[0:1], v3, off
.LBB372_977:
	s_mov_b32 s5, 0
.LBB372_978:
	s_delay_alu instid0(SALU_CYCLE_1)
	s_and_b32 vcc_lo, exec_lo, s5
	s_cbranch_vccz .LBB372_981
; %bb.979:
	s_cmp_eq_u32 s4, 29
	s_mov_b32 s0, -1
	s_cbranch_scc0 .LBB372_981
; %bb.980:
	s_mov_b32 s0, 0
	s_wait_xcnt 0x0
	v_cndmask_b32_e64 v2, 0, 1, s6
	v_mov_b32_e32 v3, s0
	s_mov_b32 s5, 0
	global_store_b64 v[0:1], v[2:3], off
	s_branch .LBB372_982
.LBB372_981:
	s_mov_b32 s5, 0
.LBB372_982:
	s_delay_alu instid0(SALU_CYCLE_1)
	s_and_b32 vcc_lo, exec_lo, s5
	s_cbranch_vccz .LBB372_997
; %bb.983:
	s_cmp_lt_i32 s4, 27
	s_mov_b32 s5, -1
	s_cbranch_scc1 .LBB372_989
; %bb.984:
	s_cmp_gt_i32 s4, 27
	s_cbranch_scc0 .LBB372_986
; %bb.985:
	s_wait_xcnt 0x0
	v_cndmask_b32_e64 v2, 0, 1, s6
	s_mov_b32 s5, 0
	global_store_b32 v[0:1], v2, off
.LBB372_986:
	s_and_not1_b32 vcc_lo, exec_lo, s5
	s_cbranch_vccnz .LBB372_988
; %bb.987:
	s_wait_xcnt 0x0
	v_cndmask_b32_e64 v2, 0, 1, s6
	global_store_b16 v[0:1], v2, off
.LBB372_988:
	s_mov_b32 s5, 0
.LBB372_989:
	s_delay_alu instid0(SALU_CYCLE_1)
	s_and_not1_b32 vcc_lo, exec_lo, s5
	s_cbranch_vccnz .LBB372_997
; %bb.990:
	s_wait_xcnt 0x0
	v_cndmask_b32_e64 v3, 0, 1.0, s6
	v_mov_b32_e32 v4, 0x80
	s_mov_b32 s5, exec_lo
	s_delay_alu instid0(VALU_DEP_2)
	v_cmpx_gt_u32_e32 0x43800000, v3
	s_cbranch_execz .LBB372_996
; %bb.991:
	s_mov_b32 s9, 0
	s_mov_b32 s10, exec_lo
                                        ; implicit-def: $vgpr2
	v_cmpx_lt_u32_e32 0x3bffffff, v3
	s_xor_b32 s10, exec_lo, s10
	s_cbranch_execz .LBB372_1154
; %bb.992:
	v_bfe_u32 v2, v3, 20, 1
	s_mov_b32 s9, exec_lo
	s_delay_alu instid0(VALU_DEP_1) | instskip(NEXT) | instid1(VALU_DEP_1)
	v_add3_u32 v2, v3, v2, 0x487ffff
                                        ; implicit-def: $vgpr3
	v_lshrrev_b32_e32 v2, 20, v2
	s_and_not1_saveexec_b32 s10, s10
	s_cbranch_execnz .LBB372_1155
.LBB372_993:
	s_or_b32 exec_lo, exec_lo, s10
	v_mov_b32_e32 v4, 0
	s_and_saveexec_b32 s10, s9
.LBB372_994:
	v_mov_b32_e32 v4, v2
.LBB372_995:
	s_or_b32 exec_lo, exec_lo, s10
.LBB372_996:
	s_delay_alu instid0(SALU_CYCLE_1)
	s_or_b32 exec_lo, exec_lo, s5
	global_store_b8 v[0:1], v4, off
.LBB372_997:
	s_mov_b32 s5, 0
.LBB372_998:
	s_delay_alu instid0(SALU_CYCLE_1)
	s_and_b32 vcc_lo, exec_lo, s5
	s_mov_b32 s5, 0
	s_cbranch_vccz .LBB372_1038
; %bb.999:
	s_cmp_gt_i32 s4, 22
	s_mov_b32 s9, -1
	s_cbranch_scc0 .LBB372_1031
; %bb.1000:
	s_cmp_lt_i32 s4, 24
	s_cbranch_scc1 .LBB372_1020
; %bb.1001:
	s_cmp_gt_i32 s4, 24
	s_cbranch_scc0 .LBB372_1009
; %bb.1002:
	s_wait_xcnt 0x0
	v_cndmask_b32_e64 v3, 0, 1.0, s6
	v_mov_b32_e32 v4, 0x80
	s_mov_b32 s9, exec_lo
	s_delay_alu instid0(VALU_DEP_2)
	v_cmpx_gt_u32_e32 0x47800000, v3
	s_cbranch_execz .LBB372_1008
; %bb.1003:
	s_mov_b32 s10, 0
	s_mov_b32 s11, exec_lo
                                        ; implicit-def: $vgpr2
	v_cmpx_lt_u32_e32 0x37ffffff, v3
	s_xor_b32 s11, exec_lo, s11
	s_cbranch_execz .LBB372_1275
; %bb.1004:
	v_bfe_u32 v2, v3, 21, 1
	s_mov_b32 s10, exec_lo
	s_delay_alu instid0(VALU_DEP_1) | instskip(NEXT) | instid1(VALU_DEP_1)
	v_add3_u32 v2, v3, v2, 0x88fffff
                                        ; implicit-def: $vgpr3
	v_lshrrev_b32_e32 v2, 21, v2
	s_and_not1_saveexec_b32 s11, s11
	s_cbranch_execnz .LBB372_1276
.LBB372_1005:
	s_or_b32 exec_lo, exec_lo, s11
	v_mov_b32_e32 v4, 0
	s_and_saveexec_b32 s11, s10
.LBB372_1006:
	v_mov_b32_e32 v4, v2
.LBB372_1007:
	s_or_b32 exec_lo, exec_lo, s11
.LBB372_1008:
	s_delay_alu instid0(SALU_CYCLE_1)
	s_or_b32 exec_lo, exec_lo, s9
	s_mov_b32 s9, 0
	global_store_b8 v[0:1], v4, off
.LBB372_1009:
	s_and_b32 vcc_lo, exec_lo, s9
	s_cbranch_vccz .LBB372_1019
; %bb.1010:
	s_wait_xcnt 0x0
	v_cndmask_b32_e64 v3, 0, 1.0, s6
	s_mov_b32 s9, exec_lo
                                        ; implicit-def: $vgpr2
	s_delay_alu instid0(VALU_DEP_1)
	v_cmpx_gt_u32_e32 0x43f00000, v3
	s_xor_b32 s9, exec_lo, s9
	s_cbranch_execz .LBB372_1016
; %bb.1011:
	s_mov_b32 s10, exec_lo
                                        ; implicit-def: $vgpr2
	v_cmpx_lt_u32_e32 0x3c7fffff, v3
	s_xor_b32 s10, exec_lo, s10
; %bb.1012:
	v_bfe_u32 v2, v3, 20, 1
	s_delay_alu instid0(VALU_DEP_1) | instskip(NEXT) | instid1(VALU_DEP_1)
	v_add3_u32 v2, v3, v2, 0x407ffff
	v_and_b32_e32 v3, 0xff00000, v2
	v_lshrrev_b32_e32 v2, 20, v2
	s_delay_alu instid0(VALU_DEP_2) | instskip(NEXT) | instid1(VALU_DEP_2)
	v_cmp_ne_u32_e32 vcc_lo, 0x7f00000, v3
                                        ; implicit-def: $vgpr3
	v_cndmask_b32_e32 v2, 0x7e, v2, vcc_lo
; %bb.1013:
	s_and_not1_saveexec_b32 s10, s10
; %bb.1014:
	v_add_f32_e32 v2, 0x46800000, v3
; %bb.1015:
	s_or_b32 exec_lo, exec_lo, s10
                                        ; implicit-def: $vgpr3
.LBB372_1016:
	s_and_not1_saveexec_b32 s9, s9
; %bb.1017:
	v_mov_b32_e32 v2, 0x7f
	v_cmp_lt_u32_e32 vcc_lo, 0x7f800000, v3
	s_delay_alu instid0(VALU_DEP_2)
	v_cndmask_b32_e32 v2, 0x7e, v2, vcc_lo
; %bb.1018:
	s_or_b32 exec_lo, exec_lo, s9
	global_store_b8 v[0:1], v2, off
.LBB372_1019:
	s_mov_b32 s9, 0
.LBB372_1020:
	s_delay_alu instid0(SALU_CYCLE_1)
	s_and_not1_b32 vcc_lo, exec_lo, s9
	s_cbranch_vccnz .LBB372_1030
; %bb.1021:
	s_wait_xcnt 0x0
	v_cndmask_b32_e64 v3, 0, 1.0, s6
	s_mov_b32 s9, exec_lo
                                        ; implicit-def: $vgpr2
	s_delay_alu instid0(VALU_DEP_1)
	v_cmpx_gt_u32_e32 0x47800000, v3
	s_xor_b32 s9, exec_lo, s9
	s_cbranch_execz .LBB372_1027
; %bb.1022:
	s_mov_b32 s10, exec_lo
                                        ; implicit-def: $vgpr2
	v_cmpx_lt_u32_e32 0x387fffff, v3
	s_xor_b32 s10, exec_lo, s10
; %bb.1023:
	v_bfe_u32 v2, v3, 21, 1
	s_delay_alu instid0(VALU_DEP_1) | instskip(NEXT) | instid1(VALU_DEP_1)
	v_add3_u32 v2, v3, v2, 0x80fffff
                                        ; implicit-def: $vgpr3
	v_lshrrev_b32_e32 v2, 21, v2
; %bb.1024:
	s_and_not1_saveexec_b32 s10, s10
; %bb.1025:
	v_add_f32_e32 v2, 0x43000000, v3
; %bb.1026:
	s_or_b32 exec_lo, exec_lo, s10
                                        ; implicit-def: $vgpr3
.LBB372_1027:
	s_and_not1_saveexec_b32 s9, s9
; %bb.1028:
	v_mov_b32_e32 v2, 0x7f
	v_cmp_lt_u32_e32 vcc_lo, 0x7f800000, v3
	s_delay_alu instid0(VALU_DEP_2)
	v_cndmask_b32_e32 v2, 0x7c, v2, vcc_lo
; %bb.1029:
	s_or_b32 exec_lo, exec_lo, s9
	global_store_b8 v[0:1], v2, off
.LBB372_1030:
	s_mov_b32 s9, 0
.LBB372_1031:
	s_delay_alu instid0(SALU_CYCLE_1)
	s_and_not1_b32 vcc_lo, exec_lo, s9
	s_mov_b32 s9, 0
	s_cbranch_vccnz .LBB372_1039
; %bb.1032:
	s_cmp_gt_i32 s4, 14
	s_mov_b32 s9, -1
	s_cbranch_scc0 .LBB372_1036
; %bb.1033:
	s_cmp_eq_u32 s4, 15
	s_mov_b32 s0, -1
	s_cbranch_scc0 .LBB372_1035
; %bb.1034:
	s_wait_xcnt 0x0
	v_cndmask_b32_e64 v2, 0, 1.0, s6
	s_mov_b32 s0, 0
	s_delay_alu instid0(VALU_DEP_1) | instskip(NEXT) | instid1(VALU_DEP_1)
	v_bfe_u32 v3, v2, 16, 1
	v_add3_u32 v2, v2, v3, 0x7fff
	global_store_d16_hi_b16 v[0:1], v2, off
.LBB372_1035:
	s_mov_b32 s9, 0
.LBB372_1036:
	s_delay_alu instid0(SALU_CYCLE_1)
	s_and_b32 vcc_lo, exec_lo, s9
	s_mov_b32 s9, 0
	s_cbranch_vccz .LBB372_1039
; %bb.1037:
	s_cmp_lg_u32 s4, 11
	s_mov_b32 s9, -1
	s_cselect_b32 s4, -1, 0
	s_and_not1_b32 s0, s0, exec_lo
	s_and_b32 s4, s4, exec_lo
	s_delay_alu instid0(SALU_CYCLE_1)
	s_or_b32 s0, s0, s4
	s_branch .LBB372_1039
.LBB372_1038:
	s_mov_b32 s9, 0
.LBB372_1039:
	s_and_not1_b32 s4, s42, exec_lo
	s_and_b32 s0, s0, exec_lo
	s_and_b32 s10, s5, exec_lo
	;; [unrolled: 1-line block ×3, first 2 shown]
	s_or_b32 s42, s4, s0
	s_wait_xcnt 0x0
	s_or_b32 exec_lo, exec_lo, s8
	s_and_saveexec_b32 s0, s42
	s_cbranch_execz .LBB372_968
.LBB372_1040:
	s_or_b32 s1, s1, exec_lo
	s_and_not1_b32 s11, s11, exec_lo
	s_trap 2
	s_or_b32 exec_lo, exec_lo, s0
	s_and_saveexec_b32 s0, s11
	s_delay_alu instid0(SALU_CYCLE_1)
	s_xor_b32 s0, exec_lo, s0
	s_cbranch_execnz .LBB372_969
.LBB372_1041:
	s_or_b32 exec_lo, exec_lo, s0
	s_and_saveexec_b32 s0, s10
	s_delay_alu instid0(SALU_CYCLE_1)
	s_xor_b32 s0, exec_lo, s0
	s_cbranch_execz .LBB372_1079
.LBB372_1042:
	s_sext_i32_i16 s5, s7
	s_mov_b32 s4, -1
	s_cmp_lt_i32 s5, 5
	s_cbranch_scc1 .LBB372_1063
; %bb.1043:
	s_cmp_lt_i32 s5, 8
	s_cbranch_scc1 .LBB372_1053
; %bb.1044:
	;; [unrolled: 3-line block ×3, first 2 shown]
	s_cmp_gt_i32 s5, 9
	s_cbranch_scc0 .LBB372_1047
; %bb.1046:
	v_cndmask_b32_e64 v2, 0, 1, s6
	v_mov_b32_e32 v4, 0
	s_mov_b32 s4, 0
	s_delay_alu instid0(VALU_DEP_2) | instskip(NEXT) | instid1(VALU_DEP_2)
	v_cvt_f64_u32_e32 v[2:3], v2
	v_mov_b32_e32 v5, v4
	global_store_b128 v[0:1], v[2:5], off
.LBB372_1047:
	s_and_not1_b32 vcc_lo, exec_lo, s4
	s_cbranch_vccnz .LBB372_1049
; %bb.1048:
	s_wait_xcnt 0x0
	v_cndmask_b32_e64 v2, 0, 1.0, s6
	v_mov_b32_e32 v3, 0
	global_store_b64 v[0:1], v[2:3], off
.LBB372_1049:
	s_mov_b32 s4, 0
.LBB372_1050:
	s_delay_alu instid0(SALU_CYCLE_1)
	s_and_not1_b32 vcc_lo, exec_lo, s4
	s_cbranch_vccnz .LBB372_1052
; %bb.1051:
	s_wait_xcnt 0x0
	v_cndmask_b32_e64 v2, 0, 1.0, s6
	s_delay_alu instid0(VALU_DEP_1) | instskip(NEXT) | instid1(VALU_DEP_1)
	v_cvt_f16_f32_e32 v2, v2
	v_and_b32_e32 v2, 0xffff, v2
	global_store_b32 v[0:1], v2, off
.LBB372_1052:
	s_mov_b32 s4, 0
.LBB372_1053:
	s_delay_alu instid0(SALU_CYCLE_1)
	s_and_not1_b32 vcc_lo, exec_lo, s4
	s_cbranch_vccnz .LBB372_1062
; %bb.1054:
	s_sext_i32_i16 s5, s7
	s_mov_b32 s4, -1
	s_cmp_lt_i32 s5, 6
	s_cbranch_scc1 .LBB372_1060
; %bb.1055:
	s_cmp_gt_i32 s5, 6
	s_cbranch_scc0 .LBB372_1057
; %bb.1056:
	s_wait_xcnt 0x0
	v_cndmask_b32_e64 v2, 0, 1, s6
	s_mov_b32 s4, 0
	s_delay_alu instid0(VALU_DEP_1)
	v_cvt_f64_u32_e32 v[2:3], v2
	global_store_b64 v[0:1], v[2:3], off
.LBB372_1057:
	s_and_not1_b32 vcc_lo, exec_lo, s4
	s_cbranch_vccnz .LBB372_1059
; %bb.1058:
	s_wait_xcnt 0x0
	v_cndmask_b32_e64 v2, 0, 1.0, s6
	global_store_b32 v[0:1], v2, off
.LBB372_1059:
	s_mov_b32 s4, 0
.LBB372_1060:
	s_delay_alu instid0(SALU_CYCLE_1)
	s_and_not1_b32 vcc_lo, exec_lo, s4
	s_cbranch_vccnz .LBB372_1062
; %bb.1061:
	s_wait_xcnt 0x0
	v_cndmask_b32_e64 v2, 0, 1.0, s6
	s_delay_alu instid0(VALU_DEP_1)
	v_cvt_f16_f32_e32 v2, v2
	global_store_b16 v[0:1], v2, off
.LBB372_1062:
	s_mov_b32 s4, 0
.LBB372_1063:
	s_delay_alu instid0(SALU_CYCLE_1)
	s_and_not1_b32 vcc_lo, exec_lo, s4
	s_cbranch_vccnz .LBB372_1079
; %bb.1064:
	s_sext_i32_i16 s5, s7
	s_mov_b32 s4, -1
	s_cmp_lt_i32 s5, 2
	s_cbranch_scc1 .LBB372_1074
; %bb.1065:
	s_cmp_lt_i32 s5, 3
	s_cbranch_scc1 .LBB372_1071
; %bb.1066:
	s_cmp_gt_i32 s5, 3
	s_cbranch_scc0 .LBB372_1068
; %bb.1067:
	s_mov_b32 s4, 0
	s_wait_xcnt 0x0
	v_cndmask_b32_e64 v2, 0, 1, s6
	v_mov_b32_e32 v3, s4
	global_store_b64 v[0:1], v[2:3], off
.LBB372_1068:
	s_and_not1_b32 vcc_lo, exec_lo, s4
	s_cbranch_vccnz .LBB372_1070
; %bb.1069:
	s_wait_xcnt 0x0
	v_cndmask_b32_e64 v2, 0, 1, s6
	global_store_b32 v[0:1], v2, off
.LBB372_1070:
	s_mov_b32 s4, 0
.LBB372_1071:
	s_delay_alu instid0(SALU_CYCLE_1)
	s_and_not1_b32 vcc_lo, exec_lo, s4
	s_cbranch_vccnz .LBB372_1073
; %bb.1072:
	s_wait_xcnt 0x0
	v_cndmask_b32_e64 v2, 0, 1, s6
	global_store_b16 v[0:1], v2, off
.LBB372_1073:
	s_mov_b32 s4, 0
.LBB372_1074:
	s_delay_alu instid0(SALU_CYCLE_1)
	s_and_not1_b32 vcc_lo, exec_lo, s4
	s_cbranch_vccnz .LBB372_1079
; %bb.1075:
	s_sext_i32_i16 s4, s7
	s_delay_alu instid0(SALU_CYCLE_1)
	s_cmp_gt_i32 s4, 0
	s_mov_b32 s4, -1
	s_cbranch_scc0 .LBB372_1077
; %bb.1076:
	s_wait_xcnt 0x0
	v_cndmask_b32_e64 v2, 0, 1, s6
	s_mov_b32 s4, 0
	global_store_b8 v[0:1], v2, off
.LBB372_1077:
	s_and_not1_b32 vcc_lo, exec_lo, s4
	s_cbranch_vccnz .LBB372_1079
; %bb.1078:
	s_wait_xcnt 0x0
	v_cndmask_b32_e64 v2, 0, 1, s6
	global_store_b8 v[0:1], v2, off
.LBB372_1079:
	s_wait_xcnt 0x0
	s_or_b32 exec_lo, exec_lo, s0
	s_delay_alu instid0(SALU_CYCLE_1)
	s_and_b32 s11, s1, exec_lo
                                        ; implicit-def: $vgpr9
                                        ; implicit-def: $vgpr0
.LBB372_1080:
	s_or_saveexec_b32 s12, s36
	s_mov_b32 s0, 0
                                        ; implicit-def: $sgpr4
                                        ; implicit-def: $vgpr2_vgpr3
                                        ; implicit-def: $sgpr6
	s_xor_b32 exec_lo, exec_lo, s12
	s_cbranch_execz .LBB372_2074
; %bb.1081:
	v_cndmask_b32_e64 v1, 0, 1, s35
	s_and_not1_b32 vcc_lo, exec_lo, s35
	s_cbranch_vccnz .LBB372_1087
; %bb.1082:
	s_cmp_lg_u32 s19, 0
	s_mov_b32 s8, 0
	s_cbranch_scc0 .LBB372_1088
; %bb.1083:
	s_min_u32 s1, s33, 15
	s_delay_alu instid0(SALU_CYCLE_1)
	s_add_co_i32 s1, s1, 1
	s_cmp_eq_u32 s33, 2
	s_cbranch_scc1 .LBB372_1089
; %bb.1084:
	s_wait_loadcnt 0x0
	v_dual_mov_b32 v6, 0 :: v_dual_mov_b32 v8, 0
	v_mov_b32_e32 v2, v0
	s_and_b32 s0, s1, 28
	s_add_nc_u64 s[4:5], s[2:3], 0xc4
	s_mov_b32 s9, 0
	s_mov_b64 s[6:7], s[2:3]
.LBB372_1085:                           ; =>This Inner Loop Header: Depth=1
	s_clause 0x1
	s_load_b256 s[20:27], s[6:7], 0x4
	s_load_b128 s[28:31], s[6:7], 0x24
	s_load_b256 s[36:43], s[4:5], 0x0
	s_add_co_i32 s9, s9, 4
	s_wait_xcnt 0x0
	s_add_nc_u64 s[6:7], s[6:7], 48
	s_cmp_lg_u32 s0, s9
	s_add_nc_u64 s[4:5], s[4:5], 32
	s_wait_kmcnt 0x0
	v_mul_hi_u32 v3, s21, v2
	s_delay_alu instid0(VALU_DEP_1) | instskip(NEXT) | instid1(VALU_DEP_1)
	v_add_nc_u32_e32 v3, v2, v3
	v_lshrrev_b32_e32 v3, s22, v3
	s_delay_alu instid0(VALU_DEP_1) | instskip(NEXT) | instid1(VALU_DEP_1)
	v_mul_hi_u32 v4, s24, v3
	v_add_nc_u32_e32 v4, v3, v4
	s_delay_alu instid0(VALU_DEP_1) | instskip(NEXT) | instid1(VALU_DEP_1)
	v_lshrrev_b32_e32 v4, s25, v4
	v_mul_hi_u32 v5, s27, v4
	s_delay_alu instid0(VALU_DEP_1) | instskip(SKIP_1) | instid1(VALU_DEP_1)
	v_add_nc_u32_e32 v5, v4, v5
	v_mul_lo_u32 v7, v3, s20
	v_sub_nc_u32_e32 v2, v2, v7
	v_mul_lo_u32 v7, v4, s23
	s_delay_alu instid0(VALU_DEP_4) | instskip(NEXT) | instid1(VALU_DEP_3)
	v_lshrrev_b32_e32 v5, s28, v5
	v_mad_u32 v8, v2, s37, v8
	v_mad_u32 v2, v2, s36, v6
	s_delay_alu instid0(VALU_DEP_4) | instskip(NEXT) | instid1(VALU_DEP_4)
	v_sub_nc_u32_e32 v3, v3, v7
	v_mul_hi_u32 v10, s30, v5
	v_mul_lo_u32 v6, v5, s26
	s_delay_alu instid0(VALU_DEP_3) | instskip(SKIP_1) | instid1(VALU_DEP_4)
	v_mad_u32 v8, v3, s39, v8
	v_mad_u32 v3, v3, s38, v2
	v_add_nc_u32_e32 v7, v5, v10
	s_delay_alu instid0(VALU_DEP_1) | instskip(NEXT) | instid1(VALU_DEP_1)
	v_dual_sub_nc_u32 v4, v4, v6 :: v_dual_lshrrev_b32 v2, s31, v7
	v_mad_u32 v7, v4, s41, v8
	s_delay_alu instid0(VALU_DEP_4) | instskip(NEXT) | instid1(VALU_DEP_3)
	v_mad_u32 v3, v4, s40, v3
	v_mul_lo_u32 v6, v2, s29
	s_delay_alu instid0(VALU_DEP_1) | instskip(NEXT) | instid1(VALU_DEP_1)
	v_sub_nc_u32_e32 v4, v5, v6
	v_mad_u32 v8, v4, s43, v7
	s_delay_alu instid0(VALU_DEP_4)
	v_mad_u32 v6, v4, s42, v3
	s_cbranch_scc1 .LBB372_1085
; %bb.1086:
	s_delay_alu instid0(VALU_DEP_2)
	v_mov_b32_e32 v7, v8
	s_and_b32 s6, s1, 3
	s_mov_b32 s1, 0
	s_cmp_eq_u32 s6, 0
	s_cbranch_scc0 .LBB372_1090
	s_branch .LBB372_1093
.LBB372_1087:
	s_mov_b32 s8, -1
                                        ; implicit-def: $vgpr8
                                        ; implicit-def: $vgpr6
	s_branch .LBB372_1093
.LBB372_1088:
	s_wait_loadcnt 0x0
	v_dual_mov_b32 v8, 0 :: v_dual_mov_b32 v6, 0
	s_branch .LBB372_1093
.LBB372_1089:
	s_wait_loadcnt 0x0
	v_mov_b64_e32 v[6:7], 0
	v_mov_b32_e32 v2, v0
                                        ; implicit-def: $vgpr8
	s_and_b32 s6, s1, 3
	s_mov_b32 s1, 0
	s_cmp_eq_u32 s6, 0
	s_cbranch_scc1 .LBB372_1093
.LBB372_1090:
	s_lshl_b32 s4, s0, 3
	s_mov_b32 s5, s1
	s_mul_u64 s[14:15], s[0:1], 12
	s_add_nc_u64 s[4:5], s[2:3], s[4:5]
	s_delay_alu instid0(SALU_CYCLE_1)
	s_add_nc_u64 s[0:1], s[4:5], 0xc4
	s_add_nc_u64 s[4:5], s[2:3], s[14:15]
.LBB372_1091:                           ; =>This Inner Loop Header: Depth=1
	s_load_b96 s[16:18], s[4:5], 0x4
	s_load_b64 s[14:15], s[0:1], 0x0
	s_add_co_i32 s6, s6, -1
	s_wait_xcnt 0x0
	s_add_nc_u64 s[4:5], s[4:5], 12
	s_cmp_lg_u32 s6, 0
	s_add_nc_u64 s[0:1], s[0:1], 8
	s_wait_kmcnt 0x0
	v_mul_hi_u32 v3, s17, v2
	s_delay_alu instid0(VALU_DEP_1) | instskip(NEXT) | instid1(VALU_DEP_1)
	v_add_nc_u32_e32 v3, v2, v3
	v_lshrrev_b32_e32 v3, s18, v3
	s_delay_alu instid0(VALU_DEP_1) | instskip(NEXT) | instid1(VALU_DEP_1)
	v_mul_lo_u32 v4, v3, s16
	v_sub_nc_u32_e32 v2, v2, v4
	s_delay_alu instid0(VALU_DEP_1)
	v_mad_u32 v7, v2, s15, v7
	v_mad_u32 v6, v2, s14, v6
	v_mov_b32_e32 v2, v3
	s_cbranch_scc1 .LBB372_1091
; %bb.1092:
	s_delay_alu instid0(VALU_DEP_3)
	v_mov_b32_e32 v8, v7
.LBB372_1093:
	s_and_not1_b32 vcc_lo, exec_lo, s8
	s_cbranch_vccnz .LBB372_1096
; %bb.1094:
	s_clause 0x1
	s_load_b96 s[4:6], s[2:3], 0x4
	s_load_b64 s[0:1], s[2:3], 0xc4
	s_cmp_lt_u32 s19, 2
	s_wait_kmcnt 0x0
	v_mul_hi_u32 v2, s5, v0
	s_delay_alu instid0(VALU_DEP_1) | instskip(NEXT) | instid1(VALU_DEP_1)
	v_add_nc_u32_e32 v2, v0, v2
	v_lshrrev_b32_e32 v2, s6, v2
	s_delay_alu instid0(VALU_DEP_1) | instskip(NEXT) | instid1(VALU_DEP_1)
	v_mul_lo_u32 v3, v2, s4
	v_sub_nc_u32_e32 v3, v0, v3
	s_delay_alu instid0(VALU_DEP_1)
	v_mul_lo_u32 v8, v3, s1
	s_wait_loadcnt 0x0
	v_mul_lo_u32 v6, v3, s0
	s_cbranch_scc1 .LBB372_1096
; %bb.1095:
	s_clause 0x1
	s_load_b96 s[4:6], s[2:3], 0x10
	s_load_b64 s[0:1], s[2:3], 0xcc
	s_wait_kmcnt 0x0
	v_mul_hi_u32 v3, s5, v2
	s_delay_alu instid0(VALU_DEP_1) | instskip(NEXT) | instid1(VALU_DEP_1)
	v_add_nc_u32_e32 v3, v2, v3
	v_lshrrev_b32_e32 v3, s6, v3
	s_delay_alu instid0(VALU_DEP_1) | instskip(NEXT) | instid1(VALU_DEP_1)
	v_mul_lo_u32 v3, v3, s4
	v_sub_nc_u32_e32 v2, v2, v3
	s_delay_alu instid0(VALU_DEP_1)
	v_mad_u32 v6, v2, s0, v6
	v_mad_u32 v8, v2, s1, v8
.LBB372_1096:
	v_cmp_ne_u32_e32 vcc_lo, 1, v1
	v_add_nc_u32_e32 v2, 0x80, v0
	s_cbranch_vccnz .LBB372_1102
; %bb.1097:
	s_cmp_lg_u32 s19, 0
	s_mov_b32 s8, 0
	s_cbranch_scc0 .LBB372_1103
; %bb.1098:
	s_min_u32 s1, s33, 15
	s_delay_alu instid0(SALU_CYCLE_1)
	s_add_co_i32 s1, s1, 1
	s_cmp_eq_u32 s33, 2
	s_cbranch_scc1 .LBB372_1104
; %bb.1099:
	v_dual_mov_b32 v4, 0 :: v_dual_mov_b32 v10, 0
	v_mov_b32_e32 v3, v2
	s_and_b32 s0, s1, 28
	s_add_nc_u64 s[4:5], s[2:3], 0xc4
	s_mov_b32 s9, 0
	s_mov_b64 s[6:7], s[2:3]
.LBB372_1100:                           ; =>This Inner Loop Header: Depth=1
	s_clause 0x1
	s_load_b256 s[20:27], s[6:7], 0x4
	s_load_b128 s[28:31], s[6:7], 0x24
	s_load_b256 s[36:43], s[4:5], 0x0
	s_add_co_i32 s9, s9, 4
	s_wait_xcnt 0x0
	s_add_nc_u64 s[6:7], s[6:7], 48
	s_cmp_lg_u32 s0, s9
	s_add_nc_u64 s[4:5], s[4:5], 32
	s_wait_kmcnt 0x0
	v_mul_hi_u32 v5, s21, v3
	s_delay_alu instid0(VALU_DEP_1) | instskip(NEXT) | instid1(VALU_DEP_1)
	v_add_nc_u32_e32 v5, v3, v5
	v_lshrrev_b32_e32 v5, s22, v5
	s_wait_loadcnt 0x0
	s_delay_alu instid0(VALU_DEP_1) | instskip(NEXT) | instid1(VALU_DEP_1)
	v_mul_hi_u32 v7, s24, v5
	v_add_nc_u32_e32 v7, v5, v7
	s_delay_alu instid0(VALU_DEP_1) | instskip(NEXT) | instid1(VALU_DEP_1)
	v_lshrrev_b32_e32 v7, s25, v7
	v_mul_hi_u32 v11, s27, v7
	s_delay_alu instid0(VALU_DEP_1) | instskip(SKIP_1) | instid1(VALU_DEP_1)
	v_add_nc_u32_e32 v11, v7, v11
	v_mul_lo_u32 v12, v5, s20
	v_sub_nc_u32_e32 v3, v3, v12
	v_mul_lo_u32 v12, v7, s23
	s_delay_alu instid0(VALU_DEP_4) | instskip(NEXT) | instid1(VALU_DEP_3)
	v_lshrrev_b32_e32 v11, s28, v11
	v_mad_u32 v10, v3, s37, v10
	v_mad_u32 v3, v3, s36, v4
	s_delay_alu instid0(VALU_DEP_4) | instskip(NEXT) | instid1(VALU_DEP_4)
	v_sub_nc_u32_e32 v4, v5, v12
	v_mul_hi_u32 v13, s30, v11
	v_mul_lo_u32 v5, v11, s26
	s_delay_alu instid0(VALU_DEP_3) | instskip(SKIP_1) | instid1(VALU_DEP_4)
	v_mad_u32 v10, v4, s39, v10
	v_mad_u32 v4, v4, s38, v3
	v_add_nc_u32_e32 v12, v11, v13
	s_delay_alu instid0(VALU_DEP_1) | instskip(NEXT) | instid1(VALU_DEP_1)
	v_dual_sub_nc_u32 v5, v7, v5 :: v_dual_lshrrev_b32 v3, s31, v12
	v_mad_u32 v10, v5, s41, v10
	s_delay_alu instid0(VALU_DEP_4) | instskip(NEXT) | instid1(VALU_DEP_3)
	v_mad_u32 v4, v5, s40, v4
	v_mul_lo_u32 v7, v3, s29
	s_delay_alu instid0(VALU_DEP_1) | instskip(NEXT) | instid1(VALU_DEP_1)
	v_sub_nc_u32_e32 v5, v11, v7
	v_mad_u32 v10, v5, s43, v10
	s_delay_alu instid0(VALU_DEP_4)
	v_mad_u32 v4, v5, s42, v4
	s_cbranch_scc1 .LBB372_1100
; %bb.1101:
	s_delay_alu instid0(VALU_DEP_2)
	v_mov_b32_e32 v5, v10
	s_and_b32 s6, s1, 3
	s_mov_b32 s1, 0
	s_cmp_eq_u32 s6, 0
	s_cbranch_scc0 .LBB372_1105
	s_branch .LBB372_1108
.LBB372_1102:
	s_mov_b32 s8, -1
                                        ; implicit-def: $vgpr10
                                        ; implicit-def: $vgpr4
	s_branch .LBB372_1108
.LBB372_1103:
	v_dual_mov_b32 v10, 0 :: v_dual_mov_b32 v4, 0
	s_branch .LBB372_1108
.LBB372_1104:
	v_mov_b64_e32 v[4:5], 0
	v_mov_b32_e32 v3, v2
	s_mov_b32 s0, 0
                                        ; implicit-def: $vgpr10
	s_and_b32 s6, s1, 3
	s_mov_b32 s1, 0
	s_cmp_eq_u32 s6, 0
	s_cbranch_scc1 .LBB372_1108
.LBB372_1105:
	s_lshl_b32 s4, s0, 3
	s_mov_b32 s5, s1
	s_mul_u64 s[14:15], s[0:1], 12
	s_add_nc_u64 s[4:5], s[2:3], s[4:5]
	s_delay_alu instid0(SALU_CYCLE_1)
	s_add_nc_u64 s[0:1], s[4:5], 0xc4
	s_add_nc_u64 s[4:5], s[2:3], s[14:15]
.LBB372_1106:                           ; =>This Inner Loop Header: Depth=1
	s_load_b96 s[16:18], s[4:5], 0x4
	s_load_b64 s[14:15], s[0:1], 0x0
	s_add_co_i32 s6, s6, -1
	s_wait_xcnt 0x0
	s_add_nc_u64 s[4:5], s[4:5], 12
	s_cmp_lg_u32 s6, 0
	s_add_nc_u64 s[0:1], s[0:1], 8
	s_wait_loadcnt 0x0
	s_wait_kmcnt 0x0
	v_mul_hi_u32 v7, s17, v3
	s_delay_alu instid0(VALU_DEP_1) | instskip(NEXT) | instid1(VALU_DEP_1)
	v_add_nc_u32_e32 v7, v3, v7
	v_lshrrev_b32_e32 v7, s18, v7
	s_delay_alu instid0(VALU_DEP_1) | instskip(NEXT) | instid1(VALU_DEP_1)
	v_mul_lo_u32 v10, v7, s16
	v_sub_nc_u32_e32 v3, v3, v10
	s_delay_alu instid0(VALU_DEP_1)
	v_mad_u32 v5, v3, s15, v5
	v_mad_u32 v4, v3, s14, v4
	v_mov_b32_e32 v3, v7
	s_cbranch_scc1 .LBB372_1106
; %bb.1107:
	s_delay_alu instid0(VALU_DEP_3)
	v_mov_b32_e32 v10, v5
.LBB372_1108:
	s_and_not1_b32 vcc_lo, exec_lo, s8
	s_cbranch_vccnz .LBB372_1111
; %bb.1109:
	s_clause 0x1
	s_load_b96 s[4:6], s[2:3], 0x4
	s_load_b64 s[0:1], s[2:3], 0xc4
	s_cmp_lt_u32 s19, 2
	s_wait_kmcnt 0x0
	v_mul_hi_u32 v3, s5, v2
	s_delay_alu instid0(VALU_DEP_1) | instskip(NEXT) | instid1(VALU_DEP_1)
	v_add_nc_u32_e32 v3, v2, v3
	v_lshrrev_b32_e32 v3, s6, v3
	s_delay_alu instid0(VALU_DEP_1) | instskip(NEXT) | instid1(VALU_DEP_1)
	v_mul_lo_u32 v4, v3, s4
	v_sub_nc_u32_e32 v2, v2, v4
	s_delay_alu instid0(VALU_DEP_1)
	v_mul_lo_u32 v10, v2, s1
	v_mul_lo_u32 v4, v2, s0
	s_cbranch_scc1 .LBB372_1111
; %bb.1110:
	s_clause 0x1
	s_load_b96 s[4:6], s[2:3], 0x10
	s_load_b64 s[0:1], s[2:3], 0xcc
	s_wait_kmcnt 0x0
	v_mul_hi_u32 v2, s5, v3
	s_delay_alu instid0(VALU_DEP_1) | instskip(NEXT) | instid1(VALU_DEP_1)
	v_add_nc_u32_e32 v2, v3, v2
	v_lshrrev_b32_e32 v2, s6, v2
	s_delay_alu instid0(VALU_DEP_1) | instskip(NEXT) | instid1(VALU_DEP_1)
	v_mul_lo_u32 v2, v2, s4
	v_sub_nc_u32_e32 v2, v3, v2
	s_delay_alu instid0(VALU_DEP_1)
	v_mad_u32 v4, v2, s0, v4
	v_mad_u32 v10, v2, s1, v10
.LBB372_1111:
	v_cmp_ne_u32_e32 vcc_lo, 1, v1
	v_add_nc_u32_e32 v0, 0x100, v0
	s_cbranch_vccnz .LBB372_1117
; %bb.1112:
	s_cmp_lg_u32 s19, 0
	s_mov_b32 s8, 0
	s_cbranch_scc0 .LBB372_1118
; %bb.1113:
	s_min_u32 s1, s33, 15
	s_delay_alu instid0(SALU_CYCLE_1)
	s_add_co_i32 s1, s1, 1
	s_cmp_eq_u32 s33, 2
	s_cbranch_scc1 .LBB372_1119
; %bb.1114:
	v_dual_mov_b32 v2, 0 :: v_dual_mov_b32 v12, 0
	v_mov_b32_e32 v5, v0
	s_and_b32 s0, s1, 28
	s_add_nc_u64 s[4:5], s[2:3], 0xc4
	s_mov_b32 s9, 0
	s_mov_b64 s[6:7], s[2:3]
.LBB372_1115:                           ; =>This Inner Loop Header: Depth=1
	s_clause 0x1
	s_load_b256 s[20:27], s[6:7], 0x4
	s_load_b128 s[28:31], s[6:7], 0x24
	s_load_b256 s[36:43], s[4:5], 0x0
	s_add_co_i32 s9, s9, 4
	s_wait_xcnt 0x0
	s_add_nc_u64 s[6:7], s[6:7], 48
	s_cmp_lg_u32 s0, s9
	s_add_nc_u64 s[4:5], s[4:5], 32
	s_wait_kmcnt 0x0
	v_mul_hi_u32 v3, s21, v5
	s_delay_alu instid0(VALU_DEP_1) | instskip(NEXT) | instid1(VALU_DEP_1)
	v_add_nc_u32_e32 v3, v5, v3
	v_lshrrev_b32_e32 v3, s22, v3
	s_wait_loadcnt 0x0
	s_delay_alu instid0(VALU_DEP_1) | instskip(SKIP_1) | instid1(VALU_DEP_1)
	v_mul_hi_u32 v7, s24, v3
	v_mul_lo_u32 v13, v3, s20
	v_dual_add_nc_u32 v7, v3, v7 :: v_dual_sub_nc_u32 v5, v5, v13
	s_delay_alu instid0(VALU_DEP_1) | instskip(NEXT) | instid1(VALU_DEP_2)
	v_lshrrev_b32_e32 v7, s25, v7
	v_mad_u32 v12, v5, s37, v12
	v_mad_u32 v2, v5, s36, v2
	s_delay_alu instid0(VALU_DEP_3) | instskip(NEXT) | instid1(VALU_DEP_1)
	v_mul_hi_u32 v11, s27, v7
	v_add_nc_u32_e32 v11, v7, v11
	s_delay_alu instid0(VALU_DEP_1) | instskip(NEXT) | instid1(VALU_DEP_1)
	v_lshrrev_b32_e32 v11, s28, v11
	v_mul_hi_u32 v14, s30, v11
	s_delay_alu instid0(VALU_DEP_1) | instskip(NEXT) | instid1(VALU_DEP_1)
	v_add_nc_u32_e32 v5, v11, v14
	v_lshrrev_b32_e32 v5, s31, v5
	v_mul_lo_u32 v13, v7, s23
	s_delay_alu instid0(VALU_DEP_1) | instskip(SKIP_1) | instid1(VALU_DEP_2)
	v_sub_nc_u32_e32 v3, v3, v13
	v_mul_lo_u32 v13, v11, s26
	v_mad_u32 v12, v3, s39, v12
	v_mad_u32 v2, v3, s38, v2
	s_delay_alu instid0(VALU_DEP_3) | instskip(SKIP_1) | instid1(VALU_DEP_2)
	v_sub_nc_u32_e32 v3, v7, v13
	v_mul_lo_u32 v7, v5, s29
	v_mad_u32 v12, v3, s41, v12
	s_delay_alu instid0(VALU_DEP_4) | instskip(NEXT) | instid1(VALU_DEP_3)
	v_mad_u32 v2, v3, s40, v2
	v_sub_nc_u32_e32 v3, v11, v7
	s_delay_alu instid0(VALU_DEP_1) | instskip(NEXT) | instid1(VALU_DEP_3)
	v_mad_u32 v12, v3, s43, v12
	v_mad_u32 v2, v3, s42, v2
	s_cbranch_scc1 .LBB372_1115
; %bb.1116:
	s_delay_alu instid0(VALU_DEP_2)
	v_mov_b32_e32 v3, v12
	s_and_b32 s6, s1, 3
	s_mov_b32 s1, 0
	s_cmp_eq_u32 s6, 0
	s_cbranch_scc0 .LBB372_1120
	s_branch .LBB372_1123
.LBB372_1117:
	s_mov_b32 s8, -1
                                        ; implicit-def: $vgpr12
                                        ; implicit-def: $vgpr2
	s_branch .LBB372_1123
.LBB372_1118:
	v_dual_mov_b32 v12, 0 :: v_dual_mov_b32 v2, 0
	s_branch .LBB372_1123
.LBB372_1119:
	v_mov_b64_e32 v[2:3], 0
	v_mov_b32_e32 v5, v0
	s_mov_b32 s0, 0
                                        ; implicit-def: $vgpr12
	s_and_b32 s6, s1, 3
	s_mov_b32 s1, 0
	s_cmp_eq_u32 s6, 0
	s_cbranch_scc1 .LBB372_1123
.LBB372_1120:
	s_lshl_b32 s4, s0, 3
	s_mov_b32 s5, s1
	s_mul_u64 s[14:15], s[0:1], 12
	s_add_nc_u64 s[4:5], s[2:3], s[4:5]
	s_delay_alu instid0(SALU_CYCLE_1)
	s_add_nc_u64 s[0:1], s[4:5], 0xc4
	s_add_nc_u64 s[4:5], s[2:3], s[14:15]
.LBB372_1121:                           ; =>This Inner Loop Header: Depth=1
	s_load_b96 s[16:18], s[4:5], 0x4
	s_load_b64 s[14:15], s[0:1], 0x0
	s_add_co_i32 s6, s6, -1
	s_wait_xcnt 0x0
	s_add_nc_u64 s[4:5], s[4:5], 12
	s_cmp_lg_u32 s6, 0
	s_add_nc_u64 s[0:1], s[0:1], 8
	s_wait_loadcnt 0x0
	s_wait_kmcnt 0x0
	v_mul_hi_u32 v7, s17, v5
	s_delay_alu instid0(VALU_DEP_1) | instskip(NEXT) | instid1(VALU_DEP_1)
	v_add_nc_u32_e32 v7, v5, v7
	v_lshrrev_b32_e32 v7, s18, v7
	s_delay_alu instid0(VALU_DEP_1) | instskip(NEXT) | instid1(VALU_DEP_1)
	v_mul_lo_u32 v11, v7, s16
	v_sub_nc_u32_e32 v5, v5, v11
	s_delay_alu instid0(VALU_DEP_1)
	v_mad_u32 v3, v5, s15, v3
	v_mad_u32 v2, v5, s14, v2
	v_mov_b32_e32 v5, v7
	s_cbranch_scc1 .LBB372_1121
; %bb.1122:
	s_delay_alu instid0(VALU_DEP_3)
	v_mov_b32_e32 v12, v3
.LBB372_1123:
	s_and_not1_b32 vcc_lo, exec_lo, s8
	s_cbranch_vccnz .LBB372_1126
; %bb.1124:
	s_clause 0x1
	s_load_b96 s[4:6], s[2:3], 0x4
	s_load_b64 s[0:1], s[2:3], 0xc4
	s_cmp_lt_u32 s19, 2
	s_wait_kmcnt 0x0
	v_mul_hi_u32 v2, s5, v0
	s_delay_alu instid0(VALU_DEP_1) | instskip(NEXT) | instid1(VALU_DEP_1)
	v_add_nc_u32_e32 v2, v0, v2
	v_lshrrev_b32_e32 v3, s6, v2
	s_delay_alu instid0(VALU_DEP_1) | instskip(NEXT) | instid1(VALU_DEP_1)
	v_mul_lo_u32 v2, v3, s4
	v_sub_nc_u32_e32 v0, v0, v2
	s_delay_alu instid0(VALU_DEP_1)
	v_mul_lo_u32 v12, v0, s1
	v_mul_lo_u32 v2, v0, s0
	s_cbranch_scc1 .LBB372_1126
; %bb.1125:
	s_clause 0x1
	s_load_b96 s[4:6], s[2:3], 0x10
	s_load_b64 s[0:1], s[2:3], 0xcc
	s_wait_kmcnt 0x0
	v_mul_hi_u32 v0, s5, v3
	s_delay_alu instid0(VALU_DEP_1) | instskip(NEXT) | instid1(VALU_DEP_1)
	v_add_nc_u32_e32 v0, v3, v0
	v_lshrrev_b32_e32 v0, s6, v0
	s_delay_alu instid0(VALU_DEP_1) | instskip(NEXT) | instid1(VALU_DEP_1)
	v_mul_lo_u32 v0, v0, s4
	v_sub_nc_u32_e32 v0, v3, v0
	s_delay_alu instid0(VALU_DEP_1)
	v_mad_u32 v2, v0, s0, v2
	v_mad_u32 v12, v0, s1, v12
.LBB372_1126:
	v_cmp_ne_u32_e32 vcc_lo, 1, v1
	s_cbranch_vccnz .LBB372_1132
; %bb.1127:
	s_cmp_lg_u32 s19, 0
	s_mov_b32 s8, 0
	s_cbranch_scc0 .LBB372_1133
; %bb.1128:
	s_min_u32 s1, s33, 15
	s_delay_alu instid0(SALU_CYCLE_1)
	s_add_co_i32 s1, s1, 1
	s_cmp_eq_u32 s33, 2
	s_cbranch_scc1 .LBB372_1134
; %bb.1129:
	v_dual_mov_b32 v0, 0 :: v_dual_mov_b32 v14, 0
	v_mov_b32_e32 v3, v9
	s_and_b32 s0, s1, 28
	s_add_nc_u64 s[4:5], s[2:3], 0xc4
	s_mov_b32 s9, 0
	s_mov_b64 s[6:7], s[2:3]
.LBB372_1130:                           ; =>This Inner Loop Header: Depth=1
	s_clause 0x1
	s_load_b256 s[20:27], s[6:7], 0x4
	s_load_b128 s[28:31], s[6:7], 0x24
	s_load_b256 s[36:43], s[4:5], 0x0
	s_add_co_i32 s9, s9, 4
	s_wait_xcnt 0x0
	s_add_nc_u64 s[6:7], s[6:7], 48
	s_cmp_lg_u32 s0, s9
	s_add_nc_u64 s[4:5], s[4:5], 32
	s_wait_kmcnt 0x0
	v_mul_hi_u32 v1, s21, v3
	s_delay_alu instid0(VALU_DEP_1) | instskip(NEXT) | instid1(VALU_DEP_1)
	v_add_nc_u32_e32 v1, v3, v1
	v_lshrrev_b32_e32 v1, s22, v1
	s_delay_alu instid0(VALU_DEP_1) | instskip(NEXT) | instid1(VALU_DEP_1)
	v_mul_lo_u32 v11, v1, s20
	v_sub_nc_u32_e32 v3, v3, v11
	v_mul_hi_u32 v5, s24, v1
	s_delay_alu instid0(VALU_DEP_2) | instskip(SKIP_1) | instid1(VALU_DEP_3)
	v_mad_u32 v14, v3, s37, v14
	v_mad_u32 v0, v3, s36, v0
	v_add_nc_u32_e32 v5, v1, v5
	s_delay_alu instid0(VALU_DEP_1) | instskip(NEXT) | instid1(VALU_DEP_1)
	v_lshrrev_b32_e32 v5, s25, v5
	v_mul_lo_u32 v11, v5, s23
	s_delay_alu instid0(VALU_DEP_1) | instskip(SKIP_2) | instid1(VALU_DEP_2)
	v_sub_nc_u32_e32 v1, v1, v11
	s_wait_loadcnt 0x0
	v_mul_hi_u32 v7, s27, v5
	v_mad_u32 v0, v1, s38, v0
	s_delay_alu instid0(VALU_DEP_2) | instskip(NEXT) | instid1(VALU_DEP_1)
	v_add_nc_u32_e32 v7, v5, v7
	v_lshrrev_b32_e32 v7, s28, v7
	s_delay_alu instid0(VALU_DEP_1) | instskip(SKIP_1) | instid1(VALU_DEP_2)
	v_mul_hi_u32 v13, s30, v7
	v_mul_lo_u32 v11, v7, s26
	v_add_nc_u32_e32 v3, v7, v13
	v_mad_u32 v13, v1, s39, v14
	s_delay_alu instid0(VALU_DEP_3) | instskip(NEXT) | instid1(VALU_DEP_3)
	v_sub_nc_u32_e32 v1, v5, v11
	v_lshrrev_b32_e32 v3, s31, v3
	s_delay_alu instid0(VALU_DEP_2) | instskip(NEXT) | instid1(VALU_DEP_2)
	v_mad_u32 v0, v1, s40, v0
	v_mul_lo_u32 v5, v3, s29
	v_mad_u32 v11, v1, s41, v13
	s_delay_alu instid0(VALU_DEP_2) | instskip(NEXT) | instid1(VALU_DEP_1)
	v_sub_nc_u32_e32 v1, v7, v5
	v_mad_u32 v14, v1, s43, v11
	v_mad_u32 v0, v1, s42, v0
	s_cbranch_scc1 .LBB372_1130
; %bb.1131:
	s_delay_alu instid0(VALU_DEP_2)
	v_mov_b32_e32 v1, v14
	s_and_b32 s6, s1, 3
	s_mov_b32 s1, 0
	s_cmp_eq_u32 s6, 0
	s_cbranch_scc0 .LBB372_1135
	s_branch .LBB372_1138
.LBB372_1132:
	s_mov_b32 s8, -1
                                        ; implicit-def: $vgpr14
                                        ; implicit-def: $vgpr0
	s_branch .LBB372_1138
.LBB372_1133:
	v_dual_mov_b32 v14, 0 :: v_dual_mov_b32 v0, 0
	s_branch .LBB372_1138
.LBB372_1134:
	v_mov_b64_e32 v[0:1], 0
	v_mov_b32_e32 v3, v9
	s_mov_b32 s0, 0
                                        ; implicit-def: $vgpr14
	s_and_b32 s6, s1, 3
	s_mov_b32 s1, 0
	s_cmp_eq_u32 s6, 0
	s_cbranch_scc1 .LBB372_1138
.LBB372_1135:
	s_lshl_b32 s4, s0, 3
	s_mov_b32 s5, s1
	s_mul_u64 s[14:15], s[0:1], 12
	s_add_nc_u64 s[4:5], s[2:3], s[4:5]
	s_delay_alu instid0(SALU_CYCLE_1)
	s_add_nc_u64 s[0:1], s[4:5], 0xc4
	s_add_nc_u64 s[4:5], s[2:3], s[14:15]
.LBB372_1136:                           ; =>This Inner Loop Header: Depth=1
	s_load_b96 s[16:18], s[4:5], 0x4
	s_load_b64 s[14:15], s[0:1], 0x0
	s_add_co_i32 s6, s6, -1
	s_wait_xcnt 0x0
	s_add_nc_u64 s[4:5], s[4:5], 12
	s_cmp_lg_u32 s6, 0
	s_add_nc_u64 s[0:1], s[0:1], 8
	s_wait_kmcnt 0x0
	v_mul_hi_u32 v5, s17, v3
	s_delay_alu instid0(VALU_DEP_1) | instskip(NEXT) | instid1(VALU_DEP_1)
	v_add_nc_u32_e32 v5, v3, v5
	v_lshrrev_b32_e32 v5, s18, v5
	s_wait_loadcnt 0x0
	s_delay_alu instid0(VALU_DEP_1) | instskip(NEXT) | instid1(VALU_DEP_1)
	v_mul_lo_u32 v7, v5, s16
	v_sub_nc_u32_e32 v3, v3, v7
	s_delay_alu instid0(VALU_DEP_1)
	v_mad_u32 v1, v3, s15, v1
	v_mad_u32 v0, v3, s14, v0
	v_mov_b32_e32 v3, v5
	s_cbranch_scc1 .LBB372_1136
; %bb.1137:
	s_delay_alu instid0(VALU_DEP_3)
	v_mov_b32_e32 v14, v1
.LBB372_1138:
	s_and_not1_b32 vcc_lo, exec_lo, s8
	s_cbranch_vccnz .LBB372_1141
; %bb.1139:
	s_clause 0x1
	s_load_b96 s[4:6], s[2:3], 0x4
	s_load_b64 s[0:1], s[2:3], 0xc4
	s_cmp_lt_u32 s19, 2
	s_wait_kmcnt 0x0
	v_mul_hi_u32 v0, s5, v9
	s_delay_alu instid0(VALU_DEP_1) | instskip(NEXT) | instid1(VALU_DEP_1)
	v_add_nc_u32_e32 v0, v9, v0
	v_lshrrev_b32_e32 v1, s6, v0
	s_delay_alu instid0(VALU_DEP_1) | instskip(NEXT) | instid1(VALU_DEP_1)
	v_mul_lo_u32 v0, v1, s4
	v_sub_nc_u32_e32 v0, v9, v0
	s_delay_alu instid0(VALU_DEP_1)
	v_mul_lo_u32 v14, v0, s1
	v_mul_lo_u32 v0, v0, s0
	s_cbranch_scc1 .LBB372_1141
; %bb.1140:
	s_clause 0x1
	s_load_b96 s[4:6], s[2:3], 0x10
	s_load_b64 s[0:1], s[2:3], 0xcc
	s_wait_kmcnt 0x0
	v_mul_hi_u32 v3, s5, v1
	s_delay_alu instid0(VALU_DEP_1) | instskip(NEXT) | instid1(VALU_DEP_1)
	v_add_nc_u32_e32 v3, v1, v3
	v_lshrrev_b32_e32 v3, s6, v3
	s_delay_alu instid0(VALU_DEP_1) | instskip(NEXT) | instid1(VALU_DEP_1)
	v_mul_lo_u32 v3, v3, s4
	v_sub_nc_u32_e32 v1, v1, v3
	s_delay_alu instid0(VALU_DEP_1)
	v_mad_u32 v0, v1, s0, v0
	v_mad_u32 v14, v1, s1, v14
.LBB372_1141:
	v_mov_b32_e32 v9, 0
	s_load_b128 s[4:7], s[2:3], 0x148
	global_load_u8 v1, v9, s[2:3] offset:361
	s_wait_kmcnt 0x0
	v_add_nc_u64_e32 v[16:17], s[6:7], v[8:9]
	s_wait_loadcnt 0x0
	v_and_b32_e32 v3, 0xffff, v1
	v_readfirstlane_b32 s0, v1
	s_delay_alu instid0(VALU_DEP_2)
	v_cmp_gt_i32_e32 vcc_lo, 11, v3
	s_cbranch_vccnz .LBB372_1148
; %bb.1142:
	s_and_b32 s1, 0xffff, s0
	s_mov_b32 s9, 0
	s_cmp_gt_i32 s1, 25
	s_cbranch_scc0 .LBB372_1150
; %bb.1143:
	s_cmp_gt_i32 s1, 28
	s_cbranch_scc0 .LBB372_1151
; %bb.1144:
	;; [unrolled: 3-line block ×4, first 2 shown]
	s_cmp_eq_u32 s1, 46
	s_mov_b32 s13, 0
	s_cbranch_scc0 .LBB372_1156
; %bb.1147:
	global_load_b32 v1, v[16:17], off
	s_mov_b32 s8, 0
	s_mov_b32 s10, -1
	s_wait_loadcnt 0x0
	v_lshlrev_b32_e32 v1, 16, v1
	s_delay_alu instid0(VALU_DEP_1) | instskip(NEXT) | instid1(VALU_DEP_1)
	v_trunc_f32_e32 v1, v1
	v_mul_f32_e32 v3, 0x2f800000, v1
	s_delay_alu instid0(VALU_DEP_1) | instskip(NEXT) | instid1(VALU_DEP_1)
	v_floor_f32_e32 v3, v3
	v_fmamk_f32 v1, v3, 0xcf800000, v1
	s_wait_xcnt 0x1
	v_cvt_u32_f32_e32 v9, v3
	s_delay_alu instid0(VALU_DEP_2)
	v_cvt_u32_f32_e32 v8, v1
	s_branch .LBB372_1158
.LBB372_1148:
	s_mov_b32 s10, 0
	s_mov_b32 s1, s11
                                        ; implicit-def: $vgpr8_vgpr9
	s_cbranch_execnz .LBB372_1216
.LBB372_1149:
	s_and_not1_b32 vcc_lo, exec_lo, s10
	s_cbranch_vccz .LBB372_1261
	s_branch .LBB372_2072
.LBB372_1150:
	s_mov_b32 s10, 0
	s_mov_b32 s8, 0
                                        ; implicit-def: $vgpr8_vgpr9
	s_cbranch_execnz .LBB372_1183
	s_branch .LBB372_1212
.LBB372_1151:
	s_mov_b32 s10, 0
	s_mov_b32 s8, 0
                                        ; implicit-def: $vgpr8_vgpr9
	s_cbranch_execz .LBB372_1182
	s_branch .LBB372_1167
.LBB372_1152:
	s_mov_b32 s10, 0
	s_mov_b32 s8, 0
                                        ; implicit-def: $vgpr8_vgpr9
	s_cbranch_execnz .LBB372_1163
	s_branch .LBB372_1166
.LBB372_1153:
	s_mov_b32 s13, -1
	s_mov_b32 s10, 0
	s_mov_b32 s8, 0
	s_branch .LBB372_1157
.LBB372_1154:
	s_and_not1_saveexec_b32 s10, s10
	s_cbranch_execz .LBB372_993
.LBB372_1155:
	v_add_f32_e32 v2, 0x46000000, v3
	s_and_not1_b32 s9, s9, exec_lo
	s_delay_alu instid0(VALU_DEP_1) | instskip(NEXT) | instid1(VALU_DEP_1)
	v_and_b32_e32 v2, 0xff, v2
	v_cmp_ne_u32_e32 vcc_lo, 0, v2
	s_and_b32 s11, vcc_lo, exec_lo
	s_delay_alu instid0(SALU_CYCLE_1)
	s_or_b32 s9, s9, s11
	s_or_b32 exec_lo, exec_lo, s10
	v_mov_b32_e32 v4, 0
	s_and_saveexec_b32 s10, s9
	s_cbranch_execnz .LBB372_994
	s_branch .LBB372_995
.LBB372_1156:
	s_mov_b32 s8, -1
	s_mov_b32 s10, 0
.LBB372_1157:
                                        ; implicit-def: $vgpr8_vgpr9
.LBB372_1158:
	s_and_b32 vcc_lo, exec_lo, s13
	s_cbranch_vccz .LBB372_1161
; %bb.1159:
	s_cmp_eq_u32 s1, 44
	s_cbranch_scc0 .LBB372_1162
; %bb.1160:
	global_load_u8 v1, v[16:17], off
	s_mov_b32 s8, 0
	s_mov_b32 s10, -1
	s_wait_loadcnt 0x0
	v_lshlrev_b32_e32 v3, 23, v1
	v_cmp_ne_u32_e32 vcc_lo, 0, v1
	s_delay_alu instid0(VALU_DEP_2) | instskip(NEXT) | instid1(VALU_DEP_1)
	v_trunc_f32_e32 v3, v3
	v_mul_f32_e32 v5, 0x2f800000, v3
	s_delay_alu instid0(VALU_DEP_1) | instskip(NEXT) | instid1(VALU_DEP_1)
	v_floor_f32_e32 v5, v5
	v_fmamk_f32 v3, v5, 0xcf800000, v3
	v_cvt_u32_f32_e32 v5, v5
	s_delay_alu instid0(VALU_DEP_2) | instskip(SKIP_1) | instid1(VALU_DEP_1)
	v_cvt_u32_f32_e32 v3, v3
	s_wait_xcnt 0x1
	v_dual_cndmask_b32 v9, 0, v5 :: v_dual_cndmask_b32 v8, 0, v3
.LBB372_1161:
	s_branch .LBB372_1166
.LBB372_1162:
	s_mov_b32 s8, -1
                                        ; implicit-def: $vgpr8_vgpr9
	s_branch .LBB372_1166
.LBB372_1163:
	s_cmp_eq_u32 s1, 29
	s_cbranch_scc0 .LBB372_1165
; %bb.1164:
	global_load_b64 v[8:9], v[16:17], off
	s_mov_b32 s8, 0
	s_mov_b32 s10, -1
	s_branch .LBB372_1166
.LBB372_1165:
	s_mov_b32 s8, -1
                                        ; implicit-def: $vgpr8_vgpr9
.LBB372_1166:
	s_branch .LBB372_1182
.LBB372_1167:
	s_cmp_lt_i32 s1, 27
	s_cbranch_scc1 .LBB372_1170
; %bb.1168:
	s_cmp_gt_i32 s1, 27
	s_cbranch_scc0 .LBB372_1171
; %bb.1169:
	s_wait_loadcnt 0x0
	global_load_b32 v8, v[16:17], off
	s_wait_xcnt 0x1
	v_mov_b32_e32 v9, 0
	s_mov_b32 s10, 0
	s_branch .LBB372_1172
.LBB372_1170:
	s_mov_b32 s10, -1
                                        ; implicit-def: $vgpr8_vgpr9
	s_branch .LBB372_1175
.LBB372_1171:
	s_mov_b32 s10, -1
                                        ; implicit-def: $vgpr8_vgpr9
.LBB372_1172:
	s_delay_alu instid0(SALU_CYCLE_1)
	s_and_not1_b32 vcc_lo, exec_lo, s10
	s_cbranch_vccnz .LBB372_1174
; %bb.1173:
	global_load_u16 v1, v[16:17], off
	s_mov_b32 s10, 0
	s_wait_loadcnt 0x1
	s_wait_xcnt 0x1
	v_mov_b32_e32 v9, s10
	s_wait_loadcnt 0x0
	v_and_b32_e32 v8, 0xffff, v1
.LBB372_1174:
	s_mov_b32 s10, 0
.LBB372_1175:
	s_delay_alu instid0(SALU_CYCLE_1)
	s_and_not1_b32 vcc_lo, exec_lo, s10
	s_cbranch_vccnz .LBB372_1181
; %bb.1176:
	global_load_u8 v1, v[16:17], off
	s_mov_b32 s13, 0
	s_mov_b32 s10, exec_lo
	s_wait_loadcnt 0x0
	v_cmpx_lt_i16_e32 0x7f, v1
	s_xor_b32 s10, exec_lo, s10
	s_cbranch_execz .LBB372_1192
; %bb.1177:
	v_cmp_ne_u16_e32 vcc_lo, 0x80, v1
	s_and_b32 s13, vcc_lo, exec_lo
	s_and_not1_saveexec_b32 s10, s10
	s_cbranch_execnz .LBB372_1193
.LBB372_1178:
	s_or_b32 exec_lo, exec_lo, s10
	v_mov_b64_e32 v[8:9], 0
	s_and_saveexec_b32 s10, s13
	s_cbranch_execz .LBB372_1180
.LBB372_1179:
	v_and_b32_e32 v3, 0xffff, v1
	s_delay_alu instid0(VALU_DEP_1) | instskip(SKIP_1) | instid1(VALU_DEP_2)
	v_dual_lshlrev_b32 v1, 24, v1 :: v_dual_bitop2_b32 v5, 7, v3 bitop3:0x40
	v_bfe_u32 v9, v3, 3, 4
	v_and_b32_e32 v1, 0x80000000, v1
	s_delay_alu instid0(VALU_DEP_3) | instskip(NEXT) | instid1(VALU_DEP_3)
	v_clz_i32_u32_e32 v7, v5
	v_cmp_eq_u32_e32 vcc_lo, 0, v9
	s_delay_alu instid0(VALU_DEP_2) | instskip(NEXT) | instid1(VALU_DEP_1)
	v_min_u32_e32 v7, 32, v7
	v_subrev_nc_u32_e32 v8, 28, v7
	v_sub_nc_u32_e32 v7, 29, v7
	s_delay_alu instid0(VALU_DEP_2) | instskip(NEXT) | instid1(VALU_DEP_2)
	v_lshlrev_b32_e32 v3, v8, v3
	v_cndmask_b32_e32 v7, v9, v7, vcc_lo
	s_delay_alu instid0(VALU_DEP_2) | instskip(NEXT) | instid1(VALU_DEP_1)
	v_and_b32_e32 v3, 7, v3
	v_cndmask_b32_e32 v3, v5, v3, vcc_lo
	s_delay_alu instid0(VALU_DEP_3) | instskip(NEXT) | instid1(VALU_DEP_2)
	v_lshl_add_u32 v5, v7, 23, 0x3b800000
	v_lshlrev_b32_e32 v3, 20, v3
	s_delay_alu instid0(VALU_DEP_1) | instskip(NEXT) | instid1(VALU_DEP_1)
	v_or3_b32 v1, v1, v5, v3
	v_trunc_f32_e32 v1, v1
	s_delay_alu instid0(VALU_DEP_1) | instskip(NEXT) | instid1(VALU_DEP_1)
	v_mul_f32_e32 v3, 0x2f800000, v1
	v_floor_f32_e32 v3, v3
	s_delay_alu instid0(VALU_DEP_1) | instskip(SKIP_1) | instid1(VALU_DEP_2)
	v_fmamk_f32 v1, v3, 0xcf800000, v1
	v_cvt_u32_f32_e32 v9, v3
	v_cvt_u32_f32_e32 v8, v1
.LBB372_1180:
	s_or_b32 exec_lo, exec_lo, s10
.LBB372_1181:
	s_mov_b32 s10, -1
.LBB372_1182:
	s_branch .LBB372_1212
.LBB372_1183:
	s_cmp_gt_i32 s1, 22
	s_cbranch_scc0 .LBB372_1191
; %bb.1184:
	s_cmp_lt_i32 s1, 24
	s_cbranch_scc1 .LBB372_1194
; %bb.1185:
	s_cmp_gt_i32 s1, 24
	s_cbranch_scc0 .LBB372_1195
; %bb.1186:
	global_load_u8 v1, v[16:17], off
	s_mov_b32 s10, 0
	s_mov_b32 s9, exec_lo
	s_wait_loadcnt 0x0
	v_cmpx_lt_i16_e32 0x7f, v1
	s_xor_b32 s9, exec_lo, s9
	s_cbranch_execz .LBB372_1206
; %bb.1187:
	v_cmp_ne_u16_e32 vcc_lo, 0x80, v1
	s_and_b32 s10, vcc_lo, exec_lo
	s_and_not1_saveexec_b32 s9, s9
	s_cbranch_execnz .LBB372_1207
.LBB372_1188:
	s_or_b32 exec_lo, exec_lo, s9
	v_mov_b64_e32 v[8:9], 0
	s_and_saveexec_b32 s9, s10
	s_cbranch_execz .LBB372_1190
.LBB372_1189:
	v_and_b32_e32 v3, 0xffff, v1
	s_delay_alu instid0(VALU_DEP_1) | instskip(SKIP_1) | instid1(VALU_DEP_2)
	v_dual_lshlrev_b32 v1, 24, v1 :: v_dual_bitop2_b32 v5, 3, v3 bitop3:0x40
	v_bfe_u32 v9, v3, 2, 5
	v_and_b32_e32 v1, 0x80000000, v1
	s_delay_alu instid0(VALU_DEP_3) | instskip(NEXT) | instid1(VALU_DEP_3)
	v_clz_i32_u32_e32 v7, v5
	v_cmp_eq_u32_e32 vcc_lo, 0, v9
	s_delay_alu instid0(VALU_DEP_2) | instskip(NEXT) | instid1(VALU_DEP_1)
	v_min_u32_e32 v7, 32, v7
	v_subrev_nc_u32_e32 v8, 29, v7
	v_sub_nc_u32_e32 v7, 30, v7
	s_delay_alu instid0(VALU_DEP_2) | instskip(NEXT) | instid1(VALU_DEP_2)
	v_lshlrev_b32_e32 v3, v8, v3
	v_cndmask_b32_e32 v7, v9, v7, vcc_lo
	s_delay_alu instid0(VALU_DEP_2) | instskip(NEXT) | instid1(VALU_DEP_1)
	v_and_b32_e32 v3, 3, v3
	v_cndmask_b32_e32 v3, v5, v3, vcc_lo
	s_delay_alu instid0(VALU_DEP_3) | instskip(NEXT) | instid1(VALU_DEP_2)
	v_lshl_add_u32 v5, v7, 23, 0x37800000
	v_lshlrev_b32_e32 v3, 21, v3
	s_delay_alu instid0(VALU_DEP_1) | instskip(NEXT) | instid1(VALU_DEP_1)
	v_or3_b32 v1, v1, v5, v3
	v_trunc_f32_e32 v1, v1
	s_delay_alu instid0(VALU_DEP_1) | instskip(NEXT) | instid1(VALU_DEP_1)
	v_mul_f32_e32 v3, 0x2f800000, v1
	v_floor_f32_e32 v3, v3
	s_delay_alu instid0(VALU_DEP_1) | instskip(SKIP_1) | instid1(VALU_DEP_2)
	v_fmamk_f32 v1, v3, 0xcf800000, v1
	v_cvt_u32_f32_e32 v9, v3
	v_cvt_u32_f32_e32 v8, v1
.LBB372_1190:
	s_or_b32 exec_lo, exec_lo, s9
	s_mov_b32 s9, 0
	s_branch .LBB372_1196
.LBB372_1191:
                                        ; implicit-def: $vgpr8_vgpr9
	s_mov_b32 s9, 0
	s_branch .LBB372_1202
.LBB372_1192:
	s_and_not1_saveexec_b32 s10, s10
	s_cbranch_execz .LBB372_1178
.LBB372_1193:
	v_cmp_ne_u16_e32 vcc_lo, 0, v1
	s_and_not1_b32 s13, s13, exec_lo
	s_and_b32 s14, vcc_lo, exec_lo
	s_delay_alu instid0(SALU_CYCLE_1)
	s_or_b32 s13, s13, s14
	s_or_b32 exec_lo, exec_lo, s10
	v_mov_b64_e32 v[8:9], 0
	s_and_saveexec_b32 s10, s13
	s_cbranch_execnz .LBB372_1179
	s_branch .LBB372_1180
.LBB372_1194:
	s_mov_b32 s9, -1
                                        ; implicit-def: $vgpr8_vgpr9
	s_branch .LBB372_1199
.LBB372_1195:
	s_mov_b32 s9, -1
                                        ; implicit-def: $vgpr8_vgpr9
.LBB372_1196:
	s_delay_alu instid0(SALU_CYCLE_1)
	s_and_b32 vcc_lo, exec_lo, s9
	s_cbranch_vccz .LBB372_1198
; %bb.1197:
	global_load_u8 v1, v[16:17], off
	s_wait_loadcnt 0x0
	v_lshlrev_b32_e32 v1, 24, v1
	s_delay_alu instid0(VALU_DEP_1) | instskip(NEXT) | instid1(VALU_DEP_1)
	v_and_b32_e32 v3, 0x7f000000, v1
	v_clz_i32_u32_e32 v5, v3
	v_cmp_ne_u32_e32 vcc_lo, 0, v3
	v_add_nc_u32_e32 v8, 0x1000000, v3
	s_delay_alu instid0(VALU_DEP_3) | instskip(NEXT) | instid1(VALU_DEP_1)
	v_min_u32_e32 v5, 32, v5
	v_sub_nc_u32_e64 v5, v5, 4 clamp
	s_delay_alu instid0(VALU_DEP_1) | instskip(NEXT) | instid1(VALU_DEP_1)
	v_dual_lshlrev_b32 v7, v5, v3 :: v_dual_lshlrev_b32 v5, 23, v5
	v_lshrrev_b32_e32 v7, 4, v7
	s_delay_alu instid0(VALU_DEP_1) | instskip(NEXT) | instid1(VALU_DEP_1)
	v_dual_sub_nc_u32 v5, v7, v5 :: v_dual_ashrrev_i32 v7, 8, v8
	v_add_nc_u32_e32 v5, 0x3c000000, v5
	s_delay_alu instid0(VALU_DEP_1) | instskip(NEXT) | instid1(VALU_DEP_1)
	v_and_or_b32 v5, 0x7f800000, v7, v5
	v_cndmask_b32_e32 v3, 0, v5, vcc_lo
	s_delay_alu instid0(VALU_DEP_1) | instskip(NEXT) | instid1(VALU_DEP_1)
	v_and_or_b32 v1, 0x80000000, v1, v3
	v_trunc_f32_e32 v1, v1
	s_delay_alu instid0(VALU_DEP_1) | instskip(NEXT) | instid1(VALU_DEP_1)
	v_mul_f32_e32 v3, 0x2f800000, v1
	v_floor_f32_e32 v3, v3
	s_delay_alu instid0(VALU_DEP_1) | instskip(SKIP_2) | instid1(VALU_DEP_2)
	v_fmamk_f32 v1, v3, 0xcf800000, v1
	s_wait_xcnt 0x1
	v_cvt_u32_f32_e32 v9, v3
	v_cvt_u32_f32_e32 v8, v1
.LBB372_1198:
	s_mov_b32 s9, 0
.LBB372_1199:
	s_delay_alu instid0(SALU_CYCLE_1)
	s_and_not1_b32 vcc_lo, exec_lo, s9
	s_cbranch_vccnz .LBB372_1201
; %bb.1200:
	global_load_u8 v1, v[16:17], off
	s_wait_loadcnt 0x0
	v_lshlrev_b32_e32 v3, 25, v1
	v_lshlrev_b16 v1, 8, v1
	s_delay_alu instid0(VALU_DEP_1) | instskip(SKIP_1) | instid1(VALU_DEP_2)
	v_and_or_b32 v7, 0x7f00, v1, 0.5
	v_bfe_i32 v1, v1, 0, 16
	v_add_f32_e32 v7, -0.5, v7
	v_lshrrev_b32_e32 v5, 4, v3
	v_cmp_gt_u32_e32 vcc_lo, 0x8000000, v3
	s_delay_alu instid0(VALU_DEP_2) | instskip(NEXT) | instid1(VALU_DEP_1)
	v_or_b32_e32 v5, 0x70000000, v5
	v_mul_f32_e32 v5, 0x7800000, v5
	s_delay_alu instid0(VALU_DEP_1) | instskip(NEXT) | instid1(VALU_DEP_1)
	v_cndmask_b32_e32 v3, v5, v7, vcc_lo
	v_and_or_b32 v1, 0x80000000, v1, v3
	s_delay_alu instid0(VALU_DEP_1) | instskip(NEXT) | instid1(VALU_DEP_1)
	v_trunc_f32_e32 v1, v1
	v_mul_f32_e32 v3, 0x2f800000, v1
	s_delay_alu instid0(VALU_DEP_1) | instskip(NEXT) | instid1(VALU_DEP_1)
	v_floor_f32_e32 v3, v3
	v_fmamk_f32 v1, v3, 0xcf800000, v1
	s_wait_xcnt 0x1
	v_cvt_u32_f32_e32 v9, v3
	s_delay_alu instid0(VALU_DEP_2)
	v_cvt_u32_f32_e32 v8, v1
.LBB372_1201:
	s_mov_b32 s10, -1
	s_mov_b32 s9, 0
	s_cbranch_execnz .LBB372_1212
.LBB372_1202:
	s_cmp_gt_i32 s1, 14
	s_cbranch_scc0 .LBB372_1205
; %bb.1203:
	s_cmp_eq_u32 s1, 15
	s_cbranch_scc0 .LBB372_1208
; %bb.1204:
	global_load_u16 v1, v[16:17], off
	s_mov_b32 s8, 0
	s_mov_b32 s10, -1
	s_wait_loadcnt 0x0
	v_lshlrev_b32_e32 v1, 16, v1
	s_delay_alu instid0(VALU_DEP_1) | instskip(NEXT) | instid1(VALU_DEP_1)
	v_trunc_f32_e32 v1, v1
	v_mul_f32_e32 v3, 0x2f800000, v1
	s_delay_alu instid0(VALU_DEP_1) | instskip(NEXT) | instid1(VALU_DEP_1)
	v_floor_f32_e32 v3, v3
	v_fmamk_f32 v1, v3, 0xcf800000, v1
	s_wait_xcnt 0x1
	v_cvt_u32_f32_e32 v9, v3
	s_delay_alu instid0(VALU_DEP_2)
	v_cvt_u32_f32_e32 v8, v1
	s_branch .LBB372_1210
.LBB372_1205:
	s_mov_b32 s9, -1
	s_branch .LBB372_1209
.LBB372_1206:
	s_and_not1_saveexec_b32 s9, s9
	s_cbranch_execz .LBB372_1188
.LBB372_1207:
	v_cmp_ne_u16_e32 vcc_lo, 0, v1
	s_and_not1_b32 s10, s10, exec_lo
	s_and_b32 s13, vcc_lo, exec_lo
	s_delay_alu instid0(SALU_CYCLE_1)
	s_or_b32 s10, s10, s13
	s_or_b32 exec_lo, exec_lo, s9
	v_mov_b64_e32 v[8:9], 0
	s_and_saveexec_b32 s9, s10
	s_cbranch_execnz .LBB372_1189
	s_branch .LBB372_1190
.LBB372_1208:
	s_mov_b32 s8, -1
.LBB372_1209:
                                        ; implicit-def: $vgpr8_vgpr9
.LBB372_1210:
	s_and_b32 vcc_lo, exec_lo, s9
	s_mov_b32 s9, 0
	s_cbranch_vccz .LBB372_1212
; %bb.1211:
	s_cmp_lg_u32 s1, 11
	s_mov_b32 s9, -1
	s_cselect_b32 s8, -1, 0
.LBB372_1212:
	s_delay_alu instid0(SALU_CYCLE_1)
	s_and_b32 vcc_lo, exec_lo, s8
	s_mov_b32 s1, s11
	s_cbranch_vccnz .LBB372_1273
; %bb.1213:
	s_and_not1_b32 vcc_lo, exec_lo, s9
	s_cbranch_vccnz .LBB372_1215
.LBB372_1214:
	global_load_u8 v1, v[16:17], off
	s_mov_b32 s8, 0
	s_mov_b32 s10, -1
	s_wait_loadcnt 0x1
	s_wait_xcnt 0x1
	v_mov_b32_e32 v9, s8
	s_wait_loadcnt 0x0
	v_cmp_ne_u16_e32 vcc_lo, 0, v1
	v_cndmask_b32_e64 v8, 0, 1, vcc_lo
.LBB372_1215:
	s_branch .LBB372_1149
.LBB372_1216:
	s_and_b32 s8, 0xffff, s0
	s_delay_alu instid0(SALU_CYCLE_1)
	s_cmp_lt_i32 s8, 5
	s_cbranch_scc1 .LBB372_1221
; %bb.1217:
	s_cmp_lt_i32 s8, 8
	s_cbranch_scc1 .LBB372_1222
; %bb.1218:
	;; [unrolled: 3-line block ×3, first 2 shown]
	s_cmp_gt_i32 s8, 9
	s_cbranch_scc0 .LBB372_1224
; %bb.1220:
	s_wait_loadcnt 0x0
	global_load_b64 v[8:9], v[16:17], off
	s_mov_b32 s9, 0
	s_wait_loadcnt 0x0
	v_trunc_f64_e32 v[8:9], v[8:9]
	s_delay_alu instid0(VALU_DEP_1) | instskip(NEXT) | instid1(VALU_DEP_1)
	v_ldexp_f64 v[18:19], v[8:9], 0xffffffe0
	v_floor_f64_e32 v[18:19], v[18:19]
	s_delay_alu instid0(VALU_DEP_1) | instskip(SKIP_1) | instid1(VALU_DEP_2)
	v_fmamk_f64 v[20:21], v[18:19], 0xc1f00000, v[8:9]
	v_cvt_u32_f64_e32 v9, v[18:19]
	v_cvt_u32_f64_e32 v8, v[20:21]
	s_branch .LBB372_1225
.LBB372_1221:
                                        ; implicit-def: $vgpr8_vgpr9
	s_branch .LBB372_1242
.LBB372_1222:
                                        ; implicit-def: $vgpr8_vgpr9
	s_branch .LBB372_1231
.LBB372_1223:
	s_mov_b32 s9, -1
                                        ; implicit-def: $vgpr8_vgpr9
	s_branch .LBB372_1228
.LBB372_1224:
	s_mov_b32 s9, -1
                                        ; implicit-def: $vgpr8_vgpr9
.LBB372_1225:
	s_delay_alu instid0(SALU_CYCLE_1)
	s_and_not1_b32 vcc_lo, exec_lo, s9
	s_cbranch_vccnz .LBB372_1227
; %bb.1226:
	global_load_b32 v1, v[16:17], off
	s_wait_loadcnt 0x0
	v_trunc_f32_e32 v1, v1
	s_delay_alu instid0(VALU_DEP_1) | instskip(NEXT) | instid1(VALU_DEP_1)
	v_mul_f32_e32 v3, 0x2f800000, v1
	v_floor_f32_e32 v3, v3
	s_delay_alu instid0(VALU_DEP_1) | instskip(SKIP_2) | instid1(VALU_DEP_2)
	v_fmamk_f32 v1, v3, 0xcf800000, v1
	s_wait_xcnt 0x1
	v_cvt_u32_f32_e32 v9, v3
	v_cvt_u32_f32_e32 v8, v1
.LBB372_1227:
	s_mov_b32 s9, 0
.LBB372_1228:
	s_delay_alu instid0(SALU_CYCLE_1)
	s_and_not1_b32 vcc_lo, exec_lo, s9
	s_cbranch_vccnz .LBB372_1230
; %bb.1229:
	global_load_b32 v1, v[16:17], off
	s_wait_loadcnt 0x1
	s_wait_xcnt 0x1
	v_mov_b32_e32 v9, 0
	s_wait_loadcnt 0x0
	v_cvt_f32_f16_e32 v1, v1
	s_delay_alu instid0(VALU_DEP_1)
	v_cvt_u32_f32_e32 v8, v1
.LBB372_1230:
	s_cbranch_execnz .LBB372_1241
.LBB372_1231:
	s_cmp_lt_i32 s8, 6
	s_cbranch_scc1 .LBB372_1234
; %bb.1232:
	s_cmp_gt_i32 s8, 6
	s_cbranch_scc0 .LBB372_1235
; %bb.1233:
	s_wait_loadcnt 0x0
	global_load_b64 v[8:9], v[16:17], off
	s_mov_b32 s9, 0
	s_wait_loadcnt 0x0
	v_trunc_f64_e32 v[8:9], v[8:9]
	s_delay_alu instid0(VALU_DEP_1) | instskip(NEXT) | instid1(VALU_DEP_1)
	v_ldexp_f64 v[18:19], v[8:9], 0xffffffe0
	v_floor_f64_e32 v[18:19], v[18:19]
	s_delay_alu instid0(VALU_DEP_1) | instskip(SKIP_1) | instid1(VALU_DEP_2)
	v_fmamk_f64 v[20:21], v[18:19], 0xc1f00000, v[8:9]
	v_cvt_u32_f64_e32 v9, v[18:19]
	v_cvt_u32_f64_e32 v8, v[20:21]
	s_branch .LBB372_1236
.LBB372_1234:
	s_mov_b32 s9, -1
                                        ; implicit-def: $vgpr8_vgpr9
	s_branch .LBB372_1239
.LBB372_1235:
	s_mov_b32 s9, -1
                                        ; implicit-def: $vgpr8_vgpr9
.LBB372_1236:
	s_delay_alu instid0(SALU_CYCLE_1)
	s_and_not1_b32 vcc_lo, exec_lo, s9
	s_cbranch_vccnz .LBB372_1238
; %bb.1237:
	global_load_b32 v1, v[16:17], off
	s_wait_loadcnt 0x0
	v_trunc_f32_e32 v1, v1
	s_delay_alu instid0(VALU_DEP_1) | instskip(NEXT) | instid1(VALU_DEP_1)
	v_mul_f32_e32 v3, 0x2f800000, v1
	v_floor_f32_e32 v3, v3
	s_delay_alu instid0(VALU_DEP_1) | instskip(SKIP_2) | instid1(VALU_DEP_2)
	v_fmamk_f32 v1, v3, 0xcf800000, v1
	s_wait_xcnt 0x1
	v_cvt_u32_f32_e32 v9, v3
	v_cvt_u32_f32_e32 v8, v1
.LBB372_1238:
	s_mov_b32 s9, 0
.LBB372_1239:
	s_delay_alu instid0(SALU_CYCLE_1)
	s_and_not1_b32 vcc_lo, exec_lo, s9
	s_cbranch_vccnz .LBB372_1241
; %bb.1240:
	global_load_u16 v1, v[16:17], off
	s_wait_loadcnt 0x1
	s_wait_xcnt 0x1
	v_mov_b32_e32 v9, 0
	s_wait_loadcnt 0x0
	v_cvt_f32_f16_e32 v1, v1
	s_delay_alu instid0(VALU_DEP_1)
	v_cvt_u32_f32_e32 v8, v1
.LBB372_1241:
	s_cbranch_execnz .LBB372_1260
.LBB372_1242:
	s_cmp_lt_i32 s8, 2
	s_cbranch_scc1 .LBB372_1246
; %bb.1243:
	s_cmp_lt_i32 s8, 3
	s_cbranch_scc1 .LBB372_1247
; %bb.1244:
	s_cmp_gt_i32 s8, 3
	s_cbranch_scc0 .LBB372_1248
; %bb.1245:
	s_wait_loadcnt 0x0
	global_load_b64 v[8:9], v[16:17], off
	s_mov_b32 s9, 0
	s_branch .LBB372_1249
.LBB372_1246:
                                        ; implicit-def: $vgpr8_vgpr9
	s_branch .LBB372_1255
.LBB372_1247:
	s_mov_b32 s9, -1
                                        ; implicit-def: $vgpr8_vgpr9
	s_branch .LBB372_1252
.LBB372_1248:
	s_mov_b32 s9, -1
                                        ; implicit-def: $vgpr8_vgpr9
.LBB372_1249:
	s_delay_alu instid0(SALU_CYCLE_1)
	s_and_not1_b32 vcc_lo, exec_lo, s9
	s_cbranch_vccnz .LBB372_1251
; %bb.1250:
	s_wait_loadcnt 0x0
	global_load_b32 v8, v[16:17], off
	s_wait_loadcnt 0x0
	s_wait_xcnt 0x1
	v_ashrrev_i32_e32 v9, 31, v8
.LBB372_1251:
	s_mov_b32 s9, 0
.LBB372_1252:
	s_delay_alu instid0(SALU_CYCLE_1)
	s_and_not1_b32 vcc_lo, exec_lo, s9
	s_cbranch_vccnz .LBB372_1254
; %bb.1253:
	global_load_u16 v1, v[16:17], off
	s_wait_loadcnt 0x0
	v_bfe_i32 v8, v1, 0, 16
	s_wait_xcnt 0x1
	s_delay_alu instid0(VALU_DEP_1)
	v_ashrrev_i32_e32 v9, 31, v8
.LBB372_1254:
	s_cbranch_execnz .LBB372_1260
.LBB372_1255:
	s_cmp_gt_i32 s8, 0
	s_mov_b32 s8, 0
	s_cbranch_scc0 .LBB372_1257
; %bb.1256:
	global_load_i8 v1, v[16:17], off
	s_wait_loadcnt 0x0
	v_bfe_i32 v8, v1, 0, 16
	s_wait_xcnt 0x1
	s_delay_alu instid0(VALU_DEP_1)
	v_ashrrev_i32_e32 v9, 31, v8
	s_branch .LBB372_1258
.LBB372_1257:
	s_mov_b32 s8, -1
                                        ; implicit-def: $vgpr8_vgpr9
.LBB372_1258:
	s_delay_alu instid0(SALU_CYCLE_1)
	s_and_not1_b32 vcc_lo, exec_lo, s8
	s_cbranch_vccnz .LBB372_1260
; %bb.1259:
	global_load_u8 v1, v[16:17], off
	s_mov_b32 s8, 0
	s_wait_loadcnt 0x1
	s_wait_xcnt 0x1
	v_mov_b32_e32 v9, s8
	s_wait_loadcnt 0x0
	v_and_b32_e32 v8, 0xffff, v1
.LBB372_1260:
.LBB372_1261:
	v_mov_b32_e32 v11, 0
	s_and_b32 s0, 0xffff, s0
	s_delay_alu instid0(SALU_CYCLE_1) | instskip(SKIP_1) | instid1(VALU_DEP_1)
	s_cmp_lt_i32 s0, 11
	s_wait_xcnt 0x0
	v_add_nc_u64_e32 v[16:17], s[6:7], v[10:11]
	s_cbranch_scc1 .LBB372_1268
; %bb.1262:
	s_cmp_gt_i32 s0, 25
	s_mov_b32 s9, 0
	s_cbranch_scc0 .LBB372_1270
; %bb.1263:
	s_cmp_gt_i32 s0, 28
	s_cbranch_scc0 .LBB372_1271
; %bb.1264:
	s_cmp_gt_i32 s0, 43
	;; [unrolled: 3-line block ×3, first 2 shown]
	s_cbranch_scc0 .LBB372_1274
; %bb.1266:
	s_cmp_eq_u32 s0, 46
	s_mov_b32 s13, 0
	s_cbranch_scc0 .LBB372_1277
; %bb.1267:
	global_load_b32 v1, v[16:17], off
	s_mov_b32 s8, 0
	s_mov_b32 s10, -1
	s_wait_loadcnt 0x0
	v_lshlrev_b32_e32 v1, 16, v1
	s_delay_alu instid0(VALU_DEP_1) | instskip(NEXT) | instid1(VALU_DEP_1)
	v_trunc_f32_e32 v1, v1
	v_mul_f32_e32 v3, 0x2f800000, v1
	s_delay_alu instid0(VALU_DEP_1) | instskip(NEXT) | instid1(VALU_DEP_1)
	v_floor_f32_e32 v3, v3
	v_fmamk_f32 v1, v3, 0xcf800000, v1
	v_cvt_u32_f32_e32 v11, v3
	s_delay_alu instid0(VALU_DEP_2)
	v_cvt_u32_f32_e32 v10, v1
	s_branch .LBB372_1279
.LBB372_1268:
	s_mov_b32 s10, 0
                                        ; implicit-def: $vgpr10_vgpr11
	s_cbranch_execnz .LBB372_1340
.LBB372_1269:
	s_and_not1_b32 vcc_lo, exec_lo, s10
	s_cbranch_vccnz .LBB372_2072
	s_branch .LBB372_1387
.LBB372_1270:
	s_mov_b32 s10, 0
	s_mov_b32 s8, 0
                                        ; implicit-def: $vgpr10_vgpr11
	s_cbranch_execnz .LBB372_1306
	s_branch .LBB372_1336
.LBB372_1271:
	s_mov_b32 s13, -1
	s_mov_b32 s10, 0
	s_mov_b32 s8, 0
                                        ; implicit-def: $vgpr10_vgpr11
	s_branch .LBB372_1289
.LBB372_1272:
	s_mov_b32 s13, -1
	s_mov_b32 s10, 0
	s_mov_b32 s8, 0
                                        ; implicit-def: $vgpr10_vgpr11
	s_branch .LBB372_1284
.LBB372_1273:
	s_or_b32 s1, s11, exec_lo
	s_trap 2
	s_cbranch_execz .LBB372_1214
	s_branch .LBB372_1215
.LBB372_1274:
	s_mov_b32 s13, -1
	s_mov_b32 s10, 0
	s_mov_b32 s8, 0
	s_branch .LBB372_1278
.LBB372_1275:
	s_and_not1_saveexec_b32 s11, s11
	s_cbranch_execz .LBB372_1005
.LBB372_1276:
	v_add_f32_e32 v2, 0x42800000, v3
	s_and_not1_b32 s10, s10, exec_lo
	s_delay_alu instid0(VALU_DEP_1) | instskip(NEXT) | instid1(VALU_DEP_1)
	v_and_b32_e32 v2, 0xff, v2
	v_cmp_ne_u32_e32 vcc_lo, 0, v2
	s_and_b32 s12, vcc_lo, exec_lo
	s_delay_alu instid0(SALU_CYCLE_1)
	s_or_b32 s10, s10, s12
	s_or_b32 exec_lo, exec_lo, s11
	v_mov_b32_e32 v4, 0
	s_and_saveexec_b32 s11, s10
	s_cbranch_execnz .LBB372_1006
	s_branch .LBB372_1007
.LBB372_1277:
	s_mov_b32 s8, -1
	s_mov_b32 s10, 0
.LBB372_1278:
                                        ; implicit-def: $vgpr10_vgpr11
.LBB372_1279:
	s_and_b32 vcc_lo, exec_lo, s13
	s_cbranch_vccz .LBB372_1283
; %bb.1280:
	s_cmp_eq_u32 s0, 44
	s_cbranch_scc0 .LBB372_1282
; %bb.1281:
	global_load_u8 v1, v[16:17], off
	s_mov_b32 s8, 0
	s_mov_b32 s10, -1
	s_wait_loadcnt 0x0
	v_lshlrev_b32_e32 v3, 23, v1
	v_cmp_ne_u32_e32 vcc_lo, 0, v1
	s_delay_alu instid0(VALU_DEP_2) | instskip(NEXT) | instid1(VALU_DEP_1)
	v_trunc_f32_e32 v3, v3
	v_mul_f32_e32 v5, 0x2f800000, v3
	s_delay_alu instid0(VALU_DEP_1) | instskip(NEXT) | instid1(VALU_DEP_1)
	v_floor_f32_e32 v5, v5
	v_fmamk_f32 v3, v5, 0xcf800000, v3
	v_cvt_u32_f32_e32 v5, v5
	s_delay_alu instid0(VALU_DEP_2) | instskip(NEXT) | instid1(VALU_DEP_1)
	v_cvt_u32_f32_e32 v3, v3
	v_dual_cndmask_b32 v11, 0, v5 :: v_dual_cndmask_b32 v10, 0, v3
	s_branch .LBB372_1283
.LBB372_1282:
	s_mov_b32 s8, -1
                                        ; implicit-def: $vgpr10_vgpr11
.LBB372_1283:
	s_mov_b32 s13, 0
.LBB372_1284:
	s_delay_alu instid0(SALU_CYCLE_1)
	s_and_b32 vcc_lo, exec_lo, s13
	s_cbranch_vccz .LBB372_1288
; %bb.1285:
	s_cmp_eq_u32 s0, 29
	s_cbranch_scc0 .LBB372_1287
; %bb.1286:
	global_load_b64 v[10:11], v[16:17], off
	s_mov_b32 s8, 0
	s_mov_b32 s10, -1
	s_branch .LBB372_1288
.LBB372_1287:
	s_mov_b32 s8, -1
                                        ; implicit-def: $vgpr10_vgpr11
.LBB372_1288:
	s_mov_b32 s13, 0
.LBB372_1289:
	s_delay_alu instid0(SALU_CYCLE_1)
	s_and_b32 vcc_lo, exec_lo, s13
	s_cbranch_vccz .LBB372_1305
; %bb.1290:
	s_cmp_lt_i32 s0, 27
	s_cbranch_scc1 .LBB372_1293
; %bb.1291:
	s_cmp_gt_i32 s0, 27
	s_cbranch_scc0 .LBB372_1294
; %bb.1292:
	s_wait_loadcnt 0x0
	global_load_b32 v10, v[16:17], off
	v_mov_b32_e32 v11, 0
	s_mov_b32 s10, 0
	s_branch .LBB372_1295
.LBB372_1293:
	s_mov_b32 s10, -1
                                        ; implicit-def: $vgpr10_vgpr11
	s_branch .LBB372_1298
.LBB372_1294:
	s_mov_b32 s10, -1
                                        ; implicit-def: $vgpr10_vgpr11
.LBB372_1295:
	s_delay_alu instid0(SALU_CYCLE_1)
	s_and_not1_b32 vcc_lo, exec_lo, s10
	s_cbranch_vccnz .LBB372_1297
; %bb.1296:
	global_load_u16 v1, v[16:17], off
	s_mov_b32 s10, 0
	s_wait_loadcnt 0x1
	v_mov_b32_e32 v11, s10
	s_wait_loadcnt 0x0
	v_and_b32_e32 v10, 0xffff, v1
.LBB372_1297:
	s_mov_b32 s10, 0
.LBB372_1298:
	s_delay_alu instid0(SALU_CYCLE_1)
	s_and_not1_b32 vcc_lo, exec_lo, s10
	s_cbranch_vccnz .LBB372_1304
; %bb.1299:
	global_load_u8 v1, v[16:17], off
	s_mov_b32 s13, 0
	s_mov_b32 s10, exec_lo
	s_wait_loadcnt 0x0
	v_cmpx_lt_i16_e32 0x7f, v1
	s_xor_b32 s10, exec_lo, s10
	s_cbranch_execz .LBB372_1315
; %bb.1300:
	v_cmp_ne_u16_e32 vcc_lo, 0x80, v1
	s_and_b32 s13, vcc_lo, exec_lo
	s_and_not1_saveexec_b32 s10, s10
	s_cbranch_execnz .LBB372_1316
.LBB372_1301:
	s_or_b32 exec_lo, exec_lo, s10
	v_mov_b64_e32 v[10:11], 0
	s_and_saveexec_b32 s10, s13
	s_cbranch_execz .LBB372_1303
.LBB372_1302:
	v_and_b32_e32 v3, 0xffff, v1
	s_delay_alu instid0(VALU_DEP_1) | instskip(SKIP_1) | instid1(VALU_DEP_2)
	v_dual_lshlrev_b32 v1, 24, v1 :: v_dual_bitop2_b32 v5, 7, v3 bitop3:0x40
	v_bfe_u32 v11, v3, 3, 4
	v_and_b32_e32 v1, 0x80000000, v1
	s_delay_alu instid0(VALU_DEP_3) | instskip(NEXT) | instid1(VALU_DEP_3)
	v_clz_i32_u32_e32 v7, v5
	v_cmp_eq_u32_e32 vcc_lo, 0, v11
	s_delay_alu instid0(VALU_DEP_2) | instskip(NEXT) | instid1(VALU_DEP_1)
	v_min_u32_e32 v7, 32, v7
	v_subrev_nc_u32_e32 v10, 28, v7
	v_sub_nc_u32_e32 v7, 29, v7
	s_delay_alu instid0(VALU_DEP_2) | instskip(NEXT) | instid1(VALU_DEP_2)
	v_lshlrev_b32_e32 v3, v10, v3
	v_cndmask_b32_e32 v7, v11, v7, vcc_lo
	s_delay_alu instid0(VALU_DEP_2) | instskip(NEXT) | instid1(VALU_DEP_1)
	v_and_b32_e32 v3, 7, v3
	v_cndmask_b32_e32 v3, v5, v3, vcc_lo
	s_delay_alu instid0(VALU_DEP_3) | instskip(NEXT) | instid1(VALU_DEP_2)
	v_lshl_add_u32 v5, v7, 23, 0x3b800000
	v_lshlrev_b32_e32 v3, 20, v3
	s_delay_alu instid0(VALU_DEP_1) | instskip(NEXT) | instid1(VALU_DEP_1)
	v_or3_b32 v1, v1, v5, v3
	v_trunc_f32_e32 v1, v1
	s_delay_alu instid0(VALU_DEP_1) | instskip(NEXT) | instid1(VALU_DEP_1)
	v_mul_f32_e32 v3, 0x2f800000, v1
	v_floor_f32_e32 v3, v3
	s_delay_alu instid0(VALU_DEP_1) | instskip(SKIP_1) | instid1(VALU_DEP_2)
	v_fmamk_f32 v1, v3, 0xcf800000, v1
	v_cvt_u32_f32_e32 v11, v3
	v_cvt_u32_f32_e32 v10, v1
.LBB372_1303:
	s_or_b32 exec_lo, exec_lo, s10
.LBB372_1304:
	s_mov_b32 s10, -1
.LBB372_1305:
	s_branch .LBB372_1336
.LBB372_1306:
	s_cmp_gt_i32 s0, 22
	s_cbranch_scc0 .LBB372_1314
; %bb.1307:
	s_cmp_lt_i32 s0, 24
	s_cbranch_scc1 .LBB372_1317
; %bb.1308:
	s_cmp_gt_i32 s0, 24
	s_cbranch_scc0 .LBB372_1318
; %bb.1309:
	global_load_u8 v1, v[16:17], off
	s_mov_b32 s10, 0
	s_mov_b32 s9, exec_lo
	s_wait_loadcnt 0x0
	v_cmpx_lt_i16_e32 0x7f, v1
	s_xor_b32 s9, exec_lo, s9
	s_cbranch_execz .LBB372_1330
; %bb.1310:
	v_cmp_ne_u16_e32 vcc_lo, 0x80, v1
	s_and_b32 s10, vcc_lo, exec_lo
	s_and_not1_saveexec_b32 s9, s9
	s_cbranch_execnz .LBB372_1331
.LBB372_1311:
	s_or_b32 exec_lo, exec_lo, s9
	v_mov_b64_e32 v[10:11], 0
	s_and_saveexec_b32 s9, s10
	s_cbranch_execz .LBB372_1313
.LBB372_1312:
	v_and_b32_e32 v3, 0xffff, v1
	s_delay_alu instid0(VALU_DEP_1) | instskip(SKIP_1) | instid1(VALU_DEP_2)
	v_dual_lshlrev_b32 v1, 24, v1 :: v_dual_bitop2_b32 v5, 3, v3 bitop3:0x40
	v_bfe_u32 v11, v3, 2, 5
	v_and_b32_e32 v1, 0x80000000, v1
	s_delay_alu instid0(VALU_DEP_3) | instskip(NEXT) | instid1(VALU_DEP_3)
	v_clz_i32_u32_e32 v7, v5
	v_cmp_eq_u32_e32 vcc_lo, 0, v11
	s_delay_alu instid0(VALU_DEP_2) | instskip(NEXT) | instid1(VALU_DEP_1)
	v_min_u32_e32 v7, 32, v7
	v_subrev_nc_u32_e32 v10, 29, v7
	v_sub_nc_u32_e32 v7, 30, v7
	s_delay_alu instid0(VALU_DEP_2) | instskip(NEXT) | instid1(VALU_DEP_2)
	v_lshlrev_b32_e32 v3, v10, v3
	v_cndmask_b32_e32 v7, v11, v7, vcc_lo
	s_delay_alu instid0(VALU_DEP_2) | instskip(NEXT) | instid1(VALU_DEP_1)
	v_and_b32_e32 v3, 3, v3
	v_cndmask_b32_e32 v3, v5, v3, vcc_lo
	s_delay_alu instid0(VALU_DEP_3) | instskip(NEXT) | instid1(VALU_DEP_2)
	v_lshl_add_u32 v5, v7, 23, 0x37800000
	v_lshlrev_b32_e32 v3, 21, v3
	s_delay_alu instid0(VALU_DEP_1) | instskip(NEXT) | instid1(VALU_DEP_1)
	v_or3_b32 v1, v1, v5, v3
	v_trunc_f32_e32 v1, v1
	s_delay_alu instid0(VALU_DEP_1) | instskip(NEXT) | instid1(VALU_DEP_1)
	v_mul_f32_e32 v3, 0x2f800000, v1
	v_floor_f32_e32 v3, v3
	s_delay_alu instid0(VALU_DEP_1) | instskip(SKIP_1) | instid1(VALU_DEP_2)
	v_fmamk_f32 v1, v3, 0xcf800000, v1
	v_cvt_u32_f32_e32 v11, v3
	v_cvt_u32_f32_e32 v10, v1
.LBB372_1313:
	s_or_b32 exec_lo, exec_lo, s9
	s_mov_b32 s9, 0
	s_branch .LBB372_1319
.LBB372_1314:
	s_mov_b32 s9, -1
                                        ; implicit-def: $vgpr10_vgpr11
	s_branch .LBB372_1325
.LBB372_1315:
	s_and_not1_saveexec_b32 s10, s10
	s_cbranch_execz .LBB372_1301
.LBB372_1316:
	v_cmp_ne_u16_e32 vcc_lo, 0, v1
	s_and_not1_b32 s13, s13, exec_lo
	s_and_b32 s14, vcc_lo, exec_lo
	s_delay_alu instid0(SALU_CYCLE_1)
	s_or_b32 s13, s13, s14
	s_or_b32 exec_lo, exec_lo, s10
	v_mov_b64_e32 v[10:11], 0
	s_and_saveexec_b32 s10, s13
	s_cbranch_execnz .LBB372_1302
	s_branch .LBB372_1303
.LBB372_1317:
	s_mov_b32 s9, -1
                                        ; implicit-def: $vgpr10_vgpr11
	s_branch .LBB372_1322
.LBB372_1318:
	s_mov_b32 s9, -1
                                        ; implicit-def: $vgpr10_vgpr11
.LBB372_1319:
	s_delay_alu instid0(SALU_CYCLE_1)
	s_and_b32 vcc_lo, exec_lo, s9
	s_cbranch_vccz .LBB372_1321
; %bb.1320:
	global_load_u8 v1, v[16:17], off
	s_wait_loadcnt 0x0
	v_lshlrev_b32_e32 v1, 24, v1
	s_delay_alu instid0(VALU_DEP_1) | instskip(NEXT) | instid1(VALU_DEP_1)
	v_and_b32_e32 v3, 0x7f000000, v1
	v_clz_i32_u32_e32 v5, v3
	v_cmp_ne_u32_e32 vcc_lo, 0, v3
	v_add_nc_u32_e32 v10, 0x1000000, v3
	s_delay_alu instid0(VALU_DEP_3) | instskip(NEXT) | instid1(VALU_DEP_1)
	v_min_u32_e32 v5, 32, v5
	v_sub_nc_u32_e64 v5, v5, 4 clamp
	s_delay_alu instid0(VALU_DEP_1) | instskip(NEXT) | instid1(VALU_DEP_1)
	v_dual_lshlrev_b32 v7, v5, v3 :: v_dual_lshlrev_b32 v5, 23, v5
	v_lshrrev_b32_e32 v7, 4, v7
	s_delay_alu instid0(VALU_DEP_1) | instskip(NEXT) | instid1(VALU_DEP_1)
	v_dual_sub_nc_u32 v5, v7, v5 :: v_dual_ashrrev_i32 v7, 8, v10
	v_add_nc_u32_e32 v5, 0x3c000000, v5
	s_delay_alu instid0(VALU_DEP_1) | instskip(NEXT) | instid1(VALU_DEP_1)
	v_and_or_b32 v5, 0x7f800000, v7, v5
	v_cndmask_b32_e32 v3, 0, v5, vcc_lo
	s_delay_alu instid0(VALU_DEP_1) | instskip(NEXT) | instid1(VALU_DEP_1)
	v_and_or_b32 v1, 0x80000000, v1, v3
	v_trunc_f32_e32 v1, v1
	s_delay_alu instid0(VALU_DEP_1) | instskip(NEXT) | instid1(VALU_DEP_1)
	v_mul_f32_e32 v3, 0x2f800000, v1
	v_floor_f32_e32 v3, v3
	s_delay_alu instid0(VALU_DEP_1) | instskip(SKIP_1) | instid1(VALU_DEP_2)
	v_fmamk_f32 v1, v3, 0xcf800000, v1
	v_cvt_u32_f32_e32 v11, v3
	v_cvt_u32_f32_e32 v10, v1
.LBB372_1321:
	s_mov_b32 s9, 0
.LBB372_1322:
	s_delay_alu instid0(SALU_CYCLE_1)
	s_and_not1_b32 vcc_lo, exec_lo, s9
	s_cbranch_vccnz .LBB372_1324
; %bb.1323:
	global_load_u8 v1, v[16:17], off
	s_wait_loadcnt 0x0
	v_lshlrev_b32_e32 v3, 25, v1
	v_lshlrev_b16 v1, 8, v1
	s_delay_alu instid0(VALU_DEP_1) | instskip(SKIP_1) | instid1(VALU_DEP_2)
	v_and_or_b32 v7, 0x7f00, v1, 0.5
	v_bfe_i32 v1, v1, 0, 16
	v_add_f32_e32 v7, -0.5, v7
	v_lshrrev_b32_e32 v5, 4, v3
	v_cmp_gt_u32_e32 vcc_lo, 0x8000000, v3
	s_delay_alu instid0(VALU_DEP_2) | instskip(NEXT) | instid1(VALU_DEP_1)
	v_or_b32_e32 v5, 0x70000000, v5
	v_mul_f32_e32 v5, 0x7800000, v5
	s_delay_alu instid0(VALU_DEP_1) | instskip(NEXT) | instid1(VALU_DEP_1)
	v_cndmask_b32_e32 v3, v5, v7, vcc_lo
	v_and_or_b32 v1, 0x80000000, v1, v3
	s_delay_alu instid0(VALU_DEP_1) | instskip(NEXT) | instid1(VALU_DEP_1)
	v_trunc_f32_e32 v1, v1
	v_mul_f32_e32 v3, 0x2f800000, v1
	s_delay_alu instid0(VALU_DEP_1) | instskip(NEXT) | instid1(VALU_DEP_1)
	v_floor_f32_e32 v3, v3
	v_fmamk_f32 v1, v3, 0xcf800000, v1
	v_cvt_u32_f32_e32 v11, v3
	s_delay_alu instid0(VALU_DEP_2)
	v_cvt_u32_f32_e32 v10, v1
.LBB372_1324:
	s_mov_b32 s9, 0
	s_mov_b32 s10, -1
.LBB372_1325:
	s_and_not1_b32 vcc_lo, exec_lo, s9
	s_mov_b32 s9, 0
	s_cbranch_vccnz .LBB372_1336
; %bb.1326:
	s_cmp_gt_i32 s0, 14
	s_cbranch_scc0 .LBB372_1329
; %bb.1327:
	s_cmp_eq_u32 s0, 15
	s_cbranch_scc0 .LBB372_1332
; %bb.1328:
	global_load_u16 v1, v[16:17], off
	s_mov_b32 s8, 0
	s_mov_b32 s10, -1
	s_wait_loadcnt 0x0
	v_lshlrev_b32_e32 v1, 16, v1
	s_delay_alu instid0(VALU_DEP_1) | instskip(NEXT) | instid1(VALU_DEP_1)
	v_trunc_f32_e32 v1, v1
	v_mul_f32_e32 v3, 0x2f800000, v1
	s_delay_alu instid0(VALU_DEP_1) | instskip(NEXT) | instid1(VALU_DEP_1)
	v_floor_f32_e32 v3, v3
	v_fmamk_f32 v1, v3, 0xcf800000, v1
	v_cvt_u32_f32_e32 v11, v3
	s_delay_alu instid0(VALU_DEP_2)
	v_cvt_u32_f32_e32 v10, v1
	s_branch .LBB372_1334
.LBB372_1329:
	s_mov_b32 s9, -1
	s_branch .LBB372_1333
.LBB372_1330:
	s_and_not1_saveexec_b32 s9, s9
	s_cbranch_execz .LBB372_1311
.LBB372_1331:
	v_cmp_ne_u16_e32 vcc_lo, 0, v1
	s_and_not1_b32 s10, s10, exec_lo
	s_and_b32 s13, vcc_lo, exec_lo
	s_delay_alu instid0(SALU_CYCLE_1)
	s_or_b32 s10, s10, s13
	s_or_b32 exec_lo, exec_lo, s9
	v_mov_b64_e32 v[10:11], 0
	s_and_saveexec_b32 s9, s10
	s_cbranch_execnz .LBB372_1312
	s_branch .LBB372_1313
.LBB372_1332:
	s_mov_b32 s8, -1
.LBB372_1333:
                                        ; implicit-def: $vgpr10_vgpr11
.LBB372_1334:
	s_and_b32 vcc_lo, exec_lo, s9
	s_mov_b32 s9, 0
	s_cbranch_vccz .LBB372_1336
; %bb.1335:
	s_cmp_lg_u32 s0, 11
	s_mov_b32 s9, -1
	s_cselect_b32 s8, -1, 0
.LBB372_1336:
	s_delay_alu instid0(SALU_CYCLE_1)
	s_and_b32 vcc_lo, exec_lo, s8
	s_cbranch_vccnz .LBB372_1399
; %bb.1337:
	s_and_not1_b32 vcc_lo, exec_lo, s9
	s_cbranch_vccnz .LBB372_1339
.LBB372_1338:
	global_load_u8 v1, v[16:17], off
	s_mov_b32 s8, 0
	s_mov_b32 s10, -1
	s_wait_loadcnt 0x1
	v_mov_b32_e32 v11, s8
	s_wait_loadcnt 0x0
	v_cmp_ne_u16_e32 vcc_lo, 0, v1
	v_cndmask_b32_e64 v10, 0, 1, vcc_lo
.LBB372_1339:
	s_branch .LBB372_1269
.LBB372_1340:
	s_cmp_lt_i32 s0, 5
	s_cbranch_scc1 .LBB372_1345
; %bb.1341:
	s_cmp_lt_i32 s0, 8
	s_cbranch_scc1 .LBB372_1346
; %bb.1342:
	;; [unrolled: 3-line block ×3, first 2 shown]
	s_cmp_gt_i32 s0, 9
	s_cbranch_scc0 .LBB372_1348
; %bb.1344:
	s_wait_loadcnt 0x0
	global_load_b64 v[10:11], v[16:17], off
	s_mov_b32 s8, 0
	s_wait_loadcnt 0x0
	v_trunc_f64_e32 v[10:11], v[10:11]
	s_delay_alu instid0(VALU_DEP_1) | instskip(NEXT) | instid1(VALU_DEP_1)
	v_ldexp_f64 v[18:19], v[10:11], 0xffffffe0
	v_floor_f64_e32 v[18:19], v[18:19]
	s_delay_alu instid0(VALU_DEP_1) | instskip(SKIP_1) | instid1(VALU_DEP_2)
	v_fmamk_f64 v[20:21], v[18:19], 0xc1f00000, v[10:11]
	v_cvt_u32_f64_e32 v11, v[18:19]
	v_cvt_u32_f64_e32 v10, v[20:21]
	s_branch .LBB372_1349
.LBB372_1345:
                                        ; implicit-def: $vgpr10_vgpr11
	s_branch .LBB372_1367
.LBB372_1346:
	s_mov_b32 s8, -1
                                        ; implicit-def: $vgpr10_vgpr11
	s_branch .LBB372_1355
.LBB372_1347:
	s_mov_b32 s8, -1
                                        ; implicit-def: $vgpr10_vgpr11
	s_branch .LBB372_1352
.LBB372_1348:
	s_mov_b32 s8, -1
                                        ; implicit-def: $vgpr10_vgpr11
.LBB372_1349:
	s_delay_alu instid0(SALU_CYCLE_1)
	s_and_not1_b32 vcc_lo, exec_lo, s8
	s_cbranch_vccnz .LBB372_1351
; %bb.1350:
	global_load_b32 v1, v[16:17], off
	s_wait_loadcnt 0x0
	v_trunc_f32_e32 v1, v1
	s_delay_alu instid0(VALU_DEP_1) | instskip(NEXT) | instid1(VALU_DEP_1)
	v_mul_f32_e32 v3, 0x2f800000, v1
	v_floor_f32_e32 v3, v3
	s_delay_alu instid0(VALU_DEP_1) | instskip(SKIP_1) | instid1(VALU_DEP_2)
	v_fmamk_f32 v1, v3, 0xcf800000, v1
	v_cvt_u32_f32_e32 v11, v3
	v_cvt_u32_f32_e32 v10, v1
.LBB372_1351:
	s_mov_b32 s8, 0
.LBB372_1352:
	s_delay_alu instid0(SALU_CYCLE_1)
	s_and_not1_b32 vcc_lo, exec_lo, s8
	s_cbranch_vccnz .LBB372_1354
; %bb.1353:
	global_load_b32 v1, v[16:17], off
	s_wait_loadcnt 0x1
	v_mov_b32_e32 v11, 0
	s_wait_loadcnt 0x0
	v_cvt_f32_f16_e32 v1, v1
	s_delay_alu instid0(VALU_DEP_1)
	v_cvt_u32_f32_e32 v10, v1
.LBB372_1354:
	s_mov_b32 s8, 0
.LBB372_1355:
	s_delay_alu instid0(SALU_CYCLE_1)
	s_and_not1_b32 vcc_lo, exec_lo, s8
	s_cbranch_vccnz .LBB372_1366
; %bb.1356:
	s_cmp_lt_i32 s0, 6
	s_cbranch_scc1 .LBB372_1359
; %bb.1357:
	s_cmp_gt_i32 s0, 6
	s_cbranch_scc0 .LBB372_1360
; %bb.1358:
	s_wait_loadcnt 0x0
	global_load_b64 v[10:11], v[16:17], off
	s_mov_b32 s8, 0
	s_wait_loadcnt 0x0
	v_trunc_f64_e32 v[10:11], v[10:11]
	s_delay_alu instid0(VALU_DEP_1) | instskip(NEXT) | instid1(VALU_DEP_1)
	v_ldexp_f64 v[18:19], v[10:11], 0xffffffe0
	v_floor_f64_e32 v[18:19], v[18:19]
	s_delay_alu instid0(VALU_DEP_1) | instskip(SKIP_1) | instid1(VALU_DEP_2)
	v_fmamk_f64 v[20:21], v[18:19], 0xc1f00000, v[10:11]
	v_cvt_u32_f64_e32 v11, v[18:19]
	v_cvt_u32_f64_e32 v10, v[20:21]
	s_branch .LBB372_1361
.LBB372_1359:
	s_mov_b32 s8, -1
                                        ; implicit-def: $vgpr10_vgpr11
	s_branch .LBB372_1364
.LBB372_1360:
	s_mov_b32 s8, -1
                                        ; implicit-def: $vgpr10_vgpr11
.LBB372_1361:
	s_delay_alu instid0(SALU_CYCLE_1)
	s_and_not1_b32 vcc_lo, exec_lo, s8
	s_cbranch_vccnz .LBB372_1363
; %bb.1362:
	global_load_b32 v1, v[16:17], off
	s_wait_loadcnt 0x0
	v_trunc_f32_e32 v1, v1
	s_delay_alu instid0(VALU_DEP_1) | instskip(NEXT) | instid1(VALU_DEP_1)
	v_mul_f32_e32 v3, 0x2f800000, v1
	v_floor_f32_e32 v3, v3
	s_delay_alu instid0(VALU_DEP_1) | instskip(SKIP_1) | instid1(VALU_DEP_2)
	v_fmamk_f32 v1, v3, 0xcf800000, v1
	v_cvt_u32_f32_e32 v11, v3
	v_cvt_u32_f32_e32 v10, v1
.LBB372_1363:
	s_mov_b32 s8, 0
.LBB372_1364:
	s_delay_alu instid0(SALU_CYCLE_1)
	s_and_not1_b32 vcc_lo, exec_lo, s8
	s_cbranch_vccnz .LBB372_1366
; %bb.1365:
	global_load_u16 v1, v[16:17], off
	s_wait_loadcnt 0x1
	v_mov_b32_e32 v11, 0
	s_wait_loadcnt 0x0
	v_cvt_f32_f16_e32 v1, v1
	s_delay_alu instid0(VALU_DEP_1)
	v_cvt_u32_f32_e32 v10, v1
.LBB372_1366:
	s_cbranch_execnz .LBB372_1386
.LBB372_1367:
	s_cmp_lt_i32 s0, 2
	s_cbranch_scc1 .LBB372_1371
; %bb.1368:
	s_cmp_lt_i32 s0, 3
	s_cbranch_scc1 .LBB372_1372
; %bb.1369:
	s_cmp_gt_i32 s0, 3
	s_cbranch_scc0 .LBB372_1373
; %bb.1370:
	s_wait_loadcnt 0x0
	global_load_b64 v[10:11], v[16:17], off
	s_mov_b32 s8, 0
	s_branch .LBB372_1374
.LBB372_1371:
	s_mov_b32 s8, -1
                                        ; implicit-def: $vgpr10_vgpr11
	s_branch .LBB372_1380
.LBB372_1372:
	s_mov_b32 s8, -1
                                        ; implicit-def: $vgpr10_vgpr11
	s_branch .LBB372_1377
.LBB372_1373:
	s_mov_b32 s8, -1
                                        ; implicit-def: $vgpr10_vgpr11
.LBB372_1374:
	s_delay_alu instid0(SALU_CYCLE_1)
	s_and_not1_b32 vcc_lo, exec_lo, s8
	s_cbranch_vccnz .LBB372_1376
; %bb.1375:
	s_wait_loadcnt 0x0
	global_load_b32 v10, v[16:17], off
	s_wait_loadcnt 0x0
	v_ashrrev_i32_e32 v11, 31, v10
.LBB372_1376:
	s_mov_b32 s8, 0
.LBB372_1377:
	s_delay_alu instid0(SALU_CYCLE_1)
	s_and_not1_b32 vcc_lo, exec_lo, s8
	s_cbranch_vccnz .LBB372_1379
; %bb.1378:
	global_load_u16 v1, v[16:17], off
	s_wait_loadcnt 0x0
	v_bfe_i32 v10, v1, 0, 16
	s_delay_alu instid0(VALU_DEP_1)
	v_ashrrev_i32_e32 v11, 31, v10
.LBB372_1379:
	s_mov_b32 s8, 0
.LBB372_1380:
	s_delay_alu instid0(SALU_CYCLE_1)
	s_and_not1_b32 vcc_lo, exec_lo, s8
	s_cbranch_vccnz .LBB372_1386
; %bb.1381:
	s_cmp_gt_i32 s0, 0
	s_mov_b32 s8, 0
	s_cbranch_scc0 .LBB372_1383
; %bb.1382:
	global_load_i8 v1, v[16:17], off
	s_wait_loadcnt 0x0
	v_bfe_i32 v10, v1, 0, 16
	s_delay_alu instid0(VALU_DEP_1)
	v_ashrrev_i32_e32 v11, 31, v10
	s_branch .LBB372_1384
.LBB372_1383:
	s_mov_b32 s8, -1
                                        ; implicit-def: $vgpr10_vgpr11
.LBB372_1384:
	s_delay_alu instid0(SALU_CYCLE_1)
	s_and_not1_b32 vcc_lo, exec_lo, s8
	s_cbranch_vccnz .LBB372_1386
; %bb.1385:
	global_load_u8 v1, v[16:17], off
	s_mov_b32 s8, 0
	s_wait_loadcnt 0x1
	v_mov_b32_e32 v11, s8
	s_wait_loadcnt 0x0
	v_and_b32_e32 v10, 0xffff, v1
.LBB372_1386:
.LBB372_1387:
	v_mov_b32_e32 v13, 0
	s_cmp_lt_i32 s0, 11
	s_wait_xcnt 0x0
	s_delay_alu instid0(VALU_DEP_1)
	v_add_nc_u64_e32 v[16:17], s[6:7], v[12:13]
	s_cbranch_scc1 .LBB372_1394
; %bb.1388:
	s_cmp_gt_i32 s0, 25
	s_mov_b32 s9, 0
	s_cbranch_scc0 .LBB372_1396
; %bb.1389:
	s_cmp_gt_i32 s0, 28
	s_cbranch_scc0 .LBB372_1397
; %bb.1390:
	s_cmp_gt_i32 s0, 43
	;; [unrolled: 3-line block ×3, first 2 shown]
	s_cbranch_scc0 .LBB372_1400
; %bb.1392:
	s_cmp_eq_u32 s0, 46
	s_mov_b32 s13, 0
	s_cbranch_scc0 .LBB372_1401
; %bb.1393:
	global_load_b32 v1, v[16:17], off
	s_mov_b32 s8, 0
	s_mov_b32 s10, -1
	s_wait_loadcnt 0x0
	v_lshlrev_b32_e32 v1, 16, v1
	s_delay_alu instid0(VALU_DEP_1) | instskip(NEXT) | instid1(VALU_DEP_1)
	v_trunc_f32_e32 v1, v1
	v_mul_f32_e32 v3, 0x2f800000, v1
	s_delay_alu instid0(VALU_DEP_1) | instskip(NEXT) | instid1(VALU_DEP_1)
	v_floor_f32_e32 v3, v3
	v_fmamk_f32 v1, v3, 0xcf800000, v1
	v_cvt_u32_f32_e32 v13, v3
	s_delay_alu instid0(VALU_DEP_2)
	v_cvt_u32_f32_e32 v12, v1
	s_branch .LBB372_1403
.LBB372_1394:
	s_mov_b32 s10, 0
                                        ; implicit-def: $vgpr12_vgpr13
	s_cbranch_execnz .LBB372_1465
.LBB372_1395:
	s_and_not1_b32 vcc_lo, exec_lo, s10
	s_cbranch_vccnz .LBB372_2072
	s_branch .LBB372_1513
.LBB372_1396:
	s_mov_b32 s13, -1
	s_mov_b32 s10, 0
	s_mov_b32 s8, 0
                                        ; implicit-def: $vgpr12_vgpr13
	s_branch .LBB372_1430
.LBB372_1397:
	s_mov_b32 s13, -1
	s_mov_b32 s10, 0
	s_mov_b32 s8, 0
                                        ; implicit-def: $vgpr12_vgpr13
	s_branch .LBB372_1413
.LBB372_1398:
	s_mov_b32 s13, -1
	s_mov_b32 s10, 0
	s_mov_b32 s8, 0
                                        ; implicit-def: $vgpr12_vgpr13
	s_branch .LBB372_1408
.LBB372_1399:
	s_or_b32 s1, s1, exec_lo
	s_trap 2
	s_cbranch_execz .LBB372_1338
	s_branch .LBB372_1339
.LBB372_1400:
	s_mov_b32 s13, -1
	s_mov_b32 s10, 0
	s_mov_b32 s8, 0
	s_branch .LBB372_1402
.LBB372_1401:
	s_mov_b32 s8, -1
	s_mov_b32 s10, 0
.LBB372_1402:
                                        ; implicit-def: $vgpr12_vgpr13
.LBB372_1403:
	s_and_b32 vcc_lo, exec_lo, s13
	s_cbranch_vccz .LBB372_1407
; %bb.1404:
	s_cmp_eq_u32 s0, 44
	s_cbranch_scc0 .LBB372_1406
; %bb.1405:
	global_load_u8 v1, v[16:17], off
	s_mov_b32 s8, 0
	s_mov_b32 s10, -1
	s_wait_loadcnt 0x0
	v_lshlrev_b32_e32 v3, 23, v1
	v_cmp_ne_u32_e32 vcc_lo, 0, v1
	s_delay_alu instid0(VALU_DEP_2) | instskip(NEXT) | instid1(VALU_DEP_1)
	v_trunc_f32_e32 v3, v3
	v_mul_f32_e32 v5, 0x2f800000, v3
	s_delay_alu instid0(VALU_DEP_1) | instskip(NEXT) | instid1(VALU_DEP_1)
	v_floor_f32_e32 v5, v5
	v_fmamk_f32 v3, v5, 0xcf800000, v3
	v_cvt_u32_f32_e32 v5, v5
	s_delay_alu instid0(VALU_DEP_2) | instskip(NEXT) | instid1(VALU_DEP_1)
	v_cvt_u32_f32_e32 v3, v3
	v_dual_cndmask_b32 v13, 0, v5 :: v_dual_cndmask_b32 v12, 0, v3
	s_branch .LBB372_1407
.LBB372_1406:
	s_mov_b32 s8, -1
                                        ; implicit-def: $vgpr12_vgpr13
.LBB372_1407:
	s_mov_b32 s13, 0
.LBB372_1408:
	s_delay_alu instid0(SALU_CYCLE_1)
	s_and_b32 vcc_lo, exec_lo, s13
	s_cbranch_vccz .LBB372_1412
; %bb.1409:
	s_cmp_eq_u32 s0, 29
	s_cbranch_scc0 .LBB372_1411
; %bb.1410:
	global_load_b64 v[12:13], v[16:17], off
	s_mov_b32 s8, 0
	s_mov_b32 s10, -1
	s_branch .LBB372_1412
.LBB372_1411:
	s_mov_b32 s8, -1
                                        ; implicit-def: $vgpr12_vgpr13
.LBB372_1412:
	s_mov_b32 s13, 0
.LBB372_1413:
	s_delay_alu instid0(SALU_CYCLE_1)
	s_and_b32 vcc_lo, exec_lo, s13
	s_cbranch_vccz .LBB372_1429
; %bb.1414:
	s_cmp_lt_i32 s0, 27
	s_cbranch_scc1 .LBB372_1417
; %bb.1415:
	s_cmp_gt_i32 s0, 27
	s_cbranch_scc0 .LBB372_1418
; %bb.1416:
	s_wait_loadcnt 0x0
	global_load_b32 v12, v[16:17], off
	v_mov_b32_e32 v13, 0
	s_mov_b32 s10, 0
	s_branch .LBB372_1419
.LBB372_1417:
	s_mov_b32 s10, -1
                                        ; implicit-def: $vgpr12_vgpr13
	s_branch .LBB372_1422
.LBB372_1418:
	s_mov_b32 s10, -1
                                        ; implicit-def: $vgpr12_vgpr13
.LBB372_1419:
	s_delay_alu instid0(SALU_CYCLE_1)
	s_and_not1_b32 vcc_lo, exec_lo, s10
	s_cbranch_vccnz .LBB372_1421
; %bb.1420:
	global_load_u16 v1, v[16:17], off
	s_mov_b32 s10, 0
	s_wait_loadcnt 0x1
	v_mov_b32_e32 v13, s10
	s_wait_loadcnt 0x0
	v_and_b32_e32 v12, 0xffff, v1
.LBB372_1421:
	s_mov_b32 s10, 0
.LBB372_1422:
	s_delay_alu instid0(SALU_CYCLE_1)
	s_and_not1_b32 vcc_lo, exec_lo, s10
	s_cbranch_vccnz .LBB372_1428
; %bb.1423:
	global_load_u8 v1, v[16:17], off
	s_mov_b32 s13, 0
	s_mov_b32 s10, exec_lo
	s_wait_loadcnt 0x0
	v_cmpx_lt_i16_e32 0x7f, v1
	s_xor_b32 s10, exec_lo, s10
	s_cbranch_execz .LBB372_1440
; %bb.1424:
	v_cmp_ne_u16_e32 vcc_lo, 0x80, v1
	s_and_b32 s13, vcc_lo, exec_lo
	s_and_not1_saveexec_b32 s10, s10
	s_cbranch_execnz .LBB372_1441
.LBB372_1425:
	s_or_b32 exec_lo, exec_lo, s10
	v_mov_b64_e32 v[12:13], 0
	s_and_saveexec_b32 s10, s13
	s_cbranch_execz .LBB372_1427
.LBB372_1426:
	v_and_b32_e32 v3, 0xffff, v1
	s_delay_alu instid0(VALU_DEP_1) | instskip(SKIP_1) | instid1(VALU_DEP_2)
	v_dual_lshlrev_b32 v1, 24, v1 :: v_dual_bitop2_b32 v5, 7, v3 bitop3:0x40
	v_bfe_u32 v13, v3, 3, 4
	v_and_b32_e32 v1, 0x80000000, v1
	s_delay_alu instid0(VALU_DEP_3) | instskip(NEXT) | instid1(VALU_DEP_3)
	v_clz_i32_u32_e32 v7, v5
	v_cmp_eq_u32_e32 vcc_lo, 0, v13
	s_delay_alu instid0(VALU_DEP_2) | instskip(NEXT) | instid1(VALU_DEP_1)
	v_min_u32_e32 v7, 32, v7
	v_subrev_nc_u32_e32 v12, 28, v7
	v_sub_nc_u32_e32 v7, 29, v7
	s_delay_alu instid0(VALU_DEP_2) | instskip(NEXT) | instid1(VALU_DEP_2)
	v_lshlrev_b32_e32 v3, v12, v3
	v_cndmask_b32_e32 v7, v13, v7, vcc_lo
	s_delay_alu instid0(VALU_DEP_2) | instskip(NEXT) | instid1(VALU_DEP_1)
	v_and_b32_e32 v3, 7, v3
	v_cndmask_b32_e32 v3, v5, v3, vcc_lo
	s_delay_alu instid0(VALU_DEP_3) | instskip(NEXT) | instid1(VALU_DEP_2)
	v_lshl_add_u32 v5, v7, 23, 0x3b800000
	v_lshlrev_b32_e32 v3, 20, v3
	s_delay_alu instid0(VALU_DEP_1) | instskip(NEXT) | instid1(VALU_DEP_1)
	v_or3_b32 v1, v1, v5, v3
	v_trunc_f32_e32 v1, v1
	s_delay_alu instid0(VALU_DEP_1) | instskip(NEXT) | instid1(VALU_DEP_1)
	v_mul_f32_e32 v3, 0x2f800000, v1
	v_floor_f32_e32 v3, v3
	s_delay_alu instid0(VALU_DEP_1) | instskip(SKIP_1) | instid1(VALU_DEP_2)
	v_fmamk_f32 v1, v3, 0xcf800000, v1
	v_cvt_u32_f32_e32 v13, v3
	v_cvt_u32_f32_e32 v12, v1
.LBB372_1427:
	s_or_b32 exec_lo, exec_lo, s10
.LBB372_1428:
	s_mov_b32 s10, -1
.LBB372_1429:
	s_mov_b32 s13, 0
.LBB372_1430:
	s_delay_alu instid0(SALU_CYCLE_1)
	s_and_b32 vcc_lo, exec_lo, s13
	s_cbranch_vccz .LBB372_1461
; %bb.1431:
	s_cmp_gt_i32 s0, 22
	s_cbranch_scc0 .LBB372_1439
; %bb.1432:
	s_cmp_lt_i32 s0, 24
	s_cbranch_scc1 .LBB372_1442
; %bb.1433:
	s_cmp_gt_i32 s0, 24
	s_cbranch_scc0 .LBB372_1443
; %bb.1434:
	global_load_u8 v1, v[16:17], off
	s_mov_b32 s10, 0
	s_mov_b32 s9, exec_lo
	s_wait_loadcnt 0x0
	v_cmpx_lt_i16_e32 0x7f, v1
	s_xor_b32 s9, exec_lo, s9
	s_cbranch_execz .LBB372_1455
; %bb.1435:
	v_cmp_ne_u16_e32 vcc_lo, 0x80, v1
	s_and_b32 s10, vcc_lo, exec_lo
	s_and_not1_saveexec_b32 s9, s9
	s_cbranch_execnz .LBB372_1456
.LBB372_1436:
	s_or_b32 exec_lo, exec_lo, s9
	v_mov_b64_e32 v[12:13], 0
	s_and_saveexec_b32 s9, s10
	s_cbranch_execz .LBB372_1438
.LBB372_1437:
	v_and_b32_e32 v3, 0xffff, v1
	s_delay_alu instid0(VALU_DEP_1) | instskip(SKIP_1) | instid1(VALU_DEP_2)
	v_dual_lshlrev_b32 v1, 24, v1 :: v_dual_bitop2_b32 v5, 3, v3 bitop3:0x40
	v_bfe_u32 v13, v3, 2, 5
	v_and_b32_e32 v1, 0x80000000, v1
	s_delay_alu instid0(VALU_DEP_3) | instskip(NEXT) | instid1(VALU_DEP_3)
	v_clz_i32_u32_e32 v7, v5
	v_cmp_eq_u32_e32 vcc_lo, 0, v13
	s_delay_alu instid0(VALU_DEP_2) | instskip(NEXT) | instid1(VALU_DEP_1)
	v_min_u32_e32 v7, 32, v7
	v_subrev_nc_u32_e32 v12, 29, v7
	v_sub_nc_u32_e32 v7, 30, v7
	s_delay_alu instid0(VALU_DEP_2) | instskip(NEXT) | instid1(VALU_DEP_2)
	v_lshlrev_b32_e32 v3, v12, v3
	v_cndmask_b32_e32 v7, v13, v7, vcc_lo
	s_delay_alu instid0(VALU_DEP_2) | instskip(NEXT) | instid1(VALU_DEP_1)
	v_and_b32_e32 v3, 3, v3
	v_cndmask_b32_e32 v3, v5, v3, vcc_lo
	s_delay_alu instid0(VALU_DEP_3) | instskip(NEXT) | instid1(VALU_DEP_2)
	v_lshl_add_u32 v5, v7, 23, 0x37800000
	v_lshlrev_b32_e32 v3, 21, v3
	s_delay_alu instid0(VALU_DEP_1) | instskip(NEXT) | instid1(VALU_DEP_1)
	v_or3_b32 v1, v1, v5, v3
	v_trunc_f32_e32 v1, v1
	s_delay_alu instid0(VALU_DEP_1) | instskip(NEXT) | instid1(VALU_DEP_1)
	v_mul_f32_e32 v3, 0x2f800000, v1
	v_floor_f32_e32 v3, v3
	s_delay_alu instid0(VALU_DEP_1) | instskip(SKIP_1) | instid1(VALU_DEP_2)
	v_fmamk_f32 v1, v3, 0xcf800000, v1
	v_cvt_u32_f32_e32 v13, v3
	v_cvt_u32_f32_e32 v12, v1
.LBB372_1438:
	s_or_b32 exec_lo, exec_lo, s9
	s_mov_b32 s9, 0
	s_branch .LBB372_1444
.LBB372_1439:
	s_mov_b32 s9, -1
                                        ; implicit-def: $vgpr12_vgpr13
	s_branch .LBB372_1450
.LBB372_1440:
	s_and_not1_saveexec_b32 s10, s10
	s_cbranch_execz .LBB372_1425
.LBB372_1441:
	v_cmp_ne_u16_e32 vcc_lo, 0, v1
	s_and_not1_b32 s13, s13, exec_lo
	s_and_b32 s14, vcc_lo, exec_lo
	s_delay_alu instid0(SALU_CYCLE_1)
	s_or_b32 s13, s13, s14
	s_or_b32 exec_lo, exec_lo, s10
	v_mov_b64_e32 v[12:13], 0
	s_and_saveexec_b32 s10, s13
	s_cbranch_execnz .LBB372_1426
	s_branch .LBB372_1427
.LBB372_1442:
	s_mov_b32 s9, -1
                                        ; implicit-def: $vgpr12_vgpr13
	s_branch .LBB372_1447
.LBB372_1443:
	s_mov_b32 s9, -1
                                        ; implicit-def: $vgpr12_vgpr13
.LBB372_1444:
	s_delay_alu instid0(SALU_CYCLE_1)
	s_and_b32 vcc_lo, exec_lo, s9
	s_cbranch_vccz .LBB372_1446
; %bb.1445:
	global_load_u8 v1, v[16:17], off
	s_wait_loadcnt 0x0
	v_lshlrev_b32_e32 v1, 24, v1
	s_delay_alu instid0(VALU_DEP_1) | instskip(NEXT) | instid1(VALU_DEP_1)
	v_and_b32_e32 v3, 0x7f000000, v1
	v_clz_i32_u32_e32 v5, v3
	v_cmp_ne_u32_e32 vcc_lo, 0, v3
	v_add_nc_u32_e32 v12, 0x1000000, v3
	s_delay_alu instid0(VALU_DEP_3) | instskip(NEXT) | instid1(VALU_DEP_1)
	v_min_u32_e32 v5, 32, v5
	v_sub_nc_u32_e64 v5, v5, 4 clamp
	s_delay_alu instid0(VALU_DEP_1) | instskip(NEXT) | instid1(VALU_DEP_1)
	v_dual_lshlrev_b32 v7, v5, v3 :: v_dual_lshlrev_b32 v5, 23, v5
	v_lshrrev_b32_e32 v7, 4, v7
	s_delay_alu instid0(VALU_DEP_1) | instskip(NEXT) | instid1(VALU_DEP_1)
	v_dual_sub_nc_u32 v5, v7, v5 :: v_dual_ashrrev_i32 v7, 8, v12
	v_add_nc_u32_e32 v5, 0x3c000000, v5
	s_delay_alu instid0(VALU_DEP_1) | instskip(NEXT) | instid1(VALU_DEP_1)
	v_and_or_b32 v5, 0x7f800000, v7, v5
	v_cndmask_b32_e32 v3, 0, v5, vcc_lo
	s_delay_alu instid0(VALU_DEP_1) | instskip(NEXT) | instid1(VALU_DEP_1)
	v_and_or_b32 v1, 0x80000000, v1, v3
	v_trunc_f32_e32 v1, v1
	s_delay_alu instid0(VALU_DEP_1) | instskip(NEXT) | instid1(VALU_DEP_1)
	v_mul_f32_e32 v3, 0x2f800000, v1
	v_floor_f32_e32 v3, v3
	s_delay_alu instid0(VALU_DEP_1) | instskip(SKIP_1) | instid1(VALU_DEP_2)
	v_fmamk_f32 v1, v3, 0xcf800000, v1
	v_cvt_u32_f32_e32 v13, v3
	v_cvt_u32_f32_e32 v12, v1
.LBB372_1446:
	s_mov_b32 s9, 0
.LBB372_1447:
	s_delay_alu instid0(SALU_CYCLE_1)
	s_and_not1_b32 vcc_lo, exec_lo, s9
	s_cbranch_vccnz .LBB372_1449
; %bb.1448:
	global_load_u8 v1, v[16:17], off
	s_wait_loadcnt 0x0
	v_lshlrev_b32_e32 v3, 25, v1
	v_lshlrev_b16 v1, 8, v1
	s_delay_alu instid0(VALU_DEP_1) | instskip(SKIP_1) | instid1(VALU_DEP_2)
	v_and_or_b32 v7, 0x7f00, v1, 0.5
	v_bfe_i32 v1, v1, 0, 16
	v_add_f32_e32 v7, -0.5, v7
	v_lshrrev_b32_e32 v5, 4, v3
	v_cmp_gt_u32_e32 vcc_lo, 0x8000000, v3
	s_delay_alu instid0(VALU_DEP_2) | instskip(NEXT) | instid1(VALU_DEP_1)
	v_or_b32_e32 v5, 0x70000000, v5
	v_mul_f32_e32 v5, 0x7800000, v5
	s_delay_alu instid0(VALU_DEP_1) | instskip(NEXT) | instid1(VALU_DEP_1)
	v_cndmask_b32_e32 v3, v5, v7, vcc_lo
	v_and_or_b32 v1, 0x80000000, v1, v3
	s_delay_alu instid0(VALU_DEP_1) | instskip(NEXT) | instid1(VALU_DEP_1)
	v_trunc_f32_e32 v1, v1
	v_mul_f32_e32 v3, 0x2f800000, v1
	s_delay_alu instid0(VALU_DEP_1) | instskip(NEXT) | instid1(VALU_DEP_1)
	v_floor_f32_e32 v3, v3
	v_fmamk_f32 v1, v3, 0xcf800000, v1
	v_cvt_u32_f32_e32 v13, v3
	s_delay_alu instid0(VALU_DEP_2)
	v_cvt_u32_f32_e32 v12, v1
.LBB372_1449:
	s_mov_b32 s9, 0
	s_mov_b32 s10, -1
.LBB372_1450:
	s_and_not1_b32 vcc_lo, exec_lo, s9
	s_mov_b32 s9, 0
	s_cbranch_vccnz .LBB372_1461
; %bb.1451:
	s_cmp_gt_i32 s0, 14
	s_cbranch_scc0 .LBB372_1454
; %bb.1452:
	s_cmp_eq_u32 s0, 15
	s_cbranch_scc0 .LBB372_1457
; %bb.1453:
	global_load_u16 v1, v[16:17], off
	s_mov_b32 s8, 0
	s_mov_b32 s10, -1
	s_wait_loadcnt 0x0
	v_lshlrev_b32_e32 v1, 16, v1
	s_delay_alu instid0(VALU_DEP_1) | instskip(NEXT) | instid1(VALU_DEP_1)
	v_trunc_f32_e32 v1, v1
	v_mul_f32_e32 v3, 0x2f800000, v1
	s_delay_alu instid0(VALU_DEP_1) | instskip(NEXT) | instid1(VALU_DEP_1)
	v_floor_f32_e32 v3, v3
	v_fmamk_f32 v1, v3, 0xcf800000, v1
	v_cvt_u32_f32_e32 v13, v3
	s_delay_alu instid0(VALU_DEP_2)
	v_cvt_u32_f32_e32 v12, v1
	s_branch .LBB372_1459
.LBB372_1454:
	s_mov_b32 s9, -1
	s_branch .LBB372_1458
.LBB372_1455:
	s_and_not1_saveexec_b32 s9, s9
	s_cbranch_execz .LBB372_1436
.LBB372_1456:
	v_cmp_ne_u16_e32 vcc_lo, 0, v1
	s_and_not1_b32 s10, s10, exec_lo
	s_and_b32 s13, vcc_lo, exec_lo
	s_delay_alu instid0(SALU_CYCLE_1)
	s_or_b32 s10, s10, s13
	s_or_b32 exec_lo, exec_lo, s9
	v_mov_b64_e32 v[12:13], 0
	s_and_saveexec_b32 s9, s10
	s_cbranch_execnz .LBB372_1437
	s_branch .LBB372_1438
.LBB372_1457:
	s_mov_b32 s8, -1
.LBB372_1458:
                                        ; implicit-def: $vgpr12_vgpr13
.LBB372_1459:
	s_and_b32 vcc_lo, exec_lo, s9
	s_mov_b32 s9, 0
	s_cbranch_vccz .LBB372_1461
; %bb.1460:
	s_cmp_lg_u32 s0, 11
	s_mov_b32 s9, -1
	s_cselect_b32 s8, -1, 0
.LBB372_1461:
	s_delay_alu instid0(SALU_CYCLE_1)
	s_and_b32 vcc_lo, exec_lo, s8
	s_cbranch_vccnz .LBB372_1524
; %bb.1462:
	s_and_not1_b32 vcc_lo, exec_lo, s9
	s_cbranch_vccnz .LBB372_1464
.LBB372_1463:
	global_load_u8 v1, v[16:17], off
	s_mov_b32 s8, 0
	s_mov_b32 s10, -1
	s_wait_loadcnt 0x1
	v_mov_b32_e32 v13, s8
	s_wait_loadcnt 0x0
	v_cmp_ne_u16_e32 vcc_lo, 0, v1
	v_cndmask_b32_e64 v12, 0, 1, vcc_lo
.LBB372_1464:
	s_branch .LBB372_1395
.LBB372_1465:
	s_cmp_lt_i32 s0, 5
	s_cbranch_scc1 .LBB372_1470
; %bb.1466:
	s_cmp_lt_i32 s0, 8
	s_cbranch_scc1 .LBB372_1471
; %bb.1467:
	;; [unrolled: 3-line block ×3, first 2 shown]
	s_cmp_gt_i32 s0, 9
	s_cbranch_scc0 .LBB372_1473
; %bb.1469:
	s_wait_loadcnt 0x0
	global_load_b64 v[12:13], v[16:17], off
	s_mov_b32 s8, 0
	s_wait_loadcnt 0x0
	v_trunc_f64_e32 v[12:13], v[12:13]
	s_delay_alu instid0(VALU_DEP_1) | instskip(NEXT) | instid1(VALU_DEP_1)
	v_ldexp_f64 v[18:19], v[12:13], 0xffffffe0
	v_floor_f64_e32 v[18:19], v[18:19]
	s_delay_alu instid0(VALU_DEP_1) | instskip(SKIP_1) | instid1(VALU_DEP_2)
	v_fmamk_f64 v[20:21], v[18:19], 0xc1f00000, v[12:13]
	v_cvt_u32_f64_e32 v13, v[18:19]
	v_cvt_u32_f64_e32 v12, v[20:21]
	s_branch .LBB372_1474
.LBB372_1470:
	s_mov_b32 s8, -1
                                        ; implicit-def: $vgpr12_vgpr13
	s_branch .LBB372_1492
.LBB372_1471:
	s_mov_b32 s8, -1
                                        ; implicit-def: $vgpr12_vgpr13
	s_branch .LBB372_1480
.LBB372_1472:
	s_mov_b32 s8, -1
                                        ; implicit-def: $vgpr12_vgpr13
	s_branch .LBB372_1477
.LBB372_1473:
	s_mov_b32 s8, -1
                                        ; implicit-def: $vgpr12_vgpr13
.LBB372_1474:
	s_delay_alu instid0(SALU_CYCLE_1)
	s_and_not1_b32 vcc_lo, exec_lo, s8
	s_cbranch_vccnz .LBB372_1476
; %bb.1475:
	global_load_b32 v1, v[16:17], off
	s_wait_loadcnt 0x0
	v_trunc_f32_e32 v1, v1
	s_delay_alu instid0(VALU_DEP_1) | instskip(NEXT) | instid1(VALU_DEP_1)
	v_mul_f32_e32 v3, 0x2f800000, v1
	v_floor_f32_e32 v3, v3
	s_delay_alu instid0(VALU_DEP_1) | instskip(SKIP_1) | instid1(VALU_DEP_2)
	v_fmamk_f32 v1, v3, 0xcf800000, v1
	v_cvt_u32_f32_e32 v13, v3
	v_cvt_u32_f32_e32 v12, v1
.LBB372_1476:
	s_mov_b32 s8, 0
.LBB372_1477:
	s_delay_alu instid0(SALU_CYCLE_1)
	s_and_not1_b32 vcc_lo, exec_lo, s8
	s_cbranch_vccnz .LBB372_1479
; %bb.1478:
	global_load_b32 v1, v[16:17], off
	s_wait_loadcnt 0x1
	v_mov_b32_e32 v13, 0
	s_wait_loadcnt 0x0
	v_cvt_f32_f16_e32 v1, v1
	s_delay_alu instid0(VALU_DEP_1)
	v_cvt_u32_f32_e32 v12, v1
.LBB372_1479:
	s_mov_b32 s8, 0
.LBB372_1480:
	s_delay_alu instid0(SALU_CYCLE_1)
	s_and_not1_b32 vcc_lo, exec_lo, s8
	s_cbranch_vccnz .LBB372_1491
; %bb.1481:
	s_cmp_lt_i32 s0, 6
	s_cbranch_scc1 .LBB372_1484
; %bb.1482:
	s_cmp_gt_i32 s0, 6
	s_cbranch_scc0 .LBB372_1485
; %bb.1483:
	s_wait_loadcnt 0x0
	global_load_b64 v[12:13], v[16:17], off
	s_mov_b32 s8, 0
	s_wait_loadcnt 0x0
	v_trunc_f64_e32 v[12:13], v[12:13]
	s_delay_alu instid0(VALU_DEP_1) | instskip(NEXT) | instid1(VALU_DEP_1)
	v_ldexp_f64 v[18:19], v[12:13], 0xffffffe0
	v_floor_f64_e32 v[18:19], v[18:19]
	s_delay_alu instid0(VALU_DEP_1) | instskip(SKIP_1) | instid1(VALU_DEP_2)
	v_fmamk_f64 v[20:21], v[18:19], 0xc1f00000, v[12:13]
	v_cvt_u32_f64_e32 v13, v[18:19]
	v_cvt_u32_f64_e32 v12, v[20:21]
	s_branch .LBB372_1486
.LBB372_1484:
	s_mov_b32 s8, -1
                                        ; implicit-def: $vgpr12_vgpr13
	s_branch .LBB372_1489
.LBB372_1485:
	s_mov_b32 s8, -1
                                        ; implicit-def: $vgpr12_vgpr13
.LBB372_1486:
	s_delay_alu instid0(SALU_CYCLE_1)
	s_and_not1_b32 vcc_lo, exec_lo, s8
	s_cbranch_vccnz .LBB372_1488
; %bb.1487:
	global_load_b32 v1, v[16:17], off
	s_wait_loadcnt 0x0
	v_trunc_f32_e32 v1, v1
	s_delay_alu instid0(VALU_DEP_1) | instskip(NEXT) | instid1(VALU_DEP_1)
	v_mul_f32_e32 v3, 0x2f800000, v1
	v_floor_f32_e32 v3, v3
	s_delay_alu instid0(VALU_DEP_1) | instskip(SKIP_1) | instid1(VALU_DEP_2)
	v_fmamk_f32 v1, v3, 0xcf800000, v1
	v_cvt_u32_f32_e32 v13, v3
	v_cvt_u32_f32_e32 v12, v1
.LBB372_1488:
	s_mov_b32 s8, 0
.LBB372_1489:
	s_delay_alu instid0(SALU_CYCLE_1)
	s_and_not1_b32 vcc_lo, exec_lo, s8
	s_cbranch_vccnz .LBB372_1491
; %bb.1490:
	global_load_u16 v1, v[16:17], off
	s_wait_loadcnt 0x1
	v_mov_b32_e32 v13, 0
	s_wait_loadcnt 0x0
	v_cvt_f32_f16_e32 v1, v1
	s_delay_alu instid0(VALU_DEP_1)
	v_cvt_u32_f32_e32 v12, v1
.LBB372_1491:
	s_mov_b32 s8, 0
.LBB372_1492:
	s_delay_alu instid0(SALU_CYCLE_1)
	s_and_not1_b32 vcc_lo, exec_lo, s8
	s_cbranch_vccnz .LBB372_1512
; %bb.1493:
	s_cmp_lt_i32 s0, 2
	s_cbranch_scc1 .LBB372_1497
; %bb.1494:
	s_cmp_lt_i32 s0, 3
	s_cbranch_scc1 .LBB372_1498
; %bb.1495:
	s_cmp_gt_i32 s0, 3
	s_cbranch_scc0 .LBB372_1499
; %bb.1496:
	s_wait_loadcnt 0x0
	global_load_b64 v[12:13], v[16:17], off
	s_mov_b32 s8, 0
	s_branch .LBB372_1500
.LBB372_1497:
	s_mov_b32 s8, -1
                                        ; implicit-def: $vgpr12_vgpr13
	s_branch .LBB372_1506
.LBB372_1498:
	s_mov_b32 s8, -1
                                        ; implicit-def: $vgpr12_vgpr13
	s_branch .LBB372_1503
.LBB372_1499:
	s_mov_b32 s8, -1
                                        ; implicit-def: $vgpr12_vgpr13
.LBB372_1500:
	s_delay_alu instid0(SALU_CYCLE_1)
	s_and_not1_b32 vcc_lo, exec_lo, s8
	s_cbranch_vccnz .LBB372_1502
; %bb.1501:
	s_wait_loadcnt 0x0
	global_load_b32 v12, v[16:17], off
	s_wait_loadcnt 0x0
	v_ashrrev_i32_e32 v13, 31, v12
.LBB372_1502:
	s_mov_b32 s8, 0
.LBB372_1503:
	s_delay_alu instid0(SALU_CYCLE_1)
	s_and_not1_b32 vcc_lo, exec_lo, s8
	s_cbranch_vccnz .LBB372_1505
; %bb.1504:
	global_load_u16 v1, v[16:17], off
	s_wait_loadcnt 0x0
	v_bfe_i32 v12, v1, 0, 16
	s_delay_alu instid0(VALU_DEP_1)
	v_ashrrev_i32_e32 v13, 31, v12
.LBB372_1505:
	s_mov_b32 s8, 0
.LBB372_1506:
	s_delay_alu instid0(SALU_CYCLE_1)
	s_and_not1_b32 vcc_lo, exec_lo, s8
	s_cbranch_vccnz .LBB372_1512
; %bb.1507:
	s_cmp_gt_i32 s0, 0
	s_mov_b32 s8, 0
	s_cbranch_scc0 .LBB372_1509
; %bb.1508:
	global_load_i8 v1, v[16:17], off
	s_wait_loadcnt 0x0
	v_bfe_i32 v12, v1, 0, 16
	s_delay_alu instid0(VALU_DEP_1)
	v_ashrrev_i32_e32 v13, 31, v12
	s_branch .LBB372_1510
.LBB372_1509:
	s_mov_b32 s8, -1
                                        ; implicit-def: $vgpr12_vgpr13
.LBB372_1510:
	s_delay_alu instid0(SALU_CYCLE_1)
	s_and_not1_b32 vcc_lo, exec_lo, s8
	s_cbranch_vccnz .LBB372_1512
; %bb.1511:
	global_load_u8 v1, v[16:17], off
	s_mov_b32 s8, 0
	s_wait_loadcnt 0x1
	v_mov_b32_e32 v13, s8
	s_wait_loadcnt 0x0
	v_and_b32_e32 v12, 0xffff, v1
.LBB372_1512:
.LBB372_1513:
	v_mov_b32_e32 v15, 0
	s_cmp_lt_i32 s0, 11
	s_wait_xcnt 0x0
	s_delay_alu instid0(VALU_DEP_1)
	v_add_nc_u64_e32 v[16:17], s[6:7], v[14:15]
	s_cbranch_scc1 .LBB372_1520
; %bb.1514:
	s_cmp_gt_i32 s0, 25
	s_mov_b32 s7, 0
	s_cbranch_scc0 .LBB372_1521
; %bb.1515:
	s_cmp_gt_i32 s0, 28
	s_cbranch_scc0 .LBB372_1522
; %bb.1516:
	s_cmp_gt_i32 s0, 43
	;; [unrolled: 3-line block ×3, first 2 shown]
	s_cbranch_scc0 .LBB372_1525
; %bb.1518:
	s_cmp_eq_u32 s0, 46
	s_mov_b32 s9, 0
	s_cbranch_scc0 .LBB372_1526
; %bb.1519:
	global_load_b32 v1, v[16:17], off
	s_mov_b32 s6, 0
	s_mov_b32 s8, -1
	s_wait_loadcnt 0x0
	v_lshlrev_b32_e32 v1, 16, v1
	s_delay_alu instid0(VALU_DEP_1) | instskip(NEXT) | instid1(VALU_DEP_1)
	v_trunc_f32_e32 v1, v1
	v_mul_f32_e32 v3, 0x2f800000, v1
	s_delay_alu instid0(VALU_DEP_1) | instskip(NEXT) | instid1(VALU_DEP_1)
	v_floor_f32_e32 v3, v3
	v_fmamk_f32 v1, v3, 0xcf800000, v1
	v_cvt_u32_f32_e32 v15, v3
	s_delay_alu instid0(VALU_DEP_2)
	v_cvt_u32_f32_e32 v14, v1
	s_branch .LBB372_1528
.LBB372_1520:
	s_mov_b32 s6, -1
	s_mov_b32 s8, 0
                                        ; implicit-def: $vgpr14_vgpr15
	s_branch .LBB372_1590
.LBB372_1521:
	s_mov_b32 s9, -1
	s_mov_b32 s8, 0
	s_mov_b32 s6, 0
                                        ; implicit-def: $vgpr14_vgpr15
	s_branch .LBB372_1555
.LBB372_1522:
	s_mov_b32 s9, -1
	s_mov_b32 s8, 0
	s_mov_b32 s6, 0
                                        ; implicit-def: $vgpr14_vgpr15
	s_branch .LBB372_1538
.LBB372_1523:
	s_mov_b32 s9, -1
	s_mov_b32 s8, 0
	s_mov_b32 s6, 0
                                        ; implicit-def: $vgpr14_vgpr15
	s_branch .LBB372_1533
.LBB372_1524:
	s_or_b32 s1, s1, exec_lo
	s_trap 2
	s_cbranch_execz .LBB372_1463
	s_branch .LBB372_1464
.LBB372_1525:
	s_mov_b32 s9, -1
	s_mov_b32 s8, 0
	s_mov_b32 s6, 0
	s_branch .LBB372_1527
.LBB372_1526:
	s_mov_b32 s6, -1
	s_mov_b32 s8, 0
.LBB372_1527:
                                        ; implicit-def: $vgpr14_vgpr15
.LBB372_1528:
	s_and_b32 vcc_lo, exec_lo, s9
	s_cbranch_vccz .LBB372_1532
; %bb.1529:
	s_cmp_eq_u32 s0, 44
	s_cbranch_scc0 .LBB372_1531
; %bb.1530:
	global_load_u8 v1, v[16:17], off
	s_mov_b32 s6, 0
	s_mov_b32 s8, -1
	s_wait_loadcnt 0x0
	v_lshlrev_b32_e32 v3, 23, v1
	v_cmp_ne_u32_e32 vcc_lo, 0, v1
	s_delay_alu instid0(VALU_DEP_2) | instskip(NEXT) | instid1(VALU_DEP_1)
	v_trunc_f32_e32 v3, v3
	v_mul_f32_e32 v5, 0x2f800000, v3
	s_delay_alu instid0(VALU_DEP_1) | instskip(NEXT) | instid1(VALU_DEP_1)
	v_floor_f32_e32 v5, v5
	v_fmamk_f32 v3, v5, 0xcf800000, v3
	v_cvt_u32_f32_e32 v5, v5
	s_delay_alu instid0(VALU_DEP_2) | instskip(NEXT) | instid1(VALU_DEP_1)
	v_cvt_u32_f32_e32 v3, v3
	v_dual_cndmask_b32 v15, 0, v5 :: v_dual_cndmask_b32 v14, 0, v3
	s_branch .LBB372_1532
.LBB372_1531:
	s_mov_b32 s6, -1
                                        ; implicit-def: $vgpr14_vgpr15
.LBB372_1532:
	s_mov_b32 s9, 0
.LBB372_1533:
	s_delay_alu instid0(SALU_CYCLE_1)
	s_and_b32 vcc_lo, exec_lo, s9
	s_cbranch_vccz .LBB372_1537
; %bb.1534:
	s_cmp_eq_u32 s0, 29
	s_cbranch_scc0 .LBB372_1536
; %bb.1535:
	global_load_b64 v[14:15], v[16:17], off
	s_mov_b32 s6, 0
	s_mov_b32 s8, -1
	s_branch .LBB372_1537
.LBB372_1536:
	s_mov_b32 s6, -1
                                        ; implicit-def: $vgpr14_vgpr15
.LBB372_1537:
	s_mov_b32 s9, 0
.LBB372_1538:
	s_delay_alu instid0(SALU_CYCLE_1)
	s_and_b32 vcc_lo, exec_lo, s9
	s_cbranch_vccz .LBB372_1554
; %bb.1539:
	s_cmp_lt_i32 s0, 27
	s_cbranch_scc1 .LBB372_1542
; %bb.1540:
	s_cmp_gt_i32 s0, 27
	s_cbranch_scc0 .LBB372_1543
; %bb.1541:
	s_wait_loadcnt 0x0
	global_load_b32 v14, v[16:17], off
	v_mov_b32_e32 v15, 0
	s_mov_b32 s8, 0
	s_branch .LBB372_1544
.LBB372_1542:
	s_mov_b32 s8, -1
                                        ; implicit-def: $vgpr14_vgpr15
	s_branch .LBB372_1547
.LBB372_1543:
	s_mov_b32 s8, -1
                                        ; implicit-def: $vgpr14_vgpr15
.LBB372_1544:
	s_delay_alu instid0(SALU_CYCLE_1)
	s_and_not1_b32 vcc_lo, exec_lo, s8
	s_cbranch_vccnz .LBB372_1546
; %bb.1545:
	global_load_u16 v1, v[16:17], off
	s_mov_b32 s8, 0
	s_wait_loadcnt 0x1
	v_mov_b32_e32 v15, s8
	s_wait_loadcnt 0x0
	v_and_b32_e32 v14, 0xffff, v1
.LBB372_1546:
	s_mov_b32 s8, 0
.LBB372_1547:
	s_delay_alu instid0(SALU_CYCLE_1)
	s_and_not1_b32 vcc_lo, exec_lo, s8
	s_cbranch_vccnz .LBB372_1553
; %bb.1548:
	global_load_u8 v1, v[16:17], off
	s_mov_b32 s9, 0
	s_mov_b32 s8, exec_lo
	s_wait_loadcnt 0x0
	v_cmpx_lt_i16_e32 0x7f, v1
	s_xor_b32 s8, exec_lo, s8
	s_cbranch_execz .LBB372_1565
; %bb.1549:
	v_cmp_ne_u16_e32 vcc_lo, 0x80, v1
	s_and_b32 s9, vcc_lo, exec_lo
	s_and_not1_saveexec_b32 s8, s8
	s_cbranch_execnz .LBB372_1566
.LBB372_1550:
	s_or_b32 exec_lo, exec_lo, s8
	v_mov_b64_e32 v[14:15], 0
	s_and_saveexec_b32 s8, s9
	s_cbranch_execz .LBB372_1552
.LBB372_1551:
	v_and_b32_e32 v3, 0xffff, v1
	s_delay_alu instid0(VALU_DEP_1) | instskip(SKIP_1) | instid1(VALU_DEP_2)
	v_dual_lshlrev_b32 v1, 24, v1 :: v_dual_bitop2_b32 v5, 7, v3 bitop3:0x40
	v_bfe_u32 v15, v3, 3, 4
	v_and_b32_e32 v1, 0x80000000, v1
	s_delay_alu instid0(VALU_DEP_3) | instskip(NEXT) | instid1(VALU_DEP_3)
	v_clz_i32_u32_e32 v7, v5
	v_cmp_eq_u32_e32 vcc_lo, 0, v15
	s_delay_alu instid0(VALU_DEP_2) | instskip(NEXT) | instid1(VALU_DEP_1)
	v_min_u32_e32 v7, 32, v7
	v_subrev_nc_u32_e32 v14, 28, v7
	v_sub_nc_u32_e32 v7, 29, v7
	s_delay_alu instid0(VALU_DEP_2) | instskip(NEXT) | instid1(VALU_DEP_2)
	v_lshlrev_b32_e32 v3, v14, v3
	v_cndmask_b32_e32 v7, v15, v7, vcc_lo
	s_delay_alu instid0(VALU_DEP_2) | instskip(NEXT) | instid1(VALU_DEP_1)
	v_and_b32_e32 v3, 7, v3
	v_cndmask_b32_e32 v3, v5, v3, vcc_lo
	s_delay_alu instid0(VALU_DEP_3) | instskip(NEXT) | instid1(VALU_DEP_2)
	v_lshl_add_u32 v5, v7, 23, 0x3b800000
	v_lshlrev_b32_e32 v3, 20, v3
	s_delay_alu instid0(VALU_DEP_1) | instskip(NEXT) | instid1(VALU_DEP_1)
	v_or3_b32 v1, v1, v5, v3
	v_trunc_f32_e32 v1, v1
	s_delay_alu instid0(VALU_DEP_1) | instskip(NEXT) | instid1(VALU_DEP_1)
	v_mul_f32_e32 v3, 0x2f800000, v1
	v_floor_f32_e32 v3, v3
	s_delay_alu instid0(VALU_DEP_1) | instskip(SKIP_1) | instid1(VALU_DEP_2)
	v_fmamk_f32 v1, v3, 0xcf800000, v1
	v_cvt_u32_f32_e32 v15, v3
	v_cvt_u32_f32_e32 v14, v1
.LBB372_1552:
	s_or_b32 exec_lo, exec_lo, s8
.LBB372_1553:
	s_mov_b32 s8, -1
.LBB372_1554:
	s_mov_b32 s9, 0
.LBB372_1555:
	s_delay_alu instid0(SALU_CYCLE_1)
	s_and_b32 vcc_lo, exec_lo, s9
	s_cbranch_vccz .LBB372_1586
; %bb.1556:
	s_cmp_gt_i32 s0, 22
	s_cbranch_scc0 .LBB372_1564
; %bb.1557:
	s_cmp_lt_i32 s0, 24
	s_cbranch_scc1 .LBB372_1567
; %bb.1558:
	s_cmp_gt_i32 s0, 24
	s_cbranch_scc0 .LBB372_1568
; %bb.1559:
	global_load_u8 v1, v[16:17], off
	s_mov_b32 s8, 0
	s_mov_b32 s7, exec_lo
	s_wait_loadcnt 0x0
	v_cmpx_lt_i16_e32 0x7f, v1
	s_xor_b32 s7, exec_lo, s7
	s_cbranch_execz .LBB372_1580
; %bb.1560:
	v_cmp_ne_u16_e32 vcc_lo, 0x80, v1
	s_and_b32 s8, vcc_lo, exec_lo
	s_and_not1_saveexec_b32 s7, s7
	s_cbranch_execnz .LBB372_1581
.LBB372_1561:
	s_or_b32 exec_lo, exec_lo, s7
	v_mov_b64_e32 v[14:15], 0
	s_and_saveexec_b32 s7, s8
	s_cbranch_execz .LBB372_1563
.LBB372_1562:
	v_and_b32_e32 v3, 0xffff, v1
	s_delay_alu instid0(VALU_DEP_1) | instskip(SKIP_1) | instid1(VALU_DEP_2)
	v_dual_lshlrev_b32 v1, 24, v1 :: v_dual_bitop2_b32 v5, 3, v3 bitop3:0x40
	v_bfe_u32 v15, v3, 2, 5
	v_and_b32_e32 v1, 0x80000000, v1
	s_delay_alu instid0(VALU_DEP_3) | instskip(NEXT) | instid1(VALU_DEP_3)
	v_clz_i32_u32_e32 v7, v5
	v_cmp_eq_u32_e32 vcc_lo, 0, v15
	s_delay_alu instid0(VALU_DEP_2) | instskip(NEXT) | instid1(VALU_DEP_1)
	v_min_u32_e32 v7, 32, v7
	v_subrev_nc_u32_e32 v14, 29, v7
	v_sub_nc_u32_e32 v7, 30, v7
	s_delay_alu instid0(VALU_DEP_2) | instskip(NEXT) | instid1(VALU_DEP_2)
	v_lshlrev_b32_e32 v3, v14, v3
	v_cndmask_b32_e32 v7, v15, v7, vcc_lo
	s_delay_alu instid0(VALU_DEP_2) | instskip(NEXT) | instid1(VALU_DEP_1)
	v_and_b32_e32 v3, 3, v3
	v_cndmask_b32_e32 v3, v5, v3, vcc_lo
	s_delay_alu instid0(VALU_DEP_3) | instskip(NEXT) | instid1(VALU_DEP_2)
	v_lshl_add_u32 v5, v7, 23, 0x37800000
	v_lshlrev_b32_e32 v3, 21, v3
	s_delay_alu instid0(VALU_DEP_1) | instskip(NEXT) | instid1(VALU_DEP_1)
	v_or3_b32 v1, v1, v5, v3
	v_trunc_f32_e32 v1, v1
	s_delay_alu instid0(VALU_DEP_1) | instskip(NEXT) | instid1(VALU_DEP_1)
	v_mul_f32_e32 v3, 0x2f800000, v1
	v_floor_f32_e32 v3, v3
	s_delay_alu instid0(VALU_DEP_1) | instskip(SKIP_1) | instid1(VALU_DEP_2)
	v_fmamk_f32 v1, v3, 0xcf800000, v1
	v_cvt_u32_f32_e32 v15, v3
	v_cvt_u32_f32_e32 v14, v1
.LBB372_1563:
	s_or_b32 exec_lo, exec_lo, s7
	s_mov_b32 s7, 0
	s_branch .LBB372_1569
.LBB372_1564:
	s_mov_b32 s7, -1
                                        ; implicit-def: $vgpr14_vgpr15
	s_branch .LBB372_1575
.LBB372_1565:
	s_and_not1_saveexec_b32 s8, s8
	s_cbranch_execz .LBB372_1550
.LBB372_1566:
	v_cmp_ne_u16_e32 vcc_lo, 0, v1
	s_and_not1_b32 s9, s9, exec_lo
	s_and_b32 s10, vcc_lo, exec_lo
	s_delay_alu instid0(SALU_CYCLE_1)
	s_or_b32 s9, s9, s10
	s_or_b32 exec_lo, exec_lo, s8
	v_mov_b64_e32 v[14:15], 0
	s_and_saveexec_b32 s8, s9
	s_cbranch_execnz .LBB372_1551
	s_branch .LBB372_1552
.LBB372_1567:
	s_mov_b32 s7, -1
                                        ; implicit-def: $vgpr14_vgpr15
	s_branch .LBB372_1572
.LBB372_1568:
	s_mov_b32 s7, -1
                                        ; implicit-def: $vgpr14_vgpr15
.LBB372_1569:
	s_delay_alu instid0(SALU_CYCLE_1)
	s_and_b32 vcc_lo, exec_lo, s7
	s_cbranch_vccz .LBB372_1571
; %bb.1570:
	global_load_u8 v1, v[16:17], off
	s_wait_loadcnt 0x0
	v_lshlrev_b32_e32 v1, 24, v1
	s_delay_alu instid0(VALU_DEP_1) | instskip(NEXT) | instid1(VALU_DEP_1)
	v_and_b32_e32 v3, 0x7f000000, v1
	v_clz_i32_u32_e32 v5, v3
	v_cmp_ne_u32_e32 vcc_lo, 0, v3
	v_add_nc_u32_e32 v14, 0x1000000, v3
	s_delay_alu instid0(VALU_DEP_3) | instskip(NEXT) | instid1(VALU_DEP_1)
	v_min_u32_e32 v5, 32, v5
	v_sub_nc_u32_e64 v5, v5, 4 clamp
	s_delay_alu instid0(VALU_DEP_1) | instskip(NEXT) | instid1(VALU_DEP_1)
	v_dual_lshlrev_b32 v7, v5, v3 :: v_dual_lshlrev_b32 v5, 23, v5
	v_lshrrev_b32_e32 v7, 4, v7
	s_delay_alu instid0(VALU_DEP_1) | instskip(NEXT) | instid1(VALU_DEP_1)
	v_dual_sub_nc_u32 v5, v7, v5 :: v_dual_ashrrev_i32 v7, 8, v14
	v_add_nc_u32_e32 v5, 0x3c000000, v5
	s_delay_alu instid0(VALU_DEP_1) | instskip(NEXT) | instid1(VALU_DEP_1)
	v_and_or_b32 v5, 0x7f800000, v7, v5
	v_cndmask_b32_e32 v3, 0, v5, vcc_lo
	s_delay_alu instid0(VALU_DEP_1) | instskip(NEXT) | instid1(VALU_DEP_1)
	v_and_or_b32 v1, 0x80000000, v1, v3
	v_trunc_f32_e32 v1, v1
	s_delay_alu instid0(VALU_DEP_1) | instskip(NEXT) | instid1(VALU_DEP_1)
	v_mul_f32_e32 v3, 0x2f800000, v1
	v_floor_f32_e32 v3, v3
	s_delay_alu instid0(VALU_DEP_1) | instskip(SKIP_1) | instid1(VALU_DEP_2)
	v_fmamk_f32 v1, v3, 0xcf800000, v1
	v_cvt_u32_f32_e32 v15, v3
	v_cvt_u32_f32_e32 v14, v1
.LBB372_1571:
	s_mov_b32 s7, 0
.LBB372_1572:
	s_delay_alu instid0(SALU_CYCLE_1)
	s_and_not1_b32 vcc_lo, exec_lo, s7
	s_cbranch_vccnz .LBB372_1574
; %bb.1573:
	global_load_u8 v1, v[16:17], off
	s_wait_loadcnt 0x0
	v_lshlrev_b32_e32 v3, 25, v1
	v_lshlrev_b16 v1, 8, v1
	s_delay_alu instid0(VALU_DEP_1) | instskip(SKIP_1) | instid1(VALU_DEP_2)
	v_and_or_b32 v7, 0x7f00, v1, 0.5
	v_bfe_i32 v1, v1, 0, 16
	v_add_f32_e32 v7, -0.5, v7
	v_lshrrev_b32_e32 v5, 4, v3
	v_cmp_gt_u32_e32 vcc_lo, 0x8000000, v3
	s_delay_alu instid0(VALU_DEP_2) | instskip(NEXT) | instid1(VALU_DEP_1)
	v_or_b32_e32 v5, 0x70000000, v5
	v_mul_f32_e32 v5, 0x7800000, v5
	s_delay_alu instid0(VALU_DEP_1) | instskip(NEXT) | instid1(VALU_DEP_1)
	v_cndmask_b32_e32 v3, v5, v7, vcc_lo
	v_and_or_b32 v1, 0x80000000, v1, v3
	s_delay_alu instid0(VALU_DEP_1) | instskip(NEXT) | instid1(VALU_DEP_1)
	v_trunc_f32_e32 v1, v1
	v_mul_f32_e32 v3, 0x2f800000, v1
	s_delay_alu instid0(VALU_DEP_1) | instskip(NEXT) | instid1(VALU_DEP_1)
	v_floor_f32_e32 v3, v3
	v_fmamk_f32 v1, v3, 0xcf800000, v1
	v_cvt_u32_f32_e32 v15, v3
	s_delay_alu instid0(VALU_DEP_2)
	v_cvt_u32_f32_e32 v14, v1
.LBB372_1574:
	s_mov_b32 s7, 0
	s_mov_b32 s8, -1
.LBB372_1575:
	s_and_not1_b32 vcc_lo, exec_lo, s7
	s_mov_b32 s7, 0
	s_cbranch_vccnz .LBB372_1586
; %bb.1576:
	s_cmp_gt_i32 s0, 14
	s_cbranch_scc0 .LBB372_1579
; %bb.1577:
	s_cmp_eq_u32 s0, 15
	s_cbranch_scc0 .LBB372_1582
; %bb.1578:
	global_load_u16 v1, v[16:17], off
	s_mov_b32 s6, 0
	s_mov_b32 s8, -1
	s_wait_loadcnt 0x0
	v_lshlrev_b32_e32 v1, 16, v1
	s_delay_alu instid0(VALU_DEP_1) | instskip(NEXT) | instid1(VALU_DEP_1)
	v_trunc_f32_e32 v1, v1
	v_mul_f32_e32 v3, 0x2f800000, v1
	s_delay_alu instid0(VALU_DEP_1) | instskip(NEXT) | instid1(VALU_DEP_1)
	v_floor_f32_e32 v3, v3
	v_fmamk_f32 v1, v3, 0xcf800000, v1
	v_cvt_u32_f32_e32 v15, v3
	s_delay_alu instid0(VALU_DEP_2)
	v_cvt_u32_f32_e32 v14, v1
	s_branch .LBB372_1584
.LBB372_1579:
	s_mov_b32 s7, -1
	s_branch .LBB372_1583
.LBB372_1580:
	s_and_not1_saveexec_b32 s7, s7
	s_cbranch_execz .LBB372_1561
.LBB372_1581:
	v_cmp_ne_u16_e32 vcc_lo, 0, v1
	s_and_not1_b32 s8, s8, exec_lo
	s_and_b32 s9, vcc_lo, exec_lo
	s_delay_alu instid0(SALU_CYCLE_1)
	s_or_b32 s8, s8, s9
	s_or_b32 exec_lo, exec_lo, s7
	v_mov_b64_e32 v[14:15], 0
	s_and_saveexec_b32 s7, s8
	s_cbranch_execnz .LBB372_1562
	s_branch .LBB372_1563
.LBB372_1582:
	s_mov_b32 s6, -1
.LBB372_1583:
                                        ; implicit-def: $vgpr14_vgpr15
.LBB372_1584:
	s_and_b32 vcc_lo, exec_lo, s7
	s_mov_b32 s7, 0
	s_cbranch_vccz .LBB372_1586
; %bb.1585:
	s_cmp_lg_u32 s0, 11
	s_mov_b32 s7, -1
	s_cselect_b32 s6, -1, 0
.LBB372_1586:
	s_delay_alu instid0(SALU_CYCLE_1)
	s_and_b32 vcc_lo, exec_lo, s6
	s_cbranch_vccnz .LBB372_2118
; %bb.1587:
	s_and_not1_b32 vcc_lo, exec_lo, s7
	s_cbranch_vccnz .LBB372_1589
.LBB372_1588:
	global_load_u8 v1, v[16:17], off
	s_mov_b32 s6, 0
	s_mov_b32 s8, -1
	s_wait_loadcnt 0x1
	v_mov_b32_e32 v15, s6
	s_wait_loadcnt 0x0
	v_cmp_ne_u16_e32 vcc_lo, 0, v1
	v_cndmask_b32_e64 v14, 0, 1, vcc_lo
.LBB372_1589:
	s_mov_b32 s6, 0
.LBB372_1590:
	s_delay_alu instid0(SALU_CYCLE_1)
	s_and_b32 vcc_lo, exec_lo, s6
	s_cbranch_vccz .LBB372_1639
; %bb.1591:
	s_cmp_lt_i32 s0, 5
	s_cbranch_scc1 .LBB372_1596
; %bb.1592:
	s_cmp_lt_i32 s0, 8
	s_cbranch_scc1 .LBB372_1597
	;; [unrolled: 3-line block ×3, first 2 shown]
; %bb.1594:
	s_cmp_gt_i32 s0, 9
	s_cbranch_scc0 .LBB372_1599
; %bb.1595:
	s_wait_loadcnt 0x0
	global_load_b64 v[14:15], v[16:17], off
	s_mov_b32 s6, 0
	s_wait_loadcnt 0x0
	v_trunc_f64_e32 v[14:15], v[14:15]
	s_delay_alu instid0(VALU_DEP_1) | instskip(NEXT) | instid1(VALU_DEP_1)
	v_ldexp_f64 v[18:19], v[14:15], 0xffffffe0
	v_floor_f64_e32 v[18:19], v[18:19]
	s_delay_alu instid0(VALU_DEP_1) | instskip(SKIP_1) | instid1(VALU_DEP_2)
	v_fmamk_f64 v[20:21], v[18:19], 0xc1f00000, v[14:15]
	v_cvt_u32_f64_e32 v15, v[18:19]
	v_cvt_u32_f64_e32 v14, v[20:21]
	s_branch .LBB372_1600
.LBB372_1596:
	s_mov_b32 s6, -1
                                        ; implicit-def: $vgpr14_vgpr15
	s_branch .LBB372_1618
.LBB372_1597:
	s_mov_b32 s6, -1
                                        ; implicit-def: $vgpr14_vgpr15
	s_branch .LBB372_1606
.LBB372_1598:
	s_mov_b32 s6, -1
                                        ; implicit-def: $vgpr14_vgpr15
	s_branch .LBB372_1603
.LBB372_1599:
	s_mov_b32 s6, -1
                                        ; implicit-def: $vgpr14_vgpr15
.LBB372_1600:
	s_delay_alu instid0(SALU_CYCLE_1)
	s_and_not1_b32 vcc_lo, exec_lo, s6
	s_cbranch_vccnz .LBB372_1602
; %bb.1601:
	global_load_b32 v1, v[16:17], off
	s_wait_loadcnt 0x0
	v_trunc_f32_e32 v1, v1
	s_delay_alu instid0(VALU_DEP_1) | instskip(NEXT) | instid1(VALU_DEP_1)
	v_mul_f32_e32 v3, 0x2f800000, v1
	v_floor_f32_e32 v3, v3
	s_delay_alu instid0(VALU_DEP_1) | instskip(SKIP_1) | instid1(VALU_DEP_2)
	v_fmamk_f32 v1, v3, 0xcf800000, v1
	v_cvt_u32_f32_e32 v15, v3
	v_cvt_u32_f32_e32 v14, v1
.LBB372_1602:
	s_mov_b32 s6, 0
.LBB372_1603:
	s_delay_alu instid0(SALU_CYCLE_1)
	s_and_not1_b32 vcc_lo, exec_lo, s6
	s_cbranch_vccnz .LBB372_1605
; %bb.1604:
	global_load_b32 v1, v[16:17], off
	s_wait_loadcnt 0x1
	v_mov_b32_e32 v15, 0
	s_wait_loadcnt 0x0
	v_cvt_f32_f16_e32 v1, v1
	s_delay_alu instid0(VALU_DEP_1)
	v_cvt_u32_f32_e32 v14, v1
.LBB372_1605:
	s_mov_b32 s6, 0
.LBB372_1606:
	s_delay_alu instid0(SALU_CYCLE_1)
	s_and_not1_b32 vcc_lo, exec_lo, s6
	s_cbranch_vccnz .LBB372_1617
; %bb.1607:
	s_cmp_lt_i32 s0, 6
	s_cbranch_scc1 .LBB372_1610
; %bb.1608:
	s_cmp_gt_i32 s0, 6
	s_cbranch_scc0 .LBB372_1611
; %bb.1609:
	s_wait_loadcnt 0x0
	global_load_b64 v[14:15], v[16:17], off
	s_mov_b32 s6, 0
	s_wait_loadcnt 0x0
	v_trunc_f64_e32 v[14:15], v[14:15]
	s_delay_alu instid0(VALU_DEP_1) | instskip(NEXT) | instid1(VALU_DEP_1)
	v_ldexp_f64 v[18:19], v[14:15], 0xffffffe0
	v_floor_f64_e32 v[18:19], v[18:19]
	s_delay_alu instid0(VALU_DEP_1) | instskip(SKIP_1) | instid1(VALU_DEP_2)
	v_fmamk_f64 v[20:21], v[18:19], 0xc1f00000, v[14:15]
	v_cvt_u32_f64_e32 v15, v[18:19]
	v_cvt_u32_f64_e32 v14, v[20:21]
	s_branch .LBB372_1612
.LBB372_1610:
	s_mov_b32 s6, -1
                                        ; implicit-def: $vgpr14_vgpr15
	s_branch .LBB372_1615
.LBB372_1611:
	s_mov_b32 s6, -1
                                        ; implicit-def: $vgpr14_vgpr15
.LBB372_1612:
	s_delay_alu instid0(SALU_CYCLE_1)
	s_and_not1_b32 vcc_lo, exec_lo, s6
	s_cbranch_vccnz .LBB372_1614
; %bb.1613:
	global_load_b32 v1, v[16:17], off
	s_wait_loadcnt 0x0
	v_trunc_f32_e32 v1, v1
	s_delay_alu instid0(VALU_DEP_1) | instskip(NEXT) | instid1(VALU_DEP_1)
	v_mul_f32_e32 v3, 0x2f800000, v1
	v_floor_f32_e32 v3, v3
	s_delay_alu instid0(VALU_DEP_1) | instskip(SKIP_1) | instid1(VALU_DEP_2)
	v_fmamk_f32 v1, v3, 0xcf800000, v1
	v_cvt_u32_f32_e32 v15, v3
	v_cvt_u32_f32_e32 v14, v1
.LBB372_1614:
	s_mov_b32 s6, 0
.LBB372_1615:
	s_delay_alu instid0(SALU_CYCLE_1)
	s_and_not1_b32 vcc_lo, exec_lo, s6
	s_cbranch_vccnz .LBB372_1617
; %bb.1616:
	global_load_u16 v1, v[16:17], off
	s_wait_loadcnt 0x1
	v_mov_b32_e32 v15, 0
	s_wait_loadcnt 0x0
	v_cvt_f32_f16_e32 v1, v1
	s_delay_alu instid0(VALU_DEP_1)
	v_cvt_u32_f32_e32 v14, v1
.LBB372_1617:
	s_mov_b32 s6, 0
.LBB372_1618:
	s_delay_alu instid0(SALU_CYCLE_1)
	s_and_not1_b32 vcc_lo, exec_lo, s6
	s_cbranch_vccnz .LBB372_1638
; %bb.1619:
	s_cmp_lt_i32 s0, 2
	s_cbranch_scc1 .LBB372_1623
; %bb.1620:
	s_cmp_lt_i32 s0, 3
	s_cbranch_scc1 .LBB372_1624
; %bb.1621:
	s_cmp_gt_i32 s0, 3
	s_cbranch_scc0 .LBB372_1625
; %bb.1622:
	s_wait_loadcnt 0x0
	global_load_b64 v[14:15], v[16:17], off
	s_mov_b32 s6, 0
	s_branch .LBB372_1626
.LBB372_1623:
	s_mov_b32 s6, -1
                                        ; implicit-def: $vgpr14_vgpr15
	s_branch .LBB372_1632
.LBB372_1624:
	s_mov_b32 s6, -1
                                        ; implicit-def: $vgpr14_vgpr15
	s_branch .LBB372_1629
.LBB372_1625:
	s_mov_b32 s6, -1
                                        ; implicit-def: $vgpr14_vgpr15
.LBB372_1626:
	s_delay_alu instid0(SALU_CYCLE_1)
	s_and_not1_b32 vcc_lo, exec_lo, s6
	s_cbranch_vccnz .LBB372_1628
; %bb.1627:
	s_wait_loadcnt 0x0
	global_load_b32 v14, v[16:17], off
	s_wait_loadcnt 0x0
	v_ashrrev_i32_e32 v15, 31, v14
.LBB372_1628:
	s_mov_b32 s6, 0
.LBB372_1629:
	s_delay_alu instid0(SALU_CYCLE_1)
	s_and_not1_b32 vcc_lo, exec_lo, s6
	s_cbranch_vccnz .LBB372_1631
; %bb.1630:
	global_load_u16 v1, v[16:17], off
	s_wait_loadcnt 0x0
	v_bfe_i32 v14, v1, 0, 16
	s_delay_alu instid0(VALU_DEP_1)
	v_ashrrev_i32_e32 v15, 31, v14
.LBB372_1631:
	s_mov_b32 s6, 0
.LBB372_1632:
	s_delay_alu instid0(SALU_CYCLE_1)
	s_and_not1_b32 vcc_lo, exec_lo, s6
	s_cbranch_vccnz .LBB372_1638
; %bb.1633:
	s_cmp_gt_i32 s0, 0
	s_mov_b32 s0, 0
	s_cbranch_scc0 .LBB372_1635
; %bb.1634:
	global_load_i8 v1, v[16:17], off
	s_wait_loadcnt 0x0
	v_bfe_i32 v14, v1, 0, 16
	s_delay_alu instid0(VALU_DEP_1)
	v_ashrrev_i32_e32 v15, 31, v14
	s_branch .LBB372_1636
.LBB372_1635:
	s_mov_b32 s0, -1
                                        ; implicit-def: $vgpr14_vgpr15
.LBB372_1636:
	s_delay_alu instid0(SALU_CYCLE_1)
	s_and_not1_b32 vcc_lo, exec_lo, s0
	s_cbranch_vccnz .LBB372_1638
; %bb.1637:
	global_load_u8 v1, v[16:17], off
	s_mov_b32 s0, 0
	s_wait_loadcnt 0x1
	v_mov_b32_e32 v15, s0
	s_wait_loadcnt 0x0
	v_and_b32_e32 v14, 0xffff, v1
.LBB372_1638:
	s_mov_b32 s8, -1
.LBB372_1639:
	s_delay_alu instid0(SALU_CYCLE_1)
	s_and_not1_b32 vcc_lo, exec_lo, s8
	s_cbranch_vccnz .LBB372_2072
; %bb.1640:
	s_clause 0x1
	s_load_b96 s[8:10], s[2:3], 0x160
	s_load_b32 s0, s[2:3], 0x158
	v_mov_b32_e32 v7, 0
	s_mov_b32 s13, 0
	s_delay_alu instid0(VALU_DEP_1)
	v_add_nc_u64_e32 v[6:7], s[4:5], v[6:7]
	s_wait_loadcnt 0x0
	s_wait_kmcnt 0x0
	v_cmp_ne_u64_e32 vcc_lo, s[8:9], v[8:9]
	s_cmp_eq_u32 s0, 0
	s_mov_b32 s0, -1
	s_cselect_b32 s2, -1, 0
	s_and_b32 s6, s10, 0xff
	s_xor_b32 s3, s2, vcc_lo
	s_cmp_lt_i32 s6, 11
	s_cbranch_scc1 .LBB372_1719
; %bb.1641:
	s_and_b32 s7, 0xffff, s6
	s_mov_b32 s14, -1
	s_mov_b32 s10, 0
	s_cmp_gt_i32 s7, 25
	s_mov_b32 s0, 0
	s_cbranch_scc0 .LBB372_1674
; %bb.1642:
	s_cmp_gt_i32 s7, 28
	s_cbranch_scc0 .LBB372_1657
; %bb.1643:
	s_cmp_gt_i32 s7, 43
	;; [unrolled: 3-line block ×3, first 2 shown]
	s_cbranch_scc0 .LBB372_1647
; %bb.1645:
	s_mov_b32 s0, -1
	s_mov_b32 s14, 0
	s_cmp_eq_u32 s7, 46
	s_cbranch_scc0 .LBB372_1647
; %bb.1646:
	v_cndmask_b32_e64 v1, 0, 1.0, s3
	s_mov_b32 s0, 0
	s_mov_b32 s13, -1
	s_delay_alu instid0(VALU_DEP_1) | instskip(NEXT) | instid1(VALU_DEP_1)
	v_bfe_u32 v3, v1, 16, 1
	v_add3_u32 v1, v1, v3, 0x7fff
	s_delay_alu instid0(VALU_DEP_1)
	v_lshrrev_b32_e32 v1, 16, v1
	global_store_b32 v[6:7], v1, off
.LBB372_1647:
	s_and_b32 vcc_lo, exec_lo, s14
	s_cbranch_vccz .LBB372_1652
; %bb.1648:
	s_cmp_eq_u32 s7, 44
	s_mov_b32 s0, -1
	s_cbranch_scc0 .LBB372_1652
; %bb.1649:
	v_cndmask_b32_e64 v5, 0, 1.0, s3
	v_mov_b32_e32 v3, 0xff
	s_mov_b32 s13, exec_lo
	s_wait_xcnt 0x0
	s_delay_alu instid0(VALU_DEP_2) | instskip(NEXT) | instid1(VALU_DEP_1)
	v_lshrrev_b32_e32 v1, 23, v5
	v_cmpx_ne_u32_e32 0xff, v1
; %bb.1650:
	v_and_b32_e32 v3, 0x400000, v5
	v_and_or_b32 v5, 0x3fffff, v5, v1
	s_delay_alu instid0(VALU_DEP_2) | instskip(NEXT) | instid1(VALU_DEP_2)
	v_cmp_ne_u32_e32 vcc_lo, 0, v3
	v_cmp_ne_u32_e64 s0, 0, v5
	s_and_b32 s0, vcc_lo, s0
	s_delay_alu instid0(SALU_CYCLE_1) | instskip(NEXT) | instid1(VALU_DEP_1)
	v_cndmask_b32_e64 v3, 0, 1, s0
	v_add_nc_u32_e32 v3, v1, v3
; %bb.1651:
	s_or_b32 exec_lo, exec_lo, s13
	s_mov_b32 s0, 0
	s_mov_b32 s13, -1
	global_store_b8 v[6:7], v3, off
.LBB372_1652:
	s_mov_b32 s14, 0
.LBB372_1653:
	s_delay_alu instid0(SALU_CYCLE_1)
	s_and_b32 vcc_lo, exec_lo, s14
	s_cbranch_vccz .LBB372_1656
; %bb.1654:
	s_cmp_eq_u32 s7, 29
	s_mov_b32 s0, -1
	s_cbranch_scc0 .LBB372_1656
; %bb.1655:
	s_mov_b32 s0, 0
	v_cndmask_b32_e64 v8, 0, 1, s3
	v_mov_b32_e32 v9, s0
	s_mov_b32 s13, -1
	global_store_b64 v[6:7], v[8:9], off
.LBB372_1656:
	s_mov_b32 s14, 0
.LBB372_1657:
	s_delay_alu instid0(SALU_CYCLE_1)
	s_and_b32 vcc_lo, exec_lo, s14
	s_cbranch_vccz .LBB372_1673
; %bb.1658:
	s_cmp_lt_i32 s7, 27
	s_mov_b32 s13, -1
	s_cbranch_scc1 .LBB372_1664
; %bb.1659:
	s_cmp_gt_i32 s7, 27
	s_cbranch_scc0 .LBB372_1661
; %bb.1660:
	s_wait_xcnt 0x0
	v_cndmask_b32_e64 v1, 0, 1, s3
	s_mov_b32 s13, 0
	global_store_b32 v[6:7], v1, off
.LBB372_1661:
	s_and_not1_b32 vcc_lo, exec_lo, s13
	s_cbranch_vccnz .LBB372_1663
; %bb.1662:
	s_wait_xcnt 0x0
	v_cndmask_b32_e64 v1, 0, 1, s3
	global_store_b16 v[6:7], v1, off
.LBB372_1663:
	s_mov_b32 s13, 0
.LBB372_1664:
	s_delay_alu instid0(SALU_CYCLE_1)
	s_and_not1_b32 vcc_lo, exec_lo, s13
	s_cbranch_vccnz .LBB372_1672
; %bb.1665:
	s_wait_xcnt 0x0
	v_cndmask_b32_e64 v3, 0, 1.0, s3
	v_mov_b32_e32 v5, 0x80
	s_mov_b32 s13, exec_lo
	s_delay_alu instid0(VALU_DEP_2)
	v_cmpx_gt_u32_e32 0x43800000, v3
	s_cbranch_execz .LBB372_1671
; %bb.1666:
	s_mov_b32 s14, 0
	s_mov_b32 s15, exec_lo
                                        ; implicit-def: $vgpr1
	v_cmpx_lt_u32_e32 0x3bffffff, v3
	s_xor_b32 s15, exec_lo, s15
	s_cbranch_execz .LBB372_2119
; %bb.1667:
	v_bfe_u32 v1, v3, 20, 1
	s_mov_b32 s14, exec_lo
	s_delay_alu instid0(VALU_DEP_1) | instskip(NEXT) | instid1(VALU_DEP_1)
	v_add3_u32 v1, v3, v1, 0x487ffff
                                        ; implicit-def: $vgpr3
	v_lshrrev_b32_e32 v1, 20, v1
	s_and_not1_saveexec_b32 s15, s15
	s_cbranch_execnz .LBB372_2120
.LBB372_1668:
	s_or_b32 exec_lo, exec_lo, s15
	v_mov_b32_e32 v5, 0
	s_and_saveexec_b32 s15, s14
.LBB372_1669:
	v_mov_b32_e32 v5, v1
.LBB372_1670:
	s_or_b32 exec_lo, exec_lo, s15
.LBB372_1671:
	s_delay_alu instid0(SALU_CYCLE_1)
	s_or_b32 exec_lo, exec_lo, s13
	global_store_b8 v[6:7], v5, off
.LBB372_1672:
	s_mov_b32 s13, -1
.LBB372_1673:
	s_mov_b32 s14, 0
.LBB372_1674:
	s_delay_alu instid0(SALU_CYCLE_1)
	s_and_b32 vcc_lo, exec_lo, s14
	s_cbranch_vccz .LBB372_1714
; %bb.1675:
	s_cmp_gt_i32 s7, 22
	s_mov_b32 s10, -1
	s_cbranch_scc0 .LBB372_1707
; %bb.1676:
	s_cmp_lt_i32 s7, 24
	s_cbranch_scc1 .LBB372_1696
; %bb.1677:
	s_cmp_gt_i32 s7, 24
	s_cbranch_scc0 .LBB372_1685
; %bb.1678:
	s_wait_xcnt 0x0
	v_cndmask_b32_e64 v3, 0, 1.0, s3
	v_mov_b32_e32 v5, 0x80
	s_mov_b32 s10, exec_lo
	s_delay_alu instid0(VALU_DEP_2)
	v_cmpx_gt_u32_e32 0x47800000, v3
	s_cbranch_execz .LBB372_1684
; %bb.1679:
	s_mov_b32 s13, 0
	s_mov_b32 s14, exec_lo
                                        ; implicit-def: $vgpr1
	v_cmpx_lt_u32_e32 0x37ffffff, v3
	s_xor_b32 s14, exec_lo, s14
	s_cbranch_execz .LBB372_2122
; %bb.1680:
	v_bfe_u32 v1, v3, 21, 1
	s_mov_b32 s13, exec_lo
	s_delay_alu instid0(VALU_DEP_1) | instskip(NEXT) | instid1(VALU_DEP_1)
	v_add3_u32 v1, v3, v1, 0x88fffff
                                        ; implicit-def: $vgpr3
	v_lshrrev_b32_e32 v1, 21, v1
	s_and_not1_saveexec_b32 s14, s14
	s_cbranch_execnz .LBB372_2123
.LBB372_1681:
	s_or_b32 exec_lo, exec_lo, s14
	v_mov_b32_e32 v5, 0
	s_and_saveexec_b32 s14, s13
.LBB372_1682:
	v_mov_b32_e32 v5, v1
.LBB372_1683:
	s_or_b32 exec_lo, exec_lo, s14
.LBB372_1684:
	s_delay_alu instid0(SALU_CYCLE_1)
	s_or_b32 exec_lo, exec_lo, s10
	s_mov_b32 s10, 0
	global_store_b8 v[6:7], v5, off
.LBB372_1685:
	s_and_b32 vcc_lo, exec_lo, s10
	s_cbranch_vccz .LBB372_1695
; %bb.1686:
	s_wait_xcnt 0x0
	v_cndmask_b32_e64 v3, 0, 1.0, s3
	s_mov_b32 s10, exec_lo
                                        ; implicit-def: $vgpr1
	s_delay_alu instid0(VALU_DEP_1)
	v_cmpx_gt_u32_e32 0x43f00000, v3
	s_xor_b32 s10, exec_lo, s10
	s_cbranch_execz .LBB372_1692
; %bb.1687:
	s_mov_b32 s13, exec_lo
                                        ; implicit-def: $vgpr1
	v_cmpx_lt_u32_e32 0x3c7fffff, v3
	s_xor_b32 s13, exec_lo, s13
; %bb.1688:
	v_bfe_u32 v1, v3, 20, 1
	s_delay_alu instid0(VALU_DEP_1) | instskip(NEXT) | instid1(VALU_DEP_1)
	v_add3_u32 v1, v3, v1, 0x407ffff
	v_and_b32_e32 v3, 0xff00000, v1
	v_lshrrev_b32_e32 v1, 20, v1
	s_delay_alu instid0(VALU_DEP_2) | instskip(NEXT) | instid1(VALU_DEP_2)
	v_cmp_ne_u32_e32 vcc_lo, 0x7f00000, v3
                                        ; implicit-def: $vgpr3
	v_cndmask_b32_e32 v1, 0x7e, v1, vcc_lo
; %bb.1689:
	s_and_not1_saveexec_b32 s13, s13
; %bb.1690:
	v_add_f32_e32 v1, 0x46800000, v3
; %bb.1691:
	s_or_b32 exec_lo, exec_lo, s13
                                        ; implicit-def: $vgpr3
.LBB372_1692:
	s_and_not1_saveexec_b32 s10, s10
; %bb.1693:
	v_mov_b32_e32 v1, 0x7f
	v_cmp_lt_u32_e32 vcc_lo, 0x7f800000, v3
	s_delay_alu instid0(VALU_DEP_2)
	v_cndmask_b32_e32 v1, 0x7e, v1, vcc_lo
; %bb.1694:
	s_or_b32 exec_lo, exec_lo, s10
	global_store_b8 v[6:7], v1, off
.LBB372_1695:
	s_mov_b32 s10, 0
.LBB372_1696:
	s_delay_alu instid0(SALU_CYCLE_1)
	s_and_not1_b32 vcc_lo, exec_lo, s10
	s_cbranch_vccnz .LBB372_1706
; %bb.1697:
	s_wait_xcnt 0x0
	v_cndmask_b32_e64 v3, 0, 1.0, s3
	s_mov_b32 s10, exec_lo
                                        ; implicit-def: $vgpr1
	s_delay_alu instid0(VALU_DEP_1)
	v_cmpx_gt_u32_e32 0x47800000, v3
	s_xor_b32 s10, exec_lo, s10
	s_cbranch_execz .LBB372_1703
; %bb.1698:
	s_mov_b32 s13, exec_lo
                                        ; implicit-def: $vgpr1
	v_cmpx_lt_u32_e32 0x387fffff, v3
	s_xor_b32 s13, exec_lo, s13
; %bb.1699:
	v_bfe_u32 v1, v3, 21, 1
	s_delay_alu instid0(VALU_DEP_1) | instskip(NEXT) | instid1(VALU_DEP_1)
	v_add3_u32 v1, v3, v1, 0x80fffff
                                        ; implicit-def: $vgpr3
	v_lshrrev_b32_e32 v1, 21, v1
; %bb.1700:
	s_and_not1_saveexec_b32 s13, s13
; %bb.1701:
	v_add_f32_e32 v1, 0x43000000, v3
; %bb.1702:
	s_or_b32 exec_lo, exec_lo, s13
                                        ; implicit-def: $vgpr3
.LBB372_1703:
	s_and_not1_saveexec_b32 s10, s10
; %bb.1704:
	v_mov_b32_e32 v1, 0x7f
	v_cmp_lt_u32_e32 vcc_lo, 0x7f800000, v3
	s_delay_alu instid0(VALU_DEP_2)
	v_cndmask_b32_e32 v1, 0x7c, v1, vcc_lo
; %bb.1705:
	s_or_b32 exec_lo, exec_lo, s10
	global_store_b8 v[6:7], v1, off
.LBB372_1706:
	s_mov_b32 s10, 0
	s_mov_b32 s13, -1
.LBB372_1707:
	s_and_not1_b32 vcc_lo, exec_lo, s10
	s_mov_b32 s10, 0
	s_cbranch_vccnz .LBB372_1714
; %bb.1708:
	s_cmp_gt_i32 s7, 14
	s_mov_b32 s10, -1
	s_cbranch_scc0 .LBB372_1712
; %bb.1709:
	s_cmp_eq_u32 s7, 15
	s_mov_b32 s0, -1
	s_cbranch_scc0 .LBB372_1711
; %bb.1710:
	s_wait_xcnt 0x0
	v_cndmask_b32_e64 v1, 0, 1.0, s3
	s_mov_b32 s0, 0
	s_mov_b32 s13, -1
	s_delay_alu instid0(VALU_DEP_1) | instskip(NEXT) | instid1(VALU_DEP_1)
	v_bfe_u32 v3, v1, 16, 1
	v_add3_u32 v1, v1, v3, 0x7fff
	global_store_d16_hi_b16 v[6:7], v1, off
.LBB372_1711:
	s_mov_b32 s10, 0
.LBB372_1712:
	s_delay_alu instid0(SALU_CYCLE_1)
	s_and_b32 vcc_lo, exec_lo, s10
	s_mov_b32 s10, 0
	s_cbranch_vccz .LBB372_1714
; %bb.1713:
	s_cmp_lg_u32 s7, 11
	s_mov_b32 s10, -1
	s_cselect_b32 s0, -1, 0
.LBB372_1714:
	s_delay_alu instid0(SALU_CYCLE_1)
	s_and_b32 vcc_lo, exec_lo, s0
	s_cbranch_vccnz .LBB372_2121
; %bb.1715:
	s_and_not1_b32 vcc_lo, exec_lo, s10
	s_cbranch_vccnz .LBB372_1717
.LBB372_1716:
	s_wait_xcnt 0x0
	v_cndmask_b32_e64 v1, 0, 1, s3
	s_mov_b32 s13, -1
	global_store_b8 v[6:7], v1, off
.LBB372_1717:
.LBB372_1718:
	s_and_not1_b32 vcc_lo, exec_lo, s13
	s_cbranch_vccnz .LBB372_2072
	s_branch .LBB372_1758
.LBB372_1719:
	s_and_b32 vcc_lo, exec_lo, s0
	s_cbranch_vccz .LBB372_1718
; %bb.1720:
	s_and_b32 s0, 0xffff, s6
	s_mov_b32 s7, -1
	s_cmp_lt_i32 s0, 5
	s_cbranch_scc1 .LBB372_1741
; %bb.1721:
	s_cmp_lt_i32 s0, 8
	s_cbranch_scc1 .LBB372_1731
; %bb.1722:
	;; [unrolled: 3-line block ×3, first 2 shown]
	s_cmp_gt_i32 s0, 9
	s_cbranch_scc0 .LBB372_1725
; %bb.1724:
	s_wait_xcnt 0x0
	v_cndmask_b32_e64 v1, 0, 1, s3
	v_mov_b32_e32 v18, 0
	s_mov_b32 s7, 0
	s_delay_alu instid0(VALU_DEP_2) | instskip(NEXT) | instid1(VALU_DEP_2)
	v_cvt_f64_u32_e32 v[16:17], v1
	v_mov_b32_e32 v19, v18
	global_store_b128 v[6:7], v[16:19], off
.LBB372_1725:
	s_and_not1_b32 vcc_lo, exec_lo, s7
	s_cbranch_vccnz .LBB372_1727
; %bb.1726:
	s_wait_xcnt 0x0
	v_cndmask_b32_e64 v8, 0, 1.0, s3
	v_mov_b32_e32 v9, 0
	global_store_b64 v[6:7], v[8:9], off
.LBB372_1727:
	s_mov_b32 s7, 0
.LBB372_1728:
	s_delay_alu instid0(SALU_CYCLE_1)
	s_and_not1_b32 vcc_lo, exec_lo, s7
	s_cbranch_vccnz .LBB372_1730
; %bb.1729:
	s_wait_xcnt 0x0
	v_cndmask_b32_e64 v1, 0, 1.0, s3
	s_delay_alu instid0(VALU_DEP_1) | instskip(NEXT) | instid1(VALU_DEP_1)
	v_cvt_f16_f32_e32 v1, v1
	v_and_b32_e32 v1, 0xffff, v1
	global_store_b32 v[6:7], v1, off
.LBB372_1730:
	s_mov_b32 s7, 0
.LBB372_1731:
	s_delay_alu instid0(SALU_CYCLE_1)
	s_and_not1_b32 vcc_lo, exec_lo, s7
	s_cbranch_vccnz .LBB372_1740
; %bb.1732:
	s_cmp_lt_i32 s0, 6
	s_mov_b32 s7, -1
	s_cbranch_scc1 .LBB372_1738
; %bb.1733:
	s_cmp_gt_i32 s0, 6
	s_cbranch_scc0 .LBB372_1735
; %bb.1734:
	s_wait_xcnt 0x0
	v_cndmask_b32_e64 v1, 0, 1, s3
	s_mov_b32 s7, 0
	s_delay_alu instid0(VALU_DEP_1)
	v_cvt_f64_u32_e32 v[8:9], v1
	global_store_b64 v[6:7], v[8:9], off
.LBB372_1735:
	s_and_not1_b32 vcc_lo, exec_lo, s7
	s_cbranch_vccnz .LBB372_1737
; %bb.1736:
	s_wait_xcnt 0x0
	v_cndmask_b32_e64 v1, 0, 1.0, s3
	global_store_b32 v[6:7], v1, off
.LBB372_1737:
	s_mov_b32 s7, 0
.LBB372_1738:
	s_delay_alu instid0(SALU_CYCLE_1)
	s_and_not1_b32 vcc_lo, exec_lo, s7
	s_cbranch_vccnz .LBB372_1740
; %bb.1739:
	s_wait_xcnt 0x0
	v_cndmask_b32_e64 v1, 0, 1.0, s3
	s_delay_alu instid0(VALU_DEP_1)
	v_cvt_f16_f32_e32 v1, v1
	global_store_b16 v[6:7], v1, off
.LBB372_1740:
	s_mov_b32 s7, 0
.LBB372_1741:
	s_delay_alu instid0(SALU_CYCLE_1)
	s_and_not1_b32 vcc_lo, exec_lo, s7
	s_cbranch_vccnz .LBB372_1757
; %bb.1742:
	s_cmp_lt_i32 s0, 2
	s_mov_b32 s7, -1
	s_cbranch_scc1 .LBB372_1752
; %bb.1743:
	s_cmp_lt_i32 s0, 3
	s_cbranch_scc1 .LBB372_1749
; %bb.1744:
	s_cmp_gt_i32 s0, 3
	s_cbranch_scc0 .LBB372_1746
; %bb.1745:
	s_mov_b32 s7, 0
	s_wait_xcnt 0x0
	v_cndmask_b32_e64 v8, 0, 1, s3
	v_mov_b32_e32 v9, s7
	global_store_b64 v[6:7], v[8:9], off
.LBB372_1746:
	s_and_not1_b32 vcc_lo, exec_lo, s7
	s_cbranch_vccnz .LBB372_1748
; %bb.1747:
	s_wait_xcnt 0x0
	v_cndmask_b32_e64 v1, 0, 1, s3
	global_store_b32 v[6:7], v1, off
.LBB372_1748:
	s_mov_b32 s7, 0
.LBB372_1749:
	s_delay_alu instid0(SALU_CYCLE_1)
	s_and_not1_b32 vcc_lo, exec_lo, s7
	s_cbranch_vccnz .LBB372_1751
; %bb.1750:
	s_wait_xcnt 0x0
	v_cndmask_b32_e64 v1, 0, 1, s3
	global_store_b16 v[6:7], v1, off
.LBB372_1751:
	s_mov_b32 s7, 0
.LBB372_1752:
	s_delay_alu instid0(SALU_CYCLE_1)
	s_and_not1_b32 vcc_lo, exec_lo, s7
	s_cbranch_vccnz .LBB372_1757
; %bb.1753:
	s_wait_xcnt 0x0
	v_cndmask_b32_e64 v1, 0, 1, s3
	s_cmp_gt_i32 s0, 0
	s_mov_b32 s0, -1
	s_cbranch_scc0 .LBB372_1755
; %bb.1754:
	s_mov_b32 s0, 0
	global_store_b8 v[6:7], v1, off
.LBB372_1755:
	s_and_not1_b32 vcc_lo, exec_lo, s0
	s_cbranch_vccnz .LBB372_1757
; %bb.1756:
	global_store_b8 v[6:7], v1, off
.LBB372_1757:
.LBB372_1758:
	s_wait_xcnt 0x0
	v_mov_b32_e32 v5, 0
	v_cmp_ne_u64_e32 vcc_lo, s[8:9], v[10:11]
	s_and_b32 s3, 0xffff, s6
	s_delay_alu instid0(VALU_DEP_2)
	v_add_nc_u64_e32 v[4:5], s[4:5], v[4:5]
	s_xor_b32 s7, s2, vcc_lo
	s_cmp_lt_i32 s3, 11
	s_cbranch_scc1 .LBB372_1836
; %bb.1759:
	s_mov_b32 s14, -1
	s_mov_b32 s10, 0
	s_cmp_gt_i32 s3, 25
	s_mov_b32 s13, 0
	s_mov_b32 s0, 0
	s_cbranch_scc0 .LBB372_1792
; %bb.1760:
	s_cmp_gt_i32 s3, 28
	s_cbranch_scc0 .LBB372_1775
; %bb.1761:
	s_cmp_gt_i32 s3, 43
	;; [unrolled: 3-line block ×3, first 2 shown]
	s_cbranch_scc0 .LBB372_1765
; %bb.1763:
	s_mov_b32 s0, -1
	s_mov_b32 s14, 0
	s_cmp_eq_u32 s3, 46
	s_cbranch_scc0 .LBB372_1765
; %bb.1764:
	v_cndmask_b32_e64 v1, 0, 1.0, s7
	s_mov_b32 s0, 0
	s_mov_b32 s13, -1
	s_delay_alu instid0(VALU_DEP_1) | instskip(NEXT) | instid1(VALU_DEP_1)
	v_bfe_u32 v3, v1, 16, 1
	v_add3_u32 v1, v1, v3, 0x7fff
	s_delay_alu instid0(VALU_DEP_1)
	v_lshrrev_b32_e32 v1, 16, v1
	global_store_b32 v[4:5], v1, off
.LBB372_1765:
	s_and_b32 vcc_lo, exec_lo, s14
	s_cbranch_vccz .LBB372_1770
; %bb.1766:
	s_cmp_eq_u32 s3, 44
	s_mov_b32 s0, -1
	s_cbranch_scc0 .LBB372_1770
; %bb.1767:
	v_cndmask_b32_e64 v6, 0, 1.0, s7
	v_mov_b32_e32 v3, 0xff
	s_mov_b32 s13, exec_lo
	s_wait_xcnt 0x0
	s_delay_alu instid0(VALU_DEP_2) | instskip(NEXT) | instid1(VALU_DEP_1)
	v_lshrrev_b32_e32 v1, 23, v6
	v_cmpx_ne_u32_e32 0xff, v1
; %bb.1768:
	v_and_b32_e32 v3, 0x400000, v6
	v_and_or_b32 v6, 0x3fffff, v6, v1
	s_delay_alu instid0(VALU_DEP_2) | instskip(NEXT) | instid1(VALU_DEP_2)
	v_cmp_ne_u32_e32 vcc_lo, 0, v3
	v_cmp_ne_u32_e64 s0, 0, v6
	s_and_b32 s0, vcc_lo, s0
	s_delay_alu instid0(SALU_CYCLE_1) | instskip(NEXT) | instid1(VALU_DEP_1)
	v_cndmask_b32_e64 v3, 0, 1, s0
	v_add_nc_u32_e32 v3, v1, v3
; %bb.1769:
	s_or_b32 exec_lo, exec_lo, s13
	s_mov_b32 s0, 0
	s_mov_b32 s13, -1
	global_store_b8 v[4:5], v3, off
.LBB372_1770:
	s_mov_b32 s14, 0
.LBB372_1771:
	s_delay_alu instid0(SALU_CYCLE_1)
	s_and_b32 vcc_lo, exec_lo, s14
	s_cbranch_vccz .LBB372_1774
; %bb.1772:
	s_cmp_eq_u32 s3, 29
	s_mov_b32 s0, -1
	s_cbranch_scc0 .LBB372_1774
; %bb.1773:
	s_mov_b32 s0, 0
	v_cndmask_b32_e64 v6, 0, 1, s7
	v_mov_b32_e32 v7, s0
	s_mov_b32 s13, -1
	global_store_b64 v[4:5], v[6:7], off
.LBB372_1774:
	s_mov_b32 s14, 0
.LBB372_1775:
	s_delay_alu instid0(SALU_CYCLE_1)
	s_and_b32 vcc_lo, exec_lo, s14
	s_cbranch_vccz .LBB372_1791
; %bb.1776:
	s_cmp_lt_i32 s3, 27
	s_mov_b32 s13, -1
	s_cbranch_scc1 .LBB372_1782
; %bb.1777:
	s_cmp_gt_i32 s3, 27
	s_cbranch_scc0 .LBB372_1779
; %bb.1778:
	s_wait_xcnt 0x0
	v_cndmask_b32_e64 v1, 0, 1, s7
	s_mov_b32 s13, 0
	global_store_b32 v[4:5], v1, off
.LBB372_1779:
	s_and_not1_b32 vcc_lo, exec_lo, s13
	s_cbranch_vccnz .LBB372_1781
; %bb.1780:
	s_wait_xcnt 0x0
	v_cndmask_b32_e64 v1, 0, 1, s7
	global_store_b16 v[4:5], v1, off
.LBB372_1781:
	s_mov_b32 s13, 0
.LBB372_1782:
	s_delay_alu instid0(SALU_CYCLE_1)
	s_and_not1_b32 vcc_lo, exec_lo, s13
	s_cbranch_vccnz .LBB372_1790
; %bb.1783:
	s_wait_xcnt 0x0
	v_cndmask_b32_e64 v3, 0, 1.0, s7
	v_mov_b32_e32 v6, 0x80
	s_mov_b32 s13, exec_lo
	s_delay_alu instid0(VALU_DEP_2)
	v_cmpx_gt_u32_e32 0x43800000, v3
	s_cbranch_execz .LBB372_1789
; %bb.1784:
	s_mov_b32 s14, 0
	s_mov_b32 s15, exec_lo
                                        ; implicit-def: $vgpr1
	v_cmpx_lt_u32_e32 0x3bffffff, v3
	s_xor_b32 s15, exec_lo, s15
	s_cbranch_execz .LBB372_2124
; %bb.1785:
	v_bfe_u32 v1, v3, 20, 1
	s_mov_b32 s14, exec_lo
	s_delay_alu instid0(VALU_DEP_1) | instskip(NEXT) | instid1(VALU_DEP_1)
	v_add3_u32 v1, v3, v1, 0x487ffff
                                        ; implicit-def: $vgpr3
	v_lshrrev_b32_e32 v1, 20, v1
	s_and_not1_saveexec_b32 s15, s15
	s_cbranch_execnz .LBB372_2125
.LBB372_1786:
	s_or_b32 exec_lo, exec_lo, s15
	v_mov_b32_e32 v6, 0
	s_and_saveexec_b32 s15, s14
.LBB372_1787:
	v_mov_b32_e32 v6, v1
.LBB372_1788:
	s_or_b32 exec_lo, exec_lo, s15
.LBB372_1789:
	s_delay_alu instid0(SALU_CYCLE_1)
	s_or_b32 exec_lo, exec_lo, s13
	global_store_b8 v[4:5], v6, off
.LBB372_1790:
	s_mov_b32 s13, -1
.LBB372_1791:
	s_mov_b32 s14, 0
.LBB372_1792:
	s_delay_alu instid0(SALU_CYCLE_1)
	s_and_b32 vcc_lo, exec_lo, s14
	s_cbranch_vccz .LBB372_1832
; %bb.1793:
	s_cmp_gt_i32 s3, 22
	s_mov_b32 s10, -1
	s_cbranch_scc0 .LBB372_1825
; %bb.1794:
	s_cmp_lt_i32 s3, 24
	s_cbranch_scc1 .LBB372_1814
; %bb.1795:
	s_cmp_gt_i32 s3, 24
	s_cbranch_scc0 .LBB372_1803
; %bb.1796:
	s_wait_xcnt 0x0
	v_cndmask_b32_e64 v3, 0, 1.0, s7
	v_mov_b32_e32 v6, 0x80
	s_mov_b32 s10, exec_lo
	s_delay_alu instid0(VALU_DEP_2)
	v_cmpx_gt_u32_e32 0x47800000, v3
	s_cbranch_execz .LBB372_1802
; %bb.1797:
	s_mov_b32 s13, 0
	s_mov_b32 s14, exec_lo
                                        ; implicit-def: $vgpr1
	v_cmpx_lt_u32_e32 0x37ffffff, v3
	s_xor_b32 s14, exec_lo, s14
	s_cbranch_execz .LBB372_2127
; %bb.1798:
	v_bfe_u32 v1, v3, 21, 1
	s_mov_b32 s13, exec_lo
	s_delay_alu instid0(VALU_DEP_1) | instskip(NEXT) | instid1(VALU_DEP_1)
	v_add3_u32 v1, v3, v1, 0x88fffff
                                        ; implicit-def: $vgpr3
	v_lshrrev_b32_e32 v1, 21, v1
	s_and_not1_saveexec_b32 s14, s14
	s_cbranch_execnz .LBB372_2128
.LBB372_1799:
	s_or_b32 exec_lo, exec_lo, s14
	v_mov_b32_e32 v6, 0
	s_and_saveexec_b32 s14, s13
.LBB372_1800:
	v_mov_b32_e32 v6, v1
.LBB372_1801:
	s_or_b32 exec_lo, exec_lo, s14
.LBB372_1802:
	s_delay_alu instid0(SALU_CYCLE_1)
	s_or_b32 exec_lo, exec_lo, s10
	s_mov_b32 s10, 0
	global_store_b8 v[4:5], v6, off
.LBB372_1803:
	s_and_b32 vcc_lo, exec_lo, s10
	s_cbranch_vccz .LBB372_1813
; %bb.1804:
	s_wait_xcnt 0x0
	v_cndmask_b32_e64 v3, 0, 1.0, s7
	s_mov_b32 s10, exec_lo
                                        ; implicit-def: $vgpr1
	s_delay_alu instid0(VALU_DEP_1)
	v_cmpx_gt_u32_e32 0x43f00000, v3
	s_xor_b32 s10, exec_lo, s10
	s_cbranch_execz .LBB372_1810
; %bb.1805:
	s_mov_b32 s13, exec_lo
                                        ; implicit-def: $vgpr1
	v_cmpx_lt_u32_e32 0x3c7fffff, v3
	s_xor_b32 s13, exec_lo, s13
; %bb.1806:
	v_bfe_u32 v1, v3, 20, 1
	s_delay_alu instid0(VALU_DEP_1) | instskip(NEXT) | instid1(VALU_DEP_1)
	v_add3_u32 v1, v3, v1, 0x407ffff
	v_and_b32_e32 v3, 0xff00000, v1
	v_lshrrev_b32_e32 v1, 20, v1
	s_delay_alu instid0(VALU_DEP_2) | instskip(NEXT) | instid1(VALU_DEP_2)
	v_cmp_ne_u32_e32 vcc_lo, 0x7f00000, v3
                                        ; implicit-def: $vgpr3
	v_cndmask_b32_e32 v1, 0x7e, v1, vcc_lo
; %bb.1807:
	s_and_not1_saveexec_b32 s13, s13
; %bb.1808:
	v_add_f32_e32 v1, 0x46800000, v3
; %bb.1809:
	s_or_b32 exec_lo, exec_lo, s13
                                        ; implicit-def: $vgpr3
.LBB372_1810:
	s_and_not1_saveexec_b32 s10, s10
; %bb.1811:
	v_mov_b32_e32 v1, 0x7f
	v_cmp_lt_u32_e32 vcc_lo, 0x7f800000, v3
	s_delay_alu instid0(VALU_DEP_2)
	v_cndmask_b32_e32 v1, 0x7e, v1, vcc_lo
; %bb.1812:
	s_or_b32 exec_lo, exec_lo, s10
	global_store_b8 v[4:5], v1, off
.LBB372_1813:
	s_mov_b32 s10, 0
.LBB372_1814:
	s_delay_alu instid0(SALU_CYCLE_1)
	s_and_not1_b32 vcc_lo, exec_lo, s10
	s_cbranch_vccnz .LBB372_1824
; %bb.1815:
	s_wait_xcnt 0x0
	v_cndmask_b32_e64 v3, 0, 1.0, s7
	s_mov_b32 s10, exec_lo
                                        ; implicit-def: $vgpr1
	s_delay_alu instid0(VALU_DEP_1)
	v_cmpx_gt_u32_e32 0x47800000, v3
	s_xor_b32 s10, exec_lo, s10
	s_cbranch_execz .LBB372_1821
; %bb.1816:
	s_mov_b32 s13, exec_lo
                                        ; implicit-def: $vgpr1
	v_cmpx_lt_u32_e32 0x387fffff, v3
	s_xor_b32 s13, exec_lo, s13
; %bb.1817:
	v_bfe_u32 v1, v3, 21, 1
	s_delay_alu instid0(VALU_DEP_1) | instskip(NEXT) | instid1(VALU_DEP_1)
	v_add3_u32 v1, v3, v1, 0x80fffff
                                        ; implicit-def: $vgpr3
	v_lshrrev_b32_e32 v1, 21, v1
; %bb.1818:
	s_and_not1_saveexec_b32 s13, s13
; %bb.1819:
	v_add_f32_e32 v1, 0x43000000, v3
; %bb.1820:
	s_or_b32 exec_lo, exec_lo, s13
                                        ; implicit-def: $vgpr3
.LBB372_1821:
	s_and_not1_saveexec_b32 s10, s10
; %bb.1822:
	v_mov_b32_e32 v1, 0x7f
	v_cmp_lt_u32_e32 vcc_lo, 0x7f800000, v3
	s_delay_alu instid0(VALU_DEP_2)
	v_cndmask_b32_e32 v1, 0x7c, v1, vcc_lo
; %bb.1823:
	s_or_b32 exec_lo, exec_lo, s10
	global_store_b8 v[4:5], v1, off
.LBB372_1824:
	s_mov_b32 s10, 0
	s_mov_b32 s13, -1
.LBB372_1825:
	s_and_not1_b32 vcc_lo, exec_lo, s10
	s_mov_b32 s10, 0
	s_cbranch_vccnz .LBB372_1832
; %bb.1826:
	s_cmp_gt_i32 s3, 14
	s_mov_b32 s10, -1
	s_cbranch_scc0 .LBB372_1830
; %bb.1827:
	s_cmp_eq_u32 s3, 15
	s_mov_b32 s0, -1
	s_cbranch_scc0 .LBB372_1829
; %bb.1828:
	s_wait_xcnt 0x0
	v_cndmask_b32_e64 v1, 0, 1.0, s7
	s_mov_b32 s0, 0
	s_mov_b32 s13, -1
	s_delay_alu instid0(VALU_DEP_1) | instskip(NEXT) | instid1(VALU_DEP_1)
	v_bfe_u32 v3, v1, 16, 1
	v_add3_u32 v1, v1, v3, 0x7fff
	global_store_d16_hi_b16 v[4:5], v1, off
.LBB372_1829:
	s_mov_b32 s10, 0
.LBB372_1830:
	s_delay_alu instid0(SALU_CYCLE_1)
	s_and_b32 vcc_lo, exec_lo, s10
	s_mov_b32 s10, 0
	s_cbranch_vccz .LBB372_1832
; %bb.1831:
	s_cmp_lg_u32 s3, 11
	s_mov_b32 s10, -1
	s_cselect_b32 s0, -1, 0
.LBB372_1832:
	s_delay_alu instid0(SALU_CYCLE_1)
	s_and_b32 vcc_lo, exec_lo, s0
	s_cbranch_vccnz .LBB372_2126
; %bb.1833:
	s_and_not1_b32 vcc_lo, exec_lo, s10
	s_cbranch_vccnz .LBB372_1835
.LBB372_1834:
	s_wait_xcnt 0x0
	v_cndmask_b32_e64 v1, 0, 1, s7
	s_mov_b32 s13, -1
	global_store_b8 v[4:5], v1, off
.LBB372_1835:
	s_mov_b32 s0, 0
	s_branch .LBB372_1837
.LBB372_1836:
	s_mov_b32 s0, -1
	s_mov_b32 s13, 0
.LBB372_1837:
	s_and_b32 vcc_lo, exec_lo, s0
	s_cbranch_vccz .LBB372_1876
; %bb.1838:
	s_cmp_lt_i32 s3, 5
	s_mov_b32 s0, -1
	s_cbranch_scc1 .LBB372_1859
; %bb.1839:
	s_cmp_lt_i32 s3, 8
	s_cbranch_scc1 .LBB372_1849
; %bb.1840:
	s_cmp_lt_i32 s3, 9
	s_cbranch_scc1 .LBB372_1846
; %bb.1841:
	s_cmp_gt_i32 s3, 9
	s_cbranch_scc0 .LBB372_1843
; %bb.1842:
	s_wait_xcnt 0x0
	v_cndmask_b32_e64 v1, 0, 1, s7
	v_mov_b32_e32 v8, 0
	s_mov_b32 s0, 0
	s_delay_alu instid0(VALU_DEP_2) | instskip(NEXT) | instid1(VALU_DEP_2)
	v_cvt_f64_u32_e32 v[6:7], v1
	v_mov_b32_e32 v9, v8
	global_store_b128 v[4:5], v[6:9], off
.LBB372_1843:
	s_and_not1_b32 vcc_lo, exec_lo, s0
	s_cbranch_vccnz .LBB372_1845
; %bb.1844:
	s_wait_xcnt 0x0
	v_cndmask_b32_e64 v6, 0, 1.0, s7
	v_mov_b32_e32 v7, 0
	global_store_b64 v[4:5], v[6:7], off
.LBB372_1845:
	s_mov_b32 s0, 0
.LBB372_1846:
	s_delay_alu instid0(SALU_CYCLE_1)
	s_and_not1_b32 vcc_lo, exec_lo, s0
	s_cbranch_vccnz .LBB372_1848
; %bb.1847:
	s_wait_xcnt 0x0
	v_cndmask_b32_e64 v1, 0, 1.0, s7
	s_delay_alu instid0(VALU_DEP_1) | instskip(NEXT) | instid1(VALU_DEP_1)
	v_cvt_f16_f32_e32 v1, v1
	v_and_b32_e32 v1, 0xffff, v1
	global_store_b32 v[4:5], v1, off
.LBB372_1848:
	s_mov_b32 s0, 0
.LBB372_1849:
	s_delay_alu instid0(SALU_CYCLE_1)
	s_and_not1_b32 vcc_lo, exec_lo, s0
	s_cbranch_vccnz .LBB372_1858
; %bb.1850:
	s_cmp_lt_i32 s3, 6
	s_mov_b32 s0, -1
	s_cbranch_scc1 .LBB372_1856
; %bb.1851:
	s_cmp_gt_i32 s3, 6
	s_cbranch_scc0 .LBB372_1853
; %bb.1852:
	s_wait_xcnt 0x0
	v_cndmask_b32_e64 v1, 0, 1, s7
	s_mov_b32 s0, 0
	s_delay_alu instid0(VALU_DEP_1)
	v_cvt_f64_u32_e32 v[6:7], v1
	global_store_b64 v[4:5], v[6:7], off
.LBB372_1853:
	s_and_not1_b32 vcc_lo, exec_lo, s0
	s_cbranch_vccnz .LBB372_1855
; %bb.1854:
	s_wait_xcnt 0x0
	v_cndmask_b32_e64 v1, 0, 1.0, s7
	global_store_b32 v[4:5], v1, off
.LBB372_1855:
	s_mov_b32 s0, 0
.LBB372_1856:
	s_delay_alu instid0(SALU_CYCLE_1)
	s_and_not1_b32 vcc_lo, exec_lo, s0
	s_cbranch_vccnz .LBB372_1858
; %bb.1857:
	s_wait_xcnt 0x0
	v_cndmask_b32_e64 v1, 0, 1.0, s7
	s_delay_alu instid0(VALU_DEP_1)
	v_cvt_f16_f32_e32 v1, v1
	global_store_b16 v[4:5], v1, off
.LBB372_1858:
	s_mov_b32 s0, 0
.LBB372_1859:
	s_delay_alu instid0(SALU_CYCLE_1)
	s_and_not1_b32 vcc_lo, exec_lo, s0
	s_cbranch_vccnz .LBB372_1875
; %bb.1860:
	s_cmp_lt_i32 s3, 2
	s_mov_b32 s0, -1
	s_cbranch_scc1 .LBB372_1870
; %bb.1861:
	s_cmp_lt_i32 s3, 3
	s_cbranch_scc1 .LBB372_1867
; %bb.1862:
	s_cmp_gt_i32 s3, 3
	s_cbranch_scc0 .LBB372_1864
; %bb.1863:
	s_mov_b32 s0, 0
	s_wait_xcnt 0x0
	v_cndmask_b32_e64 v6, 0, 1, s7
	v_mov_b32_e32 v7, s0
	global_store_b64 v[4:5], v[6:7], off
.LBB372_1864:
	s_and_not1_b32 vcc_lo, exec_lo, s0
	s_cbranch_vccnz .LBB372_1866
; %bb.1865:
	s_wait_xcnt 0x0
	v_cndmask_b32_e64 v1, 0, 1, s7
	global_store_b32 v[4:5], v1, off
.LBB372_1866:
	s_mov_b32 s0, 0
.LBB372_1867:
	s_delay_alu instid0(SALU_CYCLE_1)
	s_and_not1_b32 vcc_lo, exec_lo, s0
	s_cbranch_vccnz .LBB372_1869
; %bb.1868:
	s_wait_xcnt 0x0
	v_cndmask_b32_e64 v1, 0, 1, s7
	global_store_b16 v[4:5], v1, off
.LBB372_1869:
	s_mov_b32 s0, 0
.LBB372_1870:
	s_delay_alu instid0(SALU_CYCLE_1)
	s_and_not1_b32 vcc_lo, exec_lo, s0
	s_cbranch_vccnz .LBB372_1875
; %bb.1871:
	s_wait_xcnt 0x0
	v_cndmask_b32_e64 v1, 0, 1, s7
	s_cmp_gt_i32 s3, 0
	s_mov_b32 s0, -1
	s_cbranch_scc0 .LBB372_1873
; %bb.1872:
	s_mov_b32 s0, 0
	global_store_b8 v[4:5], v1, off
.LBB372_1873:
	s_and_not1_b32 vcc_lo, exec_lo, s0
	s_cbranch_vccnz .LBB372_1875
; %bb.1874:
	global_store_b8 v[4:5], v1, off
.LBB372_1875:
	s_mov_b32 s13, -1
.LBB372_1876:
	s_delay_alu instid0(SALU_CYCLE_1)
	s_and_not1_b32 vcc_lo, exec_lo, s13
	s_cbranch_vccnz .LBB372_2072
; %bb.1877:
	s_wait_xcnt 0x0
	v_mov_b32_e32 v3, 0
	v_cmp_ne_u64_e32 vcc_lo, s[8:9], v[12:13]
	s_delay_alu instid0(VALU_DEP_2)
	v_add_nc_u64_e32 v[2:3], s[4:5], v[2:3]
	s_xor_b32 s7, s2, vcc_lo
	s_cmp_lt_i32 s3, 11
	s_cbranch_scc1 .LBB372_1955
; %bb.1878:
	s_mov_b32 s14, -1
	s_mov_b32 s10, 0
	s_cmp_gt_i32 s3, 25
	s_mov_b32 s13, 0
	s_mov_b32 s0, 0
	s_cbranch_scc0 .LBB372_1911
; %bb.1879:
	s_cmp_gt_i32 s3, 28
	s_cbranch_scc0 .LBB372_1894
; %bb.1880:
	s_cmp_gt_i32 s3, 43
	;; [unrolled: 3-line block ×3, first 2 shown]
	s_cbranch_scc0 .LBB372_1884
; %bb.1882:
	s_mov_b32 s0, -1
	s_mov_b32 s14, 0
	s_cmp_eq_u32 s3, 46
	s_cbranch_scc0 .LBB372_1884
; %bb.1883:
	v_cndmask_b32_e64 v1, 0, 1.0, s7
	s_mov_b32 s0, 0
	s_mov_b32 s13, -1
	s_delay_alu instid0(VALU_DEP_1) | instskip(NEXT) | instid1(VALU_DEP_1)
	v_bfe_u32 v4, v1, 16, 1
	v_add3_u32 v1, v1, v4, 0x7fff
	s_delay_alu instid0(VALU_DEP_1)
	v_lshrrev_b32_e32 v1, 16, v1
	global_store_b32 v[2:3], v1, off
.LBB372_1884:
	s_and_b32 vcc_lo, exec_lo, s14
	s_cbranch_vccz .LBB372_1889
; %bb.1885:
	s_cmp_eq_u32 s3, 44
	s_mov_b32 s0, -1
	s_cbranch_scc0 .LBB372_1889
; %bb.1886:
	v_cndmask_b32_e64 v5, 0, 1.0, s7
	s_mov_b32 s13, exec_lo
	s_wait_xcnt 0x0
	s_delay_alu instid0(VALU_DEP_1) | instskip(NEXT) | instid1(VALU_DEP_1)
	v_dual_mov_b32 v4, 0xff :: v_dual_lshrrev_b32 v1, 23, v5
	v_cmpx_ne_u32_e32 0xff, v1
; %bb.1887:
	v_and_b32_e32 v4, 0x400000, v5
	v_and_or_b32 v5, 0x3fffff, v5, v1
	s_delay_alu instid0(VALU_DEP_2) | instskip(NEXT) | instid1(VALU_DEP_2)
	v_cmp_ne_u32_e32 vcc_lo, 0, v4
	v_cmp_ne_u32_e64 s0, 0, v5
	s_and_b32 s0, vcc_lo, s0
	s_delay_alu instid0(SALU_CYCLE_1) | instskip(NEXT) | instid1(VALU_DEP_1)
	v_cndmask_b32_e64 v4, 0, 1, s0
	v_add_nc_u32_e32 v4, v1, v4
; %bb.1888:
	s_or_b32 exec_lo, exec_lo, s13
	s_mov_b32 s0, 0
	s_mov_b32 s13, -1
	global_store_b8 v[2:3], v4, off
.LBB372_1889:
	s_mov_b32 s14, 0
.LBB372_1890:
	s_delay_alu instid0(SALU_CYCLE_1)
	s_and_b32 vcc_lo, exec_lo, s14
	s_cbranch_vccz .LBB372_1893
; %bb.1891:
	s_cmp_eq_u32 s3, 29
	s_mov_b32 s0, -1
	s_cbranch_scc0 .LBB372_1893
; %bb.1892:
	s_mov_b32 s0, 0
	s_wait_xcnt 0x0
	v_cndmask_b32_e64 v4, 0, 1, s7
	v_mov_b32_e32 v5, s0
	s_mov_b32 s13, -1
	global_store_b64 v[2:3], v[4:5], off
.LBB372_1893:
	s_mov_b32 s14, 0
.LBB372_1894:
	s_delay_alu instid0(SALU_CYCLE_1)
	s_and_b32 vcc_lo, exec_lo, s14
	s_cbranch_vccz .LBB372_1910
; %bb.1895:
	s_cmp_lt_i32 s3, 27
	s_mov_b32 s13, -1
	s_cbranch_scc1 .LBB372_1901
; %bb.1896:
	s_cmp_gt_i32 s3, 27
	s_cbranch_scc0 .LBB372_1898
; %bb.1897:
	s_wait_xcnt 0x0
	v_cndmask_b32_e64 v1, 0, 1, s7
	s_mov_b32 s13, 0
	global_store_b32 v[2:3], v1, off
.LBB372_1898:
	s_and_not1_b32 vcc_lo, exec_lo, s13
	s_cbranch_vccnz .LBB372_1900
; %bb.1899:
	s_wait_xcnt 0x0
	v_cndmask_b32_e64 v1, 0, 1, s7
	global_store_b16 v[2:3], v1, off
.LBB372_1900:
	s_mov_b32 s13, 0
.LBB372_1901:
	s_delay_alu instid0(SALU_CYCLE_1)
	s_and_not1_b32 vcc_lo, exec_lo, s13
	s_cbranch_vccnz .LBB372_1909
; %bb.1902:
	s_wait_xcnt 0x0
	v_cndmask_b32_e64 v4, 0, 1.0, s7
	v_mov_b32_e32 v5, 0x80
	s_mov_b32 s13, exec_lo
	s_delay_alu instid0(VALU_DEP_2)
	v_cmpx_gt_u32_e32 0x43800000, v4
	s_cbranch_execz .LBB372_1908
; %bb.1903:
	s_mov_b32 s14, 0
	s_mov_b32 s15, exec_lo
                                        ; implicit-def: $vgpr1
	v_cmpx_lt_u32_e32 0x3bffffff, v4
	s_xor_b32 s15, exec_lo, s15
	s_cbranch_execz .LBB372_2129
; %bb.1904:
	v_bfe_u32 v1, v4, 20, 1
	s_mov_b32 s14, exec_lo
	s_delay_alu instid0(VALU_DEP_1) | instskip(NEXT) | instid1(VALU_DEP_1)
	v_add3_u32 v1, v4, v1, 0x487ffff
                                        ; implicit-def: $vgpr4
	v_lshrrev_b32_e32 v1, 20, v1
	s_and_not1_saveexec_b32 s15, s15
	s_cbranch_execnz .LBB372_2130
.LBB372_1905:
	s_or_b32 exec_lo, exec_lo, s15
	v_mov_b32_e32 v5, 0
	s_and_saveexec_b32 s15, s14
.LBB372_1906:
	v_mov_b32_e32 v5, v1
.LBB372_1907:
	s_or_b32 exec_lo, exec_lo, s15
.LBB372_1908:
	s_delay_alu instid0(SALU_CYCLE_1)
	s_or_b32 exec_lo, exec_lo, s13
	global_store_b8 v[2:3], v5, off
.LBB372_1909:
	s_mov_b32 s13, -1
.LBB372_1910:
	s_mov_b32 s14, 0
.LBB372_1911:
	s_delay_alu instid0(SALU_CYCLE_1)
	s_and_b32 vcc_lo, exec_lo, s14
	s_cbranch_vccz .LBB372_1951
; %bb.1912:
	s_cmp_gt_i32 s3, 22
	s_mov_b32 s10, -1
	s_cbranch_scc0 .LBB372_1944
; %bb.1913:
	s_cmp_lt_i32 s3, 24
	s_cbranch_scc1 .LBB372_1933
; %bb.1914:
	s_cmp_gt_i32 s3, 24
	s_cbranch_scc0 .LBB372_1922
; %bb.1915:
	s_wait_xcnt 0x0
	v_cndmask_b32_e64 v4, 0, 1.0, s7
	v_mov_b32_e32 v5, 0x80
	s_mov_b32 s10, exec_lo
	s_delay_alu instid0(VALU_DEP_2)
	v_cmpx_gt_u32_e32 0x47800000, v4
	s_cbranch_execz .LBB372_1921
; %bb.1916:
	s_mov_b32 s13, 0
	s_mov_b32 s14, exec_lo
                                        ; implicit-def: $vgpr1
	v_cmpx_lt_u32_e32 0x37ffffff, v4
	s_xor_b32 s14, exec_lo, s14
	s_cbranch_execz .LBB372_2132
; %bb.1917:
	v_bfe_u32 v1, v4, 21, 1
	s_mov_b32 s13, exec_lo
	s_delay_alu instid0(VALU_DEP_1) | instskip(NEXT) | instid1(VALU_DEP_1)
	v_add3_u32 v1, v4, v1, 0x88fffff
                                        ; implicit-def: $vgpr4
	v_lshrrev_b32_e32 v1, 21, v1
	s_and_not1_saveexec_b32 s14, s14
	s_cbranch_execnz .LBB372_2133
.LBB372_1918:
	s_or_b32 exec_lo, exec_lo, s14
	v_mov_b32_e32 v5, 0
	s_and_saveexec_b32 s14, s13
.LBB372_1919:
	v_mov_b32_e32 v5, v1
.LBB372_1920:
	s_or_b32 exec_lo, exec_lo, s14
.LBB372_1921:
	s_delay_alu instid0(SALU_CYCLE_1)
	s_or_b32 exec_lo, exec_lo, s10
	s_mov_b32 s10, 0
	global_store_b8 v[2:3], v5, off
.LBB372_1922:
	s_and_b32 vcc_lo, exec_lo, s10
	s_cbranch_vccz .LBB372_1932
; %bb.1923:
	s_wait_xcnt 0x0
	v_cndmask_b32_e64 v4, 0, 1.0, s7
	s_mov_b32 s10, exec_lo
                                        ; implicit-def: $vgpr1
	s_delay_alu instid0(VALU_DEP_1)
	v_cmpx_gt_u32_e32 0x43f00000, v4
	s_xor_b32 s10, exec_lo, s10
	s_cbranch_execz .LBB372_1929
; %bb.1924:
	s_mov_b32 s13, exec_lo
                                        ; implicit-def: $vgpr1
	v_cmpx_lt_u32_e32 0x3c7fffff, v4
	s_xor_b32 s13, exec_lo, s13
; %bb.1925:
	v_bfe_u32 v1, v4, 20, 1
	s_delay_alu instid0(VALU_DEP_1) | instskip(NEXT) | instid1(VALU_DEP_1)
	v_add3_u32 v1, v4, v1, 0x407ffff
	v_and_b32_e32 v4, 0xff00000, v1
	v_lshrrev_b32_e32 v1, 20, v1
	s_delay_alu instid0(VALU_DEP_2) | instskip(NEXT) | instid1(VALU_DEP_2)
	v_cmp_ne_u32_e32 vcc_lo, 0x7f00000, v4
                                        ; implicit-def: $vgpr4
	v_cndmask_b32_e32 v1, 0x7e, v1, vcc_lo
; %bb.1926:
	s_and_not1_saveexec_b32 s13, s13
; %bb.1927:
	v_add_f32_e32 v1, 0x46800000, v4
; %bb.1928:
	s_or_b32 exec_lo, exec_lo, s13
                                        ; implicit-def: $vgpr4
.LBB372_1929:
	s_and_not1_saveexec_b32 s10, s10
; %bb.1930:
	v_mov_b32_e32 v1, 0x7f
	v_cmp_lt_u32_e32 vcc_lo, 0x7f800000, v4
	s_delay_alu instid0(VALU_DEP_2)
	v_cndmask_b32_e32 v1, 0x7e, v1, vcc_lo
; %bb.1931:
	s_or_b32 exec_lo, exec_lo, s10
	global_store_b8 v[2:3], v1, off
.LBB372_1932:
	s_mov_b32 s10, 0
.LBB372_1933:
	s_delay_alu instid0(SALU_CYCLE_1)
	s_and_not1_b32 vcc_lo, exec_lo, s10
	s_cbranch_vccnz .LBB372_1943
; %bb.1934:
	s_wait_xcnt 0x0
	v_cndmask_b32_e64 v4, 0, 1.0, s7
	s_mov_b32 s10, exec_lo
                                        ; implicit-def: $vgpr1
	s_delay_alu instid0(VALU_DEP_1)
	v_cmpx_gt_u32_e32 0x47800000, v4
	s_xor_b32 s10, exec_lo, s10
	s_cbranch_execz .LBB372_1940
; %bb.1935:
	s_mov_b32 s13, exec_lo
                                        ; implicit-def: $vgpr1
	v_cmpx_lt_u32_e32 0x387fffff, v4
	s_xor_b32 s13, exec_lo, s13
; %bb.1936:
	v_bfe_u32 v1, v4, 21, 1
	s_delay_alu instid0(VALU_DEP_1) | instskip(NEXT) | instid1(VALU_DEP_1)
	v_add3_u32 v1, v4, v1, 0x80fffff
                                        ; implicit-def: $vgpr4
	v_lshrrev_b32_e32 v1, 21, v1
; %bb.1937:
	s_and_not1_saveexec_b32 s13, s13
; %bb.1938:
	v_add_f32_e32 v1, 0x43000000, v4
; %bb.1939:
	s_or_b32 exec_lo, exec_lo, s13
                                        ; implicit-def: $vgpr4
.LBB372_1940:
	s_and_not1_saveexec_b32 s10, s10
; %bb.1941:
	v_mov_b32_e32 v1, 0x7f
	v_cmp_lt_u32_e32 vcc_lo, 0x7f800000, v4
	s_delay_alu instid0(VALU_DEP_2)
	v_cndmask_b32_e32 v1, 0x7c, v1, vcc_lo
; %bb.1942:
	s_or_b32 exec_lo, exec_lo, s10
	global_store_b8 v[2:3], v1, off
.LBB372_1943:
	s_mov_b32 s10, 0
	s_mov_b32 s13, -1
.LBB372_1944:
	s_and_not1_b32 vcc_lo, exec_lo, s10
	s_mov_b32 s10, 0
	s_cbranch_vccnz .LBB372_1951
; %bb.1945:
	s_cmp_gt_i32 s3, 14
	s_mov_b32 s10, -1
	s_cbranch_scc0 .LBB372_1949
; %bb.1946:
	s_cmp_eq_u32 s3, 15
	s_mov_b32 s0, -1
	s_cbranch_scc0 .LBB372_1948
; %bb.1947:
	s_wait_xcnt 0x0
	v_cndmask_b32_e64 v1, 0, 1.0, s7
	s_mov_b32 s0, 0
	s_mov_b32 s13, -1
	s_delay_alu instid0(VALU_DEP_1) | instskip(NEXT) | instid1(VALU_DEP_1)
	v_bfe_u32 v4, v1, 16, 1
	v_add3_u32 v1, v1, v4, 0x7fff
	global_store_d16_hi_b16 v[2:3], v1, off
.LBB372_1948:
	s_mov_b32 s10, 0
.LBB372_1949:
	s_delay_alu instid0(SALU_CYCLE_1)
	s_and_b32 vcc_lo, exec_lo, s10
	s_mov_b32 s10, 0
	s_cbranch_vccz .LBB372_1951
; %bb.1950:
	s_cmp_lg_u32 s3, 11
	s_mov_b32 s10, -1
	s_cselect_b32 s0, -1, 0
.LBB372_1951:
	s_delay_alu instid0(SALU_CYCLE_1)
	s_and_b32 vcc_lo, exec_lo, s0
	s_cbranch_vccnz .LBB372_2131
; %bb.1952:
	s_and_not1_b32 vcc_lo, exec_lo, s10
	s_cbranch_vccnz .LBB372_1954
.LBB372_1953:
	s_wait_xcnt 0x0
	v_cndmask_b32_e64 v1, 0, 1, s7
	s_mov_b32 s13, -1
	global_store_b8 v[2:3], v1, off
.LBB372_1954:
	s_mov_b32 s0, 0
	s_branch .LBB372_1956
.LBB372_1955:
	s_mov_b32 s0, -1
	s_mov_b32 s13, 0
.LBB372_1956:
	s_and_b32 vcc_lo, exec_lo, s0
	s_cbranch_vccz .LBB372_1995
; %bb.1957:
	s_cmp_lt_i32 s3, 5
	s_mov_b32 s0, -1
	s_cbranch_scc1 .LBB372_1978
; %bb.1958:
	s_cmp_lt_i32 s3, 8
	s_cbranch_scc1 .LBB372_1968
; %bb.1959:
	s_cmp_lt_i32 s3, 9
	s_cbranch_scc1 .LBB372_1965
; %bb.1960:
	s_cmp_gt_i32 s3, 9
	s_cbranch_scc0 .LBB372_1962
; %bb.1961:
	s_wait_xcnt 0x0
	v_cndmask_b32_e64 v1, 0, 1, s7
	v_mov_b32_e32 v6, 0
	s_mov_b32 s0, 0
	s_delay_alu instid0(VALU_DEP_2) | instskip(NEXT) | instid1(VALU_DEP_2)
	v_cvt_f64_u32_e32 v[4:5], v1
	v_mov_b32_e32 v7, v6
	global_store_b128 v[2:3], v[4:7], off
.LBB372_1962:
	s_and_not1_b32 vcc_lo, exec_lo, s0
	s_cbranch_vccnz .LBB372_1964
; %bb.1963:
	s_wait_xcnt 0x0
	v_cndmask_b32_e64 v4, 0, 1.0, s7
	v_mov_b32_e32 v5, 0
	global_store_b64 v[2:3], v[4:5], off
.LBB372_1964:
	s_mov_b32 s0, 0
.LBB372_1965:
	s_delay_alu instid0(SALU_CYCLE_1)
	s_and_not1_b32 vcc_lo, exec_lo, s0
	s_cbranch_vccnz .LBB372_1967
; %bb.1966:
	s_wait_xcnt 0x0
	v_cndmask_b32_e64 v1, 0, 1.0, s7
	s_delay_alu instid0(VALU_DEP_1) | instskip(NEXT) | instid1(VALU_DEP_1)
	v_cvt_f16_f32_e32 v1, v1
	v_and_b32_e32 v1, 0xffff, v1
	global_store_b32 v[2:3], v1, off
.LBB372_1967:
	s_mov_b32 s0, 0
.LBB372_1968:
	s_delay_alu instid0(SALU_CYCLE_1)
	s_and_not1_b32 vcc_lo, exec_lo, s0
	s_cbranch_vccnz .LBB372_1977
; %bb.1969:
	s_cmp_lt_i32 s3, 6
	s_mov_b32 s0, -1
	s_cbranch_scc1 .LBB372_1975
; %bb.1970:
	s_cmp_gt_i32 s3, 6
	s_cbranch_scc0 .LBB372_1972
; %bb.1971:
	s_wait_xcnt 0x0
	v_cndmask_b32_e64 v1, 0, 1, s7
	s_mov_b32 s0, 0
	s_delay_alu instid0(VALU_DEP_1)
	v_cvt_f64_u32_e32 v[4:5], v1
	global_store_b64 v[2:3], v[4:5], off
.LBB372_1972:
	s_and_not1_b32 vcc_lo, exec_lo, s0
	s_cbranch_vccnz .LBB372_1974
; %bb.1973:
	s_wait_xcnt 0x0
	v_cndmask_b32_e64 v1, 0, 1.0, s7
	global_store_b32 v[2:3], v1, off
.LBB372_1974:
	s_mov_b32 s0, 0
.LBB372_1975:
	s_delay_alu instid0(SALU_CYCLE_1)
	s_and_not1_b32 vcc_lo, exec_lo, s0
	s_cbranch_vccnz .LBB372_1977
; %bb.1976:
	s_wait_xcnt 0x0
	v_cndmask_b32_e64 v1, 0, 1.0, s7
	s_delay_alu instid0(VALU_DEP_1)
	v_cvt_f16_f32_e32 v1, v1
	global_store_b16 v[2:3], v1, off
.LBB372_1977:
	s_mov_b32 s0, 0
.LBB372_1978:
	s_delay_alu instid0(SALU_CYCLE_1)
	s_and_not1_b32 vcc_lo, exec_lo, s0
	s_cbranch_vccnz .LBB372_1994
; %bb.1979:
	s_cmp_lt_i32 s3, 2
	s_mov_b32 s0, -1
	s_cbranch_scc1 .LBB372_1989
; %bb.1980:
	s_cmp_lt_i32 s3, 3
	s_cbranch_scc1 .LBB372_1986
; %bb.1981:
	s_cmp_gt_i32 s3, 3
	s_cbranch_scc0 .LBB372_1983
; %bb.1982:
	s_mov_b32 s0, 0
	s_wait_xcnt 0x0
	v_cndmask_b32_e64 v4, 0, 1, s7
	v_mov_b32_e32 v5, s0
	global_store_b64 v[2:3], v[4:5], off
.LBB372_1983:
	s_and_not1_b32 vcc_lo, exec_lo, s0
	s_cbranch_vccnz .LBB372_1985
; %bb.1984:
	s_wait_xcnt 0x0
	v_cndmask_b32_e64 v1, 0, 1, s7
	global_store_b32 v[2:3], v1, off
.LBB372_1985:
	s_mov_b32 s0, 0
.LBB372_1986:
	s_delay_alu instid0(SALU_CYCLE_1)
	s_and_not1_b32 vcc_lo, exec_lo, s0
	s_cbranch_vccnz .LBB372_1988
; %bb.1987:
	s_wait_xcnt 0x0
	v_cndmask_b32_e64 v1, 0, 1, s7
	global_store_b16 v[2:3], v1, off
.LBB372_1988:
	s_mov_b32 s0, 0
.LBB372_1989:
	s_delay_alu instid0(SALU_CYCLE_1)
	s_and_not1_b32 vcc_lo, exec_lo, s0
	s_cbranch_vccnz .LBB372_1994
; %bb.1990:
	s_cmp_gt_i32 s3, 0
	s_mov_b32 s0, -1
	s_cbranch_scc0 .LBB372_1992
; %bb.1991:
	s_wait_xcnt 0x0
	v_cndmask_b32_e64 v1, 0, 1, s7
	s_mov_b32 s0, 0
	global_store_b8 v[2:3], v1, off
.LBB372_1992:
	s_and_not1_b32 vcc_lo, exec_lo, s0
	s_cbranch_vccnz .LBB372_1994
; %bb.1993:
	s_wait_xcnt 0x0
	v_cndmask_b32_e64 v1, 0, 1, s7
	global_store_b8 v[2:3], v1, off
.LBB372_1994:
	s_mov_b32 s13, -1
.LBB372_1995:
	s_delay_alu instid0(SALU_CYCLE_1)
	s_and_not1_b32 vcc_lo, exec_lo, s13
	s_cbranch_vccnz .LBB372_2072
; %bb.1996:
	s_wait_xcnt 0x0
	v_mov_b32_e32 v1, 0
	v_cmp_ne_u64_e32 vcc_lo, s[8:9], v[14:15]
	s_delay_alu instid0(VALU_DEP_2)
	v_add_nc_u64_e32 v[2:3], s[4:5], v[0:1]
	s_xor_b32 s4, s2, vcc_lo
	s_cmp_lt_i32 s3, 11
	s_cbranch_scc1 .LBB372_2117
; %bb.1997:
	s_mov_b32 s5, -1
	s_mov_b32 s2, 0
	s_cmp_gt_i32 s3, 25
	s_mov_b32 s0, 0
	s_cbranch_scc0 .LBB372_2030
; %bb.1998:
	s_cmp_gt_i32 s3, 28
	s_cbranch_scc0 .LBB372_2014
; %bb.1999:
	s_cmp_gt_i32 s3, 43
	s_cbranch_scc0 .LBB372_2010
; %bb.2000:
	s_cmp_gt_i32 s3, 45
	s_cbranch_scc0 .LBB372_2004
; %bb.2001:
	s_cmp_eq_u32 s3, 46
	s_mov_b32 s0, -1
	s_cbranch_scc0 .LBB372_2003
; %bb.2002:
	v_cndmask_b32_e64 v0, 0, 1.0, s4
	s_mov_b32 s0, 0
	s_delay_alu instid0(VALU_DEP_1) | instskip(NEXT) | instid1(VALU_DEP_1)
	v_bfe_u32 v1, v0, 16, 1
	v_add3_u32 v0, v0, v1, 0x7fff
	s_delay_alu instid0(VALU_DEP_1)
	v_lshrrev_b32_e32 v0, 16, v0
	global_store_b32 v[2:3], v0, off
.LBB372_2003:
	s_mov_b32 s5, 0
.LBB372_2004:
	s_delay_alu instid0(SALU_CYCLE_1)
	s_and_b32 vcc_lo, exec_lo, s5
	s_cbranch_vccz .LBB372_2009
; %bb.2005:
	s_cmp_eq_u32 s3, 44
	s_mov_b32 s0, -1
	s_cbranch_scc0 .LBB372_2009
; %bb.2006:
	v_cndmask_b32_e64 v4, 0, 1.0, s4
	s_mov_b32 s5, exec_lo
	s_wait_xcnt 0x0
	s_delay_alu instid0(VALU_DEP_1) | instskip(NEXT) | instid1(VALU_DEP_1)
	v_dual_mov_b32 v1, 0xff :: v_dual_lshrrev_b32 v0, 23, v4
	v_cmpx_ne_u32_e32 0xff, v0
; %bb.2007:
	v_and_b32_e32 v1, 0x400000, v4
	v_and_or_b32 v4, 0x3fffff, v4, v0
	s_delay_alu instid0(VALU_DEP_2) | instskip(NEXT) | instid1(VALU_DEP_2)
	v_cmp_ne_u32_e32 vcc_lo, 0, v1
	v_cmp_ne_u32_e64 s0, 0, v4
	s_and_b32 s0, vcc_lo, s0
	s_delay_alu instid0(SALU_CYCLE_1) | instskip(NEXT) | instid1(VALU_DEP_1)
	v_cndmask_b32_e64 v1, 0, 1, s0
	v_add_nc_u32_e32 v1, v0, v1
; %bb.2008:
	s_or_b32 exec_lo, exec_lo, s5
	s_mov_b32 s0, 0
	global_store_b8 v[2:3], v1, off
.LBB372_2009:
	s_mov_b32 s5, 0
.LBB372_2010:
	s_delay_alu instid0(SALU_CYCLE_1)
	s_and_b32 vcc_lo, exec_lo, s5
	s_cbranch_vccz .LBB372_2013
; %bb.2011:
	s_cmp_eq_u32 s3, 29
	s_mov_b32 s0, -1
	s_cbranch_scc0 .LBB372_2013
; %bb.2012:
	s_mov_b32 s0, 0
	s_wait_xcnt 0x0
	v_cndmask_b32_e64 v0, 0, 1, s4
	v_mov_b32_e32 v1, s0
	global_store_b64 v[2:3], v[0:1], off
.LBB372_2013:
	s_mov_b32 s5, 0
.LBB372_2014:
	s_delay_alu instid0(SALU_CYCLE_1)
	s_and_b32 vcc_lo, exec_lo, s5
	s_cbranch_vccz .LBB372_2029
; %bb.2015:
	s_cmp_lt_i32 s3, 27
	s_mov_b32 s5, -1
	s_cbranch_scc1 .LBB372_2021
; %bb.2016:
	s_cmp_gt_i32 s3, 27
	s_cbranch_scc0 .LBB372_2018
; %bb.2017:
	s_wait_xcnt 0x0
	v_cndmask_b32_e64 v0, 0, 1, s4
	s_mov_b32 s5, 0
	global_store_b32 v[2:3], v0, off
.LBB372_2018:
	s_and_not1_b32 vcc_lo, exec_lo, s5
	s_cbranch_vccnz .LBB372_2020
; %bb.2019:
	s_wait_xcnt 0x0
	v_cndmask_b32_e64 v0, 0, 1, s4
	global_store_b16 v[2:3], v0, off
.LBB372_2020:
	s_mov_b32 s5, 0
.LBB372_2021:
	s_delay_alu instid0(SALU_CYCLE_1)
	s_and_not1_b32 vcc_lo, exec_lo, s5
	s_cbranch_vccnz .LBB372_2029
; %bb.2022:
	s_wait_xcnt 0x0
	v_cndmask_b32_e64 v1, 0, 1.0, s4
	v_mov_b32_e32 v4, 0x80
	s_mov_b32 s5, exec_lo
	s_delay_alu instid0(VALU_DEP_2)
	v_cmpx_gt_u32_e32 0x43800000, v1
	s_cbranch_execz .LBB372_2028
; %bb.2023:
	s_mov_b32 s7, 0
	s_mov_b32 s8, exec_lo
                                        ; implicit-def: $vgpr0
	v_cmpx_lt_u32_e32 0x3bffffff, v1
	s_xor_b32 s8, exec_lo, s8
	s_cbranch_execz .LBB372_2134
; %bb.2024:
	v_bfe_u32 v0, v1, 20, 1
	s_mov_b32 s7, exec_lo
	s_delay_alu instid0(VALU_DEP_1) | instskip(NEXT) | instid1(VALU_DEP_1)
	v_add3_u32 v0, v1, v0, 0x487ffff
                                        ; implicit-def: $vgpr1
	v_lshrrev_b32_e32 v0, 20, v0
	s_and_not1_saveexec_b32 s8, s8
	s_cbranch_execnz .LBB372_2135
.LBB372_2025:
	s_or_b32 exec_lo, exec_lo, s8
	v_mov_b32_e32 v4, 0
	s_and_saveexec_b32 s8, s7
.LBB372_2026:
	v_mov_b32_e32 v4, v0
.LBB372_2027:
	s_or_b32 exec_lo, exec_lo, s8
.LBB372_2028:
	s_delay_alu instid0(SALU_CYCLE_1)
	s_or_b32 exec_lo, exec_lo, s5
	global_store_b8 v[2:3], v4, off
.LBB372_2029:
	s_mov_b32 s5, 0
.LBB372_2030:
	s_delay_alu instid0(SALU_CYCLE_1)
	s_and_b32 vcc_lo, exec_lo, s5
	s_cbranch_vccz .LBB372_2070
; %bb.2031:
	s_cmp_gt_i32 s3, 22
	s_mov_b32 s2, -1
	s_cbranch_scc0 .LBB372_2063
; %bb.2032:
	s_cmp_lt_i32 s3, 24
	s_cbranch_scc1 .LBB372_2052
; %bb.2033:
	s_cmp_gt_i32 s3, 24
	s_cbranch_scc0 .LBB372_2041
; %bb.2034:
	s_wait_xcnt 0x0
	v_cndmask_b32_e64 v1, 0, 1.0, s4
	v_mov_b32_e32 v4, 0x80
	s_mov_b32 s2, exec_lo
	s_delay_alu instid0(VALU_DEP_2)
	v_cmpx_gt_u32_e32 0x47800000, v1
	s_cbranch_execz .LBB372_2040
; %bb.2035:
	s_mov_b32 s5, 0
	s_mov_b32 s7, exec_lo
                                        ; implicit-def: $vgpr0
	v_cmpx_lt_u32_e32 0x37ffffff, v1
	s_xor_b32 s7, exec_lo, s7
	s_cbranch_execz .LBB372_2137
; %bb.2036:
	v_bfe_u32 v0, v1, 21, 1
	s_mov_b32 s5, exec_lo
	s_delay_alu instid0(VALU_DEP_1) | instskip(NEXT) | instid1(VALU_DEP_1)
	v_add3_u32 v0, v1, v0, 0x88fffff
                                        ; implicit-def: $vgpr1
	v_lshrrev_b32_e32 v0, 21, v0
	s_and_not1_saveexec_b32 s7, s7
	s_cbranch_execnz .LBB372_2138
.LBB372_2037:
	s_or_b32 exec_lo, exec_lo, s7
	v_mov_b32_e32 v4, 0
	s_and_saveexec_b32 s7, s5
.LBB372_2038:
	v_mov_b32_e32 v4, v0
.LBB372_2039:
	s_or_b32 exec_lo, exec_lo, s7
.LBB372_2040:
	s_delay_alu instid0(SALU_CYCLE_1)
	s_or_b32 exec_lo, exec_lo, s2
	s_mov_b32 s2, 0
	global_store_b8 v[2:3], v4, off
.LBB372_2041:
	s_and_b32 vcc_lo, exec_lo, s2
	s_cbranch_vccz .LBB372_2051
; %bb.2042:
	s_wait_xcnt 0x0
	v_cndmask_b32_e64 v1, 0, 1.0, s4
	s_mov_b32 s2, exec_lo
                                        ; implicit-def: $vgpr0
	s_delay_alu instid0(VALU_DEP_1)
	v_cmpx_gt_u32_e32 0x43f00000, v1
	s_xor_b32 s2, exec_lo, s2
	s_cbranch_execz .LBB372_2048
; %bb.2043:
	s_mov_b32 s5, exec_lo
                                        ; implicit-def: $vgpr0
	v_cmpx_lt_u32_e32 0x3c7fffff, v1
	s_xor_b32 s5, exec_lo, s5
; %bb.2044:
	v_bfe_u32 v0, v1, 20, 1
	s_delay_alu instid0(VALU_DEP_1) | instskip(NEXT) | instid1(VALU_DEP_1)
	v_add3_u32 v0, v1, v0, 0x407ffff
	v_and_b32_e32 v1, 0xff00000, v0
	v_lshrrev_b32_e32 v0, 20, v0
	s_delay_alu instid0(VALU_DEP_2) | instskip(NEXT) | instid1(VALU_DEP_2)
	v_cmp_ne_u32_e32 vcc_lo, 0x7f00000, v1
                                        ; implicit-def: $vgpr1
	v_cndmask_b32_e32 v0, 0x7e, v0, vcc_lo
; %bb.2045:
	s_and_not1_saveexec_b32 s5, s5
; %bb.2046:
	v_add_f32_e32 v0, 0x46800000, v1
; %bb.2047:
	s_or_b32 exec_lo, exec_lo, s5
                                        ; implicit-def: $vgpr1
.LBB372_2048:
	s_and_not1_saveexec_b32 s2, s2
; %bb.2049:
	v_mov_b32_e32 v0, 0x7f
	v_cmp_lt_u32_e32 vcc_lo, 0x7f800000, v1
	s_delay_alu instid0(VALU_DEP_2)
	v_cndmask_b32_e32 v0, 0x7e, v0, vcc_lo
; %bb.2050:
	s_or_b32 exec_lo, exec_lo, s2
	global_store_b8 v[2:3], v0, off
.LBB372_2051:
	s_mov_b32 s2, 0
.LBB372_2052:
	s_delay_alu instid0(SALU_CYCLE_1)
	s_and_not1_b32 vcc_lo, exec_lo, s2
	s_cbranch_vccnz .LBB372_2062
; %bb.2053:
	s_wait_xcnt 0x0
	v_cndmask_b32_e64 v1, 0, 1.0, s4
	s_mov_b32 s2, exec_lo
                                        ; implicit-def: $vgpr0
	s_delay_alu instid0(VALU_DEP_1)
	v_cmpx_gt_u32_e32 0x47800000, v1
	s_xor_b32 s2, exec_lo, s2
	s_cbranch_execz .LBB372_2059
; %bb.2054:
	s_mov_b32 s5, exec_lo
                                        ; implicit-def: $vgpr0
	v_cmpx_lt_u32_e32 0x387fffff, v1
	s_xor_b32 s5, exec_lo, s5
; %bb.2055:
	v_bfe_u32 v0, v1, 21, 1
	s_delay_alu instid0(VALU_DEP_1) | instskip(NEXT) | instid1(VALU_DEP_1)
	v_add3_u32 v0, v1, v0, 0x80fffff
                                        ; implicit-def: $vgpr1
	v_lshrrev_b32_e32 v0, 21, v0
; %bb.2056:
	s_and_not1_saveexec_b32 s5, s5
; %bb.2057:
	v_add_f32_e32 v0, 0x43000000, v1
; %bb.2058:
	s_or_b32 exec_lo, exec_lo, s5
                                        ; implicit-def: $vgpr1
.LBB372_2059:
	s_and_not1_saveexec_b32 s2, s2
; %bb.2060:
	v_mov_b32_e32 v0, 0x7f
	v_cmp_lt_u32_e32 vcc_lo, 0x7f800000, v1
	s_delay_alu instid0(VALU_DEP_2)
	v_cndmask_b32_e32 v0, 0x7c, v0, vcc_lo
; %bb.2061:
	s_or_b32 exec_lo, exec_lo, s2
	global_store_b8 v[2:3], v0, off
.LBB372_2062:
	s_mov_b32 s2, 0
.LBB372_2063:
	s_delay_alu instid0(SALU_CYCLE_1)
	s_and_not1_b32 vcc_lo, exec_lo, s2
	s_mov_b32 s2, 0
	s_cbranch_vccnz .LBB372_2070
; %bb.2064:
	s_cmp_gt_i32 s3, 14
	s_mov_b32 s2, -1
	s_cbranch_scc0 .LBB372_2068
; %bb.2065:
	s_cmp_eq_u32 s3, 15
	s_mov_b32 s0, -1
	s_cbranch_scc0 .LBB372_2067
; %bb.2066:
	s_wait_xcnt 0x0
	v_cndmask_b32_e64 v0, 0, 1.0, s4
	s_mov_b32 s0, 0
	s_delay_alu instid0(VALU_DEP_1) | instskip(NEXT) | instid1(VALU_DEP_1)
	v_bfe_u32 v1, v0, 16, 1
	v_add3_u32 v0, v0, v1, 0x7fff
	global_store_d16_hi_b16 v[2:3], v0, off
.LBB372_2067:
	s_mov_b32 s2, 0
.LBB372_2068:
	s_delay_alu instid0(SALU_CYCLE_1)
	s_and_b32 vcc_lo, exec_lo, s2
	s_mov_b32 s2, 0
	s_cbranch_vccz .LBB372_2070
; %bb.2069:
	s_cmp_lg_u32 s3, 11
	s_mov_b32 s2, -1
	s_cselect_b32 s0, -1, 0
.LBB372_2070:
	s_delay_alu instid0(SALU_CYCLE_1)
	s_and_b32 vcc_lo, exec_lo, s0
	s_cbranch_vccnz .LBB372_2136
.LBB372_2071:
	s_mov_b32 s0, 0
	s_branch .LBB372_2073
.LBB372_2072:
	s_mov_b32 s0, 0
	s_wait_xcnt 0x0
	s_mov_b32 s2, 0
                                        ; implicit-def: $sgpr4
                                        ; implicit-def: $vgpr2_vgpr3
                                        ; implicit-def: $sgpr6
.LBB372_2073:
	s_and_not1_b32 s3, s11, exec_lo
	s_and_b32 s1, s1, exec_lo
	s_and_b32 s0, s0, exec_lo
	;; [unrolled: 1-line block ×3, first 2 shown]
	s_or_b32 s11, s3, s1
.LBB372_2074:
	s_wait_xcnt 0x0
	s_or_b32 exec_lo, exec_lo, s12
	s_and_saveexec_b32 s1, s11
	s_cbranch_execz .LBB372_2077
; %bb.2075:
	; divergent unreachable
	s_or_b32 exec_lo, exec_lo, s1
	s_and_saveexec_b32 s1, s34
	s_delay_alu instid0(SALU_CYCLE_1)
	s_xor_b32 s1, exec_lo, s1
	s_cbranch_execnz .LBB372_2078
.LBB372_2076:
	s_or_b32 exec_lo, exec_lo, s1
	s_and_saveexec_b32 s1, s0
	s_cbranch_execnz .LBB372_2079
	s_branch .LBB372_2116
.LBB372_2077:
	s_or_b32 exec_lo, exec_lo, s1
	s_and_saveexec_b32 s1, s34
	s_delay_alu instid0(SALU_CYCLE_1)
	s_xor_b32 s1, exec_lo, s1
	s_cbranch_execz .LBB372_2076
.LBB372_2078:
	v_cndmask_b32_e64 v0, 0, 1, s4
	global_store_b8 v[2:3], v0, off
	s_wait_xcnt 0x0
	s_or_b32 exec_lo, exec_lo, s1
	s_and_saveexec_b32 s1, s0
	s_cbranch_execz .LBB372_2116
.LBB372_2079:
	s_sext_i32_i16 s1, s6
	s_mov_b32 s0, -1
	s_cmp_lt_i32 s1, 5
	s_cbranch_scc1 .LBB372_2100
; %bb.2080:
	s_cmp_lt_i32 s1, 8
	s_cbranch_scc1 .LBB372_2090
; %bb.2081:
	;; [unrolled: 3-line block ×3, first 2 shown]
	s_cmp_gt_i32 s1, 9
	s_cbranch_scc0 .LBB372_2084
; %bb.2083:
	v_cndmask_b32_e64 v0, 0, 1, s4
	s_wait_loadcnt 0x0
	v_mov_b32_e32 v6, 0
	s_mov_b32 s0, 0
	s_delay_alu instid0(VALU_DEP_2) | instskip(NEXT) | instid1(VALU_DEP_2)
	v_cvt_f64_u32_e32 v[4:5], v0
	v_mov_b32_e32 v7, v6
	global_store_b128 v[2:3], v[4:7], off
.LBB372_2084:
	s_and_not1_b32 vcc_lo, exec_lo, s0
	s_cbranch_vccnz .LBB372_2086
; %bb.2085:
	v_cndmask_b32_e64 v0, 0, 1.0, s4
	v_mov_b32_e32 v1, 0
	global_store_b64 v[2:3], v[0:1], off
.LBB372_2086:
	s_mov_b32 s0, 0
.LBB372_2087:
	s_delay_alu instid0(SALU_CYCLE_1)
	s_and_not1_b32 vcc_lo, exec_lo, s0
	s_cbranch_vccnz .LBB372_2089
; %bb.2088:
	s_wait_xcnt 0x0
	v_cndmask_b32_e64 v0, 0, 1.0, s4
	s_delay_alu instid0(VALU_DEP_1) | instskip(NEXT) | instid1(VALU_DEP_1)
	v_cvt_f16_f32_e32 v0, v0
	v_and_b32_e32 v0, 0xffff, v0
	global_store_b32 v[2:3], v0, off
.LBB372_2089:
	s_mov_b32 s0, 0
.LBB372_2090:
	s_delay_alu instid0(SALU_CYCLE_1)
	s_and_not1_b32 vcc_lo, exec_lo, s0
	s_cbranch_vccnz .LBB372_2099
; %bb.2091:
	s_sext_i32_i16 s1, s6
	s_mov_b32 s0, -1
	s_cmp_lt_i32 s1, 6
	s_cbranch_scc1 .LBB372_2097
; %bb.2092:
	s_cmp_gt_i32 s1, 6
	s_cbranch_scc0 .LBB372_2094
; %bb.2093:
	s_wait_xcnt 0x0
	v_cndmask_b32_e64 v0, 0, 1, s4
	s_mov_b32 s0, 0
	s_delay_alu instid0(VALU_DEP_1)
	v_cvt_f64_u32_e32 v[0:1], v0
	global_store_b64 v[2:3], v[0:1], off
.LBB372_2094:
	s_and_not1_b32 vcc_lo, exec_lo, s0
	s_cbranch_vccnz .LBB372_2096
; %bb.2095:
	s_wait_xcnt 0x0
	v_cndmask_b32_e64 v0, 0, 1.0, s4
	global_store_b32 v[2:3], v0, off
.LBB372_2096:
	s_mov_b32 s0, 0
.LBB372_2097:
	s_delay_alu instid0(SALU_CYCLE_1)
	s_and_not1_b32 vcc_lo, exec_lo, s0
	s_cbranch_vccnz .LBB372_2099
; %bb.2098:
	s_wait_xcnt 0x0
	v_cndmask_b32_e64 v0, 0, 1.0, s4
	s_delay_alu instid0(VALU_DEP_1)
	v_cvt_f16_f32_e32 v0, v0
	global_store_b16 v[2:3], v0, off
.LBB372_2099:
	s_mov_b32 s0, 0
.LBB372_2100:
	s_delay_alu instid0(SALU_CYCLE_1)
	s_and_not1_b32 vcc_lo, exec_lo, s0
	s_cbranch_vccnz .LBB372_2116
; %bb.2101:
	s_sext_i32_i16 s1, s6
	s_mov_b32 s0, -1
	s_cmp_lt_i32 s1, 2
	s_cbranch_scc1 .LBB372_2111
; %bb.2102:
	s_cmp_lt_i32 s1, 3
	s_cbranch_scc1 .LBB372_2108
; %bb.2103:
	s_cmp_gt_i32 s1, 3
	s_cbranch_scc0 .LBB372_2105
; %bb.2104:
	s_mov_b32 s0, 0
	s_wait_xcnt 0x0
	v_cndmask_b32_e64 v0, 0, 1, s4
	v_mov_b32_e32 v1, s0
	global_store_b64 v[2:3], v[0:1], off
.LBB372_2105:
	s_and_not1_b32 vcc_lo, exec_lo, s0
	s_cbranch_vccnz .LBB372_2107
; %bb.2106:
	s_wait_xcnt 0x0
	v_cndmask_b32_e64 v0, 0, 1, s4
	global_store_b32 v[2:3], v0, off
.LBB372_2107:
	s_mov_b32 s0, 0
.LBB372_2108:
	s_delay_alu instid0(SALU_CYCLE_1)
	s_and_not1_b32 vcc_lo, exec_lo, s0
	s_cbranch_vccnz .LBB372_2110
; %bb.2109:
	s_wait_xcnt 0x0
	v_cndmask_b32_e64 v0, 0, 1, s4
	global_store_b16 v[2:3], v0, off
.LBB372_2110:
	s_mov_b32 s0, 0
.LBB372_2111:
	s_delay_alu instid0(SALU_CYCLE_1)
	s_and_not1_b32 vcc_lo, exec_lo, s0
	s_cbranch_vccnz .LBB372_2116
; %bb.2112:
	s_sext_i32_i16 s0, s6
	s_delay_alu instid0(SALU_CYCLE_1)
	s_cmp_gt_i32 s0, 0
	s_mov_b32 s0, -1
	s_cbranch_scc0 .LBB372_2114
; %bb.2113:
	s_wait_xcnt 0x0
	v_cndmask_b32_e64 v0, 0, 1, s4
	s_mov_b32 s0, 0
	global_store_b8 v[2:3], v0, off
.LBB372_2114:
	s_and_not1_b32 vcc_lo, exec_lo, s0
	s_cbranch_vccnz .LBB372_2116
; %bb.2115:
	s_wait_xcnt 0x0
	v_cndmask_b32_e64 v0, 0, 1, s4
	global_store_b8 v[2:3], v0, off
	s_endpgm
.LBB372_2116:
	s_endpgm
.LBB372_2117:
	s_mov_b32 s2, 0
	s_mov_b32 s0, -1
	s_branch .LBB372_2073
.LBB372_2118:
	s_or_b32 s1, s1, exec_lo
	s_trap 2
	s_cbranch_execz .LBB372_1588
	s_branch .LBB372_1589
.LBB372_2119:
	s_and_not1_saveexec_b32 s15, s15
	s_cbranch_execz .LBB372_1668
.LBB372_2120:
	v_add_f32_e32 v1, 0x46000000, v3
	s_and_not1_b32 s14, s14, exec_lo
	s_delay_alu instid0(VALU_DEP_1) | instskip(NEXT) | instid1(VALU_DEP_1)
	v_and_b32_e32 v1, 0xff, v1
	v_cmp_ne_u32_e32 vcc_lo, 0, v1
	s_and_b32 s16, vcc_lo, exec_lo
	s_delay_alu instid0(SALU_CYCLE_1)
	s_or_b32 s14, s14, s16
	s_or_b32 exec_lo, exec_lo, s15
	v_mov_b32_e32 v5, 0
	s_and_saveexec_b32 s15, s14
	s_cbranch_execnz .LBB372_1669
	s_branch .LBB372_1670
.LBB372_2121:
	s_or_b32 s1, s1, exec_lo
	s_trap 2
	s_cbranch_execz .LBB372_1716
	s_branch .LBB372_1717
.LBB372_2122:
	s_and_not1_saveexec_b32 s14, s14
	s_cbranch_execz .LBB372_1681
.LBB372_2123:
	v_add_f32_e32 v1, 0x42800000, v3
	s_and_not1_b32 s13, s13, exec_lo
	s_delay_alu instid0(VALU_DEP_1) | instskip(NEXT) | instid1(VALU_DEP_1)
	v_and_b32_e32 v1, 0xff, v1
	v_cmp_ne_u32_e32 vcc_lo, 0, v1
	s_and_b32 s15, vcc_lo, exec_lo
	s_delay_alu instid0(SALU_CYCLE_1)
	s_or_b32 s13, s13, s15
	s_or_b32 exec_lo, exec_lo, s14
	v_mov_b32_e32 v5, 0
	s_and_saveexec_b32 s14, s13
	s_cbranch_execnz .LBB372_1682
	s_branch .LBB372_1683
.LBB372_2124:
	s_and_not1_saveexec_b32 s15, s15
	s_cbranch_execz .LBB372_1786
.LBB372_2125:
	v_add_f32_e32 v1, 0x46000000, v3
	s_and_not1_b32 s14, s14, exec_lo
	s_delay_alu instid0(VALU_DEP_1) | instskip(NEXT) | instid1(VALU_DEP_1)
	v_and_b32_e32 v1, 0xff, v1
	v_cmp_ne_u32_e32 vcc_lo, 0, v1
	s_and_b32 s16, vcc_lo, exec_lo
	s_delay_alu instid0(SALU_CYCLE_1)
	s_or_b32 s14, s14, s16
	s_or_b32 exec_lo, exec_lo, s15
	v_mov_b32_e32 v6, 0
	s_and_saveexec_b32 s15, s14
	s_cbranch_execnz .LBB372_1787
	s_branch .LBB372_1788
.LBB372_2126:
	s_or_b32 s1, s1, exec_lo
	s_trap 2
	s_cbranch_execz .LBB372_1834
	s_branch .LBB372_1835
.LBB372_2127:
	s_and_not1_saveexec_b32 s14, s14
	s_cbranch_execz .LBB372_1799
.LBB372_2128:
	v_add_f32_e32 v1, 0x42800000, v3
	s_and_not1_b32 s13, s13, exec_lo
	s_delay_alu instid0(VALU_DEP_1) | instskip(NEXT) | instid1(VALU_DEP_1)
	v_and_b32_e32 v1, 0xff, v1
	v_cmp_ne_u32_e32 vcc_lo, 0, v1
	s_and_b32 s15, vcc_lo, exec_lo
	s_delay_alu instid0(SALU_CYCLE_1)
	s_or_b32 s13, s13, s15
	s_or_b32 exec_lo, exec_lo, s14
	v_mov_b32_e32 v6, 0
	s_and_saveexec_b32 s14, s13
	s_cbranch_execnz .LBB372_1800
	s_branch .LBB372_1801
.LBB372_2129:
	s_and_not1_saveexec_b32 s15, s15
	s_cbranch_execz .LBB372_1905
.LBB372_2130:
	v_add_f32_e32 v1, 0x46000000, v4
	s_and_not1_b32 s14, s14, exec_lo
	s_delay_alu instid0(VALU_DEP_1) | instskip(NEXT) | instid1(VALU_DEP_1)
	v_and_b32_e32 v1, 0xff, v1
	v_cmp_ne_u32_e32 vcc_lo, 0, v1
	s_and_b32 s16, vcc_lo, exec_lo
	s_delay_alu instid0(SALU_CYCLE_1)
	s_or_b32 s14, s14, s16
	s_or_b32 exec_lo, exec_lo, s15
	v_mov_b32_e32 v5, 0
	s_and_saveexec_b32 s15, s14
	s_cbranch_execnz .LBB372_1906
	s_branch .LBB372_1907
.LBB372_2131:
	s_or_b32 s1, s1, exec_lo
	s_trap 2
	s_cbranch_execz .LBB372_1953
	s_branch .LBB372_1954
.LBB372_2132:
	s_and_not1_saveexec_b32 s14, s14
	s_cbranch_execz .LBB372_1918
.LBB372_2133:
	v_add_f32_e32 v1, 0x42800000, v4
	s_and_not1_b32 s13, s13, exec_lo
	s_delay_alu instid0(VALU_DEP_1) | instskip(NEXT) | instid1(VALU_DEP_1)
	v_and_b32_e32 v1, 0xff, v1
	v_cmp_ne_u32_e32 vcc_lo, 0, v1
	s_and_b32 s15, vcc_lo, exec_lo
	s_delay_alu instid0(SALU_CYCLE_1)
	s_or_b32 s13, s13, s15
	s_or_b32 exec_lo, exec_lo, s14
	v_mov_b32_e32 v5, 0
	s_and_saveexec_b32 s14, s13
	s_cbranch_execnz .LBB372_1919
	s_branch .LBB372_1920
.LBB372_2134:
	s_and_not1_saveexec_b32 s8, s8
	s_cbranch_execz .LBB372_2025
.LBB372_2135:
	v_add_f32_e32 v0, 0x46000000, v1
	s_and_not1_b32 s7, s7, exec_lo
	s_delay_alu instid0(VALU_DEP_1) | instskip(NEXT) | instid1(VALU_DEP_1)
	v_and_b32_e32 v0, 0xff, v0
	v_cmp_ne_u32_e32 vcc_lo, 0, v0
	s_and_b32 s9, vcc_lo, exec_lo
	s_delay_alu instid0(SALU_CYCLE_1)
	s_or_b32 s7, s7, s9
	s_or_b32 exec_lo, exec_lo, s8
	v_mov_b32_e32 v4, 0
	s_and_saveexec_b32 s8, s7
	s_cbranch_execnz .LBB372_2026
	s_branch .LBB372_2027
.LBB372_2136:
	s_mov_b32 s2, 0
	s_or_b32 s1, s1, exec_lo
	s_trap 2
	s_branch .LBB372_2071
.LBB372_2137:
	s_and_not1_saveexec_b32 s7, s7
	s_cbranch_execz .LBB372_2037
.LBB372_2138:
	v_add_f32_e32 v0, 0x42800000, v1
	s_and_not1_b32 s5, s5, exec_lo
	s_delay_alu instid0(VALU_DEP_1) | instskip(NEXT) | instid1(VALU_DEP_1)
	v_and_b32_e32 v0, 0xff, v0
	v_cmp_ne_u32_e32 vcc_lo, 0, v0
	s_and_b32 s8, vcc_lo, exec_lo
	s_delay_alu instid0(SALU_CYCLE_1)
	s_or_b32 s5, s5, s8
	s_or_b32 exec_lo, exec_lo, s7
	v_mov_b32_e32 v4, 0
	s_and_saveexec_b32 s7, s5
	s_cbranch_execnz .LBB372_2038
	s_branch .LBB372_2039
	.section	.rodata,"a",@progbits
	.p2align	6, 0x0
	.amdhsa_kernel _ZN2at6native32elementwise_kernel_manual_unrollILi128ELi4EZNS0_15gpu_kernel_implINS0_13AUnaryFunctorImmbNS0_12_GLOBAL__N_116CompareEqFunctorImEEEEEEvRNS_18TensorIteratorBaseERKT_EUlibE0_EEviT1_
		.amdhsa_group_segment_fixed_size 0
		.amdhsa_private_segment_fixed_size 0
		.amdhsa_kernarg_size 376
		.amdhsa_user_sgpr_count 2
		.amdhsa_user_sgpr_dispatch_ptr 0
		.amdhsa_user_sgpr_queue_ptr 0
		.amdhsa_user_sgpr_kernarg_segment_ptr 1
		.amdhsa_user_sgpr_dispatch_id 0
		.amdhsa_user_sgpr_kernarg_preload_length 0
		.amdhsa_user_sgpr_kernarg_preload_offset 0
		.amdhsa_user_sgpr_private_segment_size 0
		.amdhsa_wavefront_size32 1
		.amdhsa_uses_dynamic_stack 0
		.amdhsa_enable_private_segment 0
		.amdhsa_system_sgpr_workgroup_id_x 1
		.amdhsa_system_sgpr_workgroup_id_y 0
		.amdhsa_system_sgpr_workgroup_id_z 0
		.amdhsa_system_sgpr_workgroup_info 0
		.amdhsa_system_vgpr_workitem_id 0
		.amdhsa_next_free_vgpr 22
		.amdhsa_next_free_sgpr 72
		.amdhsa_named_barrier_count 0
		.amdhsa_reserve_vcc 1
		.amdhsa_float_round_mode_32 0
		.amdhsa_float_round_mode_16_64 0
		.amdhsa_float_denorm_mode_32 3
		.amdhsa_float_denorm_mode_16_64 3
		.amdhsa_fp16_overflow 0
		.amdhsa_memory_ordered 1
		.amdhsa_forward_progress 1
		.amdhsa_inst_pref_size 255
		.amdhsa_round_robin_scheduling 0
		.amdhsa_exception_fp_ieee_invalid_op 0
		.amdhsa_exception_fp_denorm_src 0
		.amdhsa_exception_fp_ieee_div_zero 0
		.amdhsa_exception_fp_ieee_overflow 0
		.amdhsa_exception_fp_ieee_underflow 0
		.amdhsa_exception_fp_ieee_inexact 0
		.amdhsa_exception_int_div_zero 0
	.end_amdhsa_kernel
	.section	.text._ZN2at6native32elementwise_kernel_manual_unrollILi128ELi4EZNS0_15gpu_kernel_implINS0_13AUnaryFunctorImmbNS0_12_GLOBAL__N_116CompareEqFunctorImEEEEEEvRNS_18TensorIteratorBaseERKT_EUlibE0_EEviT1_,"axG",@progbits,_ZN2at6native32elementwise_kernel_manual_unrollILi128ELi4EZNS0_15gpu_kernel_implINS0_13AUnaryFunctorImmbNS0_12_GLOBAL__N_116CompareEqFunctorImEEEEEEvRNS_18TensorIteratorBaseERKT_EUlibE0_EEviT1_,comdat
.Lfunc_end372:
	.size	_ZN2at6native32elementwise_kernel_manual_unrollILi128ELi4EZNS0_15gpu_kernel_implINS0_13AUnaryFunctorImmbNS0_12_GLOBAL__N_116CompareEqFunctorImEEEEEEvRNS_18TensorIteratorBaseERKT_EUlibE0_EEviT1_, .Lfunc_end372-_ZN2at6native32elementwise_kernel_manual_unrollILi128ELi4EZNS0_15gpu_kernel_implINS0_13AUnaryFunctorImmbNS0_12_GLOBAL__N_116CompareEqFunctorImEEEEEEvRNS_18TensorIteratorBaseERKT_EUlibE0_EEviT1_
                                        ; -- End function
	.set _ZN2at6native32elementwise_kernel_manual_unrollILi128ELi4EZNS0_15gpu_kernel_implINS0_13AUnaryFunctorImmbNS0_12_GLOBAL__N_116CompareEqFunctorImEEEEEEvRNS_18TensorIteratorBaseERKT_EUlibE0_EEviT1_.num_vgpr, 22
	.set _ZN2at6native32elementwise_kernel_manual_unrollILi128ELi4EZNS0_15gpu_kernel_implINS0_13AUnaryFunctorImmbNS0_12_GLOBAL__N_116CompareEqFunctorImEEEEEEvRNS_18TensorIteratorBaseERKT_EUlibE0_EEviT1_.num_agpr, 0
	.set _ZN2at6native32elementwise_kernel_manual_unrollILi128ELi4EZNS0_15gpu_kernel_implINS0_13AUnaryFunctorImmbNS0_12_GLOBAL__N_116CompareEqFunctorImEEEEEEvRNS_18TensorIteratorBaseERKT_EUlibE0_EEviT1_.numbered_sgpr, 72
	.set _ZN2at6native32elementwise_kernel_manual_unrollILi128ELi4EZNS0_15gpu_kernel_implINS0_13AUnaryFunctorImmbNS0_12_GLOBAL__N_116CompareEqFunctorImEEEEEEvRNS_18TensorIteratorBaseERKT_EUlibE0_EEviT1_.num_named_barrier, 0
	.set _ZN2at6native32elementwise_kernel_manual_unrollILi128ELi4EZNS0_15gpu_kernel_implINS0_13AUnaryFunctorImmbNS0_12_GLOBAL__N_116CompareEqFunctorImEEEEEEvRNS_18TensorIteratorBaseERKT_EUlibE0_EEviT1_.private_seg_size, 0
	.set _ZN2at6native32elementwise_kernel_manual_unrollILi128ELi4EZNS0_15gpu_kernel_implINS0_13AUnaryFunctorImmbNS0_12_GLOBAL__N_116CompareEqFunctorImEEEEEEvRNS_18TensorIteratorBaseERKT_EUlibE0_EEviT1_.uses_vcc, 1
	.set _ZN2at6native32elementwise_kernel_manual_unrollILi128ELi4EZNS0_15gpu_kernel_implINS0_13AUnaryFunctorImmbNS0_12_GLOBAL__N_116CompareEqFunctorImEEEEEEvRNS_18TensorIteratorBaseERKT_EUlibE0_EEviT1_.uses_flat_scratch, 0
	.set _ZN2at6native32elementwise_kernel_manual_unrollILi128ELi4EZNS0_15gpu_kernel_implINS0_13AUnaryFunctorImmbNS0_12_GLOBAL__N_116CompareEqFunctorImEEEEEEvRNS_18TensorIteratorBaseERKT_EUlibE0_EEviT1_.has_dyn_sized_stack, 0
	.set _ZN2at6native32elementwise_kernel_manual_unrollILi128ELi4EZNS0_15gpu_kernel_implINS0_13AUnaryFunctorImmbNS0_12_GLOBAL__N_116CompareEqFunctorImEEEEEEvRNS_18TensorIteratorBaseERKT_EUlibE0_EEviT1_.has_recursion, 0
	.set _ZN2at6native32elementwise_kernel_manual_unrollILi128ELi4EZNS0_15gpu_kernel_implINS0_13AUnaryFunctorImmbNS0_12_GLOBAL__N_116CompareEqFunctorImEEEEEEvRNS_18TensorIteratorBaseERKT_EUlibE0_EEviT1_.has_indirect_call, 0
	.section	.AMDGPU.csdata,"",@progbits
; Kernel info:
; codeLenInByte = 44228
; TotalNumSgprs: 74
; NumVgprs: 22
; ScratchSize: 0
; MemoryBound: 1
; FloatMode: 240
; IeeeMode: 1
; LDSByteSize: 0 bytes/workgroup (compile time only)
; SGPRBlocks: 0
; VGPRBlocks: 1
; NumSGPRsForWavesPerEU: 74
; NumVGPRsForWavesPerEU: 22
; NamedBarCnt: 0
; Occupancy: 16
; WaveLimiterHint : 1
; COMPUTE_PGM_RSRC2:SCRATCH_EN: 0
; COMPUTE_PGM_RSRC2:USER_SGPR: 2
; COMPUTE_PGM_RSRC2:TRAP_HANDLER: 0
; COMPUTE_PGM_RSRC2:TGID_X_EN: 1
; COMPUTE_PGM_RSRC2:TGID_Y_EN: 0
; COMPUTE_PGM_RSRC2:TGID_Z_EN: 0
; COMPUTE_PGM_RSRC2:TIDIG_COMP_CNT: 0
	.section	.text._ZN2at6native29vectorized_elementwise_kernelILi16ENS0_13BinaryFunctorIN3c1016Float4_e2m1fn_x2ES4_bNS0_12_GLOBAL__N_116CompareEqFunctorIS4_EEEESt5arrayIPcLm3EEEEviT0_T1_,"axG",@progbits,_ZN2at6native29vectorized_elementwise_kernelILi16ENS0_13BinaryFunctorIN3c1016Float4_e2m1fn_x2ES4_bNS0_12_GLOBAL__N_116CompareEqFunctorIS4_EEEESt5arrayIPcLm3EEEEviT0_T1_,comdat
	.globl	_ZN2at6native29vectorized_elementwise_kernelILi16ENS0_13BinaryFunctorIN3c1016Float4_e2m1fn_x2ES4_bNS0_12_GLOBAL__N_116CompareEqFunctorIS4_EEEESt5arrayIPcLm3EEEEviT0_T1_ ; -- Begin function _ZN2at6native29vectorized_elementwise_kernelILi16ENS0_13BinaryFunctorIN3c1016Float4_e2m1fn_x2ES4_bNS0_12_GLOBAL__N_116CompareEqFunctorIS4_EEEESt5arrayIPcLm3EEEEviT0_T1_
	.p2align	8
	.type	_ZN2at6native29vectorized_elementwise_kernelILi16ENS0_13BinaryFunctorIN3c1016Float4_e2m1fn_x2ES4_bNS0_12_GLOBAL__N_116CompareEqFunctorIS4_EEEESt5arrayIPcLm3EEEEviT0_T1_,@function
_ZN2at6native29vectorized_elementwise_kernelILi16ENS0_13BinaryFunctorIN3c1016Float4_e2m1fn_x2ES4_bNS0_12_GLOBAL__N_116CompareEqFunctorIS4_EEEESt5arrayIPcLm3EEEEviT0_T1_: ; @_ZN2at6native29vectorized_elementwise_kernelILi16ENS0_13BinaryFunctorIN3c1016Float4_e2m1fn_x2ES4_bNS0_12_GLOBAL__N_116CompareEqFunctorIS4_EEEESt5arrayIPcLm3EEEEviT0_T1_
; %bb.0:
	s_clause 0x2
	s_load_b64 s[12:13], s[0:1], 0x0
	s_load_b128 s[16:19], s[0:1], 0x8
	s_load_b64 s[20:21], s[0:1], 0x18
	s_wait_xcnt 0x0
	s_bfe_u32 s0, ttmp6, 0x4000c
	s_and_b32 s1, ttmp6, 15
	s_add_co_i32 s0, s0, 1
	s_getreg_b32 s2, hwreg(HW_REG_IB_STS2, 6, 4)
	s_mul_i32 s0, ttmp9, s0
	s_delay_alu instid0(SALU_CYCLE_1) | instskip(SKIP_2) | instid1(SALU_CYCLE_1)
	s_add_co_i32 s1, s1, s0
	s_cmp_eq_u32 s2, 0
	s_cselect_b32 s0, ttmp9, s1
	s_lshl_b32 s14, s0, 12
	s_mov_b32 s0, -1
	s_wait_kmcnt 0x0
	s_sub_co_i32 s22, s12, s14
	s_delay_alu instid0(SALU_CYCLE_1)
	s_cmp_gt_i32 s22, 0xfff
	s_cbranch_scc0 .LBB373_2
; %bb.1:
	s_ashr_i32 s15, s14, 31
	s_cmp_eq_u32 s13, 0
	s_add_nc_u64 s[0:1], s[18:19], s[14:15]
	s_cselect_b32 s23, -1, 0
	global_load_b128 v[2:5], v0, s[0:1] scale_offset
	s_wait_xcnt 0x0
	s_add_nc_u64 s[0:1], s[20:21], s[14:15]
	global_load_b128 v[6:9], v0, s[0:1] scale_offset
	s_wait_loadcnt 0x1
	v_and_b32_e32 v14, 0xff, v3
	v_dual_lshrrev_b32 v12, 16, v3 :: v_dual_lshrrev_b32 v13, 24, v3
	s_wait_loadcnt 0x0
	v_and_b32_e32 v26, 0xff, v7
	v_dual_lshrrev_b32 v18, 16, v5 :: v_dual_lshrrev_b32 v19, 24, v5
	v_and_b32_e32 v20, 0xff, v5
	v_lshrrev_b16 v5, 8, v5
	v_dual_lshrrev_b32 v24, 16, v7 :: v_dual_lshrrev_b32 v25, 24, v7
	v_dual_lshrrev_b32 v30, 16, v9 :: v_dual_lshrrev_b32 v31, 24, v9
	v_and_b32_e32 v32, 0xff, v9
	v_lshrrev_b16 v9, 8, v9
	v_cmp_ne_u16_e64 s0, v14, v26
	v_dual_lshrrev_b32 v1, 16, v2 :: v_dual_lshrrev_b32 v10, 24, v2
	v_and_b32_e32 v11, 0xff, v2
	v_lshrrev_b16 v2, 8, v2
	v_dual_lshrrev_b32 v21, 16, v6 :: v_dual_lshrrev_b32 v22, 24, v6
	v_and_b32_e32 v23, 0xff, v6
	v_lshrrev_b16 v6, 8, v6
	v_cmp_ne_u16_e64 s1, v13, v25
	v_cmp_ne_u16_e64 s5, v5, v9
	v_dual_lshrrev_b32 v15, 16, v4 :: v_dual_lshrrev_b32 v16, 24, v4
	v_and_b32_e32 v17, 0xff, v4
	v_lshrrev_b16 v4, 8, v4
	v_dual_lshrrev_b32 v27, 16, v8 :: v_dual_lshrrev_b32 v28, 24, v8
	v_and_b32_e32 v29, 0xff, v8
	v_lshrrev_b16 v8, 8, v8
	v_lshrrev_b16 v3, 8, v3
	;; [unrolled: 1-line block ×3, first 2 shown]
	v_cmp_ne_u16_e64 s6, v20, v32
	s_xor_b32 s0, s23, s0
	v_cmp_ne_u16_e64 s7, v19, v31
	v_cmp_ne_u16_e64 s2, v2, v6
	v_cndmask_b32_e64 v2, 0, 1, s0
	s_xor_b32 s0, s23, s1
	s_xor_b32 s1, s23, s5
	v_cmp_ne_u16_e64 s8, v4, v8
	v_and_b32_e32 v12, 0xff, v12
	v_and_b32_e32 v24, 0xff, v24
	v_cmp_ne_u16_e32 vcc_lo, v3, v7
	v_cmp_ne_u16_e64 s3, v11, v23
	v_cndmask_b32_e64 v7, 0, 1, s1
	s_xor_b32 s1, s23, s6
	v_cmp_ne_u16_e64 s9, v17, v29
	v_and_b32_e32 v1, 0xff, v1
	v_and_b32_e32 v21, 0xff, v21
	v_cmp_ne_u16_e64 s4, v10, v22
	v_cndmask_b32_e64 v8, 0, 1, s1
	s_xor_b32 s1, s23, s7
	v_cmp_ne_u16_e64 s10, v16, v28
	v_cndmask_b32_e64 v3, 0, 1, s0
	s_xor_b32 s0, s23, s2
	v_and_b32_e32 v15, 0xff, v15
	v_and_b32_e32 v18, 0xff, v18
	;; [unrolled: 1-line block ×4, first 2 shown]
	v_cndmask_b32_e64 v9, 0, 1, s1
	s_xor_b32 s1, s23, s8
	v_cmp_ne_u16_e64 s11, v12, v24
	v_cndmask_b32_e64 v4, 0, 1, s0
	s_xor_b32 s0, s23, s3
	v_cndmask_b32_e64 v10, 0, 1, s1
	s_xor_b32 s1, s23, s9
	v_cmp_ne_u16_e64 s12, v1, v21
	v_cndmask_b32_e64 v5, 0, 1, s0
	s_xor_b32 s0, s23, s4
	v_cndmask_b32_e64 v11, 0, 1, s1
	s_xor_b32 s1, s23, s10
	s_xor_b32 s24, s23, vcc_lo
	v_cndmask_b32_e64 v6, 0, 1, s0
	v_cmp_ne_u16_e32 vcc_lo, v18, v30
	v_cmp_ne_u16_e64 s0, v15, v27
	v_cndmask_b32_e64 v12, 0, 1, s1
	s_xor_b32 s1, s23, s11
	v_cndmask_b32_e64 v1, 0, 1, s24
	v_cndmask_b32_e64 v13, 0, 1, s1
	s_xor_b32 s1, s23, s12
	s_xor_b32 s0, s23, s0
	v_cndmask_b32_e64 v14, 0, 1, s1
	s_xor_b32 s1, s23, vcc_lo
	v_lshlrev_b16 v1, 8, v1
	v_lshlrev_b16 v3, 8, v3
	v_lshlrev_b16 v4, 8, v4
	v_lshlrev_b16 v6, 8, v6
	v_lshlrev_b16 v7, 8, v7
	v_lshlrev_b16 v9, 8, v9
	v_cndmask_b32_e64 v15, 0, 1, s1
	v_lshlrev_b16 v10, 8, v10
	v_lshlrev_b16 v12, 8, v12
	v_cndmask_b32_e64 v16, 0, 1, s0
	v_or_b32_e32 v1, v2, v1
	v_or_b32_e32 v2, v13, v3
	;; [unrolled: 1-line block ×8, first 2 shown]
	v_and_b32_e32 v5, 0xffff, v5
	v_and_b32_e32 v7, 0xffff, v7
	v_lshlrev_b32_e32 v8, 16, v8
	v_dual_lshlrev_b32 v4, 16, v4 :: v_dual_lshlrev_b32 v2, 16, v2
	v_and_b32_e32 v1, 0xffff, v1
	v_lshlrev_b32_e32 v6, 16, v6
	v_and_b32_e32 v9, 0xffff, v3
	s_add_nc_u64 s[2:3], s[16:17], s[14:15]
	s_mov_b32 s0, 0
	v_or_b32_e32 v3, v1, v2
	v_or_b32_e32 v5, v5, v6
	;; [unrolled: 1-line block ×4, first 2 shown]
	global_store_b128 v0, v[2:5], s[2:3] scale_offset
.LBB373_2:
	s_and_not1_b32 vcc_lo, exec_lo, s0
	s_cbranch_vccnz .LBB373_54
; %bb.3:
	v_cmp_le_i32_e64 s0, s22, v0
	v_or_b32_e32 v1, 0x100, v0
	v_cmp_gt_i32_e32 vcc_lo, s22, v0
	s_wait_xcnt 0x0
	s_and_saveexec_b32 s1, s0
	s_delay_alu instid0(SALU_CYCLE_1)
	s_xor_b32 s0, exec_lo, s1
; %bb.4:
	v_or_b32_e32 v1, 0x100, v0
; %bb.5:
	s_or_saveexec_b32 s1, s0
	v_dual_mov_b32 v35, 0 :: v_dual_bitop2_b32 v8, s14, v0 bitop3:0x54
	v_dual_mov_b32 v34, 0 :: v_dual_mov_b32 v36, 0
	v_dual_mov_b32 v33, 0 :: v_dual_mov_b32 v32, 0
	v_dual_mov_b32 v31, 0 :: v_dual_mov_b32 v15, 0
	v_dual_mov_b32 v12, 0 :: v_dual_mov_b32 v14, 0
	v_dual_mov_b32 v11, 0 :: v_dual_mov_b32 v13, 0
	v_dual_mov_b32 v23, 0 :: v_dual_mov_b32 v21, 0
	v_dual_mov_b32 v20, 0 :: v_dual_mov_b32 v19, 0
	v_dual_mov_b32 v18, 0 :: v_dual_mov_b32 v24, 0
	v_dual_mov_b32 v22, 0 :: v_dual_mov_b32 v27, 0
	v_dual_mov_b32 v25, 0 :: v_dual_mov_b32 v30, 0
	v_dual_mov_b32 v29, 0 :: v_dual_mov_b32 v9, 0
	v_dual_mov_b32 v4, 0 :: v_dual_mov_b32 v10, 0
	v_dual_mov_b32 v3, 0 :: v_dual_mov_b32 v16, 0
	v_dual_mov_b32 v17, 0 :: v_dual_mov_b32 v26, 0
	v_mov_b32_e32 v28, 0
	s_mov_b32 s5, 0
	s_xor_b32 exec_lo, exec_lo, s1
	s_cbranch_execz .LBB373_37
; %bb.6:
	s_clause 0x1
	global_load_u8 v26, v8, s[18:19]
	global_load_u8 v28, v8, s[20:21]
	v_cmp_gt_u32_e64 s0, s22, v1
	v_dual_mov_b32 v17, 0 :: v_dual_mov_b32 v16, 0
	v_dual_mov_b32 v3, 0 :: v_dual_mov_b32 v10, 0
	;; [unrolled: 1-line block ×14, first 2 shown]
	s_mov_b32 s3, 0
	s_wait_xcnt 0x0
	s_and_saveexec_b32 s2, s0
	s_cbranch_execz .LBB373_36
; %bb.7:
	v_dual_mov_b32 v3, 0 :: v_dual_add_nc_u32 v2, s14, v0
	v_or_b32_e32 v4, 0x200, v0
	v_dual_mov_b32 v10, 0 :: v_dual_mov_b32 v9, 0
	v_mov_b32_e32 v29, 0
	s_clause 0x1
	global_load_u8 v16, v2, s[18:19] offset:256
	global_load_u8 v17, v2, s[20:21] offset:256
	v_cmp_gt_u32_e64 s0, s22, v4
	v_dual_mov_b32 v4, 0 :: v_dual_mov_b32 v30, 0
	v_dual_mov_b32 v25, 0 :: v_dual_mov_b32 v27, 0
	;; [unrolled: 1-line block ×11, first 2 shown]
	s_mov_b32 s4, 0
	s_wait_xcnt 0x0
	s_and_saveexec_b32 s3, s0
	s_cbranch_execz .LBB373_35
; %bb.8:
	v_add_nc_u64_e32 v[4:5], s[18:19], v[2:3]
	v_add_nc_u64_e32 v[6:7], s[20:21], v[2:3]
	v_or_b32_e32 v9, 0x300, v0
	v_dual_mov_b32 v30, 0 :: v_dual_mov_b32 v25, 0
	v_dual_mov_b32 v29, 0 :: v_dual_mov_b32 v27, 0
	v_mov_b32_e32 v22, 0
	global_load_u8 v10, v[4:5], off offset:512
	global_load_u8 v2, v[6:7], off offset:512
	v_cmp_gt_u32_e64 s0, s22, v9
	v_dual_mov_b32 v9, 0 :: v_dual_mov_b32 v24, 0
	v_dual_mov_b32 v18, 0 :: v_dual_mov_b32 v19, 0
	;; [unrolled: 1-line block ×9, first 2 shown]
	s_wait_xcnt 0x0
	s_and_saveexec_b32 s4, s0
	s_cbranch_execz .LBB373_34
; %bb.9:
	global_load_u8 v9, v[4:5], off offset:768
	global_load_u8 v3, v[6:7], off offset:768
	v_or_b32_e32 v11, 0x400, v0
	v_dual_mov_b32 v29, 0 :: v_dual_mov_b32 v30, 0
	v_dual_mov_b32 v25, 0 :: v_dual_mov_b32 v27, 0
	s_delay_alu instid0(VALU_DEP_3)
	v_cmp_gt_u32_e64 s0, s22, v11
	v_dual_mov_b32 v22, 0 :: v_dual_mov_b32 v24, 0
	v_dual_mov_b32 v18, 0 :: v_dual_mov_b32 v19, 0
	;; [unrolled: 1-line block ×9, first 2 shown]
	s_mov_b32 s6, 0
	s_wait_xcnt 0x0
	s_and_saveexec_b32 s5, s0
	s_cbranch_execz .LBB373_33
; %bb.10:
	global_load_u8 v30, v[4:5], off offset:1024
	global_load_u8 v29, v[6:7], off offset:1024
	v_or_b32_e32 v11, 0x500, v0
	v_dual_mov_b32 v25, 0 :: v_dual_mov_b32 v27, 0
	v_dual_mov_b32 v22, 0 :: v_dual_mov_b32 v24, 0
	s_delay_alu instid0(VALU_DEP_3)
	v_cmp_gt_u32_e64 s0, s22, v11
	v_dual_mov_b32 v18, 0 :: v_dual_mov_b32 v19, 0
	v_dual_mov_b32 v20, 0 :: v_dual_mov_b32 v21, 0
	;; [unrolled: 1-line block ×8, first 2 shown]
	s_mov_b32 s7, 0
	s_wait_xcnt 0x0
	s_and_saveexec_b32 s6, s0
	s_cbranch_execz .LBB373_32
; %bb.11:
	global_load_u8 v27, v[4:5], off offset:1280
	global_load_u8 v25, v[6:7], off offset:1280
	v_or_b32_e32 v11, 0x600, v0
	v_dual_mov_b32 v22, 0 :: v_dual_mov_b32 v24, 0
	v_dual_mov_b32 v18, 0 :: v_dual_mov_b32 v19, 0
	s_delay_alu instid0(VALU_DEP_3)
	v_cmp_gt_u32_e64 s0, s22, v11
	v_dual_mov_b32 v20, 0 :: v_dual_mov_b32 v21, 0
	v_dual_mov_b32 v23, 0 :: v_dual_mov_b32 v13, 0
	v_dual_mov_b32 v11, 0 :: v_dual_mov_b32 v14, 0
	v_dual_mov_b32 v12, 0 :: v_dual_mov_b32 v15, 0
	v_dual_mov_b32 v31, 0 :: v_dual_mov_b32 v32, 0
	v_dual_mov_b32 v33, 0 :: v_dual_mov_b32 v36, 0
	v_dual_mov_b32 v34, 0 :: v_dual_mov_b32 v35, 0
	s_mov_b32 s8, 0
	s_wait_xcnt 0x0
	s_and_saveexec_b32 s7, s0
	s_cbranch_execz .LBB373_31
; %bb.12:
	global_load_u8 v24, v[4:5], off offset:1536
	global_load_u8 v22, v[6:7], off offset:1536
	v_or_b32_e32 v11, 0x700, v0
	v_dual_mov_b32 v18, 0 :: v_dual_mov_b32 v19, 0
	v_dual_mov_b32 v20, 0 :: v_dual_mov_b32 v21, 0
	s_delay_alu instid0(VALU_DEP_3)
	v_cmp_gt_u32_e64 s0, s22, v11
	v_dual_mov_b32 v23, 0 :: v_dual_mov_b32 v13, 0
	v_dual_mov_b32 v11, 0 :: v_dual_mov_b32 v14, 0
	;; [unrolled: 1-line block ×6, first 2 shown]
	s_mov_b32 s9, 0
	s_wait_xcnt 0x0
	s_and_saveexec_b32 s8, s0
	s_cbranch_execz .LBB373_30
; %bb.13:
	global_load_u8 v19, v[4:5], off offset:1792
	global_load_u8 v18, v[6:7], off offset:1792
	v_or_b32_e32 v11, 0x800, v0
	v_dual_mov_b32 v20, 0 :: v_dual_mov_b32 v21, 0
	v_dual_mov_b32 v23, 0 :: v_dual_mov_b32 v13, 0
	s_delay_alu instid0(VALU_DEP_3)
	v_cmp_gt_u32_e64 s0, s22, v11
	v_dual_mov_b32 v11, 0 :: v_dual_mov_b32 v14, 0
	v_dual_mov_b32 v12, 0 :: v_dual_mov_b32 v15, 0
	;; [unrolled: 1-line block ×5, first 2 shown]
	s_mov_b32 s10, 0
	s_wait_xcnt 0x0
	s_and_saveexec_b32 s9, s0
	s_cbranch_execz .LBB373_29
; %bb.14:
	global_load_u8 v21, v[4:5], off offset:2048
	global_load_u8 v20, v[6:7], off offset:2048
	v_or_b32_e32 v11, 0x900, v0
	v_dual_mov_b32 v23, 0 :: v_dual_mov_b32 v13, 0
	v_dual_mov_b32 v12, 0 :: v_dual_mov_b32 v15, 0
	s_delay_alu instid0(VALU_DEP_3)
	v_cmp_gt_u32_e64 s0, s22, v11
	v_dual_mov_b32 v11, 0 :: v_dual_mov_b32 v14, 0
	v_dual_mov_b32 v31, 0 :: v_dual_mov_b32 v32, 0
	;; [unrolled: 1-line block ×4, first 2 shown]
	s_mov_b32 s11, 0
	s_wait_xcnt 0x0
	s_and_saveexec_b32 s10, s0
	s_cbranch_execz .LBB373_28
; %bb.15:
	global_load_u8 v13, v[4:5], off offset:2304
	global_load_u8 v23, v[6:7], off offset:2304
	v_or_b32_e32 v11, 0xa00, v0
	v_dual_mov_b32 v12, 0 :: v_dual_mov_b32 v15, 0
	v_dual_mov_b32 v31, 0 :: v_dual_mov_b32 v32, 0
	s_delay_alu instid0(VALU_DEP_3)
	v_cmp_gt_u32_e64 s0, s22, v11
	v_dual_mov_b32 v11, 0 :: v_dual_mov_b32 v14, 0
	v_dual_mov_b32 v33, 0 :: v_dual_mov_b32 v36, 0
	;; [unrolled: 1-line block ×3, first 2 shown]
	s_mov_b32 s12, 0
	s_wait_xcnt 0x0
	s_and_saveexec_b32 s11, s0
	s_cbranch_execz .LBB373_27
; %bb.16:
	global_load_u8 v14, v[4:5], off offset:2560
	global_load_u8 v11, v[6:7], off offset:2560
	v_or_b32_e32 v12, 0xb00, v0
	v_dual_mov_b32 v31, 0 :: v_dual_mov_b32 v32, 0
	v_dual_mov_b32 v33, 0 :: v_dual_mov_b32 v36, 0
	s_delay_alu instid0(VALU_DEP_3)
	v_cmp_gt_u32_e64 s0, s22, v12
	v_dual_mov_b32 v12, 0 :: v_dual_mov_b32 v15, 0
	v_dual_mov_b32 v34, 0 :: v_dual_mov_b32 v35, 0
	s_mov_b32 s15, 0
	s_wait_xcnt 0x0
	s_and_saveexec_b32 s12, s0
	s_cbranch_execz .LBB373_26
; %bb.17:
	global_load_u8 v15, v[4:5], off offset:2816
	global_load_u8 v12, v[6:7], off offset:2816
	v_or_b32_e32 v31, 0xc00, v0
	v_dual_mov_b32 v33, 0 :: v_dual_mov_b32 v36, 0
	v_dual_mov_b32 v34, 0 :: v_dual_mov_b32 v35, 0
	s_delay_alu instid0(VALU_DEP_3)
	v_cmp_gt_u32_e64 s0, s22, v31
	v_dual_mov_b32 v31, 0 :: v_dual_mov_b32 v32, 0
	s_mov_b32 s18, 0
	s_wait_xcnt 0x0
	s_and_saveexec_b32 s15, s0
	s_cbranch_execz .LBB373_25
; %bb.18:
	global_load_u8 v32, v[4:5], off offset:3072
	global_load_u8 v31, v[6:7], off offset:3072
	v_or_b32_e32 v33, 0xd00, v0
	v_dual_mov_b32 v34, 0 :: v_dual_mov_b32 v35, 0
	s_mov_b32 s19, 0
	v_mov_b32_e32 v36, 0
	s_delay_alu instid0(VALU_DEP_3)
	v_cmp_gt_u32_e64 s0, s22, v33
	v_mov_b32_e32 v33, 0
	s_wait_xcnt 0x0
	s_and_saveexec_b32 s18, s0
	s_cbranch_execz .LBB373_24
; %bb.19:
	global_load_u8 v36, v[4:5], off offset:3328
	global_load_u8 v33, v[6:7], off offset:3328
	v_or_b32_e32 v34, 0xe00, v0
	s_mov_b32 s20, 0
	v_mov_b32_e32 v35, 0
	s_delay_alu instid0(VALU_DEP_2)
	v_cmp_gt_u32_e64 s0, s22, v34
	v_mov_b32_e32 v34, 0
	s_wait_xcnt 0x0
	s_and_saveexec_b32 s19, s0
	s_cbranch_execz .LBB373_23
; %bb.20:
	global_load_u8 v35, v[4:5], off offset:3584
	global_load_u8 v34, v[6:7], off offset:3584
	v_or_b32_e32 v37, 0xf00, v0
	s_mov_b32 s21, 0
	s_mov_b32 s20, exec_lo
	s_wait_xcnt 0x0
	s_delay_alu instid0(VALU_DEP_1)
	v_cmpx_gt_u32_e64 s22, v37
	s_cbranch_execz .LBB373_22
; %bb.21:
	global_load_u8 v37, v[4:5], off offset:3840
	global_load_u8 v38, v[6:7], off offset:3840
	s_wait_loadcnt 0x0
	v_cmp_ne_u16_e64 s0, v37, v38
	s_and_b32 s21, s0, exec_lo
.LBB373_22:
	s_wait_xcnt 0x0
	s_or_b32 exec_lo, exec_lo, s20
	s_delay_alu instid0(SALU_CYCLE_1)
	s_and_b32 s20, s21, exec_lo
.LBB373_23:
	s_or_b32 exec_lo, exec_lo, s19
	s_delay_alu instid0(SALU_CYCLE_1)
	s_and_b32 s19, s20, exec_lo
.LBB373_24:
	s_or_b32 exec_lo, exec_lo, s18
	s_delay_alu instid0(SALU_CYCLE_1)
	s_and_b32 s18, s19, exec_lo
.LBB373_25:
	s_or_b32 exec_lo, exec_lo, s15
	s_delay_alu instid0(SALU_CYCLE_1)
	s_and_b32 s15, s18, exec_lo
.LBB373_26:
	s_or_b32 exec_lo, exec_lo, s12
	s_delay_alu instid0(SALU_CYCLE_1)
	s_and_b32 s12, s15, exec_lo
.LBB373_27:
	s_or_b32 exec_lo, exec_lo, s11
	s_delay_alu instid0(SALU_CYCLE_1)
	s_and_b32 s11, s12, exec_lo
.LBB373_28:
	s_or_b32 exec_lo, exec_lo, s10
	s_delay_alu instid0(SALU_CYCLE_1)
	s_and_b32 s10, s11, exec_lo
.LBB373_29:
	s_or_b32 exec_lo, exec_lo, s9
	s_delay_alu instid0(SALU_CYCLE_1)
	s_and_b32 s9, s10, exec_lo
.LBB373_30:
	s_or_b32 exec_lo, exec_lo, s8
	s_delay_alu instid0(SALU_CYCLE_1)
	s_and_b32 s8, s9, exec_lo
.LBB373_31:
	s_or_b32 exec_lo, exec_lo, s7
	s_delay_alu instid0(SALU_CYCLE_1)
	s_and_b32 s7, s8, exec_lo
.LBB373_32:
	s_or_b32 exec_lo, exec_lo, s6
	s_delay_alu instid0(SALU_CYCLE_1)
	s_and_b32 s6, s7, exec_lo
.LBB373_33:
	s_or_b32 exec_lo, exec_lo, s5
	s_delay_alu instid0(SALU_CYCLE_1)
	s_and_b32 s5, s6, exec_lo
.LBB373_34:
	s_or_b32 exec_lo, exec_lo, s4
	s_wait_loadcnt 0x0
	v_dual_mov_b32 v4, v3 :: v_dual_mov_b32 v3, v2
	s_and_b32 s4, s5, exec_lo
.LBB373_35:
	s_or_b32 exec_lo, exec_lo, s3
	s_delay_alu instid0(SALU_CYCLE_1)
	s_and_b32 s3, s4, exec_lo
.LBB373_36:
	s_or_b32 exec_lo, exec_lo, s2
	s_delay_alu instid0(SALU_CYCLE_1)
	s_and_b32 s5, s3, exec_lo
.LBB373_37:
	s_or_b32 exec_lo, exec_lo, s1
	s_wait_loadcnt 0x0
	v_and_b32_e32 v2, 0xff, v28
	v_and_b32_e32 v5, 0xff, v26
	;; [unrolled: 1-line block ×4, first 2 shown]
	s_cmp_eq_u32 s13, 0
	v_and_b32_e32 v3, 0xff, v3
	v_cmp_ne_u16_e64 s0, v5, v2
	s_cselect_b32 s6, -1, 0
	v_cmp_ne_u16_e64 s1, v7, v6
	v_and_b32_e32 v2, 0xff, v17
	v_and_b32_e32 v6, 0xff, v16
	s_xor_b32 s0, s6, s0
	v_and_b32_e32 v16, 0xff, v25
	v_cndmask_b32_e64 v5, 0, 1, s0
	s_xor_b32 s0, s6, s1
	v_and_b32_e32 v17, 0xff, v27
	v_cndmask_b32_e64 v7, 0, 1, s0
	v_cmp_ne_u16_e64 s0, v6, v2
	v_cndmask_b32_e32 v2, 0, v5, vcc_lo
	v_and_b32_e32 v10, 0xff, v10
	v_cmp_ne_u16_e64 s1, v17, v16
	v_bitop3_b16 v5, v7, 0, 0xff00 bitop3:0xf8
	v_or_b32_e32 v7, 0x400, v0
	s_xor_b32 s0, s6, s0
	v_and_b32_e32 v4, 0xff, v4
	v_cndmask_b32_e64 v6, 0, 1, s0
	s_xor_b32 s0, s6, s1
	v_and_b32_e32 v5, 0xffff, v5
	v_cndmask_b32_e64 v16, 0, 1, s0
	v_cmp_gt_i32_e64 s0, s22, v7
	v_lshlrev_b16 v6, 8, v6
	v_cmp_gt_i32_e64 s1, s22, v1
	v_and_b32_e32 v17, 0xff, v33
	v_lshlrev_b16 v7, 8, v16
	v_cndmask_b32_e64 v5, 0, v5, s0
	v_cmp_ne_u16_e64 s0, v10, v3
	v_or_b32_e32 v3, 0x500, v0
	v_and_b32_e32 v10, 0xff, v22
	v_and_b32_e32 v16, 0xff, v24
	v_bitop3_b16 v7, v5, v7, 0xff bitop3:0xec
	s_xor_b32 s0, s6, s0
	v_and_b32_e32 v13, 0xff, v13
	v_and_b32_e32 v11, 0xff, v11
	;; [unrolled: 1-line block ×4, first 2 shown]
	v_or_b32_e32 v6, v2, v6
	s_delay_alu instid0(VALU_DEP_1) | instskip(NEXT) | instid1(VALU_DEP_1)
	v_and_b32_e32 v6, 0xffff, v6
	v_cndmask_b32_e64 v2, v2, v6, s1
	v_cmp_gt_i32_e64 s1, s22, v3
	v_and_b32_e32 v6, 0xff, v9
	s_delay_alu instid0(VALU_DEP_2)
	v_cndmask_b32_e64 v3, v5, v7, s1
	v_cmp_ne_u16_e64 s1, v16, v10
	v_cndmask_b32_e64 v5, 0, 1, s0
	v_or_b32_e32 v10, 0x200, v0
	v_and_b32_e32 v16, 0xff, v32
	v_lshrrev_b32_e32 v7, 16, v3
	s_xor_b32 s0, s6, s1
	v_lshl_or_b32 v5, v5, 16, v2
	v_cndmask_b32_e64 v9, 0, 1, s0
	v_cmp_ne_u16_e64 s0, v6, v4
	v_cmp_gt_i32_e64 s1, s22, v10
	v_and_b32_e32 v10, 0xff, v31
	s_delay_alu instid0(VALU_DEP_4)
	v_bitop3_b16 v4, v9, v7, 0xff00 bitop3:0xf8
	s_xor_b32 s0, s6, s0
	v_cndmask_b32_e64 v2, v2, v5, s1
	v_cndmask_b32_e64 v5, 0, 1, s0
	v_or_b32_e32 v7, 0x600, v0
	v_lshlrev_b32_e32 v4, 16, v4
	v_cmp_ne_u16_e64 s1, v16, v10
	v_and_b32_e32 v9, 0xff, v23
	v_lshlrev_b16 v5, 8, v5
	v_cmp_gt_i32_e64 s0, s22, v7
	v_and_or_b32 v4, 0xffff, v3, v4
	v_lshrrev_b32_e32 v6, 16, v2
	s_xor_b32 s1, s6, s1
	v_cmp_ne_u16_e64 s4, v13, v9
	v_or_b32_e32 v16, 0xd00, v0
	v_cndmask_b32_e64 v3, v3, v4, s0
	v_bitop3_b16 v5, v6, v5, 0xff bitop3:0xec
	v_and_b32_e32 v4, 0xff, v18
	v_and_b32_e32 v6, 0xff, v19
	;; [unrolled: 1-line block ×3, first 2 shown]
	v_or_b32_e32 v19, 0x800, v0
	v_or_b32_e32 v13, 0x900, v0
	v_dual_lshlrev_b32 v5, 16, v5 :: v_dual_lshrrev_b32 v7, 16, v3
	v_cmp_ne_u16_e64 s0, v6, v4
	v_and_b32_e32 v4, 0xff, v20
	v_and_b32_e32 v6, 0xff, v21
	v_cmp_ne_u16_e64 s3, v18, v17
	v_and_b32_e32 v17, 0xff, v34
	v_and_b32_e32 v18, 0xff, v35
	s_xor_b32 s0, s6, s0
	v_cmp_ne_u16_e64 s2, v6, v4
	v_or_b32_e32 v4, 0xc00, v0
	v_cndmask_b32_e64 v6, 0, 1, s1
	s_xor_b32 s1, s6, s3
	v_and_or_b32 v5, 0xffff, v2, v5
	v_cndmask_b32_e64 v9, 0, 1, s1
	s_xor_b32 s1, s6, s2
	v_cmp_gt_i32_e64 s2, s22, v16
	v_cndmask_b32_e64 v10, 0, 1, s1
	v_cmp_gt_i32_e64 s1, s22, v4
	v_cndmask_b32_e64 v16, 0, 1, s0
	v_cmp_gt_i32_e64 s0, s22, v13
	s_delay_alu instid0(VALU_DEP_3)
	v_cndmask_b32_e64 v4, 0, v6, s1
	s_xor_b32 s1, s6, s4
	v_lshlrev_b16 v6, 8, v9
	v_cndmask_b32_e64 v9, 0, 1, s1
	v_cmp_gt_i32_e64 s1, s22, v19
	v_lshlrev_b16 v13, 8, v16
	s_delay_alu instid0(VALU_DEP_3) | instskip(NEXT) | instid1(VALU_DEP_3)
	v_lshlrev_b16 v9, 8, v9
	v_cndmask_b32_e64 v10, 0, v10, s1
	v_cmp_ne_u16_e64 s1, v14, v11
	s_delay_alu instid0(VALU_DEP_4) | instskip(SKIP_1) | instid1(VALU_DEP_4)
	v_bitop3_b16 v7, v7, v13, 0xff bitop3:0xec
	v_or_b32_e32 v13, 0x300, v0
	v_or_b32_e32 v9, v10, v9
	v_bitop3_b16 v6, v4, v6, 0xff bitop3:0xec
	s_xor_b32 s1, s6, s1
	v_lshlrev_b32_e32 v7, 16, v7
	s_delay_alu instid0(VALU_DEP_2) | instskip(NEXT) | instid1(VALU_DEP_2)
	v_and_b32_e32 v6, 0xffff, v6
	v_and_or_b32 v7, 0xffff, v3, v7
	s_delay_alu instid0(VALU_DEP_2) | instskip(SKIP_3) | instid1(VALU_DEP_4)
	v_cndmask_b32_e64 v4, v4, v6, s2
	v_cmp_ne_u16_e64 s2, v18, v17
	v_and_b32_e32 v6, 0xffff, v9
	v_cndmask_b32_e64 v9, 0, 1, s1
	v_lshrrev_b32_e32 v11, 16, v4
	s_xor_b32 s1, s6, s2
	s_delay_alu instid0(VALU_DEP_3) | instskip(SKIP_1) | instid1(VALU_DEP_1)
	v_cndmask_b32_e64 v6, v10, v6, s0
	v_cndmask_b32_e64 v14, 0, 1, s1
	v_bitop3_b16 v10, v14, v11, 0xff00 bitop3:0xf8
	v_and_b32_e32 v11, 0xff, v12
	v_and_b32_e32 v12, 0xff, v15
	v_lshlrev_b32_e32 v9, 16, v9
	v_or_b32_e32 v14, 0xa00, v0
	v_lshlrev_b32_e32 v10, 16, v10
	s_delay_alu instid0(VALU_DEP_4) | instskip(NEXT) | instid1(VALU_DEP_4)
	v_cmp_ne_u16_e64 s0, v12, v11
	v_and_or_b32 v9, 0x1ff, v6, v9
	v_or_b32_e32 v11, 0xe00, v0
	v_cmp_gt_i32_e64 s1, s22, v14
	v_and_or_b32 v10, 0xffff, v4, v10
	s_xor_b32 s0, s6, s0
	v_cndmask_b32_e64 v6, v6, v9, s1
	v_cndmask_b32_e64 v9, 0, 1, s0
	v_cmp_gt_i32_e64 s0, s22, v11
	s_delay_alu instid0(VALU_DEP_2) | instskip(NEXT) | instid1(VALU_DEP_2)
	v_lshlrev_b16 v9, 8, v9
	v_cndmask_b32_e64 v10, v4, v10, s0
	s_xor_b32 s0, s6, s5
	v_lshrrev_b32_e32 v11, 16, v6
	v_cndmask_b32_e64 v4, 0, 1, s0
	v_cmp_gt_i32_e64 s0, s22, v13
	v_lshrrev_b32_e32 v12, 16, v10
	s_delay_alu instid0(VALU_DEP_4) | instskip(NEXT) | instid1(VALU_DEP_4)
	v_bitop3_b16 v9, v11, v9, 0xff bitop3:0xec
	v_lshlrev_b16 v4, 8, v4
	s_delay_alu instid0(VALU_DEP_4) | instskip(SKIP_1) | instid1(VALU_DEP_3)
	v_cndmask_b32_e64 v5, v2, v5, s0
	v_or_b32_e32 v11, 0xb00, v0
	v_bitop3_b16 v4, v12, v4, 0xff bitop3:0xec
	v_lshlrev_b32_e32 v2, 16, v9
	v_or_b32_e32 v9, 0x700, v0
	v_or_b32_e32 v12, 0xf00, v0
	s_delay_alu instid0(VALU_DEP_4) | instskip(NEXT) | instid1(VALU_DEP_4)
	v_lshlrev_b32_e32 v4, 16, v4
	v_and_or_b32 v2, 0xffff, v6, v2
	s_delay_alu instid0(VALU_DEP_4) | instskip(NEXT) | instid1(VALU_DEP_3)
	v_cmp_gt_i32_e64 s0, s22, v9
	v_and_or_b32 v13, 0xffff, v10, v4
	s_delay_alu instid0(VALU_DEP_2) | instskip(SKIP_1) | instid1(VALU_DEP_1)
	v_cndmask_b32_e64 v4, v3, v7, s0
	v_cmp_gt_i32_e64 s0, s22, v11
	v_cndmask_b32_e64 v3, v6, v2, s0
	v_cmp_gt_i32_e64 s0, s22, v12
	s_delay_alu instid0(VALU_DEP_1)
	v_cndmask_b32_e64 v2, v10, v13, s0
	s_and_saveexec_b32 s0, vcc_lo
	s_cbranch_execnz .LBB373_55
; %bb.38:
	s_or_b32 exec_lo, exec_lo, s0
	s_delay_alu instid0(SALU_CYCLE_1)
	s_mov_b32 s0, exec_lo
	v_cmpx_gt_i32_e64 s22, v0
	s_cbranch_execnz .LBB373_56
.LBB373_39:
	s_or_b32 exec_lo, exec_lo, s0
	s_delay_alu instid0(SALU_CYCLE_1)
	s_mov_b32 s0, exec_lo
	v_cmpx_gt_i32_e64 s22, v0
	s_cbranch_execnz .LBB373_57
.LBB373_40:
	s_or_b32 exec_lo, exec_lo, s0
	s_delay_alu instid0(SALU_CYCLE_1)
	s_mov_b32 s0, exec_lo
	v_cmpx_gt_i32_e64 s22, v0
	s_cbranch_execnz .LBB373_58
.LBB373_41:
	s_or_b32 exec_lo, exec_lo, s0
	s_delay_alu instid0(SALU_CYCLE_1)
	s_mov_b32 s0, exec_lo
	v_cmpx_gt_i32_e64 s22, v0
	s_cbranch_execnz .LBB373_59
.LBB373_42:
	s_or_b32 exec_lo, exec_lo, s0
	s_delay_alu instid0(SALU_CYCLE_1)
	s_mov_b32 s0, exec_lo
	v_cmpx_gt_i32_e64 s22, v0
	s_cbranch_execnz .LBB373_60
.LBB373_43:
	s_or_b32 exec_lo, exec_lo, s0
	s_delay_alu instid0(SALU_CYCLE_1)
	s_mov_b32 s0, exec_lo
	v_cmpx_gt_i32_e64 s22, v0
	s_cbranch_execnz .LBB373_61
.LBB373_44:
	s_or_b32 exec_lo, exec_lo, s0
	s_delay_alu instid0(SALU_CYCLE_1)
	s_mov_b32 s0, exec_lo
	v_cmpx_gt_i32_e64 s22, v0
	s_cbranch_execnz .LBB373_62
.LBB373_45:
	s_or_b32 exec_lo, exec_lo, s0
	s_delay_alu instid0(SALU_CYCLE_1)
	s_mov_b32 s0, exec_lo
	v_cmpx_gt_i32_e64 s22, v0
	s_cbranch_execnz .LBB373_63
.LBB373_46:
	s_or_b32 exec_lo, exec_lo, s0
	s_delay_alu instid0(SALU_CYCLE_1)
	s_mov_b32 s0, exec_lo
	v_cmpx_gt_i32_e64 s22, v0
	s_cbranch_execnz .LBB373_64
.LBB373_47:
	s_or_b32 exec_lo, exec_lo, s0
	s_delay_alu instid0(SALU_CYCLE_1)
	s_mov_b32 s0, exec_lo
	v_cmpx_gt_i32_e64 s22, v0
	s_cbranch_execnz .LBB373_65
.LBB373_48:
	s_or_b32 exec_lo, exec_lo, s0
	s_delay_alu instid0(SALU_CYCLE_1)
	s_mov_b32 s0, exec_lo
	v_cmpx_gt_i32_e64 s22, v0
	s_cbranch_execnz .LBB373_66
.LBB373_49:
	s_or_b32 exec_lo, exec_lo, s0
	s_delay_alu instid0(SALU_CYCLE_1)
	s_mov_b32 s0, exec_lo
	v_cmpx_gt_i32_e64 s22, v0
	s_cbranch_execnz .LBB373_67
.LBB373_50:
	s_or_b32 exec_lo, exec_lo, s0
	s_delay_alu instid0(SALU_CYCLE_1)
	s_mov_b32 s0, exec_lo
	v_cmpx_gt_i32_e64 s22, v0
	s_cbranch_execnz .LBB373_68
.LBB373_51:
	s_or_b32 exec_lo, exec_lo, s0
	s_delay_alu instid0(SALU_CYCLE_1)
	s_mov_b32 s0, exec_lo
	v_cmpx_gt_i32_e64 s22, v0
	s_cbranch_execnz .LBB373_69
.LBB373_52:
	s_or_b32 exec_lo, exec_lo, s0
	s_delay_alu instid0(SALU_CYCLE_1)
	s_mov_b32 s0, exec_lo
	v_cmpx_gt_i32_e64 s22, v0
	s_cbranch_execz .LBB373_54
.LBB373_53:
	v_dual_lshrrev_b32 v1, 24, v2 :: v_dual_add_nc_u32 v0, s14, v0
	global_store_b8 v0, v1, s[16:17]
.LBB373_54:
	s_endpgm
.LBB373_55:
	v_mov_b32_e32 v0, v1
	global_store_b8 v8, v5, s[16:17]
	s_wait_xcnt 0x0
	s_or_b32 exec_lo, exec_lo, s0
	s_delay_alu instid0(SALU_CYCLE_1)
	s_mov_b32 s0, exec_lo
	v_cmpx_gt_i32_e64 s22, v0
	s_cbranch_execz .LBB373_39
.LBB373_56:
	v_dual_lshrrev_b32 v1, 8, v5 :: v_dual_add_nc_u32 v6, s14, v0
	v_add_nc_u32_e32 v0, 0x100, v0
	global_store_b8 v6, v1, s[16:17]
	s_wait_xcnt 0x0
	s_or_b32 exec_lo, exec_lo, s0
	s_delay_alu instid0(SALU_CYCLE_1)
	s_mov_b32 s0, exec_lo
	v_cmpx_gt_i32_e64 s22, v0
	s_cbranch_execz .LBB373_40
.LBB373_57:
	v_add_nc_u32_e32 v1, s14, v0
	v_add_nc_u32_e32 v0, 0x100, v0
	global_store_d16_hi_b8 v1, v5, s[16:17]
	s_wait_xcnt 0x0
	s_or_b32 exec_lo, exec_lo, s0
	s_delay_alu instid0(SALU_CYCLE_1)
	s_mov_b32 s0, exec_lo
	v_cmpx_gt_i32_e64 s22, v0
	s_cbranch_execz .LBB373_41
.LBB373_58:
	v_dual_lshrrev_b32 v1, 24, v5 :: v_dual_add_nc_u32 v5, s14, v0
	v_add_nc_u32_e32 v0, 0x100, v0
	global_store_b8 v5, v1, s[16:17]
	s_wait_xcnt 0x0
	s_or_b32 exec_lo, exec_lo, s0
	s_delay_alu instid0(SALU_CYCLE_1)
	s_mov_b32 s0, exec_lo
	v_cmpx_gt_i32_e64 s22, v0
	s_cbranch_execz .LBB373_42
.LBB373_59:
	v_add_nc_u32_e32 v1, s14, v0
	v_add_nc_u32_e32 v0, 0x100, v0
	global_store_b8 v1, v4, s[16:17]
	s_wait_xcnt 0x0
	s_or_b32 exec_lo, exec_lo, s0
	s_delay_alu instid0(SALU_CYCLE_1)
	s_mov_b32 s0, exec_lo
	v_cmpx_gt_i32_e64 s22, v0
	s_cbranch_execz .LBB373_43
.LBB373_60:
	v_lshrrev_b32_e32 v1, 8, v4
	v_add_nc_u32_e32 v5, s14, v0
	v_add_nc_u32_e32 v0, 0x100, v0
	global_store_b8 v5, v1, s[16:17]
	s_wait_xcnt 0x0
	s_or_b32 exec_lo, exec_lo, s0
	s_delay_alu instid0(SALU_CYCLE_1)
	s_mov_b32 s0, exec_lo
	v_cmpx_gt_i32_e64 s22, v0
	s_cbranch_execz .LBB373_44
.LBB373_61:
	v_add_nc_u32_e32 v1, s14, v0
	v_add_nc_u32_e32 v0, 0x100, v0
	global_store_d16_hi_b8 v1, v4, s[16:17]
	s_wait_xcnt 0x0
	s_or_b32 exec_lo, exec_lo, s0
	s_delay_alu instid0(SALU_CYCLE_1)
	s_mov_b32 s0, exec_lo
	v_cmpx_gt_i32_e64 s22, v0
	s_cbranch_execz .LBB373_45
.LBB373_62:
	v_lshrrev_b32_e32 v1, 24, v4
	v_add_nc_u32_e32 v4, s14, v0
	v_add_nc_u32_e32 v0, 0x100, v0
	global_store_b8 v4, v1, s[16:17]
	s_wait_xcnt 0x0
	s_or_b32 exec_lo, exec_lo, s0
	s_delay_alu instid0(SALU_CYCLE_1)
	s_mov_b32 s0, exec_lo
	v_cmpx_gt_i32_e64 s22, v0
	s_cbranch_execz .LBB373_46
.LBB373_63:
	v_add_nc_u32_e32 v1, s14, v0
	v_add_nc_u32_e32 v0, 0x100, v0
	global_store_b8 v1, v3, s[16:17]
	s_wait_xcnt 0x0
	s_or_b32 exec_lo, exec_lo, s0
	s_delay_alu instid0(SALU_CYCLE_1)
	s_mov_b32 s0, exec_lo
	v_cmpx_gt_i32_e64 s22, v0
	s_cbranch_execz .LBB373_47
.LBB373_64:
	v_dual_lshrrev_b32 v1, 8, v3 :: v_dual_add_nc_u32 v4, s14, v0
	v_add_nc_u32_e32 v0, 0x100, v0
	global_store_b8 v4, v1, s[16:17]
	s_wait_xcnt 0x0
	s_or_b32 exec_lo, exec_lo, s0
	s_delay_alu instid0(SALU_CYCLE_1)
	s_mov_b32 s0, exec_lo
	v_cmpx_gt_i32_e64 s22, v0
	s_cbranch_execz .LBB373_48
.LBB373_65:
	v_add_nc_u32_e32 v1, s14, v0
	v_add_nc_u32_e32 v0, 0x100, v0
	global_store_d16_hi_b8 v1, v3, s[16:17]
	s_wait_xcnt 0x0
	s_or_b32 exec_lo, exec_lo, s0
	s_delay_alu instid0(SALU_CYCLE_1)
	s_mov_b32 s0, exec_lo
	v_cmpx_gt_i32_e64 s22, v0
	s_cbranch_execz .LBB373_49
.LBB373_66:
	v_dual_lshrrev_b32 v1, 24, v3 :: v_dual_add_nc_u32 v3, s14, v0
	v_add_nc_u32_e32 v0, 0x100, v0
	global_store_b8 v3, v1, s[16:17]
	s_wait_xcnt 0x0
	s_or_b32 exec_lo, exec_lo, s0
	s_delay_alu instid0(SALU_CYCLE_1)
	s_mov_b32 s0, exec_lo
	v_cmpx_gt_i32_e64 s22, v0
	s_cbranch_execz .LBB373_50
.LBB373_67:
	v_add_nc_u32_e32 v1, s14, v0
	v_add_nc_u32_e32 v0, 0x100, v0
	global_store_b8 v1, v2, s[16:17]
	s_wait_xcnt 0x0
	s_or_b32 exec_lo, exec_lo, s0
	s_delay_alu instid0(SALU_CYCLE_1)
	s_mov_b32 s0, exec_lo
	v_cmpx_gt_i32_e64 s22, v0
	s_cbranch_execz .LBB373_51
.LBB373_68:
	v_dual_lshrrev_b32 v1, 8, v2 :: v_dual_add_nc_u32 v3, s14, v0
	v_add_nc_u32_e32 v0, 0x100, v0
	global_store_b8 v3, v1, s[16:17]
	s_wait_xcnt 0x0
	s_or_b32 exec_lo, exec_lo, s0
	s_delay_alu instid0(SALU_CYCLE_1)
	s_mov_b32 s0, exec_lo
	v_cmpx_gt_i32_e64 s22, v0
	s_cbranch_execz .LBB373_52
.LBB373_69:
	v_add_nc_u32_e32 v1, s14, v0
	v_add_nc_u32_e32 v0, 0x100, v0
	global_store_d16_hi_b8 v1, v2, s[16:17]
	s_wait_xcnt 0x0
	s_or_b32 exec_lo, exec_lo, s0
	s_delay_alu instid0(SALU_CYCLE_1)
	s_mov_b32 s0, exec_lo
	v_cmpx_gt_i32_e64 s22, v0
	s_cbranch_execnz .LBB373_53
	s_branch .LBB373_54
	.section	.rodata,"a",@progbits
	.p2align	6, 0x0
	.amdhsa_kernel _ZN2at6native29vectorized_elementwise_kernelILi16ENS0_13BinaryFunctorIN3c1016Float4_e2m1fn_x2ES4_bNS0_12_GLOBAL__N_116CompareEqFunctorIS4_EEEESt5arrayIPcLm3EEEEviT0_T1_
		.amdhsa_group_segment_fixed_size 0
		.amdhsa_private_segment_fixed_size 0
		.amdhsa_kernarg_size 32
		.amdhsa_user_sgpr_count 2
		.amdhsa_user_sgpr_dispatch_ptr 0
		.amdhsa_user_sgpr_queue_ptr 0
		.amdhsa_user_sgpr_kernarg_segment_ptr 1
		.amdhsa_user_sgpr_dispatch_id 0
		.amdhsa_user_sgpr_kernarg_preload_length 0
		.amdhsa_user_sgpr_kernarg_preload_offset 0
		.amdhsa_user_sgpr_private_segment_size 0
		.amdhsa_wavefront_size32 1
		.amdhsa_uses_dynamic_stack 0
		.amdhsa_enable_private_segment 0
		.amdhsa_system_sgpr_workgroup_id_x 1
		.amdhsa_system_sgpr_workgroup_id_y 0
		.amdhsa_system_sgpr_workgroup_id_z 0
		.amdhsa_system_sgpr_workgroup_info 0
		.amdhsa_system_vgpr_workitem_id 0
		.amdhsa_next_free_vgpr 39
		.amdhsa_next_free_sgpr 25
		.amdhsa_named_barrier_count 0
		.amdhsa_reserve_vcc 1
		.amdhsa_float_round_mode_32 0
		.amdhsa_float_round_mode_16_64 0
		.amdhsa_float_denorm_mode_32 3
		.amdhsa_float_denorm_mode_16_64 3
		.amdhsa_fp16_overflow 0
		.amdhsa_memory_ordered 1
		.amdhsa_forward_progress 1
		.amdhsa_inst_pref_size 46
		.amdhsa_round_robin_scheduling 0
		.amdhsa_exception_fp_ieee_invalid_op 0
		.amdhsa_exception_fp_denorm_src 0
		.amdhsa_exception_fp_ieee_div_zero 0
		.amdhsa_exception_fp_ieee_overflow 0
		.amdhsa_exception_fp_ieee_underflow 0
		.amdhsa_exception_fp_ieee_inexact 0
		.amdhsa_exception_int_div_zero 0
	.end_amdhsa_kernel
	.section	.text._ZN2at6native29vectorized_elementwise_kernelILi16ENS0_13BinaryFunctorIN3c1016Float4_e2m1fn_x2ES4_bNS0_12_GLOBAL__N_116CompareEqFunctorIS4_EEEESt5arrayIPcLm3EEEEviT0_T1_,"axG",@progbits,_ZN2at6native29vectorized_elementwise_kernelILi16ENS0_13BinaryFunctorIN3c1016Float4_e2m1fn_x2ES4_bNS0_12_GLOBAL__N_116CompareEqFunctorIS4_EEEESt5arrayIPcLm3EEEEviT0_T1_,comdat
.Lfunc_end373:
	.size	_ZN2at6native29vectorized_elementwise_kernelILi16ENS0_13BinaryFunctorIN3c1016Float4_e2m1fn_x2ES4_bNS0_12_GLOBAL__N_116CompareEqFunctorIS4_EEEESt5arrayIPcLm3EEEEviT0_T1_, .Lfunc_end373-_ZN2at6native29vectorized_elementwise_kernelILi16ENS0_13BinaryFunctorIN3c1016Float4_e2m1fn_x2ES4_bNS0_12_GLOBAL__N_116CompareEqFunctorIS4_EEEESt5arrayIPcLm3EEEEviT0_T1_
                                        ; -- End function
	.set _ZN2at6native29vectorized_elementwise_kernelILi16ENS0_13BinaryFunctorIN3c1016Float4_e2m1fn_x2ES4_bNS0_12_GLOBAL__N_116CompareEqFunctorIS4_EEEESt5arrayIPcLm3EEEEviT0_T1_.num_vgpr, 39
	.set _ZN2at6native29vectorized_elementwise_kernelILi16ENS0_13BinaryFunctorIN3c1016Float4_e2m1fn_x2ES4_bNS0_12_GLOBAL__N_116CompareEqFunctorIS4_EEEESt5arrayIPcLm3EEEEviT0_T1_.num_agpr, 0
	.set _ZN2at6native29vectorized_elementwise_kernelILi16ENS0_13BinaryFunctorIN3c1016Float4_e2m1fn_x2ES4_bNS0_12_GLOBAL__N_116CompareEqFunctorIS4_EEEESt5arrayIPcLm3EEEEviT0_T1_.numbered_sgpr, 25
	.set _ZN2at6native29vectorized_elementwise_kernelILi16ENS0_13BinaryFunctorIN3c1016Float4_e2m1fn_x2ES4_bNS0_12_GLOBAL__N_116CompareEqFunctorIS4_EEEESt5arrayIPcLm3EEEEviT0_T1_.num_named_barrier, 0
	.set _ZN2at6native29vectorized_elementwise_kernelILi16ENS0_13BinaryFunctorIN3c1016Float4_e2m1fn_x2ES4_bNS0_12_GLOBAL__N_116CompareEqFunctorIS4_EEEESt5arrayIPcLm3EEEEviT0_T1_.private_seg_size, 0
	.set _ZN2at6native29vectorized_elementwise_kernelILi16ENS0_13BinaryFunctorIN3c1016Float4_e2m1fn_x2ES4_bNS0_12_GLOBAL__N_116CompareEqFunctorIS4_EEEESt5arrayIPcLm3EEEEviT0_T1_.uses_vcc, 1
	.set _ZN2at6native29vectorized_elementwise_kernelILi16ENS0_13BinaryFunctorIN3c1016Float4_e2m1fn_x2ES4_bNS0_12_GLOBAL__N_116CompareEqFunctorIS4_EEEESt5arrayIPcLm3EEEEviT0_T1_.uses_flat_scratch, 0
	.set _ZN2at6native29vectorized_elementwise_kernelILi16ENS0_13BinaryFunctorIN3c1016Float4_e2m1fn_x2ES4_bNS0_12_GLOBAL__N_116CompareEqFunctorIS4_EEEESt5arrayIPcLm3EEEEviT0_T1_.has_dyn_sized_stack, 0
	.set _ZN2at6native29vectorized_elementwise_kernelILi16ENS0_13BinaryFunctorIN3c1016Float4_e2m1fn_x2ES4_bNS0_12_GLOBAL__N_116CompareEqFunctorIS4_EEEESt5arrayIPcLm3EEEEviT0_T1_.has_recursion, 0
	.set _ZN2at6native29vectorized_elementwise_kernelILi16ENS0_13BinaryFunctorIN3c1016Float4_e2m1fn_x2ES4_bNS0_12_GLOBAL__N_116CompareEqFunctorIS4_EEEESt5arrayIPcLm3EEEEviT0_T1_.has_indirect_call, 0
	.section	.AMDGPU.csdata,"",@progbits
; Kernel info:
; codeLenInByte = 5796
; TotalNumSgprs: 27
; NumVgprs: 39
; ScratchSize: 0
; MemoryBound: 0
; FloatMode: 240
; IeeeMode: 1
; LDSByteSize: 0 bytes/workgroup (compile time only)
; SGPRBlocks: 0
; VGPRBlocks: 2
; NumSGPRsForWavesPerEU: 27
; NumVGPRsForWavesPerEU: 39
; NamedBarCnt: 0
; Occupancy: 16
; WaveLimiterHint : 0
; COMPUTE_PGM_RSRC2:SCRATCH_EN: 0
; COMPUTE_PGM_RSRC2:USER_SGPR: 2
; COMPUTE_PGM_RSRC2:TRAP_HANDLER: 0
; COMPUTE_PGM_RSRC2:TGID_X_EN: 1
; COMPUTE_PGM_RSRC2:TGID_Y_EN: 0
; COMPUTE_PGM_RSRC2:TGID_Z_EN: 0
; COMPUTE_PGM_RSRC2:TIDIG_COMP_CNT: 0
	.section	.text._ZN2at6native29vectorized_elementwise_kernelILi8ENS0_13BinaryFunctorIN3c1016Float4_e2m1fn_x2ES4_bNS0_12_GLOBAL__N_116CompareEqFunctorIS4_EEEESt5arrayIPcLm3EEEEviT0_T1_,"axG",@progbits,_ZN2at6native29vectorized_elementwise_kernelILi8ENS0_13BinaryFunctorIN3c1016Float4_e2m1fn_x2ES4_bNS0_12_GLOBAL__N_116CompareEqFunctorIS4_EEEESt5arrayIPcLm3EEEEviT0_T1_,comdat
	.globl	_ZN2at6native29vectorized_elementwise_kernelILi8ENS0_13BinaryFunctorIN3c1016Float4_e2m1fn_x2ES4_bNS0_12_GLOBAL__N_116CompareEqFunctorIS4_EEEESt5arrayIPcLm3EEEEviT0_T1_ ; -- Begin function _ZN2at6native29vectorized_elementwise_kernelILi8ENS0_13BinaryFunctorIN3c1016Float4_e2m1fn_x2ES4_bNS0_12_GLOBAL__N_116CompareEqFunctorIS4_EEEESt5arrayIPcLm3EEEEviT0_T1_
	.p2align	8
	.type	_ZN2at6native29vectorized_elementwise_kernelILi8ENS0_13BinaryFunctorIN3c1016Float4_e2m1fn_x2ES4_bNS0_12_GLOBAL__N_116CompareEqFunctorIS4_EEEESt5arrayIPcLm3EEEEviT0_T1_,@function
_ZN2at6native29vectorized_elementwise_kernelILi8ENS0_13BinaryFunctorIN3c1016Float4_e2m1fn_x2ES4_bNS0_12_GLOBAL__N_116CompareEqFunctorIS4_EEEESt5arrayIPcLm3EEEEviT0_T1_: ; @_ZN2at6native29vectorized_elementwise_kernelILi8ENS0_13BinaryFunctorIN3c1016Float4_e2m1fn_x2ES4_bNS0_12_GLOBAL__N_116CompareEqFunctorIS4_EEEESt5arrayIPcLm3EEEEviT0_T1_
; %bb.0:
	s_clause 0x2
	s_load_b64 s[14:15], s[0:1], 0x0
	s_load_b128 s[8:11], s[0:1], 0x8
	s_load_b64 s[16:17], s[0:1], 0x18
	s_wait_xcnt 0x0
	s_bfe_u32 s0, ttmp6, 0x4000c
	s_and_b32 s1, ttmp6, 15
	s_add_co_i32 s0, s0, 1
	s_getreg_b32 s2, hwreg(HW_REG_IB_STS2, 6, 4)
	s_mul_i32 s0, ttmp9, s0
	s_delay_alu instid0(SALU_CYCLE_1) | instskip(SKIP_2) | instid1(SALU_CYCLE_1)
	s_add_co_i32 s1, s1, s0
	s_cmp_eq_u32 s2, 0
	s_cselect_b32 s0, ttmp9, s1
	s_lshl_b32 s12, s0, 12
	s_mov_b32 s0, -1
	s_wait_kmcnt 0x0
	s_sub_co_i32 s14, s14, s12
	s_delay_alu instid0(SALU_CYCLE_1)
	s_cmp_gt_i32 s14, 0xfff
	s_cbranch_scc0 .LBB374_2
; %bb.1:
	s_ashr_i32 s13, s12, 31
	s_cmp_eq_u32 s15, 0
	s_add_nc_u64 s[0:1], s[10:11], s[12:13]
	s_cselect_b32 s18, -1, 0
	s_clause 0x1
	global_load_b64 v[2:3], v0, s[0:1] scale_offset
	global_load_b64 v[4:5], v0, s[0:1] offset:2048 scale_offset
	s_wait_xcnt 0x0
	s_add_nc_u64 s[0:1], s[16:17], s[12:13]
	s_clause 0x1
	global_load_b64 v[6:7], v0, s[0:1] scale_offset
	global_load_b64 v[8:9], v0, s[0:1] offset:2048 scale_offset
	s_wait_loadcnt 0x3
	v_and_b32_e32 v1, 0xff, v2
	v_dual_lshrrev_b32 v10, 8, v2 :: v_dual_lshrrev_b32 v11, 16, v2
	s_wait_loadcnt 0x1
	v_xor_b32_e32 v2, v6, v2
	v_and_b32_e32 v12, 0xff, v3
	v_and_b32_e32 v24, 0xff, v7
	v_dual_lshrrev_b32 v13, 8, v3 :: v_dual_lshrrev_b32 v14, 16, v3
	v_dual_lshrrev_b32 v19, 8, v5 :: v_dual_lshrrev_b32 v20, 16, v5
	;; [unrolled: 1-line block ×3, first 2 shown]
	s_wait_xcnt 0x0
	v_cmp_lt_u32_e64 s0, 0xffffff, v2
	v_xor_b32_e32 v3, v7, v3
	v_cmp_ne_u16_e64 s1, v12, v24
	v_and_b32_e32 v15, 0xff, v4
	v_dual_lshrrev_b32 v16, 8, v4 :: v_dual_lshrrev_b32 v17, 16, v4
	s_wait_loadcnt 0x0
	v_and_b32_e32 v27, 0xff, v8
	v_dual_lshrrev_b32 v28, 8, v8 :: v_dual_lshrrev_b32 v29, 16, v8
	v_xor_b32_e32 v4, v8, v4
	v_and_b32_e32 v8, 0xff, v13
	v_and_b32_e32 v13, 0xff, v19
	;; [unrolled: 1-line block ×3, first 2 shown]
	s_xor_b32 s0, s18, s0
	v_and_b32_e32 v18, 0xff, v5
	v_dual_lshrrev_b32 v22, 8, v6 :: v_dual_lshrrev_b32 v23, 16, v6
	v_and_b32_e32 v30, 0xff, v9
	v_dual_lshrrev_b32 v31, 8, v9 :: v_dual_lshrrev_b32 v32, 16, v9
	v_xor_b32_e32 v5, v9, v5
	v_and_b32_e32 v9, 0xff, v14
	v_and_b32_e32 v14, 0xff, v20
	;; [unrolled: 1-line block ×3, first 2 shown]
	v_cmp_lt_u32_e64 s2, 0xffffff, v3
	v_cndmask_b32_e64 v2, 0, 1, s0
	s_xor_b32 s0, s18, s1
	v_and_b32_e32 v7, 0xff, v11
	v_cndmask_b32_e64 v3, 0, 1, s0
	v_cmp_ne_u16_e64 s0, v8, v19
	v_and_b32_e32 v11, 0xff, v17
	v_and_b32_e32 v17, 0xff, v23
	;; [unrolled: 1-line block ×3, first 2 shown]
	v_cmp_ne_u16_e64 s3, v15, v27
	v_cmp_ne_u16_e64 s1, v9, v20
	s_xor_b32 s2, s18, s2
	v_cmp_lt_u32_e64 s4, 0xffffff, v4
	v_cndmask_b32_e64 v4, 0, 1, s2
	s_xor_b32 s0, s18, s0
	s_xor_b32 s2, s18, s3
	v_cmp_ne_u16_e64 s3, v11, v23
	v_cndmask_b32_e64 v11, 0, 1, s0
	s_xor_b32 s0, s18, s1
	v_lshlrev_b16 v4, 8, v4
	v_cndmask_b32_e64 v12, 0, 1, s0
	v_and_b32_e32 v21, 0xff, v6
	v_and_b32_e32 v6, 0xff, v10
	;; [unrolled: 1-line block ×5, first 2 shown]
	v_or_b32_e32 v4, v12, v4
	v_cmp_ne_u16_e32 vcc_lo, v1, v21
	v_cmp_ne_u16_e64 s5, v18, v30
	v_and_b32_e32 v25, 0xff, v31
	s_xor_b32 s4, s18, s4
	v_lshlrev_b32_e32 v4, 16, v4
	v_cmp_lt_u32_e64 s6, 0xffffff, v5
	v_cndmask_b32_e64 v5, 0, 1, s2
	v_cmp_ne_u16_e64 s2, v10, v22
	s_xor_b32 s7, s18, vcc_lo
	v_cmp_ne_u16_e32 vcc_lo, v6, v16
	v_cndmask_b32_e64 v6, 0, 1, s4
	s_xor_b32 s4, s18, s5
	v_and_b32_e32 v26, 0xff, v32
	v_cndmask_b32_e64 v1, 0, 1, s7
	v_cmp_ne_u16_e64 s7, v7, v17
	v_cndmask_b32_e64 v7, 0, 1, s4
	v_cmp_ne_u16_e64 s4, v13, v25
	s_xor_b32 s0, s18, s2
	s_xor_b32 s6, s18, s6
	v_cndmask_b32_e64 v13, 0, 1, s0
	s_xor_b32 s0, s18, s3
	v_cndmask_b32_e64 v8, 0, 1, s6
	s_xor_b32 s6, s18, vcc_lo
	v_cmp_ne_u16_e64 s5, v14, v26
	v_cndmask_b32_e64 v14, 0, 1, s0
	s_xor_b32 s0, s18, s4
	v_cndmask_b32_e64 v9, 0, 1, s6
	v_cndmask_b32_e64 v15, 0, 1, s0
	s_xor_b32 s6, s18, s7
	s_xor_b32 s0, s18, s5
	v_cndmask_b32_e64 v10, 0, 1, s6
	v_lshlrev_b16 v2, 8, v2
	v_lshlrev_b16 v11, 8, v11
	;; [unrolled: 1-line block ×3, first 2 shown]
	v_cndmask_b32_e64 v16, 0, 1, s0
	v_lshlrev_b16 v8, 8, v8
	v_lshlrev_b16 v6, 8, v6
	;; [unrolled: 1-line block ×4, first 2 shown]
	v_or_b32_e32 v2, v10, v2
	v_or_b32_e32 v3, v3, v11
	;; [unrolled: 1-line block ×6, first 2 shown]
	v_dual_lshlrev_b32 v2, 16, v2 :: v_dual_bitop2_b32 v5, v5, v13 bitop3:0x54
	v_and_b32_e32 v9, 0xffff, v3
	v_and_b32_e32 v1, 0xffff, v1
	v_dual_lshlrev_b32 v8, 16, v8 :: v_dual_lshlrev_b32 v6, 16, v6
	v_and_b32_e32 v7, 0xffff, v7
	v_and_b32_e32 v10, 0xffff, v5
	v_or_b32_e32 v5, v9, v4
	v_or_b32_e32 v4, v1, v2
	s_add_nc_u64 s[2:3], s[8:9], s[12:13]
	v_or_b32_e32 v3, v7, v8
	v_or_b32_e32 v2, v10, v6
	s_mov_b32 s0, 0
	s_clause 0x1
	global_store_b64 v0, v[4:5], s[2:3] scale_offset
	global_store_b64 v0, v[2:3], s[2:3] offset:2048 scale_offset
.LBB374_2:
	s_and_not1_b32 vcc_lo, exec_lo, s0
	s_cbranch_vccnz .LBB374_54
; %bb.3:
	v_cmp_le_i32_e64 s0, s14, v0
	v_or_b32_e32 v1, 0x100, v0
	v_cmp_gt_i32_e32 vcc_lo, s14, v0
	s_wait_xcnt 0x0
	s_and_saveexec_b32 s1, s0
	s_delay_alu instid0(SALU_CYCLE_1)
	s_xor_b32 s0, exec_lo, s1
; %bb.4:
	v_or_b32_e32 v1, 0x100, v0
; %bb.5:
	s_or_saveexec_b32 s1, s0
	v_dual_mov_b32 v35, 0 :: v_dual_bitop2_b32 v8, s12, v0 bitop3:0x54
	v_dual_mov_b32 v34, 0 :: v_dual_mov_b32 v36, 0
	v_dual_mov_b32 v33, 0 :: v_dual_mov_b32 v32, 0
	;; [unrolled: 1-line block ×14, first 2 shown]
	v_mov_b32_e32 v28, 0
	s_mov_b32 s5, 0
	s_xor_b32 exec_lo, exec_lo, s1
	s_cbranch_execz .LBB374_37
; %bb.6:
	s_clause 0x1
	global_load_u8 v26, v8, s[10:11]
	global_load_u8 v28, v8, s[16:17]
	v_cmp_gt_u32_e64 s0, s14, v1
	v_dual_mov_b32 v17, 0 :: v_dual_mov_b32 v16, 0
	v_dual_mov_b32 v3, 0 :: v_dual_mov_b32 v10, 0
	;; [unrolled: 1-line block ×14, first 2 shown]
	s_mov_b32 s3, 0
	s_wait_xcnt 0x0
	s_and_saveexec_b32 s2, s0
	s_cbranch_execz .LBB374_36
; %bb.7:
	v_dual_mov_b32 v3, 0 :: v_dual_add_nc_u32 v2, s12, v0
	v_or_b32_e32 v4, 0x200, v0
	v_dual_mov_b32 v10, 0 :: v_dual_mov_b32 v9, 0
	v_mov_b32_e32 v29, 0
	s_clause 0x1
	global_load_u8 v16, v2, s[10:11] offset:256
	global_load_u8 v17, v2, s[16:17] offset:256
	v_cmp_gt_u32_e64 s0, s14, v4
	v_dual_mov_b32 v4, 0 :: v_dual_mov_b32 v30, 0
	v_dual_mov_b32 v25, 0 :: v_dual_mov_b32 v27, 0
	v_dual_mov_b32 v22, 0 :: v_dual_mov_b32 v24, 0
	v_dual_mov_b32 v18, 0 :: v_dual_mov_b32 v19, 0
	v_dual_mov_b32 v20, 0 :: v_dual_mov_b32 v21, 0
	v_dual_mov_b32 v23, 0 :: v_dual_mov_b32 v13, 0
	v_dual_mov_b32 v11, 0 :: v_dual_mov_b32 v14, 0
	v_dual_mov_b32 v12, 0 :: v_dual_mov_b32 v15, 0
	v_dual_mov_b32 v31, 0 :: v_dual_mov_b32 v32, 0
	v_dual_mov_b32 v33, 0 :: v_dual_mov_b32 v36, 0
	v_dual_mov_b32 v34, 0 :: v_dual_mov_b32 v35, 0
	s_mov_b32 s4, 0
	s_wait_xcnt 0x0
	s_and_saveexec_b32 s3, s0
	s_cbranch_execz .LBB374_35
; %bb.8:
	v_add_nc_u64_e32 v[4:5], s[10:11], v[2:3]
	v_add_nc_u64_e32 v[6:7], s[16:17], v[2:3]
	v_or_b32_e32 v9, 0x300, v0
	v_dual_mov_b32 v30, 0 :: v_dual_mov_b32 v25, 0
	v_dual_mov_b32 v29, 0 :: v_dual_mov_b32 v27, 0
	v_mov_b32_e32 v22, 0
	global_load_u8 v10, v[4:5], off offset:512
	global_load_u8 v2, v[6:7], off offset:512
	v_cmp_gt_u32_e64 s0, s14, v9
	v_dual_mov_b32 v9, 0 :: v_dual_mov_b32 v24, 0
	v_dual_mov_b32 v18, 0 :: v_dual_mov_b32 v19, 0
	;; [unrolled: 1-line block ×9, first 2 shown]
	s_wait_xcnt 0x0
	s_and_saveexec_b32 s4, s0
	s_cbranch_execz .LBB374_34
; %bb.9:
	global_load_u8 v9, v[4:5], off offset:768
	global_load_u8 v3, v[6:7], off offset:768
	v_or_b32_e32 v11, 0x400, v0
	v_dual_mov_b32 v29, 0 :: v_dual_mov_b32 v30, 0
	v_dual_mov_b32 v25, 0 :: v_dual_mov_b32 v27, 0
	s_delay_alu instid0(VALU_DEP_3)
	v_cmp_gt_u32_e64 s0, s14, v11
	v_dual_mov_b32 v22, 0 :: v_dual_mov_b32 v24, 0
	v_dual_mov_b32 v18, 0 :: v_dual_mov_b32 v19, 0
	;; [unrolled: 1-line block ×9, first 2 shown]
	s_mov_b32 s6, 0
	s_wait_xcnt 0x0
	s_and_saveexec_b32 s5, s0
	s_cbranch_execz .LBB374_33
; %bb.10:
	global_load_u8 v30, v[4:5], off offset:1024
	global_load_u8 v29, v[6:7], off offset:1024
	v_or_b32_e32 v11, 0x500, v0
	v_dual_mov_b32 v25, 0 :: v_dual_mov_b32 v27, 0
	v_dual_mov_b32 v22, 0 :: v_dual_mov_b32 v24, 0
	s_delay_alu instid0(VALU_DEP_3)
	v_cmp_gt_u32_e64 s0, s14, v11
	v_dual_mov_b32 v18, 0 :: v_dual_mov_b32 v19, 0
	v_dual_mov_b32 v20, 0 :: v_dual_mov_b32 v21, 0
	;; [unrolled: 1-line block ×8, first 2 shown]
	s_mov_b32 s7, 0
	s_wait_xcnt 0x0
	s_and_saveexec_b32 s6, s0
	s_cbranch_execz .LBB374_32
; %bb.11:
	global_load_u8 v27, v[4:5], off offset:1280
	global_load_u8 v25, v[6:7], off offset:1280
	v_or_b32_e32 v11, 0x600, v0
	v_dual_mov_b32 v22, 0 :: v_dual_mov_b32 v24, 0
	v_dual_mov_b32 v18, 0 :: v_dual_mov_b32 v19, 0
	s_delay_alu instid0(VALU_DEP_3)
	v_cmp_gt_u32_e64 s0, s14, v11
	v_dual_mov_b32 v20, 0 :: v_dual_mov_b32 v21, 0
	v_dual_mov_b32 v23, 0 :: v_dual_mov_b32 v13, 0
	v_dual_mov_b32 v11, 0 :: v_dual_mov_b32 v14, 0
	v_dual_mov_b32 v12, 0 :: v_dual_mov_b32 v15, 0
	v_dual_mov_b32 v31, 0 :: v_dual_mov_b32 v32, 0
	v_dual_mov_b32 v33, 0 :: v_dual_mov_b32 v36, 0
	v_dual_mov_b32 v34, 0 :: v_dual_mov_b32 v35, 0
	s_mov_b32 s10, 0
	s_wait_xcnt 0x0
	s_and_saveexec_b32 s7, s0
	s_cbranch_execz .LBB374_31
; %bb.12:
	global_load_u8 v24, v[4:5], off offset:1536
	global_load_u8 v22, v[6:7], off offset:1536
	v_or_b32_e32 v11, 0x700, v0
	v_dual_mov_b32 v18, 0 :: v_dual_mov_b32 v19, 0
	v_dual_mov_b32 v20, 0 :: v_dual_mov_b32 v21, 0
	s_delay_alu instid0(VALU_DEP_3)
	v_cmp_gt_u32_e64 s0, s14, v11
	v_dual_mov_b32 v23, 0 :: v_dual_mov_b32 v13, 0
	v_dual_mov_b32 v11, 0 :: v_dual_mov_b32 v14, 0
	;; [unrolled: 1-line block ×6, first 2 shown]
	s_mov_b32 s11, 0
	s_wait_xcnt 0x0
	s_and_saveexec_b32 s10, s0
	s_cbranch_execz .LBB374_30
; %bb.13:
	global_load_u8 v19, v[4:5], off offset:1792
	global_load_u8 v18, v[6:7], off offset:1792
	v_or_b32_e32 v11, 0x800, v0
	v_dual_mov_b32 v20, 0 :: v_dual_mov_b32 v21, 0
	v_dual_mov_b32 v23, 0 :: v_dual_mov_b32 v13, 0
	s_delay_alu instid0(VALU_DEP_3)
	v_cmp_gt_u32_e64 s0, s14, v11
	v_dual_mov_b32 v11, 0 :: v_dual_mov_b32 v14, 0
	v_dual_mov_b32 v12, 0 :: v_dual_mov_b32 v15, 0
	;; [unrolled: 1-line block ×5, first 2 shown]
	s_mov_b32 s13, 0
	s_wait_xcnt 0x0
	s_and_saveexec_b32 s11, s0
	s_cbranch_execz .LBB374_29
; %bb.14:
	global_load_u8 v21, v[4:5], off offset:2048
	global_load_u8 v20, v[6:7], off offset:2048
	v_or_b32_e32 v11, 0x900, v0
	v_dual_mov_b32 v23, 0 :: v_dual_mov_b32 v13, 0
	v_dual_mov_b32 v12, 0 :: v_dual_mov_b32 v15, 0
	s_delay_alu instid0(VALU_DEP_3)
	v_cmp_gt_u32_e64 s0, s14, v11
	v_dual_mov_b32 v11, 0 :: v_dual_mov_b32 v14, 0
	v_dual_mov_b32 v31, 0 :: v_dual_mov_b32 v32, 0
	;; [unrolled: 1-line block ×4, first 2 shown]
	s_mov_b32 s16, 0
	s_wait_xcnt 0x0
	s_and_saveexec_b32 s13, s0
	s_cbranch_execz .LBB374_28
; %bb.15:
	global_load_u8 v13, v[4:5], off offset:2304
	global_load_u8 v23, v[6:7], off offset:2304
	v_or_b32_e32 v11, 0xa00, v0
	v_dual_mov_b32 v12, 0 :: v_dual_mov_b32 v15, 0
	v_dual_mov_b32 v31, 0 :: v_dual_mov_b32 v32, 0
	s_delay_alu instid0(VALU_DEP_3)
	v_cmp_gt_u32_e64 s0, s14, v11
	v_dual_mov_b32 v11, 0 :: v_dual_mov_b32 v14, 0
	v_dual_mov_b32 v33, 0 :: v_dual_mov_b32 v36, 0
	;; [unrolled: 1-line block ×3, first 2 shown]
	s_mov_b32 s17, 0
	s_wait_xcnt 0x0
	s_and_saveexec_b32 s16, s0
	s_cbranch_execz .LBB374_27
; %bb.16:
	global_load_u8 v14, v[4:5], off offset:2560
	global_load_u8 v11, v[6:7], off offset:2560
	v_or_b32_e32 v12, 0xb00, v0
	v_dual_mov_b32 v31, 0 :: v_dual_mov_b32 v32, 0
	v_dual_mov_b32 v33, 0 :: v_dual_mov_b32 v36, 0
	s_delay_alu instid0(VALU_DEP_3)
	v_cmp_gt_u32_e64 s0, s14, v12
	v_dual_mov_b32 v12, 0 :: v_dual_mov_b32 v15, 0
	v_dual_mov_b32 v34, 0 :: v_dual_mov_b32 v35, 0
	s_mov_b32 s18, 0
	s_wait_xcnt 0x0
	s_and_saveexec_b32 s17, s0
	s_cbranch_execz .LBB374_26
; %bb.17:
	global_load_u8 v15, v[4:5], off offset:2816
	global_load_u8 v12, v[6:7], off offset:2816
	v_or_b32_e32 v31, 0xc00, v0
	v_dual_mov_b32 v33, 0 :: v_dual_mov_b32 v36, 0
	v_dual_mov_b32 v34, 0 :: v_dual_mov_b32 v35, 0
	s_delay_alu instid0(VALU_DEP_3)
	v_cmp_gt_u32_e64 s0, s14, v31
	v_dual_mov_b32 v31, 0 :: v_dual_mov_b32 v32, 0
	s_mov_b32 s19, 0
	s_wait_xcnt 0x0
	s_and_saveexec_b32 s18, s0
	s_cbranch_execz .LBB374_25
; %bb.18:
	global_load_u8 v32, v[4:5], off offset:3072
	global_load_u8 v31, v[6:7], off offset:3072
	v_or_b32_e32 v33, 0xd00, v0
	v_dual_mov_b32 v34, 0 :: v_dual_mov_b32 v35, 0
	s_mov_b32 s20, 0
	v_mov_b32_e32 v36, 0
	s_delay_alu instid0(VALU_DEP_3)
	v_cmp_gt_u32_e64 s0, s14, v33
	v_mov_b32_e32 v33, 0
	s_wait_xcnt 0x0
	s_and_saveexec_b32 s19, s0
	s_cbranch_execz .LBB374_24
; %bb.19:
	global_load_u8 v36, v[4:5], off offset:3328
	global_load_u8 v33, v[6:7], off offset:3328
	v_or_b32_e32 v34, 0xe00, v0
	s_mov_b32 s21, 0
	v_mov_b32_e32 v35, 0
	s_delay_alu instid0(VALU_DEP_2)
	v_cmp_gt_u32_e64 s0, s14, v34
	v_mov_b32_e32 v34, 0
	s_wait_xcnt 0x0
	s_and_saveexec_b32 s20, s0
	s_cbranch_execz .LBB374_23
; %bb.20:
	global_load_u8 v35, v[4:5], off offset:3584
	global_load_u8 v34, v[6:7], off offset:3584
	v_or_b32_e32 v37, 0xf00, v0
	s_mov_b32 s22, 0
	s_mov_b32 s21, exec_lo
	s_wait_xcnt 0x0
	s_delay_alu instid0(VALU_DEP_1)
	v_cmpx_gt_u32_e64 s14, v37
	s_cbranch_execz .LBB374_22
; %bb.21:
	global_load_u8 v37, v[4:5], off offset:3840
	global_load_u8 v38, v[6:7], off offset:3840
	s_wait_loadcnt 0x0
	v_cmp_ne_u16_e64 s0, v37, v38
	s_and_b32 s22, s0, exec_lo
.LBB374_22:
	s_wait_xcnt 0x0
	s_or_b32 exec_lo, exec_lo, s21
	s_delay_alu instid0(SALU_CYCLE_1)
	s_and_b32 s21, s22, exec_lo
.LBB374_23:
	s_or_b32 exec_lo, exec_lo, s20
	s_delay_alu instid0(SALU_CYCLE_1)
	s_and_b32 s20, s21, exec_lo
.LBB374_24:
	s_or_b32 exec_lo, exec_lo, s19
	s_delay_alu instid0(SALU_CYCLE_1)
	s_and_b32 s19, s20, exec_lo
.LBB374_25:
	s_or_b32 exec_lo, exec_lo, s18
	s_delay_alu instid0(SALU_CYCLE_1)
	s_and_b32 s18, s19, exec_lo
.LBB374_26:
	s_or_b32 exec_lo, exec_lo, s17
	s_delay_alu instid0(SALU_CYCLE_1)
	s_and_b32 s17, s18, exec_lo
.LBB374_27:
	s_or_b32 exec_lo, exec_lo, s16
	s_delay_alu instid0(SALU_CYCLE_1)
	s_and_b32 s16, s17, exec_lo
.LBB374_28:
	s_or_b32 exec_lo, exec_lo, s13
	s_delay_alu instid0(SALU_CYCLE_1)
	s_and_b32 s13, s16, exec_lo
.LBB374_29:
	s_or_b32 exec_lo, exec_lo, s11
	s_delay_alu instid0(SALU_CYCLE_1)
	s_and_b32 s11, s13, exec_lo
.LBB374_30:
	s_or_b32 exec_lo, exec_lo, s10
	s_delay_alu instid0(SALU_CYCLE_1)
	s_and_b32 s10, s11, exec_lo
.LBB374_31:
	s_or_b32 exec_lo, exec_lo, s7
	s_delay_alu instid0(SALU_CYCLE_1)
	s_and_b32 s7, s10, exec_lo
.LBB374_32:
	s_or_b32 exec_lo, exec_lo, s6
	s_delay_alu instid0(SALU_CYCLE_1)
	s_and_b32 s6, s7, exec_lo
.LBB374_33:
	s_or_b32 exec_lo, exec_lo, s5
	s_delay_alu instid0(SALU_CYCLE_1)
	s_and_b32 s5, s6, exec_lo
.LBB374_34:
	s_or_b32 exec_lo, exec_lo, s4
	s_wait_loadcnt 0x0
	v_dual_mov_b32 v4, v3 :: v_dual_mov_b32 v3, v2
	s_and_b32 s4, s5, exec_lo
.LBB374_35:
	s_or_b32 exec_lo, exec_lo, s3
	s_delay_alu instid0(SALU_CYCLE_1)
	s_and_b32 s3, s4, exec_lo
.LBB374_36:
	s_or_b32 exec_lo, exec_lo, s2
	s_delay_alu instid0(SALU_CYCLE_1)
	s_and_b32 s5, s3, exec_lo
.LBB374_37:
	s_or_b32 exec_lo, exec_lo, s1
	s_wait_loadcnt 0x0
	v_and_b32_e32 v2, 0xff, v28
	v_and_b32_e32 v5, 0xff, v26
	;; [unrolled: 1-line block ×4, first 2 shown]
	s_cmp_eq_u32 s15, 0
	v_and_b32_e32 v3, 0xff, v3
	v_cmp_ne_u16_e64 s0, v5, v2
	s_cselect_b32 s6, -1, 0
	v_cmp_ne_u16_e64 s1, v7, v6
	v_and_b32_e32 v2, 0xff, v17
	v_and_b32_e32 v6, 0xff, v16
	s_xor_b32 s0, s6, s0
	v_and_b32_e32 v16, 0xff, v25
	v_cndmask_b32_e64 v5, 0, 1, s0
	s_xor_b32 s0, s6, s1
	v_and_b32_e32 v17, 0xff, v27
	v_cndmask_b32_e64 v7, 0, 1, s0
	v_cmp_ne_u16_e64 s0, v6, v2
	v_cndmask_b32_e32 v2, 0, v5, vcc_lo
	v_and_b32_e32 v10, 0xff, v10
	v_cmp_ne_u16_e64 s1, v17, v16
	v_bitop3_b16 v5, v7, 0, 0xff00 bitop3:0xf8
	v_or_b32_e32 v7, 0x400, v0
	s_xor_b32 s0, s6, s0
	v_and_b32_e32 v4, 0xff, v4
	v_cndmask_b32_e64 v6, 0, 1, s0
	s_xor_b32 s0, s6, s1
	v_and_b32_e32 v5, 0xffff, v5
	v_cndmask_b32_e64 v16, 0, 1, s0
	v_cmp_gt_i32_e64 s0, s14, v7
	v_lshlrev_b16 v6, 8, v6
	v_cmp_gt_i32_e64 s1, s14, v1
	v_and_b32_e32 v17, 0xff, v33
	v_lshlrev_b16 v7, 8, v16
	v_cndmask_b32_e64 v5, 0, v5, s0
	v_cmp_ne_u16_e64 s0, v10, v3
	v_or_b32_e32 v3, 0x500, v0
	v_and_b32_e32 v10, 0xff, v22
	v_and_b32_e32 v16, 0xff, v24
	v_bitop3_b16 v7, v5, v7, 0xff bitop3:0xec
	s_xor_b32 s0, s6, s0
	v_and_b32_e32 v13, 0xff, v13
	v_and_b32_e32 v11, 0xff, v11
	;; [unrolled: 1-line block ×4, first 2 shown]
	v_or_b32_e32 v6, v2, v6
	s_delay_alu instid0(VALU_DEP_1) | instskip(NEXT) | instid1(VALU_DEP_1)
	v_and_b32_e32 v6, 0xffff, v6
	v_cndmask_b32_e64 v2, v2, v6, s1
	v_cmp_gt_i32_e64 s1, s14, v3
	v_and_b32_e32 v6, 0xff, v9
	s_delay_alu instid0(VALU_DEP_2)
	v_cndmask_b32_e64 v3, v5, v7, s1
	v_cmp_ne_u16_e64 s1, v16, v10
	v_cndmask_b32_e64 v5, 0, 1, s0
	v_or_b32_e32 v10, 0x200, v0
	v_and_b32_e32 v16, 0xff, v32
	v_lshrrev_b32_e32 v7, 16, v3
	s_xor_b32 s0, s6, s1
	v_lshl_or_b32 v5, v5, 16, v2
	v_cndmask_b32_e64 v9, 0, 1, s0
	v_cmp_ne_u16_e64 s0, v6, v4
	v_cmp_gt_i32_e64 s1, s14, v10
	v_and_b32_e32 v10, 0xff, v31
	s_delay_alu instid0(VALU_DEP_4)
	v_bitop3_b16 v4, v9, v7, 0xff00 bitop3:0xf8
	s_xor_b32 s0, s6, s0
	v_cndmask_b32_e64 v2, v2, v5, s1
	v_cndmask_b32_e64 v5, 0, 1, s0
	v_or_b32_e32 v7, 0x600, v0
	v_lshlrev_b32_e32 v4, 16, v4
	v_cmp_ne_u16_e64 s1, v16, v10
	v_and_b32_e32 v9, 0xff, v23
	v_lshlrev_b16 v5, 8, v5
	v_cmp_gt_i32_e64 s0, s14, v7
	v_and_or_b32 v4, 0xffff, v3, v4
	v_lshrrev_b32_e32 v6, 16, v2
	s_xor_b32 s1, s6, s1
	v_cmp_ne_u16_e64 s4, v13, v9
	v_or_b32_e32 v16, 0xd00, v0
	v_cndmask_b32_e64 v3, v3, v4, s0
	v_bitop3_b16 v5, v6, v5, 0xff bitop3:0xec
	v_and_b32_e32 v4, 0xff, v18
	v_and_b32_e32 v6, 0xff, v19
	;; [unrolled: 1-line block ×3, first 2 shown]
	v_or_b32_e32 v19, 0x800, v0
	v_or_b32_e32 v13, 0x900, v0
	v_dual_lshlrev_b32 v5, 16, v5 :: v_dual_lshrrev_b32 v7, 16, v3
	v_cmp_ne_u16_e64 s0, v6, v4
	v_and_b32_e32 v4, 0xff, v20
	v_and_b32_e32 v6, 0xff, v21
	v_cmp_ne_u16_e64 s3, v18, v17
	v_and_b32_e32 v17, 0xff, v34
	v_and_b32_e32 v18, 0xff, v35
	s_xor_b32 s0, s6, s0
	v_cmp_ne_u16_e64 s2, v6, v4
	v_or_b32_e32 v4, 0xc00, v0
	v_cndmask_b32_e64 v6, 0, 1, s1
	s_xor_b32 s1, s6, s3
	v_and_or_b32 v5, 0xffff, v2, v5
	v_cndmask_b32_e64 v9, 0, 1, s1
	s_xor_b32 s1, s6, s2
	v_cmp_gt_i32_e64 s2, s14, v16
	v_cndmask_b32_e64 v10, 0, 1, s1
	v_cmp_gt_i32_e64 s1, s14, v4
	v_cndmask_b32_e64 v16, 0, 1, s0
	v_cmp_gt_i32_e64 s0, s14, v13
	s_delay_alu instid0(VALU_DEP_3)
	v_cndmask_b32_e64 v4, 0, v6, s1
	s_xor_b32 s1, s6, s4
	v_lshlrev_b16 v6, 8, v9
	v_cndmask_b32_e64 v9, 0, 1, s1
	v_cmp_gt_i32_e64 s1, s14, v19
	v_lshlrev_b16 v13, 8, v16
	s_delay_alu instid0(VALU_DEP_3) | instskip(NEXT) | instid1(VALU_DEP_3)
	v_lshlrev_b16 v9, 8, v9
	v_cndmask_b32_e64 v10, 0, v10, s1
	v_cmp_ne_u16_e64 s1, v14, v11
	s_delay_alu instid0(VALU_DEP_4) | instskip(SKIP_1) | instid1(VALU_DEP_4)
	v_bitop3_b16 v7, v7, v13, 0xff bitop3:0xec
	v_or_b32_e32 v13, 0x300, v0
	v_or_b32_e32 v9, v10, v9
	v_bitop3_b16 v6, v4, v6, 0xff bitop3:0xec
	s_xor_b32 s1, s6, s1
	v_lshlrev_b32_e32 v7, 16, v7
	s_delay_alu instid0(VALU_DEP_2) | instskip(NEXT) | instid1(VALU_DEP_2)
	v_and_b32_e32 v6, 0xffff, v6
	v_and_or_b32 v7, 0xffff, v3, v7
	s_delay_alu instid0(VALU_DEP_2) | instskip(SKIP_3) | instid1(VALU_DEP_4)
	v_cndmask_b32_e64 v4, v4, v6, s2
	v_cmp_ne_u16_e64 s2, v18, v17
	v_and_b32_e32 v6, 0xffff, v9
	v_cndmask_b32_e64 v9, 0, 1, s1
	v_lshrrev_b32_e32 v11, 16, v4
	s_xor_b32 s1, s6, s2
	s_delay_alu instid0(VALU_DEP_3) | instskip(SKIP_1) | instid1(VALU_DEP_1)
	v_cndmask_b32_e64 v6, v10, v6, s0
	v_cndmask_b32_e64 v14, 0, 1, s1
	v_bitop3_b16 v10, v14, v11, 0xff00 bitop3:0xf8
	v_and_b32_e32 v11, 0xff, v12
	v_and_b32_e32 v12, 0xff, v15
	v_lshlrev_b32_e32 v9, 16, v9
	v_or_b32_e32 v14, 0xa00, v0
	v_lshlrev_b32_e32 v10, 16, v10
	s_delay_alu instid0(VALU_DEP_4) | instskip(NEXT) | instid1(VALU_DEP_4)
	v_cmp_ne_u16_e64 s0, v12, v11
	v_and_or_b32 v9, 0x1ff, v6, v9
	v_or_b32_e32 v11, 0xe00, v0
	v_cmp_gt_i32_e64 s1, s14, v14
	v_and_or_b32 v10, 0xffff, v4, v10
	s_xor_b32 s0, s6, s0
	v_cndmask_b32_e64 v6, v6, v9, s1
	v_cndmask_b32_e64 v9, 0, 1, s0
	v_cmp_gt_i32_e64 s0, s14, v11
	s_delay_alu instid0(VALU_DEP_2) | instskip(NEXT) | instid1(VALU_DEP_2)
	v_lshlrev_b16 v9, 8, v9
	v_cndmask_b32_e64 v10, v4, v10, s0
	s_xor_b32 s0, s6, s5
	v_lshrrev_b32_e32 v11, 16, v6
	v_cndmask_b32_e64 v4, 0, 1, s0
	v_cmp_gt_i32_e64 s0, s14, v13
	v_lshrrev_b32_e32 v12, 16, v10
	s_delay_alu instid0(VALU_DEP_4) | instskip(NEXT) | instid1(VALU_DEP_4)
	v_bitop3_b16 v9, v11, v9, 0xff bitop3:0xec
	v_lshlrev_b16 v4, 8, v4
	s_delay_alu instid0(VALU_DEP_4) | instskip(SKIP_1) | instid1(VALU_DEP_3)
	v_cndmask_b32_e64 v5, v2, v5, s0
	v_or_b32_e32 v11, 0xb00, v0
	v_bitop3_b16 v4, v12, v4, 0xff bitop3:0xec
	v_lshlrev_b32_e32 v2, 16, v9
	v_or_b32_e32 v9, 0x700, v0
	v_or_b32_e32 v12, 0xf00, v0
	s_delay_alu instid0(VALU_DEP_4) | instskip(NEXT) | instid1(VALU_DEP_4)
	v_lshlrev_b32_e32 v4, 16, v4
	v_and_or_b32 v2, 0xffff, v6, v2
	s_delay_alu instid0(VALU_DEP_4) | instskip(NEXT) | instid1(VALU_DEP_3)
	v_cmp_gt_i32_e64 s0, s14, v9
	v_and_or_b32 v13, 0xffff, v10, v4
	s_delay_alu instid0(VALU_DEP_2) | instskip(SKIP_1) | instid1(VALU_DEP_1)
	v_cndmask_b32_e64 v4, v3, v7, s0
	v_cmp_gt_i32_e64 s0, s14, v11
	v_cndmask_b32_e64 v3, v6, v2, s0
	v_cmp_gt_i32_e64 s0, s14, v12
	s_delay_alu instid0(VALU_DEP_1)
	v_cndmask_b32_e64 v2, v10, v13, s0
	s_and_saveexec_b32 s0, vcc_lo
	s_cbranch_execnz .LBB374_55
; %bb.38:
	s_or_b32 exec_lo, exec_lo, s0
	s_delay_alu instid0(SALU_CYCLE_1)
	s_mov_b32 s0, exec_lo
	v_cmpx_gt_i32_e64 s14, v0
	s_cbranch_execnz .LBB374_56
.LBB374_39:
	s_or_b32 exec_lo, exec_lo, s0
	s_delay_alu instid0(SALU_CYCLE_1)
	s_mov_b32 s0, exec_lo
	v_cmpx_gt_i32_e64 s14, v0
	s_cbranch_execnz .LBB374_57
.LBB374_40:
	s_or_b32 exec_lo, exec_lo, s0
	s_delay_alu instid0(SALU_CYCLE_1)
	s_mov_b32 s0, exec_lo
	v_cmpx_gt_i32_e64 s14, v0
	s_cbranch_execnz .LBB374_58
.LBB374_41:
	s_or_b32 exec_lo, exec_lo, s0
	s_delay_alu instid0(SALU_CYCLE_1)
	s_mov_b32 s0, exec_lo
	v_cmpx_gt_i32_e64 s14, v0
	s_cbranch_execnz .LBB374_59
.LBB374_42:
	s_or_b32 exec_lo, exec_lo, s0
	s_delay_alu instid0(SALU_CYCLE_1)
	s_mov_b32 s0, exec_lo
	v_cmpx_gt_i32_e64 s14, v0
	s_cbranch_execnz .LBB374_60
.LBB374_43:
	s_or_b32 exec_lo, exec_lo, s0
	s_delay_alu instid0(SALU_CYCLE_1)
	s_mov_b32 s0, exec_lo
	v_cmpx_gt_i32_e64 s14, v0
	s_cbranch_execnz .LBB374_61
.LBB374_44:
	s_or_b32 exec_lo, exec_lo, s0
	s_delay_alu instid0(SALU_CYCLE_1)
	s_mov_b32 s0, exec_lo
	v_cmpx_gt_i32_e64 s14, v0
	s_cbranch_execnz .LBB374_62
.LBB374_45:
	s_or_b32 exec_lo, exec_lo, s0
	s_delay_alu instid0(SALU_CYCLE_1)
	s_mov_b32 s0, exec_lo
	v_cmpx_gt_i32_e64 s14, v0
	s_cbranch_execnz .LBB374_63
.LBB374_46:
	s_or_b32 exec_lo, exec_lo, s0
	s_delay_alu instid0(SALU_CYCLE_1)
	s_mov_b32 s0, exec_lo
	v_cmpx_gt_i32_e64 s14, v0
	s_cbranch_execnz .LBB374_64
.LBB374_47:
	s_or_b32 exec_lo, exec_lo, s0
	s_delay_alu instid0(SALU_CYCLE_1)
	s_mov_b32 s0, exec_lo
	v_cmpx_gt_i32_e64 s14, v0
	s_cbranch_execnz .LBB374_65
.LBB374_48:
	s_or_b32 exec_lo, exec_lo, s0
	s_delay_alu instid0(SALU_CYCLE_1)
	s_mov_b32 s0, exec_lo
	v_cmpx_gt_i32_e64 s14, v0
	s_cbranch_execnz .LBB374_66
.LBB374_49:
	s_or_b32 exec_lo, exec_lo, s0
	s_delay_alu instid0(SALU_CYCLE_1)
	s_mov_b32 s0, exec_lo
	v_cmpx_gt_i32_e64 s14, v0
	s_cbranch_execnz .LBB374_67
.LBB374_50:
	s_or_b32 exec_lo, exec_lo, s0
	s_delay_alu instid0(SALU_CYCLE_1)
	s_mov_b32 s0, exec_lo
	v_cmpx_gt_i32_e64 s14, v0
	s_cbranch_execnz .LBB374_68
.LBB374_51:
	s_or_b32 exec_lo, exec_lo, s0
	s_delay_alu instid0(SALU_CYCLE_1)
	s_mov_b32 s0, exec_lo
	v_cmpx_gt_i32_e64 s14, v0
	s_cbranch_execnz .LBB374_69
.LBB374_52:
	s_or_b32 exec_lo, exec_lo, s0
	s_delay_alu instid0(SALU_CYCLE_1)
	s_mov_b32 s0, exec_lo
	v_cmpx_gt_i32_e64 s14, v0
	s_cbranch_execz .LBB374_54
.LBB374_53:
	v_dual_lshrrev_b32 v1, 24, v2 :: v_dual_add_nc_u32 v0, s12, v0
	global_store_b8 v0, v1, s[8:9]
.LBB374_54:
	s_endpgm
.LBB374_55:
	v_mov_b32_e32 v0, v1
	global_store_b8 v8, v5, s[8:9]
	s_wait_xcnt 0x0
	s_or_b32 exec_lo, exec_lo, s0
	s_delay_alu instid0(SALU_CYCLE_1)
	s_mov_b32 s0, exec_lo
	v_cmpx_gt_i32_e64 s14, v0
	s_cbranch_execz .LBB374_39
.LBB374_56:
	v_dual_lshrrev_b32 v1, 8, v5 :: v_dual_add_nc_u32 v6, s12, v0
	v_add_nc_u32_e32 v0, 0x100, v0
	global_store_b8 v6, v1, s[8:9]
	s_wait_xcnt 0x0
	s_or_b32 exec_lo, exec_lo, s0
	s_delay_alu instid0(SALU_CYCLE_1)
	s_mov_b32 s0, exec_lo
	v_cmpx_gt_i32_e64 s14, v0
	s_cbranch_execz .LBB374_40
.LBB374_57:
	v_add_nc_u32_e32 v1, s12, v0
	v_add_nc_u32_e32 v0, 0x100, v0
	global_store_d16_hi_b8 v1, v5, s[8:9]
	s_wait_xcnt 0x0
	s_or_b32 exec_lo, exec_lo, s0
	s_delay_alu instid0(SALU_CYCLE_1)
	s_mov_b32 s0, exec_lo
	v_cmpx_gt_i32_e64 s14, v0
	s_cbranch_execz .LBB374_41
.LBB374_58:
	v_dual_lshrrev_b32 v1, 24, v5 :: v_dual_add_nc_u32 v5, s12, v0
	v_add_nc_u32_e32 v0, 0x100, v0
	global_store_b8 v5, v1, s[8:9]
	s_wait_xcnt 0x0
	s_or_b32 exec_lo, exec_lo, s0
	s_delay_alu instid0(SALU_CYCLE_1)
	s_mov_b32 s0, exec_lo
	v_cmpx_gt_i32_e64 s14, v0
	s_cbranch_execz .LBB374_42
.LBB374_59:
	v_add_nc_u32_e32 v1, s12, v0
	v_add_nc_u32_e32 v0, 0x100, v0
	global_store_b8 v1, v4, s[8:9]
	s_wait_xcnt 0x0
	s_or_b32 exec_lo, exec_lo, s0
	s_delay_alu instid0(SALU_CYCLE_1)
	s_mov_b32 s0, exec_lo
	v_cmpx_gt_i32_e64 s14, v0
	s_cbranch_execz .LBB374_43
.LBB374_60:
	v_lshrrev_b32_e32 v1, 8, v4
	v_add_nc_u32_e32 v5, s12, v0
	v_add_nc_u32_e32 v0, 0x100, v0
	global_store_b8 v5, v1, s[8:9]
	s_wait_xcnt 0x0
	s_or_b32 exec_lo, exec_lo, s0
	s_delay_alu instid0(SALU_CYCLE_1)
	s_mov_b32 s0, exec_lo
	v_cmpx_gt_i32_e64 s14, v0
	s_cbranch_execz .LBB374_44
.LBB374_61:
	v_add_nc_u32_e32 v1, s12, v0
	v_add_nc_u32_e32 v0, 0x100, v0
	global_store_d16_hi_b8 v1, v4, s[8:9]
	s_wait_xcnt 0x0
	s_or_b32 exec_lo, exec_lo, s0
	s_delay_alu instid0(SALU_CYCLE_1)
	s_mov_b32 s0, exec_lo
	v_cmpx_gt_i32_e64 s14, v0
	s_cbranch_execz .LBB374_45
.LBB374_62:
	v_lshrrev_b32_e32 v1, 24, v4
	v_add_nc_u32_e32 v4, s12, v0
	v_add_nc_u32_e32 v0, 0x100, v0
	global_store_b8 v4, v1, s[8:9]
	s_wait_xcnt 0x0
	s_or_b32 exec_lo, exec_lo, s0
	s_delay_alu instid0(SALU_CYCLE_1)
	s_mov_b32 s0, exec_lo
	v_cmpx_gt_i32_e64 s14, v0
	s_cbranch_execz .LBB374_46
.LBB374_63:
	v_add_nc_u32_e32 v1, s12, v0
	v_add_nc_u32_e32 v0, 0x100, v0
	global_store_b8 v1, v3, s[8:9]
	s_wait_xcnt 0x0
	s_or_b32 exec_lo, exec_lo, s0
	s_delay_alu instid0(SALU_CYCLE_1)
	s_mov_b32 s0, exec_lo
	v_cmpx_gt_i32_e64 s14, v0
	s_cbranch_execz .LBB374_47
.LBB374_64:
	v_dual_lshrrev_b32 v1, 8, v3 :: v_dual_add_nc_u32 v4, s12, v0
	v_add_nc_u32_e32 v0, 0x100, v0
	global_store_b8 v4, v1, s[8:9]
	s_wait_xcnt 0x0
	s_or_b32 exec_lo, exec_lo, s0
	s_delay_alu instid0(SALU_CYCLE_1)
	s_mov_b32 s0, exec_lo
	v_cmpx_gt_i32_e64 s14, v0
	s_cbranch_execz .LBB374_48
.LBB374_65:
	v_add_nc_u32_e32 v1, s12, v0
	v_add_nc_u32_e32 v0, 0x100, v0
	global_store_d16_hi_b8 v1, v3, s[8:9]
	s_wait_xcnt 0x0
	s_or_b32 exec_lo, exec_lo, s0
	s_delay_alu instid0(SALU_CYCLE_1)
	s_mov_b32 s0, exec_lo
	v_cmpx_gt_i32_e64 s14, v0
	s_cbranch_execz .LBB374_49
.LBB374_66:
	v_dual_lshrrev_b32 v1, 24, v3 :: v_dual_add_nc_u32 v3, s12, v0
	v_add_nc_u32_e32 v0, 0x100, v0
	global_store_b8 v3, v1, s[8:9]
	s_wait_xcnt 0x0
	s_or_b32 exec_lo, exec_lo, s0
	s_delay_alu instid0(SALU_CYCLE_1)
	s_mov_b32 s0, exec_lo
	v_cmpx_gt_i32_e64 s14, v0
	s_cbranch_execz .LBB374_50
.LBB374_67:
	v_add_nc_u32_e32 v1, s12, v0
	v_add_nc_u32_e32 v0, 0x100, v0
	global_store_b8 v1, v2, s[8:9]
	s_wait_xcnt 0x0
	s_or_b32 exec_lo, exec_lo, s0
	s_delay_alu instid0(SALU_CYCLE_1)
	s_mov_b32 s0, exec_lo
	v_cmpx_gt_i32_e64 s14, v0
	s_cbranch_execz .LBB374_51
.LBB374_68:
	v_dual_lshrrev_b32 v1, 8, v2 :: v_dual_add_nc_u32 v3, s12, v0
	v_add_nc_u32_e32 v0, 0x100, v0
	global_store_b8 v3, v1, s[8:9]
	s_wait_xcnt 0x0
	s_or_b32 exec_lo, exec_lo, s0
	s_delay_alu instid0(SALU_CYCLE_1)
	s_mov_b32 s0, exec_lo
	v_cmpx_gt_i32_e64 s14, v0
	s_cbranch_execz .LBB374_52
.LBB374_69:
	v_add_nc_u32_e32 v1, s12, v0
	v_add_nc_u32_e32 v0, 0x100, v0
	global_store_d16_hi_b8 v1, v2, s[8:9]
	s_wait_xcnt 0x0
	s_or_b32 exec_lo, exec_lo, s0
	s_delay_alu instid0(SALU_CYCLE_1)
	s_mov_b32 s0, exec_lo
	v_cmpx_gt_i32_e64 s14, v0
	s_cbranch_execnz .LBB374_53
	s_branch .LBB374_54
	.section	.rodata,"a",@progbits
	.p2align	6, 0x0
	.amdhsa_kernel _ZN2at6native29vectorized_elementwise_kernelILi8ENS0_13BinaryFunctorIN3c1016Float4_e2m1fn_x2ES4_bNS0_12_GLOBAL__N_116CompareEqFunctorIS4_EEEESt5arrayIPcLm3EEEEviT0_T1_
		.amdhsa_group_segment_fixed_size 0
		.amdhsa_private_segment_fixed_size 0
		.amdhsa_kernarg_size 32
		.amdhsa_user_sgpr_count 2
		.amdhsa_user_sgpr_dispatch_ptr 0
		.amdhsa_user_sgpr_queue_ptr 0
		.amdhsa_user_sgpr_kernarg_segment_ptr 1
		.amdhsa_user_sgpr_dispatch_id 0
		.amdhsa_user_sgpr_kernarg_preload_length 0
		.amdhsa_user_sgpr_kernarg_preload_offset 0
		.amdhsa_user_sgpr_private_segment_size 0
		.amdhsa_wavefront_size32 1
		.amdhsa_uses_dynamic_stack 0
		.amdhsa_enable_private_segment 0
		.amdhsa_system_sgpr_workgroup_id_x 1
		.amdhsa_system_sgpr_workgroup_id_y 0
		.amdhsa_system_sgpr_workgroup_id_z 0
		.amdhsa_system_sgpr_workgroup_info 0
		.amdhsa_system_vgpr_workitem_id 0
		.amdhsa_next_free_vgpr 39
		.amdhsa_next_free_sgpr 23
		.amdhsa_named_barrier_count 0
		.amdhsa_reserve_vcc 1
		.amdhsa_float_round_mode_32 0
		.amdhsa_float_round_mode_16_64 0
		.amdhsa_float_denorm_mode_32 3
		.amdhsa_float_denorm_mode_16_64 3
		.amdhsa_fp16_overflow 0
		.amdhsa_memory_ordered 1
		.amdhsa_forward_progress 1
		.amdhsa_inst_pref_size 46
		.amdhsa_round_robin_scheduling 0
		.amdhsa_exception_fp_ieee_invalid_op 0
		.amdhsa_exception_fp_denorm_src 0
		.amdhsa_exception_fp_ieee_div_zero 0
		.amdhsa_exception_fp_ieee_overflow 0
		.amdhsa_exception_fp_ieee_underflow 0
		.amdhsa_exception_fp_ieee_inexact 0
		.amdhsa_exception_int_div_zero 0
	.end_amdhsa_kernel
	.section	.text._ZN2at6native29vectorized_elementwise_kernelILi8ENS0_13BinaryFunctorIN3c1016Float4_e2m1fn_x2ES4_bNS0_12_GLOBAL__N_116CompareEqFunctorIS4_EEEESt5arrayIPcLm3EEEEviT0_T1_,"axG",@progbits,_ZN2at6native29vectorized_elementwise_kernelILi8ENS0_13BinaryFunctorIN3c1016Float4_e2m1fn_x2ES4_bNS0_12_GLOBAL__N_116CompareEqFunctorIS4_EEEESt5arrayIPcLm3EEEEviT0_T1_,comdat
.Lfunc_end374:
	.size	_ZN2at6native29vectorized_elementwise_kernelILi8ENS0_13BinaryFunctorIN3c1016Float4_e2m1fn_x2ES4_bNS0_12_GLOBAL__N_116CompareEqFunctorIS4_EEEESt5arrayIPcLm3EEEEviT0_T1_, .Lfunc_end374-_ZN2at6native29vectorized_elementwise_kernelILi8ENS0_13BinaryFunctorIN3c1016Float4_e2m1fn_x2ES4_bNS0_12_GLOBAL__N_116CompareEqFunctorIS4_EEEESt5arrayIPcLm3EEEEviT0_T1_
                                        ; -- End function
	.set _ZN2at6native29vectorized_elementwise_kernelILi8ENS0_13BinaryFunctorIN3c1016Float4_e2m1fn_x2ES4_bNS0_12_GLOBAL__N_116CompareEqFunctorIS4_EEEESt5arrayIPcLm3EEEEviT0_T1_.num_vgpr, 39
	.set _ZN2at6native29vectorized_elementwise_kernelILi8ENS0_13BinaryFunctorIN3c1016Float4_e2m1fn_x2ES4_bNS0_12_GLOBAL__N_116CompareEqFunctorIS4_EEEESt5arrayIPcLm3EEEEviT0_T1_.num_agpr, 0
	.set _ZN2at6native29vectorized_elementwise_kernelILi8ENS0_13BinaryFunctorIN3c1016Float4_e2m1fn_x2ES4_bNS0_12_GLOBAL__N_116CompareEqFunctorIS4_EEEESt5arrayIPcLm3EEEEviT0_T1_.numbered_sgpr, 23
	.set _ZN2at6native29vectorized_elementwise_kernelILi8ENS0_13BinaryFunctorIN3c1016Float4_e2m1fn_x2ES4_bNS0_12_GLOBAL__N_116CompareEqFunctorIS4_EEEESt5arrayIPcLm3EEEEviT0_T1_.num_named_barrier, 0
	.set _ZN2at6native29vectorized_elementwise_kernelILi8ENS0_13BinaryFunctorIN3c1016Float4_e2m1fn_x2ES4_bNS0_12_GLOBAL__N_116CompareEqFunctorIS4_EEEESt5arrayIPcLm3EEEEviT0_T1_.private_seg_size, 0
	.set _ZN2at6native29vectorized_elementwise_kernelILi8ENS0_13BinaryFunctorIN3c1016Float4_e2m1fn_x2ES4_bNS0_12_GLOBAL__N_116CompareEqFunctorIS4_EEEESt5arrayIPcLm3EEEEviT0_T1_.uses_vcc, 1
	.set _ZN2at6native29vectorized_elementwise_kernelILi8ENS0_13BinaryFunctorIN3c1016Float4_e2m1fn_x2ES4_bNS0_12_GLOBAL__N_116CompareEqFunctorIS4_EEEESt5arrayIPcLm3EEEEviT0_T1_.uses_flat_scratch, 0
	.set _ZN2at6native29vectorized_elementwise_kernelILi8ENS0_13BinaryFunctorIN3c1016Float4_e2m1fn_x2ES4_bNS0_12_GLOBAL__N_116CompareEqFunctorIS4_EEEESt5arrayIPcLm3EEEEviT0_T1_.has_dyn_sized_stack, 0
	.set _ZN2at6native29vectorized_elementwise_kernelILi8ENS0_13BinaryFunctorIN3c1016Float4_e2m1fn_x2ES4_bNS0_12_GLOBAL__N_116CompareEqFunctorIS4_EEEESt5arrayIPcLm3EEEEviT0_T1_.has_recursion, 0
	.set _ZN2at6native29vectorized_elementwise_kernelILi8ENS0_13BinaryFunctorIN3c1016Float4_e2m1fn_x2ES4_bNS0_12_GLOBAL__N_116CompareEqFunctorIS4_EEEESt5arrayIPcLm3EEEEviT0_T1_.has_indirect_call, 0
	.section	.AMDGPU.csdata,"",@progbits
; Kernel info:
; codeLenInByte = 5888
; TotalNumSgprs: 25
; NumVgprs: 39
; ScratchSize: 0
; MemoryBound: 0
; FloatMode: 240
; IeeeMode: 1
; LDSByteSize: 0 bytes/workgroup (compile time only)
; SGPRBlocks: 0
; VGPRBlocks: 2
; NumSGPRsForWavesPerEU: 25
; NumVGPRsForWavesPerEU: 39
; NamedBarCnt: 0
; Occupancy: 16
; WaveLimiterHint : 1
; COMPUTE_PGM_RSRC2:SCRATCH_EN: 0
; COMPUTE_PGM_RSRC2:USER_SGPR: 2
; COMPUTE_PGM_RSRC2:TRAP_HANDLER: 0
; COMPUTE_PGM_RSRC2:TGID_X_EN: 1
; COMPUTE_PGM_RSRC2:TGID_Y_EN: 0
; COMPUTE_PGM_RSRC2:TGID_Z_EN: 0
; COMPUTE_PGM_RSRC2:TIDIG_COMP_CNT: 0
	.section	.text._ZN2at6native29vectorized_elementwise_kernelILi4ENS0_13BinaryFunctorIN3c1016Float4_e2m1fn_x2ES4_bNS0_12_GLOBAL__N_116CompareEqFunctorIS4_EEEESt5arrayIPcLm3EEEEviT0_T1_,"axG",@progbits,_ZN2at6native29vectorized_elementwise_kernelILi4ENS0_13BinaryFunctorIN3c1016Float4_e2m1fn_x2ES4_bNS0_12_GLOBAL__N_116CompareEqFunctorIS4_EEEESt5arrayIPcLm3EEEEviT0_T1_,comdat
	.globl	_ZN2at6native29vectorized_elementwise_kernelILi4ENS0_13BinaryFunctorIN3c1016Float4_e2m1fn_x2ES4_bNS0_12_GLOBAL__N_116CompareEqFunctorIS4_EEEESt5arrayIPcLm3EEEEviT0_T1_ ; -- Begin function _ZN2at6native29vectorized_elementwise_kernelILi4ENS0_13BinaryFunctorIN3c1016Float4_e2m1fn_x2ES4_bNS0_12_GLOBAL__N_116CompareEqFunctorIS4_EEEESt5arrayIPcLm3EEEEviT0_T1_
	.p2align	8
	.type	_ZN2at6native29vectorized_elementwise_kernelILi4ENS0_13BinaryFunctorIN3c1016Float4_e2m1fn_x2ES4_bNS0_12_GLOBAL__N_116CompareEqFunctorIS4_EEEESt5arrayIPcLm3EEEEviT0_T1_,@function
_ZN2at6native29vectorized_elementwise_kernelILi4ENS0_13BinaryFunctorIN3c1016Float4_e2m1fn_x2ES4_bNS0_12_GLOBAL__N_116CompareEqFunctorIS4_EEEESt5arrayIPcLm3EEEEviT0_T1_: ; @_ZN2at6native29vectorized_elementwise_kernelILi4ENS0_13BinaryFunctorIN3c1016Float4_e2m1fn_x2ES4_bNS0_12_GLOBAL__N_116CompareEqFunctorIS4_EEEESt5arrayIPcLm3EEEEviT0_T1_
; %bb.0:
	s_clause 0x2
	s_load_b64 s[14:15], s[0:1], 0x0
	s_load_b128 s[8:11], s[0:1], 0x8
	s_load_b64 s[16:17], s[0:1], 0x18
	s_wait_xcnt 0x0
	s_bfe_u32 s0, ttmp6, 0x4000c
	s_and_b32 s1, ttmp6, 15
	s_add_co_i32 s0, s0, 1
	s_getreg_b32 s2, hwreg(HW_REG_IB_STS2, 6, 4)
	s_mul_i32 s0, ttmp9, s0
	s_delay_alu instid0(SALU_CYCLE_1) | instskip(SKIP_2) | instid1(SALU_CYCLE_1)
	s_add_co_i32 s1, s1, s0
	s_cmp_eq_u32 s2, 0
	s_cselect_b32 s0, ttmp9, s1
	s_lshl_b32 s12, s0, 12
	s_mov_b32 s0, -1
	s_wait_kmcnt 0x0
	s_sub_co_i32 s14, s14, s12
	s_delay_alu instid0(SALU_CYCLE_1)
	s_cmp_gt_i32 s14, 0xfff
	s_cbranch_scc0 .LBB375_2
; %bb.1:
	s_ashr_i32 s13, s12, 31
	s_cmp_eq_u32 s15, 0
	s_add_nc_u64 s[0:1], s[10:11], s[12:13]
	s_cselect_b32 s18, -1, 0
	s_clause 0x3
	global_load_b32 v1, v0, s[0:1] scale_offset
	global_load_b32 v2, v0, s[0:1] offset:1024 scale_offset
	global_load_b32 v3, v0, s[0:1] offset:2048 scale_offset
	;; [unrolled: 1-line block ×3, first 2 shown]
	s_wait_xcnt 0x0
	s_add_nc_u64 s[0:1], s[16:17], s[12:13]
	s_clause 0x3
	global_load_b32 v5, v0, s[0:1] scale_offset
	global_load_b32 v6, v0, s[0:1] offset:1024 scale_offset
	global_load_b32 v7, v0, s[0:1] offset:2048 scale_offset
	;; [unrolled: 1-line block ×3, first 2 shown]
	s_wait_loadcnt 0x7
	v_and_b32_e32 v9, 0xff, v1
	v_dual_lshrrev_b32 v10, 8, v1 :: v_dual_lshrrev_b32 v11, 16, v1
	s_wait_loadcnt 0x3
	v_xor_b32_e32 v1, v5, v1
	v_and_b32_e32 v12, 0xff, v2
	s_wait_loadcnt 0x2
	v_and_b32_e32 v24, 0xff, v6
	v_dual_lshrrev_b32 v13, 8, v2 :: v_dual_lshrrev_b32 v14, 16, v2
	v_dual_lshrrev_b32 v19, 8, v4 :: v_dual_lshrrev_b32 v20, 16, v4
	;; [unrolled: 1-line block ×3, first 2 shown]
	v_xor_b32_e32 v2, v6, v2
	s_wait_xcnt 0x0
	v_cmp_lt_u32_e64 s0, 0xffffff, v1
	v_and_b32_e32 v15, 0xff, v3
	s_wait_loadcnt 0x1
	v_and_b32_e32 v27, 0xff, v7
	v_cmp_ne_u16_e64 s1, v12, v24
	v_dual_lshrrev_b32 v16, 8, v3 :: v_dual_lshrrev_b32 v17, 16, v3
	v_and_b32_e32 v21, 0xff, v5
	v_dual_lshrrev_b32 v22, 8, v5 :: v_dual_lshrrev_b32 v23, 16, v5
	v_dual_lshrrev_b32 v28, 8, v7 :: v_dual_lshrrev_b32 v29, 16, v7
	v_xor_b32_e32 v3, v7, v3
	v_and_b32_e32 v7, 0xff, v13
	v_and_b32_e32 v13, 0xff, v19
	;; [unrolled: 1-line block ×3, first 2 shown]
	v_cmp_lt_u32_e64 s2, 0xffffff, v2
	v_and_b32_e32 v18, 0xff, v4
	s_wait_loadcnt 0x0
	v_and_b32_e32 v30, 0xff, v8
	s_xor_b32 s0, s18, s0
	v_dual_lshrrev_b32 v31, 8, v8 :: v_dual_lshrrev_b32 v32, 16, v8
	v_xor_b32_e32 v4, v8, v4
	v_and_b32_e32 v8, 0xff, v14
	v_and_b32_e32 v14, 0xff, v20
	v_and_b32_e32 v20, 0xff, v26
	v_cmp_ne_u16_e64 s3, v15, v27
	v_cndmask_b32_e64 v2, 0, 1, s0
	s_xor_b32 s0, s18, s1
	v_and_b32_e32 v5, 0xff, v10
	v_and_b32_e32 v10, 0xff, v16
	v_and_b32_e32 v16, 0xff, v22
	v_and_b32_e32 v22, 0xff, v28
	v_cmp_ne_u16_e32 vcc_lo, v9, v21
	v_cmp_lt_u32_e64 s4, 0xffffff, v3
	v_cndmask_b32_e64 v3, 0, 1, s0
	v_cmp_ne_u16_e64 s0, v7, v19
	s_xor_b32 s2, s18, s2
	v_and_b32_e32 v6, 0xff, v11
	v_and_b32_e32 v11, 0xff, v17
	;; [unrolled: 1-line block ×4, first 2 shown]
	v_cmp_ne_u16_e64 s5, v18, v30
	v_cmp_lt_u32_e64 s6, 0xffffff, v4
	v_cmp_ne_u16_e64 s1, v8, v20
	v_cndmask_b32_e64 v4, 0, 1, s2
	s_xor_b32 s2, s18, s3
	v_and_b32_e32 v25, 0xff, v31
	s_xor_b32 s7, s18, vcc_lo
	v_cmp_ne_u16_e32 vcc_lo, v5, v16
	v_cndmask_b32_e64 v5, 0, 1, s2
	v_cmp_ne_u16_e64 s2, v10, v22
	s_xor_b32 s4, s18, s4
	s_xor_b32 s0, s18, s0
	v_cndmask_b32_e64 v1, 0, 1, s7
	v_cmp_ne_u16_e64 s7, v6, v17
	v_cmp_ne_u16_e64 s3, v11, v23
	v_cndmask_b32_e64 v6, 0, 1, s4
	s_xor_b32 s4, s18, s5
	v_cndmask_b32_e64 v11, 0, 1, s0
	s_xor_b32 s0, s18, s1
	v_and_b32_e32 v26, 0xff, v32
	v_cndmask_b32_e64 v7, 0, 1, s4
	v_cmp_ne_u16_e64 s4, v13, v25
	s_xor_b32 s6, s18, s6
	v_cndmask_b32_e64 v12, 0, 1, s0
	s_xor_b32 s0, s18, s2
	v_cndmask_b32_e64 v8, 0, 1, s6
	s_xor_b32 s6, s18, vcc_lo
	v_cndmask_b32_e64 v13, 0, 1, s0
	s_xor_b32 s0, s18, s3
	v_cndmask_b32_e64 v9, 0, 1, s6
	v_cmp_ne_u16_e64 s5, v14, v26
	v_cndmask_b32_e64 v14, 0, 1, s0
	s_xor_b32 s0, s18, s4
	s_xor_b32 s6, s18, s7
	v_cndmask_b32_e64 v15, 0, 1, s0
	v_cndmask_b32_e64 v10, 0, 1, s6
	v_lshlrev_b16 v2, 8, v2
	v_lshlrev_b16 v9, 8, v9
	s_xor_b32 s0, s18, s5
	v_lshlrev_b16 v4, 8, v4
	v_lshlrev_b16 v11, 8, v11
	;; [unrolled: 1-line block ×4, first 2 shown]
	v_cndmask_b32_e64 v16, 0, 1, s0
	v_lshlrev_b16 v8, 8, v8
	v_lshlrev_b16 v15, 8, v15
	v_or_b32_e32 v2, v10, v2
	v_or_b32_e32 v1, v1, v9
	;; [unrolled: 1-line block ×7, first 2 shown]
	v_dual_lshlrev_b32 v2, 16, v2 :: v_dual_bitop2_b32 v7, v7, v15 bitop3:0x54
	v_and_b32_e32 v1, 0xffff, v1
	v_lshlrev_b32_e32 v4, 16, v4
	v_and_b32_e32 v3, 0xffff, v3
	v_lshlrev_b32_e32 v6, 16, v6
	;; [unrolled: 2-line block ×3, first 2 shown]
	v_and_b32_e32 v7, 0xffff, v7
	v_or_b32_e32 v1, v1, v2
	v_or_b32_e32 v2, v3, v4
	;; [unrolled: 1-line block ×3, first 2 shown]
	s_add_nc_u64 s[2:3], s[8:9], s[12:13]
	v_or_b32_e32 v4, v7, v8
	s_mov_b32 s0, 0
	s_clause 0x3
	global_store_b32 v0, v1, s[2:3] scale_offset
	global_store_b32 v0, v2, s[2:3] offset:1024 scale_offset
	global_store_b32 v0, v3, s[2:3] offset:2048 scale_offset
	;; [unrolled: 1-line block ×3, first 2 shown]
.LBB375_2:
	s_and_not1_b32 vcc_lo, exec_lo, s0
	s_cbranch_vccnz .LBB375_54
; %bb.3:
	v_cmp_le_i32_e64 s0, s14, v0
	s_wait_xcnt 0x3
	v_or_b32_e32 v1, 0x100, v0
	v_cmp_gt_i32_e32 vcc_lo, s14, v0
	s_wait_xcnt 0x0
	s_and_saveexec_b32 s1, s0
	s_delay_alu instid0(SALU_CYCLE_1)
	s_xor_b32 s0, exec_lo, s1
; %bb.4:
	v_or_b32_e32 v1, 0x100, v0
; %bb.5:
	s_or_saveexec_b32 s1, s0
	v_dual_mov_b32 v35, 0 :: v_dual_bitop2_b32 v8, s12, v0 bitop3:0x54
	v_dual_mov_b32 v34, 0 :: v_dual_mov_b32 v36, 0
	v_dual_mov_b32 v33, 0 :: v_dual_mov_b32 v32, 0
	;; [unrolled: 1-line block ×14, first 2 shown]
	v_mov_b32_e32 v28, 0
	s_mov_b32 s5, 0
	s_xor_b32 exec_lo, exec_lo, s1
	s_cbranch_execz .LBB375_37
; %bb.6:
	s_clause 0x1
	global_load_u8 v26, v8, s[10:11]
	global_load_u8 v28, v8, s[16:17]
	v_cmp_gt_u32_e64 s0, s14, v1
	v_dual_mov_b32 v17, 0 :: v_dual_mov_b32 v16, 0
	v_dual_mov_b32 v3, 0 :: v_dual_mov_b32 v10, 0
	;; [unrolled: 1-line block ×14, first 2 shown]
	s_mov_b32 s3, 0
	s_wait_xcnt 0x0
	s_and_saveexec_b32 s2, s0
	s_cbranch_execz .LBB375_36
; %bb.7:
	v_dual_mov_b32 v3, 0 :: v_dual_add_nc_u32 v2, s12, v0
	v_or_b32_e32 v4, 0x200, v0
	v_dual_mov_b32 v10, 0 :: v_dual_mov_b32 v9, 0
	v_mov_b32_e32 v29, 0
	s_clause 0x1
	global_load_u8 v16, v2, s[10:11] offset:256
	global_load_u8 v17, v2, s[16:17] offset:256
	v_cmp_gt_u32_e64 s0, s14, v4
	v_dual_mov_b32 v4, 0 :: v_dual_mov_b32 v30, 0
	v_dual_mov_b32 v25, 0 :: v_dual_mov_b32 v27, 0
	;; [unrolled: 1-line block ×11, first 2 shown]
	s_mov_b32 s4, 0
	s_wait_xcnt 0x0
	s_and_saveexec_b32 s3, s0
	s_cbranch_execz .LBB375_35
; %bb.8:
	v_add_nc_u64_e32 v[4:5], s[10:11], v[2:3]
	v_add_nc_u64_e32 v[6:7], s[16:17], v[2:3]
	v_or_b32_e32 v9, 0x300, v0
	v_dual_mov_b32 v30, 0 :: v_dual_mov_b32 v25, 0
	v_dual_mov_b32 v29, 0 :: v_dual_mov_b32 v27, 0
	v_mov_b32_e32 v22, 0
	global_load_u8 v10, v[4:5], off offset:512
	global_load_u8 v2, v[6:7], off offset:512
	v_cmp_gt_u32_e64 s0, s14, v9
	v_dual_mov_b32 v9, 0 :: v_dual_mov_b32 v24, 0
	v_dual_mov_b32 v18, 0 :: v_dual_mov_b32 v19, 0
	;; [unrolled: 1-line block ×9, first 2 shown]
	s_wait_xcnt 0x0
	s_and_saveexec_b32 s4, s0
	s_cbranch_execz .LBB375_34
; %bb.9:
	global_load_u8 v9, v[4:5], off offset:768
	global_load_u8 v3, v[6:7], off offset:768
	v_or_b32_e32 v11, 0x400, v0
	v_dual_mov_b32 v29, 0 :: v_dual_mov_b32 v30, 0
	v_dual_mov_b32 v25, 0 :: v_dual_mov_b32 v27, 0
	s_delay_alu instid0(VALU_DEP_3)
	v_cmp_gt_u32_e64 s0, s14, v11
	v_dual_mov_b32 v22, 0 :: v_dual_mov_b32 v24, 0
	v_dual_mov_b32 v18, 0 :: v_dual_mov_b32 v19, 0
	;; [unrolled: 1-line block ×9, first 2 shown]
	s_mov_b32 s6, 0
	s_wait_xcnt 0x0
	s_and_saveexec_b32 s5, s0
	s_cbranch_execz .LBB375_33
; %bb.10:
	global_load_u8 v30, v[4:5], off offset:1024
	global_load_u8 v29, v[6:7], off offset:1024
	v_or_b32_e32 v11, 0x500, v0
	v_dual_mov_b32 v25, 0 :: v_dual_mov_b32 v27, 0
	v_dual_mov_b32 v22, 0 :: v_dual_mov_b32 v24, 0
	s_delay_alu instid0(VALU_DEP_3)
	v_cmp_gt_u32_e64 s0, s14, v11
	v_dual_mov_b32 v18, 0 :: v_dual_mov_b32 v19, 0
	v_dual_mov_b32 v20, 0 :: v_dual_mov_b32 v21, 0
	;; [unrolled: 1-line block ×8, first 2 shown]
	s_mov_b32 s7, 0
	s_wait_xcnt 0x0
	s_and_saveexec_b32 s6, s0
	s_cbranch_execz .LBB375_32
; %bb.11:
	global_load_u8 v27, v[4:5], off offset:1280
	global_load_u8 v25, v[6:7], off offset:1280
	v_or_b32_e32 v11, 0x600, v0
	v_dual_mov_b32 v22, 0 :: v_dual_mov_b32 v24, 0
	v_dual_mov_b32 v18, 0 :: v_dual_mov_b32 v19, 0
	s_delay_alu instid0(VALU_DEP_3)
	v_cmp_gt_u32_e64 s0, s14, v11
	v_dual_mov_b32 v20, 0 :: v_dual_mov_b32 v21, 0
	v_dual_mov_b32 v23, 0 :: v_dual_mov_b32 v13, 0
	;; [unrolled: 1-line block ×7, first 2 shown]
	s_mov_b32 s10, 0
	s_wait_xcnt 0x0
	s_and_saveexec_b32 s7, s0
	s_cbranch_execz .LBB375_31
; %bb.12:
	global_load_u8 v24, v[4:5], off offset:1536
	global_load_u8 v22, v[6:7], off offset:1536
	v_or_b32_e32 v11, 0x700, v0
	v_dual_mov_b32 v18, 0 :: v_dual_mov_b32 v19, 0
	v_dual_mov_b32 v20, 0 :: v_dual_mov_b32 v21, 0
	s_delay_alu instid0(VALU_DEP_3)
	v_cmp_gt_u32_e64 s0, s14, v11
	v_dual_mov_b32 v23, 0 :: v_dual_mov_b32 v13, 0
	v_dual_mov_b32 v11, 0 :: v_dual_mov_b32 v14, 0
	;; [unrolled: 1-line block ×6, first 2 shown]
	s_mov_b32 s11, 0
	s_wait_xcnt 0x0
	s_and_saveexec_b32 s10, s0
	s_cbranch_execz .LBB375_30
; %bb.13:
	global_load_u8 v19, v[4:5], off offset:1792
	global_load_u8 v18, v[6:7], off offset:1792
	v_or_b32_e32 v11, 0x800, v0
	v_dual_mov_b32 v20, 0 :: v_dual_mov_b32 v21, 0
	v_dual_mov_b32 v23, 0 :: v_dual_mov_b32 v13, 0
	s_delay_alu instid0(VALU_DEP_3)
	v_cmp_gt_u32_e64 s0, s14, v11
	v_dual_mov_b32 v11, 0 :: v_dual_mov_b32 v14, 0
	v_dual_mov_b32 v12, 0 :: v_dual_mov_b32 v15, 0
	;; [unrolled: 1-line block ×5, first 2 shown]
	s_mov_b32 s13, 0
	s_wait_xcnt 0x0
	s_and_saveexec_b32 s11, s0
	s_cbranch_execz .LBB375_29
; %bb.14:
	global_load_u8 v21, v[4:5], off offset:2048
	global_load_u8 v20, v[6:7], off offset:2048
	v_or_b32_e32 v11, 0x900, v0
	v_dual_mov_b32 v23, 0 :: v_dual_mov_b32 v13, 0
	v_dual_mov_b32 v12, 0 :: v_dual_mov_b32 v15, 0
	s_delay_alu instid0(VALU_DEP_3)
	v_cmp_gt_u32_e64 s0, s14, v11
	v_dual_mov_b32 v11, 0 :: v_dual_mov_b32 v14, 0
	v_dual_mov_b32 v31, 0 :: v_dual_mov_b32 v32, 0
	;; [unrolled: 1-line block ×4, first 2 shown]
	s_mov_b32 s16, 0
	s_wait_xcnt 0x0
	s_and_saveexec_b32 s13, s0
	s_cbranch_execz .LBB375_28
; %bb.15:
	global_load_u8 v13, v[4:5], off offset:2304
	global_load_u8 v23, v[6:7], off offset:2304
	v_or_b32_e32 v11, 0xa00, v0
	v_dual_mov_b32 v12, 0 :: v_dual_mov_b32 v15, 0
	v_dual_mov_b32 v31, 0 :: v_dual_mov_b32 v32, 0
	s_delay_alu instid0(VALU_DEP_3)
	v_cmp_gt_u32_e64 s0, s14, v11
	v_dual_mov_b32 v11, 0 :: v_dual_mov_b32 v14, 0
	v_dual_mov_b32 v33, 0 :: v_dual_mov_b32 v36, 0
	;; [unrolled: 1-line block ×3, first 2 shown]
	s_mov_b32 s17, 0
	s_wait_xcnt 0x0
	s_and_saveexec_b32 s16, s0
	s_cbranch_execz .LBB375_27
; %bb.16:
	global_load_u8 v14, v[4:5], off offset:2560
	global_load_u8 v11, v[6:7], off offset:2560
	v_or_b32_e32 v12, 0xb00, v0
	v_dual_mov_b32 v31, 0 :: v_dual_mov_b32 v32, 0
	v_dual_mov_b32 v33, 0 :: v_dual_mov_b32 v36, 0
	s_delay_alu instid0(VALU_DEP_3)
	v_cmp_gt_u32_e64 s0, s14, v12
	v_dual_mov_b32 v12, 0 :: v_dual_mov_b32 v15, 0
	v_dual_mov_b32 v34, 0 :: v_dual_mov_b32 v35, 0
	s_mov_b32 s18, 0
	s_wait_xcnt 0x0
	s_and_saveexec_b32 s17, s0
	s_cbranch_execz .LBB375_26
; %bb.17:
	global_load_u8 v15, v[4:5], off offset:2816
	global_load_u8 v12, v[6:7], off offset:2816
	v_or_b32_e32 v31, 0xc00, v0
	v_dual_mov_b32 v33, 0 :: v_dual_mov_b32 v36, 0
	v_dual_mov_b32 v34, 0 :: v_dual_mov_b32 v35, 0
	s_delay_alu instid0(VALU_DEP_3)
	v_cmp_gt_u32_e64 s0, s14, v31
	v_dual_mov_b32 v31, 0 :: v_dual_mov_b32 v32, 0
	s_mov_b32 s19, 0
	s_wait_xcnt 0x0
	s_and_saveexec_b32 s18, s0
	s_cbranch_execz .LBB375_25
; %bb.18:
	global_load_u8 v32, v[4:5], off offset:3072
	global_load_u8 v31, v[6:7], off offset:3072
	v_or_b32_e32 v33, 0xd00, v0
	v_dual_mov_b32 v34, 0 :: v_dual_mov_b32 v35, 0
	s_mov_b32 s20, 0
	v_mov_b32_e32 v36, 0
	s_delay_alu instid0(VALU_DEP_3)
	v_cmp_gt_u32_e64 s0, s14, v33
	v_mov_b32_e32 v33, 0
	s_wait_xcnt 0x0
	s_and_saveexec_b32 s19, s0
	s_cbranch_execz .LBB375_24
; %bb.19:
	global_load_u8 v36, v[4:5], off offset:3328
	global_load_u8 v33, v[6:7], off offset:3328
	v_or_b32_e32 v34, 0xe00, v0
	s_mov_b32 s21, 0
	v_mov_b32_e32 v35, 0
	s_delay_alu instid0(VALU_DEP_2)
	v_cmp_gt_u32_e64 s0, s14, v34
	v_mov_b32_e32 v34, 0
	s_wait_xcnt 0x0
	s_and_saveexec_b32 s20, s0
	s_cbranch_execz .LBB375_23
; %bb.20:
	global_load_u8 v35, v[4:5], off offset:3584
	global_load_u8 v34, v[6:7], off offset:3584
	v_or_b32_e32 v37, 0xf00, v0
	s_mov_b32 s22, 0
	s_mov_b32 s21, exec_lo
	s_wait_xcnt 0x0
	s_delay_alu instid0(VALU_DEP_1)
	v_cmpx_gt_u32_e64 s14, v37
	s_cbranch_execz .LBB375_22
; %bb.21:
	global_load_u8 v37, v[4:5], off offset:3840
	global_load_u8 v38, v[6:7], off offset:3840
	s_wait_loadcnt 0x0
	v_cmp_ne_u16_e64 s0, v37, v38
	s_and_b32 s22, s0, exec_lo
.LBB375_22:
	s_wait_xcnt 0x0
	s_or_b32 exec_lo, exec_lo, s21
	s_delay_alu instid0(SALU_CYCLE_1)
	s_and_b32 s21, s22, exec_lo
.LBB375_23:
	s_or_b32 exec_lo, exec_lo, s20
	s_delay_alu instid0(SALU_CYCLE_1)
	s_and_b32 s20, s21, exec_lo
.LBB375_24:
	s_or_b32 exec_lo, exec_lo, s19
	s_delay_alu instid0(SALU_CYCLE_1)
	s_and_b32 s19, s20, exec_lo
.LBB375_25:
	s_or_b32 exec_lo, exec_lo, s18
	s_delay_alu instid0(SALU_CYCLE_1)
	s_and_b32 s18, s19, exec_lo
.LBB375_26:
	s_or_b32 exec_lo, exec_lo, s17
	s_delay_alu instid0(SALU_CYCLE_1)
	s_and_b32 s17, s18, exec_lo
.LBB375_27:
	s_or_b32 exec_lo, exec_lo, s16
	s_delay_alu instid0(SALU_CYCLE_1)
	s_and_b32 s16, s17, exec_lo
.LBB375_28:
	s_or_b32 exec_lo, exec_lo, s13
	s_delay_alu instid0(SALU_CYCLE_1)
	s_and_b32 s13, s16, exec_lo
.LBB375_29:
	s_or_b32 exec_lo, exec_lo, s11
	s_delay_alu instid0(SALU_CYCLE_1)
	s_and_b32 s11, s13, exec_lo
.LBB375_30:
	s_or_b32 exec_lo, exec_lo, s10
	s_delay_alu instid0(SALU_CYCLE_1)
	s_and_b32 s10, s11, exec_lo
.LBB375_31:
	s_or_b32 exec_lo, exec_lo, s7
	s_delay_alu instid0(SALU_CYCLE_1)
	s_and_b32 s7, s10, exec_lo
.LBB375_32:
	s_or_b32 exec_lo, exec_lo, s6
	s_delay_alu instid0(SALU_CYCLE_1)
	s_and_b32 s6, s7, exec_lo
.LBB375_33:
	s_or_b32 exec_lo, exec_lo, s5
	s_delay_alu instid0(SALU_CYCLE_1)
	s_and_b32 s5, s6, exec_lo
.LBB375_34:
	s_or_b32 exec_lo, exec_lo, s4
	s_wait_loadcnt 0x0
	v_dual_mov_b32 v4, v3 :: v_dual_mov_b32 v3, v2
	s_and_b32 s4, s5, exec_lo
.LBB375_35:
	s_or_b32 exec_lo, exec_lo, s3
	s_delay_alu instid0(SALU_CYCLE_1)
	s_and_b32 s3, s4, exec_lo
.LBB375_36:
	s_or_b32 exec_lo, exec_lo, s2
	s_delay_alu instid0(SALU_CYCLE_1)
	s_and_b32 s5, s3, exec_lo
.LBB375_37:
	s_or_b32 exec_lo, exec_lo, s1
	s_wait_loadcnt 0x0
	v_and_b32_e32 v2, 0xff, v28
	v_and_b32_e32 v5, 0xff, v26
	;; [unrolled: 1-line block ×4, first 2 shown]
	s_cmp_eq_u32 s15, 0
	v_and_b32_e32 v3, 0xff, v3
	v_cmp_ne_u16_e64 s0, v5, v2
	s_cselect_b32 s6, -1, 0
	v_cmp_ne_u16_e64 s1, v7, v6
	v_and_b32_e32 v2, 0xff, v17
	v_and_b32_e32 v6, 0xff, v16
	s_xor_b32 s0, s6, s0
	v_and_b32_e32 v16, 0xff, v25
	v_cndmask_b32_e64 v5, 0, 1, s0
	s_xor_b32 s0, s6, s1
	v_and_b32_e32 v17, 0xff, v27
	v_cndmask_b32_e64 v7, 0, 1, s0
	v_cmp_ne_u16_e64 s0, v6, v2
	v_cndmask_b32_e32 v2, 0, v5, vcc_lo
	v_and_b32_e32 v10, 0xff, v10
	v_cmp_ne_u16_e64 s1, v17, v16
	v_bitop3_b16 v5, v7, 0, 0xff00 bitop3:0xf8
	v_or_b32_e32 v7, 0x400, v0
	s_xor_b32 s0, s6, s0
	v_and_b32_e32 v4, 0xff, v4
	v_cndmask_b32_e64 v6, 0, 1, s0
	s_xor_b32 s0, s6, s1
	v_and_b32_e32 v5, 0xffff, v5
	v_cndmask_b32_e64 v16, 0, 1, s0
	v_cmp_gt_i32_e64 s0, s14, v7
	v_lshlrev_b16 v6, 8, v6
	v_cmp_gt_i32_e64 s1, s14, v1
	v_and_b32_e32 v17, 0xff, v33
	v_lshlrev_b16 v7, 8, v16
	v_cndmask_b32_e64 v5, 0, v5, s0
	v_cmp_ne_u16_e64 s0, v10, v3
	v_or_b32_e32 v3, 0x500, v0
	v_and_b32_e32 v10, 0xff, v22
	v_and_b32_e32 v16, 0xff, v24
	v_bitop3_b16 v7, v5, v7, 0xff bitop3:0xec
	s_xor_b32 s0, s6, s0
	v_and_b32_e32 v13, 0xff, v13
	v_and_b32_e32 v11, 0xff, v11
	;; [unrolled: 1-line block ×4, first 2 shown]
	v_or_b32_e32 v6, v2, v6
	s_delay_alu instid0(VALU_DEP_1) | instskip(NEXT) | instid1(VALU_DEP_1)
	v_and_b32_e32 v6, 0xffff, v6
	v_cndmask_b32_e64 v2, v2, v6, s1
	v_cmp_gt_i32_e64 s1, s14, v3
	v_and_b32_e32 v6, 0xff, v9
	s_delay_alu instid0(VALU_DEP_2)
	v_cndmask_b32_e64 v3, v5, v7, s1
	v_cmp_ne_u16_e64 s1, v16, v10
	v_cndmask_b32_e64 v5, 0, 1, s0
	v_or_b32_e32 v10, 0x200, v0
	v_and_b32_e32 v16, 0xff, v32
	v_lshrrev_b32_e32 v7, 16, v3
	s_xor_b32 s0, s6, s1
	v_lshl_or_b32 v5, v5, 16, v2
	v_cndmask_b32_e64 v9, 0, 1, s0
	v_cmp_ne_u16_e64 s0, v6, v4
	v_cmp_gt_i32_e64 s1, s14, v10
	v_and_b32_e32 v10, 0xff, v31
	s_delay_alu instid0(VALU_DEP_4)
	v_bitop3_b16 v4, v9, v7, 0xff00 bitop3:0xf8
	s_xor_b32 s0, s6, s0
	v_cndmask_b32_e64 v2, v2, v5, s1
	v_cndmask_b32_e64 v5, 0, 1, s0
	v_or_b32_e32 v7, 0x600, v0
	v_lshlrev_b32_e32 v4, 16, v4
	v_cmp_ne_u16_e64 s1, v16, v10
	v_and_b32_e32 v9, 0xff, v23
	v_lshlrev_b16 v5, 8, v5
	v_cmp_gt_i32_e64 s0, s14, v7
	v_and_or_b32 v4, 0xffff, v3, v4
	v_lshrrev_b32_e32 v6, 16, v2
	s_xor_b32 s1, s6, s1
	v_cmp_ne_u16_e64 s4, v13, v9
	v_or_b32_e32 v16, 0xd00, v0
	v_cndmask_b32_e64 v3, v3, v4, s0
	v_bitop3_b16 v5, v6, v5, 0xff bitop3:0xec
	v_and_b32_e32 v4, 0xff, v18
	v_and_b32_e32 v6, 0xff, v19
	;; [unrolled: 1-line block ×3, first 2 shown]
	v_or_b32_e32 v19, 0x800, v0
	v_or_b32_e32 v13, 0x900, v0
	v_dual_lshlrev_b32 v5, 16, v5 :: v_dual_lshrrev_b32 v7, 16, v3
	v_cmp_ne_u16_e64 s0, v6, v4
	v_and_b32_e32 v4, 0xff, v20
	v_and_b32_e32 v6, 0xff, v21
	v_cmp_ne_u16_e64 s3, v18, v17
	v_and_b32_e32 v17, 0xff, v34
	v_and_b32_e32 v18, 0xff, v35
	s_xor_b32 s0, s6, s0
	v_cmp_ne_u16_e64 s2, v6, v4
	v_or_b32_e32 v4, 0xc00, v0
	v_cndmask_b32_e64 v6, 0, 1, s1
	s_xor_b32 s1, s6, s3
	v_and_or_b32 v5, 0xffff, v2, v5
	v_cndmask_b32_e64 v9, 0, 1, s1
	s_xor_b32 s1, s6, s2
	v_cmp_gt_i32_e64 s2, s14, v16
	v_cndmask_b32_e64 v10, 0, 1, s1
	v_cmp_gt_i32_e64 s1, s14, v4
	v_cndmask_b32_e64 v16, 0, 1, s0
	v_cmp_gt_i32_e64 s0, s14, v13
	s_delay_alu instid0(VALU_DEP_3)
	v_cndmask_b32_e64 v4, 0, v6, s1
	s_xor_b32 s1, s6, s4
	v_lshlrev_b16 v6, 8, v9
	v_cndmask_b32_e64 v9, 0, 1, s1
	v_cmp_gt_i32_e64 s1, s14, v19
	v_lshlrev_b16 v13, 8, v16
	s_delay_alu instid0(VALU_DEP_3) | instskip(NEXT) | instid1(VALU_DEP_3)
	v_lshlrev_b16 v9, 8, v9
	v_cndmask_b32_e64 v10, 0, v10, s1
	v_cmp_ne_u16_e64 s1, v14, v11
	s_delay_alu instid0(VALU_DEP_4) | instskip(SKIP_1) | instid1(VALU_DEP_4)
	v_bitop3_b16 v7, v7, v13, 0xff bitop3:0xec
	v_or_b32_e32 v13, 0x300, v0
	v_or_b32_e32 v9, v10, v9
	v_bitop3_b16 v6, v4, v6, 0xff bitop3:0xec
	s_xor_b32 s1, s6, s1
	v_lshlrev_b32_e32 v7, 16, v7
	s_delay_alu instid0(VALU_DEP_2) | instskip(NEXT) | instid1(VALU_DEP_2)
	v_and_b32_e32 v6, 0xffff, v6
	v_and_or_b32 v7, 0xffff, v3, v7
	s_delay_alu instid0(VALU_DEP_2) | instskip(SKIP_3) | instid1(VALU_DEP_4)
	v_cndmask_b32_e64 v4, v4, v6, s2
	v_cmp_ne_u16_e64 s2, v18, v17
	v_and_b32_e32 v6, 0xffff, v9
	v_cndmask_b32_e64 v9, 0, 1, s1
	v_lshrrev_b32_e32 v11, 16, v4
	s_xor_b32 s1, s6, s2
	s_delay_alu instid0(VALU_DEP_3) | instskip(SKIP_1) | instid1(VALU_DEP_1)
	v_cndmask_b32_e64 v6, v10, v6, s0
	v_cndmask_b32_e64 v14, 0, 1, s1
	v_bitop3_b16 v10, v14, v11, 0xff00 bitop3:0xf8
	v_and_b32_e32 v11, 0xff, v12
	v_and_b32_e32 v12, 0xff, v15
	v_lshlrev_b32_e32 v9, 16, v9
	v_or_b32_e32 v14, 0xa00, v0
	v_lshlrev_b32_e32 v10, 16, v10
	s_delay_alu instid0(VALU_DEP_4) | instskip(NEXT) | instid1(VALU_DEP_4)
	v_cmp_ne_u16_e64 s0, v12, v11
	v_and_or_b32 v9, 0x1ff, v6, v9
	v_or_b32_e32 v11, 0xe00, v0
	v_cmp_gt_i32_e64 s1, s14, v14
	v_and_or_b32 v10, 0xffff, v4, v10
	s_xor_b32 s0, s6, s0
	v_cndmask_b32_e64 v6, v6, v9, s1
	v_cndmask_b32_e64 v9, 0, 1, s0
	v_cmp_gt_i32_e64 s0, s14, v11
	s_delay_alu instid0(VALU_DEP_2) | instskip(NEXT) | instid1(VALU_DEP_2)
	v_lshlrev_b16 v9, 8, v9
	v_cndmask_b32_e64 v10, v4, v10, s0
	s_xor_b32 s0, s6, s5
	v_lshrrev_b32_e32 v11, 16, v6
	v_cndmask_b32_e64 v4, 0, 1, s0
	v_cmp_gt_i32_e64 s0, s14, v13
	v_lshrrev_b32_e32 v12, 16, v10
	s_delay_alu instid0(VALU_DEP_4) | instskip(NEXT) | instid1(VALU_DEP_4)
	v_bitop3_b16 v9, v11, v9, 0xff bitop3:0xec
	v_lshlrev_b16 v4, 8, v4
	s_delay_alu instid0(VALU_DEP_4) | instskip(SKIP_1) | instid1(VALU_DEP_3)
	v_cndmask_b32_e64 v5, v2, v5, s0
	v_or_b32_e32 v11, 0xb00, v0
	v_bitop3_b16 v4, v12, v4, 0xff bitop3:0xec
	v_lshlrev_b32_e32 v2, 16, v9
	v_or_b32_e32 v9, 0x700, v0
	v_or_b32_e32 v12, 0xf00, v0
	s_delay_alu instid0(VALU_DEP_4) | instskip(NEXT) | instid1(VALU_DEP_4)
	v_lshlrev_b32_e32 v4, 16, v4
	v_and_or_b32 v2, 0xffff, v6, v2
	s_delay_alu instid0(VALU_DEP_4) | instskip(NEXT) | instid1(VALU_DEP_3)
	v_cmp_gt_i32_e64 s0, s14, v9
	v_and_or_b32 v13, 0xffff, v10, v4
	s_delay_alu instid0(VALU_DEP_2) | instskip(SKIP_1) | instid1(VALU_DEP_1)
	v_cndmask_b32_e64 v4, v3, v7, s0
	v_cmp_gt_i32_e64 s0, s14, v11
	v_cndmask_b32_e64 v3, v6, v2, s0
	v_cmp_gt_i32_e64 s0, s14, v12
	s_delay_alu instid0(VALU_DEP_1)
	v_cndmask_b32_e64 v2, v10, v13, s0
	s_and_saveexec_b32 s0, vcc_lo
	s_cbranch_execnz .LBB375_55
; %bb.38:
	s_or_b32 exec_lo, exec_lo, s0
	s_delay_alu instid0(SALU_CYCLE_1)
	s_mov_b32 s0, exec_lo
	v_cmpx_gt_i32_e64 s14, v0
	s_cbranch_execnz .LBB375_56
.LBB375_39:
	s_or_b32 exec_lo, exec_lo, s0
	s_delay_alu instid0(SALU_CYCLE_1)
	s_mov_b32 s0, exec_lo
	v_cmpx_gt_i32_e64 s14, v0
	s_cbranch_execnz .LBB375_57
.LBB375_40:
	s_or_b32 exec_lo, exec_lo, s0
	s_delay_alu instid0(SALU_CYCLE_1)
	s_mov_b32 s0, exec_lo
	v_cmpx_gt_i32_e64 s14, v0
	s_cbranch_execnz .LBB375_58
.LBB375_41:
	s_or_b32 exec_lo, exec_lo, s0
	s_delay_alu instid0(SALU_CYCLE_1)
	s_mov_b32 s0, exec_lo
	v_cmpx_gt_i32_e64 s14, v0
	s_cbranch_execnz .LBB375_59
.LBB375_42:
	s_or_b32 exec_lo, exec_lo, s0
	s_delay_alu instid0(SALU_CYCLE_1)
	s_mov_b32 s0, exec_lo
	v_cmpx_gt_i32_e64 s14, v0
	s_cbranch_execnz .LBB375_60
.LBB375_43:
	s_or_b32 exec_lo, exec_lo, s0
	s_delay_alu instid0(SALU_CYCLE_1)
	s_mov_b32 s0, exec_lo
	v_cmpx_gt_i32_e64 s14, v0
	s_cbranch_execnz .LBB375_61
.LBB375_44:
	s_or_b32 exec_lo, exec_lo, s0
	s_delay_alu instid0(SALU_CYCLE_1)
	s_mov_b32 s0, exec_lo
	v_cmpx_gt_i32_e64 s14, v0
	s_cbranch_execnz .LBB375_62
.LBB375_45:
	s_or_b32 exec_lo, exec_lo, s0
	s_delay_alu instid0(SALU_CYCLE_1)
	s_mov_b32 s0, exec_lo
	v_cmpx_gt_i32_e64 s14, v0
	s_cbranch_execnz .LBB375_63
.LBB375_46:
	s_or_b32 exec_lo, exec_lo, s0
	s_delay_alu instid0(SALU_CYCLE_1)
	s_mov_b32 s0, exec_lo
	v_cmpx_gt_i32_e64 s14, v0
	s_cbranch_execnz .LBB375_64
.LBB375_47:
	s_or_b32 exec_lo, exec_lo, s0
	s_delay_alu instid0(SALU_CYCLE_1)
	s_mov_b32 s0, exec_lo
	v_cmpx_gt_i32_e64 s14, v0
	s_cbranch_execnz .LBB375_65
.LBB375_48:
	s_or_b32 exec_lo, exec_lo, s0
	s_delay_alu instid0(SALU_CYCLE_1)
	s_mov_b32 s0, exec_lo
	v_cmpx_gt_i32_e64 s14, v0
	s_cbranch_execnz .LBB375_66
.LBB375_49:
	s_or_b32 exec_lo, exec_lo, s0
	s_delay_alu instid0(SALU_CYCLE_1)
	s_mov_b32 s0, exec_lo
	v_cmpx_gt_i32_e64 s14, v0
	s_cbranch_execnz .LBB375_67
.LBB375_50:
	s_or_b32 exec_lo, exec_lo, s0
	s_delay_alu instid0(SALU_CYCLE_1)
	s_mov_b32 s0, exec_lo
	v_cmpx_gt_i32_e64 s14, v0
	s_cbranch_execnz .LBB375_68
.LBB375_51:
	s_or_b32 exec_lo, exec_lo, s0
	s_delay_alu instid0(SALU_CYCLE_1)
	s_mov_b32 s0, exec_lo
	v_cmpx_gt_i32_e64 s14, v0
	s_cbranch_execnz .LBB375_69
.LBB375_52:
	s_or_b32 exec_lo, exec_lo, s0
	s_delay_alu instid0(SALU_CYCLE_1)
	s_mov_b32 s0, exec_lo
	v_cmpx_gt_i32_e64 s14, v0
	s_cbranch_execz .LBB375_54
.LBB375_53:
	v_dual_lshrrev_b32 v1, 24, v2 :: v_dual_add_nc_u32 v0, s12, v0
	global_store_b8 v0, v1, s[8:9]
.LBB375_54:
	s_endpgm
.LBB375_55:
	v_mov_b32_e32 v0, v1
	global_store_b8 v8, v5, s[8:9]
	s_wait_xcnt 0x0
	s_or_b32 exec_lo, exec_lo, s0
	s_delay_alu instid0(SALU_CYCLE_1)
	s_mov_b32 s0, exec_lo
	v_cmpx_gt_i32_e64 s14, v0
	s_cbranch_execz .LBB375_39
.LBB375_56:
	v_dual_lshrrev_b32 v1, 8, v5 :: v_dual_add_nc_u32 v6, s12, v0
	v_add_nc_u32_e32 v0, 0x100, v0
	global_store_b8 v6, v1, s[8:9]
	s_wait_xcnt 0x0
	s_or_b32 exec_lo, exec_lo, s0
	s_delay_alu instid0(SALU_CYCLE_1)
	s_mov_b32 s0, exec_lo
	v_cmpx_gt_i32_e64 s14, v0
	s_cbranch_execz .LBB375_40
.LBB375_57:
	v_add_nc_u32_e32 v1, s12, v0
	v_add_nc_u32_e32 v0, 0x100, v0
	global_store_d16_hi_b8 v1, v5, s[8:9]
	s_wait_xcnt 0x0
	s_or_b32 exec_lo, exec_lo, s0
	s_delay_alu instid0(SALU_CYCLE_1)
	s_mov_b32 s0, exec_lo
	v_cmpx_gt_i32_e64 s14, v0
	s_cbranch_execz .LBB375_41
.LBB375_58:
	v_dual_lshrrev_b32 v1, 24, v5 :: v_dual_add_nc_u32 v5, s12, v0
	v_add_nc_u32_e32 v0, 0x100, v0
	global_store_b8 v5, v1, s[8:9]
	s_wait_xcnt 0x0
	s_or_b32 exec_lo, exec_lo, s0
	s_delay_alu instid0(SALU_CYCLE_1)
	s_mov_b32 s0, exec_lo
	v_cmpx_gt_i32_e64 s14, v0
	s_cbranch_execz .LBB375_42
.LBB375_59:
	v_add_nc_u32_e32 v1, s12, v0
	v_add_nc_u32_e32 v0, 0x100, v0
	global_store_b8 v1, v4, s[8:9]
	s_wait_xcnt 0x0
	s_or_b32 exec_lo, exec_lo, s0
	s_delay_alu instid0(SALU_CYCLE_1)
	s_mov_b32 s0, exec_lo
	v_cmpx_gt_i32_e64 s14, v0
	s_cbranch_execz .LBB375_43
.LBB375_60:
	v_lshrrev_b32_e32 v1, 8, v4
	v_add_nc_u32_e32 v5, s12, v0
	v_add_nc_u32_e32 v0, 0x100, v0
	global_store_b8 v5, v1, s[8:9]
	s_wait_xcnt 0x0
	s_or_b32 exec_lo, exec_lo, s0
	s_delay_alu instid0(SALU_CYCLE_1)
	s_mov_b32 s0, exec_lo
	v_cmpx_gt_i32_e64 s14, v0
	s_cbranch_execz .LBB375_44
.LBB375_61:
	v_add_nc_u32_e32 v1, s12, v0
	v_add_nc_u32_e32 v0, 0x100, v0
	global_store_d16_hi_b8 v1, v4, s[8:9]
	s_wait_xcnt 0x0
	s_or_b32 exec_lo, exec_lo, s0
	s_delay_alu instid0(SALU_CYCLE_1)
	s_mov_b32 s0, exec_lo
	v_cmpx_gt_i32_e64 s14, v0
	s_cbranch_execz .LBB375_45
.LBB375_62:
	v_lshrrev_b32_e32 v1, 24, v4
	v_add_nc_u32_e32 v4, s12, v0
	v_add_nc_u32_e32 v0, 0x100, v0
	global_store_b8 v4, v1, s[8:9]
	s_wait_xcnt 0x0
	s_or_b32 exec_lo, exec_lo, s0
	s_delay_alu instid0(SALU_CYCLE_1)
	s_mov_b32 s0, exec_lo
	v_cmpx_gt_i32_e64 s14, v0
	s_cbranch_execz .LBB375_46
.LBB375_63:
	v_add_nc_u32_e32 v1, s12, v0
	v_add_nc_u32_e32 v0, 0x100, v0
	global_store_b8 v1, v3, s[8:9]
	s_wait_xcnt 0x0
	s_or_b32 exec_lo, exec_lo, s0
	s_delay_alu instid0(SALU_CYCLE_1)
	s_mov_b32 s0, exec_lo
	v_cmpx_gt_i32_e64 s14, v0
	s_cbranch_execz .LBB375_47
.LBB375_64:
	v_dual_lshrrev_b32 v1, 8, v3 :: v_dual_add_nc_u32 v4, s12, v0
	v_add_nc_u32_e32 v0, 0x100, v0
	global_store_b8 v4, v1, s[8:9]
	s_wait_xcnt 0x0
	s_or_b32 exec_lo, exec_lo, s0
	s_delay_alu instid0(SALU_CYCLE_1)
	s_mov_b32 s0, exec_lo
	v_cmpx_gt_i32_e64 s14, v0
	s_cbranch_execz .LBB375_48
.LBB375_65:
	v_add_nc_u32_e32 v1, s12, v0
	v_add_nc_u32_e32 v0, 0x100, v0
	global_store_d16_hi_b8 v1, v3, s[8:9]
	s_wait_xcnt 0x0
	s_or_b32 exec_lo, exec_lo, s0
	s_delay_alu instid0(SALU_CYCLE_1)
	s_mov_b32 s0, exec_lo
	v_cmpx_gt_i32_e64 s14, v0
	s_cbranch_execz .LBB375_49
.LBB375_66:
	v_dual_lshrrev_b32 v1, 24, v3 :: v_dual_add_nc_u32 v3, s12, v0
	v_add_nc_u32_e32 v0, 0x100, v0
	global_store_b8 v3, v1, s[8:9]
	s_wait_xcnt 0x0
	s_or_b32 exec_lo, exec_lo, s0
	s_delay_alu instid0(SALU_CYCLE_1)
	s_mov_b32 s0, exec_lo
	v_cmpx_gt_i32_e64 s14, v0
	s_cbranch_execz .LBB375_50
.LBB375_67:
	v_add_nc_u32_e32 v1, s12, v0
	v_add_nc_u32_e32 v0, 0x100, v0
	global_store_b8 v1, v2, s[8:9]
	s_wait_xcnt 0x0
	s_or_b32 exec_lo, exec_lo, s0
	s_delay_alu instid0(SALU_CYCLE_1)
	s_mov_b32 s0, exec_lo
	v_cmpx_gt_i32_e64 s14, v0
	s_cbranch_execz .LBB375_51
.LBB375_68:
	v_dual_lshrrev_b32 v1, 8, v2 :: v_dual_add_nc_u32 v3, s12, v0
	v_add_nc_u32_e32 v0, 0x100, v0
	global_store_b8 v3, v1, s[8:9]
	s_wait_xcnt 0x0
	s_or_b32 exec_lo, exec_lo, s0
	s_delay_alu instid0(SALU_CYCLE_1)
	s_mov_b32 s0, exec_lo
	v_cmpx_gt_i32_e64 s14, v0
	s_cbranch_execz .LBB375_52
.LBB375_69:
	v_add_nc_u32_e32 v1, s12, v0
	v_add_nc_u32_e32 v0, 0x100, v0
	global_store_d16_hi_b8 v1, v2, s[8:9]
	s_wait_xcnt 0x0
	s_or_b32 exec_lo, exec_lo, s0
	s_delay_alu instid0(SALU_CYCLE_1)
	s_mov_b32 s0, exec_lo
	v_cmpx_gt_i32_e64 s14, v0
	s_cbranch_execnz .LBB375_53
	s_branch .LBB375_54
	.section	.rodata,"a",@progbits
	.p2align	6, 0x0
	.amdhsa_kernel _ZN2at6native29vectorized_elementwise_kernelILi4ENS0_13BinaryFunctorIN3c1016Float4_e2m1fn_x2ES4_bNS0_12_GLOBAL__N_116CompareEqFunctorIS4_EEEESt5arrayIPcLm3EEEEviT0_T1_
		.amdhsa_group_segment_fixed_size 0
		.amdhsa_private_segment_fixed_size 0
		.amdhsa_kernarg_size 32
		.amdhsa_user_sgpr_count 2
		.amdhsa_user_sgpr_dispatch_ptr 0
		.amdhsa_user_sgpr_queue_ptr 0
		.amdhsa_user_sgpr_kernarg_segment_ptr 1
		.amdhsa_user_sgpr_dispatch_id 0
		.amdhsa_user_sgpr_kernarg_preload_length 0
		.amdhsa_user_sgpr_kernarg_preload_offset 0
		.amdhsa_user_sgpr_private_segment_size 0
		.amdhsa_wavefront_size32 1
		.amdhsa_uses_dynamic_stack 0
		.amdhsa_enable_private_segment 0
		.amdhsa_system_sgpr_workgroup_id_x 1
		.amdhsa_system_sgpr_workgroup_id_y 0
		.amdhsa_system_sgpr_workgroup_id_z 0
		.amdhsa_system_sgpr_workgroup_info 0
		.amdhsa_system_vgpr_workitem_id 0
		.amdhsa_next_free_vgpr 39
		.amdhsa_next_free_sgpr 23
		.amdhsa_named_barrier_count 0
		.amdhsa_reserve_vcc 1
		.amdhsa_float_round_mode_32 0
		.amdhsa_float_round_mode_16_64 0
		.amdhsa_float_denorm_mode_32 3
		.amdhsa_float_denorm_mode_16_64 3
		.amdhsa_fp16_overflow 0
		.amdhsa_memory_ordered 1
		.amdhsa_forward_progress 1
		.amdhsa_inst_pref_size 47
		.amdhsa_round_robin_scheduling 0
		.amdhsa_exception_fp_ieee_invalid_op 0
		.amdhsa_exception_fp_denorm_src 0
		.amdhsa_exception_fp_ieee_div_zero 0
		.amdhsa_exception_fp_ieee_overflow 0
		.amdhsa_exception_fp_ieee_underflow 0
		.amdhsa_exception_fp_ieee_inexact 0
		.amdhsa_exception_int_div_zero 0
	.end_amdhsa_kernel
	.section	.text._ZN2at6native29vectorized_elementwise_kernelILi4ENS0_13BinaryFunctorIN3c1016Float4_e2m1fn_x2ES4_bNS0_12_GLOBAL__N_116CompareEqFunctorIS4_EEEESt5arrayIPcLm3EEEEviT0_T1_,"axG",@progbits,_ZN2at6native29vectorized_elementwise_kernelILi4ENS0_13BinaryFunctorIN3c1016Float4_e2m1fn_x2ES4_bNS0_12_GLOBAL__N_116CompareEqFunctorIS4_EEEESt5arrayIPcLm3EEEEviT0_T1_,comdat
.Lfunc_end375:
	.size	_ZN2at6native29vectorized_elementwise_kernelILi4ENS0_13BinaryFunctorIN3c1016Float4_e2m1fn_x2ES4_bNS0_12_GLOBAL__N_116CompareEqFunctorIS4_EEEESt5arrayIPcLm3EEEEviT0_T1_, .Lfunc_end375-_ZN2at6native29vectorized_elementwise_kernelILi4ENS0_13BinaryFunctorIN3c1016Float4_e2m1fn_x2ES4_bNS0_12_GLOBAL__N_116CompareEqFunctorIS4_EEEESt5arrayIPcLm3EEEEviT0_T1_
                                        ; -- End function
	.set _ZN2at6native29vectorized_elementwise_kernelILi4ENS0_13BinaryFunctorIN3c1016Float4_e2m1fn_x2ES4_bNS0_12_GLOBAL__N_116CompareEqFunctorIS4_EEEESt5arrayIPcLm3EEEEviT0_T1_.num_vgpr, 39
	.set _ZN2at6native29vectorized_elementwise_kernelILi4ENS0_13BinaryFunctorIN3c1016Float4_e2m1fn_x2ES4_bNS0_12_GLOBAL__N_116CompareEqFunctorIS4_EEEESt5arrayIPcLm3EEEEviT0_T1_.num_agpr, 0
	.set _ZN2at6native29vectorized_elementwise_kernelILi4ENS0_13BinaryFunctorIN3c1016Float4_e2m1fn_x2ES4_bNS0_12_GLOBAL__N_116CompareEqFunctorIS4_EEEESt5arrayIPcLm3EEEEviT0_T1_.numbered_sgpr, 23
	.set _ZN2at6native29vectorized_elementwise_kernelILi4ENS0_13BinaryFunctorIN3c1016Float4_e2m1fn_x2ES4_bNS0_12_GLOBAL__N_116CompareEqFunctorIS4_EEEESt5arrayIPcLm3EEEEviT0_T1_.num_named_barrier, 0
	.set _ZN2at6native29vectorized_elementwise_kernelILi4ENS0_13BinaryFunctorIN3c1016Float4_e2m1fn_x2ES4_bNS0_12_GLOBAL__N_116CompareEqFunctorIS4_EEEESt5arrayIPcLm3EEEEviT0_T1_.private_seg_size, 0
	.set _ZN2at6native29vectorized_elementwise_kernelILi4ENS0_13BinaryFunctorIN3c1016Float4_e2m1fn_x2ES4_bNS0_12_GLOBAL__N_116CompareEqFunctorIS4_EEEESt5arrayIPcLm3EEEEviT0_T1_.uses_vcc, 1
	.set _ZN2at6native29vectorized_elementwise_kernelILi4ENS0_13BinaryFunctorIN3c1016Float4_e2m1fn_x2ES4_bNS0_12_GLOBAL__N_116CompareEqFunctorIS4_EEEESt5arrayIPcLm3EEEEviT0_T1_.uses_flat_scratch, 0
	.set _ZN2at6native29vectorized_elementwise_kernelILi4ENS0_13BinaryFunctorIN3c1016Float4_e2m1fn_x2ES4_bNS0_12_GLOBAL__N_116CompareEqFunctorIS4_EEEESt5arrayIPcLm3EEEEviT0_T1_.has_dyn_sized_stack, 0
	.set _ZN2at6native29vectorized_elementwise_kernelILi4ENS0_13BinaryFunctorIN3c1016Float4_e2m1fn_x2ES4_bNS0_12_GLOBAL__N_116CompareEqFunctorIS4_EEEESt5arrayIPcLm3EEEEviT0_T1_.has_recursion, 0
	.set _ZN2at6native29vectorized_elementwise_kernelILi4ENS0_13BinaryFunctorIN3c1016Float4_e2m1fn_x2ES4_bNS0_12_GLOBAL__N_116CompareEqFunctorIS4_EEEESt5arrayIPcLm3EEEEviT0_T1_.has_indirect_call, 0
	.section	.AMDGPU.csdata,"",@progbits
; Kernel info:
; codeLenInByte = 5968
; TotalNumSgprs: 25
; NumVgprs: 39
; ScratchSize: 0
; MemoryBound: 0
; FloatMode: 240
; IeeeMode: 1
; LDSByteSize: 0 bytes/workgroup (compile time only)
; SGPRBlocks: 0
; VGPRBlocks: 2
; NumSGPRsForWavesPerEU: 25
; NumVGPRsForWavesPerEU: 39
; NamedBarCnt: 0
; Occupancy: 16
; WaveLimiterHint : 1
; COMPUTE_PGM_RSRC2:SCRATCH_EN: 0
; COMPUTE_PGM_RSRC2:USER_SGPR: 2
; COMPUTE_PGM_RSRC2:TRAP_HANDLER: 0
; COMPUTE_PGM_RSRC2:TGID_X_EN: 1
; COMPUTE_PGM_RSRC2:TGID_Y_EN: 0
; COMPUTE_PGM_RSRC2:TGID_Z_EN: 0
; COMPUTE_PGM_RSRC2:TIDIG_COMP_CNT: 0
	.section	.text._ZN2at6native29vectorized_elementwise_kernelILi2ENS0_13BinaryFunctorIN3c1016Float4_e2m1fn_x2ES4_bNS0_12_GLOBAL__N_116CompareEqFunctorIS4_EEEESt5arrayIPcLm3EEEEviT0_T1_,"axG",@progbits,_ZN2at6native29vectorized_elementwise_kernelILi2ENS0_13BinaryFunctorIN3c1016Float4_e2m1fn_x2ES4_bNS0_12_GLOBAL__N_116CompareEqFunctorIS4_EEEESt5arrayIPcLm3EEEEviT0_T1_,comdat
	.globl	_ZN2at6native29vectorized_elementwise_kernelILi2ENS0_13BinaryFunctorIN3c1016Float4_e2m1fn_x2ES4_bNS0_12_GLOBAL__N_116CompareEqFunctorIS4_EEEESt5arrayIPcLm3EEEEviT0_T1_ ; -- Begin function _ZN2at6native29vectorized_elementwise_kernelILi2ENS0_13BinaryFunctorIN3c1016Float4_e2m1fn_x2ES4_bNS0_12_GLOBAL__N_116CompareEqFunctorIS4_EEEESt5arrayIPcLm3EEEEviT0_T1_
	.p2align	8
	.type	_ZN2at6native29vectorized_elementwise_kernelILi2ENS0_13BinaryFunctorIN3c1016Float4_e2m1fn_x2ES4_bNS0_12_GLOBAL__N_116CompareEqFunctorIS4_EEEESt5arrayIPcLm3EEEEviT0_T1_,@function
_ZN2at6native29vectorized_elementwise_kernelILi2ENS0_13BinaryFunctorIN3c1016Float4_e2m1fn_x2ES4_bNS0_12_GLOBAL__N_116CompareEqFunctorIS4_EEEESt5arrayIPcLm3EEEEviT0_T1_: ; @_ZN2at6native29vectorized_elementwise_kernelILi2ENS0_13BinaryFunctorIN3c1016Float4_e2m1fn_x2ES4_bNS0_12_GLOBAL__N_116CompareEqFunctorIS4_EEEESt5arrayIPcLm3EEEEviT0_T1_
; %bb.0:
	s_clause 0x2
	s_load_b64 s[14:15], s[0:1], 0x0
	s_load_b128 s[16:19], s[0:1], 0x8
	s_load_b64 s[22:23], s[0:1], 0x18
	s_wait_xcnt 0x0
	s_bfe_u32 s0, ttmp6, 0x4000c
	s_and_b32 s1, ttmp6, 15
	s_add_co_i32 s0, s0, 1
	s_getreg_b32 s2, hwreg(HW_REG_IB_STS2, 6, 4)
	s_mul_i32 s0, ttmp9, s0
	s_mov_b32 s25, -1
	s_add_co_i32 s1, s1, s0
	s_cmp_eq_u32 s2, 0
	s_cselect_b32 s0, ttmp9, s1
	s_delay_alu instid0(SALU_CYCLE_1) | instskip(SKIP_2) | instid1(SALU_CYCLE_1)
	s_lshl_b32 s20, s0, 12
	s_wait_kmcnt 0x0
	s_sub_co_i32 s24, s14, s20
	s_cmp_gt_i32 s24, 0xfff
	s_cbranch_scc0 .LBB376_2
; %bb.1:
	s_ashr_i32 s21, s20, 31
	s_cmp_eq_u32 s15, 0
	s_add_nc_u64 s[0:1], s[18:19], s[20:21]
	s_add_nc_u64 s[2:3], s[22:23], s[20:21]
	s_clause 0xf
	global_load_u16 v1, v0, s[0:1] scale_offset
	global_load_u16 v2, v0, s[0:1] offset:512 scale_offset
	global_load_u16 v3, v0, s[0:1] offset:1024 scale_offset
	;; [unrolled: 1-line block ×7, first 2 shown]
	global_load_u16 v9, v0, s[2:3] scale_offset
	global_load_u16 v10, v0, s[2:3] offset:512 scale_offset
	global_load_u16 v11, v0, s[2:3] offset:1024 scale_offset
	;; [unrolled: 1-line block ×6, first 2 shown]
	; meta instruction
	global_load_u16 v16, v0, s[2:3] offset:3584 scale_offset
	s_add_nc_u64 s[26:27], s[16:17], s[20:21]
	s_cselect_b32 s21, -1, 0
	s_mov_b32 s25, 0
	s_wait_loadcnt 0xf
	v_and_b32_e32 v17, 0xff, v1
	s_wait_loadcnt 0xe
	v_and_b32_e32 v18, 0xff, v2
	;; [unrolled: 2-line block ×8, first 2 shown]
	s_wait_loadcnt 0x7
	v_xor_b32_e32 v1, v9, v1
	s_wait_loadcnt 0x6
	v_and_b32_e32 v26, 0xff, v10
	v_xor_b32_e32 v2, v10, v2
	s_wait_loadcnt 0x5
	v_and_b32_e32 v27, 0xff, v11
	v_xor_b32_e32 v3, v11, v3
	v_cmp_lt_u16_e64 s0, 0xff, v1
	v_cmp_ne_u16_e64 s1, v18, v26
	s_wait_xcnt 0x0
	v_cmp_lt_u16_e64 s2, 0xff, v2
	s_wait_loadcnt 0x4
	v_and_b32_e32 v28, 0xff, v12
	v_xor_b32_e32 v4, v12, v4
	s_xor_b32 s0, s21, s0
	v_cmp_ne_u16_e64 s3, v19, v27
	v_cndmask_b32_e64 v2, 0, 1, s0
	s_xor_b32 s0, s21, s1
	s_wait_loadcnt 0x3
	v_xor_b32_e32 v5, v13, v5
	v_cmp_lt_u16_e64 s4, 0xff, v3
	v_and_b32_e32 v29, 0xff, v13
	v_cndmask_b32_e64 v3, 0, 1, s0
	s_xor_b32 s0, s21, s2
	s_wait_loadcnt 0x2
	v_xor_b32_e32 v6, v14, v6
	v_cmp_ne_u16_e64 s5, v20, v28
	v_cmp_lt_u16_e64 s6, 0xff, v4
	v_cndmask_b32_e64 v4, 0, 1, s0
	s_xor_b32 s0, s21, s3
	s_wait_loadcnt 0x1
	v_xor_b32_e32 v7, v15, v7
	v_and_b32_e32 v30, 0xff, v14
	v_cmp_lt_u16_e64 s8, 0xff, v5
	v_cndmask_b32_e64 v5, 0, 1, s0
	s_xor_b32 s0, s21, s4
	s_wait_loadcnt 0x0
	v_xor_b32_e32 v8, v16, v8
	v_cmp_ne_u16_e64 s7, v21, v29
	v_cmp_lt_u16_e64 s10, 0xff, v6
	v_cndmask_b32_e64 v6, 0, 1, s0
	s_xor_b32 s0, s21, s5
	v_cmp_lt_u16_e64 s12, 0xff, v7
	v_cndmask_b32_e64 v7, 0, 1, s0
	s_xor_b32 s0, s21, s6
	v_cmp_ne_u16_e64 s9, v22, v30
	v_and_b32_e32 v25, 0xff, v9
	v_cmp_lt_u16_e64 s14, 0xff, v8
	v_cndmask_b32_e64 v8, 0, 1, s0
	s_xor_b32 s0, s21, s7
	v_and_b32_e32 v31, 0xff, v15
	v_cndmask_b32_e64 v9, 0, 1, s0
	s_xor_b32 s0, s21, s8
	v_and_b32_e32 v32, 0xff, v16
	v_cndmask_b32_e64 v10, 0, 1, s0
	s_xor_b32 s0, s21, s9
	v_cmp_ne_u16_e32 vcc_lo, v17, v25
	v_cndmask_b32_e64 v11, 0, 1, s0
	s_xor_b32 s0, s21, s10
	v_cmp_ne_u16_e64 s11, v23, v31
	v_cndmask_b32_e64 v12, 0, 1, s0
	s_xor_b32 s0, s21, s12
	v_cmp_ne_u16_e64 s13, v24, v32
	s_xor_b32 s28, s21, vcc_lo
	v_cndmask_b32_e64 v13, 0, 1, s0
	s_xor_b32 s0, s21, s14
	v_cndmask_b32_e64 v1, 0, 1, s28
	v_cndmask_b32_e64 v14, 0, 1, s0
	v_lshlrev_b16 v2, 8, v2
	s_xor_b32 s0, s21, s11
	v_lshlrev_b16 v4, 8, v4
	v_lshlrev_b16 v6, 8, v6
	v_cndmask_b32_e64 v15, 0, 1, s0
	s_xor_b32 s0, s21, s13
	v_lshlrev_b16 v8, 8, v8
	v_lshlrev_b16 v10, 8, v10
	v_cndmask_b32_e64 v16, 0, 1, s0
	v_lshlrev_b16 v14, 8, v14
	v_lshlrev_b16 v13, 8, v13
	;; [unrolled: 1-line block ×3, first 2 shown]
	v_or_b32_e32 v1, v1, v2
	v_or_b32_e32 v2, v3, v4
	;; [unrolled: 1-line block ×8, first 2 shown]
	s_clause 0x7
	global_store_b16 v0, v1, s[26:27] scale_offset
	global_store_b16 v0, v2, s[26:27] offset:512 scale_offset
	global_store_b16 v0, v3, s[26:27] offset:1024 scale_offset
	;; [unrolled: 1-line block ×7, first 2 shown]
.LBB376_2:
	s_and_not1_b32 vcc_lo, exec_lo, s25
	s_cbranch_vccnz .LBB376_54
; %bb.3:
	v_cmp_le_i32_e64 s0, s24, v0
	s_wait_xcnt 0x7
	v_or_b32_e32 v1, 0x100, v0
	v_cmp_gt_i32_e32 vcc_lo, s24, v0
	s_wait_xcnt 0x0
	s_and_saveexec_b32 s1, s0
	s_delay_alu instid0(SALU_CYCLE_1)
	s_xor_b32 s0, exec_lo, s1
; %bb.4:
	v_or_b32_e32 v1, 0x100, v0
; %bb.5:
	s_or_saveexec_b32 s1, s0
	v_dual_mov_b32 v35, 0 :: v_dual_bitop2_b32 v8, s20, v0 bitop3:0x54
	v_dual_mov_b32 v34, 0 :: v_dual_mov_b32 v36, 0
	v_dual_mov_b32 v33, 0 :: v_dual_mov_b32 v32, 0
	;; [unrolled: 1-line block ×14, first 2 shown]
	v_mov_b32_e32 v28, 0
	s_mov_b32 s5, 0
	s_xor_b32 exec_lo, exec_lo, s1
	s_cbranch_execz .LBB376_37
; %bb.6:
	s_clause 0x1
	global_load_u8 v26, v8, s[18:19]
	global_load_u8 v28, v8, s[22:23]
	v_cmp_gt_u32_e64 s0, s24, v1
	v_dual_mov_b32 v17, 0 :: v_dual_mov_b32 v16, 0
	v_dual_mov_b32 v3, 0 :: v_dual_mov_b32 v10, 0
	;; [unrolled: 1-line block ×14, first 2 shown]
	s_mov_b32 s3, 0
	s_wait_xcnt 0x0
	s_and_saveexec_b32 s2, s0
	s_cbranch_execz .LBB376_36
; %bb.7:
	v_dual_mov_b32 v3, 0 :: v_dual_add_nc_u32 v2, s20, v0
	v_or_b32_e32 v4, 0x200, v0
	v_dual_mov_b32 v10, 0 :: v_dual_mov_b32 v9, 0
	v_mov_b32_e32 v29, 0
	s_clause 0x1
	global_load_u8 v16, v2, s[18:19] offset:256
	global_load_u8 v17, v2, s[22:23] offset:256
	v_cmp_gt_u32_e64 s0, s24, v4
	v_dual_mov_b32 v4, 0 :: v_dual_mov_b32 v30, 0
	v_dual_mov_b32 v25, 0 :: v_dual_mov_b32 v27, 0
	;; [unrolled: 1-line block ×11, first 2 shown]
	s_mov_b32 s4, 0
	s_wait_xcnt 0x0
	s_and_saveexec_b32 s3, s0
	s_cbranch_execz .LBB376_35
; %bb.8:
	v_add_nc_u64_e32 v[4:5], s[18:19], v[2:3]
	v_add_nc_u64_e32 v[6:7], s[22:23], v[2:3]
	v_or_b32_e32 v9, 0x300, v0
	v_dual_mov_b32 v30, 0 :: v_dual_mov_b32 v25, 0
	v_dual_mov_b32 v29, 0 :: v_dual_mov_b32 v27, 0
	v_mov_b32_e32 v22, 0
	global_load_u8 v10, v[4:5], off offset:512
	global_load_u8 v2, v[6:7], off offset:512
	v_cmp_gt_u32_e64 s0, s24, v9
	v_dual_mov_b32 v9, 0 :: v_dual_mov_b32 v24, 0
	v_dual_mov_b32 v18, 0 :: v_dual_mov_b32 v19, 0
	;; [unrolled: 1-line block ×9, first 2 shown]
	s_wait_xcnt 0x0
	s_and_saveexec_b32 s4, s0
	s_cbranch_execz .LBB376_34
; %bb.9:
	global_load_u8 v9, v[4:5], off offset:768
	global_load_u8 v3, v[6:7], off offset:768
	v_or_b32_e32 v11, 0x400, v0
	v_dual_mov_b32 v29, 0 :: v_dual_mov_b32 v30, 0
	v_dual_mov_b32 v25, 0 :: v_dual_mov_b32 v27, 0
	s_delay_alu instid0(VALU_DEP_3)
	v_cmp_gt_u32_e64 s0, s24, v11
	v_dual_mov_b32 v22, 0 :: v_dual_mov_b32 v24, 0
	v_dual_mov_b32 v18, 0 :: v_dual_mov_b32 v19, 0
	;; [unrolled: 1-line block ×9, first 2 shown]
	s_mov_b32 s6, 0
	s_wait_xcnt 0x0
	s_and_saveexec_b32 s5, s0
	s_cbranch_execz .LBB376_33
; %bb.10:
	global_load_u8 v30, v[4:5], off offset:1024
	global_load_u8 v29, v[6:7], off offset:1024
	v_or_b32_e32 v11, 0x500, v0
	v_dual_mov_b32 v25, 0 :: v_dual_mov_b32 v27, 0
	v_dual_mov_b32 v22, 0 :: v_dual_mov_b32 v24, 0
	s_delay_alu instid0(VALU_DEP_3)
	v_cmp_gt_u32_e64 s0, s24, v11
	v_dual_mov_b32 v18, 0 :: v_dual_mov_b32 v19, 0
	v_dual_mov_b32 v20, 0 :: v_dual_mov_b32 v21, 0
	;; [unrolled: 1-line block ×8, first 2 shown]
	s_mov_b32 s7, 0
	s_wait_xcnt 0x0
	s_and_saveexec_b32 s6, s0
	s_cbranch_execz .LBB376_32
; %bb.11:
	global_load_u8 v27, v[4:5], off offset:1280
	global_load_u8 v25, v[6:7], off offset:1280
	v_or_b32_e32 v11, 0x600, v0
	v_dual_mov_b32 v22, 0 :: v_dual_mov_b32 v24, 0
	v_dual_mov_b32 v18, 0 :: v_dual_mov_b32 v19, 0
	s_delay_alu instid0(VALU_DEP_3)
	v_cmp_gt_u32_e64 s0, s24, v11
	v_dual_mov_b32 v20, 0 :: v_dual_mov_b32 v21, 0
	v_dual_mov_b32 v23, 0 :: v_dual_mov_b32 v13, 0
	;; [unrolled: 1-line block ×7, first 2 shown]
	s_mov_b32 s8, 0
	s_wait_xcnt 0x0
	s_and_saveexec_b32 s7, s0
	s_cbranch_execz .LBB376_31
; %bb.12:
	global_load_u8 v24, v[4:5], off offset:1536
	global_load_u8 v22, v[6:7], off offset:1536
	v_or_b32_e32 v11, 0x700, v0
	v_dual_mov_b32 v18, 0 :: v_dual_mov_b32 v19, 0
	v_dual_mov_b32 v20, 0 :: v_dual_mov_b32 v21, 0
	s_delay_alu instid0(VALU_DEP_3)
	v_cmp_gt_u32_e64 s0, s24, v11
	v_dual_mov_b32 v23, 0 :: v_dual_mov_b32 v13, 0
	v_dual_mov_b32 v11, 0 :: v_dual_mov_b32 v14, 0
	;; [unrolled: 1-line block ×6, first 2 shown]
	s_mov_b32 s9, 0
	s_wait_xcnt 0x0
	s_and_saveexec_b32 s8, s0
	s_cbranch_execz .LBB376_30
; %bb.13:
	global_load_u8 v19, v[4:5], off offset:1792
	global_load_u8 v18, v[6:7], off offset:1792
	v_or_b32_e32 v11, 0x800, v0
	v_dual_mov_b32 v20, 0 :: v_dual_mov_b32 v21, 0
	v_dual_mov_b32 v23, 0 :: v_dual_mov_b32 v13, 0
	s_delay_alu instid0(VALU_DEP_3)
	v_cmp_gt_u32_e64 s0, s24, v11
	v_dual_mov_b32 v11, 0 :: v_dual_mov_b32 v14, 0
	v_dual_mov_b32 v12, 0 :: v_dual_mov_b32 v15, 0
	v_dual_mov_b32 v31, 0 :: v_dual_mov_b32 v32, 0
	v_dual_mov_b32 v33, 0 :: v_dual_mov_b32 v36, 0
	v_dual_mov_b32 v34, 0 :: v_dual_mov_b32 v35, 0
	s_mov_b32 s10, 0
	s_wait_xcnt 0x0
	s_and_saveexec_b32 s9, s0
	s_cbranch_execz .LBB376_29
; %bb.14:
	global_load_u8 v21, v[4:5], off offset:2048
	global_load_u8 v20, v[6:7], off offset:2048
	v_or_b32_e32 v11, 0x900, v0
	v_dual_mov_b32 v23, 0 :: v_dual_mov_b32 v13, 0
	v_dual_mov_b32 v12, 0 :: v_dual_mov_b32 v15, 0
	s_delay_alu instid0(VALU_DEP_3)
	v_cmp_gt_u32_e64 s0, s24, v11
	v_dual_mov_b32 v11, 0 :: v_dual_mov_b32 v14, 0
	v_dual_mov_b32 v31, 0 :: v_dual_mov_b32 v32, 0
	;; [unrolled: 1-line block ×4, first 2 shown]
	s_mov_b32 s11, 0
	s_wait_xcnt 0x0
	s_and_saveexec_b32 s10, s0
	s_cbranch_execz .LBB376_28
; %bb.15:
	global_load_u8 v13, v[4:5], off offset:2304
	global_load_u8 v23, v[6:7], off offset:2304
	v_or_b32_e32 v11, 0xa00, v0
	v_dual_mov_b32 v12, 0 :: v_dual_mov_b32 v15, 0
	v_dual_mov_b32 v31, 0 :: v_dual_mov_b32 v32, 0
	s_delay_alu instid0(VALU_DEP_3)
	v_cmp_gt_u32_e64 s0, s24, v11
	v_dual_mov_b32 v11, 0 :: v_dual_mov_b32 v14, 0
	v_dual_mov_b32 v33, 0 :: v_dual_mov_b32 v36, 0
	;; [unrolled: 1-line block ×3, first 2 shown]
	s_mov_b32 s12, 0
	s_wait_xcnt 0x0
	s_and_saveexec_b32 s11, s0
	s_cbranch_execz .LBB376_27
; %bb.16:
	global_load_u8 v14, v[4:5], off offset:2560
	global_load_u8 v11, v[6:7], off offset:2560
	v_or_b32_e32 v12, 0xb00, v0
	v_dual_mov_b32 v31, 0 :: v_dual_mov_b32 v32, 0
	v_dual_mov_b32 v33, 0 :: v_dual_mov_b32 v36, 0
	s_delay_alu instid0(VALU_DEP_3)
	v_cmp_gt_u32_e64 s0, s24, v12
	v_dual_mov_b32 v12, 0 :: v_dual_mov_b32 v15, 0
	v_dual_mov_b32 v34, 0 :: v_dual_mov_b32 v35, 0
	s_mov_b32 s13, 0
	s_wait_xcnt 0x0
	s_and_saveexec_b32 s12, s0
	s_cbranch_execz .LBB376_26
; %bb.17:
	global_load_u8 v15, v[4:5], off offset:2816
	global_load_u8 v12, v[6:7], off offset:2816
	v_or_b32_e32 v31, 0xc00, v0
	v_dual_mov_b32 v33, 0 :: v_dual_mov_b32 v36, 0
	v_dual_mov_b32 v34, 0 :: v_dual_mov_b32 v35, 0
	s_delay_alu instid0(VALU_DEP_3)
	v_cmp_gt_u32_e64 s0, s24, v31
	v_dual_mov_b32 v31, 0 :: v_dual_mov_b32 v32, 0
	s_mov_b32 s14, 0
	s_wait_xcnt 0x0
	s_and_saveexec_b32 s13, s0
	s_cbranch_execz .LBB376_25
; %bb.18:
	global_load_u8 v32, v[4:5], off offset:3072
	global_load_u8 v31, v[6:7], off offset:3072
	v_or_b32_e32 v33, 0xd00, v0
	v_dual_mov_b32 v34, 0 :: v_dual_mov_b32 v35, 0
	s_mov_b32 s18, 0
	v_mov_b32_e32 v36, 0
	s_delay_alu instid0(VALU_DEP_3)
	v_cmp_gt_u32_e64 s0, s24, v33
	v_mov_b32_e32 v33, 0
	s_wait_xcnt 0x0
	s_and_saveexec_b32 s14, s0
	s_cbranch_execz .LBB376_24
; %bb.19:
	global_load_u8 v36, v[4:5], off offset:3328
	global_load_u8 v33, v[6:7], off offset:3328
	v_or_b32_e32 v34, 0xe00, v0
	s_mov_b32 s19, 0
	v_mov_b32_e32 v35, 0
	s_delay_alu instid0(VALU_DEP_2)
	v_cmp_gt_u32_e64 s0, s24, v34
	v_mov_b32_e32 v34, 0
	s_wait_xcnt 0x0
	s_and_saveexec_b32 s18, s0
	s_cbranch_execz .LBB376_23
; %bb.20:
	global_load_u8 v35, v[4:5], off offset:3584
	global_load_u8 v34, v[6:7], off offset:3584
	v_or_b32_e32 v37, 0xf00, v0
	s_mov_b32 s21, 0
	s_mov_b32 s19, exec_lo
	s_wait_xcnt 0x0
	s_delay_alu instid0(VALU_DEP_1)
	v_cmpx_gt_u32_e64 s24, v37
	s_cbranch_execz .LBB376_22
; %bb.21:
	global_load_u8 v37, v[4:5], off offset:3840
	global_load_u8 v38, v[6:7], off offset:3840
	s_wait_loadcnt 0x0
	v_cmp_ne_u16_e64 s0, v37, v38
	s_and_b32 s21, s0, exec_lo
.LBB376_22:
	s_wait_xcnt 0x0
	s_or_b32 exec_lo, exec_lo, s19
	s_delay_alu instid0(SALU_CYCLE_1)
	s_and_b32 s19, s21, exec_lo
.LBB376_23:
	s_or_b32 exec_lo, exec_lo, s18
	s_delay_alu instid0(SALU_CYCLE_1)
	s_and_b32 s18, s19, exec_lo
.LBB376_24:
	s_or_b32 exec_lo, exec_lo, s14
	s_delay_alu instid0(SALU_CYCLE_1)
	s_and_b32 s14, s18, exec_lo
.LBB376_25:
	s_or_b32 exec_lo, exec_lo, s13
	s_delay_alu instid0(SALU_CYCLE_1)
	s_and_b32 s13, s14, exec_lo
.LBB376_26:
	s_or_b32 exec_lo, exec_lo, s12
	s_delay_alu instid0(SALU_CYCLE_1)
	s_and_b32 s12, s13, exec_lo
.LBB376_27:
	s_or_b32 exec_lo, exec_lo, s11
	s_delay_alu instid0(SALU_CYCLE_1)
	s_and_b32 s11, s12, exec_lo
.LBB376_28:
	s_or_b32 exec_lo, exec_lo, s10
	s_delay_alu instid0(SALU_CYCLE_1)
	s_and_b32 s10, s11, exec_lo
.LBB376_29:
	s_or_b32 exec_lo, exec_lo, s9
	s_delay_alu instid0(SALU_CYCLE_1)
	s_and_b32 s9, s10, exec_lo
.LBB376_30:
	s_or_b32 exec_lo, exec_lo, s8
	s_delay_alu instid0(SALU_CYCLE_1)
	s_and_b32 s8, s9, exec_lo
.LBB376_31:
	s_or_b32 exec_lo, exec_lo, s7
	s_delay_alu instid0(SALU_CYCLE_1)
	s_and_b32 s7, s8, exec_lo
.LBB376_32:
	s_or_b32 exec_lo, exec_lo, s6
	s_delay_alu instid0(SALU_CYCLE_1)
	s_and_b32 s6, s7, exec_lo
.LBB376_33:
	s_or_b32 exec_lo, exec_lo, s5
	s_delay_alu instid0(SALU_CYCLE_1)
	s_and_b32 s5, s6, exec_lo
.LBB376_34:
	s_or_b32 exec_lo, exec_lo, s4
	s_wait_loadcnt 0x0
	v_dual_mov_b32 v4, v3 :: v_dual_mov_b32 v3, v2
	s_and_b32 s4, s5, exec_lo
.LBB376_35:
	s_or_b32 exec_lo, exec_lo, s3
	s_delay_alu instid0(SALU_CYCLE_1)
	s_and_b32 s3, s4, exec_lo
.LBB376_36:
	s_or_b32 exec_lo, exec_lo, s2
	s_delay_alu instid0(SALU_CYCLE_1)
	s_and_b32 s5, s3, exec_lo
.LBB376_37:
	s_or_b32 exec_lo, exec_lo, s1
	s_wait_loadcnt 0x0
	v_and_b32_e32 v2, 0xff, v28
	v_and_b32_e32 v5, 0xff, v26
	;; [unrolled: 1-line block ×4, first 2 shown]
	s_cmp_eq_u32 s15, 0
	v_and_b32_e32 v3, 0xff, v3
	v_cmp_ne_u16_e64 s0, v5, v2
	s_cselect_b32 s6, -1, 0
	v_cmp_ne_u16_e64 s1, v7, v6
	v_and_b32_e32 v2, 0xff, v17
	v_and_b32_e32 v6, 0xff, v16
	s_xor_b32 s0, s6, s0
	v_and_b32_e32 v16, 0xff, v25
	v_cndmask_b32_e64 v5, 0, 1, s0
	s_xor_b32 s0, s6, s1
	v_and_b32_e32 v17, 0xff, v27
	v_cndmask_b32_e64 v7, 0, 1, s0
	v_cmp_ne_u16_e64 s0, v6, v2
	v_cndmask_b32_e32 v2, 0, v5, vcc_lo
	v_and_b32_e32 v10, 0xff, v10
	v_cmp_ne_u16_e64 s1, v17, v16
	v_bitop3_b16 v5, v7, 0, 0xff00 bitop3:0xf8
	v_or_b32_e32 v7, 0x400, v0
	s_xor_b32 s0, s6, s0
	v_and_b32_e32 v4, 0xff, v4
	v_cndmask_b32_e64 v6, 0, 1, s0
	s_xor_b32 s0, s6, s1
	v_and_b32_e32 v5, 0xffff, v5
	v_cndmask_b32_e64 v16, 0, 1, s0
	v_cmp_gt_i32_e64 s0, s24, v7
	v_lshlrev_b16 v6, 8, v6
	v_cmp_gt_i32_e64 s1, s24, v1
	v_and_b32_e32 v17, 0xff, v33
	v_lshlrev_b16 v7, 8, v16
	v_cndmask_b32_e64 v5, 0, v5, s0
	v_cmp_ne_u16_e64 s0, v10, v3
	v_or_b32_e32 v3, 0x500, v0
	v_and_b32_e32 v10, 0xff, v22
	v_and_b32_e32 v16, 0xff, v24
	v_bitop3_b16 v7, v5, v7, 0xff bitop3:0xec
	s_xor_b32 s0, s6, s0
	v_and_b32_e32 v13, 0xff, v13
	v_and_b32_e32 v11, 0xff, v11
	;; [unrolled: 1-line block ×4, first 2 shown]
	v_or_b32_e32 v6, v2, v6
	s_delay_alu instid0(VALU_DEP_1) | instskip(NEXT) | instid1(VALU_DEP_1)
	v_and_b32_e32 v6, 0xffff, v6
	v_cndmask_b32_e64 v2, v2, v6, s1
	v_cmp_gt_i32_e64 s1, s24, v3
	v_and_b32_e32 v6, 0xff, v9
	s_delay_alu instid0(VALU_DEP_2)
	v_cndmask_b32_e64 v3, v5, v7, s1
	v_cmp_ne_u16_e64 s1, v16, v10
	v_cndmask_b32_e64 v5, 0, 1, s0
	v_or_b32_e32 v10, 0x200, v0
	v_and_b32_e32 v16, 0xff, v32
	v_lshrrev_b32_e32 v7, 16, v3
	s_xor_b32 s0, s6, s1
	v_lshl_or_b32 v5, v5, 16, v2
	v_cndmask_b32_e64 v9, 0, 1, s0
	v_cmp_ne_u16_e64 s0, v6, v4
	v_cmp_gt_i32_e64 s1, s24, v10
	v_and_b32_e32 v10, 0xff, v31
	s_delay_alu instid0(VALU_DEP_4)
	v_bitop3_b16 v4, v9, v7, 0xff00 bitop3:0xf8
	s_xor_b32 s0, s6, s0
	v_cndmask_b32_e64 v2, v2, v5, s1
	v_cndmask_b32_e64 v5, 0, 1, s0
	v_or_b32_e32 v7, 0x600, v0
	v_lshlrev_b32_e32 v4, 16, v4
	v_cmp_ne_u16_e64 s1, v16, v10
	v_and_b32_e32 v9, 0xff, v23
	v_lshlrev_b16 v5, 8, v5
	v_cmp_gt_i32_e64 s0, s24, v7
	v_and_or_b32 v4, 0xffff, v3, v4
	v_lshrrev_b32_e32 v6, 16, v2
	s_xor_b32 s1, s6, s1
	v_cmp_ne_u16_e64 s4, v13, v9
	v_or_b32_e32 v16, 0xd00, v0
	v_cndmask_b32_e64 v3, v3, v4, s0
	v_bitop3_b16 v5, v6, v5, 0xff bitop3:0xec
	v_and_b32_e32 v4, 0xff, v18
	v_and_b32_e32 v6, 0xff, v19
	;; [unrolled: 1-line block ×3, first 2 shown]
	v_or_b32_e32 v19, 0x800, v0
	v_or_b32_e32 v13, 0x900, v0
	v_dual_lshlrev_b32 v5, 16, v5 :: v_dual_lshrrev_b32 v7, 16, v3
	v_cmp_ne_u16_e64 s0, v6, v4
	v_and_b32_e32 v4, 0xff, v20
	v_and_b32_e32 v6, 0xff, v21
	v_cmp_ne_u16_e64 s3, v18, v17
	v_and_b32_e32 v17, 0xff, v34
	v_and_b32_e32 v18, 0xff, v35
	s_xor_b32 s0, s6, s0
	v_cmp_ne_u16_e64 s2, v6, v4
	v_or_b32_e32 v4, 0xc00, v0
	v_cndmask_b32_e64 v6, 0, 1, s1
	s_xor_b32 s1, s6, s3
	v_and_or_b32 v5, 0xffff, v2, v5
	v_cndmask_b32_e64 v9, 0, 1, s1
	s_xor_b32 s1, s6, s2
	v_cmp_gt_i32_e64 s2, s24, v16
	v_cndmask_b32_e64 v10, 0, 1, s1
	v_cmp_gt_i32_e64 s1, s24, v4
	v_cndmask_b32_e64 v16, 0, 1, s0
	v_cmp_gt_i32_e64 s0, s24, v13
	s_delay_alu instid0(VALU_DEP_3)
	v_cndmask_b32_e64 v4, 0, v6, s1
	s_xor_b32 s1, s6, s4
	v_lshlrev_b16 v6, 8, v9
	v_cndmask_b32_e64 v9, 0, 1, s1
	v_cmp_gt_i32_e64 s1, s24, v19
	v_lshlrev_b16 v13, 8, v16
	s_delay_alu instid0(VALU_DEP_3) | instskip(NEXT) | instid1(VALU_DEP_3)
	v_lshlrev_b16 v9, 8, v9
	v_cndmask_b32_e64 v10, 0, v10, s1
	v_cmp_ne_u16_e64 s1, v14, v11
	s_delay_alu instid0(VALU_DEP_4) | instskip(SKIP_1) | instid1(VALU_DEP_4)
	v_bitop3_b16 v7, v7, v13, 0xff bitop3:0xec
	v_or_b32_e32 v13, 0x300, v0
	v_or_b32_e32 v9, v10, v9
	v_bitop3_b16 v6, v4, v6, 0xff bitop3:0xec
	s_xor_b32 s1, s6, s1
	v_lshlrev_b32_e32 v7, 16, v7
	s_delay_alu instid0(VALU_DEP_2) | instskip(NEXT) | instid1(VALU_DEP_2)
	v_and_b32_e32 v6, 0xffff, v6
	v_and_or_b32 v7, 0xffff, v3, v7
	s_delay_alu instid0(VALU_DEP_2) | instskip(SKIP_3) | instid1(VALU_DEP_4)
	v_cndmask_b32_e64 v4, v4, v6, s2
	v_cmp_ne_u16_e64 s2, v18, v17
	v_and_b32_e32 v6, 0xffff, v9
	v_cndmask_b32_e64 v9, 0, 1, s1
	v_lshrrev_b32_e32 v11, 16, v4
	s_xor_b32 s1, s6, s2
	s_delay_alu instid0(VALU_DEP_3) | instskip(SKIP_1) | instid1(VALU_DEP_1)
	v_cndmask_b32_e64 v6, v10, v6, s0
	v_cndmask_b32_e64 v14, 0, 1, s1
	v_bitop3_b16 v10, v14, v11, 0xff00 bitop3:0xf8
	v_and_b32_e32 v11, 0xff, v12
	v_and_b32_e32 v12, 0xff, v15
	v_lshlrev_b32_e32 v9, 16, v9
	v_or_b32_e32 v14, 0xa00, v0
	v_lshlrev_b32_e32 v10, 16, v10
	s_delay_alu instid0(VALU_DEP_4) | instskip(NEXT) | instid1(VALU_DEP_4)
	v_cmp_ne_u16_e64 s0, v12, v11
	v_and_or_b32 v9, 0x1ff, v6, v9
	v_or_b32_e32 v11, 0xe00, v0
	v_cmp_gt_i32_e64 s1, s24, v14
	v_and_or_b32 v10, 0xffff, v4, v10
	s_xor_b32 s0, s6, s0
	v_cndmask_b32_e64 v6, v6, v9, s1
	v_cndmask_b32_e64 v9, 0, 1, s0
	v_cmp_gt_i32_e64 s0, s24, v11
	s_delay_alu instid0(VALU_DEP_2) | instskip(NEXT) | instid1(VALU_DEP_2)
	v_lshlrev_b16 v9, 8, v9
	v_cndmask_b32_e64 v10, v4, v10, s0
	s_xor_b32 s0, s6, s5
	v_lshrrev_b32_e32 v11, 16, v6
	v_cndmask_b32_e64 v4, 0, 1, s0
	v_cmp_gt_i32_e64 s0, s24, v13
	v_lshrrev_b32_e32 v12, 16, v10
	s_delay_alu instid0(VALU_DEP_4) | instskip(NEXT) | instid1(VALU_DEP_4)
	v_bitop3_b16 v9, v11, v9, 0xff bitop3:0xec
	v_lshlrev_b16 v4, 8, v4
	s_delay_alu instid0(VALU_DEP_4) | instskip(SKIP_1) | instid1(VALU_DEP_3)
	v_cndmask_b32_e64 v5, v2, v5, s0
	v_or_b32_e32 v11, 0xb00, v0
	v_bitop3_b16 v4, v12, v4, 0xff bitop3:0xec
	v_lshlrev_b32_e32 v2, 16, v9
	v_or_b32_e32 v9, 0x700, v0
	v_or_b32_e32 v12, 0xf00, v0
	s_delay_alu instid0(VALU_DEP_4) | instskip(NEXT) | instid1(VALU_DEP_4)
	v_lshlrev_b32_e32 v4, 16, v4
	v_and_or_b32 v2, 0xffff, v6, v2
	s_delay_alu instid0(VALU_DEP_4) | instskip(NEXT) | instid1(VALU_DEP_3)
	v_cmp_gt_i32_e64 s0, s24, v9
	v_and_or_b32 v13, 0xffff, v10, v4
	s_delay_alu instid0(VALU_DEP_2) | instskip(SKIP_1) | instid1(VALU_DEP_1)
	v_cndmask_b32_e64 v4, v3, v7, s0
	v_cmp_gt_i32_e64 s0, s24, v11
	v_cndmask_b32_e64 v3, v6, v2, s0
	v_cmp_gt_i32_e64 s0, s24, v12
	s_delay_alu instid0(VALU_DEP_1)
	v_cndmask_b32_e64 v2, v10, v13, s0
	s_and_saveexec_b32 s0, vcc_lo
	s_cbranch_execnz .LBB376_55
; %bb.38:
	s_or_b32 exec_lo, exec_lo, s0
	s_delay_alu instid0(SALU_CYCLE_1)
	s_mov_b32 s0, exec_lo
	v_cmpx_gt_i32_e64 s24, v0
	s_cbranch_execnz .LBB376_56
.LBB376_39:
	s_or_b32 exec_lo, exec_lo, s0
	s_delay_alu instid0(SALU_CYCLE_1)
	s_mov_b32 s0, exec_lo
	v_cmpx_gt_i32_e64 s24, v0
	s_cbranch_execnz .LBB376_57
.LBB376_40:
	s_or_b32 exec_lo, exec_lo, s0
	s_delay_alu instid0(SALU_CYCLE_1)
	s_mov_b32 s0, exec_lo
	v_cmpx_gt_i32_e64 s24, v0
	s_cbranch_execnz .LBB376_58
.LBB376_41:
	s_or_b32 exec_lo, exec_lo, s0
	s_delay_alu instid0(SALU_CYCLE_1)
	s_mov_b32 s0, exec_lo
	v_cmpx_gt_i32_e64 s24, v0
	s_cbranch_execnz .LBB376_59
.LBB376_42:
	s_or_b32 exec_lo, exec_lo, s0
	s_delay_alu instid0(SALU_CYCLE_1)
	s_mov_b32 s0, exec_lo
	v_cmpx_gt_i32_e64 s24, v0
	s_cbranch_execnz .LBB376_60
.LBB376_43:
	s_or_b32 exec_lo, exec_lo, s0
	s_delay_alu instid0(SALU_CYCLE_1)
	s_mov_b32 s0, exec_lo
	v_cmpx_gt_i32_e64 s24, v0
	s_cbranch_execnz .LBB376_61
.LBB376_44:
	s_or_b32 exec_lo, exec_lo, s0
	s_delay_alu instid0(SALU_CYCLE_1)
	s_mov_b32 s0, exec_lo
	v_cmpx_gt_i32_e64 s24, v0
	s_cbranch_execnz .LBB376_62
.LBB376_45:
	s_or_b32 exec_lo, exec_lo, s0
	s_delay_alu instid0(SALU_CYCLE_1)
	s_mov_b32 s0, exec_lo
	v_cmpx_gt_i32_e64 s24, v0
	s_cbranch_execnz .LBB376_63
.LBB376_46:
	s_or_b32 exec_lo, exec_lo, s0
	s_delay_alu instid0(SALU_CYCLE_1)
	s_mov_b32 s0, exec_lo
	v_cmpx_gt_i32_e64 s24, v0
	s_cbranch_execnz .LBB376_64
.LBB376_47:
	s_or_b32 exec_lo, exec_lo, s0
	s_delay_alu instid0(SALU_CYCLE_1)
	s_mov_b32 s0, exec_lo
	v_cmpx_gt_i32_e64 s24, v0
	s_cbranch_execnz .LBB376_65
.LBB376_48:
	s_or_b32 exec_lo, exec_lo, s0
	s_delay_alu instid0(SALU_CYCLE_1)
	s_mov_b32 s0, exec_lo
	v_cmpx_gt_i32_e64 s24, v0
	s_cbranch_execnz .LBB376_66
.LBB376_49:
	s_or_b32 exec_lo, exec_lo, s0
	s_delay_alu instid0(SALU_CYCLE_1)
	s_mov_b32 s0, exec_lo
	v_cmpx_gt_i32_e64 s24, v0
	s_cbranch_execnz .LBB376_67
.LBB376_50:
	s_or_b32 exec_lo, exec_lo, s0
	s_delay_alu instid0(SALU_CYCLE_1)
	s_mov_b32 s0, exec_lo
	v_cmpx_gt_i32_e64 s24, v0
	s_cbranch_execnz .LBB376_68
.LBB376_51:
	s_or_b32 exec_lo, exec_lo, s0
	s_delay_alu instid0(SALU_CYCLE_1)
	s_mov_b32 s0, exec_lo
	v_cmpx_gt_i32_e64 s24, v0
	s_cbranch_execnz .LBB376_69
.LBB376_52:
	s_or_b32 exec_lo, exec_lo, s0
	s_delay_alu instid0(SALU_CYCLE_1)
	s_mov_b32 s0, exec_lo
	v_cmpx_gt_i32_e64 s24, v0
	s_cbranch_execz .LBB376_54
.LBB376_53:
	v_dual_lshrrev_b32 v1, 24, v2 :: v_dual_add_nc_u32 v0, s20, v0
	global_store_b8 v0, v1, s[16:17]
.LBB376_54:
	s_endpgm
.LBB376_55:
	v_mov_b32_e32 v0, v1
	global_store_b8 v8, v5, s[16:17]
	s_wait_xcnt 0x0
	s_or_b32 exec_lo, exec_lo, s0
	s_delay_alu instid0(SALU_CYCLE_1)
	s_mov_b32 s0, exec_lo
	v_cmpx_gt_i32_e64 s24, v0
	s_cbranch_execz .LBB376_39
.LBB376_56:
	v_dual_lshrrev_b32 v1, 8, v5 :: v_dual_add_nc_u32 v6, s20, v0
	v_add_nc_u32_e32 v0, 0x100, v0
	global_store_b8 v6, v1, s[16:17]
	s_wait_xcnt 0x0
	s_or_b32 exec_lo, exec_lo, s0
	s_delay_alu instid0(SALU_CYCLE_1)
	s_mov_b32 s0, exec_lo
	v_cmpx_gt_i32_e64 s24, v0
	s_cbranch_execz .LBB376_40
.LBB376_57:
	v_add_nc_u32_e32 v1, s20, v0
	v_add_nc_u32_e32 v0, 0x100, v0
	global_store_d16_hi_b8 v1, v5, s[16:17]
	s_wait_xcnt 0x0
	s_or_b32 exec_lo, exec_lo, s0
	s_delay_alu instid0(SALU_CYCLE_1)
	s_mov_b32 s0, exec_lo
	v_cmpx_gt_i32_e64 s24, v0
	s_cbranch_execz .LBB376_41
.LBB376_58:
	v_dual_lshrrev_b32 v1, 24, v5 :: v_dual_add_nc_u32 v5, s20, v0
	v_add_nc_u32_e32 v0, 0x100, v0
	global_store_b8 v5, v1, s[16:17]
	s_wait_xcnt 0x0
	s_or_b32 exec_lo, exec_lo, s0
	s_delay_alu instid0(SALU_CYCLE_1)
	s_mov_b32 s0, exec_lo
	v_cmpx_gt_i32_e64 s24, v0
	s_cbranch_execz .LBB376_42
.LBB376_59:
	v_add_nc_u32_e32 v1, s20, v0
	v_add_nc_u32_e32 v0, 0x100, v0
	global_store_b8 v1, v4, s[16:17]
	s_wait_xcnt 0x0
	s_or_b32 exec_lo, exec_lo, s0
	s_delay_alu instid0(SALU_CYCLE_1)
	s_mov_b32 s0, exec_lo
	v_cmpx_gt_i32_e64 s24, v0
	s_cbranch_execz .LBB376_43
.LBB376_60:
	v_lshrrev_b32_e32 v1, 8, v4
	v_add_nc_u32_e32 v5, s20, v0
	v_add_nc_u32_e32 v0, 0x100, v0
	global_store_b8 v5, v1, s[16:17]
	s_wait_xcnt 0x0
	s_or_b32 exec_lo, exec_lo, s0
	s_delay_alu instid0(SALU_CYCLE_1)
	s_mov_b32 s0, exec_lo
	v_cmpx_gt_i32_e64 s24, v0
	s_cbranch_execz .LBB376_44
.LBB376_61:
	v_add_nc_u32_e32 v1, s20, v0
	v_add_nc_u32_e32 v0, 0x100, v0
	global_store_d16_hi_b8 v1, v4, s[16:17]
	s_wait_xcnt 0x0
	s_or_b32 exec_lo, exec_lo, s0
	s_delay_alu instid0(SALU_CYCLE_1)
	s_mov_b32 s0, exec_lo
	v_cmpx_gt_i32_e64 s24, v0
	s_cbranch_execz .LBB376_45
.LBB376_62:
	v_lshrrev_b32_e32 v1, 24, v4
	v_add_nc_u32_e32 v4, s20, v0
	v_add_nc_u32_e32 v0, 0x100, v0
	global_store_b8 v4, v1, s[16:17]
	s_wait_xcnt 0x0
	s_or_b32 exec_lo, exec_lo, s0
	s_delay_alu instid0(SALU_CYCLE_1)
	s_mov_b32 s0, exec_lo
	v_cmpx_gt_i32_e64 s24, v0
	s_cbranch_execz .LBB376_46
.LBB376_63:
	v_add_nc_u32_e32 v1, s20, v0
	v_add_nc_u32_e32 v0, 0x100, v0
	global_store_b8 v1, v3, s[16:17]
	s_wait_xcnt 0x0
	s_or_b32 exec_lo, exec_lo, s0
	s_delay_alu instid0(SALU_CYCLE_1)
	s_mov_b32 s0, exec_lo
	v_cmpx_gt_i32_e64 s24, v0
	s_cbranch_execz .LBB376_47
.LBB376_64:
	v_dual_lshrrev_b32 v1, 8, v3 :: v_dual_add_nc_u32 v4, s20, v0
	v_add_nc_u32_e32 v0, 0x100, v0
	global_store_b8 v4, v1, s[16:17]
	s_wait_xcnt 0x0
	s_or_b32 exec_lo, exec_lo, s0
	s_delay_alu instid0(SALU_CYCLE_1)
	s_mov_b32 s0, exec_lo
	v_cmpx_gt_i32_e64 s24, v0
	s_cbranch_execz .LBB376_48
.LBB376_65:
	v_add_nc_u32_e32 v1, s20, v0
	v_add_nc_u32_e32 v0, 0x100, v0
	global_store_d16_hi_b8 v1, v3, s[16:17]
	s_wait_xcnt 0x0
	s_or_b32 exec_lo, exec_lo, s0
	s_delay_alu instid0(SALU_CYCLE_1)
	s_mov_b32 s0, exec_lo
	v_cmpx_gt_i32_e64 s24, v0
	s_cbranch_execz .LBB376_49
.LBB376_66:
	v_dual_lshrrev_b32 v1, 24, v3 :: v_dual_add_nc_u32 v3, s20, v0
	v_add_nc_u32_e32 v0, 0x100, v0
	global_store_b8 v3, v1, s[16:17]
	s_wait_xcnt 0x0
	s_or_b32 exec_lo, exec_lo, s0
	s_delay_alu instid0(SALU_CYCLE_1)
	s_mov_b32 s0, exec_lo
	v_cmpx_gt_i32_e64 s24, v0
	s_cbranch_execz .LBB376_50
.LBB376_67:
	v_add_nc_u32_e32 v1, s20, v0
	v_add_nc_u32_e32 v0, 0x100, v0
	global_store_b8 v1, v2, s[16:17]
	s_wait_xcnt 0x0
	s_or_b32 exec_lo, exec_lo, s0
	s_delay_alu instid0(SALU_CYCLE_1)
	s_mov_b32 s0, exec_lo
	v_cmpx_gt_i32_e64 s24, v0
	s_cbranch_execz .LBB376_51
.LBB376_68:
	v_dual_lshrrev_b32 v1, 8, v2 :: v_dual_add_nc_u32 v3, s20, v0
	v_add_nc_u32_e32 v0, 0x100, v0
	global_store_b8 v3, v1, s[16:17]
	s_wait_xcnt 0x0
	s_or_b32 exec_lo, exec_lo, s0
	s_delay_alu instid0(SALU_CYCLE_1)
	s_mov_b32 s0, exec_lo
	v_cmpx_gt_i32_e64 s24, v0
	s_cbranch_execz .LBB376_52
.LBB376_69:
	v_add_nc_u32_e32 v1, s20, v0
	v_add_nc_u32_e32 v0, 0x100, v0
	global_store_d16_hi_b8 v1, v2, s[16:17]
	s_wait_xcnt 0x0
	s_or_b32 exec_lo, exec_lo, s0
	s_delay_alu instid0(SALU_CYCLE_1)
	s_mov_b32 s0, exec_lo
	v_cmpx_gt_i32_e64 s24, v0
	s_cbranch_execnz .LBB376_53
	s_branch .LBB376_54
	.section	.rodata,"a",@progbits
	.p2align	6, 0x0
	.amdhsa_kernel _ZN2at6native29vectorized_elementwise_kernelILi2ENS0_13BinaryFunctorIN3c1016Float4_e2m1fn_x2ES4_bNS0_12_GLOBAL__N_116CompareEqFunctorIS4_EEEESt5arrayIPcLm3EEEEviT0_T1_
		.amdhsa_group_segment_fixed_size 0
		.amdhsa_private_segment_fixed_size 0
		.amdhsa_kernarg_size 32
		.amdhsa_user_sgpr_count 2
		.amdhsa_user_sgpr_dispatch_ptr 0
		.amdhsa_user_sgpr_queue_ptr 0
		.amdhsa_user_sgpr_kernarg_segment_ptr 1
		.amdhsa_user_sgpr_dispatch_id 0
		.amdhsa_user_sgpr_kernarg_preload_length 0
		.amdhsa_user_sgpr_kernarg_preload_offset 0
		.amdhsa_user_sgpr_private_segment_size 0
		.amdhsa_wavefront_size32 1
		.amdhsa_uses_dynamic_stack 0
		.amdhsa_enable_private_segment 0
		.amdhsa_system_sgpr_workgroup_id_x 1
		.amdhsa_system_sgpr_workgroup_id_y 0
		.amdhsa_system_sgpr_workgroup_id_z 0
		.amdhsa_system_sgpr_workgroup_info 0
		.amdhsa_system_vgpr_workitem_id 0
		.amdhsa_next_free_vgpr 39
		.amdhsa_next_free_sgpr 29
		.amdhsa_named_barrier_count 0
		.amdhsa_reserve_vcc 1
		.amdhsa_float_round_mode_32 0
		.amdhsa_float_round_mode_16_64 0
		.amdhsa_float_denorm_mode_32 3
		.amdhsa_float_denorm_mode_16_64 3
		.amdhsa_fp16_overflow 0
		.amdhsa_memory_ordered 1
		.amdhsa_forward_progress 1
		.amdhsa_inst_pref_size 47
		.amdhsa_round_robin_scheduling 0
		.amdhsa_exception_fp_ieee_invalid_op 0
		.amdhsa_exception_fp_denorm_src 0
		.amdhsa_exception_fp_ieee_div_zero 0
		.amdhsa_exception_fp_ieee_overflow 0
		.amdhsa_exception_fp_ieee_underflow 0
		.amdhsa_exception_fp_ieee_inexact 0
		.amdhsa_exception_int_div_zero 0
	.end_amdhsa_kernel
	.section	.text._ZN2at6native29vectorized_elementwise_kernelILi2ENS0_13BinaryFunctorIN3c1016Float4_e2m1fn_x2ES4_bNS0_12_GLOBAL__N_116CompareEqFunctorIS4_EEEESt5arrayIPcLm3EEEEviT0_T1_,"axG",@progbits,_ZN2at6native29vectorized_elementwise_kernelILi2ENS0_13BinaryFunctorIN3c1016Float4_e2m1fn_x2ES4_bNS0_12_GLOBAL__N_116CompareEqFunctorIS4_EEEESt5arrayIPcLm3EEEEviT0_T1_,comdat
.Lfunc_end376:
	.size	_ZN2at6native29vectorized_elementwise_kernelILi2ENS0_13BinaryFunctorIN3c1016Float4_e2m1fn_x2ES4_bNS0_12_GLOBAL__N_116CompareEqFunctorIS4_EEEESt5arrayIPcLm3EEEEviT0_T1_, .Lfunc_end376-_ZN2at6native29vectorized_elementwise_kernelILi2ENS0_13BinaryFunctorIN3c1016Float4_e2m1fn_x2ES4_bNS0_12_GLOBAL__N_116CompareEqFunctorIS4_EEEESt5arrayIPcLm3EEEEviT0_T1_
                                        ; -- End function
	.set _ZN2at6native29vectorized_elementwise_kernelILi2ENS0_13BinaryFunctorIN3c1016Float4_e2m1fn_x2ES4_bNS0_12_GLOBAL__N_116CompareEqFunctorIS4_EEEESt5arrayIPcLm3EEEEviT0_T1_.num_vgpr, 39
	.set _ZN2at6native29vectorized_elementwise_kernelILi2ENS0_13BinaryFunctorIN3c1016Float4_e2m1fn_x2ES4_bNS0_12_GLOBAL__N_116CompareEqFunctorIS4_EEEESt5arrayIPcLm3EEEEviT0_T1_.num_agpr, 0
	.set _ZN2at6native29vectorized_elementwise_kernelILi2ENS0_13BinaryFunctorIN3c1016Float4_e2m1fn_x2ES4_bNS0_12_GLOBAL__N_116CompareEqFunctorIS4_EEEESt5arrayIPcLm3EEEEviT0_T1_.numbered_sgpr, 29
	.set _ZN2at6native29vectorized_elementwise_kernelILi2ENS0_13BinaryFunctorIN3c1016Float4_e2m1fn_x2ES4_bNS0_12_GLOBAL__N_116CompareEqFunctorIS4_EEEESt5arrayIPcLm3EEEEviT0_T1_.num_named_barrier, 0
	.set _ZN2at6native29vectorized_elementwise_kernelILi2ENS0_13BinaryFunctorIN3c1016Float4_e2m1fn_x2ES4_bNS0_12_GLOBAL__N_116CompareEqFunctorIS4_EEEESt5arrayIPcLm3EEEEviT0_T1_.private_seg_size, 0
	.set _ZN2at6native29vectorized_elementwise_kernelILi2ENS0_13BinaryFunctorIN3c1016Float4_e2m1fn_x2ES4_bNS0_12_GLOBAL__N_116CompareEqFunctorIS4_EEEESt5arrayIPcLm3EEEEviT0_T1_.uses_vcc, 1
	.set _ZN2at6native29vectorized_elementwise_kernelILi2ENS0_13BinaryFunctorIN3c1016Float4_e2m1fn_x2ES4_bNS0_12_GLOBAL__N_116CompareEqFunctorIS4_EEEESt5arrayIPcLm3EEEEviT0_T1_.uses_flat_scratch, 0
	.set _ZN2at6native29vectorized_elementwise_kernelILi2ENS0_13BinaryFunctorIN3c1016Float4_e2m1fn_x2ES4_bNS0_12_GLOBAL__N_116CompareEqFunctorIS4_EEEESt5arrayIPcLm3EEEEviT0_T1_.has_dyn_sized_stack, 0
	.set _ZN2at6native29vectorized_elementwise_kernelILi2ENS0_13BinaryFunctorIN3c1016Float4_e2m1fn_x2ES4_bNS0_12_GLOBAL__N_116CompareEqFunctorIS4_EEEESt5arrayIPcLm3EEEEviT0_T1_.has_recursion, 0
	.set _ZN2at6native29vectorized_elementwise_kernelILi2ENS0_13BinaryFunctorIN3c1016Float4_e2m1fn_x2ES4_bNS0_12_GLOBAL__N_116CompareEqFunctorIS4_EEEESt5arrayIPcLm3EEEEviT0_T1_.has_indirect_call, 0
	.section	.AMDGPU.csdata,"",@progbits
; Kernel info:
; codeLenInByte = 5952
; TotalNumSgprs: 31
; NumVgprs: 39
; ScratchSize: 0
; MemoryBound: 0
; FloatMode: 240
; IeeeMode: 1
; LDSByteSize: 0 bytes/workgroup (compile time only)
; SGPRBlocks: 0
; VGPRBlocks: 2
; NumSGPRsForWavesPerEU: 31
; NumVGPRsForWavesPerEU: 39
; NamedBarCnt: 0
; Occupancy: 16
; WaveLimiterHint : 1
; COMPUTE_PGM_RSRC2:SCRATCH_EN: 0
; COMPUTE_PGM_RSRC2:USER_SGPR: 2
; COMPUTE_PGM_RSRC2:TRAP_HANDLER: 0
; COMPUTE_PGM_RSRC2:TGID_X_EN: 1
; COMPUTE_PGM_RSRC2:TGID_Y_EN: 0
; COMPUTE_PGM_RSRC2:TGID_Z_EN: 0
; COMPUTE_PGM_RSRC2:TIDIG_COMP_CNT: 0
	.section	.text._ZN2at6native27unrolled_elementwise_kernelINS0_13BinaryFunctorIN3c1016Float4_e2m1fn_x2ES4_bNS0_12_GLOBAL__N_116CompareEqFunctorIS4_EEEESt5arrayIPcLm3EELi4E23TrivialOffsetCalculatorILi2EjESC_ILi1EjENS0_6memory15LoadWithoutCastENSF_16StoreWithoutCastEEEviT_T0_T2_T3_T4_T5_,"axG",@progbits,_ZN2at6native27unrolled_elementwise_kernelINS0_13BinaryFunctorIN3c1016Float4_e2m1fn_x2ES4_bNS0_12_GLOBAL__N_116CompareEqFunctorIS4_EEEESt5arrayIPcLm3EELi4E23TrivialOffsetCalculatorILi2EjESC_ILi1EjENS0_6memory15LoadWithoutCastENSF_16StoreWithoutCastEEEviT_T0_T2_T3_T4_T5_,comdat
	.globl	_ZN2at6native27unrolled_elementwise_kernelINS0_13BinaryFunctorIN3c1016Float4_e2m1fn_x2ES4_bNS0_12_GLOBAL__N_116CompareEqFunctorIS4_EEEESt5arrayIPcLm3EELi4E23TrivialOffsetCalculatorILi2EjESC_ILi1EjENS0_6memory15LoadWithoutCastENSF_16StoreWithoutCastEEEviT_T0_T2_T3_T4_T5_ ; -- Begin function _ZN2at6native27unrolled_elementwise_kernelINS0_13BinaryFunctorIN3c1016Float4_e2m1fn_x2ES4_bNS0_12_GLOBAL__N_116CompareEqFunctorIS4_EEEESt5arrayIPcLm3EELi4E23TrivialOffsetCalculatorILi2EjESC_ILi1EjENS0_6memory15LoadWithoutCastENSF_16StoreWithoutCastEEEviT_T0_T2_T3_T4_T5_
	.p2align	8
	.type	_ZN2at6native27unrolled_elementwise_kernelINS0_13BinaryFunctorIN3c1016Float4_e2m1fn_x2ES4_bNS0_12_GLOBAL__N_116CompareEqFunctorIS4_EEEESt5arrayIPcLm3EELi4E23TrivialOffsetCalculatorILi2EjESC_ILi1EjENS0_6memory15LoadWithoutCastENSF_16StoreWithoutCastEEEviT_T0_T2_T3_T4_T5_,@function
_ZN2at6native27unrolled_elementwise_kernelINS0_13BinaryFunctorIN3c1016Float4_e2m1fn_x2ES4_bNS0_12_GLOBAL__N_116CompareEqFunctorIS4_EEEESt5arrayIPcLm3EELi4E23TrivialOffsetCalculatorILi2EjESC_ILi1EjENS0_6memory15LoadWithoutCastENSF_16StoreWithoutCastEEEviT_T0_T2_T3_T4_T5_: ; @_ZN2at6native27unrolled_elementwise_kernelINS0_13BinaryFunctorIN3c1016Float4_e2m1fn_x2ES4_bNS0_12_GLOBAL__N_116CompareEqFunctorIS4_EEEESt5arrayIPcLm3EELi4E23TrivialOffsetCalculatorILi2EjESC_ILi1EjENS0_6memory15LoadWithoutCastENSF_16StoreWithoutCastEEEviT_T0_T2_T3_T4_T5_
; %bb.0:
	s_load_b64 s[2:3], s[0:1], 0x0
	s_bfe_u32 s10, ttmp6, 0x4000c
	s_clause 0x1
	s_load_b128 s[4:7], s[0:1], 0x8
	s_load_b64 s[8:9], s[0:1], 0x18
	s_add_co_i32 s10, s10, 1
	s_wait_xcnt 0x0
	s_and_b32 s0, ttmp6, 15
	s_mul_i32 s1, ttmp9, s10
	s_getreg_b32 s10, hwreg(HW_REG_IB_STS2, 6, 4)
	s_add_co_i32 s0, s0, s1
	s_cmp_eq_u32 s10, 0
	v_or_b32_e32 v1, 0x100, v0
	s_cselect_b32 s0, ttmp9, s0
	s_mov_b32 s11, 0
	s_lshl_b32 s10, s0, 10
	s_wait_kmcnt 0x0
	s_sub_co_i32 s2, s2, s10
	s_delay_alu instid0(SALU_CYCLE_1) | instskip(SKIP_2) | instid1(SALU_CYCLE_1)
	v_cmp_le_i32_e64 s0, s2, v0
	v_cmp_gt_i32_e32 vcc_lo, s2, v0
	s_and_saveexec_b32 s1, s0
	s_xor_b32 s0, exec_lo, s1
; %bb.1:
	v_or_b32_e32 v1, 0x100, v0
; %bb.2:
	s_or_saveexec_b32 s1, s0
	v_dual_mov_b32 v3, 0 :: v_dual_bitop2_b32 v2, s10, v0 bitop3:0x54
	v_dual_mov_b32 v4, 0 :: v_dual_mov_b32 v6, 0
	v_dual_mov_b32 v7, 0 :: v_dual_mov_b32 v5, 0
	v_mov_b32_e32 v8, 0
	s_xor_b32 exec_lo, exec_lo, s1
	s_cbranch_execz .LBB377_10
; %bb.3:
	s_clause 0x1
	global_load_u8 v5, v2, s[6:7]
	global_load_u8 v8, v2, s[8:9]
	v_dual_mov_b32 v7, 0 :: v_dual_mov_b32 v6, 0
	v_dual_mov_b32 v4, 0 :: v_dual_mov_b32 v3, 0
	s_mov_b32 s12, 0
	s_mov_b32 s11, exec_lo
	s_wait_xcnt 0x0
	v_cmpx_gt_u32_e64 s2, v1
	s_cbranch_execz .LBB377_9
; %bb.4:
	v_dual_mov_b32 v4, 0 :: v_dual_add_nc_u32 v3, s10, v1
	v_or_b32_e32 v9, 0x200, v0
	s_mov_b32 s13, 0
	s_mov_b32 s12, exec_lo
	s_clause 0x1
	global_load_u8 v6, v3, s[6:7]
	global_load_u8 v7, v3, s[8:9]
	s_wait_xcnt 0x0
	v_mov_b32_e32 v3, 0
	v_cmpx_gt_u32_e64 s2, v9
	s_cbranch_execz .LBB377_8
; %bb.5:
	v_add_nc_u32_e32 v9, s10, v9
	s_mov_b32 s14, 0
	s_mov_b32 s13, exec_lo
	s_clause 0x1
	global_load_u8 v3, v9, s[6:7]
	global_load_u8 v4, v9, s[8:9]
	s_wait_xcnt 0x0
	v_or_b32_e32 v9, 0x300, v0
	s_delay_alu instid0(VALU_DEP_1)
	v_cmpx_gt_u32_e64 s2, v9
	s_cbranch_execz .LBB377_7
; %bb.6:
	v_add_nc_u32_e32 v9, s10, v9
	s_clause 0x1
	global_load_u8 v10, v9, s[6:7]
	global_load_u8 v11, v9, s[8:9]
	s_wait_loadcnt 0x0
	v_cmp_ne_u16_e64 s0, v10, v11
	s_and_b32 s14, s0, exec_lo
.LBB377_7:
	s_or_b32 exec_lo, exec_lo, s13
	s_delay_alu instid0(SALU_CYCLE_1)
	s_and_b32 s13, s14, exec_lo
.LBB377_8:
	s_or_b32 exec_lo, exec_lo, s12
	s_delay_alu instid0(SALU_CYCLE_1)
	s_and_b32 s12, s13, exec_lo
.LBB377_9:
	s_or_b32 exec_lo, exec_lo, s11
	s_delay_alu instid0(SALU_CYCLE_1)
	s_and_b32 s11, s12, exec_lo
.LBB377_10:
	s_or_b32 exec_lo, exec_lo, s1
	s_wait_loadcnt 0x0
	v_and_b32_e32 v8, 0xff, v8
	v_and_b32_e32 v5, 0xff, v5
	;; [unrolled: 1-line block ×4, first 2 shown]
	s_cmp_eq_u32 s3, 0
	v_and_b32_e32 v4, 0xff, v4
	v_cmp_ne_u16_e64 s0, v5, v8
	s_cselect_b32 s3, -1, 0
	v_cmp_ne_u16_e64 s1, v6, v7
	v_and_b32_e32 v3, 0xff, v3
	s_xor_b32 s0, s3, s0
	s_delay_alu instid0(SALU_CYCLE_1) | instskip(SKIP_1) | instid1(SALU_CYCLE_1)
	v_cndmask_b32_e64 v5, 0, 1, s0
	s_xor_b32 s0, s3, s1
	v_cndmask_b32_e64 v6, 0, 1, s0
	v_cmp_ne_u16_e64 s0, v3, v4
	s_delay_alu instid0(VALU_DEP_2) | instskip(SKIP_1) | instid1(SALU_CYCLE_1)
	v_lshlrev_b16 v6, 8, v6
	s_xor_b32 s0, s3, s0
	v_cndmask_b32_e64 v4, 0, 1, s0
	v_cndmask_b32_e32 v5, 0, v5, vcc_lo
	v_cmp_gt_i32_e64 s0, s2, v1
	s_delay_alu instid0(VALU_DEP_2) | instskip(NEXT) | instid1(VALU_DEP_1)
	v_dual_lshlrev_b32 v4, 16, v4 :: v_dual_bitop2_b32 v3, v5, v6 bitop3:0x54
	v_and_b32_e32 v3, 0xffff, v3
	s_delay_alu instid0(VALU_DEP_1) | instskip(SKIP_1) | instid1(VALU_DEP_2)
	v_cndmask_b32_e64 v3, v5, v3, s0
	v_or_b32_e32 v5, 0x200, v0
	v_or_b32_e32 v4, v3, v4
	s_delay_alu instid0(VALU_DEP_2) | instskip(NEXT) | instid1(VALU_DEP_1)
	v_cmp_gt_i32_e64 s0, s2, v5
	v_cndmask_b32_e64 v3, v3, v4, s0
	s_xor_b32 s0, s3, s11
	s_delay_alu instid0(SALU_CYCLE_1) | instskip(NEXT) | instid1(VALU_DEP_2)
	v_cndmask_b32_e64 v4, 0, 1, s0
	v_lshrrev_b32_e32 v5, 16, v3
	s_delay_alu instid0(VALU_DEP_2) | instskip(NEXT) | instid1(VALU_DEP_1)
	v_lshlrev_b16 v4, 8, v4
	v_bitop3_b16 v4, v5, v4, 0xff bitop3:0xec
	v_or_b32_e32 v5, 0x300, v0
	s_delay_alu instid0(VALU_DEP_2) | instskip(NEXT) | instid1(VALU_DEP_2)
	v_lshlrev_b32_e32 v4, 16, v4
	v_cmp_gt_i32_e64 s0, s2, v5
	s_delay_alu instid0(VALU_DEP_2) | instskip(NEXT) | instid1(VALU_DEP_1)
	v_and_or_b32 v4, 0xffff, v3, v4
	v_cndmask_b32_e64 v3, v3, v4, s0
	s_and_saveexec_b32 s0, vcc_lo
	s_cbranch_execnz .LBB377_15
; %bb.11:
	s_or_b32 exec_lo, exec_lo, s0
	s_delay_alu instid0(SALU_CYCLE_1)
	s_mov_b32 s0, exec_lo
	v_cmpx_gt_i32_e64 s2, v0
	s_cbranch_execnz .LBB377_16
.LBB377_12:
	s_or_b32 exec_lo, exec_lo, s0
	s_delay_alu instid0(SALU_CYCLE_1)
	s_mov_b32 s0, exec_lo
	v_cmpx_gt_i32_e64 s2, v0
	s_cbranch_execnz .LBB377_17
.LBB377_13:
	s_or_b32 exec_lo, exec_lo, s0
	s_delay_alu instid0(SALU_CYCLE_1)
	s_mov_b32 s0, exec_lo
	v_cmpx_gt_i32_e64 s2, v0
	s_cbranch_execnz .LBB377_18
.LBB377_14:
	s_endpgm
.LBB377_15:
	v_mov_b32_e32 v0, v1
	global_store_b8 v2, v3, s[4:5]
	s_wait_xcnt 0x0
	s_or_b32 exec_lo, exec_lo, s0
	s_delay_alu instid0(SALU_CYCLE_1)
	s_mov_b32 s0, exec_lo
	v_cmpx_gt_i32_e64 s2, v0
	s_cbranch_execz .LBB377_12
.LBB377_16:
	v_add_nc_u32_e32 v1, 0x100, v0
	v_dual_add_nc_u32 v2, s10, v0 :: v_dual_lshrrev_b32 v4, 8, v3
	s_delay_alu instid0(VALU_DEP_2) | instskip(SKIP_3) | instid1(SALU_CYCLE_1)
	v_mov_b32_e32 v0, v1
	global_store_b8 v2, v4, s[4:5]
	s_wait_xcnt 0x0
	s_or_b32 exec_lo, exec_lo, s0
	s_mov_b32 s0, exec_lo
	v_cmpx_gt_i32_e64 s2, v0
	s_cbranch_execz .LBB377_13
.LBB377_17:
	v_add_nc_u32_e32 v1, 0x100, v0
	s_delay_alu instid0(VALU_DEP_1) | instskip(SKIP_3) | instid1(SALU_CYCLE_1)
	v_dual_add_nc_u32 v2, s10, v0 :: v_dual_mov_b32 v0, v1
	global_store_d16_hi_b8 v2, v3, s[4:5]
	s_wait_xcnt 0x0
	s_or_b32 exec_lo, exec_lo, s0
	s_mov_b32 s0, exec_lo
	v_cmpx_gt_i32_e64 s2, v0
	s_cbranch_execz .LBB377_14
.LBB377_18:
	v_dual_add_nc_u32 v0, s10, v0 :: v_dual_lshrrev_b32 v1, 24, v3
	global_store_b8 v0, v1, s[4:5]
	s_endpgm
	.section	.rodata,"a",@progbits
	.p2align	6, 0x0
	.amdhsa_kernel _ZN2at6native27unrolled_elementwise_kernelINS0_13BinaryFunctorIN3c1016Float4_e2m1fn_x2ES4_bNS0_12_GLOBAL__N_116CompareEqFunctorIS4_EEEESt5arrayIPcLm3EELi4E23TrivialOffsetCalculatorILi2EjESC_ILi1EjENS0_6memory15LoadWithoutCastENSF_16StoreWithoutCastEEEviT_T0_T2_T3_T4_T5_
		.amdhsa_group_segment_fixed_size 0
		.amdhsa_private_segment_fixed_size 0
		.amdhsa_kernarg_size 36
		.amdhsa_user_sgpr_count 2
		.amdhsa_user_sgpr_dispatch_ptr 0
		.amdhsa_user_sgpr_queue_ptr 0
		.amdhsa_user_sgpr_kernarg_segment_ptr 1
		.amdhsa_user_sgpr_dispatch_id 0
		.amdhsa_user_sgpr_kernarg_preload_length 0
		.amdhsa_user_sgpr_kernarg_preload_offset 0
		.amdhsa_user_sgpr_private_segment_size 0
		.amdhsa_wavefront_size32 1
		.amdhsa_uses_dynamic_stack 0
		.amdhsa_enable_private_segment 0
		.amdhsa_system_sgpr_workgroup_id_x 1
		.amdhsa_system_sgpr_workgroup_id_y 0
		.amdhsa_system_sgpr_workgroup_id_z 0
		.amdhsa_system_sgpr_workgroup_info 0
		.amdhsa_system_vgpr_workitem_id 0
		.amdhsa_next_free_vgpr 12
		.amdhsa_next_free_sgpr 15
		.amdhsa_named_barrier_count 0
		.amdhsa_reserve_vcc 1
		.amdhsa_float_round_mode_32 0
		.amdhsa_float_round_mode_16_64 0
		.amdhsa_float_denorm_mode_32 3
		.amdhsa_float_denorm_mode_16_64 3
		.amdhsa_fp16_overflow 0
		.amdhsa_memory_ordered 1
		.amdhsa_forward_progress 1
		.amdhsa_inst_pref_size 9
		.amdhsa_round_robin_scheduling 0
		.amdhsa_exception_fp_ieee_invalid_op 0
		.amdhsa_exception_fp_denorm_src 0
		.amdhsa_exception_fp_ieee_div_zero 0
		.amdhsa_exception_fp_ieee_overflow 0
		.amdhsa_exception_fp_ieee_underflow 0
		.amdhsa_exception_fp_ieee_inexact 0
		.amdhsa_exception_int_div_zero 0
	.end_amdhsa_kernel
	.section	.text._ZN2at6native27unrolled_elementwise_kernelINS0_13BinaryFunctorIN3c1016Float4_e2m1fn_x2ES4_bNS0_12_GLOBAL__N_116CompareEqFunctorIS4_EEEESt5arrayIPcLm3EELi4E23TrivialOffsetCalculatorILi2EjESC_ILi1EjENS0_6memory15LoadWithoutCastENSF_16StoreWithoutCastEEEviT_T0_T2_T3_T4_T5_,"axG",@progbits,_ZN2at6native27unrolled_elementwise_kernelINS0_13BinaryFunctorIN3c1016Float4_e2m1fn_x2ES4_bNS0_12_GLOBAL__N_116CompareEqFunctorIS4_EEEESt5arrayIPcLm3EELi4E23TrivialOffsetCalculatorILi2EjESC_ILi1EjENS0_6memory15LoadWithoutCastENSF_16StoreWithoutCastEEEviT_T0_T2_T3_T4_T5_,comdat
.Lfunc_end377:
	.size	_ZN2at6native27unrolled_elementwise_kernelINS0_13BinaryFunctorIN3c1016Float4_e2m1fn_x2ES4_bNS0_12_GLOBAL__N_116CompareEqFunctorIS4_EEEESt5arrayIPcLm3EELi4E23TrivialOffsetCalculatorILi2EjESC_ILi1EjENS0_6memory15LoadWithoutCastENSF_16StoreWithoutCastEEEviT_T0_T2_T3_T4_T5_, .Lfunc_end377-_ZN2at6native27unrolled_elementwise_kernelINS0_13BinaryFunctorIN3c1016Float4_e2m1fn_x2ES4_bNS0_12_GLOBAL__N_116CompareEqFunctorIS4_EEEESt5arrayIPcLm3EELi4E23TrivialOffsetCalculatorILi2EjESC_ILi1EjENS0_6memory15LoadWithoutCastENSF_16StoreWithoutCastEEEviT_T0_T2_T3_T4_T5_
                                        ; -- End function
	.set _ZN2at6native27unrolled_elementwise_kernelINS0_13BinaryFunctorIN3c1016Float4_e2m1fn_x2ES4_bNS0_12_GLOBAL__N_116CompareEqFunctorIS4_EEEESt5arrayIPcLm3EELi4E23TrivialOffsetCalculatorILi2EjESC_ILi1EjENS0_6memory15LoadWithoutCastENSF_16StoreWithoutCastEEEviT_T0_T2_T3_T4_T5_.num_vgpr, 12
	.set _ZN2at6native27unrolled_elementwise_kernelINS0_13BinaryFunctorIN3c1016Float4_e2m1fn_x2ES4_bNS0_12_GLOBAL__N_116CompareEqFunctorIS4_EEEESt5arrayIPcLm3EELi4E23TrivialOffsetCalculatorILi2EjESC_ILi1EjENS0_6memory15LoadWithoutCastENSF_16StoreWithoutCastEEEviT_T0_T2_T3_T4_T5_.num_agpr, 0
	.set _ZN2at6native27unrolled_elementwise_kernelINS0_13BinaryFunctorIN3c1016Float4_e2m1fn_x2ES4_bNS0_12_GLOBAL__N_116CompareEqFunctorIS4_EEEESt5arrayIPcLm3EELi4E23TrivialOffsetCalculatorILi2EjESC_ILi1EjENS0_6memory15LoadWithoutCastENSF_16StoreWithoutCastEEEviT_T0_T2_T3_T4_T5_.numbered_sgpr, 15
	.set _ZN2at6native27unrolled_elementwise_kernelINS0_13BinaryFunctorIN3c1016Float4_e2m1fn_x2ES4_bNS0_12_GLOBAL__N_116CompareEqFunctorIS4_EEEESt5arrayIPcLm3EELi4E23TrivialOffsetCalculatorILi2EjESC_ILi1EjENS0_6memory15LoadWithoutCastENSF_16StoreWithoutCastEEEviT_T0_T2_T3_T4_T5_.num_named_barrier, 0
	.set _ZN2at6native27unrolled_elementwise_kernelINS0_13BinaryFunctorIN3c1016Float4_e2m1fn_x2ES4_bNS0_12_GLOBAL__N_116CompareEqFunctorIS4_EEEESt5arrayIPcLm3EELi4E23TrivialOffsetCalculatorILi2EjESC_ILi1EjENS0_6memory15LoadWithoutCastENSF_16StoreWithoutCastEEEviT_T0_T2_T3_T4_T5_.private_seg_size, 0
	.set _ZN2at6native27unrolled_elementwise_kernelINS0_13BinaryFunctorIN3c1016Float4_e2m1fn_x2ES4_bNS0_12_GLOBAL__N_116CompareEqFunctorIS4_EEEESt5arrayIPcLm3EELi4E23TrivialOffsetCalculatorILi2EjESC_ILi1EjENS0_6memory15LoadWithoutCastENSF_16StoreWithoutCastEEEviT_T0_T2_T3_T4_T5_.uses_vcc, 1
	.set _ZN2at6native27unrolled_elementwise_kernelINS0_13BinaryFunctorIN3c1016Float4_e2m1fn_x2ES4_bNS0_12_GLOBAL__N_116CompareEqFunctorIS4_EEEESt5arrayIPcLm3EELi4E23TrivialOffsetCalculatorILi2EjESC_ILi1EjENS0_6memory15LoadWithoutCastENSF_16StoreWithoutCastEEEviT_T0_T2_T3_T4_T5_.uses_flat_scratch, 0
	.set _ZN2at6native27unrolled_elementwise_kernelINS0_13BinaryFunctorIN3c1016Float4_e2m1fn_x2ES4_bNS0_12_GLOBAL__N_116CompareEqFunctorIS4_EEEESt5arrayIPcLm3EELi4E23TrivialOffsetCalculatorILi2EjESC_ILi1EjENS0_6memory15LoadWithoutCastENSF_16StoreWithoutCastEEEviT_T0_T2_T3_T4_T5_.has_dyn_sized_stack, 0
	.set _ZN2at6native27unrolled_elementwise_kernelINS0_13BinaryFunctorIN3c1016Float4_e2m1fn_x2ES4_bNS0_12_GLOBAL__N_116CompareEqFunctorIS4_EEEESt5arrayIPcLm3EELi4E23TrivialOffsetCalculatorILi2EjESC_ILi1EjENS0_6memory15LoadWithoutCastENSF_16StoreWithoutCastEEEviT_T0_T2_T3_T4_T5_.has_recursion, 0
	.set _ZN2at6native27unrolled_elementwise_kernelINS0_13BinaryFunctorIN3c1016Float4_e2m1fn_x2ES4_bNS0_12_GLOBAL__N_116CompareEqFunctorIS4_EEEESt5arrayIPcLm3EELi4E23TrivialOffsetCalculatorILi2EjESC_ILi1EjENS0_6memory15LoadWithoutCastENSF_16StoreWithoutCastEEEviT_T0_T2_T3_T4_T5_.has_indirect_call, 0
	.section	.AMDGPU.csdata,"",@progbits
; Kernel info:
; codeLenInByte = 1060
; TotalNumSgprs: 17
; NumVgprs: 12
; ScratchSize: 0
; MemoryBound: 0
; FloatMode: 240
; IeeeMode: 1
; LDSByteSize: 0 bytes/workgroup (compile time only)
; SGPRBlocks: 0
; VGPRBlocks: 0
; NumSGPRsForWavesPerEU: 17
; NumVGPRsForWavesPerEU: 12
; NamedBarCnt: 0
; Occupancy: 16
; WaveLimiterHint : 0
; COMPUTE_PGM_RSRC2:SCRATCH_EN: 0
; COMPUTE_PGM_RSRC2:USER_SGPR: 2
; COMPUTE_PGM_RSRC2:TRAP_HANDLER: 0
; COMPUTE_PGM_RSRC2:TGID_X_EN: 1
; COMPUTE_PGM_RSRC2:TGID_Y_EN: 0
; COMPUTE_PGM_RSRC2:TGID_Z_EN: 0
; COMPUTE_PGM_RSRC2:TIDIG_COMP_CNT: 0
	.section	.text._ZN2at6native32elementwise_kernel_manual_unrollILi128ELi8EZNS0_22gpu_kernel_impl_nocastINS0_13BinaryFunctorIN3c1016Float4_e2m1fn_x2ES5_bNS0_12_GLOBAL__N_116CompareEqFunctorIS5_EEEEEEvRNS_18TensorIteratorBaseERKT_EUlibE_EEviT1_,"axG",@progbits,_ZN2at6native32elementwise_kernel_manual_unrollILi128ELi8EZNS0_22gpu_kernel_impl_nocastINS0_13BinaryFunctorIN3c1016Float4_e2m1fn_x2ES5_bNS0_12_GLOBAL__N_116CompareEqFunctorIS5_EEEEEEvRNS_18TensorIteratorBaseERKT_EUlibE_EEviT1_,comdat
	.globl	_ZN2at6native32elementwise_kernel_manual_unrollILi128ELi8EZNS0_22gpu_kernel_impl_nocastINS0_13BinaryFunctorIN3c1016Float4_e2m1fn_x2ES5_bNS0_12_GLOBAL__N_116CompareEqFunctorIS5_EEEEEEvRNS_18TensorIteratorBaseERKT_EUlibE_EEviT1_ ; -- Begin function _ZN2at6native32elementwise_kernel_manual_unrollILi128ELi8EZNS0_22gpu_kernel_impl_nocastINS0_13BinaryFunctorIN3c1016Float4_e2m1fn_x2ES5_bNS0_12_GLOBAL__N_116CompareEqFunctorIS5_EEEEEEvRNS_18TensorIteratorBaseERKT_EUlibE_EEviT1_
	.p2align	8
	.type	_ZN2at6native32elementwise_kernel_manual_unrollILi128ELi8EZNS0_22gpu_kernel_impl_nocastINS0_13BinaryFunctorIN3c1016Float4_e2m1fn_x2ES5_bNS0_12_GLOBAL__N_116CompareEqFunctorIS5_EEEEEEvRNS_18TensorIteratorBaseERKT_EUlibE_EEviT1_,@function
_ZN2at6native32elementwise_kernel_manual_unrollILi128ELi8EZNS0_22gpu_kernel_impl_nocastINS0_13BinaryFunctorIN3c1016Float4_e2m1fn_x2ES5_bNS0_12_GLOBAL__N_116CompareEqFunctorIS5_EEEEEEvRNS_18TensorIteratorBaseERKT_EUlibE_EEviT1_: ; @_ZN2at6native32elementwise_kernel_manual_unrollILi128ELi8EZNS0_22gpu_kernel_impl_nocastINS0_13BinaryFunctorIN3c1016Float4_e2m1fn_x2ES5_bNS0_12_GLOBAL__N_116CompareEqFunctorIS5_EEEEEEvRNS_18TensorIteratorBaseERKT_EUlibE_EEviT1_
; %bb.0:
	s_clause 0x1
	s_load_b32 s26, s[0:1], 0x8
	s_load_b32 s33, s[0:1], 0x0
	s_bfe_u32 s2, ttmp6, 0x4000c
	s_and_b32 s3, ttmp6, 15
	s_add_co_i32 s2, s2, 1
	s_getreg_b32 s4, hwreg(HW_REG_IB_STS2, 6, 4)
	s_mul_i32 s2, ttmp9, s2
	s_add_nc_u64 s[16:17], s[0:1], 8
	s_add_co_i32 s3, s3, s2
	s_cmp_eq_u32 s4, 0
	s_mov_b32 s21, 0
	s_cselect_b32 s2, ttmp9, s3
	s_wait_xcnt 0x0
	s_mov_b32 s0, exec_lo
	v_lshl_or_b32 v0, s2, 10, v0
	s_delay_alu instid0(VALU_DEP_1) | instskip(SKIP_2) | instid1(SALU_CYCLE_1)
	v_or_b32_e32 v4, 0x380, v0
	s_wait_kmcnt 0x0
	s_add_co_i32 s27, s26, -1
	s_cmp_gt_u32 s27, 1
	s_cselect_b32 s28, -1, 0
	v_cmpx_le_i32_e64 s33, v4
	s_xor_b32 s29, exec_lo, s0
	s_cbranch_execz .LBB378_106
; %bb.1:
	s_clause 0x5
	s_load_b128 s[4:7], s[16:17], 0x4
	s_load_b64 s[18:19], s[16:17], 0x14
	s_load_b96 s[12:14], s[16:17], 0x198
	s_load_b128 s[8:11], s[16:17], 0xc4
	s_load_b64 s[22:23], s[16:17], 0xd4
	s_load_b128 s[0:3], s[16:17], 0x188
	s_cmp_lg_u32 s26, 0
	s_mov_b32 s25, s21
	s_cselect_b32 s34, -1, 0
	s_min_u32 s31, s27, 15
	s_cmp_gt_u32 s26, 1
	s_cselect_b32 s30, -1, 0
	s_wait_kmcnt 0x0
	s_mov_b32 s20, s5
	s_mov_b32 s24, s18
	s_cmp_eq_u32 s14, 0
	s_mov_b32 s18, exec_lo
	s_cselect_b32 s5, -1, 0
	v_cmpx_gt_i32_e64 s33, v0
	s_cbranch_execnz .LBB378_9
; %bb.2:
	s_or_b32 exec_lo, exec_lo, s18
	s_delay_alu instid0(SALU_CYCLE_1)
	s_mov_b32 s18, exec_lo
	v_cmpx_gt_i32_e64 s33, v0
	s_cbranch_execnz .LBB378_21
.LBB378_3:
	s_or_b32 exec_lo, exec_lo, s18
	s_delay_alu instid0(SALU_CYCLE_1)
	s_mov_b32 s18, exec_lo
	v_cmpx_gt_i32_e64 s33, v0
	s_cbranch_execnz .LBB378_33
.LBB378_4:
	s_or_b32 exec_lo, exec_lo, s18
	s_delay_alu instid0(SALU_CYCLE_1)
	s_mov_b32 s18, exec_lo
	v_cmpx_gt_i32_e64 s33, v0
	s_cbranch_execnz .LBB378_45
.LBB378_5:
	s_or_b32 exec_lo, exec_lo, s18
	s_delay_alu instid0(SALU_CYCLE_1)
	s_mov_b32 s18, exec_lo
	v_cmpx_gt_i32_e64 s33, v0
	s_cbranch_execnz .LBB378_57
.LBB378_6:
	s_or_b32 exec_lo, exec_lo, s18
	s_delay_alu instid0(SALU_CYCLE_1)
	s_mov_b32 s18, exec_lo
	v_cmpx_gt_i32_e64 s33, v0
	s_cbranch_execnz .LBB378_69
.LBB378_7:
	s_or_b32 exec_lo, exec_lo, s18
	s_delay_alu instid0(SALU_CYCLE_1)
	s_mov_b32 s18, exec_lo
	v_cmpx_gt_i32_e64 s33, v0
	s_cbranch_execnz .LBB378_81
.LBB378_8:
	s_or_b32 exec_lo, exec_lo, s18
	s_delay_alu instid0(SALU_CYCLE_1)
	s_mov_b32 s18, exec_lo
	v_cmpx_gt_i32_e64 s33, v0
	s_cbranch_execnz .LBB378_93
	s_branch .LBB378_105
.LBB378_9:
	s_and_not1_b32 vcc_lo, exec_lo, s28
	s_cbranch_vccnz .LBB378_15
; %bb.10:
	s_and_not1_b32 vcc_lo, exec_lo, s34
	s_cbranch_vccnz .LBB378_16
; %bb.11:
	v_dual_mov_b32 v4, 0 :: v_dual_mov_b32 v1, v0
	v_dual_mov_b32 v6, 0 :: v_dual_mov_b32 v5, 0
	s_add_co_i32 s35, s31, 1
	s_mov_b64 s[14:15], 0xffffffffffffffe8
	s_and_b32 s35, s35, 30
	s_add_nc_u64 s[14:15], s[16:17], s[14:15]
.LBB378_12:                             ; =>This Inner Loop Header: Depth=1
	s_clause 0x1
	s_load_b128 s[36:39], s[14:15], 0x1c
	s_load_b64 s[44:45], s[14:15], 0x2c
	s_add_co_i32 s35, s35, -2
	s_delay_alu instid0(SALU_CYCLE_1) | instskip(SKIP_2) | instid1(VALU_DEP_1)
	s_cmp_lg_u32 s35, 0
	s_wait_kmcnt 0x0
	v_mul_hi_u32 v2, s37, v1
	v_add_nc_u32_e32 v2, v1, v2
	s_delay_alu instid0(VALU_DEP_1) | instskip(NEXT) | instid1(VALU_DEP_1)
	v_lshrrev_b32_e32 v2, s38, v2
	v_mul_hi_u32 v3, s44, v2
	v_mul_lo_u32 v7, v2, s36
	s_clause 0x1
	s_load_b128 s[40:43], s[14:15], 0xdc
	s_load_b64 s[36:37], s[14:15], 0xec
	s_wait_xcnt 0x0
	s_add_nc_u64 s[14:15], s[14:15], 24
	s_delay_alu instid0(VALU_DEP_2) | instskip(NEXT) | instid1(VALU_DEP_2)
	v_add_nc_u32_e32 v3, v2, v3
	v_sub_nc_u32_e32 v7, v1, v7
	s_delay_alu instid0(VALU_DEP_2) | instskip(SKIP_1) | instid1(VALU_DEP_2)
	v_lshrrev_b32_e32 v1, s45, v3
	s_wait_kmcnt 0x0
	v_mad_u32 v4, v7, s40, v4
	s_delay_alu instid0(VALU_DEP_2) | instskip(SKIP_2) | instid1(VALU_DEP_3)
	v_mul_lo_u32 v3, v1, s39
	v_mad_u32 v5, v7, s42, v5
	v_mad_u32 v6, v7, s41, v6
	v_sub_nc_u32_e32 v2, v2, v3
	s_delay_alu instid0(VALU_DEP_1) | instskip(NEXT) | instid1(VALU_DEP_4)
	v_mad_u32 v4, v2, s43, v4
	v_mad_u32 v5, v2, s37, v5
	s_delay_alu instid0(VALU_DEP_4)
	v_mad_u32 v6, v2, s36, v6
	s_cbranch_scc1 .LBB378_12
; %bb.13:
	s_bitcmp1_b32 s31, 0
	s_cselect_b32 s35, -1, 0
	s_delay_alu instid0(SALU_CYCLE_1)
	s_and_b32 vcc_lo, exec_lo, s35
	s_cbranch_vccnz .LBB378_17
; %bb.14:
	s_clause 0x1
	s_load_b96 s[36:38], s[14:15], 0x1c
	s_load_b96 s[40:42], s[14:15], 0xdc
	s_wait_xcnt 0x0
	s_wait_kmcnt 0x0
	v_mul_hi_u32 v2, s37, v1
	s_delay_alu instid0(VALU_DEP_1) | instskip(NEXT) | instid1(VALU_DEP_1)
	v_add_nc_u32_e32 v2, v1, v2
	v_lshrrev_b32_e32 v2, s38, v2
	s_delay_alu instid0(VALU_DEP_1) | instskip(NEXT) | instid1(VALU_DEP_1)
	v_mul_lo_u32 v2, v2, s36
	v_sub_nc_u32_e32 v1, v1, v2
	s_delay_alu instid0(VALU_DEP_1)
	v_mad_u32 v4, v1, s40, v4
	v_mad_u32 v6, v1, s41, v6
	;; [unrolled: 1-line block ×3, first 2 shown]
	s_cbranch_execz .LBB378_18
	s_branch .LBB378_20
.LBB378_15:
                                        ; implicit-def: $vgpr5
                                        ; implicit-def: $vgpr6
                                        ; implicit-def: $vgpr4
	s_branch .LBB378_18
.LBB378_16:
	v_dual_mov_b32 v5, 0 :: v_dual_mov_b32 v6, 0
	v_mov_b32_e32 v4, 0
.LBB378_17:
	s_cbranch_execnz .LBB378_20
.LBB378_18:
	v_mov_b32_e32 v1, 0
	s_and_not1_b32 vcc_lo, exec_lo, s30
	s_delay_alu instid0(VALU_DEP_1) | instskip(NEXT) | instid1(VALU_DEP_1)
	v_mul_u64_e32 v[2:3], s[20:21], v[0:1]
	v_add_nc_u32_e32 v2, v0, v3
	s_delay_alu instid0(VALU_DEP_1) | instskip(NEXT) | instid1(VALU_DEP_1)
	v_lshrrev_b32_e32 v2, s6, v2
	v_mul_lo_u32 v3, v2, s4
	s_delay_alu instid0(VALU_DEP_1) | instskip(NEXT) | instid1(VALU_DEP_1)
	v_sub_nc_u32_e32 v3, v0, v3
	v_mul_lo_u32 v4, v3, s8
	v_mul_lo_u32 v5, v3, s10
	v_mul_lo_u32 v6, v3, s9
	s_cbranch_vccnz .LBB378_20
; %bb.19:
	v_mov_b32_e32 v3, v1
	s_delay_alu instid0(VALU_DEP_1) | instskip(NEXT) | instid1(VALU_DEP_1)
	v_mul_u64_e32 v[8:9], s[24:25], v[2:3]
	v_add_nc_u32_e32 v1, v2, v9
	s_delay_alu instid0(VALU_DEP_1) | instskip(NEXT) | instid1(VALU_DEP_1)
	v_lshrrev_b32_e32 v1, s19, v1
	v_mul_lo_u32 v1, v1, s7
	s_delay_alu instid0(VALU_DEP_1) | instskip(NEXT) | instid1(VALU_DEP_1)
	v_sub_nc_u32_e32 v1, v2, v1
	v_mad_u32 v4, v1, s11, v4
	v_mad_u32 v6, v1, s22, v6
	;; [unrolled: 1-line block ×3, first 2 shown]
.LBB378_20:
	global_load_u8 v1, v6, s[2:3]
	global_load_u8 v2, v5, s[12:13]
	v_add_nc_u32_e32 v0, 0x80, v0
	s_wait_loadcnt 0x0
	v_cmp_ne_u16_e32 vcc_lo, v1, v2
	s_xor_b32 s14, s5, vcc_lo
	s_delay_alu instid0(SALU_CYCLE_1) | instskip(SKIP_3) | instid1(SALU_CYCLE_1)
	v_cndmask_b32_e64 v1, 0, 1, s14
	global_store_b8 v4, v1, s[0:1]
	s_wait_xcnt 0x0
	s_or_b32 exec_lo, exec_lo, s18
	s_mov_b32 s18, exec_lo
	v_cmpx_gt_i32_e64 s33, v0
	s_cbranch_execz .LBB378_3
.LBB378_21:
	s_and_not1_b32 vcc_lo, exec_lo, s28
	s_cbranch_vccnz .LBB378_27
; %bb.22:
	s_and_not1_b32 vcc_lo, exec_lo, s34
	s_cbranch_vccnz .LBB378_28
; %bb.23:
	v_dual_mov_b32 v4, 0 :: v_dual_mov_b32 v1, v0
	v_dual_mov_b32 v6, 0 :: v_dual_mov_b32 v5, 0
	s_add_co_i32 s35, s31, 1
	s_mov_b64 s[14:15], 0xffffffffffffffe8
	s_and_b32 s35, s35, 30
	s_add_nc_u64 s[14:15], s[16:17], s[14:15]
.LBB378_24:                             ; =>This Inner Loop Header: Depth=1
	s_clause 0x1
	s_load_b128 s[36:39], s[14:15], 0x1c
	s_load_b64 s[44:45], s[14:15], 0x2c
	s_add_co_i32 s35, s35, -2
	s_delay_alu instid0(SALU_CYCLE_1) | instskip(SKIP_2) | instid1(VALU_DEP_1)
	s_cmp_eq_u32 s35, 0
	s_wait_kmcnt 0x0
	v_mul_hi_u32 v2, s37, v1
	v_add_nc_u32_e32 v2, v1, v2
	s_delay_alu instid0(VALU_DEP_1) | instskip(NEXT) | instid1(VALU_DEP_1)
	v_lshrrev_b32_e32 v2, s38, v2
	v_mul_hi_u32 v3, s44, v2
	v_mul_lo_u32 v7, v2, s36
	s_clause 0x1
	s_load_b128 s[40:43], s[14:15], 0xdc
	s_load_b64 s[36:37], s[14:15], 0xec
	s_wait_xcnt 0x0
	s_add_nc_u64 s[14:15], s[14:15], 24
	s_delay_alu instid0(VALU_DEP_2) | instskip(NEXT) | instid1(VALU_DEP_2)
	v_add_nc_u32_e32 v3, v2, v3
	v_sub_nc_u32_e32 v7, v1, v7
	s_delay_alu instid0(VALU_DEP_2) | instskip(SKIP_1) | instid1(VALU_DEP_2)
	v_lshrrev_b32_e32 v1, s45, v3
	s_wait_kmcnt 0x0
	v_mad_u32 v4, v7, s40, v4
	s_delay_alu instid0(VALU_DEP_2) | instskip(SKIP_2) | instid1(VALU_DEP_3)
	v_mul_lo_u32 v3, v1, s39
	v_mad_u32 v5, v7, s42, v5
	v_mad_u32 v6, v7, s41, v6
	v_sub_nc_u32_e32 v2, v2, v3
	s_delay_alu instid0(VALU_DEP_1) | instskip(NEXT) | instid1(VALU_DEP_4)
	v_mad_u32 v4, v2, s43, v4
	v_mad_u32 v5, v2, s37, v5
	s_delay_alu instid0(VALU_DEP_4)
	v_mad_u32 v6, v2, s36, v6
	s_cbranch_scc0 .LBB378_24
; %bb.25:
	s_bitcmp1_b32 s31, 0
	s_cselect_b32 s35, -1, 0
	s_delay_alu instid0(SALU_CYCLE_1)
	s_and_b32 vcc_lo, exec_lo, s35
	s_cbranch_vccnz .LBB378_29
; %bb.26:
	s_clause 0x1
	s_load_b96 s[36:38], s[14:15], 0x1c
	s_load_b96 s[40:42], s[14:15], 0xdc
	s_wait_kmcnt 0x0
	v_mul_hi_u32 v2, s37, v1
	s_delay_alu instid0(VALU_DEP_1) | instskip(NEXT) | instid1(VALU_DEP_1)
	v_add_nc_u32_e32 v2, v1, v2
	v_lshrrev_b32_e32 v2, s38, v2
	s_delay_alu instid0(VALU_DEP_1) | instskip(NEXT) | instid1(VALU_DEP_1)
	v_mul_lo_u32 v2, v2, s36
	v_sub_nc_u32_e32 v1, v1, v2
	s_delay_alu instid0(VALU_DEP_1)
	v_mad_u32 v4, v1, s40, v4
	v_mad_u32 v6, v1, s41, v6
	;; [unrolled: 1-line block ×3, first 2 shown]
	s_branch .LBB378_29
.LBB378_27:
                                        ; implicit-def: $vgpr5
                                        ; implicit-def: $vgpr6
                                        ; implicit-def: $vgpr4
	s_branch .LBB378_30
.LBB378_28:
	v_dual_mov_b32 v5, 0 :: v_dual_mov_b32 v6, 0
	v_mov_b32_e32 v4, 0
.LBB378_29:
	s_cbranch_execnz .LBB378_32
.LBB378_30:
	v_mov_b32_e32 v1, 0
	s_and_not1_b32 vcc_lo, exec_lo, s30
	s_delay_alu instid0(VALU_DEP_1) | instskip(NEXT) | instid1(VALU_DEP_1)
	v_mul_u64_e32 v[2:3], s[20:21], v[0:1]
	v_add_nc_u32_e32 v2, v0, v3
	s_delay_alu instid0(VALU_DEP_1) | instskip(NEXT) | instid1(VALU_DEP_1)
	v_lshrrev_b32_e32 v2, s6, v2
	v_mul_lo_u32 v3, v2, s4
	s_delay_alu instid0(VALU_DEP_1) | instskip(NEXT) | instid1(VALU_DEP_1)
	v_sub_nc_u32_e32 v3, v0, v3
	v_mul_lo_u32 v4, v3, s8
	v_mul_lo_u32 v5, v3, s10
	v_mul_lo_u32 v6, v3, s9
	s_cbranch_vccnz .LBB378_32
; %bb.31:
	v_mov_b32_e32 v3, v1
	s_delay_alu instid0(VALU_DEP_1) | instskip(NEXT) | instid1(VALU_DEP_1)
	v_mul_u64_e32 v[8:9], s[24:25], v[2:3]
	v_add_nc_u32_e32 v1, v2, v9
	s_delay_alu instid0(VALU_DEP_1) | instskip(NEXT) | instid1(VALU_DEP_1)
	v_lshrrev_b32_e32 v1, s19, v1
	v_mul_lo_u32 v1, v1, s7
	s_delay_alu instid0(VALU_DEP_1) | instskip(NEXT) | instid1(VALU_DEP_1)
	v_sub_nc_u32_e32 v1, v2, v1
	v_mad_u32 v4, v1, s11, v4
	v_mad_u32 v6, v1, s22, v6
	;; [unrolled: 1-line block ×3, first 2 shown]
.LBB378_32:
	global_load_u8 v1, v6, s[2:3]
	global_load_u8 v2, v5, s[12:13]
	v_add_nc_u32_e32 v0, 0x80, v0
	s_wait_loadcnt 0x0
	v_cmp_ne_u16_e32 vcc_lo, v1, v2
	s_xor_b32 s14, s5, vcc_lo
	s_delay_alu instid0(SALU_CYCLE_1) | instskip(SKIP_3) | instid1(SALU_CYCLE_1)
	v_cndmask_b32_e64 v1, 0, 1, s14
	global_store_b8 v4, v1, s[0:1]
	s_wait_xcnt 0x0
	s_or_b32 exec_lo, exec_lo, s18
	s_mov_b32 s18, exec_lo
	v_cmpx_gt_i32_e64 s33, v0
	s_cbranch_execz .LBB378_4
.LBB378_33:
	s_and_not1_b32 vcc_lo, exec_lo, s28
	s_cbranch_vccnz .LBB378_39
; %bb.34:
	s_and_not1_b32 vcc_lo, exec_lo, s34
	s_cbranch_vccnz .LBB378_40
; %bb.35:
	v_dual_mov_b32 v4, 0 :: v_dual_mov_b32 v1, v0
	v_dual_mov_b32 v6, 0 :: v_dual_mov_b32 v5, 0
	s_add_co_i32 s35, s31, 1
	s_mov_b64 s[14:15], 0xffffffffffffffe8
	s_and_b32 s35, s35, 30
	s_add_nc_u64 s[14:15], s[16:17], s[14:15]
.LBB378_36:                             ; =>This Inner Loop Header: Depth=1
	s_clause 0x1
	s_load_b128 s[36:39], s[14:15], 0x1c
	s_load_b64 s[44:45], s[14:15], 0x2c
	s_add_co_i32 s35, s35, -2
	s_delay_alu instid0(SALU_CYCLE_1) | instskip(SKIP_2) | instid1(VALU_DEP_1)
	s_cmp_eq_u32 s35, 0
	s_wait_kmcnt 0x0
	v_mul_hi_u32 v2, s37, v1
	v_add_nc_u32_e32 v2, v1, v2
	s_delay_alu instid0(VALU_DEP_1) | instskip(NEXT) | instid1(VALU_DEP_1)
	v_lshrrev_b32_e32 v2, s38, v2
	v_mul_hi_u32 v3, s44, v2
	v_mul_lo_u32 v7, v2, s36
	s_clause 0x1
	s_load_b128 s[40:43], s[14:15], 0xdc
	s_load_b64 s[36:37], s[14:15], 0xec
	s_wait_xcnt 0x0
	s_add_nc_u64 s[14:15], s[14:15], 24
	s_delay_alu instid0(VALU_DEP_2) | instskip(NEXT) | instid1(VALU_DEP_2)
	v_add_nc_u32_e32 v3, v2, v3
	v_sub_nc_u32_e32 v7, v1, v7
	s_delay_alu instid0(VALU_DEP_2) | instskip(SKIP_1) | instid1(VALU_DEP_2)
	v_lshrrev_b32_e32 v1, s45, v3
	s_wait_kmcnt 0x0
	v_mad_u32 v4, v7, s40, v4
	s_delay_alu instid0(VALU_DEP_2) | instskip(SKIP_2) | instid1(VALU_DEP_3)
	v_mul_lo_u32 v3, v1, s39
	v_mad_u32 v5, v7, s42, v5
	v_mad_u32 v6, v7, s41, v6
	v_sub_nc_u32_e32 v2, v2, v3
	s_delay_alu instid0(VALU_DEP_1) | instskip(NEXT) | instid1(VALU_DEP_4)
	v_mad_u32 v4, v2, s43, v4
	v_mad_u32 v5, v2, s37, v5
	s_delay_alu instid0(VALU_DEP_4)
	v_mad_u32 v6, v2, s36, v6
	s_cbranch_scc0 .LBB378_36
; %bb.37:
	s_bitcmp1_b32 s31, 0
	s_cselect_b32 s35, -1, 0
	s_delay_alu instid0(SALU_CYCLE_1)
	s_and_b32 vcc_lo, exec_lo, s35
	s_cbranch_vccnz .LBB378_41
; %bb.38:
	s_clause 0x1
	s_load_b96 s[36:38], s[14:15], 0x1c
	s_load_b96 s[40:42], s[14:15], 0xdc
	s_wait_kmcnt 0x0
	v_mul_hi_u32 v2, s37, v1
	s_delay_alu instid0(VALU_DEP_1) | instskip(NEXT) | instid1(VALU_DEP_1)
	v_add_nc_u32_e32 v2, v1, v2
	v_lshrrev_b32_e32 v2, s38, v2
	s_delay_alu instid0(VALU_DEP_1) | instskip(NEXT) | instid1(VALU_DEP_1)
	v_mul_lo_u32 v2, v2, s36
	v_sub_nc_u32_e32 v1, v1, v2
	s_delay_alu instid0(VALU_DEP_1)
	v_mad_u32 v4, v1, s40, v4
	v_mad_u32 v6, v1, s41, v6
	;; [unrolled: 1-line block ×3, first 2 shown]
	s_branch .LBB378_41
.LBB378_39:
                                        ; implicit-def: $vgpr5
                                        ; implicit-def: $vgpr6
                                        ; implicit-def: $vgpr4
	s_branch .LBB378_42
.LBB378_40:
	v_dual_mov_b32 v5, 0 :: v_dual_mov_b32 v6, 0
	v_mov_b32_e32 v4, 0
.LBB378_41:
	s_cbranch_execnz .LBB378_44
.LBB378_42:
	v_mov_b32_e32 v1, 0
	s_and_not1_b32 vcc_lo, exec_lo, s30
	s_delay_alu instid0(VALU_DEP_1) | instskip(NEXT) | instid1(VALU_DEP_1)
	v_mul_u64_e32 v[2:3], s[20:21], v[0:1]
	v_add_nc_u32_e32 v2, v0, v3
	s_delay_alu instid0(VALU_DEP_1) | instskip(NEXT) | instid1(VALU_DEP_1)
	v_lshrrev_b32_e32 v2, s6, v2
	v_mul_lo_u32 v3, v2, s4
	s_delay_alu instid0(VALU_DEP_1) | instskip(NEXT) | instid1(VALU_DEP_1)
	v_sub_nc_u32_e32 v3, v0, v3
	v_mul_lo_u32 v4, v3, s8
	v_mul_lo_u32 v5, v3, s10
	;; [unrolled: 1-line block ×3, first 2 shown]
	s_cbranch_vccnz .LBB378_44
; %bb.43:
	v_mov_b32_e32 v3, v1
	s_delay_alu instid0(VALU_DEP_1) | instskip(NEXT) | instid1(VALU_DEP_1)
	v_mul_u64_e32 v[8:9], s[24:25], v[2:3]
	v_add_nc_u32_e32 v1, v2, v9
	s_delay_alu instid0(VALU_DEP_1) | instskip(NEXT) | instid1(VALU_DEP_1)
	v_lshrrev_b32_e32 v1, s19, v1
	v_mul_lo_u32 v1, v1, s7
	s_delay_alu instid0(VALU_DEP_1) | instskip(NEXT) | instid1(VALU_DEP_1)
	v_sub_nc_u32_e32 v1, v2, v1
	v_mad_u32 v4, v1, s11, v4
	v_mad_u32 v6, v1, s22, v6
	;; [unrolled: 1-line block ×3, first 2 shown]
.LBB378_44:
	global_load_u8 v1, v6, s[2:3]
	global_load_u8 v2, v5, s[12:13]
	v_add_nc_u32_e32 v0, 0x80, v0
	s_wait_loadcnt 0x0
	v_cmp_ne_u16_e32 vcc_lo, v1, v2
	s_xor_b32 s14, s5, vcc_lo
	s_delay_alu instid0(SALU_CYCLE_1) | instskip(SKIP_3) | instid1(SALU_CYCLE_1)
	v_cndmask_b32_e64 v1, 0, 1, s14
	global_store_b8 v4, v1, s[0:1]
	s_wait_xcnt 0x0
	s_or_b32 exec_lo, exec_lo, s18
	s_mov_b32 s18, exec_lo
	v_cmpx_gt_i32_e64 s33, v0
	s_cbranch_execz .LBB378_5
.LBB378_45:
	s_and_not1_b32 vcc_lo, exec_lo, s28
	s_cbranch_vccnz .LBB378_51
; %bb.46:
	s_and_not1_b32 vcc_lo, exec_lo, s34
	s_cbranch_vccnz .LBB378_52
; %bb.47:
	v_dual_mov_b32 v4, 0 :: v_dual_mov_b32 v1, v0
	v_dual_mov_b32 v6, 0 :: v_dual_mov_b32 v5, 0
	s_add_co_i32 s35, s31, 1
	s_mov_b64 s[14:15], 0xffffffffffffffe8
	s_and_b32 s35, s35, 30
	s_add_nc_u64 s[14:15], s[16:17], s[14:15]
.LBB378_48:                             ; =>This Inner Loop Header: Depth=1
	s_clause 0x1
	s_load_b128 s[36:39], s[14:15], 0x1c
	s_load_b64 s[44:45], s[14:15], 0x2c
	s_add_co_i32 s35, s35, -2
	s_delay_alu instid0(SALU_CYCLE_1) | instskip(SKIP_2) | instid1(VALU_DEP_1)
	s_cmp_eq_u32 s35, 0
	s_wait_kmcnt 0x0
	v_mul_hi_u32 v2, s37, v1
	v_add_nc_u32_e32 v2, v1, v2
	s_delay_alu instid0(VALU_DEP_1) | instskip(NEXT) | instid1(VALU_DEP_1)
	v_lshrrev_b32_e32 v2, s38, v2
	v_mul_hi_u32 v3, s44, v2
	v_mul_lo_u32 v7, v2, s36
	s_clause 0x1
	s_load_b128 s[40:43], s[14:15], 0xdc
	s_load_b64 s[36:37], s[14:15], 0xec
	s_wait_xcnt 0x0
	s_add_nc_u64 s[14:15], s[14:15], 24
	s_delay_alu instid0(VALU_DEP_2) | instskip(NEXT) | instid1(VALU_DEP_2)
	v_add_nc_u32_e32 v3, v2, v3
	v_sub_nc_u32_e32 v7, v1, v7
	s_delay_alu instid0(VALU_DEP_2) | instskip(SKIP_1) | instid1(VALU_DEP_2)
	v_lshrrev_b32_e32 v1, s45, v3
	s_wait_kmcnt 0x0
	v_mad_u32 v4, v7, s40, v4
	s_delay_alu instid0(VALU_DEP_2) | instskip(SKIP_2) | instid1(VALU_DEP_3)
	v_mul_lo_u32 v3, v1, s39
	v_mad_u32 v5, v7, s42, v5
	v_mad_u32 v6, v7, s41, v6
	v_sub_nc_u32_e32 v2, v2, v3
	s_delay_alu instid0(VALU_DEP_1) | instskip(NEXT) | instid1(VALU_DEP_4)
	v_mad_u32 v4, v2, s43, v4
	v_mad_u32 v5, v2, s37, v5
	s_delay_alu instid0(VALU_DEP_4)
	v_mad_u32 v6, v2, s36, v6
	s_cbranch_scc0 .LBB378_48
; %bb.49:
	s_bitcmp1_b32 s31, 0
	s_cselect_b32 s35, -1, 0
	s_delay_alu instid0(SALU_CYCLE_1)
	s_and_b32 vcc_lo, exec_lo, s35
	s_cbranch_vccnz .LBB378_53
; %bb.50:
	s_clause 0x1
	s_load_b96 s[36:38], s[14:15], 0x1c
	s_load_b96 s[40:42], s[14:15], 0xdc
	s_wait_kmcnt 0x0
	v_mul_hi_u32 v2, s37, v1
	s_delay_alu instid0(VALU_DEP_1) | instskip(NEXT) | instid1(VALU_DEP_1)
	v_add_nc_u32_e32 v2, v1, v2
	v_lshrrev_b32_e32 v2, s38, v2
	s_delay_alu instid0(VALU_DEP_1) | instskip(NEXT) | instid1(VALU_DEP_1)
	v_mul_lo_u32 v2, v2, s36
	v_sub_nc_u32_e32 v1, v1, v2
	s_delay_alu instid0(VALU_DEP_1)
	v_mad_u32 v4, v1, s40, v4
	v_mad_u32 v6, v1, s41, v6
	;; [unrolled: 1-line block ×3, first 2 shown]
	s_branch .LBB378_53
.LBB378_51:
                                        ; implicit-def: $vgpr5
                                        ; implicit-def: $vgpr6
                                        ; implicit-def: $vgpr4
	s_branch .LBB378_54
.LBB378_52:
	v_dual_mov_b32 v5, 0 :: v_dual_mov_b32 v6, 0
	v_mov_b32_e32 v4, 0
.LBB378_53:
	s_cbranch_execnz .LBB378_56
.LBB378_54:
	v_mov_b32_e32 v1, 0
	s_and_not1_b32 vcc_lo, exec_lo, s30
	s_delay_alu instid0(VALU_DEP_1) | instskip(NEXT) | instid1(VALU_DEP_1)
	v_mul_u64_e32 v[2:3], s[20:21], v[0:1]
	v_add_nc_u32_e32 v2, v0, v3
	s_delay_alu instid0(VALU_DEP_1) | instskip(NEXT) | instid1(VALU_DEP_1)
	v_lshrrev_b32_e32 v2, s6, v2
	v_mul_lo_u32 v3, v2, s4
	s_delay_alu instid0(VALU_DEP_1) | instskip(NEXT) | instid1(VALU_DEP_1)
	v_sub_nc_u32_e32 v3, v0, v3
	v_mul_lo_u32 v4, v3, s8
	v_mul_lo_u32 v5, v3, s10
	v_mul_lo_u32 v6, v3, s9
	s_cbranch_vccnz .LBB378_56
; %bb.55:
	v_mov_b32_e32 v3, v1
	s_delay_alu instid0(VALU_DEP_1) | instskip(NEXT) | instid1(VALU_DEP_1)
	v_mul_u64_e32 v[8:9], s[24:25], v[2:3]
	v_add_nc_u32_e32 v1, v2, v9
	s_delay_alu instid0(VALU_DEP_1) | instskip(NEXT) | instid1(VALU_DEP_1)
	v_lshrrev_b32_e32 v1, s19, v1
	v_mul_lo_u32 v1, v1, s7
	s_delay_alu instid0(VALU_DEP_1) | instskip(NEXT) | instid1(VALU_DEP_1)
	v_sub_nc_u32_e32 v1, v2, v1
	v_mad_u32 v4, v1, s11, v4
	v_mad_u32 v6, v1, s22, v6
	;; [unrolled: 1-line block ×3, first 2 shown]
.LBB378_56:
	global_load_u8 v1, v6, s[2:3]
	global_load_u8 v2, v5, s[12:13]
	v_add_nc_u32_e32 v0, 0x80, v0
	s_wait_loadcnt 0x0
	v_cmp_ne_u16_e32 vcc_lo, v1, v2
	s_xor_b32 s14, s5, vcc_lo
	s_delay_alu instid0(SALU_CYCLE_1) | instskip(SKIP_3) | instid1(SALU_CYCLE_1)
	v_cndmask_b32_e64 v1, 0, 1, s14
	global_store_b8 v4, v1, s[0:1]
	s_wait_xcnt 0x0
	s_or_b32 exec_lo, exec_lo, s18
	s_mov_b32 s18, exec_lo
	v_cmpx_gt_i32_e64 s33, v0
	s_cbranch_execz .LBB378_6
.LBB378_57:
	s_and_not1_b32 vcc_lo, exec_lo, s28
	s_cbranch_vccnz .LBB378_63
; %bb.58:
	s_and_not1_b32 vcc_lo, exec_lo, s34
	s_cbranch_vccnz .LBB378_64
; %bb.59:
	v_dual_mov_b32 v4, 0 :: v_dual_mov_b32 v1, v0
	v_dual_mov_b32 v6, 0 :: v_dual_mov_b32 v5, 0
	s_add_co_i32 s35, s31, 1
	s_mov_b64 s[14:15], 0xffffffffffffffe8
	s_and_b32 s35, s35, 30
	s_add_nc_u64 s[14:15], s[16:17], s[14:15]
.LBB378_60:                             ; =>This Inner Loop Header: Depth=1
	s_clause 0x1
	s_load_b128 s[36:39], s[14:15], 0x1c
	s_load_b64 s[44:45], s[14:15], 0x2c
	s_add_co_i32 s35, s35, -2
	s_delay_alu instid0(SALU_CYCLE_1) | instskip(SKIP_2) | instid1(VALU_DEP_1)
	s_cmp_eq_u32 s35, 0
	s_wait_kmcnt 0x0
	v_mul_hi_u32 v2, s37, v1
	v_add_nc_u32_e32 v2, v1, v2
	s_delay_alu instid0(VALU_DEP_1) | instskip(NEXT) | instid1(VALU_DEP_1)
	v_lshrrev_b32_e32 v2, s38, v2
	v_mul_hi_u32 v3, s44, v2
	v_mul_lo_u32 v7, v2, s36
	s_clause 0x1
	s_load_b128 s[40:43], s[14:15], 0xdc
	s_load_b64 s[36:37], s[14:15], 0xec
	s_wait_xcnt 0x0
	s_add_nc_u64 s[14:15], s[14:15], 24
	s_delay_alu instid0(VALU_DEP_2) | instskip(NEXT) | instid1(VALU_DEP_2)
	v_add_nc_u32_e32 v3, v2, v3
	v_sub_nc_u32_e32 v7, v1, v7
	s_delay_alu instid0(VALU_DEP_2) | instskip(SKIP_1) | instid1(VALU_DEP_2)
	v_lshrrev_b32_e32 v1, s45, v3
	s_wait_kmcnt 0x0
	v_mad_u32 v4, v7, s40, v4
	s_delay_alu instid0(VALU_DEP_2) | instskip(SKIP_2) | instid1(VALU_DEP_3)
	v_mul_lo_u32 v3, v1, s39
	v_mad_u32 v5, v7, s42, v5
	v_mad_u32 v6, v7, s41, v6
	v_sub_nc_u32_e32 v2, v2, v3
	s_delay_alu instid0(VALU_DEP_1) | instskip(NEXT) | instid1(VALU_DEP_4)
	v_mad_u32 v4, v2, s43, v4
	v_mad_u32 v5, v2, s37, v5
	s_delay_alu instid0(VALU_DEP_4)
	v_mad_u32 v6, v2, s36, v6
	s_cbranch_scc0 .LBB378_60
; %bb.61:
	s_bitcmp1_b32 s31, 0
	s_cselect_b32 s35, -1, 0
	s_delay_alu instid0(SALU_CYCLE_1)
	s_and_b32 vcc_lo, exec_lo, s35
	s_cbranch_vccnz .LBB378_65
; %bb.62:
	s_clause 0x1
	s_load_b96 s[36:38], s[14:15], 0x1c
	s_load_b96 s[40:42], s[14:15], 0xdc
	s_wait_kmcnt 0x0
	v_mul_hi_u32 v2, s37, v1
	s_delay_alu instid0(VALU_DEP_1) | instskip(NEXT) | instid1(VALU_DEP_1)
	v_add_nc_u32_e32 v2, v1, v2
	v_lshrrev_b32_e32 v2, s38, v2
	s_delay_alu instid0(VALU_DEP_1) | instskip(NEXT) | instid1(VALU_DEP_1)
	v_mul_lo_u32 v2, v2, s36
	v_sub_nc_u32_e32 v1, v1, v2
	s_delay_alu instid0(VALU_DEP_1)
	v_mad_u32 v4, v1, s40, v4
	v_mad_u32 v6, v1, s41, v6
	;; [unrolled: 1-line block ×3, first 2 shown]
	s_branch .LBB378_65
.LBB378_63:
                                        ; implicit-def: $vgpr5
                                        ; implicit-def: $vgpr6
                                        ; implicit-def: $vgpr4
	s_branch .LBB378_66
.LBB378_64:
	v_dual_mov_b32 v5, 0 :: v_dual_mov_b32 v6, 0
	v_mov_b32_e32 v4, 0
.LBB378_65:
	s_cbranch_execnz .LBB378_68
.LBB378_66:
	v_mov_b32_e32 v1, 0
	s_and_not1_b32 vcc_lo, exec_lo, s30
	s_delay_alu instid0(VALU_DEP_1) | instskip(NEXT) | instid1(VALU_DEP_1)
	v_mul_u64_e32 v[2:3], s[20:21], v[0:1]
	v_add_nc_u32_e32 v2, v0, v3
	s_delay_alu instid0(VALU_DEP_1) | instskip(NEXT) | instid1(VALU_DEP_1)
	v_lshrrev_b32_e32 v2, s6, v2
	v_mul_lo_u32 v3, v2, s4
	s_delay_alu instid0(VALU_DEP_1) | instskip(NEXT) | instid1(VALU_DEP_1)
	v_sub_nc_u32_e32 v3, v0, v3
	v_mul_lo_u32 v4, v3, s8
	v_mul_lo_u32 v5, v3, s10
	;; [unrolled: 1-line block ×3, first 2 shown]
	s_cbranch_vccnz .LBB378_68
; %bb.67:
	v_mov_b32_e32 v3, v1
	s_delay_alu instid0(VALU_DEP_1) | instskip(NEXT) | instid1(VALU_DEP_1)
	v_mul_u64_e32 v[8:9], s[24:25], v[2:3]
	v_add_nc_u32_e32 v1, v2, v9
	s_delay_alu instid0(VALU_DEP_1) | instskip(NEXT) | instid1(VALU_DEP_1)
	v_lshrrev_b32_e32 v1, s19, v1
	v_mul_lo_u32 v1, v1, s7
	s_delay_alu instid0(VALU_DEP_1) | instskip(NEXT) | instid1(VALU_DEP_1)
	v_sub_nc_u32_e32 v1, v2, v1
	v_mad_u32 v4, v1, s11, v4
	v_mad_u32 v6, v1, s22, v6
	;; [unrolled: 1-line block ×3, first 2 shown]
.LBB378_68:
	global_load_u8 v1, v6, s[2:3]
	global_load_u8 v2, v5, s[12:13]
	v_add_nc_u32_e32 v0, 0x80, v0
	s_wait_loadcnt 0x0
	v_cmp_ne_u16_e32 vcc_lo, v1, v2
	s_xor_b32 s14, s5, vcc_lo
	s_delay_alu instid0(SALU_CYCLE_1) | instskip(SKIP_3) | instid1(SALU_CYCLE_1)
	v_cndmask_b32_e64 v1, 0, 1, s14
	global_store_b8 v4, v1, s[0:1]
	s_wait_xcnt 0x0
	s_or_b32 exec_lo, exec_lo, s18
	s_mov_b32 s18, exec_lo
	v_cmpx_gt_i32_e64 s33, v0
	s_cbranch_execz .LBB378_7
.LBB378_69:
	s_and_not1_b32 vcc_lo, exec_lo, s28
	s_cbranch_vccnz .LBB378_75
; %bb.70:
	s_and_not1_b32 vcc_lo, exec_lo, s34
	s_cbranch_vccnz .LBB378_76
; %bb.71:
	v_dual_mov_b32 v4, 0 :: v_dual_mov_b32 v1, v0
	v_dual_mov_b32 v6, 0 :: v_dual_mov_b32 v5, 0
	s_add_co_i32 s35, s31, 1
	s_mov_b64 s[14:15], 0xffffffffffffffe8
	s_and_b32 s35, s35, 30
	s_add_nc_u64 s[14:15], s[16:17], s[14:15]
.LBB378_72:                             ; =>This Inner Loop Header: Depth=1
	s_clause 0x1
	s_load_b128 s[36:39], s[14:15], 0x1c
	s_load_b64 s[44:45], s[14:15], 0x2c
	s_add_co_i32 s35, s35, -2
	s_delay_alu instid0(SALU_CYCLE_1) | instskip(SKIP_2) | instid1(VALU_DEP_1)
	s_cmp_eq_u32 s35, 0
	s_wait_kmcnt 0x0
	v_mul_hi_u32 v2, s37, v1
	v_add_nc_u32_e32 v2, v1, v2
	s_delay_alu instid0(VALU_DEP_1) | instskip(NEXT) | instid1(VALU_DEP_1)
	v_lshrrev_b32_e32 v2, s38, v2
	v_mul_hi_u32 v3, s44, v2
	v_mul_lo_u32 v7, v2, s36
	s_clause 0x1
	s_load_b128 s[40:43], s[14:15], 0xdc
	s_load_b64 s[36:37], s[14:15], 0xec
	s_wait_xcnt 0x0
	s_add_nc_u64 s[14:15], s[14:15], 24
	s_delay_alu instid0(VALU_DEP_2) | instskip(NEXT) | instid1(VALU_DEP_2)
	v_add_nc_u32_e32 v3, v2, v3
	v_sub_nc_u32_e32 v7, v1, v7
	s_delay_alu instid0(VALU_DEP_2) | instskip(SKIP_1) | instid1(VALU_DEP_2)
	v_lshrrev_b32_e32 v1, s45, v3
	s_wait_kmcnt 0x0
	v_mad_u32 v4, v7, s40, v4
	s_delay_alu instid0(VALU_DEP_2) | instskip(SKIP_2) | instid1(VALU_DEP_3)
	v_mul_lo_u32 v3, v1, s39
	v_mad_u32 v5, v7, s42, v5
	v_mad_u32 v6, v7, s41, v6
	v_sub_nc_u32_e32 v2, v2, v3
	s_delay_alu instid0(VALU_DEP_1) | instskip(NEXT) | instid1(VALU_DEP_4)
	v_mad_u32 v4, v2, s43, v4
	v_mad_u32 v5, v2, s37, v5
	s_delay_alu instid0(VALU_DEP_4)
	v_mad_u32 v6, v2, s36, v6
	s_cbranch_scc0 .LBB378_72
; %bb.73:
	s_bitcmp1_b32 s31, 0
	s_cselect_b32 s35, -1, 0
	s_delay_alu instid0(SALU_CYCLE_1)
	s_and_b32 vcc_lo, exec_lo, s35
	s_cbranch_vccnz .LBB378_77
; %bb.74:
	s_clause 0x1
	s_load_b96 s[36:38], s[14:15], 0x1c
	s_load_b96 s[40:42], s[14:15], 0xdc
	s_wait_kmcnt 0x0
	v_mul_hi_u32 v2, s37, v1
	s_delay_alu instid0(VALU_DEP_1) | instskip(NEXT) | instid1(VALU_DEP_1)
	v_add_nc_u32_e32 v2, v1, v2
	v_lshrrev_b32_e32 v2, s38, v2
	s_delay_alu instid0(VALU_DEP_1) | instskip(NEXT) | instid1(VALU_DEP_1)
	v_mul_lo_u32 v2, v2, s36
	v_sub_nc_u32_e32 v1, v1, v2
	s_delay_alu instid0(VALU_DEP_1)
	v_mad_u32 v4, v1, s40, v4
	v_mad_u32 v6, v1, s41, v6
	;; [unrolled: 1-line block ×3, first 2 shown]
	s_branch .LBB378_77
.LBB378_75:
                                        ; implicit-def: $vgpr5
                                        ; implicit-def: $vgpr6
                                        ; implicit-def: $vgpr4
	s_branch .LBB378_78
.LBB378_76:
	v_dual_mov_b32 v5, 0 :: v_dual_mov_b32 v6, 0
	v_mov_b32_e32 v4, 0
.LBB378_77:
	s_cbranch_execnz .LBB378_80
.LBB378_78:
	v_mov_b32_e32 v1, 0
	s_and_not1_b32 vcc_lo, exec_lo, s30
	s_delay_alu instid0(VALU_DEP_1) | instskip(NEXT) | instid1(VALU_DEP_1)
	v_mul_u64_e32 v[2:3], s[20:21], v[0:1]
	v_add_nc_u32_e32 v2, v0, v3
	s_delay_alu instid0(VALU_DEP_1) | instskip(NEXT) | instid1(VALU_DEP_1)
	v_lshrrev_b32_e32 v2, s6, v2
	v_mul_lo_u32 v3, v2, s4
	s_delay_alu instid0(VALU_DEP_1) | instskip(NEXT) | instid1(VALU_DEP_1)
	v_sub_nc_u32_e32 v3, v0, v3
	v_mul_lo_u32 v4, v3, s8
	v_mul_lo_u32 v5, v3, s10
	;; [unrolled: 1-line block ×3, first 2 shown]
	s_cbranch_vccnz .LBB378_80
; %bb.79:
	v_mov_b32_e32 v3, v1
	s_delay_alu instid0(VALU_DEP_1) | instskip(NEXT) | instid1(VALU_DEP_1)
	v_mul_u64_e32 v[8:9], s[24:25], v[2:3]
	v_add_nc_u32_e32 v1, v2, v9
	s_delay_alu instid0(VALU_DEP_1) | instskip(NEXT) | instid1(VALU_DEP_1)
	v_lshrrev_b32_e32 v1, s19, v1
	v_mul_lo_u32 v1, v1, s7
	s_delay_alu instid0(VALU_DEP_1) | instskip(NEXT) | instid1(VALU_DEP_1)
	v_sub_nc_u32_e32 v1, v2, v1
	v_mad_u32 v4, v1, s11, v4
	v_mad_u32 v6, v1, s22, v6
	;; [unrolled: 1-line block ×3, first 2 shown]
.LBB378_80:
	global_load_u8 v1, v6, s[2:3]
	global_load_u8 v2, v5, s[12:13]
	v_add_nc_u32_e32 v0, 0x80, v0
	s_wait_loadcnt 0x0
	v_cmp_ne_u16_e32 vcc_lo, v1, v2
	s_xor_b32 s14, s5, vcc_lo
	s_delay_alu instid0(SALU_CYCLE_1) | instskip(SKIP_3) | instid1(SALU_CYCLE_1)
	v_cndmask_b32_e64 v1, 0, 1, s14
	global_store_b8 v4, v1, s[0:1]
	s_wait_xcnt 0x0
	s_or_b32 exec_lo, exec_lo, s18
	s_mov_b32 s18, exec_lo
	v_cmpx_gt_i32_e64 s33, v0
	s_cbranch_execz .LBB378_8
.LBB378_81:
	s_and_not1_b32 vcc_lo, exec_lo, s28
	s_cbranch_vccnz .LBB378_87
; %bb.82:
	s_and_not1_b32 vcc_lo, exec_lo, s34
	s_cbranch_vccnz .LBB378_88
; %bb.83:
	v_dual_mov_b32 v4, 0 :: v_dual_mov_b32 v1, v0
	v_dual_mov_b32 v6, 0 :: v_dual_mov_b32 v5, 0
	s_add_co_i32 s35, s31, 1
	s_mov_b64 s[14:15], 0xffffffffffffffe8
	s_and_b32 s35, s35, 30
	s_add_nc_u64 s[14:15], s[16:17], s[14:15]
.LBB378_84:                             ; =>This Inner Loop Header: Depth=1
	s_clause 0x1
	s_load_b128 s[36:39], s[14:15], 0x1c
	s_load_b64 s[44:45], s[14:15], 0x2c
	s_add_co_i32 s35, s35, -2
	s_delay_alu instid0(SALU_CYCLE_1) | instskip(SKIP_2) | instid1(VALU_DEP_1)
	s_cmp_eq_u32 s35, 0
	s_wait_kmcnt 0x0
	v_mul_hi_u32 v2, s37, v1
	v_add_nc_u32_e32 v2, v1, v2
	s_delay_alu instid0(VALU_DEP_1) | instskip(NEXT) | instid1(VALU_DEP_1)
	v_lshrrev_b32_e32 v2, s38, v2
	v_mul_hi_u32 v3, s44, v2
	v_mul_lo_u32 v7, v2, s36
	s_clause 0x1
	s_load_b128 s[40:43], s[14:15], 0xdc
	s_load_b64 s[36:37], s[14:15], 0xec
	s_wait_xcnt 0x0
	s_add_nc_u64 s[14:15], s[14:15], 24
	s_delay_alu instid0(VALU_DEP_2) | instskip(NEXT) | instid1(VALU_DEP_2)
	v_add_nc_u32_e32 v3, v2, v3
	v_sub_nc_u32_e32 v7, v1, v7
	s_delay_alu instid0(VALU_DEP_2) | instskip(SKIP_1) | instid1(VALU_DEP_2)
	v_lshrrev_b32_e32 v1, s45, v3
	s_wait_kmcnt 0x0
	v_mad_u32 v4, v7, s40, v4
	s_delay_alu instid0(VALU_DEP_2) | instskip(SKIP_2) | instid1(VALU_DEP_3)
	v_mul_lo_u32 v3, v1, s39
	v_mad_u32 v5, v7, s42, v5
	v_mad_u32 v6, v7, s41, v6
	v_sub_nc_u32_e32 v2, v2, v3
	s_delay_alu instid0(VALU_DEP_1) | instskip(NEXT) | instid1(VALU_DEP_4)
	v_mad_u32 v4, v2, s43, v4
	v_mad_u32 v5, v2, s37, v5
	s_delay_alu instid0(VALU_DEP_4)
	v_mad_u32 v6, v2, s36, v6
	s_cbranch_scc0 .LBB378_84
; %bb.85:
	s_bitcmp1_b32 s31, 0
	s_cselect_b32 s35, -1, 0
	s_delay_alu instid0(SALU_CYCLE_1)
	s_and_b32 vcc_lo, exec_lo, s35
	s_cbranch_vccnz .LBB378_89
; %bb.86:
	s_clause 0x1
	s_load_b96 s[36:38], s[14:15], 0x1c
	s_load_b96 s[40:42], s[14:15], 0xdc
	s_wait_kmcnt 0x0
	v_mul_hi_u32 v2, s37, v1
	s_delay_alu instid0(VALU_DEP_1) | instskip(NEXT) | instid1(VALU_DEP_1)
	v_add_nc_u32_e32 v2, v1, v2
	v_lshrrev_b32_e32 v2, s38, v2
	s_delay_alu instid0(VALU_DEP_1) | instskip(NEXT) | instid1(VALU_DEP_1)
	v_mul_lo_u32 v2, v2, s36
	v_sub_nc_u32_e32 v1, v1, v2
	s_delay_alu instid0(VALU_DEP_1)
	v_mad_u32 v4, v1, s40, v4
	v_mad_u32 v6, v1, s41, v6
	;; [unrolled: 1-line block ×3, first 2 shown]
	s_branch .LBB378_89
.LBB378_87:
                                        ; implicit-def: $vgpr5
                                        ; implicit-def: $vgpr6
                                        ; implicit-def: $vgpr4
	s_branch .LBB378_90
.LBB378_88:
	v_dual_mov_b32 v5, 0 :: v_dual_mov_b32 v6, 0
	v_mov_b32_e32 v4, 0
.LBB378_89:
	s_cbranch_execnz .LBB378_92
.LBB378_90:
	v_mov_b32_e32 v1, 0
	s_and_not1_b32 vcc_lo, exec_lo, s30
	s_delay_alu instid0(VALU_DEP_1) | instskip(NEXT) | instid1(VALU_DEP_1)
	v_mul_u64_e32 v[2:3], s[20:21], v[0:1]
	v_add_nc_u32_e32 v2, v0, v3
	s_delay_alu instid0(VALU_DEP_1) | instskip(NEXT) | instid1(VALU_DEP_1)
	v_lshrrev_b32_e32 v2, s6, v2
	v_mul_lo_u32 v3, v2, s4
	s_delay_alu instid0(VALU_DEP_1) | instskip(NEXT) | instid1(VALU_DEP_1)
	v_sub_nc_u32_e32 v3, v0, v3
	v_mul_lo_u32 v4, v3, s8
	v_mul_lo_u32 v5, v3, s10
	;; [unrolled: 1-line block ×3, first 2 shown]
	s_cbranch_vccnz .LBB378_92
; %bb.91:
	v_mov_b32_e32 v3, v1
	s_delay_alu instid0(VALU_DEP_1) | instskip(NEXT) | instid1(VALU_DEP_1)
	v_mul_u64_e32 v[8:9], s[24:25], v[2:3]
	v_add_nc_u32_e32 v1, v2, v9
	s_delay_alu instid0(VALU_DEP_1) | instskip(NEXT) | instid1(VALU_DEP_1)
	v_lshrrev_b32_e32 v1, s19, v1
	v_mul_lo_u32 v1, v1, s7
	s_delay_alu instid0(VALU_DEP_1) | instskip(NEXT) | instid1(VALU_DEP_1)
	v_sub_nc_u32_e32 v1, v2, v1
	v_mad_u32 v4, v1, s11, v4
	v_mad_u32 v6, v1, s22, v6
	v_mad_u32 v5, v1, s23, v5
.LBB378_92:
	global_load_u8 v1, v6, s[2:3]
	global_load_u8 v2, v5, s[12:13]
	v_add_nc_u32_e32 v0, 0x80, v0
	s_wait_loadcnt 0x0
	v_cmp_ne_u16_e32 vcc_lo, v1, v2
	s_xor_b32 s14, s5, vcc_lo
	s_delay_alu instid0(SALU_CYCLE_1) | instskip(SKIP_3) | instid1(SALU_CYCLE_1)
	v_cndmask_b32_e64 v1, 0, 1, s14
	global_store_b8 v4, v1, s[0:1]
	s_wait_xcnt 0x0
	s_or_b32 exec_lo, exec_lo, s18
	s_mov_b32 s18, exec_lo
	v_cmpx_gt_i32_e64 s33, v0
	s_cbranch_execz .LBB378_105
.LBB378_93:
	s_and_not1_b32 vcc_lo, exec_lo, s28
	s_cbranch_vccnz .LBB378_99
; %bb.94:
	s_and_not1_b32 vcc_lo, exec_lo, s34
	s_cbranch_vccnz .LBB378_100
; %bb.95:
	v_dual_mov_b32 v4, 0 :: v_dual_mov_b32 v1, v0
	v_dual_mov_b32 v6, 0 :: v_dual_mov_b32 v5, 0
	s_add_co_i32 s33, s31, 1
	s_mov_b64 s[14:15], 0xffffffffffffffe8
	s_and_b32 s33, s33, 30
	s_add_nc_u64 s[14:15], s[16:17], s[14:15]
.LBB378_96:                             ; =>This Inner Loop Header: Depth=1
	s_clause 0x1
	s_load_b128 s[36:39], s[14:15], 0x1c
	s_load_b64 s[34:35], s[14:15], 0x2c
	s_add_co_i32 s33, s33, -2
	s_delay_alu instid0(SALU_CYCLE_1) | instskip(SKIP_2) | instid1(VALU_DEP_1)
	s_cmp_eq_u32 s33, 0
	s_wait_kmcnt 0x0
	v_mul_hi_u32 v2, s37, v1
	v_add_nc_u32_e32 v2, v1, v2
	s_delay_alu instid0(VALU_DEP_1) | instskip(NEXT) | instid1(VALU_DEP_1)
	v_lshrrev_b32_e32 v2, s38, v2
	v_mul_hi_u32 v3, s34, v2
	v_mul_lo_u32 v7, v2, s36
	s_clause 0x1
	s_load_b128 s[40:43], s[14:15], 0xdc
	s_load_b64 s[36:37], s[14:15], 0xec
	s_wait_xcnt 0x0
	s_add_nc_u64 s[14:15], s[14:15], 24
	s_delay_alu instid0(VALU_DEP_2) | instskip(NEXT) | instid1(VALU_DEP_2)
	v_add_nc_u32_e32 v3, v2, v3
	v_sub_nc_u32_e32 v7, v1, v7
	s_delay_alu instid0(VALU_DEP_2) | instskip(SKIP_1) | instid1(VALU_DEP_2)
	v_lshrrev_b32_e32 v1, s35, v3
	s_wait_kmcnt 0x0
	v_mad_u32 v4, v7, s40, v4
	s_delay_alu instid0(VALU_DEP_2) | instskip(SKIP_2) | instid1(VALU_DEP_3)
	v_mul_lo_u32 v3, v1, s39
	v_mad_u32 v5, v7, s42, v5
	v_mad_u32 v6, v7, s41, v6
	v_sub_nc_u32_e32 v2, v2, v3
	s_delay_alu instid0(VALU_DEP_1) | instskip(NEXT) | instid1(VALU_DEP_4)
	v_mad_u32 v4, v2, s43, v4
	v_mad_u32 v5, v2, s37, v5
	s_delay_alu instid0(VALU_DEP_4)
	v_mad_u32 v6, v2, s36, v6
	s_cbranch_scc0 .LBB378_96
; %bb.97:
	s_bitcmp1_b32 s31, 0
	s_cselect_b32 s31, -1, 0
	s_delay_alu instid0(SALU_CYCLE_1)
	s_and_b32 vcc_lo, exec_lo, s31
	s_cbranch_vccnz .LBB378_101
; %bb.98:
	s_clause 0x1
	s_load_b96 s[36:38], s[14:15], 0x1c
	s_load_b96 s[40:42], s[14:15], 0xdc
	s_wait_kmcnt 0x0
	v_mul_hi_u32 v2, s37, v1
	s_delay_alu instid0(VALU_DEP_1) | instskip(NEXT) | instid1(VALU_DEP_1)
	v_add_nc_u32_e32 v2, v1, v2
	v_lshrrev_b32_e32 v2, s38, v2
	s_delay_alu instid0(VALU_DEP_1) | instskip(NEXT) | instid1(VALU_DEP_1)
	v_mul_lo_u32 v2, v2, s36
	v_sub_nc_u32_e32 v1, v1, v2
	s_delay_alu instid0(VALU_DEP_1)
	v_mad_u32 v4, v1, s40, v4
	v_mad_u32 v6, v1, s41, v6
	v_mad_u32 v5, v1, s42, v5
	s_branch .LBB378_101
.LBB378_99:
                                        ; implicit-def: $vgpr5
                                        ; implicit-def: $vgpr6
                                        ; implicit-def: $vgpr4
	s_branch .LBB378_102
.LBB378_100:
	v_dual_mov_b32 v5, 0 :: v_dual_mov_b32 v6, 0
	v_mov_b32_e32 v4, 0
.LBB378_101:
	s_cbranch_execnz .LBB378_104
.LBB378_102:
	v_mov_b32_e32 v1, 0
	s_and_not1_b32 vcc_lo, exec_lo, s30
	s_delay_alu instid0(VALU_DEP_1) | instskip(NEXT) | instid1(VALU_DEP_1)
	v_mul_u64_e32 v[2:3], s[20:21], v[0:1]
	v_add_nc_u32_e32 v2, v0, v3
	s_delay_alu instid0(VALU_DEP_1) | instskip(NEXT) | instid1(VALU_DEP_1)
	v_lshrrev_b32_e32 v2, s6, v2
	v_mul_lo_u32 v3, v2, s4
	s_delay_alu instid0(VALU_DEP_1) | instskip(NEXT) | instid1(VALU_DEP_1)
	v_sub_nc_u32_e32 v0, v0, v3
	v_mul_lo_u32 v4, v0, s8
	v_mul_lo_u32 v5, v0, s10
	v_mul_lo_u32 v6, v0, s9
	s_cbranch_vccnz .LBB378_104
; %bb.103:
	v_mov_b32_e32 v3, v1
	s_delay_alu instid0(VALU_DEP_1) | instskip(NEXT) | instid1(VALU_DEP_1)
	v_mul_u64_e32 v[0:1], s[24:25], v[2:3]
	v_add_nc_u32_e32 v0, v2, v1
	s_delay_alu instid0(VALU_DEP_1) | instskip(NEXT) | instid1(VALU_DEP_1)
	v_lshrrev_b32_e32 v0, s19, v0
	v_mul_lo_u32 v0, v0, s7
	s_delay_alu instid0(VALU_DEP_1) | instskip(NEXT) | instid1(VALU_DEP_1)
	v_sub_nc_u32_e32 v0, v2, v0
	v_mad_u32 v4, v0, s11, v4
	v_mad_u32 v6, v0, s22, v6
	;; [unrolled: 1-line block ×3, first 2 shown]
.LBB378_104:
	global_load_u8 v0, v6, s[2:3]
	global_load_u8 v1, v5, s[12:13]
	s_wait_loadcnt 0x0
	v_cmp_ne_u16_e32 vcc_lo, v0, v1
	s_wait_xcnt 0x1
	s_xor_b32 s2, s5, vcc_lo
	s_delay_alu instid0(SALU_CYCLE_1)
	v_cndmask_b32_e64 v0, 0, 1, s2
	global_store_b8 v4, v0, s[0:1]
.LBB378_105:
	s_wait_xcnt 0x0
	s_or_b32 exec_lo, exec_lo, s18
                                        ; implicit-def: $vgpr4
                                        ; implicit-def: $vgpr0
.LBB378_106:
	s_and_not1_saveexec_b32 s0, s29
	s_cbranch_execz .LBB378_113
; %bb.107:
	v_cndmask_b32_e64 v8, 0, 1, s28
	s_and_not1_b32 vcc_lo, exec_lo, s28
	s_cbranch_vccnz .LBB378_114
; %bb.108:
	s_cmp_lg_u32 s26, 0
	s_mov_b32 s2, 0
	s_cbranch_scc0 .LBB378_118
; %bb.109:
	s_min_u32 s3, s27, 15
	v_dual_mov_b32 v1, 0 :: v_dual_mov_b32 v5, v0
	v_dual_mov_b32 v3, 0 :: v_dual_mov_b32 v2, 0
	s_add_co_i32 s4, s3, 1
	s_mov_b64 s[0:1], 0xffffffffffffffe8
	s_and_b32 s4, s4, 30
	s_add_nc_u64 s[0:1], s[16:17], s[0:1]
.LBB378_110:                            ; =>This Inner Loop Header: Depth=1
	s_clause 0x1
	s_load_b128 s[8:11], s[0:1], 0x1c
	s_load_b64 s[6:7], s[0:1], 0x2c
	s_add_co_i32 s4, s4, -2
	s_delay_alu instid0(SALU_CYCLE_1) | instskip(SKIP_2) | instid1(VALU_DEP_1)
	s_cmp_lg_u32 s4, 0
	s_wait_kmcnt 0x0
	v_mul_hi_u32 v6, s9, v5
	v_add_nc_u32_e32 v6, v5, v6
	s_delay_alu instid0(VALU_DEP_1) | instskip(NEXT) | instid1(VALU_DEP_1)
	v_lshrrev_b32_e32 v6, s10, v6
	v_mul_hi_u32 v7, s6, v6
	v_mul_lo_u32 v9, v6, s8
	s_clause 0x1
	s_load_b128 s[12:15], s[0:1], 0xdc
	s_load_b64 s[8:9], s[0:1], 0xec
	s_wait_xcnt 0x0
	s_add_nc_u64 s[0:1], s[0:1], 24
	s_delay_alu instid0(VALU_DEP_1) | instskip(NEXT) | instid1(VALU_DEP_1)
	v_dual_add_nc_u32 v7, v6, v7 :: v_dual_sub_nc_u32 v9, v5, v9
	v_lshrrev_b32_e32 v5, s7, v7
	s_wait_kmcnt 0x0
	s_delay_alu instid0(VALU_DEP_2) | instskip(NEXT) | instid1(VALU_DEP_2)
	v_mad_u32 v1, v9, s12, v1
	v_mul_lo_u32 v7, v5, s11
	v_mad_u32 v2, v9, s14, v2
	v_mad_u32 v3, v9, s13, v3
	s_delay_alu instid0(VALU_DEP_3) | instskip(NEXT) | instid1(VALU_DEP_1)
	v_sub_nc_u32_e32 v6, v6, v7
	v_mad_u32 v1, v6, s15, v1
	s_delay_alu instid0(VALU_DEP_4) | instskip(NEXT) | instid1(VALU_DEP_4)
	v_mad_u32 v2, v6, s9, v2
	v_mad_u32 v3, v6, s8, v3
	s_cbranch_scc1 .LBB378_110
; %bb.111:
	s_bitcmp1_b32 s3, 0
	s_cselect_b32 s3, -1, 0
	s_delay_alu instid0(SALU_CYCLE_1)
	s_and_b32 vcc_lo, exec_lo, s3
	s_cbranch_vccnz .LBB378_115
; %bb.112:
	s_clause 0x1
	s_load_b96 s[4:6], s[0:1], 0x1c
	s_load_b96 s[8:10], s[0:1], 0xdc
	s_wait_kmcnt 0x0
	v_mul_hi_u32 v6, s5, v5
	s_delay_alu instid0(VALU_DEP_1) | instskip(NEXT) | instid1(VALU_DEP_1)
	v_add_nc_u32_e32 v6, v5, v6
	v_lshrrev_b32_e32 v6, s6, v6
	s_delay_alu instid0(VALU_DEP_1) | instskip(NEXT) | instid1(VALU_DEP_1)
	v_mul_lo_u32 v6, v6, s4
	v_sub_nc_u32_e32 v5, v5, v6
	s_delay_alu instid0(VALU_DEP_1)
	v_mad_u32 v1, v5, s8, v1
	v_mad_u32 v3, v5, s9, v3
	;; [unrolled: 1-line block ×3, first 2 shown]
	s_and_not1_b32 vcc_lo, exec_lo, s2
	s_cbranch_vccz .LBB378_116
	s_branch .LBB378_119
.LBB378_113:
	s_endpgm
.LBB378_114:
	s_mov_b32 s2, -1
                                        ; implicit-def: $vgpr2
                                        ; implicit-def: $vgpr3
                                        ; implicit-def: $vgpr1
.LBB378_115:
	s_delay_alu instid0(SALU_CYCLE_1)
	s_and_not1_b32 vcc_lo, exec_lo, s2
	s_cbranch_vccnz .LBB378_119
.LBB378_116:
	s_clause 0x1
	s_load_b96 s[0:2], s[16:17], 0x4
	s_load_b96 s[4:6], s[16:17], 0xc4
	s_cmp_lt_u32 s26, 2
	s_wait_kmcnt 0x0
	v_mul_hi_u32 v1, s1, v0
	s_delay_alu instid0(VALU_DEP_1) | instskip(NEXT) | instid1(VALU_DEP_1)
	v_add_nc_u32_e32 v1, v0, v1
	v_lshrrev_b32_e32 v5, s2, v1
	s_delay_alu instid0(VALU_DEP_1) | instskip(NEXT) | instid1(VALU_DEP_1)
	v_mul_lo_u32 v1, v5, s0
	v_sub_nc_u32_e32 v3, v0, v1
	s_delay_alu instid0(VALU_DEP_1)
	v_mul_lo_u32 v1, v3, s4
	v_mul_lo_u32 v2, v3, s6
	;; [unrolled: 1-line block ×3, first 2 shown]
	s_cbranch_scc1 .LBB378_119
; %bb.117:
	s_clause 0x1
	s_load_b96 s[0:2], s[16:17], 0x10
	s_load_b96 s[4:6], s[16:17], 0xd0
	s_wait_kmcnt 0x0
	v_mul_hi_u32 v6, s1, v5
	s_delay_alu instid0(VALU_DEP_1) | instskip(NEXT) | instid1(VALU_DEP_1)
	v_add_nc_u32_e32 v6, v5, v6
	v_lshrrev_b32_e32 v6, s2, v6
	s_delay_alu instid0(VALU_DEP_1) | instskip(NEXT) | instid1(VALU_DEP_1)
	v_mul_lo_u32 v6, v6, s0
	v_sub_nc_u32_e32 v5, v5, v6
	s_delay_alu instid0(VALU_DEP_1)
	v_mad_u32 v1, v5, s4, v1
	v_mad_u32 v3, v5, s5, v3
	;; [unrolled: 1-line block ×3, first 2 shown]
	s_branch .LBB378_119
.LBB378_118:
	v_dual_mov_b32 v2, 0 :: v_dual_mov_b32 v3, 0
	v_mov_b32_e32 v1, 0
	s_and_not1_b32 vcc_lo, exec_lo, s2
	s_cbranch_vccz .LBB378_116
.LBB378_119:
	v_cmp_ne_u32_e32 vcc_lo, 1, v8
	v_add_nc_u32_e32 v9, 0x80, v0
	s_cbranch_vccnz .LBB378_125
; %bb.120:
	s_cmp_lg_u32 s26, 0
	s_mov_b32 s2, 0
	s_cbranch_scc0 .LBB378_129
; %bb.121:
	s_min_u32 s3, s27, 15
	v_dual_mov_b32 v5, 0 :: v_dual_mov_b32 v10, v9
	v_dual_mov_b32 v6, 0 :: v_dual_mov_b32 v7, 0
	s_add_co_i32 s4, s3, 1
	s_mov_b64 s[0:1], 0xffffffffffffffe8
	s_and_b32 s4, s4, 30
	s_add_nc_u64 s[0:1], s[16:17], s[0:1]
.LBB378_122:                            ; =>This Inner Loop Header: Depth=1
	s_clause 0x1
	s_load_b128 s[8:11], s[0:1], 0x1c
	s_load_b64 s[6:7], s[0:1], 0x2c
	s_add_co_i32 s4, s4, -2
	s_delay_alu instid0(SALU_CYCLE_1) | instskip(SKIP_2) | instid1(VALU_DEP_1)
	s_cmp_lg_u32 s4, 0
	s_wait_kmcnt 0x0
	v_mul_hi_u32 v11, s9, v10
	v_add_nc_u32_e32 v11, v10, v11
	s_delay_alu instid0(VALU_DEP_1) | instskip(NEXT) | instid1(VALU_DEP_1)
	v_lshrrev_b32_e32 v11, s10, v11
	v_mul_hi_u32 v12, s6, v11
	v_mul_lo_u32 v13, v11, s8
	s_clause 0x1
	s_load_b128 s[12:15], s[0:1], 0xdc
	s_load_b64 s[8:9], s[0:1], 0xec
	s_wait_xcnt 0x0
	s_add_nc_u64 s[0:1], s[0:1], 24
	s_delay_alu instid0(VALU_DEP_1) | instskip(NEXT) | instid1(VALU_DEP_1)
	v_dual_add_nc_u32 v12, v11, v12 :: v_dual_sub_nc_u32 v13, v10, v13
	v_lshrrev_b32_e32 v10, s7, v12
	s_wait_kmcnt 0x0
	s_delay_alu instid0(VALU_DEP_2) | instskip(NEXT) | instid1(VALU_DEP_2)
	v_mad_u32 v5, v13, s12, v5
	v_mul_lo_u32 v12, v10, s11
	v_mad_u32 v7, v13, s14, v7
	v_mad_u32 v6, v13, s13, v6
	s_delay_alu instid0(VALU_DEP_3) | instskip(NEXT) | instid1(VALU_DEP_1)
	v_sub_nc_u32_e32 v11, v11, v12
	v_mad_u32 v5, v11, s15, v5
	s_delay_alu instid0(VALU_DEP_4) | instskip(NEXT) | instid1(VALU_DEP_4)
	v_mad_u32 v7, v11, s9, v7
	v_mad_u32 v6, v11, s8, v6
	s_cbranch_scc1 .LBB378_122
; %bb.123:
	s_bitcmp1_b32 s3, 0
	s_cselect_b32 s3, -1, 0
	s_delay_alu instid0(SALU_CYCLE_1)
	s_and_b32 vcc_lo, exec_lo, s3
	s_cbranch_vccnz .LBB378_126
; %bb.124:
	s_clause 0x1
	s_load_b96 s[4:6], s[0:1], 0x1c
	s_load_b96 s[8:10], s[0:1], 0xdc
	s_wait_kmcnt 0x0
	v_mul_hi_u32 v11, s5, v10
	s_delay_alu instid0(VALU_DEP_1) | instskip(NEXT) | instid1(VALU_DEP_1)
	v_add_nc_u32_e32 v11, v10, v11
	v_lshrrev_b32_e32 v11, s6, v11
	s_delay_alu instid0(VALU_DEP_1) | instskip(NEXT) | instid1(VALU_DEP_1)
	v_mul_lo_u32 v11, v11, s4
	v_sub_nc_u32_e32 v10, v10, v11
	s_delay_alu instid0(VALU_DEP_1)
	v_mad_u32 v5, v10, s8, v5
	v_mad_u32 v6, v10, s9, v6
	;; [unrolled: 1-line block ×3, first 2 shown]
	s_and_not1_b32 vcc_lo, exec_lo, s2
	s_cbranch_vccz .LBB378_127
	s_branch .LBB378_130
.LBB378_125:
	s_mov_b32 s2, -1
                                        ; implicit-def: $vgpr7
                                        ; implicit-def: $vgpr6
                                        ; implicit-def: $vgpr5
.LBB378_126:
	s_delay_alu instid0(SALU_CYCLE_1)
	s_and_not1_b32 vcc_lo, exec_lo, s2
	s_cbranch_vccnz .LBB378_130
.LBB378_127:
	s_clause 0x1
	s_load_b96 s[0:2], s[16:17], 0x4
	s_load_b96 s[4:6], s[16:17], 0xc4
	s_cmp_lt_u32 s26, 2
	s_wait_kmcnt 0x0
	v_mul_hi_u32 v5, s1, v9
	s_delay_alu instid0(VALU_DEP_1) | instskip(NEXT) | instid1(VALU_DEP_1)
	v_add_nc_u32_e32 v5, v9, v5
	v_lshrrev_b32_e32 v10, s2, v5
	s_delay_alu instid0(VALU_DEP_1) | instskip(NEXT) | instid1(VALU_DEP_1)
	v_mul_lo_u32 v5, v10, s0
	v_sub_nc_u32_e32 v6, v9, v5
	s_delay_alu instid0(VALU_DEP_1)
	v_mul_lo_u32 v5, v6, s4
	v_mul_lo_u32 v7, v6, s6
	;; [unrolled: 1-line block ×3, first 2 shown]
	s_cbranch_scc1 .LBB378_130
; %bb.128:
	s_clause 0x1
	s_load_b96 s[0:2], s[16:17], 0x10
	s_load_b96 s[4:6], s[16:17], 0xd0
	s_wait_kmcnt 0x0
	v_mul_hi_u32 v9, s1, v10
	s_delay_alu instid0(VALU_DEP_1) | instskip(NEXT) | instid1(VALU_DEP_1)
	v_add_nc_u32_e32 v9, v10, v9
	v_lshrrev_b32_e32 v9, s2, v9
	s_delay_alu instid0(VALU_DEP_1) | instskip(NEXT) | instid1(VALU_DEP_1)
	v_mul_lo_u32 v9, v9, s0
	v_sub_nc_u32_e32 v9, v10, v9
	s_delay_alu instid0(VALU_DEP_1)
	v_mad_u32 v5, v9, s4, v5
	v_mad_u32 v6, v9, s5, v6
	;; [unrolled: 1-line block ×3, first 2 shown]
	s_branch .LBB378_130
.LBB378_129:
	v_dual_mov_b32 v7, 0 :: v_dual_mov_b32 v6, 0
	v_mov_b32_e32 v5, 0
	s_and_not1_b32 vcc_lo, exec_lo, s2
	s_cbranch_vccz .LBB378_127
.LBB378_130:
	v_cmp_ne_u32_e32 vcc_lo, 1, v8
	v_add_nc_u32_e32 v12, 0x100, v0
	s_cbranch_vccnz .LBB378_136
; %bb.131:
	s_cmp_lg_u32 s26, 0
	s_mov_b32 s2, 0
	s_cbranch_scc0 .LBB378_140
; %bb.132:
	s_min_u32 s3, s27, 15
	v_dual_mov_b32 v9, 0 :: v_dual_mov_b32 v13, v12
	v_dual_mov_b32 v11, 0 :: v_dual_mov_b32 v10, 0
	s_add_co_i32 s4, s3, 1
	s_mov_b64 s[0:1], 0xffffffffffffffe8
	s_and_b32 s4, s4, 30
	s_add_nc_u64 s[0:1], s[16:17], s[0:1]
.LBB378_133:                            ; =>This Inner Loop Header: Depth=1
	s_clause 0x1
	s_load_b128 s[8:11], s[0:1], 0x1c
	s_load_b64 s[6:7], s[0:1], 0x2c
	s_add_co_i32 s4, s4, -2
	s_delay_alu instid0(SALU_CYCLE_1) | instskip(SKIP_2) | instid1(VALU_DEP_1)
	s_cmp_lg_u32 s4, 0
	s_wait_kmcnt 0x0
	v_mul_hi_u32 v14, s9, v13
	v_add_nc_u32_e32 v14, v13, v14
	s_delay_alu instid0(VALU_DEP_1) | instskip(NEXT) | instid1(VALU_DEP_1)
	v_lshrrev_b32_e32 v14, s10, v14
	v_mul_hi_u32 v15, s6, v14
	v_mul_lo_u32 v16, v14, s8
	s_clause 0x1
	s_load_b128 s[12:15], s[0:1], 0xdc
	s_load_b64 s[8:9], s[0:1], 0xec
	s_wait_xcnt 0x0
	s_add_nc_u64 s[0:1], s[0:1], 24
	s_delay_alu instid0(VALU_DEP_1) | instskip(NEXT) | instid1(VALU_DEP_1)
	v_dual_add_nc_u32 v15, v14, v15 :: v_dual_sub_nc_u32 v16, v13, v16
	v_lshrrev_b32_e32 v13, s7, v15
	s_wait_kmcnt 0x0
	s_delay_alu instid0(VALU_DEP_2) | instskip(NEXT) | instid1(VALU_DEP_2)
	v_mad_u32 v9, v16, s12, v9
	v_mul_lo_u32 v15, v13, s11
	v_mad_u32 v10, v16, s14, v10
	v_mad_u32 v11, v16, s13, v11
	s_delay_alu instid0(VALU_DEP_3) | instskip(NEXT) | instid1(VALU_DEP_1)
	v_sub_nc_u32_e32 v14, v14, v15
	v_mad_u32 v9, v14, s15, v9
	s_delay_alu instid0(VALU_DEP_4) | instskip(NEXT) | instid1(VALU_DEP_4)
	v_mad_u32 v10, v14, s9, v10
	v_mad_u32 v11, v14, s8, v11
	s_cbranch_scc1 .LBB378_133
; %bb.134:
	s_bitcmp1_b32 s3, 0
	s_cselect_b32 s3, -1, 0
	s_delay_alu instid0(SALU_CYCLE_1)
	s_and_b32 vcc_lo, exec_lo, s3
	s_cbranch_vccnz .LBB378_137
; %bb.135:
	s_clause 0x1
	s_load_b96 s[4:6], s[0:1], 0x1c
	s_load_b96 s[8:10], s[0:1], 0xdc
	s_wait_kmcnt 0x0
	v_mul_hi_u32 v14, s5, v13
	s_delay_alu instid0(VALU_DEP_1) | instskip(NEXT) | instid1(VALU_DEP_1)
	v_add_nc_u32_e32 v14, v13, v14
	v_lshrrev_b32_e32 v14, s6, v14
	s_delay_alu instid0(VALU_DEP_1) | instskip(NEXT) | instid1(VALU_DEP_1)
	v_mul_lo_u32 v14, v14, s4
	v_sub_nc_u32_e32 v13, v13, v14
	s_delay_alu instid0(VALU_DEP_1)
	v_mad_u32 v9, v13, s8, v9
	v_mad_u32 v11, v13, s9, v11
	;; [unrolled: 1-line block ×3, first 2 shown]
	s_and_not1_b32 vcc_lo, exec_lo, s2
	s_cbranch_vccz .LBB378_138
	s_branch .LBB378_141
.LBB378_136:
	s_mov_b32 s2, -1
                                        ; implicit-def: $vgpr10
                                        ; implicit-def: $vgpr11
                                        ; implicit-def: $vgpr9
.LBB378_137:
	s_delay_alu instid0(SALU_CYCLE_1)
	s_and_not1_b32 vcc_lo, exec_lo, s2
	s_cbranch_vccnz .LBB378_141
.LBB378_138:
	s_clause 0x1
	s_load_b96 s[0:2], s[16:17], 0x4
	s_load_b96 s[4:6], s[16:17], 0xc4
	s_cmp_lt_u32 s26, 2
	s_wait_kmcnt 0x0
	v_mul_hi_u32 v9, s1, v12
	s_delay_alu instid0(VALU_DEP_1) | instskip(NEXT) | instid1(VALU_DEP_1)
	v_add_nc_u32_e32 v9, v12, v9
	v_lshrrev_b32_e32 v13, s2, v9
	s_delay_alu instid0(VALU_DEP_1) | instskip(NEXT) | instid1(VALU_DEP_1)
	v_mul_lo_u32 v9, v13, s0
	v_sub_nc_u32_e32 v11, v12, v9
	s_delay_alu instid0(VALU_DEP_1)
	v_mul_lo_u32 v9, v11, s4
	v_mul_lo_u32 v10, v11, s6
	;; [unrolled: 1-line block ×3, first 2 shown]
	s_cbranch_scc1 .LBB378_141
; %bb.139:
	s_clause 0x1
	s_load_b96 s[0:2], s[16:17], 0x10
	s_load_b96 s[4:6], s[16:17], 0xd0
	s_wait_kmcnt 0x0
	v_mul_hi_u32 v12, s1, v13
	s_delay_alu instid0(VALU_DEP_1) | instskip(NEXT) | instid1(VALU_DEP_1)
	v_add_nc_u32_e32 v12, v13, v12
	v_lshrrev_b32_e32 v12, s2, v12
	s_delay_alu instid0(VALU_DEP_1) | instskip(NEXT) | instid1(VALU_DEP_1)
	v_mul_lo_u32 v12, v12, s0
	v_sub_nc_u32_e32 v12, v13, v12
	s_delay_alu instid0(VALU_DEP_1)
	v_mad_u32 v9, v12, s4, v9
	v_mad_u32 v11, v12, s5, v11
	;; [unrolled: 1-line block ×3, first 2 shown]
	s_branch .LBB378_141
.LBB378_140:
	v_dual_mov_b32 v10, 0 :: v_dual_mov_b32 v11, 0
	v_mov_b32_e32 v9, 0
	s_and_not1_b32 vcc_lo, exec_lo, s2
	s_cbranch_vccz .LBB378_138
.LBB378_141:
	v_cmp_ne_u32_e32 vcc_lo, 1, v8
	v_add_nc_u32_e32 v15, 0x180, v0
	s_cbranch_vccnz .LBB378_147
; %bb.142:
	s_cmp_lg_u32 s26, 0
	s_mov_b32 s2, 0
	s_cbranch_scc0 .LBB378_151
; %bb.143:
	s_min_u32 s3, s27, 15
	v_dual_mov_b32 v12, 0 :: v_dual_mov_b32 v16, v15
	v_dual_mov_b32 v14, 0 :: v_dual_mov_b32 v13, 0
	s_add_co_i32 s4, s3, 1
	s_mov_b64 s[0:1], 0xffffffffffffffe8
	s_and_b32 s4, s4, 30
	s_add_nc_u64 s[0:1], s[16:17], s[0:1]
.LBB378_144:                            ; =>This Inner Loop Header: Depth=1
	s_clause 0x1
	s_load_b128 s[8:11], s[0:1], 0x1c
	s_load_b64 s[6:7], s[0:1], 0x2c
	s_add_co_i32 s4, s4, -2
	s_delay_alu instid0(SALU_CYCLE_1) | instskip(SKIP_2) | instid1(VALU_DEP_1)
	s_cmp_lg_u32 s4, 0
	s_wait_kmcnt 0x0
	v_mul_hi_u32 v17, s9, v16
	v_add_nc_u32_e32 v17, v16, v17
	s_delay_alu instid0(VALU_DEP_1) | instskip(NEXT) | instid1(VALU_DEP_1)
	v_lshrrev_b32_e32 v17, s10, v17
	v_mul_hi_u32 v18, s6, v17
	v_mul_lo_u32 v19, v17, s8
	s_clause 0x1
	s_load_b128 s[12:15], s[0:1], 0xdc
	s_load_b64 s[8:9], s[0:1], 0xec
	s_wait_xcnt 0x0
	s_add_nc_u64 s[0:1], s[0:1], 24
	s_delay_alu instid0(VALU_DEP_1) | instskip(NEXT) | instid1(VALU_DEP_1)
	v_dual_add_nc_u32 v18, v17, v18 :: v_dual_sub_nc_u32 v19, v16, v19
	v_lshrrev_b32_e32 v16, s7, v18
	s_wait_kmcnt 0x0
	s_delay_alu instid0(VALU_DEP_2) | instskip(NEXT) | instid1(VALU_DEP_2)
	v_mad_u32 v12, v19, s12, v12
	v_mul_lo_u32 v18, v16, s11
	v_mad_u32 v13, v19, s14, v13
	v_mad_u32 v14, v19, s13, v14
	s_delay_alu instid0(VALU_DEP_3) | instskip(NEXT) | instid1(VALU_DEP_1)
	v_sub_nc_u32_e32 v17, v17, v18
	v_mad_u32 v12, v17, s15, v12
	s_delay_alu instid0(VALU_DEP_4) | instskip(NEXT) | instid1(VALU_DEP_4)
	v_mad_u32 v13, v17, s9, v13
	v_mad_u32 v14, v17, s8, v14
	s_cbranch_scc1 .LBB378_144
; %bb.145:
	s_bitcmp1_b32 s3, 0
	s_cselect_b32 s3, -1, 0
	s_delay_alu instid0(SALU_CYCLE_1)
	s_and_b32 vcc_lo, exec_lo, s3
	s_cbranch_vccnz .LBB378_148
; %bb.146:
	s_clause 0x1
	s_load_b96 s[4:6], s[0:1], 0x1c
	s_load_b96 s[8:10], s[0:1], 0xdc
	s_wait_kmcnt 0x0
	v_mul_hi_u32 v17, s5, v16
	s_delay_alu instid0(VALU_DEP_1) | instskip(NEXT) | instid1(VALU_DEP_1)
	v_add_nc_u32_e32 v17, v16, v17
	v_lshrrev_b32_e32 v17, s6, v17
	s_delay_alu instid0(VALU_DEP_1) | instskip(NEXT) | instid1(VALU_DEP_1)
	v_mul_lo_u32 v17, v17, s4
	v_sub_nc_u32_e32 v16, v16, v17
	s_delay_alu instid0(VALU_DEP_1)
	v_mad_u32 v12, v16, s8, v12
	v_mad_u32 v14, v16, s9, v14
	;; [unrolled: 1-line block ×3, first 2 shown]
	s_and_not1_b32 vcc_lo, exec_lo, s2
	s_cbranch_vccz .LBB378_149
	s_branch .LBB378_152
.LBB378_147:
	s_mov_b32 s2, -1
                                        ; implicit-def: $vgpr13
                                        ; implicit-def: $vgpr14
                                        ; implicit-def: $vgpr12
.LBB378_148:
	s_delay_alu instid0(SALU_CYCLE_1)
	s_and_not1_b32 vcc_lo, exec_lo, s2
	s_cbranch_vccnz .LBB378_152
.LBB378_149:
	s_clause 0x1
	s_load_b96 s[0:2], s[16:17], 0x4
	s_load_b96 s[4:6], s[16:17], 0xc4
	s_cmp_lt_u32 s26, 2
	s_wait_kmcnt 0x0
	v_mul_hi_u32 v12, s1, v15
	s_delay_alu instid0(VALU_DEP_1) | instskip(NEXT) | instid1(VALU_DEP_1)
	v_add_nc_u32_e32 v12, v15, v12
	v_lshrrev_b32_e32 v16, s2, v12
	s_delay_alu instid0(VALU_DEP_1) | instskip(NEXT) | instid1(VALU_DEP_1)
	v_mul_lo_u32 v12, v16, s0
	v_sub_nc_u32_e32 v14, v15, v12
	s_delay_alu instid0(VALU_DEP_1)
	v_mul_lo_u32 v12, v14, s4
	v_mul_lo_u32 v13, v14, s6
	;; [unrolled: 1-line block ×3, first 2 shown]
	s_cbranch_scc1 .LBB378_152
; %bb.150:
	s_clause 0x1
	s_load_b96 s[0:2], s[16:17], 0x10
	s_load_b96 s[4:6], s[16:17], 0xd0
	s_wait_kmcnt 0x0
	v_mul_hi_u32 v15, s1, v16
	s_delay_alu instid0(VALU_DEP_1) | instskip(NEXT) | instid1(VALU_DEP_1)
	v_add_nc_u32_e32 v15, v16, v15
	v_lshrrev_b32_e32 v15, s2, v15
	s_delay_alu instid0(VALU_DEP_1) | instskip(NEXT) | instid1(VALU_DEP_1)
	v_mul_lo_u32 v15, v15, s0
	v_sub_nc_u32_e32 v15, v16, v15
	s_delay_alu instid0(VALU_DEP_1)
	v_mad_u32 v12, v15, s4, v12
	v_mad_u32 v14, v15, s5, v14
	;; [unrolled: 1-line block ×3, first 2 shown]
	s_branch .LBB378_152
.LBB378_151:
	v_dual_mov_b32 v13, 0 :: v_dual_mov_b32 v14, 0
	v_mov_b32_e32 v12, 0
	s_and_not1_b32 vcc_lo, exec_lo, s2
	s_cbranch_vccz .LBB378_149
.LBB378_152:
	v_cmp_ne_u32_e32 vcc_lo, 1, v8
	v_add_nc_u32_e32 v18, 0x200, v0
	s_cbranch_vccnz .LBB378_158
; %bb.153:
	s_cmp_lg_u32 s26, 0
	s_mov_b32 s2, 0
	s_cbranch_scc0 .LBB378_162
; %bb.154:
	s_min_u32 s3, s27, 15
	v_dual_mov_b32 v15, 0 :: v_dual_mov_b32 v19, v18
	v_dual_mov_b32 v16, 0 :: v_dual_mov_b32 v17, 0
	s_add_co_i32 s4, s3, 1
	s_mov_b64 s[0:1], 0xffffffffffffffe8
	s_and_b32 s4, s4, 30
	s_add_nc_u64 s[0:1], s[16:17], s[0:1]
.LBB378_155:                            ; =>This Inner Loop Header: Depth=1
	s_clause 0x1
	s_load_b128 s[8:11], s[0:1], 0x1c
	s_load_b64 s[6:7], s[0:1], 0x2c
	s_add_co_i32 s4, s4, -2
	s_delay_alu instid0(SALU_CYCLE_1) | instskip(SKIP_2) | instid1(VALU_DEP_1)
	s_cmp_lg_u32 s4, 0
	s_wait_kmcnt 0x0
	v_mul_hi_u32 v20, s9, v19
	v_add_nc_u32_e32 v20, v19, v20
	s_delay_alu instid0(VALU_DEP_1) | instskip(NEXT) | instid1(VALU_DEP_1)
	v_lshrrev_b32_e32 v20, s10, v20
	v_mul_hi_u32 v21, s6, v20
	v_mul_lo_u32 v22, v20, s8
	s_clause 0x1
	s_load_b128 s[12:15], s[0:1], 0xdc
	s_load_b64 s[8:9], s[0:1], 0xec
	s_wait_xcnt 0x0
	s_add_nc_u64 s[0:1], s[0:1], 24
	s_delay_alu instid0(VALU_DEP_1) | instskip(NEXT) | instid1(VALU_DEP_1)
	v_dual_add_nc_u32 v21, v20, v21 :: v_dual_sub_nc_u32 v22, v19, v22
	v_lshrrev_b32_e32 v19, s7, v21
	s_wait_kmcnt 0x0
	s_delay_alu instid0(VALU_DEP_2) | instskip(NEXT) | instid1(VALU_DEP_2)
	v_mad_u32 v15, v22, s12, v15
	v_mul_lo_u32 v21, v19, s11
	v_mad_u32 v17, v22, s14, v17
	v_mad_u32 v16, v22, s13, v16
	s_delay_alu instid0(VALU_DEP_3) | instskip(NEXT) | instid1(VALU_DEP_1)
	v_sub_nc_u32_e32 v20, v20, v21
	v_mad_u32 v15, v20, s15, v15
	s_delay_alu instid0(VALU_DEP_4) | instskip(NEXT) | instid1(VALU_DEP_4)
	v_mad_u32 v17, v20, s9, v17
	v_mad_u32 v16, v20, s8, v16
	s_cbranch_scc1 .LBB378_155
; %bb.156:
	s_bitcmp1_b32 s3, 0
	s_cselect_b32 s3, -1, 0
	s_delay_alu instid0(SALU_CYCLE_1)
	s_and_b32 vcc_lo, exec_lo, s3
	s_cbranch_vccnz .LBB378_159
; %bb.157:
	s_clause 0x1
	s_load_b96 s[4:6], s[0:1], 0x1c
	s_load_b96 s[8:10], s[0:1], 0xdc
	s_wait_kmcnt 0x0
	v_mul_hi_u32 v20, s5, v19
	s_delay_alu instid0(VALU_DEP_1) | instskip(NEXT) | instid1(VALU_DEP_1)
	v_add_nc_u32_e32 v20, v19, v20
	v_lshrrev_b32_e32 v20, s6, v20
	s_delay_alu instid0(VALU_DEP_1) | instskip(NEXT) | instid1(VALU_DEP_1)
	v_mul_lo_u32 v20, v20, s4
	v_sub_nc_u32_e32 v19, v19, v20
	s_delay_alu instid0(VALU_DEP_1)
	v_mad_u32 v15, v19, s8, v15
	v_mad_u32 v16, v19, s9, v16
	;; [unrolled: 1-line block ×3, first 2 shown]
	s_and_not1_b32 vcc_lo, exec_lo, s2
	s_cbranch_vccz .LBB378_160
	s_branch .LBB378_163
.LBB378_158:
	s_mov_b32 s2, -1
                                        ; implicit-def: $vgpr17
                                        ; implicit-def: $vgpr16
                                        ; implicit-def: $vgpr15
.LBB378_159:
	s_delay_alu instid0(SALU_CYCLE_1)
	s_and_not1_b32 vcc_lo, exec_lo, s2
	s_cbranch_vccnz .LBB378_163
.LBB378_160:
	s_clause 0x1
	s_load_b96 s[0:2], s[16:17], 0x4
	s_load_b96 s[4:6], s[16:17], 0xc4
	s_cmp_lt_u32 s26, 2
	s_wait_kmcnt 0x0
	v_mul_hi_u32 v15, s1, v18
	s_delay_alu instid0(VALU_DEP_1) | instskip(NEXT) | instid1(VALU_DEP_1)
	v_add_nc_u32_e32 v15, v18, v15
	v_lshrrev_b32_e32 v19, s2, v15
	s_delay_alu instid0(VALU_DEP_1) | instskip(NEXT) | instid1(VALU_DEP_1)
	v_mul_lo_u32 v15, v19, s0
	v_sub_nc_u32_e32 v16, v18, v15
	s_delay_alu instid0(VALU_DEP_1)
	v_mul_lo_u32 v15, v16, s4
	v_mul_lo_u32 v17, v16, s6
	;; [unrolled: 1-line block ×3, first 2 shown]
	s_cbranch_scc1 .LBB378_163
; %bb.161:
	s_clause 0x1
	s_load_b96 s[0:2], s[16:17], 0x10
	s_load_b96 s[4:6], s[16:17], 0xd0
	s_wait_kmcnt 0x0
	v_mul_hi_u32 v18, s1, v19
	s_delay_alu instid0(VALU_DEP_1) | instskip(NEXT) | instid1(VALU_DEP_1)
	v_add_nc_u32_e32 v18, v19, v18
	v_lshrrev_b32_e32 v18, s2, v18
	s_delay_alu instid0(VALU_DEP_1) | instskip(NEXT) | instid1(VALU_DEP_1)
	v_mul_lo_u32 v18, v18, s0
	v_sub_nc_u32_e32 v18, v19, v18
	s_delay_alu instid0(VALU_DEP_1)
	v_mad_u32 v15, v18, s4, v15
	v_mad_u32 v16, v18, s5, v16
	;; [unrolled: 1-line block ×3, first 2 shown]
	s_branch .LBB378_163
.LBB378_162:
	v_dual_mov_b32 v17, 0 :: v_dual_mov_b32 v16, 0
	v_mov_b32_e32 v15, 0
	s_and_not1_b32 vcc_lo, exec_lo, s2
	s_cbranch_vccz .LBB378_160
.LBB378_163:
	v_cmp_ne_u32_e32 vcc_lo, 1, v8
	v_add_nc_u32_e32 v21, 0x280, v0
	s_cbranch_vccnz .LBB378_169
; %bb.164:
	s_cmp_lg_u32 s26, 0
	s_mov_b32 s2, 0
	s_cbranch_scc0 .LBB378_173
; %bb.165:
	s_min_u32 s3, s27, 15
	v_dual_mov_b32 v18, 0 :: v_dual_mov_b32 v22, v21
	v_dual_mov_b32 v19, 0 :: v_dual_mov_b32 v20, 0
	s_add_co_i32 s4, s3, 1
	s_mov_b64 s[0:1], 0xffffffffffffffe8
	s_and_b32 s4, s4, 30
	s_add_nc_u64 s[0:1], s[16:17], s[0:1]
.LBB378_166:                            ; =>This Inner Loop Header: Depth=1
	s_clause 0x1
	s_load_b128 s[8:11], s[0:1], 0x1c
	s_load_b64 s[6:7], s[0:1], 0x2c
	s_add_co_i32 s4, s4, -2
	s_delay_alu instid0(SALU_CYCLE_1) | instskip(SKIP_2) | instid1(VALU_DEP_1)
	s_cmp_lg_u32 s4, 0
	s_wait_kmcnt 0x0
	v_mul_hi_u32 v23, s9, v22
	v_add_nc_u32_e32 v23, v22, v23
	s_delay_alu instid0(VALU_DEP_1) | instskip(NEXT) | instid1(VALU_DEP_1)
	v_lshrrev_b32_e32 v23, s10, v23
	v_mul_hi_u32 v24, s6, v23
	v_mul_lo_u32 v25, v23, s8
	s_clause 0x1
	s_load_b128 s[12:15], s[0:1], 0xdc
	s_load_b64 s[8:9], s[0:1], 0xec
	s_wait_xcnt 0x0
	s_add_nc_u64 s[0:1], s[0:1], 24
	s_delay_alu instid0(VALU_DEP_1) | instskip(NEXT) | instid1(VALU_DEP_1)
	v_dual_add_nc_u32 v24, v23, v24 :: v_dual_sub_nc_u32 v25, v22, v25
	v_lshrrev_b32_e32 v22, s7, v24
	s_wait_kmcnt 0x0
	s_delay_alu instid0(VALU_DEP_2) | instskip(NEXT) | instid1(VALU_DEP_2)
	v_mad_u32 v18, v25, s12, v18
	v_mul_lo_u32 v24, v22, s11
	v_mad_u32 v20, v25, s14, v20
	v_mad_u32 v19, v25, s13, v19
	s_delay_alu instid0(VALU_DEP_3) | instskip(NEXT) | instid1(VALU_DEP_1)
	v_sub_nc_u32_e32 v23, v23, v24
	v_mad_u32 v18, v23, s15, v18
	s_delay_alu instid0(VALU_DEP_4) | instskip(NEXT) | instid1(VALU_DEP_4)
	v_mad_u32 v20, v23, s9, v20
	v_mad_u32 v19, v23, s8, v19
	s_cbranch_scc1 .LBB378_166
; %bb.167:
	s_bitcmp1_b32 s3, 0
	s_cselect_b32 s3, -1, 0
	s_delay_alu instid0(SALU_CYCLE_1)
	s_and_b32 vcc_lo, exec_lo, s3
	s_cbranch_vccnz .LBB378_170
; %bb.168:
	s_clause 0x1
	s_load_b96 s[4:6], s[0:1], 0x1c
	s_load_b96 s[8:10], s[0:1], 0xdc
	s_wait_kmcnt 0x0
	v_mul_hi_u32 v23, s5, v22
	s_delay_alu instid0(VALU_DEP_1) | instskip(NEXT) | instid1(VALU_DEP_1)
	v_add_nc_u32_e32 v23, v22, v23
	v_lshrrev_b32_e32 v23, s6, v23
	s_delay_alu instid0(VALU_DEP_1) | instskip(NEXT) | instid1(VALU_DEP_1)
	v_mul_lo_u32 v23, v23, s4
	v_sub_nc_u32_e32 v22, v22, v23
	s_delay_alu instid0(VALU_DEP_1)
	v_mad_u32 v18, v22, s8, v18
	v_mad_u32 v19, v22, s9, v19
	;; [unrolled: 1-line block ×3, first 2 shown]
	s_and_not1_b32 vcc_lo, exec_lo, s2
	s_cbranch_vccz .LBB378_171
	s_branch .LBB378_174
.LBB378_169:
	s_mov_b32 s2, -1
                                        ; implicit-def: $vgpr20
                                        ; implicit-def: $vgpr19
                                        ; implicit-def: $vgpr18
.LBB378_170:
	s_delay_alu instid0(SALU_CYCLE_1)
	s_and_not1_b32 vcc_lo, exec_lo, s2
	s_cbranch_vccnz .LBB378_174
.LBB378_171:
	s_clause 0x1
	s_load_b96 s[0:2], s[16:17], 0x4
	s_load_b96 s[4:6], s[16:17], 0xc4
	s_cmp_lt_u32 s26, 2
	s_wait_kmcnt 0x0
	v_mul_hi_u32 v18, s1, v21
	s_delay_alu instid0(VALU_DEP_1) | instskip(NEXT) | instid1(VALU_DEP_1)
	v_add_nc_u32_e32 v18, v21, v18
	v_lshrrev_b32_e32 v22, s2, v18
	s_delay_alu instid0(VALU_DEP_1) | instskip(NEXT) | instid1(VALU_DEP_1)
	v_mul_lo_u32 v18, v22, s0
	v_sub_nc_u32_e32 v19, v21, v18
	s_delay_alu instid0(VALU_DEP_1)
	v_mul_lo_u32 v18, v19, s4
	v_mul_lo_u32 v20, v19, s6
	;; [unrolled: 1-line block ×3, first 2 shown]
	s_cbranch_scc1 .LBB378_174
; %bb.172:
	s_clause 0x1
	s_load_b96 s[0:2], s[16:17], 0x10
	s_load_b96 s[4:6], s[16:17], 0xd0
	s_wait_kmcnt 0x0
	v_mul_hi_u32 v21, s1, v22
	s_delay_alu instid0(VALU_DEP_1) | instskip(NEXT) | instid1(VALU_DEP_1)
	v_add_nc_u32_e32 v21, v22, v21
	v_lshrrev_b32_e32 v21, s2, v21
	s_delay_alu instid0(VALU_DEP_1) | instskip(NEXT) | instid1(VALU_DEP_1)
	v_mul_lo_u32 v21, v21, s0
	v_sub_nc_u32_e32 v21, v22, v21
	s_delay_alu instid0(VALU_DEP_1)
	v_mad_u32 v18, v21, s4, v18
	v_mad_u32 v19, v21, s5, v19
	v_mad_u32 v20, v21, s6, v20
	s_branch .LBB378_174
.LBB378_173:
	v_dual_mov_b32 v20, 0 :: v_dual_mov_b32 v19, 0
	v_mov_b32_e32 v18, 0
	s_and_not1_b32 vcc_lo, exec_lo, s2
	s_cbranch_vccz .LBB378_171
.LBB378_174:
	v_cmp_ne_u32_e32 vcc_lo, 1, v8
	v_add_nc_u32_e32 v23, 0x300, v0
	s_cbranch_vccnz .LBB378_180
; %bb.175:
	s_cmp_lg_u32 s26, 0
	s_mov_b32 s2, 0
	s_cbranch_scc0 .LBB378_184
; %bb.176:
	s_min_u32 s3, s27, 15
	v_dual_mov_b32 v0, 0 :: v_dual_mov_b32 v24, v23
	v_dual_mov_b32 v22, 0 :: v_dual_mov_b32 v21, 0
	s_add_co_i32 s4, s3, 1
	s_mov_b64 s[0:1], 0xffffffffffffffe8
	s_and_b32 s4, s4, 30
	s_add_nc_u64 s[0:1], s[16:17], s[0:1]
.LBB378_177:                            ; =>This Inner Loop Header: Depth=1
	s_clause 0x1
	s_load_b128 s[8:11], s[0:1], 0x1c
	s_load_b64 s[6:7], s[0:1], 0x2c
	s_add_co_i32 s4, s4, -2
	s_delay_alu instid0(SALU_CYCLE_1) | instskip(SKIP_2) | instid1(VALU_DEP_1)
	s_cmp_lg_u32 s4, 0
	s_wait_kmcnt 0x0
	v_mul_hi_u32 v25, s9, v24
	v_add_nc_u32_e32 v25, v24, v25
	s_delay_alu instid0(VALU_DEP_1) | instskip(NEXT) | instid1(VALU_DEP_1)
	v_lshrrev_b32_e32 v25, s10, v25
	v_mul_hi_u32 v26, s6, v25
	v_mul_lo_u32 v27, v25, s8
	s_clause 0x1
	s_load_b128 s[12:15], s[0:1], 0xdc
	s_load_b64 s[8:9], s[0:1], 0xec
	s_wait_xcnt 0x0
	s_add_nc_u64 s[0:1], s[0:1], 24
	s_delay_alu instid0(VALU_DEP_1) | instskip(NEXT) | instid1(VALU_DEP_1)
	v_dual_add_nc_u32 v26, v25, v26 :: v_dual_sub_nc_u32 v27, v24, v27
	v_lshrrev_b32_e32 v24, s7, v26
	s_wait_kmcnt 0x0
	s_delay_alu instid0(VALU_DEP_2) | instskip(NEXT) | instid1(VALU_DEP_2)
	v_mad_u32 v0, v27, s12, v0
	v_mul_lo_u32 v26, v24, s11
	v_mad_u32 v21, v27, s14, v21
	v_mad_u32 v22, v27, s13, v22
	s_delay_alu instid0(VALU_DEP_3) | instskip(NEXT) | instid1(VALU_DEP_1)
	v_sub_nc_u32_e32 v25, v25, v26
	v_mad_u32 v0, v25, s15, v0
	s_delay_alu instid0(VALU_DEP_4) | instskip(NEXT) | instid1(VALU_DEP_4)
	v_mad_u32 v21, v25, s9, v21
	v_mad_u32 v22, v25, s8, v22
	s_cbranch_scc1 .LBB378_177
; %bb.178:
	s_bitcmp1_b32 s3, 0
	s_cselect_b32 s3, -1, 0
	s_delay_alu instid0(SALU_CYCLE_1)
	s_and_b32 vcc_lo, exec_lo, s3
	s_cbranch_vccnz .LBB378_181
; %bb.179:
	s_clause 0x1
	s_load_b96 s[4:6], s[0:1], 0x1c
	s_load_b96 s[8:10], s[0:1], 0xdc
	s_wait_kmcnt 0x0
	v_mul_hi_u32 v25, s5, v24
	s_delay_alu instid0(VALU_DEP_1) | instskip(NEXT) | instid1(VALU_DEP_1)
	v_add_nc_u32_e32 v25, v24, v25
	v_lshrrev_b32_e32 v25, s6, v25
	s_delay_alu instid0(VALU_DEP_1) | instskip(NEXT) | instid1(VALU_DEP_1)
	v_mul_lo_u32 v25, v25, s4
	v_sub_nc_u32_e32 v24, v24, v25
	s_delay_alu instid0(VALU_DEP_1)
	v_mad_u32 v0, v24, s8, v0
	v_mad_u32 v22, v24, s9, v22
	;; [unrolled: 1-line block ×3, first 2 shown]
	s_and_not1_b32 vcc_lo, exec_lo, s2
	s_cbranch_vccz .LBB378_182
	s_branch .LBB378_185
.LBB378_180:
	s_mov_b32 s2, -1
                                        ; implicit-def: $vgpr21
                                        ; implicit-def: $vgpr22
                                        ; implicit-def: $vgpr0
.LBB378_181:
	s_delay_alu instid0(SALU_CYCLE_1)
	s_and_not1_b32 vcc_lo, exec_lo, s2
	s_cbranch_vccnz .LBB378_185
.LBB378_182:
	s_clause 0x1
	s_load_b96 s[0:2], s[16:17], 0x4
	s_load_b96 s[4:6], s[16:17], 0xc4
	s_cmp_lt_u32 s26, 2
	s_wait_kmcnt 0x0
	v_mul_hi_u32 v0, s1, v23
	s_delay_alu instid0(VALU_DEP_1) | instskip(NEXT) | instid1(VALU_DEP_1)
	v_add_nc_u32_e32 v0, v23, v0
	v_lshrrev_b32_e32 v24, s2, v0
	s_delay_alu instid0(VALU_DEP_1) | instskip(NEXT) | instid1(VALU_DEP_1)
	v_mul_lo_u32 v0, v24, s0
	v_sub_nc_u32_e32 v22, v23, v0
	s_delay_alu instid0(VALU_DEP_1)
	v_mul_lo_u32 v0, v22, s4
	v_mul_lo_u32 v21, v22, s6
	;; [unrolled: 1-line block ×3, first 2 shown]
	s_cbranch_scc1 .LBB378_185
; %bb.183:
	s_clause 0x1
	s_load_b96 s[0:2], s[16:17], 0x10
	s_load_b96 s[4:6], s[16:17], 0xd0
	s_wait_kmcnt 0x0
	v_mul_hi_u32 v23, s1, v24
	s_delay_alu instid0(VALU_DEP_1) | instskip(NEXT) | instid1(VALU_DEP_1)
	v_add_nc_u32_e32 v23, v24, v23
	v_lshrrev_b32_e32 v23, s2, v23
	s_delay_alu instid0(VALU_DEP_1) | instskip(NEXT) | instid1(VALU_DEP_1)
	v_mul_lo_u32 v23, v23, s0
	v_sub_nc_u32_e32 v23, v24, v23
	s_delay_alu instid0(VALU_DEP_1)
	v_mad_u32 v0, v23, s4, v0
	v_mad_u32 v22, v23, s5, v22
	;; [unrolled: 1-line block ×3, first 2 shown]
	s_branch .LBB378_185
.LBB378_184:
	v_dual_mov_b32 v21, 0 :: v_dual_mov_b32 v22, 0
	v_mov_b32_e32 v0, 0
	s_and_not1_b32 vcc_lo, exec_lo, s2
	s_cbranch_vccz .LBB378_182
.LBB378_185:
	v_cmp_ne_u32_e32 vcc_lo, 1, v8
	s_cbranch_vccnz .LBB378_191
; %bb.186:
	s_cmp_lg_u32 s26, 0
	s_mov_b32 s2, 0
	s_cbranch_scc0 .LBB378_195
; %bb.187:
	s_min_u32 s3, s27, 15
	v_dual_mov_b32 v8, 0 :: v_dual_mov_b32 v25, v4
	v_dual_mov_b32 v24, 0 :: v_dual_mov_b32 v23, 0
	s_add_co_i32 s4, s3, 1
	s_mov_b64 s[0:1], 0xffffffffffffffe8
	s_and_b32 s4, s4, 30
	s_add_nc_u64 s[0:1], s[16:17], s[0:1]
.LBB378_188:                            ; =>This Inner Loop Header: Depth=1
	s_clause 0x1
	s_load_b128 s[8:11], s[0:1], 0x1c
	s_load_b64 s[6:7], s[0:1], 0x2c
	s_add_co_i32 s4, s4, -2
	s_delay_alu instid0(SALU_CYCLE_1) | instskip(SKIP_2) | instid1(VALU_DEP_1)
	s_cmp_lg_u32 s4, 0
	s_wait_kmcnt 0x0
	v_mul_hi_u32 v26, s9, v25
	v_add_nc_u32_e32 v26, v25, v26
	s_delay_alu instid0(VALU_DEP_1) | instskip(NEXT) | instid1(VALU_DEP_1)
	v_lshrrev_b32_e32 v26, s10, v26
	v_mul_hi_u32 v27, s6, v26
	v_mul_lo_u32 v28, v26, s8
	s_clause 0x1
	s_load_b128 s[12:15], s[0:1], 0xdc
	s_load_b64 s[8:9], s[0:1], 0xec
	s_wait_xcnt 0x0
	s_add_nc_u64 s[0:1], s[0:1], 24
	s_delay_alu instid0(VALU_DEP_1) | instskip(NEXT) | instid1(VALU_DEP_1)
	v_dual_add_nc_u32 v27, v26, v27 :: v_dual_sub_nc_u32 v28, v25, v28
	v_lshrrev_b32_e32 v25, s7, v27
	s_wait_kmcnt 0x0
	s_delay_alu instid0(VALU_DEP_2) | instskip(NEXT) | instid1(VALU_DEP_2)
	v_mad_u32 v8, v28, s12, v8
	v_mul_lo_u32 v27, v25, s11
	v_mad_u32 v23, v28, s14, v23
	v_mad_u32 v24, v28, s13, v24
	s_delay_alu instid0(VALU_DEP_3) | instskip(NEXT) | instid1(VALU_DEP_1)
	v_sub_nc_u32_e32 v26, v26, v27
	v_mad_u32 v8, v26, s15, v8
	s_delay_alu instid0(VALU_DEP_4) | instskip(NEXT) | instid1(VALU_DEP_4)
	v_mad_u32 v23, v26, s9, v23
	v_mad_u32 v24, v26, s8, v24
	s_cbranch_scc1 .LBB378_188
; %bb.189:
	s_bitcmp1_b32 s3, 0
	s_cselect_b32 s3, -1, 0
	s_delay_alu instid0(SALU_CYCLE_1)
	s_and_b32 vcc_lo, exec_lo, s3
	s_cbranch_vccnz .LBB378_192
; %bb.190:
	s_clause 0x1
	s_load_b96 s[4:6], s[0:1], 0x1c
	s_load_b96 s[8:10], s[0:1], 0xdc
	s_wait_kmcnt 0x0
	v_mul_hi_u32 v26, s5, v25
	s_delay_alu instid0(VALU_DEP_1) | instskip(NEXT) | instid1(VALU_DEP_1)
	v_add_nc_u32_e32 v26, v25, v26
	v_lshrrev_b32_e32 v26, s6, v26
	s_delay_alu instid0(VALU_DEP_1) | instskip(NEXT) | instid1(VALU_DEP_1)
	v_mul_lo_u32 v26, v26, s4
	v_sub_nc_u32_e32 v25, v25, v26
	s_delay_alu instid0(VALU_DEP_1)
	v_mad_u32 v8, v25, s8, v8
	v_mad_u32 v24, v25, s9, v24
	;; [unrolled: 1-line block ×3, first 2 shown]
	s_and_not1_b32 vcc_lo, exec_lo, s2
	s_cbranch_vccz .LBB378_193
	s_branch .LBB378_196
.LBB378_191:
	s_mov_b32 s2, -1
                                        ; implicit-def: $vgpr23
                                        ; implicit-def: $vgpr24
                                        ; implicit-def: $vgpr8
.LBB378_192:
	s_delay_alu instid0(SALU_CYCLE_1)
	s_and_not1_b32 vcc_lo, exec_lo, s2
	s_cbranch_vccnz .LBB378_196
.LBB378_193:
	s_clause 0x1
	s_load_b96 s[0:2], s[16:17], 0x4
	s_load_b96 s[4:6], s[16:17], 0xc4
	s_cmp_lt_u32 s26, 2
	s_wait_kmcnt 0x0
	v_mul_hi_u32 v8, s1, v4
	s_delay_alu instid0(VALU_DEP_1) | instskip(NEXT) | instid1(VALU_DEP_1)
	v_add_nc_u32_e32 v8, v4, v8
	v_lshrrev_b32_e32 v25, s2, v8
	s_delay_alu instid0(VALU_DEP_1) | instskip(NEXT) | instid1(VALU_DEP_1)
	v_mul_lo_u32 v8, v25, s0
	v_sub_nc_u32_e32 v4, v4, v8
	s_delay_alu instid0(VALU_DEP_1)
	v_mul_lo_u32 v8, v4, s4
	v_mul_lo_u32 v23, v4, s6
	;; [unrolled: 1-line block ×3, first 2 shown]
	s_cbranch_scc1 .LBB378_196
; %bb.194:
	s_clause 0x1
	s_load_b96 s[0:2], s[16:17], 0x10
	s_load_b96 s[4:6], s[16:17], 0xd0
	s_wait_kmcnt 0x0
	v_mul_hi_u32 v4, s1, v25
	s_delay_alu instid0(VALU_DEP_1) | instskip(NEXT) | instid1(VALU_DEP_1)
	v_add_nc_u32_e32 v4, v25, v4
	v_lshrrev_b32_e32 v4, s2, v4
	s_delay_alu instid0(VALU_DEP_1) | instskip(NEXT) | instid1(VALU_DEP_1)
	v_mul_lo_u32 v4, v4, s0
	v_sub_nc_u32_e32 v4, v25, v4
	s_delay_alu instid0(VALU_DEP_1)
	v_mad_u32 v8, v4, s4, v8
	v_mad_u32 v24, v4, s5, v24
	v_mad_u32 v23, v4, s6, v23
	s_branch .LBB378_196
.LBB378_195:
	v_dual_mov_b32 v23, 0 :: v_dual_mov_b32 v24, 0
	v_mov_b32_e32 v8, 0
	s_and_not1_b32 vcc_lo, exec_lo, s2
	s_cbranch_vccz .LBB378_193
.LBB378_196:
	s_clause 0x1
	s_load_b128 s[8:11], s[16:17], 0x188
	s_load_b96 s[0:2], s[16:17], 0x198
	s_wait_kmcnt 0x0
	global_load_u8 v4, v3, s[10:11]
	global_load_u8 v25, v2, s[0:1]
	;; [unrolled: 1-line block ×15, first 2 shown]
                                        ; kill: killed $vgpr17
                                        ; kill: killed $vgpr11
                                        ; kill: killed $vgpr22
                                        ; kill: killed $vgpr7
                                        ; kill: killed $vgpr20
                                        ; kill: killed $vgpr14
                                        ; kill: killed $vgpr24
                                        ; kill: killed $vgpr10
                                        ; kill: killed $vgpr3
                                        ; kill: killed $vgpr21
                                        ; kill: killed $vgpr16
                                        ; kill: killed $vgpr13
                                        ; kill: killed $vgpr6
                                        ; kill: killed $sgpr10_sgpr11
                                        ; kill: killed $vgpr19
                                        ; kill: killed $vgpr2
	global_load_u8 v2, v23, s[0:1]
	s_cmp_eq_u32 s2, 0
	s_cselect_b32 s7, -1, 0
	s_wait_loadcnt 0xe
	v_cmp_ne_u16_e32 vcc_lo, v4, v25
	s_wait_loadcnt 0xc
	s_wait_xcnt 0x0
	v_cmp_ne_u16_e64 s0, v26, v27
	s_wait_loadcnt 0xa
	v_cmp_ne_u16_e64 s1, v28, v29
	s_xor_b32 s10, s7, vcc_lo
	s_wait_loadcnt 0x8
	v_cmp_ne_u16_e64 s2, v30, v31
	s_xor_b32 s0, s7, s0
	s_wait_loadcnt 0x6
	v_cmp_ne_u16_e64 s3, v32, v33
	v_cndmask_b32_e64 v3, 0, 1, s0
	s_xor_b32 s0, s7, s1
	s_wait_loadcnt 0x4
	v_cmp_ne_u16_e64 s4, v34, v35
	v_cndmask_b32_e64 v4, 0, 1, s0
	;; [unrolled: 4-line block ×3, first 2 shown]
	s_xor_b32 s0, s7, s3
	s_delay_alu instid0(SALU_CYCLE_1) | instskip(SKIP_1) | instid1(SALU_CYCLE_1)
	v_cndmask_b32_e64 v7, 0, 1, s0
	s_xor_b32 s0, s7, s4
	v_cndmask_b32_e64 v10, 0, 1, s0
	s_xor_b32 s0, s7, s5
	s_delay_alu instid0(SALU_CYCLE_1) | instskip(SKIP_4) | instid1(SALU_CYCLE_1)
	v_cndmask_b32_e64 v11, 0, 1, s0
	s_wait_loadcnt 0x0
	v_cmp_ne_u16_e64 s6, v38, v2
	v_cndmask_b32_e64 v2, 0, 1, s10
	s_xor_b32 s0, s7, s6
	v_cndmask_b32_e64 v13, 0, 1, s0
	s_clause 0x7
	global_store_b8 v1, v2, s[8:9]
	global_store_b8 v5, v3, s[8:9]
	;; [unrolled: 1-line block ×8, first 2 shown]
	s_endpgm
	.section	.rodata,"a",@progbits
	.p2align	6, 0x0
	.amdhsa_kernel _ZN2at6native32elementwise_kernel_manual_unrollILi128ELi8EZNS0_22gpu_kernel_impl_nocastINS0_13BinaryFunctorIN3c1016Float4_e2m1fn_x2ES5_bNS0_12_GLOBAL__N_116CompareEqFunctorIS5_EEEEEEvRNS_18TensorIteratorBaseERKT_EUlibE_EEviT1_
		.amdhsa_group_segment_fixed_size 0
		.amdhsa_private_segment_fixed_size 0
		.amdhsa_kernarg_size 432
		.amdhsa_user_sgpr_count 2
		.amdhsa_user_sgpr_dispatch_ptr 0
		.amdhsa_user_sgpr_queue_ptr 0
		.amdhsa_user_sgpr_kernarg_segment_ptr 1
		.amdhsa_user_sgpr_dispatch_id 0
		.amdhsa_user_sgpr_kernarg_preload_length 0
		.amdhsa_user_sgpr_kernarg_preload_offset 0
		.amdhsa_user_sgpr_private_segment_size 0
		.amdhsa_wavefront_size32 1
		.amdhsa_uses_dynamic_stack 0
		.amdhsa_enable_private_segment 0
		.amdhsa_system_sgpr_workgroup_id_x 1
		.amdhsa_system_sgpr_workgroup_id_y 0
		.amdhsa_system_sgpr_workgroup_id_z 0
		.amdhsa_system_sgpr_workgroup_info 0
		.amdhsa_system_vgpr_workitem_id 0
		.amdhsa_next_free_vgpr 39
		.amdhsa_next_free_sgpr 46
		.amdhsa_named_barrier_count 0
		.amdhsa_reserve_vcc 1
		.amdhsa_float_round_mode_32 0
		.amdhsa_float_round_mode_16_64 0
		.amdhsa_float_denorm_mode_32 3
		.amdhsa_float_denorm_mode_16_64 3
		.amdhsa_fp16_overflow 0
		.amdhsa_memory_ordered 1
		.amdhsa_forward_progress 1
		.amdhsa_inst_pref_size 84
		.amdhsa_round_robin_scheduling 0
		.amdhsa_exception_fp_ieee_invalid_op 0
		.amdhsa_exception_fp_denorm_src 0
		.amdhsa_exception_fp_ieee_div_zero 0
		.amdhsa_exception_fp_ieee_overflow 0
		.amdhsa_exception_fp_ieee_underflow 0
		.amdhsa_exception_fp_ieee_inexact 0
		.amdhsa_exception_int_div_zero 0
	.end_amdhsa_kernel
	.section	.text._ZN2at6native32elementwise_kernel_manual_unrollILi128ELi8EZNS0_22gpu_kernel_impl_nocastINS0_13BinaryFunctorIN3c1016Float4_e2m1fn_x2ES5_bNS0_12_GLOBAL__N_116CompareEqFunctorIS5_EEEEEEvRNS_18TensorIteratorBaseERKT_EUlibE_EEviT1_,"axG",@progbits,_ZN2at6native32elementwise_kernel_manual_unrollILi128ELi8EZNS0_22gpu_kernel_impl_nocastINS0_13BinaryFunctorIN3c1016Float4_e2m1fn_x2ES5_bNS0_12_GLOBAL__N_116CompareEqFunctorIS5_EEEEEEvRNS_18TensorIteratorBaseERKT_EUlibE_EEviT1_,comdat
.Lfunc_end378:
	.size	_ZN2at6native32elementwise_kernel_manual_unrollILi128ELi8EZNS0_22gpu_kernel_impl_nocastINS0_13BinaryFunctorIN3c1016Float4_e2m1fn_x2ES5_bNS0_12_GLOBAL__N_116CompareEqFunctorIS5_EEEEEEvRNS_18TensorIteratorBaseERKT_EUlibE_EEviT1_, .Lfunc_end378-_ZN2at6native32elementwise_kernel_manual_unrollILi128ELi8EZNS0_22gpu_kernel_impl_nocastINS0_13BinaryFunctorIN3c1016Float4_e2m1fn_x2ES5_bNS0_12_GLOBAL__N_116CompareEqFunctorIS5_EEEEEEvRNS_18TensorIteratorBaseERKT_EUlibE_EEviT1_
                                        ; -- End function
	.set _ZN2at6native32elementwise_kernel_manual_unrollILi128ELi8EZNS0_22gpu_kernel_impl_nocastINS0_13BinaryFunctorIN3c1016Float4_e2m1fn_x2ES5_bNS0_12_GLOBAL__N_116CompareEqFunctorIS5_EEEEEEvRNS_18TensorIteratorBaseERKT_EUlibE_EEviT1_.num_vgpr, 39
	.set _ZN2at6native32elementwise_kernel_manual_unrollILi128ELi8EZNS0_22gpu_kernel_impl_nocastINS0_13BinaryFunctorIN3c1016Float4_e2m1fn_x2ES5_bNS0_12_GLOBAL__N_116CompareEqFunctorIS5_EEEEEEvRNS_18TensorIteratorBaseERKT_EUlibE_EEviT1_.num_agpr, 0
	.set _ZN2at6native32elementwise_kernel_manual_unrollILi128ELi8EZNS0_22gpu_kernel_impl_nocastINS0_13BinaryFunctorIN3c1016Float4_e2m1fn_x2ES5_bNS0_12_GLOBAL__N_116CompareEqFunctorIS5_EEEEEEvRNS_18TensorIteratorBaseERKT_EUlibE_EEviT1_.numbered_sgpr, 46
	.set _ZN2at6native32elementwise_kernel_manual_unrollILi128ELi8EZNS0_22gpu_kernel_impl_nocastINS0_13BinaryFunctorIN3c1016Float4_e2m1fn_x2ES5_bNS0_12_GLOBAL__N_116CompareEqFunctorIS5_EEEEEEvRNS_18TensorIteratorBaseERKT_EUlibE_EEviT1_.num_named_barrier, 0
	.set _ZN2at6native32elementwise_kernel_manual_unrollILi128ELi8EZNS0_22gpu_kernel_impl_nocastINS0_13BinaryFunctorIN3c1016Float4_e2m1fn_x2ES5_bNS0_12_GLOBAL__N_116CompareEqFunctorIS5_EEEEEEvRNS_18TensorIteratorBaseERKT_EUlibE_EEviT1_.private_seg_size, 0
	.set _ZN2at6native32elementwise_kernel_manual_unrollILi128ELi8EZNS0_22gpu_kernel_impl_nocastINS0_13BinaryFunctorIN3c1016Float4_e2m1fn_x2ES5_bNS0_12_GLOBAL__N_116CompareEqFunctorIS5_EEEEEEvRNS_18TensorIteratorBaseERKT_EUlibE_EEviT1_.uses_vcc, 1
	.set _ZN2at6native32elementwise_kernel_manual_unrollILi128ELi8EZNS0_22gpu_kernel_impl_nocastINS0_13BinaryFunctorIN3c1016Float4_e2m1fn_x2ES5_bNS0_12_GLOBAL__N_116CompareEqFunctorIS5_EEEEEEvRNS_18TensorIteratorBaseERKT_EUlibE_EEviT1_.uses_flat_scratch, 0
	.set _ZN2at6native32elementwise_kernel_manual_unrollILi128ELi8EZNS0_22gpu_kernel_impl_nocastINS0_13BinaryFunctorIN3c1016Float4_e2m1fn_x2ES5_bNS0_12_GLOBAL__N_116CompareEqFunctorIS5_EEEEEEvRNS_18TensorIteratorBaseERKT_EUlibE_EEviT1_.has_dyn_sized_stack, 0
	.set _ZN2at6native32elementwise_kernel_manual_unrollILi128ELi8EZNS0_22gpu_kernel_impl_nocastINS0_13BinaryFunctorIN3c1016Float4_e2m1fn_x2ES5_bNS0_12_GLOBAL__N_116CompareEqFunctorIS5_EEEEEEvRNS_18TensorIteratorBaseERKT_EUlibE_EEviT1_.has_recursion, 0
	.set _ZN2at6native32elementwise_kernel_manual_unrollILi128ELi8EZNS0_22gpu_kernel_impl_nocastINS0_13BinaryFunctorIN3c1016Float4_e2m1fn_x2ES5_bNS0_12_GLOBAL__N_116CompareEqFunctorIS5_EEEEEEvRNS_18TensorIteratorBaseERKT_EUlibE_EEviT1_.has_indirect_call, 0
	.section	.AMDGPU.csdata,"",@progbits
; Kernel info:
; codeLenInByte = 10744
; TotalNumSgprs: 48
; NumVgprs: 39
; ScratchSize: 0
; MemoryBound: 0
; FloatMode: 240
; IeeeMode: 1
; LDSByteSize: 0 bytes/workgroup (compile time only)
; SGPRBlocks: 0
; VGPRBlocks: 2
; NumSGPRsForWavesPerEU: 48
; NumVGPRsForWavesPerEU: 39
; NamedBarCnt: 0
; Occupancy: 16
; WaveLimiterHint : 1
; COMPUTE_PGM_RSRC2:SCRATCH_EN: 0
; COMPUTE_PGM_RSRC2:USER_SGPR: 2
; COMPUTE_PGM_RSRC2:TRAP_HANDLER: 0
; COMPUTE_PGM_RSRC2:TGID_X_EN: 1
; COMPUTE_PGM_RSRC2:TGID_Y_EN: 0
; COMPUTE_PGM_RSRC2:TGID_Z_EN: 0
; COMPUTE_PGM_RSRC2:TIDIG_COMP_CNT: 0
	.section	.text._ZN2at6native32elementwise_kernel_manual_unrollILi128ELi4EZNS0_15gpu_kernel_implINS0_13BinaryFunctorIN3c1016Float4_e2m1fn_x2ES5_bNS0_12_GLOBAL__N_116CompareEqFunctorIS5_EEEEEEvRNS_18TensorIteratorBaseERKT_EUlibE_EEviT1_,"axG",@progbits,_ZN2at6native32elementwise_kernel_manual_unrollILi128ELi4EZNS0_15gpu_kernel_implINS0_13BinaryFunctorIN3c1016Float4_e2m1fn_x2ES5_bNS0_12_GLOBAL__N_116CompareEqFunctorIS5_EEEEEEvRNS_18TensorIteratorBaseERKT_EUlibE_EEviT1_,comdat
	.globl	_ZN2at6native32elementwise_kernel_manual_unrollILi128ELi4EZNS0_15gpu_kernel_implINS0_13BinaryFunctorIN3c1016Float4_e2m1fn_x2ES5_bNS0_12_GLOBAL__N_116CompareEqFunctorIS5_EEEEEEvRNS_18TensorIteratorBaseERKT_EUlibE_EEviT1_ ; -- Begin function _ZN2at6native32elementwise_kernel_manual_unrollILi128ELi4EZNS0_15gpu_kernel_implINS0_13BinaryFunctorIN3c1016Float4_e2m1fn_x2ES5_bNS0_12_GLOBAL__N_116CompareEqFunctorIS5_EEEEEEvRNS_18TensorIteratorBaseERKT_EUlibE_EEviT1_
	.p2align	8
	.type	_ZN2at6native32elementwise_kernel_manual_unrollILi128ELi4EZNS0_15gpu_kernel_implINS0_13BinaryFunctorIN3c1016Float4_e2m1fn_x2ES5_bNS0_12_GLOBAL__N_116CompareEqFunctorIS5_EEEEEEvRNS_18TensorIteratorBaseERKT_EUlibE_EEviT1_,@function
_ZN2at6native32elementwise_kernel_manual_unrollILi128ELi4EZNS0_15gpu_kernel_implINS0_13BinaryFunctorIN3c1016Float4_e2m1fn_x2ES5_bNS0_12_GLOBAL__N_116CompareEqFunctorIS5_EEEEEEvRNS_18TensorIteratorBaseERKT_EUlibE_EEviT1_: ; @_ZN2at6native32elementwise_kernel_manual_unrollILi128ELi4EZNS0_15gpu_kernel_implINS0_13BinaryFunctorIN3c1016Float4_e2m1fn_x2ES5_bNS0_12_GLOBAL__N_116CompareEqFunctorIS5_EEEEEEvRNS_18TensorIteratorBaseERKT_EUlibE_EEviT1_
; %bb.0:
	s_load_b32 s12, s[0:1], 0x30
	s_bfe_u32 s2, ttmp6, 0x4000c
	s_clause 0x1
	s_load_b32 s17, s[0:1], 0x0
	s_load_b128 s[4:7], s[0:1], 0x8
	s_add_co_i32 s14, s2, 1
	s_clause 0x1
	s_load_b64 s[2:3], s[0:1], 0x18
	s_load_b128 s[8:11], s[0:1], 0x20
	s_and_b32 s13, ttmp6, 15
	s_wait_xcnt 0x0
	s_mul_i32 s0, ttmp9, s14
	s_getreg_b32 s15, hwreg(HW_REG_IB_STS2, 6, 4)
	s_add_co_i32 s13, s13, s0
	s_mov_b32 s16, 0
	s_wait_kmcnt 0x0
	s_lshr_b32 s14, s12, 8
	s_lshr_b32 s1, s12, 16
	s_cmp_eq_u32 s15, 0
	s_cselect_b32 s0, ttmp9, s13
	s_mov_b32 s13, 0
	v_lshl_or_b32 v18, s0, 9, v0
	s_mov_b32 s0, exec_lo
	s_delay_alu instid0(VALU_DEP_1) | instskip(NEXT) | instid1(VALU_DEP_1)
	v_or_b32_e32 v0, 0x180, v18
	v_cmpx_le_i32_e64 s17, v0
	s_xor_b32 s15, exec_lo, s0
	s_cbranch_execz .LBB379_1515
; %bb.1:
	s_cmp_eq_u32 s11, 0
	s_mov_b32 s22, 0
	s_cselect_b32 s16, -1, 0
	s_mov_b32 s25, -1
	s_mov_b32 s20, 0
	s_mov_b32 s19, 0
	;; [unrolled: 1-line block ×3, first 2 shown]
	s_mov_b32 s21, exec_lo
	v_cmpx_gt_i32_e64 s17, v18
	s_cbranch_execz .LBB379_374
; %bb.2:
	v_mul_lo_u32 v0, v18, s9
	s_and_b32 s0, s14, 0xff
	s_delay_alu instid0(SALU_CYCLE_1) | instskip(NEXT) | instid1(VALU_DEP_1)
	s_cmp_lt_i32 s0, 11
	v_ashrrev_i32_e32 v1, 31, v0
	s_delay_alu instid0(VALU_DEP_1)
	v_add_nc_u64_e32 v[2:3], s[6:7], v[0:1]
	s_cbranch_scc1 .LBB379_9
; %bb.3:
	s_and_b32 s18, 0xffff, s0
	s_delay_alu instid0(SALU_CYCLE_1)
	s_cmp_gt_i32 s18, 25
	s_cbranch_scc0 .LBB379_18
; %bb.4:
	s_cmp_gt_i32 s18, 28
	s_cbranch_scc0 .LBB379_28
; %bb.5:
	;; [unrolled: 3-line block ×4, first 2 shown]
	s_cmp_eq_u32 s18, 46
	s_mov_b32 s23, 0
	s_cbranch_scc0 .LBB379_37
; %bb.8:
	global_load_b32 v0, v[2:3], off
	s_mov_b32 s19, -1
	s_wait_loadcnt 0x0
	v_lshlrev_b32_e32 v0, 16, v0
	s_delay_alu instid0(VALU_DEP_1)
	v_cvt_i32_f32_e32 v0, v0
	s_branch .LBB379_39
.LBB379_9:
                                        ; implicit-def: $vgpr0
	s_cbranch_execnz .LBB379_101
.LBB379_10:
	s_and_not1_b32 vcc_lo, exec_lo, s19
	s_cbranch_vccnz .LBB379_148
.LBB379_11:
	s_wait_xcnt 0x0
	v_mul_lo_u32 v2, v18, s10
	s_and_b32 s0, s1, 0xff
	s_delay_alu instid0(SALU_CYCLE_1) | instskip(NEXT) | instid1(VALU_DEP_1)
	s_cmp_lt_i32 s0, 11
	v_ashrrev_i32_e32 v3, 31, v2
	s_delay_alu instid0(VALU_DEP_1)
	v_add_nc_u64_e32 v[2:3], s[2:3], v[2:3]
	s_cbranch_scc1 .LBB379_19
; %bb.12:
	s_and_b32 s18, 0xffff, s0
	s_delay_alu instid0(SALU_CYCLE_1)
	s_cmp_gt_i32 s18, 25
	s_cbranch_scc0 .LBB379_29
; %bb.13:
	s_cmp_gt_i32 s18, 28
	s_cbranch_scc0 .LBB379_32
; %bb.14:
	;; [unrolled: 3-line block ×4, first 2 shown]
	s_cmp_eq_u32 s18, 46
	s_mov_b32 s24, 0
	s_cbranch_scc0 .LBB379_149
; %bb.17:
	s_wait_loadcnt 0x0
	global_load_b32 v1, v[2:3], off
	s_mov_b32 s23, -1
	s_mov_b32 s19, 0
	s_wait_loadcnt 0x0
	v_lshlrev_b32_e32 v1, 16, v1
	s_delay_alu instid0(VALU_DEP_1)
	v_cvt_i32_f32_e32 v4, v1
	s_branch .LBB379_151
.LBB379_18:
                                        ; implicit-def: $vgpr0
	s_cbranch_execnz .LBB379_68
	s_branch .LBB379_100
.LBB379_19:
	s_mov_b32 s19, 0
	s_mov_b32 s23, 0
                                        ; implicit-def: $vgpr4
	s_cbranch_execnz .LBB379_323
.LBB379_20:
	s_and_not1_b32 vcc_lo, exec_lo, s23
	s_cbranch_vccnz .LBB379_371
.LBB379_21:
	s_wait_xcnt 0x0
	v_mul_lo_u32 v2, v18, s8
	s_wait_loadcnt 0x0
	s_delay_alu instid0(VALU_DEP_2) | instskip(SKIP_2) | instid1(VALU_DEP_1)
	v_and_b32_e32 v1, 0xff, v4
	v_and_b32_e32 v0, 0xff, v0
	s_and_b32 s23, s12, 0xff
	v_cmp_ne_u16_e32 vcc_lo, v0, v1
	s_delay_alu instid0(VALU_DEP_4) | instskip(SKIP_2) | instid1(VALU_DEP_1)
	v_ashrrev_i32_e32 v3, 31, v2
	s_xor_b32 s18, s16, vcc_lo
	s_cmp_lt_i32 s23, 11
	v_add_nc_u64_e32 v[0:1], s[4:5], v[2:3]
	s_cbranch_scc1 .LBB379_30
; %bb.22:
	s_and_b32 s24, 0xffff, s23
	s_delay_alu instid0(SALU_CYCLE_1)
	s_cmp_gt_i32 s24, 25
	s_cbranch_scc0 .LBB379_33
; %bb.23:
	s_cmp_gt_i32 s24, 28
	s_cbranch_scc0 .LBB379_36
; %bb.24:
	;; [unrolled: 3-line block ×4, first 2 shown]
	s_mov_b32 s26, 0
	s_mov_b32 s0, -1
	s_cmp_eq_u32 s24, 46
	s_mov_b32 s25, 0
	s_cbranch_scc0 .LBB379_155
; %bb.27:
	v_cndmask_b32_e64 v2, 0, 1.0, s18
	s_mov_b32 s25, -1
	s_mov_b32 s0, 0
	s_delay_alu instid0(VALU_DEP_1) | instskip(NEXT) | instid1(VALU_DEP_1)
	v_bfe_u32 v3, v2, 16, 1
	v_add3_u32 v2, v2, v3, 0x7fff
	s_delay_alu instid0(VALU_DEP_1)
	v_lshrrev_b32_e32 v2, 16, v2
	global_store_b32 v[0:1], v2, off
	s_branch .LBB379_155
.LBB379_28:
	s_mov_b32 s23, -1
                                        ; implicit-def: $vgpr0
	s_branch .LBB379_51
.LBB379_29:
	s_mov_b32 s24, -1
	s_mov_b32 s19, 0
	s_mov_b32 s23, 0
                                        ; implicit-def: $vgpr4
	s_branch .LBB379_289
.LBB379_30:
	s_mov_b32 s24, -1
	s_mov_b32 s0, 0
	s_mov_b32 s25, 0
	s_branch .LBB379_224
.LBB379_31:
	s_mov_b32 s23, -1
                                        ; implicit-def: $vgpr0
	s_branch .LBB379_46
.LBB379_32:
	s_mov_b32 s24, -1
	s_mov_b32 s19, 0
	s_mov_b32 s23, 0
                                        ; implicit-def: $vgpr4
	s_branch .LBB379_272
.LBB379_33:
	s_mov_b32 s26, -1
	s_mov_b32 s0, 0
	s_mov_b32 s25, 0
	s_branch .LBB379_182
.LBB379_34:
	s_mov_b32 s23, -1
	s_branch .LBB379_38
.LBB379_35:
	s_mov_b32 s24, -1
	s_mov_b32 s19, 0
	s_mov_b32 s23, 0
                                        ; implicit-def: $vgpr4
	s_branch .LBB379_267
.LBB379_36:
	s_mov_b32 s26, -1
	s_mov_b32 s0, 0
	s_mov_b32 s25, 0
	s_branch .LBB379_165
.LBB379_37:
	s_mov_b32 s20, -1
.LBB379_38:
                                        ; implicit-def: $vgpr0
.LBB379_39:
	s_and_b32 vcc_lo, exec_lo, s23
	s_cbranch_vccz .LBB379_45
; %bb.40:
	s_cmp_eq_u32 s18, 44
	s_cbranch_scc0 .LBB379_44
; %bb.41:
	global_load_u8 v0, v[2:3], off
	s_mov_b32 s20, 0
	s_mov_b32 s19, -1
	s_wait_loadcnt 0x0
	v_lshlrev_b32_e32 v1, 23, v0
	v_cmp_ne_u32_e32 vcc_lo, 0, v0
	s_delay_alu instid0(VALU_DEP_2) | instskip(NEXT) | instid1(VALU_DEP_1)
	v_cvt_i32_f32_e32 v1, v1
	v_cndmask_b32_e32 v0, 0, v1, vcc_lo
	s_branch .LBB379_45
.LBB379_42:
	s_mov_b32 s24, -1
	s_mov_b32 s19, 0
	s_branch .LBB379_150
.LBB379_43:
	s_mov_b32 s26, -1
	s_mov_b32 s0, 0
	s_mov_b32 s25, 0
	s_branch .LBB379_161
.LBB379_44:
	s_mov_b32 s20, -1
                                        ; implicit-def: $vgpr0
.LBB379_45:
	s_mov_b32 s23, 0
.LBB379_46:
	s_delay_alu instid0(SALU_CYCLE_1)
	s_and_b32 vcc_lo, exec_lo, s23
	s_cbranch_vccz .LBB379_50
; %bb.47:
	s_cmp_eq_u32 s18, 29
	s_cbranch_scc0 .LBB379_49
; %bb.48:
	global_load_b64 v[0:1], v[2:3], off
	s_mov_b32 s19, -1
	s_mov_b32 s20, 0
	s_branch .LBB379_50
.LBB379_49:
	s_mov_b32 s20, -1
                                        ; implicit-def: $vgpr0
.LBB379_50:
	s_mov_b32 s23, 0
.LBB379_51:
	s_delay_alu instid0(SALU_CYCLE_1)
	s_and_b32 vcc_lo, exec_lo, s23
	s_cbranch_vccz .LBB379_67
; %bb.52:
	s_cmp_lt_i32 s18, 27
	s_cbranch_scc1 .LBB379_55
; %bb.53:
	s_cmp_gt_i32 s18, 27
	s_cbranch_scc0 .LBB379_56
; %bb.54:
	s_wait_loadcnt 0x0
	global_load_b32 v0, v[2:3], off
	s_mov_b32 s19, 0
	s_branch .LBB379_57
.LBB379_55:
	s_mov_b32 s19, -1
                                        ; implicit-def: $vgpr0
	s_branch .LBB379_60
.LBB379_56:
	s_mov_b32 s19, -1
                                        ; implicit-def: $vgpr0
.LBB379_57:
	s_delay_alu instid0(SALU_CYCLE_1)
	s_and_not1_b32 vcc_lo, exec_lo, s19
	s_cbranch_vccnz .LBB379_59
; %bb.58:
	s_wait_loadcnt 0x0
	global_load_u16 v0, v[2:3], off
.LBB379_59:
	s_mov_b32 s19, 0
.LBB379_60:
	s_delay_alu instid0(SALU_CYCLE_1)
	s_and_not1_b32 vcc_lo, exec_lo, s19
	s_cbranch_vccnz .LBB379_66
; %bb.61:
	s_wait_loadcnt 0x0
	global_load_u8 v1, v[2:3], off
	s_mov_b32 s23, 0
	s_mov_b32 s19, exec_lo
	s_wait_loadcnt 0x0
	v_cmpx_lt_i16_e32 0x7f, v1
	s_xor_b32 s19, exec_lo, s19
	s_cbranch_execz .LBB379_77
; %bb.62:
	v_cmp_ne_u16_e32 vcc_lo, 0x80, v1
	s_and_b32 s23, vcc_lo, exec_lo
	s_and_not1_saveexec_b32 s19, s19
	s_cbranch_execnz .LBB379_78
.LBB379_63:
	s_or_b32 exec_lo, exec_lo, s19
	v_mov_b32_e32 v0, 0
	s_and_saveexec_b32 s19, s23
	s_cbranch_execz .LBB379_65
.LBB379_64:
	v_and_b32_e32 v0, 0xffff, v1
	s_delay_alu instid0(VALU_DEP_1) | instskip(SKIP_1) | instid1(VALU_DEP_2)
	v_and_b32_e32 v4, 7, v0
	v_bfe_u32 v7, v0, 3, 4
	v_clz_i32_u32_e32 v5, v4
	s_delay_alu instid0(VALU_DEP_2) | instskip(NEXT) | instid1(VALU_DEP_2)
	v_cmp_eq_u32_e32 vcc_lo, 0, v7
	v_min_u32_e32 v5, 32, v5
	s_delay_alu instid0(VALU_DEP_1) | instskip(NEXT) | instid1(VALU_DEP_1)
	v_subrev_nc_u32_e32 v6, 28, v5
	v_dual_lshlrev_b32 v0, v6, v0 :: v_dual_sub_nc_u32 v5, 29, v5
	s_delay_alu instid0(VALU_DEP_1) | instskip(NEXT) | instid1(VALU_DEP_1)
	v_dual_lshlrev_b32 v1, 24, v1 :: v_dual_bitop2_b32 v0, 7, v0 bitop3:0x40
	v_dual_cndmask_b32 v0, v4, v0 :: v_dual_cndmask_b32 v5, v7, v5
	s_delay_alu instid0(VALU_DEP_2) | instskip(NEXT) | instid1(VALU_DEP_2)
	v_and_b32_e32 v1, 0x80000000, v1
	v_lshlrev_b32_e32 v0, 20, v0
	s_delay_alu instid0(VALU_DEP_3) | instskip(NEXT) | instid1(VALU_DEP_1)
	v_lshl_add_u32 v4, v5, 23, 0x3b800000
	v_or3_b32 v0, v1, v4, v0
	s_delay_alu instid0(VALU_DEP_1)
	v_cvt_i32_f32_e32 v0, v0
.LBB379_65:
	s_or_b32 exec_lo, exec_lo, s19
.LBB379_66:
	s_mov_b32 s19, -1
.LBB379_67:
	s_branch .LBB379_100
.LBB379_68:
	s_cmp_gt_i32 s18, 22
	s_cbranch_scc0 .LBB379_76
; %bb.69:
	s_cmp_lt_i32 s18, 24
	s_cbranch_scc1 .LBB379_79
; %bb.70:
	s_cmp_gt_i32 s18, 24
	s_cbranch_scc0 .LBB379_80
; %bb.71:
	s_wait_loadcnt 0x0
	global_load_u8 v1, v[2:3], off
	s_mov_b32 s23, 0
	s_mov_b32 s19, exec_lo
	s_wait_loadcnt 0x0
	v_cmpx_lt_i16_e32 0x7f, v1
	s_xor_b32 s19, exec_lo, s19
	s_cbranch_execz .LBB379_92
; %bb.72:
	v_cmp_ne_u16_e32 vcc_lo, 0x80, v1
	s_and_b32 s23, vcc_lo, exec_lo
	s_and_not1_saveexec_b32 s19, s19
	s_cbranch_execnz .LBB379_93
.LBB379_73:
	s_or_b32 exec_lo, exec_lo, s19
	v_mov_b32_e32 v0, 0
	s_and_saveexec_b32 s19, s23
	s_cbranch_execz .LBB379_75
.LBB379_74:
	v_and_b32_e32 v0, 0xffff, v1
	s_delay_alu instid0(VALU_DEP_1) | instskip(SKIP_1) | instid1(VALU_DEP_2)
	v_and_b32_e32 v4, 3, v0
	v_bfe_u32 v7, v0, 2, 5
	v_clz_i32_u32_e32 v5, v4
	s_delay_alu instid0(VALU_DEP_2) | instskip(NEXT) | instid1(VALU_DEP_2)
	v_cmp_eq_u32_e32 vcc_lo, 0, v7
	v_min_u32_e32 v5, 32, v5
	s_delay_alu instid0(VALU_DEP_1) | instskip(NEXT) | instid1(VALU_DEP_1)
	v_subrev_nc_u32_e32 v6, 29, v5
	v_dual_lshlrev_b32 v0, v6, v0 :: v_dual_sub_nc_u32 v5, 30, v5
	s_delay_alu instid0(VALU_DEP_1) | instskip(NEXT) | instid1(VALU_DEP_1)
	v_dual_lshlrev_b32 v1, 24, v1 :: v_dual_bitop2_b32 v0, 3, v0 bitop3:0x40
	v_dual_cndmask_b32 v0, v4, v0 :: v_dual_cndmask_b32 v5, v7, v5
	s_delay_alu instid0(VALU_DEP_2) | instskip(NEXT) | instid1(VALU_DEP_2)
	v_and_b32_e32 v1, 0x80000000, v1
	v_lshlrev_b32_e32 v0, 21, v0
	s_delay_alu instid0(VALU_DEP_3) | instskip(NEXT) | instid1(VALU_DEP_1)
	v_lshl_add_u32 v4, v5, 23, 0x37800000
	v_or3_b32 v0, v1, v4, v0
	s_delay_alu instid0(VALU_DEP_1)
	v_cvt_i32_f32_e32 v0, v0
.LBB379_75:
	s_or_b32 exec_lo, exec_lo, s19
	s_mov_b32 s19, 0
	s_branch .LBB379_81
.LBB379_76:
	s_mov_b32 s23, -1
                                        ; implicit-def: $vgpr0
	s_branch .LBB379_87
.LBB379_77:
	s_and_not1_saveexec_b32 s19, s19
	s_cbranch_execz .LBB379_63
.LBB379_78:
	v_cmp_ne_u16_e32 vcc_lo, 0, v1
	s_and_not1_b32 s23, s23, exec_lo
	s_and_b32 s24, vcc_lo, exec_lo
	s_delay_alu instid0(SALU_CYCLE_1)
	s_or_b32 s23, s23, s24
	s_or_b32 exec_lo, exec_lo, s19
	v_mov_b32_e32 v0, 0
	s_and_saveexec_b32 s19, s23
	s_cbranch_execnz .LBB379_64
	s_branch .LBB379_65
.LBB379_79:
	s_mov_b32 s19, -1
                                        ; implicit-def: $vgpr0
	s_branch .LBB379_84
.LBB379_80:
	s_mov_b32 s19, -1
                                        ; implicit-def: $vgpr0
.LBB379_81:
	s_delay_alu instid0(SALU_CYCLE_1)
	s_and_b32 vcc_lo, exec_lo, s19
	s_cbranch_vccz .LBB379_83
; %bb.82:
	s_wait_loadcnt 0x0
	global_load_u8 v0, v[2:3], off
	s_wait_loadcnt 0x0
	v_lshlrev_b32_e32 v0, 24, v0
	s_delay_alu instid0(VALU_DEP_1) | instskip(NEXT) | instid1(VALU_DEP_1)
	v_and_b32_e32 v1, 0x7f000000, v0
	v_clz_i32_u32_e32 v4, v1
	v_cmp_ne_u32_e32 vcc_lo, 0, v1
	v_add_nc_u32_e32 v6, 0x1000000, v1
	s_delay_alu instid0(VALU_DEP_3) | instskip(NEXT) | instid1(VALU_DEP_1)
	v_min_u32_e32 v4, 32, v4
	v_sub_nc_u32_e64 v4, v4, 4 clamp
	s_delay_alu instid0(VALU_DEP_1) | instskip(NEXT) | instid1(VALU_DEP_1)
	v_dual_lshlrev_b32 v5, v4, v1 :: v_dual_lshlrev_b32 v4, 23, v4
	v_lshrrev_b32_e32 v5, 4, v5
	s_delay_alu instid0(VALU_DEP_1) | instskip(NEXT) | instid1(VALU_DEP_1)
	v_dual_sub_nc_u32 v4, v5, v4 :: v_dual_ashrrev_i32 v5, 8, v6
	v_add_nc_u32_e32 v4, 0x3c000000, v4
	s_delay_alu instid0(VALU_DEP_1) | instskip(NEXT) | instid1(VALU_DEP_1)
	v_and_or_b32 v4, 0x7f800000, v5, v4
	v_cndmask_b32_e32 v1, 0, v4, vcc_lo
	s_delay_alu instid0(VALU_DEP_1) | instskip(NEXT) | instid1(VALU_DEP_1)
	v_and_or_b32 v0, 0x80000000, v0, v1
	v_cvt_i32_f32_e32 v0, v0
.LBB379_83:
	s_mov_b32 s19, 0
.LBB379_84:
	s_delay_alu instid0(SALU_CYCLE_1)
	s_and_not1_b32 vcc_lo, exec_lo, s19
	s_cbranch_vccnz .LBB379_86
; %bb.85:
	s_wait_loadcnt 0x0
	global_load_u8 v0, v[2:3], off
	s_wait_loadcnt 0x0
	v_lshlrev_b32_e32 v1, 25, v0
	v_lshlrev_b16 v0, 8, v0
	s_delay_alu instid0(VALU_DEP_1) | instskip(SKIP_1) | instid1(VALU_DEP_2)
	v_and_or_b32 v5, 0x7f00, v0, 0.5
	v_bfe_i32 v0, v0, 0, 16
	v_add_f32_e32 v5, -0.5, v5
	v_lshrrev_b32_e32 v4, 4, v1
	v_cmp_gt_u32_e32 vcc_lo, 0x8000000, v1
	s_delay_alu instid0(VALU_DEP_2) | instskip(NEXT) | instid1(VALU_DEP_1)
	v_or_b32_e32 v4, 0x70000000, v4
	v_mul_f32_e32 v4, 0x7800000, v4
	s_delay_alu instid0(VALU_DEP_1) | instskip(NEXT) | instid1(VALU_DEP_1)
	v_cndmask_b32_e32 v1, v4, v5, vcc_lo
	v_and_or_b32 v0, 0x80000000, v0, v1
	s_delay_alu instid0(VALU_DEP_1)
	v_cvt_i32_f32_e32 v0, v0
.LBB379_86:
	s_mov_b32 s23, 0
	s_mov_b32 s19, -1
.LBB379_87:
	s_and_not1_b32 vcc_lo, exec_lo, s23
	s_cbranch_vccnz .LBB379_100
; %bb.88:
	s_cmp_gt_i32 s18, 14
	s_cbranch_scc0 .LBB379_91
; %bb.89:
	s_cmp_eq_u32 s18, 15
	s_cbranch_scc0 .LBB379_94
; %bb.90:
	s_wait_loadcnt 0x0
	global_load_u16 v0, v[2:3], off
	s_mov_b32 s19, -1
	s_mov_b32 s20, 0
	s_wait_loadcnt 0x0
	v_lshlrev_b32_e32 v0, 16, v0
	s_delay_alu instid0(VALU_DEP_1)
	v_cvt_i32_f32_e32 v0, v0
	s_branch .LBB379_95
.LBB379_91:
	s_mov_b32 s23, -1
                                        ; implicit-def: $vgpr0
	s_branch .LBB379_96
.LBB379_92:
	s_and_not1_saveexec_b32 s19, s19
	s_cbranch_execz .LBB379_73
.LBB379_93:
	v_cmp_ne_u16_e32 vcc_lo, 0, v1
	s_and_not1_b32 s23, s23, exec_lo
	s_and_b32 s24, vcc_lo, exec_lo
	s_delay_alu instid0(SALU_CYCLE_1)
	s_or_b32 s23, s23, s24
	s_or_b32 exec_lo, exec_lo, s19
	v_mov_b32_e32 v0, 0
	s_and_saveexec_b32 s19, s23
	s_cbranch_execnz .LBB379_74
	s_branch .LBB379_75
.LBB379_94:
	s_mov_b32 s20, -1
                                        ; implicit-def: $vgpr0
.LBB379_95:
	s_mov_b32 s23, 0
.LBB379_96:
	s_delay_alu instid0(SALU_CYCLE_1)
	s_and_b32 vcc_lo, exec_lo, s23
	s_cbranch_vccz .LBB379_100
; %bb.97:
	s_cmp_eq_u32 s18, 11
	s_cbranch_scc0 .LBB379_99
; %bb.98:
	s_wait_loadcnt 0x0
	global_load_u8 v0, v[2:3], off
	s_mov_b32 s20, 0
	s_mov_b32 s19, -1
	s_wait_loadcnt 0x0
	v_cmp_ne_u16_e32 vcc_lo, 0, v0
	v_cndmask_b32_e64 v0, 0, 1, vcc_lo
	s_branch .LBB379_100
.LBB379_99:
	s_mov_b32 s20, -1
                                        ; implicit-def: $vgpr0
.LBB379_100:
	s_branch .LBB379_10
.LBB379_101:
	s_and_b32 s0, 0xffff, s0
	s_delay_alu instid0(SALU_CYCLE_1)
	s_cmp_lt_i32 s0, 5
	s_cbranch_scc1 .LBB379_106
; %bb.102:
	s_cmp_lt_i32 s0, 8
	s_cbranch_scc1 .LBB379_107
; %bb.103:
	;; [unrolled: 3-line block ×3, first 2 shown]
	s_cmp_gt_i32 s0, 9
	s_cbranch_scc0 .LBB379_109
; %bb.105:
	s_wait_loadcnt 0x0
	global_load_b64 v[0:1], v[2:3], off
	s_mov_b32 s18, 0
	s_wait_loadcnt 0x0
	v_cvt_i32_f64_e32 v0, v[0:1]
	s_branch .LBB379_110
.LBB379_106:
                                        ; implicit-def: $vgpr0
	s_branch .LBB379_128
.LBB379_107:
	s_mov_b32 s18, -1
                                        ; implicit-def: $vgpr0
	s_branch .LBB379_116
.LBB379_108:
	s_mov_b32 s18, -1
                                        ; implicit-def: $vgpr0
	s_branch .LBB379_113
.LBB379_109:
	s_mov_b32 s18, -1
                                        ; implicit-def: $vgpr0
.LBB379_110:
	s_delay_alu instid0(SALU_CYCLE_1)
	s_and_not1_b32 vcc_lo, exec_lo, s18
	s_cbranch_vccnz .LBB379_112
; %bb.111:
	s_wait_loadcnt 0x0
	global_load_b32 v0, v[2:3], off
	s_wait_loadcnt 0x0
	v_cvt_i32_f32_e32 v0, v0
.LBB379_112:
	s_mov_b32 s18, 0
.LBB379_113:
	s_delay_alu instid0(SALU_CYCLE_1)
	s_and_not1_b32 vcc_lo, exec_lo, s18
	s_cbranch_vccnz .LBB379_115
; %bb.114:
	s_wait_loadcnt 0x0
	global_load_b32 v0, v[2:3], off
	s_wait_loadcnt 0x0
	v_cvt_i16_f16_e32 v0, v0
.LBB379_115:
	s_mov_b32 s18, 0
.LBB379_116:
	s_delay_alu instid0(SALU_CYCLE_1)
	s_and_not1_b32 vcc_lo, exec_lo, s18
	s_cbranch_vccnz .LBB379_127
; %bb.117:
	s_cmp_lt_i32 s0, 6
	s_cbranch_scc1 .LBB379_120
; %bb.118:
	s_cmp_gt_i32 s0, 6
	s_cbranch_scc0 .LBB379_121
; %bb.119:
	s_wait_loadcnt 0x0
	global_load_b64 v[0:1], v[2:3], off
	s_mov_b32 s18, 0
	s_wait_loadcnt 0x0
	v_cvt_i32_f64_e32 v0, v[0:1]
	s_branch .LBB379_122
.LBB379_120:
	s_mov_b32 s18, -1
                                        ; implicit-def: $vgpr0
	s_branch .LBB379_125
.LBB379_121:
	s_mov_b32 s18, -1
                                        ; implicit-def: $vgpr0
.LBB379_122:
	s_delay_alu instid0(SALU_CYCLE_1)
	s_and_not1_b32 vcc_lo, exec_lo, s18
	s_cbranch_vccnz .LBB379_124
; %bb.123:
	s_wait_loadcnt 0x0
	global_load_b32 v0, v[2:3], off
	s_wait_loadcnt 0x0
	v_cvt_i32_f32_e32 v0, v0
.LBB379_124:
	s_mov_b32 s18, 0
.LBB379_125:
	s_delay_alu instid0(SALU_CYCLE_1)
	s_and_not1_b32 vcc_lo, exec_lo, s18
	s_cbranch_vccnz .LBB379_127
; %bb.126:
	s_wait_loadcnt 0x0
	global_load_u16 v0, v[2:3], off
	s_wait_loadcnt 0x0
	v_cvt_i16_f16_e32 v0, v0
.LBB379_127:
	s_cbranch_execnz .LBB379_147
.LBB379_128:
	s_cmp_lt_i32 s0, 2
	s_cbranch_scc1 .LBB379_132
; %bb.129:
	s_cmp_lt_i32 s0, 3
	s_cbranch_scc1 .LBB379_133
; %bb.130:
	s_cmp_gt_i32 s0, 3
	s_cbranch_scc0 .LBB379_134
; %bb.131:
	s_wait_loadcnt 0x0
	global_load_b64 v[0:1], v[2:3], off
	s_mov_b32 s18, 0
	s_branch .LBB379_135
.LBB379_132:
	s_mov_b32 s18, -1
                                        ; implicit-def: $vgpr0
	s_branch .LBB379_141
.LBB379_133:
	s_mov_b32 s18, -1
                                        ; implicit-def: $vgpr0
	s_branch .LBB379_138
.LBB379_134:
	s_mov_b32 s18, -1
                                        ; implicit-def: $vgpr0
.LBB379_135:
	s_delay_alu instid0(SALU_CYCLE_1)
	s_and_not1_b32 vcc_lo, exec_lo, s18
	s_cbranch_vccnz .LBB379_137
; %bb.136:
	s_wait_loadcnt 0x0
	global_load_b32 v0, v[2:3], off
.LBB379_137:
	s_mov_b32 s18, 0
.LBB379_138:
	s_delay_alu instid0(SALU_CYCLE_1)
	s_and_not1_b32 vcc_lo, exec_lo, s18
	s_cbranch_vccnz .LBB379_140
; %bb.139:
	s_wait_loadcnt 0x0
	global_load_u16 v0, v[2:3], off
.LBB379_140:
	s_mov_b32 s18, 0
.LBB379_141:
	s_delay_alu instid0(SALU_CYCLE_1)
	s_and_not1_b32 vcc_lo, exec_lo, s18
	s_cbranch_vccnz .LBB379_147
; %bb.142:
	s_cmp_gt_i32 s0, 0
	s_mov_b32 s0, 0
	s_cbranch_scc0 .LBB379_144
; %bb.143:
	s_wait_loadcnt 0x0
	global_load_u8 v0, v[2:3], off
	s_branch .LBB379_145
.LBB379_144:
	s_mov_b32 s0, -1
                                        ; implicit-def: $vgpr0
.LBB379_145:
	s_delay_alu instid0(SALU_CYCLE_1)
	s_and_not1_b32 vcc_lo, exec_lo, s0
	s_cbranch_vccnz .LBB379_147
; %bb.146:
	s_wait_loadcnt 0x0
	global_load_u8 v0, v[2:3], off
.LBB379_147:
	s_branch .LBB379_11
.LBB379_148:
	s_mov_b32 s0, 0
	s_mov_b32 s19, 0
	s_branch .LBB379_372
.LBB379_149:
	s_mov_b32 s19, -1
.LBB379_150:
	s_mov_b32 s23, 0
                                        ; implicit-def: $vgpr4
.LBB379_151:
	s_and_b32 vcc_lo, exec_lo, s24
	s_cbranch_vccz .LBB379_266
; %bb.152:
	s_cmp_eq_u32 s18, 44
	s_cbranch_scc0 .LBB379_265
; %bb.153:
	s_wait_loadcnt 0x0
	global_load_u8 v1, v[2:3], off
	s_mov_b32 s19, 0
	s_mov_b32 s23, -1
	s_wait_loadcnt 0x0
	v_lshlrev_b32_e32 v4, 23, v1
	v_cmp_ne_u32_e32 vcc_lo, 0, v1
	s_delay_alu instid0(VALU_DEP_2) | instskip(NEXT) | instid1(VALU_DEP_1)
	v_cvt_i32_f32_e32 v4, v4
	v_cndmask_b32_e32 v4, 0, v4, vcc_lo
	s_branch .LBB379_266
.LBB379_154:
	s_mov_b32 s26, -1
	s_mov_b32 s0, 0
	s_mov_b32 s25, 0
.LBB379_155:
	s_and_b32 vcc_lo, exec_lo, s26
	s_cbranch_vccz .LBB379_160
; %bb.156:
	s_cmp_eq_u32 s24, 44
	s_mov_b32 s0, -1
	s_cbranch_scc0 .LBB379_160
; %bb.157:
	v_cndmask_b32_e64 v4, 0, 1.0, s18
	s_mov_b32 s25, exec_lo
	s_wait_xcnt 0x0
	s_delay_alu instid0(VALU_DEP_1) | instskip(NEXT) | instid1(VALU_DEP_1)
	v_dual_mov_b32 v3, 0xff :: v_dual_lshrrev_b32 v2, 23, v4
	v_cmpx_ne_u32_e32 0xff, v2
; %bb.158:
	v_and_b32_e32 v3, 0x400000, v4
	v_and_or_b32 v4, 0x3fffff, v4, v2
	s_delay_alu instid0(VALU_DEP_2) | instskip(NEXT) | instid1(VALU_DEP_2)
	v_cmp_ne_u32_e32 vcc_lo, 0, v3
	v_cmp_ne_u32_e64 s0, 0, v4
	s_and_b32 s0, vcc_lo, s0
	s_delay_alu instid0(SALU_CYCLE_1) | instskip(NEXT) | instid1(VALU_DEP_1)
	v_cndmask_b32_e64 v3, 0, 1, s0
	v_add_nc_u32_e32 v3, v2, v3
; %bb.159:
	s_or_b32 exec_lo, exec_lo, s25
	s_mov_b32 s25, -1
	s_mov_b32 s0, 0
	global_store_b8 v[0:1], v3, off
.LBB379_160:
	s_mov_b32 s26, 0
.LBB379_161:
	s_delay_alu instid0(SALU_CYCLE_1)
	s_and_b32 vcc_lo, exec_lo, s26
	s_cbranch_vccz .LBB379_164
; %bb.162:
	s_cmp_eq_u32 s24, 29
	s_mov_b32 s0, -1
	s_cbranch_scc0 .LBB379_164
; %bb.163:
	s_mov_b32 s0, 0
	s_wait_xcnt 0x0
	v_cndmask_b32_e64 v2, 0, 1, s18
	v_mov_b32_e32 v3, s0
	s_mov_b32 s25, -1
	s_mov_b32 s26, 0
	global_store_b64 v[0:1], v[2:3], off
	s_branch .LBB379_165
.LBB379_164:
	s_mov_b32 s26, 0
.LBB379_165:
	s_delay_alu instid0(SALU_CYCLE_1)
	s_and_b32 vcc_lo, exec_lo, s26
	s_cbranch_vccz .LBB379_181
; %bb.166:
	s_cmp_lt_i32 s24, 27
	s_mov_b32 s25, -1
	s_cbranch_scc1 .LBB379_172
; %bb.167:
	s_cmp_gt_i32 s24, 27
	s_cbranch_scc0 .LBB379_169
; %bb.168:
	s_wait_xcnt 0x0
	v_cndmask_b32_e64 v2, 0, 1, s18
	s_mov_b32 s25, 0
	global_store_b32 v[0:1], v2, off
.LBB379_169:
	s_and_not1_b32 vcc_lo, exec_lo, s25
	s_cbranch_vccnz .LBB379_171
; %bb.170:
	s_wait_xcnt 0x0
	v_cndmask_b32_e64 v2, 0, 1, s18
	global_store_b16 v[0:1], v2, off
.LBB379_171:
	s_mov_b32 s25, 0
.LBB379_172:
	s_delay_alu instid0(SALU_CYCLE_1)
	s_and_not1_b32 vcc_lo, exec_lo, s25
	s_cbranch_vccnz .LBB379_180
; %bb.173:
	s_wait_xcnt 0x0
	v_cndmask_b32_e64 v3, 0, 1.0, s18
	v_mov_b32_e32 v4, 0x80
	s_mov_b32 s25, exec_lo
	s_delay_alu instid0(VALU_DEP_2)
	v_cmpx_gt_u32_e32 0x43800000, v3
	s_cbranch_execz .LBB379_179
; %bb.174:
	s_mov_b32 s26, 0
	s_mov_b32 s27, exec_lo
                                        ; implicit-def: $vgpr2
	v_cmpx_lt_u32_e32 0x3bffffff, v3
	s_xor_b32 s27, exec_lo, s27
	s_cbranch_execz .LBB379_403
; %bb.175:
	v_bfe_u32 v2, v3, 20, 1
	s_mov_b32 s26, exec_lo
	s_delay_alu instid0(VALU_DEP_1) | instskip(NEXT) | instid1(VALU_DEP_1)
	v_add3_u32 v2, v3, v2, 0x487ffff
                                        ; implicit-def: $vgpr3
	v_lshrrev_b32_e32 v2, 20, v2
	s_and_not1_saveexec_b32 s27, s27
	s_cbranch_execnz .LBB379_404
.LBB379_176:
	s_or_b32 exec_lo, exec_lo, s27
	v_mov_b32_e32 v4, 0
	s_and_saveexec_b32 s27, s26
.LBB379_177:
	v_mov_b32_e32 v4, v2
.LBB379_178:
	s_or_b32 exec_lo, exec_lo, s27
.LBB379_179:
	s_delay_alu instid0(SALU_CYCLE_1)
	s_or_b32 exec_lo, exec_lo, s25
	global_store_b8 v[0:1], v4, off
.LBB379_180:
	s_mov_b32 s25, -1
.LBB379_181:
	s_mov_b32 s26, 0
.LBB379_182:
	s_delay_alu instid0(SALU_CYCLE_1)
	s_and_b32 vcc_lo, exec_lo, s26
	s_cbranch_vccz .LBB379_223
; %bb.183:
	s_cmp_gt_i32 s24, 22
	s_mov_b32 s26, -1
	s_cbranch_scc0 .LBB379_215
; %bb.184:
	s_cmp_lt_i32 s24, 24
	s_mov_b32 s25, -1
	s_cbranch_scc1 .LBB379_204
; %bb.185:
	s_cmp_gt_i32 s24, 24
	s_cbranch_scc0 .LBB379_193
; %bb.186:
	s_wait_xcnt 0x0
	v_cndmask_b32_e64 v3, 0, 1.0, s18
	v_mov_b32_e32 v4, 0x80
	s_mov_b32 s25, exec_lo
	s_delay_alu instid0(VALU_DEP_2)
	v_cmpx_gt_u32_e32 0x47800000, v3
	s_cbranch_execz .LBB379_192
; %bb.187:
	s_mov_b32 s26, 0
	s_mov_b32 s27, exec_lo
                                        ; implicit-def: $vgpr2
	v_cmpx_lt_u32_e32 0x37ffffff, v3
	s_xor_b32 s27, exec_lo, s27
	s_cbranch_execz .LBB379_518
; %bb.188:
	v_bfe_u32 v2, v3, 21, 1
	s_mov_b32 s26, exec_lo
	s_delay_alu instid0(VALU_DEP_1) | instskip(NEXT) | instid1(VALU_DEP_1)
	v_add3_u32 v2, v3, v2, 0x88fffff
                                        ; implicit-def: $vgpr3
	v_lshrrev_b32_e32 v2, 21, v2
	s_and_not1_saveexec_b32 s27, s27
	s_cbranch_execnz .LBB379_519
.LBB379_189:
	s_or_b32 exec_lo, exec_lo, s27
	v_mov_b32_e32 v4, 0
	s_and_saveexec_b32 s27, s26
.LBB379_190:
	v_mov_b32_e32 v4, v2
.LBB379_191:
	s_or_b32 exec_lo, exec_lo, s27
.LBB379_192:
	s_delay_alu instid0(SALU_CYCLE_1)
	s_or_b32 exec_lo, exec_lo, s25
	s_mov_b32 s25, 0
	global_store_b8 v[0:1], v4, off
.LBB379_193:
	s_and_b32 vcc_lo, exec_lo, s25
	s_cbranch_vccz .LBB379_203
; %bb.194:
	s_wait_xcnt 0x0
	v_cndmask_b32_e64 v3, 0, 1.0, s18
	s_mov_b32 s25, exec_lo
                                        ; implicit-def: $vgpr2
	s_delay_alu instid0(VALU_DEP_1)
	v_cmpx_gt_u32_e32 0x43f00000, v3
	s_xor_b32 s25, exec_lo, s25
	s_cbranch_execz .LBB379_200
; %bb.195:
	s_mov_b32 s26, exec_lo
                                        ; implicit-def: $vgpr2
	v_cmpx_lt_u32_e32 0x3c7fffff, v3
	s_xor_b32 s26, exec_lo, s26
; %bb.196:
	v_bfe_u32 v2, v3, 20, 1
	s_delay_alu instid0(VALU_DEP_1) | instskip(NEXT) | instid1(VALU_DEP_1)
	v_add3_u32 v2, v3, v2, 0x407ffff
	v_and_b32_e32 v3, 0xff00000, v2
	v_lshrrev_b32_e32 v2, 20, v2
	s_delay_alu instid0(VALU_DEP_2) | instskip(NEXT) | instid1(VALU_DEP_2)
	v_cmp_ne_u32_e32 vcc_lo, 0x7f00000, v3
                                        ; implicit-def: $vgpr3
	v_cndmask_b32_e32 v2, 0x7e, v2, vcc_lo
; %bb.197:
	s_and_not1_saveexec_b32 s26, s26
; %bb.198:
	v_add_f32_e32 v2, 0x46800000, v3
; %bb.199:
	s_or_b32 exec_lo, exec_lo, s26
                                        ; implicit-def: $vgpr3
.LBB379_200:
	s_and_not1_saveexec_b32 s25, s25
; %bb.201:
	v_mov_b32_e32 v2, 0x7f
	v_cmp_lt_u32_e32 vcc_lo, 0x7f800000, v3
	s_delay_alu instid0(VALU_DEP_2)
	v_cndmask_b32_e32 v2, 0x7e, v2, vcc_lo
; %bb.202:
	s_or_b32 exec_lo, exec_lo, s25
	global_store_b8 v[0:1], v2, off
.LBB379_203:
	s_mov_b32 s25, 0
.LBB379_204:
	s_delay_alu instid0(SALU_CYCLE_1)
	s_and_not1_b32 vcc_lo, exec_lo, s25
	s_cbranch_vccnz .LBB379_214
; %bb.205:
	s_wait_xcnt 0x0
	v_cndmask_b32_e64 v3, 0, 1.0, s18
	s_mov_b32 s25, exec_lo
                                        ; implicit-def: $vgpr2
	s_delay_alu instid0(VALU_DEP_1)
	v_cmpx_gt_u32_e32 0x47800000, v3
	s_xor_b32 s25, exec_lo, s25
	s_cbranch_execz .LBB379_211
; %bb.206:
	s_mov_b32 s26, exec_lo
                                        ; implicit-def: $vgpr2
	v_cmpx_lt_u32_e32 0x387fffff, v3
	s_xor_b32 s26, exec_lo, s26
; %bb.207:
	v_bfe_u32 v2, v3, 21, 1
	s_delay_alu instid0(VALU_DEP_1) | instskip(NEXT) | instid1(VALU_DEP_1)
	v_add3_u32 v2, v3, v2, 0x80fffff
                                        ; implicit-def: $vgpr3
	v_lshrrev_b32_e32 v2, 21, v2
; %bb.208:
	s_and_not1_saveexec_b32 s26, s26
; %bb.209:
	v_add_f32_e32 v2, 0x43000000, v3
; %bb.210:
	s_or_b32 exec_lo, exec_lo, s26
                                        ; implicit-def: $vgpr3
.LBB379_211:
	s_and_not1_saveexec_b32 s25, s25
; %bb.212:
	v_mov_b32_e32 v2, 0x7f
	v_cmp_lt_u32_e32 vcc_lo, 0x7f800000, v3
	s_delay_alu instid0(VALU_DEP_2)
	v_cndmask_b32_e32 v2, 0x7c, v2, vcc_lo
; %bb.213:
	s_or_b32 exec_lo, exec_lo, s25
	global_store_b8 v[0:1], v2, off
.LBB379_214:
	s_mov_b32 s26, 0
	s_mov_b32 s25, -1
.LBB379_215:
	s_and_not1_b32 vcc_lo, exec_lo, s26
	s_cbranch_vccnz .LBB379_223
; %bb.216:
	s_cmp_gt_i32 s24, 14
	s_mov_b32 s26, -1
	s_cbranch_scc0 .LBB379_220
; %bb.217:
	s_cmp_eq_u32 s24, 15
	s_mov_b32 s0, -1
	s_cbranch_scc0 .LBB379_219
; %bb.218:
	s_wait_xcnt 0x0
	v_cndmask_b32_e64 v2, 0, 1.0, s18
	s_mov_b32 s25, -1
	s_mov_b32 s0, 0
	s_delay_alu instid0(VALU_DEP_1) | instskip(NEXT) | instid1(VALU_DEP_1)
	v_bfe_u32 v3, v2, 16, 1
	v_add3_u32 v2, v2, v3, 0x7fff
	global_store_d16_hi_b16 v[0:1], v2, off
.LBB379_219:
	s_mov_b32 s26, 0
.LBB379_220:
	s_delay_alu instid0(SALU_CYCLE_1)
	s_and_b32 vcc_lo, exec_lo, s26
	s_cbranch_vccz .LBB379_223
; %bb.221:
	s_cmp_eq_u32 s24, 11
	s_mov_b32 s0, -1
	s_cbranch_scc0 .LBB379_223
; %bb.222:
	s_wait_xcnt 0x0
	v_cndmask_b32_e64 v2, 0, 1, s18
	s_mov_b32 s25, -1
	s_mov_b32 s0, 0
	global_store_b8 v[0:1], v2, off
.LBB379_223:
	s_mov_b32 s24, 0
.LBB379_224:
	s_delay_alu instid0(SALU_CYCLE_1)
	s_and_b32 vcc_lo, exec_lo, s24
	s_cbranch_vccz .LBB379_263
; %bb.225:
	s_and_b32 s23, 0xffff, s23
	s_mov_b32 s24, -1
	s_cmp_lt_i32 s23, 5
	s_cbranch_scc1 .LBB379_246
; %bb.226:
	s_cmp_lt_i32 s23, 8
	s_cbranch_scc1 .LBB379_236
; %bb.227:
	;; [unrolled: 3-line block ×3, first 2 shown]
	s_cmp_gt_i32 s23, 9
	s_cbranch_scc0 .LBB379_230
; %bb.229:
	s_wait_xcnt 0x0
	v_cndmask_b32_e64 v2, 0, 1, s18
	v_mov_b32_e32 v4, 0
	s_mov_b32 s24, 0
	s_delay_alu instid0(VALU_DEP_2) | instskip(NEXT) | instid1(VALU_DEP_2)
	v_cvt_f64_u32_e32 v[2:3], v2
	v_mov_b32_e32 v5, v4
	global_store_b128 v[0:1], v[2:5], off
.LBB379_230:
	s_and_not1_b32 vcc_lo, exec_lo, s24
	s_cbranch_vccnz .LBB379_232
; %bb.231:
	s_wait_xcnt 0x0
	v_cndmask_b32_e64 v2, 0, 1.0, s18
	v_mov_b32_e32 v3, 0
	global_store_b64 v[0:1], v[2:3], off
.LBB379_232:
	s_mov_b32 s24, 0
.LBB379_233:
	s_delay_alu instid0(SALU_CYCLE_1)
	s_and_not1_b32 vcc_lo, exec_lo, s24
	s_cbranch_vccnz .LBB379_235
; %bb.234:
	s_wait_xcnt 0x0
	v_cndmask_b32_e64 v2, 0, 1.0, s18
	s_delay_alu instid0(VALU_DEP_1) | instskip(NEXT) | instid1(VALU_DEP_1)
	v_cvt_f16_f32_e32 v2, v2
	v_and_b32_e32 v2, 0xffff, v2
	global_store_b32 v[0:1], v2, off
.LBB379_235:
	s_mov_b32 s24, 0
.LBB379_236:
	s_delay_alu instid0(SALU_CYCLE_1)
	s_and_not1_b32 vcc_lo, exec_lo, s24
	s_cbranch_vccnz .LBB379_245
; %bb.237:
	s_cmp_lt_i32 s23, 6
	s_mov_b32 s24, -1
	s_cbranch_scc1 .LBB379_243
; %bb.238:
	s_cmp_gt_i32 s23, 6
	s_cbranch_scc0 .LBB379_240
; %bb.239:
	s_wait_xcnt 0x0
	v_cndmask_b32_e64 v2, 0, 1, s18
	s_mov_b32 s24, 0
	s_delay_alu instid0(VALU_DEP_1)
	v_cvt_f64_u32_e32 v[2:3], v2
	global_store_b64 v[0:1], v[2:3], off
.LBB379_240:
	s_and_not1_b32 vcc_lo, exec_lo, s24
	s_cbranch_vccnz .LBB379_242
; %bb.241:
	s_wait_xcnt 0x0
	v_cndmask_b32_e64 v2, 0, 1.0, s18
	global_store_b32 v[0:1], v2, off
.LBB379_242:
	s_mov_b32 s24, 0
.LBB379_243:
	s_delay_alu instid0(SALU_CYCLE_1)
	s_and_not1_b32 vcc_lo, exec_lo, s24
	s_cbranch_vccnz .LBB379_245
; %bb.244:
	s_wait_xcnt 0x0
	v_cndmask_b32_e64 v2, 0, 1.0, s18
	s_delay_alu instid0(VALU_DEP_1)
	v_cvt_f16_f32_e32 v2, v2
	global_store_b16 v[0:1], v2, off
.LBB379_245:
	s_mov_b32 s24, 0
.LBB379_246:
	s_delay_alu instid0(SALU_CYCLE_1)
	s_and_not1_b32 vcc_lo, exec_lo, s24
	s_cbranch_vccnz .LBB379_262
; %bb.247:
	s_cmp_lt_i32 s23, 2
	s_mov_b32 s24, -1
	s_cbranch_scc1 .LBB379_257
; %bb.248:
	s_cmp_lt_i32 s23, 3
	s_cbranch_scc1 .LBB379_254
; %bb.249:
	s_cmp_gt_i32 s23, 3
	s_cbranch_scc0 .LBB379_251
; %bb.250:
	s_mov_b32 s24, 0
	s_wait_xcnt 0x0
	v_cndmask_b32_e64 v2, 0, 1, s18
	v_mov_b32_e32 v3, s24
	global_store_b64 v[0:1], v[2:3], off
.LBB379_251:
	s_and_not1_b32 vcc_lo, exec_lo, s24
	s_cbranch_vccnz .LBB379_253
; %bb.252:
	s_wait_xcnt 0x0
	v_cndmask_b32_e64 v2, 0, 1, s18
	global_store_b32 v[0:1], v2, off
.LBB379_253:
	s_mov_b32 s24, 0
.LBB379_254:
	s_delay_alu instid0(SALU_CYCLE_1)
	s_and_not1_b32 vcc_lo, exec_lo, s24
	s_cbranch_vccnz .LBB379_256
; %bb.255:
	s_wait_xcnt 0x0
	v_cndmask_b32_e64 v2, 0, 1, s18
	global_store_b16 v[0:1], v2, off
.LBB379_256:
	s_mov_b32 s24, 0
.LBB379_257:
	s_delay_alu instid0(SALU_CYCLE_1)
	s_and_not1_b32 vcc_lo, exec_lo, s24
	s_cbranch_vccnz .LBB379_262
; %bb.258:
	s_wait_xcnt 0x0
	v_cndmask_b32_e64 v2, 0, 1, s18
	s_cmp_gt_i32 s23, 0
	s_mov_b32 s18, -1
	s_cbranch_scc0 .LBB379_260
; %bb.259:
	s_mov_b32 s18, 0
	global_store_b8 v[0:1], v2, off
.LBB379_260:
	s_and_not1_b32 vcc_lo, exec_lo, s18
	s_cbranch_vccnz .LBB379_262
; %bb.261:
	global_store_b8 v[0:1], v2, off
.LBB379_262:
	s_mov_b32 s25, -1
.LBB379_263:
	s_delay_alu instid0(SALU_CYCLE_1)
	s_and_not1_b32 vcc_lo, exec_lo, s25
	s_cbranch_vccnz .LBB379_372
; %bb.264:
	v_add_nc_u32_e32 v18, 0x80, v18
	s_mov_b32 s23, -1
	s_branch .LBB379_373
.LBB379_265:
	s_mov_b32 s19, -1
                                        ; implicit-def: $vgpr4
.LBB379_266:
	s_mov_b32 s24, 0
.LBB379_267:
	s_delay_alu instid0(SALU_CYCLE_1)
	s_and_b32 vcc_lo, exec_lo, s24
	s_cbranch_vccz .LBB379_271
; %bb.268:
	s_cmp_eq_u32 s18, 29
	s_cbranch_scc0 .LBB379_270
; %bb.269:
	global_load_b64 v[4:5], v[2:3], off
	s_mov_b32 s23, -1
	s_mov_b32 s19, 0
	s_branch .LBB379_271
.LBB379_270:
	s_mov_b32 s19, -1
                                        ; implicit-def: $vgpr4
.LBB379_271:
	s_mov_b32 s24, 0
.LBB379_272:
	s_delay_alu instid0(SALU_CYCLE_1)
	s_and_b32 vcc_lo, exec_lo, s24
	s_cbranch_vccz .LBB379_288
; %bb.273:
	s_cmp_lt_i32 s18, 27
	s_cbranch_scc1 .LBB379_276
; %bb.274:
	s_cmp_gt_i32 s18, 27
	s_cbranch_scc0 .LBB379_277
; %bb.275:
	s_wait_loadcnt 0x0
	global_load_b32 v4, v[2:3], off
	s_mov_b32 s23, 0
	s_branch .LBB379_278
.LBB379_276:
	s_mov_b32 s23, -1
                                        ; implicit-def: $vgpr4
	s_branch .LBB379_281
.LBB379_277:
	s_mov_b32 s23, -1
                                        ; implicit-def: $vgpr4
.LBB379_278:
	s_delay_alu instid0(SALU_CYCLE_1)
	s_and_not1_b32 vcc_lo, exec_lo, s23
	s_cbranch_vccnz .LBB379_280
; %bb.279:
	s_wait_loadcnt 0x0
	global_load_u16 v4, v[2:3], off
.LBB379_280:
	s_mov_b32 s23, 0
.LBB379_281:
	s_delay_alu instid0(SALU_CYCLE_1)
	s_and_not1_b32 vcc_lo, exec_lo, s23
	s_cbranch_vccnz .LBB379_287
; %bb.282:
	s_wait_loadcnt 0x0
	global_load_u8 v1, v[2:3], off
	s_mov_b32 s24, 0
	s_mov_b32 s23, exec_lo
	s_wait_loadcnt 0x0
	v_cmpx_lt_i16_e32 0x7f, v1
	s_xor_b32 s23, exec_lo, s23
	s_cbranch_execz .LBB379_299
; %bb.283:
	v_cmp_ne_u16_e32 vcc_lo, 0x80, v1
	s_and_b32 s24, vcc_lo, exec_lo
	s_and_not1_saveexec_b32 s23, s23
	s_cbranch_execnz .LBB379_300
.LBB379_284:
	s_or_b32 exec_lo, exec_lo, s23
	v_mov_b32_e32 v4, 0
	s_and_saveexec_b32 s23, s24
	s_cbranch_execz .LBB379_286
.LBB379_285:
	v_and_b32_e32 v4, 0xffff, v1
	s_delay_alu instid0(VALU_DEP_1) | instskip(SKIP_1) | instid1(VALU_DEP_2)
	v_and_b32_e32 v5, 7, v4
	v_bfe_u32 v8, v4, 3, 4
	v_clz_i32_u32_e32 v6, v5
	s_delay_alu instid0(VALU_DEP_2) | instskip(NEXT) | instid1(VALU_DEP_2)
	v_cmp_eq_u32_e32 vcc_lo, 0, v8
	v_min_u32_e32 v6, 32, v6
	s_delay_alu instid0(VALU_DEP_1) | instskip(NEXT) | instid1(VALU_DEP_1)
	v_subrev_nc_u32_e32 v7, 28, v6
	v_dual_lshlrev_b32 v4, v7, v4 :: v_dual_sub_nc_u32 v6, 29, v6
	s_delay_alu instid0(VALU_DEP_1) | instskip(NEXT) | instid1(VALU_DEP_1)
	v_dual_lshlrev_b32 v1, 24, v1 :: v_dual_bitop2_b32 v4, 7, v4 bitop3:0x40
	v_dual_cndmask_b32 v6, v8, v6, vcc_lo :: v_dual_cndmask_b32 v4, v5, v4, vcc_lo
	s_delay_alu instid0(VALU_DEP_2) | instskip(NEXT) | instid1(VALU_DEP_2)
	v_and_b32_e32 v1, 0x80000000, v1
	v_lshl_add_u32 v5, v6, 23, 0x3b800000
	s_delay_alu instid0(VALU_DEP_3) | instskip(NEXT) | instid1(VALU_DEP_1)
	v_lshlrev_b32_e32 v4, 20, v4
	v_or3_b32 v1, v1, v5, v4
	s_delay_alu instid0(VALU_DEP_1)
	v_cvt_i32_f32_e32 v4, v1
.LBB379_286:
	s_or_b32 exec_lo, exec_lo, s23
.LBB379_287:
	s_mov_b32 s23, -1
.LBB379_288:
	s_mov_b32 s24, 0
.LBB379_289:
	s_delay_alu instid0(SALU_CYCLE_1)
	s_and_b32 vcc_lo, exec_lo, s24
	s_cbranch_vccz .LBB379_322
; %bb.290:
	s_cmp_gt_i32 s18, 22
	s_cbranch_scc0 .LBB379_298
; %bb.291:
	s_cmp_lt_i32 s18, 24
	s_cbranch_scc1 .LBB379_301
; %bb.292:
	s_cmp_gt_i32 s18, 24
	s_cbranch_scc0 .LBB379_302
; %bb.293:
	s_wait_loadcnt 0x0
	global_load_u8 v1, v[2:3], off
	s_mov_b32 s24, 0
	s_mov_b32 s23, exec_lo
	s_wait_loadcnt 0x0
	v_cmpx_lt_i16_e32 0x7f, v1
	s_xor_b32 s23, exec_lo, s23
	s_cbranch_execz .LBB379_314
; %bb.294:
	v_cmp_ne_u16_e32 vcc_lo, 0x80, v1
	s_and_b32 s24, vcc_lo, exec_lo
	s_and_not1_saveexec_b32 s23, s23
	s_cbranch_execnz .LBB379_315
.LBB379_295:
	s_or_b32 exec_lo, exec_lo, s23
	v_mov_b32_e32 v4, 0
	s_and_saveexec_b32 s23, s24
	s_cbranch_execz .LBB379_297
.LBB379_296:
	v_and_b32_e32 v4, 0xffff, v1
	s_delay_alu instid0(VALU_DEP_1) | instskip(SKIP_1) | instid1(VALU_DEP_2)
	v_and_b32_e32 v5, 3, v4
	v_bfe_u32 v8, v4, 2, 5
	v_clz_i32_u32_e32 v6, v5
	s_delay_alu instid0(VALU_DEP_2) | instskip(NEXT) | instid1(VALU_DEP_2)
	v_cmp_eq_u32_e32 vcc_lo, 0, v8
	v_min_u32_e32 v6, 32, v6
	s_delay_alu instid0(VALU_DEP_1) | instskip(NEXT) | instid1(VALU_DEP_1)
	v_subrev_nc_u32_e32 v7, 29, v6
	v_dual_lshlrev_b32 v4, v7, v4 :: v_dual_sub_nc_u32 v6, 30, v6
	s_delay_alu instid0(VALU_DEP_1) | instskip(NEXT) | instid1(VALU_DEP_1)
	v_dual_lshlrev_b32 v1, 24, v1 :: v_dual_bitop2_b32 v4, 3, v4 bitop3:0x40
	v_dual_cndmask_b32 v6, v8, v6, vcc_lo :: v_dual_cndmask_b32 v4, v5, v4, vcc_lo
	s_delay_alu instid0(VALU_DEP_2) | instskip(NEXT) | instid1(VALU_DEP_2)
	v_and_b32_e32 v1, 0x80000000, v1
	v_lshl_add_u32 v5, v6, 23, 0x37800000
	s_delay_alu instid0(VALU_DEP_3) | instskip(NEXT) | instid1(VALU_DEP_1)
	v_lshlrev_b32_e32 v4, 21, v4
	v_or3_b32 v1, v1, v5, v4
	s_delay_alu instid0(VALU_DEP_1)
	v_cvt_i32_f32_e32 v4, v1
.LBB379_297:
	s_or_b32 exec_lo, exec_lo, s23
	s_mov_b32 s23, 0
	s_branch .LBB379_303
.LBB379_298:
	s_mov_b32 s24, -1
                                        ; implicit-def: $vgpr4
	s_branch .LBB379_309
.LBB379_299:
	s_and_not1_saveexec_b32 s23, s23
	s_cbranch_execz .LBB379_284
.LBB379_300:
	v_cmp_ne_u16_e32 vcc_lo, 0, v1
	s_and_not1_b32 s24, s24, exec_lo
	s_and_b32 s25, vcc_lo, exec_lo
	s_delay_alu instid0(SALU_CYCLE_1)
	s_or_b32 s24, s24, s25
	s_or_b32 exec_lo, exec_lo, s23
	v_mov_b32_e32 v4, 0
	s_and_saveexec_b32 s23, s24
	s_cbranch_execnz .LBB379_285
	s_branch .LBB379_286
.LBB379_301:
	s_mov_b32 s23, -1
                                        ; implicit-def: $vgpr4
	s_branch .LBB379_306
.LBB379_302:
	s_mov_b32 s23, -1
                                        ; implicit-def: $vgpr4
.LBB379_303:
	s_delay_alu instid0(SALU_CYCLE_1)
	s_and_b32 vcc_lo, exec_lo, s23
	s_cbranch_vccz .LBB379_305
; %bb.304:
	s_wait_loadcnt 0x0
	global_load_u8 v1, v[2:3], off
	s_wait_loadcnt 0x0
	v_lshlrev_b32_e32 v1, 24, v1
	s_delay_alu instid0(VALU_DEP_1) | instskip(NEXT) | instid1(VALU_DEP_1)
	v_and_b32_e32 v4, 0x7f000000, v1
	v_clz_i32_u32_e32 v5, v4
	v_cmp_ne_u32_e32 vcc_lo, 0, v4
	v_add_nc_u32_e32 v7, 0x1000000, v4
	s_delay_alu instid0(VALU_DEP_3) | instskip(NEXT) | instid1(VALU_DEP_1)
	v_min_u32_e32 v5, 32, v5
	v_sub_nc_u32_e64 v5, v5, 4 clamp
	s_delay_alu instid0(VALU_DEP_1) | instskip(NEXT) | instid1(VALU_DEP_1)
	v_dual_lshlrev_b32 v6, v5, v4 :: v_dual_lshlrev_b32 v5, 23, v5
	v_lshrrev_b32_e32 v6, 4, v6
	s_delay_alu instid0(VALU_DEP_1) | instskip(NEXT) | instid1(VALU_DEP_1)
	v_dual_sub_nc_u32 v5, v6, v5 :: v_dual_ashrrev_i32 v6, 8, v7
	v_add_nc_u32_e32 v5, 0x3c000000, v5
	s_delay_alu instid0(VALU_DEP_1) | instskip(NEXT) | instid1(VALU_DEP_1)
	v_and_or_b32 v5, 0x7f800000, v6, v5
	v_cndmask_b32_e32 v4, 0, v5, vcc_lo
	s_delay_alu instid0(VALU_DEP_1) | instskip(NEXT) | instid1(VALU_DEP_1)
	v_and_or_b32 v1, 0x80000000, v1, v4
	v_cvt_i32_f32_e32 v4, v1
.LBB379_305:
	s_mov_b32 s23, 0
.LBB379_306:
	s_delay_alu instid0(SALU_CYCLE_1)
	s_and_not1_b32 vcc_lo, exec_lo, s23
	s_cbranch_vccnz .LBB379_308
; %bb.307:
	s_wait_loadcnt 0x0
	global_load_u8 v1, v[2:3], off
	s_wait_loadcnt 0x0
	v_lshlrev_b32_e32 v4, 25, v1
	v_lshlrev_b16 v1, 8, v1
	s_delay_alu instid0(VALU_DEP_1) | instskip(SKIP_1) | instid1(VALU_DEP_2)
	v_and_or_b32 v6, 0x7f00, v1, 0.5
	v_bfe_i32 v1, v1, 0, 16
	v_dual_add_f32 v6, -0.5, v6 :: v_dual_lshrrev_b32 v5, 4, v4
	v_cmp_gt_u32_e32 vcc_lo, 0x8000000, v4
	s_delay_alu instid0(VALU_DEP_2) | instskip(NEXT) | instid1(VALU_DEP_1)
	v_or_b32_e32 v5, 0x70000000, v5
	v_mul_f32_e32 v5, 0x7800000, v5
	s_delay_alu instid0(VALU_DEP_1) | instskip(NEXT) | instid1(VALU_DEP_1)
	v_cndmask_b32_e32 v4, v5, v6, vcc_lo
	v_and_or_b32 v1, 0x80000000, v1, v4
	s_delay_alu instid0(VALU_DEP_1)
	v_cvt_i32_f32_e32 v4, v1
.LBB379_308:
	s_mov_b32 s24, 0
	s_mov_b32 s23, -1
.LBB379_309:
	s_and_not1_b32 vcc_lo, exec_lo, s24
	s_cbranch_vccnz .LBB379_322
; %bb.310:
	s_cmp_gt_i32 s18, 14
	s_cbranch_scc0 .LBB379_313
; %bb.311:
	s_cmp_eq_u32 s18, 15
	s_cbranch_scc0 .LBB379_316
; %bb.312:
	s_wait_loadcnt 0x0
	global_load_u16 v1, v[2:3], off
	s_mov_b32 s23, -1
	s_mov_b32 s19, 0
	s_wait_loadcnt 0x0
	v_lshlrev_b32_e32 v1, 16, v1
	s_delay_alu instid0(VALU_DEP_1)
	v_cvt_i32_f32_e32 v4, v1
	s_branch .LBB379_317
.LBB379_313:
	s_mov_b32 s24, -1
                                        ; implicit-def: $vgpr4
	s_branch .LBB379_318
.LBB379_314:
	s_and_not1_saveexec_b32 s23, s23
	s_cbranch_execz .LBB379_295
.LBB379_315:
	v_cmp_ne_u16_e32 vcc_lo, 0, v1
	s_and_not1_b32 s24, s24, exec_lo
	s_and_b32 s25, vcc_lo, exec_lo
	s_delay_alu instid0(SALU_CYCLE_1)
	s_or_b32 s24, s24, s25
	s_or_b32 exec_lo, exec_lo, s23
	v_mov_b32_e32 v4, 0
	s_and_saveexec_b32 s23, s24
	s_cbranch_execnz .LBB379_296
	s_branch .LBB379_297
.LBB379_316:
	s_mov_b32 s19, -1
                                        ; implicit-def: $vgpr4
.LBB379_317:
	s_mov_b32 s24, 0
.LBB379_318:
	s_delay_alu instid0(SALU_CYCLE_1)
	s_and_b32 vcc_lo, exec_lo, s24
	s_cbranch_vccz .LBB379_322
; %bb.319:
	s_cmp_eq_u32 s18, 11
	s_cbranch_scc0 .LBB379_321
; %bb.320:
	s_wait_loadcnt 0x0
	global_load_u8 v1, v[2:3], off
	s_mov_b32 s19, 0
	s_mov_b32 s23, -1
	s_wait_loadcnt 0x0
	v_cmp_ne_u16_e32 vcc_lo, 0, v1
	v_cndmask_b32_e64 v4, 0, 1, vcc_lo
	s_branch .LBB379_322
.LBB379_321:
	s_mov_b32 s19, -1
                                        ; implicit-def: $vgpr4
.LBB379_322:
	s_branch .LBB379_20
.LBB379_323:
	s_and_b32 s0, 0xffff, s0
	s_delay_alu instid0(SALU_CYCLE_1)
	s_cmp_lt_i32 s0, 5
	s_cbranch_scc1 .LBB379_328
; %bb.324:
	s_cmp_lt_i32 s0, 8
	s_cbranch_scc1 .LBB379_329
; %bb.325:
	;; [unrolled: 3-line block ×3, first 2 shown]
	s_cmp_gt_i32 s0, 9
	s_cbranch_scc0 .LBB379_331
; %bb.327:
	s_wait_loadcnt 0x0
	global_load_b64 v[4:5], v[2:3], off
	s_mov_b32 s18, 0
	s_wait_loadcnt 0x0
	v_cvt_i32_f64_e32 v4, v[4:5]
	s_branch .LBB379_332
.LBB379_328:
	s_mov_b32 s18, -1
                                        ; implicit-def: $vgpr4
	s_branch .LBB379_350
.LBB379_329:
	s_mov_b32 s18, -1
                                        ; implicit-def: $vgpr4
	s_branch .LBB379_338
.LBB379_330:
	s_mov_b32 s18, -1
                                        ; implicit-def: $vgpr4
	s_branch .LBB379_335
.LBB379_331:
	s_mov_b32 s18, -1
                                        ; implicit-def: $vgpr4
.LBB379_332:
	s_delay_alu instid0(SALU_CYCLE_1)
	s_and_not1_b32 vcc_lo, exec_lo, s18
	s_cbranch_vccnz .LBB379_334
; %bb.333:
	s_wait_loadcnt 0x0
	global_load_b32 v1, v[2:3], off
	s_wait_loadcnt 0x0
	v_cvt_i32_f32_e32 v4, v1
.LBB379_334:
	s_mov_b32 s18, 0
.LBB379_335:
	s_delay_alu instid0(SALU_CYCLE_1)
	s_and_not1_b32 vcc_lo, exec_lo, s18
	s_cbranch_vccnz .LBB379_337
; %bb.336:
	s_wait_loadcnt 0x0
	global_load_b32 v1, v[2:3], off
	s_wait_loadcnt 0x0
	v_cvt_i16_f16_e32 v4, v1
.LBB379_337:
	s_mov_b32 s18, 0
.LBB379_338:
	s_delay_alu instid0(SALU_CYCLE_1)
	s_and_not1_b32 vcc_lo, exec_lo, s18
	s_cbranch_vccnz .LBB379_349
; %bb.339:
	s_cmp_lt_i32 s0, 6
	s_cbranch_scc1 .LBB379_342
; %bb.340:
	s_cmp_gt_i32 s0, 6
	s_cbranch_scc0 .LBB379_343
; %bb.341:
	s_wait_loadcnt 0x0
	global_load_b64 v[4:5], v[2:3], off
	s_mov_b32 s18, 0
	s_wait_loadcnt 0x0
	v_cvt_i32_f64_e32 v4, v[4:5]
	s_branch .LBB379_344
.LBB379_342:
	s_mov_b32 s18, -1
                                        ; implicit-def: $vgpr4
	s_branch .LBB379_347
.LBB379_343:
	s_mov_b32 s18, -1
                                        ; implicit-def: $vgpr4
.LBB379_344:
	s_delay_alu instid0(SALU_CYCLE_1)
	s_and_not1_b32 vcc_lo, exec_lo, s18
	s_cbranch_vccnz .LBB379_346
; %bb.345:
	s_wait_loadcnt 0x0
	global_load_b32 v1, v[2:3], off
	s_wait_loadcnt 0x0
	v_cvt_i32_f32_e32 v4, v1
.LBB379_346:
	s_mov_b32 s18, 0
.LBB379_347:
	s_delay_alu instid0(SALU_CYCLE_1)
	s_and_not1_b32 vcc_lo, exec_lo, s18
	s_cbranch_vccnz .LBB379_349
; %bb.348:
	s_wait_loadcnt 0x0
	global_load_u16 v1, v[2:3], off
	s_wait_loadcnt 0x0
	v_cvt_i16_f16_e32 v4, v1
.LBB379_349:
	s_mov_b32 s18, 0
.LBB379_350:
	s_delay_alu instid0(SALU_CYCLE_1)
	s_and_not1_b32 vcc_lo, exec_lo, s18
	s_cbranch_vccnz .LBB379_370
; %bb.351:
	s_cmp_lt_i32 s0, 2
	s_cbranch_scc1 .LBB379_355
; %bb.352:
	s_cmp_lt_i32 s0, 3
	s_cbranch_scc1 .LBB379_356
; %bb.353:
	s_cmp_gt_i32 s0, 3
	s_cbranch_scc0 .LBB379_357
; %bb.354:
	s_wait_loadcnt 0x0
	global_load_b64 v[4:5], v[2:3], off
	s_mov_b32 s18, 0
	s_branch .LBB379_358
.LBB379_355:
	s_mov_b32 s18, -1
                                        ; implicit-def: $vgpr4
	s_branch .LBB379_364
.LBB379_356:
	s_mov_b32 s18, -1
                                        ; implicit-def: $vgpr4
	s_branch .LBB379_361
.LBB379_357:
	s_mov_b32 s18, -1
                                        ; implicit-def: $vgpr4
.LBB379_358:
	s_delay_alu instid0(SALU_CYCLE_1)
	s_and_not1_b32 vcc_lo, exec_lo, s18
	s_cbranch_vccnz .LBB379_360
; %bb.359:
	s_wait_loadcnt 0x0
	global_load_b32 v4, v[2:3], off
.LBB379_360:
	s_mov_b32 s18, 0
.LBB379_361:
	s_delay_alu instid0(SALU_CYCLE_1)
	s_and_not1_b32 vcc_lo, exec_lo, s18
	s_cbranch_vccnz .LBB379_363
; %bb.362:
	s_wait_loadcnt 0x0
	global_load_u16 v4, v[2:3], off
.LBB379_363:
	s_mov_b32 s18, 0
.LBB379_364:
	s_delay_alu instid0(SALU_CYCLE_1)
	s_and_not1_b32 vcc_lo, exec_lo, s18
	s_cbranch_vccnz .LBB379_370
; %bb.365:
	s_cmp_gt_i32 s0, 0
	s_mov_b32 s0, 0
	s_cbranch_scc0 .LBB379_367
; %bb.366:
	s_wait_loadcnt 0x0
	global_load_u8 v4, v[2:3], off
	s_branch .LBB379_368
.LBB379_367:
	s_mov_b32 s0, -1
                                        ; implicit-def: $vgpr4
.LBB379_368:
	s_delay_alu instid0(SALU_CYCLE_1)
	s_and_not1_b32 vcc_lo, exec_lo, s0
	s_cbranch_vccnz .LBB379_370
; %bb.369:
	s_wait_loadcnt 0x0
	global_load_u8 v4, v[2:3], off
.LBB379_370:
	s_branch .LBB379_21
.LBB379_371:
	s_mov_b32 s0, 0
.LBB379_372:
	s_mov_b32 s23, 0
                                        ; implicit-def: $vgpr18
.LBB379_373:
	s_and_b32 s18, s0, exec_lo
	s_and_b32 s19, s19, exec_lo
	;; [unrolled: 1-line block ×3, first 2 shown]
	s_or_not1_b32 s25, s23, exec_lo
.LBB379_374:
	s_wait_xcnt 0x0
	s_or_b32 exec_lo, exec_lo, s21
	s_mov_b32 s24, 0
	s_mov_b32 s23, 0
                                        ; implicit-def: $sgpr0
                                        ; implicit-def: $vgpr2_vgpr3
                                        ; implicit-def: $vgpr0
	s_and_saveexec_b32 s21, s25
	s_cbranch_execz .LBB379_383
; %bb.375:
	s_mov_b32 s27, -1
	s_mov_b32 s22, s20
	s_mov_b32 s24, s19
	;; [unrolled: 1-line block ×3, first 2 shown]
	s_mov_b32 s25, exec_lo
	v_cmpx_gt_i32_e64 s17, v18
	s_cbranch_execz .LBB379_759
; %bb.376:
	s_wait_loadcnt 0x0
	v_mul_lo_u32 v0, v18, s9
	s_and_b32 s0, s14, 0xff
	s_delay_alu instid0(SALU_CYCLE_1) | instskip(NEXT) | instid1(VALU_DEP_1)
	s_cmp_lt_i32 s0, 11
	v_ashrrev_i32_e32 v1, 31, v0
	s_delay_alu instid0(VALU_DEP_1)
	v_add_nc_u64_e32 v[2:3], s[6:7], v[0:1]
	s_cbranch_scc1 .LBB379_386
; %bb.377:
	s_and_b32 s23, 0xffff, s0
	s_delay_alu instid0(SALU_CYCLE_1)
	s_cmp_gt_i32 s23, 25
	s_cbranch_scc0 .LBB379_395
; %bb.378:
	s_cmp_gt_i32 s23, 28
	s_cbranch_scc0 .LBB379_397
; %bb.379:
	;; [unrolled: 3-line block ×4, first 2 shown]
	s_cmp_eq_u32 s23, 46
	s_mov_b32 s26, 0
	s_cbranch_scc0 .LBB379_405
; %bb.382:
	global_load_b32 v0, v[2:3], off
	s_mov_b32 s24, -1
	s_mov_b32 s22, 0
	s_wait_loadcnt 0x0
	v_lshlrev_b32_e32 v0, 16, v0
	s_delay_alu instid0(VALU_DEP_1)
	v_cvt_i32_f32_e32 v0, v0
	s_branch .LBB379_407
.LBB379_383:
	s_or_b32 exec_lo, exec_lo, s21
	s_mov_b32 s17, 0
	s_and_saveexec_b32 s21, s20
	s_cbranch_execnz .LBB379_1223
.LBB379_384:
	s_or_b32 exec_lo, exec_lo, s21
	s_and_saveexec_b32 s20, s22
	s_delay_alu instid0(SALU_CYCLE_1)
	s_xor_b32 s20, exec_lo, s20
	s_cbranch_execz .LBB379_1224
.LBB379_385:
	s_wait_loadcnt 0x0
	global_load_u8 v0, v[2:3], off
	s_or_b32 s23, s23, exec_lo
	s_wait_loadcnt 0x0
	v_cmp_ne_u16_e32 vcc_lo, 0, v0
	v_cndmask_b32_e64 v0, 0, 1, vcc_lo
	s_wait_xcnt 0x0
	s_or_b32 exec_lo, exec_lo, s20
	s_and_saveexec_b32 s20, s24
	s_cbranch_execz .LBB379_1270
	s_branch .LBB379_1225
.LBB379_386:
	s_mov_b32 s24, 0
	s_mov_b32 s22, s20
                                        ; implicit-def: $vgpr0
	s_cbranch_execnz .LBB379_469
.LBB379_387:
	s_and_not1_b32 vcc_lo, exec_lo, s24
	s_cbranch_vccnz .LBB379_517
.LBB379_388:
	s_wait_xcnt 0x0
	v_mul_lo_u32 v2, v18, s10
	s_and_b32 s0, s1, 0xff
	s_delay_alu instid0(SALU_CYCLE_1) | instskip(NEXT) | instid1(VALU_DEP_1)
	s_cmp_lt_i32 s0, 11
	v_ashrrev_i32_e32 v3, 31, v2
	s_delay_alu instid0(VALU_DEP_1)
	v_add_nc_u64_e32 v[2:3], s[2:3], v[2:3]
	s_cbranch_scc1 .LBB379_396
; %bb.389:
	s_and_b32 s23, 0xffff, s0
	s_delay_alu instid0(SALU_CYCLE_1)
	s_cmp_gt_i32 s23, 25
	s_cbranch_scc0 .LBB379_398
; %bb.390:
	s_cmp_gt_i32 s23, 28
	s_cbranch_scc0 .LBB379_400
; %bb.391:
	;; [unrolled: 3-line block ×4, first 2 shown]
	s_cmp_eq_u32 s23, 46
	s_mov_b32 s27, 0
	s_cbranch_scc0 .LBB379_520
; %bb.394:
	s_wait_loadcnt 0x0
	global_load_b32 v1, v[2:3], off
	s_mov_b32 s26, -1
	s_mov_b32 s24, 0
	s_wait_loadcnt 0x0
	v_lshlrev_b32_e32 v1, 16, v1
	s_delay_alu instid0(VALU_DEP_1)
	v_cvt_i32_f32_e32 v4, v1
	s_branch .LBB379_522
.LBB379_395:
	s_mov_b32 s26, -1
	s_mov_b32 s24, 0
	s_mov_b32 s22, s20
                                        ; implicit-def: $vgpr0
	s_branch .LBB379_435
.LBB379_396:
	s_mov_b32 s23, -1
	s_mov_b32 s26, 0
	s_mov_b32 s24, s19
                                        ; implicit-def: $vgpr4
	s_branch .LBB379_583
.LBB379_397:
	s_mov_b32 s26, -1
	s_mov_b32 s24, 0
	s_mov_b32 s22, s20
                                        ; implicit-def: $vgpr0
	s_branch .LBB379_418
.LBB379_398:
	s_mov_b32 s27, -1
	s_mov_b32 s26, 0
	s_mov_b32 s24, s19
                                        ; implicit-def: $vgpr4
	s_branch .LBB379_549
.LBB379_399:
	s_mov_b32 s26, -1
	s_mov_b32 s24, 0
	s_mov_b32 s22, s20
                                        ; implicit-def: $vgpr0
	s_branch .LBB379_413
.LBB379_400:
	s_mov_b32 s27, -1
	s_mov_b32 s26, 0
	s_mov_b32 s24, s19
                                        ; implicit-def: $vgpr4
	s_branch .LBB379_532
.LBB379_401:
	s_mov_b32 s26, -1
	s_mov_b32 s24, 0
	s_mov_b32 s22, s20
	s_branch .LBB379_406
.LBB379_402:
	s_mov_b32 s27, -1
	s_mov_b32 s26, 0
	s_mov_b32 s24, s19
                                        ; implicit-def: $vgpr4
	s_branch .LBB379_527
.LBB379_403:
	s_and_not1_saveexec_b32 s27, s27
	s_cbranch_execz .LBB379_176
.LBB379_404:
	v_add_f32_e32 v2, 0x46000000, v3
	s_and_not1_b32 s26, s26, exec_lo
	s_delay_alu instid0(VALU_DEP_1) | instskip(NEXT) | instid1(VALU_DEP_1)
	v_and_b32_e32 v2, 0xff, v2
	v_cmp_ne_u32_e32 vcc_lo, 0, v2
	s_and_b32 s28, vcc_lo, exec_lo
	s_delay_alu instid0(SALU_CYCLE_1)
	s_or_b32 s26, s26, s28
	s_or_b32 exec_lo, exec_lo, s27
	v_mov_b32_e32 v4, 0
	s_and_saveexec_b32 s27, s26
	s_cbranch_execnz .LBB379_177
	s_branch .LBB379_178
.LBB379_405:
	s_mov_b32 s22, -1
	s_mov_b32 s24, 0
.LBB379_406:
                                        ; implicit-def: $vgpr0
.LBB379_407:
	s_and_b32 vcc_lo, exec_lo, s26
	s_cbranch_vccz .LBB379_412
; %bb.408:
	s_cmp_eq_u32 s23, 44
	s_cbranch_scc0 .LBB379_411
; %bb.409:
	global_load_u8 v0, v[2:3], off
	s_mov_b32 s22, 0
	s_mov_b32 s24, -1
	s_wait_loadcnt 0x0
	v_lshlrev_b32_e32 v1, 23, v0
	v_cmp_ne_u32_e32 vcc_lo, 0, v0
	s_delay_alu instid0(VALU_DEP_2) | instskip(NEXT) | instid1(VALU_DEP_1)
	v_cvt_i32_f32_e32 v1, v1
	v_cndmask_b32_e32 v0, 0, v1, vcc_lo
	s_branch .LBB379_412
.LBB379_410:
	s_mov_b32 s27, -1
	s_mov_b32 s26, 0
	s_mov_b32 s24, s19
	s_branch .LBB379_521
.LBB379_411:
	s_mov_b32 s22, -1
                                        ; implicit-def: $vgpr0
.LBB379_412:
	s_mov_b32 s26, 0
.LBB379_413:
	s_delay_alu instid0(SALU_CYCLE_1)
	s_and_b32 vcc_lo, exec_lo, s26
	s_cbranch_vccz .LBB379_417
; %bb.414:
	s_cmp_eq_u32 s23, 29
	s_cbranch_scc0 .LBB379_416
; %bb.415:
	global_load_b64 v[0:1], v[2:3], off
	s_mov_b32 s24, -1
	s_mov_b32 s22, 0
	s_branch .LBB379_417
.LBB379_416:
	s_mov_b32 s22, -1
                                        ; implicit-def: $vgpr0
.LBB379_417:
	s_mov_b32 s26, 0
.LBB379_418:
	s_delay_alu instid0(SALU_CYCLE_1)
	s_and_b32 vcc_lo, exec_lo, s26
	s_cbranch_vccz .LBB379_434
; %bb.419:
	s_cmp_lt_i32 s23, 27
	s_cbranch_scc1 .LBB379_422
; %bb.420:
	s_cmp_gt_i32 s23, 27
	s_cbranch_scc0 .LBB379_423
; %bb.421:
	s_wait_loadcnt 0x0
	global_load_b32 v0, v[2:3], off
	s_mov_b32 s24, 0
	s_branch .LBB379_424
.LBB379_422:
	s_mov_b32 s24, -1
                                        ; implicit-def: $vgpr0
	s_branch .LBB379_427
.LBB379_423:
	s_mov_b32 s24, -1
                                        ; implicit-def: $vgpr0
.LBB379_424:
	s_delay_alu instid0(SALU_CYCLE_1)
	s_and_not1_b32 vcc_lo, exec_lo, s24
	s_cbranch_vccnz .LBB379_426
; %bb.425:
	s_wait_loadcnt 0x0
	global_load_u16 v0, v[2:3], off
.LBB379_426:
	s_mov_b32 s24, 0
.LBB379_427:
	s_delay_alu instid0(SALU_CYCLE_1)
	s_and_not1_b32 vcc_lo, exec_lo, s24
	s_cbranch_vccnz .LBB379_433
; %bb.428:
	s_wait_loadcnt 0x0
	global_load_u8 v1, v[2:3], off
	s_mov_b32 s26, 0
	s_mov_b32 s24, exec_lo
	s_wait_loadcnt 0x0
	v_cmpx_lt_i16_e32 0x7f, v1
	s_xor_b32 s24, exec_lo, s24
	s_cbranch_execz .LBB379_445
; %bb.429:
	v_cmp_ne_u16_e32 vcc_lo, 0x80, v1
	s_and_b32 s26, vcc_lo, exec_lo
	s_and_not1_saveexec_b32 s24, s24
	s_cbranch_execnz .LBB379_446
.LBB379_430:
	s_or_b32 exec_lo, exec_lo, s24
	v_mov_b32_e32 v0, 0
	s_and_saveexec_b32 s24, s26
	s_cbranch_execz .LBB379_432
.LBB379_431:
	v_and_b32_e32 v0, 0xffff, v1
	s_delay_alu instid0(VALU_DEP_1) | instskip(SKIP_1) | instid1(VALU_DEP_2)
	v_and_b32_e32 v4, 7, v0
	v_bfe_u32 v7, v0, 3, 4
	v_clz_i32_u32_e32 v5, v4
	s_delay_alu instid0(VALU_DEP_2) | instskip(NEXT) | instid1(VALU_DEP_2)
	v_cmp_eq_u32_e32 vcc_lo, 0, v7
	v_min_u32_e32 v5, 32, v5
	s_delay_alu instid0(VALU_DEP_1) | instskip(NEXT) | instid1(VALU_DEP_1)
	v_subrev_nc_u32_e32 v6, 28, v5
	v_dual_lshlrev_b32 v0, v6, v0 :: v_dual_sub_nc_u32 v5, 29, v5
	s_delay_alu instid0(VALU_DEP_1) | instskip(NEXT) | instid1(VALU_DEP_1)
	v_dual_lshlrev_b32 v1, 24, v1 :: v_dual_bitop2_b32 v0, 7, v0 bitop3:0x40
	v_dual_cndmask_b32 v0, v4, v0 :: v_dual_cndmask_b32 v5, v7, v5
	s_delay_alu instid0(VALU_DEP_2) | instskip(NEXT) | instid1(VALU_DEP_2)
	v_and_b32_e32 v1, 0x80000000, v1
	v_lshlrev_b32_e32 v0, 20, v0
	s_delay_alu instid0(VALU_DEP_3) | instskip(NEXT) | instid1(VALU_DEP_1)
	v_lshl_add_u32 v4, v5, 23, 0x3b800000
	v_or3_b32 v0, v1, v4, v0
	s_delay_alu instid0(VALU_DEP_1)
	v_cvt_i32_f32_e32 v0, v0
.LBB379_432:
	s_or_b32 exec_lo, exec_lo, s24
.LBB379_433:
	s_mov_b32 s24, -1
.LBB379_434:
	s_mov_b32 s26, 0
.LBB379_435:
	s_delay_alu instid0(SALU_CYCLE_1)
	s_and_b32 vcc_lo, exec_lo, s26
	s_cbranch_vccz .LBB379_468
; %bb.436:
	s_cmp_gt_i32 s23, 22
	s_cbranch_scc0 .LBB379_444
; %bb.437:
	s_cmp_lt_i32 s23, 24
	s_cbranch_scc1 .LBB379_447
; %bb.438:
	s_cmp_gt_i32 s23, 24
	s_cbranch_scc0 .LBB379_448
; %bb.439:
	s_wait_loadcnt 0x0
	global_load_u8 v1, v[2:3], off
	s_mov_b32 s26, 0
	s_mov_b32 s24, exec_lo
	s_wait_loadcnt 0x0
	v_cmpx_lt_i16_e32 0x7f, v1
	s_xor_b32 s24, exec_lo, s24
	s_cbranch_execz .LBB379_460
; %bb.440:
	v_cmp_ne_u16_e32 vcc_lo, 0x80, v1
	s_and_b32 s26, vcc_lo, exec_lo
	s_and_not1_saveexec_b32 s24, s24
	s_cbranch_execnz .LBB379_461
.LBB379_441:
	s_or_b32 exec_lo, exec_lo, s24
	v_mov_b32_e32 v0, 0
	s_and_saveexec_b32 s24, s26
	s_cbranch_execz .LBB379_443
.LBB379_442:
	v_and_b32_e32 v0, 0xffff, v1
	s_delay_alu instid0(VALU_DEP_1) | instskip(SKIP_1) | instid1(VALU_DEP_2)
	v_and_b32_e32 v4, 3, v0
	v_bfe_u32 v7, v0, 2, 5
	v_clz_i32_u32_e32 v5, v4
	s_delay_alu instid0(VALU_DEP_2) | instskip(NEXT) | instid1(VALU_DEP_2)
	v_cmp_eq_u32_e32 vcc_lo, 0, v7
	v_min_u32_e32 v5, 32, v5
	s_delay_alu instid0(VALU_DEP_1) | instskip(NEXT) | instid1(VALU_DEP_1)
	v_subrev_nc_u32_e32 v6, 29, v5
	v_dual_lshlrev_b32 v0, v6, v0 :: v_dual_sub_nc_u32 v5, 30, v5
	s_delay_alu instid0(VALU_DEP_1) | instskip(NEXT) | instid1(VALU_DEP_1)
	v_dual_lshlrev_b32 v1, 24, v1 :: v_dual_bitop2_b32 v0, 3, v0 bitop3:0x40
	v_dual_cndmask_b32 v0, v4, v0 :: v_dual_cndmask_b32 v5, v7, v5
	s_delay_alu instid0(VALU_DEP_2) | instskip(NEXT) | instid1(VALU_DEP_2)
	v_and_b32_e32 v1, 0x80000000, v1
	v_lshlrev_b32_e32 v0, 21, v0
	s_delay_alu instid0(VALU_DEP_3) | instskip(NEXT) | instid1(VALU_DEP_1)
	v_lshl_add_u32 v4, v5, 23, 0x37800000
	v_or3_b32 v0, v1, v4, v0
	s_delay_alu instid0(VALU_DEP_1)
	v_cvt_i32_f32_e32 v0, v0
.LBB379_443:
	s_or_b32 exec_lo, exec_lo, s24
	s_mov_b32 s24, 0
	s_branch .LBB379_449
.LBB379_444:
	s_mov_b32 s26, -1
                                        ; implicit-def: $vgpr0
	s_branch .LBB379_455
.LBB379_445:
	s_and_not1_saveexec_b32 s24, s24
	s_cbranch_execz .LBB379_430
.LBB379_446:
	v_cmp_ne_u16_e32 vcc_lo, 0, v1
	s_and_not1_b32 s26, s26, exec_lo
	s_and_b32 s27, vcc_lo, exec_lo
	s_delay_alu instid0(SALU_CYCLE_1)
	s_or_b32 s26, s26, s27
	s_or_b32 exec_lo, exec_lo, s24
	v_mov_b32_e32 v0, 0
	s_and_saveexec_b32 s24, s26
	s_cbranch_execnz .LBB379_431
	s_branch .LBB379_432
.LBB379_447:
	s_mov_b32 s24, -1
                                        ; implicit-def: $vgpr0
	s_branch .LBB379_452
.LBB379_448:
	s_mov_b32 s24, -1
                                        ; implicit-def: $vgpr0
.LBB379_449:
	s_delay_alu instid0(SALU_CYCLE_1)
	s_and_b32 vcc_lo, exec_lo, s24
	s_cbranch_vccz .LBB379_451
; %bb.450:
	s_wait_loadcnt 0x0
	global_load_u8 v0, v[2:3], off
	s_wait_loadcnt 0x0
	v_lshlrev_b32_e32 v0, 24, v0
	s_delay_alu instid0(VALU_DEP_1) | instskip(NEXT) | instid1(VALU_DEP_1)
	v_and_b32_e32 v1, 0x7f000000, v0
	v_clz_i32_u32_e32 v4, v1
	v_cmp_ne_u32_e32 vcc_lo, 0, v1
	v_add_nc_u32_e32 v6, 0x1000000, v1
	s_delay_alu instid0(VALU_DEP_3) | instskip(NEXT) | instid1(VALU_DEP_1)
	v_min_u32_e32 v4, 32, v4
	v_sub_nc_u32_e64 v4, v4, 4 clamp
	s_delay_alu instid0(VALU_DEP_1) | instskip(NEXT) | instid1(VALU_DEP_1)
	v_dual_lshlrev_b32 v5, v4, v1 :: v_dual_lshlrev_b32 v4, 23, v4
	v_lshrrev_b32_e32 v5, 4, v5
	s_delay_alu instid0(VALU_DEP_1) | instskip(NEXT) | instid1(VALU_DEP_1)
	v_dual_sub_nc_u32 v4, v5, v4 :: v_dual_ashrrev_i32 v5, 8, v6
	v_add_nc_u32_e32 v4, 0x3c000000, v4
	s_delay_alu instid0(VALU_DEP_1) | instskip(NEXT) | instid1(VALU_DEP_1)
	v_and_or_b32 v4, 0x7f800000, v5, v4
	v_cndmask_b32_e32 v1, 0, v4, vcc_lo
	s_delay_alu instid0(VALU_DEP_1) | instskip(NEXT) | instid1(VALU_DEP_1)
	v_and_or_b32 v0, 0x80000000, v0, v1
	v_cvt_i32_f32_e32 v0, v0
.LBB379_451:
	s_mov_b32 s24, 0
.LBB379_452:
	s_delay_alu instid0(SALU_CYCLE_1)
	s_and_not1_b32 vcc_lo, exec_lo, s24
	s_cbranch_vccnz .LBB379_454
; %bb.453:
	s_wait_loadcnt 0x0
	global_load_u8 v0, v[2:3], off
	s_wait_loadcnt 0x0
	v_lshlrev_b32_e32 v1, 25, v0
	v_lshlrev_b16 v0, 8, v0
	s_delay_alu instid0(VALU_DEP_1) | instskip(SKIP_1) | instid1(VALU_DEP_2)
	v_and_or_b32 v5, 0x7f00, v0, 0.5
	v_bfe_i32 v0, v0, 0, 16
	v_add_f32_e32 v5, -0.5, v5
	v_lshrrev_b32_e32 v4, 4, v1
	v_cmp_gt_u32_e32 vcc_lo, 0x8000000, v1
	s_delay_alu instid0(VALU_DEP_2) | instskip(NEXT) | instid1(VALU_DEP_1)
	v_or_b32_e32 v4, 0x70000000, v4
	v_mul_f32_e32 v4, 0x7800000, v4
	s_delay_alu instid0(VALU_DEP_1) | instskip(NEXT) | instid1(VALU_DEP_1)
	v_cndmask_b32_e32 v1, v4, v5, vcc_lo
	v_and_or_b32 v0, 0x80000000, v0, v1
	s_delay_alu instid0(VALU_DEP_1)
	v_cvt_i32_f32_e32 v0, v0
.LBB379_454:
	s_mov_b32 s26, 0
	s_mov_b32 s24, -1
.LBB379_455:
	s_and_not1_b32 vcc_lo, exec_lo, s26
	s_cbranch_vccnz .LBB379_468
; %bb.456:
	s_cmp_gt_i32 s23, 14
	s_cbranch_scc0 .LBB379_459
; %bb.457:
	s_cmp_eq_u32 s23, 15
	s_cbranch_scc0 .LBB379_462
; %bb.458:
	s_wait_loadcnt 0x0
	global_load_u16 v0, v[2:3], off
	s_mov_b32 s24, -1
	s_mov_b32 s22, 0
	s_wait_loadcnt 0x0
	v_lshlrev_b32_e32 v0, 16, v0
	s_delay_alu instid0(VALU_DEP_1)
	v_cvt_i32_f32_e32 v0, v0
	s_branch .LBB379_463
.LBB379_459:
	s_mov_b32 s26, -1
                                        ; implicit-def: $vgpr0
	s_branch .LBB379_464
.LBB379_460:
	s_and_not1_saveexec_b32 s24, s24
	s_cbranch_execz .LBB379_441
.LBB379_461:
	v_cmp_ne_u16_e32 vcc_lo, 0, v1
	s_and_not1_b32 s26, s26, exec_lo
	s_and_b32 s27, vcc_lo, exec_lo
	s_delay_alu instid0(SALU_CYCLE_1)
	s_or_b32 s26, s26, s27
	s_or_b32 exec_lo, exec_lo, s24
	v_mov_b32_e32 v0, 0
	s_and_saveexec_b32 s24, s26
	s_cbranch_execnz .LBB379_442
	s_branch .LBB379_443
.LBB379_462:
	s_mov_b32 s22, -1
                                        ; implicit-def: $vgpr0
.LBB379_463:
	s_mov_b32 s26, 0
.LBB379_464:
	s_delay_alu instid0(SALU_CYCLE_1)
	s_and_b32 vcc_lo, exec_lo, s26
	s_cbranch_vccz .LBB379_468
; %bb.465:
	s_cmp_eq_u32 s23, 11
	s_cbranch_scc0 .LBB379_467
; %bb.466:
	s_wait_loadcnt 0x0
	global_load_u8 v0, v[2:3], off
	s_mov_b32 s22, 0
	s_mov_b32 s24, -1
	s_wait_loadcnt 0x0
	v_cmp_ne_u16_e32 vcc_lo, 0, v0
	v_cndmask_b32_e64 v0, 0, 1, vcc_lo
	s_branch .LBB379_468
.LBB379_467:
	s_mov_b32 s22, -1
                                        ; implicit-def: $vgpr0
.LBB379_468:
	s_branch .LBB379_387
.LBB379_469:
	s_and_b32 s0, 0xffff, s0
	s_delay_alu instid0(SALU_CYCLE_1)
	s_cmp_lt_i32 s0, 5
	s_cbranch_scc1 .LBB379_474
; %bb.470:
	s_cmp_lt_i32 s0, 8
	s_cbranch_scc1 .LBB379_475
; %bb.471:
	;; [unrolled: 3-line block ×3, first 2 shown]
	s_cmp_gt_i32 s0, 9
	s_cbranch_scc0 .LBB379_477
; %bb.473:
	s_wait_loadcnt 0x0
	global_load_b64 v[0:1], v[2:3], off
	s_mov_b32 s23, 0
	s_wait_loadcnt 0x0
	v_cvt_i32_f64_e32 v0, v[0:1]
	s_branch .LBB379_478
.LBB379_474:
	s_mov_b32 s23, -1
                                        ; implicit-def: $vgpr0
	s_branch .LBB379_496
.LBB379_475:
	s_mov_b32 s23, -1
                                        ; implicit-def: $vgpr0
	s_branch .LBB379_484
.LBB379_476:
	s_mov_b32 s23, -1
                                        ; implicit-def: $vgpr0
	s_branch .LBB379_481
.LBB379_477:
	s_mov_b32 s23, -1
                                        ; implicit-def: $vgpr0
.LBB379_478:
	s_delay_alu instid0(SALU_CYCLE_1)
	s_and_not1_b32 vcc_lo, exec_lo, s23
	s_cbranch_vccnz .LBB379_480
; %bb.479:
	s_wait_loadcnt 0x0
	global_load_b32 v0, v[2:3], off
	s_wait_loadcnt 0x0
	v_cvt_i32_f32_e32 v0, v0
.LBB379_480:
	s_mov_b32 s23, 0
.LBB379_481:
	s_delay_alu instid0(SALU_CYCLE_1)
	s_and_not1_b32 vcc_lo, exec_lo, s23
	s_cbranch_vccnz .LBB379_483
; %bb.482:
	s_wait_loadcnt 0x0
	global_load_b32 v0, v[2:3], off
	s_wait_loadcnt 0x0
	v_cvt_i16_f16_e32 v0, v0
.LBB379_483:
	s_mov_b32 s23, 0
.LBB379_484:
	s_delay_alu instid0(SALU_CYCLE_1)
	s_and_not1_b32 vcc_lo, exec_lo, s23
	s_cbranch_vccnz .LBB379_495
; %bb.485:
	s_cmp_lt_i32 s0, 6
	s_cbranch_scc1 .LBB379_488
; %bb.486:
	s_cmp_gt_i32 s0, 6
	s_cbranch_scc0 .LBB379_489
; %bb.487:
	s_wait_loadcnt 0x0
	global_load_b64 v[0:1], v[2:3], off
	s_mov_b32 s23, 0
	s_wait_loadcnt 0x0
	v_cvt_i32_f64_e32 v0, v[0:1]
	s_branch .LBB379_490
.LBB379_488:
	s_mov_b32 s23, -1
                                        ; implicit-def: $vgpr0
	s_branch .LBB379_493
.LBB379_489:
	s_mov_b32 s23, -1
                                        ; implicit-def: $vgpr0
.LBB379_490:
	s_delay_alu instid0(SALU_CYCLE_1)
	s_and_not1_b32 vcc_lo, exec_lo, s23
	s_cbranch_vccnz .LBB379_492
; %bb.491:
	s_wait_loadcnt 0x0
	global_load_b32 v0, v[2:3], off
	s_wait_loadcnt 0x0
	v_cvt_i32_f32_e32 v0, v0
.LBB379_492:
	s_mov_b32 s23, 0
.LBB379_493:
	s_delay_alu instid0(SALU_CYCLE_1)
	s_and_not1_b32 vcc_lo, exec_lo, s23
	s_cbranch_vccnz .LBB379_495
; %bb.494:
	s_wait_loadcnt 0x0
	global_load_u16 v0, v[2:3], off
	s_wait_loadcnt 0x0
	v_cvt_i16_f16_e32 v0, v0
.LBB379_495:
	s_mov_b32 s23, 0
.LBB379_496:
	s_delay_alu instid0(SALU_CYCLE_1)
	s_and_not1_b32 vcc_lo, exec_lo, s23
	s_cbranch_vccnz .LBB379_516
; %bb.497:
	s_cmp_lt_i32 s0, 2
	s_cbranch_scc1 .LBB379_501
; %bb.498:
	s_cmp_lt_i32 s0, 3
	s_cbranch_scc1 .LBB379_502
; %bb.499:
	s_cmp_gt_i32 s0, 3
	s_cbranch_scc0 .LBB379_503
; %bb.500:
	s_wait_loadcnt 0x0
	global_load_b64 v[0:1], v[2:3], off
	s_mov_b32 s23, 0
	s_branch .LBB379_504
.LBB379_501:
	s_mov_b32 s23, -1
                                        ; implicit-def: $vgpr0
	s_branch .LBB379_510
.LBB379_502:
	s_mov_b32 s23, -1
                                        ; implicit-def: $vgpr0
	s_branch .LBB379_507
.LBB379_503:
	s_mov_b32 s23, -1
                                        ; implicit-def: $vgpr0
.LBB379_504:
	s_delay_alu instid0(SALU_CYCLE_1)
	s_and_not1_b32 vcc_lo, exec_lo, s23
	s_cbranch_vccnz .LBB379_506
; %bb.505:
	s_wait_loadcnt 0x0
	global_load_b32 v0, v[2:3], off
.LBB379_506:
	s_mov_b32 s23, 0
.LBB379_507:
	s_delay_alu instid0(SALU_CYCLE_1)
	s_and_not1_b32 vcc_lo, exec_lo, s23
	s_cbranch_vccnz .LBB379_509
; %bb.508:
	s_wait_loadcnt 0x0
	global_load_u16 v0, v[2:3], off
.LBB379_509:
	s_mov_b32 s23, 0
.LBB379_510:
	s_delay_alu instid0(SALU_CYCLE_1)
	s_and_not1_b32 vcc_lo, exec_lo, s23
	s_cbranch_vccnz .LBB379_516
; %bb.511:
	s_cmp_gt_i32 s0, 0
	s_mov_b32 s0, 0
	s_cbranch_scc0 .LBB379_513
; %bb.512:
	s_wait_loadcnt 0x0
	global_load_u8 v0, v[2:3], off
	s_branch .LBB379_514
.LBB379_513:
	s_mov_b32 s0, -1
                                        ; implicit-def: $vgpr0
.LBB379_514:
	s_delay_alu instid0(SALU_CYCLE_1)
	s_and_not1_b32 vcc_lo, exec_lo, s0
	s_cbranch_vccnz .LBB379_516
; %bb.515:
	s_wait_loadcnt 0x0
	global_load_u8 v0, v[2:3], off
.LBB379_516:
	s_branch .LBB379_388
.LBB379_517:
	s_mov_b32 s26, 0
	s_mov_b32 s0, s18
	;; [unrolled: 1-line block ×3, first 2 shown]
	s_branch .LBB379_757
.LBB379_518:
	s_and_not1_saveexec_b32 s27, s27
	s_cbranch_execz .LBB379_189
.LBB379_519:
	v_add_f32_e32 v2, 0x42800000, v3
	s_and_not1_b32 s26, s26, exec_lo
	s_delay_alu instid0(VALU_DEP_1) | instskip(NEXT) | instid1(VALU_DEP_1)
	v_and_b32_e32 v2, 0xff, v2
	v_cmp_ne_u32_e32 vcc_lo, 0, v2
	s_and_b32 s28, vcc_lo, exec_lo
	s_delay_alu instid0(SALU_CYCLE_1)
	s_or_b32 s26, s26, s28
	s_or_b32 exec_lo, exec_lo, s27
	v_mov_b32_e32 v4, 0
	s_and_saveexec_b32 s27, s26
	s_cbranch_execnz .LBB379_190
	s_branch .LBB379_191
.LBB379_520:
	s_mov_b32 s24, -1
	s_mov_b32 s26, 0
.LBB379_521:
                                        ; implicit-def: $vgpr4
.LBB379_522:
	s_and_b32 vcc_lo, exec_lo, s27
	s_cbranch_vccz .LBB379_526
; %bb.523:
	s_cmp_eq_u32 s23, 44
	s_cbranch_scc0 .LBB379_525
; %bb.524:
	s_wait_loadcnt 0x0
	global_load_u8 v1, v[2:3], off
	s_mov_b32 s24, 0
	s_mov_b32 s26, -1
	s_wait_loadcnt 0x0
	v_lshlrev_b32_e32 v4, 23, v1
	v_cmp_ne_u32_e32 vcc_lo, 0, v1
	s_delay_alu instid0(VALU_DEP_2) | instskip(NEXT) | instid1(VALU_DEP_1)
	v_cvt_i32_f32_e32 v4, v4
	v_cndmask_b32_e32 v4, 0, v4, vcc_lo
	s_branch .LBB379_526
.LBB379_525:
	s_mov_b32 s24, -1
                                        ; implicit-def: $vgpr4
.LBB379_526:
	s_mov_b32 s27, 0
.LBB379_527:
	s_delay_alu instid0(SALU_CYCLE_1)
	s_and_b32 vcc_lo, exec_lo, s27
	s_cbranch_vccz .LBB379_531
; %bb.528:
	s_cmp_eq_u32 s23, 29
	s_cbranch_scc0 .LBB379_530
; %bb.529:
	global_load_b64 v[4:5], v[2:3], off
	s_mov_b32 s26, -1
	s_mov_b32 s24, 0
	s_branch .LBB379_531
.LBB379_530:
	s_mov_b32 s24, -1
                                        ; implicit-def: $vgpr4
.LBB379_531:
	s_mov_b32 s27, 0
.LBB379_532:
	s_delay_alu instid0(SALU_CYCLE_1)
	s_and_b32 vcc_lo, exec_lo, s27
	s_cbranch_vccz .LBB379_548
; %bb.533:
	s_cmp_lt_i32 s23, 27
	s_cbranch_scc1 .LBB379_536
; %bb.534:
	s_cmp_gt_i32 s23, 27
	s_cbranch_scc0 .LBB379_537
; %bb.535:
	s_wait_loadcnt 0x0
	global_load_b32 v4, v[2:3], off
	s_mov_b32 s26, 0
	s_branch .LBB379_538
.LBB379_536:
	s_mov_b32 s26, -1
                                        ; implicit-def: $vgpr4
	s_branch .LBB379_541
.LBB379_537:
	s_mov_b32 s26, -1
                                        ; implicit-def: $vgpr4
.LBB379_538:
	s_delay_alu instid0(SALU_CYCLE_1)
	s_and_not1_b32 vcc_lo, exec_lo, s26
	s_cbranch_vccnz .LBB379_540
; %bb.539:
	s_wait_loadcnt 0x0
	global_load_u16 v4, v[2:3], off
.LBB379_540:
	s_mov_b32 s26, 0
.LBB379_541:
	s_delay_alu instid0(SALU_CYCLE_1)
	s_and_not1_b32 vcc_lo, exec_lo, s26
	s_cbranch_vccnz .LBB379_547
; %bb.542:
	s_wait_loadcnt 0x0
	global_load_u8 v1, v[2:3], off
	s_mov_b32 s27, 0
	s_mov_b32 s26, exec_lo
	s_wait_loadcnt 0x0
	v_cmpx_lt_i16_e32 0x7f, v1
	s_xor_b32 s26, exec_lo, s26
	s_cbranch_execz .LBB379_559
; %bb.543:
	v_cmp_ne_u16_e32 vcc_lo, 0x80, v1
	s_and_b32 s27, vcc_lo, exec_lo
	s_and_not1_saveexec_b32 s26, s26
	s_cbranch_execnz .LBB379_560
.LBB379_544:
	s_or_b32 exec_lo, exec_lo, s26
	v_mov_b32_e32 v4, 0
	s_and_saveexec_b32 s26, s27
	s_cbranch_execz .LBB379_546
.LBB379_545:
	v_and_b32_e32 v4, 0xffff, v1
	s_delay_alu instid0(VALU_DEP_1) | instskip(SKIP_1) | instid1(VALU_DEP_2)
	v_and_b32_e32 v5, 7, v4
	v_bfe_u32 v8, v4, 3, 4
	v_clz_i32_u32_e32 v6, v5
	s_delay_alu instid0(VALU_DEP_2) | instskip(NEXT) | instid1(VALU_DEP_2)
	v_cmp_eq_u32_e32 vcc_lo, 0, v8
	v_min_u32_e32 v6, 32, v6
	s_delay_alu instid0(VALU_DEP_1) | instskip(NEXT) | instid1(VALU_DEP_1)
	v_subrev_nc_u32_e32 v7, 28, v6
	v_dual_lshlrev_b32 v4, v7, v4 :: v_dual_sub_nc_u32 v6, 29, v6
	s_delay_alu instid0(VALU_DEP_1) | instskip(NEXT) | instid1(VALU_DEP_1)
	v_dual_lshlrev_b32 v1, 24, v1 :: v_dual_bitop2_b32 v4, 7, v4 bitop3:0x40
	v_dual_cndmask_b32 v6, v8, v6, vcc_lo :: v_dual_cndmask_b32 v4, v5, v4, vcc_lo
	s_delay_alu instid0(VALU_DEP_2) | instskip(NEXT) | instid1(VALU_DEP_2)
	v_and_b32_e32 v1, 0x80000000, v1
	v_lshl_add_u32 v5, v6, 23, 0x3b800000
	s_delay_alu instid0(VALU_DEP_3) | instskip(NEXT) | instid1(VALU_DEP_1)
	v_lshlrev_b32_e32 v4, 20, v4
	v_or3_b32 v1, v1, v5, v4
	s_delay_alu instid0(VALU_DEP_1)
	v_cvt_i32_f32_e32 v4, v1
.LBB379_546:
	s_or_b32 exec_lo, exec_lo, s26
.LBB379_547:
	s_mov_b32 s26, -1
.LBB379_548:
	s_mov_b32 s27, 0
.LBB379_549:
	s_delay_alu instid0(SALU_CYCLE_1)
	s_and_b32 vcc_lo, exec_lo, s27
	s_cbranch_vccz .LBB379_582
; %bb.550:
	s_cmp_gt_i32 s23, 22
	s_cbranch_scc0 .LBB379_558
; %bb.551:
	s_cmp_lt_i32 s23, 24
	s_cbranch_scc1 .LBB379_561
; %bb.552:
	s_cmp_gt_i32 s23, 24
	s_cbranch_scc0 .LBB379_562
; %bb.553:
	s_wait_loadcnt 0x0
	global_load_u8 v1, v[2:3], off
	s_mov_b32 s27, 0
	s_mov_b32 s26, exec_lo
	s_wait_loadcnt 0x0
	v_cmpx_lt_i16_e32 0x7f, v1
	s_xor_b32 s26, exec_lo, s26
	s_cbranch_execz .LBB379_574
; %bb.554:
	v_cmp_ne_u16_e32 vcc_lo, 0x80, v1
	s_and_b32 s27, vcc_lo, exec_lo
	s_and_not1_saveexec_b32 s26, s26
	s_cbranch_execnz .LBB379_575
.LBB379_555:
	s_or_b32 exec_lo, exec_lo, s26
	v_mov_b32_e32 v4, 0
	s_and_saveexec_b32 s26, s27
	s_cbranch_execz .LBB379_557
.LBB379_556:
	v_and_b32_e32 v4, 0xffff, v1
	s_delay_alu instid0(VALU_DEP_1) | instskip(SKIP_1) | instid1(VALU_DEP_2)
	v_and_b32_e32 v5, 3, v4
	v_bfe_u32 v8, v4, 2, 5
	v_clz_i32_u32_e32 v6, v5
	s_delay_alu instid0(VALU_DEP_2) | instskip(NEXT) | instid1(VALU_DEP_2)
	v_cmp_eq_u32_e32 vcc_lo, 0, v8
	v_min_u32_e32 v6, 32, v6
	s_delay_alu instid0(VALU_DEP_1) | instskip(NEXT) | instid1(VALU_DEP_1)
	v_subrev_nc_u32_e32 v7, 29, v6
	v_dual_lshlrev_b32 v4, v7, v4 :: v_dual_sub_nc_u32 v6, 30, v6
	s_delay_alu instid0(VALU_DEP_1) | instskip(NEXT) | instid1(VALU_DEP_1)
	v_dual_lshlrev_b32 v1, 24, v1 :: v_dual_bitop2_b32 v4, 3, v4 bitop3:0x40
	v_dual_cndmask_b32 v6, v8, v6, vcc_lo :: v_dual_cndmask_b32 v4, v5, v4, vcc_lo
	s_delay_alu instid0(VALU_DEP_2) | instskip(NEXT) | instid1(VALU_DEP_2)
	v_and_b32_e32 v1, 0x80000000, v1
	v_lshl_add_u32 v5, v6, 23, 0x37800000
	s_delay_alu instid0(VALU_DEP_3) | instskip(NEXT) | instid1(VALU_DEP_1)
	v_lshlrev_b32_e32 v4, 21, v4
	v_or3_b32 v1, v1, v5, v4
	s_delay_alu instid0(VALU_DEP_1)
	v_cvt_i32_f32_e32 v4, v1
.LBB379_557:
	s_or_b32 exec_lo, exec_lo, s26
	s_mov_b32 s26, 0
	s_branch .LBB379_563
.LBB379_558:
	s_mov_b32 s27, -1
                                        ; implicit-def: $vgpr4
	s_branch .LBB379_569
.LBB379_559:
	s_and_not1_saveexec_b32 s26, s26
	s_cbranch_execz .LBB379_544
.LBB379_560:
	v_cmp_ne_u16_e32 vcc_lo, 0, v1
	s_and_not1_b32 s27, s27, exec_lo
	s_and_b32 s28, vcc_lo, exec_lo
	s_delay_alu instid0(SALU_CYCLE_1)
	s_or_b32 s27, s27, s28
	s_or_b32 exec_lo, exec_lo, s26
	v_mov_b32_e32 v4, 0
	s_and_saveexec_b32 s26, s27
	s_cbranch_execnz .LBB379_545
	s_branch .LBB379_546
.LBB379_561:
	s_mov_b32 s26, -1
                                        ; implicit-def: $vgpr4
	s_branch .LBB379_566
.LBB379_562:
	s_mov_b32 s26, -1
                                        ; implicit-def: $vgpr4
.LBB379_563:
	s_delay_alu instid0(SALU_CYCLE_1)
	s_and_b32 vcc_lo, exec_lo, s26
	s_cbranch_vccz .LBB379_565
; %bb.564:
	s_wait_loadcnt 0x0
	global_load_u8 v1, v[2:3], off
	s_wait_loadcnt 0x0
	v_lshlrev_b32_e32 v1, 24, v1
	s_delay_alu instid0(VALU_DEP_1) | instskip(NEXT) | instid1(VALU_DEP_1)
	v_and_b32_e32 v4, 0x7f000000, v1
	v_clz_i32_u32_e32 v5, v4
	v_cmp_ne_u32_e32 vcc_lo, 0, v4
	v_add_nc_u32_e32 v7, 0x1000000, v4
	s_delay_alu instid0(VALU_DEP_3) | instskip(NEXT) | instid1(VALU_DEP_1)
	v_min_u32_e32 v5, 32, v5
	v_sub_nc_u32_e64 v5, v5, 4 clamp
	s_delay_alu instid0(VALU_DEP_1) | instskip(NEXT) | instid1(VALU_DEP_1)
	v_dual_lshlrev_b32 v6, v5, v4 :: v_dual_lshlrev_b32 v5, 23, v5
	v_lshrrev_b32_e32 v6, 4, v6
	s_delay_alu instid0(VALU_DEP_1) | instskip(NEXT) | instid1(VALU_DEP_1)
	v_dual_sub_nc_u32 v5, v6, v5 :: v_dual_ashrrev_i32 v6, 8, v7
	v_add_nc_u32_e32 v5, 0x3c000000, v5
	s_delay_alu instid0(VALU_DEP_1) | instskip(NEXT) | instid1(VALU_DEP_1)
	v_and_or_b32 v5, 0x7f800000, v6, v5
	v_cndmask_b32_e32 v4, 0, v5, vcc_lo
	s_delay_alu instid0(VALU_DEP_1) | instskip(NEXT) | instid1(VALU_DEP_1)
	v_and_or_b32 v1, 0x80000000, v1, v4
	v_cvt_i32_f32_e32 v4, v1
.LBB379_565:
	s_mov_b32 s26, 0
.LBB379_566:
	s_delay_alu instid0(SALU_CYCLE_1)
	s_and_not1_b32 vcc_lo, exec_lo, s26
	s_cbranch_vccnz .LBB379_568
; %bb.567:
	s_wait_loadcnt 0x0
	global_load_u8 v1, v[2:3], off
	s_wait_loadcnt 0x0
	v_lshlrev_b32_e32 v4, 25, v1
	v_lshlrev_b16 v1, 8, v1
	s_delay_alu instid0(VALU_DEP_1) | instskip(SKIP_1) | instid1(VALU_DEP_2)
	v_and_or_b32 v6, 0x7f00, v1, 0.5
	v_bfe_i32 v1, v1, 0, 16
	v_dual_add_f32 v6, -0.5, v6 :: v_dual_lshrrev_b32 v5, 4, v4
	v_cmp_gt_u32_e32 vcc_lo, 0x8000000, v4
	s_delay_alu instid0(VALU_DEP_2) | instskip(NEXT) | instid1(VALU_DEP_1)
	v_or_b32_e32 v5, 0x70000000, v5
	v_mul_f32_e32 v5, 0x7800000, v5
	s_delay_alu instid0(VALU_DEP_1) | instskip(NEXT) | instid1(VALU_DEP_1)
	v_cndmask_b32_e32 v4, v5, v6, vcc_lo
	v_and_or_b32 v1, 0x80000000, v1, v4
	s_delay_alu instid0(VALU_DEP_1)
	v_cvt_i32_f32_e32 v4, v1
.LBB379_568:
	s_mov_b32 s27, 0
	s_mov_b32 s26, -1
.LBB379_569:
	s_and_not1_b32 vcc_lo, exec_lo, s27
	s_cbranch_vccnz .LBB379_582
; %bb.570:
	s_cmp_gt_i32 s23, 14
	s_cbranch_scc0 .LBB379_573
; %bb.571:
	s_cmp_eq_u32 s23, 15
	s_cbranch_scc0 .LBB379_576
; %bb.572:
	s_wait_loadcnt 0x0
	global_load_u16 v1, v[2:3], off
	s_mov_b32 s26, -1
	s_mov_b32 s24, 0
	s_wait_loadcnt 0x0
	v_lshlrev_b32_e32 v1, 16, v1
	s_delay_alu instid0(VALU_DEP_1)
	v_cvt_i32_f32_e32 v4, v1
	s_branch .LBB379_577
.LBB379_573:
	s_mov_b32 s27, -1
                                        ; implicit-def: $vgpr4
	s_branch .LBB379_578
.LBB379_574:
	s_and_not1_saveexec_b32 s26, s26
	s_cbranch_execz .LBB379_555
.LBB379_575:
	v_cmp_ne_u16_e32 vcc_lo, 0, v1
	s_and_not1_b32 s27, s27, exec_lo
	s_and_b32 s28, vcc_lo, exec_lo
	s_delay_alu instid0(SALU_CYCLE_1)
	s_or_b32 s27, s27, s28
	s_or_b32 exec_lo, exec_lo, s26
	v_mov_b32_e32 v4, 0
	s_and_saveexec_b32 s26, s27
	s_cbranch_execnz .LBB379_556
	s_branch .LBB379_557
.LBB379_576:
	s_mov_b32 s24, -1
                                        ; implicit-def: $vgpr4
.LBB379_577:
	s_mov_b32 s27, 0
.LBB379_578:
	s_delay_alu instid0(SALU_CYCLE_1)
	s_and_b32 vcc_lo, exec_lo, s27
	s_cbranch_vccz .LBB379_582
; %bb.579:
	s_cmp_eq_u32 s23, 11
	s_cbranch_scc0 .LBB379_581
; %bb.580:
	s_wait_loadcnt 0x0
	global_load_u8 v1, v[2:3], off
	s_mov_b32 s24, 0
	s_mov_b32 s26, -1
	s_wait_loadcnt 0x0
	v_cmp_ne_u16_e32 vcc_lo, 0, v1
	v_cndmask_b32_e64 v4, 0, 1, vcc_lo
	s_branch .LBB379_582
.LBB379_581:
	s_mov_b32 s24, -1
                                        ; implicit-def: $vgpr4
.LBB379_582:
	s_mov_b32 s23, 0
.LBB379_583:
	s_delay_alu instid0(SALU_CYCLE_1)
	s_and_b32 vcc_lo, exec_lo, s23
	s_cbranch_vccz .LBB379_632
; %bb.584:
	s_and_b32 s0, 0xffff, s0
	s_delay_alu instid0(SALU_CYCLE_1)
	s_cmp_lt_i32 s0, 5
	s_cbranch_scc1 .LBB379_589
; %bb.585:
	s_cmp_lt_i32 s0, 8
	s_cbranch_scc1 .LBB379_590
; %bb.586:
	s_cmp_lt_i32 s0, 9
	s_cbranch_scc1 .LBB379_591
; %bb.587:
	s_cmp_gt_i32 s0, 9
	s_cbranch_scc0 .LBB379_592
; %bb.588:
	s_wait_loadcnt 0x0
	global_load_b64 v[4:5], v[2:3], off
	s_mov_b32 s23, 0
	s_wait_loadcnt 0x0
	v_cvt_i32_f64_e32 v4, v[4:5]
	s_branch .LBB379_593
.LBB379_589:
	s_mov_b32 s23, -1
                                        ; implicit-def: $vgpr4
	s_branch .LBB379_611
.LBB379_590:
	s_mov_b32 s23, -1
                                        ; implicit-def: $vgpr4
	s_branch .LBB379_599
.LBB379_591:
	s_mov_b32 s23, -1
                                        ; implicit-def: $vgpr4
	s_branch .LBB379_596
.LBB379_592:
	s_mov_b32 s23, -1
                                        ; implicit-def: $vgpr4
.LBB379_593:
	s_delay_alu instid0(SALU_CYCLE_1)
	s_and_not1_b32 vcc_lo, exec_lo, s23
	s_cbranch_vccnz .LBB379_595
; %bb.594:
	s_wait_loadcnt 0x0
	global_load_b32 v1, v[2:3], off
	s_wait_loadcnt 0x0
	v_cvt_i32_f32_e32 v4, v1
.LBB379_595:
	s_mov_b32 s23, 0
.LBB379_596:
	s_delay_alu instid0(SALU_CYCLE_1)
	s_and_not1_b32 vcc_lo, exec_lo, s23
	s_cbranch_vccnz .LBB379_598
; %bb.597:
	s_wait_loadcnt 0x0
	global_load_b32 v1, v[2:3], off
	s_wait_loadcnt 0x0
	v_cvt_i16_f16_e32 v4, v1
.LBB379_598:
	s_mov_b32 s23, 0
.LBB379_599:
	s_delay_alu instid0(SALU_CYCLE_1)
	s_and_not1_b32 vcc_lo, exec_lo, s23
	s_cbranch_vccnz .LBB379_610
; %bb.600:
	s_cmp_lt_i32 s0, 6
	s_cbranch_scc1 .LBB379_603
; %bb.601:
	s_cmp_gt_i32 s0, 6
	s_cbranch_scc0 .LBB379_604
; %bb.602:
	s_wait_loadcnt 0x0
	global_load_b64 v[4:5], v[2:3], off
	s_mov_b32 s23, 0
	s_wait_loadcnt 0x0
	v_cvt_i32_f64_e32 v4, v[4:5]
	s_branch .LBB379_605
.LBB379_603:
	s_mov_b32 s23, -1
                                        ; implicit-def: $vgpr4
	s_branch .LBB379_608
.LBB379_604:
	s_mov_b32 s23, -1
                                        ; implicit-def: $vgpr4
.LBB379_605:
	s_delay_alu instid0(SALU_CYCLE_1)
	s_and_not1_b32 vcc_lo, exec_lo, s23
	s_cbranch_vccnz .LBB379_607
; %bb.606:
	s_wait_loadcnt 0x0
	global_load_b32 v1, v[2:3], off
	s_wait_loadcnt 0x0
	v_cvt_i32_f32_e32 v4, v1
.LBB379_607:
	s_mov_b32 s23, 0
.LBB379_608:
	s_delay_alu instid0(SALU_CYCLE_1)
	s_and_not1_b32 vcc_lo, exec_lo, s23
	s_cbranch_vccnz .LBB379_610
; %bb.609:
	s_wait_loadcnt 0x0
	global_load_u16 v1, v[2:3], off
	s_wait_loadcnt 0x0
	v_cvt_i16_f16_e32 v4, v1
.LBB379_610:
	s_mov_b32 s23, 0
.LBB379_611:
	s_delay_alu instid0(SALU_CYCLE_1)
	s_and_not1_b32 vcc_lo, exec_lo, s23
	s_cbranch_vccnz .LBB379_631
; %bb.612:
	s_cmp_lt_i32 s0, 2
	s_cbranch_scc1 .LBB379_616
; %bb.613:
	s_cmp_lt_i32 s0, 3
	s_cbranch_scc1 .LBB379_617
; %bb.614:
	s_cmp_gt_i32 s0, 3
	s_cbranch_scc0 .LBB379_618
; %bb.615:
	s_wait_loadcnt 0x0
	global_load_b64 v[4:5], v[2:3], off
	s_mov_b32 s23, 0
	s_branch .LBB379_619
.LBB379_616:
	s_mov_b32 s23, -1
                                        ; implicit-def: $vgpr4
	s_branch .LBB379_625
.LBB379_617:
	s_mov_b32 s23, -1
                                        ; implicit-def: $vgpr4
	s_branch .LBB379_622
.LBB379_618:
	s_mov_b32 s23, -1
                                        ; implicit-def: $vgpr4
.LBB379_619:
	s_delay_alu instid0(SALU_CYCLE_1)
	s_and_not1_b32 vcc_lo, exec_lo, s23
	s_cbranch_vccnz .LBB379_621
; %bb.620:
	s_wait_loadcnt 0x0
	global_load_b32 v4, v[2:3], off
.LBB379_621:
	s_mov_b32 s23, 0
.LBB379_622:
	s_delay_alu instid0(SALU_CYCLE_1)
	s_and_not1_b32 vcc_lo, exec_lo, s23
	s_cbranch_vccnz .LBB379_624
; %bb.623:
	s_wait_loadcnt 0x0
	global_load_u16 v4, v[2:3], off
.LBB379_624:
	s_mov_b32 s23, 0
.LBB379_625:
	s_delay_alu instid0(SALU_CYCLE_1)
	s_and_not1_b32 vcc_lo, exec_lo, s23
	s_cbranch_vccnz .LBB379_631
; %bb.626:
	s_cmp_gt_i32 s0, 0
	s_mov_b32 s0, 0
	s_cbranch_scc0 .LBB379_628
; %bb.627:
	s_wait_loadcnt 0x0
	global_load_u8 v4, v[2:3], off
	s_branch .LBB379_629
.LBB379_628:
	s_mov_b32 s0, -1
                                        ; implicit-def: $vgpr4
.LBB379_629:
	s_delay_alu instid0(SALU_CYCLE_1)
	s_and_not1_b32 vcc_lo, exec_lo, s0
	s_cbranch_vccnz .LBB379_631
; %bb.630:
	s_wait_loadcnt 0x0
	global_load_u8 v4, v[2:3], off
.LBB379_631:
	s_mov_b32 s26, -1
.LBB379_632:
	s_delay_alu instid0(SALU_CYCLE_1)
	s_and_not1_b32 vcc_lo, exec_lo, s26
	s_cbranch_vccnz .LBB379_640
; %bb.633:
	s_wait_xcnt 0x0
	v_mul_lo_u32 v2, v18, s8
	s_wait_loadcnt 0x0
	s_delay_alu instid0(VALU_DEP_2) | instskip(SKIP_2) | instid1(VALU_DEP_1)
	v_and_b32_e32 v1, 0xff, v4
	v_and_b32_e32 v0, 0xff, v0
	s_and_b32 s26, s12, 0xff
	v_cmp_ne_u16_e32 vcc_lo, v0, v1
	s_delay_alu instid0(VALU_DEP_4) | instskip(SKIP_2) | instid1(VALU_DEP_1)
	v_ashrrev_i32_e32 v3, 31, v2
	s_xor_b32 s23, s16, vcc_lo
	s_cmp_lt_i32 s26, 11
	v_add_nc_u64_e32 v[0:1], s[4:5], v[2:3]
	s_cbranch_scc1 .LBB379_641
; %bb.634:
	s_and_b32 s27, 0xffff, s26
	s_delay_alu instid0(SALU_CYCLE_1)
	s_cmp_gt_i32 s27, 25
	s_cbranch_scc0 .LBB379_642
; %bb.635:
	s_cmp_gt_i32 s27, 28
	s_cbranch_scc0 .LBB379_643
; %bb.636:
	s_cmp_gt_i32 s27, 43
	s_cbranch_scc0 .LBB379_644
; %bb.637:
	s_cmp_gt_i32 s27, 45
	s_cbranch_scc0 .LBB379_645
; %bb.638:
	s_mov_b32 s29, 0
	s_mov_b32 s0, -1
	s_cmp_eq_u32 s27, 46
	s_mov_b32 s28, 0
	s_cbranch_scc0 .LBB379_646
; %bb.639:
	v_cndmask_b32_e64 v2, 0, 1.0, s23
	s_mov_b32 s28, -1
	s_mov_b32 s0, 0
	s_delay_alu instid0(VALU_DEP_1) | instskip(NEXT) | instid1(VALU_DEP_1)
	v_bfe_u32 v3, v2, 16, 1
	v_add3_u32 v2, v2, v3, 0x7fff
	s_delay_alu instid0(VALU_DEP_1)
	v_lshrrev_b32_e32 v2, 16, v2
	global_store_b32 v[0:1], v2, off
	s_branch .LBB379_646
.LBB379_640:
	s_mov_b32 s26, 0
	s_mov_b32 s0, s18
	s_branch .LBB379_757
.LBB379_641:
	s_mov_b32 s27, -1
	s_mov_b32 s28, 0
	s_mov_b32 s0, s18
	s_branch .LBB379_715
.LBB379_642:
	s_mov_b32 s29, -1
	s_mov_b32 s28, 0
	s_mov_b32 s0, s18
	s_branch .LBB379_673
.LBB379_643:
	s_mov_b32 s29, -1
	s_mov_b32 s28, 0
	s_mov_b32 s0, s18
	s_branch .LBB379_656
.LBB379_644:
	s_mov_b32 s29, -1
	s_mov_b32 s28, 0
	s_mov_b32 s0, s18
	s_branch .LBB379_652
.LBB379_645:
	s_mov_b32 s29, -1
	s_mov_b32 s28, 0
	s_mov_b32 s0, s18
.LBB379_646:
	s_and_b32 vcc_lo, exec_lo, s29
	s_cbranch_vccz .LBB379_651
; %bb.647:
	s_cmp_eq_u32 s27, 44
	s_mov_b32 s0, -1
	s_cbranch_scc0 .LBB379_651
; %bb.648:
	v_cndmask_b32_e64 v4, 0, 1.0, s23
	s_mov_b32 s28, exec_lo
	s_wait_xcnt 0x0
	s_delay_alu instid0(VALU_DEP_1) | instskip(NEXT) | instid1(VALU_DEP_1)
	v_dual_mov_b32 v3, 0xff :: v_dual_lshrrev_b32 v2, 23, v4
	v_cmpx_ne_u32_e32 0xff, v2
; %bb.649:
	v_and_b32_e32 v3, 0x400000, v4
	v_and_or_b32 v4, 0x3fffff, v4, v2
	s_delay_alu instid0(VALU_DEP_2) | instskip(NEXT) | instid1(VALU_DEP_2)
	v_cmp_ne_u32_e32 vcc_lo, 0, v3
	v_cmp_ne_u32_e64 s0, 0, v4
	s_and_b32 s0, vcc_lo, s0
	s_delay_alu instid0(SALU_CYCLE_1) | instskip(NEXT) | instid1(VALU_DEP_1)
	v_cndmask_b32_e64 v3, 0, 1, s0
	v_add_nc_u32_e32 v3, v2, v3
; %bb.650:
	s_or_b32 exec_lo, exec_lo, s28
	s_mov_b32 s28, -1
	s_mov_b32 s0, 0
	global_store_b8 v[0:1], v3, off
.LBB379_651:
	s_mov_b32 s29, 0
.LBB379_652:
	s_delay_alu instid0(SALU_CYCLE_1)
	s_and_b32 vcc_lo, exec_lo, s29
	s_cbranch_vccz .LBB379_655
; %bb.653:
	s_cmp_eq_u32 s27, 29
	s_mov_b32 s0, -1
	s_cbranch_scc0 .LBB379_655
; %bb.654:
	s_mov_b32 s0, 0
	s_wait_xcnt 0x0
	v_cndmask_b32_e64 v2, 0, 1, s23
	v_mov_b32_e32 v3, s0
	s_mov_b32 s28, -1
	s_mov_b32 s29, 0
	global_store_b64 v[0:1], v[2:3], off
	s_branch .LBB379_656
.LBB379_655:
	s_mov_b32 s29, 0
.LBB379_656:
	s_delay_alu instid0(SALU_CYCLE_1)
	s_and_b32 vcc_lo, exec_lo, s29
	s_cbranch_vccz .LBB379_672
; %bb.657:
	s_cmp_lt_i32 s27, 27
	s_mov_b32 s28, -1
	s_cbranch_scc1 .LBB379_663
; %bb.658:
	s_cmp_gt_i32 s27, 27
	s_cbranch_scc0 .LBB379_660
; %bb.659:
	s_wait_xcnt 0x0
	v_cndmask_b32_e64 v2, 0, 1, s23
	s_mov_b32 s28, 0
	global_store_b32 v[0:1], v2, off
.LBB379_660:
	s_and_not1_b32 vcc_lo, exec_lo, s28
	s_cbranch_vccnz .LBB379_662
; %bb.661:
	s_wait_xcnt 0x0
	v_cndmask_b32_e64 v2, 0, 1, s23
	global_store_b16 v[0:1], v2, off
.LBB379_662:
	s_mov_b32 s28, 0
.LBB379_663:
	s_delay_alu instid0(SALU_CYCLE_1)
	s_and_not1_b32 vcc_lo, exec_lo, s28
	s_cbranch_vccnz .LBB379_671
; %bb.664:
	s_wait_xcnt 0x0
	v_cndmask_b32_e64 v3, 0, 1.0, s23
	v_mov_b32_e32 v4, 0x80
	s_mov_b32 s28, exec_lo
	s_delay_alu instid0(VALU_DEP_2)
	v_cmpx_gt_u32_e32 0x43800000, v3
	s_cbranch_execz .LBB379_670
; %bb.665:
	s_mov_b32 s29, 0
	s_mov_b32 s30, exec_lo
                                        ; implicit-def: $vgpr2
	v_cmpx_lt_u32_e32 0x3bffffff, v3
	s_xor_b32 s30, exec_lo, s30
	s_cbranch_execz .LBB379_773
; %bb.666:
	v_bfe_u32 v2, v3, 20, 1
	s_mov_b32 s29, exec_lo
	s_delay_alu instid0(VALU_DEP_1) | instskip(NEXT) | instid1(VALU_DEP_1)
	v_add3_u32 v2, v3, v2, 0x487ffff
                                        ; implicit-def: $vgpr3
	v_lshrrev_b32_e32 v2, 20, v2
	s_and_not1_saveexec_b32 s30, s30
	s_cbranch_execnz .LBB379_774
.LBB379_667:
	s_or_b32 exec_lo, exec_lo, s30
	v_mov_b32_e32 v4, 0
	s_and_saveexec_b32 s30, s29
.LBB379_668:
	v_mov_b32_e32 v4, v2
.LBB379_669:
	s_or_b32 exec_lo, exec_lo, s30
.LBB379_670:
	s_delay_alu instid0(SALU_CYCLE_1)
	s_or_b32 exec_lo, exec_lo, s28
	global_store_b8 v[0:1], v4, off
.LBB379_671:
	s_mov_b32 s28, -1
.LBB379_672:
	s_mov_b32 s29, 0
.LBB379_673:
	s_delay_alu instid0(SALU_CYCLE_1)
	s_and_b32 vcc_lo, exec_lo, s29
	s_cbranch_vccz .LBB379_714
; %bb.674:
	s_cmp_gt_i32 s27, 22
	s_mov_b32 s29, -1
	s_cbranch_scc0 .LBB379_706
; %bb.675:
	s_cmp_lt_i32 s27, 24
	s_mov_b32 s28, -1
	s_cbranch_scc1 .LBB379_695
; %bb.676:
	s_cmp_gt_i32 s27, 24
	s_cbranch_scc0 .LBB379_684
; %bb.677:
	s_wait_xcnt 0x0
	v_cndmask_b32_e64 v3, 0, 1.0, s23
	v_mov_b32_e32 v4, 0x80
	s_mov_b32 s28, exec_lo
	s_delay_alu instid0(VALU_DEP_2)
	v_cmpx_gt_u32_e32 0x47800000, v3
	s_cbranch_execz .LBB379_683
; %bb.678:
	s_mov_b32 s29, 0
	s_mov_b32 s30, exec_lo
                                        ; implicit-def: $vgpr2
	v_cmpx_lt_u32_e32 0x37ffffff, v3
	s_xor_b32 s30, exec_lo, s30
	s_cbranch_execz .LBB379_901
; %bb.679:
	v_bfe_u32 v2, v3, 21, 1
	s_mov_b32 s29, exec_lo
	s_delay_alu instid0(VALU_DEP_1) | instskip(NEXT) | instid1(VALU_DEP_1)
	v_add3_u32 v2, v3, v2, 0x88fffff
                                        ; implicit-def: $vgpr3
	v_lshrrev_b32_e32 v2, 21, v2
	s_and_not1_saveexec_b32 s30, s30
	s_cbranch_execnz .LBB379_902
.LBB379_680:
	s_or_b32 exec_lo, exec_lo, s30
	v_mov_b32_e32 v4, 0
	s_and_saveexec_b32 s30, s29
.LBB379_681:
	v_mov_b32_e32 v4, v2
.LBB379_682:
	s_or_b32 exec_lo, exec_lo, s30
.LBB379_683:
	s_delay_alu instid0(SALU_CYCLE_1)
	s_or_b32 exec_lo, exec_lo, s28
	s_mov_b32 s28, 0
	global_store_b8 v[0:1], v4, off
.LBB379_684:
	s_and_b32 vcc_lo, exec_lo, s28
	s_cbranch_vccz .LBB379_694
; %bb.685:
	s_wait_xcnt 0x0
	v_cndmask_b32_e64 v3, 0, 1.0, s23
	s_mov_b32 s28, exec_lo
                                        ; implicit-def: $vgpr2
	s_delay_alu instid0(VALU_DEP_1)
	v_cmpx_gt_u32_e32 0x43f00000, v3
	s_xor_b32 s28, exec_lo, s28
	s_cbranch_execz .LBB379_691
; %bb.686:
	s_mov_b32 s29, exec_lo
                                        ; implicit-def: $vgpr2
	v_cmpx_lt_u32_e32 0x3c7fffff, v3
	s_xor_b32 s29, exec_lo, s29
; %bb.687:
	v_bfe_u32 v2, v3, 20, 1
	s_delay_alu instid0(VALU_DEP_1) | instskip(NEXT) | instid1(VALU_DEP_1)
	v_add3_u32 v2, v3, v2, 0x407ffff
	v_and_b32_e32 v3, 0xff00000, v2
	v_lshrrev_b32_e32 v2, 20, v2
	s_delay_alu instid0(VALU_DEP_2) | instskip(NEXT) | instid1(VALU_DEP_2)
	v_cmp_ne_u32_e32 vcc_lo, 0x7f00000, v3
                                        ; implicit-def: $vgpr3
	v_cndmask_b32_e32 v2, 0x7e, v2, vcc_lo
; %bb.688:
	s_and_not1_saveexec_b32 s29, s29
; %bb.689:
	v_add_f32_e32 v2, 0x46800000, v3
; %bb.690:
	s_or_b32 exec_lo, exec_lo, s29
                                        ; implicit-def: $vgpr3
.LBB379_691:
	s_and_not1_saveexec_b32 s28, s28
; %bb.692:
	v_mov_b32_e32 v2, 0x7f
	v_cmp_lt_u32_e32 vcc_lo, 0x7f800000, v3
	s_delay_alu instid0(VALU_DEP_2)
	v_cndmask_b32_e32 v2, 0x7e, v2, vcc_lo
; %bb.693:
	s_or_b32 exec_lo, exec_lo, s28
	global_store_b8 v[0:1], v2, off
.LBB379_694:
	s_mov_b32 s28, 0
.LBB379_695:
	s_delay_alu instid0(SALU_CYCLE_1)
	s_and_not1_b32 vcc_lo, exec_lo, s28
	s_cbranch_vccnz .LBB379_705
; %bb.696:
	s_wait_xcnt 0x0
	v_cndmask_b32_e64 v3, 0, 1.0, s23
	s_mov_b32 s28, exec_lo
                                        ; implicit-def: $vgpr2
	s_delay_alu instid0(VALU_DEP_1)
	v_cmpx_gt_u32_e32 0x47800000, v3
	s_xor_b32 s28, exec_lo, s28
	s_cbranch_execz .LBB379_702
; %bb.697:
	s_mov_b32 s29, exec_lo
                                        ; implicit-def: $vgpr2
	v_cmpx_lt_u32_e32 0x387fffff, v3
	s_xor_b32 s29, exec_lo, s29
; %bb.698:
	v_bfe_u32 v2, v3, 21, 1
	s_delay_alu instid0(VALU_DEP_1) | instskip(NEXT) | instid1(VALU_DEP_1)
	v_add3_u32 v2, v3, v2, 0x80fffff
                                        ; implicit-def: $vgpr3
	v_lshrrev_b32_e32 v2, 21, v2
; %bb.699:
	s_and_not1_saveexec_b32 s29, s29
; %bb.700:
	v_add_f32_e32 v2, 0x43000000, v3
; %bb.701:
	s_or_b32 exec_lo, exec_lo, s29
                                        ; implicit-def: $vgpr3
.LBB379_702:
	s_and_not1_saveexec_b32 s28, s28
; %bb.703:
	v_mov_b32_e32 v2, 0x7f
	v_cmp_lt_u32_e32 vcc_lo, 0x7f800000, v3
	s_delay_alu instid0(VALU_DEP_2)
	v_cndmask_b32_e32 v2, 0x7c, v2, vcc_lo
; %bb.704:
	s_or_b32 exec_lo, exec_lo, s28
	global_store_b8 v[0:1], v2, off
.LBB379_705:
	s_mov_b32 s29, 0
	s_mov_b32 s28, -1
.LBB379_706:
	s_and_not1_b32 vcc_lo, exec_lo, s29
	s_cbranch_vccnz .LBB379_714
; %bb.707:
	s_cmp_gt_i32 s27, 14
	s_mov_b32 s29, -1
	s_cbranch_scc0 .LBB379_711
; %bb.708:
	s_cmp_eq_u32 s27, 15
	s_mov_b32 s0, -1
	s_cbranch_scc0 .LBB379_710
; %bb.709:
	s_wait_xcnt 0x0
	v_cndmask_b32_e64 v2, 0, 1.0, s23
	s_mov_b32 s28, -1
	s_mov_b32 s0, 0
	s_delay_alu instid0(VALU_DEP_1) | instskip(NEXT) | instid1(VALU_DEP_1)
	v_bfe_u32 v3, v2, 16, 1
	v_add3_u32 v2, v2, v3, 0x7fff
	global_store_d16_hi_b16 v[0:1], v2, off
.LBB379_710:
	s_mov_b32 s29, 0
.LBB379_711:
	s_delay_alu instid0(SALU_CYCLE_1)
	s_and_b32 vcc_lo, exec_lo, s29
	s_cbranch_vccz .LBB379_714
; %bb.712:
	s_cmp_eq_u32 s27, 11
	s_mov_b32 s0, -1
	s_cbranch_scc0 .LBB379_714
; %bb.713:
	s_wait_xcnt 0x0
	v_cndmask_b32_e64 v2, 0, 1, s23
	s_mov_b32 s28, -1
	s_mov_b32 s0, 0
	global_store_b8 v[0:1], v2, off
.LBB379_714:
	s_mov_b32 s27, 0
.LBB379_715:
	s_delay_alu instid0(SALU_CYCLE_1)
	s_and_b32 vcc_lo, exec_lo, s27
	s_cbranch_vccz .LBB379_754
; %bb.716:
	s_and_b32 s26, 0xffff, s26
	s_mov_b32 s27, -1
	s_cmp_lt_i32 s26, 5
	s_cbranch_scc1 .LBB379_737
; %bb.717:
	s_cmp_lt_i32 s26, 8
	s_cbranch_scc1 .LBB379_727
; %bb.718:
	s_cmp_lt_i32 s26, 9
	s_cbranch_scc1 .LBB379_724
; %bb.719:
	s_cmp_gt_i32 s26, 9
	s_cbranch_scc0 .LBB379_721
; %bb.720:
	s_wait_xcnt 0x0
	v_cndmask_b32_e64 v2, 0, 1, s23
	v_mov_b32_e32 v4, 0
	s_mov_b32 s27, 0
	s_delay_alu instid0(VALU_DEP_2) | instskip(NEXT) | instid1(VALU_DEP_2)
	v_cvt_f64_u32_e32 v[2:3], v2
	v_mov_b32_e32 v5, v4
	global_store_b128 v[0:1], v[2:5], off
.LBB379_721:
	s_and_not1_b32 vcc_lo, exec_lo, s27
	s_cbranch_vccnz .LBB379_723
; %bb.722:
	s_wait_xcnt 0x0
	v_cndmask_b32_e64 v2, 0, 1.0, s23
	v_mov_b32_e32 v3, 0
	global_store_b64 v[0:1], v[2:3], off
.LBB379_723:
	s_mov_b32 s27, 0
.LBB379_724:
	s_delay_alu instid0(SALU_CYCLE_1)
	s_and_not1_b32 vcc_lo, exec_lo, s27
	s_cbranch_vccnz .LBB379_726
; %bb.725:
	s_wait_xcnt 0x0
	v_cndmask_b32_e64 v2, 0, 1.0, s23
	s_delay_alu instid0(VALU_DEP_1) | instskip(NEXT) | instid1(VALU_DEP_1)
	v_cvt_f16_f32_e32 v2, v2
	v_and_b32_e32 v2, 0xffff, v2
	global_store_b32 v[0:1], v2, off
.LBB379_726:
	s_mov_b32 s27, 0
.LBB379_727:
	s_delay_alu instid0(SALU_CYCLE_1)
	s_and_not1_b32 vcc_lo, exec_lo, s27
	s_cbranch_vccnz .LBB379_736
; %bb.728:
	s_cmp_lt_i32 s26, 6
	s_mov_b32 s27, -1
	s_cbranch_scc1 .LBB379_734
; %bb.729:
	s_cmp_gt_i32 s26, 6
	s_cbranch_scc0 .LBB379_731
; %bb.730:
	s_wait_xcnt 0x0
	v_cndmask_b32_e64 v2, 0, 1, s23
	s_mov_b32 s27, 0
	s_delay_alu instid0(VALU_DEP_1)
	v_cvt_f64_u32_e32 v[2:3], v2
	global_store_b64 v[0:1], v[2:3], off
.LBB379_731:
	s_and_not1_b32 vcc_lo, exec_lo, s27
	s_cbranch_vccnz .LBB379_733
; %bb.732:
	s_wait_xcnt 0x0
	v_cndmask_b32_e64 v2, 0, 1.0, s23
	global_store_b32 v[0:1], v2, off
.LBB379_733:
	s_mov_b32 s27, 0
.LBB379_734:
	s_delay_alu instid0(SALU_CYCLE_1)
	s_and_not1_b32 vcc_lo, exec_lo, s27
	s_cbranch_vccnz .LBB379_736
; %bb.735:
	s_wait_xcnt 0x0
	v_cndmask_b32_e64 v2, 0, 1.0, s23
	s_delay_alu instid0(VALU_DEP_1)
	v_cvt_f16_f32_e32 v2, v2
	global_store_b16 v[0:1], v2, off
.LBB379_736:
	s_mov_b32 s27, 0
.LBB379_737:
	s_delay_alu instid0(SALU_CYCLE_1)
	s_and_not1_b32 vcc_lo, exec_lo, s27
	s_cbranch_vccnz .LBB379_753
; %bb.738:
	s_cmp_lt_i32 s26, 2
	s_mov_b32 s27, -1
	s_cbranch_scc1 .LBB379_748
; %bb.739:
	s_cmp_lt_i32 s26, 3
	s_cbranch_scc1 .LBB379_745
; %bb.740:
	s_cmp_gt_i32 s26, 3
	s_cbranch_scc0 .LBB379_742
; %bb.741:
	s_mov_b32 s27, 0
	s_wait_xcnt 0x0
	v_cndmask_b32_e64 v2, 0, 1, s23
	v_mov_b32_e32 v3, s27
	global_store_b64 v[0:1], v[2:3], off
.LBB379_742:
	s_and_not1_b32 vcc_lo, exec_lo, s27
	s_cbranch_vccnz .LBB379_744
; %bb.743:
	s_wait_xcnt 0x0
	v_cndmask_b32_e64 v2, 0, 1, s23
	global_store_b32 v[0:1], v2, off
.LBB379_744:
	s_mov_b32 s27, 0
.LBB379_745:
	s_delay_alu instid0(SALU_CYCLE_1)
	s_and_not1_b32 vcc_lo, exec_lo, s27
	s_cbranch_vccnz .LBB379_747
; %bb.746:
	s_wait_xcnt 0x0
	v_cndmask_b32_e64 v2, 0, 1, s23
	global_store_b16 v[0:1], v2, off
.LBB379_747:
	s_mov_b32 s27, 0
.LBB379_748:
	s_delay_alu instid0(SALU_CYCLE_1)
	s_and_not1_b32 vcc_lo, exec_lo, s27
	s_cbranch_vccnz .LBB379_753
; %bb.749:
	s_wait_xcnt 0x0
	v_cndmask_b32_e64 v2, 0, 1, s23
	s_cmp_gt_i32 s26, 0
	s_mov_b32 s23, -1
	s_cbranch_scc0 .LBB379_751
; %bb.750:
	s_mov_b32 s23, 0
	global_store_b8 v[0:1], v2, off
.LBB379_751:
	s_and_not1_b32 vcc_lo, exec_lo, s23
	s_cbranch_vccnz .LBB379_753
; %bb.752:
	global_store_b8 v[0:1], v2, off
.LBB379_753:
	s_mov_b32 s28, -1
.LBB379_754:
	s_delay_alu instid0(SALU_CYCLE_1)
	s_and_not1_b32 vcc_lo, exec_lo, s28
	s_cbranch_vccnz .LBB379_756
; %bb.755:
	v_add_nc_u32_e32 v18, 0x80, v18
	s_mov_b32 s26, -1
	s_branch .LBB379_758
.LBB379_756:
	s_mov_b32 s26, 0
.LBB379_757:
                                        ; implicit-def: $vgpr18
.LBB379_758:
	s_and_not1_b32 s23, s18, exec_lo
	s_and_b32 s0, s0, exec_lo
	s_and_b32 s24, s24, exec_lo
	s_or_b32 s23, s23, s0
	s_and_not1_b32 s0, s19, exec_lo
	s_and_not1_b32 s27, s20, exec_lo
	s_and_b32 s22, s22, exec_lo
	s_or_b32 s24, s0, s24
	s_or_b32 s22, s27, s22
	s_or_not1_b32 s27, s26, exec_lo
.LBB379_759:
	s_wait_xcnt 0x0
	s_or_b32 exec_lo, exec_lo, s25
	s_mov_b32 s26, 0
	s_mov_b32 s28, 0
	;; [unrolled: 1-line block ×3, first 2 shown]
                                        ; implicit-def: $sgpr0
                                        ; implicit-def: $vgpr2_vgpr3
                                        ; implicit-def: $vgpr0
	s_and_saveexec_b32 s25, s27
	s_cbranch_execz .LBB379_1222
; %bb.760:
	s_mov_b32 s34, -1
	s_mov_b32 s27, s22
	s_mov_b32 s28, s24
	;; [unrolled: 1-line block ×3, first 2 shown]
	s_mov_b32 s26, exec_lo
	v_cmpx_gt_i32_e64 s17, v18
	s_cbranch_execz .LBB379_1142
; %bb.761:
	s_wait_loadcnt 0x0
	v_mul_lo_u32 v0, v18, s9
	s_and_b32 s0, s14, 0xff
	s_delay_alu instid0(SALU_CYCLE_1) | instskip(NEXT) | instid1(VALU_DEP_1)
	s_cmp_lt_i32 s0, 11
	v_ashrrev_i32_e32 v1, 31, v0
	s_delay_alu instid0(VALU_DEP_1)
	v_add_nc_u64_e32 v[2:3], s[6:7], v[0:1]
	s_cbranch_scc1 .LBB379_768
; %bb.762:
	s_and_b32 s28, 0xffff, s0
	s_delay_alu instid0(SALU_CYCLE_1)
	s_cmp_gt_i32 s28, 25
	s_cbranch_scc0 .LBB379_769
; %bb.763:
	s_cmp_gt_i32 s28, 28
	s_cbranch_scc0 .LBB379_770
; %bb.764:
	;; [unrolled: 3-line block ×4, first 2 shown]
	s_cmp_eq_u32 s28, 46
	s_mov_b32 s30, 0
	s_cbranch_scc0 .LBB379_775
; %bb.767:
	global_load_b32 v0, v[2:3], off
	s_mov_b32 s29, -1
	s_mov_b32 s27, 0
	s_wait_loadcnt 0x0
	v_lshlrev_b32_e32 v0, 16, v0
	s_delay_alu instid0(VALU_DEP_1)
	v_cvt_i32_f32_e32 v0, v0
	s_branch .LBB379_777
.LBB379_768:
	s_mov_b32 s28, -1
	s_mov_b32 s29, 0
	s_mov_b32 s27, s22
                                        ; implicit-def: $vgpr0
	s_branch .LBB379_838
.LBB379_769:
	s_mov_b32 s30, -1
	s_mov_b32 s29, 0
	s_mov_b32 s27, s22
                                        ; implicit-def: $vgpr0
	s_branch .LBB379_804
.LBB379_770:
	s_mov_b32 s30, -1
	s_mov_b32 s29, 0
	s_mov_b32 s27, s22
                                        ; implicit-def: $vgpr0
	s_branch .LBB379_787
.LBB379_771:
	s_mov_b32 s30, -1
	s_mov_b32 s29, 0
	s_mov_b32 s27, s22
                                        ; implicit-def: $vgpr0
	s_branch .LBB379_782
.LBB379_772:
	s_mov_b32 s30, -1
	s_mov_b32 s29, 0
	s_mov_b32 s27, s22
	s_branch .LBB379_776
.LBB379_773:
	s_and_not1_saveexec_b32 s30, s30
	s_cbranch_execz .LBB379_667
.LBB379_774:
	v_add_f32_e32 v2, 0x46000000, v3
	s_and_not1_b32 s29, s29, exec_lo
	s_delay_alu instid0(VALU_DEP_1) | instskip(NEXT) | instid1(VALU_DEP_1)
	v_and_b32_e32 v2, 0xff, v2
	v_cmp_ne_u32_e32 vcc_lo, 0, v2
	s_and_b32 s31, vcc_lo, exec_lo
	s_delay_alu instid0(SALU_CYCLE_1)
	s_or_b32 s29, s29, s31
	s_or_b32 exec_lo, exec_lo, s30
	v_mov_b32_e32 v4, 0
	s_and_saveexec_b32 s30, s29
	s_cbranch_execnz .LBB379_668
	s_branch .LBB379_669
.LBB379_775:
	s_mov_b32 s27, -1
	s_mov_b32 s29, 0
.LBB379_776:
                                        ; implicit-def: $vgpr0
.LBB379_777:
	s_and_b32 vcc_lo, exec_lo, s30
	s_cbranch_vccz .LBB379_781
; %bb.778:
	s_cmp_eq_u32 s28, 44
	s_cbranch_scc0 .LBB379_780
; %bb.779:
	global_load_u8 v0, v[2:3], off
	s_mov_b32 s27, 0
	s_mov_b32 s29, -1
	s_wait_loadcnt 0x0
	v_lshlrev_b32_e32 v1, 23, v0
	v_cmp_ne_u32_e32 vcc_lo, 0, v0
	s_delay_alu instid0(VALU_DEP_2) | instskip(NEXT) | instid1(VALU_DEP_1)
	v_cvt_i32_f32_e32 v1, v1
	v_cndmask_b32_e32 v0, 0, v1, vcc_lo
	s_branch .LBB379_781
.LBB379_780:
	s_mov_b32 s27, -1
                                        ; implicit-def: $vgpr0
.LBB379_781:
	s_mov_b32 s30, 0
.LBB379_782:
	s_delay_alu instid0(SALU_CYCLE_1)
	s_and_b32 vcc_lo, exec_lo, s30
	s_cbranch_vccz .LBB379_786
; %bb.783:
	s_cmp_eq_u32 s28, 29
	s_cbranch_scc0 .LBB379_785
; %bb.784:
	global_load_b64 v[0:1], v[2:3], off
	s_mov_b32 s29, -1
	s_mov_b32 s27, 0
	s_branch .LBB379_786
.LBB379_785:
	s_mov_b32 s27, -1
                                        ; implicit-def: $vgpr0
.LBB379_786:
	s_mov_b32 s30, 0
.LBB379_787:
	s_delay_alu instid0(SALU_CYCLE_1)
	s_and_b32 vcc_lo, exec_lo, s30
	s_cbranch_vccz .LBB379_803
; %bb.788:
	s_cmp_lt_i32 s28, 27
	s_cbranch_scc1 .LBB379_791
; %bb.789:
	s_cmp_gt_i32 s28, 27
	s_cbranch_scc0 .LBB379_792
; %bb.790:
	s_wait_loadcnt 0x0
	global_load_b32 v0, v[2:3], off
	s_mov_b32 s29, 0
	s_branch .LBB379_793
.LBB379_791:
	s_mov_b32 s29, -1
                                        ; implicit-def: $vgpr0
	s_branch .LBB379_796
.LBB379_792:
	s_mov_b32 s29, -1
                                        ; implicit-def: $vgpr0
.LBB379_793:
	s_delay_alu instid0(SALU_CYCLE_1)
	s_and_not1_b32 vcc_lo, exec_lo, s29
	s_cbranch_vccnz .LBB379_795
; %bb.794:
	s_wait_loadcnt 0x0
	global_load_u16 v0, v[2:3], off
.LBB379_795:
	s_mov_b32 s29, 0
.LBB379_796:
	s_delay_alu instid0(SALU_CYCLE_1)
	s_and_not1_b32 vcc_lo, exec_lo, s29
	s_cbranch_vccnz .LBB379_802
; %bb.797:
	s_wait_loadcnt 0x0
	global_load_u8 v1, v[2:3], off
	s_mov_b32 s30, 0
	s_mov_b32 s29, exec_lo
	s_wait_loadcnt 0x0
	v_cmpx_lt_i16_e32 0x7f, v1
	s_xor_b32 s29, exec_lo, s29
	s_cbranch_execz .LBB379_814
; %bb.798:
	v_cmp_ne_u16_e32 vcc_lo, 0x80, v1
	s_and_b32 s30, vcc_lo, exec_lo
	s_and_not1_saveexec_b32 s29, s29
	s_cbranch_execnz .LBB379_815
.LBB379_799:
	s_or_b32 exec_lo, exec_lo, s29
	v_mov_b32_e32 v0, 0
	s_and_saveexec_b32 s29, s30
	s_cbranch_execz .LBB379_801
.LBB379_800:
	v_and_b32_e32 v0, 0xffff, v1
	s_delay_alu instid0(VALU_DEP_1) | instskip(SKIP_1) | instid1(VALU_DEP_2)
	v_and_b32_e32 v4, 7, v0
	v_bfe_u32 v7, v0, 3, 4
	v_clz_i32_u32_e32 v5, v4
	s_delay_alu instid0(VALU_DEP_2) | instskip(NEXT) | instid1(VALU_DEP_2)
	v_cmp_eq_u32_e32 vcc_lo, 0, v7
	v_min_u32_e32 v5, 32, v5
	s_delay_alu instid0(VALU_DEP_1) | instskip(NEXT) | instid1(VALU_DEP_1)
	v_subrev_nc_u32_e32 v6, 28, v5
	v_dual_lshlrev_b32 v0, v6, v0 :: v_dual_sub_nc_u32 v5, 29, v5
	s_delay_alu instid0(VALU_DEP_1) | instskip(NEXT) | instid1(VALU_DEP_1)
	v_dual_lshlrev_b32 v1, 24, v1 :: v_dual_bitop2_b32 v0, 7, v0 bitop3:0x40
	v_dual_cndmask_b32 v0, v4, v0 :: v_dual_cndmask_b32 v5, v7, v5
	s_delay_alu instid0(VALU_DEP_2) | instskip(NEXT) | instid1(VALU_DEP_2)
	v_and_b32_e32 v1, 0x80000000, v1
	v_lshlrev_b32_e32 v0, 20, v0
	s_delay_alu instid0(VALU_DEP_3) | instskip(NEXT) | instid1(VALU_DEP_1)
	v_lshl_add_u32 v4, v5, 23, 0x3b800000
	v_or3_b32 v0, v1, v4, v0
	s_delay_alu instid0(VALU_DEP_1)
	v_cvt_i32_f32_e32 v0, v0
.LBB379_801:
	s_or_b32 exec_lo, exec_lo, s29
.LBB379_802:
	s_mov_b32 s29, -1
.LBB379_803:
	s_mov_b32 s30, 0
.LBB379_804:
	s_delay_alu instid0(SALU_CYCLE_1)
	s_and_b32 vcc_lo, exec_lo, s30
	s_cbranch_vccz .LBB379_837
; %bb.805:
	s_cmp_gt_i32 s28, 22
	s_cbranch_scc0 .LBB379_813
; %bb.806:
	s_cmp_lt_i32 s28, 24
	s_cbranch_scc1 .LBB379_816
; %bb.807:
	s_cmp_gt_i32 s28, 24
	s_cbranch_scc0 .LBB379_817
; %bb.808:
	s_wait_loadcnt 0x0
	global_load_u8 v1, v[2:3], off
	s_mov_b32 s30, 0
	s_mov_b32 s29, exec_lo
	s_wait_loadcnt 0x0
	v_cmpx_lt_i16_e32 0x7f, v1
	s_xor_b32 s29, exec_lo, s29
	s_cbranch_execz .LBB379_829
; %bb.809:
	v_cmp_ne_u16_e32 vcc_lo, 0x80, v1
	s_and_b32 s30, vcc_lo, exec_lo
	s_and_not1_saveexec_b32 s29, s29
	s_cbranch_execnz .LBB379_830
.LBB379_810:
	s_or_b32 exec_lo, exec_lo, s29
	v_mov_b32_e32 v0, 0
	s_and_saveexec_b32 s29, s30
	s_cbranch_execz .LBB379_812
.LBB379_811:
	v_and_b32_e32 v0, 0xffff, v1
	s_delay_alu instid0(VALU_DEP_1) | instskip(SKIP_1) | instid1(VALU_DEP_2)
	v_and_b32_e32 v4, 3, v0
	v_bfe_u32 v7, v0, 2, 5
	v_clz_i32_u32_e32 v5, v4
	s_delay_alu instid0(VALU_DEP_2) | instskip(NEXT) | instid1(VALU_DEP_2)
	v_cmp_eq_u32_e32 vcc_lo, 0, v7
	v_min_u32_e32 v5, 32, v5
	s_delay_alu instid0(VALU_DEP_1) | instskip(NEXT) | instid1(VALU_DEP_1)
	v_subrev_nc_u32_e32 v6, 29, v5
	v_dual_lshlrev_b32 v0, v6, v0 :: v_dual_sub_nc_u32 v5, 30, v5
	s_delay_alu instid0(VALU_DEP_1) | instskip(NEXT) | instid1(VALU_DEP_1)
	v_dual_lshlrev_b32 v1, 24, v1 :: v_dual_bitop2_b32 v0, 3, v0 bitop3:0x40
	v_dual_cndmask_b32 v0, v4, v0 :: v_dual_cndmask_b32 v5, v7, v5
	s_delay_alu instid0(VALU_DEP_2) | instskip(NEXT) | instid1(VALU_DEP_2)
	v_and_b32_e32 v1, 0x80000000, v1
	v_lshlrev_b32_e32 v0, 21, v0
	s_delay_alu instid0(VALU_DEP_3) | instskip(NEXT) | instid1(VALU_DEP_1)
	v_lshl_add_u32 v4, v5, 23, 0x37800000
	v_or3_b32 v0, v1, v4, v0
	s_delay_alu instid0(VALU_DEP_1)
	v_cvt_i32_f32_e32 v0, v0
.LBB379_812:
	s_or_b32 exec_lo, exec_lo, s29
	s_mov_b32 s29, 0
	s_branch .LBB379_818
.LBB379_813:
	s_mov_b32 s30, -1
                                        ; implicit-def: $vgpr0
	s_branch .LBB379_824
.LBB379_814:
	s_and_not1_saveexec_b32 s29, s29
	s_cbranch_execz .LBB379_799
.LBB379_815:
	v_cmp_ne_u16_e32 vcc_lo, 0, v1
	s_and_not1_b32 s30, s30, exec_lo
	s_and_b32 s31, vcc_lo, exec_lo
	s_delay_alu instid0(SALU_CYCLE_1)
	s_or_b32 s30, s30, s31
	s_or_b32 exec_lo, exec_lo, s29
	v_mov_b32_e32 v0, 0
	s_and_saveexec_b32 s29, s30
	s_cbranch_execnz .LBB379_800
	s_branch .LBB379_801
.LBB379_816:
	s_mov_b32 s29, -1
                                        ; implicit-def: $vgpr0
	s_branch .LBB379_821
.LBB379_817:
	s_mov_b32 s29, -1
                                        ; implicit-def: $vgpr0
.LBB379_818:
	s_delay_alu instid0(SALU_CYCLE_1)
	s_and_b32 vcc_lo, exec_lo, s29
	s_cbranch_vccz .LBB379_820
; %bb.819:
	s_wait_loadcnt 0x0
	global_load_u8 v0, v[2:3], off
	s_wait_loadcnt 0x0
	v_lshlrev_b32_e32 v0, 24, v0
	s_delay_alu instid0(VALU_DEP_1) | instskip(NEXT) | instid1(VALU_DEP_1)
	v_and_b32_e32 v1, 0x7f000000, v0
	v_clz_i32_u32_e32 v4, v1
	v_cmp_ne_u32_e32 vcc_lo, 0, v1
	v_add_nc_u32_e32 v6, 0x1000000, v1
	s_delay_alu instid0(VALU_DEP_3) | instskip(NEXT) | instid1(VALU_DEP_1)
	v_min_u32_e32 v4, 32, v4
	v_sub_nc_u32_e64 v4, v4, 4 clamp
	s_delay_alu instid0(VALU_DEP_1) | instskip(NEXT) | instid1(VALU_DEP_1)
	v_dual_lshlrev_b32 v5, v4, v1 :: v_dual_lshlrev_b32 v4, 23, v4
	v_lshrrev_b32_e32 v5, 4, v5
	s_delay_alu instid0(VALU_DEP_1) | instskip(NEXT) | instid1(VALU_DEP_1)
	v_dual_sub_nc_u32 v4, v5, v4 :: v_dual_ashrrev_i32 v5, 8, v6
	v_add_nc_u32_e32 v4, 0x3c000000, v4
	s_delay_alu instid0(VALU_DEP_1) | instskip(NEXT) | instid1(VALU_DEP_1)
	v_and_or_b32 v4, 0x7f800000, v5, v4
	v_cndmask_b32_e32 v1, 0, v4, vcc_lo
	s_delay_alu instid0(VALU_DEP_1) | instskip(NEXT) | instid1(VALU_DEP_1)
	v_and_or_b32 v0, 0x80000000, v0, v1
	v_cvt_i32_f32_e32 v0, v0
.LBB379_820:
	s_mov_b32 s29, 0
.LBB379_821:
	s_delay_alu instid0(SALU_CYCLE_1)
	s_and_not1_b32 vcc_lo, exec_lo, s29
	s_cbranch_vccnz .LBB379_823
; %bb.822:
	s_wait_loadcnt 0x0
	global_load_u8 v0, v[2:3], off
	s_wait_loadcnt 0x0
	v_lshlrev_b32_e32 v1, 25, v0
	v_lshlrev_b16 v0, 8, v0
	s_delay_alu instid0(VALU_DEP_1) | instskip(SKIP_1) | instid1(VALU_DEP_2)
	v_and_or_b32 v5, 0x7f00, v0, 0.5
	v_bfe_i32 v0, v0, 0, 16
	v_add_f32_e32 v5, -0.5, v5
	v_lshrrev_b32_e32 v4, 4, v1
	v_cmp_gt_u32_e32 vcc_lo, 0x8000000, v1
	s_delay_alu instid0(VALU_DEP_2) | instskip(NEXT) | instid1(VALU_DEP_1)
	v_or_b32_e32 v4, 0x70000000, v4
	v_mul_f32_e32 v4, 0x7800000, v4
	s_delay_alu instid0(VALU_DEP_1) | instskip(NEXT) | instid1(VALU_DEP_1)
	v_cndmask_b32_e32 v1, v4, v5, vcc_lo
	v_and_or_b32 v0, 0x80000000, v0, v1
	s_delay_alu instid0(VALU_DEP_1)
	v_cvt_i32_f32_e32 v0, v0
.LBB379_823:
	s_mov_b32 s30, 0
	s_mov_b32 s29, -1
.LBB379_824:
	s_and_not1_b32 vcc_lo, exec_lo, s30
	s_cbranch_vccnz .LBB379_837
; %bb.825:
	s_cmp_gt_i32 s28, 14
	s_cbranch_scc0 .LBB379_828
; %bb.826:
	s_cmp_eq_u32 s28, 15
	s_cbranch_scc0 .LBB379_831
; %bb.827:
	s_wait_loadcnt 0x0
	global_load_u16 v0, v[2:3], off
	s_mov_b32 s29, -1
	s_mov_b32 s27, 0
	s_wait_loadcnt 0x0
	v_lshlrev_b32_e32 v0, 16, v0
	s_delay_alu instid0(VALU_DEP_1)
	v_cvt_i32_f32_e32 v0, v0
	s_branch .LBB379_832
.LBB379_828:
	s_mov_b32 s30, -1
                                        ; implicit-def: $vgpr0
	s_branch .LBB379_833
.LBB379_829:
	s_and_not1_saveexec_b32 s29, s29
	s_cbranch_execz .LBB379_810
.LBB379_830:
	v_cmp_ne_u16_e32 vcc_lo, 0, v1
	s_and_not1_b32 s30, s30, exec_lo
	s_and_b32 s31, vcc_lo, exec_lo
	s_delay_alu instid0(SALU_CYCLE_1)
	s_or_b32 s30, s30, s31
	s_or_b32 exec_lo, exec_lo, s29
	v_mov_b32_e32 v0, 0
	s_and_saveexec_b32 s29, s30
	s_cbranch_execnz .LBB379_811
	s_branch .LBB379_812
.LBB379_831:
	s_mov_b32 s27, -1
                                        ; implicit-def: $vgpr0
.LBB379_832:
	s_mov_b32 s30, 0
.LBB379_833:
	s_delay_alu instid0(SALU_CYCLE_1)
	s_and_b32 vcc_lo, exec_lo, s30
	s_cbranch_vccz .LBB379_837
; %bb.834:
	s_cmp_eq_u32 s28, 11
	s_cbranch_scc0 .LBB379_836
; %bb.835:
	s_wait_loadcnt 0x0
	global_load_u8 v0, v[2:3], off
	s_mov_b32 s27, 0
	s_mov_b32 s29, -1
	s_wait_loadcnt 0x0
	v_cmp_ne_u16_e32 vcc_lo, 0, v0
	v_cndmask_b32_e64 v0, 0, 1, vcc_lo
	s_branch .LBB379_837
.LBB379_836:
	s_mov_b32 s27, -1
                                        ; implicit-def: $vgpr0
.LBB379_837:
	s_mov_b32 s28, 0
.LBB379_838:
	s_delay_alu instid0(SALU_CYCLE_1)
	s_and_b32 vcc_lo, exec_lo, s28
	s_cbranch_vccz .LBB379_887
; %bb.839:
	s_and_b32 s0, 0xffff, s0
	s_delay_alu instid0(SALU_CYCLE_1)
	s_cmp_lt_i32 s0, 5
	s_cbranch_scc1 .LBB379_844
; %bb.840:
	s_cmp_lt_i32 s0, 8
	s_cbranch_scc1 .LBB379_845
; %bb.841:
	;; [unrolled: 3-line block ×3, first 2 shown]
	s_cmp_gt_i32 s0, 9
	s_cbranch_scc0 .LBB379_847
; %bb.843:
	s_wait_loadcnt 0x0
	global_load_b64 v[0:1], v[2:3], off
	s_mov_b32 s28, 0
	s_wait_loadcnt 0x0
	v_cvt_i32_f64_e32 v0, v[0:1]
	s_branch .LBB379_848
.LBB379_844:
	s_mov_b32 s28, -1
                                        ; implicit-def: $vgpr0
	s_branch .LBB379_866
.LBB379_845:
	s_mov_b32 s28, -1
                                        ; implicit-def: $vgpr0
	s_branch .LBB379_854
.LBB379_846:
	s_mov_b32 s28, -1
                                        ; implicit-def: $vgpr0
	s_branch .LBB379_851
.LBB379_847:
	s_mov_b32 s28, -1
                                        ; implicit-def: $vgpr0
.LBB379_848:
	s_delay_alu instid0(SALU_CYCLE_1)
	s_and_not1_b32 vcc_lo, exec_lo, s28
	s_cbranch_vccnz .LBB379_850
; %bb.849:
	s_wait_loadcnt 0x0
	global_load_b32 v0, v[2:3], off
	s_wait_loadcnt 0x0
	v_cvt_i32_f32_e32 v0, v0
.LBB379_850:
	s_mov_b32 s28, 0
.LBB379_851:
	s_delay_alu instid0(SALU_CYCLE_1)
	s_and_not1_b32 vcc_lo, exec_lo, s28
	s_cbranch_vccnz .LBB379_853
; %bb.852:
	s_wait_loadcnt 0x0
	global_load_b32 v0, v[2:3], off
	s_wait_loadcnt 0x0
	v_cvt_i16_f16_e32 v0, v0
.LBB379_853:
	s_mov_b32 s28, 0
.LBB379_854:
	s_delay_alu instid0(SALU_CYCLE_1)
	s_and_not1_b32 vcc_lo, exec_lo, s28
	s_cbranch_vccnz .LBB379_865
; %bb.855:
	s_cmp_lt_i32 s0, 6
	s_cbranch_scc1 .LBB379_858
; %bb.856:
	s_cmp_gt_i32 s0, 6
	s_cbranch_scc0 .LBB379_859
; %bb.857:
	s_wait_loadcnt 0x0
	global_load_b64 v[0:1], v[2:3], off
	s_mov_b32 s28, 0
	s_wait_loadcnt 0x0
	v_cvt_i32_f64_e32 v0, v[0:1]
	s_branch .LBB379_860
.LBB379_858:
	s_mov_b32 s28, -1
                                        ; implicit-def: $vgpr0
	s_branch .LBB379_863
.LBB379_859:
	s_mov_b32 s28, -1
                                        ; implicit-def: $vgpr0
.LBB379_860:
	s_delay_alu instid0(SALU_CYCLE_1)
	s_and_not1_b32 vcc_lo, exec_lo, s28
	s_cbranch_vccnz .LBB379_862
; %bb.861:
	s_wait_loadcnt 0x0
	global_load_b32 v0, v[2:3], off
	s_wait_loadcnt 0x0
	v_cvt_i32_f32_e32 v0, v0
.LBB379_862:
	s_mov_b32 s28, 0
.LBB379_863:
	s_delay_alu instid0(SALU_CYCLE_1)
	s_and_not1_b32 vcc_lo, exec_lo, s28
	s_cbranch_vccnz .LBB379_865
; %bb.864:
	s_wait_loadcnt 0x0
	global_load_u16 v0, v[2:3], off
	s_wait_loadcnt 0x0
	v_cvt_i16_f16_e32 v0, v0
.LBB379_865:
	s_mov_b32 s28, 0
.LBB379_866:
	s_delay_alu instid0(SALU_CYCLE_1)
	s_and_not1_b32 vcc_lo, exec_lo, s28
	s_cbranch_vccnz .LBB379_886
; %bb.867:
	s_cmp_lt_i32 s0, 2
	s_cbranch_scc1 .LBB379_871
; %bb.868:
	s_cmp_lt_i32 s0, 3
	s_cbranch_scc1 .LBB379_872
; %bb.869:
	s_cmp_gt_i32 s0, 3
	s_cbranch_scc0 .LBB379_873
; %bb.870:
	s_wait_loadcnt 0x0
	global_load_b64 v[0:1], v[2:3], off
	s_mov_b32 s28, 0
	s_branch .LBB379_874
.LBB379_871:
	s_mov_b32 s28, -1
                                        ; implicit-def: $vgpr0
	s_branch .LBB379_880
.LBB379_872:
	s_mov_b32 s28, -1
                                        ; implicit-def: $vgpr0
	s_branch .LBB379_877
.LBB379_873:
	s_mov_b32 s28, -1
                                        ; implicit-def: $vgpr0
.LBB379_874:
	s_delay_alu instid0(SALU_CYCLE_1)
	s_and_not1_b32 vcc_lo, exec_lo, s28
	s_cbranch_vccnz .LBB379_876
; %bb.875:
	s_wait_loadcnt 0x0
	global_load_b32 v0, v[2:3], off
.LBB379_876:
	s_mov_b32 s28, 0
.LBB379_877:
	s_delay_alu instid0(SALU_CYCLE_1)
	s_and_not1_b32 vcc_lo, exec_lo, s28
	s_cbranch_vccnz .LBB379_879
; %bb.878:
	s_wait_loadcnt 0x0
	global_load_u16 v0, v[2:3], off
.LBB379_879:
	s_mov_b32 s28, 0
.LBB379_880:
	s_delay_alu instid0(SALU_CYCLE_1)
	s_and_not1_b32 vcc_lo, exec_lo, s28
	s_cbranch_vccnz .LBB379_886
; %bb.881:
	s_cmp_gt_i32 s0, 0
	s_mov_b32 s0, 0
	s_cbranch_scc0 .LBB379_883
; %bb.882:
	s_wait_loadcnt 0x0
	global_load_u8 v0, v[2:3], off
	s_branch .LBB379_884
.LBB379_883:
	s_mov_b32 s0, -1
                                        ; implicit-def: $vgpr0
.LBB379_884:
	s_delay_alu instid0(SALU_CYCLE_1)
	s_and_not1_b32 vcc_lo, exec_lo, s0
	s_cbranch_vccnz .LBB379_886
; %bb.885:
	s_wait_loadcnt 0x0
	global_load_u8 v0, v[2:3], off
.LBB379_886:
	s_mov_b32 s29, -1
.LBB379_887:
	s_delay_alu instid0(SALU_CYCLE_1)
	s_and_not1_b32 vcc_lo, exec_lo, s29
	s_cbranch_vccnz .LBB379_895
; %bb.888:
	s_wait_xcnt 0x0
	v_mul_lo_u32 v2, v18, s10
	s_and_b32 s0, s1, 0xff
	s_delay_alu instid0(SALU_CYCLE_1) | instskip(NEXT) | instid1(VALU_DEP_1)
	s_cmp_lt_i32 s0, 11
	v_ashrrev_i32_e32 v3, 31, v2
	s_delay_alu instid0(VALU_DEP_1)
	v_add_nc_u64_e32 v[2:3], s[2:3], v[2:3]
	s_cbranch_scc1 .LBB379_896
; %bb.889:
	s_and_b32 s29, 0xffff, s0
	s_delay_alu instid0(SALU_CYCLE_1)
	s_cmp_gt_i32 s29, 25
	s_cbranch_scc0 .LBB379_897
; %bb.890:
	s_cmp_gt_i32 s29, 28
	s_cbranch_scc0 .LBB379_898
; %bb.891:
	s_cmp_gt_i32 s29, 43
	s_cbranch_scc0 .LBB379_899
; %bb.892:
	s_cmp_gt_i32 s29, 45
	s_cbranch_scc0 .LBB379_900
; %bb.893:
	s_cmp_eq_u32 s29, 46
	s_mov_b32 s31, 0
	s_cbranch_scc0 .LBB379_903
; %bb.894:
	s_wait_loadcnt 0x0
	global_load_b32 v1, v[2:3], off
	s_mov_b32 s30, -1
	s_mov_b32 s28, 0
	s_wait_loadcnt 0x0
	v_lshlrev_b32_e32 v1, 16, v1
	s_delay_alu instid0(VALU_DEP_1)
	v_cvt_i32_f32_e32 v4, v1
	s_branch .LBB379_905
.LBB379_895:
	s_mov_b32 s30, 0
	s_mov_b32 s0, s23
	;; [unrolled: 1-line block ×3, first 2 shown]
	s_branch .LBB379_1140
.LBB379_896:
	s_mov_b32 s29, -1
	s_mov_b32 s30, 0
	s_mov_b32 s28, s24
                                        ; implicit-def: $vgpr4
	s_branch .LBB379_966
.LBB379_897:
	s_mov_b32 s31, -1
	s_mov_b32 s30, 0
	s_mov_b32 s28, s24
                                        ; implicit-def: $vgpr4
	s_branch .LBB379_932
.LBB379_898:
	s_mov_b32 s31, -1
	s_mov_b32 s30, 0
	s_mov_b32 s28, s24
                                        ; implicit-def: $vgpr4
	s_branch .LBB379_915
.LBB379_899:
	s_mov_b32 s31, -1
	s_mov_b32 s30, 0
	s_mov_b32 s28, s24
                                        ; implicit-def: $vgpr4
	s_branch .LBB379_910
.LBB379_900:
	s_mov_b32 s31, -1
	s_mov_b32 s30, 0
	s_mov_b32 s28, s24
	s_branch .LBB379_904
.LBB379_901:
	s_and_not1_saveexec_b32 s30, s30
	s_cbranch_execz .LBB379_680
.LBB379_902:
	v_add_f32_e32 v2, 0x42800000, v3
	s_and_not1_b32 s29, s29, exec_lo
	s_delay_alu instid0(VALU_DEP_1) | instskip(NEXT) | instid1(VALU_DEP_1)
	v_and_b32_e32 v2, 0xff, v2
	v_cmp_ne_u32_e32 vcc_lo, 0, v2
	s_and_b32 s31, vcc_lo, exec_lo
	s_delay_alu instid0(SALU_CYCLE_1)
	s_or_b32 s29, s29, s31
	s_or_b32 exec_lo, exec_lo, s30
	v_mov_b32_e32 v4, 0
	s_and_saveexec_b32 s30, s29
	s_cbranch_execnz .LBB379_681
	s_branch .LBB379_682
.LBB379_903:
	s_mov_b32 s28, -1
	s_mov_b32 s30, 0
.LBB379_904:
                                        ; implicit-def: $vgpr4
.LBB379_905:
	s_and_b32 vcc_lo, exec_lo, s31
	s_cbranch_vccz .LBB379_909
; %bb.906:
	s_cmp_eq_u32 s29, 44
	s_cbranch_scc0 .LBB379_908
; %bb.907:
	s_wait_loadcnt 0x0
	global_load_u8 v1, v[2:3], off
	s_mov_b32 s28, 0
	s_mov_b32 s30, -1
	s_wait_loadcnt 0x0
	v_lshlrev_b32_e32 v4, 23, v1
	v_cmp_ne_u32_e32 vcc_lo, 0, v1
	s_delay_alu instid0(VALU_DEP_2) | instskip(NEXT) | instid1(VALU_DEP_1)
	v_cvt_i32_f32_e32 v4, v4
	v_cndmask_b32_e32 v4, 0, v4, vcc_lo
	s_branch .LBB379_909
.LBB379_908:
	s_mov_b32 s28, -1
                                        ; implicit-def: $vgpr4
.LBB379_909:
	s_mov_b32 s31, 0
.LBB379_910:
	s_delay_alu instid0(SALU_CYCLE_1)
	s_and_b32 vcc_lo, exec_lo, s31
	s_cbranch_vccz .LBB379_914
; %bb.911:
	s_cmp_eq_u32 s29, 29
	s_cbranch_scc0 .LBB379_913
; %bb.912:
	global_load_b64 v[4:5], v[2:3], off
	s_mov_b32 s30, -1
	s_mov_b32 s28, 0
	s_branch .LBB379_914
.LBB379_913:
	s_mov_b32 s28, -1
                                        ; implicit-def: $vgpr4
.LBB379_914:
	s_mov_b32 s31, 0
.LBB379_915:
	s_delay_alu instid0(SALU_CYCLE_1)
	s_and_b32 vcc_lo, exec_lo, s31
	s_cbranch_vccz .LBB379_931
; %bb.916:
	s_cmp_lt_i32 s29, 27
	s_cbranch_scc1 .LBB379_919
; %bb.917:
	s_cmp_gt_i32 s29, 27
	s_cbranch_scc0 .LBB379_920
; %bb.918:
	s_wait_loadcnt 0x0
	global_load_b32 v4, v[2:3], off
	s_mov_b32 s30, 0
	s_branch .LBB379_921
.LBB379_919:
	s_mov_b32 s30, -1
                                        ; implicit-def: $vgpr4
	s_branch .LBB379_924
.LBB379_920:
	s_mov_b32 s30, -1
                                        ; implicit-def: $vgpr4
.LBB379_921:
	s_delay_alu instid0(SALU_CYCLE_1)
	s_and_not1_b32 vcc_lo, exec_lo, s30
	s_cbranch_vccnz .LBB379_923
; %bb.922:
	s_wait_loadcnt 0x0
	global_load_u16 v4, v[2:3], off
.LBB379_923:
	s_mov_b32 s30, 0
.LBB379_924:
	s_delay_alu instid0(SALU_CYCLE_1)
	s_and_not1_b32 vcc_lo, exec_lo, s30
	s_cbranch_vccnz .LBB379_930
; %bb.925:
	s_wait_loadcnt 0x0
	global_load_u8 v1, v[2:3], off
	s_mov_b32 s31, 0
	s_mov_b32 s30, exec_lo
	s_wait_loadcnt 0x0
	v_cmpx_lt_i16_e32 0x7f, v1
	s_xor_b32 s30, exec_lo, s30
	s_cbranch_execz .LBB379_942
; %bb.926:
	v_cmp_ne_u16_e32 vcc_lo, 0x80, v1
	s_and_b32 s31, vcc_lo, exec_lo
	s_and_not1_saveexec_b32 s30, s30
	s_cbranch_execnz .LBB379_943
.LBB379_927:
	s_or_b32 exec_lo, exec_lo, s30
	v_mov_b32_e32 v4, 0
	s_and_saveexec_b32 s30, s31
	s_cbranch_execz .LBB379_929
.LBB379_928:
	v_and_b32_e32 v4, 0xffff, v1
	s_delay_alu instid0(VALU_DEP_1) | instskip(SKIP_1) | instid1(VALU_DEP_2)
	v_and_b32_e32 v5, 7, v4
	v_bfe_u32 v8, v4, 3, 4
	v_clz_i32_u32_e32 v6, v5
	s_delay_alu instid0(VALU_DEP_2) | instskip(NEXT) | instid1(VALU_DEP_2)
	v_cmp_eq_u32_e32 vcc_lo, 0, v8
	v_min_u32_e32 v6, 32, v6
	s_delay_alu instid0(VALU_DEP_1) | instskip(NEXT) | instid1(VALU_DEP_1)
	v_subrev_nc_u32_e32 v7, 28, v6
	v_dual_lshlrev_b32 v4, v7, v4 :: v_dual_sub_nc_u32 v6, 29, v6
	s_delay_alu instid0(VALU_DEP_1) | instskip(NEXT) | instid1(VALU_DEP_1)
	v_dual_lshlrev_b32 v1, 24, v1 :: v_dual_bitop2_b32 v4, 7, v4 bitop3:0x40
	v_dual_cndmask_b32 v6, v8, v6, vcc_lo :: v_dual_cndmask_b32 v4, v5, v4, vcc_lo
	s_delay_alu instid0(VALU_DEP_2) | instskip(NEXT) | instid1(VALU_DEP_2)
	v_and_b32_e32 v1, 0x80000000, v1
	v_lshl_add_u32 v5, v6, 23, 0x3b800000
	s_delay_alu instid0(VALU_DEP_3) | instskip(NEXT) | instid1(VALU_DEP_1)
	v_lshlrev_b32_e32 v4, 20, v4
	v_or3_b32 v1, v1, v5, v4
	s_delay_alu instid0(VALU_DEP_1)
	v_cvt_i32_f32_e32 v4, v1
.LBB379_929:
	s_or_b32 exec_lo, exec_lo, s30
.LBB379_930:
	s_mov_b32 s30, -1
.LBB379_931:
	s_mov_b32 s31, 0
.LBB379_932:
	s_delay_alu instid0(SALU_CYCLE_1)
	s_and_b32 vcc_lo, exec_lo, s31
	s_cbranch_vccz .LBB379_965
; %bb.933:
	s_cmp_gt_i32 s29, 22
	s_cbranch_scc0 .LBB379_941
; %bb.934:
	s_cmp_lt_i32 s29, 24
	s_cbranch_scc1 .LBB379_944
; %bb.935:
	s_cmp_gt_i32 s29, 24
	s_cbranch_scc0 .LBB379_945
; %bb.936:
	s_wait_loadcnt 0x0
	global_load_u8 v1, v[2:3], off
	s_mov_b32 s31, 0
	s_mov_b32 s30, exec_lo
	s_wait_loadcnt 0x0
	v_cmpx_lt_i16_e32 0x7f, v1
	s_xor_b32 s30, exec_lo, s30
	s_cbranch_execz .LBB379_957
; %bb.937:
	v_cmp_ne_u16_e32 vcc_lo, 0x80, v1
	s_and_b32 s31, vcc_lo, exec_lo
	s_and_not1_saveexec_b32 s30, s30
	s_cbranch_execnz .LBB379_958
.LBB379_938:
	s_or_b32 exec_lo, exec_lo, s30
	v_mov_b32_e32 v4, 0
	s_and_saveexec_b32 s30, s31
	s_cbranch_execz .LBB379_940
.LBB379_939:
	v_and_b32_e32 v4, 0xffff, v1
	s_delay_alu instid0(VALU_DEP_1) | instskip(SKIP_1) | instid1(VALU_DEP_2)
	v_and_b32_e32 v5, 3, v4
	v_bfe_u32 v8, v4, 2, 5
	v_clz_i32_u32_e32 v6, v5
	s_delay_alu instid0(VALU_DEP_2) | instskip(NEXT) | instid1(VALU_DEP_2)
	v_cmp_eq_u32_e32 vcc_lo, 0, v8
	v_min_u32_e32 v6, 32, v6
	s_delay_alu instid0(VALU_DEP_1) | instskip(NEXT) | instid1(VALU_DEP_1)
	v_subrev_nc_u32_e32 v7, 29, v6
	v_dual_lshlrev_b32 v4, v7, v4 :: v_dual_sub_nc_u32 v6, 30, v6
	s_delay_alu instid0(VALU_DEP_1) | instskip(NEXT) | instid1(VALU_DEP_1)
	v_dual_lshlrev_b32 v1, 24, v1 :: v_dual_bitop2_b32 v4, 3, v4 bitop3:0x40
	v_dual_cndmask_b32 v6, v8, v6, vcc_lo :: v_dual_cndmask_b32 v4, v5, v4, vcc_lo
	s_delay_alu instid0(VALU_DEP_2) | instskip(NEXT) | instid1(VALU_DEP_2)
	v_and_b32_e32 v1, 0x80000000, v1
	v_lshl_add_u32 v5, v6, 23, 0x37800000
	s_delay_alu instid0(VALU_DEP_3) | instskip(NEXT) | instid1(VALU_DEP_1)
	v_lshlrev_b32_e32 v4, 21, v4
	v_or3_b32 v1, v1, v5, v4
	s_delay_alu instid0(VALU_DEP_1)
	v_cvt_i32_f32_e32 v4, v1
.LBB379_940:
	s_or_b32 exec_lo, exec_lo, s30
	s_mov_b32 s30, 0
	s_branch .LBB379_946
.LBB379_941:
	s_mov_b32 s31, -1
                                        ; implicit-def: $vgpr4
	s_branch .LBB379_952
.LBB379_942:
	s_and_not1_saveexec_b32 s30, s30
	s_cbranch_execz .LBB379_927
.LBB379_943:
	v_cmp_ne_u16_e32 vcc_lo, 0, v1
	s_and_not1_b32 s31, s31, exec_lo
	s_and_b32 s33, vcc_lo, exec_lo
	s_delay_alu instid0(SALU_CYCLE_1)
	s_or_b32 s31, s31, s33
	s_or_b32 exec_lo, exec_lo, s30
	v_mov_b32_e32 v4, 0
	s_and_saveexec_b32 s30, s31
	s_cbranch_execnz .LBB379_928
	s_branch .LBB379_929
.LBB379_944:
	s_mov_b32 s30, -1
                                        ; implicit-def: $vgpr4
	s_branch .LBB379_949
.LBB379_945:
	s_mov_b32 s30, -1
                                        ; implicit-def: $vgpr4
.LBB379_946:
	s_delay_alu instid0(SALU_CYCLE_1)
	s_and_b32 vcc_lo, exec_lo, s30
	s_cbranch_vccz .LBB379_948
; %bb.947:
	s_wait_loadcnt 0x0
	global_load_u8 v1, v[2:3], off
	s_wait_loadcnt 0x0
	v_lshlrev_b32_e32 v1, 24, v1
	s_delay_alu instid0(VALU_DEP_1) | instskip(NEXT) | instid1(VALU_DEP_1)
	v_and_b32_e32 v4, 0x7f000000, v1
	v_clz_i32_u32_e32 v5, v4
	v_cmp_ne_u32_e32 vcc_lo, 0, v4
	v_add_nc_u32_e32 v7, 0x1000000, v4
	s_delay_alu instid0(VALU_DEP_3) | instskip(NEXT) | instid1(VALU_DEP_1)
	v_min_u32_e32 v5, 32, v5
	v_sub_nc_u32_e64 v5, v5, 4 clamp
	s_delay_alu instid0(VALU_DEP_1) | instskip(NEXT) | instid1(VALU_DEP_1)
	v_dual_lshlrev_b32 v6, v5, v4 :: v_dual_lshlrev_b32 v5, 23, v5
	v_lshrrev_b32_e32 v6, 4, v6
	s_delay_alu instid0(VALU_DEP_1) | instskip(NEXT) | instid1(VALU_DEP_1)
	v_dual_sub_nc_u32 v5, v6, v5 :: v_dual_ashrrev_i32 v6, 8, v7
	v_add_nc_u32_e32 v5, 0x3c000000, v5
	s_delay_alu instid0(VALU_DEP_1) | instskip(NEXT) | instid1(VALU_DEP_1)
	v_and_or_b32 v5, 0x7f800000, v6, v5
	v_cndmask_b32_e32 v4, 0, v5, vcc_lo
	s_delay_alu instid0(VALU_DEP_1) | instskip(NEXT) | instid1(VALU_DEP_1)
	v_and_or_b32 v1, 0x80000000, v1, v4
	v_cvt_i32_f32_e32 v4, v1
.LBB379_948:
	s_mov_b32 s30, 0
.LBB379_949:
	s_delay_alu instid0(SALU_CYCLE_1)
	s_and_not1_b32 vcc_lo, exec_lo, s30
	s_cbranch_vccnz .LBB379_951
; %bb.950:
	s_wait_loadcnt 0x0
	global_load_u8 v1, v[2:3], off
	s_wait_loadcnt 0x0
	v_lshlrev_b32_e32 v4, 25, v1
	v_lshlrev_b16 v1, 8, v1
	s_delay_alu instid0(VALU_DEP_1) | instskip(SKIP_1) | instid1(VALU_DEP_2)
	v_and_or_b32 v6, 0x7f00, v1, 0.5
	v_bfe_i32 v1, v1, 0, 16
	v_dual_add_f32 v6, -0.5, v6 :: v_dual_lshrrev_b32 v5, 4, v4
	v_cmp_gt_u32_e32 vcc_lo, 0x8000000, v4
	s_delay_alu instid0(VALU_DEP_2) | instskip(NEXT) | instid1(VALU_DEP_1)
	v_or_b32_e32 v5, 0x70000000, v5
	v_mul_f32_e32 v5, 0x7800000, v5
	s_delay_alu instid0(VALU_DEP_1) | instskip(NEXT) | instid1(VALU_DEP_1)
	v_cndmask_b32_e32 v4, v5, v6, vcc_lo
	v_and_or_b32 v1, 0x80000000, v1, v4
	s_delay_alu instid0(VALU_DEP_1)
	v_cvt_i32_f32_e32 v4, v1
.LBB379_951:
	s_mov_b32 s31, 0
	s_mov_b32 s30, -1
.LBB379_952:
	s_and_not1_b32 vcc_lo, exec_lo, s31
	s_cbranch_vccnz .LBB379_965
; %bb.953:
	s_cmp_gt_i32 s29, 14
	s_cbranch_scc0 .LBB379_956
; %bb.954:
	s_cmp_eq_u32 s29, 15
	s_cbranch_scc0 .LBB379_959
; %bb.955:
	s_wait_loadcnt 0x0
	global_load_u16 v1, v[2:3], off
	s_mov_b32 s30, -1
	s_mov_b32 s28, 0
	s_wait_loadcnt 0x0
	v_lshlrev_b32_e32 v1, 16, v1
	s_delay_alu instid0(VALU_DEP_1)
	v_cvt_i32_f32_e32 v4, v1
	s_branch .LBB379_960
.LBB379_956:
	s_mov_b32 s31, -1
                                        ; implicit-def: $vgpr4
	s_branch .LBB379_961
.LBB379_957:
	s_and_not1_saveexec_b32 s30, s30
	s_cbranch_execz .LBB379_938
.LBB379_958:
	v_cmp_ne_u16_e32 vcc_lo, 0, v1
	s_and_not1_b32 s31, s31, exec_lo
	s_and_b32 s33, vcc_lo, exec_lo
	s_delay_alu instid0(SALU_CYCLE_1)
	s_or_b32 s31, s31, s33
	s_or_b32 exec_lo, exec_lo, s30
	v_mov_b32_e32 v4, 0
	s_and_saveexec_b32 s30, s31
	s_cbranch_execnz .LBB379_939
	s_branch .LBB379_940
.LBB379_959:
	s_mov_b32 s28, -1
                                        ; implicit-def: $vgpr4
.LBB379_960:
	s_mov_b32 s31, 0
.LBB379_961:
	s_delay_alu instid0(SALU_CYCLE_1)
	s_and_b32 vcc_lo, exec_lo, s31
	s_cbranch_vccz .LBB379_965
; %bb.962:
	s_cmp_eq_u32 s29, 11
	s_cbranch_scc0 .LBB379_964
; %bb.963:
	s_wait_loadcnt 0x0
	global_load_u8 v1, v[2:3], off
	s_mov_b32 s28, 0
	s_mov_b32 s30, -1
	s_wait_loadcnt 0x0
	v_cmp_ne_u16_e32 vcc_lo, 0, v1
	v_cndmask_b32_e64 v4, 0, 1, vcc_lo
	s_branch .LBB379_965
.LBB379_964:
	s_mov_b32 s28, -1
                                        ; implicit-def: $vgpr4
.LBB379_965:
	s_mov_b32 s29, 0
.LBB379_966:
	s_delay_alu instid0(SALU_CYCLE_1)
	s_and_b32 vcc_lo, exec_lo, s29
	s_cbranch_vccz .LBB379_1015
; %bb.967:
	s_and_b32 s0, 0xffff, s0
	s_delay_alu instid0(SALU_CYCLE_1)
	s_cmp_lt_i32 s0, 5
	s_cbranch_scc1 .LBB379_972
; %bb.968:
	s_cmp_lt_i32 s0, 8
	s_cbranch_scc1 .LBB379_973
; %bb.969:
	;; [unrolled: 3-line block ×3, first 2 shown]
	s_cmp_gt_i32 s0, 9
	s_cbranch_scc0 .LBB379_975
; %bb.971:
	s_wait_loadcnt 0x0
	global_load_b64 v[4:5], v[2:3], off
	s_mov_b32 s29, 0
	s_wait_loadcnt 0x0
	v_cvt_i32_f64_e32 v4, v[4:5]
	s_branch .LBB379_976
.LBB379_972:
	s_mov_b32 s29, -1
                                        ; implicit-def: $vgpr4
	s_branch .LBB379_994
.LBB379_973:
	s_mov_b32 s29, -1
                                        ; implicit-def: $vgpr4
	s_branch .LBB379_982
.LBB379_974:
	s_mov_b32 s29, -1
                                        ; implicit-def: $vgpr4
	s_branch .LBB379_979
.LBB379_975:
	s_mov_b32 s29, -1
                                        ; implicit-def: $vgpr4
.LBB379_976:
	s_delay_alu instid0(SALU_CYCLE_1)
	s_and_not1_b32 vcc_lo, exec_lo, s29
	s_cbranch_vccnz .LBB379_978
; %bb.977:
	s_wait_loadcnt 0x0
	global_load_b32 v1, v[2:3], off
	s_wait_loadcnt 0x0
	v_cvt_i32_f32_e32 v4, v1
.LBB379_978:
	s_mov_b32 s29, 0
.LBB379_979:
	s_delay_alu instid0(SALU_CYCLE_1)
	s_and_not1_b32 vcc_lo, exec_lo, s29
	s_cbranch_vccnz .LBB379_981
; %bb.980:
	s_wait_loadcnt 0x0
	global_load_b32 v1, v[2:3], off
	s_wait_loadcnt 0x0
	v_cvt_i16_f16_e32 v4, v1
.LBB379_981:
	s_mov_b32 s29, 0
.LBB379_982:
	s_delay_alu instid0(SALU_CYCLE_1)
	s_and_not1_b32 vcc_lo, exec_lo, s29
	s_cbranch_vccnz .LBB379_993
; %bb.983:
	s_cmp_lt_i32 s0, 6
	s_cbranch_scc1 .LBB379_986
; %bb.984:
	s_cmp_gt_i32 s0, 6
	s_cbranch_scc0 .LBB379_987
; %bb.985:
	s_wait_loadcnt 0x0
	global_load_b64 v[4:5], v[2:3], off
	s_mov_b32 s29, 0
	s_wait_loadcnt 0x0
	v_cvt_i32_f64_e32 v4, v[4:5]
	s_branch .LBB379_988
.LBB379_986:
	s_mov_b32 s29, -1
                                        ; implicit-def: $vgpr4
	s_branch .LBB379_991
.LBB379_987:
	s_mov_b32 s29, -1
                                        ; implicit-def: $vgpr4
.LBB379_988:
	s_delay_alu instid0(SALU_CYCLE_1)
	s_and_not1_b32 vcc_lo, exec_lo, s29
	s_cbranch_vccnz .LBB379_990
; %bb.989:
	s_wait_loadcnt 0x0
	global_load_b32 v1, v[2:3], off
	s_wait_loadcnt 0x0
	v_cvt_i32_f32_e32 v4, v1
.LBB379_990:
	s_mov_b32 s29, 0
.LBB379_991:
	s_delay_alu instid0(SALU_CYCLE_1)
	s_and_not1_b32 vcc_lo, exec_lo, s29
	s_cbranch_vccnz .LBB379_993
; %bb.992:
	s_wait_loadcnt 0x0
	global_load_u16 v1, v[2:3], off
	s_wait_loadcnt 0x0
	v_cvt_i16_f16_e32 v4, v1
.LBB379_993:
	s_mov_b32 s29, 0
.LBB379_994:
	s_delay_alu instid0(SALU_CYCLE_1)
	s_and_not1_b32 vcc_lo, exec_lo, s29
	s_cbranch_vccnz .LBB379_1014
; %bb.995:
	s_cmp_lt_i32 s0, 2
	s_cbranch_scc1 .LBB379_999
; %bb.996:
	s_cmp_lt_i32 s0, 3
	s_cbranch_scc1 .LBB379_1000
; %bb.997:
	s_cmp_gt_i32 s0, 3
	s_cbranch_scc0 .LBB379_1001
; %bb.998:
	s_wait_loadcnt 0x0
	global_load_b64 v[4:5], v[2:3], off
	s_mov_b32 s29, 0
	s_branch .LBB379_1002
.LBB379_999:
	s_mov_b32 s29, -1
                                        ; implicit-def: $vgpr4
	s_branch .LBB379_1008
.LBB379_1000:
	s_mov_b32 s29, -1
                                        ; implicit-def: $vgpr4
	s_branch .LBB379_1005
.LBB379_1001:
	s_mov_b32 s29, -1
                                        ; implicit-def: $vgpr4
.LBB379_1002:
	s_delay_alu instid0(SALU_CYCLE_1)
	s_and_not1_b32 vcc_lo, exec_lo, s29
	s_cbranch_vccnz .LBB379_1004
; %bb.1003:
	s_wait_loadcnt 0x0
	global_load_b32 v4, v[2:3], off
.LBB379_1004:
	s_mov_b32 s29, 0
.LBB379_1005:
	s_delay_alu instid0(SALU_CYCLE_1)
	s_and_not1_b32 vcc_lo, exec_lo, s29
	s_cbranch_vccnz .LBB379_1007
; %bb.1006:
	s_wait_loadcnt 0x0
	global_load_u16 v4, v[2:3], off
.LBB379_1007:
	s_mov_b32 s29, 0
.LBB379_1008:
	s_delay_alu instid0(SALU_CYCLE_1)
	s_and_not1_b32 vcc_lo, exec_lo, s29
	s_cbranch_vccnz .LBB379_1014
; %bb.1009:
	s_cmp_gt_i32 s0, 0
	s_mov_b32 s0, 0
	s_cbranch_scc0 .LBB379_1011
; %bb.1010:
	s_wait_loadcnt 0x0
	global_load_u8 v4, v[2:3], off
	s_branch .LBB379_1012
.LBB379_1011:
	s_mov_b32 s0, -1
                                        ; implicit-def: $vgpr4
.LBB379_1012:
	s_delay_alu instid0(SALU_CYCLE_1)
	s_and_not1_b32 vcc_lo, exec_lo, s0
	s_cbranch_vccnz .LBB379_1014
; %bb.1013:
	s_wait_loadcnt 0x0
	global_load_u8 v4, v[2:3], off
.LBB379_1014:
	s_mov_b32 s30, -1
.LBB379_1015:
	s_delay_alu instid0(SALU_CYCLE_1)
	s_and_not1_b32 vcc_lo, exec_lo, s30
	s_cbranch_vccnz .LBB379_1023
; %bb.1016:
	s_wait_xcnt 0x0
	v_mul_lo_u32 v2, v18, s8
	s_wait_loadcnt 0x0
	s_delay_alu instid0(VALU_DEP_2) | instskip(SKIP_2) | instid1(VALU_DEP_1)
	v_and_b32_e32 v1, 0xff, v4
	v_and_b32_e32 v0, 0xff, v0
	s_and_b32 s30, s12, 0xff
	v_cmp_ne_u16_e32 vcc_lo, v0, v1
	s_delay_alu instid0(VALU_DEP_4) | instskip(SKIP_2) | instid1(VALU_DEP_1)
	v_ashrrev_i32_e32 v3, 31, v2
	s_xor_b32 s29, s16, vcc_lo
	s_cmp_lt_i32 s30, 11
	v_add_nc_u64_e32 v[0:1], s[4:5], v[2:3]
	s_cbranch_scc1 .LBB379_1024
; %bb.1017:
	s_and_b32 s31, 0xffff, s30
	s_delay_alu instid0(SALU_CYCLE_1)
	s_cmp_gt_i32 s31, 25
	s_cbranch_scc0 .LBB379_1025
; %bb.1018:
	s_cmp_gt_i32 s31, 28
	s_cbranch_scc0 .LBB379_1026
; %bb.1019:
	s_cmp_gt_i32 s31, 43
	s_cbranch_scc0 .LBB379_1027
; %bb.1020:
	s_cmp_gt_i32 s31, 45
	s_cbranch_scc0 .LBB379_1028
; %bb.1021:
	s_mov_b32 s34, 0
	s_mov_b32 s0, -1
	s_cmp_eq_u32 s31, 46
	s_mov_b32 s33, 0
	s_cbranch_scc0 .LBB379_1029
; %bb.1022:
	v_cndmask_b32_e64 v2, 0, 1.0, s29
	s_mov_b32 s33, -1
	s_mov_b32 s0, 0
	s_delay_alu instid0(VALU_DEP_1) | instskip(NEXT) | instid1(VALU_DEP_1)
	v_bfe_u32 v3, v2, 16, 1
	v_add3_u32 v2, v2, v3, 0x7fff
	s_delay_alu instid0(VALU_DEP_1)
	v_lshrrev_b32_e32 v2, 16, v2
	global_store_b32 v[0:1], v2, off
	s_branch .LBB379_1029
.LBB379_1023:
	s_mov_b32 s30, 0
	s_mov_b32 s0, s23
	s_branch .LBB379_1140
.LBB379_1024:
	s_mov_b32 s31, -1
	s_mov_b32 s33, 0
	s_mov_b32 s0, s23
	s_branch .LBB379_1098
.LBB379_1025:
	s_mov_b32 s33, 0
	s_mov_b32 s0, s23
	s_branch .LBB379_1056
.LBB379_1026:
	s_mov_b32 s33, 0
	s_mov_b32 s0, s23
	s_branch .LBB379_1039
.LBB379_1027:
	s_mov_b32 s33, 0
	s_mov_b32 s0, s23
	s_branch .LBB379_1035
.LBB379_1028:
	s_mov_b32 s33, 0
	s_mov_b32 s0, s23
.LBB379_1029:
	s_and_b32 vcc_lo, exec_lo, s34
	s_cbranch_vccz .LBB379_1034
; %bb.1030:
	s_cmp_eq_u32 s31, 44
	s_mov_b32 s0, -1
	s_cbranch_scc0 .LBB379_1034
; %bb.1031:
	v_cndmask_b32_e64 v4, 0, 1.0, s29
	s_mov_b32 s33, exec_lo
	s_wait_xcnt 0x0
	s_delay_alu instid0(VALU_DEP_1) | instskip(NEXT) | instid1(VALU_DEP_1)
	v_dual_mov_b32 v3, 0xff :: v_dual_lshrrev_b32 v2, 23, v4
	v_cmpx_ne_u32_e32 0xff, v2
; %bb.1032:
	v_and_b32_e32 v3, 0x400000, v4
	v_and_or_b32 v4, 0x3fffff, v4, v2
	s_delay_alu instid0(VALU_DEP_2) | instskip(NEXT) | instid1(VALU_DEP_2)
	v_cmp_ne_u32_e32 vcc_lo, 0, v3
	v_cmp_ne_u32_e64 s0, 0, v4
	s_and_b32 s0, vcc_lo, s0
	s_delay_alu instid0(SALU_CYCLE_1) | instskip(NEXT) | instid1(VALU_DEP_1)
	v_cndmask_b32_e64 v3, 0, 1, s0
	v_add_nc_u32_e32 v3, v2, v3
; %bb.1033:
	s_or_b32 exec_lo, exec_lo, s33
	s_mov_b32 s33, -1
	s_mov_b32 s0, 0
	global_store_b8 v[0:1], v3, off
.LBB379_1034:
	s_mov_b32 s34, 0
.LBB379_1035:
	s_delay_alu instid0(SALU_CYCLE_1)
	s_and_b32 vcc_lo, exec_lo, s34
	s_cbranch_vccz .LBB379_1038
; %bb.1036:
	s_cmp_eq_u32 s31, 29
	s_mov_b32 s0, -1
	s_cbranch_scc0 .LBB379_1038
; %bb.1037:
	s_mov_b32 s0, 0
	s_wait_xcnt 0x0
	v_cndmask_b32_e64 v2, 0, 1, s29
	v_mov_b32_e32 v3, s0
	s_mov_b32 s33, -1
	s_mov_b32 s34, 0
	global_store_b64 v[0:1], v[2:3], off
	s_branch .LBB379_1039
.LBB379_1038:
	s_mov_b32 s34, 0
.LBB379_1039:
	s_delay_alu instid0(SALU_CYCLE_1)
	s_and_b32 vcc_lo, exec_lo, s34
	s_cbranch_vccz .LBB379_1055
; %bb.1040:
	s_cmp_lt_i32 s31, 27
	s_mov_b32 s33, -1
	s_cbranch_scc1 .LBB379_1046
; %bb.1041:
	s_cmp_gt_i32 s31, 27
	s_cbranch_scc0 .LBB379_1043
; %bb.1042:
	s_wait_xcnt 0x0
	v_cndmask_b32_e64 v2, 0, 1, s29
	s_mov_b32 s33, 0
	global_store_b32 v[0:1], v2, off
.LBB379_1043:
	s_and_not1_b32 vcc_lo, exec_lo, s33
	s_cbranch_vccnz .LBB379_1045
; %bb.1044:
	s_wait_xcnt 0x0
	v_cndmask_b32_e64 v2, 0, 1, s29
	global_store_b16 v[0:1], v2, off
.LBB379_1045:
	s_mov_b32 s33, 0
.LBB379_1046:
	s_delay_alu instid0(SALU_CYCLE_1)
	s_and_not1_b32 vcc_lo, exec_lo, s33
	s_cbranch_vccnz .LBB379_1054
; %bb.1047:
	s_wait_xcnt 0x0
	v_cndmask_b32_e64 v3, 0, 1.0, s29
	v_mov_b32_e32 v4, 0x80
	s_mov_b32 s33, exec_lo
	s_delay_alu instid0(VALU_DEP_2)
	v_cmpx_gt_u32_e32 0x43800000, v3
	s_cbranch_execz .LBB379_1053
; %bb.1048:
	s_mov_b32 s34, 0
	s_mov_b32 s35, exec_lo
                                        ; implicit-def: $vgpr2
	v_cmpx_lt_u32_e32 0x3bffffff, v3
	s_xor_b32 s35, exec_lo, s35
	s_cbranch_execz .LBB379_1156
; %bb.1049:
	v_bfe_u32 v2, v3, 20, 1
	s_mov_b32 s34, exec_lo
	s_delay_alu instid0(VALU_DEP_1) | instskip(NEXT) | instid1(VALU_DEP_1)
	v_add3_u32 v2, v3, v2, 0x487ffff
                                        ; implicit-def: $vgpr3
	v_lshrrev_b32_e32 v2, 20, v2
	s_and_not1_saveexec_b32 s35, s35
	s_cbranch_execnz .LBB379_1157
.LBB379_1050:
	s_or_b32 exec_lo, exec_lo, s35
	v_mov_b32_e32 v4, 0
	s_and_saveexec_b32 s35, s34
.LBB379_1051:
	v_mov_b32_e32 v4, v2
.LBB379_1052:
	s_or_b32 exec_lo, exec_lo, s35
.LBB379_1053:
	s_delay_alu instid0(SALU_CYCLE_1)
	s_or_b32 exec_lo, exec_lo, s33
	global_store_b8 v[0:1], v4, off
.LBB379_1054:
	s_mov_b32 s33, -1
.LBB379_1055:
	s_mov_b32 s34, 0
.LBB379_1056:
	s_delay_alu instid0(SALU_CYCLE_1)
	s_and_b32 vcc_lo, exec_lo, s34
	s_cbranch_vccz .LBB379_1097
; %bb.1057:
	s_cmp_gt_i32 s31, 22
	s_mov_b32 s34, -1
	s_cbranch_scc0 .LBB379_1089
; %bb.1058:
	s_cmp_lt_i32 s31, 24
	s_mov_b32 s33, -1
	s_cbranch_scc1 .LBB379_1078
; %bb.1059:
	s_cmp_gt_i32 s31, 24
	s_cbranch_scc0 .LBB379_1067
; %bb.1060:
	s_wait_xcnt 0x0
	v_cndmask_b32_e64 v3, 0, 1.0, s29
	v_mov_b32_e32 v4, 0x80
	s_mov_b32 s33, exec_lo
	s_delay_alu instid0(VALU_DEP_2)
	v_cmpx_gt_u32_e32 0x47800000, v3
	s_cbranch_execz .LBB379_1066
; %bb.1061:
	s_mov_b32 s34, 0
	s_mov_b32 s35, exec_lo
                                        ; implicit-def: $vgpr2
	v_cmpx_lt_u32_e32 0x37ffffff, v3
	s_xor_b32 s35, exec_lo, s35
	s_cbranch_execz .LBB379_2155
; %bb.1062:
	v_bfe_u32 v2, v3, 21, 1
	s_mov_b32 s34, exec_lo
	s_delay_alu instid0(VALU_DEP_1) | instskip(NEXT) | instid1(VALU_DEP_1)
	v_add3_u32 v2, v3, v2, 0x88fffff
                                        ; implicit-def: $vgpr3
	v_lshrrev_b32_e32 v2, 21, v2
	s_and_not1_saveexec_b32 s35, s35
	s_cbranch_execnz .LBB379_2156
.LBB379_1063:
	s_or_b32 exec_lo, exec_lo, s35
	v_mov_b32_e32 v4, 0
	s_and_saveexec_b32 s35, s34
.LBB379_1064:
	v_mov_b32_e32 v4, v2
.LBB379_1065:
	s_or_b32 exec_lo, exec_lo, s35
.LBB379_1066:
	s_delay_alu instid0(SALU_CYCLE_1)
	s_or_b32 exec_lo, exec_lo, s33
	s_mov_b32 s33, 0
	global_store_b8 v[0:1], v4, off
.LBB379_1067:
	s_and_b32 vcc_lo, exec_lo, s33
	s_cbranch_vccz .LBB379_1077
; %bb.1068:
	s_wait_xcnt 0x0
	v_cndmask_b32_e64 v3, 0, 1.0, s29
	s_mov_b32 s33, exec_lo
                                        ; implicit-def: $vgpr2
	s_delay_alu instid0(VALU_DEP_1)
	v_cmpx_gt_u32_e32 0x43f00000, v3
	s_xor_b32 s33, exec_lo, s33
	s_cbranch_execz .LBB379_1074
; %bb.1069:
	s_mov_b32 s34, exec_lo
                                        ; implicit-def: $vgpr2
	v_cmpx_lt_u32_e32 0x3c7fffff, v3
	s_xor_b32 s34, exec_lo, s34
; %bb.1070:
	v_bfe_u32 v2, v3, 20, 1
	s_delay_alu instid0(VALU_DEP_1) | instskip(NEXT) | instid1(VALU_DEP_1)
	v_add3_u32 v2, v3, v2, 0x407ffff
	v_and_b32_e32 v3, 0xff00000, v2
	v_lshrrev_b32_e32 v2, 20, v2
	s_delay_alu instid0(VALU_DEP_2) | instskip(NEXT) | instid1(VALU_DEP_2)
	v_cmp_ne_u32_e32 vcc_lo, 0x7f00000, v3
                                        ; implicit-def: $vgpr3
	v_cndmask_b32_e32 v2, 0x7e, v2, vcc_lo
; %bb.1071:
	s_and_not1_saveexec_b32 s34, s34
; %bb.1072:
	v_add_f32_e32 v2, 0x46800000, v3
; %bb.1073:
	s_or_b32 exec_lo, exec_lo, s34
                                        ; implicit-def: $vgpr3
.LBB379_1074:
	s_and_not1_saveexec_b32 s33, s33
; %bb.1075:
	v_mov_b32_e32 v2, 0x7f
	v_cmp_lt_u32_e32 vcc_lo, 0x7f800000, v3
	s_delay_alu instid0(VALU_DEP_2)
	v_cndmask_b32_e32 v2, 0x7e, v2, vcc_lo
; %bb.1076:
	s_or_b32 exec_lo, exec_lo, s33
	global_store_b8 v[0:1], v2, off
.LBB379_1077:
	s_mov_b32 s33, 0
.LBB379_1078:
	s_delay_alu instid0(SALU_CYCLE_1)
	s_and_not1_b32 vcc_lo, exec_lo, s33
	s_cbranch_vccnz .LBB379_1088
; %bb.1079:
	s_wait_xcnt 0x0
	v_cndmask_b32_e64 v3, 0, 1.0, s29
	s_mov_b32 s33, exec_lo
                                        ; implicit-def: $vgpr2
	s_delay_alu instid0(VALU_DEP_1)
	v_cmpx_gt_u32_e32 0x47800000, v3
	s_xor_b32 s33, exec_lo, s33
	s_cbranch_execz .LBB379_1085
; %bb.1080:
	s_mov_b32 s34, exec_lo
                                        ; implicit-def: $vgpr2
	v_cmpx_lt_u32_e32 0x387fffff, v3
	s_xor_b32 s34, exec_lo, s34
; %bb.1081:
	v_bfe_u32 v2, v3, 21, 1
	s_delay_alu instid0(VALU_DEP_1) | instskip(NEXT) | instid1(VALU_DEP_1)
	v_add3_u32 v2, v3, v2, 0x80fffff
                                        ; implicit-def: $vgpr3
	v_lshrrev_b32_e32 v2, 21, v2
; %bb.1082:
	s_and_not1_saveexec_b32 s34, s34
; %bb.1083:
	v_add_f32_e32 v2, 0x43000000, v3
; %bb.1084:
	s_or_b32 exec_lo, exec_lo, s34
                                        ; implicit-def: $vgpr3
.LBB379_1085:
	s_and_not1_saveexec_b32 s33, s33
; %bb.1086:
	v_mov_b32_e32 v2, 0x7f
	v_cmp_lt_u32_e32 vcc_lo, 0x7f800000, v3
	s_delay_alu instid0(VALU_DEP_2)
	v_cndmask_b32_e32 v2, 0x7c, v2, vcc_lo
; %bb.1087:
	s_or_b32 exec_lo, exec_lo, s33
	global_store_b8 v[0:1], v2, off
.LBB379_1088:
	s_mov_b32 s34, 0
	s_mov_b32 s33, -1
.LBB379_1089:
	s_and_not1_b32 vcc_lo, exec_lo, s34
	s_cbranch_vccnz .LBB379_1097
; %bb.1090:
	s_cmp_gt_i32 s31, 14
	s_mov_b32 s34, -1
	s_cbranch_scc0 .LBB379_1094
; %bb.1091:
	s_cmp_eq_u32 s31, 15
	s_mov_b32 s0, -1
	s_cbranch_scc0 .LBB379_1093
; %bb.1092:
	s_wait_xcnt 0x0
	v_cndmask_b32_e64 v2, 0, 1.0, s29
	s_mov_b32 s33, -1
	s_mov_b32 s0, 0
	s_delay_alu instid0(VALU_DEP_1) | instskip(NEXT) | instid1(VALU_DEP_1)
	v_bfe_u32 v3, v2, 16, 1
	v_add3_u32 v2, v2, v3, 0x7fff
	global_store_d16_hi_b16 v[0:1], v2, off
.LBB379_1093:
	s_mov_b32 s34, 0
.LBB379_1094:
	s_delay_alu instid0(SALU_CYCLE_1)
	s_and_b32 vcc_lo, exec_lo, s34
	s_cbranch_vccz .LBB379_1097
; %bb.1095:
	s_cmp_eq_u32 s31, 11
	s_mov_b32 s0, -1
	s_cbranch_scc0 .LBB379_1097
; %bb.1096:
	s_wait_xcnt 0x0
	v_cndmask_b32_e64 v2, 0, 1, s29
	s_mov_b32 s33, -1
	s_mov_b32 s0, 0
	global_store_b8 v[0:1], v2, off
.LBB379_1097:
	s_mov_b32 s31, 0
.LBB379_1098:
	s_delay_alu instid0(SALU_CYCLE_1)
	s_and_b32 vcc_lo, exec_lo, s31
	s_cbranch_vccz .LBB379_1137
; %bb.1099:
	s_and_b32 s30, 0xffff, s30
	s_mov_b32 s31, -1
	s_cmp_lt_i32 s30, 5
	s_cbranch_scc1 .LBB379_1120
; %bb.1100:
	s_cmp_lt_i32 s30, 8
	s_cbranch_scc1 .LBB379_1110
; %bb.1101:
	s_cmp_lt_i32 s30, 9
	s_cbranch_scc1 .LBB379_1107
; %bb.1102:
	s_cmp_gt_i32 s30, 9
	s_cbranch_scc0 .LBB379_1104
; %bb.1103:
	s_wait_xcnt 0x0
	v_cndmask_b32_e64 v2, 0, 1, s29
	v_mov_b32_e32 v4, 0
	s_mov_b32 s31, 0
	s_delay_alu instid0(VALU_DEP_2) | instskip(NEXT) | instid1(VALU_DEP_2)
	v_cvt_f64_u32_e32 v[2:3], v2
	v_mov_b32_e32 v5, v4
	global_store_b128 v[0:1], v[2:5], off
.LBB379_1104:
	s_and_not1_b32 vcc_lo, exec_lo, s31
	s_cbranch_vccnz .LBB379_1106
; %bb.1105:
	s_wait_xcnt 0x0
	v_cndmask_b32_e64 v2, 0, 1.0, s29
	v_mov_b32_e32 v3, 0
	global_store_b64 v[0:1], v[2:3], off
.LBB379_1106:
	s_mov_b32 s31, 0
.LBB379_1107:
	s_delay_alu instid0(SALU_CYCLE_1)
	s_and_not1_b32 vcc_lo, exec_lo, s31
	s_cbranch_vccnz .LBB379_1109
; %bb.1108:
	s_wait_xcnt 0x0
	v_cndmask_b32_e64 v2, 0, 1.0, s29
	s_delay_alu instid0(VALU_DEP_1) | instskip(NEXT) | instid1(VALU_DEP_1)
	v_cvt_f16_f32_e32 v2, v2
	v_and_b32_e32 v2, 0xffff, v2
	global_store_b32 v[0:1], v2, off
.LBB379_1109:
	s_mov_b32 s31, 0
.LBB379_1110:
	s_delay_alu instid0(SALU_CYCLE_1)
	s_and_not1_b32 vcc_lo, exec_lo, s31
	s_cbranch_vccnz .LBB379_1119
; %bb.1111:
	s_cmp_lt_i32 s30, 6
	s_mov_b32 s31, -1
	s_cbranch_scc1 .LBB379_1117
; %bb.1112:
	s_cmp_gt_i32 s30, 6
	s_cbranch_scc0 .LBB379_1114
; %bb.1113:
	s_wait_xcnt 0x0
	v_cndmask_b32_e64 v2, 0, 1, s29
	s_mov_b32 s31, 0
	s_delay_alu instid0(VALU_DEP_1)
	v_cvt_f64_u32_e32 v[2:3], v2
	global_store_b64 v[0:1], v[2:3], off
.LBB379_1114:
	s_and_not1_b32 vcc_lo, exec_lo, s31
	s_cbranch_vccnz .LBB379_1116
; %bb.1115:
	s_wait_xcnt 0x0
	v_cndmask_b32_e64 v2, 0, 1.0, s29
	global_store_b32 v[0:1], v2, off
.LBB379_1116:
	s_mov_b32 s31, 0
.LBB379_1117:
	s_delay_alu instid0(SALU_CYCLE_1)
	s_and_not1_b32 vcc_lo, exec_lo, s31
	s_cbranch_vccnz .LBB379_1119
; %bb.1118:
	s_wait_xcnt 0x0
	v_cndmask_b32_e64 v2, 0, 1.0, s29
	s_delay_alu instid0(VALU_DEP_1)
	v_cvt_f16_f32_e32 v2, v2
	global_store_b16 v[0:1], v2, off
.LBB379_1119:
	s_mov_b32 s31, 0
.LBB379_1120:
	s_delay_alu instid0(SALU_CYCLE_1)
	s_and_not1_b32 vcc_lo, exec_lo, s31
	s_cbranch_vccnz .LBB379_1136
; %bb.1121:
	s_cmp_lt_i32 s30, 2
	s_mov_b32 s31, -1
	s_cbranch_scc1 .LBB379_1131
; %bb.1122:
	s_cmp_lt_i32 s30, 3
	s_cbranch_scc1 .LBB379_1128
; %bb.1123:
	s_cmp_gt_i32 s30, 3
	s_cbranch_scc0 .LBB379_1125
; %bb.1124:
	s_mov_b32 s31, 0
	s_wait_xcnt 0x0
	v_cndmask_b32_e64 v2, 0, 1, s29
	v_mov_b32_e32 v3, s31
	global_store_b64 v[0:1], v[2:3], off
.LBB379_1125:
	s_and_not1_b32 vcc_lo, exec_lo, s31
	s_cbranch_vccnz .LBB379_1127
; %bb.1126:
	s_wait_xcnt 0x0
	v_cndmask_b32_e64 v2, 0, 1, s29
	global_store_b32 v[0:1], v2, off
.LBB379_1127:
	s_mov_b32 s31, 0
.LBB379_1128:
	s_delay_alu instid0(SALU_CYCLE_1)
	s_and_not1_b32 vcc_lo, exec_lo, s31
	s_cbranch_vccnz .LBB379_1130
; %bb.1129:
	s_wait_xcnt 0x0
	v_cndmask_b32_e64 v2, 0, 1, s29
	global_store_b16 v[0:1], v2, off
.LBB379_1130:
	s_mov_b32 s31, 0
.LBB379_1131:
	s_delay_alu instid0(SALU_CYCLE_1)
	s_and_not1_b32 vcc_lo, exec_lo, s31
	s_cbranch_vccnz .LBB379_1136
; %bb.1132:
	s_wait_xcnt 0x0
	v_cndmask_b32_e64 v2, 0, 1, s29
	s_cmp_gt_i32 s30, 0
	s_mov_b32 s29, -1
	s_cbranch_scc0 .LBB379_1134
; %bb.1133:
	s_mov_b32 s29, 0
	global_store_b8 v[0:1], v2, off
.LBB379_1134:
	s_and_not1_b32 vcc_lo, exec_lo, s29
	s_cbranch_vccnz .LBB379_1136
; %bb.1135:
	global_store_b8 v[0:1], v2, off
.LBB379_1136:
	s_mov_b32 s33, -1
.LBB379_1137:
	s_delay_alu instid0(SALU_CYCLE_1)
	s_and_not1_b32 vcc_lo, exec_lo, s33
	s_cbranch_vccnz .LBB379_1139
; %bb.1138:
	v_add_nc_u32_e32 v18, 0x80, v18
	s_mov_b32 s30, -1
	s_branch .LBB379_1141
.LBB379_1139:
	s_mov_b32 s30, 0
.LBB379_1140:
                                        ; implicit-def: $vgpr18
.LBB379_1141:
	s_and_not1_b32 s29, s23, exec_lo
	s_and_b32 s0, s0, exec_lo
	s_and_b32 s28, s28, exec_lo
	s_or_b32 s29, s29, s0
	s_and_not1_b32 s0, s24, exec_lo
	s_and_not1_b32 s31, s22, exec_lo
	s_and_b32 s27, s27, exec_lo
	s_or_b32 s28, s0, s28
	s_or_b32 s27, s31, s27
	s_or_not1_b32 s34, s30, exec_lo
.LBB379_1142:
	s_wait_xcnt 0x0
	s_or_b32 exec_lo, exec_lo, s26
	s_mov_b32 s30, 0
	s_mov_b32 s31, 0
	s_mov_b32 s33, 0
                                        ; implicit-def: $sgpr0
                                        ; implicit-def: $vgpr2_vgpr3
                                        ; implicit-def: $vgpr0
	s_and_saveexec_b32 s26, s34
	s_cbranch_execz .LBB379_1221
; %bb.1143:
	v_cmp_gt_i32_e32 vcc_lo, s17, v18
	s_mov_b32 s35, s27
	s_mov_b32 s34, 0
	;; [unrolled: 1-line block ×3, first 2 shown]
                                        ; implicit-def: $sgpr0
                                        ; implicit-def: $vgpr2_vgpr3
                                        ; implicit-def: $vgpr0
	s_and_saveexec_b32 s17, vcc_lo
	s_cbranch_execz .LBB379_1220
; %bb.1144:
	s_wait_loadcnt 0x0
	v_mul_lo_u32 v0, v18, s9
	s_and_b32 s0, s14, 0xff
	s_delay_alu instid0(SALU_CYCLE_1) | instskip(NEXT) | instid1(VALU_DEP_1)
	s_cmp_lt_i32 s0, 11
	v_ashrrev_i32_e32 v1, 31, v0
	s_delay_alu instid0(VALU_DEP_1)
	v_add_nc_u64_e32 v[2:3], s[6:7], v[0:1]
	s_cbranch_scc1 .LBB379_1151
; %bb.1145:
	s_and_b32 s30, 0xffff, s0
	s_delay_alu instid0(SALU_CYCLE_1)
	s_cmp_gt_i32 s30, 25
	s_cbranch_scc0 .LBB379_1152
; %bb.1146:
	s_cmp_gt_i32 s30, 28
	s_cbranch_scc0 .LBB379_1153
; %bb.1147:
	;; [unrolled: 3-line block ×4, first 2 shown]
	s_cmp_eq_u32 s30, 46
	s_mov_b32 s35, 0
	s_cbranch_scc0 .LBB379_1158
; %bb.1150:
	global_load_b32 v0, v[2:3], off
	s_mov_b32 s34, -1
	s_wait_loadcnt 0x0
	v_lshlrev_b32_e32 v0, 16, v0
	s_delay_alu instid0(VALU_DEP_1)
	v_cvt_i32_f32_e32 v0, v0
	s_branch .LBB379_1160
.LBB379_1151:
	s_mov_b32 s30, -1
	s_mov_b32 s31, s27
                                        ; implicit-def: $vgpr0
	s_branch .LBB379_1219
.LBB379_1152:
	s_mov_b32 s35, -1
	s_mov_b32 s31, s27
                                        ; implicit-def: $vgpr0
	s_branch .LBB379_1187
.LBB379_1153:
	s_mov_b32 s35, -1
	s_mov_b32 s31, s27
                                        ; implicit-def: $vgpr0
	s_branch .LBB379_1170
.LBB379_1154:
	s_mov_b32 s35, -1
	s_mov_b32 s31, s27
                                        ; implicit-def: $vgpr0
	s_branch .LBB379_1165
.LBB379_1155:
	s_mov_b32 s35, -1
	s_mov_b32 s31, s27
	s_branch .LBB379_1159
.LBB379_1156:
	s_and_not1_saveexec_b32 s35, s35
	s_cbranch_execz .LBB379_1050
.LBB379_1157:
	v_add_f32_e32 v2, 0x46000000, v3
	s_and_not1_b32 s34, s34, exec_lo
	s_delay_alu instid0(VALU_DEP_1) | instskip(NEXT) | instid1(VALU_DEP_1)
	v_and_b32_e32 v2, 0xff, v2
	v_cmp_ne_u32_e32 vcc_lo, 0, v2
	s_and_b32 s36, vcc_lo, exec_lo
	s_delay_alu instid0(SALU_CYCLE_1)
	s_or_b32 s34, s34, s36
	s_or_b32 exec_lo, exec_lo, s35
	v_mov_b32_e32 v4, 0
	s_and_saveexec_b32 s35, s34
	s_cbranch_execnz .LBB379_1051
	s_branch .LBB379_1052
.LBB379_1158:
	s_mov_b32 s31, -1
.LBB379_1159:
                                        ; implicit-def: $vgpr0
.LBB379_1160:
	s_and_b32 vcc_lo, exec_lo, s35
	s_cbranch_vccz .LBB379_1164
; %bb.1161:
	s_cmp_eq_u32 s30, 44
	s_cbranch_scc0 .LBB379_1163
; %bb.1162:
	global_load_u8 v0, v[2:3], off
	s_mov_b32 s31, 0
	s_mov_b32 s34, -1
	s_wait_loadcnt 0x0
	v_lshlrev_b32_e32 v1, 23, v0
	v_cmp_ne_u32_e32 vcc_lo, 0, v0
	s_delay_alu instid0(VALU_DEP_2) | instskip(NEXT) | instid1(VALU_DEP_1)
	v_cvt_i32_f32_e32 v1, v1
	v_cndmask_b32_e32 v0, 0, v1, vcc_lo
	s_branch .LBB379_1164
.LBB379_1163:
	s_mov_b32 s31, -1
                                        ; implicit-def: $vgpr0
.LBB379_1164:
	s_mov_b32 s35, 0
.LBB379_1165:
	s_delay_alu instid0(SALU_CYCLE_1)
	s_and_b32 vcc_lo, exec_lo, s35
	s_cbranch_vccz .LBB379_1169
; %bb.1166:
	s_cmp_eq_u32 s30, 29
	s_cbranch_scc0 .LBB379_1168
; %bb.1167:
	global_load_b64 v[0:1], v[2:3], off
	s_mov_b32 s31, 0
	s_mov_b32 s34, -1
	s_branch .LBB379_1169
.LBB379_1168:
	s_mov_b32 s31, -1
                                        ; implicit-def: $vgpr0
.LBB379_1169:
	s_mov_b32 s35, 0
.LBB379_1170:
	s_delay_alu instid0(SALU_CYCLE_1)
	s_and_b32 vcc_lo, exec_lo, s35
	s_cbranch_vccz .LBB379_1186
; %bb.1171:
	s_cmp_lt_i32 s30, 27
	s_cbranch_scc1 .LBB379_1174
; %bb.1172:
	s_cmp_gt_i32 s30, 27
	s_cbranch_scc0 .LBB379_1175
; %bb.1173:
	s_wait_loadcnt 0x0
	global_load_b32 v0, v[2:3], off
	s_mov_b32 s34, 0
	s_branch .LBB379_1176
.LBB379_1174:
	s_mov_b32 s34, -1
                                        ; implicit-def: $vgpr0
	s_branch .LBB379_1179
.LBB379_1175:
	s_mov_b32 s34, -1
                                        ; implicit-def: $vgpr0
.LBB379_1176:
	s_delay_alu instid0(SALU_CYCLE_1)
	s_and_not1_b32 vcc_lo, exec_lo, s34
	s_cbranch_vccnz .LBB379_1178
; %bb.1177:
	s_wait_loadcnt 0x0
	global_load_u16 v0, v[2:3], off
.LBB379_1178:
	s_mov_b32 s34, 0
.LBB379_1179:
	s_delay_alu instid0(SALU_CYCLE_1)
	s_and_not1_b32 vcc_lo, exec_lo, s34
	s_cbranch_vccnz .LBB379_1185
; %bb.1180:
	s_wait_loadcnt 0x0
	global_load_u8 v1, v[2:3], off
	s_mov_b32 s35, 0
	s_mov_b32 s34, exec_lo
	s_wait_loadcnt 0x0
	v_cmpx_lt_i16_e32 0x7f, v1
	s_xor_b32 s34, exec_lo, s34
	s_cbranch_execz .LBB379_1197
; %bb.1181:
	v_cmp_ne_u16_e32 vcc_lo, 0x80, v1
	s_and_b32 s35, vcc_lo, exec_lo
	s_and_not1_saveexec_b32 s34, s34
	s_cbranch_execnz .LBB379_1198
.LBB379_1182:
	s_or_b32 exec_lo, exec_lo, s34
	v_mov_b32_e32 v0, 0
	s_and_saveexec_b32 s34, s35
	s_cbranch_execz .LBB379_1184
.LBB379_1183:
	v_and_b32_e32 v0, 0xffff, v1
	s_delay_alu instid0(VALU_DEP_1) | instskip(SKIP_1) | instid1(VALU_DEP_2)
	v_and_b32_e32 v4, 7, v0
	v_bfe_u32 v7, v0, 3, 4
	v_clz_i32_u32_e32 v5, v4
	s_delay_alu instid0(VALU_DEP_2) | instskip(NEXT) | instid1(VALU_DEP_2)
	v_cmp_eq_u32_e32 vcc_lo, 0, v7
	v_min_u32_e32 v5, 32, v5
	s_delay_alu instid0(VALU_DEP_1) | instskip(NEXT) | instid1(VALU_DEP_1)
	v_subrev_nc_u32_e32 v6, 28, v5
	v_dual_lshlrev_b32 v0, v6, v0 :: v_dual_sub_nc_u32 v5, 29, v5
	s_delay_alu instid0(VALU_DEP_1) | instskip(NEXT) | instid1(VALU_DEP_1)
	v_dual_lshlrev_b32 v1, 24, v1 :: v_dual_bitop2_b32 v0, 7, v0 bitop3:0x40
	v_dual_cndmask_b32 v0, v4, v0 :: v_dual_cndmask_b32 v5, v7, v5
	s_delay_alu instid0(VALU_DEP_2) | instskip(NEXT) | instid1(VALU_DEP_2)
	v_and_b32_e32 v1, 0x80000000, v1
	v_lshlrev_b32_e32 v0, 20, v0
	s_delay_alu instid0(VALU_DEP_3) | instskip(NEXT) | instid1(VALU_DEP_1)
	v_lshl_add_u32 v4, v5, 23, 0x3b800000
	v_or3_b32 v0, v1, v4, v0
	s_delay_alu instid0(VALU_DEP_1)
	v_cvt_i32_f32_e32 v0, v0
.LBB379_1184:
	s_or_b32 exec_lo, exec_lo, s34
.LBB379_1185:
	s_mov_b32 s34, -1
.LBB379_1186:
	s_mov_b32 s35, 0
.LBB379_1187:
	s_delay_alu instid0(SALU_CYCLE_1)
	s_and_b32 vcc_lo, exec_lo, s35
	s_cbranch_vccz .LBB379_1218
; %bb.1188:
	s_cmp_gt_i32 s30, 22
	s_cbranch_scc0 .LBB379_1196
; %bb.1189:
	s_cmp_lt_i32 s30, 24
	s_cbranch_scc1 .LBB379_1199
; %bb.1190:
	s_cmp_gt_i32 s30, 24
	s_cbranch_scc0 .LBB379_1200
; %bb.1191:
	s_wait_loadcnt 0x0
	global_load_u8 v1, v[2:3], off
	s_mov_b32 s34, 0
	s_mov_b32 s33, exec_lo
	s_wait_loadcnt 0x0
	v_cmpx_lt_i16_e32 0x7f, v1
	s_xor_b32 s33, exec_lo, s33
	s_cbranch_execz .LBB379_1212
; %bb.1192:
	v_cmp_ne_u16_e32 vcc_lo, 0x80, v1
	s_and_b32 s34, vcc_lo, exec_lo
	s_and_not1_saveexec_b32 s33, s33
	s_cbranch_execnz .LBB379_1213
.LBB379_1193:
	s_or_b32 exec_lo, exec_lo, s33
	v_mov_b32_e32 v0, 0
	s_and_saveexec_b32 s33, s34
	s_cbranch_execz .LBB379_1195
.LBB379_1194:
	v_and_b32_e32 v0, 0xffff, v1
	s_delay_alu instid0(VALU_DEP_1) | instskip(SKIP_1) | instid1(VALU_DEP_2)
	v_and_b32_e32 v4, 3, v0
	v_bfe_u32 v7, v0, 2, 5
	v_clz_i32_u32_e32 v5, v4
	s_delay_alu instid0(VALU_DEP_2) | instskip(NEXT) | instid1(VALU_DEP_2)
	v_cmp_eq_u32_e32 vcc_lo, 0, v7
	v_min_u32_e32 v5, 32, v5
	s_delay_alu instid0(VALU_DEP_1) | instskip(NEXT) | instid1(VALU_DEP_1)
	v_subrev_nc_u32_e32 v6, 29, v5
	v_dual_lshlrev_b32 v0, v6, v0 :: v_dual_sub_nc_u32 v5, 30, v5
	s_delay_alu instid0(VALU_DEP_1) | instskip(NEXT) | instid1(VALU_DEP_1)
	v_dual_lshlrev_b32 v1, 24, v1 :: v_dual_bitop2_b32 v0, 3, v0 bitop3:0x40
	v_dual_cndmask_b32 v0, v4, v0 :: v_dual_cndmask_b32 v5, v7, v5
	s_delay_alu instid0(VALU_DEP_2) | instskip(NEXT) | instid1(VALU_DEP_2)
	v_and_b32_e32 v1, 0x80000000, v1
	v_lshlrev_b32_e32 v0, 21, v0
	s_delay_alu instid0(VALU_DEP_3) | instskip(NEXT) | instid1(VALU_DEP_1)
	v_lshl_add_u32 v4, v5, 23, 0x37800000
	v_or3_b32 v0, v1, v4, v0
	s_delay_alu instid0(VALU_DEP_1)
	v_cvt_i32_f32_e32 v0, v0
.LBB379_1195:
	s_or_b32 exec_lo, exec_lo, s33
	s_mov_b32 s33, 0
	s_branch .LBB379_1201
.LBB379_1196:
	s_mov_b32 s33, -1
                                        ; implicit-def: $vgpr0
	s_branch .LBB379_1207
.LBB379_1197:
	s_and_not1_saveexec_b32 s34, s34
	s_cbranch_execz .LBB379_1182
.LBB379_1198:
	v_cmp_ne_u16_e32 vcc_lo, 0, v1
	s_and_not1_b32 s35, s35, exec_lo
	s_and_b32 s36, vcc_lo, exec_lo
	s_delay_alu instid0(SALU_CYCLE_1)
	s_or_b32 s35, s35, s36
	s_or_b32 exec_lo, exec_lo, s34
	v_mov_b32_e32 v0, 0
	s_and_saveexec_b32 s34, s35
	s_cbranch_execnz .LBB379_1183
	s_branch .LBB379_1184
.LBB379_1199:
	s_mov_b32 s33, -1
                                        ; implicit-def: $vgpr0
	s_branch .LBB379_1204
.LBB379_1200:
	s_mov_b32 s33, -1
                                        ; implicit-def: $vgpr0
.LBB379_1201:
	s_delay_alu instid0(SALU_CYCLE_1)
	s_and_b32 vcc_lo, exec_lo, s33
	s_cbranch_vccz .LBB379_1203
; %bb.1202:
	s_wait_loadcnt 0x0
	global_load_u8 v0, v[2:3], off
	s_wait_loadcnt 0x0
	v_lshlrev_b32_e32 v0, 24, v0
	s_delay_alu instid0(VALU_DEP_1) | instskip(NEXT) | instid1(VALU_DEP_1)
	v_and_b32_e32 v1, 0x7f000000, v0
	v_clz_i32_u32_e32 v4, v1
	v_cmp_ne_u32_e32 vcc_lo, 0, v1
	v_add_nc_u32_e32 v6, 0x1000000, v1
	s_delay_alu instid0(VALU_DEP_3) | instskip(NEXT) | instid1(VALU_DEP_1)
	v_min_u32_e32 v4, 32, v4
	v_sub_nc_u32_e64 v4, v4, 4 clamp
	s_delay_alu instid0(VALU_DEP_1) | instskip(NEXT) | instid1(VALU_DEP_1)
	v_dual_lshlrev_b32 v5, v4, v1 :: v_dual_lshlrev_b32 v4, 23, v4
	v_lshrrev_b32_e32 v5, 4, v5
	s_delay_alu instid0(VALU_DEP_1) | instskip(NEXT) | instid1(VALU_DEP_1)
	v_dual_sub_nc_u32 v4, v5, v4 :: v_dual_ashrrev_i32 v5, 8, v6
	v_add_nc_u32_e32 v4, 0x3c000000, v4
	s_delay_alu instid0(VALU_DEP_1) | instskip(NEXT) | instid1(VALU_DEP_1)
	v_and_or_b32 v4, 0x7f800000, v5, v4
	v_cndmask_b32_e32 v1, 0, v4, vcc_lo
	s_delay_alu instid0(VALU_DEP_1) | instskip(NEXT) | instid1(VALU_DEP_1)
	v_and_or_b32 v0, 0x80000000, v0, v1
	v_cvt_i32_f32_e32 v0, v0
.LBB379_1203:
	s_mov_b32 s33, 0
.LBB379_1204:
	s_delay_alu instid0(SALU_CYCLE_1)
	s_and_not1_b32 vcc_lo, exec_lo, s33
	s_cbranch_vccnz .LBB379_1206
; %bb.1205:
	s_wait_loadcnt 0x0
	global_load_u8 v0, v[2:3], off
	s_wait_loadcnt 0x0
	v_lshlrev_b32_e32 v1, 25, v0
	v_lshlrev_b16 v0, 8, v0
	s_delay_alu instid0(VALU_DEP_1) | instskip(SKIP_1) | instid1(VALU_DEP_2)
	v_and_or_b32 v5, 0x7f00, v0, 0.5
	v_bfe_i32 v0, v0, 0, 16
	v_add_f32_e32 v5, -0.5, v5
	v_lshrrev_b32_e32 v4, 4, v1
	v_cmp_gt_u32_e32 vcc_lo, 0x8000000, v1
	s_delay_alu instid0(VALU_DEP_2) | instskip(NEXT) | instid1(VALU_DEP_1)
	v_or_b32_e32 v4, 0x70000000, v4
	v_mul_f32_e32 v4, 0x7800000, v4
	s_delay_alu instid0(VALU_DEP_1) | instskip(NEXT) | instid1(VALU_DEP_1)
	v_cndmask_b32_e32 v1, v4, v5, vcc_lo
	v_and_or_b32 v0, 0x80000000, v0, v1
	s_delay_alu instid0(VALU_DEP_1)
	v_cvt_i32_f32_e32 v0, v0
.LBB379_1206:
	s_mov_b32 s33, 0
	s_mov_b32 s34, -1
.LBB379_1207:
	s_and_not1_b32 vcc_lo, exec_lo, s33
	s_mov_b32 s33, 0
	s_cbranch_vccnz .LBB379_1218
; %bb.1208:
	s_cmp_gt_i32 s30, 14
	s_cbranch_scc0 .LBB379_1211
; %bb.1209:
	s_cmp_eq_u32 s30, 15
	s_cbranch_scc0 .LBB379_1214
; %bb.1210:
	s_wait_loadcnt 0x0
	global_load_u16 v0, v[2:3], off
	s_mov_b32 s31, 0
	s_mov_b32 s34, -1
	s_wait_loadcnt 0x0
	v_lshlrev_b32_e32 v0, 16, v0
	s_delay_alu instid0(VALU_DEP_1)
	v_cvt_i32_f32_e32 v0, v0
	s_branch .LBB379_1216
.LBB379_1211:
	s_mov_b32 s33, -1
	s_branch .LBB379_1215
.LBB379_1212:
	s_and_not1_saveexec_b32 s33, s33
	s_cbranch_execz .LBB379_1193
.LBB379_1213:
	v_cmp_ne_u16_e32 vcc_lo, 0, v1
	s_and_not1_b32 s34, s34, exec_lo
	s_and_b32 s35, vcc_lo, exec_lo
	s_delay_alu instid0(SALU_CYCLE_1)
	s_or_b32 s34, s34, s35
	s_or_b32 exec_lo, exec_lo, s33
	v_mov_b32_e32 v0, 0
	s_and_saveexec_b32 s33, s34
	s_cbranch_execnz .LBB379_1194
	s_branch .LBB379_1195
.LBB379_1214:
	s_mov_b32 s31, -1
.LBB379_1215:
                                        ; implicit-def: $vgpr0
.LBB379_1216:
	s_and_b32 vcc_lo, exec_lo, s33
	s_mov_b32 s33, 0
	s_cbranch_vccz .LBB379_1218
; %bb.1217:
	s_cmp_lg_u32 s30, 11
	s_mov_b32 s33, -1
	s_cselect_b32 s30, -1, 0
	s_and_not1_b32 s31, s31, exec_lo
	s_and_b32 s30, s30, exec_lo
	s_delay_alu instid0(SALU_CYCLE_1)
	s_or_b32 s31, s31, s30
.LBB379_1218:
	s_mov_b32 s30, 0
.LBB379_1219:
	s_and_not1_b32 s35, s27, exec_lo
	s_and_b32 s31, s31, exec_lo
	s_and_b32 s36, s34, exec_lo
	;; [unrolled: 1-line block ×4, first 2 shown]
	s_or_b32 s35, s35, s31
.LBB379_1220:
	s_wait_xcnt 0x0
	s_or_b32 exec_lo, exec_lo, s17
	s_delay_alu instid0(SALU_CYCLE_1)
	s_and_not1_b32 s17, s27, exec_lo
	s_and_b32 s27, s35, exec_lo
	s_and_b32 s33, s36, exec_lo
	;; [unrolled: 1-line block ×4, first 2 shown]
	s_or_b32 s27, s17, s27
.LBB379_1221:
	s_or_b32 exec_lo, exec_lo, s26
	s_delay_alu instid0(SALU_CYCLE_1)
	s_and_not1_b32 s17, s23, exec_lo
	s_and_b32 s23, s29, exec_lo
	s_and_not1_b32 s24, s24, exec_lo
	s_and_b32 s26, s28, exec_lo
	s_or_b32 s23, s17, s23
	s_and_not1_b32 s17, s22, exec_lo
	s_and_b32 s22, s27, exec_lo
	s_or_b32 s24, s24, s26
	s_and_b32 s29, s33, exec_lo
	s_and_b32 s28, s31, exec_lo
	;; [unrolled: 1-line block ×3, first 2 shown]
	s_or_b32 s22, s17, s22
.LBB379_1222:
	s_or_b32 exec_lo, exec_lo, s25
	s_delay_alu instid0(SALU_CYCLE_1)
	s_and_not1_b32 s17, s18, exec_lo
	s_and_b32 s18, s23, exec_lo
	s_and_not1_b32 s19, s19, exec_lo
	s_and_b32 s23, s24, exec_lo
	s_or_b32 s18, s17, s18
	s_and_not1_b32 s17, s20, exec_lo
	s_and_b32 s20, s22, exec_lo
	s_or_b32 s19, s19, s23
	s_and_b32 s23, s29, exec_lo
	s_and_b32 s24, s28, exec_lo
	s_and_b32 s22, s26, exec_lo
	s_or_b32 s20, s17, s20
	s_or_b32 exec_lo, exec_lo, s21
	s_mov_b32 s17, 0
	s_and_saveexec_b32 s21, s20
	s_cbranch_execz .LBB379_384
.LBB379_1223:
	s_mov_b32 s17, exec_lo
	s_and_not1_b32 s22, s22, exec_lo
	s_trap 2
	s_or_b32 exec_lo, exec_lo, s21
	s_and_saveexec_b32 s20, s22
	s_delay_alu instid0(SALU_CYCLE_1)
	s_xor_b32 s20, exec_lo, s20
	s_cbranch_execnz .LBB379_385
.LBB379_1224:
	s_or_b32 exec_lo, exec_lo, s20
	s_and_saveexec_b32 s20, s24
	s_cbranch_execz .LBB379_1270
.LBB379_1225:
	s_sext_i32_i16 s21, s0
	s_delay_alu instid0(SALU_CYCLE_1)
	s_cmp_lt_i32 s21, 5
	s_cbranch_scc1 .LBB379_1230
; %bb.1226:
	s_cmp_lt_i32 s21, 8
	s_cbranch_scc1 .LBB379_1231
; %bb.1227:
	;; [unrolled: 3-line block ×3, first 2 shown]
	s_cmp_gt_i32 s21, 9
	s_cbranch_scc0 .LBB379_1233
; %bb.1229:
	s_wait_loadcnt 0x0
	global_load_b64 v[0:1], v[2:3], off
	s_mov_b32 s21, 0
	s_wait_loadcnt 0x0
	v_cvt_i32_f64_e32 v0, v[0:1]
	s_branch .LBB379_1234
.LBB379_1230:
                                        ; implicit-def: $vgpr0
	s_branch .LBB379_1251
.LBB379_1231:
                                        ; implicit-def: $vgpr0
	s_branch .LBB379_1240
.LBB379_1232:
	s_mov_b32 s21, -1
                                        ; implicit-def: $vgpr0
	s_branch .LBB379_1237
.LBB379_1233:
	s_mov_b32 s21, -1
                                        ; implicit-def: $vgpr0
.LBB379_1234:
	s_delay_alu instid0(SALU_CYCLE_1)
	s_and_not1_b32 vcc_lo, exec_lo, s21
	s_cbranch_vccnz .LBB379_1236
; %bb.1235:
	s_wait_loadcnt 0x0
	global_load_b32 v0, v[2:3], off
	s_wait_loadcnt 0x0
	v_cvt_i32_f32_e32 v0, v0
.LBB379_1236:
	s_mov_b32 s21, 0
.LBB379_1237:
	s_delay_alu instid0(SALU_CYCLE_1)
	s_and_not1_b32 vcc_lo, exec_lo, s21
	s_cbranch_vccnz .LBB379_1239
; %bb.1238:
	s_wait_loadcnt 0x0
	global_load_b32 v0, v[2:3], off
	s_wait_loadcnt 0x0
	v_cvt_i16_f16_e32 v0, v0
.LBB379_1239:
	s_cbranch_execnz .LBB379_1250
.LBB379_1240:
	s_sext_i32_i16 s21, s0
	s_delay_alu instid0(SALU_CYCLE_1)
	s_cmp_lt_i32 s21, 6
	s_cbranch_scc1 .LBB379_1243
; %bb.1241:
	s_cmp_gt_i32 s21, 6
	s_cbranch_scc0 .LBB379_1244
; %bb.1242:
	s_wait_loadcnt 0x0
	global_load_b64 v[0:1], v[2:3], off
	s_mov_b32 s21, 0
	s_wait_loadcnt 0x0
	v_cvt_i32_f64_e32 v0, v[0:1]
	s_branch .LBB379_1245
.LBB379_1243:
	s_mov_b32 s21, -1
                                        ; implicit-def: $vgpr0
	s_branch .LBB379_1248
.LBB379_1244:
	s_mov_b32 s21, -1
                                        ; implicit-def: $vgpr0
.LBB379_1245:
	s_delay_alu instid0(SALU_CYCLE_1)
	s_and_not1_b32 vcc_lo, exec_lo, s21
	s_cbranch_vccnz .LBB379_1247
; %bb.1246:
	s_wait_loadcnt 0x0
	global_load_b32 v0, v[2:3], off
	s_wait_loadcnt 0x0
	v_cvt_i32_f32_e32 v0, v0
.LBB379_1247:
	s_mov_b32 s21, 0
.LBB379_1248:
	s_delay_alu instid0(SALU_CYCLE_1)
	s_and_not1_b32 vcc_lo, exec_lo, s21
	s_cbranch_vccnz .LBB379_1250
; %bb.1249:
	s_wait_loadcnt 0x0
	global_load_u16 v0, v[2:3], off
	s_wait_loadcnt 0x0
	v_cvt_i16_f16_e32 v0, v0
.LBB379_1250:
	s_cbranch_execnz .LBB379_1269
.LBB379_1251:
	s_sext_i32_i16 s21, s0
	s_delay_alu instid0(SALU_CYCLE_1)
	s_cmp_lt_i32 s21, 2
	s_cbranch_scc1 .LBB379_1255
; %bb.1252:
	s_cmp_lt_i32 s21, 3
	s_cbranch_scc1 .LBB379_1256
; %bb.1253:
	s_cmp_gt_i32 s21, 3
	s_cbranch_scc0 .LBB379_1257
; %bb.1254:
	s_wait_loadcnt 0x0
	global_load_b64 v[0:1], v[2:3], off
	s_mov_b32 s21, 0
	s_branch .LBB379_1258
.LBB379_1255:
                                        ; implicit-def: $vgpr0
	s_branch .LBB379_1264
.LBB379_1256:
	s_mov_b32 s21, -1
                                        ; implicit-def: $vgpr0
	s_branch .LBB379_1261
.LBB379_1257:
	s_mov_b32 s21, -1
                                        ; implicit-def: $vgpr0
.LBB379_1258:
	s_delay_alu instid0(SALU_CYCLE_1)
	s_and_not1_b32 vcc_lo, exec_lo, s21
	s_cbranch_vccnz .LBB379_1260
; %bb.1259:
	s_wait_loadcnt 0x0
	global_load_b32 v0, v[2:3], off
.LBB379_1260:
	s_mov_b32 s21, 0
.LBB379_1261:
	s_delay_alu instid0(SALU_CYCLE_1)
	s_and_not1_b32 vcc_lo, exec_lo, s21
	s_cbranch_vccnz .LBB379_1263
; %bb.1262:
	s_wait_loadcnt 0x0
	global_load_u16 v0, v[2:3], off
.LBB379_1263:
	s_cbranch_execnz .LBB379_1269
.LBB379_1264:
	s_sext_i32_i16 s0, s0
	s_delay_alu instid0(SALU_CYCLE_1)
	s_cmp_gt_i32 s0, 0
	s_mov_b32 s0, 0
	s_cbranch_scc0 .LBB379_1266
; %bb.1265:
	s_wait_loadcnt 0x0
	global_load_u8 v0, v[2:3], off
	s_branch .LBB379_1267
.LBB379_1266:
	s_mov_b32 s0, -1
                                        ; implicit-def: $vgpr0
.LBB379_1267:
	s_delay_alu instid0(SALU_CYCLE_1)
	s_and_not1_b32 vcc_lo, exec_lo, s0
	s_cbranch_vccnz .LBB379_1269
; %bb.1268:
	s_wait_loadcnt 0x0
	global_load_u8 v0, v[2:3], off
.LBB379_1269:
	s_or_b32 s23, s23, exec_lo
.LBB379_1270:
	s_wait_xcnt 0x0
	s_or_b32 exec_lo, exec_lo, s20
	s_mov_b32 s22, 0
	s_mov_b32 s21, 0
	;; [unrolled: 1-line block ×3, first 2 shown]
                                        ; implicit-def: $sgpr0
                                        ; implicit-def: $vgpr2_vgpr3
                                        ; implicit-def: $vgpr4
	s_and_saveexec_b32 s20, s23
	s_cbranch_execz .LBB379_1278
; %bb.1271:
	v_mul_lo_u32 v2, v18, s10
	s_and_b32 s0, s1, 0xff
	s_delay_alu instid0(SALU_CYCLE_1) | instskip(NEXT) | instid1(VALU_DEP_1)
	s_cmp_lt_i32 s0, 11
	v_ashrrev_i32_e32 v3, 31, v2
	s_delay_alu instid0(VALU_DEP_1)
	v_add_nc_u64_e32 v[2:3], s[2:3], v[2:3]
	s_cbranch_scc1 .LBB379_1281
; %bb.1272:
	s_and_b32 s21, 0xffff, s0
	s_mov_b32 s23, 0
	s_cmp_gt_i32 s21, 25
	s_cbranch_scc0 .LBB379_1282
; %bb.1273:
	s_cmp_gt_i32 s21, 28
	s_cbranch_scc0 .LBB379_1283
; %bb.1274:
	;; [unrolled: 3-line block ×4, first 2 shown]
	s_cmp_eq_u32 s21, 46
	s_mov_b32 s25, 0
	s_cbranch_scc0 .LBB379_1286
; %bb.1277:
	s_wait_loadcnt 0x0
	global_load_b32 v1, v[2:3], off
	s_mov_b32 s24, -1
	s_wait_loadcnt 0x0
	v_lshlrev_b32_e32 v1, 16, v1
	s_delay_alu instid0(VALU_DEP_1)
	v_cvt_i32_f32_e32 v4, v1
	s_branch .LBB379_1288
.LBB379_1278:
	s_or_b32 exec_lo, exec_lo, s20
	s_and_saveexec_b32 s20, s19
	s_cbranch_execnz .LBB379_1347
.LBB379_1279:
	s_or_b32 exec_lo, exec_lo, s20
	s_and_saveexec_b32 s19, s22
	s_delay_alu instid0(SALU_CYCLE_1)
	s_xor_b32 s19, exec_lo, s19
	s_cbranch_execz .LBB379_1348
.LBB379_1280:
	s_wait_loadcnt 0x0
	global_load_u8 v1, v[2:3], off
	s_or_b32 s24, s24, exec_lo
	s_wait_loadcnt 0x0
	v_cmp_ne_u16_e32 vcc_lo, 0, v1
	v_cndmask_b32_e64 v4, 0, 1, vcc_lo
	s_wait_xcnt 0x0
	s_or_b32 exec_lo, exec_lo, s19
	s_and_saveexec_b32 s19, s21
	s_cbranch_execz .LBB379_1394
	s_branch .LBB379_1349
.LBB379_1281:
	s_mov_b32 s21, -1
	s_mov_b32 s23, 0
	s_mov_b32 s22, s19
                                        ; implicit-def: $vgpr4
	s_branch .LBB379_1346
.LBB379_1282:
	s_mov_b32 s22, s19
                                        ; implicit-def: $vgpr4
	s_cbranch_execnz .LBB379_1315
	s_branch .LBB379_1345
.LBB379_1283:
	s_mov_b32 s25, -1
	s_mov_b32 s22, s19
                                        ; implicit-def: $vgpr4
	s_branch .LBB379_1298
.LBB379_1284:
	s_mov_b32 s25, -1
	s_mov_b32 s22, s19
                                        ; implicit-def: $vgpr4
	s_branch .LBB379_1293
.LBB379_1285:
	s_mov_b32 s25, -1
	s_mov_b32 s22, s19
	s_branch .LBB379_1287
.LBB379_1286:
	s_mov_b32 s22, -1
.LBB379_1287:
                                        ; implicit-def: $vgpr4
.LBB379_1288:
	s_and_b32 vcc_lo, exec_lo, s25
	s_cbranch_vccz .LBB379_1292
; %bb.1289:
	s_cmp_eq_u32 s21, 44
	s_cbranch_scc0 .LBB379_1291
; %bb.1290:
	s_wait_loadcnt 0x0
	global_load_u8 v1, v[2:3], off
	s_mov_b32 s22, 0
	s_mov_b32 s24, -1
	s_wait_loadcnt 0x0
	v_lshlrev_b32_e32 v4, 23, v1
	v_cmp_ne_u32_e32 vcc_lo, 0, v1
	s_delay_alu instid0(VALU_DEP_2) | instskip(NEXT) | instid1(VALU_DEP_1)
	v_cvt_i32_f32_e32 v4, v4
	v_cndmask_b32_e32 v4, 0, v4, vcc_lo
	s_branch .LBB379_1292
.LBB379_1291:
	s_mov_b32 s22, -1
                                        ; implicit-def: $vgpr4
.LBB379_1292:
	s_mov_b32 s25, 0
.LBB379_1293:
	s_delay_alu instid0(SALU_CYCLE_1)
	s_and_b32 vcc_lo, exec_lo, s25
	s_cbranch_vccz .LBB379_1297
; %bb.1294:
	s_cmp_eq_u32 s21, 29
	s_cbranch_scc0 .LBB379_1296
; %bb.1295:
	s_wait_loadcnt 0x0
	global_load_b64 v[4:5], v[2:3], off
	s_mov_b32 s22, 0
	s_mov_b32 s24, -1
	s_branch .LBB379_1297
.LBB379_1296:
	s_mov_b32 s22, -1
                                        ; implicit-def: $vgpr4
.LBB379_1297:
	s_mov_b32 s25, 0
.LBB379_1298:
	s_delay_alu instid0(SALU_CYCLE_1)
	s_and_b32 vcc_lo, exec_lo, s25
	s_cbranch_vccz .LBB379_1314
; %bb.1299:
	s_cmp_lt_i32 s21, 27
	s_cbranch_scc1 .LBB379_1302
; %bb.1300:
	s_cmp_gt_i32 s21, 27
	s_cbranch_scc0 .LBB379_1303
; %bb.1301:
	s_wait_loadcnt 0x0
	global_load_b32 v4, v[2:3], off
	s_mov_b32 s24, 0
	s_branch .LBB379_1304
.LBB379_1302:
	s_mov_b32 s24, -1
                                        ; implicit-def: $vgpr4
	s_branch .LBB379_1307
.LBB379_1303:
	s_mov_b32 s24, -1
                                        ; implicit-def: $vgpr4
.LBB379_1304:
	s_delay_alu instid0(SALU_CYCLE_1)
	s_and_not1_b32 vcc_lo, exec_lo, s24
	s_cbranch_vccnz .LBB379_1306
; %bb.1305:
	s_wait_loadcnt 0x0
	global_load_u16 v4, v[2:3], off
.LBB379_1306:
	s_mov_b32 s24, 0
.LBB379_1307:
	s_delay_alu instid0(SALU_CYCLE_1)
	s_and_not1_b32 vcc_lo, exec_lo, s24
	s_cbranch_vccnz .LBB379_1313
; %bb.1308:
	s_wait_loadcnt 0x0
	global_load_u8 v1, v[2:3], off
	s_mov_b32 s25, 0
	s_mov_b32 s24, exec_lo
	s_wait_loadcnt 0x0
	v_cmpx_lt_i16_e32 0x7f, v1
	s_xor_b32 s24, exec_lo, s24
	s_cbranch_execz .LBB379_1324
; %bb.1309:
	v_cmp_ne_u16_e32 vcc_lo, 0x80, v1
	s_and_b32 s25, vcc_lo, exec_lo
	s_and_not1_saveexec_b32 s24, s24
	s_cbranch_execnz .LBB379_1325
.LBB379_1310:
	s_or_b32 exec_lo, exec_lo, s24
	v_mov_b32_e32 v4, 0
	s_and_saveexec_b32 s24, s25
	s_cbranch_execz .LBB379_1312
.LBB379_1311:
	v_and_b32_e32 v4, 0xffff, v1
	s_delay_alu instid0(VALU_DEP_1) | instskip(SKIP_1) | instid1(VALU_DEP_2)
	v_and_b32_e32 v5, 7, v4
	v_bfe_u32 v8, v4, 3, 4
	v_clz_i32_u32_e32 v6, v5
	s_delay_alu instid0(VALU_DEP_2) | instskip(NEXT) | instid1(VALU_DEP_2)
	v_cmp_eq_u32_e32 vcc_lo, 0, v8
	v_min_u32_e32 v6, 32, v6
	s_delay_alu instid0(VALU_DEP_1) | instskip(NEXT) | instid1(VALU_DEP_1)
	v_subrev_nc_u32_e32 v7, 28, v6
	v_dual_lshlrev_b32 v4, v7, v4 :: v_dual_sub_nc_u32 v6, 29, v6
	s_delay_alu instid0(VALU_DEP_1) | instskip(NEXT) | instid1(VALU_DEP_1)
	v_dual_lshlrev_b32 v1, 24, v1 :: v_dual_bitop2_b32 v4, 7, v4 bitop3:0x40
	v_dual_cndmask_b32 v6, v8, v6, vcc_lo :: v_dual_cndmask_b32 v4, v5, v4, vcc_lo
	s_delay_alu instid0(VALU_DEP_2) | instskip(NEXT) | instid1(VALU_DEP_2)
	v_and_b32_e32 v1, 0x80000000, v1
	v_lshl_add_u32 v5, v6, 23, 0x3b800000
	s_delay_alu instid0(VALU_DEP_3) | instskip(NEXT) | instid1(VALU_DEP_1)
	v_lshlrev_b32_e32 v4, 20, v4
	v_or3_b32 v1, v1, v5, v4
	s_delay_alu instid0(VALU_DEP_1)
	v_cvt_i32_f32_e32 v4, v1
.LBB379_1312:
	s_or_b32 exec_lo, exec_lo, s24
.LBB379_1313:
	s_mov_b32 s24, -1
.LBB379_1314:
	s_branch .LBB379_1345
.LBB379_1315:
	s_cmp_gt_i32 s21, 22
	s_cbranch_scc0 .LBB379_1323
; %bb.1316:
	s_cmp_lt_i32 s21, 24
	s_cbranch_scc1 .LBB379_1326
; %bb.1317:
	s_cmp_gt_i32 s21, 24
	s_cbranch_scc0 .LBB379_1327
; %bb.1318:
	s_wait_loadcnt 0x0
	global_load_u8 v1, v[2:3], off
	s_mov_b32 s24, 0
	s_mov_b32 s23, exec_lo
	s_wait_loadcnt 0x0
	v_cmpx_lt_i16_e32 0x7f, v1
	s_xor_b32 s23, exec_lo, s23
	s_cbranch_execz .LBB379_1339
; %bb.1319:
	v_cmp_ne_u16_e32 vcc_lo, 0x80, v1
	s_and_b32 s24, vcc_lo, exec_lo
	s_and_not1_saveexec_b32 s23, s23
	s_cbranch_execnz .LBB379_1340
.LBB379_1320:
	s_or_b32 exec_lo, exec_lo, s23
	v_mov_b32_e32 v4, 0
	s_and_saveexec_b32 s23, s24
	s_cbranch_execz .LBB379_1322
.LBB379_1321:
	v_and_b32_e32 v4, 0xffff, v1
	s_delay_alu instid0(VALU_DEP_1) | instskip(SKIP_1) | instid1(VALU_DEP_2)
	v_and_b32_e32 v5, 3, v4
	v_bfe_u32 v8, v4, 2, 5
	v_clz_i32_u32_e32 v6, v5
	s_delay_alu instid0(VALU_DEP_2) | instskip(NEXT) | instid1(VALU_DEP_2)
	v_cmp_eq_u32_e32 vcc_lo, 0, v8
	v_min_u32_e32 v6, 32, v6
	s_delay_alu instid0(VALU_DEP_1) | instskip(NEXT) | instid1(VALU_DEP_1)
	v_subrev_nc_u32_e32 v7, 29, v6
	v_dual_lshlrev_b32 v4, v7, v4 :: v_dual_sub_nc_u32 v6, 30, v6
	s_delay_alu instid0(VALU_DEP_1) | instskip(NEXT) | instid1(VALU_DEP_1)
	v_dual_lshlrev_b32 v1, 24, v1 :: v_dual_bitop2_b32 v4, 3, v4 bitop3:0x40
	v_dual_cndmask_b32 v6, v8, v6, vcc_lo :: v_dual_cndmask_b32 v4, v5, v4, vcc_lo
	s_delay_alu instid0(VALU_DEP_2) | instskip(NEXT) | instid1(VALU_DEP_2)
	v_and_b32_e32 v1, 0x80000000, v1
	v_lshl_add_u32 v5, v6, 23, 0x37800000
	s_delay_alu instid0(VALU_DEP_3) | instskip(NEXT) | instid1(VALU_DEP_1)
	v_lshlrev_b32_e32 v4, 21, v4
	v_or3_b32 v1, v1, v5, v4
	s_delay_alu instid0(VALU_DEP_1)
	v_cvt_i32_f32_e32 v4, v1
.LBB379_1322:
	s_or_b32 exec_lo, exec_lo, s23
	s_mov_b32 s23, 0
	s_branch .LBB379_1328
.LBB379_1323:
	s_mov_b32 s23, -1
                                        ; implicit-def: $vgpr4
	s_branch .LBB379_1334
.LBB379_1324:
	s_and_not1_saveexec_b32 s24, s24
	s_cbranch_execz .LBB379_1310
.LBB379_1325:
	v_cmp_ne_u16_e32 vcc_lo, 0, v1
	s_and_not1_b32 s25, s25, exec_lo
	s_and_b32 s26, vcc_lo, exec_lo
	s_delay_alu instid0(SALU_CYCLE_1)
	s_or_b32 s25, s25, s26
	s_or_b32 exec_lo, exec_lo, s24
	v_mov_b32_e32 v4, 0
	s_and_saveexec_b32 s24, s25
	s_cbranch_execnz .LBB379_1311
	s_branch .LBB379_1312
.LBB379_1326:
	s_mov_b32 s23, -1
                                        ; implicit-def: $vgpr4
	s_branch .LBB379_1331
.LBB379_1327:
	s_mov_b32 s23, -1
                                        ; implicit-def: $vgpr4
.LBB379_1328:
	s_delay_alu instid0(SALU_CYCLE_1)
	s_and_b32 vcc_lo, exec_lo, s23
	s_cbranch_vccz .LBB379_1330
; %bb.1329:
	s_wait_loadcnt 0x0
	global_load_u8 v1, v[2:3], off
	s_wait_loadcnt 0x0
	v_lshlrev_b32_e32 v1, 24, v1
	s_delay_alu instid0(VALU_DEP_1) | instskip(NEXT) | instid1(VALU_DEP_1)
	v_and_b32_e32 v4, 0x7f000000, v1
	v_clz_i32_u32_e32 v5, v4
	v_cmp_ne_u32_e32 vcc_lo, 0, v4
	v_add_nc_u32_e32 v7, 0x1000000, v4
	s_delay_alu instid0(VALU_DEP_3) | instskip(NEXT) | instid1(VALU_DEP_1)
	v_min_u32_e32 v5, 32, v5
	v_sub_nc_u32_e64 v5, v5, 4 clamp
	s_delay_alu instid0(VALU_DEP_1) | instskip(NEXT) | instid1(VALU_DEP_1)
	v_dual_lshlrev_b32 v6, v5, v4 :: v_dual_lshlrev_b32 v5, 23, v5
	v_lshrrev_b32_e32 v6, 4, v6
	s_delay_alu instid0(VALU_DEP_1) | instskip(NEXT) | instid1(VALU_DEP_1)
	v_dual_sub_nc_u32 v5, v6, v5 :: v_dual_ashrrev_i32 v6, 8, v7
	v_add_nc_u32_e32 v5, 0x3c000000, v5
	s_delay_alu instid0(VALU_DEP_1) | instskip(NEXT) | instid1(VALU_DEP_1)
	v_and_or_b32 v5, 0x7f800000, v6, v5
	v_cndmask_b32_e32 v4, 0, v5, vcc_lo
	s_delay_alu instid0(VALU_DEP_1) | instskip(NEXT) | instid1(VALU_DEP_1)
	v_and_or_b32 v1, 0x80000000, v1, v4
	v_cvt_i32_f32_e32 v4, v1
.LBB379_1330:
	s_mov_b32 s23, 0
.LBB379_1331:
	s_delay_alu instid0(SALU_CYCLE_1)
	s_and_not1_b32 vcc_lo, exec_lo, s23
	s_cbranch_vccnz .LBB379_1333
; %bb.1332:
	s_wait_loadcnt 0x0
	global_load_u8 v1, v[2:3], off
	s_wait_loadcnt 0x0
	v_lshlrev_b32_e32 v4, 25, v1
	v_lshlrev_b16 v1, 8, v1
	s_delay_alu instid0(VALU_DEP_1) | instskip(SKIP_1) | instid1(VALU_DEP_2)
	v_and_or_b32 v6, 0x7f00, v1, 0.5
	v_bfe_i32 v1, v1, 0, 16
	v_dual_add_f32 v6, -0.5, v6 :: v_dual_lshrrev_b32 v5, 4, v4
	v_cmp_gt_u32_e32 vcc_lo, 0x8000000, v4
	s_delay_alu instid0(VALU_DEP_2) | instskip(NEXT) | instid1(VALU_DEP_1)
	v_or_b32_e32 v5, 0x70000000, v5
	v_mul_f32_e32 v5, 0x7800000, v5
	s_delay_alu instid0(VALU_DEP_1) | instskip(NEXT) | instid1(VALU_DEP_1)
	v_cndmask_b32_e32 v4, v5, v6, vcc_lo
	v_and_or_b32 v1, 0x80000000, v1, v4
	s_delay_alu instid0(VALU_DEP_1)
	v_cvt_i32_f32_e32 v4, v1
.LBB379_1333:
	s_mov_b32 s23, 0
	s_mov_b32 s24, -1
.LBB379_1334:
	s_and_not1_b32 vcc_lo, exec_lo, s23
	s_mov_b32 s23, 0
	s_cbranch_vccnz .LBB379_1345
; %bb.1335:
	s_cmp_gt_i32 s21, 14
	s_cbranch_scc0 .LBB379_1338
; %bb.1336:
	s_cmp_eq_u32 s21, 15
	s_cbranch_scc0 .LBB379_1341
; %bb.1337:
	s_wait_loadcnt 0x0
	global_load_u16 v1, v[2:3], off
	s_mov_b32 s22, 0
	s_mov_b32 s24, -1
	s_wait_loadcnt 0x0
	v_lshlrev_b32_e32 v1, 16, v1
	s_delay_alu instid0(VALU_DEP_1)
	v_cvt_i32_f32_e32 v4, v1
	s_branch .LBB379_1343
.LBB379_1338:
	s_mov_b32 s23, -1
	s_branch .LBB379_1342
.LBB379_1339:
	s_and_not1_saveexec_b32 s23, s23
	s_cbranch_execz .LBB379_1320
.LBB379_1340:
	v_cmp_ne_u16_e32 vcc_lo, 0, v1
	s_and_not1_b32 s24, s24, exec_lo
	s_and_b32 s25, vcc_lo, exec_lo
	s_delay_alu instid0(SALU_CYCLE_1)
	s_or_b32 s24, s24, s25
	s_or_b32 exec_lo, exec_lo, s23
	v_mov_b32_e32 v4, 0
	s_and_saveexec_b32 s23, s24
	s_cbranch_execnz .LBB379_1321
	s_branch .LBB379_1322
.LBB379_1341:
	s_mov_b32 s22, -1
.LBB379_1342:
                                        ; implicit-def: $vgpr4
.LBB379_1343:
	s_and_b32 vcc_lo, exec_lo, s23
	s_mov_b32 s23, 0
	s_cbranch_vccz .LBB379_1345
; %bb.1344:
	s_cmp_lg_u32 s21, 11
	s_mov_b32 s23, -1
	s_cselect_b32 s21, -1, 0
	s_and_not1_b32 s22, s22, exec_lo
	s_and_b32 s21, s21, exec_lo
	s_delay_alu instid0(SALU_CYCLE_1)
	s_or_b32 s22, s22, s21
.LBB379_1345:
	s_mov_b32 s21, 0
.LBB379_1346:
	s_and_not1_b32 s19, s19, exec_lo
	s_and_b32 s25, s22, exec_lo
	s_and_b32 s24, s24, exec_lo
	;; [unrolled: 1-line block ×4, first 2 shown]
	s_or_b32 s19, s19, s25
	s_wait_xcnt 0x0
	s_or_b32 exec_lo, exec_lo, s20
	s_and_saveexec_b32 s20, s19
	s_cbranch_execz .LBB379_1279
.LBB379_1347:
	s_or_b32 s17, s17, exec_lo
	s_and_not1_b32 s22, s22, exec_lo
	s_trap 2
	s_or_b32 exec_lo, exec_lo, s20
	s_and_saveexec_b32 s19, s22
	s_delay_alu instid0(SALU_CYCLE_1)
	s_xor_b32 s19, exec_lo, s19
	s_cbranch_execnz .LBB379_1280
.LBB379_1348:
	s_or_b32 exec_lo, exec_lo, s19
	s_and_saveexec_b32 s19, s21
	s_cbranch_execz .LBB379_1394
.LBB379_1349:
	s_sext_i32_i16 s20, s0
	s_delay_alu instid0(SALU_CYCLE_1)
	s_cmp_lt_i32 s20, 5
	s_cbranch_scc1 .LBB379_1354
; %bb.1350:
	s_cmp_lt_i32 s20, 8
	s_cbranch_scc1 .LBB379_1355
; %bb.1351:
	s_cmp_lt_i32 s20, 9
	s_cbranch_scc1 .LBB379_1356
; %bb.1352:
	s_cmp_gt_i32 s20, 9
	s_cbranch_scc0 .LBB379_1357
; %bb.1353:
	s_wait_loadcnt 0x0
	global_load_b64 v[4:5], v[2:3], off
	s_mov_b32 s20, 0
	s_wait_loadcnt 0x0
	v_cvt_i32_f64_e32 v4, v[4:5]
	s_branch .LBB379_1358
.LBB379_1354:
                                        ; implicit-def: $vgpr4
	s_branch .LBB379_1375
.LBB379_1355:
                                        ; implicit-def: $vgpr4
	s_branch .LBB379_1364
.LBB379_1356:
	s_mov_b32 s20, -1
                                        ; implicit-def: $vgpr4
	s_branch .LBB379_1361
.LBB379_1357:
	s_mov_b32 s20, -1
                                        ; implicit-def: $vgpr4
.LBB379_1358:
	s_delay_alu instid0(SALU_CYCLE_1)
	s_and_not1_b32 vcc_lo, exec_lo, s20
	s_cbranch_vccnz .LBB379_1360
; %bb.1359:
	s_wait_loadcnt 0x0
	global_load_b32 v1, v[2:3], off
	s_wait_loadcnt 0x0
	v_cvt_i32_f32_e32 v4, v1
.LBB379_1360:
	s_mov_b32 s20, 0
.LBB379_1361:
	s_delay_alu instid0(SALU_CYCLE_1)
	s_and_not1_b32 vcc_lo, exec_lo, s20
	s_cbranch_vccnz .LBB379_1363
; %bb.1362:
	s_wait_loadcnt 0x0
	global_load_b32 v1, v[2:3], off
	s_wait_loadcnt 0x0
	v_cvt_i16_f16_e32 v4, v1
.LBB379_1363:
	s_cbranch_execnz .LBB379_1374
.LBB379_1364:
	s_sext_i32_i16 s20, s0
	s_delay_alu instid0(SALU_CYCLE_1)
	s_cmp_lt_i32 s20, 6
	s_cbranch_scc1 .LBB379_1367
; %bb.1365:
	s_cmp_gt_i32 s20, 6
	s_cbranch_scc0 .LBB379_1368
; %bb.1366:
	s_wait_loadcnt 0x0
	global_load_b64 v[4:5], v[2:3], off
	s_mov_b32 s20, 0
	s_wait_loadcnt 0x0
	v_cvt_i32_f64_e32 v4, v[4:5]
	s_branch .LBB379_1369
.LBB379_1367:
	s_mov_b32 s20, -1
                                        ; implicit-def: $vgpr4
	s_branch .LBB379_1372
.LBB379_1368:
	s_mov_b32 s20, -1
                                        ; implicit-def: $vgpr4
.LBB379_1369:
	s_delay_alu instid0(SALU_CYCLE_1)
	s_and_not1_b32 vcc_lo, exec_lo, s20
	s_cbranch_vccnz .LBB379_1371
; %bb.1370:
	s_wait_loadcnt 0x0
	global_load_b32 v1, v[2:3], off
	s_wait_loadcnt 0x0
	v_cvt_i32_f32_e32 v4, v1
.LBB379_1371:
	s_mov_b32 s20, 0
.LBB379_1372:
	s_delay_alu instid0(SALU_CYCLE_1)
	s_and_not1_b32 vcc_lo, exec_lo, s20
	s_cbranch_vccnz .LBB379_1374
; %bb.1373:
	s_wait_loadcnt 0x0
	global_load_u16 v1, v[2:3], off
	s_wait_loadcnt 0x0
	v_cvt_i16_f16_e32 v4, v1
.LBB379_1374:
	s_cbranch_execnz .LBB379_1393
.LBB379_1375:
	s_sext_i32_i16 s20, s0
	s_delay_alu instid0(SALU_CYCLE_1)
	s_cmp_lt_i32 s20, 2
	s_cbranch_scc1 .LBB379_1379
; %bb.1376:
	s_cmp_lt_i32 s20, 3
	s_cbranch_scc1 .LBB379_1380
; %bb.1377:
	s_cmp_gt_i32 s20, 3
	s_cbranch_scc0 .LBB379_1381
; %bb.1378:
	s_wait_loadcnt 0x0
	global_load_b64 v[4:5], v[2:3], off
	s_mov_b32 s20, 0
	s_branch .LBB379_1382
.LBB379_1379:
                                        ; implicit-def: $vgpr4
	s_branch .LBB379_1388
.LBB379_1380:
	s_mov_b32 s20, -1
                                        ; implicit-def: $vgpr4
	s_branch .LBB379_1385
.LBB379_1381:
	s_mov_b32 s20, -1
                                        ; implicit-def: $vgpr4
.LBB379_1382:
	s_delay_alu instid0(SALU_CYCLE_1)
	s_and_not1_b32 vcc_lo, exec_lo, s20
	s_cbranch_vccnz .LBB379_1384
; %bb.1383:
	s_wait_loadcnt 0x0
	global_load_b32 v4, v[2:3], off
.LBB379_1384:
	s_mov_b32 s20, 0
.LBB379_1385:
	s_delay_alu instid0(SALU_CYCLE_1)
	s_and_not1_b32 vcc_lo, exec_lo, s20
	s_cbranch_vccnz .LBB379_1387
; %bb.1386:
	s_wait_loadcnt 0x0
	global_load_u16 v4, v[2:3], off
.LBB379_1387:
	s_cbranch_execnz .LBB379_1393
.LBB379_1388:
	s_sext_i32_i16 s0, s0
	s_delay_alu instid0(SALU_CYCLE_1)
	s_cmp_gt_i32 s0, 0
	s_mov_b32 s0, 0
	s_cbranch_scc0 .LBB379_1390
; %bb.1389:
	s_wait_loadcnt 0x0
	global_load_u8 v4, v[2:3], off
	s_branch .LBB379_1391
.LBB379_1390:
	s_mov_b32 s0, -1
                                        ; implicit-def: $vgpr4
.LBB379_1391:
	s_delay_alu instid0(SALU_CYCLE_1)
	s_and_not1_b32 vcc_lo, exec_lo, s0
	s_cbranch_vccnz .LBB379_1393
; %bb.1392:
	s_wait_loadcnt 0x0
	global_load_u8 v4, v[2:3], off
.LBB379_1393:
	s_or_b32 s24, s24, exec_lo
.LBB379_1394:
	s_wait_xcnt 0x0
	s_or_b32 exec_lo, exec_lo, s19
	s_mov_b32 s0, 0
	s_mov_b32 s22, 0
                                        ; implicit-def: $sgpr19
                                        ; implicit-def: $sgpr20
                                        ; implicit-def: $vgpr2_vgpr3
	s_and_saveexec_b32 s21, s24
	s_cbranch_execz .LBB379_1402
; %bb.1395:
	v_mul_lo_u32 v2, v18, s8
	s_wait_loadcnt 0x0
	s_delay_alu instid0(VALU_DEP_2) | instskip(SKIP_2) | instid1(VALU_DEP_1)
	v_and_b32_e32 v1, 0xff, v4
	v_and_b32_e32 v0, 0xff, v0
	s_and_b32 s20, s12, 0xff
	v_cmp_ne_u16_e32 vcc_lo, v0, v1
	s_delay_alu instid0(VALU_DEP_4) | instskip(SKIP_2) | instid1(VALU_DEP_1)
	v_ashrrev_i32_e32 v3, 31, v2
	s_xor_b32 s19, s16, vcc_lo
	s_cmp_lt_i32 s20, 11
	v_add_nc_u64_e32 v[2:3], s[4:5], v[2:3]
	s_cbranch_scc1 .LBB379_1405
; %bb.1396:
	s_and_b32 s16, 0xffff, s20
	s_mov_b32 s22, -1
	s_cmp_gt_i32 s16, 25
	s_mov_b32 s0, s18
	s_cbranch_scc0 .LBB379_1433
; %bb.1397:
	s_cmp_gt_i32 s16, 28
	s_mov_b32 s0, s18
	s_cbranch_scc0 .LBB379_1417
; %bb.1398:
	;; [unrolled: 4-line block ×4, first 2 shown]
	s_cmp_eq_u32 s16, 46
	s_mov_b32 s0, -1
	s_cbranch_scc0 .LBB379_1406
; %bb.1401:
	v_cndmask_b32_e64 v0, 0, 1.0, s19
	s_mov_b32 s0, 0
	s_mov_b32 s22, 0
	s_delay_alu instid0(VALU_DEP_1) | instskip(NEXT) | instid1(VALU_DEP_1)
	v_bfe_u32 v1, v0, 16, 1
	v_add3_u32 v0, v0, v1, 0x7fff
	s_delay_alu instid0(VALU_DEP_1)
	v_lshrrev_b32_e32 v0, 16, v0
	global_store_b32 v[2:3], v0, off
	s_branch .LBB379_1407
.LBB379_1402:
	s_or_b32 exec_lo, exec_lo, s21
	s_and_saveexec_b32 s16, s18
	s_cbranch_execnz .LBB379_1475
.LBB379_1403:
	s_or_b32 exec_lo, exec_lo, s16
	s_and_saveexec_b32 s16, s0
	s_delay_alu instid0(SALU_CYCLE_1)
	s_xor_b32 s0, exec_lo, s16
	s_cbranch_execz .LBB379_1476
.LBB379_1404:
	s_wait_loadcnt 0x0
	v_cndmask_b32_e64 v0, 0, 1, s19
	global_store_b8 v[2:3], v0, off
	s_wait_xcnt 0x0
	s_or_b32 exec_lo, exec_lo, s0
	s_and_saveexec_b32 s0, s22
	s_delay_alu instid0(SALU_CYCLE_1)
	s_xor_b32 s0, exec_lo, s0
	s_cbranch_execz .LBB379_1514
	s_branch .LBB379_1477
.LBB379_1405:
	s_mov_b32 s23, 0
	s_mov_b32 s22, -1
	s_mov_b32 s0, s18
	s_branch .LBB379_1474
.LBB379_1406:
	s_mov_b32 s22, 0
.LBB379_1407:
	s_delay_alu instid0(SALU_CYCLE_1)
	s_and_b32 vcc_lo, exec_lo, s22
	s_cbranch_vccz .LBB379_1412
; %bb.1408:
	s_cmp_eq_u32 s16, 44
	s_mov_b32 s0, -1
	s_cbranch_scc0 .LBB379_1412
; %bb.1409:
	v_cndmask_b32_e64 v4, 0, 1.0, s19
	s_mov_b32 s22, exec_lo
	s_wait_xcnt 0x0
	s_delay_alu instid0(VALU_DEP_1) | instskip(NEXT) | instid1(VALU_DEP_1)
	v_dual_mov_b32 v1, 0xff :: v_dual_lshrrev_b32 v0, 23, v4
	v_cmpx_ne_u32_e32 0xff, v0
; %bb.1410:
	v_and_b32_e32 v1, 0x400000, v4
	v_and_or_b32 v4, 0x3fffff, v4, v0
	s_delay_alu instid0(VALU_DEP_2) | instskip(NEXT) | instid1(VALU_DEP_2)
	v_cmp_ne_u32_e32 vcc_lo, 0, v1
	v_cmp_ne_u32_e64 s0, 0, v4
	s_and_b32 s0, vcc_lo, s0
	s_delay_alu instid0(SALU_CYCLE_1) | instskip(NEXT) | instid1(VALU_DEP_1)
	v_cndmask_b32_e64 v1, 0, 1, s0
	v_add_nc_u32_e32 v1, v0, v1
; %bb.1411:
	s_or_b32 exec_lo, exec_lo, s22
	s_mov_b32 s0, 0
	global_store_b8 v[2:3], v1, off
.LBB379_1412:
	s_mov_b32 s22, 0
.LBB379_1413:
	s_delay_alu instid0(SALU_CYCLE_1)
	s_and_b32 vcc_lo, exec_lo, s22
	s_cbranch_vccz .LBB379_1416
; %bb.1414:
	s_cmp_eq_u32 s16, 29
	s_mov_b32 s0, -1
	s_cbranch_scc0 .LBB379_1416
; %bb.1415:
	s_mov_b32 s0, 0
	s_wait_xcnt 0x0
	v_cndmask_b32_e64 v0, 0, 1, s19
	v_mov_b32_e32 v1, s0
	s_mov_b32 s22, 0
	global_store_b64 v[2:3], v[0:1], off
	s_branch .LBB379_1417
.LBB379_1416:
	s_mov_b32 s22, 0
.LBB379_1417:
	s_delay_alu instid0(SALU_CYCLE_1)
	s_and_b32 vcc_lo, exec_lo, s22
	s_cbranch_vccz .LBB379_1432
; %bb.1418:
	s_cmp_lt_i32 s16, 27
	s_mov_b32 s22, -1
	s_cbranch_scc1 .LBB379_1424
; %bb.1419:
	s_wait_xcnt 0x0
	v_cndmask_b32_e64 v0, 0, 1, s19
	s_cmp_gt_i32 s16, 27
	s_cbranch_scc0 .LBB379_1421
; %bb.1420:
	s_mov_b32 s22, 0
	global_store_b32 v[2:3], v0, off
.LBB379_1421:
	s_and_not1_b32 vcc_lo, exec_lo, s22
	s_cbranch_vccnz .LBB379_1423
; %bb.1422:
	global_store_b16 v[2:3], v0, off
.LBB379_1423:
	s_mov_b32 s22, 0
.LBB379_1424:
	s_delay_alu instid0(SALU_CYCLE_1)
	s_and_not1_b32 vcc_lo, exec_lo, s22
	s_cbranch_vccnz .LBB379_1432
; %bb.1425:
	s_wait_xcnt 0x0
	v_cndmask_b32_e64 v1, 0, 1.0, s19
	v_mov_b32_e32 v4, 0x80
	s_mov_b32 s22, exec_lo
	s_delay_alu instid0(VALU_DEP_2)
	v_cmpx_gt_u32_e32 0x43800000, v1
	s_cbranch_execz .LBB379_1431
; %bb.1426:
	s_mov_b32 s23, 0
	s_mov_b32 s24, exec_lo
                                        ; implicit-def: $vgpr0
	v_cmpx_lt_u32_e32 0x3bffffff, v1
	s_xor_b32 s24, exec_lo, s24
	s_cbranch_execz .LBB379_1529
; %bb.1427:
	v_bfe_u32 v0, v1, 20, 1
	s_mov_b32 s23, exec_lo
	s_delay_alu instid0(VALU_DEP_1) | instskip(NEXT) | instid1(VALU_DEP_1)
	v_add3_u32 v0, v1, v0, 0x487ffff
                                        ; implicit-def: $vgpr1
	v_lshrrev_b32_e32 v0, 20, v0
	s_and_not1_saveexec_b32 s24, s24
	s_cbranch_execnz .LBB379_1530
.LBB379_1428:
	s_or_b32 exec_lo, exec_lo, s24
	v_mov_b32_e32 v4, 0
	s_and_saveexec_b32 s24, s23
.LBB379_1429:
	v_mov_b32_e32 v4, v0
.LBB379_1430:
	s_or_b32 exec_lo, exec_lo, s24
.LBB379_1431:
	s_delay_alu instid0(SALU_CYCLE_1)
	s_or_b32 exec_lo, exec_lo, s22
	global_store_b8 v[2:3], v4, off
.LBB379_1432:
	s_mov_b32 s22, 0
.LBB379_1433:
	s_delay_alu instid0(SALU_CYCLE_1)
	s_and_b32 vcc_lo, exec_lo, s22
	s_mov_b32 s22, 0
	s_cbranch_vccz .LBB379_1473
; %bb.1434:
	s_cmp_gt_i32 s16, 22
	s_mov_b32 s23, -1
	s_cbranch_scc0 .LBB379_1466
; %bb.1435:
	s_cmp_lt_i32 s16, 24
	s_cbranch_scc1 .LBB379_1455
; %bb.1436:
	s_cmp_gt_i32 s16, 24
	s_cbranch_scc0 .LBB379_1444
; %bb.1437:
	s_wait_xcnt 0x0
	v_cndmask_b32_e64 v1, 0, 1.0, s19
	v_mov_b32_e32 v4, 0x80
	s_mov_b32 s23, exec_lo
	s_delay_alu instid0(VALU_DEP_2)
	v_cmpx_gt_u32_e32 0x47800000, v1
	s_cbranch_execz .LBB379_1443
; %bb.1438:
	s_mov_b32 s24, 0
	s_mov_b32 s25, exec_lo
                                        ; implicit-def: $vgpr0
	v_cmpx_lt_u32_e32 0x37ffffff, v1
	s_xor_b32 s25, exec_lo, s25
	s_cbranch_execz .LBB379_1650
; %bb.1439:
	v_bfe_u32 v0, v1, 21, 1
	s_mov_b32 s24, exec_lo
	s_delay_alu instid0(VALU_DEP_1) | instskip(NEXT) | instid1(VALU_DEP_1)
	v_add3_u32 v0, v1, v0, 0x88fffff
                                        ; implicit-def: $vgpr1
	v_lshrrev_b32_e32 v0, 21, v0
	s_and_not1_saveexec_b32 s25, s25
	s_cbranch_execnz .LBB379_1651
.LBB379_1440:
	s_or_b32 exec_lo, exec_lo, s25
	v_mov_b32_e32 v4, 0
	s_and_saveexec_b32 s25, s24
.LBB379_1441:
	v_mov_b32_e32 v4, v0
.LBB379_1442:
	s_or_b32 exec_lo, exec_lo, s25
.LBB379_1443:
	s_delay_alu instid0(SALU_CYCLE_1)
	s_or_b32 exec_lo, exec_lo, s23
	s_mov_b32 s23, 0
	global_store_b8 v[2:3], v4, off
.LBB379_1444:
	s_and_b32 vcc_lo, exec_lo, s23
	s_cbranch_vccz .LBB379_1454
; %bb.1445:
	s_wait_xcnt 0x0
	v_cndmask_b32_e64 v1, 0, 1.0, s19
	s_mov_b32 s23, exec_lo
                                        ; implicit-def: $vgpr0
	s_delay_alu instid0(VALU_DEP_1)
	v_cmpx_gt_u32_e32 0x43f00000, v1
	s_xor_b32 s23, exec_lo, s23
	s_cbranch_execz .LBB379_1451
; %bb.1446:
	s_mov_b32 s24, exec_lo
                                        ; implicit-def: $vgpr0
	v_cmpx_lt_u32_e32 0x3c7fffff, v1
	s_xor_b32 s24, exec_lo, s24
; %bb.1447:
	v_bfe_u32 v0, v1, 20, 1
	s_delay_alu instid0(VALU_DEP_1) | instskip(NEXT) | instid1(VALU_DEP_1)
	v_add3_u32 v0, v1, v0, 0x407ffff
	v_and_b32_e32 v1, 0xff00000, v0
	v_lshrrev_b32_e32 v0, 20, v0
	s_delay_alu instid0(VALU_DEP_2) | instskip(NEXT) | instid1(VALU_DEP_2)
	v_cmp_ne_u32_e32 vcc_lo, 0x7f00000, v1
                                        ; implicit-def: $vgpr1
	v_cndmask_b32_e32 v0, 0x7e, v0, vcc_lo
; %bb.1448:
	s_and_not1_saveexec_b32 s24, s24
; %bb.1449:
	v_add_f32_e32 v0, 0x46800000, v1
; %bb.1450:
	s_or_b32 exec_lo, exec_lo, s24
                                        ; implicit-def: $vgpr1
.LBB379_1451:
	s_and_not1_saveexec_b32 s23, s23
; %bb.1452:
	v_mov_b32_e32 v0, 0x7f
	v_cmp_lt_u32_e32 vcc_lo, 0x7f800000, v1
	s_delay_alu instid0(VALU_DEP_2)
	v_cndmask_b32_e32 v0, 0x7e, v0, vcc_lo
; %bb.1453:
	s_or_b32 exec_lo, exec_lo, s23
	global_store_b8 v[2:3], v0, off
.LBB379_1454:
	s_mov_b32 s23, 0
.LBB379_1455:
	s_delay_alu instid0(SALU_CYCLE_1)
	s_and_not1_b32 vcc_lo, exec_lo, s23
	s_cbranch_vccnz .LBB379_1465
; %bb.1456:
	s_wait_xcnt 0x0
	v_cndmask_b32_e64 v1, 0, 1.0, s19
	s_mov_b32 s23, exec_lo
                                        ; implicit-def: $vgpr0
	s_delay_alu instid0(VALU_DEP_1)
	v_cmpx_gt_u32_e32 0x47800000, v1
	s_xor_b32 s23, exec_lo, s23
	s_cbranch_execz .LBB379_1462
; %bb.1457:
	s_mov_b32 s24, exec_lo
                                        ; implicit-def: $vgpr0
	v_cmpx_lt_u32_e32 0x387fffff, v1
	s_xor_b32 s24, exec_lo, s24
; %bb.1458:
	v_bfe_u32 v0, v1, 21, 1
	s_delay_alu instid0(VALU_DEP_1) | instskip(NEXT) | instid1(VALU_DEP_1)
	v_add3_u32 v0, v1, v0, 0x80fffff
                                        ; implicit-def: $vgpr1
	v_lshrrev_b32_e32 v0, 21, v0
; %bb.1459:
	s_and_not1_saveexec_b32 s24, s24
; %bb.1460:
	v_add_f32_e32 v0, 0x43000000, v1
; %bb.1461:
	s_or_b32 exec_lo, exec_lo, s24
                                        ; implicit-def: $vgpr1
.LBB379_1462:
	s_and_not1_saveexec_b32 s23, s23
; %bb.1463:
	v_mov_b32_e32 v0, 0x7f
	v_cmp_lt_u32_e32 vcc_lo, 0x7f800000, v1
	s_delay_alu instid0(VALU_DEP_2)
	v_cndmask_b32_e32 v0, 0x7c, v0, vcc_lo
; %bb.1464:
	s_or_b32 exec_lo, exec_lo, s23
	global_store_b8 v[2:3], v0, off
.LBB379_1465:
	s_mov_b32 s23, 0
.LBB379_1466:
	s_delay_alu instid0(SALU_CYCLE_1)
	s_and_not1_b32 vcc_lo, exec_lo, s23
	s_mov_b32 s23, 0
	s_cbranch_vccnz .LBB379_1474
; %bb.1467:
	s_cmp_gt_i32 s16, 14
	s_mov_b32 s23, -1
	s_cbranch_scc0 .LBB379_1471
; %bb.1468:
	s_cmp_eq_u32 s16, 15
	s_mov_b32 s0, -1
	s_cbranch_scc0 .LBB379_1470
; %bb.1469:
	s_wait_xcnt 0x0
	v_cndmask_b32_e64 v0, 0, 1.0, s19
	s_mov_b32 s0, 0
	s_delay_alu instid0(VALU_DEP_1) | instskip(NEXT) | instid1(VALU_DEP_1)
	v_bfe_u32 v1, v0, 16, 1
	v_add3_u32 v0, v0, v1, 0x7fff
	global_store_d16_hi_b16 v[2:3], v0, off
.LBB379_1470:
	s_mov_b32 s23, 0
.LBB379_1471:
	s_delay_alu instid0(SALU_CYCLE_1)
	s_and_b32 vcc_lo, exec_lo, s23
	s_mov_b32 s23, 0
	s_cbranch_vccz .LBB379_1474
; %bb.1472:
	s_cmp_lg_u32 s16, 11
	s_mov_b32 s23, -1
	s_cselect_b32 s16, -1, 0
	s_and_not1_b32 s0, s0, exec_lo
	s_and_b32 s16, s16, exec_lo
	s_delay_alu instid0(SALU_CYCLE_1)
	s_or_b32 s0, s0, s16
	s_branch .LBB379_1474
.LBB379_1473:
	s_mov_b32 s23, 0
.LBB379_1474:
	s_and_not1_b32 s16, s18, exec_lo
	s_and_b32 s18, s0, exec_lo
	s_and_b32 s22, s22, exec_lo
	;; [unrolled: 1-line block ×3, first 2 shown]
	s_or_b32 s18, s16, s18
	s_wait_xcnt 0x0
	s_or_b32 exec_lo, exec_lo, s21
	s_and_saveexec_b32 s16, s18
	s_cbranch_execz .LBB379_1403
.LBB379_1475:
	s_or_b32 s17, s17, exec_lo
	s_and_not1_b32 s0, s0, exec_lo
	s_trap 2
	s_or_b32 exec_lo, exec_lo, s16
	s_and_saveexec_b32 s16, s0
	s_delay_alu instid0(SALU_CYCLE_1)
	s_xor_b32 s0, exec_lo, s16
	s_cbranch_execnz .LBB379_1404
.LBB379_1476:
	s_or_b32 exec_lo, exec_lo, s0
	s_and_saveexec_b32 s0, s22
	s_delay_alu instid0(SALU_CYCLE_1)
	s_xor_b32 s0, exec_lo, s0
	s_cbranch_execz .LBB379_1514
.LBB379_1477:
	s_sext_i32_i16 s18, s20
	s_mov_b32 s16, -1
	s_cmp_lt_i32 s18, 5
	s_cbranch_scc1 .LBB379_1498
; %bb.1478:
	s_cmp_lt_i32 s18, 8
	s_cbranch_scc1 .LBB379_1488
; %bb.1479:
	;; [unrolled: 3-line block ×3, first 2 shown]
	s_cmp_gt_i32 s18, 9
	s_cbranch_scc0 .LBB379_1482
; %bb.1481:
	s_wait_loadcnt 0x0
	v_cndmask_b32_e64 v0, 0, 1, s19
	v_mov_b32_e32 v6, 0
	s_mov_b32 s16, 0
	s_delay_alu instid0(VALU_DEP_2) | instskip(NEXT) | instid1(VALU_DEP_2)
	v_cvt_f64_u32_e32 v[4:5], v0
	v_mov_b32_e32 v7, v6
	global_store_b128 v[2:3], v[4:7], off
.LBB379_1482:
	s_and_not1_b32 vcc_lo, exec_lo, s16
	s_cbranch_vccnz .LBB379_1484
; %bb.1483:
	s_wait_loadcnt 0x0
	v_cndmask_b32_e64 v0, 0, 1.0, s19
	v_mov_b32_e32 v1, 0
	global_store_b64 v[2:3], v[0:1], off
.LBB379_1484:
	s_mov_b32 s16, 0
.LBB379_1485:
	s_delay_alu instid0(SALU_CYCLE_1)
	s_and_not1_b32 vcc_lo, exec_lo, s16
	s_cbranch_vccnz .LBB379_1487
; %bb.1486:
	s_wait_loadcnt 0x0
	v_cndmask_b32_e64 v0, 0, 1.0, s19
	s_delay_alu instid0(VALU_DEP_1) | instskip(NEXT) | instid1(VALU_DEP_1)
	v_cvt_f16_f32_e32 v0, v0
	v_and_b32_e32 v0, 0xffff, v0
	global_store_b32 v[2:3], v0, off
.LBB379_1487:
	s_mov_b32 s16, 0
.LBB379_1488:
	s_delay_alu instid0(SALU_CYCLE_1)
	s_and_not1_b32 vcc_lo, exec_lo, s16
	s_cbranch_vccnz .LBB379_1497
; %bb.1489:
	s_sext_i32_i16 s18, s20
	s_mov_b32 s16, -1
	s_cmp_lt_i32 s18, 6
	s_cbranch_scc1 .LBB379_1495
; %bb.1490:
	s_cmp_gt_i32 s18, 6
	s_cbranch_scc0 .LBB379_1492
; %bb.1491:
	s_wait_loadcnt 0x0
	v_cndmask_b32_e64 v0, 0, 1, s19
	s_mov_b32 s16, 0
	s_delay_alu instid0(VALU_DEP_1)
	v_cvt_f64_u32_e32 v[0:1], v0
	global_store_b64 v[2:3], v[0:1], off
.LBB379_1492:
	s_and_not1_b32 vcc_lo, exec_lo, s16
	s_cbranch_vccnz .LBB379_1494
; %bb.1493:
	s_wait_loadcnt 0x0
	v_cndmask_b32_e64 v0, 0, 1.0, s19
	global_store_b32 v[2:3], v0, off
.LBB379_1494:
	s_mov_b32 s16, 0
.LBB379_1495:
	s_delay_alu instid0(SALU_CYCLE_1)
	s_and_not1_b32 vcc_lo, exec_lo, s16
	s_cbranch_vccnz .LBB379_1497
; %bb.1496:
	s_wait_loadcnt 0x0
	v_cndmask_b32_e64 v0, 0, 1.0, s19
	s_delay_alu instid0(VALU_DEP_1)
	v_cvt_f16_f32_e32 v0, v0
	global_store_b16 v[2:3], v0, off
.LBB379_1497:
	s_mov_b32 s16, 0
.LBB379_1498:
	s_delay_alu instid0(SALU_CYCLE_1)
	s_and_not1_b32 vcc_lo, exec_lo, s16
	s_cbranch_vccnz .LBB379_1514
; %bb.1499:
	s_sext_i32_i16 s18, s20
	s_mov_b32 s16, -1
	s_cmp_lt_i32 s18, 2
	s_cbranch_scc1 .LBB379_1509
; %bb.1500:
	s_cmp_lt_i32 s18, 3
	s_cbranch_scc1 .LBB379_1506
; %bb.1501:
	s_cmp_gt_i32 s18, 3
	s_cbranch_scc0 .LBB379_1503
; %bb.1502:
	s_mov_b32 s16, 0
	s_wait_loadcnt 0x0
	v_cndmask_b32_e64 v0, 0, 1, s19
	v_mov_b32_e32 v1, s16
	global_store_b64 v[2:3], v[0:1], off
.LBB379_1503:
	s_and_not1_b32 vcc_lo, exec_lo, s16
	s_cbranch_vccnz .LBB379_1505
; %bb.1504:
	s_wait_loadcnt 0x0
	v_cndmask_b32_e64 v0, 0, 1, s19
	global_store_b32 v[2:3], v0, off
.LBB379_1505:
	s_mov_b32 s16, 0
.LBB379_1506:
	s_delay_alu instid0(SALU_CYCLE_1)
	s_and_not1_b32 vcc_lo, exec_lo, s16
	s_cbranch_vccnz .LBB379_1508
; %bb.1507:
	s_wait_loadcnt 0x0
	v_cndmask_b32_e64 v0, 0, 1, s19
	global_store_b16 v[2:3], v0, off
.LBB379_1508:
	s_mov_b32 s16, 0
.LBB379_1509:
	s_delay_alu instid0(SALU_CYCLE_1)
	s_and_not1_b32 vcc_lo, exec_lo, s16
	s_cbranch_vccnz .LBB379_1514
; %bb.1510:
	s_wait_loadcnt 0x0
	v_cndmask_b32_e64 v0, 0, 1, s19
	s_sext_i32_i16 s16, s20
	s_delay_alu instid0(SALU_CYCLE_1)
	s_cmp_gt_i32 s16, 0
	s_mov_b32 s16, -1
	s_cbranch_scc0 .LBB379_1512
; %bb.1511:
	s_mov_b32 s16, 0
	global_store_b8 v[2:3], v0, off
.LBB379_1512:
	s_and_not1_b32 vcc_lo, exec_lo, s16
	s_cbranch_vccnz .LBB379_1514
; %bb.1513:
	global_store_b8 v[2:3], v0, off
.LBB379_1514:
	s_wait_xcnt 0x0
	s_or_b32 exec_lo, exec_lo, s0
	s_delay_alu instid0(SALU_CYCLE_1)
	s_and_b32 s16, s17, exec_lo
                                        ; implicit-def: $vgpr18
.LBB379_1515:
	s_or_saveexec_b32 s15, s15
	s_mov_b32 s0, 0
                                        ; implicit-def: $sgpr18
                                        ; implicit-def: $sgpr17
                                        ; implicit-def: $vgpr0_vgpr1
	s_xor_b32 exec_lo, exec_lo, s15
	s_cbranch_execz .LBB379_2959
; %bb.1516:
	v_mul_lo_u32 v2, s9, v18
	s_and_b32 s0, s14, 0xff
	s_delay_alu instid0(SALU_CYCLE_1) | instskip(NEXT) | instid1(VALU_DEP_1)
	s_cmp_lt_i32 s0, 11
	v_ashrrev_i32_e32 v3, 31, v2
	s_wait_loadcnt 0x0
	s_delay_alu instid0(VALU_DEP_1)
	v_add_nc_u64_e32 v[4:5], s[6:7], v[2:3]
	s_cbranch_scc1 .LBB379_1523
; %bb.1517:
	s_and_b32 s13, 0xffff, s0
	s_mov_b32 s17, 0
	s_cmp_gt_i32 s13, 25
	s_cbranch_scc0 .LBB379_1525
; %bb.1518:
	s_cmp_gt_i32 s13, 28
	s_cbranch_scc0 .LBB379_1526
; %bb.1519:
	;; [unrolled: 3-line block ×4, first 2 shown]
	s_cmp_eq_u32 s13, 46
	s_mov_b32 s19, 0
	s_cbranch_scc0 .LBB379_1531
; %bb.1522:
	global_load_b32 v0, v[4:5], off
	s_mov_b32 s14, 0
	s_mov_b32 s18, -1
	s_wait_loadcnt 0x0
	v_lshlrev_b32_e32 v0, 16, v0
	s_delay_alu instid0(VALU_DEP_1)
	v_cvt_i32_f32_e32 v0, v0
	s_branch .LBB379_1533
.LBB379_1523:
	s_mov_b32 s18, 0
	s_mov_b32 s13, s16
                                        ; implicit-def: $vgpr0
	s_cbranch_execnz .LBB379_1591
.LBB379_1524:
	s_and_not1_b32 vcc_lo, exec_lo, s18
	s_cbranch_vccz .LBB379_1636
	s_branch .LBB379_2957
.LBB379_1525:
	s_mov_b32 s18, 0
	s_mov_b32 s14, 0
                                        ; implicit-def: $vgpr0
	s_cbranch_execnz .LBB379_1558
	s_branch .LBB379_1587
.LBB379_1526:
	s_mov_b32 s18, 0
	s_mov_b32 s14, 0
                                        ; implicit-def: $vgpr0
	s_cbranch_execz .LBB379_1557
	s_branch .LBB379_1542
.LBB379_1527:
	s_mov_b32 s18, 0
	s_mov_b32 s14, 0
                                        ; implicit-def: $vgpr0
	s_cbranch_execnz .LBB379_1538
	s_branch .LBB379_1541
.LBB379_1528:
	s_mov_b32 s19, -1
	s_mov_b32 s18, 0
	s_mov_b32 s14, 0
	s_branch .LBB379_1532
.LBB379_1529:
	s_and_not1_saveexec_b32 s24, s24
	s_cbranch_execz .LBB379_1428
.LBB379_1530:
	v_add_f32_e32 v0, 0x46000000, v1
	s_and_not1_b32 s23, s23, exec_lo
	s_delay_alu instid0(VALU_DEP_1) | instskip(NEXT) | instid1(VALU_DEP_1)
	v_and_b32_e32 v0, 0xff, v0
	v_cmp_ne_u32_e32 vcc_lo, 0, v0
	s_and_b32 s25, vcc_lo, exec_lo
	s_delay_alu instid0(SALU_CYCLE_1)
	s_or_b32 s23, s23, s25
	s_or_b32 exec_lo, exec_lo, s24
	v_mov_b32_e32 v4, 0
	s_and_saveexec_b32 s24, s23
	s_cbranch_execnz .LBB379_1429
	s_branch .LBB379_1430
.LBB379_1531:
	s_mov_b32 s14, -1
	s_mov_b32 s18, 0
.LBB379_1532:
                                        ; implicit-def: $vgpr0
.LBB379_1533:
	s_and_b32 vcc_lo, exec_lo, s19
	s_cbranch_vccz .LBB379_1536
; %bb.1534:
	s_cmp_eq_u32 s13, 44
	s_cbranch_scc0 .LBB379_1537
; %bb.1535:
	global_load_u8 v0, v[4:5], off
	s_mov_b32 s14, 0
	s_mov_b32 s18, -1
	s_wait_loadcnt 0x0
	v_lshlrev_b32_e32 v1, 23, v0
	v_cmp_ne_u32_e32 vcc_lo, 0, v0
	s_delay_alu instid0(VALU_DEP_2) | instskip(NEXT) | instid1(VALU_DEP_1)
	v_cvt_i32_f32_e32 v1, v1
	v_cndmask_b32_e32 v0, 0, v1, vcc_lo
.LBB379_1536:
	s_branch .LBB379_1541
.LBB379_1537:
	s_mov_b32 s14, -1
                                        ; implicit-def: $vgpr0
	s_branch .LBB379_1541
.LBB379_1538:
	s_cmp_eq_u32 s13, 29
	s_cbranch_scc0 .LBB379_1540
; %bb.1539:
	global_load_b64 v[0:1], v[4:5], off
	s_mov_b32 s14, 0
	s_mov_b32 s18, -1
	s_branch .LBB379_1541
.LBB379_1540:
	s_mov_b32 s14, -1
                                        ; implicit-def: $vgpr0
.LBB379_1541:
	s_branch .LBB379_1557
.LBB379_1542:
	s_cmp_lt_i32 s13, 27
	s_cbranch_scc1 .LBB379_1545
; %bb.1543:
	s_cmp_gt_i32 s13, 27
	s_cbranch_scc0 .LBB379_1546
; %bb.1544:
	s_wait_loadcnt 0x0
	global_load_b32 v0, v[4:5], off
	s_mov_b32 s18, 0
	s_branch .LBB379_1547
.LBB379_1545:
	s_mov_b32 s18, -1
                                        ; implicit-def: $vgpr0
	s_branch .LBB379_1550
.LBB379_1546:
	s_mov_b32 s18, -1
                                        ; implicit-def: $vgpr0
.LBB379_1547:
	s_delay_alu instid0(SALU_CYCLE_1)
	s_and_not1_b32 vcc_lo, exec_lo, s18
	s_cbranch_vccnz .LBB379_1549
; %bb.1548:
	s_wait_loadcnt 0x0
	global_load_u16 v0, v[4:5], off
.LBB379_1549:
	s_mov_b32 s18, 0
.LBB379_1550:
	s_delay_alu instid0(SALU_CYCLE_1)
	s_and_not1_b32 vcc_lo, exec_lo, s18
	s_cbranch_vccnz .LBB379_1556
; %bb.1551:
	s_wait_loadcnt 0x0
	global_load_u8 v1, v[4:5], off
	s_mov_b32 s19, 0
	s_mov_b32 s18, exec_lo
	s_wait_loadcnt 0x0
	v_cmpx_lt_i16_e32 0x7f, v1
	s_xor_b32 s18, exec_lo, s18
	s_cbranch_execz .LBB379_1567
; %bb.1552:
	v_cmp_ne_u16_e32 vcc_lo, 0x80, v1
	s_and_b32 s19, vcc_lo, exec_lo
	s_and_not1_saveexec_b32 s18, s18
	s_cbranch_execnz .LBB379_1568
.LBB379_1553:
	s_or_b32 exec_lo, exec_lo, s18
	v_mov_b32_e32 v0, 0
	s_and_saveexec_b32 s18, s19
	s_cbranch_execz .LBB379_1555
.LBB379_1554:
	v_and_b32_e32 v0, 0xffff, v1
	s_delay_alu instid0(VALU_DEP_1) | instskip(SKIP_1) | instid1(VALU_DEP_2)
	v_and_b32_e32 v3, 7, v0
	v_bfe_u32 v8, v0, 3, 4
	v_clz_i32_u32_e32 v6, v3
	s_delay_alu instid0(VALU_DEP_2) | instskip(NEXT) | instid1(VALU_DEP_2)
	v_cmp_eq_u32_e32 vcc_lo, 0, v8
	v_min_u32_e32 v6, 32, v6
	s_delay_alu instid0(VALU_DEP_1) | instskip(NEXT) | instid1(VALU_DEP_1)
	v_subrev_nc_u32_e32 v7, 28, v6
	v_dual_lshlrev_b32 v0, v7, v0 :: v_dual_sub_nc_u32 v6, 29, v6
	s_delay_alu instid0(VALU_DEP_1) | instskip(NEXT) | instid1(VALU_DEP_1)
	v_dual_lshlrev_b32 v1, 24, v1 :: v_dual_bitop2_b32 v0, 7, v0 bitop3:0x40
	v_dual_cndmask_b32 v6, v8, v6, vcc_lo :: v_dual_cndmask_b32 v0, v3, v0, vcc_lo
	s_delay_alu instid0(VALU_DEP_2) | instskip(NEXT) | instid1(VALU_DEP_2)
	v_and_b32_e32 v1, 0x80000000, v1
	v_lshl_add_u32 v3, v6, 23, 0x3b800000
	s_delay_alu instid0(VALU_DEP_3) | instskip(NEXT) | instid1(VALU_DEP_1)
	v_lshlrev_b32_e32 v0, 20, v0
	v_or3_b32 v0, v1, v3, v0
	s_delay_alu instid0(VALU_DEP_1)
	v_cvt_i32_f32_e32 v0, v0
.LBB379_1555:
	s_or_b32 exec_lo, exec_lo, s18
.LBB379_1556:
	s_mov_b32 s18, -1
.LBB379_1557:
	s_branch .LBB379_1587
.LBB379_1558:
	s_cmp_gt_i32 s13, 22
	s_cbranch_scc0 .LBB379_1566
; %bb.1559:
	s_cmp_lt_i32 s13, 24
	s_cbranch_scc1 .LBB379_1569
; %bb.1560:
	s_cmp_gt_i32 s13, 24
	s_cbranch_scc0 .LBB379_1570
; %bb.1561:
	s_wait_loadcnt 0x0
	global_load_u8 v1, v[4:5], off
	s_mov_b32 s18, 0
	s_mov_b32 s17, exec_lo
	s_wait_loadcnt 0x0
	v_cmpx_lt_i16_e32 0x7f, v1
	s_xor_b32 s17, exec_lo, s17
	s_cbranch_execz .LBB379_1581
; %bb.1562:
	v_cmp_ne_u16_e32 vcc_lo, 0x80, v1
	s_and_b32 s18, vcc_lo, exec_lo
	s_and_not1_saveexec_b32 s17, s17
	s_cbranch_execnz .LBB379_1582
.LBB379_1563:
	s_or_b32 exec_lo, exec_lo, s17
	v_mov_b32_e32 v0, 0
	s_and_saveexec_b32 s17, s18
	s_cbranch_execz .LBB379_1565
.LBB379_1564:
	v_and_b32_e32 v0, 0xffff, v1
	s_delay_alu instid0(VALU_DEP_1) | instskip(SKIP_1) | instid1(VALU_DEP_2)
	v_and_b32_e32 v3, 3, v0
	v_bfe_u32 v8, v0, 2, 5
	v_clz_i32_u32_e32 v6, v3
	s_delay_alu instid0(VALU_DEP_2) | instskip(NEXT) | instid1(VALU_DEP_2)
	v_cmp_eq_u32_e32 vcc_lo, 0, v8
	v_min_u32_e32 v6, 32, v6
	s_delay_alu instid0(VALU_DEP_1) | instskip(NEXT) | instid1(VALU_DEP_1)
	v_subrev_nc_u32_e32 v7, 29, v6
	v_dual_lshlrev_b32 v0, v7, v0 :: v_dual_sub_nc_u32 v6, 30, v6
	s_delay_alu instid0(VALU_DEP_1) | instskip(NEXT) | instid1(VALU_DEP_1)
	v_dual_lshlrev_b32 v1, 24, v1 :: v_dual_bitop2_b32 v0, 3, v0 bitop3:0x40
	v_dual_cndmask_b32 v6, v8, v6, vcc_lo :: v_dual_cndmask_b32 v0, v3, v0, vcc_lo
	s_delay_alu instid0(VALU_DEP_2) | instskip(NEXT) | instid1(VALU_DEP_2)
	v_and_b32_e32 v1, 0x80000000, v1
	v_lshl_add_u32 v3, v6, 23, 0x37800000
	s_delay_alu instid0(VALU_DEP_3) | instskip(NEXT) | instid1(VALU_DEP_1)
	v_lshlrev_b32_e32 v0, 21, v0
	v_or3_b32 v0, v1, v3, v0
	s_delay_alu instid0(VALU_DEP_1)
	v_cvt_i32_f32_e32 v0, v0
.LBB379_1565:
	s_or_b32 exec_lo, exec_lo, s17
	s_mov_b32 s17, 0
	s_branch .LBB379_1571
.LBB379_1566:
                                        ; implicit-def: $vgpr0
	s_mov_b32 s17, 0
	s_branch .LBB379_1577
.LBB379_1567:
	s_and_not1_saveexec_b32 s18, s18
	s_cbranch_execz .LBB379_1553
.LBB379_1568:
	v_cmp_ne_u16_e32 vcc_lo, 0, v1
	s_and_not1_b32 s19, s19, exec_lo
	s_and_b32 s20, vcc_lo, exec_lo
	s_delay_alu instid0(SALU_CYCLE_1)
	s_or_b32 s19, s19, s20
	s_or_b32 exec_lo, exec_lo, s18
	v_mov_b32_e32 v0, 0
	s_and_saveexec_b32 s18, s19
	s_cbranch_execnz .LBB379_1554
	s_branch .LBB379_1555
.LBB379_1569:
	s_mov_b32 s17, -1
                                        ; implicit-def: $vgpr0
	s_branch .LBB379_1574
.LBB379_1570:
	s_mov_b32 s17, -1
                                        ; implicit-def: $vgpr0
.LBB379_1571:
	s_delay_alu instid0(SALU_CYCLE_1)
	s_and_b32 vcc_lo, exec_lo, s17
	s_cbranch_vccz .LBB379_1573
; %bb.1572:
	s_wait_loadcnt 0x0
	global_load_u8 v0, v[4:5], off
	s_wait_loadcnt 0x0
	v_lshlrev_b32_e32 v0, 24, v0
	s_delay_alu instid0(VALU_DEP_1) | instskip(NEXT) | instid1(VALU_DEP_1)
	v_and_b32_e32 v1, 0x7f000000, v0
	v_clz_i32_u32_e32 v3, v1
	v_add_nc_u32_e32 v7, 0x1000000, v1
	v_cmp_ne_u32_e32 vcc_lo, 0, v1
	s_delay_alu instid0(VALU_DEP_3) | instskip(NEXT) | instid1(VALU_DEP_1)
	v_min_u32_e32 v3, 32, v3
	v_sub_nc_u32_e64 v3, v3, 4 clamp
	s_delay_alu instid0(VALU_DEP_1) | instskip(NEXT) | instid1(VALU_DEP_1)
	v_dual_lshlrev_b32 v6, v3, v1 :: v_dual_lshlrev_b32 v3, 23, v3
	v_lshrrev_b32_e32 v6, 4, v6
	s_delay_alu instid0(VALU_DEP_1) | instskip(SKIP_1) | instid1(VALU_DEP_2)
	v_sub_nc_u32_e32 v3, v6, v3
	v_ashrrev_i32_e32 v6, 8, v7
	v_add_nc_u32_e32 v3, 0x3c000000, v3
	s_delay_alu instid0(VALU_DEP_1) | instskip(NEXT) | instid1(VALU_DEP_1)
	v_and_or_b32 v3, 0x7f800000, v6, v3
	v_cndmask_b32_e32 v1, 0, v3, vcc_lo
	s_delay_alu instid0(VALU_DEP_1) | instskip(NEXT) | instid1(VALU_DEP_1)
	v_and_or_b32 v0, 0x80000000, v0, v1
	v_cvt_i32_f32_e32 v0, v0
.LBB379_1573:
	s_mov_b32 s17, 0
.LBB379_1574:
	s_delay_alu instid0(SALU_CYCLE_1)
	s_and_not1_b32 vcc_lo, exec_lo, s17
	s_cbranch_vccnz .LBB379_1576
; %bb.1575:
	s_wait_loadcnt 0x0
	global_load_u8 v0, v[4:5], off
	s_wait_loadcnt 0x0
	v_lshlrev_b32_e32 v1, 25, v0
	v_lshlrev_b16 v0, 8, v0
	s_delay_alu instid0(VALU_DEP_1) | instskip(SKIP_1) | instid1(VALU_DEP_2)
	v_and_or_b32 v6, 0x7f00, v0, 0.5
	v_bfe_i32 v0, v0, 0, 16
	v_dual_add_f32 v6, -0.5, v6 :: v_dual_lshrrev_b32 v3, 4, v1
	v_cmp_gt_u32_e32 vcc_lo, 0x8000000, v1
	s_delay_alu instid0(VALU_DEP_2) | instskip(NEXT) | instid1(VALU_DEP_1)
	v_or_b32_e32 v3, 0x70000000, v3
	v_mul_f32_e32 v3, 0x7800000, v3
	s_delay_alu instid0(VALU_DEP_1) | instskip(NEXT) | instid1(VALU_DEP_1)
	v_cndmask_b32_e32 v1, v3, v6, vcc_lo
	v_and_or_b32 v0, 0x80000000, v0, v1
	s_delay_alu instid0(VALU_DEP_1)
	v_cvt_i32_f32_e32 v0, v0
.LBB379_1576:
	s_mov_b32 s18, -1
	s_mov_b32 s17, 0
	s_cbranch_execnz .LBB379_1587
.LBB379_1577:
	s_cmp_gt_i32 s13, 14
	s_cbranch_scc0 .LBB379_1580
; %bb.1578:
	s_cmp_eq_u32 s13, 15
	s_cbranch_scc0 .LBB379_1583
; %bb.1579:
	s_wait_loadcnt 0x0
	global_load_u16 v0, v[4:5], off
	s_mov_b32 s14, 0
	s_mov_b32 s18, -1
	s_wait_loadcnt 0x0
	v_lshlrev_b32_e32 v0, 16, v0
	s_delay_alu instid0(VALU_DEP_1)
	v_cvt_i32_f32_e32 v0, v0
	s_branch .LBB379_1585
.LBB379_1580:
	s_mov_b32 s17, -1
	s_branch .LBB379_1584
.LBB379_1581:
	s_and_not1_saveexec_b32 s17, s17
	s_cbranch_execz .LBB379_1563
.LBB379_1582:
	v_cmp_ne_u16_e32 vcc_lo, 0, v1
	s_and_not1_b32 s18, s18, exec_lo
	s_and_b32 s19, vcc_lo, exec_lo
	s_delay_alu instid0(SALU_CYCLE_1)
	s_or_b32 s18, s18, s19
	s_or_b32 exec_lo, exec_lo, s17
	v_mov_b32_e32 v0, 0
	s_and_saveexec_b32 s17, s18
	s_cbranch_execnz .LBB379_1564
	s_branch .LBB379_1565
.LBB379_1583:
	s_mov_b32 s14, -1
.LBB379_1584:
                                        ; implicit-def: $vgpr0
.LBB379_1585:
	s_and_b32 vcc_lo, exec_lo, s17
	s_mov_b32 s17, 0
	s_cbranch_vccz .LBB379_1587
; %bb.1586:
	s_cmp_lg_u32 s13, 11
	s_mov_b32 s17, -1
	s_cselect_b32 s14, -1, 0
.LBB379_1587:
	s_delay_alu instid0(SALU_CYCLE_1)
	s_and_b32 vcc_lo, exec_lo, s14
	s_mov_b32 s13, s16
	s_cbranch_vccnz .LBB379_1648
; %bb.1588:
	s_and_not1_b32 vcc_lo, exec_lo, s17
	s_cbranch_vccnz .LBB379_1590
.LBB379_1589:
	s_wait_loadcnt 0x0
	global_load_u8 v0, v[4:5], off
	s_mov_b32 s18, -1
	s_wait_loadcnt 0x0
	v_cmp_ne_u16_e32 vcc_lo, 0, v0
	v_cndmask_b32_e64 v0, 0, 1, vcc_lo
.LBB379_1590:
	s_branch .LBB379_1524
.LBB379_1591:
	s_and_b32 s14, 0xffff, s0
	s_delay_alu instid0(SALU_CYCLE_1)
	s_cmp_lt_i32 s14, 5
	s_cbranch_scc1 .LBB379_1596
; %bb.1592:
	s_cmp_lt_i32 s14, 8
	s_cbranch_scc1 .LBB379_1597
; %bb.1593:
	;; [unrolled: 3-line block ×3, first 2 shown]
	s_cmp_gt_i32 s14, 9
	s_cbranch_scc0 .LBB379_1599
; %bb.1595:
	s_wait_loadcnt 0x0
	global_load_b64 v[0:1], v[4:5], off
	s_mov_b32 s17, 0
	s_wait_loadcnt 0x0
	v_cvt_i32_f64_e32 v0, v[0:1]
	s_branch .LBB379_1600
.LBB379_1596:
                                        ; implicit-def: $vgpr0
	s_branch .LBB379_1617
.LBB379_1597:
                                        ; implicit-def: $vgpr0
	s_branch .LBB379_1606
.LBB379_1598:
	s_mov_b32 s17, -1
                                        ; implicit-def: $vgpr0
	s_branch .LBB379_1603
.LBB379_1599:
	s_mov_b32 s17, -1
                                        ; implicit-def: $vgpr0
.LBB379_1600:
	s_delay_alu instid0(SALU_CYCLE_1)
	s_and_not1_b32 vcc_lo, exec_lo, s17
	s_cbranch_vccnz .LBB379_1602
; %bb.1601:
	s_wait_loadcnt 0x0
	global_load_b32 v0, v[4:5], off
	s_wait_loadcnt 0x0
	v_cvt_i32_f32_e32 v0, v0
.LBB379_1602:
	s_mov_b32 s17, 0
.LBB379_1603:
	s_delay_alu instid0(SALU_CYCLE_1)
	s_and_not1_b32 vcc_lo, exec_lo, s17
	s_cbranch_vccnz .LBB379_1605
; %bb.1604:
	s_wait_loadcnt 0x0
	global_load_b32 v0, v[4:5], off
	s_wait_loadcnt 0x0
	v_cvt_i16_f16_e32 v0, v0
.LBB379_1605:
	s_cbranch_execnz .LBB379_1616
.LBB379_1606:
	s_cmp_lt_i32 s14, 6
	s_cbranch_scc1 .LBB379_1609
; %bb.1607:
	s_cmp_gt_i32 s14, 6
	s_cbranch_scc0 .LBB379_1610
; %bb.1608:
	s_wait_loadcnt 0x0
	global_load_b64 v[0:1], v[4:5], off
	s_mov_b32 s17, 0
	s_wait_loadcnt 0x0
	v_cvt_i32_f64_e32 v0, v[0:1]
	s_branch .LBB379_1611
.LBB379_1609:
	s_mov_b32 s17, -1
                                        ; implicit-def: $vgpr0
	s_branch .LBB379_1614
.LBB379_1610:
	s_mov_b32 s17, -1
                                        ; implicit-def: $vgpr0
.LBB379_1611:
	s_delay_alu instid0(SALU_CYCLE_1)
	s_and_not1_b32 vcc_lo, exec_lo, s17
	s_cbranch_vccnz .LBB379_1613
; %bb.1612:
	s_wait_loadcnt 0x0
	global_load_b32 v0, v[4:5], off
	s_wait_loadcnt 0x0
	v_cvt_i32_f32_e32 v0, v0
.LBB379_1613:
	s_mov_b32 s17, 0
.LBB379_1614:
	s_delay_alu instid0(SALU_CYCLE_1)
	s_and_not1_b32 vcc_lo, exec_lo, s17
	s_cbranch_vccnz .LBB379_1616
; %bb.1615:
	s_wait_loadcnt 0x0
	global_load_u16 v0, v[4:5], off
	s_wait_loadcnt 0x0
	v_cvt_i16_f16_e32 v0, v0
.LBB379_1616:
	s_cbranch_execnz .LBB379_1635
.LBB379_1617:
	s_cmp_lt_i32 s14, 2
	s_cbranch_scc1 .LBB379_1621
; %bb.1618:
	s_cmp_lt_i32 s14, 3
	s_cbranch_scc1 .LBB379_1622
; %bb.1619:
	s_cmp_gt_i32 s14, 3
	s_cbranch_scc0 .LBB379_1623
; %bb.1620:
	s_wait_loadcnt 0x0
	global_load_b64 v[0:1], v[4:5], off
	s_mov_b32 s17, 0
	s_branch .LBB379_1624
.LBB379_1621:
                                        ; implicit-def: $vgpr0
	s_branch .LBB379_1630
.LBB379_1622:
	s_mov_b32 s17, -1
                                        ; implicit-def: $vgpr0
	s_branch .LBB379_1627
.LBB379_1623:
	s_mov_b32 s17, -1
                                        ; implicit-def: $vgpr0
.LBB379_1624:
	s_delay_alu instid0(SALU_CYCLE_1)
	s_and_not1_b32 vcc_lo, exec_lo, s17
	s_cbranch_vccnz .LBB379_1626
; %bb.1625:
	s_wait_loadcnt 0x0
	global_load_b32 v0, v[4:5], off
.LBB379_1626:
	s_mov_b32 s17, 0
.LBB379_1627:
	s_delay_alu instid0(SALU_CYCLE_1)
	s_and_not1_b32 vcc_lo, exec_lo, s17
	s_cbranch_vccnz .LBB379_1629
; %bb.1628:
	s_wait_loadcnt 0x0
	global_load_u16 v0, v[4:5], off
.LBB379_1629:
	s_cbranch_execnz .LBB379_1635
.LBB379_1630:
	s_cmp_gt_i32 s14, 0
	s_mov_b32 s14, 0
	s_cbranch_scc0 .LBB379_1632
; %bb.1631:
	s_wait_loadcnt 0x0
	global_load_u8 v0, v[4:5], off
	s_branch .LBB379_1633
.LBB379_1632:
	s_mov_b32 s14, -1
                                        ; implicit-def: $vgpr0
.LBB379_1633:
	s_delay_alu instid0(SALU_CYCLE_1)
	s_and_not1_b32 vcc_lo, exec_lo, s14
	s_cbranch_vccnz .LBB379_1635
; %bb.1634:
	s_wait_loadcnt 0x0
	global_load_u8 v0, v[4:5], off
.LBB379_1635:
.LBB379_1636:
	v_mul_lo_u32 v6, s10, v18
	s_and_b32 s1, s1, 0xff
	s_delay_alu instid0(SALU_CYCLE_1) | instskip(NEXT) | instid1(VALU_DEP_1)
	s_cmp_lt_i32 s1, 11
	v_ashrrev_i32_e32 v7, 31, v6
	s_delay_alu instid0(VALU_DEP_1)
	v_add_nc_u64_e32 v[8:9], s[2:3], v[6:7]
	s_cbranch_scc1 .LBB379_1643
; %bb.1637:
	s_and_b32 s14, 0xffff, s1
	s_mov_b32 s18, 0
	s_cmp_gt_i32 s14, 25
	s_cbranch_scc0 .LBB379_1645
; %bb.1638:
	s_cmp_gt_i32 s14, 28
	s_cbranch_scc0 .LBB379_1646
; %bb.1639:
	;; [unrolled: 3-line block ×4, first 2 shown]
	s_cmp_eq_u32 s14, 46
	s_mov_b32 s20, 0
	s_cbranch_scc0 .LBB379_1652
; %bb.1642:
	s_wait_loadcnt 0x0
	global_load_b32 v1, v[8:9], off
	s_mov_b32 s17, 0
	s_mov_b32 s19, -1
	s_wait_loadcnt 0x0
	v_lshlrev_b32_e32 v1, 16, v1
	s_wait_xcnt 0x1
	s_delay_alu instid0(VALU_DEP_1)
	v_cvt_i32_f32_e32 v4, v1
	s_branch .LBB379_1654
.LBB379_1643:
	s_mov_b32 s19, 0
                                        ; implicit-def: $vgpr4
	s_cbranch_execnz .LBB379_1715
.LBB379_1644:
	s_and_not1_b32 vcc_lo, exec_lo, s19
	s_cbranch_vccnz .LBB379_2957
	s_branch .LBB379_1762
.LBB379_1645:
	s_mov_b32 s19, 0
	s_mov_b32 s17, 0
                                        ; implicit-def: $vgpr4
	s_cbranch_execnz .LBB379_1681
	s_branch .LBB379_1711
.LBB379_1646:
	s_mov_b32 s20, -1
	s_mov_b32 s19, 0
	s_mov_b32 s17, 0
                                        ; implicit-def: $vgpr4
	s_branch .LBB379_1664
.LBB379_1647:
	s_mov_b32 s20, -1
	s_mov_b32 s19, 0
	s_mov_b32 s17, 0
                                        ; implicit-def: $vgpr4
	s_branch .LBB379_1659
.LBB379_1648:
	s_or_b32 s13, s16, exec_lo
	s_trap 2
	s_cbranch_execz .LBB379_1589
	s_branch .LBB379_1590
.LBB379_1649:
	s_mov_b32 s20, -1
	s_mov_b32 s19, 0
	s_mov_b32 s17, 0
	s_branch .LBB379_1653
.LBB379_1650:
	s_and_not1_saveexec_b32 s25, s25
	s_cbranch_execz .LBB379_1440
.LBB379_1651:
	v_add_f32_e32 v0, 0x42800000, v1
	s_and_not1_b32 s24, s24, exec_lo
	s_delay_alu instid0(VALU_DEP_1) | instskip(NEXT) | instid1(VALU_DEP_1)
	v_and_b32_e32 v0, 0xff, v0
	v_cmp_ne_u32_e32 vcc_lo, 0, v0
	s_and_b32 s26, vcc_lo, exec_lo
	s_delay_alu instid0(SALU_CYCLE_1)
	s_or_b32 s24, s24, s26
	s_or_b32 exec_lo, exec_lo, s25
	v_mov_b32_e32 v4, 0
	s_and_saveexec_b32 s25, s24
	s_cbranch_execnz .LBB379_1441
	s_branch .LBB379_1442
.LBB379_1652:
	s_mov_b32 s17, -1
	s_mov_b32 s19, 0
.LBB379_1653:
                                        ; implicit-def: $vgpr4
.LBB379_1654:
	s_and_b32 vcc_lo, exec_lo, s20
	s_cbranch_vccz .LBB379_1658
; %bb.1655:
	s_cmp_eq_u32 s14, 44
	s_cbranch_scc0 .LBB379_1657
; %bb.1656:
	s_wait_loadcnt 0x0
	global_load_u8 v1, v[8:9], off
	s_mov_b32 s17, 0
	s_mov_b32 s19, -1
	s_wait_loadcnt 0x0
	v_lshlrev_b32_e32 v3, 23, v1
	v_cmp_ne_u32_e32 vcc_lo, 0, v1
	s_delay_alu instid0(VALU_DEP_2) | instskip(SKIP_1) | instid1(VALU_DEP_1)
	v_cvt_i32_f32_e32 v3, v3
	s_wait_xcnt 0x1
	v_cndmask_b32_e32 v4, 0, v3, vcc_lo
	s_branch .LBB379_1658
.LBB379_1657:
	s_mov_b32 s17, -1
                                        ; implicit-def: $vgpr4
.LBB379_1658:
	s_mov_b32 s20, 0
.LBB379_1659:
	s_delay_alu instid0(SALU_CYCLE_1)
	s_and_b32 vcc_lo, exec_lo, s20
	s_cbranch_vccz .LBB379_1663
; %bb.1660:
	s_cmp_eq_u32 s14, 29
	s_cbranch_scc0 .LBB379_1662
; %bb.1661:
	global_load_b64 v[4:5], v[8:9], off
	s_mov_b32 s17, 0
	s_mov_b32 s19, -1
	s_branch .LBB379_1663
.LBB379_1662:
	s_mov_b32 s17, -1
                                        ; implicit-def: $vgpr4
.LBB379_1663:
	s_mov_b32 s20, 0
.LBB379_1664:
	s_delay_alu instid0(SALU_CYCLE_1)
	s_and_b32 vcc_lo, exec_lo, s20
	s_cbranch_vccz .LBB379_1680
; %bb.1665:
	s_cmp_lt_i32 s14, 27
	s_cbranch_scc1 .LBB379_1668
; %bb.1666:
	s_cmp_gt_i32 s14, 27
	s_cbranch_scc0 .LBB379_1669
; %bb.1667:
	s_wait_loadcnt 0x0
	global_load_b32 v4, v[8:9], off
	s_mov_b32 s19, 0
	s_branch .LBB379_1670
.LBB379_1668:
	s_mov_b32 s19, -1
                                        ; implicit-def: $vgpr4
	s_branch .LBB379_1673
.LBB379_1669:
	s_mov_b32 s19, -1
                                        ; implicit-def: $vgpr4
.LBB379_1670:
	s_delay_alu instid0(SALU_CYCLE_1)
	s_and_not1_b32 vcc_lo, exec_lo, s19
	s_cbranch_vccnz .LBB379_1672
; %bb.1671:
	s_wait_loadcnt 0x0
	global_load_u16 v4, v[8:9], off
.LBB379_1672:
	s_mov_b32 s19, 0
.LBB379_1673:
	s_delay_alu instid0(SALU_CYCLE_1)
	s_and_not1_b32 vcc_lo, exec_lo, s19
	s_cbranch_vccnz .LBB379_1679
; %bb.1674:
	s_wait_loadcnt 0x0
	global_load_u8 v1, v[8:9], off
	s_mov_b32 s20, 0
	s_mov_b32 s19, exec_lo
	s_wait_loadcnt 0x0
	v_cmpx_lt_i16_e32 0x7f, v1
	s_xor_b32 s19, exec_lo, s19
	s_cbranch_execz .LBB379_1690
; %bb.1675:
	v_cmp_ne_u16_e32 vcc_lo, 0x80, v1
	s_and_b32 s20, vcc_lo, exec_lo
	s_and_not1_saveexec_b32 s19, s19
	s_cbranch_execnz .LBB379_1691
.LBB379_1676:
	s_or_b32 exec_lo, exec_lo, s19
	v_mov_b32_e32 v4, 0
	s_and_saveexec_b32 s19, s20
	s_cbranch_execz .LBB379_1678
.LBB379_1677:
	v_and_b32_e32 v3, 0xffff, v1
	s_delay_alu instid0(VALU_DEP_1) | instskip(SKIP_1) | instid1(VALU_DEP_2)
	v_and_b32_e32 v4, 7, v3
	v_bfe_u32 v10, v3, 3, 4
	v_clz_i32_u32_e32 v5, v4
	s_delay_alu instid0(VALU_DEP_2) | instskip(NEXT) | instid1(VALU_DEP_2)
	v_cmp_eq_u32_e32 vcc_lo, 0, v10
	v_min_u32_e32 v5, 32, v5
	s_delay_alu instid0(VALU_DEP_1) | instskip(NEXT) | instid1(VALU_DEP_1)
	v_subrev_nc_u32_e32 v7, 28, v5
	v_dual_lshlrev_b32 v3, v7, v3 :: v_dual_sub_nc_u32 v5, 29, v5
	s_delay_alu instid0(VALU_DEP_1) | instskip(NEXT) | instid1(VALU_DEP_1)
	v_dual_lshlrev_b32 v1, 24, v1 :: v_dual_bitop2_b32 v3, 7, v3 bitop3:0x40
	v_dual_cndmask_b32 v3, v4, v3, vcc_lo :: v_dual_cndmask_b32 v5, v10, v5, vcc_lo
	s_delay_alu instid0(VALU_DEP_2) | instskip(NEXT) | instid1(VALU_DEP_2)
	v_and_b32_e32 v1, 0x80000000, v1
	v_lshlrev_b32_e32 v3, 20, v3
	s_delay_alu instid0(VALU_DEP_3) | instskip(NEXT) | instid1(VALU_DEP_1)
	v_lshl_add_u32 v4, v5, 23, 0x3b800000
	v_or3_b32 v1, v1, v4, v3
	s_delay_alu instid0(VALU_DEP_1)
	v_cvt_i32_f32_e32 v4, v1
.LBB379_1678:
	s_or_b32 exec_lo, exec_lo, s19
.LBB379_1679:
	s_mov_b32 s19, -1
.LBB379_1680:
	s_branch .LBB379_1711
.LBB379_1681:
	s_cmp_gt_i32 s14, 22
	s_cbranch_scc0 .LBB379_1689
; %bb.1682:
	s_cmp_lt_i32 s14, 24
	s_cbranch_scc1 .LBB379_1692
; %bb.1683:
	s_cmp_gt_i32 s14, 24
	s_cbranch_scc0 .LBB379_1693
; %bb.1684:
	s_wait_loadcnt 0x0
	global_load_u8 v1, v[8:9], off
	s_mov_b32 s19, 0
	s_mov_b32 s18, exec_lo
	s_wait_loadcnt 0x0
	v_cmpx_lt_i16_e32 0x7f, v1
	s_xor_b32 s18, exec_lo, s18
	s_cbranch_execz .LBB379_1705
; %bb.1685:
	v_cmp_ne_u16_e32 vcc_lo, 0x80, v1
	s_and_b32 s19, vcc_lo, exec_lo
	s_and_not1_saveexec_b32 s18, s18
	s_cbranch_execnz .LBB379_1706
.LBB379_1686:
	s_or_b32 exec_lo, exec_lo, s18
	v_mov_b32_e32 v4, 0
	s_and_saveexec_b32 s18, s19
	s_cbranch_execz .LBB379_1688
.LBB379_1687:
	v_and_b32_e32 v3, 0xffff, v1
	s_delay_alu instid0(VALU_DEP_1) | instskip(SKIP_1) | instid1(VALU_DEP_2)
	v_and_b32_e32 v4, 3, v3
	v_bfe_u32 v10, v3, 2, 5
	v_clz_i32_u32_e32 v5, v4
	s_delay_alu instid0(VALU_DEP_2) | instskip(NEXT) | instid1(VALU_DEP_2)
	v_cmp_eq_u32_e32 vcc_lo, 0, v10
	v_min_u32_e32 v5, 32, v5
	s_delay_alu instid0(VALU_DEP_1) | instskip(NEXT) | instid1(VALU_DEP_1)
	v_subrev_nc_u32_e32 v7, 29, v5
	v_dual_lshlrev_b32 v3, v7, v3 :: v_dual_sub_nc_u32 v5, 30, v5
	s_delay_alu instid0(VALU_DEP_1) | instskip(NEXT) | instid1(VALU_DEP_1)
	v_dual_lshlrev_b32 v1, 24, v1 :: v_dual_bitop2_b32 v3, 3, v3 bitop3:0x40
	v_dual_cndmask_b32 v3, v4, v3, vcc_lo :: v_dual_cndmask_b32 v5, v10, v5, vcc_lo
	s_delay_alu instid0(VALU_DEP_2) | instskip(NEXT) | instid1(VALU_DEP_2)
	v_and_b32_e32 v1, 0x80000000, v1
	v_lshlrev_b32_e32 v3, 21, v3
	s_delay_alu instid0(VALU_DEP_3) | instskip(NEXT) | instid1(VALU_DEP_1)
	v_lshl_add_u32 v4, v5, 23, 0x37800000
	v_or3_b32 v1, v1, v4, v3
	s_delay_alu instid0(VALU_DEP_1)
	v_cvt_i32_f32_e32 v4, v1
.LBB379_1688:
	s_or_b32 exec_lo, exec_lo, s18
	s_mov_b32 s18, 0
	s_branch .LBB379_1694
.LBB379_1689:
	s_mov_b32 s18, -1
                                        ; implicit-def: $vgpr4
	s_branch .LBB379_1700
.LBB379_1690:
	s_and_not1_saveexec_b32 s19, s19
	s_cbranch_execz .LBB379_1676
.LBB379_1691:
	v_cmp_ne_u16_e32 vcc_lo, 0, v1
	s_and_not1_b32 s20, s20, exec_lo
	s_and_b32 s21, vcc_lo, exec_lo
	s_delay_alu instid0(SALU_CYCLE_1)
	s_or_b32 s20, s20, s21
	s_or_b32 exec_lo, exec_lo, s19
	v_mov_b32_e32 v4, 0
	s_and_saveexec_b32 s19, s20
	s_cbranch_execnz .LBB379_1677
	s_branch .LBB379_1678
.LBB379_1692:
	s_mov_b32 s18, -1
                                        ; implicit-def: $vgpr4
	s_branch .LBB379_1697
.LBB379_1693:
	s_mov_b32 s18, -1
                                        ; implicit-def: $vgpr4
.LBB379_1694:
	s_delay_alu instid0(SALU_CYCLE_1)
	s_and_b32 vcc_lo, exec_lo, s18
	s_cbranch_vccz .LBB379_1696
; %bb.1695:
	s_wait_loadcnt 0x0
	global_load_u8 v1, v[8:9], off
	s_wait_loadcnt 0x0
	v_lshlrev_b32_e32 v1, 24, v1
	s_delay_alu instid0(VALU_DEP_1) | instskip(SKIP_1) | instid1(VALU_DEP_1)
	v_and_b32_e32 v3, 0x7f000000, v1
	s_wait_xcnt 0x1
	v_clz_i32_u32_e32 v4, v3
	v_add_nc_u32_e32 v7, 0x1000000, v3
	v_cmp_ne_u32_e32 vcc_lo, 0, v3
	s_delay_alu instid0(VALU_DEP_3) | instskip(NEXT) | instid1(VALU_DEP_1)
	v_min_u32_e32 v4, 32, v4
	v_sub_nc_u32_e64 v4, v4, 4 clamp
	s_delay_alu instid0(VALU_DEP_1) | instskip(NEXT) | instid1(VALU_DEP_1)
	v_dual_lshlrev_b32 v5, v4, v3 :: v_dual_lshlrev_b32 v4, 23, v4
	v_lshrrev_b32_e32 v5, 4, v5
	s_delay_alu instid0(VALU_DEP_1) | instskip(NEXT) | instid1(VALU_DEP_1)
	v_dual_sub_nc_u32 v4, v5, v4 :: v_dual_ashrrev_i32 v5, 8, v7
	v_add_nc_u32_e32 v4, 0x3c000000, v4
	s_delay_alu instid0(VALU_DEP_1) | instskip(NEXT) | instid1(VALU_DEP_1)
	v_and_or_b32 v4, 0x7f800000, v5, v4
	v_cndmask_b32_e32 v3, 0, v4, vcc_lo
	s_delay_alu instid0(VALU_DEP_1) | instskip(NEXT) | instid1(VALU_DEP_1)
	v_and_or_b32 v1, 0x80000000, v1, v3
	v_cvt_i32_f32_e32 v4, v1
.LBB379_1696:
	s_mov_b32 s18, 0
.LBB379_1697:
	s_delay_alu instid0(SALU_CYCLE_1)
	s_and_not1_b32 vcc_lo, exec_lo, s18
	s_cbranch_vccnz .LBB379_1699
; %bb.1698:
	s_wait_loadcnt 0x0
	global_load_u8 v1, v[8:9], off
	s_wait_loadcnt 0x0
	v_lshlrev_b32_e32 v3, 25, v1
	v_lshlrev_b16 v1, 8, v1
	s_wait_xcnt 0x1
	s_delay_alu instid0(VALU_DEP_1) | instskip(NEXT) | instid1(VALU_DEP_3)
	v_and_or_b32 v5, 0x7f00, v1, 0.5
	v_lshrrev_b32_e32 v4, 4, v3
	v_bfe_i32 v1, v1, 0, 16
	s_delay_alu instid0(VALU_DEP_3) | instskip(NEXT) | instid1(VALU_DEP_3)
	v_add_f32_e32 v5, -0.5, v5
	v_or_b32_e32 v4, 0x70000000, v4
	s_delay_alu instid0(VALU_DEP_1) | instskip(SKIP_1) | instid1(VALU_DEP_2)
	v_mul_f32_e32 v4, 0x7800000, v4
	v_cmp_gt_u32_e32 vcc_lo, 0x8000000, v3
	v_cndmask_b32_e32 v3, v4, v5, vcc_lo
	s_delay_alu instid0(VALU_DEP_1) | instskip(NEXT) | instid1(VALU_DEP_1)
	v_and_or_b32 v1, 0x80000000, v1, v3
	v_cvt_i32_f32_e32 v4, v1
.LBB379_1699:
	s_mov_b32 s18, 0
	s_mov_b32 s19, -1
.LBB379_1700:
	s_and_not1_b32 vcc_lo, exec_lo, s18
	s_mov_b32 s18, 0
	s_cbranch_vccnz .LBB379_1711
; %bb.1701:
	s_cmp_gt_i32 s14, 14
	s_cbranch_scc0 .LBB379_1704
; %bb.1702:
	s_cmp_eq_u32 s14, 15
	s_cbranch_scc0 .LBB379_1707
; %bb.1703:
	s_wait_loadcnt 0x0
	global_load_u16 v1, v[8:9], off
	s_mov_b32 s17, 0
	s_mov_b32 s19, -1
	s_wait_loadcnt 0x0
	v_lshlrev_b32_e32 v1, 16, v1
	s_wait_xcnt 0x1
	s_delay_alu instid0(VALU_DEP_1)
	v_cvt_i32_f32_e32 v4, v1
	s_branch .LBB379_1709
.LBB379_1704:
	s_mov_b32 s18, -1
	s_branch .LBB379_1708
.LBB379_1705:
	s_and_not1_saveexec_b32 s18, s18
	s_cbranch_execz .LBB379_1686
.LBB379_1706:
	v_cmp_ne_u16_e32 vcc_lo, 0, v1
	s_and_not1_b32 s19, s19, exec_lo
	s_and_b32 s20, vcc_lo, exec_lo
	s_delay_alu instid0(SALU_CYCLE_1)
	s_or_b32 s19, s19, s20
	s_or_b32 exec_lo, exec_lo, s18
	v_mov_b32_e32 v4, 0
	s_and_saveexec_b32 s18, s19
	s_cbranch_execnz .LBB379_1687
	s_branch .LBB379_1688
.LBB379_1707:
	s_mov_b32 s17, -1
.LBB379_1708:
                                        ; implicit-def: $vgpr4
.LBB379_1709:
	s_and_b32 vcc_lo, exec_lo, s18
	s_mov_b32 s18, 0
	s_cbranch_vccz .LBB379_1711
; %bb.1710:
	s_cmp_lg_u32 s14, 11
	s_mov_b32 s18, -1
	s_cselect_b32 s17, -1, 0
.LBB379_1711:
	s_delay_alu instid0(SALU_CYCLE_1)
	s_and_b32 vcc_lo, exec_lo, s17
	s_cbranch_vccnz .LBB379_1774
; %bb.1712:
	s_and_not1_b32 vcc_lo, exec_lo, s18
	s_cbranch_vccnz .LBB379_1714
.LBB379_1713:
	s_wait_loadcnt 0x0
	global_load_u8 v1, v[8:9], off
	s_mov_b32 s19, -1
	s_wait_loadcnt 0x0
	v_cmp_ne_u16_e32 vcc_lo, 0, v1
	s_wait_xcnt 0x1
	v_cndmask_b32_e64 v4, 0, 1, vcc_lo
.LBB379_1714:
	s_branch .LBB379_1644
.LBB379_1715:
	s_and_b32 s14, 0xffff, s1
	s_delay_alu instid0(SALU_CYCLE_1)
	s_cmp_lt_i32 s14, 5
	s_cbranch_scc1 .LBB379_1720
; %bb.1716:
	s_cmp_lt_i32 s14, 8
	s_cbranch_scc1 .LBB379_1721
; %bb.1717:
	;; [unrolled: 3-line block ×3, first 2 shown]
	s_cmp_gt_i32 s14, 9
	s_cbranch_scc0 .LBB379_1723
; %bb.1719:
	s_wait_loadcnt 0x0
	global_load_b64 v[4:5], v[8:9], off
	s_mov_b32 s17, 0
	s_wait_loadcnt 0x0
	v_cvt_i32_f64_e32 v4, v[4:5]
	s_branch .LBB379_1724
.LBB379_1720:
                                        ; implicit-def: $vgpr4
	s_branch .LBB379_1742
.LBB379_1721:
	s_mov_b32 s17, -1
                                        ; implicit-def: $vgpr4
	s_branch .LBB379_1730
.LBB379_1722:
	s_mov_b32 s17, -1
                                        ; implicit-def: $vgpr4
	s_branch .LBB379_1727
.LBB379_1723:
	s_mov_b32 s17, -1
                                        ; implicit-def: $vgpr4
.LBB379_1724:
	s_delay_alu instid0(SALU_CYCLE_1)
	s_and_not1_b32 vcc_lo, exec_lo, s17
	s_cbranch_vccnz .LBB379_1726
; %bb.1725:
	s_wait_loadcnt 0x0
	global_load_b32 v1, v[8:9], off
	s_wait_loadcnt 0x0
	s_wait_xcnt 0x1
	v_cvt_i32_f32_e32 v4, v1
.LBB379_1726:
	s_mov_b32 s17, 0
.LBB379_1727:
	s_delay_alu instid0(SALU_CYCLE_1)
	s_and_not1_b32 vcc_lo, exec_lo, s17
	s_cbranch_vccnz .LBB379_1729
; %bb.1728:
	s_wait_loadcnt 0x0
	global_load_b32 v1, v[8:9], off
	s_wait_loadcnt 0x0
	s_wait_xcnt 0x1
	v_cvt_i16_f16_e32 v4, v1
.LBB379_1729:
	s_mov_b32 s17, 0
.LBB379_1730:
	s_delay_alu instid0(SALU_CYCLE_1)
	s_and_not1_b32 vcc_lo, exec_lo, s17
	s_cbranch_vccnz .LBB379_1741
; %bb.1731:
	s_cmp_lt_i32 s14, 6
	s_cbranch_scc1 .LBB379_1734
; %bb.1732:
	s_cmp_gt_i32 s14, 6
	s_cbranch_scc0 .LBB379_1735
; %bb.1733:
	s_wait_loadcnt 0x0
	global_load_b64 v[4:5], v[8:9], off
	s_mov_b32 s17, 0
	s_wait_loadcnt 0x0
	v_cvt_i32_f64_e32 v4, v[4:5]
	s_branch .LBB379_1736
.LBB379_1734:
	s_mov_b32 s17, -1
                                        ; implicit-def: $vgpr4
	s_branch .LBB379_1739
.LBB379_1735:
	s_mov_b32 s17, -1
                                        ; implicit-def: $vgpr4
.LBB379_1736:
	s_delay_alu instid0(SALU_CYCLE_1)
	s_and_not1_b32 vcc_lo, exec_lo, s17
	s_cbranch_vccnz .LBB379_1738
; %bb.1737:
	s_wait_loadcnt 0x0
	global_load_b32 v1, v[8:9], off
	s_wait_loadcnt 0x0
	s_wait_xcnt 0x1
	v_cvt_i32_f32_e32 v4, v1
.LBB379_1738:
	s_mov_b32 s17, 0
.LBB379_1739:
	s_delay_alu instid0(SALU_CYCLE_1)
	s_and_not1_b32 vcc_lo, exec_lo, s17
	s_cbranch_vccnz .LBB379_1741
; %bb.1740:
	s_wait_loadcnt 0x0
	global_load_u16 v1, v[8:9], off
	s_wait_loadcnt 0x0
	s_wait_xcnt 0x1
	v_cvt_i16_f16_e32 v4, v1
.LBB379_1741:
	s_cbranch_execnz .LBB379_1761
.LBB379_1742:
	s_cmp_lt_i32 s14, 2
	s_cbranch_scc1 .LBB379_1746
; %bb.1743:
	s_cmp_lt_i32 s14, 3
	s_cbranch_scc1 .LBB379_1747
; %bb.1744:
	s_cmp_gt_i32 s14, 3
	s_cbranch_scc0 .LBB379_1748
; %bb.1745:
	s_wait_loadcnt 0x0
	global_load_b64 v[4:5], v[8:9], off
	s_mov_b32 s17, 0
	s_branch .LBB379_1749
.LBB379_1746:
	s_mov_b32 s17, -1
                                        ; implicit-def: $vgpr4
	s_branch .LBB379_1755
.LBB379_1747:
	s_mov_b32 s17, -1
                                        ; implicit-def: $vgpr4
	s_branch .LBB379_1752
.LBB379_1748:
	s_mov_b32 s17, -1
                                        ; implicit-def: $vgpr4
.LBB379_1749:
	s_delay_alu instid0(SALU_CYCLE_1)
	s_and_not1_b32 vcc_lo, exec_lo, s17
	s_cbranch_vccnz .LBB379_1751
; %bb.1750:
	s_wait_loadcnt 0x0
	global_load_b32 v4, v[8:9], off
.LBB379_1751:
	s_mov_b32 s17, 0
.LBB379_1752:
	s_delay_alu instid0(SALU_CYCLE_1)
	s_and_not1_b32 vcc_lo, exec_lo, s17
	s_cbranch_vccnz .LBB379_1754
; %bb.1753:
	s_wait_loadcnt 0x0
	global_load_u16 v4, v[8:9], off
.LBB379_1754:
	s_mov_b32 s17, 0
.LBB379_1755:
	s_delay_alu instid0(SALU_CYCLE_1)
	s_and_not1_b32 vcc_lo, exec_lo, s17
	s_cbranch_vccnz .LBB379_1761
; %bb.1756:
	s_cmp_gt_i32 s14, 0
	s_mov_b32 s14, 0
	s_cbranch_scc0 .LBB379_1758
; %bb.1757:
	s_wait_loadcnt 0x0
	global_load_u8 v4, v[8:9], off
	s_branch .LBB379_1759
.LBB379_1758:
	s_mov_b32 s14, -1
                                        ; implicit-def: $vgpr4
.LBB379_1759:
	s_delay_alu instid0(SALU_CYCLE_1)
	s_and_not1_b32 vcc_lo, exec_lo, s14
	s_cbranch_vccnz .LBB379_1761
; %bb.1760:
	s_wait_loadcnt 0x0
	global_load_u8 v4, v[8:9], off
.LBB379_1761:
.LBB379_1762:
	s_lshl_b32 s9, s9, 7
	s_cmp_lt_i32 s0, 11
	v_add_nc_u32_e32 v10, s9, v2
	s_delay_alu instid0(VALU_DEP_1) | instskip(SKIP_1) | instid1(VALU_DEP_1)
	v_ashrrev_i32_e32 v11, 31, v10
	s_wait_xcnt 0x0
	v_add_nc_u64_e32 v[8:9], s[6:7], v[10:11]
	s_cbranch_scc1 .LBB379_1769
; %bb.1763:
	s_and_b32 s14, 0xffff, s0
	s_mov_b32 s18, 0
	s_cmp_gt_i32 s14, 25
	s_cbranch_scc0 .LBB379_1771
; %bb.1764:
	s_cmp_gt_i32 s14, 28
	s_cbranch_scc0 .LBB379_1772
; %bb.1765:
	;; [unrolled: 3-line block ×4, first 2 shown]
	s_cmp_eq_u32 s14, 46
	s_mov_b32 s20, 0
	s_cbranch_scc0 .LBB379_1776
; %bb.1768:
	s_wait_loadcnt 0x0
	global_load_b32 v1, v[8:9], off
	s_mov_b32 s17, 0
	s_mov_b32 s19, -1
	s_wait_loadcnt 0x0
	v_lshlrev_b32_e32 v1, 16, v1
	s_delay_alu instid0(VALU_DEP_1)
	v_cvt_i32_f32_e32 v2, v1
	s_branch .LBB379_1778
.LBB379_1769:
	s_mov_b32 s19, 0
                                        ; implicit-def: $vgpr2
	s_cbranch_execnz .LBB379_1840
.LBB379_1770:
	s_and_not1_b32 vcc_lo, exec_lo, s19
	s_cbranch_vccnz .LBB379_2957
	s_branch .LBB379_1888
.LBB379_1771:
	s_mov_b32 s20, -1
	s_mov_b32 s19, 0
	s_mov_b32 s17, 0
                                        ; implicit-def: $vgpr2
	s_branch .LBB379_1805
.LBB379_1772:
	s_mov_b32 s20, -1
	s_mov_b32 s19, 0
	s_mov_b32 s17, 0
                                        ; implicit-def: $vgpr2
	s_branch .LBB379_1788
.LBB379_1773:
	s_mov_b32 s20, -1
	s_mov_b32 s19, 0
	s_mov_b32 s17, 0
                                        ; implicit-def: $vgpr2
	s_branch .LBB379_1783
.LBB379_1774:
	s_or_b32 s13, s13, exec_lo
	s_trap 2
	s_cbranch_execz .LBB379_1713
	s_branch .LBB379_1714
.LBB379_1775:
	s_mov_b32 s20, -1
	s_mov_b32 s19, 0
	s_mov_b32 s17, 0
	s_branch .LBB379_1777
.LBB379_1776:
	s_mov_b32 s17, -1
	s_mov_b32 s19, 0
.LBB379_1777:
                                        ; implicit-def: $vgpr2
.LBB379_1778:
	s_and_b32 vcc_lo, exec_lo, s20
	s_cbranch_vccz .LBB379_1782
; %bb.1779:
	s_cmp_eq_u32 s14, 44
	s_cbranch_scc0 .LBB379_1781
; %bb.1780:
	s_wait_loadcnt 0x0
	global_load_u8 v1, v[8:9], off
	s_mov_b32 s17, 0
	s_mov_b32 s19, -1
	s_wait_loadcnt 0x0
	v_lshlrev_b32_e32 v2, 23, v1
	v_cmp_ne_u32_e32 vcc_lo, 0, v1
	s_delay_alu instid0(VALU_DEP_2) | instskip(NEXT) | instid1(VALU_DEP_1)
	v_cvt_i32_f32_e32 v2, v2
	v_cndmask_b32_e32 v2, 0, v2, vcc_lo
	s_branch .LBB379_1782
.LBB379_1781:
	s_mov_b32 s17, -1
                                        ; implicit-def: $vgpr2
.LBB379_1782:
	s_mov_b32 s20, 0
.LBB379_1783:
	s_delay_alu instid0(SALU_CYCLE_1)
	s_and_b32 vcc_lo, exec_lo, s20
	s_cbranch_vccz .LBB379_1787
; %bb.1784:
	s_cmp_eq_u32 s14, 29
	s_cbranch_scc0 .LBB379_1786
; %bb.1785:
	global_load_b64 v[2:3], v[8:9], off
	s_mov_b32 s17, 0
	s_mov_b32 s19, -1
	s_branch .LBB379_1787
.LBB379_1786:
	s_mov_b32 s17, -1
                                        ; implicit-def: $vgpr2
.LBB379_1787:
	s_mov_b32 s20, 0
.LBB379_1788:
	s_delay_alu instid0(SALU_CYCLE_1)
	s_and_b32 vcc_lo, exec_lo, s20
	s_cbranch_vccz .LBB379_1804
; %bb.1789:
	s_cmp_lt_i32 s14, 27
	s_cbranch_scc1 .LBB379_1792
; %bb.1790:
	s_cmp_gt_i32 s14, 27
	s_cbranch_scc0 .LBB379_1793
; %bb.1791:
	s_wait_loadcnt 0x0
	global_load_b32 v2, v[8:9], off
	s_mov_b32 s19, 0
	s_branch .LBB379_1794
.LBB379_1792:
	s_mov_b32 s19, -1
                                        ; implicit-def: $vgpr2
	s_branch .LBB379_1797
.LBB379_1793:
	s_mov_b32 s19, -1
                                        ; implicit-def: $vgpr2
.LBB379_1794:
	s_delay_alu instid0(SALU_CYCLE_1)
	s_and_not1_b32 vcc_lo, exec_lo, s19
	s_cbranch_vccnz .LBB379_1796
; %bb.1795:
	s_wait_loadcnt 0x0
	global_load_u16 v2, v[8:9], off
.LBB379_1796:
	s_mov_b32 s19, 0
.LBB379_1797:
	s_delay_alu instid0(SALU_CYCLE_1)
	s_and_not1_b32 vcc_lo, exec_lo, s19
	s_cbranch_vccnz .LBB379_1803
; %bb.1798:
	s_wait_loadcnt 0x0
	global_load_u8 v1, v[8:9], off
	s_mov_b32 s20, 0
	s_mov_b32 s19, exec_lo
	s_wait_loadcnt 0x0
	v_cmpx_lt_i16_e32 0x7f, v1
	s_xor_b32 s19, exec_lo, s19
	s_cbranch_execz .LBB379_1815
; %bb.1799:
	v_cmp_ne_u16_e32 vcc_lo, 0x80, v1
	s_and_b32 s20, vcc_lo, exec_lo
	s_and_not1_saveexec_b32 s19, s19
	s_cbranch_execnz .LBB379_1816
.LBB379_1800:
	s_or_b32 exec_lo, exec_lo, s19
	v_mov_b32_e32 v2, 0
	s_and_saveexec_b32 s19, s20
	s_cbranch_execz .LBB379_1802
.LBB379_1801:
	v_and_b32_e32 v2, 0xffff, v1
	s_delay_alu instid0(VALU_DEP_1) | instskip(SKIP_1) | instid1(VALU_DEP_2)
	v_and_b32_e32 v3, 7, v2
	v_bfe_u32 v11, v2, 3, 4
	v_clz_i32_u32_e32 v5, v3
	s_delay_alu instid0(VALU_DEP_2) | instskip(NEXT) | instid1(VALU_DEP_2)
	v_cmp_eq_u32_e32 vcc_lo, 0, v11
	v_min_u32_e32 v5, 32, v5
	s_delay_alu instid0(VALU_DEP_1) | instskip(NEXT) | instid1(VALU_DEP_1)
	v_subrev_nc_u32_e32 v7, 28, v5
	v_dual_lshlrev_b32 v2, v7, v2 :: v_dual_sub_nc_u32 v5, 29, v5
	s_delay_alu instid0(VALU_DEP_1) | instskip(NEXT) | instid1(VALU_DEP_1)
	v_dual_lshlrev_b32 v1, 24, v1 :: v_dual_bitop2_b32 v2, 7, v2 bitop3:0x40
	v_cndmask_b32_e32 v2, v3, v2, vcc_lo
	s_delay_alu instid0(VALU_DEP_3) | instskip(NEXT) | instid1(VALU_DEP_3)
	v_cndmask_b32_e32 v5, v11, v5, vcc_lo
	v_and_b32_e32 v1, 0x80000000, v1
	s_delay_alu instid0(VALU_DEP_3) | instskip(NEXT) | instid1(VALU_DEP_3)
	v_lshlrev_b32_e32 v2, 20, v2
	v_lshl_add_u32 v3, v5, 23, 0x3b800000
	s_delay_alu instid0(VALU_DEP_1) | instskip(NEXT) | instid1(VALU_DEP_1)
	v_or3_b32 v1, v1, v3, v2
	v_cvt_i32_f32_e32 v2, v1
.LBB379_1802:
	s_or_b32 exec_lo, exec_lo, s19
.LBB379_1803:
	s_mov_b32 s19, -1
.LBB379_1804:
	s_mov_b32 s20, 0
.LBB379_1805:
	s_delay_alu instid0(SALU_CYCLE_1)
	s_and_b32 vcc_lo, exec_lo, s20
	s_cbranch_vccz .LBB379_1836
; %bb.1806:
	s_cmp_gt_i32 s14, 22
	s_cbranch_scc0 .LBB379_1814
; %bb.1807:
	s_cmp_lt_i32 s14, 24
	s_cbranch_scc1 .LBB379_1817
; %bb.1808:
	s_cmp_gt_i32 s14, 24
	s_cbranch_scc0 .LBB379_1818
; %bb.1809:
	s_wait_loadcnt 0x0
	global_load_u8 v1, v[8:9], off
	s_mov_b32 s19, 0
	s_mov_b32 s18, exec_lo
	s_wait_loadcnt 0x0
	v_cmpx_lt_i16_e32 0x7f, v1
	s_xor_b32 s18, exec_lo, s18
	s_cbranch_execz .LBB379_1830
; %bb.1810:
	v_cmp_ne_u16_e32 vcc_lo, 0x80, v1
	s_and_b32 s19, vcc_lo, exec_lo
	s_and_not1_saveexec_b32 s18, s18
	s_cbranch_execnz .LBB379_1831
.LBB379_1811:
	s_or_b32 exec_lo, exec_lo, s18
	v_mov_b32_e32 v2, 0
	s_and_saveexec_b32 s18, s19
	s_cbranch_execz .LBB379_1813
.LBB379_1812:
	v_and_b32_e32 v2, 0xffff, v1
	s_delay_alu instid0(VALU_DEP_1) | instskip(SKIP_1) | instid1(VALU_DEP_2)
	v_and_b32_e32 v3, 3, v2
	v_bfe_u32 v11, v2, 2, 5
	v_clz_i32_u32_e32 v5, v3
	s_delay_alu instid0(VALU_DEP_2) | instskip(NEXT) | instid1(VALU_DEP_2)
	v_cmp_eq_u32_e32 vcc_lo, 0, v11
	v_min_u32_e32 v5, 32, v5
	s_delay_alu instid0(VALU_DEP_1) | instskip(NEXT) | instid1(VALU_DEP_1)
	v_subrev_nc_u32_e32 v7, 29, v5
	v_dual_lshlrev_b32 v2, v7, v2 :: v_dual_sub_nc_u32 v5, 30, v5
	s_delay_alu instid0(VALU_DEP_1) | instskip(NEXT) | instid1(VALU_DEP_1)
	v_dual_lshlrev_b32 v1, 24, v1 :: v_dual_bitop2_b32 v2, 3, v2 bitop3:0x40
	v_cndmask_b32_e32 v2, v3, v2, vcc_lo
	s_delay_alu instid0(VALU_DEP_3) | instskip(NEXT) | instid1(VALU_DEP_3)
	v_cndmask_b32_e32 v5, v11, v5, vcc_lo
	v_and_b32_e32 v1, 0x80000000, v1
	s_delay_alu instid0(VALU_DEP_3) | instskip(NEXT) | instid1(VALU_DEP_3)
	v_lshlrev_b32_e32 v2, 21, v2
	v_lshl_add_u32 v3, v5, 23, 0x37800000
	s_delay_alu instid0(VALU_DEP_1) | instskip(NEXT) | instid1(VALU_DEP_1)
	v_or3_b32 v1, v1, v3, v2
	v_cvt_i32_f32_e32 v2, v1
.LBB379_1813:
	s_or_b32 exec_lo, exec_lo, s18
	s_mov_b32 s18, 0
	s_branch .LBB379_1819
.LBB379_1814:
	s_mov_b32 s18, -1
                                        ; implicit-def: $vgpr2
	s_branch .LBB379_1825
.LBB379_1815:
	s_and_not1_saveexec_b32 s19, s19
	s_cbranch_execz .LBB379_1800
.LBB379_1816:
	v_cmp_ne_u16_e32 vcc_lo, 0, v1
	s_and_not1_b32 s20, s20, exec_lo
	s_and_b32 s21, vcc_lo, exec_lo
	s_delay_alu instid0(SALU_CYCLE_1)
	s_or_b32 s20, s20, s21
	s_or_b32 exec_lo, exec_lo, s19
	v_mov_b32_e32 v2, 0
	s_and_saveexec_b32 s19, s20
	s_cbranch_execnz .LBB379_1801
	s_branch .LBB379_1802
.LBB379_1817:
	s_mov_b32 s18, -1
                                        ; implicit-def: $vgpr2
	s_branch .LBB379_1822
.LBB379_1818:
	s_mov_b32 s18, -1
                                        ; implicit-def: $vgpr2
.LBB379_1819:
	s_delay_alu instid0(SALU_CYCLE_1)
	s_and_b32 vcc_lo, exec_lo, s18
	s_cbranch_vccz .LBB379_1821
; %bb.1820:
	s_wait_loadcnt 0x0
	global_load_u8 v1, v[8:9], off
	s_wait_loadcnt 0x0
	v_lshlrev_b32_e32 v1, 24, v1
	s_delay_alu instid0(VALU_DEP_1) | instskip(NEXT) | instid1(VALU_DEP_1)
	v_and_b32_e32 v2, 0x7f000000, v1
	v_clz_i32_u32_e32 v3, v2
	v_cmp_ne_u32_e32 vcc_lo, 0, v2
	v_add_nc_u32_e32 v7, 0x1000000, v2
	s_delay_alu instid0(VALU_DEP_3) | instskip(NEXT) | instid1(VALU_DEP_1)
	v_min_u32_e32 v3, 32, v3
	v_sub_nc_u32_e64 v3, v3, 4 clamp
	s_delay_alu instid0(VALU_DEP_1) | instskip(NEXT) | instid1(VALU_DEP_1)
	v_dual_lshlrev_b32 v5, v3, v2 :: v_dual_lshlrev_b32 v3, 23, v3
	v_lshrrev_b32_e32 v5, 4, v5
	s_delay_alu instid0(VALU_DEP_1) | instskip(SKIP_1) | instid1(VALU_DEP_2)
	v_sub_nc_u32_e32 v3, v5, v3
	v_ashrrev_i32_e32 v5, 8, v7
	v_add_nc_u32_e32 v3, 0x3c000000, v3
	s_delay_alu instid0(VALU_DEP_1) | instskip(NEXT) | instid1(VALU_DEP_1)
	v_and_or_b32 v3, 0x7f800000, v5, v3
	v_cndmask_b32_e32 v2, 0, v3, vcc_lo
	s_delay_alu instid0(VALU_DEP_1) | instskip(NEXT) | instid1(VALU_DEP_1)
	v_and_or_b32 v1, 0x80000000, v1, v2
	v_cvt_i32_f32_e32 v2, v1
.LBB379_1821:
	s_mov_b32 s18, 0
.LBB379_1822:
	s_delay_alu instid0(SALU_CYCLE_1)
	s_and_not1_b32 vcc_lo, exec_lo, s18
	s_cbranch_vccnz .LBB379_1824
; %bb.1823:
	s_wait_loadcnt 0x0
	global_load_u8 v1, v[8:9], off
	s_wait_loadcnt 0x0
	v_lshlrev_b32_e32 v2, 25, v1
	v_lshlrev_b16 v1, 8, v1
	s_delay_alu instid0(VALU_DEP_1) | instskip(NEXT) | instid1(VALU_DEP_3)
	v_and_or_b32 v5, 0x7f00, v1, 0.5
	v_lshrrev_b32_e32 v3, 4, v2
	v_bfe_i32 v1, v1, 0, 16
	s_delay_alu instid0(VALU_DEP_3) | instskip(NEXT) | instid1(VALU_DEP_3)
	v_add_f32_e32 v5, -0.5, v5
	v_or_b32_e32 v3, 0x70000000, v3
	s_delay_alu instid0(VALU_DEP_1) | instskip(SKIP_1) | instid1(VALU_DEP_2)
	v_mul_f32_e32 v3, 0x7800000, v3
	v_cmp_gt_u32_e32 vcc_lo, 0x8000000, v2
	v_cndmask_b32_e32 v2, v3, v5, vcc_lo
	s_delay_alu instid0(VALU_DEP_1) | instskip(NEXT) | instid1(VALU_DEP_1)
	v_and_or_b32 v1, 0x80000000, v1, v2
	v_cvt_i32_f32_e32 v2, v1
.LBB379_1824:
	s_mov_b32 s18, 0
	s_mov_b32 s19, -1
.LBB379_1825:
	s_and_not1_b32 vcc_lo, exec_lo, s18
	s_mov_b32 s18, 0
	s_cbranch_vccnz .LBB379_1836
; %bb.1826:
	s_cmp_gt_i32 s14, 14
	s_cbranch_scc0 .LBB379_1829
; %bb.1827:
	s_cmp_eq_u32 s14, 15
	s_cbranch_scc0 .LBB379_1832
; %bb.1828:
	s_wait_loadcnt 0x0
	global_load_u16 v1, v[8:9], off
	s_mov_b32 s17, 0
	s_mov_b32 s19, -1
	s_wait_loadcnt 0x0
	v_lshlrev_b32_e32 v1, 16, v1
	s_delay_alu instid0(VALU_DEP_1)
	v_cvt_i32_f32_e32 v2, v1
	s_branch .LBB379_1834
.LBB379_1829:
	s_mov_b32 s18, -1
	s_branch .LBB379_1833
.LBB379_1830:
	s_and_not1_saveexec_b32 s18, s18
	s_cbranch_execz .LBB379_1811
.LBB379_1831:
	v_cmp_ne_u16_e32 vcc_lo, 0, v1
	s_and_not1_b32 s19, s19, exec_lo
	s_and_b32 s20, vcc_lo, exec_lo
	s_delay_alu instid0(SALU_CYCLE_1)
	s_or_b32 s19, s19, s20
	s_or_b32 exec_lo, exec_lo, s18
	v_mov_b32_e32 v2, 0
	s_and_saveexec_b32 s18, s19
	s_cbranch_execnz .LBB379_1812
	s_branch .LBB379_1813
.LBB379_1832:
	s_mov_b32 s17, -1
.LBB379_1833:
                                        ; implicit-def: $vgpr2
.LBB379_1834:
	s_and_b32 vcc_lo, exec_lo, s18
	s_mov_b32 s18, 0
	s_cbranch_vccz .LBB379_1836
; %bb.1835:
	s_cmp_lg_u32 s14, 11
	s_mov_b32 s18, -1
	s_cselect_b32 s17, -1, 0
.LBB379_1836:
	s_delay_alu instid0(SALU_CYCLE_1)
	s_and_b32 vcc_lo, exec_lo, s17
	s_cbranch_vccnz .LBB379_1899
; %bb.1837:
	s_and_not1_b32 vcc_lo, exec_lo, s18
	s_cbranch_vccnz .LBB379_1839
.LBB379_1838:
	s_wait_loadcnt 0x0
	global_load_u8 v1, v[8:9], off
	s_mov_b32 s19, -1
	s_wait_loadcnt 0x0
	v_cmp_ne_u16_e32 vcc_lo, 0, v1
	v_cndmask_b32_e64 v2, 0, 1, vcc_lo
.LBB379_1839:
	s_branch .LBB379_1770
.LBB379_1840:
	s_and_b32 s14, 0xffff, s0
	s_delay_alu instid0(SALU_CYCLE_1)
	s_cmp_lt_i32 s14, 5
	s_cbranch_scc1 .LBB379_1845
; %bb.1841:
	s_cmp_lt_i32 s14, 8
	s_cbranch_scc1 .LBB379_1846
; %bb.1842:
	;; [unrolled: 3-line block ×3, first 2 shown]
	s_cmp_gt_i32 s14, 9
	s_cbranch_scc0 .LBB379_1848
; %bb.1844:
	s_wait_loadcnt 0x0
	global_load_b64 v[2:3], v[8:9], off
	s_mov_b32 s17, 0
	s_wait_loadcnt 0x0
	v_cvt_i32_f64_e32 v2, v[2:3]
	s_branch .LBB379_1849
.LBB379_1845:
	s_mov_b32 s17, -1
                                        ; implicit-def: $vgpr2
	s_branch .LBB379_1867
.LBB379_1846:
	s_mov_b32 s17, -1
                                        ; implicit-def: $vgpr2
	s_branch .LBB379_1855
.LBB379_1847:
	s_mov_b32 s17, -1
                                        ; implicit-def: $vgpr2
	s_branch .LBB379_1852
.LBB379_1848:
	s_mov_b32 s17, -1
                                        ; implicit-def: $vgpr2
.LBB379_1849:
	s_delay_alu instid0(SALU_CYCLE_1)
	s_and_not1_b32 vcc_lo, exec_lo, s17
	s_cbranch_vccnz .LBB379_1851
; %bb.1850:
	s_wait_loadcnt 0x0
	global_load_b32 v1, v[8:9], off
	s_wait_loadcnt 0x0
	v_cvt_i32_f32_e32 v2, v1
.LBB379_1851:
	s_mov_b32 s17, 0
.LBB379_1852:
	s_delay_alu instid0(SALU_CYCLE_1)
	s_and_not1_b32 vcc_lo, exec_lo, s17
	s_cbranch_vccnz .LBB379_1854
; %bb.1853:
	s_wait_loadcnt 0x0
	global_load_b32 v1, v[8:9], off
	s_wait_loadcnt 0x0
	v_cvt_i16_f16_e32 v2, v1
.LBB379_1854:
	s_mov_b32 s17, 0
.LBB379_1855:
	s_delay_alu instid0(SALU_CYCLE_1)
	s_and_not1_b32 vcc_lo, exec_lo, s17
	s_cbranch_vccnz .LBB379_1866
; %bb.1856:
	s_cmp_lt_i32 s14, 6
	s_cbranch_scc1 .LBB379_1859
; %bb.1857:
	s_cmp_gt_i32 s14, 6
	s_cbranch_scc0 .LBB379_1860
; %bb.1858:
	s_wait_loadcnt 0x0
	global_load_b64 v[2:3], v[8:9], off
	s_mov_b32 s17, 0
	s_wait_loadcnt 0x0
	v_cvt_i32_f64_e32 v2, v[2:3]
	s_branch .LBB379_1861
.LBB379_1859:
	s_mov_b32 s17, -1
                                        ; implicit-def: $vgpr2
	s_branch .LBB379_1864
.LBB379_1860:
	s_mov_b32 s17, -1
                                        ; implicit-def: $vgpr2
.LBB379_1861:
	s_delay_alu instid0(SALU_CYCLE_1)
	s_and_not1_b32 vcc_lo, exec_lo, s17
	s_cbranch_vccnz .LBB379_1863
; %bb.1862:
	s_wait_loadcnt 0x0
	global_load_b32 v1, v[8:9], off
	s_wait_loadcnt 0x0
	v_cvt_i32_f32_e32 v2, v1
.LBB379_1863:
	s_mov_b32 s17, 0
.LBB379_1864:
	s_delay_alu instid0(SALU_CYCLE_1)
	s_and_not1_b32 vcc_lo, exec_lo, s17
	s_cbranch_vccnz .LBB379_1866
; %bb.1865:
	s_wait_loadcnt 0x0
	global_load_u16 v1, v[8:9], off
	s_wait_loadcnt 0x0
	v_cvt_i16_f16_e32 v2, v1
.LBB379_1866:
	s_mov_b32 s17, 0
.LBB379_1867:
	s_delay_alu instid0(SALU_CYCLE_1)
	s_and_not1_b32 vcc_lo, exec_lo, s17
	s_cbranch_vccnz .LBB379_1887
; %bb.1868:
	s_cmp_lt_i32 s14, 2
	s_cbranch_scc1 .LBB379_1872
; %bb.1869:
	s_cmp_lt_i32 s14, 3
	s_cbranch_scc1 .LBB379_1873
; %bb.1870:
	s_cmp_gt_i32 s14, 3
	s_cbranch_scc0 .LBB379_1874
; %bb.1871:
	s_wait_loadcnt 0x0
	global_load_b64 v[2:3], v[8:9], off
	s_mov_b32 s17, 0
	s_branch .LBB379_1875
.LBB379_1872:
	s_mov_b32 s17, -1
                                        ; implicit-def: $vgpr2
	s_branch .LBB379_1881
.LBB379_1873:
	s_mov_b32 s17, -1
                                        ; implicit-def: $vgpr2
	s_branch .LBB379_1878
.LBB379_1874:
	s_mov_b32 s17, -1
                                        ; implicit-def: $vgpr2
.LBB379_1875:
	s_delay_alu instid0(SALU_CYCLE_1)
	s_and_not1_b32 vcc_lo, exec_lo, s17
	s_cbranch_vccnz .LBB379_1877
; %bb.1876:
	s_wait_loadcnt 0x0
	global_load_b32 v2, v[8:9], off
.LBB379_1877:
	s_mov_b32 s17, 0
.LBB379_1878:
	s_delay_alu instid0(SALU_CYCLE_1)
	s_and_not1_b32 vcc_lo, exec_lo, s17
	s_cbranch_vccnz .LBB379_1880
; %bb.1879:
	s_wait_loadcnt 0x0
	global_load_u16 v2, v[8:9], off
.LBB379_1880:
	s_mov_b32 s17, 0
.LBB379_1881:
	s_delay_alu instid0(SALU_CYCLE_1)
	s_and_not1_b32 vcc_lo, exec_lo, s17
	s_cbranch_vccnz .LBB379_1887
; %bb.1882:
	s_cmp_gt_i32 s14, 0
	s_mov_b32 s14, 0
	s_cbranch_scc0 .LBB379_1884
; %bb.1883:
	s_wait_loadcnt 0x0
	global_load_u8 v2, v[8:9], off
	s_branch .LBB379_1885
.LBB379_1884:
	s_mov_b32 s14, -1
                                        ; implicit-def: $vgpr2
.LBB379_1885:
	s_delay_alu instid0(SALU_CYCLE_1)
	s_and_not1_b32 vcc_lo, exec_lo, s14
	s_cbranch_vccnz .LBB379_1887
; %bb.1886:
	s_wait_loadcnt 0x0
	global_load_u8 v2, v[8:9], off
.LBB379_1887:
.LBB379_1888:
	s_lshl_b32 s10, s10, 7
	s_cmp_lt_i32 s1, 11
	v_add_nc_u32_e32 v12, s10, v6
	s_delay_alu instid0(VALU_DEP_1) | instskip(NEXT) | instid1(VALU_DEP_1)
	v_ashrrev_i32_e32 v13, 31, v12
	v_add_nc_u64_e32 v[6:7], s[2:3], v[12:13]
	s_cbranch_scc1 .LBB379_1895
; %bb.1889:
	s_and_b32 s14, 0xffff, s1
	s_mov_b32 s18, 0
	s_cmp_gt_i32 s14, 25
	s_cbranch_scc0 .LBB379_1896
; %bb.1890:
	s_cmp_gt_i32 s14, 28
	s_cbranch_scc0 .LBB379_1897
; %bb.1891:
	;; [unrolled: 3-line block ×4, first 2 shown]
	s_cmp_eq_u32 s14, 46
	s_mov_b32 s20, 0
	s_cbranch_scc0 .LBB379_1901
; %bb.1894:
	s_wait_loadcnt 0x0
	global_load_b32 v1, v[6:7], off
	s_mov_b32 s17, 0
	s_mov_b32 s19, -1
	s_wait_loadcnt 0x0
	v_lshlrev_b32_e32 v1, 16, v1
	s_wait_xcnt 0x1
	s_delay_alu instid0(VALU_DEP_1)
	v_cvt_i32_f32_e32 v8, v1
	s_branch .LBB379_1903
.LBB379_1895:
	s_mov_b32 s14, -1
	s_mov_b32 s19, 0
                                        ; implicit-def: $vgpr8
	s_branch .LBB379_1965
.LBB379_1896:
	s_mov_b32 s20, -1
	s_mov_b32 s19, 0
	s_mov_b32 s17, 0
                                        ; implicit-def: $vgpr8
	s_branch .LBB379_1930
.LBB379_1897:
	s_mov_b32 s20, -1
	s_mov_b32 s19, 0
	s_mov_b32 s17, 0
                                        ; implicit-def: $vgpr8
	s_branch .LBB379_1913
.LBB379_1898:
	s_mov_b32 s20, -1
	s_mov_b32 s19, 0
	s_mov_b32 s17, 0
                                        ; implicit-def: $vgpr8
	s_branch .LBB379_1908
.LBB379_1899:
	s_or_b32 s13, s13, exec_lo
	s_trap 2
	s_cbranch_execz .LBB379_1838
	s_branch .LBB379_1839
.LBB379_1900:
	s_mov_b32 s20, -1
	s_mov_b32 s19, 0
	s_mov_b32 s17, 0
	s_branch .LBB379_1902
.LBB379_1901:
	s_mov_b32 s17, -1
	s_mov_b32 s19, 0
.LBB379_1902:
                                        ; implicit-def: $vgpr8
.LBB379_1903:
	s_and_b32 vcc_lo, exec_lo, s20
	s_cbranch_vccz .LBB379_1907
; %bb.1904:
	s_cmp_eq_u32 s14, 44
	s_cbranch_scc0 .LBB379_1906
; %bb.1905:
	s_wait_loadcnt 0x0
	global_load_u8 v1, v[6:7], off
	s_mov_b32 s17, 0
	s_mov_b32 s19, -1
	s_wait_loadcnt 0x0
	v_lshlrev_b32_e32 v3, 23, v1
	v_cmp_ne_u32_e32 vcc_lo, 0, v1
	s_delay_alu instid0(VALU_DEP_2) | instskip(SKIP_1) | instid1(VALU_DEP_1)
	v_cvt_i32_f32_e32 v3, v3
	s_wait_xcnt 0x1
	v_cndmask_b32_e32 v8, 0, v3, vcc_lo
	s_branch .LBB379_1907
.LBB379_1906:
	s_mov_b32 s17, -1
                                        ; implicit-def: $vgpr8
.LBB379_1907:
	s_mov_b32 s20, 0
.LBB379_1908:
	s_delay_alu instid0(SALU_CYCLE_1)
	s_and_b32 vcc_lo, exec_lo, s20
	s_cbranch_vccz .LBB379_1912
; %bb.1909:
	s_cmp_eq_u32 s14, 29
	s_cbranch_scc0 .LBB379_1911
; %bb.1910:
	global_load_b64 v[8:9], v[6:7], off
	s_mov_b32 s17, 0
	s_mov_b32 s19, -1
	s_branch .LBB379_1912
.LBB379_1911:
	s_mov_b32 s17, -1
                                        ; implicit-def: $vgpr8
.LBB379_1912:
	s_mov_b32 s20, 0
.LBB379_1913:
	s_delay_alu instid0(SALU_CYCLE_1)
	s_and_b32 vcc_lo, exec_lo, s20
	s_cbranch_vccz .LBB379_1929
; %bb.1914:
	s_cmp_lt_i32 s14, 27
	s_cbranch_scc1 .LBB379_1917
; %bb.1915:
	s_cmp_gt_i32 s14, 27
	s_cbranch_scc0 .LBB379_1918
; %bb.1916:
	s_wait_loadcnt 0x0
	global_load_b32 v8, v[6:7], off
	s_mov_b32 s19, 0
	s_branch .LBB379_1919
.LBB379_1917:
	s_mov_b32 s19, -1
                                        ; implicit-def: $vgpr8
	s_branch .LBB379_1922
.LBB379_1918:
	s_mov_b32 s19, -1
                                        ; implicit-def: $vgpr8
.LBB379_1919:
	s_delay_alu instid0(SALU_CYCLE_1)
	s_and_not1_b32 vcc_lo, exec_lo, s19
	s_cbranch_vccnz .LBB379_1921
; %bb.1920:
	s_wait_loadcnt 0x0
	global_load_u16 v8, v[6:7], off
.LBB379_1921:
	s_mov_b32 s19, 0
.LBB379_1922:
	s_delay_alu instid0(SALU_CYCLE_1)
	s_and_not1_b32 vcc_lo, exec_lo, s19
	s_cbranch_vccnz .LBB379_1928
; %bb.1923:
	s_wait_loadcnt 0x0
	global_load_u8 v1, v[6:7], off
	s_mov_b32 s20, 0
	s_mov_b32 s19, exec_lo
	s_wait_loadcnt 0x0
	v_cmpx_lt_i16_e32 0x7f, v1
	s_xor_b32 s19, exec_lo, s19
	s_cbranch_execz .LBB379_1940
; %bb.1924:
	v_cmp_ne_u16_e32 vcc_lo, 0x80, v1
	s_and_b32 s20, vcc_lo, exec_lo
	s_and_not1_saveexec_b32 s19, s19
	s_cbranch_execnz .LBB379_1941
.LBB379_1925:
	s_or_b32 exec_lo, exec_lo, s19
	v_mov_b32_e32 v8, 0
	s_and_saveexec_b32 s19, s20
	s_cbranch_execz .LBB379_1927
.LBB379_1926:
	v_and_b32_e32 v3, 0xffff, v1
	s_delay_alu instid0(VALU_DEP_1) | instskip(SKIP_1) | instid1(VALU_DEP_2)
	v_and_b32_e32 v5, 7, v3
	v_bfe_u32 v11, v3, 3, 4
	v_clz_i32_u32_e32 v8, v5
	s_delay_alu instid0(VALU_DEP_2) | instskip(NEXT) | instid1(VALU_DEP_2)
	v_cmp_eq_u32_e32 vcc_lo, 0, v11
	v_min_u32_e32 v8, 32, v8
	s_delay_alu instid0(VALU_DEP_1) | instskip(NEXT) | instid1(VALU_DEP_1)
	v_subrev_nc_u32_e32 v9, 28, v8
	v_dual_lshlrev_b32 v3, v9, v3 :: v_dual_sub_nc_u32 v8, 29, v8
	s_delay_alu instid0(VALU_DEP_1) | instskip(NEXT) | instid1(VALU_DEP_1)
	v_dual_lshlrev_b32 v1, 24, v1 :: v_dual_bitop2_b32 v3, 7, v3 bitop3:0x40
	v_dual_cndmask_b32 v8, v11, v8 :: v_dual_cndmask_b32 v3, v5, v3
	s_delay_alu instid0(VALU_DEP_2) | instskip(NEXT) | instid1(VALU_DEP_2)
	v_and_b32_e32 v1, 0x80000000, v1
	v_lshl_add_u32 v5, v8, 23, 0x3b800000
	s_delay_alu instid0(VALU_DEP_3) | instskip(NEXT) | instid1(VALU_DEP_1)
	v_lshlrev_b32_e32 v3, 20, v3
	v_or3_b32 v1, v1, v5, v3
	s_delay_alu instid0(VALU_DEP_1)
	v_cvt_i32_f32_e32 v8, v1
.LBB379_1927:
	s_or_b32 exec_lo, exec_lo, s19
.LBB379_1928:
	s_mov_b32 s19, -1
.LBB379_1929:
	s_mov_b32 s20, 0
.LBB379_1930:
	s_delay_alu instid0(SALU_CYCLE_1)
	s_and_b32 vcc_lo, exec_lo, s20
	s_cbranch_vccz .LBB379_1961
; %bb.1931:
	s_cmp_gt_i32 s14, 22
	s_cbranch_scc0 .LBB379_1939
; %bb.1932:
	s_cmp_lt_i32 s14, 24
	s_cbranch_scc1 .LBB379_1942
; %bb.1933:
	s_cmp_gt_i32 s14, 24
	s_cbranch_scc0 .LBB379_1943
; %bb.1934:
	s_wait_loadcnt 0x0
	global_load_u8 v1, v[6:7], off
	s_mov_b32 s19, 0
	s_mov_b32 s18, exec_lo
	s_wait_loadcnt 0x0
	v_cmpx_lt_i16_e32 0x7f, v1
	s_xor_b32 s18, exec_lo, s18
	s_cbranch_execz .LBB379_1955
; %bb.1935:
	v_cmp_ne_u16_e32 vcc_lo, 0x80, v1
	s_and_b32 s19, vcc_lo, exec_lo
	s_and_not1_saveexec_b32 s18, s18
	s_cbranch_execnz .LBB379_1956
.LBB379_1936:
	s_or_b32 exec_lo, exec_lo, s18
	v_mov_b32_e32 v8, 0
	s_and_saveexec_b32 s18, s19
	s_cbranch_execz .LBB379_1938
.LBB379_1937:
	v_and_b32_e32 v3, 0xffff, v1
	s_delay_alu instid0(VALU_DEP_1) | instskip(SKIP_1) | instid1(VALU_DEP_2)
	v_and_b32_e32 v5, 3, v3
	v_bfe_u32 v11, v3, 2, 5
	v_clz_i32_u32_e32 v8, v5
	s_delay_alu instid0(VALU_DEP_2) | instskip(NEXT) | instid1(VALU_DEP_2)
	v_cmp_eq_u32_e32 vcc_lo, 0, v11
	v_min_u32_e32 v8, 32, v8
	s_delay_alu instid0(VALU_DEP_1) | instskip(NEXT) | instid1(VALU_DEP_1)
	v_subrev_nc_u32_e32 v9, 29, v8
	v_dual_lshlrev_b32 v3, v9, v3 :: v_dual_sub_nc_u32 v8, 30, v8
	s_delay_alu instid0(VALU_DEP_1) | instskip(NEXT) | instid1(VALU_DEP_1)
	v_dual_lshlrev_b32 v1, 24, v1 :: v_dual_bitop2_b32 v3, 3, v3 bitop3:0x40
	v_dual_cndmask_b32 v8, v11, v8 :: v_dual_cndmask_b32 v3, v5, v3
	s_delay_alu instid0(VALU_DEP_2) | instskip(NEXT) | instid1(VALU_DEP_2)
	v_and_b32_e32 v1, 0x80000000, v1
	v_lshl_add_u32 v5, v8, 23, 0x37800000
	s_delay_alu instid0(VALU_DEP_3) | instskip(NEXT) | instid1(VALU_DEP_1)
	v_lshlrev_b32_e32 v3, 21, v3
	v_or3_b32 v1, v1, v5, v3
	s_delay_alu instid0(VALU_DEP_1)
	v_cvt_i32_f32_e32 v8, v1
.LBB379_1938:
	s_or_b32 exec_lo, exec_lo, s18
	s_mov_b32 s18, 0
	s_branch .LBB379_1944
.LBB379_1939:
	s_mov_b32 s18, -1
                                        ; implicit-def: $vgpr8
	s_branch .LBB379_1950
.LBB379_1940:
	s_and_not1_saveexec_b32 s19, s19
	s_cbranch_execz .LBB379_1925
.LBB379_1941:
	v_cmp_ne_u16_e32 vcc_lo, 0, v1
	s_and_not1_b32 s20, s20, exec_lo
	s_and_b32 s21, vcc_lo, exec_lo
	s_delay_alu instid0(SALU_CYCLE_1)
	s_or_b32 s20, s20, s21
	s_or_b32 exec_lo, exec_lo, s19
	v_mov_b32_e32 v8, 0
	s_and_saveexec_b32 s19, s20
	s_cbranch_execnz .LBB379_1926
	s_branch .LBB379_1927
.LBB379_1942:
	s_mov_b32 s18, -1
                                        ; implicit-def: $vgpr8
	s_branch .LBB379_1947
.LBB379_1943:
	s_mov_b32 s18, -1
                                        ; implicit-def: $vgpr8
.LBB379_1944:
	s_delay_alu instid0(SALU_CYCLE_1)
	s_and_b32 vcc_lo, exec_lo, s18
	s_cbranch_vccz .LBB379_1946
; %bb.1945:
	s_wait_loadcnt 0x0
	global_load_u8 v1, v[6:7], off
	s_wait_loadcnt 0x0
	v_lshlrev_b32_e32 v1, 24, v1
	s_delay_alu instid0(VALU_DEP_1) | instskip(NEXT) | instid1(VALU_DEP_1)
	v_and_b32_e32 v3, 0x7f000000, v1
	v_clz_i32_u32_e32 v5, v3
	s_wait_xcnt 0x1
	v_add_nc_u32_e32 v9, 0x1000000, v3
	v_cmp_ne_u32_e32 vcc_lo, 0, v3
	s_delay_alu instid0(VALU_DEP_3) | instskip(NEXT) | instid1(VALU_DEP_1)
	v_min_u32_e32 v5, 32, v5
	v_sub_nc_u32_e64 v5, v5, 4 clamp
	s_delay_alu instid0(VALU_DEP_1) | instskip(NEXT) | instid1(VALU_DEP_1)
	v_dual_lshlrev_b32 v8, v5, v3 :: v_dual_lshlrev_b32 v5, 23, v5
	v_lshrrev_b32_e32 v8, 4, v8
	s_delay_alu instid0(VALU_DEP_1) | instskip(SKIP_1) | instid1(VALU_DEP_2)
	v_sub_nc_u32_e32 v5, v8, v5
	v_ashrrev_i32_e32 v8, 8, v9
	v_add_nc_u32_e32 v5, 0x3c000000, v5
	s_delay_alu instid0(VALU_DEP_1) | instskip(NEXT) | instid1(VALU_DEP_1)
	v_and_or_b32 v5, 0x7f800000, v8, v5
	v_cndmask_b32_e32 v3, 0, v5, vcc_lo
	s_delay_alu instid0(VALU_DEP_1) | instskip(NEXT) | instid1(VALU_DEP_1)
	v_and_or_b32 v1, 0x80000000, v1, v3
	v_cvt_i32_f32_e32 v8, v1
.LBB379_1946:
	s_mov_b32 s18, 0
.LBB379_1947:
	s_delay_alu instid0(SALU_CYCLE_1)
	s_and_not1_b32 vcc_lo, exec_lo, s18
	s_cbranch_vccnz .LBB379_1949
; %bb.1948:
	s_wait_loadcnt 0x0
	global_load_u8 v1, v[6:7], off
	s_wait_loadcnt 0x0
	v_lshlrev_b32_e32 v3, 25, v1
	v_lshlrev_b16 v1, 8, v1
	s_wait_xcnt 0x1
	s_delay_alu instid0(VALU_DEP_1) | instskip(SKIP_1) | instid1(VALU_DEP_2)
	v_and_or_b32 v8, 0x7f00, v1, 0.5
	v_bfe_i32 v1, v1, 0, 16
	v_dual_add_f32 v8, -0.5, v8 :: v_dual_lshrrev_b32 v5, 4, v3
	v_cmp_gt_u32_e32 vcc_lo, 0x8000000, v3
	s_delay_alu instid0(VALU_DEP_2) | instskip(NEXT) | instid1(VALU_DEP_1)
	v_or_b32_e32 v5, 0x70000000, v5
	v_mul_f32_e32 v5, 0x7800000, v5
	s_delay_alu instid0(VALU_DEP_1) | instskip(NEXT) | instid1(VALU_DEP_1)
	v_cndmask_b32_e32 v3, v5, v8, vcc_lo
	v_and_or_b32 v1, 0x80000000, v1, v3
	s_delay_alu instid0(VALU_DEP_1)
	v_cvt_i32_f32_e32 v8, v1
.LBB379_1949:
	s_mov_b32 s18, 0
	s_mov_b32 s19, -1
.LBB379_1950:
	s_and_not1_b32 vcc_lo, exec_lo, s18
	s_mov_b32 s18, 0
	s_cbranch_vccnz .LBB379_1961
; %bb.1951:
	s_cmp_gt_i32 s14, 14
	s_cbranch_scc0 .LBB379_1954
; %bb.1952:
	s_cmp_eq_u32 s14, 15
	s_cbranch_scc0 .LBB379_1957
; %bb.1953:
	s_wait_loadcnt 0x0
	global_load_u16 v1, v[6:7], off
	s_mov_b32 s17, 0
	s_mov_b32 s19, -1
	s_wait_loadcnt 0x0
	v_lshlrev_b32_e32 v1, 16, v1
	s_wait_xcnt 0x1
	s_delay_alu instid0(VALU_DEP_1)
	v_cvt_i32_f32_e32 v8, v1
	s_branch .LBB379_1959
.LBB379_1954:
	s_mov_b32 s18, -1
	s_branch .LBB379_1958
.LBB379_1955:
	s_and_not1_saveexec_b32 s18, s18
	s_cbranch_execz .LBB379_1936
.LBB379_1956:
	v_cmp_ne_u16_e32 vcc_lo, 0, v1
	s_and_not1_b32 s19, s19, exec_lo
	s_and_b32 s20, vcc_lo, exec_lo
	s_delay_alu instid0(SALU_CYCLE_1)
	s_or_b32 s19, s19, s20
	s_or_b32 exec_lo, exec_lo, s18
	v_mov_b32_e32 v8, 0
	s_and_saveexec_b32 s18, s19
	s_cbranch_execnz .LBB379_1937
	s_branch .LBB379_1938
.LBB379_1957:
	s_mov_b32 s17, -1
.LBB379_1958:
                                        ; implicit-def: $vgpr8
.LBB379_1959:
	s_and_b32 vcc_lo, exec_lo, s18
	s_mov_b32 s18, 0
	s_cbranch_vccz .LBB379_1961
; %bb.1960:
	s_cmp_lg_u32 s14, 11
	s_mov_b32 s18, -1
	s_cselect_b32 s17, -1, 0
.LBB379_1961:
	s_delay_alu instid0(SALU_CYCLE_1)
	s_and_b32 vcc_lo, exec_lo, s17
	s_cbranch_vccnz .LBB379_2026
; %bb.1962:
	s_and_not1_b32 vcc_lo, exec_lo, s18
	s_cbranch_vccnz .LBB379_1964
.LBB379_1963:
	s_wait_loadcnt 0x0
	global_load_u8 v1, v[6:7], off
	s_mov_b32 s19, -1
	s_wait_loadcnt 0x0
	v_cmp_ne_u16_e32 vcc_lo, 0, v1
	s_wait_xcnt 0x1
	v_cndmask_b32_e64 v8, 0, 1, vcc_lo
.LBB379_1964:
	s_mov_b32 s14, 0
.LBB379_1965:
	s_delay_alu instid0(SALU_CYCLE_1)
	s_and_b32 vcc_lo, exec_lo, s14
	s_cbranch_vccz .LBB379_2014
; %bb.1966:
	s_and_b32 s14, 0xffff, s1
	s_delay_alu instid0(SALU_CYCLE_1)
	s_cmp_lt_i32 s14, 5
	s_cbranch_scc1 .LBB379_1971
; %bb.1967:
	s_cmp_lt_i32 s14, 8
	s_cbranch_scc1 .LBB379_1972
; %bb.1968:
	;; [unrolled: 3-line block ×3, first 2 shown]
	s_cmp_gt_i32 s14, 9
	s_cbranch_scc0 .LBB379_1974
; %bb.1970:
	s_wait_loadcnt 0x0
	global_load_b64 v[8:9], v[6:7], off
	s_mov_b32 s17, 0
	s_wait_loadcnt 0x0
	v_cvt_i32_f64_e32 v8, v[8:9]
	s_branch .LBB379_1975
.LBB379_1971:
	s_mov_b32 s17, -1
                                        ; implicit-def: $vgpr8
	s_branch .LBB379_1993
.LBB379_1972:
	s_mov_b32 s17, -1
                                        ; implicit-def: $vgpr8
	s_branch .LBB379_1981
.LBB379_1973:
	s_mov_b32 s17, -1
                                        ; implicit-def: $vgpr8
	s_branch .LBB379_1978
.LBB379_1974:
	s_mov_b32 s17, -1
                                        ; implicit-def: $vgpr8
.LBB379_1975:
	s_delay_alu instid0(SALU_CYCLE_1)
	s_and_not1_b32 vcc_lo, exec_lo, s17
	s_cbranch_vccnz .LBB379_1977
; %bb.1976:
	s_wait_loadcnt 0x0
	global_load_b32 v1, v[6:7], off
	s_wait_loadcnt 0x0
	s_wait_xcnt 0x1
	v_cvt_i32_f32_e32 v8, v1
.LBB379_1977:
	s_mov_b32 s17, 0
.LBB379_1978:
	s_delay_alu instid0(SALU_CYCLE_1)
	s_and_not1_b32 vcc_lo, exec_lo, s17
	s_cbranch_vccnz .LBB379_1980
; %bb.1979:
	s_wait_loadcnt 0x0
	global_load_b32 v1, v[6:7], off
	s_wait_loadcnt 0x0
	s_wait_xcnt 0x1
	v_cvt_i16_f16_e32 v8, v1
.LBB379_1980:
	s_mov_b32 s17, 0
.LBB379_1981:
	s_delay_alu instid0(SALU_CYCLE_1)
	s_and_not1_b32 vcc_lo, exec_lo, s17
	s_cbranch_vccnz .LBB379_1992
; %bb.1982:
	s_cmp_lt_i32 s14, 6
	s_cbranch_scc1 .LBB379_1985
; %bb.1983:
	s_cmp_gt_i32 s14, 6
	s_cbranch_scc0 .LBB379_1986
; %bb.1984:
	s_wait_loadcnt 0x0
	global_load_b64 v[8:9], v[6:7], off
	s_mov_b32 s17, 0
	s_wait_loadcnt 0x0
	v_cvt_i32_f64_e32 v8, v[8:9]
	s_branch .LBB379_1987
.LBB379_1985:
	s_mov_b32 s17, -1
                                        ; implicit-def: $vgpr8
	s_branch .LBB379_1990
.LBB379_1986:
	s_mov_b32 s17, -1
                                        ; implicit-def: $vgpr8
.LBB379_1987:
	s_delay_alu instid0(SALU_CYCLE_1)
	s_and_not1_b32 vcc_lo, exec_lo, s17
	s_cbranch_vccnz .LBB379_1989
; %bb.1988:
	s_wait_loadcnt 0x0
	global_load_b32 v1, v[6:7], off
	s_wait_loadcnt 0x0
	s_wait_xcnt 0x1
	v_cvt_i32_f32_e32 v8, v1
.LBB379_1989:
	s_mov_b32 s17, 0
.LBB379_1990:
	s_delay_alu instid0(SALU_CYCLE_1)
	s_and_not1_b32 vcc_lo, exec_lo, s17
	s_cbranch_vccnz .LBB379_1992
; %bb.1991:
	s_wait_loadcnt 0x0
	global_load_u16 v1, v[6:7], off
	s_wait_loadcnt 0x0
	s_wait_xcnt 0x1
	v_cvt_i16_f16_e32 v8, v1
.LBB379_1992:
	s_mov_b32 s17, 0
.LBB379_1993:
	s_delay_alu instid0(SALU_CYCLE_1)
	s_and_not1_b32 vcc_lo, exec_lo, s17
	s_cbranch_vccnz .LBB379_2013
; %bb.1994:
	s_cmp_lt_i32 s14, 2
	s_cbranch_scc1 .LBB379_1998
; %bb.1995:
	s_cmp_lt_i32 s14, 3
	s_cbranch_scc1 .LBB379_1999
; %bb.1996:
	s_cmp_gt_i32 s14, 3
	s_cbranch_scc0 .LBB379_2000
; %bb.1997:
	s_wait_loadcnt 0x0
	global_load_b64 v[8:9], v[6:7], off
	s_mov_b32 s17, 0
	s_branch .LBB379_2001
.LBB379_1998:
	s_mov_b32 s17, -1
                                        ; implicit-def: $vgpr8
	s_branch .LBB379_2007
.LBB379_1999:
	s_mov_b32 s17, -1
                                        ; implicit-def: $vgpr8
	s_branch .LBB379_2004
.LBB379_2000:
	s_mov_b32 s17, -1
                                        ; implicit-def: $vgpr8
.LBB379_2001:
	s_delay_alu instid0(SALU_CYCLE_1)
	s_and_not1_b32 vcc_lo, exec_lo, s17
	s_cbranch_vccnz .LBB379_2003
; %bb.2002:
	s_wait_loadcnt 0x0
	global_load_b32 v8, v[6:7], off
.LBB379_2003:
	s_mov_b32 s17, 0
.LBB379_2004:
	s_delay_alu instid0(SALU_CYCLE_1)
	s_and_not1_b32 vcc_lo, exec_lo, s17
	s_cbranch_vccnz .LBB379_2006
; %bb.2005:
	s_wait_loadcnt 0x0
	global_load_u16 v8, v[6:7], off
.LBB379_2006:
	s_mov_b32 s17, 0
.LBB379_2007:
	s_delay_alu instid0(SALU_CYCLE_1)
	s_and_not1_b32 vcc_lo, exec_lo, s17
	s_cbranch_vccnz .LBB379_2013
; %bb.2008:
	s_cmp_gt_i32 s14, 0
	s_mov_b32 s14, 0
	s_cbranch_scc0 .LBB379_2010
; %bb.2009:
	s_wait_loadcnt 0x0
	global_load_u8 v8, v[6:7], off
	s_branch .LBB379_2011
.LBB379_2010:
	s_mov_b32 s14, -1
                                        ; implicit-def: $vgpr8
.LBB379_2011:
	s_delay_alu instid0(SALU_CYCLE_1)
	s_and_not1_b32 vcc_lo, exec_lo, s14
	s_cbranch_vccnz .LBB379_2013
; %bb.2012:
	s_wait_loadcnt 0x0
	global_load_u8 v8, v[6:7], off
.LBB379_2013:
	s_mov_b32 s19, -1
.LBB379_2014:
	s_delay_alu instid0(SALU_CYCLE_1)
	s_and_not1_b32 vcc_lo, exec_lo, s19
	s_cbranch_vccnz .LBB379_2957
; %bb.2015:
	v_add_nc_u32_e32 v10, s9, v10
	s_cmp_lt_i32 s0, 11
	s_delay_alu instid0(VALU_DEP_1) | instskip(NEXT) | instid1(VALU_DEP_1)
	v_ashrrev_i32_e32 v11, 31, v10
	v_add_nc_u64_e32 v[14:15], s[6:7], v[10:11]
	s_cbranch_scc1 .LBB379_2022
; %bb.2016:
	s_and_b32 s14, 0xffff, s0
	s_mov_b32 s18, 0
	s_cmp_gt_i32 s14, 25
	s_cbranch_scc0 .LBB379_2023
; %bb.2017:
	s_cmp_gt_i32 s14, 28
	s_cbranch_scc0 .LBB379_2024
; %bb.2018:
	;; [unrolled: 3-line block ×4, first 2 shown]
	s_cmp_eq_u32 s14, 46
	s_mov_b32 s20, 0
	s_cbranch_scc0 .LBB379_2028
; %bb.2021:
	s_wait_loadcnt 0x0
	global_load_b32 v1, v[14:15], off
	s_mov_b32 s17, 0
	s_mov_b32 s19, -1
	s_wait_loadcnt 0x0
	v_lshlrev_b32_e32 v1, 16, v1
	s_wait_xcnt 0x1
	s_delay_alu instid0(VALU_DEP_1)
	v_cvt_i32_f32_e32 v6, v1
	s_branch .LBB379_2030
.LBB379_2022:
	s_mov_b32 s14, -1
	s_mov_b32 s19, 0
                                        ; implicit-def: $vgpr6
	s_branch .LBB379_2092
.LBB379_2023:
	s_mov_b32 s20, -1
	s_mov_b32 s19, 0
	s_mov_b32 s17, 0
                                        ; implicit-def: $vgpr6
	s_branch .LBB379_2057
.LBB379_2024:
	s_mov_b32 s20, -1
	s_mov_b32 s19, 0
	s_mov_b32 s17, 0
                                        ; implicit-def: $vgpr6
	s_branch .LBB379_2040
.LBB379_2025:
	s_mov_b32 s20, -1
	s_mov_b32 s19, 0
	s_mov_b32 s17, 0
                                        ; implicit-def: $vgpr6
	s_branch .LBB379_2035
.LBB379_2026:
	s_or_b32 s13, s13, exec_lo
	s_trap 2
	s_cbranch_execz .LBB379_1963
	s_branch .LBB379_1964
.LBB379_2027:
	s_mov_b32 s20, -1
	s_mov_b32 s19, 0
	s_mov_b32 s17, 0
	s_branch .LBB379_2029
.LBB379_2028:
	s_mov_b32 s17, -1
	s_mov_b32 s19, 0
.LBB379_2029:
                                        ; implicit-def: $vgpr6
.LBB379_2030:
	s_and_b32 vcc_lo, exec_lo, s20
	s_cbranch_vccz .LBB379_2034
; %bb.2031:
	s_cmp_eq_u32 s14, 44
	s_cbranch_scc0 .LBB379_2033
; %bb.2032:
	s_wait_loadcnt 0x0
	global_load_u8 v1, v[14:15], off
	s_mov_b32 s17, 0
	s_mov_b32 s19, -1
	s_wait_loadcnt 0x0
	v_lshlrev_b32_e32 v3, 23, v1
	v_cmp_ne_u32_e32 vcc_lo, 0, v1
	s_delay_alu instid0(VALU_DEP_2) | instskip(SKIP_1) | instid1(VALU_DEP_1)
	v_cvt_i32_f32_e32 v3, v3
	s_wait_xcnt 0x1
	v_cndmask_b32_e32 v6, 0, v3, vcc_lo
	s_branch .LBB379_2034
.LBB379_2033:
	s_mov_b32 s17, -1
                                        ; implicit-def: $vgpr6
.LBB379_2034:
	s_mov_b32 s20, 0
.LBB379_2035:
	s_delay_alu instid0(SALU_CYCLE_1)
	s_and_b32 vcc_lo, exec_lo, s20
	s_cbranch_vccz .LBB379_2039
; %bb.2036:
	s_cmp_eq_u32 s14, 29
	s_cbranch_scc0 .LBB379_2038
; %bb.2037:
	global_load_b64 v[6:7], v[14:15], off
	s_mov_b32 s17, 0
	s_mov_b32 s19, -1
	s_branch .LBB379_2039
.LBB379_2038:
	s_mov_b32 s17, -1
                                        ; implicit-def: $vgpr6
.LBB379_2039:
	s_mov_b32 s20, 0
.LBB379_2040:
	s_delay_alu instid0(SALU_CYCLE_1)
	s_and_b32 vcc_lo, exec_lo, s20
	s_cbranch_vccz .LBB379_2056
; %bb.2041:
	s_cmp_lt_i32 s14, 27
	s_cbranch_scc1 .LBB379_2044
; %bb.2042:
	s_cmp_gt_i32 s14, 27
	s_cbranch_scc0 .LBB379_2045
; %bb.2043:
	s_wait_loadcnt 0x0
	global_load_b32 v6, v[14:15], off
	s_mov_b32 s19, 0
	s_branch .LBB379_2046
.LBB379_2044:
	s_mov_b32 s19, -1
                                        ; implicit-def: $vgpr6
	s_branch .LBB379_2049
.LBB379_2045:
	s_mov_b32 s19, -1
                                        ; implicit-def: $vgpr6
.LBB379_2046:
	s_delay_alu instid0(SALU_CYCLE_1)
	s_and_not1_b32 vcc_lo, exec_lo, s19
	s_cbranch_vccnz .LBB379_2048
; %bb.2047:
	s_wait_loadcnt 0x0
	global_load_u16 v6, v[14:15], off
.LBB379_2048:
	s_mov_b32 s19, 0
.LBB379_2049:
	s_delay_alu instid0(SALU_CYCLE_1)
	s_and_not1_b32 vcc_lo, exec_lo, s19
	s_cbranch_vccnz .LBB379_2055
; %bb.2050:
	s_wait_loadcnt 0x0
	global_load_u8 v1, v[14:15], off
	s_mov_b32 s20, 0
	s_mov_b32 s19, exec_lo
	s_wait_loadcnt 0x0
	v_cmpx_lt_i16_e32 0x7f, v1
	s_xor_b32 s19, exec_lo, s19
	s_cbranch_execz .LBB379_2067
; %bb.2051:
	v_cmp_ne_u16_e32 vcc_lo, 0x80, v1
	s_and_b32 s20, vcc_lo, exec_lo
	s_and_not1_saveexec_b32 s19, s19
	s_cbranch_execnz .LBB379_2068
.LBB379_2052:
	s_or_b32 exec_lo, exec_lo, s19
	v_mov_b32_e32 v6, 0
	s_and_saveexec_b32 s19, s20
	s_cbranch_execz .LBB379_2054
.LBB379_2053:
	v_and_b32_e32 v3, 0xffff, v1
	s_delay_alu instid0(VALU_DEP_1) | instskip(SKIP_1) | instid1(VALU_DEP_2)
	v_and_b32_e32 v5, 7, v3
	v_bfe_u32 v9, v3, 3, 4
	v_clz_i32_u32_e32 v6, v5
	s_delay_alu instid0(VALU_DEP_2) | instskip(NEXT) | instid1(VALU_DEP_2)
	v_cmp_eq_u32_e32 vcc_lo, 0, v9
	v_min_u32_e32 v6, 32, v6
	s_delay_alu instid0(VALU_DEP_1) | instskip(NEXT) | instid1(VALU_DEP_1)
	v_subrev_nc_u32_e32 v7, 28, v6
	v_dual_lshlrev_b32 v3, v7, v3 :: v_dual_sub_nc_u32 v6, 29, v6
	s_delay_alu instid0(VALU_DEP_1) | instskip(NEXT) | instid1(VALU_DEP_2)
	v_dual_lshlrev_b32 v1, 24, v1 :: v_dual_bitop2_b32 v3, 7, v3 bitop3:0x40
	v_cndmask_b32_e32 v6, v9, v6, vcc_lo
	s_delay_alu instid0(VALU_DEP_2) | instskip(NEXT) | instid1(VALU_DEP_3)
	v_cndmask_b32_e32 v3, v5, v3, vcc_lo
	v_and_b32_e32 v1, 0x80000000, v1
	s_delay_alu instid0(VALU_DEP_3) | instskip(NEXT) | instid1(VALU_DEP_3)
	v_lshl_add_u32 v5, v6, 23, 0x3b800000
	v_lshlrev_b32_e32 v3, 20, v3
	s_delay_alu instid0(VALU_DEP_1) | instskip(NEXT) | instid1(VALU_DEP_1)
	v_or3_b32 v1, v1, v5, v3
	v_cvt_i32_f32_e32 v6, v1
.LBB379_2054:
	s_or_b32 exec_lo, exec_lo, s19
.LBB379_2055:
	s_mov_b32 s19, -1
.LBB379_2056:
	s_mov_b32 s20, 0
.LBB379_2057:
	s_delay_alu instid0(SALU_CYCLE_1)
	s_and_b32 vcc_lo, exec_lo, s20
	s_cbranch_vccz .LBB379_2088
; %bb.2058:
	s_cmp_gt_i32 s14, 22
	s_cbranch_scc0 .LBB379_2066
; %bb.2059:
	s_cmp_lt_i32 s14, 24
	s_cbranch_scc1 .LBB379_2069
; %bb.2060:
	s_cmp_gt_i32 s14, 24
	s_cbranch_scc0 .LBB379_2070
; %bb.2061:
	s_wait_loadcnt 0x0
	global_load_u8 v1, v[14:15], off
	s_mov_b32 s19, 0
	s_mov_b32 s18, exec_lo
	s_wait_loadcnt 0x0
	v_cmpx_lt_i16_e32 0x7f, v1
	s_xor_b32 s18, exec_lo, s18
	s_cbranch_execz .LBB379_2082
; %bb.2062:
	v_cmp_ne_u16_e32 vcc_lo, 0x80, v1
	s_and_b32 s19, vcc_lo, exec_lo
	s_and_not1_saveexec_b32 s18, s18
	s_cbranch_execnz .LBB379_2083
.LBB379_2063:
	s_or_b32 exec_lo, exec_lo, s18
	v_mov_b32_e32 v6, 0
	s_and_saveexec_b32 s18, s19
	s_cbranch_execz .LBB379_2065
.LBB379_2064:
	v_and_b32_e32 v3, 0xffff, v1
	s_delay_alu instid0(VALU_DEP_1) | instskip(SKIP_1) | instid1(VALU_DEP_2)
	v_and_b32_e32 v5, 3, v3
	v_bfe_u32 v9, v3, 2, 5
	v_clz_i32_u32_e32 v6, v5
	s_delay_alu instid0(VALU_DEP_2) | instskip(NEXT) | instid1(VALU_DEP_2)
	v_cmp_eq_u32_e32 vcc_lo, 0, v9
	v_min_u32_e32 v6, 32, v6
	s_delay_alu instid0(VALU_DEP_1) | instskip(NEXT) | instid1(VALU_DEP_1)
	v_subrev_nc_u32_e32 v7, 29, v6
	v_dual_lshlrev_b32 v3, v7, v3 :: v_dual_sub_nc_u32 v6, 30, v6
	s_delay_alu instid0(VALU_DEP_1) | instskip(NEXT) | instid1(VALU_DEP_2)
	v_dual_lshlrev_b32 v1, 24, v1 :: v_dual_bitop2_b32 v3, 3, v3 bitop3:0x40
	v_cndmask_b32_e32 v6, v9, v6, vcc_lo
	s_delay_alu instid0(VALU_DEP_2) | instskip(NEXT) | instid1(VALU_DEP_3)
	v_cndmask_b32_e32 v3, v5, v3, vcc_lo
	v_and_b32_e32 v1, 0x80000000, v1
	s_delay_alu instid0(VALU_DEP_3) | instskip(NEXT) | instid1(VALU_DEP_3)
	v_lshl_add_u32 v5, v6, 23, 0x37800000
	v_lshlrev_b32_e32 v3, 21, v3
	s_delay_alu instid0(VALU_DEP_1) | instskip(NEXT) | instid1(VALU_DEP_1)
	v_or3_b32 v1, v1, v5, v3
	v_cvt_i32_f32_e32 v6, v1
.LBB379_2065:
	s_or_b32 exec_lo, exec_lo, s18
	s_mov_b32 s18, 0
	s_branch .LBB379_2071
.LBB379_2066:
	s_mov_b32 s18, -1
                                        ; implicit-def: $vgpr6
	s_branch .LBB379_2077
.LBB379_2067:
	s_and_not1_saveexec_b32 s19, s19
	s_cbranch_execz .LBB379_2052
.LBB379_2068:
	v_cmp_ne_u16_e32 vcc_lo, 0, v1
	s_and_not1_b32 s20, s20, exec_lo
	s_and_b32 s21, vcc_lo, exec_lo
	s_delay_alu instid0(SALU_CYCLE_1)
	s_or_b32 s20, s20, s21
	s_or_b32 exec_lo, exec_lo, s19
	v_mov_b32_e32 v6, 0
	s_and_saveexec_b32 s19, s20
	s_cbranch_execnz .LBB379_2053
	s_branch .LBB379_2054
.LBB379_2069:
	s_mov_b32 s18, -1
                                        ; implicit-def: $vgpr6
	s_branch .LBB379_2074
.LBB379_2070:
	s_mov_b32 s18, -1
                                        ; implicit-def: $vgpr6
.LBB379_2071:
	s_delay_alu instid0(SALU_CYCLE_1)
	s_and_b32 vcc_lo, exec_lo, s18
	s_cbranch_vccz .LBB379_2073
; %bb.2072:
	s_wait_loadcnt 0x0
	global_load_u8 v1, v[14:15], off
	s_wait_loadcnt 0x0
	v_lshlrev_b32_e32 v1, 24, v1
	s_delay_alu instid0(VALU_DEP_1) | instskip(NEXT) | instid1(VALU_DEP_1)
	v_and_b32_e32 v3, 0x7f000000, v1
	v_clz_i32_u32_e32 v5, v3
	s_wait_xcnt 0x1
	v_add_nc_u32_e32 v7, 0x1000000, v3
	v_cmp_ne_u32_e32 vcc_lo, 0, v3
	s_delay_alu instid0(VALU_DEP_3) | instskip(NEXT) | instid1(VALU_DEP_1)
	v_min_u32_e32 v5, 32, v5
	v_sub_nc_u32_e64 v5, v5, 4 clamp
	s_delay_alu instid0(VALU_DEP_1) | instskip(NEXT) | instid1(VALU_DEP_1)
	v_dual_lshlrev_b32 v6, v5, v3 :: v_dual_lshlrev_b32 v5, 23, v5
	v_lshrrev_b32_e32 v6, 4, v6
	s_delay_alu instid0(VALU_DEP_1) | instskip(NEXT) | instid1(VALU_DEP_1)
	v_dual_sub_nc_u32 v5, v6, v5 :: v_dual_ashrrev_i32 v6, 8, v7
	v_add_nc_u32_e32 v5, 0x3c000000, v5
	s_delay_alu instid0(VALU_DEP_1) | instskip(NEXT) | instid1(VALU_DEP_1)
	v_and_or_b32 v5, 0x7f800000, v6, v5
	v_cndmask_b32_e32 v3, 0, v5, vcc_lo
	s_delay_alu instid0(VALU_DEP_1) | instskip(NEXT) | instid1(VALU_DEP_1)
	v_and_or_b32 v1, 0x80000000, v1, v3
	v_cvt_i32_f32_e32 v6, v1
.LBB379_2073:
	s_mov_b32 s18, 0
.LBB379_2074:
	s_delay_alu instid0(SALU_CYCLE_1)
	s_and_not1_b32 vcc_lo, exec_lo, s18
	s_cbranch_vccnz .LBB379_2076
; %bb.2075:
	s_wait_loadcnt 0x0
	global_load_u8 v1, v[14:15], off
	s_wait_loadcnt 0x0
	v_lshlrev_b32_e32 v3, 25, v1
	v_lshlrev_b16 v1, 8, v1
	s_wait_xcnt 0x1
	s_delay_alu instid0(VALU_DEP_1) | instskip(SKIP_1) | instid1(VALU_DEP_2)
	v_and_or_b32 v6, 0x7f00, v1, 0.5
	v_bfe_i32 v1, v1, 0, 16
	v_dual_add_f32 v6, -0.5, v6 :: v_dual_lshrrev_b32 v5, 4, v3
	v_cmp_gt_u32_e32 vcc_lo, 0x8000000, v3
	s_delay_alu instid0(VALU_DEP_2) | instskip(NEXT) | instid1(VALU_DEP_1)
	v_or_b32_e32 v5, 0x70000000, v5
	v_mul_f32_e32 v5, 0x7800000, v5
	s_delay_alu instid0(VALU_DEP_1) | instskip(NEXT) | instid1(VALU_DEP_1)
	v_cndmask_b32_e32 v3, v5, v6, vcc_lo
	v_and_or_b32 v1, 0x80000000, v1, v3
	s_delay_alu instid0(VALU_DEP_1)
	v_cvt_i32_f32_e32 v6, v1
.LBB379_2076:
	s_mov_b32 s18, 0
	s_mov_b32 s19, -1
.LBB379_2077:
	s_and_not1_b32 vcc_lo, exec_lo, s18
	s_mov_b32 s18, 0
	s_cbranch_vccnz .LBB379_2088
; %bb.2078:
	s_cmp_gt_i32 s14, 14
	s_cbranch_scc0 .LBB379_2081
; %bb.2079:
	s_cmp_eq_u32 s14, 15
	s_cbranch_scc0 .LBB379_2084
; %bb.2080:
	s_wait_loadcnt 0x0
	global_load_u16 v1, v[14:15], off
	s_mov_b32 s17, 0
	s_mov_b32 s19, -1
	s_wait_loadcnt 0x0
	v_lshlrev_b32_e32 v1, 16, v1
	s_wait_xcnt 0x1
	s_delay_alu instid0(VALU_DEP_1)
	v_cvt_i32_f32_e32 v6, v1
	s_branch .LBB379_2086
.LBB379_2081:
	s_mov_b32 s18, -1
	s_branch .LBB379_2085
.LBB379_2082:
	s_and_not1_saveexec_b32 s18, s18
	s_cbranch_execz .LBB379_2063
.LBB379_2083:
	v_cmp_ne_u16_e32 vcc_lo, 0, v1
	s_and_not1_b32 s19, s19, exec_lo
	s_and_b32 s20, vcc_lo, exec_lo
	s_delay_alu instid0(SALU_CYCLE_1)
	s_or_b32 s19, s19, s20
	s_or_b32 exec_lo, exec_lo, s18
	v_mov_b32_e32 v6, 0
	s_and_saveexec_b32 s18, s19
	s_cbranch_execnz .LBB379_2064
	s_branch .LBB379_2065
.LBB379_2084:
	s_mov_b32 s17, -1
.LBB379_2085:
                                        ; implicit-def: $vgpr6
.LBB379_2086:
	s_and_b32 vcc_lo, exec_lo, s18
	s_mov_b32 s18, 0
	s_cbranch_vccz .LBB379_2088
; %bb.2087:
	s_cmp_lg_u32 s14, 11
	s_mov_b32 s18, -1
	s_cselect_b32 s17, -1, 0
.LBB379_2088:
	s_delay_alu instid0(SALU_CYCLE_1)
	s_and_b32 vcc_lo, exec_lo, s17
	s_cbranch_vccnz .LBB379_2153
; %bb.2089:
	s_and_not1_b32 vcc_lo, exec_lo, s18
	s_cbranch_vccnz .LBB379_2091
.LBB379_2090:
	s_wait_loadcnt 0x0
	global_load_u8 v1, v[14:15], off
	s_mov_b32 s19, -1
	s_wait_loadcnt 0x0
	v_cmp_ne_u16_e32 vcc_lo, 0, v1
	s_wait_xcnt 0x1
	v_cndmask_b32_e64 v6, 0, 1, vcc_lo
.LBB379_2091:
	s_mov_b32 s14, 0
.LBB379_2092:
	s_delay_alu instid0(SALU_CYCLE_1)
	s_and_b32 vcc_lo, exec_lo, s14
	s_cbranch_vccz .LBB379_2141
; %bb.2093:
	s_and_b32 s14, 0xffff, s0
	s_delay_alu instid0(SALU_CYCLE_1)
	s_cmp_lt_i32 s14, 5
	s_cbranch_scc1 .LBB379_2098
; %bb.2094:
	s_cmp_lt_i32 s14, 8
	s_cbranch_scc1 .LBB379_2099
; %bb.2095:
	;; [unrolled: 3-line block ×3, first 2 shown]
	s_cmp_gt_i32 s14, 9
	s_cbranch_scc0 .LBB379_2101
; %bb.2097:
	s_wait_loadcnt 0x0
	global_load_b64 v[6:7], v[14:15], off
	s_mov_b32 s17, 0
	s_wait_loadcnt 0x0
	v_cvt_i32_f64_e32 v6, v[6:7]
	s_branch .LBB379_2102
.LBB379_2098:
	s_mov_b32 s17, -1
                                        ; implicit-def: $vgpr6
	s_branch .LBB379_2120
.LBB379_2099:
	s_mov_b32 s17, -1
                                        ; implicit-def: $vgpr6
	s_branch .LBB379_2108
.LBB379_2100:
	s_mov_b32 s17, -1
                                        ; implicit-def: $vgpr6
	s_branch .LBB379_2105
.LBB379_2101:
	s_mov_b32 s17, -1
                                        ; implicit-def: $vgpr6
.LBB379_2102:
	s_delay_alu instid0(SALU_CYCLE_1)
	s_and_not1_b32 vcc_lo, exec_lo, s17
	s_cbranch_vccnz .LBB379_2104
; %bb.2103:
	s_wait_loadcnt 0x0
	global_load_b32 v1, v[14:15], off
	s_wait_loadcnt 0x0
	s_wait_xcnt 0x1
	v_cvt_i32_f32_e32 v6, v1
.LBB379_2104:
	s_mov_b32 s17, 0
.LBB379_2105:
	s_delay_alu instid0(SALU_CYCLE_1)
	s_and_not1_b32 vcc_lo, exec_lo, s17
	s_cbranch_vccnz .LBB379_2107
; %bb.2106:
	s_wait_loadcnt 0x0
	global_load_b32 v1, v[14:15], off
	s_wait_loadcnt 0x0
	s_wait_xcnt 0x1
	v_cvt_i16_f16_e32 v6, v1
.LBB379_2107:
	s_mov_b32 s17, 0
.LBB379_2108:
	s_delay_alu instid0(SALU_CYCLE_1)
	s_and_not1_b32 vcc_lo, exec_lo, s17
	s_cbranch_vccnz .LBB379_2119
; %bb.2109:
	s_cmp_lt_i32 s14, 6
	s_cbranch_scc1 .LBB379_2112
; %bb.2110:
	s_cmp_gt_i32 s14, 6
	s_cbranch_scc0 .LBB379_2113
; %bb.2111:
	s_wait_loadcnt 0x0
	global_load_b64 v[6:7], v[14:15], off
	s_mov_b32 s17, 0
	s_wait_loadcnt 0x0
	v_cvt_i32_f64_e32 v6, v[6:7]
	s_branch .LBB379_2114
.LBB379_2112:
	s_mov_b32 s17, -1
                                        ; implicit-def: $vgpr6
	s_branch .LBB379_2117
.LBB379_2113:
	s_mov_b32 s17, -1
                                        ; implicit-def: $vgpr6
.LBB379_2114:
	s_delay_alu instid0(SALU_CYCLE_1)
	s_and_not1_b32 vcc_lo, exec_lo, s17
	s_cbranch_vccnz .LBB379_2116
; %bb.2115:
	s_wait_loadcnt 0x0
	global_load_b32 v1, v[14:15], off
	s_wait_loadcnt 0x0
	s_wait_xcnt 0x1
	v_cvt_i32_f32_e32 v6, v1
.LBB379_2116:
	s_mov_b32 s17, 0
.LBB379_2117:
	s_delay_alu instid0(SALU_CYCLE_1)
	s_and_not1_b32 vcc_lo, exec_lo, s17
	s_cbranch_vccnz .LBB379_2119
; %bb.2118:
	s_wait_loadcnt 0x0
	global_load_u16 v1, v[14:15], off
	s_wait_loadcnt 0x0
	s_wait_xcnt 0x1
	v_cvt_i16_f16_e32 v6, v1
.LBB379_2119:
	s_mov_b32 s17, 0
.LBB379_2120:
	s_delay_alu instid0(SALU_CYCLE_1)
	s_and_not1_b32 vcc_lo, exec_lo, s17
	s_cbranch_vccnz .LBB379_2140
; %bb.2121:
	s_cmp_lt_i32 s14, 2
	s_cbranch_scc1 .LBB379_2125
; %bb.2122:
	s_cmp_lt_i32 s14, 3
	s_cbranch_scc1 .LBB379_2126
; %bb.2123:
	s_cmp_gt_i32 s14, 3
	s_cbranch_scc0 .LBB379_2127
; %bb.2124:
	s_wait_loadcnt 0x0
	global_load_b64 v[6:7], v[14:15], off
	s_mov_b32 s17, 0
	s_branch .LBB379_2128
.LBB379_2125:
	s_mov_b32 s17, -1
                                        ; implicit-def: $vgpr6
	s_branch .LBB379_2134
.LBB379_2126:
	s_mov_b32 s17, -1
                                        ; implicit-def: $vgpr6
	s_branch .LBB379_2131
.LBB379_2127:
	s_mov_b32 s17, -1
                                        ; implicit-def: $vgpr6
.LBB379_2128:
	s_delay_alu instid0(SALU_CYCLE_1)
	s_and_not1_b32 vcc_lo, exec_lo, s17
	s_cbranch_vccnz .LBB379_2130
; %bb.2129:
	s_wait_loadcnt 0x0
	global_load_b32 v6, v[14:15], off
.LBB379_2130:
	s_mov_b32 s17, 0
.LBB379_2131:
	s_delay_alu instid0(SALU_CYCLE_1)
	s_and_not1_b32 vcc_lo, exec_lo, s17
	s_cbranch_vccnz .LBB379_2133
; %bb.2132:
	s_wait_loadcnt 0x0
	global_load_u16 v6, v[14:15], off
.LBB379_2133:
	s_mov_b32 s17, 0
.LBB379_2134:
	s_delay_alu instid0(SALU_CYCLE_1)
	s_and_not1_b32 vcc_lo, exec_lo, s17
	s_cbranch_vccnz .LBB379_2140
; %bb.2135:
	s_cmp_gt_i32 s14, 0
	s_mov_b32 s14, 0
	s_cbranch_scc0 .LBB379_2137
; %bb.2136:
	s_wait_loadcnt 0x0
	global_load_u8 v6, v[14:15], off
	s_branch .LBB379_2138
.LBB379_2137:
	s_mov_b32 s14, -1
                                        ; implicit-def: $vgpr6
.LBB379_2138:
	s_delay_alu instid0(SALU_CYCLE_1)
	s_and_not1_b32 vcc_lo, exec_lo, s14
	s_cbranch_vccnz .LBB379_2140
; %bb.2139:
	s_wait_loadcnt 0x0
	global_load_u8 v6, v[14:15], off
.LBB379_2140:
	s_mov_b32 s19, -1
.LBB379_2141:
	s_delay_alu instid0(SALU_CYCLE_1)
	s_and_not1_b32 vcc_lo, exec_lo, s19
	s_cbranch_vccnz .LBB379_2957
; %bb.2142:
	s_wait_xcnt 0x0
	v_add_nc_u32_e32 v14, s10, v12
	s_cmp_lt_i32 s1, 11
	s_delay_alu instid0(VALU_DEP_1) | instskip(NEXT) | instid1(VALU_DEP_1)
	v_ashrrev_i32_e32 v15, 31, v14
	v_add_nc_u64_e32 v[16:17], s[2:3], v[14:15]
	s_cbranch_scc1 .LBB379_2149
; %bb.2143:
	s_and_b32 s14, 0xffff, s1
	s_mov_b32 s18, 0
	s_cmp_gt_i32 s14, 25
	s_cbranch_scc0 .LBB379_2150
; %bb.2144:
	s_cmp_gt_i32 s14, 28
	s_cbranch_scc0 .LBB379_2151
; %bb.2145:
	;; [unrolled: 3-line block ×4, first 2 shown]
	s_cmp_eq_u32 s14, 46
	s_mov_b32 s20, 0
	s_cbranch_scc0 .LBB379_2157
; %bb.2148:
	s_wait_loadcnt 0x0
	global_load_b32 v1, v[16:17], off
	s_mov_b32 s17, 0
	s_mov_b32 s19, -1
	s_wait_loadcnt 0x0
	v_lshlrev_b32_e32 v1, 16, v1
	s_delay_alu instid0(VALU_DEP_1)
	v_cvt_i32_f32_e32 v12, v1
	s_branch .LBB379_2159
.LBB379_2149:
	s_mov_b32 s14, -1
	s_mov_b32 s19, 0
                                        ; implicit-def: $vgpr12
	s_branch .LBB379_2221
.LBB379_2150:
	s_mov_b32 s20, -1
	s_mov_b32 s19, 0
	s_mov_b32 s17, 0
                                        ; implicit-def: $vgpr12
	s_branch .LBB379_2186
.LBB379_2151:
	s_mov_b32 s20, -1
	s_mov_b32 s19, 0
	s_mov_b32 s17, 0
                                        ; implicit-def: $vgpr12
	s_branch .LBB379_2169
.LBB379_2152:
	s_mov_b32 s20, -1
	s_mov_b32 s19, 0
	s_mov_b32 s17, 0
                                        ; implicit-def: $vgpr12
	s_branch .LBB379_2164
.LBB379_2153:
	s_or_b32 s13, s13, exec_lo
	s_trap 2
	s_cbranch_execz .LBB379_2090
	s_branch .LBB379_2091
.LBB379_2154:
	s_mov_b32 s20, -1
	s_mov_b32 s19, 0
	s_mov_b32 s17, 0
	s_branch .LBB379_2158
.LBB379_2155:
	s_and_not1_saveexec_b32 s35, s35
	s_cbranch_execz .LBB379_1063
.LBB379_2156:
	v_add_f32_e32 v2, 0x42800000, v3
	s_and_not1_b32 s34, s34, exec_lo
	s_delay_alu instid0(VALU_DEP_1) | instskip(NEXT) | instid1(VALU_DEP_1)
	v_and_b32_e32 v2, 0xff, v2
	v_cmp_ne_u32_e32 vcc_lo, 0, v2
	s_and_b32 s36, vcc_lo, exec_lo
	s_delay_alu instid0(SALU_CYCLE_1)
	s_or_b32 s34, s34, s36
	s_or_b32 exec_lo, exec_lo, s35
	v_mov_b32_e32 v4, 0
	s_and_saveexec_b32 s35, s34
	s_cbranch_execnz .LBB379_1064
	s_branch .LBB379_1065
.LBB379_2157:
	s_mov_b32 s17, -1
	s_mov_b32 s19, 0
.LBB379_2158:
                                        ; implicit-def: $vgpr12
.LBB379_2159:
	s_and_b32 vcc_lo, exec_lo, s20
	s_cbranch_vccz .LBB379_2163
; %bb.2160:
	s_cmp_eq_u32 s14, 44
	s_cbranch_scc0 .LBB379_2162
; %bb.2161:
	s_wait_loadcnt 0x0
	global_load_u8 v1, v[16:17], off
	s_mov_b32 s17, 0
	s_mov_b32 s19, -1
	s_wait_loadcnt 0x0
	v_lshlrev_b32_e32 v3, 23, v1
	v_cmp_ne_u32_e32 vcc_lo, 0, v1
	s_delay_alu instid0(VALU_DEP_2) | instskip(NEXT) | instid1(VALU_DEP_1)
	v_cvt_i32_f32_e32 v3, v3
	v_cndmask_b32_e32 v12, 0, v3, vcc_lo
	s_branch .LBB379_2163
.LBB379_2162:
	s_mov_b32 s17, -1
                                        ; implicit-def: $vgpr12
.LBB379_2163:
	s_mov_b32 s20, 0
.LBB379_2164:
	s_delay_alu instid0(SALU_CYCLE_1)
	s_and_b32 vcc_lo, exec_lo, s20
	s_cbranch_vccz .LBB379_2168
; %bb.2165:
	s_cmp_eq_u32 s14, 29
	s_cbranch_scc0 .LBB379_2167
; %bb.2166:
	global_load_b64 v[12:13], v[16:17], off
	s_mov_b32 s17, 0
	s_mov_b32 s19, -1
	s_branch .LBB379_2168
.LBB379_2167:
	s_mov_b32 s17, -1
                                        ; implicit-def: $vgpr12
.LBB379_2168:
	s_mov_b32 s20, 0
.LBB379_2169:
	s_delay_alu instid0(SALU_CYCLE_1)
	s_and_b32 vcc_lo, exec_lo, s20
	s_cbranch_vccz .LBB379_2185
; %bb.2170:
	s_cmp_lt_i32 s14, 27
	s_cbranch_scc1 .LBB379_2173
; %bb.2171:
	s_cmp_gt_i32 s14, 27
	s_cbranch_scc0 .LBB379_2174
; %bb.2172:
	s_wait_loadcnt 0x0
	global_load_b32 v12, v[16:17], off
	s_mov_b32 s19, 0
	s_branch .LBB379_2175
.LBB379_2173:
	s_mov_b32 s19, -1
                                        ; implicit-def: $vgpr12
	s_branch .LBB379_2178
.LBB379_2174:
	s_mov_b32 s19, -1
                                        ; implicit-def: $vgpr12
.LBB379_2175:
	s_delay_alu instid0(SALU_CYCLE_1)
	s_and_not1_b32 vcc_lo, exec_lo, s19
	s_cbranch_vccnz .LBB379_2177
; %bb.2176:
	s_wait_loadcnt 0x0
	global_load_u16 v12, v[16:17], off
.LBB379_2177:
	s_mov_b32 s19, 0
.LBB379_2178:
	s_delay_alu instid0(SALU_CYCLE_1)
	s_and_not1_b32 vcc_lo, exec_lo, s19
	s_cbranch_vccnz .LBB379_2184
; %bb.2179:
	s_wait_loadcnt 0x0
	global_load_u8 v1, v[16:17], off
	s_mov_b32 s20, 0
	s_mov_b32 s19, exec_lo
	s_wait_loadcnt 0x0
	v_cmpx_lt_i16_e32 0x7f, v1
	s_xor_b32 s19, exec_lo, s19
	s_cbranch_execz .LBB379_2196
; %bb.2180:
	v_cmp_ne_u16_e32 vcc_lo, 0x80, v1
	s_and_b32 s20, vcc_lo, exec_lo
	s_and_not1_saveexec_b32 s19, s19
	s_cbranch_execnz .LBB379_2197
.LBB379_2181:
	s_or_b32 exec_lo, exec_lo, s19
	v_mov_b32_e32 v12, 0
	s_and_saveexec_b32 s19, s20
	s_cbranch_execz .LBB379_2183
.LBB379_2182:
	v_and_b32_e32 v3, 0xffff, v1
	s_delay_alu instid0(VALU_DEP_1) | instskip(SKIP_1) | instid1(VALU_DEP_2)
	v_dual_lshlrev_b32 v1, 24, v1 :: v_dual_bitop2_b32 v5, 7, v3 bitop3:0x40
	v_bfe_u32 v11, v3, 3, 4
	v_and_b32_e32 v1, 0x80000000, v1
	s_delay_alu instid0(VALU_DEP_3) | instskip(NEXT) | instid1(VALU_DEP_3)
	v_clz_i32_u32_e32 v7, v5
	v_cmp_eq_u32_e32 vcc_lo, 0, v11
	s_delay_alu instid0(VALU_DEP_2) | instskip(NEXT) | instid1(VALU_DEP_1)
	v_min_u32_e32 v7, 32, v7
	v_subrev_nc_u32_e32 v9, 28, v7
	v_sub_nc_u32_e32 v7, 29, v7
	s_delay_alu instid0(VALU_DEP_2) | instskip(NEXT) | instid1(VALU_DEP_2)
	v_lshlrev_b32_e32 v3, v9, v3
	v_cndmask_b32_e32 v7, v11, v7, vcc_lo
	s_delay_alu instid0(VALU_DEP_2) | instskip(NEXT) | instid1(VALU_DEP_1)
	v_and_b32_e32 v3, 7, v3
	v_cndmask_b32_e32 v3, v5, v3, vcc_lo
	s_delay_alu instid0(VALU_DEP_3) | instskip(NEXT) | instid1(VALU_DEP_2)
	v_lshl_add_u32 v5, v7, 23, 0x3b800000
	v_lshlrev_b32_e32 v3, 20, v3
	s_delay_alu instid0(VALU_DEP_1) | instskip(NEXT) | instid1(VALU_DEP_1)
	v_or3_b32 v1, v1, v5, v3
	v_cvt_i32_f32_e32 v12, v1
.LBB379_2183:
	s_or_b32 exec_lo, exec_lo, s19
.LBB379_2184:
	s_mov_b32 s19, -1
.LBB379_2185:
	s_mov_b32 s20, 0
.LBB379_2186:
	s_delay_alu instid0(SALU_CYCLE_1)
	s_and_b32 vcc_lo, exec_lo, s20
	s_cbranch_vccz .LBB379_2217
; %bb.2187:
	s_cmp_gt_i32 s14, 22
	s_cbranch_scc0 .LBB379_2195
; %bb.2188:
	s_cmp_lt_i32 s14, 24
	s_cbranch_scc1 .LBB379_2198
; %bb.2189:
	s_cmp_gt_i32 s14, 24
	s_cbranch_scc0 .LBB379_2199
; %bb.2190:
	s_wait_loadcnt 0x0
	global_load_u8 v1, v[16:17], off
	s_mov_b32 s19, 0
	s_mov_b32 s18, exec_lo
	s_wait_loadcnt 0x0
	v_cmpx_lt_i16_e32 0x7f, v1
	s_xor_b32 s18, exec_lo, s18
	s_cbranch_execz .LBB379_2211
; %bb.2191:
	v_cmp_ne_u16_e32 vcc_lo, 0x80, v1
	s_and_b32 s19, vcc_lo, exec_lo
	s_and_not1_saveexec_b32 s18, s18
	s_cbranch_execnz .LBB379_2212
.LBB379_2192:
	s_or_b32 exec_lo, exec_lo, s18
	v_mov_b32_e32 v12, 0
	s_and_saveexec_b32 s18, s19
	s_cbranch_execz .LBB379_2194
.LBB379_2193:
	v_and_b32_e32 v3, 0xffff, v1
	s_delay_alu instid0(VALU_DEP_1) | instskip(SKIP_1) | instid1(VALU_DEP_2)
	v_dual_lshlrev_b32 v1, 24, v1 :: v_dual_bitop2_b32 v5, 3, v3 bitop3:0x40
	v_bfe_u32 v11, v3, 2, 5
	v_and_b32_e32 v1, 0x80000000, v1
	s_delay_alu instid0(VALU_DEP_3) | instskip(NEXT) | instid1(VALU_DEP_3)
	v_clz_i32_u32_e32 v7, v5
	v_cmp_eq_u32_e32 vcc_lo, 0, v11
	s_delay_alu instid0(VALU_DEP_2) | instskip(NEXT) | instid1(VALU_DEP_1)
	v_min_u32_e32 v7, 32, v7
	v_subrev_nc_u32_e32 v9, 29, v7
	v_sub_nc_u32_e32 v7, 30, v7
	s_delay_alu instid0(VALU_DEP_2) | instskip(NEXT) | instid1(VALU_DEP_2)
	v_lshlrev_b32_e32 v3, v9, v3
	v_cndmask_b32_e32 v7, v11, v7, vcc_lo
	s_delay_alu instid0(VALU_DEP_2) | instskip(NEXT) | instid1(VALU_DEP_1)
	v_and_b32_e32 v3, 3, v3
	v_cndmask_b32_e32 v3, v5, v3, vcc_lo
	s_delay_alu instid0(VALU_DEP_3) | instskip(NEXT) | instid1(VALU_DEP_2)
	v_lshl_add_u32 v5, v7, 23, 0x37800000
	v_lshlrev_b32_e32 v3, 21, v3
	s_delay_alu instid0(VALU_DEP_1) | instskip(NEXT) | instid1(VALU_DEP_1)
	v_or3_b32 v1, v1, v5, v3
	v_cvt_i32_f32_e32 v12, v1
.LBB379_2194:
	s_or_b32 exec_lo, exec_lo, s18
	s_mov_b32 s18, 0
	s_branch .LBB379_2200
.LBB379_2195:
	s_mov_b32 s18, -1
                                        ; implicit-def: $vgpr12
	s_branch .LBB379_2206
.LBB379_2196:
	s_and_not1_saveexec_b32 s19, s19
	s_cbranch_execz .LBB379_2181
.LBB379_2197:
	v_cmp_ne_u16_e32 vcc_lo, 0, v1
	s_and_not1_b32 s20, s20, exec_lo
	s_and_b32 s21, vcc_lo, exec_lo
	s_delay_alu instid0(SALU_CYCLE_1)
	s_or_b32 s20, s20, s21
	s_or_b32 exec_lo, exec_lo, s19
	v_mov_b32_e32 v12, 0
	s_and_saveexec_b32 s19, s20
	s_cbranch_execnz .LBB379_2182
	s_branch .LBB379_2183
.LBB379_2198:
	s_mov_b32 s18, -1
                                        ; implicit-def: $vgpr12
	s_branch .LBB379_2203
.LBB379_2199:
	s_mov_b32 s18, -1
                                        ; implicit-def: $vgpr12
.LBB379_2200:
	s_delay_alu instid0(SALU_CYCLE_1)
	s_and_b32 vcc_lo, exec_lo, s18
	s_cbranch_vccz .LBB379_2202
; %bb.2201:
	s_wait_loadcnt 0x0
	global_load_u8 v1, v[16:17], off
	s_wait_loadcnt 0x0
	v_lshlrev_b32_e32 v1, 24, v1
	s_delay_alu instid0(VALU_DEP_1) | instskip(NEXT) | instid1(VALU_DEP_1)
	v_and_b32_e32 v3, 0x7f000000, v1
	v_clz_i32_u32_e32 v5, v3
	v_add_nc_u32_e32 v9, 0x1000000, v3
	v_cmp_ne_u32_e32 vcc_lo, 0, v3
	s_delay_alu instid0(VALU_DEP_3) | instskip(NEXT) | instid1(VALU_DEP_1)
	v_min_u32_e32 v5, 32, v5
	v_sub_nc_u32_e64 v5, v5, 4 clamp
	s_delay_alu instid0(VALU_DEP_1) | instskip(NEXT) | instid1(VALU_DEP_1)
	v_dual_lshlrev_b32 v7, v5, v3 :: v_dual_lshlrev_b32 v5, 23, v5
	v_lshrrev_b32_e32 v7, 4, v7
	s_delay_alu instid0(VALU_DEP_1) | instskip(SKIP_1) | instid1(VALU_DEP_2)
	v_sub_nc_u32_e32 v5, v7, v5
	v_ashrrev_i32_e32 v7, 8, v9
	v_add_nc_u32_e32 v5, 0x3c000000, v5
	s_delay_alu instid0(VALU_DEP_1) | instskip(NEXT) | instid1(VALU_DEP_1)
	v_and_or_b32 v5, 0x7f800000, v7, v5
	v_cndmask_b32_e32 v3, 0, v5, vcc_lo
	s_delay_alu instid0(VALU_DEP_1) | instskip(NEXT) | instid1(VALU_DEP_1)
	v_and_or_b32 v1, 0x80000000, v1, v3
	v_cvt_i32_f32_e32 v12, v1
.LBB379_2202:
	s_mov_b32 s18, 0
.LBB379_2203:
	s_delay_alu instid0(SALU_CYCLE_1)
	s_and_not1_b32 vcc_lo, exec_lo, s18
	s_cbranch_vccnz .LBB379_2205
; %bb.2204:
	s_wait_loadcnt 0x0
	global_load_u8 v1, v[16:17], off
	s_wait_loadcnt 0x0
	v_lshlrev_b32_e32 v3, 25, v1
	v_lshlrev_b16 v1, 8, v1
	s_delay_alu instid0(VALU_DEP_1) | instskip(SKIP_1) | instid1(VALU_DEP_2)
	v_and_or_b32 v7, 0x7f00, v1, 0.5
	v_bfe_i32 v1, v1, 0, 16
	v_add_f32_e32 v7, -0.5, v7
	v_lshrrev_b32_e32 v5, 4, v3
	v_cmp_gt_u32_e32 vcc_lo, 0x8000000, v3
	s_delay_alu instid0(VALU_DEP_2) | instskip(NEXT) | instid1(VALU_DEP_1)
	v_or_b32_e32 v5, 0x70000000, v5
	v_mul_f32_e32 v5, 0x7800000, v5
	s_delay_alu instid0(VALU_DEP_1) | instskip(NEXT) | instid1(VALU_DEP_1)
	v_cndmask_b32_e32 v3, v5, v7, vcc_lo
	v_and_or_b32 v1, 0x80000000, v1, v3
	s_delay_alu instid0(VALU_DEP_1)
	v_cvt_i32_f32_e32 v12, v1
.LBB379_2205:
	s_mov_b32 s18, 0
	s_mov_b32 s19, -1
.LBB379_2206:
	s_and_not1_b32 vcc_lo, exec_lo, s18
	s_mov_b32 s18, 0
	s_cbranch_vccnz .LBB379_2217
; %bb.2207:
	s_cmp_gt_i32 s14, 14
	s_cbranch_scc0 .LBB379_2210
; %bb.2208:
	s_cmp_eq_u32 s14, 15
	s_cbranch_scc0 .LBB379_2213
; %bb.2209:
	s_wait_loadcnt 0x0
	global_load_u16 v1, v[16:17], off
	s_mov_b32 s17, 0
	s_mov_b32 s19, -1
	s_wait_loadcnt 0x0
	v_lshlrev_b32_e32 v1, 16, v1
	s_delay_alu instid0(VALU_DEP_1)
	v_cvt_i32_f32_e32 v12, v1
	s_branch .LBB379_2215
.LBB379_2210:
	s_mov_b32 s18, -1
	s_branch .LBB379_2214
.LBB379_2211:
	s_and_not1_saveexec_b32 s18, s18
	s_cbranch_execz .LBB379_2192
.LBB379_2212:
	v_cmp_ne_u16_e32 vcc_lo, 0, v1
	s_and_not1_b32 s19, s19, exec_lo
	s_and_b32 s20, vcc_lo, exec_lo
	s_delay_alu instid0(SALU_CYCLE_1)
	s_or_b32 s19, s19, s20
	s_or_b32 exec_lo, exec_lo, s18
	v_mov_b32_e32 v12, 0
	s_and_saveexec_b32 s18, s19
	s_cbranch_execnz .LBB379_2193
	s_branch .LBB379_2194
.LBB379_2213:
	s_mov_b32 s17, -1
.LBB379_2214:
                                        ; implicit-def: $vgpr12
.LBB379_2215:
	s_and_b32 vcc_lo, exec_lo, s18
	s_mov_b32 s18, 0
	s_cbranch_vccz .LBB379_2217
; %bb.2216:
	s_cmp_lg_u32 s14, 11
	s_mov_b32 s18, -1
	s_cselect_b32 s17, -1, 0
.LBB379_2217:
	s_delay_alu instid0(SALU_CYCLE_1)
	s_and_b32 vcc_lo, exec_lo, s17
	s_cbranch_vccnz .LBB379_2282
; %bb.2218:
	s_and_not1_b32 vcc_lo, exec_lo, s18
	s_cbranch_vccnz .LBB379_2220
.LBB379_2219:
	s_wait_loadcnt 0x0
	global_load_u8 v1, v[16:17], off
	s_mov_b32 s19, -1
	s_wait_loadcnt 0x0
	v_cmp_ne_u16_e32 vcc_lo, 0, v1
	v_cndmask_b32_e64 v12, 0, 1, vcc_lo
.LBB379_2220:
	s_mov_b32 s14, 0
.LBB379_2221:
	s_delay_alu instid0(SALU_CYCLE_1)
	s_and_b32 vcc_lo, exec_lo, s14
	s_cbranch_vccz .LBB379_2270
; %bb.2222:
	s_and_b32 s14, 0xffff, s1
	s_delay_alu instid0(SALU_CYCLE_1)
	s_cmp_lt_i32 s14, 5
	s_cbranch_scc1 .LBB379_2227
; %bb.2223:
	s_cmp_lt_i32 s14, 8
	s_cbranch_scc1 .LBB379_2228
; %bb.2224:
	;; [unrolled: 3-line block ×3, first 2 shown]
	s_cmp_gt_i32 s14, 9
	s_cbranch_scc0 .LBB379_2230
; %bb.2226:
	s_wait_loadcnt 0x0
	global_load_b64 v[12:13], v[16:17], off
	s_mov_b32 s17, 0
	s_wait_loadcnt 0x0
	v_cvt_i32_f64_e32 v12, v[12:13]
	s_branch .LBB379_2231
.LBB379_2227:
	s_mov_b32 s17, -1
                                        ; implicit-def: $vgpr12
	s_branch .LBB379_2249
.LBB379_2228:
	s_mov_b32 s17, -1
                                        ; implicit-def: $vgpr12
	s_branch .LBB379_2237
.LBB379_2229:
	s_mov_b32 s17, -1
                                        ; implicit-def: $vgpr12
	s_branch .LBB379_2234
.LBB379_2230:
	s_mov_b32 s17, -1
                                        ; implicit-def: $vgpr12
.LBB379_2231:
	s_delay_alu instid0(SALU_CYCLE_1)
	s_and_not1_b32 vcc_lo, exec_lo, s17
	s_cbranch_vccnz .LBB379_2233
; %bb.2232:
	s_wait_loadcnt 0x0
	global_load_b32 v1, v[16:17], off
	s_wait_loadcnt 0x0
	v_cvt_i32_f32_e32 v12, v1
.LBB379_2233:
	s_mov_b32 s17, 0
.LBB379_2234:
	s_delay_alu instid0(SALU_CYCLE_1)
	s_and_not1_b32 vcc_lo, exec_lo, s17
	s_cbranch_vccnz .LBB379_2236
; %bb.2235:
	s_wait_loadcnt 0x0
	global_load_b32 v1, v[16:17], off
	s_wait_loadcnt 0x0
	v_cvt_i16_f16_e32 v12, v1
.LBB379_2236:
	s_mov_b32 s17, 0
.LBB379_2237:
	s_delay_alu instid0(SALU_CYCLE_1)
	s_and_not1_b32 vcc_lo, exec_lo, s17
	s_cbranch_vccnz .LBB379_2248
; %bb.2238:
	s_cmp_lt_i32 s14, 6
	s_cbranch_scc1 .LBB379_2241
; %bb.2239:
	s_cmp_gt_i32 s14, 6
	s_cbranch_scc0 .LBB379_2242
; %bb.2240:
	s_wait_loadcnt 0x0
	global_load_b64 v[12:13], v[16:17], off
	s_mov_b32 s17, 0
	s_wait_loadcnt 0x0
	v_cvt_i32_f64_e32 v12, v[12:13]
	s_branch .LBB379_2243
.LBB379_2241:
	s_mov_b32 s17, -1
                                        ; implicit-def: $vgpr12
	s_branch .LBB379_2246
.LBB379_2242:
	s_mov_b32 s17, -1
                                        ; implicit-def: $vgpr12
.LBB379_2243:
	s_delay_alu instid0(SALU_CYCLE_1)
	s_and_not1_b32 vcc_lo, exec_lo, s17
	s_cbranch_vccnz .LBB379_2245
; %bb.2244:
	s_wait_loadcnt 0x0
	global_load_b32 v1, v[16:17], off
	s_wait_loadcnt 0x0
	v_cvt_i32_f32_e32 v12, v1
.LBB379_2245:
	s_mov_b32 s17, 0
.LBB379_2246:
	s_delay_alu instid0(SALU_CYCLE_1)
	s_and_not1_b32 vcc_lo, exec_lo, s17
	s_cbranch_vccnz .LBB379_2248
; %bb.2247:
	s_wait_loadcnt 0x0
	global_load_u16 v1, v[16:17], off
	s_wait_loadcnt 0x0
	v_cvt_i16_f16_e32 v12, v1
.LBB379_2248:
	s_mov_b32 s17, 0
.LBB379_2249:
	s_delay_alu instid0(SALU_CYCLE_1)
	s_and_not1_b32 vcc_lo, exec_lo, s17
	s_cbranch_vccnz .LBB379_2269
; %bb.2250:
	s_cmp_lt_i32 s14, 2
	s_cbranch_scc1 .LBB379_2254
; %bb.2251:
	s_cmp_lt_i32 s14, 3
	s_cbranch_scc1 .LBB379_2255
; %bb.2252:
	s_cmp_gt_i32 s14, 3
	s_cbranch_scc0 .LBB379_2256
; %bb.2253:
	s_wait_loadcnt 0x0
	global_load_b64 v[12:13], v[16:17], off
	s_mov_b32 s17, 0
	s_branch .LBB379_2257
.LBB379_2254:
	s_mov_b32 s17, -1
                                        ; implicit-def: $vgpr12
	s_branch .LBB379_2263
.LBB379_2255:
	s_mov_b32 s17, -1
                                        ; implicit-def: $vgpr12
	s_branch .LBB379_2260
.LBB379_2256:
	s_mov_b32 s17, -1
                                        ; implicit-def: $vgpr12
.LBB379_2257:
	s_delay_alu instid0(SALU_CYCLE_1)
	s_and_not1_b32 vcc_lo, exec_lo, s17
	s_cbranch_vccnz .LBB379_2259
; %bb.2258:
	s_wait_loadcnt 0x0
	global_load_b32 v12, v[16:17], off
.LBB379_2259:
	s_mov_b32 s17, 0
.LBB379_2260:
	s_delay_alu instid0(SALU_CYCLE_1)
	s_and_not1_b32 vcc_lo, exec_lo, s17
	s_cbranch_vccnz .LBB379_2262
; %bb.2261:
	s_wait_loadcnt 0x0
	global_load_u16 v12, v[16:17], off
.LBB379_2262:
	s_mov_b32 s17, 0
.LBB379_2263:
	s_delay_alu instid0(SALU_CYCLE_1)
	s_and_not1_b32 vcc_lo, exec_lo, s17
	s_cbranch_vccnz .LBB379_2269
; %bb.2264:
	s_cmp_gt_i32 s14, 0
	s_mov_b32 s14, 0
	s_cbranch_scc0 .LBB379_2266
; %bb.2265:
	s_wait_loadcnt 0x0
	global_load_u8 v12, v[16:17], off
	s_branch .LBB379_2267
.LBB379_2266:
	s_mov_b32 s14, -1
                                        ; implicit-def: $vgpr12
.LBB379_2267:
	s_delay_alu instid0(SALU_CYCLE_1)
	s_and_not1_b32 vcc_lo, exec_lo, s14
	s_cbranch_vccnz .LBB379_2269
; %bb.2268:
	s_wait_loadcnt 0x0
	global_load_u8 v12, v[16:17], off
.LBB379_2269:
	s_mov_b32 s19, -1
.LBB379_2270:
	s_delay_alu instid0(SALU_CYCLE_1)
	s_and_not1_b32 vcc_lo, exec_lo, s19
	s_cbranch_vccnz .LBB379_2957
; %bb.2271:
	v_add_nc_u32_e32 v10, s9, v10
	s_cmp_lt_i32 s0, 11
	s_delay_alu instid0(VALU_DEP_1) | instskip(SKIP_1) | instid1(VALU_DEP_1)
	v_ashrrev_i32_e32 v11, 31, v10
	s_wait_xcnt 0x0
	v_add_nc_u64_e32 v[16:17], s[6:7], v[10:11]
	s_cbranch_scc1 .LBB379_2278
; %bb.2272:
	s_and_b32 s6, 0xffff, s0
	s_mov_b32 s9, 0
	s_cmp_gt_i32 s6, 25
	s_cbranch_scc0 .LBB379_2279
; %bb.2273:
	s_cmp_gt_i32 s6, 28
	s_cbranch_scc0 .LBB379_2280
; %bb.2274:
	;; [unrolled: 3-line block ×4, first 2 shown]
	s_cmp_eq_u32 s6, 46
	s_mov_b32 s17, 0
	s_cbranch_scc0 .LBB379_2284
; %bb.2277:
	s_wait_loadcnt 0x0
	global_load_b32 v1, v[16:17], off
	s_mov_b32 s7, 0
	s_mov_b32 s14, -1
	s_wait_loadcnt 0x0
	v_lshlrev_b32_e32 v1, 16, v1
	s_delay_alu instid0(VALU_DEP_1)
	v_cvt_i32_f32_e32 v10, v1
	s_branch .LBB379_2286
.LBB379_2278:
	s_mov_b32 s6, -1
	s_mov_b32 s14, 0
                                        ; implicit-def: $vgpr10
	s_branch .LBB379_2348
.LBB379_2279:
	s_mov_b32 s17, -1
	s_mov_b32 s14, 0
	s_mov_b32 s7, 0
                                        ; implicit-def: $vgpr10
	s_branch .LBB379_2313
.LBB379_2280:
	s_mov_b32 s17, -1
	s_mov_b32 s14, 0
	s_mov_b32 s7, 0
                                        ; implicit-def: $vgpr10
	s_branch .LBB379_2296
.LBB379_2281:
	s_mov_b32 s17, -1
	s_mov_b32 s14, 0
	s_mov_b32 s7, 0
                                        ; implicit-def: $vgpr10
	s_branch .LBB379_2291
.LBB379_2282:
	s_or_b32 s13, s13, exec_lo
	s_trap 2
	s_cbranch_execz .LBB379_2219
	s_branch .LBB379_2220
.LBB379_2283:
	s_mov_b32 s17, -1
	s_mov_b32 s14, 0
	s_mov_b32 s7, 0
	s_branch .LBB379_2285
.LBB379_2284:
	s_mov_b32 s7, -1
	s_mov_b32 s14, 0
.LBB379_2285:
                                        ; implicit-def: $vgpr10
.LBB379_2286:
	s_and_b32 vcc_lo, exec_lo, s17
	s_cbranch_vccz .LBB379_2290
; %bb.2287:
	s_cmp_eq_u32 s6, 44
	s_cbranch_scc0 .LBB379_2289
; %bb.2288:
	s_wait_loadcnt 0x0
	global_load_u8 v1, v[16:17], off
	s_mov_b32 s7, 0
	s_mov_b32 s14, -1
	s_wait_loadcnt 0x0
	v_lshlrev_b32_e32 v3, 23, v1
	v_cmp_ne_u32_e32 vcc_lo, 0, v1
	s_delay_alu instid0(VALU_DEP_2) | instskip(NEXT) | instid1(VALU_DEP_1)
	v_cvt_i32_f32_e32 v3, v3
	v_cndmask_b32_e32 v10, 0, v3, vcc_lo
	s_branch .LBB379_2290
.LBB379_2289:
	s_mov_b32 s7, -1
                                        ; implicit-def: $vgpr10
.LBB379_2290:
	s_mov_b32 s17, 0
.LBB379_2291:
	s_delay_alu instid0(SALU_CYCLE_1)
	s_and_b32 vcc_lo, exec_lo, s17
	s_cbranch_vccz .LBB379_2295
; %bb.2292:
	s_cmp_eq_u32 s6, 29
	s_cbranch_scc0 .LBB379_2294
; %bb.2293:
	global_load_b64 v[10:11], v[16:17], off
	s_mov_b32 s7, 0
	s_mov_b32 s14, -1
	s_branch .LBB379_2295
.LBB379_2294:
	s_mov_b32 s7, -1
                                        ; implicit-def: $vgpr10
.LBB379_2295:
	s_mov_b32 s17, 0
.LBB379_2296:
	s_delay_alu instid0(SALU_CYCLE_1)
	s_and_b32 vcc_lo, exec_lo, s17
	s_cbranch_vccz .LBB379_2312
; %bb.2297:
	s_cmp_lt_i32 s6, 27
	s_cbranch_scc1 .LBB379_2300
; %bb.2298:
	s_cmp_gt_i32 s6, 27
	s_cbranch_scc0 .LBB379_2301
; %bb.2299:
	s_wait_loadcnt 0x0
	global_load_b32 v10, v[16:17], off
	s_mov_b32 s14, 0
	s_branch .LBB379_2302
.LBB379_2300:
	s_mov_b32 s14, -1
                                        ; implicit-def: $vgpr10
	s_branch .LBB379_2305
.LBB379_2301:
	s_mov_b32 s14, -1
                                        ; implicit-def: $vgpr10
.LBB379_2302:
	s_delay_alu instid0(SALU_CYCLE_1)
	s_and_not1_b32 vcc_lo, exec_lo, s14
	s_cbranch_vccnz .LBB379_2304
; %bb.2303:
	s_wait_loadcnt 0x0
	global_load_u16 v10, v[16:17], off
.LBB379_2304:
	s_mov_b32 s14, 0
.LBB379_2305:
	s_delay_alu instid0(SALU_CYCLE_1)
	s_and_not1_b32 vcc_lo, exec_lo, s14
	s_cbranch_vccnz .LBB379_2311
; %bb.2306:
	s_wait_loadcnt 0x0
	global_load_u8 v1, v[16:17], off
	s_mov_b32 s17, 0
	s_mov_b32 s14, exec_lo
	s_wait_loadcnt 0x0
	v_cmpx_lt_i16_e32 0x7f, v1
	s_xor_b32 s14, exec_lo, s14
	s_cbranch_execz .LBB379_2323
; %bb.2307:
	v_cmp_ne_u16_e32 vcc_lo, 0x80, v1
	s_and_b32 s17, vcc_lo, exec_lo
	s_and_not1_saveexec_b32 s14, s14
	s_cbranch_execnz .LBB379_2324
.LBB379_2308:
	s_or_b32 exec_lo, exec_lo, s14
	v_mov_b32_e32 v10, 0
	s_and_saveexec_b32 s14, s17
	s_cbranch_execz .LBB379_2310
.LBB379_2309:
	v_and_b32_e32 v3, 0xffff, v1
	s_delay_alu instid0(VALU_DEP_1) | instskip(SKIP_1) | instid1(VALU_DEP_2)
	v_dual_lshlrev_b32 v1, 24, v1 :: v_dual_bitop2_b32 v5, 7, v3 bitop3:0x40
	v_bfe_u32 v10, v3, 3, 4
	v_and_b32_e32 v1, 0x80000000, v1
	s_delay_alu instid0(VALU_DEP_3) | instskip(NEXT) | instid1(VALU_DEP_3)
	v_clz_i32_u32_e32 v7, v5
	v_cmp_eq_u32_e32 vcc_lo, 0, v10
	s_delay_alu instid0(VALU_DEP_2) | instskip(NEXT) | instid1(VALU_DEP_1)
	v_min_u32_e32 v7, 32, v7
	v_subrev_nc_u32_e32 v9, 28, v7
	v_sub_nc_u32_e32 v7, 29, v7
	s_delay_alu instid0(VALU_DEP_2) | instskip(NEXT) | instid1(VALU_DEP_2)
	v_lshlrev_b32_e32 v3, v9, v3
	v_cndmask_b32_e32 v7, v10, v7, vcc_lo
	s_delay_alu instid0(VALU_DEP_2) | instskip(NEXT) | instid1(VALU_DEP_1)
	v_and_b32_e32 v3, 7, v3
	v_cndmask_b32_e32 v3, v5, v3, vcc_lo
	s_delay_alu instid0(VALU_DEP_3) | instskip(NEXT) | instid1(VALU_DEP_2)
	v_lshl_add_u32 v5, v7, 23, 0x3b800000
	v_lshlrev_b32_e32 v3, 20, v3
	s_delay_alu instid0(VALU_DEP_1) | instskip(NEXT) | instid1(VALU_DEP_1)
	v_or3_b32 v1, v1, v5, v3
	v_cvt_i32_f32_e32 v10, v1
.LBB379_2310:
	s_or_b32 exec_lo, exec_lo, s14
.LBB379_2311:
	s_mov_b32 s14, -1
.LBB379_2312:
	s_mov_b32 s17, 0
.LBB379_2313:
	s_delay_alu instid0(SALU_CYCLE_1)
	s_and_b32 vcc_lo, exec_lo, s17
	s_cbranch_vccz .LBB379_2344
; %bb.2314:
	s_cmp_gt_i32 s6, 22
	s_cbranch_scc0 .LBB379_2322
; %bb.2315:
	s_cmp_lt_i32 s6, 24
	s_cbranch_scc1 .LBB379_2325
; %bb.2316:
	s_cmp_gt_i32 s6, 24
	s_cbranch_scc0 .LBB379_2326
; %bb.2317:
	s_wait_loadcnt 0x0
	global_load_u8 v1, v[16:17], off
	s_mov_b32 s14, 0
	s_mov_b32 s9, exec_lo
	s_wait_loadcnt 0x0
	v_cmpx_lt_i16_e32 0x7f, v1
	s_xor_b32 s9, exec_lo, s9
	s_cbranch_execz .LBB379_2338
; %bb.2318:
	v_cmp_ne_u16_e32 vcc_lo, 0x80, v1
	s_and_b32 s14, vcc_lo, exec_lo
	s_and_not1_saveexec_b32 s9, s9
	s_cbranch_execnz .LBB379_2339
.LBB379_2319:
	s_or_b32 exec_lo, exec_lo, s9
	v_mov_b32_e32 v10, 0
	s_and_saveexec_b32 s9, s14
	s_cbranch_execz .LBB379_2321
.LBB379_2320:
	v_and_b32_e32 v3, 0xffff, v1
	s_delay_alu instid0(VALU_DEP_1) | instskip(SKIP_1) | instid1(VALU_DEP_2)
	v_dual_lshlrev_b32 v1, 24, v1 :: v_dual_bitop2_b32 v5, 3, v3 bitop3:0x40
	v_bfe_u32 v10, v3, 2, 5
	v_and_b32_e32 v1, 0x80000000, v1
	s_delay_alu instid0(VALU_DEP_3) | instskip(NEXT) | instid1(VALU_DEP_3)
	v_clz_i32_u32_e32 v7, v5
	v_cmp_eq_u32_e32 vcc_lo, 0, v10
	s_delay_alu instid0(VALU_DEP_2) | instskip(NEXT) | instid1(VALU_DEP_1)
	v_min_u32_e32 v7, 32, v7
	v_subrev_nc_u32_e32 v9, 29, v7
	v_sub_nc_u32_e32 v7, 30, v7
	s_delay_alu instid0(VALU_DEP_2) | instskip(NEXT) | instid1(VALU_DEP_2)
	v_lshlrev_b32_e32 v3, v9, v3
	v_cndmask_b32_e32 v7, v10, v7, vcc_lo
	s_delay_alu instid0(VALU_DEP_2) | instskip(NEXT) | instid1(VALU_DEP_1)
	v_and_b32_e32 v3, 3, v3
	v_cndmask_b32_e32 v3, v5, v3, vcc_lo
	s_delay_alu instid0(VALU_DEP_3) | instskip(NEXT) | instid1(VALU_DEP_2)
	v_lshl_add_u32 v5, v7, 23, 0x37800000
	v_lshlrev_b32_e32 v3, 21, v3
	s_delay_alu instid0(VALU_DEP_1) | instskip(NEXT) | instid1(VALU_DEP_1)
	v_or3_b32 v1, v1, v5, v3
	v_cvt_i32_f32_e32 v10, v1
.LBB379_2321:
	s_or_b32 exec_lo, exec_lo, s9
	s_mov_b32 s9, 0
	s_branch .LBB379_2327
.LBB379_2322:
	s_mov_b32 s9, -1
                                        ; implicit-def: $vgpr10
	s_branch .LBB379_2333
.LBB379_2323:
	s_and_not1_saveexec_b32 s14, s14
	s_cbranch_execz .LBB379_2308
.LBB379_2324:
	v_cmp_ne_u16_e32 vcc_lo, 0, v1
	s_and_not1_b32 s17, s17, exec_lo
	s_and_b32 s18, vcc_lo, exec_lo
	s_delay_alu instid0(SALU_CYCLE_1)
	s_or_b32 s17, s17, s18
	s_or_b32 exec_lo, exec_lo, s14
	v_mov_b32_e32 v10, 0
	s_and_saveexec_b32 s14, s17
	s_cbranch_execnz .LBB379_2309
	s_branch .LBB379_2310
.LBB379_2325:
	s_mov_b32 s9, -1
                                        ; implicit-def: $vgpr10
	s_branch .LBB379_2330
.LBB379_2326:
	s_mov_b32 s9, -1
                                        ; implicit-def: $vgpr10
.LBB379_2327:
	s_delay_alu instid0(SALU_CYCLE_1)
	s_and_b32 vcc_lo, exec_lo, s9
	s_cbranch_vccz .LBB379_2329
; %bb.2328:
	s_wait_loadcnt 0x0
	global_load_u8 v1, v[16:17], off
	s_wait_loadcnt 0x0
	v_lshlrev_b32_e32 v1, 24, v1
	s_delay_alu instid0(VALU_DEP_1) | instskip(NEXT) | instid1(VALU_DEP_1)
	v_and_b32_e32 v3, 0x7f000000, v1
	v_clz_i32_u32_e32 v5, v3
	v_add_nc_u32_e32 v9, 0x1000000, v3
	v_cmp_ne_u32_e32 vcc_lo, 0, v3
	s_delay_alu instid0(VALU_DEP_3) | instskip(NEXT) | instid1(VALU_DEP_1)
	v_min_u32_e32 v5, 32, v5
	v_sub_nc_u32_e64 v5, v5, 4 clamp
	s_delay_alu instid0(VALU_DEP_1) | instskip(NEXT) | instid1(VALU_DEP_1)
	v_dual_lshlrev_b32 v7, v5, v3 :: v_dual_lshlrev_b32 v5, 23, v5
	v_lshrrev_b32_e32 v7, 4, v7
	s_delay_alu instid0(VALU_DEP_1) | instskip(SKIP_1) | instid1(VALU_DEP_2)
	v_sub_nc_u32_e32 v5, v7, v5
	v_ashrrev_i32_e32 v7, 8, v9
	v_add_nc_u32_e32 v5, 0x3c000000, v5
	s_delay_alu instid0(VALU_DEP_1) | instskip(NEXT) | instid1(VALU_DEP_1)
	v_and_or_b32 v5, 0x7f800000, v7, v5
	v_cndmask_b32_e32 v3, 0, v5, vcc_lo
	s_delay_alu instid0(VALU_DEP_1) | instskip(NEXT) | instid1(VALU_DEP_1)
	v_and_or_b32 v1, 0x80000000, v1, v3
	v_cvt_i32_f32_e32 v10, v1
.LBB379_2329:
	s_mov_b32 s9, 0
.LBB379_2330:
	s_delay_alu instid0(SALU_CYCLE_1)
	s_and_not1_b32 vcc_lo, exec_lo, s9
	s_cbranch_vccnz .LBB379_2332
; %bb.2331:
	s_wait_loadcnt 0x0
	global_load_u8 v1, v[16:17], off
	s_wait_loadcnt 0x0
	v_lshlrev_b32_e32 v3, 25, v1
	v_lshlrev_b16 v1, 8, v1
	s_delay_alu instid0(VALU_DEP_1) | instskip(SKIP_1) | instid1(VALU_DEP_2)
	v_and_or_b32 v7, 0x7f00, v1, 0.5
	v_bfe_i32 v1, v1, 0, 16
	v_add_f32_e32 v7, -0.5, v7
	v_lshrrev_b32_e32 v5, 4, v3
	v_cmp_gt_u32_e32 vcc_lo, 0x8000000, v3
	s_delay_alu instid0(VALU_DEP_2) | instskip(NEXT) | instid1(VALU_DEP_1)
	v_or_b32_e32 v5, 0x70000000, v5
	v_mul_f32_e32 v5, 0x7800000, v5
	s_delay_alu instid0(VALU_DEP_1) | instskip(NEXT) | instid1(VALU_DEP_1)
	v_cndmask_b32_e32 v3, v5, v7, vcc_lo
	v_and_or_b32 v1, 0x80000000, v1, v3
	s_delay_alu instid0(VALU_DEP_1)
	v_cvt_i32_f32_e32 v10, v1
.LBB379_2332:
	s_mov_b32 s9, 0
	s_mov_b32 s14, -1
.LBB379_2333:
	s_and_not1_b32 vcc_lo, exec_lo, s9
	s_mov_b32 s9, 0
	s_cbranch_vccnz .LBB379_2344
; %bb.2334:
	s_cmp_gt_i32 s6, 14
	s_cbranch_scc0 .LBB379_2337
; %bb.2335:
	s_cmp_eq_u32 s6, 15
	s_cbranch_scc0 .LBB379_2340
; %bb.2336:
	s_wait_loadcnt 0x0
	global_load_u16 v1, v[16:17], off
	s_mov_b32 s7, 0
	s_mov_b32 s14, -1
	s_wait_loadcnt 0x0
	v_lshlrev_b32_e32 v1, 16, v1
	s_delay_alu instid0(VALU_DEP_1)
	v_cvt_i32_f32_e32 v10, v1
	s_branch .LBB379_2342
.LBB379_2337:
	s_mov_b32 s9, -1
	s_branch .LBB379_2341
.LBB379_2338:
	s_and_not1_saveexec_b32 s9, s9
	s_cbranch_execz .LBB379_2319
.LBB379_2339:
	v_cmp_ne_u16_e32 vcc_lo, 0, v1
	s_and_not1_b32 s14, s14, exec_lo
	s_and_b32 s17, vcc_lo, exec_lo
	s_delay_alu instid0(SALU_CYCLE_1)
	s_or_b32 s14, s14, s17
	s_or_b32 exec_lo, exec_lo, s9
	v_mov_b32_e32 v10, 0
	s_and_saveexec_b32 s9, s14
	s_cbranch_execnz .LBB379_2320
	s_branch .LBB379_2321
.LBB379_2340:
	s_mov_b32 s7, -1
.LBB379_2341:
                                        ; implicit-def: $vgpr10
.LBB379_2342:
	s_and_b32 vcc_lo, exec_lo, s9
	s_mov_b32 s9, 0
	s_cbranch_vccz .LBB379_2344
; %bb.2343:
	s_cmp_lg_u32 s6, 11
	s_mov_b32 s9, -1
	s_cselect_b32 s7, -1, 0
.LBB379_2344:
	s_delay_alu instid0(SALU_CYCLE_1)
	s_and_b32 vcc_lo, exec_lo, s7
	s_cbranch_vccnz .LBB379_2409
; %bb.2345:
	s_and_not1_b32 vcc_lo, exec_lo, s9
	s_cbranch_vccnz .LBB379_2347
.LBB379_2346:
	s_wait_loadcnt 0x0
	global_load_u8 v1, v[16:17], off
	s_mov_b32 s14, -1
	s_wait_loadcnt 0x0
	v_cmp_ne_u16_e32 vcc_lo, 0, v1
	v_cndmask_b32_e64 v10, 0, 1, vcc_lo
.LBB379_2347:
	s_mov_b32 s6, 0
.LBB379_2348:
	s_delay_alu instid0(SALU_CYCLE_1)
	s_and_b32 vcc_lo, exec_lo, s6
	s_cbranch_vccz .LBB379_2397
; %bb.2349:
	s_and_b32 s0, 0xffff, s0
	s_delay_alu instid0(SALU_CYCLE_1)
	s_cmp_lt_i32 s0, 5
	s_cbranch_scc1 .LBB379_2354
; %bb.2350:
	s_cmp_lt_i32 s0, 8
	s_cbranch_scc1 .LBB379_2355
; %bb.2351:
	;; [unrolled: 3-line block ×3, first 2 shown]
	s_cmp_gt_i32 s0, 9
	s_cbranch_scc0 .LBB379_2357
; %bb.2353:
	s_wait_loadcnt 0x0
	global_load_b64 v[10:11], v[16:17], off
	s_mov_b32 s6, 0
	s_wait_loadcnt 0x0
	v_cvt_i32_f64_e32 v10, v[10:11]
	s_branch .LBB379_2358
.LBB379_2354:
	s_mov_b32 s6, -1
                                        ; implicit-def: $vgpr10
	s_branch .LBB379_2376
.LBB379_2355:
	s_mov_b32 s6, -1
                                        ; implicit-def: $vgpr10
	s_branch .LBB379_2364
.LBB379_2356:
	s_mov_b32 s6, -1
                                        ; implicit-def: $vgpr10
	s_branch .LBB379_2361
.LBB379_2357:
	s_mov_b32 s6, -1
                                        ; implicit-def: $vgpr10
.LBB379_2358:
	s_delay_alu instid0(SALU_CYCLE_1)
	s_and_not1_b32 vcc_lo, exec_lo, s6
	s_cbranch_vccnz .LBB379_2360
; %bb.2359:
	s_wait_loadcnt 0x0
	global_load_b32 v1, v[16:17], off
	s_wait_loadcnt 0x0
	v_cvt_i32_f32_e32 v10, v1
.LBB379_2360:
	s_mov_b32 s6, 0
.LBB379_2361:
	s_delay_alu instid0(SALU_CYCLE_1)
	s_and_not1_b32 vcc_lo, exec_lo, s6
	s_cbranch_vccnz .LBB379_2363
; %bb.2362:
	s_wait_loadcnt 0x0
	global_load_b32 v1, v[16:17], off
	s_wait_loadcnt 0x0
	v_cvt_i16_f16_e32 v10, v1
.LBB379_2363:
	s_mov_b32 s6, 0
.LBB379_2364:
	s_delay_alu instid0(SALU_CYCLE_1)
	s_and_not1_b32 vcc_lo, exec_lo, s6
	s_cbranch_vccnz .LBB379_2375
; %bb.2365:
	s_cmp_lt_i32 s0, 6
	s_cbranch_scc1 .LBB379_2368
; %bb.2366:
	s_cmp_gt_i32 s0, 6
	s_cbranch_scc0 .LBB379_2369
; %bb.2367:
	s_wait_loadcnt 0x0
	global_load_b64 v[10:11], v[16:17], off
	s_mov_b32 s6, 0
	s_wait_loadcnt 0x0
	v_cvt_i32_f64_e32 v10, v[10:11]
	s_branch .LBB379_2370
.LBB379_2368:
	s_mov_b32 s6, -1
                                        ; implicit-def: $vgpr10
	s_branch .LBB379_2373
.LBB379_2369:
	s_mov_b32 s6, -1
                                        ; implicit-def: $vgpr10
.LBB379_2370:
	s_delay_alu instid0(SALU_CYCLE_1)
	s_and_not1_b32 vcc_lo, exec_lo, s6
	s_cbranch_vccnz .LBB379_2372
; %bb.2371:
	s_wait_loadcnt 0x0
	global_load_b32 v1, v[16:17], off
	s_wait_loadcnt 0x0
	v_cvt_i32_f32_e32 v10, v1
.LBB379_2372:
	s_mov_b32 s6, 0
.LBB379_2373:
	s_delay_alu instid0(SALU_CYCLE_1)
	s_and_not1_b32 vcc_lo, exec_lo, s6
	s_cbranch_vccnz .LBB379_2375
; %bb.2374:
	s_wait_loadcnt 0x0
	global_load_u16 v1, v[16:17], off
	s_wait_loadcnt 0x0
	v_cvt_i16_f16_e32 v10, v1
.LBB379_2375:
	s_mov_b32 s6, 0
.LBB379_2376:
	s_delay_alu instid0(SALU_CYCLE_1)
	s_and_not1_b32 vcc_lo, exec_lo, s6
	s_cbranch_vccnz .LBB379_2396
; %bb.2377:
	s_cmp_lt_i32 s0, 2
	s_cbranch_scc1 .LBB379_2381
; %bb.2378:
	s_cmp_lt_i32 s0, 3
	s_cbranch_scc1 .LBB379_2382
; %bb.2379:
	s_cmp_gt_i32 s0, 3
	s_cbranch_scc0 .LBB379_2383
; %bb.2380:
	s_wait_loadcnt 0x0
	global_load_b64 v[10:11], v[16:17], off
	s_mov_b32 s6, 0
	s_branch .LBB379_2384
.LBB379_2381:
	s_mov_b32 s6, -1
                                        ; implicit-def: $vgpr10
	s_branch .LBB379_2390
.LBB379_2382:
	s_mov_b32 s6, -1
                                        ; implicit-def: $vgpr10
	s_branch .LBB379_2387
.LBB379_2383:
	s_mov_b32 s6, -1
                                        ; implicit-def: $vgpr10
.LBB379_2384:
	s_delay_alu instid0(SALU_CYCLE_1)
	s_and_not1_b32 vcc_lo, exec_lo, s6
	s_cbranch_vccnz .LBB379_2386
; %bb.2385:
	s_wait_loadcnt 0x0
	global_load_b32 v10, v[16:17], off
.LBB379_2386:
	s_mov_b32 s6, 0
.LBB379_2387:
	s_delay_alu instid0(SALU_CYCLE_1)
	s_and_not1_b32 vcc_lo, exec_lo, s6
	s_cbranch_vccnz .LBB379_2389
; %bb.2388:
	s_wait_loadcnt 0x0
	global_load_u16 v10, v[16:17], off
.LBB379_2389:
	s_mov_b32 s6, 0
.LBB379_2390:
	s_delay_alu instid0(SALU_CYCLE_1)
	s_and_not1_b32 vcc_lo, exec_lo, s6
	s_cbranch_vccnz .LBB379_2396
; %bb.2391:
	s_cmp_gt_i32 s0, 0
	s_mov_b32 s0, 0
	s_cbranch_scc0 .LBB379_2393
; %bb.2392:
	s_wait_loadcnt 0x0
	global_load_u8 v10, v[16:17], off
	s_branch .LBB379_2394
.LBB379_2393:
	s_mov_b32 s0, -1
                                        ; implicit-def: $vgpr10
.LBB379_2394:
	s_delay_alu instid0(SALU_CYCLE_1)
	s_and_not1_b32 vcc_lo, exec_lo, s0
	s_cbranch_vccnz .LBB379_2396
; %bb.2395:
	s_wait_loadcnt 0x0
	global_load_u8 v10, v[16:17], off
.LBB379_2396:
	s_mov_b32 s14, -1
.LBB379_2397:
	s_delay_alu instid0(SALU_CYCLE_1)
	s_and_not1_b32 vcc_lo, exec_lo, s14
	s_cbranch_vccnz .LBB379_2957
; %bb.2398:
	v_add_nc_u32_e32 v14, s10, v14
	s_cmp_lt_i32 s1, 11
	s_delay_alu instid0(VALU_DEP_1) | instskip(SKIP_1) | instid1(VALU_DEP_1)
	v_ashrrev_i32_e32 v15, 31, v14
	s_wait_xcnt 0x0
	v_add_nc_u64_e32 v[16:17], s[2:3], v[14:15]
	s_cbranch_scc1 .LBB379_2405
; %bb.2399:
	s_and_b32 s0, 0xffff, s1
	s_mov_b32 s3, 0
	s_cmp_gt_i32 s0, 25
	s_cbranch_scc0 .LBB379_2406
; %bb.2400:
	s_cmp_gt_i32 s0, 28
	s_cbranch_scc0 .LBB379_2407
; %bb.2401:
	;; [unrolled: 3-line block ×4, first 2 shown]
	s_cmp_eq_u32 s0, 46
	s_mov_b32 s7, 0
	s_cbranch_scc0 .LBB379_2411
; %bb.2404:
	s_wait_loadcnt 0x0
	global_load_b32 v1, v[16:17], off
	s_mov_b32 s2, 0
	s_mov_b32 s6, -1
	s_wait_loadcnt 0x0
	v_lshlrev_b32_e32 v1, 16, v1
	s_delay_alu instid0(VALU_DEP_1)
	v_cvt_i32_f32_e32 v14, v1
	s_branch .LBB379_2413
.LBB379_2405:
	s_mov_b32 s0, -1
	s_mov_b32 s6, 0
                                        ; implicit-def: $vgpr14
	s_branch .LBB379_2475
.LBB379_2406:
	s_mov_b32 s7, -1
	s_mov_b32 s6, 0
	s_mov_b32 s2, 0
                                        ; implicit-def: $vgpr14
	s_branch .LBB379_2440
.LBB379_2407:
	s_mov_b32 s7, -1
	s_mov_b32 s6, 0
	s_mov_b32 s2, 0
                                        ; implicit-def: $vgpr14
	s_branch .LBB379_2423
.LBB379_2408:
	s_mov_b32 s7, -1
	s_mov_b32 s6, 0
	s_mov_b32 s2, 0
                                        ; implicit-def: $vgpr14
	s_branch .LBB379_2418
.LBB379_2409:
	s_or_b32 s13, s13, exec_lo
	s_trap 2
	s_cbranch_execz .LBB379_2346
	s_branch .LBB379_2347
.LBB379_2410:
	s_mov_b32 s7, -1
	s_mov_b32 s6, 0
	s_mov_b32 s2, 0
	s_branch .LBB379_2412
.LBB379_2411:
	s_mov_b32 s2, -1
	s_mov_b32 s6, 0
.LBB379_2412:
                                        ; implicit-def: $vgpr14
.LBB379_2413:
	s_and_b32 vcc_lo, exec_lo, s7
	s_cbranch_vccz .LBB379_2417
; %bb.2414:
	s_cmp_eq_u32 s0, 44
	s_cbranch_scc0 .LBB379_2416
; %bb.2415:
	s_wait_loadcnt 0x0
	global_load_u8 v1, v[16:17], off
	s_mov_b32 s2, 0
	s_mov_b32 s6, -1
	s_wait_loadcnt 0x0
	v_lshlrev_b32_e32 v3, 23, v1
	v_cmp_ne_u32_e32 vcc_lo, 0, v1
	s_delay_alu instid0(VALU_DEP_2) | instskip(NEXT) | instid1(VALU_DEP_1)
	v_cvt_i32_f32_e32 v3, v3
	v_cndmask_b32_e32 v14, 0, v3, vcc_lo
	s_branch .LBB379_2417
.LBB379_2416:
	s_mov_b32 s2, -1
                                        ; implicit-def: $vgpr14
.LBB379_2417:
	s_mov_b32 s7, 0
.LBB379_2418:
	s_delay_alu instid0(SALU_CYCLE_1)
	s_and_b32 vcc_lo, exec_lo, s7
	s_cbranch_vccz .LBB379_2422
; %bb.2419:
	s_cmp_eq_u32 s0, 29
	s_cbranch_scc0 .LBB379_2421
; %bb.2420:
	global_load_b64 v[14:15], v[16:17], off
	s_mov_b32 s2, 0
	s_mov_b32 s6, -1
	s_branch .LBB379_2422
.LBB379_2421:
	s_mov_b32 s2, -1
                                        ; implicit-def: $vgpr14
.LBB379_2422:
	s_mov_b32 s7, 0
.LBB379_2423:
	s_delay_alu instid0(SALU_CYCLE_1)
	s_and_b32 vcc_lo, exec_lo, s7
	s_cbranch_vccz .LBB379_2439
; %bb.2424:
	s_cmp_lt_i32 s0, 27
	s_cbranch_scc1 .LBB379_2427
; %bb.2425:
	s_cmp_gt_i32 s0, 27
	s_cbranch_scc0 .LBB379_2428
; %bb.2426:
	s_wait_loadcnt 0x0
	global_load_b32 v14, v[16:17], off
	s_mov_b32 s6, 0
	s_branch .LBB379_2429
.LBB379_2427:
	s_mov_b32 s6, -1
                                        ; implicit-def: $vgpr14
	s_branch .LBB379_2432
.LBB379_2428:
	s_mov_b32 s6, -1
                                        ; implicit-def: $vgpr14
.LBB379_2429:
	s_delay_alu instid0(SALU_CYCLE_1)
	s_and_not1_b32 vcc_lo, exec_lo, s6
	s_cbranch_vccnz .LBB379_2431
; %bb.2430:
	s_wait_loadcnt 0x0
	global_load_u16 v14, v[16:17], off
.LBB379_2431:
	s_mov_b32 s6, 0
.LBB379_2432:
	s_delay_alu instid0(SALU_CYCLE_1)
	s_and_not1_b32 vcc_lo, exec_lo, s6
	s_cbranch_vccnz .LBB379_2438
; %bb.2433:
	s_wait_loadcnt 0x0
	global_load_u8 v1, v[16:17], off
	s_mov_b32 s7, 0
	s_mov_b32 s6, exec_lo
	s_wait_loadcnt 0x0
	v_cmpx_lt_i16_e32 0x7f, v1
	s_xor_b32 s6, exec_lo, s6
	s_cbranch_execz .LBB379_2450
; %bb.2434:
	v_cmp_ne_u16_e32 vcc_lo, 0x80, v1
	s_and_b32 s7, vcc_lo, exec_lo
	s_and_not1_saveexec_b32 s6, s6
	s_cbranch_execnz .LBB379_2451
.LBB379_2435:
	s_or_b32 exec_lo, exec_lo, s6
	v_mov_b32_e32 v14, 0
	s_and_saveexec_b32 s6, s7
	s_cbranch_execz .LBB379_2437
.LBB379_2436:
	v_and_b32_e32 v3, 0xffff, v1
	s_delay_alu instid0(VALU_DEP_1) | instskip(SKIP_1) | instid1(VALU_DEP_2)
	v_dual_lshlrev_b32 v1, 24, v1 :: v_dual_bitop2_b32 v5, 7, v3 bitop3:0x40
	v_bfe_u32 v11, v3, 3, 4
	v_and_b32_e32 v1, 0x80000000, v1
	s_delay_alu instid0(VALU_DEP_3) | instskip(NEXT) | instid1(VALU_DEP_3)
	v_clz_i32_u32_e32 v7, v5
	v_cmp_eq_u32_e32 vcc_lo, 0, v11
	s_delay_alu instid0(VALU_DEP_2) | instskip(NEXT) | instid1(VALU_DEP_1)
	v_min_u32_e32 v7, 32, v7
	v_subrev_nc_u32_e32 v9, 28, v7
	v_sub_nc_u32_e32 v7, 29, v7
	s_delay_alu instid0(VALU_DEP_2) | instskip(NEXT) | instid1(VALU_DEP_2)
	v_lshlrev_b32_e32 v3, v9, v3
	v_cndmask_b32_e32 v7, v11, v7, vcc_lo
	s_delay_alu instid0(VALU_DEP_2) | instskip(NEXT) | instid1(VALU_DEP_1)
	v_and_b32_e32 v3, 7, v3
	v_cndmask_b32_e32 v3, v5, v3, vcc_lo
	s_delay_alu instid0(VALU_DEP_3) | instskip(NEXT) | instid1(VALU_DEP_2)
	v_lshl_add_u32 v5, v7, 23, 0x3b800000
	v_lshlrev_b32_e32 v3, 20, v3
	s_delay_alu instid0(VALU_DEP_1) | instskip(NEXT) | instid1(VALU_DEP_1)
	v_or3_b32 v1, v1, v5, v3
	v_cvt_i32_f32_e32 v14, v1
.LBB379_2437:
	s_or_b32 exec_lo, exec_lo, s6
.LBB379_2438:
	s_mov_b32 s6, -1
.LBB379_2439:
	s_mov_b32 s7, 0
.LBB379_2440:
	s_delay_alu instid0(SALU_CYCLE_1)
	s_and_b32 vcc_lo, exec_lo, s7
	s_cbranch_vccz .LBB379_2471
; %bb.2441:
	s_cmp_gt_i32 s0, 22
	s_cbranch_scc0 .LBB379_2449
; %bb.2442:
	s_cmp_lt_i32 s0, 24
	s_cbranch_scc1 .LBB379_2452
; %bb.2443:
	s_cmp_gt_i32 s0, 24
	s_cbranch_scc0 .LBB379_2453
; %bb.2444:
	s_wait_loadcnt 0x0
	global_load_u8 v1, v[16:17], off
	s_mov_b32 s6, 0
	s_mov_b32 s3, exec_lo
	s_wait_loadcnt 0x0
	v_cmpx_lt_i16_e32 0x7f, v1
	s_xor_b32 s3, exec_lo, s3
	s_cbranch_execz .LBB379_2465
; %bb.2445:
	v_cmp_ne_u16_e32 vcc_lo, 0x80, v1
	s_and_b32 s6, vcc_lo, exec_lo
	s_and_not1_saveexec_b32 s3, s3
	s_cbranch_execnz .LBB379_2466
.LBB379_2446:
	s_or_b32 exec_lo, exec_lo, s3
	v_mov_b32_e32 v14, 0
	s_and_saveexec_b32 s3, s6
	s_cbranch_execz .LBB379_2448
.LBB379_2447:
	v_and_b32_e32 v3, 0xffff, v1
	s_delay_alu instid0(VALU_DEP_1) | instskip(SKIP_1) | instid1(VALU_DEP_2)
	v_dual_lshlrev_b32 v1, 24, v1 :: v_dual_bitop2_b32 v5, 3, v3 bitop3:0x40
	v_bfe_u32 v11, v3, 2, 5
	v_and_b32_e32 v1, 0x80000000, v1
	s_delay_alu instid0(VALU_DEP_3) | instskip(NEXT) | instid1(VALU_DEP_3)
	v_clz_i32_u32_e32 v7, v5
	v_cmp_eq_u32_e32 vcc_lo, 0, v11
	s_delay_alu instid0(VALU_DEP_2) | instskip(NEXT) | instid1(VALU_DEP_1)
	v_min_u32_e32 v7, 32, v7
	v_subrev_nc_u32_e32 v9, 29, v7
	v_sub_nc_u32_e32 v7, 30, v7
	s_delay_alu instid0(VALU_DEP_2) | instskip(NEXT) | instid1(VALU_DEP_2)
	v_lshlrev_b32_e32 v3, v9, v3
	v_cndmask_b32_e32 v7, v11, v7, vcc_lo
	s_delay_alu instid0(VALU_DEP_2) | instskip(NEXT) | instid1(VALU_DEP_1)
	v_and_b32_e32 v3, 3, v3
	v_cndmask_b32_e32 v3, v5, v3, vcc_lo
	s_delay_alu instid0(VALU_DEP_3) | instskip(NEXT) | instid1(VALU_DEP_2)
	v_lshl_add_u32 v5, v7, 23, 0x37800000
	v_lshlrev_b32_e32 v3, 21, v3
	s_delay_alu instid0(VALU_DEP_1) | instskip(NEXT) | instid1(VALU_DEP_1)
	v_or3_b32 v1, v1, v5, v3
	v_cvt_i32_f32_e32 v14, v1
.LBB379_2448:
	s_or_b32 exec_lo, exec_lo, s3
	s_mov_b32 s3, 0
	s_branch .LBB379_2454
.LBB379_2449:
	s_mov_b32 s3, -1
                                        ; implicit-def: $vgpr14
	s_branch .LBB379_2460
.LBB379_2450:
	s_and_not1_saveexec_b32 s6, s6
	s_cbranch_execz .LBB379_2435
.LBB379_2451:
	v_cmp_ne_u16_e32 vcc_lo, 0, v1
	s_and_not1_b32 s7, s7, exec_lo
	s_and_b32 s9, vcc_lo, exec_lo
	s_delay_alu instid0(SALU_CYCLE_1)
	s_or_b32 s7, s7, s9
	s_or_b32 exec_lo, exec_lo, s6
	v_mov_b32_e32 v14, 0
	s_and_saveexec_b32 s6, s7
	s_cbranch_execnz .LBB379_2436
	s_branch .LBB379_2437
.LBB379_2452:
	s_mov_b32 s3, -1
                                        ; implicit-def: $vgpr14
	s_branch .LBB379_2457
.LBB379_2453:
	s_mov_b32 s3, -1
                                        ; implicit-def: $vgpr14
.LBB379_2454:
	s_delay_alu instid0(SALU_CYCLE_1)
	s_and_b32 vcc_lo, exec_lo, s3
	s_cbranch_vccz .LBB379_2456
; %bb.2455:
	s_wait_loadcnt 0x0
	global_load_u8 v1, v[16:17], off
	s_wait_loadcnt 0x0
	v_lshlrev_b32_e32 v1, 24, v1
	s_delay_alu instid0(VALU_DEP_1) | instskip(NEXT) | instid1(VALU_DEP_1)
	v_and_b32_e32 v3, 0x7f000000, v1
	v_clz_i32_u32_e32 v5, v3
	v_add_nc_u32_e32 v9, 0x1000000, v3
	v_cmp_ne_u32_e32 vcc_lo, 0, v3
	s_delay_alu instid0(VALU_DEP_3) | instskip(NEXT) | instid1(VALU_DEP_1)
	v_min_u32_e32 v5, 32, v5
	v_sub_nc_u32_e64 v5, v5, 4 clamp
	s_delay_alu instid0(VALU_DEP_1) | instskip(NEXT) | instid1(VALU_DEP_1)
	v_dual_lshlrev_b32 v7, v5, v3 :: v_dual_lshlrev_b32 v5, 23, v5
	v_lshrrev_b32_e32 v7, 4, v7
	s_delay_alu instid0(VALU_DEP_1) | instskip(SKIP_1) | instid1(VALU_DEP_2)
	v_sub_nc_u32_e32 v5, v7, v5
	v_ashrrev_i32_e32 v7, 8, v9
	v_add_nc_u32_e32 v5, 0x3c000000, v5
	s_delay_alu instid0(VALU_DEP_1) | instskip(NEXT) | instid1(VALU_DEP_1)
	v_and_or_b32 v5, 0x7f800000, v7, v5
	v_cndmask_b32_e32 v3, 0, v5, vcc_lo
	s_delay_alu instid0(VALU_DEP_1) | instskip(NEXT) | instid1(VALU_DEP_1)
	v_and_or_b32 v1, 0x80000000, v1, v3
	v_cvt_i32_f32_e32 v14, v1
.LBB379_2456:
	s_mov_b32 s3, 0
.LBB379_2457:
	s_delay_alu instid0(SALU_CYCLE_1)
	s_and_not1_b32 vcc_lo, exec_lo, s3
	s_cbranch_vccnz .LBB379_2459
; %bb.2458:
	s_wait_loadcnt 0x0
	global_load_u8 v1, v[16:17], off
	s_wait_loadcnt 0x0
	v_lshlrev_b32_e32 v3, 25, v1
	v_lshlrev_b16 v1, 8, v1
	s_delay_alu instid0(VALU_DEP_1) | instskip(SKIP_1) | instid1(VALU_DEP_2)
	v_and_or_b32 v7, 0x7f00, v1, 0.5
	v_bfe_i32 v1, v1, 0, 16
	v_add_f32_e32 v7, -0.5, v7
	v_lshrrev_b32_e32 v5, 4, v3
	v_cmp_gt_u32_e32 vcc_lo, 0x8000000, v3
	s_delay_alu instid0(VALU_DEP_2) | instskip(NEXT) | instid1(VALU_DEP_1)
	v_or_b32_e32 v5, 0x70000000, v5
	v_mul_f32_e32 v5, 0x7800000, v5
	s_delay_alu instid0(VALU_DEP_1) | instskip(NEXT) | instid1(VALU_DEP_1)
	v_cndmask_b32_e32 v3, v5, v7, vcc_lo
	v_and_or_b32 v1, 0x80000000, v1, v3
	s_delay_alu instid0(VALU_DEP_1)
	v_cvt_i32_f32_e32 v14, v1
.LBB379_2459:
	s_mov_b32 s3, 0
	s_mov_b32 s6, -1
.LBB379_2460:
	s_and_not1_b32 vcc_lo, exec_lo, s3
	s_mov_b32 s3, 0
	s_cbranch_vccnz .LBB379_2471
; %bb.2461:
	s_cmp_gt_i32 s0, 14
	s_cbranch_scc0 .LBB379_2464
; %bb.2462:
	s_cmp_eq_u32 s0, 15
	s_cbranch_scc0 .LBB379_2467
; %bb.2463:
	s_wait_loadcnt 0x0
	global_load_u16 v1, v[16:17], off
	s_mov_b32 s2, 0
	s_mov_b32 s6, -1
	s_wait_loadcnt 0x0
	v_lshlrev_b32_e32 v1, 16, v1
	s_delay_alu instid0(VALU_DEP_1)
	v_cvt_i32_f32_e32 v14, v1
	s_branch .LBB379_2469
.LBB379_2464:
	s_mov_b32 s3, -1
	s_branch .LBB379_2468
.LBB379_2465:
	s_and_not1_saveexec_b32 s3, s3
	s_cbranch_execz .LBB379_2446
.LBB379_2466:
	v_cmp_ne_u16_e32 vcc_lo, 0, v1
	s_and_not1_b32 s6, s6, exec_lo
	s_and_b32 s7, vcc_lo, exec_lo
	s_delay_alu instid0(SALU_CYCLE_1)
	s_or_b32 s6, s6, s7
	s_or_b32 exec_lo, exec_lo, s3
	v_mov_b32_e32 v14, 0
	s_and_saveexec_b32 s3, s6
	s_cbranch_execnz .LBB379_2447
	s_branch .LBB379_2448
.LBB379_2467:
	s_mov_b32 s2, -1
.LBB379_2468:
                                        ; implicit-def: $vgpr14
.LBB379_2469:
	s_and_b32 vcc_lo, exec_lo, s3
	s_mov_b32 s3, 0
	s_cbranch_vccz .LBB379_2471
; %bb.2470:
	s_cmp_lg_u32 s0, 11
	s_mov_b32 s3, -1
	s_cselect_b32 s2, -1, 0
.LBB379_2471:
	s_delay_alu instid0(SALU_CYCLE_1)
	s_and_b32 vcc_lo, exec_lo, s2
	s_cbranch_vccnz .LBB379_3003
; %bb.2472:
	s_and_not1_b32 vcc_lo, exec_lo, s3
	s_cbranch_vccnz .LBB379_2474
.LBB379_2473:
	s_wait_loadcnt 0x0
	global_load_u8 v1, v[16:17], off
	s_mov_b32 s6, -1
	s_wait_loadcnt 0x0
	v_cmp_ne_u16_e32 vcc_lo, 0, v1
	v_cndmask_b32_e64 v14, 0, 1, vcc_lo
.LBB379_2474:
	s_mov_b32 s0, 0
.LBB379_2475:
	s_delay_alu instid0(SALU_CYCLE_1)
	s_and_b32 vcc_lo, exec_lo, s0
	s_cbranch_vccz .LBB379_2524
; %bb.2476:
	s_and_b32 s0, 0xffff, s1
	s_delay_alu instid0(SALU_CYCLE_1)
	s_cmp_lt_i32 s0, 5
	s_cbranch_scc1 .LBB379_2481
; %bb.2477:
	s_cmp_lt_i32 s0, 8
	s_cbranch_scc1 .LBB379_2482
; %bb.2478:
	;; [unrolled: 3-line block ×3, first 2 shown]
	s_cmp_gt_i32 s0, 9
	s_cbranch_scc0 .LBB379_2484
; %bb.2480:
	s_wait_loadcnt 0x0
	global_load_b64 v[14:15], v[16:17], off
	s_mov_b32 s1, 0
	s_wait_loadcnt 0x0
	v_cvt_i32_f64_e32 v14, v[14:15]
	s_branch .LBB379_2485
.LBB379_2481:
	s_mov_b32 s1, -1
                                        ; implicit-def: $vgpr14
	s_branch .LBB379_2503
.LBB379_2482:
	s_mov_b32 s1, -1
                                        ; implicit-def: $vgpr14
	s_branch .LBB379_2491
.LBB379_2483:
	s_mov_b32 s1, -1
                                        ; implicit-def: $vgpr14
	s_branch .LBB379_2488
.LBB379_2484:
	s_mov_b32 s1, -1
                                        ; implicit-def: $vgpr14
.LBB379_2485:
	s_delay_alu instid0(SALU_CYCLE_1)
	s_and_not1_b32 vcc_lo, exec_lo, s1
	s_cbranch_vccnz .LBB379_2487
; %bb.2486:
	s_wait_loadcnt 0x0
	global_load_b32 v1, v[16:17], off
	s_wait_loadcnt 0x0
	v_cvt_i32_f32_e32 v14, v1
.LBB379_2487:
	s_mov_b32 s1, 0
.LBB379_2488:
	s_delay_alu instid0(SALU_CYCLE_1)
	s_and_not1_b32 vcc_lo, exec_lo, s1
	s_cbranch_vccnz .LBB379_2490
; %bb.2489:
	s_wait_loadcnt 0x0
	global_load_b32 v1, v[16:17], off
	s_wait_loadcnt 0x0
	v_cvt_i16_f16_e32 v14, v1
.LBB379_2490:
	s_mov_b32 s1, 0
.LBB379_2491:
	s_delay_alu instid0(SALU_CYCLE_1)
	s_and_not1_b32 vcc_lo, exec_lo, s1
	s_cbranch_vccnz .LBB379_2502
; %bb.2492:
	s_cmp_lt_i32 s0, 6
	s_cbranch_scc1 .LBB379_2495
; %bb.2493:
	s_cmp_gt_i32 s0, 6
	s_cbranch_scc0 .LBB379_2496
; %bb.2494:
	s_wait_loadcnt 0x0
	global_load_b64 v[14:15], v[16:17], off
	s_mov_b32 s1, 0
	s_wait_loadcnt 0x0
	v_cvt_i32_f64_e32 v14, v[14:15]
	s_branch .LBB379_2497
.LBB379_2495:
	s_mov_b32 s1, -1
                                        ; implicit-def: $vgpr14
	s_branch .LBB379_2500
.LBB379_2496:
	s_mov_b32 s1, -1
                                        ; implicit-def: $vgpr14
.LBB379_2497:
	s_delay_alu instid0(SALU_CYCLE_1)
	s_and_not1_b32 vcc_lo, exec_lo, s1
	s_cbranch_vccnz .LBB379_2499
; %bb.2498:
	s_wait_loadcnt 0x0
	global_load_b32 v1, v[16:17], off
	s_wait_loadcnt 0x0
	v_cvt_i32_f32_e32 v14, v1
.LBB379_2499:
	s_mov_b32 s1, 0
.LBB379_2500:
	s_delay_alu instid0(SALU_CYCLE_1)
	s_and_not1_b32 vcc_lo, exec_lo, s1
	s_cbranch_vccnz .LBB379_2502
; %bb.2501:
	s_wait_loadcnt 0x0
	global_load_u16 v1, v[16:17], off
	s_wait_loadcnt 0x0
	v_cvt_i16_f16_e32 v14, v1
.LBB379_2502:
	s_mov_b32 s1, 0
.LBB379_2503:
	s_delay_alu instid0(SALU_CYCLE_1)
	s_and_not1_b32 vcc_lo, exec_lo, s1
	s_cbranch_vccnz .LBB379_2523
; %bb.2504:
	s_cmp_lt_i32 s0, 2
	s_cbranch_scc1 .LBB379_2508
; %bb.2505:
	s_cmp_lt_i32 s0, 3
	s_cbranch_scc1 .LBB379_2509
; %bb.2506:
	s_cmp_gt_i32 s0, 3
	s_cbranch_scc0 .LBB379_2510
; %bb.2507:
	s_wait_loadcnt 0x0
	global_load_b64 v[14:15], v[16:17], off
	s_mov_b32 s1, 0
	s_branch .LBB379_2511
.LBB379_2508:
	s_mov_b32 s1, -1
                                        ; implicit-def: $vgpr14
	s_branch .LBB379_2517
.LBB379_2509:
	s_mov_b32 s1, -1
                                        ; implicit-def: $vgpr14
	s_branch .LBB379_2514
.LBB379_2510:
	s_mov_b32 s1, -1
                                        ; implicit-def: $vgpr14
.LBB379_2511:
	s_delay_alu instid0(SALU_CYCLE_1)
	s_and_not1_b32 vcc_lo, exec_lo, s1
	s_cbranch_vccnz .LBB379_2513
; %bb.2512:
	s_wait_loadcnt 0x0
	global_load_b32 v14, v[16:17], off
.LBB379_2513:
	s_mov_b32 s1, 0
.LBB379_2514:
	s_delay_alu instid0(SALU_CYCLE_1)
	s_and_not1_b32 vcc_lo, exec_lo, s1
	s_cbranch_vccnz .LBB379_2516
; %bb.2515:
	s_wait_loadcnt 0x0
	global_load_u16 v14, v[16:17], off
.LBB379_2516:
	s_mov_b32 s1, 0
.LBB379_2517:
	s_delay_alu instid0(SALU_CYCLE_1)
	s_and_not1_b32 vcc_lo, exec_lo, s1
	s_cbranch_vccnz .LBB379_2523
; %bb.2518:
	s_cmp_gt_i32 s0, 0
	s_mov_b32 s0, 0
	s_cbranch_scc0 .LBB379_2520
; %bb.2519:
	s_wait_loadcnt 0x0
	global_load_u8 v14, v[16:17], off
	s_branch .LBB379_2521
.LBB379_2520:
	s_mov_b32 s0, -1
                                        ; implicit-def: $vgpr14
.LBB379_2521:
	s_delay_alu instid0(SALU_CYCLE_1)
	s_and_not1_b32 vcc_lo, exec_lo, s0
	s_cbranch_vccnz .LBB379_2523
; %bb.2522:
	s_wait_loadcnt 0x0
	global_load_u8 v14, v[16:17], off
.LBB379_2523:
	s_mov_b32 s6, -1
.LBB379_2524:
	s_delay_alu instid0(SALU_CYCLE_1)
	s_and_not1_b32 vcc_lo, exec_lo, s6
	s_cbranch_vccnz .LBB379_2957
; %bb.2525:
	s_wait_xcnt 0x0
	v_mul_lo_u32 v16, s8, v18
	s_wait_loadcnt 0x0
	v_and_b32_e32 v1, 0xff, v4
	v_and_b32_e32 v0, 0xff, v0
	s_cmp_eq_u32 s11, 0
	s_mov_b32 s7, 0
	s_cselect_b32 s1, -1, 0
	s_and_b32 s17, s12, 0xff
	v_cmp_ne_u16_e32 vcc_lo, v0, v1
	s_mov_b32 s0, -1
	s_delay_alu instid0(VALU_DEP_4) | instskip(SKIP_2) | instid1(VALU_DEP_1)
	v_ashrrev_i32_e32 v17, 31, v16
	s_xor_b32 s2, s1, vcc_lo
	s_cmp_lt_i32 s17, 11
	v_add_nc_u64_e32 v[0:1], s[4:5], v[16:17]
	s_cbranch_scc1 .LBB379_2604
; %bb.2526:
	s_and_b32 s3, 0xffff, s17
	s_mov_b32 s9, -1
	s_mov_b32 s6, 0
	s_cmp_gt_i32 s3, 25
	s_mov_b32 s0, 0
	s_cbranch_scc0 .LBB379_2559
; %bb.2527:
	s_cmp_gt_i32 s3, 28
	s_cbranch_scc0 .LBB379_2542
; %bb.2528:
	s_cmp_gt_i32 s3, 43
	;; [unrolled: 3-line block ×3, first 2 shown]
	s_cbranch_scc0 .LBB379_2532
; %bb.2530:
	s_mov_b32 s0, -1
	s_mov_b32 s9, 0
	s_cmp_eq_u32 s3, 46
	s_cbranch_scc0 .LBB379_2532
; %bb.2531:
	v_cndmask_b32_e64 v3, 0, 1.0, s2
	s_mov_b32 s0, 0
	s_mov_b32 s7, -1
	s_delay_alu instid0(VALU_DEP_1) | instskip(NEXT) | instid1(VALU_DEP_1)
	v_bfe_u32 v4, v3, 16, 1
	v_add3_u32 v3, v3, v4, 0x7fff
	s_delay_alu instid0(VALU_DEP_1)
	v_lshrrev_b32_e32 v3, 16, v3
	global_store_b32 v[0:1], v3, off
.LBB379_2532:
	s_and_b32 vcc_lo, exec_lo, s9
	s_cbranch_vccz .LBB379_2537
; %bb.2533:
	s_cmp_eq_u32 s3, 44
	s_mov_b32 s0, -1
	s_cbranch_scc0 .LBB379_2537
; %bb.2534:
	v_cndmask_b32_e64 v5, 0, 1.0, s2
	s_mov_b32 s7, exec_lo
	s_wait_xcnt 0x0
	s_delay_alu instid0(VALU_DEP_1) | instskip(NEXT) | instid1(VALU_DEP_1)
	v_dual_mov_b32 v4, 0xff :: v_dual_lshrrev_b32 v3, 23, v5
	v_cmpx_ne_u32_e32 0xff, v3
; %bb.2535:
	v_and_b32_e32 v4, 0x400000, v5
	v_and_or_b32 v5, 0x3fffff, v5, v3
	s_delay_alu instid0(VALU_DEP_2) | instskip(NEXT) | instid1(VALU_DEP_2)
	v_cmp_ne_u32_e32 vcc_lo, 0, v4
	v_cmp_ne_u32_e64 s0, 0, v5
	s_and_b32 s0, vcc_lo, s0
	s_delay_alu instid0(SALU_CYCLE_1) | instskip(NEXT) | instid1(VALU_DEP_1)
	v_cndmask_b32_e64 v4, 0, 1, s0
	v_add_nc_u32_e32 v4, v3, v4
; %bb.2536:
	s_or_b32 exec_lo, exec_lo, s7
	s_mov_b32 s0, 0
	s_mov_b32 s7, -1
	global_store_b8 v[0:1], v4, off
.LBB379_2537:
	s_mov_b32 s9, 0
.LBB379_2538:
	s_delay_alu instid0(SALU_CYCLE_1)
	s_and_b32 vcc_lo, exec_lo, s9
	s_cbranch_vccz .LBB379_2541
; %bb.2539:
	s_cmp_eq_u32 s3, 29
	s_mov_b32 s0, -1
	s_cbranch_scc0 .LBB379_2541
; %bb.2540:
	s_mov_b32 s0, 0
	s_wait_xcnt 0x0
	v_cndmask_b32_e64 v4, 0, 1, s2
	v_mov_b32_e32 v5, s0
	s_mov_b32 s7, -1
	global_store_b64 v[0:1], v[4:5], off
.LBB379_2541:
	s_mov_b32 s9, 0
.LBB379_2542:
	s_delay_alu instid0(SALU_CYCLE_1)
	s_and_b32 vcc_lo, exec_lo, s9
	s_cbranch_vccz .LBB379_2558
; %bb.2543:
	s_cmp_lt_i32 s3, 27
	s_mov_b32 s7, -1
	s_cbranch_scc1 .LBB379_2549
; %bb.2544:
	s_cmp_gt_i32 s3, 27
	s_cbranch_scc0 .LBB379_2546
; %bb.2545:
	s_wait_xcnt 0x0
	v_cndmask_b32_e64 v3, 0, 1, s2
	s_mov_b32 s7, 0
	global_store_b32 v[0:1], v3, off
.LBB379_2546:
	s_and_not1_b32 vcc_lo, exec_lo, s7
	s_cbranch_vccnz .LBB379_2548
; %bb.2547:
	s_wait_xcnt 0x0
	v_cndmask_b32_e64 v3, 0, 1, s2
	global_store_b16 v[0:1], v3, off
.LBB379_2548:
	s_mov_b32 s7, 0
.LBB379_2549:
	s_delay_alu instid0(SALU_CYCLE_1)
	s_and_not1_b32 vcc_lo, exec_lo, s7
	s_cbranch_vccnz .LBB379_2557
; %bb.2550:
	s_wait_xcnt 0x0
	v_cndmask_b32_e64 v4, 0, 1.0, s2
	v_mov_b32_e32 v5, 0x80
	s_mov_b32 s7, exec_lo
	s_delay_alu instid0(VALU_DEP_2)
	v_cmpx_gt_u32_e32 0x43800000, v4
	s_cbranch_execz .LBB379_2556
; %bb.2551:
	s_mov_b32 s9, 0
	s_mov_b32 s10, exec_lo
                                        ; implicit-def: $vgpr3
	v_cmpx_lt_u32_e32 0x3bffffff, v4
	s_xor_b32 s10, exec_lo, s10
	s_cbranch_execz .LBB379_3004
; %bb.2552:
	v_bfe_u32 v3, v4, 20, 1
	s_mov_b32 s9, exec_lo
	s_delay_alu instid0(VALU_DEP_1) | instskip(NEXT) | instid1(VALU_DEP_1)
	v_add3_u32 v3, v4, v3, 0x487ffff
                                        ; implicit-def: $vgpr4
	v_lshrrev_b32_e32 v3, 20, v3
	s_and_not1_saveexec_b32 s10, s10
	s_cbranch_execnz .LBB379_3005
.LBB379_2553:
	s_or_b32 exec_lo, exec_lo, s10
	v_mov_b32_e32 v5, 0
	s_and_saveexec_b32 s10, s9
.LBB379_2554:
	v_mov_b32_e32 v5, v3
.LBB379_2555:
	s_or_b32 exec_lo, exec_lo, s10
.LBB379_2556:
	s_delay_alu instid0(SALU_CYCLE_1)
	s_or_b32 exec_lo, exec_lo, s7
	global_store_b8 v[0:1], v5, off
.LBB379_2557:
	s_mov_b32 s7, -1
.LBB379_2558:
	s_mov_b32 s9, 0
.LBB379_2559:
	s_delay_alu instid0(SALU_CYCLE_1)
	s_and_b32 vcc_lo, exec_lo, s9
	s_cbranch_vccz .LBB379_2599
; %bb.2560:
	s_cmp_gt_i32 s3, 22
	s_mov_b32 s6, -1
	s_cbranch_scc0 .LBB379_2592
; %bb.2561:
	s_cmp_lt_i32 s3, 24
	s_cbranch_scc1 .LBB379_2581
; %bb.2562:
	s_cmp_gt_i32 s3, 24
	s_cbranch_scc0 .LBB379_2570
; %bb.2563:
	s_wait_xcnt 0x0
	v_cndmask_b32_e64 v4, 0, 1.0, s2
	v_mov_b32_e32 v5, 0x80
	s_mov_b32 s6, exec_lo
	s_delay_alu instid0(VALU_DEP_2)
	v_cmpx_gt_u32_e32 0x47800000, v4
	s_cbranch_execz .LBB379_2569
; %bb.2564:
	s_mov_b32 s7, 0
	s_mov_b32 s9, exec_lo
                                        ; implicit-def: $vgpr3
	v_cmpx_lt_u32_e32 0x37ffffff, v4
	s_xor_b32 s9, exec_lo, s9
	s_cbranch_execz .LBB379_3007
; %bb.2565:
	v_bfe_u32 v3, v4, 21, 1
	s_mov_b32 s7, exec_lo
	s_delay_alu instid0(VALU_DEP_1) | instskip(NEXT) | instid1(VALU_DEP_1)
	v_add3_u32 v3, v4, v3, 0x88fffff
                                        ; implicit-def: $vgpr4
	v_lshrrev_b32_e32 v3, 21, v3
	s_and_not1_saveexec_b32 s9, s9
	s_cbranch_execnz .LBB379_3008
.LBB379_2566:
	s_or_b32 exec_lo, exec_lo, s9
	v_mov_b32_e32 v5, 0
	s_and_saveexec_b32 s9, s7
.LBB379_2567:
	v_mov_b32_e32 v5, v3
.LBB379_2568:
	s_or_b32 exec_lo, exec_lo, s9
.LBB379_2569:
	s_delay_alu instid0(SALU_CYCLE_1)
	s_or_b32 exec_lo, exec_lo, s6
	s_mov_b32 s6, 0
	global_store_b8 v[0:1], v5, off
.LBB379_2570:
	s_and_b32 vcc_lo, exec_lo, s6
	s_cbranch_vccz .LBB379_2580
; %bb.2571:
	s_wait_xcnt 0x0
	v_cndmask_b32_e64 v4, 0, 1.0, s2
	s_mov_b32 s6, exec_lo
                                        ; implicit-def: $vgpr3
	s_delay_alu instid0(VALU_DEP_1)
	v_cmpx_gt_u32_e32 0x43f00000, v4
	s_xor_b32 s6, exec_lo, s6
	s_cbranch_execz .LBB379_2577
; %bb.2572:
	s_mov_b32 s7, exec_lo
                                        ; implicit-def: $vgpr3
	v_cmpx_lt_u32_e32 0x3c7fffff, v4
	s_xor_b32 s7, exec_lo, s7
; %bb.2573:
	v_bfe_u32 v3, v4, 20, 1
	s_delay_alu instid0(VALU_DEP_1) | instskip(NEXT) | instid1(VALU_DEP_1)
	v_add3_u32 v3, v4, v3, 0x407ffff
	v_and_b32_e32 v4, 0xff00000, v3
	v_lshrrev_b32_e32 v3, 20, v3
	s_delay_alu instid0(VALU_DEP_2) | instskip(NEXT) | instid1(VALU_DEP_2)
	v_cmp_ne_u32_e32 vcc_lo, 0x7f00000, v4
                                        ; implicit-def: $vgpr4
	v_cndmask_b32_e32 v3, 0x7e, v3, vcc_lo
; %bb.2574:
	s_and_not1_saveexec_b32 s7, s7
; %bb.2575:
	v_add_f32_e32 v3, 0x46800000, v4
; %bb.2576:
	s_or_b32 exec_lo, exec_lo, s7
                                        ; implicit-def: $vgpr4
.LBB379_2577:
	s_and_not1_saveexec_b32 s6, s6
; %bb.2578:
	v_mov_b32_e32 v3, 0x7f
	v_cmp_lt_u32_e32 vcc_lo, 0x7f800000, v4
	s_delay_alu instid0(VALU_DEP_2)
	v_cndmask_b32_e32 v3, 0x7e, v3, vcc_lo
; %bb.2579:
	s_or_b32 exec_lo, exec_lo, s6
	global_store_b8 v[0:1], v3, off
.LBB379_2580:
	s_mov_b32 s6, 0
.LBB379_2581:
	s_delay_alu instid0(SALU_CYCLE_1)
	s_and_not1_b32 vcc_lo, exec_lo, s6
	s_cbranch_vccnz .LBB379_2591
; %bb.2582:
	s_wait_xcnt 0x0
	v_cndmask_b32_e64 v4, 0, 1.0, s2
	s_mov_b32 s6, exec_lo
                                        ; implicit-def: $vgpr3
	s_delay_alu instid0(VALU_DEP_1)
	v_cmpx_gt_u32_e32 0x47800000, v4
	s_xor_b32 s6, exec_lo, s6
	s_cbranch_execz .LBB379_2588
; %bb.2583:
	s_mov_b32 s7, exec_lo
                                        ; implicit-def: $vgpr3
	v_cmpx_lt_u32_e32 0x387fffff, v4
	s_xor_b32 s7, exec_lo, s7
; %bb.2584:
	v_bfe_u32 v3, v4, 21, 1
	s_delay_alu instid0(VALU_DEP_1) | instskip(NEXT) | instid1(VALU_DEP_1)
	v_add3_u32 v3, v4, v3, 0x80fffff
                                        ; implicit-def: $vgpr4
	v_lshrrev_b32_e32 v3, 21, v3
; %bb.2585:
	s_and_not1_saveexec_b32 s7, s7
; %bb.2586:
	v_add_f32_e32 v3, 0x43000000, v4
; %bb.2587:
	s_or_b32 exec_lo, exec_lo, s7
                                        ; implicit-def: $vgpr4
.LBB379_2588:
	s_and_not1_saveexec_b32 s6, s6
; %bb.2589:
	v_mov_b32_e32 v3, 0x7f
	v_cmp_lt_u32_e32 vcc_lo, 0x7f800000, v4
	s_delay_alu instid0(VALU_DEP_2)
	v_cndmask_b32_e32 v3, 0x7c, v3, vcc_lo
; %bb.2590:
	s_or_b32 exec_lo, exec_lo, s6
	global_store_b8 v[0:1], v3, off
.LBB379_2591:
	s_mov_b32 s6, 0
	s_mov_b32 s7, -1
.LBB379_2592:
	s_and_not1_b32 vcc_lo, exec_lo, s6
	s_mov_b32 s6, 0
	s_cbranch_vccnz .LBB379_2599
; %bb.2593:
	s_cmp_gt_i32 s3, 14
	s_mov_b32 s6, -1
	s_cbranch_scc0 .LBB379_2597
; %bb.2594:
	s_cmp_eq_u32 s3, 15
	s_mov_b32 s0, -1
	s_cbranch_scc0 .LBB379_2596
; %bb.2595:
	s_wait_xcnt 0x0
	v_cndmask_b32_e64 v3, 0, 1.0, s2
	s_mov_b32 s0, 0
	s_mov_b32 s7, -1
	s_delay_alu instid0(VALU_DEP_1) | instskip(NEXT) | instid1(VALU_DEP_1)
	v_bfe_u32 v4, v3, 16, 1
	v_add3_u32 v3, v3, v4, 0x7fff
	global_store_d16_hi_b16 v[0:1], v3, off
.LBB379_2596:
	s_mov_b32 s6, 0
.LBB379_2597:
	s_delay_alu instid0(SALU_CYCLE_1)
	s_and_b32 vcc_lo, exec_lo, s6
	s_mov_b32 s6, 0
	s_cbranch_vccz .LBB379_2599
; %bb.2598:
	s_cmp_lg_u32 s3, 11
	s_mov_b32 s6, -1
	s_cselect_b32 s0, -1, 0
.LBB379_2599:
	s_delay_alu instid0(SALU_CYCLE_1)
	s_and_b32 vcc_lo, exec_lo, s0
	s_cbranch_vccnz .LBB379_3006
; %bb.2600:
	s_and_not1_b32 vcc_lo, exec_lo, s6
	s_cbranch_vccnz .LBB379_2602
.LBB379_2601:
	s_wait_xcnt 0x0
	v_cndmask_b32_e64 v3, 0, 1, s2
	s_mov_b32 s7, -1
	global_store_b8 v[0:1], v3, off
.LBB379_2602:
.LBB379_2603:
	s_and_not1_b32 vcc_lo, exec_lo, s7
	s_cbranch_vccnz .LBB379_2957
	s_branch .LBB379_2643
.LBB379_2604:
	s_and_b32 vcc_lo, exec_lo, s0
	s_cbranch_vccz .LBB379_2603
; %bb.2605:
	s_and_b32 s0, 0xffff, s17
	s_mov_b32 s3, -1
	s_cmp_lt_i32 s0, 5
	s_cbranch_scc1 .LBB379_2626
; %bb.2606:
	s_cmp_lt_i32 s0, 8
	s_cbranch_scc1 .LBB379_2616
; %bb.2607:
	;; [unrolled: 3-line block ×3, first 2 shown]
	s_cmp_gt_i32 s0, 9
	s_cbranch_scc0 .LBB379_2610
; %bb.2609:
	s_wait_xcnt 0x0
	v_cndmask_b32_e64 v3, 0, 1, s2
	v_mov_b32_e32 v20, 0
	s_mov_b32 s3, 0
	s_delay_alu instid0(VALU_DEP_2) | instskip(NEXT) | instid1(VALU_DEP_2)
	v_cvt_f64_u32_e32 v[18:19], v3
	v_mov_b32_e32 v21, v20
	global_store_b128 v[0:1], v[18:21], off
.LBB379_2610:
	s_and_not1_b32 vcc_lo, exec_lo, s3
	s_cbranch_vccnz .LBB379_2612
; %bb.2611:
	s_wait_xcnt 0x0
	v_cndmask_b32_e64 v4, 0, 1.0, s2
	v_mov_b32_e32 v5, 0
	global_store_b64 v[0:1], v[4:5], off
.LBB379_2612:
	s_mov_b32 s3, 0
.LBB379_2613:
	s_delay_alu instid0(SALU_CYCLE_1)
	s_and_not1_b32 vcc_lo, exec_lo, s3
	s_cbranch_vccnz .LBB379_2615
; %bb.2614:
	s_wait_xcnt 0x0
	v_cndmask_b32_e64 v3, 0, 1.0, s2
	s_delay_alu instid0(VALU_DEP_1) | instskip(NEXT) | instid1(VALU_DEP_1)
	v_cvt_f16_f32_e32 v3, v3
	v_and_b32_e32 v3, 0xffff, v3
	global_store_b32 v[0:1], v3, off
.LBB379_2615:
	s_mov_b32 s3, 0
.LBB379_2616:
	s_delay_alu instid0(SALU_CYCLE_1)
	s_and_not1_b32 vcc_lo, exec_lo, s3
	s_cbranch_vccnz .LBB379_2625
; %bb.2617:
	s_cmp_lt_i32 s0, 6
	s_mov_b32 s3, -1
	s_cbranch_scc1 .LBB379_2623
; %bb.2618:
	s_cmp_gt_i32 s0, 6
	s_cbranch_scc0 .LBB379_2620
; %bb.2619:
	s_wait_xcnt 0x0
	v_cndmask_b32_e64 v3, 0, 1, s2
	s_mov_b32 s3, 0
	s_delay_alu instid0(VALU_DEP_1)
	v_cvt_f64_u32_e32 v[4:5], v3
	global_store_b64 v[0:1], v[4:5], off
.LBB379_2620:
	s_and_not1_b32 vcc_lo, exec_lo, s3
	s_cbranch_vccnz .LBB379_2622
; %bb.2621:
	s_wait_xcnt 0x0
	v_cndmask_b32_e64 v3, 0, 1.0, s2
	global_store_b32 v[0:1], v3, off
.LBB379_2622:
	s_mov_b32 s3, 0
.LBB379_2623:
	s_delay_alu instid0(SALU_CYCLE_1)
	s_and_not1_b32 vcc_lo, exec_lo, s3
	s_cbranch_vccnz .LBB379_2625
; %bb.2624:
	s_wait_xcnt 0x0
	v_cndmask_b32_e64 v3, 0, 1.0, s2
	s_delay_alu instid0(VALU_DEP_1)
	v_cvt_f16_f32_e32 v3, v3
	global_store_b16 v[0:1], v3, off
.LBB379_2625:
	s_mov_b32 s3, 0
.LBB379_2626:
	s_delay_alu instid0(SALU_CYCLE_1)
	s_and_not1_b32 vcc_lo, exec_lo, s3
	s_cbranch_vccnz .LBB379_2642
; %bb.2627:
	s_cmp_lt_i32 s0, 2
	s_mov_b32 s3, -1
	s_cbranch_scc1 .LBB379_2637
; %bb.2628:
	s_cmp_lt_i32 s0, 3
	s_cbranch_scc1 .LBB379_2634
; %bb.2629:
	s_cmp_gt_i32 s0, 3
	s_cbranch_scc0 .LBB379_2631
; %bb.2630:
	s_mov_b32 s3, 0
	s_wait_xcnt 0x0
	v_cndmask_b32_e64 v4, 0, 1, s2
	v_mov_b32_e32 v5, s3
	global_store_b64 v[0:1], v[4:5], off
.LBB379_2631:
	s_and_not1_b32 vcc_lo, exec_lo, s3
	s_cbranch_vccnz .LBB379_2633
; %bb.2632:
	s_wait_xcnt 0x0
	v_cndmask_b32_e64 v3, 0, 1, s2
	global_store_b32 v[0:1], v3, off
.LBB379_2633:
	s_mov_b32 s3, 0
.LBB379_2634:
	s_delay_alu instid0(SALU_CYCLE_1)
	s_and_not1_b32 vcc_lo, exec_lo, s3
	s_cbranch_vccnz .LBB379_2636
; %bb.2635:
	s_wait_xcnt 0x0
	v_cndmask_b32_e64 v3, 0, 1, s2
	global_store_b16 v[0:1], v3, off
.LBB379_2636:
	s_mov_b32 s3, 0
.LBB379_2637:
	s_delay_alu instid0(SALU_CYCLE_1)
	s_and_not1_b32 vcc_lo, exec_lo, s3
	s_cbranch_vccnz .LBB379_2642
; %bb.2638:
	s_wait_xcnt 0x0
	v_cndmask_b32_e64 v3, 0, 1, s2
	s_cmp_gt_i32 s0, 0
	s_mov_b32 s0, -1
	s_cbranch_scc0 .LBB379_2640
; %bb.2639:
	s_mov_b32 s0, 0
	global_store_b8 v[0:1], v3, off
.LBB379_2640:
	s_and_not1_b32 vcc_lo, exec_lo, s0
	s_cbranch_vccnz .LBB379_2642
; %bb.2641:
	global_store_b8 v[0:1], v3, off
.LBB379_2642:
.LBB379_2643:
	s_lshl_b32 s2, s8, 7
	s_wait_xcnt 0x0
	v_and_b32_e32 v3, 0xff, v8
	v_add_nc_u32_e32 v0, s2, v16
	v_and_b32_e32 v2, 0xff, v2
	s_delay_alu instid0(VALU_DEP_2) | instskip(NEXT) | instid1(VALU_DEP_2)
	v_ashrrev_i32_e32 v1, 31, v0
	v_cmp_ne_u16_e32 vcc_lo, v2, v3
	s_delay_alu instid0(VALU_DEP_2)
	v_add_nc_u64_e32 v[2:3], s[4:5], v[0:1]
	s_xor_b32 s3, s1, vcc_lo
	s_cmp_lt_i32 s17, 11
	s_cbranch_scc1 .LBB379_2721
; %bb.2644:
	s_and_b32 s6, 0xffff, s17
	s_mov_b32 s9, -1
	s_mov_b32 s7, 0
	s_cmp_gt_i32 s6, 25
	s_mov_b32 s8, 0
	s_mov_b32 s0, 0
	s_cbranch_scc0 .LBB379_2677
; %bb.2645:
	s_cmp_gt_i32 s6, 28
	s_cbranch_scc0 .LBB379_2660
; %bb.2646:
	s_cmp_gt_i32 s6, 43
	;; [unrolled: 3-line block ×3, first 2 shown]
	s_cbranch_scc0 .LBB379_2650
; %bb.2648:
	s_mov_b32 s0, -1
	s_mov_b32 s9, 0
	s_cmp_eq_u32 s6, 46
	s_cbranch_scc0 .LBB379_2650
; %bb.2649:
	v_cndmask_b32_e64 v1, 0, 1.0, s3
	s_mov_b32 s0, 0
	s_mov_b32 s8, -1
	s_delay_alu instid0(VALU_DEP_1) | instskip(NEXT) | instid1(VALU_DEP_1)
	v_bfe_u32 v4, v1, 16, 1
	v_add3_u32 v1, v1, v4, 0x7fff
	s_delay_alu instid0(VALU_DEP_1)
	v_lshrrev_b32_e32 v1, 16, v1
	global_store_b32 v[2:3], v1, off
.LBB379_2650:
	s_and_b32 vcc_lo, exec_lo, s9
	s_cbranch_vccz .LBB379_2655
; %bb.2651:
	s_cmp_eq_u32 s6, 44
	s_mov_b32 s0, -1
	s_cbranch_scc0 .LBB379_2655
; %bb.2652:
	v_cndmask_b32_e64 v5, 0, 1.0, s3
	s_mov_b32 s8, exec_lo
	s_wait_xcnt 0x0
	s_delay_alu instid0(VALU_DEP_1) | instskip(NEXT) | instid1(VALU_DEP_1)
	v_dual_mov_b32 v4, 0xff :: v_dual_lshrrev_b32 v1, 23, v5
	v_cmpx_ne_u32_e32 0xff, v1
; %bb.2653:
	v_and_b32_e32 v4, 0x400000, v5
	v_and_or_b32 v5, 0x3fffff, v5, v1
	s_delay_alu instid0(VALU_DEP_2) | instskip(NEXT) | instid1(VALU_DEP_2)
	v_cmp_ne_u32_e32 vcc_lo, 0, v4
	v_cmp_ne_u32_e64 s0, 0, v5
	s_and_b32 s0, vcc_lo, s0
	s_delay_alu instid0(SALU_CYCLE_1) | instskip(NEXT) | instid1(VALU_DEP_1)
	v_cndmask_b32_e64 v4, 0, 1, s0
	v_add_nc_u32_e32 v4, v1, v4
; %bb.2654:
	s_or_b32 exec_lo, exec_lo, s8
	s_mov_b32 s0, 0
	s_mov_b32 s8, -1
	global_store_b8 v[2:3], v4, off
.LBB379_2655:
	s_mov_b32 s9, 0
.LBB379_2656:
	s_delay_alu instid0(SALU_CYCLE_1)
	s_and_b32 vcc_lo, exec_lo, s9
	s_cbranch_vccz .LBB379_2659
; %bb.2657:
	s_cmp_eq_u32 s6, 29
	s_mov_b32 s0, -1
	s_cbranch_scc0 .LBB379_2659
; %bb.2658:
	s_mov_b32 s0, 0
	s_wait_xcnt 0x0
	v_cndmask_b32_e64 v4, 0, 1, s3
	v_mov_b32_e32 v5, s0
	s_mov_b32 s8, -1
	global_store_b64 v[2:3], v[4:5], off
.LBB379_2659:
	s_mov_b32 s9, 0
.LBB379_2660:
	s_delay_alu instid0(SALU_CYCLE_1)
	s_and_b32 vcc_lo, exec_lo, s9
	s_cbranch_vccz .LBB379_2676
; %bb.2661:
	s_cmp_lt_i32 s6, 27
	s_mov_b32 s8, -1
	s_cbranch_scc1 .LBB379_2667
; %bb.2662:
	s_cmp_gt_i32 s6, 27
	s_cbranch_scc0 .LBB379_2664
; %bb.2663:
	s_wait_xcnt 0x0
	v_cndmask_b32_e64 v1, 0, 1, s3
	s_mov_b32 s8, 0
	global_store_b32 v[2:3], v1, off
.LBB379_2664:
	s_and_not1_b32 vcc_lo, exec_lo, s8
	s_cbranch_vccnz .LBB379_2666
; %bb.2665:
	s_wait_xcnt 0x0
	v_cndmask_b32_e64 v1, 0, 1, s3
	global_store_b16 v[2:3], v1, off
.LBB379_2666:
	s_mov_b32 s8, 0
.LBB379_2667:
	s_delay_alu instid0(SALU_CYCLE_1)
	s_and_not1_b32 vcc_lo, exec_lo, s8
	s_cbranch_vccnz .LBB379_2675
; %bb.2668:
	s_wait_xcnt 0x0
	v_cndmask_b32_e64 v4, 0, 1.0, s3
	v_mov_b32_e32 v5, 0x80
	s_mov_b32 s8, exec_lo
	s_delay_alu instid0(VALU_DEP_2)
	v_cmpx_gt_u32_e32 0x43800000, v4
	s_cbranch_execz .LBB379_2674
; %bb.2669:
	s_mov_b32 s9, 0
	s_mov_b32 s10, exec_lo
                                        ; implicit-def: $vgpr1
	v_cmpx_lt_u32_e32 0x3bffffff, v4
	s_xor_b32 s10, exec_lo, s10
	s_cbranch_execz .LBB379_3009
; %bb.2670:
	v_bfe_u32 v1, v4, 20, 1
	s_mov_b32 s9, exec_lo
	s_delay_alu instid0(VALU_DEP_1) | instskip(NEXT) | instid1(VALU_DEP_1)
	v_add3_u32 v1, v4, v1, 0x487ffff
                                        ; implicit-def: $vgpr4
	v_lshrrev_b32_e32 v1, 20, v1
	s_and_not1_saveexec_b32 s10, s10
	s_cbranch_execnz .LBB379_3010
.LBB379_2671:
	s_or_b32 exec_lo, exec_lo, s10
	v_mov_b32_e32 v5, 0
	s_and_saveexec_b32 s10, s9
.LBB379_2672:
	v_mov_b32_e32 v5, v1
.LBB379_2673:
	s_or_b32 exec_lo, exec_lo, s10
.LBB379_2674:
	s_delay_alu instid0(SALU_CYCLE_1)
	s_or_b32 exec_lo, exec_lo, s8
	global_store_b8 v[2:3], v5, off
.LBB379_2675:
	s_mov_b32 s8, -1
.LBB379_2676:
	s_mov_b32 s9, 0
.LBB379_2677:
	s_delay_alu instid0(SALU_CYCLE_1)
	s_and_b32 vcc_lo, exec_lo, s9
	s_cbranch_vccz .LBB379_2717
; %bb.2678:
	s_cmp_gt_i32 s6, 22
	s_mov_b32 s7, -1
	s_cbranch_scc0 .LBB379_2710
; %bb.2679:
	s_cmp_lt_i32 s6, 24
	s_cbranch_scc1 .LBB379_2699
; %bb.2680:
	s_cmp_gt_i32 s6, 24
	s_cbranch_scc0 .LBB379_2688
; %bb.2681:
	s_wait_xcnt 0x0
	v_cndmask_b32_e64 v4, 0, 1.0, s3
	v_mov_b32_e32 v5, 0x80
	s_mov_b32 s7, exec_lo
	s_delay_alu instid0(VALU_DEP_2)
	v_cmpx_gt_u32_e32 0x47800000, v4
	s_cbranch_execz .LBB379_2687
; %bb.2682:
	s_mov_b32 s8, 0
	s_mov_b32 s9, exec_lo
                                        ; implicit-def: $vgpr1
	v_cmpx_lt_u32_e32 0x37ffffff, v4
	s_xor_b32 s9, exec_lo, s9
	s_cbranch_execz .LBB379_3012
; %bb.2683:
	v_bfe_u32 v1, v4, 21, 1
	s_mov_b32 s8, exec_lo
	s_delay_alu instid0(VALU_DEP_1) | instskip(NEXT) | instid1(VALU_DEP_1)
	v_add3_u32 v1, v4, v1, 0x88fffff
                                        ; implicit-def: $vgpr4
	v_lshrrev_b32_e32 v1, 21, v1
	s_and_not1_saveexec_b32 s9, s9
	s_cbranch_execnz .LBB379_3013
.LBB379_2684:
	s_or_b32 exec_lo, exec_lo, s9
	v_mov_b32_e32 v5, 0
	s_and_saveexec_b32 s9, s8
.LBB379_2685:
	v_mov_b32_e32 v5, v1
.LBB379_2686:
	s_or_b32 exec_lo, exec_lo, s9
.LBB379_2687:
	s_delay_alu instid0(SALU_CYCLE_1)
	s_or_b32 exec_lo, exec_lo, s7
	s_mov_b32 s7, 0
	global_store_b8 v[2:3], v5, off
.LBB379_2688:
	s_and_b32 vcc_lo, exec_lo, s7
	s_cbranch_vccz .LBB379_2698
; %bb.2689:
	s_wait_xcnt 0x0
	v_cndmask_b32_e64 v4, 0, 1.0, s3
	s_mov_b32 s7, exec_lo
                                        ; implicit-def: $vgpr1
	s_delay_alu instid0(VALU_DEP_1)
	v_cmpx_gt_u32_e32 0x43f00000, v4
	s_xor_b32 s7, exec_lo, s7
	s_cbranch_execz .LBB379_2695
; %bb.2690:
	s_mov_b32 s8, exec_lo
                                        ; implicit-def: $vgpr1
	v_cmpx_lt_u32_e32 0x3c7fffff, v4
	s_xor_b32 s8, exec_lo, s8
; %bb.2691:
	v_bfe_u32 v1, v4, 20, 1
	s_delay_alu instid0(VALU_DEP_1) | instskip(NEXT) | instid1(VALU_DEP_1)
	v_add3_u32 v1, v4, v1, 0x407ffff
	v_and_b32_e32 v4, 0xff00000, v1
	v_lshrrev_b32_e32 v1, 20, v1
	s_delay_alu instid0(VALU_DEP_2) | instskip(NEXT) | instid1(VALU_DEP_2)
	v_cmp_ne_u32_e32 vcc_lo, 0x7f00000, v4
                                        ; implicit-def: $vgpr4
	v_cndmask_b32_e32 v1, 0x7e, v1, vcc_lo
; %bb.2692:
	s_and_not1_saveexec_b32 s8, s8
; %bb.2693:
	v_add_f32_e32 v1, 0x46800000, v4
; %bb.2694:
	s_or_b32 exec_lo, exec_lo, s8
                                        ; implicit-def: $vgpr4
.LBB379_2695:
	s_and_not1_saveexec_b32 s7, s7
; %bb.2696:
	v_mov_b32_e32 v1, 0x7f
	v_cmp_lt_u32_e32 vcc_lo, 0x7f800000, v4
	s_delay_alu instid0(VALU_DEP_2)
	v_cndmask_b32_e32 v1, 0x7e, v1, vcc_lo
; %bb.2697:
	s_or_b32 exec_lo, exec_lo, s7
	global_store_b8 v[2:3], v1, off
.LBB379_2698:
	s_mov_b32 s7, 0
.LBB379_2699:
	s_delay_alu instid0(SALU_CYCLE_1)
	s_and_not1_b32 vcc_lo, exec_lo, s7
	s_cbranch_vccnz .LBB379_2709
; %bb.2700:
	s_wait_xcnt 0x0
	v_cndmask_b32_e64 v4, 0, 1.0, s3
	s_mov_b32 s7, exec_lo
                                        ; implicit-def: $vgpr1
	s_delay_alu instid0(VALU_DEP_1)
	v_cmpx_gt_u32_e32 0x47800000, v4
	s_xor_b32 s7, exec_lo, s7
	s_cbranch_execz .LBB379_2706
; %bb.2701:
	s_mov_b32 s8, exec_lo
                                        ; implicit-def: $vgpr1
	v_cmpx_lt_u32_e32 0x387fffff, v4
	s_xor_b32 s8, exec_lo, s8
; %bb.2702:
	v_bfe_u32 v1, v4, 21, 1
	s_delay_alu instid0(VALU_DEP_1) | instskip(NEXT) | instid1(VALU_DEP_1)
	v_add3_u32 v1, v4, v1, 0x80fffff
                                        ; implicit-def: $vgpr4
	v_lshrrev_b32_e32 v1, 21, v1
; %bb.2703:
	s_and_not1_saveexec_b32 s8, s8
; %bb.2704:
	v_add_f32_e32 v1, 0x43000000, v4
; %bb.2705:
	s_or_b32 exec_lo, exec_lo, s8
                                        ; implicit-def: $vgpr4
.LBB379_2706:
	s_and_not1_saveexec_b32 s7, s7
; %bb.2707:
	v_mov_b32_e32 v1, 0x7f
	v_cmp_lt_u32_e32 vcc_lo, 0x7f800000, v4
	s_delay_alu instid0(VALU_DEP_2)
	v_cndmask_b32_e32 v1, 0x7c, v1, vcc_lo
; %bb.2708:
	s_or_b32 exec_lo, exec_lo, s7
	global_store_b8 v[2:3], v1, off
.LBB379_2709:
	s_mov_b32 s7, 0
	s_mov_b32 s8, -1
.LBB379_2710:
	s_and_not1_b32 vcc_lo, exec_lo, s7
	s_mov_b32 s7, 0
	s_cbranch_vccnz .LBB379_2717
; %bb.2711:
	s_cmp_gt_i32 s6, 14
	s_mov_b32 s7, -1
	s_cbranch_scc0 .LBB379_2715
; %bb.2712:
	s_cmp_eq_u32 s6, 15
	s_mov_b32 s0, -1
	s_cbranch_scc0 .LBB379_2714
; %bb.2713:
	s_wait_xcnt 0x0
	v_cndmask_b32_e64 v1, 0, 1.0, s3
	s_mov_b32 s0, 0
	s_mov_b32 s8, -1
	s_delay_alu instid0(VALU_DEP_1) | instskip(NEXT) | instid1(VALU_DEP_1)
	v_bfe_u32 v4, v1, 16, 1
	v_add3_u32 v1, v1, v4, 0x7fff
	global_store_d16_hi_b16 v[2:3], v1, off
.LBB379_2714:
	s_mov_b32 s7, 0
.LBB379_2715:
	s_delay_alu instid0(SALU_CYCLE_1)
	s_and_b32 vcc_lo, exec_lo, s7
	s_mov_b32 s7, 0
	s_cbranch_vccz .LBB379_2717
; %bb.2716:
	s_cmp_lg_u32 s6, 11
	s_mov_b32 s7, -1
	s_cselect_b32 s0, -1, 0
.LBB379_2717:
	s_delay_alu instid0(SALU_CYCLE_1)
	s_and_b32 vcc_lo, exec_lo, s0
	s_cbranch_vccnz .LBB379_3011
; %bb.2718:
	s_and_not1_b32 vcc_lo, exec_lo, s7
	s_cbranch_vccnz .LBB379_2720
.LBB379_2719:
	s_wait_xcnt 0x0
	v_cndmask_b32_e64 v1, 0, 1, s3
	s_mov_b32 s8, -1
	global_store_b8 v[2:3], v1, off
.LBB379_2720:
	s_mov_b32 s0, 0
	s_branch .LBB379_2722
.LBB379_2721:
	s_mov_b32 s0, -1
	s_mov_b32 s8, 0
.LBB379_2722:
	s_and_b32 vcc_lo, exec_lo, s0
	s_cbranch_vccz .LBB379_2761
; %bb.2723:
	s_and_b32 s0, 0xffff, s17
	s_mov_b32 s6, -1
	s_cmp_lt_i32 s0, 5
	s_cbranch_scc1 .LBB379_2744
; %bb.2724:
	s_cmp_lt_i32 s0, 8
	s_cbranch_scc1 .LBB379_2734
; %bb.2725:
	;; [unrolled: 3-line block ×3, first 2 shown]
	s_cmp_gt_i32 s0, 9
	s_cbranch_scc0 .LBB379_2728
; %bb.2727:
	s_wait_xcnt 0x0
	v_cndmask_b32_e64 v1, 0, 1, s3
	v_mov_b32_e32 v18, 0
	s_mov_b32 s6, 0
	s_delay_alu instid0(VALU_DEP_2) | instskip(NEXT) | instid1(VALU_DEP_2)
	v_cvt_f64_u32_e32 v[16:17], v1
	v_mov_b32_e32 v19, v18
	global_store_b128 v[2:3], v[16:19], off
.LBB379_2728:
	s_and_not1_b32 vcc_lo, exec_lo, s6
	s_cbranch_vccnz .LBB379_2730
; %bb.2729:
	s_wait_xcnt 0x0
	v_cndmask_b32_e64 v4, 0, 1.0, s3
	v_mov_b32_e32 v5, 0
	global_store_b64 v[2:3], v[4:5], off
.LBB379_2730:
	s_mov_b32 s6, 0
.LBB379_2731:
	s_delay_alu instid0(SALU_CYCLE_1)
	s_and_not1_b32 vcc_lo, exec_lo, s6
	s_cbranch_vccnz .LBB379_2733
; %bb.2732:
	s_wait_xcnt 0x0
	v_cndmask_b32_e64 v1, 0, 1.0, s3
	s_delay_alu instid0(VALU_DEP_1) | instskip(NEXT) | instid1(VALU_DEP_1)
	v_cvt_f16_f32_e32 v1, v1
	v_and_b32_e32 v1, 0xffff, v1
	global_store_b32 v[2:3], v1, off
.LBB379_2733:
	s_mov_b32 s6, 0
.LBB379_2734:
	s_delay_alu instid0(SALU_CYCLE_1)
	s_and_not1_b32 vcc_lo, exec_lo, s6
	s_cbranch_vccnz .LBB379_2743
; %bb.2735:
	s_cmp_lt_i32 s0, 6
	s_mov_b32 s6, -1
	s_cbranch_scc1 .LBB379_2741
; %bb.2736:
	s_cmp_gt_i32 s0, 6
	s_cbranch_scc0 .LBB379_2738
; %bb.2737:
	s_wait_xcnt 0x0
	v_cndmask_b32_e64 v1, 0, 1, s3
	s_mov_b32 s6, 0
	s_delay_alu instid0(VALU_DEP_1)
	v_cvt_f64_u32_e32 v[4:5], v1
	global_store_b64 v[2:3], v[4:5], off
.LBB379_2738:
	s_and_not1_b32 vcc_lo, exec_lo, s6
	s_cbranch_vccnz .LBB379_2740
; %bb.2739:
	s_wait_xcnt 0x0
	v_cndmask_b32_e64 v1, 0, 1.0, s3
	global_store_b32 v[2:3], v1, off
.LBB379_2740:
	s_mov_b32 s6, 0
.LBB379_2741:
	s_delay_alu instid0(SALU_CYCLE_1)
	s_and_not1_b32 vcc_lo, exec_lo, s6
	s_cbranch_vccnz .LBB379_2743
; %bb.2742:
	s_wait_xcnt 0x0
	v_cndmask_b32_e64 v1, 0, 1.0, s3
	s_delay_alu instid0(VALU_DEP_1)
	v_cvt_f16_f32_e32 v1, v1
	global_store_b16 v[2:3], v1, off
.LBB379_2743:
	s_mov_b32 s6, 0
.LBB379_2744:
	s_delay_alu instid0(SALU_CYCLE_1)
	s_and_not1_b32 vcc_lo, exec_lo, s6
	s_cbranch_vccnz .LBB379_2760
; %bb.2745:
	s_cmp_lt_i32 s0, 2
	s_mov_b32 s6, -1
	s_cbranch_scc1 .LBB379_2755
; %bb.2746:
	s_cmp_lt_i32 s0, 3
	s_cbranch_scc1 .LBB379_2752
; %bb.2747:
	s_cmp_gt_i32 s0, 3
	s_cbranch_scc0 .LBB379_2749
; %bb.2748:
	s_mov_b32 s6, 0
	s_wait_xcnt 0x0
	v_cndmask_b32_e64 v4, 0, 1, s3
	v_mov_b32_e32 v5, s6
	global_store_b64 v[2:3], v[4:5], off
.LBB379_2749:
	s_and_not1_b32 vcc_lo, exec_lo, s6
	s_cbranch_vccnz .LBB379_2751
; %bb.2750:
	s_wait_xcnt 0x0
	v_cndmask_b32_e64 v1, 0, 1, s3
	global_store_b32 v[2:3], v1, off
.LBB379_2751:
	s_mov_b32 s6, 0
.LBB379_2752:
	s_delay_alu instid0(SALU_CYCLE_1)
	s_and_not1_b32 vcc_lo, exec_lo, s6
	s_cbranch_vccnz .LBB379_2754
; %bb.2753:
	s_wait_xcnt 0x0
	v_cndmask_b32_e64 v1, 0, 1, s3
	global_store_b16 v[2:3], v1, off
.LBB379_2754:
	s_mov_b32 s6, 0
.LBB379_2755:
	s_delay_alu instid0(SALU_CYCLE_1)
	s_and_not1_b32 vcc_lo, exec_lo, s6
	s_cbranch_vccnz .LBB379_2760
; %bb.2756:
	s_wait_xcnt 0x0
	v_cndmask_b32_e64 v1, 0, 1, s3
	s_cmp_gt_i32 s0, 0
	s_mov_b32 s0, -1
	s_cbranch_scc0 .LBB379_2758
; %bb.2757:
	s_mov_b32 s0, 0
	global_store_b8 v[2:3], v1, off
.LBB379_2758:
	s_and_not1_b32 vcc_lo, exec_lo, s0
	s_cbranch_vccnz .LBB379_2760
; %bb.2759:
	global_store_b8 v[2:3], v1, off
.LBB379_2760:
	s_mov_b32 s8, -1
.LBB379_2761:
	s_delay_alu instid0(SALU_CYCLE_1)
	s_and_not1_b32 vcc_lo, exec_lo, s8
	s_cbranch_vccnz .LBB379_2957
; %bb.2762:
	v_add_nc_u32_e32 v0, s2, v0
	s_wait_xcnt 0x0
	v_and_b32_e32 v2, 0xff, v12
	v_and_b32_e32 v3, 0xff, v6
	s_delay_alu instid0(VALU_DEP_3) | instskip(NEXT) | instid1(VALU_DEP_2)
	v_ashrrev_i32_e32 v1, 31, v0
	v_cmp_ne_u16_e32 vcc_lo, v3, v2
	s_delay_alu instid0(VALU_DEP_2)
	v_add_nc_u64_e32 v[2:3], s[4:5], v[0:1]
	s_xor_b32 s3, s1, vcc_lo
	s_cmp_lt_i32 s17, 11
	s_cbranch_scc1 .LBB379_2840
; %bb.2763:
	s_and_b32 s6, 0xffff, s17
	s_mov_b32 s9, -1
	s_mov_b32 s7, 0
	s_cmp_gt_i32 s6, 25
	s_mov_b32 s8, 0
	s_mov_b32 s0, 0
	s_cbranch_scc0 .LBB379_2796
; %bb.2764:
	s_cmp_gt_i32 s6, 28
	s_cbranch_scc0 .LBB379_2779
; %bb.2765:
	s_cmp_gt_i32 s6, 43
	s_cbranch_scc0 .LBB379_2775
; %bb.2766:
	s_cmp_gt_i32 s6, 45
	s_cbranch_scc0 .LBB379_2769
; %bb.2767:
	s_mov_b32 s0, -1
	s_mov_b32 s9, 0
	s_cmp_eq_u32 s6, 46
	s_cbranch_scc0 .LBB379_2769
; %bb.2768:
	v_cndmask_b32_e64 v1, 0, 1.0, s3
	s_mov_b32 s0, 0
	s_mov_b32 s8, -1
	s_delay_alu instid0(VALU_DEP_1) | instskip(NEXT) | instid1(VALU_DEP_1)
	v_bfe_u32 v4, v1, 16, 1
	v_add3_u32 v1, v1, v4, 0x7fff
	s_delay_alu instid0(VALU_DEP_1)
	v_lshrrev_b32_e32 v1, 16, v1
	global_store_b32 v[2:3], v1, off
.LBB379_2769:
	s_and_b32 vcc_lo, exec_lo, s9
	s_cbranch_vccz .LBB379_2774
; %bb.2770:
	s_cmp_eq_u32 s6, 44
	s_mov_b32 s0, -1
	s_cbranch_scc0 .LBB379_2774
; %bb.2771:
	v_cndmask_b32_e64 v5, 0, 1.0, s3
	s_mov_b32 s8, exec_lo
	s_wait_xcnt 0x0
	s_delay_alu instid0(VALU_DEP_1) | instskip(NEXT) | instid1(VALU_DEP_1)
	v_dual_mov_b32 v4, 0xff :: v_dual_lshrrev_b32 v1, 23, v5
	v_cmpx_ne_u32_e32 0xff, v1
; %bb.2772:
	v_and_b32_e32 v4, 0x400000, v5
	v_and_or_b32 v5, 0x3fffff, v5, v1
	s_delay_alu instid0(VALU_DEP_2) | instskip(NEXT) | instid1(VALU_DEP_2)
	v_cmp_ne_u32_e32 vcc_lo, 0, v4
	v_cmp_ne_u32_e64 s0, 0, v5
	s_and_b32 s0, vcc_lo, s0
	s_delay_alu instid0(SALU_CYCLE_1) | instskip(NEXT) | instid1(VALU_DEP_1)
	v_cndmask_b32_e64 v4, 0, 1, s0
	v_add_nc_u32_e32 v4, v1, v4
; %bb.2773:
	s_or_b32 exec_lo, exec_lo, s8
	s_mov_b32 s0, 0
	s_mov_b32 s8, -1
	global_store_b8 v[2:3], v4, off
.LBB379_2774:
	s_mov_b32 s9, 0
.LBB379_2775:
	s_delay_alu instid0(SALU_CYCLE_1)
	s_and_b32 vcc_lo, exec_lo, s9
	s_cbranch_vccz .LBB379_2778
; %bb.2776:
	s_cmp_eq_u32 s6, 29
	s_mov_b32 s0, -1
	s_cbranch_scc0 .LBB379_2778
; %bb.2777:
	s_mov_b32 s0, 0
	s_wait_xcnt 0x0
	v_cndmask_b32_e64 v4, 0, 1, s3
	v_mov_b32_e32 v5, s0
	s_mov_b32 s8, -1
	global_store_b64 v[2:3], v[4:5], off
.LBB379_2778:
	s_mov_b32 s9, 0
.LBB379_2779:
	s_delay_alu instid0(SALU_CYCLE_1)
	s_and_b32 vcc_lo, exec_lo, s9
	s_cbranch_vccz .LBB379_2795
; %bb.2780:
	s_cmp_lt_i32 s6, 27
	s_mov_b32 s8, -1
	s_cbranch_scc1 .LBB379_2786
; %bb.2781:
	s_cmp_gt_i32 s6, 27
	s_cbranch_scc0 .LBB379_2783
; %bb.2782:
	s_wait_xcnt 0x0
	v_cndmask_b32_e64 v1, 0, 1, s3
	s_mov_b32 s8, 0
	global_store_b32 v[2:3], v1, off
.LBB379_2783:
	s_and_not1_b32 vcc_lo, exec_lo, s8
	s_cbranch_vccnz .LBB379_2785
; %bb.2784:
	s_wait_xcnt 0x0
	v_cndmask_b32_e64 v1, 0, 1, s3
	global_store_b16 v[2:3], v1, off
.LBB379_2785:
	s_mov_b32 s8, 0
.LBB379_2786:
	s_delay_alu instid0(SALU_CYCLE_1)
	s_and_not1_b32 vcc_lo, exec_lo, s8
	s_cbranch_vccnz .LBB379_2794
; %bb.2787:
	s_wait_xcnt 0x0
	v_cndmask_b32_e64 v4, 0, 1.0, s3
	v_mov_b32_e32 v5, 0x80
	s_mov_b32 s8, exec_lo
	s_delay_alu instid0(VALU_DEP_2)
	v_cmpx_gt_u32_e32 0x43800000, v4
	s_cbranch_execz .LBB379_2793
; %bb.2788:
	s_mov_b32 s9, 0
	s_mov_b32 s10, exec_lo
                                        ; implicit-def: $vgpr1
	v_cmpx_lt_u32_e32 0x3bffffff, v4
	s_xor_b32 s10, exec_lo, s10
	s_cbranch_execz .LBB379_3014
; %bb.2789:
	v_bfe_u32 v1, v4, 20, 1
	s_mov_b32 s9, exec_lo
	s_delay_alu instid0(VALU_DEP_1) | instskip(NEXT) | instid1(VALU_DEP_1)
	v_add3_u32 v1, v4, v1, 0x487ffff
                                        ; implicit-def: $vgpr4
	v_lshrrev_b32_e32 v1, 20, v1
	s_and_not1_saveexec_b32 s10, s10
	s_cbranch_execnz .LBB379_3015
.LBB379_2790:
	s_or_b32 exec_lo, exec_lo, s10
	v_mov_b32_e32 v5, 0
	s_and_saveexec_b32 s10, s9
.LBB379_2791:
	v_mov_b32_e32 v5, v1
.LBB379_2792:
	s_or_b32 exec_lo, exec_lo, s10
.LBB379_2793:
	s_delay_alu instid0(SALU_CYCLE_1)
	s_or_b32 exec_lo, exec_lo, s8
	global_store_b8 v[2:3], v5, off
.LBB379_2794:
	s_mov_b32 s8, -1
.LBB379_2795:
	s_mov_b32 s9, 0
.LBB379_2796:
	s_delay_alu instid0(SALU_CYCLE_1)
	s_and_b32 vcc_lo, exec_lo, s9
	s_cbranch_vccz .LBB379_2836
; %bb.2797:
	s_cmp_gt_i32 s6, 22
	s_mov_b32 s7, -1
	s_cbranch_scc0 .LBB379_2829
; %bb.2798:
	s_cmp_lt_i32 s6, 24
	s_cbranch_scc1 .LBB379_2818
; %bb.2799:
	s_cmp_gt_i32 s6, 24
	s_cbranch_scc0 .LBB379_2807
; %bb.2800:
	s_wait_xcnt 0x0
	v_cndmask_b32_e64 v4, 0, 1.0, s3
	v_mov_b32_e32 v5, 0x80
	s_mov_b32 s7, exec_lo
	s_delay_alu instid0(VALU_DEP_2)
	v_cmpx_gt_u32_e32 0x47800000, v4
	s_cbranch_execz .LBB379_2806
; %bb.2801:
	s_mov_b32 s8, 0
	s_mov_b32 s9, exec_lo
                                        ; implicit-def: $vgpr1
	v_cmpx_lt_u32_e32 0x37ffffff, v4
	s_xor_b32 s9, exec_lo, s9
	s_cbranch_execz .LBB379_3017
; %bb.2802:
	v_bfe_u32 v1, v4, 21, 1
	s_mov_b32 s8, exec_lo
	s_delay_alu instid0(VALU_DEP_1) | instskip(NEXT) | instid1(VALU_DEP_1)
	v_add3_u32 v1, v4, v1, 0x88fffff
                                        ; implicit-def: $vgpr4
	v_lshrrev_b32_e32 v1, 21, v1
	s_and_not1_saveexec_b32 s9, s9
	s_cbranch_execnz .LBB379_3018
.LBB379_2803:
	s_or_b32 exec_lo, exec_lo, s9
	v_mov_b32_e32 v5, 0
	s_and_saveexec_b32 s9, s8
.LBB379_2804:
	v_mov_b32_e32 v5, v1
.LBB379_2805:
	s_or_b32 exec_lo, exec_lo, s9
.LBB379_2806:
	s_delay_alu instid0(SALU_CYCLE_1)
	s_or_b32 exec_lo, exec_lo, s7
	s_mov_b32 s7, 0
	global_store_b8 v[2:3], v5, off
.LBB379_2807:
	s_and_b32 vcc_lo, exec_lo, s7
	s_cbranch_vccz .LBB379_2817
; %bb.2808:
	s_wait_xcnt 0x0
	v_cndmask_b32_e64 v4, 0, 1.0, s3
	s_mov_b32 s7, exec_lo
                                        ; implicit-def: $vgpr1
	s_delay_alu instid0(VALU_DEP_1)
	v_cmpx_gt_u32_e32 0x43f00000, v4
	s_xor_b32 s7, exec_lo, s7
	s_cbranch_execz .LBB379_2814
; %bb.2809:
	s_mov_b32 s8, exec_lo
                                        ; implicit-def: $vgpr1
	v_cmpx_lt_u32_e32 0x3c7fffff, v4
	s_xor_b32 s8, exec_lo, s8
; %bb.2810:
	v_bfe_u32 v1, v4, 20, 1
	s_delay_alu instid0(VALU_DEP_1) | instskip(NEXT) | instid1(VALU_DEP_1)
	v_add3_u32 v1, v4, v1, 0x407ffff
	v_and_b32_e32 v4, 0xff00000, v1
	v_lshrrev_b32_e32 v1, 20, v1
	s_delay_alu instid0(VALU_DEP_2) | instskip(NEXT) | instid1(VALU_DEP_2)
	v_cmp_ne_u32_e32 vcc_lo, 0x7f00000, v4
                                        ; implicit-def: $vgpr4
	v_cndmask_b32_e32 v1, 0x7e, v1, vcc_lo
; %bb.2811:
	s_and_not1_saveexec_b32 s8, s8
; %bb.2812:
	v_add_f32_e32 v1, 0x46800000, v4
; %bb.2813:
	s_or_b32 exec_lo, exec_lo, s8
                                        ; implicit-def: $vgpr4
.LBB379_2814:
	s_and_not1_saveexec_b32 s7, s7
; %bb.2815:
	v_mov_b32_e32 v1, 0x7f
	v_cmp_lt_u32_e32 vcc_lo, 0x7f800000, v4
	s_delay_alu instid0(VALU_DEP_2)
	v_cndmask_b32_e32 v1, 0x7e, v1, vcc_lo
; %bb.2816:
	s_or_b32 exec_lo, exec_lo, s7
	global_store_b8 v[2:3], v1, off
.LBB379_2817:
	s_mov_b32 s7, 0
.LBB379_2818:
	s_delay_alu instid0(SALU_CYCLE_1)
	s_and_not1_b32 vcc_lo, exec_lo, s7
	s_cbranch_vccnz .LBB379_2828
; %bb.2819:
	s_wait_xcnt 0x0
	v_cndmask_b32_e64 v4, 0, 1.0, s3
	s_mov_b32 s7, exec_lo
                                        ; implicit-def: $vgpr1
	s_delay_alu instid0(VALU_DEP_1)
	v_cmpx_gt_u32_e32 0x47800000, v4
	s_xor_b32 s7, exec_lo, s7
	s_cbranch_execz .LBB379_2825
; %bb.2820:
	s_mov_b32 s8, exec_lo
                                        ; implicit-def: $vgpr1
	v_cmpx_lt_u32_e32 0x387fffff, v4
	s_xor_b32 s8, exec_lo, s8
; %bb.2821:
	v_bfe_u32 v1, v4, 21, 1
	s_delay_alu instid0(VALU_DEP_1) | instskip(NEXT) | instid1(VALU_DEP_1)
	v_add3_u32 v1, v4, v1, 0x80fffff
                                        ; implicit-def: $vgpr4
	v_lshrrev_b32_e32 v1, 21, v1
; %bb.2822:
	s_and_not1_saveexec_b32 s8, s8
; %bb.2823:
	v_add_f32_e32 v1, 0x43000000, v4
; %bb.2824:
	s_or_b32 exec_lo, exec_lo, s8
                                        ; implicit-def: $vgpr4
.LBB379_2825:
	s_and_not1_saveexec_b32 s7, s7
; %bb.2826:
	v_mov_b32_e32 v1, 0x7f
	v_cmp_lt_u32_e32 vcc_lo, 0x7f800000, v4
	s_delay_alu instid0(VALU_DEP_2)
	v_cndmask_b32_e32 v1, 0x7c, v1, vcc_lo
; %bb.2827:
	s_or_b32 exec_lo, exec_lo, s7
	global_store_b8 v[2:3], v1, off
.LBB379_2828:
	s_mov_b32 s7, 0
	s_mov_b32 s8, -1
.LBB379_2829:
	s_and_not1_b32 vcc_lo, exec_lo, s7
	s_mov_b32 s7, 0
	s_cbranch_vccnz .LBB379_2836
; %bb.2830:
	s_cmp_gt_i32 s6, 14
	s_mov_b32 s7, -1
	s_cbranch_scc0 .LBB379_2834
; %bb.2831:
	s_cmp_eq_u32 s6, 15
	s_mov_b32 s0, -1
	s_cbranch_scc0 .LBB379_2833
; %bb.2832:
	s_wait_xcnt 0x0
	v_cndmask_b32_e64 v1, 0, 1.0, s3
	s_mov_b32 s0, 0
	s_mov_b32 s8, -1
	s_delay_alu instid0(VALU_DEP_1) | instskip(NEXT) | instid1(VALU_DEP_1)
	v_bfe_u32 v4, v1, 16, 1
	v_add3_u32 v1, v1, v4, 0x7fff
	global_store_d16_hi_b16 v[2:3], v1, off
.LBB379_2833:
	s_mov_b32 s7, 0
.LBB379_2834:
	s_delay_alu instid0(SALU_CYCLE_1)
	s_and_b32 vcc_lo, exec_lo, s7
	s_mov_b32 s7, 0
	s_cbranch_vccz .LBB379_2836
; %bb.2835:
	s_cmp_lg_u32 s6, 11
	s_mov_b32 s7, -1
	s_cselect_b32 s0, -1, 0
.LBB379_2836:
	s_delay_alu instid0(SALU_CYCLE_1)
	s_and_b32 vcc_lo, exec_lo, s0
	s_cbranch_vccnz .LBB379_3016
; %bb.2837:
	s_and_not1_b32 vcc_lo, exec_lo, s7
	s_cbranch_vccnz .LBB379_2839
.LBB379_2838:
	s_wait_xcnt 0x0
	v_cndmask_b32_e64 v1, 0, 1, s3
	s_mov_b32 s8, -1
	global_store_b8 v[2:3], v1, off
.LBB379_2839:
	s_mov_b32 s0, 0
	s_branch .LBB379_2841
.LBB379_2840:
	s_mov_b32 s0, -1
	s_mov_b32 s8, 0
.LBB379_2841:
	s_and_b32 vcc_lo, exec_lo, s0
	s_cbranch_vccz .LBB379_2880
; %bb.2842:
	s_and_b32 s0, 0xffff, s17
	s_mov_b32 s6, -1
	s_cmp_lt_i32 s0, 5
	s_cbranch_scc1 .LBB379_2863
; %bb.2843:
	s_cmp_lt_i32 s0, 8
	s_cbranch_scc1 .LBB379_2853
; %bb.2844:
	;; [unrolled: 3-line block ×3, first 2 shown]
	s_cmp_gt_i32 s0, 9
	s_cbranch_scc0 .LBB379_2847
; %bb.2846:
	s_wait_xcnt 0x0
	v_cndmask_b32_e64 v1, 0, 1, s3
	v_mov_b32_e32 v6, 0
	s_mov_b32 s6, 0
	s_delay_alu instid0(VALU_DEP_2) | instskip(NEXT) | instid1(VALU_DEP_2)
	v_cvt_f64_u32_e32 v[4:5], v1
	v_mov_b32_e32 v7, v6
	global_store_b128 v[2:3], v[4:7], off
.LBB379_2847:
	s_and_not1_b32 vcc_lo, exec_lo, s6
	s_cbranch_vccnz .LBB379_2849
; %bb.2848:
	s_wait_xcnt 0x0
	v_cndmask_b32_e64 v4, 0, 1.0, s3
	v_mov_b32_e32 v5, 0
	global_store_b64 v[2:3], v[4:5], off
.LBB379_2849:
	s_mov_b32 s6, 0
.LBB379_2850:
	s_delay_alu instid0(SALU_CYCLE_1)
	s_and_not1_b32 vcc_lo, exec_lo, s6
	s_cbranch_vccnz .LBB379_2852
; %bb.2851:
	s_wait_xcnt 0x0
	v_cndmask_b32_e64 v1, 0, 1.0, s3
	s_delay_alu instid0(VALU_DEP_1) | instskip(NEXT) | instid1(VALU_DEP_1)
	v_cvt_f16_f32_e32 v1, v1
	v_and_b32_e32 v1, 0xffff, v1
	global_store_b32 v[2:3], v1, off
.LBB379_2852:
	s_mov_b32 s6, 0
.LBB379_2853:
	s_delay_alu instid0(SALU_CYCLE_1)
	s_and_not1_b32 vcc_lo, exec_lo, s6
	s_cbranch_vccnz .LBB379_2862
; %bb.2854:
	s_cmp_lt_i32 s0, 6
	s_mov_b32 s6, -1
	s_cbranch_scc1 .LBB379_2860
; %bb.2855:
	s_cmp_gt_i32 s0, 6
	s_cbranch_scc0 .LBB379_2857
; %bb.2856:
	s_wait_xcnt 0x0
	v_cndmask_b32_e64 v1, 0, 1, s3
	s_mov_b32 s6, 0
	s_delay_alu instid0(VALU_DEP_1)
	v_cvt_f64_u32_e32 v[4:5], v1
	global_store_b64 v[2:3], v[4:5], off
.LBB379_2857:
	s_and_not1_b32 vcc_lo, exec_lo, s6
	s_cbranch_vccnz .LBB379_2859
; %bb.2858:
	s_wait_xcnt 0x0
	v_cndmask_b32_e64 v1, 0, 1.0, s3
	global_store_b32 v[2:3], v1, off
.LBB379_2859:
	s_mov_b32 s6, 0
.LBB379_2860:
	s_delay_alu instid0(SALU_CYCLE_1)
	s_and_not1_b32 vcc_lo, exec_lo, s6
	s_cbranch_vccnz .LBB379_2862
; %bb.2861:
	s_wait_xcnt 0x0
	v_cndmask_b32_e64 v1, 0, 1.0, s3
	s_delay_alu instid0(VALU_DEP_1)
	v_cvt_f16_f32_e32 v1, v1
	global_store_b16 v[2:3], v1, off
.LBB379_2862:
	s_mov_b32 s6, 0
.LBB379_2863:
	s_delay_alu instid0(SALU_CYCLE_1)
	s_and_not1_b32 vcc_lo, exec_lo, s6
	s_cbranch_vccnz .LBB379_2879
; %bb.2864:
	s_cmp_lt_i32 s0, 2
	s_mov_b32 s6, -1
	s_cbranch_scc1 .LBB379_2874
; %bb.2865:
	s_cmp_lt_i32 s0, 3
	s_cbranch_scc1 .LBB379_2871
; %bb.2866:
	s_cmp_gt_i32 s0, 3
	s_cbranch_scc0 .LBB379_2868
; %bb.2867:
	s_mov_b32 s6, 0
	s_wait_xcnt 0x0
	v_cndmask_b32_e64 v4, 0, 1, s3
	v_mov_b32_e32 v5, s6
	global_store_b64 v[2:3], v[4:5], off
.LBB379_2868:
	s_and_not1_b32 vcc_lo, exec_lo, s6
	s_cbranch_vccnz .LBB379_2870
; %bb.2869:
	s_wait_xcnt 0x0
	v_cndmask_b32_e64 v1, 0, 1, s3
	global_store_b32 v[2:3], v1, off
.LBB379_2870:
	s_mov_b32 s6, 0
.LBB379_2871:
	s_delay_alu instid0(SALU_CYCLE_1)
	s_and_not1_b32 vcc_lo, exec_lo, s6
	s_cbranch_vccnz .LBB379_2873
; %bb.2872:
	s_wait_xcnt 0x0
	v_cndmask_b32_e64 v1, 0, 1, s3
	global_store_b16 v[2:3], v1, off
.LBB379_2873:
	s_mov_b32 s6, 0
.LBB379_2874:
	s_delay_alu instid0(SALU_CYCLE_1)
	s_and_not1_b32 vcc_lo, exec_lo, s6
	s_cbranch_vccnz .LBB379_2879
; %bb.2875:
	s_wait_xcnt 0x0
	v_cndmask_b32_e64 v1, 0, 1, s3
	s_cmp_gt_i32 s0, 0
	s_mov_b32 s0, -1
	s_cbranch_scc0 .LBB379_2877
; %bb.2876:
	s_mov_b32 s0, 0
	global_store_b8 v[2:3], v1, off
.LBB379_2877:
	s_and_not1_b32 vcc_lo, exec_lo, s0
	s_cbranch_vccnz .LBB379_2879
; %bb.2878:
	global_store_b8 v[2:3], v1, off
.LBB379_2879:
	s_mov_b32 s8, -1
.LBB379_2880:
	s_delay_alu instid0(SALU_CYCLE_1)
	s_and_not1_b32 vcc_lo, exec_lo, s8
	s_cbranch_vccnz .LBB379_2957
; %bb.2881:
	v_add_nc_u32_e32 v0, s2, v0
	s_wait_xcnt 0x0
	v_and_b32_e32 v2, 0xff, v14
	v_and_b32_e32 v3, 0xff, v10
	s_delay_alu instid0(VALU_DEP_3) | instskip(NEXT) | instid1(VALU_DEP_2)
	v_ashrrev_i32_e32 v1, 31, v0
	v_cmp_ne_u16_e32 vcc_lo, v3, v2
	s_delay_alu instid0(VALU_DEP_2)
	v_add_nc_u64_e32 v[0:1], s[4:5], v[0:1]
	s_xor_b32 s18, s1, vcc_lo
	s_cmp_lt_i32 s17, 11
	s_cbranch_scc1 .LBB379_3002
; %bb.2882:
	s_and_b32 s1, 0xffff, s17
	s_mov_b32 s3, -1
	s_mov_b32 s2, 0
	s_cmp_gt_i32 s1, 25
	s_mov_b32 s0, 0
	s_cbranch_scc0 .LBB379_2915
; %bb.2883:
	s_cmp_gt_i32 s1, 28
	s_cbranch_scc0 .LBB379_2899
; %bb.2884:
	s_cmp_gt_i32 s1, 43
	s_cbranch_scc0 .LBB379_2895
; %bb.2885:
	s_cmp_gt_i32 s1, 45
	s_cbranch_scc0 .LBB379_2889
; %bb.2886:
	s_cmp_eq_u32 s1, 46
	s_mov_b32 s0, -1
	s_cbranch_scc0 .LBB379_2888
; %bb.2887:
	v_cndmask_b32_e64 v2, 0, 1.0, s18
	s_mov_b32 s0, 0
	s_delay_alu instid0(VALU_DEP_1) | instskip(NEXT) | instid1(VALU_DEP_1)
	v_bfe_u32 v3, v2, 16, 1
	v_add3_u32 v2, v2, v3, 0x7fff
	s_delay_alu instid0(VALU_DEP_1)
	v_lshrrev_b32_e32 v2, 16, v2
	global_store_b32 v[0:1], v2, off
.LBB379_2888:
	s_mov_b32 s3, 0
.LBB379_2889:
	s_delay_alu instid0(SALU_CYCLE_1)
	s_and_b32 vcc_lo, exec_lo, s3
	s_cbranch_vccz .LBB379_2894
; %bb.2890:
	s_cmp_eq_u32 s1, 44
	s_mov_b32 s0, -1
	s_cbranch_scc0 .LBB379_2894
; %bb.2891:
	v_cndmask_b32_e64 v4, 0, 1.0, s18
	s_mov_b32 s3, exec_lo
	s_wait_xcnt 0x0
	s_delay_alu instid0(VALU_DEP_1) | instskip(NEXT) | instid1(VALU_DEP_1)
	v_dual_mov_b32 v3, 0xff :: v_dual_lshrrev_b32 v2, 23, v4
	v_cmpx_ne_u32_e32 0xff, v2
; %bb.2892:
	v_and_b32_e32 v3, 0x400000, v4
	v_and_or_b32 v4, 0x3fffff, v4, v2
	s_delay_alu instid0(VALU_DEP_2) | instskip(NEXT) | instid1(VALU_DEP_2)
	v_cmp_ne_u32_e32 vcc_lo, 0, v3
	v_cmp_ne_u32_e64 s0, 0, v4
	s_and_b32 s0, vcc_lo, s0
	s_delay_alu instid0(SALU_CYCLE_1) | instskip(NEXT) | instid1(VALU_DEP_1)
	v_cndmask_b32_e64 v3, 0, 1, s0
	v_add_nc_u32_e32 v3, v2, v3
; %bb.2893:
	s_or_b32 exec_lo, exec_lo, s3
	s_mov_b32 s0, 0
	global_store_b8 v[0:1], v3, off
.LBB379_2894:
	s_mov_b32 s3, 0
.LBB379_2895:
	s_delay_alu instid0(SALU_CYCLE_1)
	s_and_b32 vcc_lo, exec_lo, s3
	s_cbranch_vccz .LBB379_2898
; %bb.2896:
	s_cmp_eq_u32 s1, 29
	s_mov_b32 s0, -1
	s_cbranch_scc0 .LBB379_2898
; %bb.2897:
	s_mov_b32 s0, 0
	s_wait_xcnt 0x0
	v_cndmask_b32_e64 v2, 0, 1, s18
	v_mov_b32_e32 v3, s0
	global_store_b64 v[0:1], v[2:3], off
.LBB379_2898:
	s_mov_b32 s3, 0
.LBB379_2899:
	s_delay_alu instid0(SALU_CYCLE_1)
	s_and_b32 vcc_lo, exec_lo, s3
	s_cbranch_vccz .LBB379_2914
; %bb.2900:
	s_cmp_lt_i32 s1, 27
	s_mov_b32 s3, -1
	s_cbranch_scc1 .LBB379_2906
; %bb.2901:
	s_wait_xcnt 0x0
	v_cndmask_b32_e64 v2, 0, 1, s18
	s_cmp_gt_i32 s1, 27
	s_cbranch_scc0 .LBB379_2903
; %bb.2902:
	s_mov_b32 s3, 0
	global_store_b32 v[0:1], v2, off
.LBB379_2903:
	s_and_not1_b32 vcc_lo, exec_lo, s3
	s_cbranch_vccnz .LBB379_2905
; %bb.2904:
	global_store_b16 v[0:1], v2, off
.LBB379_2905:
	s_mov_b32 s3, 0
.LBB379_2906:
	s_delay_alu instid0(SALU_CYCLE_1)
	s_and_not1_b32 vcc_lo, exec_lo, s3
	s_cbranch_vccnz .LBB379_2914
; %bb.2907:
	s_wait_xcnt 0x0
	v_cndmask_b32_e64 v3, 0, 1.0, s18
	v_mov_b32_e32 v4, 0x80
	s_mov_b32 s3, exec_lo
	s_delay_alu instid0(VALU_DEP_2)
	v_cmpx_gt_u32_e32 0x43800000, v3
	s_cbranch_execz .LBB379_2913
; %bb.2908:
	s_mov_b32 s4, 0
	s_mov_b32 s5, exec_lo
                                        ; implicit-def: $vgpr2
	v_cmpx_lt_u32_e32 0x3bffffff, v3
	s_xor_b32 s5, exec_lo, s5
	s_cbranch_execz .LBB379_3019
; %bb.2909:
	v_bfe_u32 v2, v3, 20, 1
	s_mov_b32 s4, exec_lo
	s_delay_alu instid0(VALU_DEP_1) | instskip(NEXT) | instid1(VALU_DEP_1)
	v_add3_u32 v2, v3, v2, 0x487ffff
                                        ; implicit-def: $vgpr3
	v_lshrrev_b32_e32 v2, 20, v2
	s_and_not1_saveexec_b32 s5, s5
	s_cbranch_execnz .LBB379_3020
.LBB379_2910:
	s_or_b32 exec_lo, exec_lo, s5
	v_mov_b32_e32 v4, 0
	s_and_saveexec_b32 s5, s4
.LBB379_2911:
	v_mov_b32_e32 v4, v2
.LBB379_2912:
	s_or_b32 exec_lo, exec_lo, s5
.LBB379_2913:
	s_delay_alu instid0(SALU_CYCLE_1)
	s_or_b32 exec_lo, exec_lo, s3
	global_store_b8 v[0:1], v4, off
.LBB379_2914:
	s_mov_b32 s3, 0
.LBB379_2915:
	s_delay_alu instid0(SALU_CYCLE_1)
	s_and_b32 vcc_lo, exec_lo, s3
	s_cbranch_vccz .LBB379_2955
; %bb.2916:
	s_cmp_gt_i32 s1, 22
	s_mov_b32 s2, -1
	s_cbranch_scc0 .LBB379_2948
; %bb.2917:
	s_cmp_lt_i32 s1, 24
	s_cbranch_scc1 .LBB379_2937
; %bb.2918:
	s_cmp_gt_i32 s1, 24
	s_cbranch_scc0 .LBB379_2926
; %bb.2919:
	s_wait_xcnt 0x0
	v_cndmask_b32_e64 v3, 0, 1.0, s18
	v_mov_b32_e32 v4, 0x80
	s_mov_b32 s2, exec_lo
	s_delay_alu instid0(VALU_DEP_2)
	v_cmpx_gt_u32_e32 0x47800000, v3
	s_cbranch_execz .LBB379_2925
; %bb.2920:
	s_mov_b32 s3, 0
	s_mov_b32 s4, exec_lo
                                        ; implicit-def: $vgpr2
	v_cmpx_lt_u32_e32 0x37ffffff, v3
	s_xor_b32 s4, exec_lo, s4
	s_cbranch_execz .LBB379_3022
; %bb.2921:
	v_bfe_u32 v2, v3, 21, 1
	s_mov_b32 s3, exec_lo
	s_delay_alu instid0(VALU_DEP_1) | instskip(NEXT) | instid1(VALU_DEP_1)
	v_add3_u32 v2, v3, v2, 0x88fffff
                                        ; implicit-def: $vgpr3
	v_lshrrev_b32_e32 v2, 21, v2
	s_and_not1_saveexec_b32 s4, s4
	s_cbranch_execnz .LBB379_3023
.LBB379_2922:
	s_or_b32 exec_lo, exec_lo, s4
	v_mov_b32_e32 v4, 0
	s_and_saveexec_b32 s4, s3
.LBB379_2923:
	v_mov_b32_e32 v4, v2
.LBB379_2924:
	s_or_b32 exec_lo, exec_lo, s4
.LBB379_2925:
	s_delay_alu instid0(SALU_CYCLE_1)
	s_or_b32 exec_lo, exec_lo, s2
	s_mov_b32 s2, 0
	global_store_b8 v[0:1], v4, off
.LBB379_2926:
	s_and_b32 vcc_lo, exec_lo, s2
	s_cbranch_vccz .LBB379_2936
; %bb.2927:
	s_wait_xcnt 0x0
	v_cndmask_b32_e64 v3, 0, 1.0, s18
	s_mov_b32 s2, exec_lo
                                        ; implicit-def: $vgpr2
	s_delay_alu instid0(VALU_DEP_1)
	v_cmpx_gt_u32_e32 0x43f00000, v3
	s_xor_b32 s2, exec_lo, s2
	s_cbranch_execz .LBB379_2933
; %bb.2928:
	s_mov_b32 s3, exec_lo
                                        ; implicit-def: $vgpr2
	v_cmpx_lt_u32_e32 0x3c7fffff, v3
	s_xor_b32 s3, exec_lo, s3
; %bb.2929:
	v_bfe_u32 v2, v3, 20, 1
	s_delay_alu instid0(VALU_DEP_1) | instskip(NEXT) | instid1(VALU_DEP_1)
	v_add3_u32 v2, v3, v2, 0x407ffff
	v_and_b32_e32 v3, 0xff00000, v2
	v_lshrrev_b32_e32 v2, 20, v2
	s_delay_alu instid0(VALU_DEP_2) | instskip(NEXT) | instid1(VALU_DEP_2)
	v_cmp_ne_u32_e32 vcc_lo, 0x7f00000, v3
                                        ; implicit-def: $vgpr3
	v_cndmask_b32_e32 v2, 0x7e, v2, vcc_lo
; %bb.2930:
	s_and_not1_saveexec_b32 s3, s3
; %bb.2931:
	v_add_f32_e32 v2, 0x46800000, v3
; %bb.2932:
	s_or_b32 exec_lo, exec_lo, s3
                                        ; implicit-def: $vgpr3
.LBB379_2933:
	s_and_not1_saveexec_b32 s2, s2
; %bb.2934:
	v_mov_b32_e32 v2, 0x7f
	v_cmp_lt_u32_e32 vcc_lo, 0x7f800000, v3
	s_delay_alu instid0(VALU_DEP_2)
	v_cndmask_b32_e32 v2, 0x7e, v2, vcc_lo
; %bb.2935:
	s_or_b32 exec_lo, exec_lo, s2
	global_store_b8 v[0:1], v2, off
.LBB379_2936:
	s_mov_b32 s2, 0
.LBB379_2937:
	s_delay_alu instid0(SALU_CYCLE_1)
	s_and_not1_b32 vcc_lo, exec_lo, s2
	s_cbranch_vccnz .LBB379_2947
; %bb.2938:
	s_wait_xcnt 0x0
	v_cndmask_b32_e64 v3, 0, 1.0, s18
	s_mov_b32 s2, exec_lo
                                        ; implicit-def: $vgpr2
	s_delay_alu instid0(VALU_DEP_1)
	v_cmpx_gt_u32_e32 0x47800000, v3
	s_xor_b32 s2, exec_lo, s2
	s_cbranch_execz .LBB379_2944
; %bb.2939:
	s_mov_b32 s3, exec_lo
                                        ; implicit-def: $vgpr2
	v_cmpx_lt_u32_e32 0x387fffff, v3
	s_xor_b32 s3, exec_lo, s3
; %bb.2940:
	v_bfe_u32 v2, v3, 21, 1
	s_delay_alu instid0(VALU_DEP_1) | instskip(NEXT) | instid1(VALU_DEP_1)
	v_add3_u32 v2, v3, v2, 0x80fffff
                                        ; implicit-def: $vgpr3
	v_lshrrev_b32_e32 v2, 21, v2
; %bb.2941:
	s_and_not1_saveexec_b32 s3, s3
; %bb.2942:
	v_add_f32_e32 v2, 0x43000000, v3
; %bb.2943:
	s_or_b32 exec_lo, exec_lo, s3
                                        ; implicit-def: $vgpr3
.LBB379_2944:
	s_and_not1_saveexec_b32 s2, s2
; %bb.2945:
	v_mov_b32_e32 v2, 0x7f
	v_cmp_lt_u32_e32 vcc_lo, 0x7f800000, v3
	s_delay_alu instid0(VALU_DEP_2)
	v_cndmask_b32_e32 v2, 0x7c, v2, vcc_lo
; %bb.2946:
	s_or_b32 exec_lo, exec_lo, s2
	global_store_b8 v[0:1], v2, off
.LBB379_2947:
	s_mov_b32 s2, 0
.LBB379_2948:
	s_delay_alu instid0(SALU_CYCLE_1)
	s_and_not1_b32 vcc_lo, exec_lo, s2
	s_mov_b32 s2, 0
	s_cbranch_vccnz .LBB379_2955
; %bb.2949:
	s_cmp_gt_i32 s1, 14
	s_mov_b32 s2, -1
	s_cbranch_scc0 .LBB379_2953
; %bb.2950:
	s_cmp_eq_u32 s1, 15
	s_mov_b32 s0, -1
	s_cbranch_scc0 .LBB379_2952
; %bb.2951:
	s_wait_xcnt 0x0
	v_cndmask_b32_e64 v2, 0, 1.0, s18
	s_mov_b32 s0, 0
	s_delay_alu instid0(VALU_DEP_1) | instskip(NEXT) | instid1(VALU_DEP_1)
	v_bfe_u32 v3, v2, 16, 1
	v_add3_u32 v2, v2, v3, 0x7fff
	global_store_d16_hi_b16 v[0:1], v2, off
.LBB379_2952:
	s_mov_b32 s2, 0
.LBB379_2953:
	s_delay_alu instid0(SALU_CYCLE_1)
	s_and_b32 vcc_lo, exec_lo, s2
	s_mov_b32 s2, 0
	s_cbranch_vccz .LBB379_2955
; %bb.2954:
	s_cmp_lg_u32 s1, 11
	s_mov_b32 s2, -1
	s_cselect_b32 s0, -1, 0
.LBB379_2955:
	s_delay_alu instid0(SALU_CYCLE_1)
	s_and_b32 vcc_lo, exec_lo, s0
	s_cbranch_vccnz .LBB379_3021
.LBB379_2956:
	s_mov_b32 s0, 0
	s_branch .LBB379_2958
.LBB379_2957:
	s_mov_b32 s0, 0
	s_mov_b32 s2, 0
                                        ; implicit-def: $sgpr18
                                        ; implicit-def: $sgpr17
                                        ; implicit-def: $vgpr0_vgpr1
.LBB379_2958:
	s_and_not1_b32 s1, s16, exec_lo
	s_and_b32 s3, s13, exec_lo
	s_and_b32 s0, s0, exec_lo
	;; [unrolled: 1-line block ×3, first 2 shown]
	s_or_b32 s16, s1, s3
.LBB379_2959:
	s_wait_xcnt 0x0
	s_or_b32 exec_lo, exec_lo, s15
	s_and_saveexec_b32 s1, s16
	s_cbranch_execz .LBB379_2962
; %bb.2960:
	; divergent unreachable
	s_or_b32 exec_lo, exec_lo, s1
	s_and_saveexec_b32 s1, s13
	s_delay_alu instid0(SALU_CYCLE_1)
	s_xor_b32 s1, exec_lo, s1
	s_cbranch_execnz .LBB379_2963
.LBB379_2961:
	s_or_b32 exec_lo, exec_lo, s1
	s_and_saveexec_b32 s1, s0
	s_cbranch_execnz .LBB379_2964
	s_branch .LBB379_3001
.LBB379_2962:
	s_or_b32 exec_lo, exec_lo, s1
	s_and_saveexec_b32 s1, s13
	s_delay_alu instid0(SALU_CYCLE_1)
	s_xor_b32 s1, exec_lo, s1
	s_cbranch_execz .LBB379_2961
.LBB379_2963:
	s_wait_loadcnt 0x0
	v_cndmask_b32_e64 v2, 0, 1, s18
	global_store_b8 v[0:1], v2, off
	s_wait_xcnt 0x0
	s_or_b32 exec_lo, exec_lo, s1
	s_and_saveexec_b32 s1, s0
	s_cbranch_execz .LBB379_3001
.LBB379_2964:
	s_sext_i32_i16 s1, s17
	s_mov_b32 s0, -1
	s_cmp_lt_i32 s1, 5
	s_cbranch_scc1 .LBB379_2985
; %bb.2965:
	s_cmp_lt_i32 s1, 8
	s_cbranch_scc1 .LBB379_2975
; %bb.2966:
	;; [unrolled: 3-line block ×3, first 2 shown]
	s_cmp_gt_i32 s1, 9
	s_cbranch_scc0 .LBB379_2969
; %bb.2968:
	s_wait_loadcnt 0x0
	v_cndmask_b32_e64 v2, 0, 1, s18
	v_mov_b32_e32 v4, 0
	s_mov_b32 s0, 0
	s_delay_alu instid0(VALU_DEP_2) | instskip(NEXT) | instid1(VALU_DEP_2)
	v_cvt_f64_u32_e32 v[2:3], v2
	v_mov_b32_e32 v5, v4
	global_store_b128 v[0:1], v[2:5], off
.LBB379_2969:
	s_and_not1_b32 vcc_lo, exec_lo, s0
	s_cbranch_vccnz .LBB379_2971
; %bb.2970:
	s_wait_loadcnt 0x0
	v_cndmask_b32_e64 v2, 0, 1.0, s18
	v_mov_b32_e32 v3, 0
	global_store_b64 v[0:1], v[2:3], off
.LBB379_2971:
	s_mov_b32 s0, 0
.LBB379_2972:
	s_delay_alu instid0(SALU_CYCLE_1)
	s_and_not1_b32 vcc_lo, exec_lo, s0
	s_cbranch_vccnz .LBB379_2974
; %bb.2973:
	s_wait_loadcnt 0x0
	v_cndmask_b32_e64 v2, 0, 1.0, s18
	s_delay_alu instid0(VALU_DEP_1) | instskip(NEXT) | instid1(VALU_DEP_1)
	v_cvt_f16_f32_e32 v2, v2
	v_and_b32_e32 v2, 0xffff, v2
	global_store_b32 v[0:1], v2, off
.LBB379_2974:
	s_mov_b32 s0, 0
.LBB379_2975:
	s_delay_alu instid0(SALU_CYCLE_1)
	s_and_not1_b32 vcc_lo, exec_lo, s0
	s_cbranch_vccnz .LBB379_2984
; %bb.2976:
	s_sext_i32_i16 s1, s17
	s_mov_b32 s0, -1
	s_cmp_lt_i32 s1, 6
	s_cbranch_scc1 .LBB379_2982
; %bb.2977:
	s_cmp_gt_i32 s1, 6
	s_cbranch_scc0 .LBB379_2979
; %bb.2978:
	s_wait_loadcnt 0x0
	v_cndmask_b32_e64 v2, 0, 1, s18
	s_mov_b32 s0, 0
	s_delay_alu instid0(VALU_DEP_1)
	v_cvt_f64_u32_e32 v[2:3], v2
	global_store_b64 v[0:1], v[2:3], off
.LBB379_2979:
	s_and_not1_b32 vcc_lo, exec_lo, s0
	s_cbranch_vccnz .LBB379_2981
; %bb.2980:
	s_wait_loadcnt 0x0
	v_cndmask_b32_e64 v2, 0, 1.0, s18
	global_store_b32 v[0:1], v2, off
.LBB379_2981:
	s_mov_b32 s0, 0
.LBB379_2982:
	s_delay_alu instid0(SALU_CYCLE_1)
	s_and_not1_b32 vcc_lo, exec_lo, s0
	s_cbranch_vccnz .LBB379_2984
; %bb.2983:
	s_wait_loadcnt 0x0
	v_cndmask_b32_e64 v2, 0, 1.0, s18
	s_delay_alu instid0(VALU_DEP_1)
	v_cvt_f16_f32_e32 v2, v2
	global_store_b16 v[0:1], v2, off
.LBB379_2984:
	s_mov_b32 s0, 0
.LBB379_2985:
	s_delay_alu instid0(SALU_CYCLE_1)
	s_and_not1_b32 vcc_lo, exec_lo, s0
	s_cbranch_vccnz .LBB379_3001
; %bb.2986:
	s_sext_i32_i16 s1, s17
	s_mov_b32 s0, -1
	s_cmp_lt_i32 s1, 2
	s_cbranch_scc1 .LBB379_2996
; %bb.2987:
	s_cmp_lt_i32 s1, 3
	s_cbranch_scc1 .LBB379_2993
; %bb.2988:
	s_cmp_gt_i32 s1, 3
	s_cbranch_scc0 .LBB379_2990
; %bb.2989:
	s_mov_b32 s0, 0
	s_wait_loadcnt 0x0
	v_cndmask_b32_e64 v2, 0, 1, s18
	v_mov_b32_e32 v3, s0
	global_store_b64 v[0:1], v[2:3], off
.LBB379_2990:
	s_and_not1_b32 vcc_lo, exec_lo, s0
	s_cbranch_vccnz .LBB379_2992
; %bb.2991:
	s_wait_loadcnt 0x0
	v_cndmask_b32_e64 v2, 0, 1, s18
	global_store_b32 v[0:1], v2, off
.LBB379_2992:
	s_mov_b32 s0, 0
.LBB379_2993:
	s_delay_alu instid0(SALU_CYCLE_1)
	s_and_not1_b32 vcc_lo, exec_lo, s0
	s_cbranch_vccnz .LBB379_2995
; %bb.2994:
	s_wait_loadcnt 0x0
	v_cndmask_b32_e64 v2, 0, 1, s18
	global_store_b16 v[0:1], v2, off
.LBB379_2995:
	s_mov_b32 s0, 0
.LBB379_2996:
	s_delay_alu instid0(SALU_CYCLE_1)
	s_and_not1_b32 vcc_lo, exec_lo, s0
	s_cbranch_vccnz .LBB379_3001
; %bb.2997:
	s_wait_loadcnt 0x0
	v_cndmask_b32_e64 v2, 0, 1, s18
	s_sext_i32_i16 s0, s17
	s_delay_alu instid0(SALU_CYCLE_1)
	s_cmp_gt_i32 s0, 0
	s_mov_b32 s0, -1
	s_cbranch_scc0 .LBB379_2999
; %bb.2998:
	s_mov_b32 s0, 0
	global_store_b8 v[0:1], v2, off
.LBB379_2999:
	s_and_not1_b32 vcc_lo, exec_lo, s0
	s_cbranch_vccnz .LBB379_3001
; %bb.3000:
	global_store_b8 v[0:1], v2, off
	s_endpgm
.LBB379_3001:
	s_endpgm
.LBB379_3002:
	s_mov_b32 s2, 0
	s_mov_b32 s0, -1
	s_branch .LBB379_2958
.LBB379_3003:
	s_or_b32 s13, s13, exec_lo
	s_trap 2
	s_cbranch_execz .LBB379_2473
	s_branch .LBB379_2474
.LBB379_3004:
	s_and_not1_saveexec_b32 s10, s10
	s_cbranch_execz .LBB379_2553
.LBB379_3005:
	v_add_f32_e32 v3, 0x46000000, v4
	s_and_not1_b32 s9, s9, exec_lo
	s_delay_alu instid0(VALU_DEP_1) | instskip(NEXT) | instid1(VALU_DEP_1)
	v_and_b32_e32 v3, 0xff, v3
	v_cmp_ne_u32_e32 vcc_lo, 0, v3
	s_and_b32 s11, vcc_lo, exec_lo
	s_delay_alu instid0(SALU_CYCLE_1)
	s_or_b32 s9, s9, s11
	s_or_b32 exec_lo, exec_lo, s10
	v_mov_b32_e32 v5, 0
	s_and_saveexec_b32 s10, s9
	s_cbranch_execnz .LBB379_2554
	s_branch .LBB379_2555
.LBB379_3006:
	s_or_b32 s13, s13, exec_lo
	s_trap 2
	s_cbranch_execz .LBB379_2601
	s_branch .LBB379_2602
.LBB379_3007:
	s_and_not1_saveexec_b32 s9, s9
	s_cbranch_execz .LBB379_2566
.LBB379_3008:
	v_add_f32_e32 v3, 0x42800000, v4
	s_and_not1_b32 s7, s7, exec_lo
	s_delay_alu instid0(VALU_DEP_1) | instskip(NEXT) | instid1(VALU_DEP_1)
	v_and_b32_e32 v3, 0xff, v3
	v_cmp_ne_u32_e32 vcc_lo, 0, v3
	s_and_b32 s10, vcc_lo, exec_lo
	s_delay_alu instid0(SALU_CYCLE_1)
	s_or_b32 s7, s7, s10
	s_or_b32 exec_lo, exec_lo, s9
	v_mov_b32_e32 v5, 0
	s_and_saveexec_b32 s9, s7
	s_cbranch_execnz .LBB379_2567
	s_branch .LBB379_2568
.LBB379_3009:
	s_and_not1_saveexec_b32 s10, s10
	s_cbranch_execz .LBB379_2671
.LBB379_3010:
	v_add_f32_e32 v1, 0x46000000, v4
	s_and_not1_b32 s9, s9, exec_lo
	s_delay_alu instid0(VALU_DEP_1) | instskip(NEXT) | instid1(VALU_DEP_1)
	v_and_b32_e32 v1, 0xff, v1
	v_cmp_ne_u32_e32 vcc_lo, 0, v1
	s_and_b32 s11, vcc_lo, exec_lo
	s_delay_alu instid0(SALU_CYCLE_1)
	s_or_b32 s9, s9, s11
	s_or_b32 exec_lo, exec_lo, s10
	v_mov_b32_e32 v5, 0
	s_and_saveexec_b32 s10, s9
	s_cbranch_execnz .LBB379_2672
	s_branch .LBB379_2673
.LBB379_3011:
	s_or_b32 s13, s13, exec_lo
	s_trap 2
	s_cbranch_execz .LBB379_2719
	s_branch .LBB379_2720
.LBB379_3012:
	s_and_not1_saveexec_b32 s9, s9
	s_cbranch_execz .LBB379_2684
.LBB379_3013:
	v_add_f32_e32 v1, 0x42800000, v4
	s_and_not1_b32 s8, s8, exec_lo
	s_delay_alu instid0(VALU_DEP_1) | instskip(NEXT) | instid1(VALU_DEP_1)
	v_and_b32_e32 v1, 0xff, v1
	v_cmp_ne_u32_e32 vcc_lo, 0, v1
	s_and_b32 s10, vcc_lo, exec_lo
	s_delay_alu instid0(SALU_CYCLE_1)
	s_or_b32 s8, s8, s10
	s_or_b32 exec_lo, exec_lo, s9
	v_mov_b32_e32 v5, 0
	s_and_saveexec_b32 s9, s8
	s_cbranch_execnz .LBB379_2685
	s_branch .LBB379_2686
.LBB379_3014:
	s_and_not1_saveexec_b32 s10, s10
	s_cbranch_execz .LBB379_2790
.LBB379_3015:
	v_add_f32_e32 v1, 0x46000000, v4
	s_and_not1_b32 s9, s9, exec_lo
	s_delay_alu instid0(VALU_DEP_1) | instskip(NEXT) | instid1(VALU_DEP_1)
	v_and_b32_e32 v1, 0xff, v1
	v_cmp_ne_u32_e32 vcc_lo, 0, v1
	s_and_b32 s11, vcc_lo, exec_lo
	s_delay_alu instid0(SALU_CYCLE_1)
	s_or_b32 s9, s9, s11
	s_or_b32 exec_lo, exec_lo, s10
	v_mov_b32_e32 v5, 0
	s_and_saveexec_b32 s10, s9
	s_cbranch_execnz .LBB379_2791
	s_branch .LBB379_2792
.LBB379_3016:
	s_or_b32 s13, s13, exec_lo
	s_trap 2
	s_cbranch_execz .LBB379_2838
	s_branch .LBB379_2839
.LBB379_3017:
	s_and_not1_saveexec_b32 s9, s9
	s_cbranch_execz .LBB379_2803
.LBB379_3018:
	v_add_f32_e32 v1, 0x42800000, v4
	s_and_not1_b32 s8, s8, exec_lo
	s_delay_alu instid0(VALU_DEP_1) | instskip(NEXT) | instid1(VALU_DEP_1)
	v_and_b32_e32 v1, 0xff, v1
	v_cmp_ne_u32_e32 vcc_lo, 0, v1
	s_and_b32 s10, vcc_lo, exec_lo
	s_delay_alu instid0(SALU_CYCLE_1)
	s_or_b32 s8, s8, s10
	s_or_b32 exec_lo, exec_lo, s9
	v_mov_b32_e32 v5, 0
	s_and_saveexec_b32 s9, s8
	s_cbranch_execnz .LBB379_2804
	s_branch .LBB379_2805
.LBB379_3019:
	s_and_not1_saveexec_b32 s5, s5
	s_cbranch_execz .LBB379_2910
.LBB379_3020:
	v_add_f32_e32 v2, 0x46000000, v3
	s_and_not1_b32 s4, s4, exec_lo
	s_delay_alu instid0(VALU_DEP_1) | instskip(NEXT) | instid1(VALU_DEP_1)
	v_and_b32_e32 v2, 0xff, v2
	v_cmp_ne_u32_e32 vcc_lo, 0, v2
	s_and_b32 s6, vcc_lo, exec_lo
	s_delay_alu instid0(SALU_CYCLE_1)
	s_or_b32 s4, s4, s6
	s_or_b32 exec_lo, exec_lo, s5
	v_mov_b32_e32 v4, 0
	s_and_saveexec_b32 s5, s4
	s_cbranch_execnz .LBB379_2911
	s_branch .LBB379_2912
.LBB379_3021:
	s_mov_b32 s2, 0
	s_or_b32 s13, s13, exec_lo
	s_trap 2
	s_branch .LBB379_2956
.LBB379_3022:
	s_and_not1_saveexec_b32 s4, s4
	s_cbranch_execz .LBB379_2922
.LBB379_3023:
	v_add_f32_e32 v2, 0x42800000, v3
	s_and_not1_b32 s3, s3, exec_lo
	s_delay_alu instid0(VALU_DEP_1) | instskip(NEXT) | instid1(VALU_DEP_1)
	v_and_b32_e32 v2, 0xff, v2
	v_cmp_ne_u32_e32 vcc_lo, 0, v2
	s_and_b32 s5, vcc_lo, exec_lo
	s_delay_alu instid0(SALU_CYCLE_1)
	s_or_b32 s3, s3, s5
	s_or_b32 exec_lo, exec_lo, s4
	v_mov_b32_e32 v4, 0
	s_and_saveexec_b32 s4, s3
	s_cbranch_execnz .LBB379_2923
	s_branch .LBB379_2924
	.section	.rodata,"a",@progbits
	.p2align	6, 0x0
	.amdhsa_kernel _ZN2at6native32elementwise_kernel_manual_unrollILi128ELi4EZNS0_15gpu_kernel_implINS0_13BinaryFunctorIN3c1016Float4_e2m1fn_x2ES5_bNS0_12_GLOBAL__N_116CompareEqFunctorIS5_EEEEEEvRNS_18TensorIteratorBaseERKT_EUlibE_EEviT1_
		.amdhsa_group_segment_fixed_size 0
		.amdhsa_private_segment_fixed_size 0
		.amdhsa_kernarg_size 56
		.amdhsa_user_sgpr_count 2
		.amdhsa_user_sgpr_dispatch_ptr 0
		.amdhsa_user_sgpr_queue_ptr 0
		.amdhsa_user_sgpr_kernarg_segment_ptr 1
		.amdhsa_user_sgpr_dispatch_id 0
		.amdhsa_user_sgpr_kernarg_preload_length 0
		.amdhsa_user_sgpr_kernarg_preload_offset 0
		.amdhsa_user_sgpr_private_segment_size 0
		.amdhsa_wavefront_size32 1
		.amdhsa_uses_dynamic_stack 0
		.amdhsa_enable_private_segment 0
		.amdhsa_system_sgpr_workgroup_id_x 1
		.amdhsa_system_sgpr_workgroup_id_y 0
		.amdhsa_system_sgpr_workgroup_id_z 0
		.amdhsa_system_sgpr_workgroup_info 0
		.amdhsa_system_vgpr_workitem_id 0
		.amdhsa_next_free_vgpr 22
		.amdhsa_next_free_sgpr 37
		.amdhsa_named_barrier_count 0
		.amdhsa_reserve_vcc 1
		.amdhsa_float_round_mode_32 0
		.amdhsa_float_round_mode_16_64 0
		.amdhsa_float_denorm_mode_32 3
		.amdhsa_float_denorm_mode_16_64 3
		.amdhsa_fp16_overflow 0
		.amdhsa_memory_ordered 1
		.amdhsa_forward_progress 1
		.amdhsa_inst_pref_size 255
		.amdhsa_round_robin_scheduling 0
		.amdhsa_exception_fp_ieee_invalid_op 0
		.amdhsa_exception_fp_denorm_src 0
		.amdhsa_exception_fp_ieee_div_zero 0
		.amdhsa_exception_fp_ieee_overflow 0
		.amdhsa_exception_fp_ieee_underflow 0
		.amdhsa_exception_fp_ieee_inexact 0
		.amdhsa_exception_int_div_zero 0
	.end_amdhsa_kernel
	.section	.text._ZN2at6native32elementwise_kernel_manual_unrollILi128ELi4EZNS0_15gpu_kernel_implINS0_13BinaryFunctorIN3c1016Float4_e2m1fn_x2ES5_bNS0_12_GLOBAL__N_116CompareEqFunctorIS5_EEEEEEvRNS_18TensorIteratorBaseERKT_EUlibE_EEviT1_,"axG",@progbits,_ZN2at6native32elementwise_kernel_manual_unrollILi128ELi4EZNS0_15gpu_kernel_implINS0_13BinaryFunctorIN3c1016Float4_e2m1fn_x2ES5_bNS0_12_GLOBAL__N_116CompareEqFunctorIS5_EEEEEEvRNS_18TensorIteratorBaseERKT_EUlibE_EEviT1_,comdat
.Lfunc_end379:
	.size	_ZN2at6native32elementwise_kernel_manual_unrollILi128ELi4EZNS0_15gpu_kernel_implINS0_13BinaryFunctorIN3c1016Float4_e2m1fn_x2ES5_bNS0_12_GLOBAL__N_116CompareEqFunctorIS5_EEEEEEvRNS_18TensorIteratorBaseERKT_EUlibE_EEviT1_, .Lfunc_end379-_ZN2at6native32elementwise_kernel_manual_unrollILi128ELi4EZNS0_15gpu_kernel_implINS0_13BinaryFunctorIN3c1016Float4_e2m1fn_x2ES5_bNS0_12_GLOBAL__N_116CompareEqFunctorIS5_EEEEEEvRNS_18TensorIteratorBaseERKT_EUlibE_EEviT1_
                                        ; -- End function
	.set _ZN2at6native32elementwise_kernel_manual_unrollILi128ELi4EZNS0_15gpu_kernel_implINS0_13BinaryFunctorIN3c1016Float4_e2m1fn_x2ES5_bNS0_12_GLOBAL__N_116CompareEqFunctorIS5_EEEEEEvRNS_18TensorIteratorBaseERKT_EUlibE_EEviT1_.num_vgpr, 22
	.set _ZN2at6native32elementwise_kernel_manual_unrollILi128ELi4EZNS0_15gpu_kernel_implINS0_13BinaryFunctorIN3c1016Float4_e2m1fn_x2ES5_bNS0_12_GLOBAL__N_116CompareEqFunctorIS5_EEEEEEvRNS_18TensorIteratorBaseERKT_EUlibE_EEviT1_.num_agpr, 0
	.set _ZN2at6native32elementwise_kernel_manual_unrollILi128ELi4EZNS0_15gpu_kernel_implINS0_13BinaryFunctorIN3c1016Float4_e2m1fn_x2ES5_bNS0_12_GLOBAL__N_116CompareEqFunctorIS5_EEEEEEvRNS_18TensorIteratorBaseERKT_EUlibE_EEviT1_.numbered_sgpr, 37
	.set _ZN2at6native32elementwise_kernel_manual_unrollILi128ELi4EZNS0_15gpu_kernel_implINS0_13BinaryFunctorIN3c1016Float4_e2m1fn_x2ES5_bNS0_12_GLOBAL__N_116CompareEqFunctorIS5_EEEEEEvRNS_18TensorIteratorBaseERKT_EUlibE_EEviT1_.num_named_barrier, 0
	.set _ZN2at6native32elementwise_kernel_manual_unrollILi128ELi4EZNS0_15gpu_kernel_implINS0_13BinaryFunctorIN3c1016Float4_e2m1fn_x2ES5_bNS0_12_GLOBAL__N_116CompareEqFunctorIS5_EEEEEEvRNS_18TensorIteratorBaseERKT_EUlibE_EEviT1_.private_seg_size, 0
	.set _ZN2at6native32elementwise_kernel_manual_unrollILi128ELi4EZNS0_15gpu_kernel_implINS0_13BinaryFunctorIN3c1016Float4_e2m1fn_x2ES5_bNS0_12_GLOBAL__N_116CompareEqFunctorIS5_EEEEEEvRNS_18TensorIteratorBaseERKT_EUlibE_EEviT1_.uses_vcc, 1
	.set _ZN2at6native32elementwise_kernel_manual_unrollILi128ELi4EZNS0_15gpu_kernel_implINS0_13BinaryFunctorIN3c1016Float4_e2m1fn_x2ES5_bNS0_12_GLOBAL__N_116CompareEqFunctorIS5_EEEEEEvRNS_18TensorIteratorBaseERKT_EUlibE_EEviT1_.uses_flat_scratch, 0
	.set _ZN2at6native32elementwise_kernel_manual_unrollILi128ELi4EZNS0_15gpu_kernel_implINS0_13BinaryFunctorIN3c1016Float4_e2m1fn_x2ES5_bNS0_12_GLOBAL__N_116CompareEqFunctorIS5_EEEEEEvRNS_18TensorIteratorBaseERKT_EUlibE_EEviT1_.has_dyn_sized_stack, 0
	.set _ZN2at6native32elementwise_kernel_manual_unrollILi128ELi4EZNS0_15gpu_kernel_implINS0_13BinaryFunctorIN3c1016Float4_e2m1fn_x2ES5_bNS0_12_GLOBAL__N_116CompareEqFunctorIS5_EEEEEEvRNS_18TensorIteratorBaseERKT_EUlibE_EEviT1_.has_recursion, 0
	.set _ZN2at6native32elementwise_kernel_manual_unrollILi128ELi4EZNS0_15gpu_kernel_implINS0_13BinaryFunctorIN3c1016Float4_e2m1fn_x2ES5_bNS0_12_GLOBAL__N_116CompareEqFunctorIS5_EEEEEEvRNS_18TensorIteratorBaseERKT_EUlibE_EEviT1_.has_indirect_call, 0
	.section	.AMDGPU.csdata,"",@progbits
; Kernel info:
; codeLenInByte = 51900
; TotalNumSgprs: 39
; NumVgprs: 22
; ScratchSize: 0
; MemoryBound: 1
; FloatMode: 240
; IeeeMode: 1
; LDSByteSize: 0 bytes/workgroup (compile time only)
; SGPRBlocks: 0
; VGPRBlocks: 1
; NumSGPRsForWavesPerEU: 39
; NumVGPRsForWavesPerEU: 22
; NamedBarCnt: 0
; Occupancy: 16
; WaveLimiterHint : 0
; COMPUTE_PGM_RSRC2:SCRATCH_EN: 0
; COMPUTE_PGM_RSRC2:USER_SGPR: 2
; COMPUTE_PGM_RSRC2:TRAP_HANDLER: 0
; COMPUTE_PGM_RSRC2:TGID_X_EN: 1
; COMPUTE_PGM_RSRC2:TGID_Y_EN: 0
; COMPUTE_PGM_RSRC2:TGID_Z_EN: 0
; COMPUTE_PGM_RSRC2:TIDIG_COMP_CNT: 0
	.section	.text._ZN2at6native32elementwise_kernel_manual_unrollILi128ELi4EZNS0_15gpu_kernel_implINS0_13BinaryFunctorIN3c1016Float4_e2m1fn_x2ES5_bNS0_12_GLOBAL__N_116CompareEqFunctorIS5_EEEEEEvRNS_18TensorIteratorBaseERKT_EUlibE0_EEviT1_,"axG",@progbits,_ZN2at6native32elementwise_kernel_manual_unrollILi128ELi4EZNS0_15gpu_kernel_implINS0_13BinaryFunctorIN3c1016Float4_e2m1fn_x2ES5_bNS0_12_GLOBAL__N_116CompareEqFunctorIS5_EEEEEEvRNS_18TensorIteratorBaseERKT_EUlibE0_EEviT1_,comdat
	.globl	_ZN2at6native32elementwise_kernel_manual_unrollILi128ELi4EZNS0_15gpu_kernel_implINS0_13BinaryFunctorIN3c1016Float4_e2m1fn_x2ES5_bNS0_12_GLOBAL__N_116CompareEqFunctorIS5_EEEEEEvRNS_18TensorIteratorBaseERKT_EUlibE0_EEviT1_ ; -- Begin function _ZN2at6native32elementwise_kernel_manual_unrollILi128ELi4EZNS0_15gpu_kernel_implINS0_13BinaryFunctorIN3c1016Float4_e2m1fn_x2ES5_bNS0_12_GLOBAL__N_116CompareEqFunctorIS5_EEEEEEvRNS_18TensorIteratorBaseERKT_EUlibE0_EEviT1_
	.p2align	8
	.type	_ZN2at6native32elementwise_kernel_manual_unrollILi128ELi4EZNS0_15gpu_kernel_implINS0_13BinaryFunctorIN3c1016Float4_e2m1fn_x2ES5_bNS0_12_GLOBAL__N_116CompareEqFunctorIS5_EEEEEEvRNS_18TensorIteratorBaseERKT_EUlibE0_EEviT1_,@function
_ZN2at6native32elementwise_kernel_manual_unrollILi128ELi4EZNS0_15gpu_kernel_implINS0_13BinaryFunctorIN3c1016Float4_e2m1fn_x2ES5_bNS0_12_GLOBAL__N_116CompareEqFunctorIS5_EEEEEEvRNS_18TensorIteratorBaseERKT_EUlibE0_EEviT1_: ; @_ZN2at6native32elementwise_kernel_manual_unrollILi128ELi4EZNS0_15gpu_kernel_implINS0_13BinaryFunctorIN3c1016Float4_e2m1fn_x2ES5_bNS0_12_GLOBAL__N_116CompareEqFunctorIS5_EEEEEEvRNS_18TensorIteratorBaseERKT_EUlibE0_EEviT1_
; %bb.0:
	s_clause 0x1
	s_load_b32 s28, s[0:1], 0x8
	s_load_b32 s37, s[0:1], 0x0
	s_bfe_u32 s2, ttmp6, 0x4000c
	s_and_b32 s3, ttmp6, 15
	s_add_co_i32 s2, s2, 1
	s_getreg_b32 s4, hwreg(HW_REG_IB_STS2, 6, 4)
	s_mul_i32 s2, ttmp9, s2
	s_mov_b32 s30, 0
	s_add_co_i32 s3, s3, s2
	s_cmp_eq_u32 s4, 0
	s_mov_b32 s27, -1
	s_cselect_b32 s2, ttmp9, s3
	s_mov_b32 s8, 0
	v_lshl_or_b32 v0, s2, 9, v0
	s_add_nc_u64 s[2:3], s[0:1], 8
	s_wait_xcnt 0x0
	s_mov_b32 s0, exec_lo
	s_delay_alu instid0(VALU_DEP_1) | instskip(SKIP_2) | instid1(SALU_CYCLE_1)
	v_or_b32_e32 v1, 0x180, v0
	s_wait_kmcnt 0x0
	s_add_co_i32 s29, s28, -1
	s_cmp_gt_u32 s29, 1
	s_cselect_b32 s31, -1, 0
	v_cmpx_le_i32_e64 s37, v1
	s_xor_b32 s33, exec_lo, s0
	s_cbranch_execz .LBB380_1561
; %bb.1:
	s_clause 0x4
	s_load_b128 s[12:15], s[2:3], 0x4
	s_load_b256 s[4:11], s[2:3], 0x188
	s_load_b64 s[0:1], s[2:3], 0x14
	s_load_b128 s[16:19], s[2:3], 0xc4
	s_load_b64 s[22:23], s[2:3], 0xd4
	s_cmp_lg_u32 s28, 0
	s_mov_b32 s21, 0
	s_cselect_b32 s38, -1, 0
	s_min_u32 s36, s29, 15
	s_cmp_gt_u32 s28, 1
	s_mov_b32 s25, s21
	s_cselect_b32 s35, -1, 0
	s_mov_b32 s41, s21
	s_mov_b32 s40, s21
	s_mov_b32 s39, s21
	s_mov_b32 s42, exec_lo
	s_wait_kmcnt 0x0
	s_mov_b32 s20, s13
	s_lshr_b32 s34, s11, 8
	s_lshr_b32 s13, s11, 16
	s_cmp_eq_u32 s10, 0
	s_mov_b32 s24, s0
	s_cselect_b32 s10, -1, 0
	v_cmpx_gt_i32_e64 s37, v0
	s_cbranch_execz .LBB380_385
; %bb.2:
	s_and_not1_b32 vcc_lo, exec_lo, s31
	s_cbranch_vccnz .LBB380_8
; %bb.3:
	s_and_not1_b32 vcc_lo, exec_lo, s38
	s_cbranch_vccnz .LBB380_9
; %bb.4:
	v_dual_mov_b32 v2, 0 :: v_dual_mov_b32 v1, v0
	v_dual_mov_b32 v4, 0 :: v_dual_mov_b32 v6, 0
	s_add_co_i32 s0, s36, 1
	s_mov_b64 s[26:27], 0xffffffffffffffe8
	s_and_b32 s0, s0, 30
	s_add_nc_u64 s[26:27], s[2:3], s[26:27]
.LBB380_5:                              ; =>This Inner Loop Header: Depth=1
	s_clause 0x1
	s_load_b128 s[44:47], s[26:27], 0x1c
	s_load_b64 s[40:41], s[26:27], 0x2c
	s_add_co_i32 s0, s0, -2
	s_delay_alu instid0(SALU_CYCLE_1) | instskip(SKIP_2) | instid1(VALU_DEP_1)
	s_cmp_lg_u32 s0, 0
	s_wait_kmcnt 0x0
	v_mul_hi_u32 v3, s45, v1
	v_add_nc_u32_e32 v3, v1, v3
	s_delay_alu instid0(VALU_DEP_1) | instskip(NEXT) | instid1(VALU_DEP_1)
	v_lshrrev_b32_e32 v3, s46, v3
	v_mul_hi_u32 v5, s40, v3
	v_mul_lo_u32 v7, v3, s44
	s_clause 0x1
	s_load_b128 s[48:51], s[26:27], 0xdc
	s_load_b64 s[44:45], s[26:27], 0xec
	s_wait_xcnt 0x0
	s_add_nc_u64 s[26:27], s[26:27], 24
	s_delay_alu instid0(VALU_DEP_1) | instskip(NEXT) | instid1(VALU_DEP_1)
	v_dual_add_nc_u32 v5, v3, v5 :: v_dual_sub_nc_u32 v7, v1, v7
	v_lshrrev_b32_e32 v1, s41, v5
	s_wait_kmcnt 0x0
	s_delay_alu instid0(VALU_DEP_2) | instskip(NEXT) | instid1(VALU_DEP_2)
	v_mad_u32 v2, v7, s48, v2
	v_mul_lo_u32 v5, v1, s47
	v_mad_u32 v6, v7, s50, v6
	v_mad_u32 v4, v7, s49, v4
	s_delay_alu instid0(VALU_DEP_3) | instskip(NEXT) | instid1(VALU_DEP_1)
	v_sub_nc_u32_e32 v3, v3, v5
	v_mad_u32 v2, v3, s51, v2
	s_delay_alu instid0(VALU_DEP_4) | instskip(NEXT) | instid1(VALU_DEP_4)
	v_mad_u32 v6, v3, s45, v6
	v_mad_u32 v4, v3, s44, v4
	s_cbranch_scc1 .LBB380_5
; %bb.6:
	s_bitcmp1_b32 s36, 0
	s_cselect_b32 s0, -1, 0
	s_delay_alu instid0(SALU_CYCLE_1)
	s_and_b32 vcc_lo, exec_lo, s0
	s_cbranch_vccnz .LBB380_10
; %bb.7:
	s_clause 0x1
	s_load_b96 s[44:46], s[26:27], 0x1c
	s_load_b96 s[48:50], s[26:27], 0xdc
	s_wait_kmcnt 0x0
	v_mul_hi_u32 v3, s45, v1
	s_delay_alu instid0(VALU_DEP_1) | instskip(NEXT) | instid1(VALU_DEP_1)
	v_add_nc_u32_e32 v3, v1, v3
	v_lshrrev_b32_e32 v3, s46, v3
	s_delay_alu instid0(VALU_DEP_1) | instskip(NEXT) | instid1(VALU_DEP_1)
	v_mul_lo_u32 v3, v3, s44
	v_sub_nc_u32_e32 v1, v1, v3
	s_delay_alu instid0(VALU_DEP_1)
	v_mad_u32 v2, v1, s48, v2
	v_mad_u32 v4, v1, s49, v4
	;; [unrolled: 1-line block ×3, first 2 shown]
	s_cbranch_execz .LBB380_11
	s_branch .LBB380_13
.LBB380_8:
                                        ; implicit-def: $vgpr6
                                        ; implicit-def: $vgpr4
                                        ; implicit-def: $vgpr2
	s_branch .LBB380_11
.LBB380_9:
	v_dual_mov_b32 v6, 0 :: v_dual_mov_b32 v4, 0
	v_mov_b32_e32 v2, 0
.LBB380_10:
	s_cbranch_execnz .LBB380_13
.LBB380_11:
	v_mov_b32_e32 v1, 0
	s_and_not1_b32 vcc_lo, exec_lo, s35
	s_delay_alu instid0(VALU_DEP_1) | instskip(NEXT) | instid1(VALU_DEP_1)
	v_mul_u64_e32 v[2:3], s[20:21], v[0:1]
	v_add_nc_u32_e32 v2, v0, v3
	s_delay_alu instid0(VALU_DEP_1) | instskip(NEXT) | instid1(VALU_DEP_1)
	v_lshrrev_b32_e32 v8, s14, v2
	v_mul_lo_u32 v2, v8, s12
	s_delay_alu instid0(VALU_DEP_1) | instskip(NEXT) | instid1(VALU_DEP_1)
	v_sub_nc_u32_e32 v3, v0, v2
	v_mul_lo_u32 v2, v3, s16
	v_mul_lo_u32 v6, v3, s18
	;; [unrolled: 1-line block ×3, first 2 shown]
	s_cbranch_vccnz .LBB380_13
; %bb.12:
	v_mov_b32_e32 v9, v1
	s_delay_alu instid0(VALU_DEP_1) | instskip(NEXT) | instid1(VALU_DEP_1)
	v_mul_u64_e32 v[10:11], s[24:25], v[8:9]
	v_add_nc_u32_e32 v1, v8, v11
	s_delay_alu instid0(VALU_DEP_1) | instskip(NEXT) | instid1(VALU_DEP_1)
	v_lshrrev_b32_e32 v1, s1, v1
	v_mul_lo_u32 v1, v1, s15
	s_delay_alu instid0(VALU_DEP_1) | instskip(NEXT) | instid1(VALU_DEP_1)
	v_sub_nc_u32_e32 v1, v8, v1
	v_mad_u32 v2, v1, s19, v2
	v_mad_u32 v4, v1, s22, v4
	;; [unrolled: 1-line block ×3, first 2 shown]
.LBB380_13:
	v_mov_b32_e32 v5, 0
	s_and_b32 s0, s34, 0xff
	s_delay_alu instid0(SALU_CYCLE_1) | instskip(NEXT) | instid1(VALU_DEP_1)
	s_cmp_lt_i32 s0, 11
	v_add_nc_u64_e32 v[8:9], s[6:7], v[4:5]
	s_cbranch_scc1 .LBB380_20
; %bb.14:
	s_and_b32 s27, 0xffff, s0
	s_delay_alu instid0(SALU_CYCLE_1)
	s_cmp_gt_i32 s27, 25
	s_cbranch_scc0 .LBB380_29
; %bb.15:
	s_cmp_gt_i32 s27, 28
	s_cbranch_scc0 .LBB380_39
; %bb.16:
	;; [unrolled: 3-line block ×4, first 2 shown]
	s_cmp_eq_u32 s27, 46
	s_mov_b32 s40, 0
	s_cbranch_scc0 .LBB380_48
; %bb.19:
	global_load_b32 v1, v[8:9], off
	s_mov_b32 s39, -1
	s_mov_b32 s26, 0
	s_wait_loadcnt 0x0
	v_lshlrev_b32_e32 v1, 16, v1
	s_delay_alu instid0(VALU_DEP_1)
	v_cvt_i32_f32_e32 v4, v1
	s_branch .LBB380_50
.LBB380_20:
	s_mov_b32 s26, 0
	s_mov_b32 s39, 0
                                        ; implicit-def: $vgpr4
	s_cbranch_execnz .LBB380_112
.LBB380_21:
	s_and_not1_b32 vcc_lo, exec_lo, s39
	s_cbranch_vccnz .LBB380_159
.LBB380_22:
	v_mov_b32_e32 v7, 0
	s_and_b32 s0, s13, 0xff
	s_delay_alu instid0(SALU_CYCLE_1) | instskip(NEXT) | instid1(VALU_DEP_1)
	s_cmp_lt_i32 s0, 11
	v_add_nc_u64_e32 v[6:7], s[8:9], v[6:7]
	s_cbranch_scc1 .LBB380_30
; %bb.23:
	s_and_b32 s39, 0xffff, s0
	s_delay_alu instid0(SALU_CYCLE_1)
	s_cmp_gt_i32 s39, 25
	s_cbranch_scc0 .LBB380_40
; %bb.24:
	s_cmp_gt_i32 s39, 28
	s_cbranch_scc0 .LBB380_43
; %bb.25:
	;; [unrolled: 3-line block ×4, first 2 shown]
	s_cmp_eq_u32 s39, 46
	s_mov_b32 s41, 0
	s_cbranch_scc0 .LBB380_160
; %bb.28:
	global_load_b32 v1, v[6:7], off
	s_mov_b32 s40, -1
	s_mov_b32 s27, 0
	s_wait_loadcnt 0x0
	v_lshlrev_b32_e32 v1, 16, v1
	s_delay_alu instid0(VALU_DEP_1)
	v_cvt_i32_f32_e32 v8, v1
	s_branch .LBB380_162
.LBB380_29:
	s_mov_b32 s26, 0
	s_mov_b32 s39, 0
                                        ; implicit-def: $vgpr4
	s_cbranch_execnz .LBB380_79
	s_branch .LBB380_111
.LBB380_30:
	s_mov_b32 s27, 0
	s_mov_b32 s40, 0
                                        ; implicit-def: $vgpr8
	s_cbranch_execnz .LBB380_334
.LBB380_31:
	s_and_not1_b32 vcc_lo, exec_lo, s40
	s_cbranch_vccnz .LBB380_382
.LBB380_32:
	s_wait_loadcnt 0x0
	s_delay_alu instid0(VALU_DEP_1) | instskip(NEXT) | instid1(VALU_DEP_4)
	v_and_b32_e32 v1, 0xff, v8
	v_and_b32_e32 v4, 0xff, v4
	v_mov_b32_e32 v3, 0
	s_and_b32 s40, s11, 0xff
	s_delay_alu instid0(VALU_DEP_2) | instskip(NEXT) | instid1(VALU_DEP_2)
	v_cmp_ne_u16_e32 vcc_lo, v4, v1
	v_add_nc_u64_e32 v[2:3], s[4:5], v[2:3]
	s_xor_b32 s39, s10, vcc_lo
	s_cmp_lt_i32 s40, 11
	s_cbranch_scc1 .LBB380_41
; %bb.33:
	s_and_b32 s41, 0xffff, s40
	s_delay_alu instid0(SALU_CYCLE_1)
	s_cmp_gt_i32 s41, 25
	s_cbranch_scc0 .LBB380_44
; %bb.34:
	s_cmp_gt_i32 s41, 28
	s_cbranch_scc0 .LBB380_47
; %bb.35:
	;; [unrolled: 3-line block ×4, first 2 shown]
	s_mov_b32 s44, 0
	s_mov_b32 s0, -1
	s_cmp_eq_u32 s41, 46
	s_mov_b32 s43, 0
	s_cbranch_scc0 .LBB380_166
; %bb.38:
	v_cndmask_b32_e64 v1, 0, 1.0, s39
	s_mov_b32 s43, -1
	s_mov_b32 s0, 0
	s_delay_alu instid0(VALU_DEP_1) | instskip(NEXT) | instid1(VALU_DEP_1)
	v_bfe_u32 v4, v1, 16, 1
	v_add3_u32 v1, v1, v4, 0x7fff
	s_delay_alu instid0(VALU_DEP_1)
	v_lshrrev_b32_e32 v1, 16, v1
	global_store_b32 v[2:3], v1, off
	s_branch .LBB380_166
.LBB380_39:
	s_mov_b32 s40, -1
	s_mov_b32 s26, 0
	s_mov_b32 s39, 0
                                        ; implicit-def: $vgpr4
	s_branch .LBB380_62
.LBB380_40:
	s_mov_b32 s41, -1
	s_mov_b32 s27, 0
	s_mov_b32 s40, 0
                                        ; implicit-def: $vgpr8
	s_branch .LBB380_300
.LBB380_41:
	s_mov_b32 s41, -1
	s_mov_b32 s0, 0
	s_mov_b32 s43, 0
	s_branch .LBB380_235
.LBB380_42:
	s_mov_b32 s40, -1
	s_mov_b32 s26, 0
	s_mov_b32 s39, 0
                                        ; implicit-def: $vgpr4
	s_branch .LBB380_57
.LBB380_43:
	s_mov_b32 s41, -1
	s_mov_b32 s27, 0
	s_mov_b32 s40, 0
                                        ; implicit-def: $vgpr8
	s_branch .LBB380_283
.LBB380_44:
	s_mov_b32 s44, -1
	s_mov_b32 s0, 0
	s_mov_b32 s43, 0
	s_branch .LBB380_193
.LBB380_45:
	s_mov_b32 s40, -1
	s_mov_b32 s26, 0
	s_branch .LBB380_49
.LBB380_46:
	s_mov_b32 s41, -1
	s_mov_b32 s27, 0
	s_mov_b32 s40, 0
                                        ; implicit-def: $vgpr8
	s_branch .LBB380_278
.LBB380_47:
	s_mov_b32 s44, -1
	s_mov_b32 s0, 0
	s_mov_b32 s43, 0
	s_branch .LBB380_176
.LBB380_48:
	s_mov_b32 s26, -1
.LBB380_49:
	s_mov_b32 s39, 0
                                        ; implicit-def: $vgpr4
.LBB380_50:
	s_and_b32 vcc_lo, exec_lo, s40
	s_cbranch_vccz .LBB380_56
; %bb.51:
	s_cmp_eq_u32 s27, 44
	s_cbranch_scc0 .LBB380_55
; %bb.52:
	global_load_u8 v1, v[8:9], off
	s_mov_b32 s26, 0
	s_mov_b32 s39, -1
	s_wait_loadcnt 0x0
	v_lshlrev_b32_e32 v3, 23, v1
	v_cmp_ne_u32_e32 vcc_lo, 0, v1
	s_delay_alu instid0(VALU_DEP_2) | instskip(NEXT) | instid1(VALU_DEP_1)
	v_cvt_i32_f32_e32 v3, v3
	v_cndmask_b32_e32 v4, 0, v3, vcc_lo
	s_branch .LBB380_56
.LBB380_53:
	s_mov_b32 s41, -1
	s_mov_b32 s27, 0
	s_branch .LBB380_161
.LBB380_54:
	s_mov_b32 s44, -1
	s_mov_b32 s0, 0
	s_mov_b32 s43, 0
	s_branch .LBB380_172
.LBB380_55:
	s_mov_b32 s26, -1
                                        ; implicit-def: $vgpr4
.LBB380_56:
	s_mov_b32 s40, 0
.LBB380_57:
	s_delay_alu instid0(SALU_CYCLE_1)
	s_and_b32 vcc_lo, exec_lo, s40
	s_cbranch_vccz .LBB380_61
; %bb.58:
	s_cmp_eq_u32 s27, 29
	s_cbranch_scc0 .LBB380_60
; %bb.59:
	global_load_b64 v[4:5], v[8:9], off
	s_mov_b32 s39, -1
	s_mov_b32 s26, 0
	s_branch .LBB380_61
.LBB380_60:
	s_mov_b32 s26, -1
                                        ; implicit-def: $vgpr4
.LBB380_61:
	s_mov_b32 s40, 0
.LBB380_62:
	s_delay_alu instid0(SALU_CYCLE_1)
	s_and_b32 vcc_lo, exec_lo, s40
	s_cbranch_vccz .LBB380_78
; %bb.63:
	s_cmp_lt_i32 s27, 27
	s_cbranch_scc1 .LBB380_66
; %bb.64:
	s_cmp_gt_i32 s27, 27
	s_cbranch_scc0 .LBB380_67
; %bb.65:
	s_wait_loadcnt 0x0
	global_load_b32 v4, v[8:9], off
	s_mov_b32 s39, 0
	s_branch .LBB380_68
.LBB380_66:
	s_mov_b32 s39, -1
                                        ; implicit-def: $vgpr4
	s_branch .LBB380_71
.LBB380_67:
	s_mov_b32 s39, -1
                                        ; implicit-def: $vgpr4
.LBB380_68:
	s_delay_alu instid0(SALU_CYCLE_1)
	s_and_not1_b32 vcc_lo, exec_lo, s39
	s_cbranch_vccnz .LBB380_70
; %bb.69:
	s_wait_loadcnt 0x0
	global_load_u16 v4, v[8:9], off
.LBB380_70:
	s_mov_b32 s39, 0
.LBB380_71:
	s_delay_alu instid0(SALU_CYCLE_1)
	s_and_not1_b32 vcc_lo, exec_lo, s39
	s_cbranch_vccnz .LBB380_77
; %bb.72:
	global_load_u8 v1, v[8:9], off
	s_mov_b32 s40, 0
	s_mov_b32 s39, exec_lo
	s_wait_loadcnt 0x0
	v_cmpx_lt_i16_e32 0x7f, v1
	s_xor_b32 s39, exec_lo, s39
	s_cbranch_execz .LBB380_88
; %bb.73:
	v_cmp_ne_u16_e32 vcc_lo, 0x80, v1
	s_and_b32 s40, vcc_lo, exec_lo
	s_and_not1_saveexec_b32 s39, s39
	s_cbranch_execnz .LBB380_89
.LBB380_74:
	s_or_b32 exec_lo, exec_lo, s39
	v_mov_b32_e32 v4, 0
	s_and_saveexec_b32 s39, s40
	s_cbranch_execz .LBB380_76
.LBB380_75:
	v_and_b32_e32 v3, 0xffff, v1
	s_delay_alu instid0(VALU_DEP_1) | instskip(SKIP_1) | instid1(VALU_DEP_2)
	v_and_b32_e32 v4, 7, v3
	v_bfe_u32 v10, v3, 3, 4
	v_clz_i32_u32_e32 v5, v4
	s_delay_alu instid0(VALU_DEP_2) | instskip(NEXT) | instid1(VALU_DEP_2)
	v_cmp_eq_u32_e32 vcc_lo, 0, v10
	v_min_u32_e32 v5, 32, v5
	s_delay_alu instid0(VALU_DEP_1) | instskip(NEXT) | instid1(VALU_DEP_1)
	v_subrev_nc_u32_e32 v7, 28, v5
	v_dual_lshlrev_b32 v3, v7, v3 :: v_dual_sub_nc_u32 v5, 29, v5
	s_delay_alu instid0(VALU_DEP_1) | instskip(NEXT) | instid1(VALU_DEP_1)
	v_dual_lshlrev_b32 v1, 24, v1 :: v_dual_bitop2_b32 v3, 7, v3 bitop3:0x40
	v_dual_cndmask_b32 v3, v4, v3, vcc_lo :: v_dual_cndmask_b32 v5, v10, v5, vcc_lo
	s_delay_alu instid0(VALU_DEP_2) | instskip(NEXT) | instid1(VALU_DEP_2)
	v_and_b32_e32 v1, 0x80000000, v1
	v_lshlrev_b32_e32 v3, 20, v3
	s_delay_alu instid0(VALU_DEP_3) | instskip(NEXT) | instid1(VALU_DEP_1)
	v_lshl_add_u32 v4, v5, 23, 0x3b800000
	v_or3_b32 v1, v1, v4, v3
	s_delay_alu instid0(VALU_DEP_1)
	v_cvt_i32_f32_e32 v4, v1
.LBB380_76:
	s_or_b32 exec_lo, exec_lo, s39
.LBB380_77:
	s_mov_b32 s39, -1
.LBB380_78:
	s_branch .LBB380_111
.LBB380_79:
	s_cmp_gt_i32 s27, 22
	s_cbranch_scc0 .LBB380_87
; %bb.80:
	s_cmp_lt_i32 s27, 24
	s_cbranch_scc1 .LBB380_90
; %bb.81:
	s_cmp_gt_i32 s27, 24
	s_cbranch_scc0 .LBB380_91
; %bb.82:
	global_load_u8 v1, v[8:9], off
	s_mov_b32 s40, 0
	s_mov_b32 s39, exec_lo
	s_wait_loadcnt 0x0
	v_cmpx_lt_i16_e32 0x7f, v1
	s_xor_b32 s39, exec_lo, s39
	s_cbranch_execz .LBB380_103
; %bb.83:
	v_cmp_ne_u16_e32 vcc_lo, 0x80, v1
	s_and_b32 s40, vcc_lo, exec_lo
	s_and_not1_saveexec_b32 s39, s39
	s_cbranch_execnz .LBB380_104
.LBB380_84:
	s_or_b32 exec_lo, exec_lo, s39
	v_mov_b32_e32 v4, 0
	s_and_saveexec_b32 s39, s40
	s_cbranch_execz .LBB380_86
.LBB380_85:
	v_and_b32_e32 v3, 0xffff, v1
	s_delay_alu instid0(VALU_DEP_1) | instskip(SKIP_1) | instid1(VALU_DEP_2)
	v_and_b32_e32 v4, 3, v3
	v_bfe_u32 v10, v3, 2, 5
	v_clz_i32_u32_e32 v5, v4
	s_delay_alu instid0(VALU_DEP_2) | instskip(NEXT) | instid1(VALU_DEP_2)
	v_cmp_eq_u32_e32 vcc_lo, 0, v10
	v_min_u32_e32 v5, 32, v5
	s_delay_alu instid0(VALU_DEP_1) | instskip(NEXT) | instid1(VALU_DEP_1)
	v_subrev_nc_u32_e32 v7, 29, v5
	v_dual_lshlrev_b32 v3, v7, v3 :: v_dual_sub_nc_u32 v5, 30, v5
	s_delay_alu instid0(VALU_DEP_1) | instskip(NEXT) | instid1(VALU_DEP_1)
	v_dual_lshlrev_b32 v1, 24, v1 :: v_dual_bitop2_b32 v3, 3, v3 bitop3:0x40
	v_dual_cndmask_b32 v3, v4, v3, vcc_lo :: v_dual_cndmask_b32 v5, v10, v5, vcc_lo
	s_delay_alu instid0(VALU_DEP_2) | instskip(NEXT) | instid1(VALU_DEP_2)
	v_and_b32_e32 v1, 0x80000000, v1
	v_lshlrev_b32_e32 v3, 21, v3
	s_delay_alu instid0(VALU_DEP_3) | instskip(NEXT) | instid1(VALU_DEP_1)
	v_lshl_add_u32 v4, v5, 23, 0x37800000
	v_or3_b32 v1, v1, v4, v3
	s_delay_alu instid0(VALU_DEP_1)
	v_cvt_i32_f32_e32 v4, v1
.LBB380_86:
	s_or_b32 exec_lo, exec_lo, s39
	s_mov_b32 s39, 0
	s_branch .LBB380_92
.LBB380_87:
	s_mov_b32 s40, -1
                                        ; implicit-def: $vgpr4
	s_branch .LBB380_98
.LBB380_88:
	s_and_not1_saveexec_b32 s39, s39
	s_cbranch_execz .LBB380_74
.LBB380_89:
	v_cmp_ne_u16_e32 vcc_lo, 0, v1
	s_and_not1_b32 s40, s40, exec_lo
	s_and_b32 s41, vcc_lo, exec_lo
	s_delay_alu instid0(SALU_CYCLE_1)
	s_or_b32 s40, s40, s41
	s_or_b32 exec_lo, exec_lo, s39
	v_mov_b32_e32 v4, 0
	s_and_saveexec_b32 s39, s40
	s_cbranch_execnz .LBB380_75
	s_branch .LBB380_76
.LBB380_90:
	s_mov_b32 s39, -1
                                        ; implicit-def: $vgpr4
	s_branch .LBB380_95
.LBB380_91:
	s_mov_b32 s39, -1
                                        ; implicit-def: $vgpr4
.LBB380_92:
	s_delay_alu instid0(SALU_CYCLE_1)
	s_and_b32 vcc_lo, exec_lo, s39
	s_cbranch_vccz .LBB380_94
; %bb.93:
	global_load_u8 v1, v[8:9], off
	s_wait_loadcnt 0x0
	v_lshlrev_b32_e32 v1, 24, v1
	s_delay_alu instid0(VALU_DEP_1) | instskip(NEXT) | instid1(VALU_DEP_1)
	v_and_b32_e32 v3, 0x7f000000, v1
	v_clz_i32_u32_e32 v4, v3
	v_add_nc_u32_e32 v7, 0x1000000, v3
	v_cmp_ne_u32_e32 vcc_lo, 0, v3
	s_delay_alu instid0(VALU_DEP_3) | instskip(NEXT) | instid1(VALU_DEP_1)
	v_min_u32_e32 v4, 32, v4
	v_sub_nc_u32_e64 v4, v4, 4 clamp
	s_delay_alu instid0(VALU_DEP_1) | instskip(NEXT) | instid1(VALU_DEP_1)
	v_dual_lshlrev_b32 v5, v4, v3 :: v_dual_lshlrev_b32 v4, 23, v4
	v_lshrrev_b32_e32 v5, 4, v5
	s_delay_alu instid0(VALU_DEP_1) | instskip(NEXT) | instid1(VALU_DEP_1)
	v_dual_sub_nc_u32 v4, v5, v4 :: v_dual_ashrrev_i32 v5, 8, v7
	v_add_nc_u32_e32 v4, 0x3c000000, v4
	s_delay_alu instid0(VALU_DEP_1) | instskip(NEXT) | instid1(VALU_DEP_1)
	v_and_or_b32 v4, 0x7f800000, v5, v4
	v_cndmask_b32_e32 v3, 0, v4, vcc_lo
	s_delay_alu instid0(VALU_DEP_1) | instskip(NEXT) | instid1(VALU_DEP_1)
	v_and_or_b32 v1, 0x80000000, v1, v3
	v_cvt_i32_f32_e32 v4, v1
.LBB380_94:
	s_mov_b32 s39, 0
.LBB380_95:
	s_delay_alu instid0(SALU_CYCLE_1)
	s_and_not1_b32 vcc_lo, exec_lo, s39
	s_cbranch_vccnz .LBB380_97
; %bb.96:
	global_load_u8 v1, v[8:9], off
	s_wait_loadcnt 0x0
	v_lshlrev_b32_e32 v3, 25, v1
	v_lshlrev_b16 v1, 8, v1
	s_delay_alu instid0(VALU_DEP_1) | instskip(NEXT) | instid1(VALU_DEP_3)
	v_and_or_b32 v5, 0x7f00, v1, 0.5
	v_lshrrev_b32_e32 v4, 4, v3
	v_bfe_i32 v1, v1, 0, 16
	s_delay_alu instid0(VALU_DEP_3) | instskip(NEXT) | instid1(VALU_DEP_3)
	v_add_f32_e32 v5, -0.5, v5
	v_or_b32_e32 v4, 0x70000000, v4
	s_delay_alu instid0(VALU_DEP_1) | instskip(SKIP_1) | instid1(VALU_DEP_2)
	v_mul_f32_e32 v4, 0x7800000, v4
	v_cmp_gt_u32_e32 vcc_lo, 0x8000000, v3
	v_cndmask_b32_e32 v3, v4, v5, vcc_lo
	s_delay_alu instid0(VALU_DEP_1) | instskip(NEXT) | instid1(VALU_DEP_1)
	v_and_or_b32 v1, 0x80000000, v1, v3
	v_cvt_i32_f32_e32 v4, v1
.LBB380_97:
	s_mov_b32 s40, 0
	s_mov_b32 s39, -1
.LBB380_98:
	s_and_not1_b32 vcc_lo, exec_lo, s40
	s_cbranch_vccnz .LBB380_111
; %bb.99:
	s_cmp_gt_i32 s27, 14
	s_cbranch_scc0 .LBB380_102
; %bb.100:
	s_cmp_eq_u32 s27, 15
	s_cbranch_scc0 .LBB380_105
; %bb.101:
	global_load_u16 v1, v[8:9], off
	s_mov_b32 s39, -1
	s_mov_b32 s26, 0
	s_wait_loadcnt 0x0
	v_lshlrev_b32_e32 v1, 16, v1
	s_delay_alu instid0(VALU_DEP_1)
	v_cvt_i32_f32_e32 v4, v1
	s_branch .LBB380_106
.LBB380_102:
	s_mov_b32 s40, -1
                                        ; implicit-def: $vgpr4
	s_branch .LBB380_107
.LBB380_103:
	s_and_not1_saveexec_b32 s39, s39
	s_cbranch_execz .LBB380_84
.LBB380_104:
	v_cmp_ne_u16_e32 vcc_lo, 0, v1
	s_and_not1_b32 s40, s40, exec_lo
	s_and_b32 s41, vcc_lo, exec_lo
	s_delay_alu instid0(SALU_CYCLE_1)
	s_or_b32 s40, s40, s41
	s_or_b32 exec_lo, exec_lo, s39
	v_mov_b32_e32 v4, 0
	s_and_saveexec_b32 s39, s40
	s_cbranch_execnz .LBB380_85
	s_branch .LBB380_86
.LBB380_105:
	s_mov_b32 s26, -1
                                        ; implicit-def: $vgpr4
.LBB380_106:
	s_mov_b32 s40, 0
.LBB380_107:
	s_delay_alu instid0(SALU_CYCLE_1)
	s_and_b32 vcc_lo, exec_lo, s40
	s_cbranch_vccz .LBB380_111
; %bb.108:
	s_cmp_eq_u32 s27, 11
	s_cbranch_scc0 .LBB380_110
; %bb.109:
	global_load_u8 v1, v[8:9], off
	s_mov_b32 s26, 0
	s_mov_b32 s39, -1
	s_wait_loadcnt 0x0
	v_cmp_ne_u16_e32 vcc_lo, 0, v1
	v_cndmask_b32_e64 v4, 0, 1, vcc_lo
	s_branch .LBB380_111
.LBB380_110:
	s_mov_b32 s26, -1
                                        ; implicit-def: $vgpr4
.LBB380_111:
	s_branch .LBB380_21
.LBB380_112:
	s_and_b32 s0, 0xffff, s0
	s_delay_alu instid0(SALU_CYCLE_1)
	s_cmp_lt_i32 s0, 5
	s_cbranch_scc1 .LBB380_117
; %bb.113:
	s_cmp_lt_i32 s0, 8
	s_cbranch_scc1 .LBB380_118
; %bb.114:
	;; [unrolled: 3-line block ×3, first 2 shown]
	s_cmp_gt_i32 s0, 9
	s_cbranch_scc0 .LBB380_120
; %bb.116:
	s_wait_loadcnt 0x0
	global_load_b64 v[4:5], v[8:9], off
	s_mov_b32 s27, 0
	s_wait_loadcnt 0x0
	v_cvt_i32_f64_e32 v4, v[4:5]
	s_branch .LBB380_121
.LBB380_117:
                                        ; implicit-def: $vgpr4
	s_branch .LBB380_139
.LBB380_118:
	s_mov_b32 s27, -1
                                        ; implicit-def: $vgpr4
	s_branch .LBB380_127
.LBB380_119:
	s_mov_b32 s27, -1
                                        ; implicit-def: $vgpr4
	s_branch .LBB380_124
.LBB380_120:
	s_mov_b32 s27, -1
                                        ; implicit-def: $vgpr4
.LBB380_121:
	s_delay_alu instid0(SALU_CYCLE_1)
	s_and_not1_b32 vcc_lo, exec_lo, s27
	s_cbranch_vccnz .LBB380_123
; %bb.122:
	global_load_b32 v1, v[8:9], off
	s_wait_loadcnt 0x0
	v_cvt_i32_f32_e32 v4, v1
.LBB380_123:
	s_mov_b32 s27, 0
.LBB380_124:
	s_delay_alu instid0(SALU_CYCLE_1)
	s_and_not1_b32 vcc_lo, exec_lo, s27
	s_cbranch_vccnz .LBB380_126
; %bb.125:
	global_load_b32 v1, v[8:9], off
	s_wait_loadcnt 0x0
	v_cvt_i16_f16_e32 v4, v1
.LBB380_126:
	s_mov_b32 s27, 0
.LBB380_127:
	s_delay_alu instid0(SALU_CYCLE_1)
	s_and_not1_b32 vcc_lo, exec_lo, s27
	s_cbranch_vccnz .LBB380_138
; %bb.128:
	s_cmp_lt_i32 s0, 6
	s_cbranch_scc1 .LBB380_131
; %bb.129:
	s_cmp_gt_i32 s0, 6
	s_cbranch_scc0 .LBB380_132
; %bb.130:
	s_wait_loadcnt 0x0
	global_load_b64 v[4:5], v[8:9], off
	s_mov_b32 s27, 0
	s_wait_loadcnt 0x0
	v_cvt_i32_f64_e32 v4, v[4:5]
	s_branch .LBB380_133
.LBB380_131:
	s_mov_b32 s27, -1
                                        ; implicit-def: $vgpr4
	s_branch .LBB380_136
.LBB380_132:
	s_mov_b32 s27, -1
                                        ; implicit-def: $vgpr4
.LBB380_133:
	s_delay_alu instid0(SALU_CYCLE_1)
	s_and_not1_b32 vcc_lo, exec_lo, s27
	s_cbranch_vccnz .LBB380_135
; %bb.134:
	global_load_b32 v1, v[8:9], off
	s_wait_loadcnt 0x0
	v_cvt_i32_f32_e32 v4, v1
.LBB380_135:
	s_mov_b32 s27, 0
.LBB380_136:
	s_delay_alu instid0(SALU_CYCLE_1)
	s_and_not1_b32 vcc_lo, exec_lo, s27
	s_cbranch_vccnz .LBB380_138
; %bb.137:
	global_load_u16 v1, v[8:9], off
	s_wait_loadcnt 0x0
	v_cvt_i16_f16_e32 v4, v1
.LBB380_138:
	s_cbranch_execnz .LBB380_158
.LBB380_139:
	s_cmp_lt_i32 s0, 2
	s_cbranch_scc1 .LBB380_143
; %bb.140:
	s_cmp_lt_i32 s0, 3
	s_cbranch_scc1 .LBB380_144
; %bb.141:
	s_cmp_gt_i32 s0, 3
	s_cbranch_scc0 .LBB380_145
; %bb.142:
	s_wait_loadcnt 0x0
	global_load_b64 v[4:5], v[8:9], off
	s_mov_b32 s27, 0
	s_branch .LBB380_146
.LBB380_143:
	s_mov_b32 s27, -1
                                        ; implicit-def: $vgpr4
	s_branch .LBB380_152
.LBB380_144:
	s_mov_b32 s27, -1
                                        ; implicit-def: $vgpr4
	s_branch .LBB380_149
.LBB380_145:
	s_mov_b32 s27, -1
                                        ; implicit-def: $vgpr4
.LBB380_146:
	s_delay_alu instid0(SALU_CYCLE_1)
	s_and_not1_b32 vcc_lo, exec_lo, s27
	s_cbranch_vccnz .LBB380_148
; %bb.147:
	s_wait_loadcnt 0x0
	global_load_b32 v4, v[8:9], off
.LBB380_148:
	s_mov_b32 s27, 0
.LBB380_149:
	s_delay_alu instid0(SALU_CYCLE_1)
	s_and_not1_b32 vcc_lo, exec_lo, s27
	s_cbranch_vccnz .LBB380_151
; %bb.150:
	s_wait_loadcnt 0x0
	global_load_u16 v4, v[8:9], off
.LBB380_151:
	s_mov_b32 s27, 0
.LBB380_152:
	s_delay_alu instid0(SALU_CYCLE_1)
	s_and_not1_b32 vcc_lo, exec_lo, s27
	s_cbranch_vccnz .LBB380_158
; %bb.153:
	s_cmp_gt_i32 s0, 0
	s_mov_b32 s0, 0
	s_cbranch_scc0 .LBB380_155
; %bb.154:
	s_wait_loadcnt 0x0
	global_load_u8 v4, v[8:9], off
	s_branch .LBB380_156
.LBB380_155:
	s_mov_b32 s0, -1
                                        ; implicit-def: $vgpr4
.LBB380_156:
	s_delay_alu instid0(SALU_CYCLE_1)
	s_and_not1_b32 vcc_lo, exec_lo, s0
	s_cbranch_vccnz .LBB380_158
; %bb.157:
	s_wait_loadcnt 0x0
	global_load_u8 v4, v[8:9], off
.LBB380_158:
	s_branch .LBB380_22
.LBB380_159:
	s_mov_b32 s0, 0
	s_mov_b32 s27, 0
	s_branch .LBB380_383
.LBB380_160:
	s_mov_b32 s27, -1
.LBB380_161:
	s_mov_b32 s40, 0
                                        ; implicit-def: $vgpr8
.LBB380_162:
	s_and_b32 vcc_lo, exec_lo, s41
	s_cbranch_vccz .LBB380_277
; %bb.163:
	s_cmp_eq_u32 s39, 44
	s_cbranch_scc0 .LBB380_276
; %bb.164:
	global_load_u8 v1, v[6:7], off
	s_mov_b32 s27, 0
	s_mov_b32 s40, -1
	s_wait_loadcnt 0x0
	v_lshlrev_b32_e32 v3, 23, v1
	v_cmp_ne_u32_e32 vcc_lo, 0, v1
	s_delay_alu instid0(VALU_DEP_2) | instskip(NEXT) | instid1(VALU_DEP_1)
	v_cvt_i32_f32_e32 v3, v3
	v_cndmask_b32_e32 v8, 0, v3, vcc_lo
	s_branch .LBB380_277
.LBB380_165:
	s_mov_b32 s44, -1
	s_mov_b32 s0, 0
	s_mov_b32 s43, 0
.LBB380_166:
	s_and_b32 vcc_lo, exec_lo, s44
	s_cbranch_vccz .LBB380_171
; %bb.167:
	s_cmp_eq_u32 s41, 44
	s_mov_b32 s0, -1
	s_cbranch_scc0 .LBB380_171
; %bb.168:
	v_cndmask_b32_e64 v5, 0, 1.0, s39
	s_mov_b32 s43, exec_lo
	s_wait_xcnt 0x0
	s_delay_alu instid0(VALU_DEP_1) | instskip(NEXT) | instid1(VALU_DEP_1)
	v_dual_mov_b32 v4, 0xff :: v_dual_lshrrev_b32 v1, 23, v5
	v_cmpx_ne_u32_e32 0xff, v1
; %bb.169:
	v_and_b32_e32 v4, 0x400000, v5
	v_and_or_b32 v5, 0x3fffff, v5, v1
	s_delay_alu instid0(VALU_DEP_2) | instskip(NEXT) | instid1(VALU_DEP_2)
	v_cmp_ne_u32_e32 vcc_lo, 0, v4
	v_cmp_ne_u32_e64 s0, 0, v5
	s_and_b32 s0, vcc_lo, s0
	s_delay_alu instid0(SALU_CYCLE_1) | instskip(NEXT) | instid1(VALU_DEP_1)
	v_cndmask_b32_e64 v4, 0, 1, s0
	v_add_nc_u32_e32 v4, v1, v4
; %bb.170:
	s_or_b32 exec_lo, exec_lo, s43
	s_mov_b32 s43, -1
	s_mov_b32 s0, 0
	global_store_b8 v[2:3], v4, off
.LBB380_171:
	s_mov_b32 s44, 0
.LBB380_172:
	s_delay_alu instid0(SALU_CYCLE_1)
	s_and_b32 vcc_lo, exec_lo, s44
	s_cbranch_vccz .LBB380_175
; %bb.173:
	s_cmp_eq_u32 s41, 29
	s_mov_b32 s0, -1
	s_cbranch_scc0 .LBB380_175
; %bb.174:
	s_mov_b32 s0, 0
	s_wait_xcnt 0x0
	v_cndmask_b32_e64 v4, 0, 1, s39
	v_mov_b32_e32 v5, s0
	s_mov_b32 s43, -1
	s_mov_b32 s44, 0
	global_store_b64 v[2:3], v[4:5], off
	s_branch .LBB380_176
.LBB380_175:
	s_mov_b32 s44, 0
.LBB380_176:
	s_delay_alu instid0(SALU_CYCLE_1)
	s_and_b32 vcc_lo, exec_lo, s44
	s_cbranch_vccz .LBB380_192
; %bb.177:
	s_cmp_lt_i32 s41, 27
	s_mov_b32 s43, -1
	s_cbranch_scc1 .LBB380_183
; %bb.178:
	s_cmp_gt_i32 s41, 27
	s_cbranch_scc0 .LBB380_180
; %bb.179:
	s_wait_xcnt 0x0
	v_cndmask_b32_e64 v1, 0, 1, s39
	s_mov_b32 s43, 0
	global_store_b32 v[2:3], v1, off
.LBB380_180:
	s_and_not1_b32 vcc_lo, exec_lo, s43
	s_cbranch_vccnz .LBB380_182
; %bb.181:
	s_wait_xcnt 0x0
	v_cndmask_b32_e64 v1, 0, 1, s39
	global_store_b16 v[2:3], v1, off
.LBB380_182:
	s_mov_b32 s43, 0
.LBB380_183:
	s_delay_alu instid0(SALU_CYCLE_1)
	s_and_not1_b32 vcc_lo, exec_lo, s43
	s_cbranch_vccnz .LBB380_191
; %bb.184:
	s_wait_xcnt 0x0
	v_cndmask_b32_e64 v4, 0, 1.0, s39
	v_mov_b32_e32 v5, 0x80
	s_mov_b32 s43, exec_lo
	s_delay_alu instid0(VALU_DEP_2)
	v_cmpx_gt_u32_e32 0x43800000, v4
	s_cbranch_execz .LBB380_190
; %bb.185:
	s_mov_b32 s44, 0
	s_mov_b32 s45, exec_lo
                                        ; implicit-def: $vgpr1
	v_cmpx_lt_u32_e32 0x3bffffff, v4
	s_xor_b32 s45, exec_lo, s45
	s_cbranch_execz .LBB380_425
; %bb.186:
	v_bfe_u32 v1, v4, 20, 1
	s_mov_b32 s44, exec_lo
	s_delay_alu instid0(VALU_DEP_1) | instskip(NEXT) | instid1(VALU_DEP_1)
	v_add3_u32 v1, v4, v1, 0x487ffff
                                        ; implicit-def: $vgpr4
	v_lshrrev_b32_e32 v1, 20, v1
	s_and_not1_saveexec_b32 s45, s45
	s_cbranch_execnz .LBB380_426
.LBB380_187:
	s_or_b32 exec_lo, exec_lo, s45
	v_mov_b32_e32 v5, 0
	s_and_saveexec_b32 s45, s44
.LBB380_188:
	v_mov_b32_e32 v5, v1
.LBB380_189:
	s_or_b32 exec_lo, exec_lo, s45
.LBB380_190:
	s_delay_alu instid0(SALU_CYCLE_1)
	s_or_b32 exec_lo, exec_lo, s43
	global_store_b8 v[2:3], v5, off
.LBB380_191:
	s_mov_b32 s43, -1
.LBB380_192:
	s_mov_b32 s44, 0
.LBB380_193:
	s_delay_alu instid0(SALU_CYCLE_1)
	s_and_b32 vcc_lo, exec_lo, s44
	s_cbranch_vccz .LBB380_234
; %bb.194:
	s_cmp_gt_i32 s41, 22
	s_mov_b32 s44, -1
	s_cbranch_scc0 .LBB380_226
; %bb.195:
	s_cmp_lt_i32 s41, 24
	s_mov_b32 s43, -1
	s_cbranch_scc1 .LBB380_215
; %bb.196:
	s_cmp_gt_i32 s41, 24
	s_cbranch_scc0 .LBB380_204
; %bb.197:
	s_wait_xcnt 0x0
	v_cndmask_b32_e64 v4, 0, 1.0, s39
	v_mov_b32_e32 v5, 0x80
	s_mov_b32 s43, exec_lo
	s_delay_alu instid0(VALU_DEP_2)
	v_cmpx_gt_u32_e32 0x47800000, v4
	s_cbranch_execz .LBB380_203
; %bb.198:
	s_mov_b32 s44, 0
	s_mov_b32 s45, exec_lo
                                        ; implicit-def: $vgpr1
	v_cmpx_lt_u32_e32 0x37ffffff, v4
	s_xor_b32 s45, exec_lo, s45
	s_cbranch_execz .LBB380_540
; %bb.199:
	v_bfe_u32 v1, v4, 21, 1
	s_mov_b32 s44, exec_lo
	s_delay_alu instid0(VALU_DEP_1) | instskip(NEXT) | instid1(VALU_DEP_1)
	v_add3_u32 v1, v4, v1, 0x88fffff
                                        ; implicit-def: $vgpr4
	v_lshrrev_b32_e32 v1, 21, v1
	s_and_not1_saveexec_b32 s45, s45
	s_cbranch_execnz .LBB380_541
.LBB380_200:
	s_or_b32 exec_lo, exec_lo, s45
	v_mov_b32_e32 v5, 0
	s_and_saveexec_b32 s45, s44
.LBB380_201:
	v_mov_b32_e32 v5, v1
.LBB380_202:
	s_or_b32 exec_lo, exec_lo, s45
.LBB380_203:
	s_delay_alu instid0(SALU_CYCLE_1)
	s_or_b32 exec_lo, exec_lo, s43
	s_mov_b32 s43, 0
	global_store_b8 v[2:3], v5, off
.LBB380_204:
	s_and_b32 vcc_lo, exec_lo, s43
	s_cbranch_vccz .LBB380_214
; %bb.205:
	s_wait_xcnt 0x0
	v_cndmask_b32_e64 v4, 0, 1.0, s39
	s_mov_b32 s43, exec_lo
                                        ; implicit-def: $vgpr1
	s_delay_alu instid0(VALU_DEP_1)
	v_cmpx_gt_u32_e32 0x43f00000, v4
	s_xor_b32 s43, exec_lo, s43
	s_cbranch_execz .LBB380_211
; %bb.206:
	s_mov_b32 s44, exec_lo
                                        ; implicit-def: $vgpr1
	v_cmpx_lt_u32_e32 0x3c7fffff, v4
	s_xor_b32 s44, exec_lo, s44
; %bb.207:
	v_bfe_u32 v1, v4, 20, 1
	s_delay_alu instid0(VALU_DEP_1) | instskip(NEXT) | instid1(VALU_DEP_1)
	v_add3_u32 v1, v4, v1, 0x407ffff
	v_and_b32_e32 v4, 0xff00000, v1
	v_lshrrev_b32_e32 v1, 20, v1
	s_delay_alu instid0(VALU_DEP_2) | instskip(NEXT) | instid1(VALU_DEP_2)
	v_cmp_ne_u32_e32 vcc_lo, 0x7f00000, v4
                                        ; implicit-def: $vgpr4
	v_cndmask_b32_e32 v1, 0x7e, v1, vcc_lo
; %bb.208:
	s_and_not1_saveexec_b32 s44, s44
; %bb.209:
	v_add_f32_e32 v1, 0x46800000, v4
; %bb.210:
	s_or_b32 exec_lo, exec_lo, s44
                                        ; implicit-def: $vgpr4
.LBB380_211:
	s_and_not1_saveexec_b32 s43, s43
; %bb.212:
	v_mov_b32_e32 v1, 0x7f
	v_cmp_lt_u32_e32 vcc_lo, 0x7f800000, v4
	s_delay_alu instid0(VALU_DEP_2)
	v_cndmask_b32_e32 v1, 0x7e, v1, vcc_lo
; %bb.213:
	s_or_b32 exec_lo, exec_lo, s43
	global_store_b8 v[2:3], v1, off
.LBB380_214:
	s_mov_b32 s43, 0
.LBB380_215:
	s_delay_alu instid0(SALU_CYCLE_1)
	s_and_not1_b32 vcc_lo, exec_lo, s43
	s_cbranch_vccnz .LBB380_225
; %bb.216:
	s_wait_xcnt 0x0
	v_cndmask_b32_e64 v4, 0, 1.0, s39
	s_mov_b32 s43, exec_lo
                                        ; implicit-def: $vgpr1
	s_delay_alu instid0(VALU_DEP_1)
	v_cmpx_gt_u32_e32 0x47800000, v4
	s_xor_b32 s43, exec_lo, s43
	s_cbranch_execz .LBB380_222
; %bb.217:
	s_mov_b32 s44, exec_lo
                                        ; implicit-def: $vgpr1
	v_cmpx_lt_u32_e32 0x387fffff, v4
	s_xor_b32 s44, exec_lo, s44
; %bb.218:
	v_bfe_u32 v1, v4, 21, 1
	s_delay_alu instid0(VALU_DEP_1) | instskip(NEXT) | instid1(VALU_DEP_1)
	v_add3_u32 v1, v4, v1, 0x80fffff
                                        ; implicit-def: $vgpr4
	v_lshrrev_b32_e32 v1, 21, v1
; %bb.219:
	s_and_not1_saveexec_b32 s44, s44
; %bb.220:
	v_add_f32_e32 v1, 0x43000000, v4
; %bb.221:
	s_or_b32 exec_lo, exec_lo, s44
                                        ; implicit-def: $vgpr4
.LBB380_222:
	s_and_not1_saveexec_b32 s43, s43
; %bb.223:
	v_mov_b32_e32 v1, 0x7f
	v_cmp_lt_u32_e32 vcc_lo, 0x7f800000, v4
	s_delay_alu instid0(VALU_DEP_2)
	v_cndmask_b32_e32 v1, 0x7c, v1, vcc_lo
; %bb.224:
	s_or_b32 exec_lo, exec_lo, s43
	global_store_b8 v[2:3], v1, off
.LBB380_225:
	s_mov_b32 s44, 0
	s_mov_b32 s43, -1
.LBB380_226:
	s_and_not1_b32 vcc_lo, exec_lo, s44
	s_cbranch_vccnz .LBB380_234
; %bb.227:
	s_cmp_gt_i32 s41, 14
	s_mov_b32 s44, -1
	s_cbranch_scc0 .LBB380_231
; %bb.228:
	s_cmp_eq_u32 s41, 15
	s_mov_b32 s0, -1
	s_cbranch_scc0 .LBB380_230
; %bb.229:
	s_wait_xcnt 0x0
	v_cndmask_b32_e64 v1, 0, 1.0, s39
	s_mov_b32 s43, -1
	s_mov_b32 s0, 0
	s_delay_alu instid0(VALU_DEP_1) | instskip(NEXT) | instid1(VALU_DEP_1)
	v_bfe_u32 v4, v1, 16, 1
	v_add3_u32 v1, v1, v4, 0x7fff
	global_store_d16_hi_b16 v[2:3], v1, off
.LBB380_230:
	s_mov_b32 s44, 0
.LBB380_231:
	s_delay_alu instid0(SALU_CYCLE_1)
	s_and_b32 vcc_lo, exec_lo, s44
	s_cbranch_vccz .LBB380_234
; %bb.232:
	s_cmp_eq_u32 s41, 11
	s_mov_b32 s0, -1
	s_cbranch_scc0 .LBB380_234
; %bb.233:
	s_wait_xcnt 0x0
	v_cndmask_b32_e64 v1, 0, 1, s39
	s_mov_b32 s43, -1
	s_mov_b32 s0, 0
	global_store_b8 v[2:3], v1, off
.LBB380_234:
	s_mov_b32 s41, 0
.LBB380_235:
	s_delay_alu instid0(SALU_CYCLE_1)
	s_and_b32 vcc_lo, exec_lo, s41
	s_cbranch_vccz .LBB380_274
; %bb.236:
	s_and_b32 s40, 0xffff, s40
	s_mov_b32 s41, -1
	s_cmp_lt_i32 s40, 5
	s_cbranch_scc1 .LBB380_257
; %bb.237:
	s_cmp_lt_i32 s40, 8
	s_cbranch_scc1 .LBB380_247
; %bb.238:
	s_cmp_lt_i32 s40, 9
	s_cbranch_scc1 .LBB380_244
; %bb.239:
	s_cmp_gt_i32 s40, 9
	s_cbranch_scc0 .LBB380_241
; %bb.240:
	s_wait_xcnt 0x0
	v_cndmask_b32_e64 v1, 0, 1, s39
	v_mov_b32_e32 v6, 0
	s_mov_b32 s41, 0
	s_delay_alu instid0(VALU_DEP_2) | instskip(NEXT) | instid1(VALU_DEP_2)
	v_cvt_f64_u32_e32 v[4:5], v1
	v_mov_b32_e32 v7, v6
	global_store_b128 v[2:3], v[4:7], off
.LBB380_241:
	s_and_not1_b32 vcc_lo, exec_lo, s41
	s_cbranch_vccnz .LBB380_243
; %bb.242:
	s_wait_xcnt 0x0
	v_cndmask_b32_e64 v4, 0, 1.0, s39
	v_mov_b32_e32 v5, 0
	global_store_b64 v[2:3], v[4:5], off
.LBB380_243:
	s_mov_b32 s41, 0
.LBB380_244:
	s_delay_alu instid0(SALU_CYCLE_1)
	s_and_not1_b32 vcc_lo, exec_lo, s41
	s_cbranch_vccnz .LBB380_246
; %bb.245:
	s_wait_xcnt 0x0
	v_cndmask_b32_e64 v1, 0, 1.0, s39
	s_delay_alu instid0(VALU_DEP_1) | instskip(NEXT) | instid1(VALU_DEP_1)
	v_cvt_f16_f32_e32 v1, v1
	v_and_b32_e32 v1, 0xffff, v1
	global_store_b32 v[2:3], v1, off
.LBB380_246:
	s_mov_b32 s41, 0
.LBB380_247:
	s_delay_alu instid0(SALU_CYCLE_1)
	s_and_not1_b32 vcc_lo, exec_lo, s41
	s_cbranch_vccnz .LBB380_256
; %bb.248:
	s_cmp_lt_i32 s40, 6
	s_mov_b32 s41, -1
	s_cbranch_scc1 .LBB380_254
; %bb.249:
	s_cmp_gt_i32 s40, 6
	s_cbranch_scc0 .LBB380_251
; %bb.250:
	s_wait_xcnt 0x0
	v_cndmask_b32_e64 v1, 0, 1, s39
	s_mov_b32 s41, 0
	s_delay_alu instid0(VALU_DEP_1)
	v_cvt_f64_u32_e32 v[4:5], v1
	global_store_b64 v[2:3], v[4:5], off
.LBB380_251:
	s_and_not1_b32 vcc_lo, exec_lo, s41
	s_cbranch_vccnz .LBB380_253
; %bb.252:
	s_wait_xcnt 0x0
	v_cndmask_b32_e64 v1, 0, 1.0, s39
	global_store_b32 v[2:3], v1, off
.LBB380_253:
	s_mov_b32 s41, 0
.LBB380_254:
	s_delay_alu instid0(SALU_CYCLE_1)
	s_and_not1_b32 vcc_lo, exec_lo, s41
	s_cbranch_vccnz .LBB380_256
; %bb.255:
	s_wait_xcnt 0x0
	v_cndmask_b32_e64 v1, 0, 1.0, s39
	s_delay_alu instid0(VALU_DEP_1)
	v_cvt_f16_f32_e32 v1, v1
	global_store_b16 v[2:3], v1, off
.LBB380_256:
	s_mov_b32 s41, 0
.LBB380_257:
	s_delay_alu instid0(SALU_CYCLE_1)
	s_and_not1_b32 vcc_lo, exec_lo, s41
	s_cbranch_vccnz .LBB380_273
; %bb.258:
	s_cmp_lt_i32 s40, 2
	s_mov_b32 s41, -1
	s_cbranch_scc1 .LBB380_268
; %bb.259:
	s_cmp_lt_i32 s40, 3
	s_cbranch_scc1 .LBB380_265
; %bb.260:
	s_cmp_gt_i32 s40, 3
	s_cbranch_scc0 .LBB380_262
; %bb.261:
	s_mov_b32 s41, 0
	s_wait_xcnt 0x0
	v_cndmask_b32_e64 v4, 0, 1, s39
	v_mov_b32_e32 v5, s41
	global_store_b64 v[2:3], v[4:5], off
.LBB380_262:
	s_and_not1_b32 vcc_lo, exec_lo, s41
	s_cbranch_vccnz .LBB380_264
; %bb.263:
	s_wait_xcnt 0x0
	v_cndmask_b32_e64 v1, 0, 1, s39
	global_store_b32 v[2:3], v1, off
.LBB380_264:
	s_mov_b32 s41, 0
.LBB380_265:
	s_delay_alu instid0(SALU_CYCLE_1)
	s_and_not1_b32 vcc_lo, exec_lo, s41
	s_cbranch_vccnz .LBB380_267
; %bb.266:
	s_wait_xcnt 0x0
	v_cndmask_b32_e64 v1, 0, 1, s39
	global_store_b16 v[2:3], v1, off
.LBB380_267:
	s_mov_b32 s41, 0
.LBB380_268:
	s_delay_alu instid0(SALU_CYCLE_1)
	s_and_not1_b32 vcc_lo, exec_lo, s41
	s_cbranch_vccnz .LBB380_273
; %bb.269:
	s_cmp_gt_i32 s40, 0
	s_mov_b32 s40, -1
	s_cbranch_scc0 .LBB380_271
; %bb.270:
	s_wait_xcnt 0x0
	v_cndmask_b32_e64 v1, 0, 1, s39
	s_mov_b32 s40, 0
	global_store_b8 v[2:3], v1, off
.LBB380_271:
	s_and_not1_b32 vcc_lo, exec_lo, s40
	s_cbranch_vccnz .LBB380_273
; %bb.272:
	s_wait_xcnt 0x0
	v_cndmask_b32_e64 v1, 0, 1, s39
	global_store_b8 v[2:3], v1, off
.LBB380_273:
	s_mov_b32 s43, -1
.LBB380_274:
	s_delay_alu instid0(SALU_CYCLE_1)
	s_and_not1_b32 vcc_lo, exec_lo, s43
	s_cbranch_vccnz .LBB380_383
; %bb.275:
	v_add_nc_u32_e32 v0, 0x80, v0
	s_mov_b32 s43, -1
	s_branch .LBB380_384
.LBB380_276:
	s_mov_b32 s27, -1
                                        ; implicit-def: $vgpr8
.LBB380_277:
	s_mov_b32 s41, 0
.LBB380_278:
	s_delay_alu instid0(SALU_CYCLE_1)
	s_and_b32 vcc_lo, exec_lo, s41
	s_cbranch_vccz .LBB380_282
; %bb.279:
	s_cmp_eq_u32 s39, 29
	s_cbranch_scc0 .LBB380_281
; %bb.280:
	global_load_b64 v[8:9], v[6:7], off
	s_mov_b32 s40, -1
	s_mov_b32 s27, 0
	s_branch .LBB380_282
.LBB380_281:
	s_mov_b32 s27, -1
                                        ; implicit-def: $vgpr8
.LBB380_282:
	s_mov_b32 s41, 0
.LBB380_283:
	s_delay_alu instid0(SALU_CYCLE_1)
	s_and_b32 vcc_lo, exec_lo, s41
	s_cbranch_vccz .LBB380_299
; %bb.284:
	s_cmp_lt_i32 s39, 27
	s_cbranch_scc1 .LBB380_287
; %bb.285:
	s_cmp_gt_i32 s39, 27
	s_cbranch_scc0 .LBB380_288
; %bb.286:
	s_wait_loadcnt 0x0
	global_load_b32 v8, v[6:7], off
	s_mov_b32 s40, 0
	s_branch .LBB380_289
.LBB380_287:
	s_mov_b32 s40, -1
                                        ; implicit-def: $vgpr8
	s_branch .LBB380_292
.LBB380_288:
	s_mov_b32 s40, -1
                                        ; implicit-def: $vgpr8
.LBB380_289:
	s_delay_alu instid0(SALU_CYCLE_1)
	s_and_not1_b32 vcc_lo, exec_lo, s40
	s_cbranch_vccnz .LBB380_291
; %bb.290:
	s_wait_loadcnt 0x0
	global_load_u16 v8, v[6:7], off
.LBB380_291:
	s_mov_b32 s40, 0
.LBB380_292:
	s_delay_alu instid0(SALU_CYCLE_1)
	s_and_not1_b32 vcc_lo, exec_lo, s40
	s_cbranch_vccnz .LBB380_298
; %bb.293:
	global_load_u8 v1, v[6:7], off
	s_mov_b32 s41, 0
	s_mov_b32 s40, exec_lo
	s_wait_loadcnt 0x0
	v_cmpx_lt_i16_e32 0x7f, v1
	s_xor_b32 s40, exec_lo, s40
	s_cbranch_execz .LBB380_310
; %bb.294:
	v_cmp_ne_u16_e32 vcc_lo, 0x80, v1
	s_and_b32 s41, vcc_lo, exec_lo
	s_and_not1_saveexec_b32 s40, s40
	s_cbranch_execnz .LBB380_311
.LBB380_295:
	s_or_b32 exec_lo, exec_lo, s40
	v_mov_b32_e32 v8, 0
	s_and_saveexec_b32 s40, s41
	s_cbranch_execz .LBB380_297
.LBB380_296:
	v_and_b32_e32 v3, 0xffff, v1
	s_delay_alu instid0(VALU_DEP_1) | instskip(SKIP_1) | instid1(VALU_DEP_2)
	v_and_b32_e32 v5, 7, v3
	v_bfe_u32 v10, v3, 3, 4
	v_clz_i32_u32_e32 v8, v5
	s_delay_alu instid0(VALU_DEP_2) | instskip(NEXT) | instid1(VALU_DEP_2)
	v_cmp_eq_u32_e32 vcc_lo, 0, v10
	v_min_u32_e32 v8, 32, v8
	s_delay_alu instid0(VALU_DEP_1) | instskip(NEXT) | instid1(VALU_DEP_1)
	v_subrev_nc_u32_e32 v9, 28, v8
	v_dual_lshlrev_b32 v3, v9, v3 :: v_dual_sub_nc_u32 v8, 29, v8
	s_delay_alu instid0(VALU_DEP_1) | instskip(NEXT) | instid1(VALU_DEP_1)
	v_dual_lshlrev_b32 v1, 24, v1 :: v_dual_bitop2_b32 v3, 7, v3 bitop3:0x40
	v_dual_cndmask_b32 v8, v10, v8 :: v_dual_cndmask_b32 v3, v5, v3
	s_delay_alu instid0(VALU_DEP_2) | instskip(NEXT) | instid1(VALU_DEP_2)
	v_and_b32_e32 v1, 0x80000000, v1
	v_lshl_add_u32 v5, v8, 23, 0x3b800000
	s_delay_alu instid0(VALU_DEP_3) | instskip(NEXT) | instid1(VALU_DEP_1)
	v_lshlrev_b32_e32 v3, 20, v3
	v_or3_b32 v1, v1, v5, v3
	s_delay_alu instid0(VALU_DEP_1)
	v_cvt_i32_f32_e32 v8, v1
.LBB380_297:
	s_or_b32 exec_lo, exec_lo, s40
.LBB380_298:
	s_mov_b32 s40, -1
.LBB380_299:
	s_mov_b32 s41, 0
.LBB380_300:
	s_delay_alu instid0(SALU_CYCLE_1)
	s_and_b32 vcc_lo, exec_lo, s41
	s_cbranch_vccz .LBB380_333
; %bb.301:
	s_cmp_gt_i32 s39, 22
	s_cbranch_scc0 .LBB380_309
; %bb.302:
	s_cmp_lt_i32 s39, 24
	s_cbranch_scc1 .LBB380_312
; %bb.303:
	s_cmp_gt_i32 s39, 24
	s_cbranch_scc0 .LBB380_313
; %bb.304:
	global_load_u8 v1, v[6:7], off
	s_mov_b32 s41, 0
	s_mov_b32 s40, exec_lo
	s_wait_loadcnt 0x0
	v_cmpx_lt_i16_e32 0x7f, v1
	s_xor_b32 s40, exec_lo, s40
	s_cbranch_execz .LBB380_325
; %bb.305:
	v_cmp_ne_u16_e32 vcc_lo, 0x80, v1
	s_and_b32 s41, vcc_lo, exec_lo
	s_and_not1_saveexec_b32 s40, s40
	s_cbranch_execnz .LBB380_326
.LBB380_306:
	s_or_b32 exec_lo, exec_lo, s40
	v_mov_b32_e32 v8, 0
	s_and_saveexec_b32 s40, s41
	s_cbranch_execz .LBB380_308
.LBB380_307:
	v_and_b32_e32 v3, 0xffff, v1
	s_delay_alu instid0(VALU_DEP_1) | instskip(SKIP_1) | instid1(VALU_DEP_2)
	v_and_b32_e32 v5, 3, v3
	v_bfe_u32 v10, v3, 2, 5
	v_clz_i32_u32_e32 v8, v5
	s_delay_alu instid0(VALU_DEP_2) | instskip(NEXT) | instid1(VALU_DEP_2)
	v_cmp_eq_u32_e32 vcc_lo, 0, v10
	v_min_u32_e32 v8, 32, v8
	s_delay_alu instid0(VALU_DEP_1) | instskip(NEXT) | instid1(VALU_DEP_1)
	v_subrev_nc_u32_e32 v9, 29, v8
	v_dual_lshlrev_b32 v3, v9, v3 :: v_dual_sub_nc_u32 v8, 30, v8
	s_delay_alu instid0(VALU_DEP_1) | instskip(NEXT) | instid1(VALU_DEP_1)
	v_dual_lshlrev_b32 v1, 24, v1 :: v_dual_bitop2_b32 v3, 3, v3 bitop3:0x40
	v_dual_cndmask_b32 v8, v10, v8 :: v_dual_cndmask_b32 v3, v5, v3
	s_delay_alu instid0(VALU_DEP_2) | instskip(NEXT) | instid1(VALU_DEP_2)
	v_and_b32_e32 v1, 0x80000000, v1
	v_lshl_add_u32 v5, v8, 23, 0x37800000
	s_delay_alu instid0(VALU_DEP_3) | instskip(NEXT) | instid1(VALU_DEP_1)
	v_lshlrev_b32_e32 v3, 21, v3
	v_or3_b32 v1, v1, v5, v3
	s_delay_alu instid0(VALU_DEP_1)
	v_cvt_i32_f32_e32 v8, v1
.LBB380_308:
	s_or_b32 exec_lo, exec_lo, s40
	s_mov_b32 s40, 0
	s_branch .LBB380_314
.LBB380_309:
	s_mov_b32 s41, -1
                                        ; implicit-def: $vgpr8
	s_branch .LBB380_320
.LBB380_310:
	s_and_not1_saveexec_b32 s40, s40
	s_cbranch_execz .LBB380_295
.LBB380_311:
	v_cmp_ne_u16_e32 vcc_lo, 0, v1
	s_and_not1_b32 s41, s41, exec_lo
	s_and_b32 s43, vcc_lo, exec_lo
	s_delay_alu instid0(SALU_CYCLE_1)
	s_or_b32 s41, s41, s43
	s_or_b32 exec_lo, exec_lo, s40
	v_mov_b32_e32 v8, 0
	s_and_saveexec_b32 s40, s41
	s_cbranch_execnz .LBB380_296
	s_branch .LBB380_297
.LBB380_312:
	s_mov_b32 s40, -1
                                        ; implicit-def: $vgpr8
	s_branch .LBB380_317
.LBB380_313:
	s_mov_b32 s40, -1
                                        ; implicit-def: $vgpr8
.LBB380_314:
	s_delay_alu instid0(SALU_CYCLE_1)
	s_and_b32 vcc_lo, exec_lo, s40
	s_cbranch_vccz .LBB380_316
; %bb.315:
	global_load_u8 v1, v[6:7], off
	s_wait_loadcnt 0x0
	v_lshlrev_b32_e32 v1, 24, v1
	s_delay_alu instid0(VALU_DEP_1) | instskip(NEXT) | instid1(VALU_DEP_1)
	v_and_b32_e32 v3, 0x7f000000, v1
	v_clz_i32_u32_e32 v5, v3
	v_add_nc_u32_e32 v9, 0x1000000, v3
	v_cmp_ne_u32_e32 vcc_lo, 0, v3
	s_delay_alu instid0(VALU_DEP_3) | instskip(NEXT) | instid1(VALU_DEP_1)
	v_min_u32_e32 v5, 32, v5
	v_sub_nc_u32_e64 v5, v5, 4 clamp
	s_delay_alu instid0(VALU_DEP_1) | instskip(NEXT) | instid1(VALU_DEP_1)
	v_dual_lshlrev_b32 v8, v5, v3 :: v_dual_lshlrev_b32 v5, 23, v5
	v_lshrrev_b32_e32 v8, 4, v8
	s_delay_alu instid0(VALU_DEP_1) | instskip(SKIP_1) | instid1(VALU_DEP_2)
	v_sub_nc_u32_e32 v5, v8, v5
	v_ashrrev_i32_e32 v8, 8, v9
	v_add_nc_u32_e32 v5, 0x3c000000, v5
	s_delay_alu instid0(VALU_DEP_1) | instskip(NEXT) | instid1(VALU_DEP_1)
	v_and_or_b32 v5, 0x7f800000, v8, v5
	v_cndmask_b32_e32 v3, 0, v5, vcc_lo
	s_delay_alu instid0(VALU_DEP_1) | instskip(NEXT) | instid1(VALU_DEP_1)
	v_and_or_b32 v1, 0x80000000, v1, v3
	v_cvt_i32_f32_e32 v8, v1
.LBB380_316:
	s_mov_b32 s40, 0
.LBB380_317:
	s_delay_alu instid0(SALU_CYCLE_1)
	s_and_not1_b32 vcc_lo, exec_lo, s40
	s_cbranch_vccnz .LBB380_319
; %bb.318:
	global_load_u8 v1, v[6:7], off
	s_wait_loadcnt 0x0
	v_lshlrev_b32_e32 v3, 25, v1
	v_lshlrev_b16 v1, 8, v1
	s_delay_alu instid0(VALU_DEP_1) | instskip(SKIP_1) | instid1(VALU_DEP_2)
	v_and_or_b32 v8, 0x7f00, v1, 0.5
	v_bfe_i32 v1, v1, 0, 16
	v_dual_add_f32 v8, -0.5, v8 :: v_dual_lshrrev_b32 v5, 4, v3
	v_cmp_gt_u32_e32 vcc_lo, 0x8000000, v3
	s_delay_alu instid0(VALU_DEP_2) | instskip(NEXT) | instid1(VALU_DEP_1)
	v_or_b32_e32 v5, 0x70000000, v5
	v_mul_f32_e32 v5, 0x7800000, v5
	s_delay_alu instid0(VALU_DEP_1) | instskip(NEXT) | instid1(VALU_DEP_1)
	v_cndmask_b32_e32 v3, v5, v8, vcc_lo
	v_and_or_b32 v1, 0x80000000, v1, v3
	s_delay_alu instid0(VALU_DEP_1)
	v_cvt_i32_f32_e32 v8, v1
.LBB380_319:
	s_mov_b32 s41, 0
	s_mov_b32 s40, -1
.LBB380_320:
	s_and_not1_b32 vcc_lo, exec_lo, s41
	s_cbranch_vccnz .LBB380_333
; %bb.321:
	s_cmp_gt_i32 s39, 14
	s_cbranch_scc0 .LBB380_324
; %bb.322:
	s_cmp_eq_u32 s39, 15
	s_cbranch_scc0 .LBB380_327
; %bb.323:
	global_load_u16 v1, v[6:7], off
	s_mov_b32 s40, -1
	s_mov_b32 s27, 0
	s_wait_loadcnt 0x0
	v_lshlrev_b32_e32 v1, 16, v1
	s_delay_alu instid0(VALU_DEP_1)
	v_cvt_i32_f32_e32 v8, v1
	s_branch .LBB380_328
.LBB380_324:
	s_mov_b32 s41, -1
                                        ; implicit-def: $vgpr8
	s_branch .LBB380_329
.LBB380_325:
	s_and_not1_saveexec_b32 s40, s40
	s_cbranch_execz .LBB380_306
.LBB380_326:
	v_cmp_ne_u16_e32 vcc_lo, 0, v1
	s_and_not1_b32 s41, s41, exec_lo
	s_and_b32 s43, vcc_lo, exec_lo
	s_delay_alu instid0(SALU_CYCLE_1)
	s_or_b32 s41, s41, s43
	s_or_b32 exec_lo, exec_lo, s40
	v_mov_b32_e32 v8, 0
	s_and_saveexec_b32 s40, s41
	s_cbranch_execnz .LBB380_307
	s_branch .LBB380_308
.LBB380_327:
	s_mov_b32 s27, -1
                                        ; implicit-def: $vgpr8
.LBB380_328:
	s_mov_b32 s41, 0
.LBB380_329:
	s_delay_alu instid0(SALU_CYCLE_1)
	s_and_b32 vcc_lo, exec_lo, s41
	s_cbranch_vccz .LBB380_333
; %bb.330:
	s_cmp_eq_u32 s39, 11
	s_cbranch_scc0 .LBB380_332
; %bb.331:
	global_load_u8 v1, v[6:7], off
	s_mov_b32 s27, 0
	s_mov_b32 s40, -1
	s_wait_loadcnt 0x0
	v_cmp_ne_u16_e32 vcc_lo, 0, v1
	v_cndmask_b32_e64 v8, 0, 1, vcc_lo
	s_branch .LBB380_333
.LBB380_332:
	s_mov_b32 s27, -1
                                        ; implicit-def: $vgpr8
.LBB380_333:
	s_branch .LBB380_31
.LBB380_334:
	s_and_b32 s0, 0xffff, s0
	s_delay_alu instid0(SALU_CYCLE_1)
	s_cmp_lt_i32 s0, 5
	s_cbranch_scc1 .LBB380_339
; %bb.335:
	s_cmp_lt_i32 s0, 8
	s_cbranch_scc1 .LBB380_340
; %bb.336:
	;; [unrolled: 3-line block ×3, first 2 shown]
	s_cmp_gt_i32 s0, 9
	s_cbranch_scc0 .LBB380_342
; %bb.338:
	s_wait_loadcnt 0x0
	global_load_b64 v[8:9], v[6:7], off
	s_mov_b32 s39, 0
	s_wait_loadcnt 0x0
	v_cvt_i32_f64_e32 v8, v[8:9]
	s_branch .LBB380_343
.LBB380_339:
	s_mov_b32 s39, -1
                                        ; implicit-def: $vgpr8
	s_branch .LBB380_361
.LBB380_340:
	s_mov_b32 s39, -1
                                        ; implicit-def: $vgpr8
	s_branch .LBB380_349
.LBB380_341:
	s_mov_b32 s39, -1
                                        ; implicit-def: $vgpr8
	s_branch .LBB380_346
.LBB380_342:
	s_mov_b32 s39, -1
                                        ; implicit-def: $vgpr8
.LBB380_343:
	s_delay_alu instid0(SALU_CYCLE_1)
	s_and_not1_b32 vcc_lo, exec_lo, s39
	s_cbranch_vccnz .LBB380_345
; %bb.344:
	global_load_b32 v1, v[6:7], off
	s_wait_loadcnt 0x0
	v_cvt_i32_f32_e32 v8, v1
.LBB380_345:
	s_mov_b32 s39, 0
.LBB380_346:
	s_delay_alu instid0(SALU_CYCLE_1)
	s_and_not1_b32 vcc_lo, exec_lo, s39
	s_cbranch_vccnz .LBB380_348
; %bb.347:
	global_load_b32 v1, v[6:7], off
	s_wait_loadcnt 0x0
	v_cvt_i16_f16_e32 v8, v1
.LBB380_348:
	s_mov_b32 s39, 0
.LBB380_349:
	s_delay_alu instid0(SALU_CYCLE_1)
	s_and_not1_b32 vcc_lo, exec_lo, s39
	s_cbranch_vccnz .LBB380_360
; %bb.350:
	s_cmp_lt_i32 s0, 6
	s_cbranch_scc1 .LBB380_353
; %bb.351:
	s_cmp_gt_i32 s0, 6
	s_cbranch_scc0 .LBB380_354
; %bb.352:
	s_wait_loadcnt 0x0
	global_load_b64 v[8:9], v[6:7], off
	s_mov_b32 s39, 0
	s_wait_loadcnt 0x0
	v_cvt_i32_f64_e32 v8, v[8:9]
	s_branch .LBB380_355
.LBB380_353:
	s_mov_b32 s39, -1
                                        ; implicit-def: $vgpr8
	s_branch .LBB380_358
.LBB380_354:
	s_mov_b32 s39, -1
                                        ; implicit-def: $vgpr8
.LBB380_355:
	s_delay_alu instid0(SALU_CYCLE_1)
	s_and_not1_b32 vcc_lo, exec_lo, s39
	s_cbranch_vccnz .LBB380_357
; %bb.356:
	global_load_b32 v1, v[6:7], off
	s_wait_loadcnt 0x0
	v_cvt_i32_f32_e32 v8, v1
.LBB380_357:
	s_mov_b32 s39, 0
.LBB380_358:
	s_delay_alu instid0(SALU_CYCLE_1)
	s_and_not1_b32 vcc_lo, exec_lo, s39
	s_cbranch_vccnz .LBB380_360
; %bb.359:
	global_load_u16 v1, v[6:7], off
	s_wait_loadcnt 0x0
	v_cvt_i16_f16_e32 v8, v1
.LBB380_360:
	s_mov_b32 s39, 0
.LBB380_361:
	s_delay_alu instid0(SALU_CYCLE_1)
	s_and_not1_b32 vcc_lo, exec_lo, s39
	s_cbranch_vccnz .LBB380_381
; %bb.362:
	s_cmp_lt_i32 s0, 2
	s_cbranch_scc1 .LBB380_366
; %bb.363:
	s_cmp_lt_i32 s0, 3
	s_cbranch_scc1 .LBB380_367
; %bb.364:
	s_cmp_gt_i32 s0, 3
	s_cbranch_scc0 .LBB380_368
; %bb.365:
	s_wait_loadcnt 0x0
	global_load_b64 v[8:9], v[6:7], off
	s_mov_b32 s39, 0
	s_branch .LBB380_369
.LBB380_366:
	s_mov_b32 s39, -1
                                        ; implicit-def: $vgpr8
	s_branch .LBB380_375
.LBB380_367:
	s_mov_b32 s39, -1
                                        ; implicit-def: $vgpr8
	s_branch .LBB380_372
.LBB380_368:
	s_mov_b32 s39, -1
                                        ; implicit-def: $vgpr8
.LBB380_369:
	s_delay_alu instid0(SALU_CYCLE_1)
	s_and_not1_b32 vcc_lo, exec_lo, s39
	s_cbranch_vccnz .LBB380_371
; %bb.370:
	s_wait_loadcnt 0x0
	global_load_b32 v8, v[6:7], off
.LBB380_371:
	s_mov_b32 s39, 0
.LBB380_372:
	s_delay_alu instid0(SALU_CYCLE_1)
	s_and_not1_b32 vcc_lo, exec_lo, s39
	s_cbranch_vccnz .LBB380_374
; %bb.373:
	s_wait_loadcnt 0x0
	global_load_u16 v8, v[6:7], off
.LBB380_374:
	s_mov_b32 s39, 0
.LBB380_375:
	s_delay_alu instid0(SALU_CYCLE_1)
	s_and_not1_b32 vcc_lo, exec_lo, s39
	s_cbranch_vccnz .LBB380_381
; %bb.376:
	s_cmp_gt_i32 s0, 0
	s_mov_b32 s0, 0
	s_cbranch_scc0 .LBB380_378
; %bb.377:
	s_wait_loadcnt 0x0
	global_load_u8 v8, v[6:7], off
	s_branch .LBB380_379
.LBB380_378:
	s_mov_b32 s0, -1
                                        ; implicit-def: $vgpr8
.LBB380_379:
	s_delay_alu instid0(SALU_CYCLE_1)
	s_and_not1_b32 vcc_lo, exec_lo, s0
	s_cbranch_vccnz .LBB380_381
; %bb.380:
	s_wait_loadcnt 0x0
	global_load_u8 v8, v[6:7], off
.LBB380_381:
	s_branch .LBB380_32
.LBB380_382:
	s_mov_b32 s0, 0
.LBB380_383:
	s_mov_b32 s43, 0
                                        ; implicit-def: $vgpr0
.LBB380_384:
	s_and_b32 s39, s0, exec_lo
	s_and_b32 s40, s27, exec_lo
	;; [unrolled: 1-line block ×3, first 2 shown]
	s_or_not1_b32 s27, s43, exec_lo
.LBB380_385:
	s_wait_xcnt 0x0
	s_or_b32 exec_lo, exec_lo, s42
	s_mov_b32 s44, 0
	s_mov_b32 s26, 0
                                        ; implicit-def: $sgpr0
                                        ; implicit-def: $vgpr8_vgpr9
                                        ; implicit-def: $vgpr6
                                        ; implicit-def: $vgpr2
                                        ; implicit-def: $vgpr4
	s_and_saveexec_b32 s42, s27
	s_cbranch_execz .LBB380_393
; %bb.386:
	s_mov_b32 s48, -1
	s_mov_b32 s43, s41
	s_mov_b32 s45, s40
	;; [unrolled: 1-line block ×3, first 2 shown]
	s_mov_b32 s46, exec_lo
	v_cmpx_gt_i32_e64 s37, v0
	s_cbranch_execz .LBB380_781
; %bb.387:
	s_and_not1_b32 vcc_lo, exec_lo, s31
	s_cbranch_vccnz .LBB380_396
; %bb.388:
	s_and_not1_b32 vcc_lo, exec_lo, s38
	s_cbranch_vccnz .LBB380_397
; %bb.389:
	v_dual_mov_b32 v2, 0 :: v_dual_mov_b32 v1, v0
	s_wait_loadcnt 0x0
	v_dual_mov_b32 v4, 0 :: v_dual_mov_b32 v6, 0
	s_add_co_i32 s0, s36, 1
	s_mov_b64 s[26:27], 0xffffffffffffffe8
	s_and_b32 s0, s0, 30
	s_add_nc_u64 s[26:27], s[2:3], s[26:27]
.LBB380_390:                            ; =>This Inner Loop Header: Depth=1
	s_clause 0x1
	s_load_b128 s[48:51], s[26:27], 0x1c
	s_load_b64 s[44:45], s[26:27], 0x2c
	s_add_co_i32 s0, s0, -2
	s_delay_alu instid0(SALU_CYCLE_1) | instskip(SKIP_2) | instid1(VALU_DEP_1)
	s_cmp_eq_u32 s0, 0
	s_wait_kmcnt 0x0
	v_mul_hi_u32 v3, s49, v1
	v_add_nc_u32_e32 v3, v1, v3
	s_delay_alu instid0(VALU_DEP_1) | instskip(NEXT) | instid1(VALU_DEP_1)
	v_lshrrev_b32_e32 v3, s50, v3
	v_mul_hi_u32 v5, s44, v3
	v_mul_lo_u32 v7, v3, s48
	s_clause 0x1
	s_load_b128 s[52:55], s[26:27], 0xdc
	s_load_b64 s[48:49], s[26:27], 0xec
	s_wait_xcnt 0x0
	s_add_nc_u64 s[26:27], s[26:27], 24
	s_delay_alu instid0(VALU_DEP_1) | instskip(NEXT) | instid1(VALU_DEP_1)
	v_dual_add_nc_u32 v5, v3, v5 :: v_dual_sub_nc_u32 v7, v1, v7
	v_lshrrev_b32_e32 v1, s45, v5
	s_wait_kmcnt 0x0
	s_delay_alu instid0(VALU_DEP_2) | instskip(NEXT) | instid1(VALU_DEP_2)
	v_mad_u32 v2, v7, s52, v2
	v_mul_lo_u32 v5, v1, s51
	v_mad_u32 v6, v7, s54, v6
	v_mad_u32 v4, v7, s53, v4
	s_delay_alu instid0(VALU_DEP_3) | instskip(NEXT) | instid1(VALU_DEP_1)
	v_sub_nc_u32_e32 v3, v3, v5
	v_mad_u32 v2, v3, s55, v2
	s_delay_alu instid0(VALU_DEP_4) | instskip(NEXT) | instid1(VALU_DEP_4)
	v_mad_u32 v6, v3, s49, v6
	v_mad_u32 v4, v3, s48, v4
	s_cbranch_scc0 .LBB380_390
; %bb.391:
	s_bitcmp1_b32 s36, 0
	s_cselect_b32 s0, -1, 0
	s_delay_alu instid0(SALU_CYCLE_1)
	s_and_b32 vcc_lo, exec_lo, s0
	s_cbranch_vccnz .LBB380_398
; %bb.392:
	s_clause 0x1
	s_load_b96 s[48:50], s[26:27], 0x1c
	s_load_b96 s[52:54], s[26:27], 0xdc
	s_wait_kmcnt 0x0
	v_mul_hi_u32 v3, s49, v1
	s_delay_alu instid0(VALU_DEP_1) | instskip(NEXT) | instid1(VALU_DEP_1)
	v_add_nc_u32_e32 v3, v1, v3
	v_lshrrev_b32_e32 v3, s50, v3
	s_delay_alu instid0(VALU_DEP_1) | instskip(NEXT) | instid1(VALU_DEP_1)
	v_mul_lo_u32 v3, v3, s48
	v_sub_nc_u32_e32 v1, v1, v3
	s_delay_alu instid0(VALU_DEP_1)
	v_mad_u32 v2, v1, s52, v2
	v_mad_u32 v4, v1, s53, v4
	;; [unrolled: 1-line block ×3, first 2 shown]
	s_branch .LBB380_398
.LBB380_393:
	s_or_b32 exec_lo, exec_lo, s42
	s_mov_b32 s1, 0
	s_and_saveexec_b32 s6, s41
	s_cbranch_execnz .LBB380_1269
.LBB380_394:
	s_or_b32 exec_lo, exec_lo, s6
	s_and_saveexec_b32 s6, s21
	s_delay_alu instid0(SALU_CYCLE_1)
	s_xor_b32 s6, exec_lo, s6
	s_cbranch_execz .LBB380_1270
.LBB380_395:
	s_wait_loadcnt 0x0
	global_load_u8 v0, v[8:9], off
	s_or_b32 s26, s26, exec_lo
	s_wait_loadcnt 0x0
	v_cmp_ne_u16_e32 vcc_lo, 0, v0
	v_cndmask_b32_e64 v4, 0, 1, vcc_lo
	s_wait_xcnt 0x0
	s_or_b32 exec_lo, exec_lo, s6
	s_and_saveexec_b32 s6, s44
	s_cbranch_execz .LBB380_1316
	s_branch .LBB380_1271
.LBB380_396:
                                        ; implicit-def: $vgpr6
                                        ; implicit-def: $vgpr4
                                        ; implicit-def: $vgpr2
	s_branch .LBB380_399
.LBB380_397:
	s_wait_loadcnt 0x0
	v_dual_mov_b32 v6, 0 :: v_dual_mov_b32 v4, 0
	v_mov_b32_e32 v2, 0
.LBB380_398:
	s_cbranch_execnz .LBB380_401
.LBB380_399:
	v_mov_b32_e32 v1, 0
	s_and_not1_b32 vcc_lo, exec_lo, s35
	s_delay_alu instid0(VALU_DEP_1) | instskip(NEXT) | instid1(VALU_DEP_1)
	v_mul_u64_e32 v[2:3], s[20:21], v[0:1]
	v_add_nc_u32_e32 v2, v0, v3
	s_wait_loadcnt 0x0
	s_delay_alu instid0(VALU_DEP_1) | instskip(NEXT) | instid1(VALU_DEP_1)
	v_lshrrev_b32_e32 v8, s14, v2
	v_mul_lo_u32 v2, v8, s12
	s_delay_alu instid0(VALU_DEP_1) | instskip(NEXT) | instid1(VALU_DEP_1)
	v_sub_nc_u32_e32 v3, v0, v2
	v_mul_lo_u32 v2, v3, s16
	v_mul_lo_u32 v6, v3, s18
	;; [unrolled: 1-line block ×3, first 2 shown]
	s_cbranch_vccnz .LBB380_401
; %bb.400:
	v_mov_b32_e32 v9, v1
	s_delay_alu instid0(VALU_DEP_1) | instskip(NEXT) | instid1(VALU_DEP_1)
	v_mul_u64_e32 v[10:11], s[24:25], v[8:9]
	v_add_nc_u32_e32 v1, v8, v11
	s_delay_alu instid0(VALU_DEP_1) | instskip(NEXT) | instid1(VALU_DEP_1)
	v_lshrrev_b32_e32 v1, s1, v1
	v_mul_lo_u32 v1, v1, s15
	s_delay_alu instid0(VALU_DEP_1) | instskip(NEXT) | instid1(VALU_DEP_1)
	v_sub_nc_u32_e32 v1, v8, v1
	v_mad_u32 v2, v1, s19, v2
	v_mad_u32 v4, v1, s22, v4
	;; [unrolled: 1-line block ×3, first 2 shown]
.LBB380_401:
	s_wait_loadcnt 0x0
	v_mov_b32_e32 v5, 0
	s_and_b32 s0, s34, 0xff
	s_delay_alu instid0(SALU_CYCLE_1) | instskip(NEXT) | instid1(VALU_DEP_1)
	s_cmp_lt_i32 s0, 11
	v_add_nc_u64_e32 v[8:9], s[6:7], v[4:5]
	s_cbranch_scc1 .LBB380_408
; %bb.402:
	s_and_b32 s27, 0xffff, s0
	s_delay_alu instid0(SALU_CYCLE_1)
	s_cmp_gt_i32 s27, 25
	s_cbranch_scc0 .LBB380_417
; %bb.403:
	s_cmp_gt_i32 s27, 28
	s_cbranch_scc0 .LBB380_419
; %bb.404:
	;; [unrolled: 3-line block ×4, first 2 shown]
	s_cmp_eq_u32 s27, 46
	s_mov_b32 s44, 0
	s_cbranch_scc0 .LBB380_427
; %bb.407:
	global_load_b32 v1, v[8:9], off
	s_mov_b32 s43, -1
	s_mov_b32 s26, 0
	s_wait_loadcnt 0x0
	v_lshlrev_b32_e32 v1, 16, v1
	s_delay_alu instid0(VALU_DEP_1)
	v_cvt_i32_f32_e32 v4, v1
	s_branch .LBB380_429
.LBB380_408:
	s_mov_b32 s43, 0
	s_mov_b32 s26, s41
                                        ; implicit-def: $vgpr4
	s_cbranch_execnz .LBB380_491
.LBB380_409:
	s_and_not1_b32 vcc_lo, exec_lo, s43
	s_cbranch_vccnz .LBB380_539
.LBB380_410:
	v_mov_b32_e32 v7, 0
	s_and_b32 s0, s13, 0xff
	s_delay_alu instid0(SALU_CYCLE_1) | instskip(NEXT) | instid1(VALU_DEP_1)
	s_cmp_lt_i32 s0, 11
	v_add_nc_u64_e32 v[6:7], s[8:9], v[6:7]
	s_cbranch_scc1 .LBB380_418
; %bb.411:
	s_and_b32 s43, 0xffff, s0
	s_delay_alu instid0(SALU_CYCLE_1)
	s_cmp_gt_i32 s43, 25
	s_cbranch_scc0 .LBB380_420
; %bb.412:
	s_cmp_gt_i32 s43, 28
	s_cbranch_scc0 .LBB380_422
; %bb.413:
	;; [unrolled: 3-line block ×4, first 2 shown]
	s_cmp_eq_u32 s43, 46
	s_mov_b32 s45, 0
	s_cbranch_scc0 .LBB380_542
; %bb.416:
	global_load_b32 v1, v[6:7], off
	s_mov_b32 s44, -1
	s_mov_b32 s27, 0
	s_wait_loadcnt 0x0
	v_lshlrev_b32_e32 v1, 16, v1
	s_wait_xcnt 0x1
	s_delay_alu instid0(VALU_DEP_1)
	v_cvt_i32_f32_e32 v8, v1
	s_branch .LBB380_544
.LBB380_417:
	s_mov_b32 s44, -1
	s_mov_b32 s43, 0
	s_mov_b32 s26, s41
                                        ; implicit-def: $vgpr4
	s_branch .LBB380_457
.LBB380_418:
	s_mov_b32 s43, -1
	s_mov_b32 s44, 0
	s_mov_b32 s27, s40
                                        ; implicit-def: $vgpr8
	s_branch .LBB380_605
.LBB380_419:
	s_mov_b32 s44, -1
	s_mov_b32 s43, 0
	s_mov_b32 s26, s41
                                        ; implicit-def: $vgpr4
	s_branch .LBB380_440
.LBB380_420:
	s_mov_b32 s45, -1
	s_mov_b32 s44, 0
	s_mov_b32 s27, s40
                                        ; implicit-def: $vgpr8
	s_branch .LBB380_571
.LBB380_421:
	s_mov_b32 s44, -1
	s_mov_b32 s43, 0
	s_mov_b32 s26, s41
                                        ; implicit-def: $vgpr4
	s_branch .LBB380_435
.LBB380_422:
	s_mov_b32 s45, -1
	s_mov_b32 s44, 0
	s_mov_b32 s27, s40
                                        ; implicit-def: $vgpr8
	s_branch .LBB380_554
.LBB380_423:
	s_mov_b32 s44, -1
	s_mov_b32 s43, 0
	s_mov_b32 s26, s41
	s_branch .LBB380_428
.LBB380_424:
	s_mov_b32 s45, -1
	s_mov_b32 s44, 0
	s_mov_b32 s27, s40
                                        ; implicit-def: $vgpr8
	s_branch .LBB380_549
.LBB380_425:
	s_and_not1_saveexec_b32 s45, s45
	s_cbranch_execz .LBB380_187
.LBB380_426:
	v_add_f32_e32 v1, 0x46000000, v4
	s_and_not1_b32 s44, s44, exec_lo
	s_delay_alu instid0(VALU_DEP_1) | instskip(NEXT) | instid1(VALU_DEP_1)
	v_and_b32_e32 v1, 0xff, v1
	v_cmp_ne_u32_e32 vcc_lo, 0, v1
	s_and_b32 s46, vcc_lo, exec_lo
	s_delay_alu instid0(SALU_CYCLE_1)
	s_or_b32 s44, s44, s46
	s_or_b32 exec_lo, exec_lo, s45
	v_mov_b32_e32 v5, 0
	s_and_saveexec_b32 s45, s44
	s_cbranch_execnz .LBB380_188
	s_branch .LBB380_189
.LBB380_427:
	s_mov_b32 s26, -1
	s_mov_b32 s43, 0
.LBB380_428:
                                        ; implicit-def: $vgpr4
.LBB380_429:
	s_and_b32 vcc_lo, exec_lo, s44
	s_cbranch_vccz .LBB380_434
; %bb.430:
	s_cmp_eq_u32 s27, 44
	s_cbranch_scc0 .LBB380_433
; %bb.431:
	global_load_u8 v1, v[8:9], off
	s_mov_b32 s26, 0
	s_mov_b32 s43, -1
	s_wait_loadcnt 0x0
	v_lshlrev_b32_e32 v3, 23, v1
	v_cmp_ne_u32_e32 vcc_lo, 0, v1
	s_delay_alu instid0(VALU_DEP_2) | instskip(NEXT) | instid1(VALU_DEP_1)
	v_cvt_i32_f32_e32 v3, v3
	v_cndmask_b32_e32 v4, 0, v3, vcc_lo
	s_branch .LBB380_434
.LBB380_432:
	s_mov_b32 s45, -1
	s_mov_b32 s44, 0
	s_mov_b32 s27, s40
	s_branch .LBB380_543
.LBB380_433:
	s_mov_b32 s26, -1
                                        ; implicit-def: $vgpr4
.LBB380_434:
	s_mov_b32 s44, 0
.LBB380_435:
	s_delay_alu instid0(SALU_CYCLE_1)
	s_and_b32 vcc_lo, exec_lo, s44
	s_cbranch_vccz .LBB380_439
; %bb.436:
	s_cmp_eq_u32 s27, 29
	s_cbranch_scc0 .LBB380_438
; %bb.437:
	global_load_b64 v[4:5], v[8:9], off
	s_mov_b32 s43, -1
	s_mov_b32 s26, 0
	s_branch .LBB380_439
.LBB380_438:
	s_mov_b32 s26, -1
                                        ; implicit-def: $vgpr4
.LBB380_439:
	s_mov_b32 s44, 0
.LBB380_440:
	s_delay_alu instid0(SALU_CYCLE_1)
	s_and_b32 vcc_lo, exec_lo, s44
	s_cbranch_vccz .LBB380_456
; %bb.441:
	s_cmp_lt_i32 s27, 27
	s_cbranch_scc1 .LBB380_444
; %bb.442:
	s_cmp_gt_i32 s27, 27
	s_cbranch_scc0 .LBB380_445
; %bb.443:
	s_wait_loadcnt 0x0
	global_load_b32 v4, v[8:9], off
	s_mov_b32 s43, 0
	s_branch .LBB380_446
.LBB380_444:
	s_mov_b32 s43, -1
                                        ; implicit-def: $vgpr4
	s_branch .LBB380_449
.LBB380_445:
	s_mov_b32 s43, -1
                                        ; implicit-def: $vgpr4
.LBB380_446:
	s_delay_alu instid0(SALU_CYCLE_1)
	s_and_not1_b32 vcc_lo, exec_lo, s43
	s_cbranch_vccnz .LBB380_448
; %bb.447:
	s_wait_loadcnt 0x0
	global_load_u16 v4, v[8:9], off
.LBB380_448:
	s_mov_b32 s43, 0
.LBB380_449:
	s_delay_alu instid0(SALU_CYCLE_1)
	s_and_not1_b32 vcc_lo, exec_lo, s43
	s_cbranch_vccnz .LBB380_455
; %bb.450:
	global_load_u8 v1, v[8:9], off
	s_mov_b32 s44, 0
	s_mov_b32 s43, exec_lo
	s_wait_loadcnt 0x0
	v_cmpx_lt_i16_e32 0x7f, v1
	s_xor_b32 s43, exec_lo, s43
	s_cbranch_execz .LBB380_467
; %bb.451:
	v_cmp_ne_u16_e32 vcc_lo, 0x80, v1
	s_and_b32 s44, vcc_lo, exec_lo
	s_and_not1_saveexec_b32 s43, s43
	s_cbranch_execnz .LBB380_468
.LBB380_452:
	s_or_b32 exec_lo, exec_lo, s43
	v_mov_b32_e32 v4, 0
	s_and_saveexec_b32 s43, s44
	s_cbranch_execz .LBB380_454
.LBB380_453:
	v_and_b32_e32 v3, 0xffff, v1
	s_delay_alu instid0(VALU_DEP_1) | instskip(SKIP_1) | instid1(VALU_DEP_2)
	v_and_b32_e32 v4, 7, v3
	v_bfe_u32 v10, v3, 3, 4
	v_clz_i32_u32_e32 v5, v4
	s_delay_alu instid0(VALU_DEP_2) | instskip(NEXT) | instid1(VALU_DEP_2)
	v_cmp_eq_u32_e32 vcc_lo, 0, v10
	v_min_u32_e32 v5, 32, v5
	s_delay_alu instid0(VALU_DEP_1) | instskip(NEXT) | instid1(VALU_DEP_1)
	v_subrev_nc_u32_e32 v7, 28, v5
	v_dual_lshlrev_b32 v3, v7, v3 :: v_dual_sub_nc_u32 v5, 29, v5
	s_delay_alu instid0(VALU_DEP_1) | instskip(NEXT) | instid1(VALU_DEP_1)
	v_dual_lshlrev_b32 v1, 24, v1 :: v_dual_bitop2_b32 v3, 7, v3 bitop3:0x40
	v_dual_cndmask_b32 v3, v4, v3, vcc_lo :: v_dual_cndmask_b32 v5, v10, v5, vcc_lo
	s_delay_alu instid0(VALU_DEP_2) | instskip(NEXT) | instid1(VALU_DEP_2)
	v_and_b32_e32 v1, 0x80000000, v1
	v_lshlrev_b32_e32 v3, 20, v3
	s_delay_alu instid0(VALU_DEP_3) | instskip(NEXT) | instid1(VALU_DEP_1)
	v_lshl_add_u32 v4, v5, 23, 0x3b800000
	v_or3_b32 v1, v1, v4, v3
	s_delay_alu instid0(VALU_DEP_1)
	v_cvt_i32_f32_e32 v4, v1
.LBB380_454:
	s_or_b32 exec_lo, exec_lo, s43
.LBB380_455:
	s_mov_b32 s43, -1
.LBB380_456:
	s_mov_b32 s44, 0
.LBB380_457:
	s_delay_alu instid0(SALU_CYCLE_1)
	s_and_b32 vcc_lo, exec_lo, s44
	s_cbranch_vccz .LBB380_490
; %bb.458:
	s_cmp_gt_i32 s27, 22
	s_cbranch_scc0 .LBB380_466
; %bb.459:
	s_cmp_lt_i32 s27, 24
	s_cbranch_scc1 .LBB380_469
; %bb.460:
	s_cmp_gt_i32 s27, 24
	s_cbranch_scc0 .LBB380_470
; %bb.461:
	global_load_u8 v1, v[8:9], off
	s_mov_b32 s44, 0
	s_mov_b32 s43, exec_lo
	s_wait_loadcnt 0x0
	v_cmpx_lt_i16_e32 0x7f, v1
	s_xor_b32 s43, exec_lo, s43
	s_cbranch_execz .LBB380_482
; %bb.462:
	v_cmp_ne_u16_e32 vcc_lo, 0x80, v1
	s_and_b32 s44, vcc_lo, exec_lo
	s_and_not1_saveexec_b32 s43, s43
	s_cbranch_execnz .LBB380_483
.LBB380_463:
	s_or_b32 exec_lo, exec_lo, s43
	v_mov_b32_e32 v4, 0
	s_and_saveexec_b32 s43, s44
	s_cbranch_execz .LBB380_465
.LBB380_464:
	v_and_b32_e32 v3, 0xffff, v1
	s_delay_alu instid0(VALU_DEP_1) | instskip(SKIP_1) | instid1(VALU_DEP_2)
	v_and_b32_e32 v4, 3, v3
	v_bfe_u32 v10, v3, 2, 5
	v_clz_i32_u32_e32 v5, v4
	s_delay_alu instid0(VALU_DEP_2) | instskip(NEXT) | instid1(VALU_DEP_2)
	v_cmp_eq_u32_e32 vcc_lo, 0, v10
	v_min_u32_e32 v5, 32, v5
	s_delay_alu instid0(VALU_DEP_1) | instskip(NEXT) | instid1(VALU_DEP_1)
	v_subrev_nc_u32_e32 v7, 29, v5
	v_dual_lshlrev_b32 v3, v7, v3 :: v_dual_sub_nc_u32 v5, 30, v5
	s_delay_alu instid0(VALU_DEP_1) | instskip(NEXT) | instid1(VALU_DEP_1)
	v_dual_lshlrev_b32 v1, 24, v1 :: v_dual_bitop2_b32 v3, 3, v3 bitop3:0x40
	v_dual_cndmask_b32 v3, v4, v3, vcc_lo :: v_dual_cndmask_b32 v5, v10, v5, vcc_lo
	s_delay_alu instid0(VALU_DEP_2) | instskip(NEXT) | instid1(VALU_DEP_2)
	v_and_b32_e32 v1, 0x80000000, v1
	v_lshlrev_b32_e32 v3, 21, v3
	s_delay_alu instid0(VALU_DEP_3) | instskip(NEXT) | instid1(VALU_DEP_1)
	v_lshl_add_u32 v4, v5, 23, 0x37800000
	v_or3_b32 v1, v1, v4, v3
	s_delay_alu instid0(VALU_DEP_1)
	v_cvt_i32_f32_e32 v4, v1
.LBB380_465:
	s_or_b32 exec_lo, exec_lo, s43
	s_mov_b32 s43, 0
	s_branch .LBB380_471
.LBB380_466:
	s_mov_b32 s44, -1
                                        ; implicit-def: $vgpr4
	s_branch .LBB380_477
.LBB380_467:
	s_and_not1_saveexec_b32 s43, s43
	s_cbranch_execz .LBB380_452
.LBB380_468:
	v_cmp_ne_u16_e32 vcc_lo, 0, v1
	s_and_not1_b32 s44, s44, exec_lo
	s_and_b32 s45, vcc_lo, exec_lo
	s_delay_alu instid0(SALU_CYCLE_1)
	s_or_b32 s44, s44, s45
	s_or_b32 exec_lo, exec_lo, s43
	v_mov_b32_e32 v4, 0
	s_and_saveexec_b32 s43, s44
	s_cbranch_execnz .LBB380_453
	s_branch .LBB380_454
.LBB380_469:
	s_mov_b32 s43, -1
                                        ; implicit-def: $vgpr4
	s_branch .LBB380_474
.LBB380_470:
	s_mov_b32 s43, -1
                                        ; implicit-def: $vgpr4
.LBB380_471:
	s_delay_alu instid0(SALU_CYCLE_1)
	s_and_b32 vcc_lo, exec_lo, s43
	s_cbranch_vccz .LBB380_473
; %bb.472:
	global_load_u8 v1, v[8:9], off
	s_wait_loadcnt 0x0
	v_lshlrev_b32_e32 v1, 24, v1
	s_delay_alu instid0(VALU_DEP_1) | instskip(NEXT) | instid1(VALU_DEP_1)
	v_and_b32_e32 v3, 0x7f000000, v1
	v_clz_i32_u32_e32 v4, v3
	v_add_nc_u32_e32 v7, 0x1000000, v3
	v_cmp_ne_u32_e32 vcc_lo, 0, v3
	s_delay_alu instid0(VALU_DEP_3) | instskip(NEXT) | instid1(VALU_DEP_1)
	v_min_u32_e32 v4, 32, v4
	v_sub_nc_u32_e64 v4, v4, 4 clamp
	s_delay_alu instid0(VALU_DEP_1) | instskip(NEXT) | instid1(VALU_DEP_1)
	v_dual_lshlrev_b32 v5, v4, v3 :: v_dual_lshlrev_b32 v4, 23, v4
	v_lshrrev_b32_e32 v5, 4, v5
	s_delay_alu instid0(VALU_DEP_1) | instskip(NEXT) | instid1(VALU_DEP_1)
	v_dual_sub_nc_u32 v4, v5, v4 :: v_dual_ashrrev_i32 v5, 8, v7
	v_add_nc_u32_e32 v4, 0x3c000000, v4
	s_delay_alu instid0(VALU_DEP_1) | instskip(NEXT) | instid1(VALU_DEP_1)
	v_and_or_b32 v4, 0x7f800000, v5, v4
	v_cndmask_b32_e32 v3, 0, v4, vcc_lo
	s_delay_alu instid0(VALU_DEP_1) | instskip(NEXT) | instid1(VALU_DEP_1)
	v_and_or_b32 v1, 0x80000000, v1, v3
	v_cvt_i32_f32_e32 v4, v1
.LBB380_473:
	s_mov_b32 s43, 0
.LBB380_474:
	s_delay_alu instid0(SALU_CYCLE_1)
	s_and_not1_b32 vcc_lo, exec_lo, s43
	s_cbranch_vccnz .LBB380_476
; %bb.475:
	global_load_u8 v1, v[8:9], off
	s_wait_loadcnt 0x0
	v_lshlrev_b32_e32 v3, 25, v1
	v_lshlrev_b16 v1, 8, v1
	s_delay_alu instid0(VALU_DEP_1) | instskip(NEXT) | instid1(VALU_DEP_3)
	v_and_or_b32 v5, 0x7f00, v1, 0.5
	v_lshrrev_b32_e32 v4, 4, v3
	v_bfe_i32 v1, v1, 0, 16
	s_delay_alu instid0(VALU_DEP_3) | instskip(NEXT) | instid1(VALU_DEP_3)
	v_add_f32_e32 v5, -0.5, v5
	v_or_b32_e32 v4, 0x70000000, v4
	s_delay_alu instid0(VALU_DEP_1) | instskip(SKIP_1) | instid1(VALU_DEP_2)
	v_mul_f32_e32 v4, 0x7800000, v4
	v_cmp_gt_u32_e32 vcc_lo, 0x8000000, v3
	v_cndmask_b32_e32 v3, v4, v5, vcc_lo
	s_delay_alu instid0(VALU_DEP_1) | instskip(NEXT) | instid1(VALU_DEP_1)
	v_and_or_b32 v1, 0x80000000, v1, v3
	v_cvt_i32_f32_e32 v4, v1
.LBB380_476:
	s_mov_b32 s44, 0
	s_mov_b32 s43, -1
.LBB380_477:
	s_and_not1_b32 vcc_lo, exec_lo, s44
	s_cbranch_vccnz .LBB380_490
; %bb.478:
	s_cmp_gt_i32 s27, 14
	s_cbranch_scc0 .LBB380_481
; %bb.479:
	s_cmp_eq_u32 s27, 15
	s_cbranch_scc0 .LBB380_484
; %bb.480:
	global_load_u16 v1, v[8:9], off
	s_mov_b32 s43, -1
	s_mov_b32 s26, 0
	s_wait_loadcnt 0x0
	v_lshlrev_b32_e32 v1, 16, v1
	s_delay_alu instid0(VALU_DEP_1)
	v_cvt_i32_f32_e32 v4, v1
	s_branch .LBB380_485
.LBB380_481:
	s_mov_b32 s44, -1
                                        ; implicit-def: $vgpr4
	s_branch .LBB380_486
.LBB380_482:
	s_and_not1_saveexec_b32 s43, s43
	s_cbranch_execz .LBB380_463
.LBB380_483:
	v_cmp_ne_u16_e32 vcc_lo, 0, v1
	s_and_not1_b32 s44, s44, exec_lo
	s_and_b32 s45, vcc_lo, exec_lo
	s_delay_alu instid0(SALU_CYCLE_1)
	s_or_b32 s44, s44, s45
	s_or_b32 exec_lo, exec_lo, s43
	v_mov_b32_e32 v4, 0
	s_and_saveexec_b32 s43, s44
	s_cbranch_execnz .LBB380_464
	s_branch .LBB380_465
.LBB380_484:
	s_mov_b32 s26, -1
                                        ; implicit-def: $vgpr4
.LBB380_485:
	s_mov_b32 s44, 0
.LBB380_486:
	s_delay_alu instid0(SALU_CYCLE_1)
	s_and_b32 vcc_lo, exec_lo, s44
	s_cbranch_vccz .LBB380_490
; %bb.487:
	s_cmp_eq_u32 s27, 11
	s_cbranch_scc0 .LBB380_489
; %bb.488:
	global_load_u8 v1, v[8:9], off
	s_mov_b32 s26, 0
	s_mov_b32 s43, -1
	s_wait_loadcnt 0x0
	v_cmp_ne_u16_e32 vcc_lo, 0, v1
	v_cndmask_b32_e64 v4, 0, 1, vcc_lo
	s_branch .LBB380_490
.LBB380_489:
	s_mov_b32 s26, -1
                                        ; implicit-def: $vgpr4
.LBB380_490:
	s_branch .LBB380_409
.LBB380_491:
	s_and_b32 s0, 0xffff, s0
	s_delay_alu instid0(SALU_CYCLE_1)
	s_cmp_lt_i32 s0, 5
	s_cbranch_scc1 .LBB380_496
; %bb.492:
	s_cmp_lt_i32 s0, 8
	s_cbranch_scc1 .LBB380_497
; %bb.493:
	;; [unrolled: 3-line block ×3, first 2 shown]
	s_cmp_gt_i32 s0, 9
	s_cbranch_scc0 .LBB380_499
; %bb.495:
	s_wait_loadcnt 0x0
	global_load_b64 v[4:5], v[8:9], off
	s_mov_b32 s27, 0
	s_wait_loadcnt 0x0
	v_cvt_i32_f64_e32 v4, v[4:5]
	s_branch .LBB380_500
.LBB380_496:
	s_mov_b32 s27, -1
                                        ; implicit-def: $vgpr4
	s_branch .LBB380_518
.LBB380_497:
	s_mov_b32 s27, -1
                                        ; implicit-def: $vgpr4
	s_branch .LBB380_506
.LBB380_498:
	s_mov_b32 s27, -1
                                        ; implicit-def: $vgpr4
	s_branch .LBB380_503
.LBB380_499:
	s_mov_b32 s27, -1
                                        ; implicit-def: $vgpr4
.LBB380_500:
	s_delay_alu instid0(SALU_CYCLE_1)
	s_and_not1_b32 vcc_lo, exec_lo, s27
	s_cbranch_vccnz .LBB380_502
; %bb.501:
	global_load_b32 v1, v[8:9], off
	s_wait_loadcnt 0x0
	v_cvt_i32_f32_e32 v4, v1
.LBB380_502:
	s_mov_b32 s27, 0
.LBB380_503:
	s_delay_alu instid0(SALU_CYCLE_1)
	s_and_not1_b32 vcc_lo, exec_lo, s27
	s_cbranch_vccnz .LBB380_505
; %bb.504:
	global_load_b32 v1, v[8:9], off
	s_wait_loadcnt 0x0
	v_cvt_i16_f16_e32 v4, v1
.LBB380_505:
	s_mov_b32 s27, 0
.LBB380_506:
	s_delay_alu instid0(SALU_CYCLE_1)
	s_and_not1_b32 vcc_lo, exec_lo, s27
	s_cbranch_vccnz .LBB380_517
; %bb.507:
	s_cmp_lt_i32 s0, 6
	s_cbranch_scc1 .LBB380_510
; %bb.508:
	s_cmp_gt_i32 s0, 6
	s_cbranch_scc0 .LBB380_511
; %bb.509:
	s_wait_loadcnt 0x0
	global_load_b64 v[4:5], v[8:9], off
	s_mov_b32 s27, 0
	s_wait_loadcnt 0x0
	v_cvt_i32_f64_e32 v4, v[4:5]
	s_branch .LBB380_512
.LBB380_510:
	s_mov_b32 s27, -1
                                        ; implicit-def: $vgpr4
	s_branch .LBB380_515
.LBB380_511:
	s_mov_b32 s27, -1
                                        ; implicit-def: $vgpr4
.LBB380_512:
	s_delay_alu instid0(SALU_CYCLE_1)
	s_and_not1_b32 vcc_lo, exec_lo, s27
	s_cbranch_vccnz .LBB380_514
; %bb.513:
	global_load_b32 v1, v[8:9], off
	s_wait_loadcnt 0x0
	v_cvt_i32_f32_e32 v4, v1
.LBB380_514:
	s_mov_b32 s27, 0
.LBB380_515:
	s_delay_alu instid0(SALU_CYCLE_1)
	s_and_not1_b32 vcc_lo, exec_lo, s27
	s_cbranch_vccnz .LBB380_517
; %bb.516:
	global_load_u16 v1, v[8:9], off
	s_wait_loadcnt 0x0
	v_cvt_i16_f16_e32 v4, v1
.LBB380_517:
	s_mov_b32 s27, 0
.LBB380_518:
	s_delay_alu instid0(SALU_CYCLE_1)
	s_and_not1_b32 vcc_lo, exec_lo, s27
	s_cbranch_vccnz .LBB380_538
; %bb.519:
	s_cmp_lt_i32 s0, 2
	s_cbranch_scc1 .LBB380_523
; %bb.520:
	s_cmp_lt_i32 s0, 3
	s_cbranch_scc1 .LBB380_524
; %bb.521:
	s_cmp_gt_i32 s0, 3
	s_cbranch_scc0 .LBB380_525
; %bb.522:
	s_wait_loadcnt 0x0
	global_load_b64 v[4:5], v[8:9], off
	s_mov_b32 s27, 0
	s_branch .LBB380_526
.LBB380_523:
	s_mov_b32 s27, -1
                                        ; implicit-def: $vgpr4
	s_branch .LBB380_532
.LBB380_524:
	s_mov_b32 s27, -1
                                        ; implicit-def: $vgpr4
	s_branch .LBB380_529
.LBB380_525:
	s_mov_b32 s27, -1
                                        ; implicit-def: $vgpr4
.LBB380_526:
	s_delay_alu instid0(SALU_CYCLE_1)
	s_and_not1_b32 vcc_lo, exec_lo, s27
	s_cbranch_vccnz .LBB380_528
; %bb.527:
	s_wait_loadcnt 0x0
	global_load_b32 v4, v[8:9], off
.LBB380_528:
	s_mov_b32 s27, 0
.LBB380_529:
	s_delay_alu instid0(SALU_CYCLE_1)
	s_and_not1_b32 vcc_lo, exec_lo, s27
	s_cbranch_vccnz .LBB380_531
; %bb.530:
	s_wait_loadcnt 0x0
	global_load_u16 v4, v[8:9], off
.LBB380_531:
	s_mov_b32 s27, 0
.LBB380_532:
	s_delay_alu instid0(SALU_CYCLE_1)
	s_and_not1_b32 vcc_lo, exec_lo, s27
	s_cbranch_vccnz .LBB380_538
; %bb.533:
	s_cmp_gt_i32 s0, 0
	s_mov_b32 s0, 0
	s_cbranch_scc0 .LBB380_535
; %bb.534:
	s_wait_loadcnt 0x0
	global_load_u8 v4, v[8:9], off
	s_branch .LBB380_536
.LBB380_535:
	s_mov_b32 s0, -1
                                        ; implicit-def: $vgpr4
.LBB380_536:
	s_delay_alu instid0(SALU_CYCLE_1)
	s_and_not1_b32 vcc_lo, exec_lo, s0
	s_cbranch_vccnz .LBB380_538
; %bb.537:
	s_wait_loadcnt 0x0
	global_load_u8 v4, v[8:9], off
.LBB380_538:
	s_branch .LBB380_410
.LBB380_539:
	s_mov_b32 s47, 0
	s_mov_b32 s0, s39
	;; [unrolled: 1-line block ×3, first 2 shown]
	s_branch .LBB380_779
.LBB380_540:
	s_and_not1_saveexec_b32 s45, s45
	s_cbranch_execz .LBB380_200
.LBB380_541:
	v_add_f32_e32 v1, 0x42800000, v4
	s_and_not1_b32 s44, s44, exec_lo
	s_delay_alu instid0(VALU_DEP_1) | instskip(NEXT) | instid1(VALU_DEP_1)
	v_and_b32_e32 v1, 0xff, v1
	v_cmp_ne_u32_e32 vcc_lo, 0, v1
	s_and_b32 s46, vcc_lo, exec_lo
	s_delay_alu instid0(SALU_CYCLE_1)
	s_or_b32 s44, s44, s46
	s_or_b32 exec_lo, exec_lo, s45
	v_mov_b32_e32 v5, 0
	s_and_saveexec_b32 s45, s44
	s_cbranch_execnz .LBB380_201
	s_branch .LBB380_202
.LBB380_542:
	s_mov_b32 s27, -1
	s_mov_b32 s44, 0
.LBB380_543:
                                        ; implicit-def: $vgpr8
.LBB380_544:
	s_and_b32 vcc_lo, exec_lo, s45
	s_cbranch_vccz .LBB380_548
; %bb.545:
	s_cmp_eq_u32 s43, 44
	s_cbranch_scc0 .LBB380_547
; %bb.546:
	global_load_u8 v1, v[6:7], off
	s_mov_b32 s27, 0
	s_mov_b32 s44, -1
	s_wait_loadcnt 0x0
	v_lshlrev_b32_e32 v3, 23, v1
	v_cmp_ne_u32_e32 vcc_lo, 0, v1
	s_delay_alu instid0(VALU_DEP_2) | instskip(SKIP_1) | instid1(VALU_DEP_1)
	v_cvt_i32_f32_e32 v3, v3
	s_wait_xcnt 0x1
	v_cndmask_b32_e32 v8, 0, v3, vcc_lo
	s_branch .LBB380_548
.LBB380_547:
	s_mov_b32 s27, -1
                                        ; implicit-def: $vgpr8
.LBB380_548:
	s_mov_b32 s45, 0
.LBB380_549:
	s_delay_alu instid0(SALU_CYCLE_1)
	s_and_b32 vcc_lo, exec_lo, s45
	s_cbranch_vccz .LBB380_553
; %bb.550:
	s_cmp_eq_u32 s43, 29
	s_cbranch_scc0 .LBB380_552
; %bb.551:
	global_load_b64 v[8:9], v[6:7], off
	s_mov_b32 s44, -1
	s_mov_b32 s27, 0
	s_branch .LBB380_553
.LBB380_552:
	s_mov_b32 s27, -1
                                        ; implicit-def: $vgpr8
.LBB380_553:
	s_mov_b32 s45, 0
.LBB380_554:
	s_delay_alu instid0(SALU_CYCLE_1)
	s_and_b32 vcc_lo, exec_lo, s45
	s_cbranch_vccz .LBB380_570
; %bb.555:
	s_cmp_lt_i32 s43, 27
	s_cbranch_scc1 .LBB380_558
; %bb.556:
	s_cmp_gt_i32 s43, 27
	s_cbranch_scc0 .LBB380_559
; %bb.557:
	s_wait_loadcnt 0x0
	global_load_b32 v8, v[6:7], off
	s_mov_b32 s44, 0
	s_branch .LBB380_560
.LBB380_558:
	s_mov_b32 s44, -1
                                        ; implicit-def: $vgpr8
	s_branch .LBB380_563
.LBB380_559:
	s_mov_b32 s44, -1
                                        ; implicit-def: $vgpr8
.LBB380_560:
	s_delay_alu instid0(SALU_CYCLE_1)
	s_and_not1_b32 vcc_lo, exec_lo, s44
	s_cbranch_vccnz .LBB380_562
; %bb.561:
	s_wait_loadcnt 0x0
	global_load_u16 v8, v[6:7], off
.LBB380_562:
	s_mov_b32 s44, 0
.LBB380_563:
	s_delay_alu instid0(SALU_CYCLE_1)
	s_and_not1_b32 vcc_lo, exec_lo, s44
	s_cbranch_vccnz .LBB380_569
; %bb.564:
	global_load_u8 v1, v[6:7], off
	s_mov_b32 s45, 0
	s_mov_b32 s44, exec_lo
	s_wait_loadcnt 0x0
	v_cmpx_lt_i16_e32 0x7f, v1
	s_xor_b32 s44, exec_lo, s44
	s_cbranch_execz .LBB380_581
; %bb.565:
	v_cmp_ne_u16_e32 vcc_lo, 0x80, v1
	s_and_b32 s45, vcc_lo, exec_lo
	s_and_not1_saveexec_b32 s44, s44
	s_cbranch_execnz .LBB380_582
.LBB380_566:
	s_or_b32 exec_lo, exec_lo, s44
	v_mov_b32_e32 v8, 0
	s_and_saveexec_b32 s44, s45
	s_cbranch_execz .LBB380_568
.LBB380_567:
	v_and_b32_e32 v3, 0xffff, v1
	s_delay_alu instid0(VALU_DEP_1) | instskip(SKIP_1) | instid1(VALU_DEP_2)
	v_and_b32_e32 v5, 7, v3
	v_bfe_u32 v10, v3, 3, 4
	v_clz_i32_u32_e32 v8, v5
	s_delay_alu instid0(VALU_DEP_2) | instskip(NEXT) | instid1(VALU_DEP_2)
	v_cmp_eq_u32_e32 vcc_lo, 0, v10
	v_min_u32_e32 v8, 32, v8
	s_delay_alu instid0(VALU_DEP_1) | instskip(NEXT) | instid1(VALU_DEP_1)
	v_subrev_nc_u32_e32 v9, 28, v8
	v_dual_lshlrev_b32 v3, v9, v3 :: v_dual_sub_nc_u32 v8, 29, v8
	s_delay_alu instid0(VALU_DEP_1) | instskip(NEXT) | instid1(VALU_DEP_1)
	v_dual_lshlrev_b32 v1, 24, v1 :: v_dual_bitop2_b32 v3, 7, v3 bitop3:0x40
	v_dual_cndmask_b32 v8, v10, v8 :: v_dual_cndmask_b32 v3, v5, v3
	s_delay_alu instid0(VALU_DEP_2) | instskip(NEXT) | instid1(VALU_DEP_2)
	v_and_b32_e32 v1, 0x80000000, v1
	v_lshl_add_u32 v5, v8, 23, 0x3b800000
	s_delay_alu instid0(VALU_DEP_3) | instskip(NEXT) | instid1(VALU_DEP_1)
	v_lshlrev_b32_e32 v3, 20, v3
	v_or3_b32 v1, v1, v5, v3
	s_delay_alu instid0(VALU_DEP_1)
	v_cvt_i32_f32_e32 v8, v1
.LBB380_568:
	s_or_b32 exec_lo, exec_lo, s44
.LBB380_569:
	s_mov_b32 s44, -1
.LBB380_570:
	s_mov_b32 s45, 0
.LBB380_571:
	s_delay_alu instid0(SALU_CYCLE_1)
	s_and_b32 vcc_lo, exec_lo, s45
	s_cbranch_vccz .LBB380_604
; %bb.572:
	s_cmp_gt_i32 s43, 22
	s_cbranch_scc0 .LBB380_580
; %bb.573:
	s_cmp_lt_i32 s43, 24
	s_cbranch_scc1 .LBB380_583
; %bb.574:
	s_cmp_gt_i32 s43, 24
	s_cbranch_scc0 .LBB380_584
; %bb.575:
	global_load_u8 v1, v[6:7], off
	s_mov_b32 s45, 0
	s_mov_b32 s44, exec_lo
	s_wait_loadcnt 0x0
	v_cmpx_lt_i16_e32 0x7f, v1
	s_xor_b32 s44, exec_lo, s44
	s_cbranch_execz .LBB380_596
; %bb.576:
	v_cmp_ne_u16_e32 vcc_lo, 0x80, v1
	s_and_b32 s45, vcc_lo, exec_lo
	s_and_not1_saveexec_b32 s44, s44
	s_cbranch_execnz .LBB380_597
.LBB380_577:
	s_or_b32 exec_lo, exec_lo, s44
	v_mov_b32_e32 v8, 0
	s_and_saveexec_b32 s44, s45
	s_cbranch_execz .LBB380_579
.LBB380_578:
	v_and_b32_e32 v3, 0xffff, v1
	s_delay_alu instid0(VALU_DEP_1) | instskip(SKIP_1) | instid1(VALU_DEP_2)
	v_and_b32_e32 v5, 3, v3
	v_bfe_u32 v10, v3, 2, 5
	v_clz_i32_u32_e32 v8, v5
	s_delay_alu instid0(VALU_DEP_2) | instskip(NEXT) | instid1(VALU_DEP_2)
	v_cmp_eq_u32_e32 vcc_lo, 0, v10
	v_min_u32_e32 v8, 32, v8
	s_delay_alu instid0(VALU_DEP_1) | instskip(NEXT) | instid1(VALU_DEP_1)
	v_subrev_nc_u32_e32 v9, 29, v8
	v_dual_lshlrev_b32 v3, v9, v3 :: v_dual_sub_nc_u32 v8, 30, v8
	s_delay_alu instid0(VALU_DEP_1) | instskip(NEXT) | instid1(VALU_DEP_1)
	v_dual_lshlrev_b32 v1, 24, v1 :: v_dual_bitop2_b32 v3, 3, v3 bitop3:0x40
	v_dual_cndmask_b32 v8, v10, v8 :: v_dual_cndmask_b32 v3, v5, v3
	s_delay_alu instid0(VALU_DEP_2) | instskip(NEXT) | instid1(VALU_DEP_2)
	v_and_b32_e32 v1, 0x80000000, v1
	v_lshl_add_u32 v5, v8, 23, 0x37800000
	s_delay_alu instid0(VALU_DEP_3) | instskip(NEXT) | instid1(VALU_DEP_1)
	v_lshlrev_b32_e32 v3, 21, v3
	v_or3_b32 v1, v1, v5, v3
	s_delay_alu instid0(VALU_DEP_1)
	v_cvt_i32_f32_e32 v8, v1
.LBB380_579:
	s_or_b32 exec_lo, exec_lo, s44
	s_mov_b32 s44, 0
	s_branch .LBB380_585
.LBB380_580:
	s_mov_b32 s45, -1
                                        ; implicit-def: $vgpr8
	s_branch .LBB380_591
.LBB380_581:
	s_and_not1_saveexec_b32 s44, s44
	s_cbranch_execz .LBB380_566
.LBB380_582:
	v_cmp_ne_u16_e32 vcc_lo, 0, v1
	s_and_not1_b32 s45, s45, exec_lo
	s_and_b32 s47, vcc_lo, exec_lo
	s_delay_alu instid0(SALU_CYCLE_1)
	s_or_b32 s45, s45, s47
	s_or_b32 exec_lo, exec_lo, s44
	v_mov_b32_e32 v8, 0
	s_and_saveexec_b32 s44, s45
	s_cbranch_execnz .LBB380_567
	s_branch .LBB380_568
.LBB380_583:
	s_mov_b32 s44, -1
                                        ; implicit-def: $vgpr8
	s_branch .LBB380_588
.LBB380_584:
	s_mov_b32 s44, -1
                                        ; implicit-def: $vgpr8
.LBB380_585:
	s_delay_alu instid0(SALU_CYCLE_1)
	s_and_b32 vcc_lo, exec_lo, s44
	s_cbranch_vccz .LBB380_587
; %bb.586:
	global_load_u8 v1, v[6:7], off
	s_wait_loadcnt 0x0
	v_lshlrev_b32_e32 v1, 24, v1
	s_delay_alu instid0(VALU_DEP_1) | instskip(NEXT) | instid1(VALU_DEP_1)
	v_and_b32_e32 v3, 0x7f000000, v1
	v_clz_i32_u32_e32 v5, v3
	s_wait_xcnt 0x1
	v_add_nc_u32_e32 v9, 0x1000000, v3
	v_cmp_ne_u32_e32 vcc_lo, 0, v3
	s_delay_alu instid0(VALU_DEP_3) | instskip(NEXT) | instid1(VALU_DEP_1)
	v_min_u32_e32 v5, 32, v5
	v_sub_nc_u32_e64 v5, v5, 4 clamp
	s_delay_alu instid0(VALU_DEP_1) | instskip(NEXT) | instid1(VALU_DEP_1)
	v_dual_lshlrev_b32 v8, v5, v3 :: v_dual_lshlrev_b32 v5, 23, v5
	v_lshrrev_b32_e32 v8, 4, v8
	s_delay_alu instid0(VALU_DEP_1) | instskip(SKIP_1) | instid1(VALU_DEP_2)
	v_sub_nc_u32_e32 v5, v8, v5
	v_ashrrev_i32_e32 v8, 8, v9
	v_add_nc_u32_e32 v5, 0x3c000000, v5
	s_delay_alu instid0(VALU_DEP_1) | instskip(NEXT) | instid1(VALU_DEP_1)
	v_and_or_b32 v5, 0x7f800000, v8, v5
	v_cndmask_b32_e32 v3, 0, v5, vcc_lo
	s_delay_alu instid0(VALU_DEP_1) | instskip(NEXT) | instid1(VALU_DEP_1)
	v_and_or_b32 v1, 0x80000000, v1, v3
	v_cvt_i32_f32_e32 v8, v1
.LBB380_587:
	s_mov_b32 s44, 0
.LBB380_588:
	s_delay_alu instid0(SALU_CYCLE_1)
	s_and_not1_b32 vcc_lo, exec_lo, s44
	s_cbranch_vccnz .LBB380_590
; %bb.589:
	global_load_u8 v1, v[6:7], off
	s_wait_loadcnt 0x0
	v_lshlrev_b32_e32 v3, 25, v1
	v_lshlrev_b16 v1, 8, v1
	s_wait_xcnt 0x1
	s_delay_alu instid0(VALU_DEP_1) | instskip(SKIP_1) | instid1(VALU_DEP_2)
	v_and_or_b32 v8, 0x7f00, v1, 0.5
	v_bfe_i32 v1, v1, 0, 16
	v_dual_add_f32 v8, -0.5, v8 :: v_dual_lshrrev_b32 v5, 4, v3
	v_cmp_gt_u32_e32 vcc_lo, 0x8000000, v3
	s_delay_alu instid0(VALU_DEP_2) | instskip(NEXT) | instid1(VALU_DEP_1)
	v_or_b32_e32 v5, 0x70000000, v5
	v_mul_f32_e32 v5, 0x7800000, v5
	s_delay_alu instid0(VALU_DEP_1) | instskip(NEXT) | instid1(VALU_DEP_1)
	v_cndmask_b32_e32 v3, v5, v8, vcc_lo
	v_and_or_b32 v1, 0x80000000, v1, v3
	s_delay_alu instid0(VALU_DEP_1)
	v_cvt_i32_f32_e32 v8, v1
.LBB380_590:
	s_mov_b32 s45, 0
	s_mov_b32 s44, -1
.LBB380_591:
	s_and_not1_b32 vcc_lo, exec_lo, s45
	s_cbranch_vccnz .LBB380_604
; %bb.592:
	s_cmp_gt_i32 s43, 14
	s_cbranch_scc0 .LBB380_595
; %bb.593:
	s_cmp_eq_u32 s43, 15
	s_cbranch_scc0 .LBB380_598
; %bb.594:
	global_load_u16 v1, v[6:7], off
	s_mov_b32 s44, -1
	s_mov_b32 s27, 0
	s_wait_loadcnt 0x0
	v_lshlrev_b32_e32 v1, 16, v1
	s_wait_xcnt 0x1
	s_delay_alu instid0(VALU_DEP_1)
	v_cvt_i32_f32_e32 v8, v1
	s_branch .LBB380_599
.LBB380_595:
	s_mov_b32 s45, -1
                                        ; implicit-def: $vgpr8
	s_branch .LBB380_600
.LBB380_596:
	s_and_not1_saveexec_b32 s44, s44
	s_cbranch_execz .LBB380_577
.LBB380_597:
	v_cmp_ne_u16_e32 vcc_lo, 0, v1
	s_and_not1_b32 s45, s45, exec_lo
	s_and_b32 s47, vcc_lo, exec_lo
	s_delay_alu instid0(SALU_CYCLE_1)
	s_or_b32 s45, s45, s47
	s_or_b32 exec_lo, exec_lo, s44
	v_mov_b32_e32 v8, 0
	s_and_saveexec_b32 s44, s45
	s_cbranch_execnz .LBB380_578
	s_branch .LBB380_579
.LBB380_598:
	s_mov_b32 s27, -1
                                        ; implicit-def: $vgpr8
.LBB380_599:
	s_mov_b32 s45, 0
.LBB380_600:
	s_delay_alu instid0(SALU_CYCLE_1)
	s_and_b32 vcc_lo, exec_lo, s45
	s_cbranch_vccz .LBB380_604
; %bb.601:
	s_cmp_eq_u32 s43, 11
	s_cbranch_scc0 .LBB380_603
; %bb.602:
	global_load_u8 v1, v[6:7], off
	s_mov_b32 s27, 0
	s_mov_b32 s44, -1
	s_wait_loadcnt 0x0
	v_cmp_ne_u16_e32 vcc_lo, 0, v1
	s_wait_xcnt 0x1
	v_cndmask_b32_e64 v8, 0, 1, vcc_lo
	s_branch .LBB380_604
.LBB380_603:
	s_mov_b32 s27, -1
                                        ; implicit-def: $vgpr8
.LBB380_604:
	s_mov_b32 s43, 0
.LBB380_605:
	s_delay_alu instid0(SALU_CYCLE_1)
	s_and_b32 vcc_lo, exec_lo, s43
	s_cbranch_vccz .LBB380_654
; %bb.606:
	s_and_b32 s0, 0xffff, s0
	s_delay_alu instid0(SALU_CYCLE_1)
	s_cmp_lt_i32 s0, 5
	s_cbranch_scc1 .LBB380_611
; %bb.607:
	s_cmp_lt_i32 s0, 8
	s_cbranch_scc1 .LBB380_612
; %bb.608:
	;; [unrolled: 3-line block ×3, first 2 shown]
	s_cmp_gt_i32 s0, 9
	s_cbranch_scc0 .LBB380_614
; %bb.610:
	s_wait_loadcnt 0x0
	global_load_b64 v[8:9], v[6:7], off
	s_mov_b32 s43, 0
	s_wait_loadcnt 0x0
	v_cvt_i32_f64_e32 v8, v[8:9]
	s_branch .LBB380_615
.LBB380_611:
	s_mov_b32 s43, -1
                                        ; implicit-def: $vgpr8
	s_branch .LBB380_633
.LBB380_612:
	s_mov_b32 s43, -1
                                        ; implicit-def: $vgpr8
	s_branch .LBB380_621
.LBB380_613:
	s_mov_b32 s43, -1
                                        ; implicit-def: $vgpr8
	s_branch .LBB380_618
.LBB380_614:
	s_mov_b32 s43, -1
                                        ; implicit-def: $vgpr8
.LBB380_615:
	s_delay_alu instid0(SALU_CYCLE_1)
	s_and_not1_b32 vcc_lo, exec_lo, s43
	s_cbranch_vccnz .LBB380_617
; %bb.616:
	global_load_b32 v1, v[6:7], off
	s_wait_loadcnt 0x0
	s_wait_xcnt 0x1
	v_cvt_i32_f32_e32 v8, v1
.LBB380_617:
	s_mov_b32 s43, 0
.LBB380_618:
	s_delay_alu instid0(SALU_CYCLE_1)
	s_and_not1_b32 vcc_lo, exec_lo, s43
	s_cbranch_vccnz .LBB380_620
; %bb.619:
	global_load_b32 v1, v[6:7], off
	s_wait_loadcnt 0x0
	s_wait_xcnt 0x1
	v_cvt_i16_f16_e32 v8, v1
.LBB380_620:
	s_mov_b32 s43, 0
.LBB380_621:
	s_delay_alu instid0(SALU_CYCLE_1)
	s_and_not1_b32 vcc_lo, exec_lo, s43
	s_cbranch_vccnz .LBB380_632
; %bb.622:
	s_cmp_lt_i32 s0, 6
	s_cbranch_scc1 .LBB380_625
; %bb.623:
	s_cmp_gt_i32 s0, 6
	s_cbranch_scc0 .LBB380_626
; %bb.624:
	s_wait_loadcnt 0x0
	global_load_b64 v[8:9], v[6:7], off
	s_mov_b32 s43, 0
	s_wait_loadcnt 0x0
	v_cvt_i32_f64_e32 v8, v[8:9]
	s_branch .LBB380_627
.LBB380_625:
	s_mov_b32 s43, -1
                                        ; implicit-def: $vgpr8
	s_branch .LBB380_630
.LBB380_626:
	s_mov_b32 s43, -1
                                        ; implicit-def: $vgpr8
.LBB380_627:
	s_delay_alu instid0(SALU_CYCLE_1)
	s_and_not1_b32 vcc_lo, exec_lo, s43
	s_cbranch_vccnz .LBB380_629
; %bb.628:
	global_load_b32 v1, v[6:7], off
	s_wait_loadcnt 0x0
	s_wait_xcnt 0x1
	v_cvt_i32_f32_e32 v8, v1
.LBB380_629:
	s_mov_b32 s43, 0
.LBB380_630:
	s_delay_alu instid0(SALU_CYCLE_1)
	s_and_not1_b32 vcc_lo, exec_lo, s43
	s_cbranch_vccnz .LBB380_632
; %bb.631:
	global_load_u16 v1, v[6:7], off
	s_wait_loadcnt 0x0
	s_wait_xcnt 0x1
	v_cvt_i16_f16_e32 v8, v1
.LBB380_632:
	s_mov_b32 s43, 0
.LBB380_633:
	s_delay_alu instid0(SALU_CYCLE_1)
	s_and_not1_b32 vcc_lo, exec_lo, s43
	s_cbranch_vccnz .LBB380_653
; %bb.634:
	s_cmp_lt_i32 s0, 2
	s_cbranch_scc1 .LBB380_638
; %bb.635:
	s_cmp_lt_i32 s0, 3
	s_cbranch_scc1 .LBB380_639
; %bb.636:
	s_cmp_gt_i32 s0, 3
	s_cbranch_scc0 .LBB380_640
; %bb.637:
	s_wait_loadcnt 0x0
	global_load_b64 v[8:9], v[6:7], off
	s_mov_b32 s43, 0
	s_branch .LBB380_641
.LBB380_638:
	s_mov_b32 s43, -1
                                        ; implicit-def: $vgpr8
	s_branch .LBB380_647
.LBB380_639:
	s_mov_b32 s43, -1
                                        ; implicit-def: $vgpr8
	s_branch .LBB380_644
.LBB380_640:
	s_mov_b32 s43, -1
                                        ; implicit-def: $vgpr8
.LBB380_641:
	s_delay_alu instid0(SALU_CYCLE_1)
	s_and_not1_b32 vcc_lo, exec_lo, s43
	s_cbranch_vccnz .LBB380_643
; %bb.642:
	s_wait_loadcnt 0x0
	global_load_b32 v8, v[6:7], off
.LBB380_643:
	s_mov_b32 s43, 0
.LBB380_644:
	s_delay_alu instid0(SALU_CYCLE_1)
	s_and_not1_b32 vcc_lo, exec_lo, s43
	s_cbranch_vccnz .LBB380_646
; %bb.645:
	s_wait_loadcnt 0x0
	global_load_u16 v8, v[6:7], off
.LBB380_646:
	s_mov_b32 s43, 0
.LBB380_647:
	s_delay_alu instid0(SALU_CYCLE_1)
	s_and_not1_b32 vcc_lo, exec_lo, s43
	s_cbranch_vccnz .LBB380_653
; %bb.648:
	s_cmp_gt_i32 s0, 0
	s_mov_b32 s0, 0
	s_cbranch_scc0 .LBB380_650
; %bb.649:
	s_wait_loadcnt 0x0
	global_load_u8 v8, v[6:7], off
	s_branch .LBB380_651
.LBB380_650:
	s_mov_b32 s0, -1
                                        ; implicit-def: $vgpr8
.LBB380_651:
	s_delay_alu instid0(SALU_CYCLE_1)
	s_and_not1_b32 vcc_lo, exec_lo, s0
	s_cbranch_vccnz .LBB380_653
; %bb.652:
	s_wait_loadcnt 0x0
	global_load_u8 v8, v[6:7], off
.LBB380_653:
	s_mov_b32 s44, -1
.LBB380_654:
	s_delay_alu instid0(SALU_CYCLE_1)
	s_and_not1_b32 vcc_lo, exec_lo, s44
	s_cbranch_vccnz .LBB380_662
; %bb.655:
	s_wait_loadcnt 0x0
	s_delay_alu instid0(VALU_DEP_1) | instskip(NEXT) | instid1(VALU_DEP_4)
	v_and_b32_e32 v1, 0xff, v8
	v_and_b32_e32 v4, 0xff, v4
	v_mov_b32_e32 v3, 0
	s_and_b32 s44, s11, 0xff
	s_delay_alu instid0(VALU_DEP_2) | instskip(NEXT) | instid1(VALU_DEP_2)
	v_cmp_ne_u16_e32 vcc_lo, v4, v1
	v_add_nc_u64_e32 v[2:3], s[4:5], v[2:3]
	s_xor_b32 s43, s10, vcc_lo
	s_cmp_lt_i32 s44, 11
	s_cbranch_scc1 .LBB380_663
; %bb.656:
	s_and_b32 s45, 0xffff, s44
	s_delay_alu instid0(SALU_CYCLE_1)
	s_cmp_gt_i32 s45, 25
	s_cbranch_scc0 .LBB380_664
; %bb.657:
	s_cmp_gt_i32 s45, 28
	s_cbranch_scc0 .LBB380_665
; %bb.658:
	;; [unrolled: 3-line block ×4, first 2 shown]
	s_mov_b32 s48, 0
	s_mov_b32 s0, -1
	s_cmp_eq_u32 s45, 46
	s_mov_b32 s47, 0
	s_cbranch_scc0 .LBB380_668
; %bb.661:
	v_cndmask_b32_e64 v1, 0, 1.0, s43
	s_mov_b32 s47, -1
	s_mov_b32 s0, 0
	s_delay_alu instid0(VALU_DEP_1) | instskip(NEXT) | instid1(VALU_DEP_1)
	v_bfe_u32 v4, v1, 16, 1
	v_add3_u32 v1, v1, v4, 0x7fff
	s_delay_alu instid0(VALU_DEP_1)
	v_lshrrev_b32_e32 v1, 16, v1
	global_store_b32 v[2:3], v1, off
	s_branch .LBB380_668
.LBB380_662:
	s_mov_b32 s47, 0
	s_mov_b32 s0, s39
	s_branch .LBB380_779
.LBB380_663:
	s_mov_b32 s45, -1
	s_mov_b32 s47, 0
	s_mov_b32 s0, s39
	s_branch .LBB380_737
.LBB380_664:
	s_mov_b32 s48, -1
	s_mov_b32 s47, 0
	s_mov_b32 s0, s39
	s_branch .LBB380_695
.LBB380_665:
	s_mov_b32 s48, -1
	s_mov_b32 s47, 0
	s_mov_b32 s0, s39
	s_branch .LBB380_678
.LBB380_666:
	s_mov_b32 s48, -1
	s_mov_b32 s47, 0
	s_mov_b32 s0, s39
	s_branch .LBB380_674
.LBB380_667:
	s_mov_b32 s48, -1
	s_mov_b32 s47, 0
	s_mov_b32 s0, s39
.LBB380_668:
	s_and_b32 vcc_lo, exec_lo, s48
	s_cbranch_vccz .LBB380_673
; %bb.669:
	s_cmp_eq_u32 s45, 44
	s_mov_b32 s0, -1
	s_cbranch_scc0 .LBB380_673
; %bb.670:
	v_cndmask_b32_e64 v5, 0, 1.0, s43
	s_mov_b32 s47, exec_lo
	s_wait_xcnt 0x0
	s_delay_alu instid0(VALU_DEP_1) | instskip(NEXT) | instid1(VALU_DEP_1)
	v_dual_mov_b32 v4, 0xff :: v_dual_lshrrev_b32 v1, 23, v5
	v_cmpx_ne_u32_e32 0xff, v1
; %bb.671:
	v_and_b32_e32 v4, 0x400000, v5
	v_and_or_b32 v5, 0x3fffff, v5, v1
	s_delay_alu instid0(VALU_DEP_2) | instskip(NEXT) | instid1(VALU_DEP_2)
	v_cmp_ne_u32_e32 vcc_lo, 0, v4
	v_cmp_ne_u32_e64 s0, 0, v5
	s_and_b32 s0, vcc_lo, s0
	s_delay_alu instid0(SALU_CYCLE_1) | instskip(NEXT) | instid1(VALU_DEP_1)
	v_cndmask_b32_e64 v4, 0, 1, s0
	v_add_nc_u32_e32 v4, v1, v4
; %bb.672:
	s_or_b32 exec_lo, exec_lo, s47
	s_mov_b32 s47, -1
	s_mov_b32 s0, 0
	global_store_b8 v[2:3], v4, off
.LBB380_673:
	s_mov_b32 s48, 0
.LBB380_674:
	s_delay_alu instid0(SALU_CYCLE_1)
	s_and_b32 vcc_lo, exec_lo, s48
	s_cbranch_vccz .LBB380_677
; %bb.675:
	s_cmp_eq_u32 s45, 29
	s_mov_b32 s0, -1
	s_cbranch_scc0 .LBB380_677
; %bb.676:
	s_mov_b32 s0, 0
	s_wait_xcnt 0x0
	v_cndmask_b32_e64 v4, 0, 1, s43
	v_mov_b32_e32 v5, s0
	s_mov_b32 s47, -1
	s_mov_b32 s48, 0
	global_store_b64 v[2:3], v[4:5], off
	s_branch .LBB380_678
.LBB380_677:
	s_mov_b32 s48, 0
.LBB380_678:
	s_delay_alu instid0(SALU_CYCLE_1)
	s_and_b32 vcc_lo, exec_lo, s48
	s_cbranch_vccz .LBB380_694
; %bb.679:
	s_cmp_lt_i32 s45, 27
	s_mov_b32 s47, -1
	s_cbranch_scc1 .LBB380_685
; %bb.680:
	s_cmp_gt_i32 s45, 27
	s_cbranch_scc0 .LBB380_682
; %bb.681:
	s_wait_xcnt 0x0
	v_cndmask_b32_e64 v1, 0, 1, s43
	s_mov_b32 s47, 0
	global_store_b32 v[2:3], v1, off
.LBB380_682:
	s_and_not1_b32 vcc_lo, exec_lo, s47
	s_cbranch_vccnz .LBB380_684
; %bb.683:
	s_wait_xcnt 0x0
	v_cndmask_b32_e64 v1, 0, 1, s43
	global_store_b16 v[2:3], v1, off
.LBB380_684:
	s_mov_b32 s47, 0
.LBB380_685:
	s_delay_alu instid0(SALU_CYCLE_1)
	s_and_not1_b32 vcc_lo, exec_lo, s47
	s_cbranch_vccnz .LBB380_693
; %bb.686:
	s_wait_xcnt 0x0
	v_cndmask_b32_e64 v4, 0, 1.0, s43
	v_mov_b32_e32 v5, 0x80
	s_mov_b32 s47, exec_lo
	s_delay_alu instid0(VALU_DEP_2)
	v_cmpx_gt_u32_e32 0x43800000, v4
	s_cbranch_execz .LBB380_692
; %bb.687:
	s_mov_b32 s48, 0
	s_mov_b32 s49, exec_lo
                                        ; implicit-def: $vgpr1
	v_cmpx_lt_u32_e32 0x3bffffff, v4
	s_xor_b32 s49, exec_lo, s49
	s_cbranch_execz .LBB380_807
; %bb.688:
	v_bfe_u32 v1, v4, 20, 1
	s_mov_b32 s48, exec_lo
	s_delay_alu instid0(VALU_DEP_1) | instskip(NEXT) | instid1(VALU_DEP_1)
	v_add3_u32 v1, v4, v1, 0x487ffff
                                        ; implicit-def: $vgpr4
	v_lshrrev_b32_e32 v1, 20, v1
	s_and_not1_saveexec_b32 s49, s49
	s_cbranch_execnz .LBB380_808
.LBB380_689:
	s_or_b32 exec_lo, exec_lo, s49
	v_mov_b32_e32 v5, 0
	s_and_saveexec_b32 s49, s48
.LBB380_690:
	v_mov_b32_e32 v5, v1
.LBB380_691:
	s_or_b32 exec_lo, exec_lo, s49
.LBB380_692:
	s_delay_alu instid0(SALU_CYCLE_1)
	s_or_b32 exec_lo, exec_lo, s47
	global_store_b8 v[2:3], v5, off
.LBB380_693:
	s_mov_b32 s47, -1
.LBB380_694:
	s_mov_b32 s48, 0
.LBB380_695:
	s_delay_alu instid0(SALU_CYCLE_1)
	s_and_b32 vcc_lo, exec_lo, s48
	s_cbranch_vccz .LBB380_736
; %bb.696:
	s_cmp_gt_i32 s45, 22
	s_mov_b32 s48, -1
	s_cbranch_scc0 .LBB380_728
; %bb.697:
	s_cmp_lt_i32 s45, 24
	s_mov_b32 s47, -1
	s_cbranch_scc1 .LBB380_717
; %bb.698:
	s_cmp_gt_i32 s45, 24
	s_cbranch_scc0 .LBB380_706
; %bb.699:
	s_wait_xcnt 0x0
	v_cndmask_b32_e64 v4, 0, 1.0, s43
	v_mov_b32_e32 v5, 0x80
	s_mov_b32 s47, exec_lo
	s_delay_alu instid0(VALU_DEP_2)
	v_cmpx_gt_u32_e32 0x47800000, v4
	s_cbranch_execz .LBB380_705
; %bb.700:
	s_mov_b32 s48, 0
	s_mov_b32 s49, exec_lo
                                        ; implicit-def: $vgpr1
	v_cmpx_lt_u32_e32 0x37ffffff, v4
	s_xor_b32 s49, exec_lo, s49
	s_cbranch_execz .LBB380_935
; %bb.701:
	v_bfe_u32 v1, v4, 21, 1
	s_mov_b32 s48, exec_lo
	s_delay_alu instid0(VALU_DEP_1) | instskip(NEXT) | instid1(VALU_DEP_1)
	v_add3_u32 v1, v4, v1, 0x88fffff
                                        ; implicit-def: $vgpr4
	v_lshrrev_b32_e32 v1, 21, v1
	s_and_not1_saveexec_b32 s49, s49
	s_cbranch_execnz .LBB380_936
.LBB380_702:
	s_or_b32 exec_lo, exec_lo, s49
	v_mov_b32_e32 v5, 0
	s_and_saveexec_b32 s49, s48
.LBB380_703:
	v_mov_b32_e32 v5, v1
.LBB380_704:
	s_or_b32 exec_lo, exec_lo, s49
.LBB380_705:
	s_delay_alu instid0(SALU_CYCLE_1)
	s_or_b32 exec_lo, exec_lo, s47
	s_mov_b32 s47, 0
	global_store_b8 v[2:3], v5, off
.LBB380_706:
	s_and_b32 vcc_lo, exec_lo, s47
	s_cbranch_vccz .LBB380_716
; %bb.707:
	s_wait_xcnt 0x0
	v_cndmask_b32_e64 v4, 0, 1.0, s43
	s_mov_b32 s47, exec_lo
                                        ; implicit-def: $vgpr1
	s_delay_alu instid0(VALU_DEP_1)
	v_cmpx_gt_u32_e32 0x43f00000, v4
	s_xor_b32 s47, exec_lo, s47
	s_cbranch_execz .LBB380_713
; %bb.708:
	s_mov_b32 s48, exec_lo
                                        ; implicit-def: $vgpr1
	v_cmpx_lt_u32_e32 0x3c7fffff, v4
	s_xor_b32 s48, exec_lo, s48
; %bb.709:
	v_bfe_u32 v1, v4, 20, 1
	s_delay_alu instid0(VALU_DEP_1) | instskip(NEXT) | instid1(VALU_DEP_1)
	v_add3_u32 v1, v4, v1, 0x407ffff
	v_and_b32_e32 v4, 0xff00000, v1
	v_lshrrev_b32_e32 v1, 20, v1
	s_delay_alu instid0(VALU_DEP_2) | instskip(NEXT) | instid1(VALU_DEP_2)
	v_cmp_ne_u32_e32 vcc_lo, 0x7f00000, v4
                                        ; implicit-def: $vgpr4
	v_cndmask_b32_e32 v1, 0x7e, v1, vcc_lo
; %bb.710:
	s_and_not1_saveexec_b32 s48, s48
; %bb.711:
	v_add_f32_e32 v1, 0x46800000, v4
; %bb.712:
	s_or_b32 exec_lo, exec_lo, s48
                                        ; implicit-def: $vgpr4
.LBB380_713:
	s_and_not1_saveexec_b32 s47, s47
; %bb.714:
	v_mov_b32_e32 v1, 0x7f
	v_cmp_lt_u32_e32 vcc_lo, 0x7f800000, v4
	s_delay_alu instid0(VALU_DEP_2)
	v_cndmask_b32_e32 v1, 0x7e, v1, vcc_lo
; %bb.715:
	s_or_b32 exec_lo, exec_lo, s47
	global_store_b8 v[2:3], v1, off
.LBB380_716:
	s_mov_b32 s47, 0
.LBB380_717:
	s_delay_alu instid0(SALU_CYCLE_1)
	s_and_not1_b32 vcc_lo, exec_lo, s47
	s_cbranch_vccnz .LBB380_727
; %bb.718:
	s_wait_xcnt 0x0
	v_cndmask_b32_e64 v4, 0, 1.0, s43
	s_mov_b32 s47, exec_lo
                                        ; implicit-def: $vgpr1
	s_delay_alu instid0(VALU_DEP_1)
	v_cmpx_gt_u32_e32 0x47800000, v4
	s_xor_b32 s47, exec_lo, s47
	s_cbranch_execz .LBB380_724
; %bb.719:
	s_mov_b32 s48, exec_lo
                                        ; implicit-def: $vgpr1
	v_cmpx_lt_u32_e32 0x387fffff, v4
	s_xor_b32 s48, exec_lo, s48
; %bb.720:
	v_bfe_u32 v1, v4, 21, 1
	s_delay_alu instid0(VALU_DEP_1) | instskip(NEXT) | instid1(VALU_DEP_1)
	v_add3_u32 v1, v4, v1, 0x80fffff
                                        ; implicit-def: $vgpr4
	v_lshrrev_b32_e32 v1, 21, v1
; %bb.721:
	s_and_not1_saveexec_b32 s48, s48
; %bb.722:
	v_add_f32_e32 v1, 0x43000000, v4
; %bb.723:
	s_or_b32 exec_lo, exec_lo, s48
                                        ; implicit-def: $vgpr4
.LBB380_724:
	s_and_not1_saveexec_b32 s47, s47
; %bb.725:
	v_mov_b32_e32 v1, 0x7f
	v_cmp_lt_u32_e32 vcc_lo, 0x7f800000, v4
	s_delay_alu instid0(VALU_DEP_2)
	v_cndmask_b32_e32 v1, 0x7c, v1, vcc_lo
; %bb.726:
	s_or_b32 exec_lo, exec_lo, s47
	global_store_b8 v[2:3], v1, off
.LBB380_727:
	s_mov_b32 s48, 0
	s_mov_b32 s47, -1
.LBB380_728:
	s_and_not1_b32 vcc_lo, exec_lo, s48
	s_cbranch_vccnz .LBB380_736
; %bb.729:
	s_cmp_gt_i32 s45, 14
	s_mov_b32 s48, -1
	s_cbranch_scc0 .LBB380_733
; %bb.730:
	s_cmp_eq_u32 s45, 15
	s_mov_b32 s0, -1
	s_cbranch_scc0 .LBB380_732
; %bb.731:
	s_wait_xcnt 0x0
	v_cndmask_b32_e64 v1, 0, 1.0, s43
	s_mov_b32 s47, -1
	s_mov_b32 s0, 0
	s_delay_alu instid0(VALU_DEP_1) | instskip(NEXT) | instid1(VALU_DEP_1)
	v_bfe_u32 v4, v1, 16, 1
	v_add3_u32 v1, v1, v4, 0x7fff
	global_store_d16_hi_b16 v[2:3], v1, off
.LBB380_732:
	s_mov_b32 s48, 0
.LBB380_733:
	s_delay_alu instid0(SALU_CYCLE_1)
	s_and_b32 vcc_lo, exec_lo, s48
	s_cbranch_vccz .LBB380_736
; %bb.734:
	s_cmp_eq_u32 s45, 11
	s_mov_b32 s0, -1
	s_cbranch_scc0 .LBB380_736
; %bb.735:
	s_wait_xcnt 0x0
	v_cndmask_b32_e64 v1, 0, 1, s43
	s_mov_b32 s47, -1
	s_mov_b32 s0, 0
	global_store_b8 v[2:3], v1, off
.LBB380_736:
	s_mov_b32 s45, 0
.LBB380_737:
	s_delay_alu instid0(SALU_CYCLE_1)
	s_and_b32 vcc_lo, exec_lo, s45
	s_cbranch_vccz .LBB380_776
; %bb.738:
	s_and_b32 s44, 0xffff, s44
	s_mov_b32 s45, -1
	s_cmp_lt_i32 s44, 5
	s_cbranch_scc1 .LBB380_759
; %bb.739:
	s_cmp_lt_i32 s44, 8
	s_cbranch_scc1 .LBB380_749
; %bb.740:
	;; [unrolled: 3-line block ×3, first 2 shown]
	s_cmp_gt_i32 s44, 9
	s_cbranch_scc0 .LBB380_743
; %bb.742:
	s_wait_xcnt 0x0
	v_cndmask_b32_e64 v1, 0, 1, s43
	v_mov_b32_e32 v6, 0
	s_mov_b32 s45, 0
	s_delay_alu instid0(VALU_DEP_2) | instskip(NEXT) | instid1(VALU_DEP_2)
	v_cvt_f64_u32_e32 v[4:5], v1
	v_mov_b32_e32 v7, v6
	global_store_b128 v[2:3], v[4:7], off
.LBB380_743:
	s_and_not1_b32 vcc_lo, exec_lo, s45
	s_cbranch_vccnz .LBB380_745
; %bb.744:
	s_wait_xcnt 0x0
	v_cndmask_b32_e64 v4, 0, 1.0, s43
	v_mov_b32_e32 v5, 0
	global_store_b64 v[2:3], v[4:5], off
.LBB380_745:
	s_mov_b32 s45, 0
.LBB380_746:
	s_delay_alu instid0(SALU_CYCLE_1)
	s_and_not1_b32 vcc_lo, exec_lo, s45
	s_cbranch_vccnz .LBB380_748
; %bb.747:
	s_wait_xcnt 0x0
	v_cndmask_b32_e64 v1, 0, 1.0, s43
	s_delay_alu instid0(VALU_DEP_1) | instskip(NEXT) | instid1(VALU_DEP_1)
	v_cvt_f16_f32_e32 v1, v1
	v_and_b32_e32 v1, 0xffff, v1
	global_store_b32 v[2:3], v1, off
.LBB380_748:
	s_mov_b32 s45, 0
.LBB380_749:
	s_delay_alu instid0(SALU_CYCLE_1)
	s_and_not1_b32 vcc_lo, exec_lo, s45
	s_cbranch_vccnz .LBB380_758
; %bb.750:
	s_cmp_lt_i32 s44, 6
	s_mov_b32 s45, -1
	s_cbranch_scc1 .LBB380_756
; %bb.751:
	s_cmp_gt_i32 s44, 6
	s_cbranch_scc0 .LBB380_753
; %bb.752:
	s_wait_xcnt 0x0
	v_cndmask_b32_e64 v1, 0, 1, s43
	s_mov_b32 s45, 0
	s_delay_alu instid0(VALU_DEP_1)
	v_cvt_f64_u32_e32 v[4:5], v1
	global_store_b64 v[2:3], v[4:5], off
.LBB380_753:
	s_and_not1_b32 vcc_lo, exec_lo, s45
	s_cbranch_vccnz .LBB380_755
; %bb.754:
	s_wait_xcnt 0x0
	v_cndmask_b32_e64 v1, 0, 1.0, s43
	global_store_b32 v[2:3], v1, off
.LBB380_755:
	s_mov_b32 s45, 0
.LBB380_756:
	s_delay_alu instid0(SALU_CYCLE_1)
	s_and_not1_b32 vcc_lo, exec_lo, s45
	s_cbranch_vccnz .LBB380_758
; %bb.757:
	s_wait_xcnt 0x0
	v_cndmask_b32_e64 v1, 0, 1.0, s43
	s_delay_alu instid0(VALU_DEP_1)
	v_cvt_f16_f32_e32 v1, v1
	global_store_b16 v[2:3], v1, off
.LBB380_758:
	s_mov_b32 s45, 0
.LBB380_759:
	s_delay_alu instid0(SALU_CYCLE_1)
	s_and_not1_b32 vcc_lo, exec_lo, s45
	s_cbranch_vccnz .LBB380_775
; %bb.760:
	s_cmp_lt_i32 s44, 2
	s_mov_b32 s45, -1
	s_cbranch_scc1 .LBB380_770
; %bb.761:
	s_cmp_lt_i32 s44, 3
	s_cbranch_scc1 .LBB380_767
; %bb.762:
	s_cmp_gt_i32 s44, 3
	s_cbranch_scc0 .LBB380_764
; %bb.763:
	s_mov_b32 s45, 0
	s_wait_xcnt 0x0
	v_cndmask_b32_e64 v4, 0, 1, s43
	v_mov_b32_e32 v5, s45
	global_store_b64 v[2:3], v[4:5], off
.LBB380_764:
	s_and_not1_b32 vcc_lo, exec_lo, s45
	s_cbranch_vccnz .LBB380_766
; %bb.765:
	s_wait_xcnt 0x0
	v_cndmask_b32_e64 v1, 0, 1, s43
	global_store_b32 v[2:3], v1, off
.LBB380_766:
	s_mov_b32 s45, 0
.LBB380_767:
	s_delay_alu instid0(SALU_CYCLE_1)
	s_and_not1_b32 vcc_lo, exec_lo, s45
	s_cbranch_vccnz .LBB380_769
; %bb.768:
	s_wait_xcnt 0x0
	v_cndmask_b32_e64 v1, 0, 1, s43
	global_store_b16 v[2:3], v1, off
.LBB380_769:
	s_mov_b32 s45, 0
.LBB380_770:
	s_delay_alu instid0(SALU_CYCLE_1)
	s_and_not1_b32 vcc_lo, exec_lo, s45
	s_cbranch_vccnz .LBB380_775
; %bb.771:
	s_wait_xcnt 0x0
	v_cndmask_b32_e64 v1, 0, 1, s43
	s_cmp_gt_i32 s44, 0
	s_mov_b32 s43, -1
	s_cbranch_scc0 .LBB380_773
; %bb.772:
	s_mov_b32 s43, 0
	global_store_b8 v[2:3], v1, off
.LBB380_773:
	s_and_not1_b32 vcc_lo, exec_lo, s43
	s_cbranch_vccnz .LBB380_775
; %bb.774:
	global_store_b8 v[2:3], v1, off
.LBB380_775:
	s_mov_b32 s47, -1
.LBB380_776:
	s_delay_alu instid0(SALU_CYCLE_1)
	s_and_not1_b32 vcc_lo, exec_lo, s47
	s_cbranch_vccnz .LBB380_778
; %bb.777:
	v_add_nc_u32_e32 v0, 0x80, v0
	s_mov_b32 s47, -1
	s_branch .LBB380_780
.LBB380_778:
	s_mov_b32 s47, 0
.LBB380_779:
                                        ; implicit-def: $vgpr0
.LBB380_780:
	s_and_not1_b32 s43, s39, exec_lo
	s_and_b32 s0, s0, exec_lo
	s_and_b32 s27, s27, exec_lo
	s_or_b32 s44, s43, s0
	s_and_not1_b32 s0, s40, exec_lo
	s_and_not1_b32 s43, s41, exec_lo
	s_and_b32 s26, s26, exec_lo
	s_or_b32 s45, s0, s27
	s_or_b32 s43, s43, s26
	s_or_not1_b32 s48, s47, exec_lo
.LBB380_781:
	s_wait_xcnt 0x0
	s_or_b32 exec_lo, exec_lo, s46
	s_mov_b32 s27, 0
	s_mov_b32 s47, 0
	;; [unrolled: 1-line block ×3, first 2 shown]
                                        ; implicit-def: $sgpr0
                                        ; implicit-def: $vgpr8_vgpr9
                                        ; implicit-def: $vgpr6
                                        ; implicit-def: $vgpr2
                                        ; implicit-def: $vgpr4
	s_and_saveexec_b32 s46, s48
	s_cbranch_execz .LBB380_1268
; %bb.782:
	s_mov_b32 s52, -1
	s_mov_b32 s48, s43
	s_mov_b32 s50, s45
	;; [unrolled: 1-line block ×3, first 2 shown]
	s_mov_b32 s47, exec_lo
	v_cmpx_gt_i32_e64 s37, v0
	s_cbranch_execz .LBB380_1176
; %bb.783:
	s_and_not1_b32 vcc_lo, exec_lo, s31
	s_cbranch_vccnz .LBB380_789
; %bb.784:
	s_and_not1_b32 vcc_lo, exec_lo, s38
	s_cbranch_vccnz .LBB380_790
; %bb.785:
	v_dual_mov_b32 v2, 0 :: v_dual_mov_b32 v1, v0
	s_wait_loadcnt 0x0
	v_dual_mov_b32 v4, 0 :: v_dual_mov_b32 v6, 0
	s_add_co_i32 s0, s36, 1
	s_mov_b64 s[26:27], 0xffffffffffffffe8
	s_and_b32 s0, s0, 30
	s_add_nc_u64 s[26:27], s[2:3], s[26:27]
.LBB380_786:                            ; =>This Inner Loop Header: Depth=1
	s_clause 0x1
	s_load_b128 s[48:51], s[26:27], 0x1c
	s_load_b64 s[56:57], s[26:27], 0x2c
	s_add_co_i32 s0, s0, -2
	s_delay_alu instid0(SALU_CYCLE_1) | instskip(SKIP_2) | instid1(VALU_DEP_1)
	s_cmp_eq_u32 s0, 0
	s_wait_kmcnt 0x0
	v_mul_hi_u32 v3, s49, v1
	v_add_nc_u32_e32 v3, v1, v3
	s_delay_alu instid0(VALU_DEP_1) | instskip(NEXT) | instid1(VALU_DEP_1)
	v_lshrrev_b32_e32 v3, s50, v3
	v_mul_hi_u32 v5, s56, v3
	v_mul_lo_u32 v7, v3, s48
	s_clause 0x1
	s_load_b128 s[52:55], s[26:27], 0xdc
	s_load_b64 s[48:49], s[26:27], 0xec
	s_wait_xcnt 0x0
	s_add_nc_u64 s[26:27], s[26:27], 24
	s_delay_alu instid0(VALU_DEP_1) | instskip(NEXT) | instid1(VALU_DEP_1)
	v_dual_add_nc_u32 v5, v3, v5 :: v_dual_sub_nc_u32 v7, v1, v7
	v_lshrrev_b32_e32 v1, s57, v5
	s_wait_kmcnt 0x0
	s_delay_alu instid0(VALU_DEP_2) | instskip(NEXT) | instid1(VALU_DEP_2)
	v_mad_u32 v2, v7, s52, v2
	v_mul_lo_u32 v5, v1, s51
	v_mad_u32 v6, v7, s54, v6
	v_mad_u32 v4, v7, s53, v4
	s_delay_alu instid0(VALU_DEP_3) | instskip(NEXT) | instid1(VALU_DEP_1)
	v_sub_nc_u32_e32 v3, v3, v5
	v_mad_u32 v2, v3, s55, v2
	s_delay_alu instid0(VALU_DEP_4) | instskip(NEXT) | instid1(VALU_DEP_4)
	v_mad_u32 v6, v3, s49, v6
	v_mad_u32 v4, v3, s48, v4
	s_cbranch_scc0 .LBB380_786
; %bb.787:
	s_bitcmp1_b32 s36, 0
	s_cselect_b32 s0, -1, 0
	s_delay_alu instid0(SALU_CYCLE_1)
	s_and_b32 vcc_lo, exec_lo, s0
	s_cbranch_vccnz .LBB380_791
; %bb.788:
	s_clause 0x1
	s_load_b96 s[48:50], s[26:27], 0x1c
	s_load_b96 s[52:54], s[26:27], 0xdc
	s_wait_kmcnt 0x0
	v_mul_hi_u32 v3, s49, v1
	s_delay_alu instid0(VALU_DEP_1) | instskip(NEXT) | instid1(VALU_DEP_1)
	v_add_nc_u32_e32 v3, v1, v3
	v_lshrrev_b32_e32 v3, s50, v3
	s_delay_alu instid0(VALU_DEP_1) | instskip(NEXT) | instid1(VALU_DEP_1)
	v_mul_lo_u32 v3, v3, s48
	v_sub_nc_u32_e32 v1, v1, v3
	s_delay_alu instid0(VALU_DEP_1)
	v_mad_u32 v2, v1, s52, v2
	v_mad_u32 v4, v1, s53, v4
	;; [unrolled: 1-line block ×3, first 2 shown]
	s_branch .LBB380_791
.LBB380_789:
	s_mov_b32 s0, -1
                                        ; implicit-def: $vgpr6
                                        ; implicit-def: $vgpr4
                                        ; implicit-def: $vgpr2
	s_branch .LBB380_792
.LBB380_790:
	s_wait_loadcnt 0x0
	v_dual_mov_b32 v6, 0 :: v_dual_mov_b32 v4, 0
	v_mov_b32_e32 v2, 0
.LBB380_791:
	s_mov_b32 s0, 0
.LBB380_792:
	s_delay_alu instid0(SALU_CYCLE_1)
	s_and_not1_b32 vcc_lo, exec_lo, s0
	s_cbranch_vccnz .LBB380_795
; %bb.793:
	v_mov_b32_e32 v1, 0
	s_and_not1_b32 vcc_lo, exec_lo, s35
	s_delay_alu instid0(VALU_DEP_1) | instskip(NEXT) | instid1(VALU_DEP_1)
	v_mul_u64_e32 v[2:3], s[20:21], v[0:1]
	v_add_nc_u32_e32 v2, v0, v3
	s_wait_loadcnt 0x0
	s_delay_alu instid0(VALU_DEP_1) | instskip(NEXT) | instid1(VALU_DEP_1)
	v_lshrrev_b32_e32 v8, s14, v2
	v_mul_lo_u32 v2, v8, s12
	s_delay_alu instid0(VALU_DEP_1) | instskip(NEXT) | instid1(VALU_DEP_1)
	v_sub_nc_u32_e32 v3, v0, v2
	v_mul_lo_u32 v2, v3, s16
	v_mul_lo_u32 v6, v3, s18
	;; [unrolled: 1-line block ×3, first 2 shown]
	s_cbranch_vccnz .LBB380_795
; %bb.794:
	v_mov_b32_e32 v9, v1
	s_delay_alu instid0(VALU_DEP_1) | instskip(NEXT) | instid1(VALU_DEP_1)
	v_mul_u64_e32 v[10:11], s[24:25], v[8:9]
	v_add_nc_u32_e32 v1, v8, v11
	s_delay_alu instid0(VALU_DEP_1) | instskip(NEXT) | instid1(VALU_DEP_1)
	v_lshrrev_b32_e32 v1, s1, v1
	v_mul_lo_u32 v1, v1, s15
	s_delay_alu instid0(VALU_DEP_1) | instskip(NEXT) | instid1(VALU_DEP_1)
	v_sub_nc_u32_e32 v1, v8, v1
	v_mad_u32 v2, v1, s19, v2
	v_mad_u32 v4, v1, s22, v4
	;; [unrolled: 1-line block ×3, first 2 shown]
.LBB380_795:
	s_wait_loadcnt 0x0
	v_mov_b32_e32 v5, 0
	s_and_b32 s0, s34, 0xff
	s_delay_alu instid0(SALU_CYCLE_1) | instskip(NEXT) | instid1(VALU_DEP_1)
	s_cmp_lt_i32 s0, 11
	v_add_nc_u64_e32 v[8:9], s[6:7], v[4:5]
	s_cbranch_scc1 .LBB380_802
; %bb.796:
	s_and_b32 s27, 0xffff, s0
	s_delay_alu instid0(SALU_CYCLE_1)
	s_cmp_gt_i32 s27, 25
	s_cbranch_scc0 .LBB380_803
; %bb.797:
	s_cmp_gt_i32 s27, 28
	s_cbranch_scc0 .LBB380_804
; %bb.798:
	;; [unrolled: 3-line block ×4, first 2 shown]
	s_cmp_eq_u32 s27, 46
	s_mov_b32 s49, 0
	s_cbranch_scc0 .LBB380_809
; %bb.801:
	global_load_b32 v1, v[8:9], off
	s_mov_b32 s48, -1
	s_mov_b32 s26, 0
	s_wait_loadcnt 0x0
	v_lshlrev_b32_e32 v1, 16, v1
	s_delay_alu instid0(VALU_DEP_1)
	v_cvt_i32_f32_e32 v4, v1
	s_branch .LBB380_811
.LBB380_802:
	s_mov_b32 s27, -1
	s_mov_b32 s48, 0
	s_mov_b32 s26, s43
                                        ; implicit-def: $vgpr4
	s_branch .LBB380_872
.LBB380_803:
	s_mov_b32 s49, -1
	s_mov_b32 s48, 0
	s_mov_b32 s26, s43
                                        ; implicit-def: $vgpr4
	s_branch .LBB380_838
.LBB380_804:
	s_mov_b32 s49, -1
	s_mov_b32 s48, 0
	s_mov_b32 s26, s43
                                        ; implicit-def: $vgpr4
	s_branch .LBB380_821
.LBB380_805:
	s_mov_b32 s49, -1
	s_mov_b32 s48, 0
	s_mov_b32 s26, s43
                                        ; implicit-def: $vgpr4
	s_branch .LBB380_816
.LBB380_806:
	s_mov_b32 s49, -1
	s_mov_b32 s48, 0
	s_mov_b32 s26, s43
	s_branch .LBB380_810
.LBB380_807:
	s_and_not1_saveexec_b32 s49, s49
	s_cbranch_execz .LBB380_689
.LBB380_808:
	v_add_f32_e32 v1, 0x46000000, v4
	s_and_not1_b32 s48, s48, exec_lo
	s_delay_alu instid0(VALU_DEP_1) | instskip(NEXT) | instid1(VALU_DEP_1)
	v_and_b32_e32 v1, 0xff, v1
	v_cmp_ne_u32_e32 vcc_lo, 0, v1
	s_and_b32 s50, vcc_lo, exec_lo
	s_delay_alu instid0(SALU_CYCLE_1)
	s_or_b32 s48, s48, s50
	s_or_b32 exec_lo, exec_lo, s49
	v_mov_b32_e32 v5, 0
	s_and_saveexec_b32 s49, s48
	s_cbranch_execnz .LBB380_690
	s_branch .LBB380_691
.LBB380_809:
	s_mov_b32 s26, -1
	s_mov_b32 s48, 0
.LBB380_810:
                                        ; implicit-def: $vgpr4
.LBB380_811:
	s_and_b32 vcc_lo, exec_lo, s49
	s_cbranch_vccz .LBB380_815
; %bb.812:
	s_cmp_eq_u32 s27, 44
	s_cbranch_scc0 .LBB380_814
; %bb.813:
	global_load_u8 v1, v[8:9], off
	s_mov_b32 s26, 0
	s_mov_b32 s48, -1
	s_wait_loadcnt 0x0
	v_lshlrev_b32_e32 v3, 23, v1
	v_cmp_ne_u32_e32 vcc_lo, 0, v1
	s_delay_alu instid0(VALU_DEP_2) | instskip(NEXT) | instid1(VALU_DEP_1)
	v_cvt_i32_f32_e32 v3, v3
	v_cndmask_b32_e32 v4, 0, v3, vcc_lo
	s_branch .LBB380_815
.LBB380_814:
	s_mov_b32 s26, -1
                                        ; implicit-def: $vgpr4
.LBB380_815:
	s_mov_b32 s49, 0
.LBB380_816:
	s_delay_alu instid0(SALU_CYCLE_1)
	s_and_b32 vcc_lo, exec_lo, s49
	s_cbranch_vccz .LBB380_820
; %bb.817:
	s_cmp_eq_u32 s27, 29
	s_cbranch_scc0 .LBB380_819
; %bb.818:
	global_load_b64 v[4:5], v[8:9], off
	s_mov_b32 s48, -1
	s_mov_b32 s26, 0
	s_branch .LBB380_820
.LBB380_819:
	s_mov_b32 s26, -1
                                        ; implicit-def: $vgpr4
.LBB380_820:
	s_mov_b32 s49, 0
.LBB380_821:
	s_delay_alu instid0(SALU_CYCLE_1)
	s_and_b32 vcc_lo, exec_lo, s49
	s_cbranch_vccz .LBB380_837
; %bb.822:
	s_cmp_lt_i32 s27, 27
	s_cbranch_scc1 .LBB380_825
; %bb.823:
	s_cmp_gt_i32 s27, 27
	s_cbranch_scc0 .LBB380_826
; %bb.824:
	s_wait_loadcnt 0x0
	global_load_b32 v4, v[8:9], off
	s_mov_b32 s48, 0
	s_branch .LBB380_827
.LBB380_825:
	s_mov_b32 s48, -1
                                        ; implicit-def: $vgpr4
	s_branch .LBB380_830
.LBB380_826:
	s_mov_b32 s48, -1
                                        ; implicit-def: $vgpr4
.LBB380_827:
	s_delay_alu instid0(SALU_CYCLE_1)
	s_and_not1_b32 vcc_lo, exec_lo, s48
	s_cbranch_vccnz .LBB380_829
; %bb.828:
	s_wait_loadcnt 0x0
	global_load_u16 v4, v[8:9], off
.LBB380_829:
	s_mov_b32 s48, 0
.LBB380_830:
	s_delay_alu instid0(SALU_CYCLE_1)
	s_and_not1_b32 vcc_lo, exec_lo, s48
	s_cbranch_vccnz .LBB380_836
; %bb.831:
	global_load_u8 v1, v[8:9], off
	s_mov_b32 s49, 0
	s_mov_b32 s48, exec_lo
	s_wait_loadcnt 0x0
	v_cmpx_lt_i16_e32 0x7f, v1
	s_xor_b32 s48, exec_lo, s48
	s_cbranch_execz .LBB380_848
; %bb.832:
	v_cmp_ne_u16_e32 vcc_lo, 0x80, v1
	s_and_b32 s49, vcc_lo, exec_lo
	s_and_not1_saveexec_b32 s48, s48
	s_cbranch_execnz .LBB380_849
.LBB380_833:
	s_or_b32 exec_lo, exec_lo, s48
	v_mov_b32_e32 v4, 0
	s_and_saveexec_b32 s48, s49
	s_cbranch_execz .LBB380_835
.LBB380_834:
	v_and_b32_e32 v3, 0xffff, v1
	s_delay_alu instid0(VALU_DEP_1) | instskip(SKIP_1) | instid1(VALU_DEP_2)
	v_and_b32_e32 v4, 7, v3
	v_bfe_u32 v10, v3, 3, 4
	v_clz_i32_u32_e32 v5, v4
	s_delay_alu instid0(VALU_DEP_2) | instskip(NEXT) | instid1(VALU_DEP_2)
	v_cmp_eq_u32_e32 vcc_lo, 0, v10
	v_min_u32_e32 v5, 32, v5
	s_delay_alu instid0(VALU_DEP_1) | instskip(NEXT) | instid1(VALU_DEP_1)
	v_subrev_nc_u32_e32 v7, 28, v5
	v_dual_lshlrev_b32 v3, v7, v3 :: v_dual_sub_nc_u32 v5, 29, v5
	s_delay_alu instid0(VALU_DEP_1) | instskip(NEXT) | instid1(VALU_DEP_1)
	v_dual_lshlrev_b32 v1, 24, v1 :: v_dual_bitop2_b32 v3, 7, v3 bitop3:0x40
	v_dual_cndmask_b32 v3, v4, v3, vcc_lo :: v_dual_cndmask_b32 v5, v10, v5, vcc_lo
	s_delay_alu instid0(VALU_DEP_2) | instskip(NEXT) | instid1(VALU_DEP_2)
	v_and_b32_e32 v1, 0x80000000, v1
	v_lshlrev_b32_e32 v3, 20, v3
	s_delay_alu instid0(VALU_DEP_3) | instskip(NEXT) | instid1(VALU_DEP_1)
	v_lshl_add_u32 v4, v5, 23, 0x3b800000
	v_or3_b32 v1, v1, v4, v3
	s_delay_alu instid0(VALU_DEP_1)
	v_cvt_i32_f32_e32 v4, v1
.LBB380_835:
	s_or_b32 exec_lo, exec_lo, s48
.LBB380_836:
	s_mov_b32 s48, -1
.LBB380_837:
	s_mov_b32 s49, 0
.LBB380_838:
	s_delay_alu instid0(SALU_CYCLE_1)
	s_and_b32 vcc_lo, exec_lo, s49
	s_cbranch_vccz .LBB380_871
; %bb.839:
	s_cmp_gt_i32 s27, 22
	s_cbranch_scc0 .LBB380_847
; %bb.840:
	s_cmp_lt_i32 s27, 24
	s_cbranch_scc1 .LBB380_850
; %bb.841:
	s_cmp_gt_i32 s27, 24
	s_cbranch_scc0 .LBB380_851
; %bb.842:
	global_load_u8 v1, v[8:9], off
	s_mov_b32 s49, 0
	s_mov_b32 s48, exec_lo
	s_wait_loadcnt 0x0
	v_cmpx_lt_i16_e32 0x7f, v1
	s_xor_b32 s48, exec_lo, s48
	s_cbranch_execz .LBB380_863
; %bb.843:
	v_cmp_ne_u16_e32 vcc_lo, 0x80, v1
	s_and_b32 s49, vcc_lo, exec_lo
	s_and_not1_saveexec_b32 s48, s48
	s_cbranch_execnz .LBB380_864
.LBB380_844:
	s_or_b32 exec_lo, exec_lo, s48
	v_mov_b32_e32 v4, 0
	s_and_saveexec_b32 s48, s49
	s_cbranch_execz .LBB380_846
.LBB380_845:
	v_and_b32_e32 v3, 0xffff, v1
	s_delay_alu instid0(VALU_DEP_1) | instskip(SKIP_1) | instid1(VALU_DEP_2)
	v_and_b32_e32 v4, 3, v3
	v_bfe_u32 v10, v3, 2, 5
	v_clz_i32_u32_e32 v5, v4
	s_delay_alu instid0(VALU_DEP_2) | instskip(NEXT) | instid1(VALU_DEP_2)
	v_cmp_eq_u32_e32 vcc_lo, 0, v10
	v_min_u32_e32 v5, 32, v5
	s_delay_alu instid0(VALU_DEP_1) | instskip(NEXT) | instid1(VALU_DEP_1)
	v_subrev_nc_u32_e32 v7, 29, v5
	v_dual_lshlrev_b32 v3, v7, v3 :: v_dual_sub_nc_u32 v5, 30, v5
	s_delay_alu instid0(VALU_DEP_1) | instskip(NEXT) | instid1(VALU_DEP_1)
	v_dual_lshlrev_b32 v1, 24, v1 :: v_dual_bitop2_b32 v3, 3, v3 bitop3:0x40
	v_dual_cndmask_b32 v3, v4, v3, vcc_lo :: v_dual_cndmask_b32 v5, v10, v5, vcc_lo
	s_delay_alu instid0(VALU_DEP_2) | instskip(NEXT) | instid1(VALU_DEP_2)
	v_and_b32_e32 v1, 0x80000000, v1
	v_lshlrev_b32_e32 v3, 21, v3
	s_delay_alu instid0(VALU_DEP_3) | instskip(NEXT) | instid1(VALU_DEP_1)
	v_lshl_add_u32 v4, v5, 23, 0x37800000
	v_or3_b32 v1, v1, v4, v3
	s_delay_alu instid0(VALU_DEP_1)
	v_cvt_i32_f32_e32 v4, v1
.LBB380_846:
	s_or_b32 exec_lo, exec_lo, s48
	s_mov_b32 s48, 0
	s_branch .LBB380_852
.LBB380_847:
	s_mov_b32 s49, -1
                                        ; implicit-def: $vgpr4
	s_branch .LBB380_858
.LBB380_848:
	s_and_not1_saveexec_b32 s48, s48
	s_cbranch_execz .LBB380_833
.LBB380_849:
	v_cmp_ne_u16_e32 vcc_lo, 0, v1
	s_and_not1_b32 s49, s49, exec_lo
	s_and_b32 s50, vcc_lo, exec_lo
	s_delay_alu instid0(SALU_CYCLE_1)
	s_or_b32 s49, s49, s50
	s_or_b32 exec_lo, exec_lo, s48
	v_mov_b32_e32 v4, 0
	s_and_saveexec_b32 s48, s49
	s_cbranch_execnz .LBB380_834
	s_branch .LBB380_835
.LBB380_850:
	s_mov_b32 s48, -1
                                        ; implicit-def: $vgpr4
	s_branch .LBB380_855
.LBB380_851:
	s_mov_b32 s48, -1
                                        ; implicit-def: $vgpr4
.LBB380_852:
	s_delay_alu instid0(SALU_CYCLE_1)
	s_and_b32 vcc_lo, exec_lo, s48
	s_cbranch_vccz .LBB380_854
; %bb.853:
	global_load_u8 v1, v[8:9], off
	s_wait_loadcnt 0x0
	v_lshlrev_b32_e32 v1, 24, v1
	s_delay_alu instid0(VALU_DEP_1) | instskip(NEXT) | instid1(VALU_DEP_1)
	v_and_b32_e32 v3, 0x7f000000, v1
	v_clz_i32_u32_e32 v4, v3
	v_add_nc_u32_e32 v7, 0x1000000, v3
	v_cmp_ne_u32_e32 vcc_lo, 0, v3
	s_delay_alu instid0(VALU_DEP_3) | instskip(NEXT) | instid1(VALU_DEP_1)
	v_min_u32_e32 v4, 32, v4
	v_sub_nc_u32_e64 v4, v4, 4 clamp
	s_delay_alu instid0(VALU_DEP_1) | instskip(NEXT) | instid1(VALU_DEP_1)
	v_dual_lshlrev_b32 v5, v4, v3 :: v_dual_lshlrev_b32 v4, 23, v4
	v_lshrrev_b32_e32 v5, 4, v5
	s_delay_alu instid0(VALU_DEP_1) | instskip(NEXT) | instid1(VALU_DEP_1)
	v_dual_sub_nc_u32 v4, v5, v4 :: v_dual_ashrrev_i32 v5, 8, v7
	v_add_nc_u32_e32 v4, 0x3c000000, v4
	s_delay_alu instid0(VALU_DEP_1) | instskip(NEXT) | instid1(VALU_DEP_1)
	v_and_or_b32 v4, 0x7f800000, v5, v4
	v_cndmask_b32_e32 v3, 0, v4, vcc_lo
	s_delay_alu instid0(VALU_DEP_1) | instskip(NEXT) | instid1(VALU_DEP_1)
	v_and_or_b32 v1, 0x80000000, v1, v3
	v_cvt_i32_f32_e32 v4, v1
.LBB380_854:
	s_mov_b32 s48, 0
.LBB380_855:
	s_delay_alu instid0(SALU_CYCLE_1)
	s_and_not1_b32 vcc_lo, exec_lo, s48
	s_cbranch_vccnz .LBB380_857
; %bb.856:
	global_load_u8 v1, v[8:9], off
	s_wait_loadcnt 0x0
	v_lshlrev_b32_e32 v3, 25, v1
	v_lshlrev_b16 v1, 8, v1
	s_delay_alu instid0(VALU_DEP_1) | instskip(NEXT) | instid1(VALU_DEP_3)
	v_and_or_b32 v5, 0x7f00, v1, 0.5
	v_lshrrev_b32_e32 v4, 4, v3
	v_bfe_i32 v1, v1, 0, 16
	s_delay_alu instid0(VALU_DEP_3) | instskip(NEXT) | instid1(VALU_DEP_3)
	v_add_f32_e32 v5, -0.5, v5
	v_or_b32_e32 v4, 0x70000000, v4
	s_delay_alu instid0(VALU_DEP_1) | instskip(SKIP_1) | instid1(VALU_DEP_2)
	v_mul_f32_e32 v4, 0x7800000, v4
	v_cmp_gt_u32_e32 vcc_lo, 0x8000000, v3
	v_cndmask_b32_e32 v3, v4, v5, vcc_lo
	s_delay_alu instid0(VALU_DEP_1) | instskip(NEXT) | instid1(VALU_DEP_1)
	v_and_or_b32 v1, 0x80000000, v1, v3
	v_cvt_i32_f32_e32 v4, v1
.LBB380_857:
	s_mov_b32 s49, 0
	s_mov_b32 s48, -1
.LBB380_858:
	s_and_not1_b32 vcc_lo, exec_lo, s49
	s_cbranch_vccnz .LBB380_871
; %bb.859:
	s_cmp_gt_i32 s27, 14
	s_cbranch_scc0 .LBB380_862
; %bb.860:
	s_cmp_eq_u32 s27, 15
	s_cbranch_scc0 .LBB380_865
; %bb.861:
	global_load_u16 v1, v[8:9], off
	s_mov_b32 s48, -1
	s_mov_b32 s26, 0
	s_wait_loadcnt 0x0
	v_lshlrev_b32_e32 v1, 16, v1
	s_delay_alu instid0(VALU_DEP_1)
	v_cvt_i32_f32_e32 v4, v1
	s_branch .LBB380_866
.LBB380_862:
	s_mov_b32 s49, -1
                                        ; implicit-def: $vgpr4
	s_branch .LBB380_867
.LBB380_863:
	s_and_not1_saveexec_b32 s48, s48
	s_cbranch_execz .LBB380_844
.LBB380_864:
	v_cmp_ne_u16_e32 vcc_lo, 0, v1
	s_and_not1_b32 s49, s49, exec_lo
	s_and_b32 s50, vcc_lo, exec_lo
	s_delay_alu instid0(SALU_CYCLE_1)
	s_or_b32 s49, s49, s50
	s_or_b32 exec_lo, exec_lo, s48
	v_mov_b32_e32 v4, 0
	s_and_saveexec_b32 s48, s49
	s_cbranch_execnz .LBB380_845
	s_branch .LBB380_846
.LBB380_865:
	s_mov_b32 s26, -1
                                        ; implicit-def: $vgpr4
.LBB380_866:
	s_mov_b32 s49, 0
.LBB380_867:
	s_delay_alu instid0(SALU_CYCLE_1)
	s_and_b32 vcc_lo, exec_lo, s49
	s_cbranch_vccz .LBB380_871
; %bb.868:
	s_cmp_eq_u32 s27, 11
	s_cbranch_scc0 .LBB380_870
; %bb.869:
	global_load_u8 v1, v[8:9], off
	s_mov_b32 s26, 0
	s_mov_b32 s48, -1
	s_wait_loadcnt 0x0
	v_cmp_ne_u16_e32 vcc_lo, 0, v1
	v_cndmask_b32_e64 v4, 0, 1, vcc_lo
	s_branch .LBB380_871
.LBB380_870:
	s_mov_b32 s26, -1
                                        ; implicit-def: $vgpr4
.LBB380_871:
	s_mov_b32 s27, 0
.LBB380_872:
	s_delay_alu instid0(SALU_CYCLE_1)
	s_and_b32 vcc_lo, exec_lo, s27
	s_cbranch_vccz .LBB380_921
; %bb.873:
	s_and_b32 s0, 0xffff, s0
	s_delay_alu instid0(SALU_CYCLE_1)
	s_cmp_lt_i32 s0, 5
	s_cbranch_scc1 .LBB380_878
; %bb.874:
	s_cmp_lt_i32 s0, 8
	s_cbranch_scc1 .LBB380_879
; %bb.875:
	;; [unrolled: 3-line block ×3, first 2 shown]
	s_cmp_gt_i32 s0, 9
	s_cbranch_scc0 .LBB380_881
; %bb.877:
	s_wait_loadcnt 0x0
	global_load_b64 v[4:5], v[8:9], off
	s_mov_b32 s27, 0
	s_wait_loadcnt 0x0
	v_cvt_i32_f64_e32 v4, v[4:5]
	s_branch .LBB380_882
.LBB380_878:
	s_mov_b32 s27, -1
                                        ; implicit-def: $vgpr4
	s_branch .LBB380_900
.LBB380_879:
	s_mov_b32 s27, -1
                                        ; implicit-def: $vgpr4
	s_branch .LBB380_888
.LBB380_880:
	s_mov_b32 s27, -1
                                        ; implicit-def: $vgpr4
	s_branch .LBB380_885
.LBB380_881:
	s_mov_b32 s27, -1
                                        ; implicit-def: $vgpr4
.LBB380_882:
	s_delay_alu instid0(SALU_CYCLE_1)
	s_and_not1_b32 vcc_lo, exec_lo, s27
	s_cbranch_vccnz .LBB380_884
; %bb.883:
	global_load_b32 v1, v[8:9], off
	s_wait_loadcnt 0x0
	v_cvt_i32_f32_e32 v4, v1
.LBB380_884:
	s_mov_b32 s27, 0
.LBB380_885:
	s_delay_alu instid0(SALU_CYCLE_1)
	s_and_not1_b32 vcc_lo, exec_lo, s27
	s_cbranch_vccnz .LBB380_887
; %bb.886:
	global_load_b32 v1, v[8:9], off
	s_wait_loadcnt 0x0
	v_cvt_i16_f16_e32 v4, v1
.LBB380_887:
	s_mov_b32 s27, 0
.LBB380_888:
	s_delay_alu instid0(SALU_CYCLE_1)
	s_and_not1_b32 vcc_lo, exec_lo, s27
	s_cbranch_vccnz .LBB380_899
; %bb.889:
	s_cmp_lt_i32 s0, 6
	s_cbranch_scc1 .LBB380_892
; %bb.890:
	s_cmp_gt_i32 s0, 6
	s_cbranch_scc0 .LBB380_893
; %bb.891:
	s_wait_loadcnt 0x0
	global_load_b64 v[4:5], v[8:9], off
	s_mov_b32 s27, 0
	s_wait_loadcnt 0x0
	v_cvt_i32_f64_e32 v4, v[4:5]
	s_branch .LBB380_894
.LBB380_892:
	s_mov_b32 s27, -1
                                        ; implicit-def: $vgpr4
	s_branch .LBB380_897
.LBB380_893:
	s_mov_b32 s27, -1
                                        ; implicit-def: $vgpr4
.LBB380_894:
	s_delay_alu instid0(SALU_CYCLE_1)
	s_and_not1_b32 vcc_lo, exec_lo, s27
	s_cbranch_vccnz .LBB380_896
; %bb.895:
	global_load_b32 v1, v[8:9], off
	s_wait_loadcnt 0x0
	v_cvt_i32_f32_e32 v4, v1
.LBB380_896:
	s_mov_b32 s27, 0
.LBB380_897:
	s_delay_alu instid0(SALU_CYCLE_1)
	s_and_not1_b32 vcc_lo, exec_lo, s27
	s_cbranch_vccnz .LBB380_899
; %bb.898:
	global_load_u16 v1, v[8:9], off
	s_wait_loadcnt 0x0
	v_cvt_i16_f16_e32 v4, v1
.LBB380_899:
	s_mov_b32 s27, 0
.LBB380_900:
	s_delay_alu instid0(SALU_CYCLE_1)
	s_and_not1_b32 vcc_lo, exec_lo, s27
	s_cbranch_vccnz .LBB380_920
; %bb.901:
	s_cmp_lt_i32 s0, 2
	s_cbranch_scc1 .LBB380_905
; %bb.902:
	s_cmp_lt_i32 s0, 3
	s_cbranch_scc1 .LBB380_906
; %bb.903:
	s_cmp_gt_i32 s0, 3
	s_cbranch_scc0 .LBB380_907
; %bb.904:
	s_wait_loadcnt 0x0
	global_load_b64 v[4:5], v[8:9], off
	s_mov_b32 s27, 0
	s_branch .LBB380_908
.LBB380_905:
	s_mov_b32 s27, -1
                                        ; implicit-def: $vgpr4
	s_branch .LBB380_914
.LBB380_906:
	s_mov_b32 s27, -1
                                        ; implicit-def: $vgpr4
	s_branch .LBB380_911
.LBB380_907:
	s_mov_b32 s27, -1
                                        ; implicit-def: $vgpr4
.LBB380_908:
	s_delay_alu instid0(SALU_CYCLE_1)
	s_and_not1_b32 vcc_lo, exec_lo, s27
	s_cbranch_vccnz .LBB380_910
; %bb.909:
	s_wait_loadcnt 0x0
	global_load_b32 v4, v[8:9], off
.LBB380_910:
	s_mov_b32 s27, 0
.LBB380_911:
	s_delay_alu instid0(SALU_CYCLE_1)
	s_and_not1_b32 vcc_lo, exec_lo, s27
	s_cbranch_vccnz .LBB380_913
; %bb.912:
	s_wait_loadcnt 0x0
	global_load_u16 v4, v[8:9], off
.LBB380_913:
	s_mov_b32 s27, 0
.LBB380_914:
	s_delay_alu instid0(SALU_CYCLE_1)
	s_and_not1_b32 vcc_lo, exec_lo, s27
	s_cbranch_vccnz .LBB380_920
; %bb.915:
	s_cmp_gt_i32 s0, 0
	s_mov_b32 s0, 0
	s_cbranch_scc0 .LBB380_917
; %bb.916:
	s_wait_loadcnt 0x0
	global_load_u8 v4, v[8:9], off
	s_branch .LBB380_918
.LBB380_917:
	s_mov_b32 s0, -1
                                        ; implicit-def: $vgpr4
.LBB380_918:
	s_delay_alu instid0(SALU_CYCLE_1)
	s_and_not1_b32 vcc_lo, exec_lo, s0
	s_cbranch_vccnz .LBB380_920
; %bb.919:
	s_wait_loadcnt 0x0
	global_load_u8 v4, v[8:9], off
.LBB380_920:
	s_mov_b32 s48, -1
.LBB380_921:
	s_delay_alu instid0(SALU_CYCLE_1)
	s_and_not1_b32 vcc_lo, exec_lo, s48
	s_cbranch_vccnz .LBB380_929
; %bb.922:
	v_mov_b32_e32 v7, 0
	s_and_b32 s0, s13, 0xff
	s_delay_alu instid0(SALU_CYCLE_1) | instskip(NEXT) | instid1(VALU_DEP_1)
	s_cmp_lt_i32 s0, 11
	v_add_nc_u64_e32 v[6:7], s[8:9], v[6:7]
	s_cbranch_scc1 .LBB380_930
; %bb.923:
	s_and_b32 s48, 0xffff, s0
	s_delay_alu instid0(SALU_CYCLE_1)
	s_cmp_gt_i32 s48, 25
	s_cbranch_scc0 .LBB380_931
; %bb.924:
	s_cmp_gt_i32 s48, 28
	s_cbranch_scc0 .LBB380_932
; %bb.925:
	;; [unrolled: 3-line block ×4, first 2 shown]
	s_cmp_eq_u32 s48, 46
	s_mov_b32 s50, 0
	s_cbranch_scc0 .LBB380_937
; %bb.928:
	global_load_b32 v1, v[6:7], off
	s_mov_b32 s49, -1
	s_mov_b32 s27, 0
	s_wait_loadcnt 0x0
	v_lshlrev_b32_e32 v1, 16, v1
	s_wait_xcnt 0x1
	s_delay_alu instid0(VALU_DEP_1)
	v_cvt_i32_f32_e32 v8, v1
	s_branch .LBB380_939
.LBB380_929:
	s_mov_b32 s51, 0
	s_mov_b32 s0, s44
	;; [unrolled: 1-line block ×3, first 2 shown]
	s_branch .LBB380_1174
.LBB380_930:
	s_mov_b32 s48, -1
	s_mov_b32 s49, 0
	s_mov_b32 s27, s45
                                        ; implicit-def: $vgpr8
	s_branch .LBB380_1000
.LBB380_931:
	s_mov_b32 s50, -1
	s_mov_b32 s49, 0
	s_mov_b32 s27, s45
                                        ; implicit-def: $vgpr8
	s_branch .LBB380_966
.LBB380_932:
	s_mov_b32 s50, -1
	s_mov_b32 s49, 0
	s_mov_b32 s27, s45
                                        ; implicit-def: $vgpr8
	s_branch .LBB380_949
.LBB380_933:
	s_mov_b32 s50, -1
	s_mov_b32 s49, 0
	s_mov_b32 s27, s45
                                        ; implicit-def: $vgpr8
	s_branch .LBB380_944
.LBB380_934:
	s_mov_b32 s50, -1
	s_mov_b32 s49, 0
	s_mov_b32 s27, s45
	s_branch .LBB380_938
.LBB380_935:
	s_and_not1_saveexec_b32 s49, s49
	s_cbranch_execz .LBB380_702
.LBB380_936:
	v_add_f32_e32 v1, 0x42800000, v4
	s_and_not1_b32 s48, s48, exec_lo
	s_delay_alu instid0(VALU_DEP_1) | instskip(NEXT) | instid1(VALU_DEP_1)
	v_and_b32_e32 v1, 0xff, v1
	v_cmp_ne_u32_e32 vcc_lo, 0, v1
	s_and_b32 s50, vcc_lo, exec_lo
	s_delay_alu instid0(SALU_CYCLE_1)
	s_or_b32 s48, s48, s50
	s_or_b32 exec_lo, exec_lo, s49
	v_mov_b32_e32 v5, 0
	s_and_saveexec_b32 s49, s48
	s_cbranch_execnz .LBB380_703
	s_branch .LBB380_704
.LBB380_937:
	s_mov_b32 s27, -1
	s_mov_b32 s49, 0
.LBB380_938:
                                        ; implicit-def: $vgpr8
.LBB380_939:
	s_and_b32 vcc_lo, exec_lo, s50
	s_cbranch_vccz .LBB380_943
; %bb.940:
	s_cmp_eq_u32 s48, 44
	s_cbranch_scc0 .LBB380_942
; %bb.941:
	global_load_u8 v1, v[6:7], off
	s_mov_b32 s27, 0
	s_mov_b32 s49, -1
	s_wait_loadcnt 0x0
	v_lshlrev_b32_e32 v3, 23, v1
	v_cmp_ne_u32_e32 vcc_lo, 0, v1
	s_delay_alu instid0(VALU_DEP_2) | instskip(SKIP_1) | instid1(VALU_DEP_1)
	v_cvt_i32_f32_e32 v3, v3
	s_wait_xcnt 0x1
	v_cndmask_b32_e32 v8, 0, v3, vcc_lo
	s_branch .LBB380_943
.LBB380_942:
	s_mov_b32 s27, -1
                                        ; implicit-def: $vgpr8
.LBB380_943:
	s_mov_b32 s50, 0
.LBB380_944:
	s_delay_alu instid0(SALU_CYCLE_1)
	s_and_b32 vcc_lo, exec_lo, s50
	s_cbranch_vccz .LBB380_948
; %bb.945:
	s_cmp_eq_u32 s48, 29
	s_cbranch_scc0 .LBB380_947
; %bb.946:
	global_load_b64 v[8:9], v[6:7], off
	s_mov_b32 s49, -1
	s_mov_b32 s27, 0
	s_branch .LBB380_948
.LBB380_947:
	s_mov_b32 s27, -1
                                        ; implicit-def: $vgpr8
.LBB380_948:
	s_mov_b32 s50, 0
.LBB380_949:
	s_delay_alu instid0(SALU_CYCLE_1)
	s_and_b32 vcc_lo, exec_lo, s50
	s_cbranch_vccz .LBB380_965
; %bb.950:
	s_cmp_lt_i32 s48, 27
	s_cbranch_scc1 .LBB380_953
; %bb.951:
	s_cmp_gt_i32 s48, 27
	s_cbranch_scc0 .LBB380_954
; %bb.952:
	s_wait_loadcnt 0x0
	global_load_b32 v8, v[6:7], off
	s_mov_b32 s49, 0
	s_branch .LBB380_955
.LBB380_953:
	s_mov_b32 s49, -1
                                        ; implicit-def: $vgpr8
	s_branch .LBB380_958
.LBB380_954:
	s_mov_b32 s49, -1
                                        ; implicit-def: $vgpr8
.LBB380_955:
	s_delay_alu instid0(SALU_CYCLE_1)
	s_and_not1_b32 vcc_lo, exec_lo, s49
	s_cbranch_vccnz .LBB380_957
; %bb.956:
	s_wait_loadcnt 0x0
	global_load_u16 v8, v[6:7], off
.LBB380_957:
	s_mov_b32 s49, 0
.LBB380_958:
	s_delay_alu instid0(SALU_CYCLE_1)
	s_and_not1_b32 vcc_lo, exec_lo, s49
	s_cbranch_vccnz .LBB380_964
; %bb.959:
	global_load_u8 v1, v[6:7], off
	s_mov_b32 s50, 0
	s_mov_b32 s49, exec_lo
	s_wait_loadcnt 0x0
	v_cmpx_lt_i16_e32 0x7f, v1
	s_xor_b32 s49, exec_lo, s49
	s_cbranch_execz .LBB380_976
; %bb.960:
	v_cmp_ne_u16_e32 vcc_lo, 0x80, v1
	s_and_b32 s50, vcc_lo, exec_lo
	s_and_not1_saveexec_b32 s49, s49
	s_cbranch_execnz .LBB380_977
.LBB380_961:
	s_or_b32 exec_lo, exec_lo, s49
	v_mov_b32_e32 v8, 0
	s_and_saveexec_b32 s49, s50
	s_cbranch_execz .LBB380_963
.LBB380_962:
	v_and_b32_e32 v3, 0xffff, v1
	s_delay_alu instid0(VALU_DEP_1) | instskip(SKIP_1) | instid1(VALU_DEP_2)
	v_and_b32_e32 v5, 7, v3
	v_bfe_u32 v10, v3, 3, 4
	v_clz_i32_u32_e32 v8, v5
	s_delay_alu instid0(VALU_DEP_2) | instskip(NEXT) | instid1(VALU_DEP_2)
	v_cmp_eq_u32_e32 vcc_lo, 0, v10
	v_min_u32_e32 v8, 32, v8
	s_delay_alu instid0(VALU_DEP_1) | instskip(NEXT) | instid1(VALU_DEP_1)
	v_subrev_nc_u32_e32 v9, 28, v8
	v_dual_lshlrev_b32 v3, v9, v3 :: v_dual_sub_nc_u32 v8, 29, v8
	s_delay_alu instid0(VALU_DEP_1) | instskip(NEXT) | instid1(VALU_DEP_1)
	v_dual_lshlrev_b32 v1, 24, v1 :: v_dual_bitop2_b32 v3, 7, v3 bitop3:0x40
	v_dual_cndmask_b32 v8, v10, v8 :: v_dual_cndmask_b32 v3, v5, v3
	s_delay_alu instid0(VALU_DEP_2) | instskip(NEXT) | instid1(VALU_DEP_2)
	v_and_b32_e32 v1, 0x80000000, v1
	v_lshl_add_u32 v5, v8, 23, 0x3b800000
	s_delay_alu instid0(VALU_DEP_3) | instskip(NEXT) | instid1(VALU_DEP_1)
	v_lshlrev_b32_e32 v3, 20, v3
	v_or3_b32 v1, v1, v5, v3
	s_delay_alu instid0(VALU_DEP_1)
	v_cvt_i32_f32_e32 v8, v1
.LBB380_963:
	s_or_b32 exec_lo, exec_lo, s49
.LBB380_964:
	s_mov_b32 s49, -1
.LBB380_965:
	s_mov_b32 s50, 0
.LBB380_966:
	s_delay_alu instid0(SALU_CYCLE_1)
	s_and_b32 vcc_lo, exec_lo, s50
	s_cbranch_vccz .LBB380_999
; %bb.967:
	s_cmp_gt_i32 s48, 22
	s_cbranch_scc0 .LBB380_975
; %bb.968:
	s_cmp_lt_i32 s48, 24
	s_cbranch_scc1 .LBB380_978
; %bb.969:
	s_cmp_gt_i32 s48, 24
	s_cbranch_scc0 .LBB380_979
; %bb.970:
	global_load_u8 v1, v[6:7], off
	s_mov_b32 s50, 0
	s_mov_b32 s49, exec_lo
	s_wait_loadcnt 0x0
	v_cmpx_lt_i16_e32 0x7f, v1
	s_xor_b32 s49, exec_lo, s49
	s_cbranch_execz .LBB380_991
; %bb.971:
	v_cmp_ne_u16_e32 vcc_lo, 0x80, v1
	s_and_b32 s50, vcc_lo, exec_lo
	s_and_not1_saveexec_b32 s49, s49
	s_cbranch_execnz .LBB380_992
.LBB380_972:
	s_or_b32 exec_lo, exec_lo, s49
	v_mov_b32_e32 v8, 0
	s_and_saveexec_b32 s49, s50
	s_cbranch_execz .LBB380_974
.LBB380_973:
	v_and_b32_e32 v3, 0xffff, v1
	s_delay_alu instid0(VALU_DEP_1) | instskip(SKIP_1) | instid1(VALU_DEP_2)
	v_and_b32_e32 v5, 3, v3
	v_bfe_u32 v10, v3, 2, 5
	v_clz_i32_u32_e32 v8, v5
	s_delay_alu instid0(VALU_DEP_2) | instskip(NEXT) | instid1(VALU_DEP_2)
	v_cmp_eq_u32_e32 vcc_lo, 0, v10
	v_min_u32_e32 v8, 32, v8
	s_delay_alu instid0(VALU_DEP_1) | instskip(NEXT) | instid1(VALU_DEP_1)
	v_subrev_nc_u32_e32 v9, 29, v8
	v_dual_lshlrev_b32 v3, v9, v3 :: v_dual_sub_nc_u32 v8, 30, v8
	s_delay_alu instid0(VALU_DEP_1) | instskip(NEXT) | instid1(VALU_DEP_1)
	v_dual_lshlrev_b32 v1, 24, v1 :: v_dual_bitop2_b32 v3, 3, v3 bitop3:0x40
	v_dual_cndmask_b32 v8, v10, v8 :: v_dual_cndmask_b32 v3, v5, v3
	s_delay_alu instid0(VALU_DEP_2) | instskip(NEXT) | instid1(VALU_DEP_2)
	v_and_b32_e32 v1, 0x80000000, v1
	v_lshl_add_u32 v5, v8, 23, 0x37800000
	s_delay_alu instid0(VALU_DEP_3) | instskip(NEXT) | instid1(VALU_DEP_1)
	v_lshlrev_b32_e32 v3, 21, v3
	v_or3_b32 v1, v1, v5, v3
	s_delay_alu instid0(VALU_DEP_1)
	v_cvt_i32_f32_e32 v8, v1
.LBB380_974:
	s_or_b32 exec_lo, exec_lo, s49
	s_mov_b32 s49, 0
	s_branch .LBB380_980
.LBB380_975:
	s_mov_b32 s50, -1
                                        ; implicit-def: $vgpr8
	s_branch .LBB380_986
.LBB380_976:
	s_and_not1_saveexec_b32 s49, s49
	s_cbranch_execz .LBB380_961
.LBB380_977:
	v_cmp_ne_u16_e32 vcc_lo, 0, v1
	s_and_not1_b32 s50, s50, exec_lo
	s_and_b32 s51, vcc_lo, exec_lo
	s_delay_alu instid0(SALU_CYCLE_1)
	s_or_b32 s50, s50, s51
	s_or_b32 exec_lo, exec_lo, s49
	v_mov_b32_e32 v8, 0
	s_and_saveexec_b32 s49, s50
	s_cbranch_execnz .LBB380_962
	s_branch .LBB380_963
.LBB380_978:
	s_mov_b32 s49, -1
                                        ; implicit-def: $vgpr8
	s_branch .LBB380_983
.LBB380_979:
	s_mov_b32 s49, -1
                                        ; implicit-def: $vgpr8
.LBB380_980:
	s_delay_alu instid0(SALU_CYCLE_1)
	s_and_b32 vcc_lo, exec_lo, s49
	s_cbranch_vccz .LBB380_982
; %bb.981:
	global_load_u8 v1, v[6:7], off
	s_wait_loadcnt 0x0
	v_lshlrev_b32_e32 v1, 24, v1
	s_delay_alu instid0(VALU_DEP_1) | instskip(NEXT) | instid1(VALU_DEP_1)
	v_and_b32_e32 v3, 0x7f000000, v1
	v_clz_i32_u32_e32 v5, v3
	s_wait_xcnt 0x1
	v_add_nc_u32_e32 v9, 0x1000000, v3
	v_cmp_ne_u32_e32 vcc_lo, 0, v3
	s_delay_alu instid0(VALU_DEP_3) | instskip(NEXT) | instid1(VALU_DEP_1)
	v_min_u32_e32 v5, 32, v5
	v_sub_nc_u32_e64 v5, v5, 4 clamp
	s_delay_alu instid0(VALU_DEP_1) | instskip(NEXT) | instid1(VALU_DEP_1)
	v_dual_lshlrev_b32 v8, v5, v3 :: v_dual_lshlrev_b32 v5, 23, v5
	v_lshrrev_b32_e32 v8, 4, v8
	s_delay_alu instid0(VALU_DEP_1) | instskip(SKIP_1) | instid1(VALU_DEP_2)
	v_sub_nc_u32_e32 v5, v8, v5
	v_ashrrev_i32_e32 v8, 8, v9
	v_add_nc_u32_e32 v5, 0x3c000000, v5
	s_delay_alu instid0(VALU_DEP_1) | instskip(NEXT) | instid1(VALU_DEP_1)
	v_and_or_b32 v5, 0x7f800000, v8, v5
	v_cndmask_b32_e32 v3, 0, v5, vcc_lo
	s_delay_alu instid0(VALU_DEP_1) | instskip(NEXT) | instid1(VALU_DEP_1)
	v_and_or_b32 v1, 0x80000000, v1, v3
	v_cvt_i32_f32_e32 v8, v1
.LBB380_982:
	s_mov_b32 s49, 0
.LBB380_983:
	s_delay_alu instid0(SALU_CYCLE_1)
	s_and_not1_b32 vcc_lo, exec_lo, s49
	s_cbranch_vccnz .LBB380_985
; %bb.984:
	global_load_u8 v1, v[6:7], off
	s_wait_loadcnt 0x0
	v_lshlrev_b32_e32 v3, 25, v1
	v_lshlrev_b16 v1, 8, v1
	s_wait_xcnt 0x1
	s_delay_alu instid0(VALU_DEP_1) | instskip(SKIP_1) | instid1(VALU_DEP_2)
	v_and_or_b32 v8, 0x7f00, v1, 0.5
	v_bfe_i32 v1, v1, 0, 16
	v_dual_add_f32 v8, -0.5, v8 :: v_dual_lshrrev_b32 v5, 4, v3
	v_cmp_gt_u32_e32 vcc_lo, 0x8000000, v3
	s_delay_alu instid0(VALU_DEP_2) | instskip(NEXT) | instid1(VALU_DEP_1)
	v_or_b32_e32 v5, 0x70000000, v5
	v_mul_f32_e32 v5, 0x7800000, v5
	s_delay_alu instid0(VALU_DEP_1) | instskip(NEXT) | instid1(VALU_DEP_1)
	v_cndmask_b32_e32 v3, v5, v8, vcc_lo
	v_and_or_b32 v1, 0x80000000, v1, v3
	s_delay_alu instid0(VALU_DEP_1)
	v_cvt_i32_f32_e32 v8, v1
.LBB380_985:
	s_mov_b32 s50, 0
	s_mov_b32 s49, -1
.LBB380_986:
	s_and_not1_b32 vcc_lo, exec_lo, s50
	s_cbranch_vccnz .LBB380_999
; %bb.987:
	s_cmp_gt_i32 s48, 14
	s_cbranch_scc0 .LBB380_990
; %bb.988:
	s_cmp_eq_u32 s48, 15
	s_cbranch_scc0 .LBB380_993
; %bb.989:
	global_load_u16 v1, v[6:7], off
	s_mov_b32 s49, -1
	s_mov_b32 s27, 0
	s_wait_loadcnt 0x0
	v_lshlrev_b32_e32 v1, 16, v1
	s_wait_xcnt 0x1
	s_delay_alu instid0(VALU_DEP_1)
	v_cvt_i32_f32_e32 v8, v1
	s_branch .LBB380_994
.LBB380_990:
	s_mov_b32 s50, -1
                                        ; implicit-def: $vgpr8
	s_branch .LBB380_995
.LBB380_991:
	s_and_not1_saveexec_b32 s49, s49
	s_cbranch_execz .LBB380_972
.LBB380_992:
	v_cmp_ne_u16_e32 vcc_lo, 0, v1
	s_and_not1_b32 s50, s50, exec_lo
	s_and_b32 s51, vcc_lo, exec_lo
	s_delay_alu instid0(SALU_CYCLE_1)
	s_or_b32 s50, s50, s51
	s_or_b32 exec_lo, exec_lo, s49
	v_mov_b32_e32 v8, 0
	s_and_saveexec_b32 s49, s50
	s_cbranch_execnz .LBB380_973
	s_branch .LBB380_974
.LBB380_993:
	s_mov_b32 s27, -1
                                        ; implicit-def: $vgpr8
.LBB380_994:
	s_mov_b32 s50, 0
.LBB380_995:
	s_delay_alu instid0(SALU_CYCLE_1)
	s_and_b32 vcc_lo, exec_lo, s50
	s_cbranch_vccz .LBB380_999
; %bb.996:
	s_cmp_eq_u32 s48, 11
	s_cbranch_scc0 .LBB380_998
; %bb.997:
	global_load_u8 v1, v[6:7], off
	s_mov_b32 s27, 0
	s_mov_b32 s49, -1
	s_wait_loadcnt 0x0
	v_cmp_ne_u16_e32 vcc_lo, 0, v1
	s_wait_xcnt 0x1
	v_cndmask_b32_e64 v8, 0, 1, vcc_lo
	s_branch .LBB380_999
.LBB380_998:
	s_mov_b32 s27, -1
                                        ; implicit-def: $vgpr8
.LBB380_999:
	s_mov_b32 s48, 0
.LBB380_1000:
	s_delay_alu instid0(SALU_CYCLE_1)
	s_and_b32 vcc_lo, exec_lo, s48
	s_cbranch_vccz .LBB380_1049
; %bb.1001:
	s_and_b32 s0, 0xffff, s0
	s_delay_alu instid0(SALU_CYCLE_1)
	s_cmp_lt_i32 s0, 5
	s_cbranch_scc1 .LBB380_1006
; %bb.1002:
	s_cmp_lt_i32 s0, 8
	s_cbranch_scc1 .LBB380_1007
; %bb.1003:
	;; [unrolled: 3-line block ×3, first 2 shown]
	s_cmp_gt_i32 s0, 9
	s_cbranch_scc0 .LBB380_1009
; %bb.1005:
	s_wait_loadcnt 0x0
	global_load_b64 v[8:9], v[6:7], off
	s_mov_b32 s48, 0
	s_wait_loadcnt 0x0
	v_cvt_i32_f64_e32 v8, v[8:9]
	s_branch .LBB380_1010
.LBB380_1006:
	s_mov_b32 s48, -1
                                        ; implicit-def: $vgpr8
	s_branch .LBB380_1028
.LBB380_1007:
	s_mov_b32 s48, -1
                                        ; implicit-def: $vgpr8
	s_branch .LBB380_1016
.LBB380_1008:
	s_mov_b32 s48, -1
                                        ; implicit-def: $vgpr8
	s_branch .LBB380_1013
.LBB380_1009:
	s_mov_b32 s48, -1
                                        ; implicit-def: $vgpr8
.LBB380_1010:
	s_delay_alu instid0(SALU_CYCLE_1)
	s_and_not1_b32 vcc_lo, exec_lo, s48
	s_cbranch_vccnz .LBB380_1012
; %bb.1011:
	global_load_b32 v1, v[6:7], off
	s_wait_loadcnt 0x0
	s_wait_xcnt 0x1
	v_cvt_i32_f32_e32 v8, v1
.LBB380_1012:
	s_mov_b32 s48, 0
.LBB380_1013:
	s_delay_alu instid0(SALU_CYCLE_1)
	s_and_not1_b32 vcc_lo, exec_lo, s48
	s_cbranch_vccnz .LBB380_1015
; %bb.1014:
	global_load_b32 v1, v[6:7], off
	s_wait_loadcnt 0x0
	s_wait_xcnt 0x1
	v_cvt_i16_f16_e32 v8, v1
.LBB380_1015:
	s_mov_b32 s48, 0
.LBB380_1016:
	s_delay_alu instid0(SALU_CYCLE_1)
	s_and_not1_b32 vcc_lo, exec_lo, s48
	s_cbranch_vccnz .LBB380_1027
; %bb.1017:
	s_cmp_lt_i32 s0, 6
	s_cbranch_scc1 .LBB380_1020
; %bb.1018:
	s_cmp_gt_i32 s0, 6
	s_cbranch_scc0 .LBB380_1021
; %bb.1019:
	s_wait_loadcnt 0x0
	global_load_b64 v[8:9], v[6:7], off
	s_mov_b32 s48, 0
	s_wait_loadcnt 0x0
	v_cvt_i32_f64_e32 v8, v[8:9]
	s_branch .LBB380_1022
.LBB380_1020:
	s_mov_b32 s48, -1
                                        ; implicit-def: $vgpr8
	s_branch .LBB380_1025
.LBB380_1021:
	s_mov_b32 s48, -1
                                        ; implicit-def: $vgpr8
.LBB380_1022:
	s_delay_alu instid0(SALU_CYCLE_1)
	s_and_not1_b32 vcc_lo, exec_lo, s48
	s_cbranch_vccnz .LBB380_1024
; %bb.1023:
	global_load_b32 v1, v[6:7], off
	s_wait_loadcnt 0x0
	s_wait_xcnt 0x1
	v_cvt_i32_f32_e32 v8, v1
.LBB380_1024:
	s_mov_b32 s48, 0
.LBB380_1025:
	s_delay_alu instid0(SALU_CYCLE_1)
	s_and_not1_b32 vcc_lo, exec_lo, s48
	s_cbranch_vccnz .LBB380_1027
; %bb.1026:
	global_load_u16 v1, v[6:7], off
	s_wait_loadcnt 0x0
	s_wait_xcnt 0x1
	v_cvt_i16_f16_e32 v8, v1
.LBB380_1027:
	s_mov_b32 s48, 0
.LBB380_1028:
	s_delay_alu instid0(SALU_CYCLE_1)
	s_and_not1_b32 vcc_lo, exec_lo, s48
	s_cbranch_vccnz .LBB380_1048
; %bb.1029:
	s_cmp_lt_i32 s0, 2
	s_cbranch_scc1 .LBB380_1033
; %bb.1030:
	s_cmp_lt_i32 s0, 3
	s_cbranch_scc1 .LBB380_1034
; %bb.1031:
	s_cmp_gt_i32 s0, 3
	s_cbranch_scc0 .LBB380_1035
; %bb.1032:
	s_wait_loadcnt 0x0
	global_load_b64 v[8:9], v[6:7], off
	s_mov_b32 s48, 0
	s_branch .LBB380_1036
.LBB380_1033:
	s_mov_b32 s48, -1
                                        ; implicit-def: $vgpr8
	s_branch .LBB380_1042
.LBB380_1034:
	s_mov_b32 s48, -1
                                        ; implicit-def: $vgpr8
	s_branch .LBB380_1039
.LBB380_1035:
	s_mov_b32 s48, -1
                                        ; implicit-def: $vgpr8
.LBB380_1036:
	s_delay_alu instid0(SALU_CYCLE_1)
	s_and_not1_b32 vcc_lo, exec_lo, s48
	s_cbranch_vccnz .LBB380_1038
; %bb.1037:
	s_wait_loadcnt 0x0
	global_load_b32 v8, v[6:7], off
.LBB380_1038:
	s_mov_b32 s48, 0
.LBB380_1039:
	s_delay_alu instid0(SALU_CYCLE_1)
	s_and_not1_b32 vcc_lo, exec_lo, s48
	s_cbranch_vccnz .LBB380_1041
; %bb.1040:
	s_wait_loadcnt 0x0
	global_load_u16 v8, v[6:7], off
.LBB380_1041:
	s_mov_b32 s48, 0
.LBB380_1042:
	s_delay_alu instid0(SALU_CYCLE_1)
	s_and_not1_b32 vcc_lo, exec_lo, s48
	s_cbranch_vccnz .LBB380_1048
; %bb.1043:
	s_cmp_gt_i32 s0, 0
	s_mov_b32 s0, 0
	s_cbranch_scc0 .LBB380_1045
; %bb.1044:
	s_wait_loadcnt 0x0
	global_load_u8 v8, v[6:7], off
	s_branch .LBB380_1046
.LBB380_1045:
	s_mov_b32 s0, -1
                                        ; implicit-def: $vgpr8
.LBB380_1046:
	s_delay_alu instid0(SALU_CYCLE_1)
	s_and_not1_b32 vcc_lo, exec_lo, s0
	s_cbranch_vccnz .LBB380_1048
; %bb.1047:
	s_wait_loadcnt 0x0
	global_load_u8 v8, v[6:7], off
.LBB380_1048:
	s_mov_b32 s49, -1
.LBB380_1049:
	s_delay_alu instid0(SALU_CYCLE_1)
	s_and_not1_b32 vcc_lo, exec_lo, s49
	s_cbranch_vccnz .LBB380_1057
; %bb.1050:
	s_wait_loadcnt 0x0
	s_delay_alu instid0(VALU_DEP_1) | instskip(NEXT) | instid1(VALU_DEP_4)
	v_and_b32_e32 v1, 0xff, v8
	v_and_b32_e32 v4, 0xff, v4
	v_mov_b32_e32 v3, 0
	s_and_b32 s49, s11, 0xff
	s_delay_alu instid0(VALU_DEP_2) | instskip(NEXT) | instid1(VALU_DEP_2)
	v_cmp_ne_u16_e32 vcc_lo, v4, v1
	v_add_nc_u64_e32 v[2:3], s[4:5], v[2:3]
	s_xor_b32 s48, s10, vcc_lo
	s_cmp_lt_i32 s49, 11
	s_cbranch_scc1 .LBB380_1058
; %bb.1051:
	s_and_b32 s50, 0xffff, s49
	s_delay_alu instid0(SALU_CYCLE_1)
	s_cmp_gt_i32 s50, 25
	s_cbranch_scc0 .LBB380_1059
; %bb.1052:
	s_cmp_gt_i32 s50, 28
	s_cbranch_scc0 .LBB380_1060
; %bb.1053:
	;; [unrolled: 3-line block ×4, first 2 shown]
	s_mov_b32 s52, 0
	s_mov_b32 s0, -1
	s_cmp_eq_u32 s50, 46
	s_mov_b32 s51, 0
	s_cbranch_scc0 .LBB380_1063
; %bb.1056:
	v_cndmask_b32_e64 v1, 0, 1.0, s48
	s_mov_b32 s51, -1
	s_mov_b32 s0, 0
	s_delay_alu instid0(VALU_DEP_1) | instskip(NEXT) | instid1(VALU_DEP_1)
	v_bfe_u32 v4, v1, 16, 1
	v_add3_u32 v1, v1, v4, 0x7fff
	s_delay_alu instid0(VALU_DEP_1)
	v_lshrrev_b32_e32 v1, 16, v1
	global_store_b32 v[2:3], v1, off
	s_branch .LBB380_1063
.LBB380_1057:
	s_mov_b32 s51, 0
	s_mov_b32 s0, s44
	s_branch .LBB380_1174
.LBB380_1058:
	s_mov_b32 s50, -1
	s_mov_b32 s51, 0
	s_mov_b32 s0, s44
	s_branch .LBB380_1132
.LBB380_1059:
	s_mov_b32 s52, -1
	s_mov_b32 s51, 0
	s_mov_b32 s0, s44
	s_branch .LBB380_1090
.LBB380_1060:
	s_mov_b32 s52, -1
	s_mov_b32 s51, 0
	s_mov_b32 s0, s44
	s_branch .LBB380_1073
.LBB380_1061:
	s_mov_b32 s52, -1
	s_mov_b32 s51, 0
	s_mov_b32 s0, s44
	s_branch .LBB380_1069
.LBB380_1062:
	s_mov_b32 s52, -1
	s_mov_b32 s51, 0
	s_mov_b32 s0, s44
.LBB380_1063:
	s_and_b32 vcc_lo, exec_lo, s52
	s_cbranch_vccz .LBB380_1068
; %bb.1064:
	s_cmp_eq_u32 s50, 44
	s_mov_b32 s0, -1
	s_cbranch_scc0 .LBB380_1068
; %bb.1065:
	v_cndmask_b32_e64 v5, 0, 1.0, s48
	s_mov_b32 s51, exec_lo
	s_wait_xcnt 0x0
	s_delay_alu instid0(VALU_DEP_1) | instskip(NEXT) | instid1(VALU_DEP_1)
	v_dual_mov_b32 v4, 0xff :: v_dual_lshrrev_b32 v1, 23, v5
	v_cmpx_ne_u32_e32 0xff, v1
; %bb.1066:
	v_and_b32_e32 v4, 0x400000, v5
	v_and_or_b32 v5, 0x3fffff, v5, v1
	s_delay_alu instid0(VALU_DEP_2) | instskip(NEXT) | instid1(VALU_DEP_2)
	v_cmp_ne_u32_e32 vcc_lo, 0, v4
	v_cmp_ne_u32_e64 s0, 0, v5
	s_and_b32 s0, vcc_lo, s0
	s_delay_alu instid0(SALU_CYCLE_1) | instskip(NEXT) | instid1(VALU_DEP_1)
	v_cndmask_b32_e64 v4, 0, 1, s0
	v_add_nc_u32_e32 v4, v1, v4
; %bb.1067:
	s_or_b32 exec_lo, exec_lo, s51
	s_mov_b32 s51, -1
	s_mov_b32 s0, 0
	global_store_b8 v[2:3], v4, off
.LBB380_1068:
	s_mov_b32 s52, 0
.LBB380_1069:
	s_delay_alu instid0(SALU_CYCLE_1)
	s_and_b32 vcc_lo, exec_lo, s52
	s_cbranch_vccz .LBB380_1072
; %bb.1070:
	s_cmp_eq_u32 s50, 29
	s_mov_b32 s0, -1
	s_cbranch_scc0 .LBB380_1072
; %bb.1071:
	s_mov_b32 s0, 0
	s_wait_xcnt 0x0
	v_cndmask_b32_e64 v4, 0, 1, s48
	v_mov_b32_e32 v5, s0
	s_mov_b32 s51, -1
	s_mov_b32 s52, 0
	global_store_b64 v[2:3], v[4:5], off
	s_branch .LBB380_1073
.LBB380_1072:
	s_mov_b32 s52, 0
.LBB380_1073:
	s_delay_alu instid0(SALU_CYCLE_1)
	s_and_b32 vcc_lo, exec_lo, s52
	s_cbranch_vccz .LBB380_1089
; %bb.1074:
	s_cmp_lt_i32 s50, 27
	s_mov_b32 s51, -1
	s_cbranch_scc1 .LBB380_1080
; %bb.1075:
	s_cmp_gt_i32 s50, 27
	s_cbranch_scc0 .LBB380_1077
; %bb.1076:
	s_wait_xcnt 0x0
	v_cndmask_b32_e64 v1, 0, 1, s48
	s_mov_b32 s51, 0
	global_store_b32 v[2:3], v1, off
.LBB380_1077:
	s_and_not1_b32 vcc_lo, exec_lo, s51
	s_cbranch_vccnz .LBB380_1079
; %bb.1078:
	s_wait_xcnt 0x0
	v_cndmask_b32_e64 v1, 0, 1, s48
	global_store_b16 v[2:3], v1, off
.LBB380_1079:
	s_mov_b32 s51, 0
.LBB380_1080:
	s_delay_alu instid0(SALU_CYCLE_1)
	s_and_not1_b32 vcc_lo, exec_lo, s51
	s_cbranch_vccnz .LBB380_1088
; %bb.1081:
	s_wait_xcnt 0x0
	v_cndmask_b32_e64 v4, 0, 1.0, s48
	v_mov_b32_e32 v5, 0x80
	s_mov_b32 s51, exec_lo
	s_delay_alu instid0(VALU_DEP_2)
	v_cmpx_gt_u32_e32 0x43800000, v4
	s_cbranch_execz .LBB380_1087
; %bb.1082:
	s_mov_b32 s52, 0
	s_mov_b32 s53, exec_lo
                                        ; implicit-def: $vgpr1
	v_cmpx_lt_u32_e32 0x3bffffff, v4
	s_xor_b32 s53, exec_lo, s53
	s_cbranch_execz .LBB380_1202
; %bb.1083:
	v_bfe_u32 v1, v4, 20, 1
	s_mov_b32 s52, exec_lo
	s_delay_alu instid0(VALU_DEP_1) | instskip(NEXT) | instid1(VALU_DEP_1)
	v_add3_u32 v1, v4, v1, 0x487ffff
                                        ; implicit-def: $vgpr4
	v_lshrrev_b32_e32 v1, 20, v1
	s_and_not1_saveexec_b32 s53, s53
	s_cbranch_execnz .LBB380_1203
.LBB380_1084:
	s_or_b32 exec_lo, exec_lo, s53
	v_mov_b32_e32 v5, 0
	s_and_saveexec_b32 s53, s52
.LBB380_1085:
	v_mov_b32_e32 v5, v1
.LBB380_1086:
	s_or_b32 exec_lo, exec_lo, s53
.LBB380_1087:
	s_delay_alu instid0(SALU_CYCLE_1)
	s_or_b32 exec_lo, exec_lo, s51
	global_store_b8 v[2:3], v5, off
.LBB380_1088:
	s_mov_b32 s51, -1
.LBB380_1089:
	s_mov_b32 s52, 0
.LBB380_1090:
	s_delay_alu instid0(SALU_CYCLE_1)
	s_and_b32 vcc_lo, exec_lo, s52
	s_cbranch_vccz .LBB380_1131
; %bb.1091:
	s_cmp_gt_i32 s50, 22
	s_mov_b32 s52, -1
	s_cbranch_scc0 .LBB380_1123
; %bb.1092:
	s_cmp_lt_i32 s50, 24
	s_mov_b32 s51, -1
	s_cbranch_scc1 .LBB380_1112
; %bb.1093:
	s_cmp_gt_i32 s50, 24
	s_cbranch_scc0 .LBB380_1101
; %bb.1094:
	s_wait_xcnt 0x0
	v_cndmask_b32_e64 v4, 0, 1.0, s48
	v_mov_b32_e32 v5, 0x80
	s_mov_b32 s51, exec_lo
	s_delay_alu instid0(VALU_DEP_2)
	v_cmpx_gt_u32_e32 0x47800000, v4
	s_cbranch_execz .LBB380_1100
; %bb.1095:
	s_mov_b32 s52, 0
	s_mov_b32 s53, exec_lo
                                        ; implicit-def: $vgpr1
	v_cmpx_lt_u32_e32 0x37ffffff, v4
	s_xor_b32 s53, exec_lo, s53
	s_cbranch_execz .LBB380_2245
; %bb.1096:
	v_bfe_u32 v1, v4, 21, 1
	s_mov_b32 s52, exec_lo
	s_delay_alu instid0(VALU_DEP_1) | instskip(NEXT) | instid1(VALU_DEP_1)
	v_add3_u32 v1, v4, v1, 0x88fffff
                                        ; implicit-def: $vgpr4
	v_lshrrev_b32_e32 v1, 21, v1
	s_and_not1_saveexec_b32 s53, s53
	s_cbranch_execnz .LBB380_2246
.LBB380_1097:
	s_or_b32 exec_lo, exec_lo, s53
	v_mov_b32_e32 v5, 0
	s_and_saveexec_b32 s53, s52
.LBB380_1098:
	v_mov_b32_e32 v5, v1
.LBB380_1099:
	s_or_b32 exec_lo, exec_lo, s53
.LBB380_1100:
	s_delay_alu instid0(SALU_CYCLE_1)
	s_or_b32 exec_lo, exec_lo, s51
	s_mov_b32 s51, 0
	global_store_b8 v[2:3], v5, off
.LBB380_1101:
	s_and_b32 vcc_lo, exec_lo, s51
	s_cbranch_vccz .LBB380_1111
; %bb.1102:
	s_wait_xcnt 0x0
	v_cndmask_b32_e64 v4, 0, 1.0, s48
	s_mov_b32 s51, exec_lo
                                        ; implicit-def: $vgpr1
	s_delay_alu instid0(VALU_DEP_1)
	v_cmpx_gt_u32_e32 0x43f00000, v4
	s_xor_b32 s51, exec_lo, s51
	s_cbranch_execz .LBB380_1108
; %bb.1103:
	s_mov_b32 s52, exec_lo
                                        ; implicit-def: $vgpr1
	v_cmpx_lt_u32_e32 0x3c7fffff, v4
	s_xor_b32 s52, exec_lo, s52
; %bb.1104:
	v_bfe_u32 v1, v4, 20, 1
	s_delay_alu instid0(VALU_DEP_1) | instskip(NEXT) | instid1(VALU_DEP_1)
	v_add3_u32 v1, v4, v1, 0x407ffff
	v_and_b32_e32 v4, 0xff00000, v1
	v_lshrrev_b32_e32 v1, 20, v1
	s_delay_alu instid0(VALU_DEP_2) | instskip(NEXT) | instid1(VALU_DEP_2)
	v_cmp_ne_u32_e32 vcc_lo, 0x7f00000, v4
                                        ; implicit-def: $vgpr4
	v_cndmask_b32_e32 v1, 0x7e, v1, vcc_lo
; %bb.1105:
	s_and_not1_saveexec_b32 s52, s52
; %bb.1106:
	v_add_f32_e32 v1, 0x46800000, v4
; %bb.1107:
	s_or_b32 exec_lo, exec_lo, s52
                                        ; implicit-def: $vgpr4
.LBB380_1108:
	s_and_not1_saveexec_b32 s51, s51
; %bb.1109:
	v_mov_b32_e32 v1, 0x7f
	v_cmp_lt_u32_e32 vcc_lo, 0x7f800000, v4
	s_delay_alu instid0(VALU_DEP_2)
	v_cndmask_b32_e32 v1, 0x7e, v1, vcc_lo
; %bb.1110:
	s_or_b32 exec_lo, exec_lo, s51
	global_store_b8 v[2:3], v1, off
.LBB380_1111:
	s_mov_b32 s51, 0
.LBB380_1112:
	s_delay_alu instid0(SALU_CYCLE_1)
	s_and_not1_b32 vcc_lo, exec_lo, s51
	s_cbranch_vccnz .LBB380_1122
; %bb.1113:
	s_wait_xcnt 0x0
	v_cndmask_b32_e64 v4, 0, 1.0, s48
	s_mov_b32 s51, exec_lo
                                        ; implicit-def: $vgpr1
	s_delay_alu instid0(VALU_DEP_1)
	v_cmpx_gt_u32_e32 0x47800000, v4
	s_xor_b32 s51, exec_lo, s51
	s_cbranch_execz .LBB380_1119
; %bb.1114:
	s_mov_b32 s52, exec_lo
                                        ; implicit-def: $vgpr1
	v_cmpx_lt_u32_e32 0x387fffff, v4
	s_xor_b32 s52, exec_lo, s52
; %bb.1115:
	v_bfe_u32 v1, v4, 21, 1
	s_delay_alu instid0(VALU_DEP_1) | instskip(NEXT) | instid1(VALU_DEP_1)
	v_add3_u32 v1, v4, v1, 0x80fffff
                                        ; implicit-def: $vgpr4
	v_lshrrev_b32_e32 v1, 21, v1
; %bb.1116:
	s_and_not1_saveexec_b32 s52, s52
; %bb.1117:
	v_add_f32_e32 v1, 0x43000000, v4
; %bb.1118:
	s_or_b32 exec_lo, exec_lo, s52
                                        ; implicit-def: $vgpr4
.LBB380_1119:
	s_and_not1_saveexec_b32 s51, s51
; %bb.1120:
	v_mov_b32_e32 v1, 0x7f
	v_cmp_lt_u32_e32 vcc_lo, 0x7f800000, v4
	s_delay_alu instid0(VALU_DEP_2)
	v_cndmask_b32_e32 v1, 0x7c, v1, vcc_lo
; %bb.1121:
	s_or_b32 exec_lo, exec_lo, s51
	global_store_b8 v[2:3], v1, off
.LBB380_1122:
	s_mov_b32 s52, 0
	s_mov_b32 s51, -1
.LBB380_1123:
	s_and_not1_b32 vcc_lo, exec_lo, s52
	s_cbranch_vccnz .LBB380_1131
; %bb.1124:
	s_cmp_gt_i32 s50, 14
	s_mov_b32 s52, -1
	s_cbranch_scc0 .LBB380_1128
; %bb.1125:
	s_cmp_eq_u32 s50, 15
	s_mov_b32 s0, -1
	s_cbranch_scc0 .LBB380_1127
; %bb.1126:
	s_wait_xcnt 0x0
	v_cndmask_b32_e64 v1, 0, 1.0, s48
	s_mov_b32 s51, -1
	s_mov_b32 s0, 0
	s_delay_alu instid0(VALU_DEP_1) | instskip(NEXT) | instid1(VALU_DEP_1)
	v_bfe_u32 v4, v1, 16, 1
	v_add3_u32 v1, v1, v4, 0x7fff
	global_store_d16_hi_b16 v[2:3], v1, off
.LBB380_1127:
	s_mov_b32 s52, 0
.LBB380_1128:
	s_delay_alu instid0(SALU_CYCLE_1)
	s_and_b32 vcc_lo, exec_lo, s52
	s_cbranch_vccz .LBB380_1131
; %bb.1129:
	s_cmp_eq_u32 s50, 11
	s_mov_b32 s0, -1
	s_cbranch_scc0 .LBB380_1131
; %bb.1130:
	s_wait_xcnt 0x0
	v_cndmask_b32_e64 v1, 0, 1, s48
	s_mov_b32 s51, -1
	s_mov_b32 s0, 0
	global_store_b8 v[2:3], v1, off
.LBB380_1131:
	s_mov_b32 s50, 0
.LBB380_1132:
	s_delay_alu instid0(SALU_CYCLE_1)
	s_and_b32 vcc_lo, exec_lo, s50
	s_cbranch_vccz .LBB380_1171
; %bb.1133:
	s_and_b32 s49, 0xffff, s49
	s_mov_b32 s50, -1
	s_cmp_lt_i32 s49, 5
	s_cbranch_scc1 .LBB380_1154
; %bb.1134:
	s_cmp_lt_i32 s49, 8
	s_cbranch_scc1 .LBB380_1144
; %bb.1135:
	;; [unrolled: 3-line block ×3, first 2 shown]
	s_cmp_gt_i32 s49, 9
	s_cbranch_scc0 .LBB380_1138
; %bb.1137:
	s_wait_xcnt 0x0
	v_cndmask_b32_e64 v1, 0, 1, s48
	v_mov_b32_e32 v6, 0
	s_mov_b32 s50, 0
	s_delay_alu instid0(VALU_DEP_2) | instskip(NEXT) | instid1(VALU_DEP_2)
	v_cvt_f64_u32_e32 v[4:5], v1
	v_mov_b32_e32 v7, v6
	global_store_b128 v[2:3], v[4:7], off
.LBB380_1138:
	s_and_not1_b32 vcc_lo, exec_lo, s50
	s_cbranch_vccnz .LBB380_1140
; %bb.1139:
	s_wait_xcnt 0x0
	v_cndmask_b32_e64 v4, 0, 1.0, s48
	v_mov_b32_e32 v5, 0
	global_store_b64 v[2:3], v[4:5], off
.LBB380_1140:
	s_mov_b32 s50, 0
.LBB380_1141:
	s_delay_alu instid0(SALU_CYCLE_1)
	s_and_not1_b32 vcc_lo, exec_lo, s50
	s_cbranch_vccnz .LBB380_1143
; %bb.1142:
	s_wait_xcnt 0x0
	v_cndmask_b32_e64 v1, 0, 1.0, s48
	s_delay_alu instid0(VALU_DEP_1) | instskip(NEXT) | instid1(VALU_DEP_1)
	v_cvt_f16_f32_e32 v1, v1
	v_and_b32_e32 v1, 0xffff, v1
	global_store_b32 v[2:3], v1, off
.LBB380_1143:
	s_mov_b32 s50, 0
.LBB380_1144:
	s_delay_alu instid0(SALU_CYCLE_1)
	s_and_not1_b32 vcc_lo, exec_lo, s50
	s_cbranch_vccnz .LBB380_1153
; %bb.1145:
	s_cmp_lt_i32 s49, 6
	s_mov_b32 s50, -1
	s_cbranch_scc1 .LBB380_1151
; %bb.1146:
	s_cmp_gt_i32 s49, 6
	s_cbranch_scc0 .LBB380_1148
; %bb.1147:
	s_wait_xcnt 0x0
	v_cndmask_b32_e64 v1, 0, 1, s48
	s_mov_b32 s50, 0
	s_delay_alu instid0(VALU_DEP_1)
	v_cvt_f64_u32_e32 v[4:5], v1
	global_store_b64 v[2:3], v[4:5], off
.LBB380_1148:
	s_and_not1_b32 vcc_lo, exec_lo, s50
	s_cbranch_vccnz .LBB380_1150
; %bb.1149:
	s_wait_xcnt 0x0
	v_cndmask_b32_e64 v1, 0, 1.0, s48
	global_store_b32 v[2:3], v1, off
.LBB380_1150:
	s_mov_b32 s50, 0
.LBB380_1151:
	s_delay_alu instid0(SALU_CYCLE_1)
	s_and_not1_b32 vcc_lo, exec_lo, s50
	s_cbranch_vccnz .LBB380_1153
; %bb.1152:
	s_wait_xcnt 0x0
	v_cndmask_b32_e64 v1, 0, 1.0, s48
	s_delay_alu instid0(VALU_DEP_1)
	v_cvt_f16_f32_e32 v1, v1
	global_store_b16 v[2:3], v1, off
.LBB380_1153:
	s_mov_b32 s50, 0
.LBB380_1154:
	s_delay_alu instid0(SALU_CYCLE_1)
	s_and_not1_b32 vcc_lo, exec_lo, s50
	s_cbranch_vccnz .LBB380_1170
; %bb.1155:
	s_cmp_lt_i32 s49, 2
	s_mov_b32 s50, -1
	s_cbranch_scc1 .LBB380_1165
; %bb.1156:
	s_cmp_lt_i32 s49, 3
	s_cbranch_scc1 .LBB380_1162
; %bb.1157:
	s_cmp_gt_i32 s49, 3
	s_cbranch_scc0 .LBB380_1159
; %bb.1158:
	s_mov_b32 s50, 0
	s_wait_xcnt 0x0
	v_cndmask_b32_e64 v4, 0, 1, s48
	v_mov_b32_e32 v5, s50
	global_store_b64 v[2:3], v[4:5], off
.LBB380_1159:
	s_and_not1_b32 vcc_lo, exec_lo, s50
	s_cbranch_vccnz .LBB380_1161
; %bb.1160:
	s_wait_xcnt 0x0
	v_cndmask_b32_e64 v1, 0, 1, s48
	global_store_b32 v[2:3], v1, off
.LBB380_1161:
	s_mov_b32 s50, 0
.LBB380_1162:
	s_delay_alu instid0(SALU_CYCLE_1)
	s_and_not1_b32 vcc_lo, exec_lo, s50
	s_cbranch_vccnz .LBB380_1164
; %bb.1163:
	s_wait_xcnt 0x0
	v_cndmask_b32_e64 v1, 0, 1, s48
	global_store_b16 v[2:3], v1, off
.LBB380_1164:
	s_mov_b32 s50, 0
.LBB380_1165:
	s_delay_alu instid0(SALU_CYCLE_1)
	s_and_not1_b32 vcc_lo, exec_lo, s50
	s_cbranch_vccnz .LBB380_1170
; %bb.1166:
	s_wait_xcnt 0x0
	v_cndmask_b32_e64 v1, 0, 1, s48
	s_cmp_gt_i32 s49, 0
	s_mov_b32 s48, -1
	s_cbranch_scc0 .LBB380_1168
; %bb.1167:
	s_mov_b32 s48, 0
	global_store_b8 v[2:3], v1, off
.LBB380_1168:
	s_and_not1_b32 vcc_lo, exec_lo, s48
	s_cbranch_vccnz .LBB380_1170
; %bb.1169:
	global_store_b8 v[2:3], v1, off
.LBB380_1170:
	s_mov_b32 s51, -1
.LBB380_1171:
	s_delay_alu instid0(SALU_CYCLE_1)
	s_and_not1_b32 vcc_lo, exec_lo, s51
	s_cbranch_vccnz .LBB380_1173
; %bb.1172:
	v_add_nc_u32_e32 v0, 0x80, v0
	s_mov_b32 s51, -1
	s_branch .LBB380_1175
.LBB380_1173:
	s_mov_b32 s51, 0
.LBB380_1174:
                                        ; implicit-def: $vgpr0
.LBB380_1175:
	s_and_not1_b32 s48, s44, exec_lo
	s_and_b32 s0, s0, exec_lo
	s_and_b32 s27, s27, exec_lo
	s_or_b32 s49, s48, s0
	s_and_not1_b32 s0, s45, exec_lo
	s_and_not1_b32 s48, s43, exec_lo
	s_and_b32 s26, s26, exec_lo
	s_or_b32 s50, s0, s27
	s_or_b32 s48, s48, s26
	s_or_not1_b32 s52, s51, exec_lo
.LBB380_1176:
	s_wait_xcnt 0x0
	s_or_b32 exec_lo, exec_lo, s47
	s_mov_b32 s27, 0
	s_mov_b32 s51, 0
	;; [unrolled: 1-line block ×3, first 2 shown]
                                        ; implicit-def: $sgpr0
                                        ; implicit-def: $vgpr8_vgpr9
                                        ; implicit-def: $vgpr6
                                        ; implicit-def: $vgpr2
                                        ; implicit-def: $vgpr4
	s_and_saveexec_b32 s47, s52
	s_cbranch_execz .LBB380_1267
; %bb.1177:
	v_cmp_gt_i32_e32 vcc_lo, s37, v0
	s_mov_b32 s52, s48
                                        ; implicit-def: $sgpr0
                                        ; implicit-def: $vgpr8_vgpr9
                                        ; implicit-def: $vgpr6
                                        ; implicit-def: $vgpr2
                                        ; implicit-def: $vgpr4
	s_and_saveexec_b32 s37, vcc_lo
	s_cbranch_execz .LBB380_1266
; %bb.1178:
	s_and_not1_b32 vcc_lo, exec_lo, s31
	s_cbranch_vccnz .LBB380_1184
; %bb.1179:
	s_and_not1_b32 vcc_lo, exec_lo, s38
	s_cbranch_vccnz .LBB380_1185
; %bb.1180:
	v_dual_mov_b32 v2, 0 :: v_dual_mov_b32 v1, v0
	s_wait_loadcnt 0x0
	v_dual_mov_b32 v4, 0 :: v_dual_mov_b32 v6, 0
	s_add_co_i32 s0, s36, 1
	s_mov_b64 s[26:27], 0xffffffffffffffe8
	s_and_b32 s0, s0, 30
	s_add_nc_u64 s[26:27], s[2:3], s[26:27]
.LBB380_1181:                           ; =>This Inner Loop Header: Depth=1
	s_clause 0x1
	s_load_b128 s[52:55], s[26:27], 0x1c
	s_load_b64 s[60:61], s[26:27], 0x2c
	s_add_co_i32 s0, s0, -2
	s_delay_alu instid0(SALU_CYCLE_1) | instskip(SKIP_2) | instid1(VALU_DEP_1)
	s_cmp_eq_u32 s0, 0
	s_wait_kmcnt 0x0
	v_mul_hi_u32 v3, s53, v1
	v_add_nc_u32_e32 v3, v1, v3
	s_delay_alu instid0(VALU_DEP_1) | instskip(NEXT) | instid1(VALU_DEP_1)
	v_lshrrev_b32_e32 v3, s54, v3
	v_mul_hi_u32 v5, s60, v3
	v_mul_lo_u32 v7, v3, s52
	s_clause 0x1
	s_load_b128 s[56:59], s[26:27], 0xdc
	s_load_b64 s[52:53], s[26:27], 0xec
	s_wait_xcnt 0x0
	s_add_nc_u64 s[26:27], s[26:27], 24
	s_delay_alu instid0(VALU_DEP_1) | instskip(NEXT) | instid1(VALU_DEP_1)
	v_dual_add_nc_u32 v5, v3, v5 :: v_dual_sub_nc_u32 v7, v1, v7
	v_lshrrev_b32_e32 v1, s61, v5
	s_wait_kmcnt 0x0
	s_delay_alu instid0(VALU_DEP_2) | instskip(NEXT) | instid1(VALU_DEP_2)
	v_mad_u32 v2, v7, s56, v2
	v_mul_lo_u32 v5, v1, s55
	v_mad_u32 v6, v7, s58, v6
	v_mad_u32 v4, v7, s57, v4
	s_delay_alu instid0(VALU_DEP_3) | instskip(NEXT) | instid1(VALU_DEP_1)
	v_sub_nc_u32_e32 v3, v3, v5
	v_mad_u32 v2, v3, s59, v2
	s_delay_alu instid0(VALU_DEP_4) | instskip(NEXT) | instid1(VALU_DEP_4)
	v_mad_u32 v6, v3, s53, v6
	v_mad_u32 v4, v3, s52, v4
	s_cbranch_scc0 .LBB380_1181
; %bb.1182:
	s_bitcmp1_b32 s36, 0
	s_cselect_b32 s0, -1, 0
	s_delay_alu instid0(SALU_CYCLE_1)
	s_and_b32 vcc_lo, exec_lo, s0
	s_cbranch_vccnz .LBB380_1186
; %bb.1183:
	s_clause 0x1
	s_load_b96 s[52:54], s[26:27], 0x1c
	s_load_b96 s[56:58], s[26:27], 0xdc
	s_wait_kmcnt 0x0
	v_mul_hi_u32 v3, s53, v1
	s_delay_alu instid0(VALU_DEP_1) | instskip(NEXT) | instid1(VALU_DEP_1)
	v_add_nc_u32_e32 v3, v1, v3
	v_lshrrev_b32_e32 v3, s54, v3
	s_delay_alu instid0(VALU_DEP_1) | instskip(NEXT) | instid1(VALU_DEP_1)
	v_mul_lo_u32 v3, v3, s52
	v_sub_nc_u32_e32 v1, v1, v3
	s_delay_alu instid0(VALU_DEP_1)
	v_mad_u32 v2, v1, s56, v2
	v_mad_u32 v4, v1, s57, v4
	;; [unrolled: 1-line block ×3, first 2 shown]
	s_branch .LBB380_1186
.LBB380_1184:
	s_mov_b32 s0, -1
                                        ; implicit-def: $vgpr6
                                        ; implicit-def: $vgpr4
                                        ; implicit-def: $vgpr2
	s_branch .LBB380_1187
.LBB380_1185:
	s_wait_loadcnt 0x0
	v_dual_mov_b32 v6, 0 :: v_dual_mov_b32 v4, 0
	v_mov_b32_e32 v2, 0
.LBB380_1186:
	s_mov_b32 s0, 0
.LBB380_1187:
	s_delay_alu instid0(SALU_CYCLE_1)
	s_and_not1_b32 vcc_lo, exec_lo, s0
	s_cbranch_vccnz .LBB380_1190
; %bb.1188:
	v_mov_b32_e32 v1, 0
	s_and_not1_b32 vcc_lo, exec_lo, s35
	s_delay_alu instid0(VALU_DEP_1) | instskip(NEXT) | instid1(VALU_DEP_1)
	v_mul_u64_e32 v[2:3], s[20:21], v[0:1]
	v_add_nc_u32_e32 v2, v0, v3
	s_wait_loadcnt 0x0
	s_delay_alu instid0(VALU_DEP_1) | instskip(NEXT) | instid1(VALU_DEP_1)
	v_lshrrev_b32_e32 v8, s14, v2
	v_mul_lo_u32 v2, v8, s12
	s_delay_alu instid0(VALU_DEP_1) | instskip(NEXT) | instid1(VALU_DEP_1)
	v_sub_nc_u32_e32 v0, v0, v2
	v_mul_lo_u32 v2, v0, s16
	v_mul_lo_u32 v6, v0, s18
	;; [unrolled: 1-line block ×3, first 2 shown]
	s_cbranch_vccnz .LBB380_1190
; %bb.1189:
	v_mov_b32_e32 v9, v1
	s_delay_alu instid0(VALU_DEP_1) | instskip(NEXT) | instid1(VALU_DEP_1)
	v_mul_u64_e32 v[0:1], s[24:25], v[8:9]
	v_add_nc_u32_e32 v0, v8, v1
	s_delay_alu instid0(VALU_DEP_1) | instskip(NEXT) | instid1(VALU_DEP_1)
	v_lshrrev_b32_e32 v0, s1, v0
	v_mul_lo_u32 v0, v0, s15
	s_delay_alu instid0(VALU_DEP_1) | instskip(NEXT) | instid1(VALU_DEP_1)
	v_sub_nc_u32_e32 v0, v8, v0
	v_mad_u32 v2, v0, s19, v2
	v_mad_u32 v4, v0, s22, v4
	;; [unrolled: 1-line block ×3, first 2 shown]
.LBB380_1190:
	s_wait_loadcnt 0x0
	v_mov_b32_e32 v5, 0
	s_and_b32 s0, s34, 0xff
	s_delay_alu instid0(SALU_CYCLE_1) | instskip(NEXT) | instid1(VALU_DEP_1)
	s_cmp_lt_i32 s0, 11
	v_add_nc_u64_e32 v[8:9], s[6:7], v[4:5]
	s_cbranch_scc1 .LBB380_1197
; %bb.1191:
	s_and_b32 s1, 0xffff, s0
	s_mov_b32 s7, 0
	s_cmp_gt_i32 s1, 25
	s_cbranch_scc0 .LBB380_1198
; %bb.1192:
	s_cmp_gt_i32 s1, 28
	s_cbranch_scc0 .LBB380_1199
; %bb.1193:
	;; [unrolled: 3-line block ×4, first 2 shown]
	s_cmp_eq_u32 s1, 46
	s_mov_b32 s14, 0
	s_cbranch_scc0 .LBB380_1204
; %bb.1196:
	global_load_b32 v0, v[8:9], off
	s_mov_b32 s6, 0
	s_mov_b32 s12, -1
	s_wait_loadcnt 0x0
	v_lshlrev_b32_e32 v0, 16, v0
	s_delay_alu instid0(VALU_DEP_1)
	v_cvt_i32_f32_e32 v4, v0
	s_branch .LBB380_1206
.LBB380_1197:
	s_mov_b32 s1, -1
	s_mov_b32 s12, 0
	s_mov_b32 s7, 0
	;; [unrolled: 1-line block ×3, first 2 shown]
                                        ; implicit-def: $vgpr4
	s_branch .LBB380_1265
.LBB380_1198:
	s_mov_b32 s14, -1
	s_mov_b32 s12, 0
	s_mov_b32 s6, s48
                                        ; implicit-def: $vgpr4
	s_branch .LBB380_1233
.LBB380_1199:
	s_mov_b32 s14, -1
	s_mov_b32 s12, 0
	s_mov_b32 s6, s48
                                        ; implicit-def: $vgpr4
	s_branch .LBB380_1216
.LBB380_1200:
	s_mov_b32 s14, -1
	s_mov_b32 s12, 0
	s_mov_b32 s6, s48
                                        ; implicit-def: $vgpr4
	s_branch .LBB380_1211
.LBB380_1201:
	s_mov_b32 s14, -1
	s_mov_b32 s12, 0
	s_mov_b32 s6, s48
	s_branch .LBB380_1205
.LBB380_1202:
	s_and_not1_saveexec_b32 s53, s53
	s_cbranch_execz .LBB380_1084
.LBB380_1203:
	v_add_f32_e32 v1, 0x46000000, v4
	s_and_not1_b32 s52, s52, exec_lo
	s_delay_alu instid0(VALU_DEP_1) | instskip(NEXT) | instid1(VALU_DEP_1)
	v_and_b32_e32 v1, 0xff, v1
	v_cmp_ne_u32_e32 vcc_lo, 0, v1
	s_and_b32 s54, vcc_lo, exec_lo
	s_delay_alu instid0(SALU_CYCLE_1)
	s_or_b32 s52, s52, s54
	s_or_b32 exec_lo, exec_lo, s53
	v_mov_b32_e32 v5, 0
	s_and_saveexec_b32 s53, s52
	s_cbranch_execnz .LBB380_1085
	s_branch .LBB380_1086
.LBB380_1204:
	s_mov_b32 s6, -1
	s_mov_b32 s12, 0
.LBB380_1205:
                                        ; implicit-def: $vgpr4
.LBB380_1206:
	s_and_b32 vcc_lo, exec_lo, s14
	s_cbranch_vccz .LBB380_1210
; %bb.1207:
	s_cmp_eq_u32 s1, 44
	s_cbranch_scc0 .LBB380_1209
; %bb.1208:
	global_load_u8 v0, v[8:9], off
	s_mov_b32 s6, 0
	s_mov_b32 s12, -1
	s_wait_loadcnt 0x0
	v_lshlrev_b32_e32 v1, 23, v0
	v_cmp_ne_u32_e32 vcc_lo, 0, v0
	s_delay_alu instid0(VALU_DEP_2) | instskip(NEXT) | instid1(VALU_DEP_1)
	v_cvt_i32_f32_e32 v1, v1
	v_cndmask_b32_e32 v4, 0, v1, vcc_lo
	s_branch .LBB380_1210
.LBB380_1209:
	s_mov_b32 s6, -1
                                        ; implicit-def: $vgpr4
.LBB380_1210:
	s_mov_b32 s14, 0
.LBB380_1211:
	s_delay_alu instid0(SALU_CYCLE_1)
	s_and_b32 vcc_lo, exec_lo, s14
	s_cbranch_vccz .LBB380_1215
; %bb.1212:
	s_cmp_eq_u32 s1, 29
	s_cbranch_scc0 .LBB380_1214
; %bb.1213:
	global_load_b64 v[4:5], v[8:9], off
	s_mov_b32 s6, 0
	s_mov_b32 s12, -1
	s_branch .LBB380_1215
.LBB380_1214:
	s_mov_b32 s6, -1
                                        ; implicit-def: $vgpr4
.LBB380_1215:
	s_mov_b32 s14, 0
.LBB380_1216:
	s_delay_alu instid0(SALU_CYCLE_1)
	s_and_b32 vcc_lo, exec_lo, s14
	s_cbranch_vccz .LBB380_1232
; %bb.1217:
	s_cmp_lt_i32 s1, 27
	s_cbranch_scc1 .LBB380_1220
; %bb.1218:
	s_cmp_gt_i32 s1, 27
	s_cbranch_scc0 .LBB380_1221
; %bb.1219:
	s_wait_loadcnt 0x0
	global_load_b32 v4, v[8:9], off
	s_mov_b32 s12, 0
	s_branch .LBB380_1222
.LBB380_1220:
	s_mov_b32 s12, -1
                                        ; implicit-def: $vgpr4
	s_branch .LBB380_1225
.LBB380_1221:
	s_mov_b32 s12, -1
                                        ; implicit-def: $vgpr4
.LBB380_1222:
	s_delay_alu instid0(SALU_CYCLE_1)
	s_and_not1_b32 vcc_lo, exec_lo, s12
	s_cbranch_vccnz .LBB380_1224
; %bb.1223:
	s_wait_loadcnt 0x0
	global_load_u16 v4, v[8:9], off
.LBB380_1224:
	s_mov_b32 s12, 0
.LBB380_1225:
	s_delay_alu instid0(SALU_CYCLE_1)
	s_and_not1_b32 vcc_lo, exec_lo, s12
	s_cbranch_vccnz .LBB380_1231
; %bb.1226:
	global_load_u8 v0, v[8:9], off
	s_mov_b32 s14, 0
	s_mov_b32 s12, exec_lo
	s_wait_loadcnt 0x0
	v_cmpx_lt_i16_e32 0x7f, v0
	s_xor_b32 s12, exec_lo, s12
	s_cbranch_execz .LBB380_1243
; %bb.1227:
	v_cmp_ne_u16_e32 vcc_lo, 0x80, v0
	s_and_b32 s14, vcc_lo, exec_lo
	s_and_not1_saveexec_b32 s12, s12
	s_cbranch_execnz .LBB380_1244
.LBB380_1228:
	s_or_b32 exec_lo, exec_lo, s12
	v_mov_b32_e32 v4, 0
	s_and_saveexec_b32 s12, s14
	s_cbranch_execz .LBB380_1230
.LBB380_1229:
	v_and_b32_e32 v1, 0xffff, v0
	s_delay_alu instid0(VALU_DEP_1) | instskip(SKIP_1) | instid1(VALU_DEP_2)
	v_and_b32_e32 v3, 7, v1
	v_bfe_u32 v7, v1, 3, 4
	v_clz_i32_u32_e32 v4, v3
	s_delay_alu instid0(VALU_DEP_2) | instskip(NEXT) | instid1(VALU_DEP_2)
	v_cmp_eq_u32_e32 vcc_lo, 0, v7
	v_min_u32_e32 v4, 32, v4
	s_delay_alu instid0(VALU_DEP_1) | instskip(NEXT) | instid1(VALU_DEP_1)
	v_subrev_nc_u32_e32 v5, 28, v4
	v_dual_lshlrev_b32 v1, v5, v1 :: v_dual_sub_nc_u32 v4, 29, v4
	s_delay_alu instid0(VALU_DEP_1) | instskip(NEXT) | instid1(VALU_DEP_1)
	v_dual_lshlrev_b32 v0, 24, v0 :: v_dual_bitop2_b32 v1, 7, v1 bitop3:0x40
	v_cndmask_b32_e32 v1, v3, v1, vcc_lo
	s_delay_alu instid0(VALU_DEP_3) | instskip(NEXT) | instid1(VALU_DEP_3)
	v_cndmask_b32_e32 v4, v7, v4, vcc_lo
	v_and_b32_e32 v0, 0x80000000, v0
	s_delay_alu instid0(VALU_DEP_3) | instskip(NEXT) | instid1(VALU_DEP_3)
	v_lshlrev_b32_e32 v1, 20, v1
	v_lshl_add_u32 v3, v4, 23, 0x3b800000
	s_delay_alu instid0(VALU_DEP_1) | instskip(NEXT) | instid1(VALU_DEP_1)
	v_or3_b32 v0, v0, v3, v1
	v_cvt_i32_f32_e32 v4, v0
.LBB380_1230:
	s_or_b32 exec_lo, exec_lo, s12
.LBB380_1231:
	s_mov_b32 s12, -1
.LBB380_1232:
	s_mov_b32 s14, 0
.LBB380_1233:
	s_delay_alu instid0(SALU_CYCLE_1)
	s_and_b32 vcc_lo, exec_lo, s14
	s_cbranch_vccz .LBB380_1264
; %bb.1234:
	s_cmp_gt_i32 s1, 22
	s_cbranch_scc0 .LBB380_1242
; %bb.1235:
	s_cmp_lt_i32 s1, 24
	s_cbranch_scc1 .LBB380_1245
; %bb.1236:
	s_cmp_gt_i32 s1, 24
	s_cbranch_scc0 .LBB380_1246
; %bb.1237:
	global_load_u8 v0, v[8:9], off
	s_mov_b32 s12, 0
	s_mov_b32 s7, exec_lo
	s_wait_loadcnt 0x0
	v_cmpx_lt_i16_e32 0x7f, v0
	s_xor_b32 s7, exec_lo, s7
	s_cbranch_execz .LBB380_1258
; %bb.1238:
	v_cmp_ne_u16_e32 vcc_lo, 0x80, v0
	s_and_b32 s12, vcc_lo, exec_lo
	s_and_not1_saveexec_b32 s7, s7
	s_cbranch_execnz .LBB380_1259
.LBB380_1239:
	s_or_b32 exec_lo, exec_lo, s7
	v_mov_b32_e32 v4, 0
	s_and_saveexec_b32 s7, s12
	s_cbranch_execz .LBB380_1241
.LBB380_1240:
	v_and_b32_e32 v1, 0xffff, v0
	s_delay_alu instid0(VALU_DEP_1) | instskip(SKIP_1) | instid1(VALU_DEP_2)
	v_and_b32_e32 v3, 3, v1
	v_bfe_u32 v7, v1, 2, 5
	v_clz_i32_u32_e32 v4, v3
	s_delay_alu instid0(VALU_DEP_2) | instskip(NEXT) | instid1(VALU_DEP_2)
	v_cmp_eq_u32_e32 vcc_lo, 0, v7
	v_min_u32_e32 v4, 32, v4
	s_delay_alu instid0(VALU_DEP_1) | instskip(NEXT) | instid1(VALU_DEP_1)
	v_subrev_nc_u32_e32 v5, 29, v4
	v_dual_lshlrev_b32 v1, v5, v1 :: v_dual_sub_nc_u32 v4, 30, v4
	s_delay_alu instid0(VALU_DEP_1) | instskip(NEXT) | instid1(VALU_DEP_1)
	v_dual_lshlrev_b32 v0, 24, v0 :: v_dual_bitop2_b32 v1, 3, v1 bitop3:0x40
	v_cndmask_b32_e32 v1, v3, v1, vcc_lo
	s_delay_alu instid0(VALU_DEP_3) | instskip(NEXT) | instid1(VALU_DEP_3)
	v_cndmask_b32_e32 v4, v7, v4, vcc_lo
	v_and_b32_e32 v0, 0x80000000, v0
	s_delay_alu instid0(VALU_DEP_3) | instskip(NEXT) | instid1(VALU_DEP_3)
	v_lshlrev_b32_e32 v1, 21, v1
	v_lshl_add_u32 v3, v4, 23, 0x37800000
	s_delay_alu instid0(VALU_DEP_1) | instskip(NEXT) | instid1(VALU_DEP_1)
	v_or3_b32 v0, v0, v3, v1
	v_cvt_i32_f32_e32 v4, v0
.LBB380_1241:
	s_or_b32 exec_lo, exec_lo, s7
	s_mov_b32 s7, 0
	s_branch .LBB380_1247
.LBB380_1242:
	s_mov_b32 s7, -1
                                        ; implicit-def: $vgpr4
	s_branch .LBB380_1253
.LBB380_1243:
	s_and_not1_saveexec_b32 s12, s12
	s_cbranch_execz .LBB380_1228
.LBB380_1244:
	v_cmp_ne_u16_e32 vcc_lo, 0, v0
	s_and_not1_b32 s14, s14, exec_lo
	s_and_b32 s15, vcc_lo, exec_lo
	s_delay_alu instid0(SALU_CYCLE_1)
	s_or_b32 s14, s14, s15
	s_or_b32 exec_lo, exec_lo, s12
	v_mov_b32_e32 v4, 0
	s_and_saveexec_b32 s12, s14
	s_cbranch_execnz .LBB380_1229
	s_branch .LBB380_1230
.LBB380_1245:
	s_mov_b32 s7, -1
                                        ; implicit-def: $vgpr4
	s_branch .LBB380_1250
.LBB380_1246:
	s_mov_b32 s7, -1
                                        ; implicit-def: $vgpr4
.LBB380_1247:
	s_delay_alu instid0(SALU_CYCLE_1)
	s_and_b32 vcc_lo, exec_lo, s7
	s_cbranch_vccz .LBB380_1249
; %bb.1248:
	global_load_u8 v0, v[8:9], off
	s_wait_loadcnt 0x0
	v_lshlrev_b32_e32 v0, 24, v0
	s_delay_alu instid0(VALU_DEP_1) | instskip(NEXT) | instid1(VALU_DEP_1)
	v_and_b32_e32 v1, 0x7f000000, v0
	v_clz_i32_u32_e32 v3, v1
	v_add_nc_u32_e32 v5, 0x1000000, v1
	v_cmp_ne_u32_e32 vcc_lo, 0, v1
	s_delay_alu instid0(VALU_DEP_3) | instskip(NEXT) | instid1(VALU_DEP_1)
	v_min_u32_e32 v3, 32, v3
	v_sub_nc_u32_e64 v3, v3, 4 clamp
	s_delay_alu instid0(VALU_DEP_1) | instskip(NEXT) | instid1(VALU_DEP_1)
	v_dual_lshlrev_b32 v4, v3, v1 :: v_dual_lshlrev_b32 v3, 23, v3
	v_lshrrev_b32_e32 v4, 4, v4
	s_delay_alu instid0(VALU_DEP_1) | instskip(NEXT) | instid1(VALU_DEP_1)
	v_dual_sub_nc_u32 v3, v4, v3 :: v_dual_ashrrev_i32 v4, 8, v5
	v_add_nc_u32_e32 v3, 0x3c000000, v3
	s_delay_alu instid0(VALU_DEP_1) | instskip(NEXT) | instid1(VALU_DEP_1)
	v_and_or_b32 v3, 0x7f800000, v4, v3
	v_cndmask_b32_e32 v1, 0, v3, vcc_lo
	s_delay_alu instid0(VALU_DEP_1) | instskip(NEXT) | instid1(VALU_DEP_1)
	v_and_or_b32 v0, 0x80000000, v0, v1
	v_cvt_i32_f32_e32 v4, v0
.LBB380_1249:
	s_mov_b32 s7, 0
.LBB380_1250:
	s_delay_alu instid0(SALU_CYCLE_1)
	s_and_not1_b32 vcc_lo, exec_lo, s7
	s_cbranch_vccnz .LBB380_1252
; %bb.1251:
	global_load_u8 v0, v[8:9], off
	s_wait_loadcnt 0x0
	v_lshlrev_b32_e32 v1, 25, v0
	v_lshlrev_b16 v0, 8, v0
	s_delay_alu instid0(VALU_DEP_2) | instskip(NEXT) | instid1(VALU_DEP_2)
	v_cmp_gt_u32_e32 vcc_lo, 0x8000000, v1
	v_and_or_b32 v4, 0x7f00, v0, 0.5
	v_lshrrev_b32_e32 v3, 4, v1
	v_bfe_i32 v0, v0, 0, 16
	s_delay_alu instid0(VALU_DEP_3) | instskip(NEXT) | instid1(VALU_DEP_3)
	v_add_f32_e32 v4, -0.5, v4
	v_or_b32_e32 v3, 0x70000000, v3
	s_delay_alu instid0(VALU_DEP_1) | instskip(NEXT) | instid1(VALU_DEP_1)
	v_mul_f32_e32 v3, 0x7800000, v3
	v_cndmask_b32_e32 v1, v3, v4, vcc_lo
	s_delay_alu instid0(VALU_DEP_1) | instskip(NEXT) | instid1(VALU_DEP_1)
	v_and_or_b32 v0, 0x80000000, v0, v1
	v_cvt_i32_f32_e32 v4, v0
.LBB380_1252:
	s_mov_b32 s7, 0
	s_mov_b32 s12, -1
.LBB380_1253:
	s_and_not1_b32 vcc_lo, exec_lo, s7
	s_mov_b32 s7, 0
	s_cbranch_vccnz .LBB380_1264
; %bb.1254:
	s_cmp_gt_i32 s1, 14
	s_cbranch_scc0 .LBB380_1257
; %bb.1255:
	s_cmp_eq_u32 s1, 15
	s_cbranch_scc0 .LBB380_1260
; %bb.1256:
	global_load_u16 v0, v[8:9], off
	s_mov_b32 s6, 0
	s_mov_b32 s12, -1
	s_wait_loadcnt 0x0
	v_lshlrev_b32_e32 v0, 16, v0
	s_delay_alu instid0(VALU_DEP_1)
	v_cvt_i32_f32_e32 v4, v0
	s_branch .LBB380_1262
.LBB380_1257:
	s_mov_b32 s7, -1
	s_branch .LBB380_1261
.LBB380_1258:
	s_and_not1_saveexec_b32 s7, s7
	s_cbranch_execz .LBB380_1239
.LBB380_1259:
	v_cmp_ne_u16_e32 vcc_lo, 0, v0
	s_and_not1_b32 s12, s12, exec_lo
	s_and_b32 s14, vcc_lo, exec_lo
	s_delay_alu instid0(SALU_CYCLE_1)
	s_or_b32 s12, s12, s14
	s_or_b32 exec_lo, exec_lo, s7
	v_mov_b32_e32 v4, 0
	s_and_saveexec_b32 s7, s12
	s_cbranch_execnz .LBB380_1240
	s_branch .LBB380_1241
.LBB380_1260:
	s_mov_b32 s6, -1
.LBB380_1261:
                                        ; implicit-def: $vgpr4
.LBB380_1262:
	s_and_b32 vcc_lo, exec_lo, s7
	s_mov_b32 s7, 0
	s_cbranch_vccz .LBB380_1264
; %bb.1263:
	s_cmp_lg_u32 s1, 11
	s_mov_b32 s7, -1
	s_cselect_b32 s1, -1, 0
	s_and_not1_b32 s6, s6, exec_lo
	s_and_b32 s1, s1, exec_lo
	s_delay_alu instid0(SALU_CYCLE_1)
	s_or_b32 s6, s6, s1
.LBB380_1264:
	s_mov_b32 s1, 0
.LBB380_1265:
	s_delay_alu instid0(SALU_CYCLE_1)
	s_and_b32 s51, s1, exec_lo
	s_and_not1_b32 s1, s48, exec_lo
	s_and_b32 s6, s6, exec_lo
	s_and_b32 s26, s12, exec_lo
	;; [unrolled: 1-line block ×3, first 2 shown]
	s_or_b32 s52, s1, s6
.LBB380_1266:
	s_wait_xcnt 0x0
	s_or_b32 exec_lo, exec_lo, s37
	s_delay_alu instid0(SALU_CYCLE_1)
	s_and_not1_b32 s1, s48, exec_lo
	s_and_b32 s6, s52, exec_lo
	s_and_b32 s26, s26, exec_lo
	s_and_b32 s51, s51, exec_lo
	s_and_b32 s27, s27, exec_lo
	s_or_b32 s48, s1, s6
.LBB380_1267:
	s_or_b32 exec_lo, exec_lo, s47
	s_delay_alu instid0(SALU_CYCLE_1)
	s_and_not1_b32 s1, s44, exec_lo
	s_and_b32 s6, s49, exec_lo
	s_and_not1_b32 s7, s45, exec_lo
	s_and_b32 s12, s50, exec_lo
	s_or_b32 s44, s1, s6
	s_and_not1_b32 s1, s43, exec_lo
	s_and_b32 s6, s48, exec_lo
	s_or_b32 s45, s7, s12
	s_and_b32 s26, s26, exec_lo
	s_and_b32 s47, s51, exec_lo
	;; [unrolled: 1-line block ×3, first 2 shown]
	s_or_b32 s43, s1, s6
.LBB380_1268:
	s_or_b32 exec_lo, exec_lo, s46
	s_delay_alu instid0(SALU_CYCLE_1)
	s_and_not1_b32 s1, s39, exec_lo
	s_and_b32 s6, s44, exec_lo
	s_and_not1_b32 s7, s40, exec_lo
	s_and_b32 s12, s45, exec_lo
	s_or_b32 s39, s1, s6
	s_and_not1_b32 s1, s41, exec_lo
	s_and_b32 s6, s43, exec_lo
	s_or_b32 s40, s7, s12
	s_and_b32 s26, s26, exec_lo
	s_and_b32 s44, s47, exec_lo
	;; [unrolled: 1-line block ×3, first 2 shown]
	s_or_b32 s41, s1, s6
	s_or_b32 exec_lo, exec_lo, s42
	s_mov_b32 s1, 0
	s_and_saveexec_b32 s6, s41
	s_cbranch_execz .LBB380_394
.LBB380_1269:
	s_mov_b32 s1, exec_lo
	s_and_not1_b32 s21, s21, exec_lo
	s_trap 2
	s_or_b32 exec_lo, exec_lo, s6
	s_and_saveexec_b32 s6, s21
	s_delay_alu instid0(SALU_CYCLE_1)
	s_xor_b32 s6, exec_lo, s6
	s_cbranch_execnz .LBB380_395
.LBB380_1270:
	s_or_b32 exec_lo, exec_lo, s6
	s_and_saveexec_b32 s6, s44
	s_cbranch_execz .LBB380_1316
.LBB380_1271:
	s_sext_i32_i16 s7, s0
	s_delay_alu instid0(SALU_CYCLE_1)
	s_cmp_lt_i32 s7, 5
	s_cbranch_scc1 .LBB380_1276
; %bb.1272:
	s_cmp_lt_i32 s7, 8
	s_cbranch_scc1 .LBB380_1277
; %bb.1273:
	;; [unrolled: 3-line block ×3, first 2 shown]
	s_cmp_gt_i32 s7, 9
	s_cbranch_scc0 .LBB380_1279
; %bb.1275:
	s_wait_loadcnt 0x0
	global_load_b64 v[0:1], v[8:9], off
	s_mov_b32 s7, 0
	s_wait_loadcnt 0x0
	v_cvt_i32_f64_e32 v4, v[0:1]
	s_branch .LBB380_1280
.LBB380_1276:
                                        ; implicit-def: $vgpr4
	s_branch .LBB380_1297
.LBB380_1277:
                                        ; implicit-def: $vgpr4
	s_branch .LBB380_1286
.LBB380_1278:
	s_mov_b32 s7, -1
                                        ; implicit-def: $vgpr4
	s_branch .LBB380_1283
.LBB380_1279:
	s_mov_b32 s7, -1
                                        ; implicit-def: $vgpr4
.LBB380_1280:
	s_delay_alu instid0(SALU_CYCLE_1)
	s_and_not1_b32 vcc_lo, exec_lo, s7
	s_cbranch_vccnz .LBB380_1282
; %bb.1281:
	s_wait_loadcnt 0x0
	global_load_b32 v0, v[8:9], off
	s_wait_loadcnt 0x0
	v_cvt_i32_f32_e32 v4, v0
.LBB380_1282:
	s_mov_b32 s7, 0
.LBB380_1283:
	s_delay_alu instid0(SALU_CYCLE_1)
	s_and_not1_b32 vcc_lo, exec_lo, s7
	s_cbranch_vccnz .LBB380_1285
; %bb.1284:
	s_wait_loadcnt 0x0
	global_load_b32 v0, v[8:9], off
	s_wait_loadcnt 0x0
	v_cvt_i16_f16_e32 v4, v0
.LBB380_1285:
	s_cbranch_execnz .LBB380_1296
.LBB380_1286:
	s_sext_i32_i16 s7, s0
	s_delay_alu instid0(SALU_CYCLE_1)
	s_cmp_lt_i32 s7, 6
	s_cbranch_scc1 .LBB380_1289
; %bb.1287:
	s_cmp_gt_i32 s7, 6
	s_cbranch_scc0 .LBB380_1290
; %bb.1288:
	s_wait_loadcnt 0x0
	global_load_b64 v[0:1], v[8:9], off
	s_mov_b32 s7, 0
	s_wait_loadcnt 0x0
	v_cvt_i32_f64_e32 v4, v[0:1]
	s_branch .LBB380_1291
.LBB380_1289:
	s_mov_b32 s7, -1
                                        ; implicit-def: $vgpr4
	s_branch .LBB380_1294
.LBB380_1290:
	s_mov_b32 s7, -1
                                        ; implicit-def: $vgpr4
.LBB380_1291:
	s_delay_alu instid0(SALU_CYCLE_1)
	s_and_not1_b32 vcc_lo, exec_lo, s7
	s_cbranch_vccnz .LBB380_1293
; %bb.1292:
	s_wait_loadcnt 0x0
	global_load_b32 v0, v[8:9], off
	s_wait_loadcnt 0x0
	v_cvt_i32_f32_e32 v4, v0
.LBB380_1293:
	s_mov_b32 s7, 0
.LBB380_1294:
	s_delay_alu instid0(SALU_CYCLE_1)
	s_and_not1_b32 vcc_lo, exec_lo, s7
	s_cbranch_vccnz .LBB380_1296
; %bb.1295:
	s_wait_loadcnt 0x0
	global_load_u16 v0, v[8:9], off
	s_wait_loadcnt 0x0
	v_cvt_i16_f16_e32 v4, v0
.LBB380_1296:
	s_cbranch_execnz .LBB380_1315
.LBB380_1297:
	s_sext_i32_i16 s7, s0
	s_delay_alu instid0(SALU_CYCLE_1)
	s_cmp_lt_i32 s7, 2
	s_cbranch_scc1 .LBB380_1301
; %bb.1298:
	s_cmp_lt_i32 s7, 3
	s_cbranch_scc1 .LBB380_1302
; %bb.1299:
	s_cmp_gt_i32 s7, 3
	s_cbranch_scc0 .LBB380_1303
; %bb.1300:
	s_wait_loadcnt 0x0
	global_load_b64 v[4:5], v[8:9], off
	s_mov_b32 s7, 0
	s_branch .LBB380_1304
.LBB380_1301:
                                        ; implicit-def: $vgpr4
	s_branch .LBB380_1310
.LBB380_1302:
	s_mov_b32 s7, -1
                                        ; implicit-def: $vgpr4
	s_branch .LBB380_1307
.LBB380_1303:
	s_mov_b32 s7, -1
                                        ; implicit-def: $vgpr4
.LBB380_1304:
	s_delay_alu instid0(SALU_CYCLE_1)
	s_and_not1_b32 vcc_lo, exec_lo, s7
	s_cbranch_vccnz .LBB380_1306
; %bb.1305:
	s_wait_loadcnt 0x0
	global_load_b32 v4, v[8:9], off
.LBB380_1306:
	s_mov_b32 s7, 0
.LBB380_1307:
	s_delay_alu instid0(SALU_CYCLE_1)
	s_and_not1_b32 vcc_lo, exec_lo, s7
	s_cbranch_vccnz .LBB380_1309
; %bb.1308:
	s_wait_loadcnt 0x0
	global_load_u16 v4, v[8:9], off
.LBB380_1309:
	s_cbranch_execnz .LBB380_1315
.LBB380_1310:
	s_sext_i32_i16 s0, s0
	s_delay_alu instid0(SALU_CYCLE_1)
	s_cmp_gt_i32 s0, 0
	s_mov_b32 s0, 0
	s_cbranch_scc0 .LBB380_1312
; %bb.1311:
	s_wait_loadcnt 0x0
	global_load_u8 v4, v[8:9], off
	s_branch .LBB380_1313
.LBB380_1312:
	s_mov_b32 s0, -1
                                        ; implicit-def: $vgpr4
.LBB380_1313:
	s_delay_alu instid0(SALU_CYCLE_1)
	s_and_not1_b32 vcc_lo, exec_lo, s0
	s_cbranch_vccnz .LBB380_1315
; %bb.1314:
	s_wait_loadcnt 0x0
	global_load_u8 v4, v[8:9], off
.LBB380_1315:
	s_or_b32 s26, s26, exec_lo
.LBB380_1316:
	s_wait_xcnt 0x0
	s_or_b32 exec_lo, exec_lo, s6
	s_mov_b32 s14, 0
	s_mov_b32 s7, 0
	;; [unrolled: 1-line block ×3, first 2 shown]
                                        ; implicit-def: $sgpr0
                                        ; implicit-def: $vgpr0_vgpr1
                                        ; implicit-def: $vgpr8
	s_and_saveexec_b32 s6, s26
	s_cbranch_execz .LBB380_1324
; %bb.1317:
	v_mov_b32_e32 v7, 0
	s_and_b32 s0, s13, 0xff
	s_delay_alu instid0(SALU_CYCLE_1) | instskip(NEXT) | instid1(VALU_DEP_1)
	s_cmp_lt_i32 s0, 11
	v_add_nc_u64_e32 v[0:1], s[8:9], v[6:7]
	s_cbranch_scc1 .LBB380_1327
; %bb.1318:
	s_and_b32 s7, 0xffff, s0
	s_mov_b32 s9, 0
	s_cmp_gt_i32 s7, 25
	s_cbranch_scc0 .LBB380_1328
; %bb.1319:
	s_cmp_gt_i32 s7, 28
	s_cbranch_scc0 .LBB380_1329
; %bb.1320:
	;; [unrolled: 3-line block ×4, first 2 shown]
	s_cmp_eq_u32 s7, 46
	s_mov_b32 s13, 0
	s_cbranch_scc0 .LBB380_1332
; %bb.1323:
	global_load_b32 v3, v[0:1], off
	s_mov_b32 s8, 0
	s_mov_b32 s12, -1
	s_wait_loadcnt 0x0
	v_lshlrev_b32_e32 v3, 16, v3
	s_delay_alu instid0(VALU_DEP_1)
	v_cvt_i32_f32_e32 v8, v3
	s_branch .LBB380_1334
.LBB380_1324:
	s_or_b32 exec_lo, exec_lo, s6
	s_and_saveexec_b32 s6, s40
	s_cbranch_execnz .LBB380_1393
.LBB380_1325:
	s_or_b32 exec_lo, exec_lo, s6
	s_and_saveexec_b32 s6, s14
	s_delay_alu instid0(SALU_CYCLE_1)
	s_xor_b32 s6, exec_lo, s6
	s_cbranch_execz .LBB380_1394
.LBB380_1326:
	global_load_u8 v3, v[0:1], off
	s_or_b32 s12, s12, exec_lo
	s_wait_loadcnt 0x0
	v_cmp_ne_u16_e32 vcc_lo, 0, v3
	v_cndmask_b32_e64 v8, 0, 1, vcc_lo
	s_wait_xcnt 0x0
	s_or_b32 exec_lo, exec_lo, s6
	s_and_saveexec_b32 s6, s7
	s_cbranch_execz .LBB380_1440
	s_branch .LBB380_1395
.LBB380_1327:
	s_mov_b32 s7, -1
	s_mov_b32 s9, 0
	s_mov_b32 s8, s40
                                        ; implicit-def: $vgpr8
	s_branch .LBB380_1392
.LBB380_1328:
	s_mov_b32 s8, s40
                                        ; implicit-def: $vgpr8
	s_cbranch_execnz .LBB380_1361
	s_branch .LBB380_1391
.LBB380_1329:
	s_mov_b32 s13, -1
	s_mov_b32 s8, s40
                                        ; implicit-def: $vgpr8
	s_branch .LBB380_1344
.LBB380_1330:
	s_mov_b32 s13, -1
	s_mov_b32 s8, s40
                                        ; implicit-def: $vgpr8
	s_branch .LBB380_1339
.LBB380_1331:
	s_mov_b32 s13, -1
	s_mov_b32 s8, s40
	s_branch .LBB380_1333
.LBB380_1332:
	s_mov_b32 s8, -1
.LBB380_1333:
                                        ; implicit-def: $vgpr8
.LBB380_1334:
	s_and_b32 vcc_lo, exec_lo, s13
	s_cbranch_vccz .LBB380_1338
; %bb.1335:
	s_cmp_eq_u32 s7, 44
	s_cbranch_scc0 .LBB380_1337
; %bb.1336:
	global_load_u8 v3, v[0:1], off
	s_mov_b32 s8, 0
	s_mov_b32 s12, -1
	s_wait_loadcnt 0x0
	v_lshlrev_b32_e32 v5, 23, v3
	v_cmp_ne_u32_e32 vcc_lo, 0, v3
	s_delay_alu instid0(VALU_DEP_2) | instskip(NEXT) | instid1(VALU_DEP_1)
	v_cvt_i32_f32_e32 v5, v5
	v_cndmask_b32_e32 v8, 0, v5, vcc_lo
	s_branch .LBB380_1338
.LBB380_1337:
	s_mov_b32 s8, -1
                                        ; implicit-def: $vgpr8
.LBB380_1338:
	s_mov_b32 s13, 0
.LBB380_1339:
	s_delay_alu instid0(SALU_CYCLE_1)
	s_and_b32 vcc_lo, exec_lo, s13
	s_cbranch_vccz .LBB380_1343
; %bb.1340:
	s_cmp_eq_u32 s7, 29
	s_cbranch_scc0 .LBB380_1342
; %bb.1341:
	s_wait_loadcnt 0x0
	global_load_b64 v[8:9], v[0:1], off
	s_mov_b32 s8, 0
	s_mov_b32 s12, -1
	s_branch .LBB380_1343
.LBB380_1342:
	s_mov_b32 s8, -1
                                        ; implicit-def: $vgpr8
.LBB380_1343:
	s_mov_b32 s13, 0
.LBB380_1344:
	s_delay_alu instid0(SALU_CYCLE_1)
	s_and_b32 vcc_lo, exec_lo, s13
	s_cbranch_vccz .LBB380_1360
; %bb.1345:
	s_cmp_lt_i32 s7, 27
	s_cbranch_scc1 .LBB380_1348
; %bb.1346:
	s_cmp_gt_i32 s7, 27
	s_cbranch_scc0 .LBB380_1349
; %bb.1347:
	s_wait_loadcnt 0x0
	global_load_b32 v8, v[0:1], off
	s_mov_b32 s12, 0
	s_branch .LBB380_1350
.LBB380_1348:
	s_mov_b32 s12, -1
                                        ; implicit-def: $vgpr8
	s_branch .LBB380_1353
.LBB380_1349:
	s_mov_b32 s12, -1
                                        ; implicit-def: $vgpr8
.LBB380_1350:
	s_delay_alu instid0(SALU_CYCLE_1)
	s_and_not1_b32 vcc_lo, exec_lo, s12
	s_cbranch_vccnz .LBB380_1352
; %bb.1351:
	s_wait_loadcnt 0x0
	global_load_u16 v8, v[0:1], off
.LBB380_1352:
	s_mov_b32 s12, 0
.LBB380_1353:
	s_delay_alu instid0(SALU_CYCLE_1)
	s_and_not1_b32 vcc_lo, exec_lo, s12
	s_cbranch_vccnz .LBB380_1359
; %bb.1354:
	global_load_u8 v3, v[0:1], off
	s_mov_b32 s13, 0
	s_mov_b32 s12, exec_lo
	s_wait_loadcnt 0x0
	v_cmpx_lt_i16_e32 0x7f, v3
	s_xor_b32 s12, exec_lo, s12
	s_cbranch_execz .LBB380_1370
; %bb.1355:
	v_cmp_ne_u16_e32 vcc_lo, 0x80, v3
	s_and_b32 s13, vcc_lo, exec_lo
	s_and_not1_saveexec_b32 s12, s12
	s_cbranch_execnz .LBB380_1371
.LBB380_1356:
	s_or_b32 exec_lo, exec_lo, s12
	v_mov_b32_e32 v8, 0
	s_and_saveexec_b32 s12, s13
	s_cbranch_execz .LBB380_1358
.LBB380_1357:
	v_and_b32_e32 v5, 0xffff, v3
	s_delay_alu instid0(VALU_DEP_1) | instskip(SKIP_1) | instid1(VALU_DEP_2)
	v_and_b32_e32 v6, 7, v5
	v_bfe_u32 v9, v5, 3, 4
	v_clz_i32_u32_e32 v7, v6
	s_delay_alu instid0(VALU_DEP_2) | instskip(NEXT) | instid1(VALU_DEP_2)
	v_cmp_eq_u32_e32 vcc_lo, 0, v9
	v_min_u32_e32 v7, 32, v7
	s_delay_alu instid0(VALU_DEP_1) | instskip(NEXT) | instid1(VALU_DEP_1)
	v_subrev_nc_u32_e32 v8, 28, v7
	v_dual_lshlrev_b32 v5, v8, v5 :: v_dual_sub_nc_u32 v7, 29, v7
	s_delay_alu instid0(VALU_DEP_1) | instskip(NEXT) | instid1(VALU_DEP_1)
	v_dual_lshlrev_b32 v3, 24, v3 :: v_dual_bitop2_b32 v5, 7, v5 bitop3:0x40
	v_dual_cndmask_b32 v5, v6, v5, vcc_lo :: v_dual_cndmask_b32 v7, v9, v7, vcc_lo
	s_delay_alu instid0(VALU_DEP_2) | instskip(NEXT) | instid1(VALU_DEP_2)
	v_and_b32_e32 v3, 0x80000000, v3
	v_lshlrev_b32_e32 v5, 20, v5
	s_delay_alu instid0(VALU_DEP_3) | instskip(NEXT) | instid1(VALU_DEP_1)
	v_lshl_add_u32 v6, v7, 23, 0x3b800000
	v_or3_b32 v3, v3, v6, v5
	s_delay_alu instid0(VALU_DEP_1)
	v_cvt_i32_f32_e32 v8, v3
.LBB380_1358:
	s_or_b32 exec_lo, exec_lo, s12
.LBB380_1359:
	s_mov_b32 s12, -1
.LBB380_1360:
	s_branch .LBB380_1391
.LBB380_1361:
	s_cmp_gt_i32 s7, 22
	s_cbranch_scc0 .LBB380_1369
; %bb.1362:
	s_cmp_lt_i32 s7, 24
	s_cbranch_scc1 .LBB380_1372
; %bb.1363:
	s_cmp_gt_i32 s7, 24
	s_cbranch_scc0 .LBB380_1373
; %bb.1364:
	global_load_u8 v3, v[0:1], off
	s_mov_b32 s12, 0
	s_mov_b32 s9, exec_lo
	s_wait_loadcnt 0x0
	v_cmpx_lt_i16_e32 0x7f, v3
	s_xor_b32 s9, exec_lo, s9
	s_cbranch_execz .LBB380_1385
; %bb.1365:
	v_cmp_ne_u16_e32 vcc_lo, 0x80, v3
	s_and_b32 s12, vcc_lo, exec_lo
	s_and_not1_saveexec_b32 s9, s9
	s_cbranch_execnz .LBB380_1386
.LBB380_1366:
	s_or_b32 exec_lo, exec_lo, s9
	v_mov_b32_e32 v8, 0
	s_and_saveexec_b32 s9, s12
	s_cbranch_execz .LBB380_1368
.LBB380_1367:
	v_and_b32_e32 v5, 0xffff, v3
	s_delay_alu instid0(VALU_DEP_1) | instskip(SKIP_1) | instid1(VALU_DEP_2)
	v_and_b32_e32 v6, 3, v5
	v_bfe_u32 v9, v5, 2, 5
	v_clz_i32_u32_e32 v7, v6
	s_delay_alu instid0(VALU_DEP_2) | instskip(NEXT) | instid1(VALU_DEP_2)
	v_cmp_eq_u32_e32 vcc_lo, 0, v9
	v_min_u32_e32 v7, 32, v7
	s_delay_alu instid0(VALU_DEP_1) | instskip(NEXT) | instid1(VALU_DEP_1)
	v_subrev_nc_u32_e32 v8, 29, v7
	v_dual_lshlrev_b32 v5, v8, v5 :: v_dual_sub_nc_u32 v7, 30, v7
	s_delay_alu instid0(VALU_DEP_1) | instskip(NEXT) | instid1(VALU_DEP_1)
	v_dual_lshlrev_b32 v3, 24, v3 :: v_dual_bitop2_b32 v5, 3, v5 bitop3:0x40
	v_dual_cndmask_b32 v5, v6, v5, vcc_lo :: v_dual_cndmask_b32 v7, v9, v7, vcc_lo
	s_delay_alu instid0(VALU_DEP_2) | instskip(NEXT) | instid1(VALU_DEP_2)
	v_and_b32_e32 v3, 0x80000000, v3
	v_lshlrev_b32_e32 v5, 21, v5
	s_delay_alu instid0(VALU_DEP_3) | instskip(NEXT) | instid1(VALU_DEP_1)
	v_lshl_add_u32 v6, v7, 23, 0x37800000
	v_or3_b32 v3, v3, v6, v5
	s_delay_alu instid0(VALU_DEP_1)
	v_cvt_i32_f32_e32 v8, v3
.LBB380_1368:
	s_or_b32 exec_lo, exec_lo, s9
	s_mov_b32 s9, 0
	s_branch .LBB380_1374
.LBB380_1369:
	s_mov_b32 s9, -1
                                        ; implicit-def: $vgpr8
	s_branch .LBB380_1380
.LBB380_1370:
	s_and_not1_saveexec_b32 s12, s12
	s_cbranch_execz .LBB380_1356
.LBB380_1371:
	v_cmp_ne_u16_e32 vcc_lo, 0, v3
	s_and_not1_b32 s13, s13, exec_lo
	s_and_b32 s14, vcc_lo, exec_lo
	s_delay_alu instid0(SALU_CYCLE_1)
	s_or_b32 s13, s13, s14
	s_or_b32 exec_lo, exec_lo, s12
	v_mov_b32_e32 v8, 0
	s_and_saveexec_b32 s12, s13
	s_cbranch_execnz .LBB380_1357
	s_branch .LBB380_1358
.LBB380_1372:
	s_mov_b32 s9, -1
                                        ; implicit-def: $vgpr8
	s_branch .LBB380_1377
.LBB380_1373:
	s_mov_b32 s9, -1
                                        ; implicit-def: $vgpr8
.LBB380_1374:
	s_delay_alu instid0(SALU_CYCLE_1)
	s_and_b32 vcc_lo, exec_lo, s9
	s_cbranch_vccz .LBB380_1376
; %bb.1375:
	global_load_u8 v3, v[0:1], off
	s_wait_loadcnt 0x0
	v_lshlrev_b32_e32 v3, 24, v3
	s_delay_alu instid0(VALU_DEP_1) | instskip(NEXT) | instid1(VALU_DEP_1)
	v_and_b32_e32 v5, 0x7f000000, v3
	v_clz_i32_u32_e32 v6, v5
	v_cmp_ne_u32_e32 vcc_lo, 0, v5
	v_add_nc_u32_e32 v8, 0x1000000, v5
	s_delay_alu instid0(VALU_DEP_3) | instskip(NEXT) | instid1(VALU_DEP_1)
	v_min_u32_e32 v6, 32, v6
	v_sub_nc_u32_e64 v6, v6, 4 clamp
	s_delay_alu instid0(VALU_DEP_1) | instskip(NEXT) | instid1(VALU_DEP_1)
	v_dual_lshlrev_b32 v7, v6, v5 :: v_dual_lshlrev_b32 v6, 23, v6
	v_lshrrev_b32_e32 v7, 4, v7
	s_delay_alu instid0(VALU_DEP_1) | instskip(NEXT) | instid1(VALU_DEP_1)
	v_dual_sub_nc_u32 v6, v7, v6 :: v_dual_ashrrev_i32 v7, 8, v8
	v_add_nc_u32_e32 v6, 0x3c000000, v6
	s_delay_alu instid0(VALU_DEP_1) | instskip(NEXT) | instid1(VALU_DEP_1)
	v_and_or_b32 v6, 0x7f800000, v7, v6
	v_cndmask_b32_e32 v5, 0, v6, vcc_lo
	s_delay_alu instid0(VALU_DEP_1) | instskip(NEXT) | instid1(VALU_DEP_1)
	v_and_or_b32 v3, 0x80000000, v3, v5
	v_cvt_i32_f32_e32 v8, v3
.LBB380_1376:
	s_mov_b32 s9, 0
.LBB380_1377:
	s_delay_alu instid0(SALU_CYCLE_1)
	s_and_not1_b32 vcc_lo, exec_lo, s9
	s_cbranch_vccnz .LBB380_1379
; %bb.1378:
	global_load_u8 v3, v[0:1], off
	s_wait_loadcnt 0x0
	v_lshlrev_b32_e32 v5, 25, v3
	v_lshlrev_b16 v3, 8, v3
	s_delay_alu instid0(VALU_DEP_1) | instskip(NEXT) | instid1(VALU_DEP_3)
	v_and_or_b32 v7, 0x7f00, v3, 0.5
	v_lshrrev_b32_e32 v6, 4, v5
	v_bfe_i32 v3, v3, 0, 16
	s_delay_alu instid0(VALU_DEP_3) | instskip(NEXT) | instid1(VALU_DEP_3)
	v_add_f32_e32 v7, -0.5, v7
	v_or_b32_e32 v6, 0x70000000, v6
	s_delay_alu instid0(VALU_DEP_1) | instskip(SKIP_1) | instid1(VALU_DEP_2)
	v_mul_f32_e32 v6, 0x7800000, v6
	v_cmp_gt_u32_e32 vcc_lo, 0x8000000, v5
	v_cndmask_b32_e32 v5, v6, v7, vcc_lo
	s_delay_alu instid0(VALU_DEP_1) | instskip(NEXT) | instid1(VALU_DEP_1)
	v_and_or_b32 v3, 0x80000000, v3, v5
	v_cvt_i32_f32_e32 v8, v3
.LBB380_1379:
	s_mov_b32 s9, 0
	s_mov_b32 s12, -1
.LBB380_1380:
	s_and_not1_b32 vcc_lo, exec_lo, s9
	s_mov_b32 s9, 0
	s_cbranch_vccnz .LBB380_1391
; %bb.1381:
	s_cmp_gt_i32 s7, 14
	s_cbranch_scc0 .LBB380_1384
; %bb.1382:
	s_cmp_eq_u32 s7, 15
	s_cbranch_scc0 .LBB380_1387
; %bb.1383:
	global_load_u16 v3, v[0:1], off
	s_mov_b32 s8, 0
	s_mov_b32 s12, -1
	s_wait_loadcnt 0x0
	v_lshlrev_b32_e32 v3, 16, v3
	s_delay_alu instid0(VALU_DEP_1)
	v_cvt_i32_f32_e32 v8, v3
	s_branch .LBB380_1389
.LBB380_1384:
	s_mov_b32 s9, -1
	s_branch .LBB380_1388
.LBB380_1385:
	s_and_not1_saveexec_b32 s9, s9
	s_cbranch_execz .LBB380_1366
.LBB380_1386:
	v_cmp_ne_u16_e32 vcc_lo, 0, v3
	s_and_not1_b32 s12, s12, exec_lo
	s_and_b32 s13, vcc_lo, exec_lo
	s_delay_alu instid0(SALU_CYCLE_1)
	s_or_b32 s12, s12, s13
	s_or_b32 exec_lo, exec_lo, s9
	v_mov_b32_e32 v8, 0
	s_and_saveexec_b32 s9, s12
	s_cbranch_execnz .LBB380_1367
	s_branch .LBB380_1368
.LBB380_1387:
	s_mov_b32 s8, -1
.LBB380_1388:
                                        ; implicit-def: $vgpr8
.LBB380_1389:
	s_and_b32 vcc_lo, exec_lo, s9
	s_mov_b32 s9, 0
	s_cbranch_vccz .LBB380_1391
; %bb.1390:
	s_cmp_lg_u32 s7, 11
	s_mov_b32 s9, -1
	s_cselect_b32 s7, -1, 0
	s_and_not1_b32 s8, s8, exec_lo
	s_and_b32 s7, s7, exec_lo
	s_delay_alu instid0(SALU_CYCLE_1)
	s_or_b32 s8, s8, s7
.LBB380_1391:
	s_mov_b32 s7, 0
.LBB380_1392:
	s_and_not1_b32 s13, s40, exec_lo
	s_and_b32 s8, s8, exec_lo
	s_and_b32 s12, s12, exec_lo
	;; [unrolled: 1-line block ×4, first 2 shown]
	s_or_b32 s40, s13, s8
	s_wait_xcnt 0x0
	s_or_b32 exec_lo, exec_lo, s6
	s_and_saveexec_b32 s6, s40
	s_cbranch_execz .LBB380_1325
.LBB380_1393:
	s_or_b32 s1, s1, exec_lo
	s_and_not1_b32 s14, s14, exec_lo
	s_trap 2
	s_or_b32 exec_lo, exec_lo, s6
	s_and_saveexec_b32 s6, s14
	s_delay_alu instid0(SALU_CYCLE_1)
	s_xor_b32 s6, exec_lo, s6
	s_cbranch_execnz .LBB380_1326
.LBB380_1394:
	s_or_b32 exec_lo, exec_lo, s6
	s_and_saveexec_b32 s6, s7
	s_cbranch_execz .LBB380_1440
.LBB380_1395:
	s_sext_i32_i16 s7, s0
	s_delay_alu instid0(SALU_CYCLE_1)
	s_cmp_lt_i32 s7, 5
	s_cbranch_scc1 .LBB380_1400
; %bb.1396:
	s_cmp_lt_i32 s7, 8
	s_cbranch_scc1 .LBB380_1401
; %bb.1397:
	;; [unrolled: 3-line block ×3, first 2 shown]
	s_cmp_gt_i32 s7, 9
	s_cbranch_scc0 .LBB380_1403
; %bb.1399:
	global_load_b64 v[6:7], v[0:1], off
	s_mov_b32 s7, 0
	s_wait_loadcnt 0x0
	v_cvt_i32_f64_e32 v8, v[6:7]
	s_branch .LBB380_1404
.LBB380_1400:
                                        ; implicit-def: $vgpr8
	s_branch .LBB380_1421
.LBB380_1401:
                                        ; implicit-def: $vgpr8
	s_branch .LBB380_1410
.LBB380_1402:
	s_mov_b32 s7, -1
                                        ; implicit-def: $vgpr8
	s_branch .LBB380_1407
.LBB380_1403:
	s_mov_b32 s7, -1
                                        ; implicit-def: $vgpr8
.LBB380_1404:
	s_delay_alu instid0(SALU_CYCLE_1)
	s_and_not1_b32 vcc_lo, exec_lo, s7
	s_cbranch_vccnz .LBB380_1406
; %bb.1405:
	global_load_b32 v3, v[0:1], off
	s_wait_loadcnt 0x0
	v_cvt_i32_f32_e32 v8, v3
.LBB380_1406:
	s_mov_b32 s7, 0
.LBB380_1407:
	s_delay_alu instid0(SALU_CYCLE_1)
	s_and_not1_b32 vcc_lo, exec_lo, s7
	s_cbranch_vccnz .LBB380_1409
; %bb.1408:
	global_load_b32 v3, v[0:1], off
	s_wait_loadcnt 0x0
	v_cvt_i16_f16_e32 v8, v3
.LBB380_1409:
	s_cbranch_execnz .LBB380_1420
.LBB380_1410:
	s_sext_i32_i16 s7, s0
	s_delay_alu instid0(SALU_CYCLE_1)
	s_cmp_lt_i32 s7, 6
	s_cbranch_scc1 .LBB380_1413
; %bb.1411:
	s_cmp_gt_i32 s7, 6
	s_cbranch_scc0 .LBB380_1414
; %bb.1412:
	global_load_b64 v[6:7], v[0:1], off
	s_mov_b32 s7, 0
	s_wait_loadcnt 0x0
	v_cvt_i32_f64_e32 v8, v[6:7]
	s_branch .LBB380_1415
.LBB380_1413:
	s_mov_b32 s7, -1
                                        ; implicit-def: $vgpr8
	s_branch .LBB380_1418
.LBB380_1414:
	s_mov_b32 s7, -1
                                        ; implicit-def: $vgpr8
.LBB380_1415:
	s_delay_alu instid0(SALU_CYCLE_1)
	s_and_not1_b32 vcc_lo, exec_lo, s7
	s_cbranch_vccnz .LBB380_1417
; %bb.1416:
	global_load_b32 v3, v[0:1], off
	s_wait_loadcnt 0x0
	v_cvt_i32_f32_e32 v8, v3
.LBB380_1417:
	s_mov_b32 s7, 0
.LBB380_1418:
	s_delay_alu instid0(SALU_CYCLE_1)
	s_and_not1_b32 vcc_lo, exec_lo, s7
	s_cbranch_vccnz .LBB380_1420
; %bb.1419:
	global_load_u16 v3, v[0:1], off
	s_wait_loadcnt 0x0
	v_cvt_i16_f16_e32 v8, v3
.LBB380_1420:
	s_cbranch_execnz .LBB380_1439
.LBB380_1421:
	s_sext_i32_i16 s7, s0
	s_delay_alu instid0(SALU_CYCLE_1)
	s_cmp_lt_i32 s7, 2
	s_cbranch_scc1 .LBB380_1425
; %bb.1422:
	s_cmp_lt_i32 s7, 3
	s_cbranch_scc1 .LBB380_1426
; %bb.1423:
	s_cmp_gt_i32 s7, 3
	s_cbranch_scc0 .LBB380_1427
; %bb.1424:
	s_wait_loadcnt 0x0
	global_load_b64 v[8:9], v[0:1], off
	s_mov_b32 s7, 0
	s_branch .LBB380_1428
.LBB380_1425:
                                        ; implicit-def: $vgpr8
	s_branch .LBB380_1434
.LBB380_1426:
	s_mov_b32 s7, -1
                                        ; implicit-def: $vgpr8
	s_branch .LBB380_1431
.LBB380_1427:
	s_mov_b32 s7, -1
                                        ; implicit-def: $vgpr8
.LBB380_1428:
	s_delay_alu instid0(SALU_CYCLE_1)
	s_and_not1_b32 vcc_lo, exec_lo, s7
	s_cbranch_vccnz .LBB380_1430
; %bb.1429:
	s_wait_loadcnt 0x0
	global_load_b32 v8, v[0:1], off
.LBB380_1430:
	s_mov_b32 s7, 0
.LBB380_1431:
	s_delay_alu instid0(SALU_CYCLE_1)
	s_and_not1_b32 vcc_lo, exec_lo, s7
	s_cbranch_vccnz .LBB380_1433
; %bb.1432:
	s_wait_loadcnt 0x0
	global_load_u16 v8, v[0:1], off
.LBB380_1433:
	s_cbranch_execnz .LBB380_1439
.LBB380_1434:
	s_sext_i32_i16 s0, s0
	s_delay_alu instid0(SALU_CYCLE_1)
	s_cmp_gt_i32 s0, 0
	s_mov_b32 s0, 0
	s_cbranch_scc0 .LBB380_1436
; %bb.1435:
	s_wait_loadcnt 0x0
	global_load_u8 v8, v[0:1], off
	s_branch .LBB380_1437
.LBB380_1436:
	s_mov_b32 s0, -1
                                        ; implicit-def: $vgpr8
.LBB380_1437:
	s_delay_alu instid0(SALU_CYCLE_1)
	s_and_not1_b32 vcc_lo, exec_lo, s0
	s_cbranch_vccnz .LBB380_1439
; %bb.1438:
	s_wait_loadcnt 0x0
	global_load_u8 v8, v[0:1], off
.LBB380_1439:
	s_or_b32 s12, s12, exec_lo
.LBB380_1440:
	s_wait_xcnt 0x0
	s_or_b32 exec_lo, exec_lo, s6
	s_mov_b32 s0, 0
	s_mov_b32 s9, 0
                                        ; implicit-def: $sgpr6
                                        ; implicit-def: $sgpr7
                                        ; implicit-def: $vgpr0_vgpr1
	s_and_saveexec_b32 s8, s12
	s_cbranch_execz .LBB380_1448
; %bb.1441:
	s_wait_loadcnt 0x0
	s_delay_alu instid0(VALU_DEP_1) | instskip(SKIP_3) | instid1(VALU_DEP_2)
	v_and_b32_e32 v0, 0xff, v8
	v_and_b32_e32 v1, 0xff, v4
	v_mov_b32_e32 v3, 0
	s_and_b32 s7, s11, 0xff
	v_cmp_ne_u16_e32 vcc_lo, v1, v0
	s_delay_alu instid0(VALU_DEP_2)
	v_add_nc_u64_e32 v[0:1], s[4:5], v[2:3]
	s_xor_b32 s6, s10, vcc_lo
	s_cmp_lt_i32 s7, 11
	s_cbranch_scc1 .LBB380_1451
; %bb.1442:
	s_and_b32 s4, 0xffff, s7
	s_mov_b32 s5, -1
	s_cmp_gt_i32 s4, 25
	s_mov_b32 s0, s39
	s_cbranch_scc0 .LBB380_1479
; %bb.1443:
	s_cmp_gt_i32 s4, 28
	s_mov_b32 s0, s39
	s_cbranch_scc0 .LBB380_1463
; %bb.1444:
	;; [unrolled: 4-line block ×4, first 2 shown]
	s_cmp_eq_u32 s4, 46
	s_mov_b32 s0, -1
	s_cbranch_scc0 .LBB380_1452
; %bb.1447:
	v_cndmask_b32_e64 v2, 0, 1.0, s6
	s_mov_b32 s0, 0
	s_mov_b32 s5, 0
	s_delay_alu instid0(VALU_DEP_1) | instskip(NEXT) | instid1(VALU_DEP_1)
	v_bfe_u32 v3, v2, 16, 1
	v_add3_u32 v2, v2, v3, 0x7fff
	s_delay_alu instid0(VALU_DEP_1)
	v_lshrrev_b32_e32 v2, 16, v2
	global_store_b32 v[0:1], v2, off
	s_branch .LBB380_1453
.LBB380_1448:
	s_or_b32 exec_lo, exec_lo, s8
	s_and_saveexec_b32 s4, s39
	s_cbranch_execnz .LBB380_1521
.LBB380_1449:
	s_or_b32 exec_lo, exec_lo, s4
	s_and_saveexec_b32 s4, s0
	s_delay_alu instid0(SALU_CYCLE_1)
	s_xor_b32 s0, exec_lo, s4
	s_cbranch_execz .LBB380_1522
.LBB380_1450:
	v_cndmask_b32_e64 v2, 0, 1, s6
	global_store_b8 v[0:1], v2, off
	s_wait_xcnt 0x0
	s_or_b32 exec_lo, exec_lo, s0
	s_and_saveexec_b32 s0, s9
	s_delay_alu instid0(SALU_CYCLE_1)
	s_xor_b32 s0, exec_lo, s0
	s_cbranch_execz .LBB380_1560
	s_branch .LBB380_1523
.LBB380_1451:
	s_mov_b32 s10, 0
	s_mov_b32 s5, -1
	s_mov_b32 s0, s39
	s_branch .LBB380_1520
.LBB380_1452:
	s_mov_b32 s5, 0
.LBB380_1453:
	s_delay_alu instid0(SALU_CYCLE_1)
	s_and_b32 vcc_lo, exec_lo, s5
	s_cbranch_vccz .LBB380_1458
; %bb.1454:
	s_cmp_eq_u32 s4, 44
	s_mov_b32 s0, -1
	s_cbranch_scc0 .LBB380_1458
; %bb.1455:
	v_cndmask_b32_e64 v4, 0, 1.0, s6
	s_mov_b32 s5, exec_lo
	s_wait_xcnt 0x0
	s_delay_alu instid0(VALU_DEP_1) | instskip(NEXT) | instid1(VALU_DEP_1)
	v_dual_mov_b32 v3, 0xff :: v_dual_lshrrev_b32 v2, 23, v4
	v_cmpx_ne_u32_e32 0xff, v2
; %bb.1456:
	v_and_b32_e32 v3, 0x400000, v4
	v_and_or_b32 v4, 0x3fffff, v4, v2
	s_delay_alu instid0(VALU_DEP_2) | instskip(NEXT) | instid1(VALU_DEP_2)
	v_cmp_ne_u32_e32 vcc_lo, 0, v3
	v_cmp_ne_u32_e64 s0, 0, v4
	s_and_b32 s0, vcc_lo, s0
	s_delay_alu instid0(SALU_CYCLE_1) | instskip(NEXT) | instid1(VALU_DEP_1)
	v_cndmask_b32_e64 v3, 0, 1, s0
	v_add_nc_u32_e32 v3, v2, v3
; %bb.1457:
	s_or_b32 exec_lo, exec_lo, s5
	s_mov_b32 s0, 0
	global_store_b8 v[0:1], v3, off
.LBB380_1458:
	s_mov_b32 s5, 0
.LBB380_1459:
	s_delay_alu instid0(SALU_CYCLE_1)
	s_and_b32 vcc_lo, exec_lo, s5
	s_cbranch_vccz .LBB380_1462
; %bb.1460:
	s_cmp_eq_u32 s4, 29
	s_mov_b32 s0, -1
	s_cbranch_scc0 .LBB380_1462
; %bb.1461:
	s_mov_b32 s0, 0
	s_wait_xcnt 0x0
	v_cndmask_b32_e64 v2, 0, 1, s6
	v_mov_b32_e32 v3, s0
	s_mov_b32 s5, 0
	global_store_b64 v[0:1], v[2:3], off
	s_branch .LBB380_1463
.LBB380_1462:
	s_mov_b32 s5, 0
.LBB380_1463:
	s_delay_alu instid0(SALU_CYCLE_1)
	s_and_b32 vcc_lo, exec_lo, s5
	s_cbranch_vccz .LBB380_1478
; %bb.1464:
	s_cmp_lt_i32 s4, 27
	s_mov_b32 s5, -1
	s_cbranch_scc1 .LBB380_1470
; %bb.1465:
	s_cmp_gt_i32 s4, 27
	s_cbranch_scc0 .LBB380_1467
; %bb.1466:
	s_wait_xcnt 0x0
	v_cndmask_b32_e64 v2, 0, 1, s6
	s_mov_b32 s5, 0
	global_store_b32 v[0:1], v2, off
.LBB380_1467:
	s_and_not1_b32 vcc_lo, exec_lo, s5
	s_cbranch_vccnz .LBB380_1469
; %bb.1468:
	s_wait_xcnt 0x0
	v_cndmask_b32_e64 v2, 0, 1, s6
	global_store_b16 v[0:1], v2, off
.LBB380_1469:
	s_mov_b32 s5, 0
.LBB380_1470:
	s_delay_alu instid0(SALU_CYCLE_1)
	s_and_not1_b32 vcc_lo, exec_lo, s5
	s_cbranch_vccnz .LBB380_1478
; %bb.1471:
	s_wait_xcnt 0x0
	v_cndmask_b32_e64 v3, 0, 1.0, s6
	v_mov_b32_e32 v4, 0x80
	s_mov_b32 s5, exec_lo
	s_delay_alu instid0(VALU_DEP_2)
	v_cmpx_gt_u32_e32 0x43800000, v3
	s_cbranch_execz .LBB380_1477
; %bb.1472:
	s_mov_b32 s10, exec_lo
                                        ; implicit-def: $vgpr2
	v_cmpx_lt_u32_e32 0x3bffffff, v3
	s_xor_b32 s10, exec_lo, s10
	s_cbranch_execz .LBB380_1619
; %bb.1473:
	v_bfe_u32 v2, v3, 20, 1
	s_mov_b32 s9, exec_lo
	s_delay_alu instid0(VALU_DEP_1) | instskip(NEXT) | instid1(VALU_DEP_1)
	v_add3_u32 v2, v3, v2, 0x487ffff
                                        ; implicit-def: $vgpr3
	v_lshrrev_b32_e32 v2, 20, v2
	s_and_not1_saveexec_b32 s10, s10
	s_cbranch_execnz .LBB380_1620
.LBB380_1474:
	s_or_b32 exec_lo, exec_lo, s10
	v_mov_b32_e32 v4, 0
	s_and_saveexec_b32 s10, s9
.LBB380_1475:
	v_mov_b32_e32 v4, v2
.LBB380_1476:
	s_or_b32 exec_lo, exec_lo, s10
.LBB380_1477:
	s_delay_alu instid0(SALU_CYCLE_1)
	s_or_b32 exec_lo, exec_lo, s5
	global_store_b8 v[0:1], v4, off
.LBB380_1478:
	s_mov_b32 s5, 0
.LBB380_1479:
	s_delay_alu instid0(SALU_CYCLE_1)
	s_and_b32 vcc_lo, exec_lo, s5
	s_mov_b32 s5, 0
	s_cbranch_vccz .LBB380_1519
; %bb.1480:
	s_cmp_gt_i32 s4, 22
	s_mov_b32 s9, -1
	s_cbranch_scc0 .LBB380_1512
; %bb.1481:
	s_cmp_lt_i32 s4, 24
	s_cbranch_scc1 .LBB380_1501
; %bb.1482:
	s_cmp_gt_i32 s4, 24
	s_cbranch_scc0 .LBB380_1490
; %bb.1483:
	s_wait_xcnt 0x0
	v_cndmask_b32_e64 v3, 0, 1.0, s6
	v_mov_b32_e32 v4, 0x80
	s_mov_b32 s9, exec_lo
	s_delay_alu instid0(VALU_DEP_2)
	v_cmpx_gt_u32_e32 0x47800000, v3
	s_cbranch_execz .LBB380_1489
; %bb.1484:
	s_mov_b32 s10, 0
	s_mov_b32 s11, exec_lo
                                        ; implicit-def: $vgpr2
	v_cmpx_lt_u32_e32 0x37ffffff, v3
	s_xor_b32 s11, exec_lo, s11
	s_cbranch_execz .LBB380_1740
; %bb.1485:
	v_bfe_u32 v2, v3, 21, 1
	s_mov_b32 s10, exec_lo
	s_delay_alu instid0(VALU_DEP_1) | instskip(NEXT) | instid1(VALU_DEP_1)
	v_add3_u32 v2, v3, v2, 0x88fffff
                                        ; implicit-def: $vgpr3
	v_lshrrev_b32_e32 v2, 21, v2
	s_and_not1_saveexec_b32 s11, s11
	s_cbranch_execnz .LBB380_1741
.LBB380_1486:
	s_or_b32 exec_lo, exec_lo, s11
	v_mov_b32_e32 v4, 0
	s_and_saveexec_b32 s11, s10
.LBB380_1487:
	v_mov_b32_e32 v4, v2
.LBB380_1488:
	s_or_b32 exec_lo, exec_lo, s11
.LBB380_1489:
	s_delay_alu instid0(SALU_CYCLE_1)
	s_or_b32 exec_lo, exec_lo, s9
	s_mov_b32 s9, 0
	global_store_b8 v[0:1], v4, off
.LBB380_1490:
	s_and_b32 vcc_lo, exec_lo, s9
	s_cbranch_vccz .LBB380_1500
; %bb.1491:
	s_wait_xcnt 0x0
	v_cndmask_b32_e64 v3, 0, 1.0, s6
	s_mov_b32 s9, exec_lo
                                        ; implicit-def: $vgpr2
	s_delay_alu instid0(VALU_DEP_1)
	v_cmpx_gt_u32_e32 0x43f00000, v3
	s_xor_b32 s9, exec_lo, s9
	s_cbranch_execz .LBB380_1497
; %bb.1492:
	s_mov_b32 s10, exec_lo
                                        ; implicit-def: $vgpr2
	v_cmpx_lt_u32_e32 0x3c7fffff, v3
	s_xor_b32 s10, exec_lo, s10
; %bb.1493:
	v_bfe_u32 v2, v3, 20, 1
	s_delay_alu instid0(VALU_DEP_1) | instskip(NEXT) | instid1(VALU_DEP_1)
	v_add3_u32 v2, v3, v2, 0x407ffff
	v_and_b32_e32 v3, 0xff00000, v2
	v_lshrrev_b32_e32 v2, 20, v2
	s_delay_alu instid0(VALU_DEP_2) | instskip(NEXT) | instid1(VALU_DEP_2)
	v_cmp_ne_u32_e32 vcc_lo, 0x7f00000, v3
                                        ; implicit-def: $vgpr3
	v_cndmask_b32_e32 v2, 0x7e, v2, vcc_lo
; %bb.1494:
	s_and_not1_saveexec_b32 s10, s10
; %bb.1495:
	v_add_f32_e32 v2, 0x46800000, v3
; %bb.1496:
	s_or_b32 exec_lo, exec_lo, s10
                                        ; implicit-def: $vgpr3
.LBB380_1497:
	s_and_not1_saveexec_b32 s9, s9
; %bb.1498:
	v_mov_b32_e32 v2, 0x7f
	v_cmp_lt_u32_e32 vcc_lo, 0x7f800000, v3
	s_delay_alu instid0(VALU_DEP_2)
	v_cndmask_b32_e32 v2, 0x7e, v2, vcc_lo
; %bb.1499:
	s_or_b32 exec_lo, exec_lo, s9
	global_store_b8 v[0:1], v2, off
.LBB380_1500:
	s_mov_b32 s9, 0
.LBB380_1501:
	s_delay_alu instid0(SALU_CYCLE_1)
	s_and_not1_b32 vcc_lo, exec_lo, s9
	s_cbranch_vccnz .LBB380_1511
; %bb.1502:
	s_wait_xcnt 0x0
	v_cndmask_b32_e64 v3, 0, 1.0, s6
	s_mov_b32 s9, exec_lo
                                        ; implicit-def: $vgpr2
	s_delay_alu instid0(VALU_DEP_1)
	v_cmpx_gt_u32_e32 0x47800000, v3
	s_xor_b32 s9, exec_lo, s9
	s_cbranch_execz .LBB380_1508
; %bb.1503:
	s_mov_b32 s10, exec_lo
                                        ; implicit-def: $vgpr2
	v_cmpx_lt_u32_e32 0x387fffff, v3
	s_xor_b32 s10, exec_lo, s10
; %bb.1504:
	v_bfe_u32 v2, v3, 21, 1
	s_delay_alu instid0(VALU_DEP_1) | instskip(NEXT) | instid1(VALU_DEP_1)
	v_add3_u32 v2, v3, v2, 0x80fffff
                                        ; implicit-def: $vgpr3
	v_lshrrev_b32_e32 v2, 21, v2
; %bb.1505:
	s_and_not1_saveexec_b32 s10, s10
; %bb.1506:
	v_add_f32_e32 v2, 0x43000000, v3
; %bb.1507:
	s_or_b32 exec_lo, exec_lo, s10
                                        ; implicit-def: $vgpr3
.LBB380_1508:
	s_and_not1_saveexec_b32 s9, s9
; %bb.1509:
	v_mov_b32_e32 v2, 0x7f
	v_cmp_lt_u32_e32 vcc_lo, 0x7f800000, v3
	s_delay_alu instid0(VALU_DEP_2)
	v_cndmask_b32_e32 v2, 0x7c, v2, vcc_lo
; %bb.1510:
	s_or_b32 exec_lo, exec_lo, s9
	global_store_b8 v[0:1], v2, off
.LBB380_1511:
	s_mov_b32 s9, 0
.LBB380_1512:
	s_delay_alu instid0(SALU_CYCLE_1)
	s_and_not1_b32 vcc_lo, exec_lo, s9
	s_mov_b32 s10, 0
	s_cbranch_vccnz .LBB380_1520
; %bb.1513:
	s_cmp_gt_i32 s4, 14
	s_mov_b32 s9, -1
	s_cbranch_scc0 .LBB380_1517
; %bb.1514:
	s_cmp_eq_u32 s4, 15
	s_mov_b32 s0, -1
	s_cbranch_scc0 .LBB380_1516
; %bb.1515:
	s_wait_xcnt 0x0
	v_cndmask_b32_e64 v2, 0, 1.0, s6
	s_mov_b32 s0, 0
	s_delay_alu instid0(VALU_DEP_1) | instskip(NEXT) | instid1(VALU_DEP_1)
	v_bfe_u32 v3, v2, 16, 1
	v_add3_u32 v2, v2, v3, 0x7fff
	global_store_d16_hi_b16 v[0:1], v2, off
.LBB380_1516:
	s_mov_b32 s9, 0
.LBB380_1517:
	s_delay_alu instid0(SALU_CYCLE_1)
	s_and_b32 vcc_lo, exec_lo, s9
	s_cbranch_vccz .LBB380_1520
; %bb.1518:
	s_cmp_lg_u32 s4, 11
	s_mov_b32 s10, -1
	s_cselect_b32 s4, -1, 0
	s_and_not1_b32 s0, s0, exec_lo
	s_and_b32 s4, s4, exec_lo
	s_delay_alu instid0(SALU_CYCLE_1)
	s_or_b32 s0, s0, s4
	s_branch .LBB380_1520
.LBB380_1519:
	s_mov_b32 s10, 0
.LBB380_1520:
	s_and_b32 s9, s5, exec_lo
	s_and_not1_b32 s4, s39, exec_lo
	s_and_b32 s5, s0, exec_lo
	s_and_b32 s0, s10, exec_lo
	s_or_b32 s39, s4, s5
	s_wait_xcnt 0x0
	s_or_b32 exec_lo, exec_lo, s8
	s_and_saveexec_b32 s4, s39
	s_cbranch_execz .LBB380_1449
.LBB380_1521:
	s_or_b32 s1, s1, exec_lo
	s_and_not1_b32 s0, s0, exec_lo
	s_trap 2
	s_or_b32 exec_lo, exec_lo, s4
	s_and_saveexec_b32 s4, s0
	s_delay_alu instid0(SALU_CYCLE_1)
	s_xor_b32 s0, exec_lo, s4
	s_cbranch_execnz .LBB380_1450
.LBB380_1522:
	s_or_b32 exec_lo, exec_lo, s0
	s_and_saveexec_b32 s0, s9
	s_delay_alu instid0(SALU_CYCLE_1)
	s_xor_b32 s0, exec_lo, s0
	s_cbranch_execz .LBB380_1560
.LBB380_1523:
	s_sext_i32_i16 s5, s7
	s_mov_b32 s4, -1
	s_cmp_lt_i32 s5, 5
	s_cbranch_scc1 .LBB380_1544
; %bb.1524:
	s_cmp_lt_i32 s5, 8
	s_cbranch_scc1 .LBB380_1534
; %bb.1525:
	;; [unrolled: 3-line block ×3, first 2 shown]
	s_cmp_gt_i32 s5, 9
	s_cbranch_scc0 .LBB380_1528
; %bb.1527:
	v_cndmask_b32_e64 v2, 0, 1, s6
	s_wait_loadcnt 0x0
	v_mov_b32_e32 v4, 0
	s_mov_b32 s4, 0
	s_delay_alu instid0(VALU_DEP_2) | instskip(NEXT) | instid1(VALU_DEP_2)
	v_cvt_f64_u32_e32 v[2:3], v2
	v_mov_b32_e32 v5, v4
	global_store_b128 v[0:1], v[2:5], off
.LBB380_1528:
	s_and_not1_b32 vcc_lo, exec_lo, s4
	s_cbranch_vccnz .LBB380_1530
; %bb.1529:
	s_wait_xcnt 0x0
	v_cndmask_b32_e64 v2, 0, 1.0, s6
	v_mov_b32_e32 v3, 0
	global_store_b64 v[0:1], v[2:3], off
.LBB380_1530:
	s_mov_b32 s4, 0
.LBB380_1531:
	s_delay_alu instid0(SALU_CYCLE_1)
	s_and_not1_b32 vcc_lo, exec_lo, s4
	s_cbranch_vccnz .LBB380_1533
; %bb.1532:
	s_wait_xcnt 0x0
	v_cndmask_b32_e64 v2, 0, 1.0, s6
	s_delay_alu instid0(VALU_DEP_1) | instskip(NEXT) | instid1(VALU_DEP_1)
	v_cvt_f16_f32_e32 v2, v2
	v_and_b32_e32 v2, 0xffff, v2
	global_store_b32 v[0:1], v2, off
.LBB380_1533:
	s_mov_b32 s4, 0
.LBB380_1534:
	s_delay_alu instid0(SALU_CYCLE_1)
	s_and_not1_b32 vcc_lo, exec_lo, s4
	s_cbranch_vccnz .LBB380_1543
; %bb.1535:
	s_sext_i32_i16 s5, s7
	s_mov_b32 s4, -1
	s_cmp_lt_i32 s5, 6
	s_cbranch_scc1 .LBB380_1541
; %bb.1536:
	s_cmp_gt_i32 s5, 6
	s_cbranch_scc0 .LBB380_1538
; %bb.1537:
	s_wait_xcnt 0x0
	v_cndmask_b32_e64 v2, 0, 1, s6
	s_mov_b32 s4, 0
	s_delay_alu instid0(VALU_DEP_1)
	v_cvt_f64_u32_e32 v[2:3], v2
	global_store_b64 v[0:1], v[2:3], off
.LBB380_1538:
	s_and_not1_b32 vcc_lo, exec_lo, s4
	s_cbranch_vccnz .LBB380_1540
; %bb.1539:
	s_wait_xcnt 0x0
	v_cndmask_b32_e64 v2, 0, 1.0, s6
	global_store_b32 v[0:1], v2, off
.LBB380_1540:
	s_mov_b32 s4, 0
.LBB380_1541:
	s_delay_alu instid0(SALU_CYCLE_1)
	s_and_not1_b32 vcc_lo, exec_lo, s4
	s_cbranch_vccnz .LBB380_1543
; %bb.1542:
	s_wait_xcnt 0x0
	v_cndmask_b32_e64 v2, 0, 1.0, s6
	s_delay_alu instid0(VALU_DEP_1)
	v_cvt_f16_f32_e32 v2, v2
	global_store_b16 v[0:1], v2, off
.LBB380_1543:
	s_mov_b32 s4, 0
.LBB380_1544:
	s_delay_alu instid0(SALU_CYCLE_1)
	s_and_not1_b32 vcc_lo, exec_lo, s4
	s_cbranch_vccnz .LBB380_1560
; %bb.1545:
	s_sext_i32_i16 s5, s7
	s_mov_b32 s4, -1
	s_cmp_lt_i32 s5, 2
	s_cbranch_scc1 .LBB380_1555
; %bb.1546:
	s_cmp_lt_i32 s5, 3
	s_cbranch_scc1 .LBB380_1552
; %bb.1547:
	s_cmp_gt_i32 s5, 3
	s_cbranch_scc0 .LBB380_1549
; %bb.1548:
	s_mov_b32 s4, 0
	s_wait_xcnt 0x0
	v_cndmask_b32_e64 v2, 0, 1, s6
	v_mov_b32_e32 v3, s4
	global_store_b64 v[0:1], v[2:3], off
.LBB380_1549:
	s_and_not1_b32 vcc_lo, exec_lo, s4
	s_cbranch_vccnz .LBB380_1551
; %bb.1550:
	s_wait_xcnt 0x0
	v_cndmask_b32_e64 v2, 0, 1, s6
	global_store_b32 v[0:1], v2, off
.LBB380_1551:
	s_mov_b32 s4, 0
.LBB380_1552:
	s_delay_alu instid0(SALU_CYCLE_1)
	s_and_not1_b32 vcc_lo, exec_lo, s4
	s_cbranch_vccnz .LBB380_1554
; %bb.1553:
	s_wait_xcnt 0x0
	v_cndmask_b32_e64 v2, 0, 1, s6
	global_store_b16 v[0:1], v2, off
.LBB380_1554:
	s_mov_b32 s4, 0
.LBB380_1555:
	s_delay_alu instid0(SALU_CYCLE_1)
	s_and_not1_b32 vcc_lo, exec_lo, s4
	s_cbranch_vccnz .LBB380_1560
; %bb.1556:
	s_wait_xcnt 0x0
	v_cndmask_b32_e64 v2, 0, 1, s6
	s_sext_i32_i16 s4, s7
	s_delay_alu instid0(SALU_CYCLE_1)
	s_cmp_gt_i32 s4, 0
	s_mov_b32 s4, -1
	s_cbranch_scc0 .LBB380_1558
; %bb.1557:
	s_mov_b32 s4, 0
	global_store_b8 v[0:1], v2, off
.LBB380_1558:
	s_and_not1_b32 vcc_lo, exec_lo, s4
	s_cbranch_vccnz .LBB380_1560
; %bb.1559:
	global_store_b8 v[0:1], v2, off
.LBB380_1560:
	s_wait_xcnt 0x0
	s_or_b32 exec_lo, exec_lo, s0
	s_delay_alu instid0(SALU_CYCLE_1)
	s_and_b32 s8, s1, exec_lo
                                        ; implicit-def: $vgpr1
                                        ; implicit-def: $vgpr0
.LBB380_1561:
	s_or_saveexec_b32 s9, s33
	s_mov_b32 s0, 0
                                        ; implicit-def: $sgpr4
                                        ; implicit-def: $vgpr2_vgpr3
                                        ; implicit-def: $sgpr1
	s_xor_b32 exec_lo, exec_lo, s9
	s_cbranch_execz .LBB380_3049
; %bb.1562:
	v_cndmask_b32_e64 v3, 0, 1, s31
	s_and_not1_b32 vcc_lo, exec_lo, s31
	s_cbranch_vccnz .LBB380_1568
; %bb.1563:
	s_cmp_lg_u32 s28, 0
	s_mov_b32 s4, 0
	s_cbranch_scc0 .LBB380_1572
; %bb.1564:
	s_min_u32 s5, s29, 15
	v_dual_mov_b32 v6, 0 :: v_dual_mov_b32 v2, v0
	s_wait_loadcnt 0x0
	v_dual_mov_b32 v8, 0 :: v_dual_mov_b32 v14, 0
	s_add_co_i32 s6, s5, 1
	s_mov_b64 s[0:1], 0xffffffffffffffe8
	s_and_b32 s6, s6, 30
	s_add_nc_u64 s[0:1], s[2:3], s[0:1]
.LBB380_1565:                           ; =>This Inner Loop Header: Depth=1
	s_clause 0x1
	s_load_b128 s[12:15], s[0:1], 0x1c
	s_load_b64 s[10:11], s[0:1], 0x2c
	s_add_co_i32 s6, s6, -2
	s_delay_alu instid0(SALU_CYCLE_1) | instskip(SKIP_2) | instid1(VALU_DEP_1)
	s_cmp_lg_u32 s6, 0
	s_wait_kmcnt 0x0
	v_mul_hi_u32 v4, s13, v2
	v_add_nc_u32_e32 v4, v2, v4
	s_delay_alu instid0(VALU_DEP_1) | instskip(NEXT) | instid1(VALU_DEP_1)
	v_lshrrev_b32_e32 v4, s14, v4
	v_mul_hi_u32 v5, s10, v4
	v_mul_lo_u32 v7, v4, s12
	s_clause 0x1
	s_load_b128 s[16:19], s[0:1], 0xdc
	s_load_b64 s[12:13], s[0:1], 0xec
	s_wait_xcnt 0x0
	s_add_nc_u64 s[0:1], s[0:1], 24
	s_delay_alu instid0(VALU_DEP_1) | instskip(NEXT) | instid1(VALU_DEP_1)
	v_dual_add_nc_u32 v5, v4, v5 :: v_dual_sub_nc_u32 v7, v2, v7
	v_lshrrev_b32_e32 v2, s11, v5
	s_wait_kmcnt 0x0
	s_delay_alu instid0(VALU_DEP_2) | instskip(NEXT) | instid1(VALU_DEP_2)
	v_mad_u32 v6, v7, s16, v6
	v_mul_lo_u32 v5, v2, s15
	v_mad_u32 v9, v7, s18, v14
	v_mad_u32 v7, v7, s17, v8
	s_delay_alu instid0(VALU_DEP_3) | instskip(NEXT) | instid1(VALU_DEP_1)
	v_sub_nc_u32_e32 v4, v4, v5
	v_mad_u32 v6, v4, s19, v6
	s_delay_alu instid0(VALU_DEP_4) | instskip(NEXT) | instid1(VALU_DEP_4)
	v_mad_u32 v14, v4, s13, v9
	v_mad_u32 v8, v4, s12, v7
	s_cbranch_scc1 .LBB380_1565
; %bb.1566:
	s_bitcmp1_b32 s5, 0
	s_cselect_b32 s5, -1, 0
	s_delay_alu instid0(SALU_CYCLE_1)
	s_and_b32 vcc_lo, exec_lo, s5
	s_cbranch_vccnz .LBB380_1569
; %bb.1567:
	s_clause 0x1
	s_load_b96 s[12:14], s[0:1], 0x1c
	s_load_b96 s[16:18], s[0:1], 0xdc
	s_wait_kmcnt 0x0
	v_mul_hi_u32 v4, s13, v2
	s_delay_alu instid0(VALU_DEP_1) | instskip(NEXT) | instid1(VALU_DEP_1)
	v_add_nc_u32_e32 v4, v2, v4
	v_lshrrev_b32_e32 v4, s14, v4
	s_delay_alu instid0(VALU_DEP_1) | instskip(NEXT) | instid1(VALU_DEP_1)
	v_mul_lo_u32 v4, v4, s12
	v_sub_nc_u32_e32 v2, v2, v4
	s_delay_alu instid0(VALU_DEP_1)
	v_mad_u32 v6, v2, s16, v6
	v_mad_u32 v8, v2, s17, v8
	;; [unrolled: 1-line block ×3, first 2 shown]
	s_and_not1_b32 vcc_lo, exec_lo, s4
	s_cbranch_vccz .LBB380_1570
	s_branch .LBB380_1573
.LBB380_1568:
	s_mov_b32 s4, -1
                                        ; implicit-def: $vgpr14
                                        ; implicit-def: $vgpr8
                                        ; implicit-def: $vgpr6
.LBB380_1569:
	s_delay_alu instid0(SALU_CYCLE_1)
	s_and_not1_b32 vcc_lo, exec_lo, s4
	s_cbranch_vccnz .LBB380_1573
.LBB380_1570:
	s_clause 0x1
	s_load_b96 s[4:6], s[2:3], 0x4
	s_load_b96 s[12:14], s[2:3], 0xc4
	s_cmp_lt_u32 s28, 2
	s_wait_kmcnt 0x0
	v_mul_hi_u32 v2, s5, v0
	s_delay_alu instid0(VALU_DEP_1) | instskip(NEXT) | instid1(VALU_DEP_1)
	v_add_nc_u32_e32 v2, v0, v2
	v_lshrrev_b32_e32 v2, s6, v2
	s_wait_loadcnt 0x0
	s_delay_alu instid0(VALU_DEP_1) | instskip(NEXT) | instid1(VALU_DEP_1)
	v_mul_lo_u32 v4, v2, s4
	v_sub_nc_u32_e32 v4, v0, v4
	s_delay_alu instid0(VALU_DEP_1)
	v_mul_lo_u32 v6, v4, s12
	v_mul_lo_u32 v14, v4, s14
	;; [unrolled: 1-line block ×3, first 2 shown]
	s_cbranch_scc1 .LBB380_1573
; %bb.1571:
	s_clause 0x1
	s_load_b96 s[4:6], s[2:3], 0x10
	s_load_b96 s[12:14], s[2:3], 0xd0
	s_wait_kmcnt 0x0
	v_mul_hi_u32 v4, s5, v2
	s_delay_alu instid0(VALU_DEP_1) | instskip(NEXT) | instid1(VALU_DEP_1)
	v_add_nc_u32_e32 v4, v2, v4
	v_lshrrev_b32_e32 v4, s6, v4
	s_delay_alu instid0(VALU_DEP_1) | instskip(NEXT) | instid1(VALU_DEP_1)
	v_mul_lo_u32 v4, v4, s4
	v_sub_nc_u32_e32 v2, v2, v4
	s_delay_alu instid0(VALU_DEP_1)
	v_mad_u32 v6, v2, s12, v6
	v_mad_u32 v8, v2, s13, v8
	;; [unrolled: 1-line block ×3, first 2 shown]
	s_branch .LBB380_1573
.LBB380_1572:
	s_wait_loadcnt 0x0
	v_dual_mov_b32 v14, 0 :: v_dual_mov_b32 v8, 0
	v_mov_b32_e32 v6, 0
	s_and_not1_b32 vcc_lo, exec_lo, s4
	s_cbranch_vccz .LBB380_1570
.LBB380_1573:
	v_cmp_ne_u32_e32 vcc_lo, 1, v3
	v_add_nc_u32_e32 v2, 0x80, v0
	s_cbranch_vccnz .LBB380_1579
; %bb.1574:
	s_cmp_lg_u32 s28, 0
	s_mov_b32 s4, 0
	s_cbranch_scc0 .LBB380_1583
; %bb.1575:
	s_min_u32 s5, s29, 15
	s_wait_loadcnt 0x0
	v_dual_mov_b32 v4, 0 :: v_dual_mov_b32 v5, v2
	v_dual_mov_b32 v12, 0 :: v_dual_mov_b32 v20, 0
	s_add_co_i32 s6, s5, 1
	s_mov_b64 s[0:1], 0xffffffffffffffe8
	s_and_b32 s6, s6, 30
	s_add_nc_u64 s[0:1], s[2:3], s[0:1]
.LBB380_1576:                           ; =>This Inner Loop Header: Depth=1
	s_clause 0x1
	s_load_b128 s[12:15], s[0:1], 0x1c
	s_load_b64 s[10:11], s[0:1], 0x2c
	s_add_co_i32 s6, s6, -2
	s_delay_alu instid0(SALU_CYCLE_1) | instskip(SKIP_2) | instid1(VALU_DEP_1)
	s_cmp_lg_u32 s6, 0
	s_wait_kmcnt 0x0
	v_mul_hi_u32 v7, s13, v5
	v_add_nc_u32_e32 v7, v5, v7
	s_delay_alu instid0(VALU_DEP_1) | instskip(NEXT) | instid1(VALU_DEP_1)
	v_lshrrev_b32_e32 v7, s14, v7
	v_mul_hi_u32 v9, s10, v7
	v_mul_lo_u32 v10, v7, s12
	s_clause 0x1
	s_load_b128 s[16:19], s[0:1], 0xdc
	s_load_b64 s[12:13], s[0:1], 0xec
	s_wait_xcnt 0x0
	s_add_nc_u64 s[0:1], s[0:1], 24
	s_delay_alu instid0(VALU_DEP_1) | instskip(NEXT) | instid1(VALU_DEP_1)
	v_dual_add_nc_u32 v9, v7, v9 :: v_dual_sub_nc_u32 v10, v5, v10
	v_lshrrev_b32_e32 v5, s11, v9
	s_wait_kmcnt 0x0
	s_delay_alu instid0(VALU_DEP_2) | instskip(NEXT) | instid1(VALU_DEP_2)
	v_mad_u32 v4, v10, s16, v4
	v_mul_lo_u32 v9, v5, s15
	v_mad_u32 v11, v10, s18, v20
	v_mad_u32 v10, v10, s17, v12
	s_delay_alu instid0(VALU_DEP_3) | instskip(NEXT) | instid1(VALU_DEP_1)
	v_sub_nc_u32_e32 v7, v7, v9
	v_mad_u32 v4, v7, s19, v4
	s_delay_alu instid0(VALU_DEP_4) | instskip(NEXT) | instid1(VALU_DEP_4)
	v_mad_u32 v20, v7, s13, v11
	v_mad_u32 v12, v7, s12, v10
	s_cbranch_scc1 .LBB380_1576
; %bb.1577:
	s_bitcmp1_b32 s5, 0
	s_cselect_b32 s5, -1, 0
	s_delay_alu instid0(SALU_CYCLE_1)
	s_and_b32 vcc_lo, exec_lo, s5
	s_cbranch_vccnz .LBB380_1580
; %bb.1578:
	s_clause 0x1
	s_load_b96 s[12:14], s[0:1], 0x1c
	s_load_b96 s[16:18], s[0:1], 0xdc
	s_wait_kmcnt 0x0
	v_mul_hi_u32 v7, s13, v5
	s_delay_alu instid0(VALU_DEP_1) | instskip(NEXT) | instid1(VALU_DEP_1)
	v_add_nc_u32_e32 v7, v5, v7
	v_lshrrev_b32_e32 v7, s14, v7
	s_delay_alu instid0(VALU_DEP_1) | instskip(NEXT) | instid1(VALU_DEP_1)
	v_mul_lo_u32 v7, v7, s12
	v_sub_nc_u32_e32 v5, v5, v7
	s_delay_alu instid0(VALU_DEP_1)
	v_mad_u32 v4, v5, s16, v4
	v_mad_u32 v12, v5, s17, v12
	;; [unrolled: 1-line block ×3, first 2 shown]
	s_and_not1_b32 vcc_lo, exec_lo, s4
	s_cbranch_vccz .LBB380_1581
	s_branch .LBB380_1584
.LBB380_1579:
	s_mov_b32 s4, -1
                                        ; implicit-def: $vgpr20
                                        ; implicit-def: $vgpr12
                                        ; implicit-def: $vgpr4
.LBB380_1580:
	s_delay_alu instid0(SALU_CYCLE_1)
	s_and_not1_b32 vcc_lo, exec_lo, s4
	s_cbranch_vccnz .LBB380_1584
.LBB380_1581:
	s_clause 0x1
	s_load_b96 s[4:6], s[2:3], 0x4
	s_load_b96 s[12:14], s[2:3], 0xc4
	s_cmp_lt_u32 s28, 2
	s_wait_loadcnt 0x0
	s_wait_kmcnt 0x0
	v_mul_hi_u32 v4, s5, v2
	s_delay_alu instid0(VALU_DEP_1) | instskip(NEXT) | instid1(VALU_DEP_1)
	v_add_nc_u32_e32 v4, v2, v4
	v_lshrrev_b32_e32 v5, s6, v4
	s_delay_alu instid0(VALU_DEP_1) | instskip(NEXT) | instid1(VALU_DEP_1)
	v_mul_lo_u32 v4, v5, s4
	v_sub_nc_u32_e32 v2, v2, v4
	s_delay_alu instid0(VALU_DEP_1)
	v_mul_lo_u32 v4, v2, s12
	v_mul_lo_u32 v20, v2, s14
	;; [unrolled: 1-line block ×3, first 2 shown]
	s_cbranch_scc1 .LBB380_1584
; %bb.1582:
	s_clause 0x1
	s_load_b96 s[4:6], s[2:3], 0x10
	s_load_b96 s[12:14], s[2:3], 0xd0
	s_wait_kmcnt 0x0
	v_mul_hi_u32 v2, s5, v5
	s_delay_alu instid0(VALU_DEP_1) | instskip(NEXT) | instid1(VALU_DEP_1)
	v_add_nc_u32_e32 v2, v5, v2
	v_lshrrev_b32_e32 v2, s6, v2
	s_delay_alu instid0(VALU_DEP_1) | instskip(NEXT) | instid1(VALU_DEP_1)
	v_mul_lo_u32 v2, v2, s4
	v_sub_nc_u32_e32 v2, v5, v2
	s_delay_alu instid0(VALU_DEP_1)
	v_mad_u32 v4, v2, s12, v4
	v_mad_u32 v12, v2, s13, v12
	;; [unrolled: 1-line block ×3, first 2 shown]
	s_branch .LBB380_1584
.LBB380_1583:
	v_dual_mov_b32 v20, 0 :: v_dual_mov_b32 v12, 0
	s_wait_loadcnt 0x0
	v_mov_b32_e32 v4, 0
	s_and_not1_b32 vcc_lo, exec_lo, s4
	s_cbranch_vccz .LBB380_1581
.LBB380_1584:
	v_cmp_ne_u32_e32 vcc_lo, 1, v3
	v_add_nc_u32_e32 v0, 0x100, v0
	s_cbranch_vccnz .LBB380_1590
; %bb.1585:
	s_cmp_lg_u32 s28, 0
	s_mov_b32 s4, 0
	s_cbranch_scc0 .LBB380_1594
; %bb.1586:
	s_min_u32 s5, s29, 15
	s_wait_loadcnt 0x0
	v_dual_mov_b32 v2, 0 :: v_dual_mov_b32 v5, v0
	v_dual_mov_b32 v18, 0 :: v_dual_mov_b32 v22, 0
	s_add_co_i32 s6, s5, 1
	s_mov_b64 s[0:1], 0xffffffffffffffe8
	s_and_b32 s6, s6, 30
	s_add_nc_u64 s[0:1], s[2:3], s[0:1]
.LBB380_1587:                           ; =>This Inner Loop Header: Depth=1
	s_clause 0x1
	s_load_b128 s[12:15], s[0:1], 0x1c
	s_load_b64 s[10:11], s[0:1], 0x2c
	s_add_co_i32 s6, s6, -2
	s_delay_alu instid0(SALU_CYCLE_1) | instskip(SKIP_2) | instid1(VALU_DEP_1)
	s_cmp_lg_u32 s6, 0
	s_wait_kmcnt 0x0
	v_mul_hi_u32 v7, s13, v5
	v_add_nc_u32_e32 v7, v5, v7
	s_delay_alu instid0(VALU_DEP_1) | instskip(NEXT) | instid1(VALU_DEP_1)
	v_lshrrev_b32_e32 v7, s14, v7
	v_mul_hi_u32 v9, s10, v7
	v_mul_lo_u32 v10, v7, s12
	s_clause 0x1
	s_load_b128 s[16:19], s[0:1], 0xdc
	s_load_b64 s[12:13], s[0:1], 0xec
	s_wait_xcnt 0x0
	s_add_nc_u64 s[0:1], s[0:1], 24
	s_delay_alu instid0(VALU_DEP_1) | instskip(NEXT) | instid1(VALU_DEP_1)
	v_dual_add_nc_u32 v9, v7, v9 :: v_dual_sub_nc_u32 v10, v5, v10
	v_lshrrev_b32_e32 v5, s11, v9
	s_wait_kmcnt 0x0
	s_delay_alu instid0(VALU_DEP_2) | instskip(NEXT) | instid1(VALU_DEP_2)
	v_mad_u32 v2, v10, s16, v2
	v_mul_lo_u32 v9, v5, s15
	v_mad_u32 v11, v10, s18, v22
	v_mad_u32 v10, v10, s17, v18
	s_delay_alu instid0(VALU_DEP_3) | instskip(NEXT) | instid1(VALU_DEP_1)
	v_sub_nc_u32_e32 v7, v7, v9
	v_mad_u32 v2, v7, s19, v2
	s_delay_alu instid0(VALU_DEP_4) | instskip(NEXT) | instid1(VALU_DEP_4)
	v_mad_u32 v22, v7, s13, v11
	v_mad_u32 v18, v7, s12, v10
	s_cbranch_scc1 .LBB380_1587
; %bb.1588:
	s_bitcmp1_b32 s5, 0
	s_cselect_b32 s5, -1, 0
	s_delay_alu instid0(SALU_CYCLE_1)
	s_and_b32 vcc_lo, exec_lo, s5
	s_cbranch_vccnz .LBB380_1591
; %bb.1589:
	s_clause 0x1
	s_load_b96 s[12:14], s[0:1], 0x1c
	s_load_b96 s[16:18], s[0:1], 0xdc
	s_wait_kmcnt 0x0
	v_mul_hi_u32 v7, s13, v5
	s_delay_alu instid0(VALU_DEP_1) | instskip(NEXT) | instid1(VALU_DEP_1)
	v_add_nc_u32_e32 v7, v5, v7
	v_lshrrev_b32_e32 v7, s14, v7
	s_delay_alu instid0(VALU_DEP_1) | instskip(NEXT) | instid1(VALU_DEP_1)
	v_mul_lo_u32 v7, v7, s12
	v_sub_nc_u32_e32 v5, v5, v7
	s_delay_alu instid0(VALU_DEP_1)
	v_mad_u32 v2, v5, s16, v2
	v_mad_u32 v18, v5, s17, v18
	;; [unrolled: 1-line block ×3, first 2 shown]
	s_and_not1_b32 vcc_lo, exec_lo, s4
	s_cbranch_vccz .LBB380_1592
	s_branch .LBB380_1595
.LBB380_1590:
	s_mov_b32 s4, -1
                                        ; implicit-def: $vgpr22
                                        ; implicit-def: $vgpr18
                                        ; implicit-def: $vgpr2
.LBB380_1591:
	s_delay_alu instid0(SALU_CYCLE_1)
	s_and_not1_b32 vcc_lo, exec_lo, s4
	s_cbranch_vccnz .LBB380_1595
.LBB380_1592:
	s_clause 0x1
	s_load_b96 s[4:6], s[2:3], 0x4
	s_load_b96 s[12:14], s[2:3], 0xc4
	s_cmp_lt_u32 s28, 2
	s_wait_kmcnt 0x0
	v_mul_hi_u32 v2, s5, v0
	s_delay_alu instid0(VALU_DEP_1) | instskip(SKIP_1) | instid1(VALU_DEP_1)
	v_add_nc_u32_e32 v2, v0, v2
	s_wait_loadcnt 0x0
	v_lshrrev_b32_e32 v5, s6, v2
	s_delay_alu instid0(VALU_DEP_1) | instskip(NEXT) | instid1(VALU_DEP_1)
	v_mul_lo_u32 v2, v5, s4
	v_sub_nc_u32_e32 v0, v0, v2
	s_delay_alu instid0(VALU_DEP_1)
	v_mul_lo_u32 v2, v0, s12
	v_mul_lo_u32 v22, v0, s14
	;; [unrolled: 1-line block ×3, first 2 shown]
	s_cbranch_scc1 .LBB380_1595
; %bb.1593:
	s_clause 0x1
	s_load_b96 s[4:6], s[2:3], 0x10
	s_load_b96 s[12:14], s[2:3], 0xd0
	s_wait_kmcnt 0x0
	v_mul_hi_u32 v0, s5, v5
	s_delay_alu instid0(VALU_DEP_1) | instskip(NEXT) | instid1(VALU_DEP_1)
	v_add_nc_u32_e32 v0, v5, v0
	v_lshrrev_b32_e32 v0, s6, v0
	s_delay_alu instid0(VALU_DEP_1) | instskip(NEXT) | instid1(VALU_DEP_1)
	v_mul_lo_u32 v0, v0, s4
	v_sub_nc_u32_e32 v0, v5, v0
	s_delay_alu instid0(VALU_DEP_1)
	v_mad_u32 v2, v0, s12, v2
	v_mad_u32 v18, v0, s13, v18
	;; [unrolled: 1-line block ×3, first 2 shown]
	s_branch .LBB380_1595
.LBB380_1594:
	v_dual_mov_b32 v22, 0 :: v_dual_mov_b32 v18, 0
	v_mov_b32_e32 v2, 0
	s_and_not1_b32 vcc_lo, exec_lo, s4
	s_cbranch_vccz .LBB380_1592
.LBB380_1595:
	v_cmp_ne_u32_e32 vcc_lo, 1, v3
	s_cbranch_vccnz .LBB380_1601
; %bb.1596:
	s_cmp_lg_u32 s28, 0
	s_mov_b32 s4, 0
	s_cbranch_scc0 .LBB380_1605
; %bb.1597:
	s_min_u32 s5, s29, 15
	v_dual_mov_b32 v0, 0 :: v_dual_mov_b32 v3, v1
	v_dual_mov_b32 v16, 0 :: v_dual_mov_b32 v10, 0
	s_add_co_i32 s6, s5, 1
	s_mov_b64 s[0:1], 0xffffffffffffffe8
	s_and_b32 s6, s6, 30
	s_add_nc_u64 s[0:1], s[2:3], s[0:1]
.LBB380_1598:                           ; =>This Inner Loop Header: Depth=1
	s_clause 0x1
	s_load_b128 s[12:15], s[0:1], 0x1c
	s_load_b64 s[10:11], s[0:1], 0x2c
	s_add_co_i32 s6, s6, -2
	s_delay_alu instid0(SALU_CYCLE_1) | instskip(SKIP_3) | instid1(VALU_DEP_1)
	s_cmp_lg_u32 s6, 0
	s_wait_loadcnt 0x0
	s_wait_kmcnt 0x0
	v_mul_hi_u32 v5, s13, v3
	v_add_nc_u32_e32 v5, v3, v5
	s_delay_alu instid0(VALU_DEP_1) | instskip(NEXT) | instid1(VALU_DEP_1)
	v_lshrrev_b32_e32 v5, s14, v5
	v_mul_hi_u32 v7, s10, v5
	v_mul_lo_u32 v9, v5, s12
	s_clause 0x1
	s_load_b128 s[16:19], s[0:1], 0xdc
	s_load_b64 s[12:13], s[0:1], 0xec
	s_wait_xcnt 0x0
	s_add_nc_u64 s[0:1], s[0:1], 24
	s_delay_alu instid0(VALU_DEP_1) | instskip(NEXT) | instid1(VALU_DEP_1)
	v_dual_add_nc_u32 v7, v5, v7 :: v_dual_sub_nc_u32 v9, v3, v9
	v_lshrrev_b32_e32 v3, s11, v7
	s_wait_kmcnt 0x0
	s_delay_alu instid0(VALU_DEP_2) | instskip(NEXT) | instid1(VALU_DEP_2)
	v_mad_u32 v0, v9, s16, v0
	v_mul_lo_u32 v7, v3, s15
	v_mad_u32 v10, v9, s18, v10
	v_mad_u32 v9, v9, s17, v16
	s_delay_alu instid0(VALU_DEP_3) | instskip(NEXT) | instid1(VALU_DEP_1)
	v_sub_nc_u32_e32 v5, v5, v7
	v_mad_u32 v0, v5, s19, v0
	s_delay_alu instid0(VALU_DEP_4) | instskip(NEXT) | instid1(VALU_DEP_4)
	v_mad_u32 v10, v5, s13, v10
	v_mad_u32 v16, v5, s12, v9
	s_cbranch_scc1 .LBB380_1598
; %bb.1599:
	s_bitcmp1_b32 s5, 0
	s_cselect_b32 s5, -1, 0
	s_delay_alu instid0(SALU_CYCLE_1)
	s_and_b32 vcc_lo, exec_lo, s5
	s_cbranch_vccnz .LBB380_1602
; %bb.1600:
	s_clause 0x1
	s_load_b96 s[12:14], s[0:1], 0x1c
	s_load_b96 s[16:18], s[0:1], 0xdc
	s_wait_kmcnt 0x0
	v_mul_hi_u32 v5, s13, v3
	s_delay_alu instid0(VALU_DEP_1) | instskip(NEXT) | instid1(VALU_DEP_1)
	v_add_nc_u32_e32 v5, v3, v5
	v_lshrrev_b32_e32 v5, s14, v5
	s_delay_alu instid0(VALU_DEP_1) | instskip(NEXT) | instid1(VALU_DEP_1)
	v_mul_lo_u32 v5, v5, s12
	v_sub_nc_u32_e32 v3, v3, v5
	s_delay_alu instid0(VALU_DEP_1)
	v_mad_u32 v0, v3, s16, v0
	v_mad_u32 v16, v3, s17, v16
	;; [unrolled: 1-line block ×3, first 2 shown]
	s_and_not1_b32 vcc_lo, exec_lo, s4
	s_cbranch_vccz .LBB380_1603
	s_branch .LBB380_1606
.LBB380_1601:
	s_mov_b32 s4, -1
                                        ; implicit-def: $vgpr10
                                        ; implicit-def: $vgpr16
                                        ; implicit-def: $vgpr0
.LBB380_1602:
	s_delay_alu instid0(SALU_CYCLE_1)
	s_and_not1_b32 vcc_lo, exec_lo, s4
	s_cbranch_vccnz .LBB380_1606
.LBB380_1603:
	s_clause 0x1
	s_load_b96 s[4:6], s[2:3], 0x4
	s_load_b96 s[12:14], s[2:3], 0xc4
	s_cmp_lt_u32 s28, 2
	s_wait_kmcnt 0x0
	v_mul_hi_u32 v0, s5, v1
	s_delay_alu instid0(VALU_DEP_1) | instskip(NEXT) | instid1(VALU_DEP_1)
	v_add_nc_u32_e32 v0, v1, v0
	v_lshrrev_b32_e32 v3, s6, v0
	s_delay_alu instid0(VALU_DEP_1) | instskip(NEXT) | instid1(VALU_DEP_1)
	v_mul_lo_u32 v0, v3, s4
	v_sub_nc_u32_e32 v1, v1, v0
	s_delay_alu instid0(VALU_DEP_1)
	v_mul_lo_u32 v0, v1, s12
	v_mul_lo_u32 v10, v1, s14
	;; [unrolled: 1-line block ×3, first 2 shown]
	s_cbranch_scc1 .LBB380_1606
; %bb.1604:
	s_clause 0x1
	s_load_b96 s[4:6], s[2:3], 0x10
	s_load_b96 s[12:14], s[2:3], 0xd0
	s_wait_kmcnt 0x0
	v_mul_hi_u32 v1, s5, v3
	s_delay_alu instid0(VALU_DEP_1) | instskip(NEXT) | instid1(VALU_DEP_1)
	v_add_nc_u32_e32 v1, v3, v1
	v_lshrrev_b32_e32 v1, s6, v1
	s_delay_alu instid0(VALU_DEP_1) | instskip(NEXT) | instid1(VALU_DEP_1)
	v_mul_lo_u32 v1, v1, s4
	v_sub_nc_u32_e32 v1, v3, v1
	s_delay_alu instid0(VALU_DEP_1)
	v_mad_u32 v0, v1, s12, v0
	v_mad_u32 v16, v1, s13, v16
	;; [unrolled: 1-line block ×3, first 2 shown]
	s_branch .LBB380_1606
.LBB380_1605:
	v_dual_mov_b32 v10, 0 :: v_dual_mov_b32 v16, 0
	v_mov_b32_e32 v0, 0
	s_and_not1_b32 vcc_lo, exec_lo, s4
	s_cbranch_vccz .LBB380_1603
.LBB380_1606:
	s_wait_loadcnt 0x0
	v_mov_b32_e32 v9, 0
	s_load_b128 s[4:7], s[2:3], 0x188
	global_load_u8 v1, v9, s[2:3] offset:421
	s_wait_kmcnt 0x0
	v_add_nc_u64_e32 v[24:25], s[6:7], v[8:9]
	s_wait_loadcnt 0x0
	v_and_b32_e32 v3, 0xffff, v1
	v_readfirstlane_b32 s11, v1
	s_delay_alu instid0(VALU_DEP_2)
	v_cmp_gt_i32_e32 vcc_lo, 11, v3
	s_cbranch_vccnz .LBB380_1613
; %bb.1607:
	s_and_b32 s0, 0xffff, s11
	s_mov_b32 s12, 0
	s_cmp_gt_i32 s0, 25
	s_cbranch_scc0 .LBB380_1615
; %bb.1608:
	s_cmp_gt_i32 s0, 28
	s_cbranch_scc0 .LBB380_1616
; %bb.1609:
	;; [unrolled: 3-line block ×4, first 2 shown]
	s_cmp_eq_u32 s0, 46
	s_mov_b32 s10, 0
	s_cbranch_scc0 .LBB380_1621
; %bb.1612:
	global_load_b32 v1, v[24:25], off
	s_mov_b32 s1, 0
	s_mov_b32 s13, -1
	s_wait_loadcnt 0x0
	v_lshlrev_b32_e32 v1, 16, v1
	s_delay_alu instid0(VALU_DEP_1)
	v_cvt_i32_f32_e32 v8, v1
	s_branch .LBB380_1623
.LBB380_1613:
	s_mov_b32 s13, 0
	s_mov_b32 s10, s8
                                        ; implicit-def: $vgpr8
	s_cbranch_execnz .LBB380_1681
.LBB380_1614:
	s_and_not1_b32 vcc_lo, exec_lo, s13
	s_cbranch_vccz .LBB380_1726
	s_branch .LBB380_3047
.LBB380_1615:
	s_mov_b32 s13, 0
	s_mov_b32 s1, 0
                                        ; implicit-def: $vgpr8
	s_cbranch_execnz .LBB380_1648
	s_branch .LBB380_1677
.LBB380_1616:
	s_mov_b32 s13, 0
	s_mov_b32 s1, 0
                                        ; implicit-def: $vgpr8
	s_cbranch_execz .LBB380_1647
	s_branch .LBB380_1632
.LBB380_1617:
	s_mov_b32 s13, 0
	s_mov_b32 s1, 0
                                        ; implicit-def: $vgpr8
	s_cbranch_execnz .LBB380_1628
	s_branch .LBB380_1631
.LBB380_1618:
	s_mov_b32 s10, -1
	s_mov_b32 s13, 0
	s_mov_b32 s1, 0
	s_branch .LBB380_1622
.LBB380_1619:
	s_and_not1_saveexec_b32 s10, s10
	s_cbranch_execz .LBB380_1474
.LBB380_1620:
	v_add_f32_e32 v2, 0x46000000, v3
	s_and_not1_b32 s9, s9, exec_lo
	s_delay_alu instid0(VALU_DEP_1) | instskip(NEXT) | instid1(VALU_DEP_1)
	v_and_b32_e32 v2, 0xff, v2
	v_cmp_ne_u32_e32 vcc_lo, 0, v2
	s_and_b32 s11, vcc_lo, exec_lo
	s_delay_alu instid0(SALU_CYCLE_1)
	s_or_b32 s9, s9, s11
	s_or_b32 exec_lo, exec_lo, s10
	v_mov_b32_e32 v4, 0
	s_and_saveexec_b32 s10, s9
	s_cbranch_execnz .LBB380_1475
	s_branch .LBB380_1476
.LBB380_1621:
	s_mov_b32 s1, -1
	s_mov_b32 s13, 0
.LBB380_1622:
                                        ; implicit-def: $vgpr8
.LBB380_1623:
	s_and_b32 vcc_lo, exec_lo, s10
	s_cbranch_vccz .LBB380_1626
; %bb.1624:
	s_cmp_eq_u32 s0, 44
	s_cbranch_scc0 .LBB380_1627
; %bb.1625:
	global_load_u8 v1, v[24:25], off
	s_mov_b32 s1, 0
	s_mov_b32 s13, -1
	s_wait_loadcnt 0x0
	v_lshlrev_b32_e32 v3, 23, v1
	v_cmp_ne_u32_e32 vcc_lo, 0, v1
	s_delay_alu instid0(VALU_DEP_2) | instskip(NEXT) | instid1(VALU_DEP_1)
	v_cvt_i32_f32_e32 v3, v3
	v_cndmask_b32_e32 v8, 0, v3, vcc_lo
.LBB380_1626:
	s_branch .LBB380_1631
.LBB380_1627:
	s_mov_b32 s1, -1
                                        ; implicit-def: $vgpr8
	s_branch .LBB380_1631
.LBB380_1628:
	s_cmp_eq_u32 s0, 29
	s_cbranch_scc0 .LBB380_1630
; %bb.1629:
	global_load_b64 v[8:9], v[24:25], off
	s_mov_b32 s1, 0
	s_mov_b32 s13, -1
	s_branch .LBB380_1631
.LBB380_1630:
	s_mov_b32 s1, -1
                                        ; implicit-def: $vgpr8
.LBB380_1631:
	s_branch .LBB380_1647
.LBB380_1632:
	s_cmp_lt_i32 s0, 27
	s_cbranch_scc1 .LBB380_1635
; %bb.1633:
	s_cmp_gt_i32 s0, 27
	s_cbranch_scc0 .LBB380_1636
; %bb.1634:
	s_wait_loadcnt 0x0
	global_load_b32 v8, v[24:25], off
	s_mov_b32 s10, 0
	s_branch .LBB380_1637
.LBB380_1635:
	s_mov_b32 s10, -1
                                        ; implicit-def: $vgpr8
	s_branch .LBB380_1640
.LBB380_1636:
	s_mov_b32 s10, -1
                                        ; implicit-def: $vgpr8
.LBB380_1637:
	s_delay_alu instid0(SALU_CYCLE_1)
	s_and_not1_b32 vcc_lo, exec_lo, s10
	s_cbranch_vccnz .LBB380_1639
; %bb.1638:
	s_wait_loadcnt 0x0
	global_load_u16 v8, v[24:25], off
.LBB380_1639:
	s_mov_b32 s10, 0
.LBB380_1640:
	s_delay_alu instid0(SALU_CYCLE_1)
	s_and_not1_b32 vcc_lo, exec_lo, s10
	s_cbranch_vccnz .LBB380_1646
; %bb.1641:
	global_load_u8 v1, v[24:25], off
	s_mov_b32 s13, 0
	s_mov_b32 s10, exec_lo
	s_wait_loadcnt 0x0
	v_cmpx_lt_i16_e32 0x7f, v1
	s_xor_b32 s10, exec_lo, s10
	s_cbranch_execz .LBB380_1657
; %bb.1642:
	v_cmp_ne_u16_e32 vcc_lo, 0x80, v1
	s_and_b32 s13, vcc_lo, exec_lo
	s_and_not1_saveexec_b32 s10, s10
	s_cbranch_execnz .LBB380_1658
.LBB380_1643:
	s_or_b32 exec_lo, exec_lo, s10
	v_mov_b32_e32 v8, 0
	s_and_saveexec_b32 s10, s13
	s_cbranch_execz .LBB380_1645
.LBB380_1644:
	v_and_b32_e32 v3, 0xffff, v1
	s_delay_alu instid0(VALU_DEP_1) | instskip(SKIP_1) | instid1(VALU_DEP_2)
	v_dual_lshlrev_b32 v1, 24, v1 :: v_dual_bitop2_b32 v5, 7, v3 bitop3:0x40
	v_bfe_u32 v9, v3, 3, 4
	v_and_b32_e32 v1, 0x80000000, v1
	s_delay_alu instid0(VALU_DEP_3) | instskip(NEXT) | instid1(VALU_DEP_3)
	v_clz_i32_u32_e32 v7, v5
	v_cmp_eq_u32_e32 vcc_lo, 0, v9
	s_delay_alu instid0(VALU_DEP_2) | instskip(NEXT) | instid1(VALU_DEP_1)
	v_min_u32_e32 v7, 32, v7
	v_subrev_nc_u32_e32 v8, 28, v7
	v_sub_nc_u32_e32 v7, 29, v7
	s_delay_alu instid0(VALU_DEP_2) | instskip(NEXT) | instid1(VALU_DEP_2)
	v_lshlrev_b32_e32 v3, v8, v3
	v_cndmask_b32_e32 v7, v9, v7, vcc_lo
	s_delay_alu instid0(VALU_DEP_2) | instskip(NEXT) | instid1(VALU_DEP_1)
	v_and_b32_e32 v3, 7, v3
	v_cndmask_b32_e32 v3, v5, v3, vcc_lo
	s_delay_alu instid0(VALU_DEP_3) | instskip(NEXT) | instid1(VALU_DEP_2)
	v_lshl_add_u32 v5, v7, 23, 0x3b800000
	v_lshlrev_b32_e32 v3, 20, v3
	s_delay_alu instid0(VALU_DEP_1) | instskip(NEXT) | instid1(VALU_DEP_1)
	v_or3_b32 v1, v1, v5, v3
	v_cvt_i32_f32_e32 v8, v1
.LBB380_1645:
	s_or_b32 exec_lo, exec_lo, s10
.LBB380_1646:
	s_mov_b32 s13, -1
.LBB380_1647:
	s_branch .LBB380_1677
.LBB380_1648:
	s_cmp_gt_i32 s0, 22
	s_cbranch_scc0 .LBB380_1656
; %bb.1649:
	s_cmp_lt_i32 s0, 24
	s_cbranch_scc1 .LBB380_1659
; %bb.1650:
	s_cmp_gt_i32 s0, 24
	s_cbranch_scc0 .LBB380_1660
; %bb.1651:
	global_load_u8 v1, v[24:25], off
	s_mov_b32 s10, exec_lo
	s_wait_loadcnt 0x0
	v_cmpx_lt_i16_e32 0x7f, v1
	s_xor_b32 s10, exec_lo, s10
	s_cbranch_execz .LBB380_1671
; %bb.1652:
	v_cmp_ne_u16_e32 vcc_lo, 0x80, v1
	s_and_b32 s12, vcc_lo, exec_lo
	s_and_not1_saveexec_b32 s10, s10
	s_cbranch_execnz .LBB380_1672
.LBB380_1653:
	s_or_b32 exec_lo, exec_lo, s10
	v_mov_b32_e32 v8, 0
	s_and_saveexec_b32 s10, s12
	s_cbranch_execz .LBB380_1655
.LBB380_1654:
	v_and_b32_e32 v3, 0xffff, v1
	s_delay_alu instid0(VALU_DEP_1) | instskip(SKIP_1) | instid1(VALU_DEP_2)
	v_dual_lshlrev_b32 v1, 24, v1 :: v_dual_bitop2_b32 v5, 3, v3 bitop3:0x40
	v_bfe_u32 v9, v3, 2, 5
	v_and_b32_e32 v1, 0x80000000, v1
	s_delay_alu instid0(VALU_DEP_3) | instskip(NEXT) | instid1(VALU_DEP_3)
	v_clz_i32_u32_e32 v7, v5
	v_cmp_eq_u32_e32 vcc_lo, 0, v9
	s_delay_alu instid0(VALU_DEP_2) | instskip(NEXT) | instid1(VALU_DEP_1)
	v_min_u32_e32 v7, 32, v7
	v_subrev_nc_u32_e32 v8, 29, v7
	v_sub_nc_u32_e32 v7, 30, v7
	s_delay_alu instid0(VALU_DEP_2) | instskip(NEXT) | instid1(VALU_DEP_2)
	v_lshlrev_b32_e32 v3, v8, v3
	v_cndmask_b32_e32 v7, v9, v7, vcc_lo
	s_delay_alu instid0(VALU_DEP_2) | instskip(NEXT) | instid1(VALU_DEP_1)
	v_and_b32_e32 v3, 3, v3
	v_cndmask_b32_e32 v3, v5, v3, vcc_lo
	s_delay_alu instid0(VALU_DEP_3) | instskip(NEXT) | instid1(VALU_DEP_2)
	v_lshl_add_u32 v5, v7, 23, 0x37800000
	v_lshlrev_b32_e32 v3, 21, v3
	s_delay_alu instid0(VALU_DEP_1) | instskip(NEXT) | instid1(VALU_DEP_1)
	v_or3_b32 v1, v1, v5, v3
	v_cvt_i32_f32_e32 v8, v1
.LBB380_1655:
	s_or_b32 exec_lo, exec_lo, s10
	s_mov_b32 s10, 0
	s_branch .LBB380_1661
.LBB380_1656:
                                        ; implicit-def: $vgpr8
	s_mov_b32 s12, 0
	s_branch .LBB380_1667
.LBB380_1657:
	s_and_not1_saveexec_b32 s10, s10
	s_cbranch_execz .LBB380_1643
.LBB380_1658:
	v_cmp_ne_u16_e32 vcc_lo, 0, v1
	s_and_not1_b32 s13, s13, exec_lo
	s_and_b32 s14, vcc_lo, exec_lo
	s_delay_alu instid0(SALU_CYCLE_1)
	s_or_b32 s13, s13, s14
	s_or_b32 exec_lo, exec_lo, s10
	v_mov_b32_e32 v8, 0
	s_and_saveexec_b32 s10, s13
	s_cbranch_execnz .LBB380_1644
	s_branch .LBB380_1645
.LBB380_1659:
	s_mov_b32 s10, -1
                                        ; implicit-def: $vgpr8
	s_branch .LBB380_1664
.LBB380_1660:
	s_mov_b32 s10, -1
                                        ; implicit-def: $vgpr8
.LBB380_1661:
	s_delay_alu instid0(SALU_CYCLE_1)
	s_and_b32 vcc_lo, exec_lo, s10
	s_cbranch_vccz .LBB380_1663
; %bb.1662:
	global_load_u8 v1, v[24:25], off
	s_wait_loadcnt 0x0
	v_lshlrev_b32_e32 v1, 24, v1
	s_delay_alu instid0(VALU_DEP_1) | instskip(NEXT) | instid1(VALU_DEP_1)
	v_and_b32_e32 v3, 0x7f000000, v1
	v_clz_i32_u32_e32 v5, v3
	v_cmp_ne_u32_e32 vcc_lo, 0, v3
	v_add_nc_u32_e32 v8, 0x1000000, v3
	s_delay_alu instid0(VALU_DEP_3) | instskip(NEXT) | instid1(VALU_DEP_1)
	v_min_u32_e32 v5, 32, v5
	v_sub_nc_u32_e64 v5, v5, 4 clamp
	s_delay_alu instid0(VALU_DEP_1) | instskip(NEXT) | instid1(VALU_DEP_1)
	v_dual_lshlrev_b32 v7, v5, v3 :: v_dual_lshlrev_b32 v5, 23, v5
	v_lshrrev_b32_e32 v7, 4, v7
	s_delay_alu instid0(VALU_DEP_1) | instskip(NEXT) | instid1(VALU_DEP_1)
	v_dual_sub_nc_u32 v5, v7, v5 :: v_dual_ashrrev_i32 v7, 8, v8
	v_add_nc_u32_e32 v5, 0x3c000000, v5
	s_delay_alu instid0(VALU_DEP_1) | instskip(NEXT) | instid1(VALU_DEP_1)
	v_and_or_b32 v5, 0x7f800000, v7, v5
	v_cndmask_b32_e32 v3, 0, v5, vcc_lo
	s_delay_alu instid0(VALU_DEP_1) | instskip(NEXT) | instid1(VALU_DEP_1)
	v_and_or_b32 v1, 0x80000000, v1, v3
	v_cvt_i32_f32_e32 v8, v1
.LBB380_1663:
	s_mov_b32 s10, 0
.LBB380_1664:
	s_delay_alu instid0(SALU_CYCLE_1)
	s_and_not1_b32 vcc_lo, exec_lo, s10
	s_cbranch_vccnz .LBB380_1666
; %bb.1665:
	global_load_u8 v1, v[24:25], off
	s_wait_loadcnt 0x0
	v_lshlrev_b32_e32 v3, 25, v1
	v_lshlrev_b16 v1, 8, v1
	s_delay_alu instid0(VALU_DEP_1) | instskip(SKIP_1) | instid1(VALU_DEP_2)
	v_and_or_b32 v7, 0x7f00, v1, 0.5
	v_bfe_i32 v1, v1, 0, 16
	v_add_f32_e32 v7, -0.5, v7
	v_lshrrev_b32_e32 v5, 4, v3
	v_cmp_gt_u32_e32 vcc_lo, 0x8000000, v3
	s_delay_alu instid0(VALU_DEP_2) | instskip(NEXT) | instid1(VALU_DEP_1)
	v_or_b32_e32 v5, 0x70000000, v5
	v_mul_f32_e32 v5, 0x7800000, v5
	s_delay_alu instid0(VALU_DEP_1) | instskip(NEXT) | instid1(VALU_DEP_1)
	v_cndmask_b32_e32 v3, v5, v7, vcc_lo
	v_and_or_b32 v1, 0x80000000, v1, v3
	s_delay_alu instid0(VALU_DEP_1)
	v_cvt_i32_f32_e32 v8, v1
.LBB380_1666:
	s_mov_b32 s13, -1
	s_mov_b32 s12, 0
	s_cbranch_execnz .LBB380_1677
.LBB380_1667:
	s_cmp_gt_i32 s0, 14
	s_cbranch_scc0 .LBB380_1670
; %bb.1668:
	s_cmp_eq_u32 s0, 15
	s_cbranch_scc0 .LBB380_1673
; %bb.1669:
	global_load_u16 v1, v[24:25], off
	s_mov_b32 s1, 0
	s_mov_b32 s13, -1
	s_wait_loadcnt 0x0
	v_lshlrev_b32_e32 v1, 16, v1
	s_delay_alu instid0(VALU_DEP_1)
	v_cvt_i32_f32_e32 v8, v1
	s_branch .LBB380_1674
.LBB380_1670:
	s_mov_b32 s10, -1
                                        ; implicit-def: $vgpr8
	s_branch .LBB380_1675
.LBB380_1671:
	s_and_not1_saveexec_b32 s10, s10
	s_cbranch_execz .LBB380_1653
.LBB380_1672:
	v_cmp_ne_u16_e32 vcc_lo, 0, v1
	s_and_not1_b32 s12, s12, exec_lo
	s_and_b32 s13, vcc_lo, exec_lo
	s_delay_alu instid0(SALU_CYCLE_1)
	s_or_b32 s12, s12, s13
	s_or_b32 exec_lo, exec_lo, s10
	v_mov_b32_e32 v8, 0
	s_and_saveexec_b32 s10, s12
	s_cbranch_execnz .LBB380_1654
	s_branch .LBB380_1655
.LBB380_1673:
	s_mov_b32 s1, -1
                                        ; implicit-def: $vgpr8
.LBB380_1674:
	s_mov_b32 s10, 0
.LBB380_1675:
	s_delay_alu instid0(SALU_CYCLE_1)
	s_and_b32 vcc_lo, exec_lo, s10
	s_cbranch_vccz .LBB380_1677
; %bb.1676:
	s_cmp_lg_u32 s0, 11
	s_mov_b32 s12, -1
	s_cselect_b32 s1, -1, 0
.LBB380_1677:
	s_delay_alu instid0(SALU_CYCLE_1)
	s_and_b32 vcc_lo, exec_lo, s1
	s_mov_b32 s10, s8
	s_cbranch_vccnz .LBB380_1738
; %bb.1678:
	s_and_not1_b32 vcc_lo, exec_lo, s12
	s_cbranch_vccnz .LBB380_1680
.LBB380_1679:
	global_load_u8 v1, v[24:25], off
	s_mov_b32 s13, -1
	s_wait_loadcnt 0x0
	v_cmp_ne_u16_e32 vcc_lo, 0, v1
	v_cndmask_b32_e64 v8, 0, 1, vcc_lo
.LBB380_1680:
	s_branch .LBB380_1614
.LBB380_1681:
	s_and_b32 s0, 0xffff, s11
	s_delay_alu instid0(SALU_CYCLE_1)
	s_cmp_lt_i32 s0, 5
	s_cbranch_scc1 .LBB380_1686
; %bb.1682:
	s_cmp_lt_i32 s0, 8
	s_cbranch_scc1 .LBB380_1687
; %bb.1683:
	;; [unrolled: 3-line block ×3, first 2 shown]
	s_cmp_gt_i32 s0, 9
	s_cbranch_scc0 .LBB380_1689
; %bb.1685:
	s_wait_loadcnt 0x0
	global_load_b64 v[8:9], v[24:25], off
	s_mov_b32 s1, 0
	s_wait_loadcnt 0x0
	v_cvt_i32_f64_e32 v8, v[8:9]
	s_branch .LBB380_1690
.LBB380_1686:
                                        ; implicit-def: $vgpr8
	s_branch .LBB380_1707
.LBB380_1687:
                                        ; implicit-def: $vgpr8
	s_branch .LBB380_1696
.LBB380_1688:
	s_mov_b32 s1, -1
                                        ; implicit-def: $vgpr8
	s_branch .LBB380_1693
.LBB380_1689:
	s_mov_b32 s1, -1
                                        ; implicit-def: $vgpr8
.LBB380_1690:
	s_delay_alu instid0(SALU_CYCLE_1)
	s_and_not1_b32 vcc_lo, exec_lo, s1
	s_cbranch_vccnz .LBB380_1692
; %bb.1691:
	global_load_b32 v1, v[24:25], off
	s_wait_loadcnt 0x0
	v_cvt_i32_f32_e32 v8, v1
.LBB380_1692:
	s_mov_b32 s1, 0
.LBB380_1693:
	s_delay_alu instid0(SALU_CYCLE_1)
	s_and_not1_b32 vcc_lo, exec_lo, s1
	s_cbranch_vccnz .LBB380_1695
; %bb.1694:
	global_load_b32 v1, v[24:25], off
	s_wait_loadcnt 0x0
	v_cvt_i16_f16_e32 v8, v1
.LBB380_1695:
	s_cbranch_execnz .LBB380_1706
.LBB380_1696:
	s_cmp_lt_i32 s0, 6
	s_cbranch_scc1 .LBB380_1699
; %bb.1697:
	s_cmp_gt_i32 s0, 6
	s_cbranch_scc0 .LBB380_1700
; %bb.1698:
	s_wait_loadcnt 0x0
	global_load_b64 v[8:9], v[24:25], off
	s_mov_b32 s1, 0
	s_wait_loadcnt 0x0
	v_cvt_i32_f64_e32 v8, v[8:9]
	s_branch .LBB380_1701
.LBB380_1699:
	s_mov_b32 s1, -1
                                        ; implicit-def: $vgpr8
	s_branch .LBB380_1704
.LBB380_1700:
	s_mov_b32 s1, -1
                                        ; implicit-def: $vgpr8
.LBB380_1701:
	s_delay_alu instid0(SALU_CYCLE_1)
	s_and_not1_b32 vcc_lo, exec_lo, s1
	s_cbranch_vccnz .LBB380_1703
; %bb.1702:
	global_load_b32 v1, v[24:25], off
	s_wait_loadcnt 0x0
	v_cvt_i32_f32_e32 v8, v1
.LBB380_1703:
	s_mov_b32 s1, 0
.LBB380_1704:
	s_delay_alu instid0(SALU_CYCLE_1)
	s_and_not1_b32 vcc_lo, exec_lo, s1
	s_cbranch_vccnz .LBB380_1706
; %bb.1705:
	global_load_u16 v1, v[24:25], off
	s_wait_loadcnt 0x0
	v_cvt_i16_f16_e32 v8, v1
.LBB380_1706:
	s_cbranch_execnz .LBB380_1725
.LBB380_1707:
	s_cmp_lt_i32 s0, 2
	s_cbranch_scc1 .LBB380_1711
; %bb.1708:
	s_cmp_lt_i32 s0, 3
	s_cbranch_scc1 .LBB380_1712
; %bb.1709:
	s_cmp_gt_i32 s0, 3
	s_cbranch_scc0 .LBB380_1713
; %bb.1710:
	s_wait_loadcnt 0x0
	global_load_b64 v[8:9], v[24:25], off
	s_mov_b32 s1, 0
	s_branch .LBB380_1714
.LBB380_1711:
                                        ; implicit-def: $vgpr8
	s_branch .LBB380_1720
.LBB380_1712:
	s_mov_b32 s1, -1
                                        ; implicit-def: $vgpr8
	s_branch .LBB380_1717
.LBB380_1713:
	s_mov_b32 s1, -1
                                        ; implicit-def: $vgpr8
.LBB380_1714:
	s_delay_alu instid0(SALU_CYCLE_1)
	s_and_not1_b32 vcc_lo, exec_lo, s1
	s_cbranch_vccnz .LBB380_1716
; %bb.1715:
	s_wait_loadcnt 0x0
	global_load_b32 v8, v[24:25], off
.LBB380_1716:
	s_mov_b32 s1, 0
.LBB380_1717:
	s_delay_alu instid0(SALU_CYCLE_1)
	s_and_not1_b32 vcc_lo, exec_lo, s1
	s_cbranch_vccnz .LBB380_1719
; %bb.1718:
	s_wait_loadcnt 0x0
	global_load_u16 v8, v[24:25], off
.LBB380_1719:
	s_cbranch_execnz .LBB380_1725
.LBB380_1720:
	s_cmp_gt_i32 s0, 0
	s_mov_b32 s0, 0
	s_cbranch_scc0 .LBB380_1722
; %bb.1721:
	s_wait_loadcnt 0x0
	global_load_u8 v8, v[24:25], off
	s_branch .LBB380_1723
.LBB380_1722:
	s_mov_b32 s0, -1
                                        ; implicit-def: $vgpr8
.LBB380_1723:
	s_delay_alu instid0(SALU_CYCLE_1)
	s_and_not1_b32 vcc_lo, exec_lo, s0
	s_cbranch_vccnz .LBB380_1725
; %bb.1724:
	s_wait_loadcnt 0x0
	global_load_u8 v8, v[24:25], off
.LBB380_1725:
.LBB380_1726:
	v_mov_b32_e32 v15, 0
	s_load_b64 s[0:1], s[2:3], 0x198
	global_load_u8 v1, v15, s[2:3] offset:422
	s_wait_kmcnt 0x0
	v_add_nc_u64_e32 v[24:25], s[0:1], v[14:15]
	s_wait_loadcnt 0x0
	v_and_b32_e32 v3, 0xffff, v1
	v_readfirstlane_b32 s12, v1
	s_delay_alu instid0(VALU_DEP_2)
	v_cmp_gt_i32_e32 vcc_lo, 11, v3
	s_cbranch_vccnz .LBB380_1733
; %bb.1727:
	s_and_b32 s13, 0xffff, s12
	s_mov_b32 s15, 0
	s_cmp_gt_i32 s13, 25
	s_cbranch_scc0 .LBB380_1735
; %bb.1728:
	s_cmp_gt_i32 s13, 28
	s_cbranch_scc0 .LBB380_1736
; %bb.1729:
	;; [unrolled: 3-line block ×4, first 2 shown]
	s_cmp_eq_u32 s13, 46
	s_mov_b32 s17, 0
	s_cbranch_scc0 .LBB380_1742
; %bb.1732:
	global_load_b32 v1, v[24:25], off
	s_mov_b32 s14, 0
	s_mov_b32 s16, -1
	s_wait_loadcnt 0x0
	v_lshlrev_b32_e32 v1, 16, v1
	s_delay_alu instid0(VALU_DEP_1)
	v_cvt_i32_f32_e32 v14, v1
	s_branch .LBB380_1744
.LBB380_1733:
	s_mov_b32 s16, 0
                                        ; implicit-def: $vgpr14
	s_cbranch_execnz .LBB380_1805
.LBB380_1734:
	s_and_not1_b32 vcc_lo, exec_lo, s16
	s_cbranch_vccnz .LBB380_3047
	s_branch .LBB380_1852
.LBB380_1735:
	s_mov_b32 s16, 0
	s_mov_b32 s14, 0
                                        ; implicit-def: $vgpr14
	s_cbranch_execnz .LBB380_1771
	s_branch .LBB380_1801
.LBB380_1736:
	s_mov_b32 s17, -1
	s_mov_b32 s16, 0
	s_mov_b32 s14, 0
                                        ; implicit-def: $vgpr14
	s_branch .LBB380_1754
.LBB380_1737:
	s_mov_b32 s17, -1
	s_mov_b32 s16, 0
	s_mov_b32 s14, 0
                                        ; implicit-def: $vgpr14
	s_branch .LBB380_1749
.LBB380_1738:
	s_or_b32 s10, s8, exec_lo
	s_trap 2
	s_cbranch_execz .LBB380_1679
	s_branch .LBB380_1680
.LBB380_1739:
	s_mov_b32 s17, -1
	s_mov_b32 s16, 0
	s_mov_b32 s14, 0
	s_branch .LBB380_1743
.LBB380_1740:
	s_and_not1_saveexec_b32 s11, s11
	s_cbranch_execz .LBB380_1486
.LBB380_1741:
	v_add_f32_e32 v2, 0x42800000, v3
	s_and_not1_b32 s10, s10, exec_lo
	s_delay_alu instid0(VALU_DEP_1) | instskip(NEXT) | instid1(VALU_DEP_1)
	v_and_b32_e32 v2, 0xff, v2
	v_cmp_ne_u32_e32 vcc_lo, 0, v2
	s_and_b32 s12, vcc_lo, exec_lo
	s_delay_alu instid0(SALU_CYCLE_1)
	s_or_b32 s10, s10, s12
	s_or_b32 exec_lo, exec_lo, s11
	v_mov_b32_e32 v4, 0
	s_and_saveexec_b32 s11, s10
	s_cbranch_execnz .LBB380_1487
	s_branch .LBB380_1488
.LBB380_1742:
	s_mov_b32 s14, -1
	s_mov_b32 s16, 0
.LBB380_1743:
                                        ; implicit-def: $vgpr14
.LBB380_1744:
	s_and_b32 vcc_lo, exec_lo, s17
	s_cbranch_vccz .LBB380_1748
; %bb.1745:
	s_cmp_eq_u32 s13, 44
	s_cbranch_scc0 .LBB380_1747
; %bb.1746:
	global_load_u8 v1, v[24:25], off
	s_mov_b32 s14, 0
	s_mov_b32 s16, -1
	s_wait_loadcnt 0x0
	v_lshlrev_b32_e32 v3, 23, v1
	v_cmp_ne_u32_e32 vcc_lo, 0, v1
	s_delay_alu instid0(VALU_DEP_2) | instskip(NEXT) | instid1(VALU_DEP_1)
	v_cvt_i32_f32_e32 v3, v3
	v_cndmask_b32_e32 v14, 0, v3, vcc_lo
	s_branch .LBB380_1748
.LBB380_1747:
	s_mov_b32 s14, -1
                                        ; implicit-def: $vgpr14
.LBB380_1748:
	s_mov_b32 s17, 0
.LBB380_1749:
	s_delay_alu instid0(SALU_CYCLE_1)
	s_and_b32 vcc_lo, exec_lo, s17
	s_cbranch_vccz .LBB380_1753
; %bb.1750:
	s_cmp_eq_u32 s13, 29
	s_cbranch_scc0 .LBB380_1752
; %bb.1751:
	global_load_b64 v[14:15], v[24:25], off
	s_mov_b32 s14, 0
	s_mov_b32 s16, -1
	s_branch .LBB380_1753
.LBB380_1752:
	s_mov_b32 s14, -1
                                        ; implicit-def: $vgpr14
.LBB380_1753:
	s_mov_b32 s17, 0
.LBB380_1754:
	s_delay_alu instid0(SALU_CYCLE_1)
	s_and_b32 vcc_lo, exec_lo, s17
	s_cbranch_vccz .LBB380_1770
; %bb.1755:
	s_cmp_lt_i32 s13, 27
	s_cbranch_scc1 .LBB380_1758
; %bb.1756:
	s_cmp_gt_i32 s13, 27
	s_cbranch_scc0 .LBB380_1759
; %bb.1757:
	s_wait_loadcnt 0x0
	global_load_b32 v14, v[24:25], off
	s_mov_b32 s16, 0
	s_branch .LBB380_1760
.LBB380_1758:
	s_mov_b32 s16, -1
                                        ; implicit-def: $vgpr14
	s_branch .LBB380_1763
.LBB380_1759:
	s_mov_b32 s16, -1
                                        ; implicit-def: $vgpr14
.LBB380_1760:
	s_delay_alu instid0(SALU_CYCLE_1)
	s_and_not1_b32 vcc_lo, exec_lo, s16
	s_cbranch_vccnz .LBB380_1762
; %bb.1761:
	s_wait_loadcnt 0x0
	global_load_u16 v14, v[24:25], off
.LBB380_1762:
	s_mov_b32 s16, 0
.LBB380_1763:
	s_delay_alu instid0(SALU_CYCLE_1)
	s_and_not1_b32 vcc_lo, exec_lo, s16
	s_cbranch_vccnz .LBB380_1769
; %bb.1764:
	global_load_u8 v1, v[24:25], off
	s_mov_b32 s17, 0
	s_mov_b32 s16, exec_lo
	s_wait_loadcnt 0x0
	v_cmpx_lt_i16_e32 0x7f, v1
	s_xor_b32 s16, exec_lo, s16
	s_cbranch_execz .LBB380_1780
; %bb.1765:
	v_cmp_ne_u16_e32 vcc_lo, 0x80, v1
	s_and_b32 s17, vcc_lo, exec_lo
	s_and_not1_saveexec_b32 s16, s16
	s_cbranch_execnz .LBB380_1781
.LBB380_1766:
	s_or_b32 exec_lo, exec_lo, s16
	v_mov_b32_e32 v14, 0
	s_and_saveexec_b32 s16, s17
	s_cbranch_execz .LBB380_1768
.LBB380_1767:
	v_and_b32_e32 v3, 0xffff, v1
	s_delay_alu instid0(VALU_DEP_1) | instskip(SKIP_1) | instid1(VALU_DEP_2)
	v_dual_lshlrev_b32 v1, 24, v1 :: v_dual_bitop2_b32 v5, 7, v3 bitop3:0x40
	v_bfe_u32 v11, v3, 3, 4
	v_and_b32_e32 v1, 0x80000000, v1
	s_delay_alu instid0(VALU_DEP_3) | instskip(NEXT) | instid1(VALU_DEP_3)
	v_clz_i32_u32_e32 v7, v5
	v_cmp_eq_u32_e32 vcc_lo, 0, v11
	s_delay_alu instid0(VALU_DEP_2) | instskip(NEXT) | instid1(VALU_DEP_1)
	v_min_u32_e32 v7, 32, v7
	v_subrev_nc_u32_e32 v9, 28, v7
	v_sub_nc_u32_e32 v7, 29, v7
	s_delay_alu instid0(VALU_DEP_2) | instskip(NEXT) | instid1(VALU_DEP_2)
	v_lshlrev_b32_e32 v3, v9, v3
	v_cndmask_b32_e32 v7, v11, v7, vcc_lo
	s_delay_alu instid0(VALU_DEP_2) | instskip(NEXT) | instid1(VALU_DEP_1)
	v_and_b32_e32 v3, 7, v3
	v_cndmask_b32_e32 v3, v5, v3, vcc_lo
	s_delay_alu instid0(VALU_DEP_3) | instskip(NEXT) | instid1(VALU_DEP_2)
	v_lshl_add_u32 v5, v7, 23, 0x3b800000
	v_lshlrev_b32_e32 v3, 20, v3
	s_delay_alu instid0(VALU_DEP_1) | instskip(NEXT) | instid1(VALU_DEP_1)
	v_or3_b32 v1, v1, v5, v3
	v_cvt_i32_f32_e32 v14, v1
.LBB380_1768:
	s_or_b32 exec_lo, exec_lo, s16
.LBB380_1769:
	s_mov_b32 s16, -1
.LBB380_1770:
	s_branch .LBB380_1801
.LBB380_1771:
	s_cmp_gt_i32 s13, 22
	s_cbranch_scc0 .LBB380_1779
; %bb.1772:
	s_cmp_lt_i32 s13, 24
	s_cbranch_scc1 .LBB380_1782
; %bb.1773:
	s_cmp_gt_i32 s13, 24
	s_cbranch_scc0 .LBB380_1783
; %bb.1774:
	global_load_u8 v1, v[24:25], off
	s_mov_b32 s16, 0
	s_mov_b32 s15, exec_lo
	s_wait_loadcnt 0x0
	v_cmpx_lt_i16_e32 0x7f, v1
	s_xor_b32 s15, exec_lo, s15
	s_cbranch_execz .LBB380_1795
; %bb.1775:
	v_cmp_ne_u16_e32 vcc_lo, 0x80, v1
	s_and_b32 s16, vcc_lo, exec_lo
	s_and_not1_saveexec_b32 s15, s15
	s_cbranch_execnz .LBB380_1796
.LBB380_1776:
	s_or_b32 exec_lo, exec_lo, s15
	v_mov_b32_e32 v14, 0
	s_and_saveexec_b32 s15, s16
	s_cbranch_execz .LBB380_1778
.LBB380_1777:
	v_and_b32_e32 v3, 0xffff, v1
	s_delay_alu instid0(VALU_DEP_1) | instskip(SKIP_1) | instid1(VALU_DEP_2)
	v_dual_lshlrev_b32 v1, 24, v1 :: v_dual_bitop2_b32 v5, 3, v3 bitop3:0x40
	v_bfe_u32 v11, v3, 2, 5
	v_and_b32_e32 v1, 0x80000000, v1
	s_delay_alu instid0(VALU_DEP_3) | instskip(NEXT) | instid1(VALU_DEP_3)
	v_clz_i32_u32_e32 v7, v5
	v_cmp_eq_u32_e32 vcc_lo, 0, v11
	s_delay_alu instid0(VALU_DEP_2) | instskip(NEXT) | instid1(VALU_DEP_1)
	v_min_u32_e32 v7, 32, v7
	v_subrev_nc_u32_e32 v9, 29, v7
	v_sub_nc_u32_e32 v7, 30, v7
	s_delay_alu instid0(VALU_DEP_2) | instskip(NEXT) | instid1(VALU_DEP_2)
	v_lshlrev_b32_e32 v3, v9, v3
	v_cndmask_b32_e32 v7, v11, v7, vcc_lo
	s_delay_alu instid0(VALU_DEP_2) | instskip(NEXT) | instid1(VALU_DEP_1)
	v_and_b32_e32 v3, 3, v3
	v_cndmask_b32_e32 v3, v5, v3, vcc_lo
	s_delay_alu instid0(VALU_DEP_3) | instskip(NEXT) | instid1(VALU_DEP_2)
	v_lshl_add_u32 v5, v7, 23, 0x37800000
	v_lshlrev_b32_e32 v3, 21, v3
	s_delay_alu instid0(VALU_DEP_1) | instskip(NEXT) | instid1(VALU_DEP_1)
	v_or3_b32 v1, v1, v5, v3
	v_cvt_i32_f32_e32 v14, v1
.LBB380_1778:
	s_or_b32 exec_lo, exec_lo, s15
	s_mov_b32 s15, 0
	s_branch .LBB380_1784
.LBB380_1779:
	s_mov_b32 s15, -1
                                        ; implicit-def: $vgpr14
	s_branch .LBB380_1790
.LBB380_1780:
	s_and_not1_saveexec_b32 s16, s16
	s_cbranch_execz .LBB380_1766
.LBB380_1781:
	v_cmp_ne_u16_e32 vcc_lo, 0, v1
	s_and_not1_b32 s17, s17, exec_lo
	s_and_b32 s18, vcc_lo, exec_lo
	s_delay_alu instid0(SALU_CYCLE_1)
	s_or_b32 s17, s17, s18
	s_or_b32 exec_lo, exec_lo, s16
	v_mov_b32_e32 v14, 0
	s_and_saveexec_b32 s16, s17
	s_cbranch_execnz .LBB380_1767
	s_branch .LBB380_1768
.LBB380_1782:
	s_mov_b32 s15, -1
                                        ; implicit-def: $vgpr14
	s_branch .LBB380_1787
.LBB380_1783:
	s_mov_b32 s15, -1
                                        ; implicit-def: $vgpr14
.LBB380_1784:
	s_delay_alu instid0(SALU_CYCLE_1)
	s_and_b32 vcc_lo, exec_lo, s15
	s_cbranch_vccz .LBB380_1786
; %bb.1785:
	global_load_u8 v1, v[24:25], off
	s_wait_loadcnt 0x0
	v_lshlrev_b32_e32 v1, 24, v1
	s_delay_alu instid0(VALU_DEP_1) | instskip(NEXT) | instid1(VALU_DEP_1)
	v_and_b32_e32 v3, 0x7f000000, v1
	v_clz_i32_u32_e32 v5, v3
	v_add_nc_u32_e32 v9, 0x1000000, v3
	v_cmp_ne_u32_e32 vcc_lo, 0, v3
	s_delay_alu instid0(VALU_DEP_3) | instskip(NEXT) | instid1(VALU_DEP_1)
	v_min_u32_e32 v5, 32, v5
	v_sub_nc_u32_e64 v5, v5, 4 clamp
	s_delay_alu instid0(VALU_DEP_1) | instskip(NEXT) | instid1(VALU_DEP_1)
	v_dual_lshlrev_b32 v7, v5, v3 :: v_dual_lshlrev_b32 v5, 23, v5
	v_lshrrev_b32_e32 v7, 4, v7
	s_delay_alu instid0(VALU_DEP_1) | instskip(SKIP_1) | instid1(VALU_DEP_2)
	v_sub_nc_u32_e32 v5, v7, v5
	v_ashrrev_i32_e32 v7, 8, v9
	v_add_nc_u32_e32 v5, 0x3c000000, v5
	s_delay_alu instid0(VALU_DEP_1) | instskip(NEXT) | instid1(VALU_DEP_1)
	v_and_or_b32 v5, 0x7f800000, v7, v5
	v_cndmask_b32_e32 v3, 0, v5, vcc_lo
	s_delay_alu instid0(VALU_DEP_1) | instskip(NEXT) | instid1(VALU_DEP_1)
	v_and_or_b32 v1, 0x80000000, v1, v3
	v_cvt_i32_f32_e32 v14, v1
.LBB380_1786:
	s_mov_b32 s15, 0
.LBB380_1787:
	s_delay_alu instid0(SALU_CYCLE_1)
	s_and_not1_b32 vcc_lo, exec_lo, s15
	s_cbranch_vccnz .LBB380_1789
; %bb.1788:
	global_load_u8 v1, v[24:25], off
	s_wait_loadcnt 0x0
	v_lshlrev_b32_e32 v3, 25, v1
	v_lshlrev_b16 v1, 8, v1
	s_delay_alu instid0(VALU_DEP_1) | instskip(SKIP_1) | instid1(VALU_DEP_2)
	v_and_or_b32 v7, 0x7f00, v1, 0.5
	v_bfe_i32 v1, v1, 0, 16
	v_add_f32_e32 v7, -0.5, v7
	v_lshrrev_b32_e32 v5, 4, v3
	v_cmp_gt_u32_e32 vcc_lo, 0x8000000, v3
	s_delay_alu instid0(VALU_DEP_2) | instskip(NEXT) | instid1(VALU_DEP_1)
	v_or_b32_e32 v5, 0x70000000, v5
	v_mul_f32_e32 v5, 0x7800000, v5
	s_delay_alu instid0(VALU_DEP_1) | instskip(NEXT) | instid1(VALU_DEP_1)
	v_cndmask_b32_e32 v3, v5, v7, vcc_lo
	v_and_or_b32 v1, 0x80000000, v1, v3
	s_delay_alu instid0(VALU_DEP_1)
	v_cvt_i32_f32_e32 v14, v1
.LBB380_1789:
	s_mov_b32 s15, 0
	s_mov_b32 s16, -1
.LBB380_1790:
	s_and_not1_b32 vcc_lo, exec_lo, s15
	s_mov_b32 s15, 0
	s_cbranch_vccnz .LBB380_1801
; %bb.1791:
	s_cmp_gt_i32 s13, 14
	s_cbranch_scc0 .LBB380_1794
; %bb.1792:
	s_cmp_eq_u32 s13, 15
	s_cbranch_scc0 .LBB380_1797
; %bb.1793:
	global_load_u16 v1, v[24:25], off
	s_mov_b32 s14, 0
	s_mov_b32 s16, -1
	s_wait_loadcnt 0x0
	v_lshlrev_b32_e32 v1, 16, v1
	s_delay_alu instid0(VALU_DEP_1)
	v_cvt_i32_f32_e32 v14, v1
	s_branch .LBB380_1799
.LBB380_1794:
	s_mov_b32 s15, -1
	s_branch .LBB380_1798
.LBB380_1795:
	s_and_not1_saveexec_b32 s15, s15
	s_cbranch_execz .LBB380_1776
.LBB380_1796:
	v_cmp_ne_u16_e32 vcc_lo, 0, v1
	s_and_not1_b32 s16, s16, exec_lo
	s_and_b32 s17, vcc_lo, exec_lo
	s_delay_alu instid0(SALU_CYCLE_1)
	s_or_b32 s16, s16, s17
	s_or_b32 exec_lo, exec_lo, s15
	v_mov_b32_e32 v14, 0
	s_and_saveexec_b32 s15, s16
	s_cbranch_execnz .LBB380_1777
	s_branch .LBB380_1778
.LBB380_1797:
	s_mov_b32 s14, -1
.LBB380_1798:
                                        ; implicit-def: $vgpr14
.LBB380_1799:
	s_and_b32 vcc_lo, exec_lo, s15
	s_mov_b32 s15, 0
	s_cbranch_vccz .LBB380_1801
; %bb.1800:
	s_cmp_lg_u32 s13, 11
	s_mov_b32 s15, -1
	s_cselect_b32 s14, -1, 0
.LBB380_1801:
	s_delay_alu instid0(SALU_CYCLE_1)
	s_and_b32 vcc_lo, exec_lo, s14
	s_cbranch_vccnz .LBB380_1864
; %bb.1802:
	s_and_not1_b32 vcc_lo, exec_lo, s15
	s_cbranch_vccnz .LBB380_1804
.LBB380_1803:
	global_load_u8 v1, v[24:25], off
	s_mov_b32 s16, -1
	s_wait_loadcnt 0x0
	v_cmp_ne_u16_e32 vcc_lo, 0, v1
	v_cndmask_b32_e64 v14, 0, 1, vcc_lo
.LBB380_1804:
	s_branch .LBB380_1734
.LBB380_1805:
	s_and_b32 s13, 0xffff, s12
	s_delay_alu instid0(SALU_CYCLE_1)
	s_cmp_lt_i32 s13, 5
	s_cbranch_scc1 .LBB380_1810
; %bb.1806:
	s_cmp_lt_i32 s13, 8
	s_cbranch_scc1 .LBB380_1811
; %bb.1807:
	s_cmp_lt_i32 s13, 9
	s_cbranch_scc1 .LBB380_1812
; %bb.1808:
	s_cmp_gt_i32 s13, 9
	s_cbranch_scc0 .LBB380_1813
; %bb.1809:
	s_wait_loadcnt 0x0
	global_load_b64 v[14:15], v[24:25], off
	s_mov_b32 s14, 0
	s_wait_loadcnt 0x0
	v_cvt_i32_f64_e32 v14, v[14:15]
	s_branch .LBB380_1814
.LBB380_1810:
                                        ; implicit-def: $vgpr14
	s_branch .LBB380_1832
.LBB380_1811:
	s_mov_b32 s14, -1
                                        ; implicit-def: $vgpr14
	s_branch .LBB380_1820
.LBB380_1812:
	s_mov_b32 s14, -1
                                        ; implicit-def: $vgpr14
	s_branch .LBB380_1817
.LBB380_1813:
	s_mov_b32 s14, -1
                                        ; implicit-def: $vgpr14
.LBB380_1814:
	s_delay_alu instid0(SALU_CYCLE_1)
	s_and_not1_b32 vcc_lo, exec_lo, s14
	s_cbranch_vccnz .LBB380_1816
; %bb.1815:
	global_load_b32 v1, v[24:25], off
	s_wait_loadcnt 0x0
	v_cvt_i32_f32_e32 v14, v1
.LBB380_1816:
	s_mov_b32 s14, 0
.LBB380_1817:
	s_delay_alu instid0(SALU_CYCLE_1)
	s_and_not1_b32 vcc_lo, exec_lo, s14
	s_cbranch_vccnz .LBB380_1819
; %bb.1818:
	global_load_b32 v1, v[24:25], off
	s_wait_loadcnt 0x0
	v_cvt_i16_f16_e32 v14, v1
.LBB380_1819:
	s_mov_b32 s14, 0
.LBB380_1820:
	s_delay_alu instid0(SALU_CYCLE_1)
	s_and_not1_b32 vcc_lo, exec_lo, s14
	s_cbranch_vccnz .LBB380_1831
; %bb.1821:
	s_cmp_lt_i32 s13, 6
	s_cbranch_scc1 .LBB380_1824
; %bb.1822:
	s_cmp_gt_i32 s13, 6
	s_cbranch_scc0 .LBB380_1825
; %bb.1823:
	s_wait_loadcnt 0x0
	global_load_b64 v[14:15], v[24:25], off
	s_mov_b32 s14, 0
	s_wait_loadcnt 0x0
	v_cvt_i32_f64_e32 v14, v[14:15]
	s_branch .LBB380_1826
.LBB380_1824:
	s_mov_b32 s14, -1
                                        ; implicit-def: $vgpr14
	s_branch .LBB380_1829
.LBB380_1825:
	s_mov_b32 s14, -1
                                        ; implicit-def: $vgpr14
.LBB380_1826:
	s_delay_alu instid0(SALU_CYCLE_1)
	s_and_not1_b32 vcc_lo, exec_lo, s14
	s_cbranch_vccnz .LBB380_1828
; %bb.1827:
	global_load_b32 v1, v[24:25], off
	s_wait_loadcnt 0x0
	v_cvt_i32_f32_e32 v14, v1
.LBB380_1828:
	s_mov_b32 s14, 0
.LBB380_1829:
	s_delay_alu instid0(SALU_CYCLE_1)
	s_and_not1_b32 vcc_lo, exec_lo, s14
	s_cbranch_vccnz .LBB380_1831
; %bb.1830:
	global_load_u16 v1, v[24:25], off
	s_wait_loadcnt 0x0
	v_cvt_i16_f16_e32 v14, v1
.LBB380_1831:
	s_cbranch_execnz .LBB380_1851
.LBB380_1832:
	s_cmp_lt_i32 s13, 2
	s_cbranch_scc1 .LBB380_1836
; %bb.1833:
	s_cmp_lt_i32 s13, 3
	s_cbranch_scc1 .LBB380_1837
; %bb.1834:
	s_cmp_gt_i32 s13, 3
	s_cbranch_scc0 .LBB380_1838
; %bb.1835:
	s_wait_loadcnt 0x0
	global_load_b64 v[14:15], v[24:25], off
	s_mov_b32 s14, 0
	s_branch .LBB380_1839
.LBB380_1836:
	s_mov_b32 s14, -1
                                        ; implicit-def: $vgpr14
	s_branch .LBB380_1845
.LBB380_1837:
	s_mov_b32 s14, -1
                                        ; implicit-def: $vgpr14
	s_branch .LBB380_1842
.LBB380_1838:
	s_mov_b32 s14, -1
                                        ; implicit-def: $vgpr14
.LBB380_1839:
	s_delay_alu instid0(SALU_CYCLE_1)
	s_and_not1_b32 vcc_lo, exec_lo, s14
	s_cbranch_vccnz .LBB380_1841
; %bb.1840:
	s_wait_loadcnt 0x0
	global_load_b32 v14, v[24:25], off
.LBB380_1841:
	s_mov_b32 s14, 0
.LBB380_1842:
	s_delay_alu instid0(SALU_CYCLE_1)
	s_and_not1_b32 vcc_lo, exec_lo, s14
	s_cbranch_vccnz .LBB380_1844
; %bb.1843:
	s_wait_loadcnt 0x0
	global_load_u16 v14, v[24:25], off
.LBB380_1844:
	s_mov_b32 s14, 0
.LBB380_1845:
	s_delay_alu instid0(SALU_CYCLE_1)
	s_and_not1_b32 vcc_lo, exec_lo, s14
	s_cbranch_vccnz .LBB380_1851
; %bb.1846:
	s_cmp_gt_i32 s13, 0
	s_mov_b32 s13, 0
	s_cbranch_scc0 .LBB380_1848
; %bb.1847:
	s_wait_loadcnt 0x0
	global_load_u8 v14, v[24:25], off
	s_branch .LBB380_1849
.LBB380_1848:
	s_mov_b32 s13, -1
                                        ; implicit-def: $vgpr14
.LBB380_1849:
	s_delay_alu instid0(SALU_CYCLE_1)
	s_and_not1_b32 vcc_lo, exec_lo, s13
	s_cbranch_vccnz .LBB380_1851
; %bb.1850:
	s_wait_loadcnt 0x0
	global_load_u8 v14, v[24:25], off
.LBB380_1851:
.LBB380_1852:
	v_mov_b32_e32 v13, 0
	s_and_b32 s11, 0xffff, s11
	s_delay_alu instid0(SALU_CYCLE_1) | instskip(SKIP_1) | instid1(VALU_DEP_1)
	s_cmp_lt_i32 s11, 11
	s_wait_xcnt 0x0
	v_add_nc_u64_e32 v[24:25], s[6:7], v[12:13]
	s_cbranch_scc1 .LBB380_1859
; %bb.1853:
	s_cmp_gt_i32 s11, 25
	s_mov_b32 s14, 0
	s_cbranch_scc0 .LBB380_1861
; %bb.1854:
	s_cmp_gt_i32 s11, 28
	s_cbranch_scc0 .LBB380_1862
; %bb.1855:
	s_cmp_gt_i32 s11, 43
	;; [unrolled: 3-line block ×3, first 2 shown]
	s_cbranch_scc0 .LBB380_1865
; %bb.1857:
	s_cmp_eq_u32 s11, 46
	s_mov_b32 s16, 0
	s_cbranch_scc0 .LBB380_1866
; %bb.1858:
	global_load_b32 v1, v[24:25], off
	s_mov_b32 s13, 0
	s_mov_b32 s15, -1
	s_wait_loadcnt 0x0
	v_lshlrev_b32_e32 v1, 16, v1
	s_delay_alu instid0(VALU_DEP_1)
	v_cvt_i32_f32_e32 v12, v1
	s_branch .LBB380_1868
.LBB380_1859:
	s_mov_b32 s15, 0
                                        ; implicit-def: $vgpr12
	s_cbranch_execnz .LBB380_1930
.LBB380_1860:
	s_and_not1_b32 vcc_lo, exec_lo, s15
	s_cbranch_vccnz .LBB380_3047
	s_branch .LBB380_1978
.LBB380_1861:
	s_mov_b32 s16, -1
	s_mov_b32 s15, 0
	s_mov_b32 s13, 0
                                        ; implicit-def: $vgpr12
	s_branch .LBB380_1895
.LBB380_1862:
	s_mov_b32 s16, -1
	s_mov_b32 s15, 0
	s_mov_b32 s13, 0
                                        ; implicit-def: $vgpr12
	s_branch .LBB380_1878
.LBB380_1863:
	s_mov_b32 s16, -1
	s_mov_b32 s15, 0
	s_mov_b32 s13, 0
                                        ; implicit-def: $vgpr12
	s_branch .LBB380_1873
.LBB380_1864:
	s_or_b32 s10, s10, exec_lo
	s_trap 2
	s_cbranch_execz .LBB380_1803
	s_branch .LBB380_1804
.LBB380_1865:
	s_mov_b32 s16, -1
	s_mov_b32 s15, 0
	s_mov_b32 s13, 0
	s_branch .LBB380_1867
.LBB380_1866:
	s_mov_b32 s13, -1
	s_mov_b32 s15, 0
.LBB380_1867:
                                        ; implicit-def: $vgpr12
.LBB380_1868:
	s_and_b32 vcc_lo, exec_lo, s16
	s_cbranch_vccz .LBB380_1872
; %bb.1869:
	s_cmp_eq_u32 s11, 44
	s_cbranch_scc0 .LBB380_1871
; %bb.1870:
	global_load_u8 v1, v[24:25], off
	s_mov_b32 s13, 0
	s_mov_b32 s15, -1
	s_wait_loadcnt 0x0
	v_lshlrev_b32_e32 v3, 23, v1
	v_cmp_ne_u32_e32 vcc_lo, 0, v1
	s_delay_alu instid0(VALU_DEP_2) | instskip(NEXT) | instid1(VALU_DEP_1)
	v_cvt_i32_f32_e32 v3, v3
	v_cndmask_b32_e32 v12, 0, v3, vcc_lo
	s_branch .LBB380_1872
.LBB380_1871:
	s_mov_b32 s13, -1
                                        ; implicit-def: $vgpr12
.LBB380_1872:
	s_mov_b32 s16, 0
.LBB380_1873:
	s_delay_alu instid0(SALU_CYCLE_1)
	s_and_b32 vcc_lo, exec_lo, s16
	s_cbranch_vccz .LBB380_1877
; %bb.1874:
	s_cmp_eq_u32 s11, 29
	s_cbranch_scc0 .LBB380_1876
; %bb.1875:
	global_load_b64 v[12:13], v[24:25], off
	s_mov_b32 s13, 0
	s_mov_b32 s15, -1
	s_branch .LBB380_1877
.LBB380_1876:
	s_mov_b32 s13, -1
                                        ; implicit-def: $vgpr12
.LBB380_1877:
	s_mov_b32 s16, 0
.LBB380_1878:
	s_delay_alu instid0(SALU_CYCLE_1)
	s_and_b32 vcc_lo, exec_lo, s16
	s_cbranch_vccz .LBB380_1894
; %bb.1879:
	s_cmp_lt_i32 s11, 27
	s_cbranch_scc1 .LBB380_1882
; %bb.1880:
	s_cmp_gt_i32 s11, 27
	s_cbranch_scc0 .LBB380_1883
; %bb.1881:
	s_wait_loadcnt 0x0
	global_load_b32 v12, v[24:25], off
	s_mov_b32 s15, 0
	s_branch .LBB380_1884
.LBB380_1882:
	s_mov_b32 s15, -1
                                        ; implicit-def: $vgpr12
	s_branch .LBB380_1887
.LBB380_1883:
	s_mov_b32 s15, -1
                                        ; implicit-def: $vgpr12
.LBB380_1884:
	s_delay_alu instid0(SALU_CYCLE_1)
	s_and_not1_b32 vcc_lo, exec_lo, s15
	s_cbranch_vccnz .LBB380_1886
; %bb.1885:
	s_wait_loadcnt 0x0
	global_load_u16 v12, v[24:25], off
.LBB380_1886:
	s_mov_b32 s15, 0
.LBB380_1887:
	s_delay_alu instid0(SALU_CYCLE_1)
	s_and_not1_b32 vcc_lo, exec_lo, s15
	s_cbranch_vccnz .LBB380_1893
; %bb.1888:
	global_load_u8 v1, v[24:25], off
	s_mov_b32 s16, 0
	s_mov_b32 s15, exec_lo
	s_wait_loadcnt 0x0
	v_cmpx_lt_i16_e32 0x7f, v1
	s_xor_b32 s15, exec_lo, s15
	s_cbranch_execz .LBB380_1905
; %bb.1889:
	v_cmp_ne_u16_e32 vcc_lo, 0x80, v1
	s_and_b32 s16, vcc_lo, exec_lo
	s_and_not1_saveexec_b32 s15, s15
	s_cbranch_execnz .LBB380_1906
.LBB380_1890:
	s_or_b32 exec_lo, exec_lo, s15
	v_mov_b32_e32 v12, 0
	s_and_saveexec_b32 s15, s16
	s_cbranch_execz .LBB380_1892
.LBB380_1891:
	v_and_b32_e32 v3, 0xffff, v1
	s_delay_alu instid0(VALU_DEP_1) | instskip(SKIP_1) | instid1(VALU_DEP_2)
	v_dual_lshlrev_b32 v1, 24, v1 :: v_dual_bitop2_b32 v5, 7, v3 bitop3:0x40
	v_bfe_u32 v11, v3, 3, 4
	v_and_b32_e32 v1, 0x80000000, v1
	s_delay_alu instid0(VALU_DEP_3) | instskip(NEXT) | instid1(VALU_DEP_3)
	v_clz_i32_u32_e32 v7, v5
	v_cmp_eq_u32_e32 vcc_lo, 0, v11
	s_delay_alu instid0(VALU_DEP_2) | instskip(NEXT) | instid1(VALU_DEP_1)
	v_min_u32_e32 v7, 32, v7
	v_subrev_nc_u32_e32 v9, 28, v7
	v_sub_nc_u32_e32 v7, 29, v7
	s_delay_alu instid0(VALU_DEP_2) | instskip(NEXT) | instid1(VALU_DEP_2)
	v_lshlrev_b32_e32 v3, v9, v3
	v_cndmask_b32_e32 v7, v11, v7, vcc_lo
	s_delay_alu instid0(VALU_DEP_2) | instskip(NEXT) | instid1(VALU_DEP_1)
	v_and_b32_e32 v3, 7, v3
	v_cndmask_b32_e32 v3, v5, v3, vcc_lo
	s_delay_alu instid0(VALU_DEP_3) | instskip(NEXT) | instid1(VALU_DEP_2)
	v_lshl_add_u32 v5, v7, 23, 0x3b800000
	v_lshlrev_b32_e32 v3, 20, v3
	s_delay_alu instid0(VALU_DEP_1) | instskip(NEXT) | instid1(VALU_DEP_1)
	v_or3_b32 v1, v1, v5, v3
	v_cvt_i32_f32_e32 v12, v1
.LBB380_1892:
	s_or_b32 exec_lo, exec_lo, s15
.LBB380_1893:
	s_mov_b32 s15, -1
.LBB380_1894:
	s_mov_b32 s16, 0
.LBB380_1895:
	s_delay_alu instid0(SALU_CYCLE_1)
	s_and_b32 vcc_lo, exec_lo, s16
	s_cbranch_vccz .LBB380_1926
; %bb.1896:
	s_cmp_gt_i32 s11, 22
	s_cbranch_scc0 .LBB380_1904
; %bb.1897:
	s_cmp_lt_i32 s11, 24
	s_cbranch_scc1 .LBB380_1907
; %bb.1898:
	s_cmp_gt_i32 s11, 24
	s_cbranch_scc0 .LBB380_1908
; %bb.1899:
	global_load_u8 v1, v[24:25], off
	s_mov_b32 s15, 0
	s_mov_b32 s14, exec_lo
	s_wait_loadcnt 0x0
	v_cmpx_lt_i16_e32 0x7f, v1
	s_xor_b32 s14, exec_lo, s14
	s_cbranch_execz .LBB380_1920
; %bb.1900:
	v_cmp_ne_u16_e32 vcc_lo, 0x80, v1
	s_and_b32 s15, vcc_lo, exec_lo
	s_and_not1_saveexec_b32 s14, s14
	s_cbranch_execnz .LBB380_1921
.LBB380_1901:
	s_or_b32 exec_lo, exec_lo, s14
	v_mov_b32_e32 v12, 0
	s_and_saveexec_b32 s14, s15
	s_cbranch_execz .LBB380_1903
.LBB380_1902:
	v_and_b32_e32 v3, 0xffff, v1
	s_delay_alu instid0(VALU_DEP_1) | instskip(SKIP_1) | instid1(VALU_DEP_2)
	v_dual_lshlrev_b32 v1, 24, v1 :: v_dual_bitop2_b32 v5, 3, v3 bitop3:0x40
	v_bfe_u32 v11, v3, 2, 5
	v_and_b32_e32 v1, 0x80000000, v1
	s_delay_alu instid0(VALU_DEP_3) | instskip(NEXT) | instid1(VALU_DEP_3)
	v_clz_i32_u32_e32 v7, v5
	v_cmp_eq_u32_e32 vcc_lo, 0, v11
	s_delay_alu instid0(VALU_DEP_2) | instskip(NEXT) | instid1(VALU_DEP_1)
	v_min_u32_e32 v7, 32, v7
	v_subrev_nc_u32_e32 v9, 29, v7
	v_sub_nc_u32_e32 v7, 30, v7
	s_delay_alu instid0(VALU_DEP_2) | instskip(NEXT) | instid1(VALU_DEP_2)
	v_lshlrev_b32_e32 v3, v9, v3
	v_cndmask_b32_e32 v7, v11, v7, vcc_lo
	s_delay_alu instid0(VALU_DEP_2) | instskip(NEXT) | instid1(VALU_DEP_1)
	v_and_b32_e32 v3, 3, v3
	v_cndmask_b32_e32 v3, v5, v3, vcc_lo
	s_delay_alu instid0(VALU_DEP_3) | instskip(NEXT) | instid1(VALU_DEP_2)
	v_lshl_add_u32 v5, v7, 23, 0x37800000
	v_lshlrev_b32_e32 v3, 21, v3
	s_delay_alu instid0(VALU_DEP_1) | instskip(NEXT) | instid1(VALU_DEP_1)
	v_or3_b32 v1, v1, v5, v3
	v_cvt_i32_f32_e32 v12, v1
.LBB380_1903:
	s_or_b32 exec_lo, exec_lo, s14
	s_mov_b32 s14, 0
	s_branch .LBB380_1909
.LBB380_1904:
	s_mov_b32 s14, -1
                                        ; implicit-def: $vgpr12
	s_branch .LBB380_1915
.LBB380_1905:
	s_and_not1_saveexec_b32 s15, s15
	s_cbranch_execz .LBB380_1890
.LBB380_1906:
	v_cmp_ne_u16_e32 vcc_lo, 0, v1
	s_and_not1_b32 s16, s16, exec_lo
	s_and_b32 s17, vcc_lo, exec_lo
	s_delay_alu instid0(SALU_CYCLE_1)
	s_or_b32 s16, s16, s17
	s_or_b32 exec_lo, exec_lo, s15
	v_mov_b32_e32 v12, 0
	s_and_saveexec_b32 s15, s16
	s_cbranch_execnz .LBB380_1891
	s_branch .LBB380_1892
.LBB380_1907:
	s_mov_b32 s14, -1
                                        ; implicit-def: $vgpr12
	s_branch .LBB380_1912
.LBB380_1908:
	s_mov_b32 s14, -1
                                        ; implicit-def: $vgpr12
.LBB380_1909:
	s_delay_alu instid0(SALU_CYCLE_1)
	s_and_b32 vcc_lo, exec_lo, s14
	s_cbranch_vccz .LBB380_1911
; %bb.1910:
	global_load_u8 v1, v[24:25], off
	s_wait_loadcnt 0x0
	v_lshlrev_b32_e32 v1, 24, v1
	s_delay_alu instid0(VALU_DEP_1) | instskip(NEXT) | instid1(VALU_DEP_1)
	v_and_b32_e32 v3, 0x7f000000, v1
	v_clz_i32_u32_e32 v5, v3
	v_add_nc_u32_e32 v9, 0x1000000, v3
	v_cmp_ne_u32_e32 vcc_lo, 0, v3
	s_delay_alu instid0(VALU_DEP_3) | instskip(NEXT) | instid1(VALU_DEP_1)
	v_min_u32_e32 v5, 32, v5
	v_sub_nc_u32_e64 v5, v5, 4 clamp
	s_delay_alu instid0(VALU_DEP_1) | instskip(NEXT) | instid1(VALU_DEP_1)
	v_dual_lshlrev_b32 v7, v5, v3 :: v_dual_lshlrev_b32 v5, 23, v5
	v_lshrrev_b32_e32 v7, 4, v7
	s_delay_alu instid0(VALU_DEP_1) | instskip(SKIP_1) | instid1(VALU_DEP_2)
	v_sub_nc_u32_e32 v5, v7, v5
	v_ashrrev_i32_e32 v7, 8, v9
	v_add_nc_u32_e32 v5, 0x3c000000, v5
	s_delay_alu instid0(VALU_DEP_1) | instskip(NEXT) | instid1(VALU_DEP_1)
	v_and_or_b32 v5, 0x7f800000, v7, v5
	v_cndmask_b32_e32 v3, 0, v5, vcc_lo
	s_delay_alu instid0(VALU_DEP_1) | instskip(NEXT) | instid1(VALU_DEP_1)
	v_and_or_b32 v1, 0x80000000, v1, v3
	v_cvt_i32_f32_e32 v12, v1
.LBB380_1911:
	s_mov_b32 s14, 0
.LBB380_1912:
	s_delay_alu instid0(SALU_CYCLE_1)
	s_and_not1_b32 vcc_lo, exec_lo, s14
	s_cbranch_vccnz .LBB380_1914
; %bb.1913:
	global_load_u8 v1, v[24:25], off
	s_wait_loadcnt 0x0
	v_lshlrev_b32_e32 v3, 25, v1
	v_lshlrev_b16 v1, 8, v1
	s_delay_alu instid0(VALU_DEP_1) | instskip(SKIP_1) | instid1(VALU_DEP_2)
	v_and_or_b32 v7, 0x7f00, v1, 0.5
	v_bfe_i32 v1, v1, 0, 16
	v_add_f32_e32 v7, -0.5, v7
	v_lshrrev_b32_e32 v5, 4, v3
	v_cmp_gt_u32_e32 vcc_lo, 0x8000000, v3
	s_delay_alu instid0(VALU_DEP_2) | instskip(NEXT) | instid1(VALU_DEP_1)
	v_or_b32_e32 v5, 0x70000000, v5
	v_mul_f32_e32 v5, 0x7800000, v5
	s_delay_alu instid0(VALU_DEP_1) | instskip(NEXT) | instid1(VALU_DEP_1)
	v_cndmask_b32_e32 v3, v5, v7, vcc_lo
	v_and_or_b32 v1, 0x80000000, v1, v3
	s_delay_alu instid0(VALU_DEP_1)
	v_cvt_i32_f32_e32 v12, v1
.LBB380_1914:
	s_mov_b32 s14, 0
	s_mov_b32 s15, -1
.LBB380_1915:
	s_and_not1_b32 vcc_lo, exec_lo, s14
	s_mov_b32 s14, 0
	s_cbranch_vccnz .LBB380_1926
; %bb.1916:
	s_cmp_gt_i32 s11, 14
	s_cbranch_scc0 .LBB380_1919
; %bb.1917:
	s_cmp_eq_u32 s11, 15
	s_cbranch_scc0 .LBB380_1922
; %bb.1918:
	global_load_u16 v1, v[24:25], off
	s_mov_b32 s13, 0
	s_mov_b32 s15, -1
	s_wait_loadcnt 0x0
	v_lshlrev_b32_e32 v1, 16, v1
	s_delay_alu instid0(VALU_DEP_1)
	v_cvt_i32_f32_e32 v12, v1
	s_branch .LBB380_1924
.LBB380_1919:
	s_mov_b32 s14, -1
	s_branch .LBB380_1923
.LBB380_1920:
	s_and_not1_saveexec_b32 s14, s14
	s_cbranch_execz .LBB380_1901
.LBB380_1921:
	v_cmp_ne_u16_e32 vcc_lo, 0, v1
	s_and_not1_b32 s15, s15, exec_lo
	s_and_b32 s16, vcc_lo, exec_lo
	s_delay_alu instid0(SALU_CYCLE_1)
	s_or_b32 s15, s15, s16
	s_or_b32 exec_lo, exec_lo, s14
	v_mov_b32_e32 v12, 0
	s_and_saveexec_b32 s14, s15
	s_cbranch_execnz .LBB380_1902
	s_branch .LBB380_1903
.LBB380_1922:
	s_mov_b32 s13, -1
.LBB380_1923:
                                        ; implicit-def: $vgpr12
.LBB380_1924:
	s_and_b32 vcc_lo, exec_lo, s14
	s_mov_b32 s14, 0
	s_cbranch_vccz .LBB380_1926
; %bb.1925:
	s_cmp_lg_u32 s11, 11
	s_mov_b32 s14, -1
	s_cselect_b32 s13, -1, 0
.LBB380_1926:
	s_delay_alu instid0(SALU_CYCLE_1)
	s_and_b32 vcc_lo, exec_lo, s13
	s_cbranch_vccnz .LBB380_1989
; %bb.1927:
	s_and_not1_b32 vcc_lo, exec_lo, s14
	s_cbranch_vccnz .LBB380_1929
.LBB380_1928:
	global_load_u8 v1, v[24:25], off
	s_mov_b32 s15, -1
	s_wait_loadcnt 0x0
	v_cmp_ne_u16_e32 vcc_lo, 0, v1
	v_cndmask_b32_e64 v12, 0, 1, vcc_lo
.LBB380_1929:
	s_branch .LBB380_1860
.LBB380_1930:
	s_cmp_lt_i32 s11, 5
	s_cbranch_scc1 .LBB380_1935
; %bb.1931:
	s_cmp_lt_i32 s11, 8
	s_cbranch_scc1 .LBB380_1936
; %bb.1932:
	;; [unrolled: 3-line block ×3, first 2 shown]
	s_cmp_gt_i32 s11, 9
	s_cbranch_scc0 .LBB380_1938
; %bb.1934:
	s_wait_loadcnt 0x0
	global_load_b64 v[12:13], v[24:25], off
	s_mov_b32 s13, 0
	s_wait_loadcnt 0x0
	v_cvt_i32_f64_e32 v12, v[12:13]
	s_branch .LBB380_1939
.LBB380_1935:
	s_mov_b32 s13, -1
                                        ; implicit-def: $vgpr12
	s_branch .LBB380_1957
.LBB380_1936:
	s_mov_b32 s13, -1
                                        ; implicit-def: $vgpr12
	s_branch .LBB380_1945
.LBB380_1937:
	s_mov_b32 s13, -1
                                        ; implicit-def: $vgpr12
	s_branch .LBB380_1942
.LBB380_1938:
	s_mov_b32 s13, -1
                                        ; implicit-def: $vgpr12
.LBB380_1939:
	s_delay_alu instid0(SALU_CYCLE_1)
	s_and_not1_b32 vcc_lo, exec_lo, s13
	s_cbranch_vccnz .LBB380_1941
; %bb.1940:
	global_load_b32 v1, v[24:25], off
	s_wait_loadcnt 0x0
	v_cvt_i32_f32_e32 v12, v1
.LBB380_1941:
	s_mov_b32 s13, 0
.LBB380_1942:
	s_delay_alu instid0(SALU_CYCLE_1)
	s_and_not1_b32 vcc_lo, exec_lo, s13
	s_cbranch_vccnz .LBB380_1944
; %bb.1943:
	global_load_b32 v1, v[24:25], off
	s_wait_loadcnt 0x0
	v_cvt_i16_f16_e32 v12, v1
.LBB380_1944:
	s_mov_b32 s13, 0
.LBB380_1945:
	s_delay_alu instid0(SALU_CYCLE_1)
	s_and_not1_b32 vcc_lo, exec_lo, s13
	s_cbranch_vccnz .LBB380_1956
; %bb.1946:
	s_cmp_lt_i32 s11, 6
	s_cbranch_scc1 .LBB380_1949
; %bb.1947:
	s_cmp_gt_i32 s11, 6
	s_cbranch_scc0 .LBB380_1950
; %bb.1948:
	s_wait_loadcnt 0x0
	global_load_b64 v[12:13], v[24:25], off
	s_mov_b32 s13, 0
	s_wait_loadcnt 0x0
	v_cvt_i32_f64_e32 v12, v[12:13]
	s_branch .LBB380_1951
.LBB380_1949:
	s_mov_b32 s13, -1
                                        ; implicit-def: $vgpr12
	s_branch .LBB380_1954
.LBB380_1950:
	s_mov_b32 s13, -1
                                        ; implicit-def: $vgpr12
.LBB380_1951:
	s_delay_alu instid0(SALU_CYCLE_1)
	s_and_not1_b32 vcc_lo, exec_lo, s13
	s_cbranch_vccnz .LBB380_1953
; %bb.1952:
	global_load_b32 v1, v[24:25], off
	s_wait_loadcnt 0x0
	v_cvt_i32_f32_e32 v12, v1
.LBB380_1953:
	s_mov_b32 s13, 0
.LBB380_1954:
	s_delay_alu instid0(SALU_CYCLE_1)
	s_and_not1_b32 vcc_lo, exec_lo, s13
	s_cbranch_vccnz .LBB380_1956
; %bb.1955:
	global_load_u16 v1, v[24:25], off
	s_wait_loadcnt 0x0
	v_cvt_i16_f16_e32 v12, v1
.LBB380_1956:
	s_mov_b32 s13, 0
.LBB380_1957:
	s_delay_alu instid0(SALU_CYCLE_1)
	s_and_not1_b32 vcc_lo, exec_lo, s13
	s_cbranch_vccnz .LBB380_1977
; %bb.1958:
	s_cmp_lt_i32 s11, 2
	s_cbranch_scc1 .LBB380_1962
; %bb.1959:
	s_cmp_lt_i32 s11, 3
	s_cbranch_scc1 .LBB380_1963
; %bb.1960:
	s_cmp_gt_i32 s11, 3
	s_cbranch_scc0 .LBB380_1964
; %bb.1961:
	s_wait_loadcnt 0x0
	global_load_b64 v[12:13], v[24:25], off
	s_mov_b32 s13, 0
	s_branch .LBB380_1965
.LBB380_1962:
	s_mov_b32 s13, -1
                                        ; implicit-def: $vgpr12
	s_branch .LBB380_1971
.LBB380_1963:
	s_mov_b32 s13, -1
                                        ; implicit-def: $vgpr12
	s_branch .LBB380_1968
.LBB380_1964:
	s_mov_b32 s13, -1
                                        ; implicit-def: $vgpr12
.LBB380_1965:
	s_delay_alu instid0(SALU_CYCLE_1)
	s_and_not1_b32 vcc_lo, exec_lo, s13
	s_cbranch_vccnz .LBB380_1967
; %bb.1966:
	s_wait_loadcnt 0x0
	global_load_b32 v12, v[24:25], off
.LBB380_1967:
	s_mov_b32 s13, 0
.LBB380_1968:
	s_delay_alu instid0(SALU_CYCLE_1)
	s_and_not1_b32 vcc_lo, exec_lo, s13
	s_cbranch_vccnz .LBB380_1970
; %bb.1969:
	s_wait_loadcnt 0x0
	global_load_u16 v12, v[24:25], off
.LBB380_1970:
	s_mov_b32 s13, 0
.LBB380_1971:
	s_delay_alu instid0(SALU_CYCLE_1)
	s_and_not1_b32 vcc_lo, exec_lo, s13
	s_cbranch_vccnz .LBB380_1977
; %bb.1972:
	s_cmp_gt_i32 s11, 0
	s_mov_b32 s13, 0
	s_cbranch_scc0 .LBB380_1974
; %bb.1973:
	s_wait_loadcnt 0x0
	global_load_u8 v12, v[24:25], off
	s_branch .LBB380_1975
.LBB380_1974:
	s_mov_b32 s13, -1
                                        ; implicit-def: $vgpr12
.LBB380_1975:
	s_delay_alu instid0(SALU_CYCLE_1)
	s_and_not1_b32 vcc_lo, exec_lo, s13
	s_cbranch_vccnz .LBB380_1977
; %bb.1976:
	s_wait_loadcnt 0x0
	global_load_u8 v12, v[24:25], off
.LBB380_1977:
.LBB380_1978:
	v_mov_b32_e32 v21, 0
	s_and_b32 s12, 0xffff, s12
	s_delay_alu instid0(SALU_CYCLE_1) | instskip(SKIP_1) | instid1(VALU_DEP_1)
	s_cmp_lt_i32 s12, 11
	s_wait_xcnt 0x0
	v_add_nc_u64_e32 v[24:25], s[0:1], v[20:21]
	s_cbranch_scc1 .LBB380_1985
; %bb.1979:
	s_cmp_gt_i32 s12, 25
	s_mov_b32 s14, 0
	s_cbranch_scc0 .LBB380_1986
; %bb.1980:
	s_cmp_gt_i32 s12, 28
	s_cbranch_scc0 .LBB380_1987
; %bb.1981:
	s_cmp_gt_i32 s12, 43
	;; [unrolled: 3-line block ×3, first 2 shown]
	s_cbranch_scc0 .LBB380_1990
; %bb.1983:
	s_cmp_eq_u32 s12, 46
	s_mov_b32 s16, 0
	s_cbranch_scc0 .LBB380_1991
; %bb.1984:
	global_load_b32 v1, v[24:25], off
	s_mov_b32 s13, 0
	s_mov_b32 s15, -1
	s_wait_loadcnt 0x0
	v_lshlrev_b32_e32 v1, 16, v1
	s_delay_alu instid0(VALU_DEP_1)
	v_cvt_i32_f32_e32 v20, v1
	s_branch .LBB380_1993
.LBB380_1985:
	s_mov_b32 s13, -1
	s_mov_b32 s15, 0
                                        ; implicit-def: $vgpr20
	s_branch .LBB380_2055
.LBB380_1986:
	s_mov_b32 s16, -1
	s_mov_b32 s15, 0
	s_mov_b32 s13, 0
                                        ; implicit-def: $vgpr20
	s_branch .LBB380_2020
.LBB380_1987:
	s_mov_b32 s16, -1
	s_mov_b32 s15, 0
	s_mov_b32 s13, 0
                                        ; implicit-def: $vgpr20
	s_branch .LBB380_2003
.LBB380_1988:
	s_mov_b32 s16, -1
	s_mov_b32 s15, 0
	s_mov_b32 s13, 0
                                        ; implicit-def: $vgpr20
	s_branch .LBB380_1998
.LBB380_1989:
	s_or_b32 s10, s10, exec_lo
	s_trap 2
	s_cbranch_execz .LBB380_1928
	s_branch .LBB380_1929
.LBB380_1990:
	s_mov_b32 s16, -1
	s_mov_b32 s15, 0
	s_mov_b32 s13, 0
	s_branch .LBB380_1992
.LBB380_1991:
	s_mov_b32 s13, -1
	s_mov_b32 s15, 0
.LBB380_1992:
                                        ; implicit-def: $vgpr20
.LBB380_1993:
	s_and_b32 vcc_lo, exec_lo, s16
	s_cbranch_vccz .LBB380_1997
; %bb.1994:
	s_cmp_eq_u32 s12, 44
	s_cbranch_scc0 .LBB380_1996
; %bb.1995:
	global_load_u8 v1, v[24:25], off
	s_mov_b32 s13, 0
	s_mov_b32 s15, -1
	s_wait_loadcnt 0x0
	v_lshlrev_b32_e32 v3, 23, v1
	v_cmp_ne_u32_e32 vcc_lo, 0, v1
	s_delay_alu instid0(VALU_DEP_2) | instskip(NEXT) | instid1(VALU_DEP_1)
	v_cvt_i32_f32_e32 v3, v3
	v_cndmask_b32_e32 v20, 0, v3, vcc_lo
	s_branch .LBB380_1997
.LBB380_1996:
	s_mov_b32 s13, -1
                                        ; implicit-def: $vgpr20
.LBB380_1997:
	s_mov_b32 s16, 0
.LBB380_1998:
	s_delay_alu instid0(SALU_CYCLE_1)
	s_and_b32 vcc_lo, exec_lo, s16
	s_cbranch_vccz .LBB380_2002
; %bb.1999:
	s_cmp_eq_u32 s12, 29
	s_cbranch_scc0 .LBB380_2001
; %bb.2000:
	global_load_b64 v[20:21], v[24:25], off
	s_mov_b32 s13, 0
	s_mov_b32 s15, -1
	s_branch .LBB380_2002
.LBB380_2001:
	s_mov_b32 s13, -1
                                        ; implicit-def: $vgpr20
.LBB380_2002:
	s_mov_b32 s16, 0
.LBB380_2003:
	s_delay_alu instid0(SALU_CYCLE_1)
	s_and_b32 vcc_lo, exec_lo, s16
	s_cbranch_vccz .LBB380_2019
; %bb.2004:
	s_cmp_lt_i32 s12, 27
	s_cbranch_scc1 .LBB380_2007
; %bb.2005:
	s_cmp_gt_i32 s12, 27
	s_cbranch_scc0 .LBB380_2008
; %bb.2006:
	s_wait_loadcnt 0x0
	global_load_b32 v20, v[24:25], off
	s_mov_b32 s15, 0
	s_branch .LBB380_2009
.LBB380_2007:
	s_mov_b32 s15, -1
                                        ; implicit-def: $vgpr20
	s_branch .LBB380_2012
.LBB380_2008:
	s_mov_b32 s15, -1
                                        ; implicit-def: $vgpr20
.LBB380_2009:
	s_delay_alu instid0(SALU_CYCLE_1)
	s_and_not1_b32 vcc_lo, exec_lo, s15
	s_cbranch_vccnz .LBB380_2011
; %bb.2010:
	s_wait_loadcnt 0x0
	global_load_u16 v20, v[24:25], off
.LBB380_2011:
	s_mov_b32 s15, 0
.LBB380_2012:
	s_delay_alu instid0(SALU_CYCLE_1)
	s_and_not1_b32 vcc_lo, exec_lo, s15
	s_cbranch_vccnz .LBB380_2018
; %bb.2013:
	global_load_u8 v1, v[24:25], off
	s_mov_b32 s16, 0
	s_mov_b32 s15, exec_lo
	s_wait_loadcnt 0x0
	v_cmpx_lt_i16_e32 0x7f, v1
	s_xor_b32 s15, exec_lo, s15
	s_cbranch_execz .LBB380_2030
; %bb.2014:
	v_cmp_ne_u16_e32 vcc_lo, 0x80, v1
	s_and_b32 s16, vcc_lo, exec_lo
	s_and_not1_saveexec_b32 s15, s15
	s_cbranch_execnz .LBB380_2031
.LBB380_2015:
	s_or_b32 exec_lo, exec_lo, s15
	v_mov_b32_e32 v20, 0
	s_and_saveexec_b32 s15, s16
	s_cbranch_execz .LBB380_2017
.LBB380_2016:
	v_and_b32_e32 v3, 0xffff, v1
	s_delay_alu instid0(VALU_DEP_1) | instskip(SKIP_1) | instid1(VALU_DEP_2)
	v_dual_lshlrev_b32 v1, 24, v1 :: v_dual_bitop2_b32 v5, 7, v3 bitop3:0x40
	v_bfe_u32 v11, v3, 3, 4
	v_and_b32_e32 v1, 0x80000000, v1
	s_delay_alu instid0(VALU_DEP_3) | instskip(NEXT) | instid1(VALU_DEP_3)
	v_clz_i32_u32_e32 v7, v5
	v_cmp_eq_u32_e32 vcc_lo, 0, v11
	s_delay_alu instid0(VALU_DEP_2) | instskip(NEXT) | instid1(VALU_DEP_1)
	v_min_u32_e32 v7, 32, v7
	v_subrev_nc_u32_e32 v9, 28, v7
	v_sub_nc_u32_e32 v7, 29, v7
	s_delay_alu instid0(VALU_DEP_2) | instskip(NEXT) | instid1(VALU_DEP_2)
	v_lshlrev_b32_e32 v3, v9, v3
	v_cndmask_b32_e32 v7, v11, v7, vcc_lo
	s_delay_alu instid0(VALU_DEP_2) | instskip(NEXT) | instid1(VALU_DEP_1)
	v_and_b32_e32 v3, 7, v3
	v_cndmask_b32_e32 v3, v5, v3, vcc_lo
	s_delay_alu instid0(VALU_DEP_3) | instskip(NEXT) | instid1(VALU_DEP_2)
	v_lshl_add_u32 v5, v7, 23, 0x3b800000
	v_lshlrev_b32_e32 v3, 20, v3
	s_delay_alu instid0(VALU_DEP_1) | instskip(NEXT) | instid1(VALU_DEP_1)
	v_or3_b32 v1, v1, v5, v3
	v_cvt_i32_f32_e32 v20, v1
.LBB380_2017:
	s_or_b32 exec_lo, exec_lo, s15
.LBB380_2018:
	s_mov_b32 s15, -1
.LBB380_2019:
	s_mov_b32 s16, 0
.LBB380_2020:
	s_delay_alu instid0(SALU_CYCLE_1)
	s_and_b32 vcc_lo, exec_lo, s16
	s_cbranch_vccz .LBB380_2051
; %bb.2021:
	s_cmp_gt_i32 s12, 22
	s_cbranch_scc0 .LBB380_2029
; %bb.2022:
	s_cmp_lt_i32 s12, 24
	s_cbranch_scc1 .LBB380_2032
; %bb.2023:
	s_cmp_gt_i32 s12, 24
	s_cbranch_scc0 .LBB380_2033
; %bb.2024:
	global_load_u8 v1, v[24:25], off
	s_mov_b32 s15, 0
	s_mov_b32 s14, exec_lo
	s_wait_loadcnt 0x0
	v_cmpx_lt_i16_e32 0x7f, v1
	s_xor_b32 s14, exec_lo, s14
	s_cbranch_execz .LBB380_2045
; %bb.2025:
	v_cmp_ne_u16_e32 vcc_lo, 0x80, v1
	s_and_b32 s15, vcc_lo, exec_lo
	s_and_not1_saveexec_b32 s14, s14
	s_cbranch_execnz .LBB380_2046
.LBB380_2026:
	s_or_b32 exec_lo, exec_lo, s14
	v_mov_b32_e32 v20, 0
	s_and_saveexec_b32 s14, s15
	s_cbranch_execz .LBB380_2028
.LBB380_2027:
	v_and_b32_e32 v3, 0xffff, v1
	s_delay_alu instid0(VALU_DEP_1) | instskip(SKIP_1) | instid1(VALU_DEP_2)
	v_dual_lshlrev_b32 v1, 24, v1 :: v_dual_bitop2_b32 v5, 3, v3 bitop3:0x40
	v_bfe_u32 v11, v3, 2, 5
	v_and_b32_e32 v1, 0x80000000, v1
	s_delay_alu instid0(VALU_DEP_3) | instskip(NEXT) | instid1(VALU_DEP_3)
	v_clz_i32_u32_e32 v7, v5
	v_cmp_eq_u32_e32 vcc_lo, 0, v11
	s_delay_alu instid0(VALU_DEP_2) | instskip(NEXT) | instid1(VALU_DEP_1)
	v_min_u32_e32 v7, 32, v7
	v_subrev_nc_u32_e32 v9, 29, v7
	v_sub_nc_u32_e32 v7, 30, v7
	s_delay_alu instid0(VALU_DEP_2) | instskip(NEXT) | instid1(VALU_DEP_2)
	v_lshlrev_b32_e32 v3, v9, v3
	v_cndmask_b32_e32 v7, v11, v7, vcc_lo
	s_delay_alu instid0(VALU_DEP_2) | instskip(NEXT) | instid1(VALU_DEP_1)
	v_and_b32_e32 v3, 3, v3
	v_cndmask_b32_e32 v3, v5, v3, vcc_lo
	s_delay_alu instid0(VALU_DEP_3) | instskip(NEXT) | instid1(VALU_DEP_2)
	v_lshl_add_u32 v5, v7, 23, 0x37800000
	v_lshlrev_b32_e32 v3, 21, v3
	s_delay_alu instid0(VALU_DEP_1) | instskip(NEXT) | instid1(VALU_DEP_1)
	v_or3_b32 v1, v1, v5, v3
	v_cvt_i32_f32_e32 v20, v1
.LBB380_2028:
	s_or_b32 exec_lo, exec_lo, s14
	s_mov_b32 s14, 0
	s_branch .LBB380_2034
.LBB380_2029:
	s_mov_b32 s14, -1
                                        ; implicit-def: $vgpr20
	s_branch .LBB380_2040
.LBB380_2030:
	s_and_not1_saveexec_b32 s15, s15
	s_cbranch_execz .LBB380_2015
.LBB380_2031:
	v_cmp_ne_u16_e32 vcc_lo, 0, v1
	s_and_not1_b32 s16, s16, exec_lo
	s_and_b32 s17, vcc_lo, exec_lo
	s_delay_alu instid0(SALU_CYCLE_1)
	s_or_b32 s16, s16, s17
	s_or_b32 exec_lo, exec_lo, s15
	v_mov_b32_e32 v20, 0
	s_and_saveexec_b32 s15, s16
	s_cbranch_execnz .LBB380_2016
	s_branch .LBB380_2017
.LBB380_2032:
	s_mov_b32 s14, -1
                                        ; implicit-def: $vgpr20
	s_branch .LBB380_2037
.LBB380_2033:
	s_mov_b32 s14, -1
                                        ; implicit-def: $vgpr20
.LBB380_2034:
	s_delay_alu instid0(SALU_CYCLE_1)
	s_and_b32 vcc_lo, exec_lo, s14
	s_cbranch_vccz .LBB380_2036
; %bb.2035:
	global_load_u8 v1, v[24:25], off
	s_wait_loadcnt 0x0
	v_lshlrev_b32_e32 v1, 24, v1
	s_delay_alu instid0(VALU_DEP_1) | instskip(NEXT) | instid1(VALU_DEP_1)
	v_and_b32_e32 v3, 0x7f000000, v1
	v_clz_i32_u32_e32 v5, v3
	v_add_nc_u32_e32 v9, 0x1000000, v3
	v_cmp_ne_u32_e32 vcc_lo, 0, v3
	s_delay_alu instid0(VALU_DEP_3) | instskip(NEXT) | instid1(VALU_DEP_1)
	v_min_u32_e32 v5, 32, v5
	v_sub_nc_u32_e64 v5, v5, 4 clamp
	s_delay_alu instid0(VALU_DEP_1) | instskip(NEXT) | instid1(VALU_DEP_1)
	v_dual_lshlrev_b32 v7, v5, v3 :: v_dual_lshlrev_b32 v5, 23, v5
	v_lshrrev_b32_e32 v7, 4, v7
	s_delay_alu instid0(VALU_DEP_1) | instskip(SKIP_1) | instid1(VALU_DEP_2)
	v_sub_nc_u32_e32 v5, v7, v5
	v_ashrrev_i32_e32 v7, 8, v9
	v_add_nc_u32_e32 v5, 0x3c000000, v5
	s_delay_alu instid0(VALU_DEP_1) | instskip(NEXT) | instid1(VALU_DEP_1)
	v_and_or_b32 v5, 0x7f800000, v7, v5
	v_cndmask_b32_e32 v3, 0, v5, vcc_lo
	s_delay_alu instid0(VALU_DEP_1) | instskip(NEXT) | instid1(VALU_DEP_1)
	v_and_or_b32 v1, 0x80000000, v1, v3
	v_cvt_i32_f32_e32 v20, v1
.LBB380_2036:
	s_mov_b32 s14, 0
.LBB380_2037:
	s_delay_alu instid0(SALU_CYCLE_1)
	s_and_not1_b32 vcc_lo, exec_lo, s14
	s_cbranch_vccnz .LBB380_2039
; %bb.2038:
	global_load_u8 v1, v[24:25], off
	s_wait_loadcnt 0x0
	v_lshlrev_b32_e32 v3, 25, v1
	v_lshlrev_b16 v1, 8, v1
	s_delay_alu instid0(VALU_DEP_1) | instskip(SKIP_1) | instid1(VALU_DEP_2)
	v_and_or_b32 v7, 0x7f00, v1, 0.5
	v_bfe_i32 v1, v1, 0, 16
	v_add_f32_e32 v7, -0.5, v7
	v_lshrrev_b32_e32 v5, 4, v3
	v_cmp_gt_u32_e32 vcc_lo, 0x8000000, v3
	s_delay_alu instid0(VALU_DEP_2) | instskip(NEXT) | instid1(VALU_DEP_1)
	v_or_b32_e32 v5, 0x70000000, v5
	v_mul_f32_e32 v5, 0x7800000, v5
	s_delay_alu instid0(VALU_DEP_1) | instskip(NEXT) | instid1(VALU_DEP_1)
	v_cndmask_b32_e32 v3, v5, v7, vcc_lo
	v_and_or_b32 v1, 0x80000000, v1, v3
	s_delay_alu instid0(VALU_DEP_1)
	v_cvt_i32_f32_e32 v20, v1
.LBB380_2039:
	s_mov_b32 s14, 0
	s_mov_b32 s15, -1
.LBB380_2040:
	s_and_not1_b32 vcc_lo, exec_lo, s14
	s_mov_b32 s14, 0
	s_cbranch_vccnz .LBB380_2051
; %bb.2041:
	s_cmp_gt_i32 s12, 14
	s_cbranch_scc0 .LBB380_2044
; %bb.2042:
	s_cmp_eq_u32 s12, 15
	s_cbranch_scc0 .LBB380_2047
; %bb.2043:
	global_load_u16 v1, v[24:25], off
	s_mov_b32 s13, 0
	s_mov_b32 s15, -1
	s_wait_loadcnt 0x0
	v_lshlrev_b32_e32 v1, 16, v1
	s_delay_alu instid0(VALU_DEP_1)
	v_cvt_i32_f32_e32 v20, v1
	s_branch .LBB380_2049
.LBB380_2044:
	s_mov_b32 s14, -1
	s_branch .LBB380_2048
.LBB380_2045:
	s_and_not1_saveexec_b32 s14, s14
	s_cbranch_execz .LBB380_2026
.LBB380_2046:
	v_cmp_ne_u16_e32 vcc_lo, 0, v1
	s_and_not1_b32 s15, s15, exec_lo
	s_and_b32 s16, vcc_lo, exec_lo
	s_delay_alu instid0(SALU_CYCLE_1)
	s_or_b32 s15, s15, s16
	s_or_b32 exec_lo, exec_lo, s14
	v_mov_b32_e32 v20, 0
	s_and_saveexec_b32 s14, s15
	s_cbranch_execnz .LBB380_2027
	s_branch .LBB380_2028
.LBB380_2047:
	s_mov_b32 s13, -1
.LBB380_2048:
                                        ; implicit-def: $vgpr20
.LBB380_2049:
	s_and_b32 vcc_lo, exec_lo, s14
	s_mov_b32 s14, 0
	s_cbranch_vccz .LBB380_2051
; %bb.2050:
	s_cmp_lg_u32 s12, 11
	s_mov_b32 s14, -1
	s_cselect_b32 s13, -1, 0
.LBB380_2051:
	s_delay_alu instid0(SALU_CYCLE_1)
	s_and_b32 vcc_lo, exec_lo, s13
	s_cbranch_vccnz .LBB380_2116
; %bb.2052:
	s_and_not1_b32 vcc_lo, exec_lo, s14
	s_cbranch_vccnz .LBB380_2054
.LBB380_2053:
	global_load_u8 v1, v[24:25], off
	s_mov_b32 s15, -1
	s_wait_loadcnt 0x0
	v_cmp_ne_u16_e32 vcc_lo, 0, v1
	v_cndmask_b32_e64 v20, 0, 1, vcc_lo
.LBB380_2054:
	s_mov_b32 s13, 0
.LBB380_2055:
	s_delay_alu instid0(SALU_CYCLE_1)
	s_and_b32 vcc_lo, exec_lo, s13
	s_cbranch_vccz .LBB380_2104
; %bb.2056:
	s_cmp_lt_i32 s12, 5
	s_cbranch_scc1 .LBB380_2061
; %bb.2057:
	s_cmp_lt_i32 s12, 8
	s_cbranch_scc1 .LBB380_2062
	;; [unrolled: 3-line block ×3, first 2 shown]
; %bb.2059:
	s_cmp_gt_i32 s12, 9
	s_cbranch_scc0 .LBB380_2064
; %bb.2060:
	s_wait_loadcnt 0x0
	global_load_b64 v[20:21], v[24:25], off
	s_mov_b32 s13, 0
	s_wait_loadcnt 0x0
	v_cvt_i32_f64_e32 v20, v[20:21]
	s_branch .LBB380_2065
.LBB380_2061:
	s_mov_b32 s13, -1
                                        ; implicit-def: $vgpr20
	s_branch .LBB380_2083
.LBB380_2062:
	s_mov_b32 s13, -1
                                        ; implicit-def: $vgpr20
	s_branch .LBB380_2071
.LBB380_2063:
	s_mov_b32 s13, -1
                                        ; implicit-def: $vgpr20
	s_branch .LBB380_2068
.LBB380_2064:
	s_mov_b32 s13, -1
                                        ; implicit-def: $vgpr20
.LBB380_2065:
	s_delay_alu instid0(SALU_CYCLE_1)
	s_and_not1_b32 vcc_lo, exec_lo, s13
	s_cbranch_vccnz .LBB380_2067
; %bb.2066:
	global_load_b32 v1, v[24:25], off
	s_wait_loadcnt 0x0
	v_cvt_i32_f32_e32 v20, v1
.LBB380_2067:
	s_mov_b32 s13, 0
.LBB380_2068:
	s_delay_alu instid0(SALU_CYCLE_1)
	s_and_not1_b32 vcc_lo, exec_lo, s13
	s_cbranch_vccnz .LBB380_2070
; %bb.2069:
	global_load_b32 v1, v[24:25], off
	s_wait_loadcnt 0x0
	v_cvt_i16_f16_e32 v20, v1
.LBB380_2070:
	s_mov_b32 s13, 0
.LBB380_2071:
	s_delay_alu instid0(SALU_CYCLE_1)
	s_and_not1_b32 vcc_lo, exec_lo, s13
	s_cbranch_vccnz .LBB380_2082
; %bb.2072:
	s_cmp_lt_i32 s12, 6
	s_cbranch_scc1 .LBB380_2075
; %bb.2073:
	s_cmp_gt_i32 s12, 6
	s_cbranch_scc0 .LBB380_2076
; %bb.2074:
	s_wait_loadcnt 0x0
	global_load_b64 v[20:21], v[24:25], off
	s_mov_b32 s13, 0
	s_wait_loadcnt 0x0
	v_cvt_i32_f64_e32 v20, v[20:21]
	s_branch .LBB380_2077
.LBB380_2075:
	s_mov_b32 s13, -1
                                        ; implicit-def: $vgpr20
	s_branch .LBB380_2080
.LBB380_2076:
	s_mov_b32 s13, -1
                                        ; implicit-def: $vgpr20
.LBB380_2077:
	s_delay_alu instid0(SALU_CYCLE_1)
	s_and_not1_b32 vcc_lo, exec_lo, s13
	s_cbranch_vccnz .LBB380_2079
; %bb.2078:
	global_load_b32 v1, v[24:25], off
	s_wait_loadcnt 0x0
	v_cvt_i32_f32_e32 v20, v1
.LBB380_2079:
	s_mov_b32 s13, 0
.LBB380_2080:
	s_delay_alu instid0(SALU_CYCLE_1)
	s_and_not1_b32 vcc_lo, exec_lo, s13
	s_cbranch_vccnz .LBB380_2082
; %bb.2081:
	global_load_u16 v1, v[24:25], off
	s_wait_loadcnt 0x0
	v_cvt_i16_f16_e32 v20, v1
.LBB380_2082:
	s_mov_b32 s13, 0
.LBB380_2083:
	s_delay_alu instid0(SALU_CYCLE_1)
	s_and_not1_b32 vcc_lo, exec_lo, s13
	s_cbranch_vccnz .LBB380_2103
; %bb.2084:
	s_cmp_lt_i32 s12, 2
	s_cbranch_scc1 .LBB380_2088
; %bb.2085:
	s_cmp_lt_i32 s12, 3
	s_cbranch_scc1 .LBB380_2089
; %bb.2086:
	s_cmp_gt_i32 s12, 3
	s_cbranch_scc0 .LBB380_2090
; %bb.2087:
	s_wait_loadcnt 0x0
	global_load_b64 v[20:21], v[24:25], off
	s_mov_b32 s13, 0
	s_branch .LBB380_2091
.LBB380_2088:
	s_mov_b32 s13, -1
                                        ; implicit-def: $vgpr20
	s_branch .LBB380_2097
.LBB380_2089:
	s_mov_b32 s13, -1
                                        ; implicit-def: $vgpr20
	s_branch .LBB380_2094
.LBB380_2090:
	s_mov_b32 s13, -1
                                        ; implicit-def: $vgpr20
.LBB380_2091:
	s_delay_alu instid0(SALU_CYCLE_1)
	s_and_not1_b32 vcc_lo, exec_lo, s13
	s_cbranch_vccnz .LBB380_2093
; %bb.2092:
	s_wait_loadcnt 0x0
	global_load_b32 v20, v[24:25], off
.LBB380_2093:
	s_mov_b32 s13, 0
.LBB380_2094:
	s_delay_alu instid0(SALU_CYCLE_1)
	s_and_not1_b32 vcc_lo, exec_lo, s13
	s_cbranch_vccnz .LBB380_2096
; %bb.2095:
	s_wait_loadcnt 0x0
	global_load_u16 v20, v[24:25], off
.LBB380_2096:
	s_mov_b32 s13, 0
.LBB380_2097:
	s_delay_alu instid0(SALU_CYCLE_1)
	s_and_not1_b32 vcc_lo, exec_lo, s13
	s_cbranch_vccnz .LBB380_2103
; %bb.2098:
	s_cmp_gt_i32 s12, 0
	s_mov_b32 s13, 0
	s_cbranch_scc0 .LBB380_2100
; %bb.2099:
	s_wait_loadcnt 0x0
	global_load_u8 v20, v[24:25], off
	s_branch .LBB380_2101
.LBB380_2100:
	s_mov_b32 s13, -1
                                        ; implicit-def: $vgpr20
.LBB380_2101:
	s_delay_alu instid0(SALU_CYCLE_1)
	s_and_not1_b32 vcc_lo, exec_lo, s13
	s_cbranch_vccnz .LBB380_2103
; %bb.2102:
	s_wait_loadcnt 0x0
	global_load_u8 v20, v[24:25], off
.LBB380_2103:
	s_mov_b32 s15, -1
.LBB380_2104:
	s_delay_alu instid0(SALU_CYCLE_1)
	s_and_not1_b32 vcc_lo, exec_lo, s15
	s_cbranch_vccnz .LBB380_3047
; %bb.2105:
	v_mov_b32_e32 v19, 0
	s_cmp_lt_i32 s11, 11
	s_wait_xcnt 0x0
	s_delay_alu instid0(VALU_DEP_1)
	v_add_nc_u64_e32 v[24:25], s[6:7], v[18:19]
	s_cbranch_scc1 .LBB380_2112
; %bb.2106:
	s_cmp_gt_i32 s11, 25
	s_mov_b32 s14, 0
	s_cbranch_scc0 .LBB380_2113
; %bb.2107:
	s_cmp_gt_i32 s11, 28
	s_cbranch_scc0 .LBB380_2114
; %bb.2108:
	s_cmp_gt_i32 s11, 43
	;; [unrolled: 3-line block ×3, first 2 shown]
	s_cbranch_scc0 .LBB380_2117
; %bb.2110:
	s_cmp_eq_u32 s11, 46
	s_mov_b32 s16, 0
	s_cbranch_scc0 .LBB380_2118
; %bb.2111:
	global_load_b32 v1, v[24:25], off
	s_mov_b32 s13, 0
	s_mov_b32 s15, -1
	s_wait_loadcnt 0x0
	v_lshlrev_b32_e32 v1, 16, v1
	s_delay_alu instid0(VALU_DEP_1)
	v_cvt_i32_f32_e32 v18, v1
	s_branch .LBB380_2120
.LBB380_2112:
	s_mov_b32 s13, -1
	s_mov_b32 s15, 0
                                        ; implicit-def: $vgpr18
	s_branch .LBB380_2182
.LBB380_2113:
	s_mov_b32 s16, -1
	s_mov_b32 s15, 0
	s_mov_b32 s13, 0
                                        ; implicit-def: $vgpr18
	s_branch .LBB380_2147
.LBB380_2114:
	s_mov_b32 s16, -1
	s_mov_b32 s15, 0
	s_mov_b32 s13, 0
                                        ; implicit-def: $vgpr18
	s_branch .LBB380_2130
.LBB380_2115:
	s_mov_b32 s16, -1
	s_mov_b32 s15, 0
	s_mov_b32 s13, 0
                                        ; implicit-def: $vgpr18
	s_branch .LBB380_2125
.LBB380_2116:
	s_or_b32 s10, s10, exec_lo
	s_trap 2
	s_cbranch_execz .LBB380_2053
	s_branch .LBB380_2054
.LBB380_2117:
	s_mov_b32 s16, -1
	s_mov_b32 s15, 0
	s_mov_b32 s13, 0
	s_branch .LBB380_2119
.LBB380_2118:
	s_mov_b32 s13, -1
	s_mov_b32 s15, 0
.LBB380_2119:
                                        ; implicit-def: $vgpr18
.LBB380_2120:
	s_and_b32 vcc_lo, exec_lo, s16
	s_cbranch_vccz .LBB380_2124
; %bb.2121:
	s_cmp_eq_u32 s11, 44
	s_cbranch_scc0 .LBB380_2123
; %bb.2122:
	global_load_u8 v1, v[24:25], off
	s_mov_b32 s13, 0
	s_mov_b32 s15, -1
	s_wait_loadcnt 0x0
	v_lshlrev_b32_e32 v3, 23, v1
	v_cmp_ne_u32_e32 vcc_lo, 0, v1
	s_delay_alu instid0(VALU_DEP_2) | instskip(NEXT) | instid1(VALU_DEP_1)
	v_cvt_i32_f32_e32 v3, v3
	v_cndmask_b32_e32 v18, 0, v3, vcc_lo
	s_branch .LBB380_2124
.LBB380_2123:
	s_mov_b32 s13, -1
                                        ; implicit-def: $vgpr18
.LBB380_2124:
	s_mov_b32 s16, 0
.LBB380_2125:
	s_delay_alu instid0(SALU_CYCLE_1)
	s_and_b32 vcc_lo, exec_lo, s16
	s_cbranch_vccz .LBB380_2129
; %bb.2126:
	s_cmp_eq_u32 s11, 29
	s_cbranch_scc0 .LBB380_2128
; %bb.2127:
	global_load_b64 v[18:19], v[24:25], off
	s_mov_b32 s13, 0
	s_mov_b32 s15, -1
	s_branch .LBB380_2129
.LBB380_2128:
	s_mov_b32 s13, -1
                                        ; implicit-def: $vgpr18
.LBB380_2129:
	s_mov_b32 s16, 0
.LBB380_2130:
	s_delay_alu instid0(SALU_CYCLE_1)
	s_and_b32 vcc_lo, exec_lo, s16
	s_cbranch_vccz .LBB380_2146
; %bb.2131:
	s_cmp_lt_i32 s11, 27
	s_cbranch_scc1 .LBB380_2134
; %bb.2132:
	s_cmp_gt_i32 s11, 27
	s_cbranch_scc0 .LBB380_2135
; %bb.2133:
	s_wait_loadcnt 0x0
	global_load_b32 v18, v[24:25], off
	s_mov_b32 s15, 0
	s_branch .LBB380_2136
.LBB380_2134:
	s_mov_b32 s15, -1
                                        ; implicit-def: $vgpr18
	s_branch .LBB380_2139
.LBB380_2135:
	s_mov_b32 s15, -1
                                        ; implicit-def: $vgpr18
.LBB380_2136:
	s_delay_alu instid0(SALU_CYCLE_1)
	s_and_not1_b32 vcc_lo, exec_lo, s15
	s_cbranch_vccnz .LBB380_2138
; %bb.2137:
	s_wait_loadcnt 0x0
	global_load_u16 v18, v[24:25], off
.LBB380_2138:
	s_mov_b32 s15, 0
.LBB380_2139:
	s_delay_alu instid0(SALU_CYCLE_1)
	s_and_not1_b32 vcc_lo, exec_lo, s15
	s_cbranch_vccnz .LBB380_2145
; %bb.2140:
	global_load_u8 v1, v[24:25], off
	s_mov_b32 s16, 0
	s_mov_b32 s15, exec_lo
	s_wait_loadcnt 0x0
	v_cmpx_lt_i16_e32 0x7f, v1
	s_xor_b32 s15, exec_lo, s15
	s_cbranch_execz .LBB380_2157
; %bb.2141:
	v_cmp_ne_u16_e32 vcc_lo, 0x80, v1
	s_and_b32 s16, vcc_lo, exec_lo
	s_and_not1_saveexec_b32 s15, s15
	s_cbranch_execnz .LBB380_2158
.LBB380_2142:
	s_or_b32 exec_lo, exec_lo, s15
	v_mov_b32_e32 v18, 0
	s_and_saveexec_b32 s15, s16
	s_cbranch_execz .LBB380_2144
.LBB380_2143:
	v_and_b32_e32 v3, 0xffff, v1
	s_delay_alu instid0(VALU_DEP_1) | instskip(SKIP_1) | instid1(VALU_DEP_2)
	v_dual_lshlrev_b32 v1, 24, v1 :: v_dual_bitop2_b32 v5, 7, v3 bitop3:0x40
	v_bfe_u32 v11, v3, 3, 4
	v_and_b32_e32 v1, 0x80000000, v1
	s_delay_alu instid0(VALU_DEP_3) | instskip(NEXT) | instid1(VALU_DEP_3)
	v_clz_i32_u32_e32 v7, v5
	v_cmp_eq_u32_e32 vcc_lo, 0, v11
	s_delay_alu instid0(VALU_DEP_2) | instskip(NEXT) | instid1(VALU_DEP_1)
	v_min_u32_e32 v7, 32, v7
	v_subrev_nc_u32_e32 v9, 28, v7
	v_sub_nc_u32_e32 v7, 29, v7
	s_delay_alu instid0(VALU_DEP_2) | instskip(NEXT) | instid1(VALU_DEP_2)
	v_lshlrev_b32_e32 v3, v9, v3
	v_cndmask_b32_e32 v7, v11, v7, vcc_lo
	s_delay_alu instid0(VALU_DEP_2) | instskip(NEXT) | instid1(VALU_DEP_1)
	v_and_b32_e32 v3, 7, v3
	v_cndmask_b32_e32 v3, v5, v3, vcc_lo
	s_delay_alu instid0(VALU_DEP_3) | instskip(NEXT) | instid1(VALU_DEP_2)
	v_lshl_add_u32 v5, v7, 23, 0x3b800000
	v_lshlrev_b32_e32 v3, 20, v3
	s_delay_alu instid0(VALU_DEP_1) | instskip(NEXT) | instid1(VALU_DEP_1)
	v_or3_b32 v1, v1, v5, v3
	v_cvt_i32_f32_e32 v18, v1
.LBB380_2144:
	s_or_b32 exec_lo, exec_lo, s15
.LBB380_2145:
	s_mov_b32 s15, -1
.LBB380_2146:
	s_mov_b32 s16, 0
.LBB380_2147:
	s_delay_alu instid0(SALU_CYCLE_1)
	s_and_b32 vcc_lo, exec_lo, s16
	s_cbranch_vccz .LBB380_2178
; %bb.2148:
	s_cmp_gt_i32 s11, 22
	s_cbranch_scc0 .LBB380_2156
; %bb.2149:
	s_cmp_lt_i32 s11, 24
	s_cbranch_scc1 .LBB380_2159
; %bb.2150:
	s_cmp_gt_i32 s11, 24
	s_cbranch_scc0 .LBB380_2160
; %bb.2151:
	global_load_u8 v1, v[24:25], off
	s_mov_b32 s15, 0
	s_mov_b32 s14, exec_lo
	s_wait_loadcnt 0x0
	v_cmpx_lt_i16_e32 0x7f, v1
	s_xor_b32 s14, exec_lo, s14
	s_cbranch_execz .LBB380_2172
; %bb.2152:
	v_cmp_ne_u16_e32 vcc_lo, 0x80, v1
	s_and_b32 s15, vcc_lo, exec_lo
	s_and_not1_saveexec_b32 s14, s14
	s_cbranch_execnz .LBB380_2173
.LBB380_2153:
	s_or_b32 exec_lo, exec_lo, s14
	v_mov_b32_e32 v18, 0
	s_and_saveexec_b32 s14, s15
	s_cbranch_execz .LBB380_2155
.LBB380_2154:
	v_and_b32_e32 v3, 0xffff, v1
	s_delay_alu instid0(VALU_DEP_1) | instskip(SKIP_1) | instid1(VALU_DEP_2)
	v_dual_lshlrev_b32 v1, 24, v1 :: v_dual_bitop2_b32 v5, 3, v3 bitop3:0x40
	v_bfe_u32 v11, v3, 2, 5
	v_and_b32_e32 v1, 0x80000000, v1
	s_delay_alu instid0(VALU_DEP_3) | instskip(NEXT) | instid1(VALU_DEP_3)
	v_clz_i32_u32_e32 v7, v5
	v_cmp_eq_u32_e32 vcc_lo, 0, v11
	s_delay_alu instid0(VALU_DEP_2) | instskip(NEXT) | instid1(VALU_DEP_1)
	v_min_u32_e32 v7, 32, v7
	v_subrev_nc_u32_e32 v9, 29, v7
	v_sub_nc_u32_e32 v7, 30, v7
	s_delay_alu instid0(VALU_DEP_2) | instskip(NEXT) | instid1(VALU_DEP_2)
	v_lshlrev_b32_e32 v3, v9, v3
	v_cndmask_b32_e32 v7, v11, v7, vcc_lo
	s_delay_alu instid0(VALU_DEP_2) | instskip(NEXT) | instid1(VALU_DEP_1)
	v_and_b32_e32 v3, 3, v3
	v_cndmask_b32_e32 v3, v5, v3, vcc_lo
	s_delay_alu instid0(VALU_DEP_3) | instskip(NEXT) | instid1(VALU_DEP_2)
	v_lshl_add_u32 v5, v7, 23, 0x37800000
	v_lshlrev_b32_e32 v3, 21, v3
	s_delay_alu instid0(VALU_DEP_1) | instskip(NEXT) | instid1(VALU_DEP_1)
	v_or3_b32 v1, v1, v5, v3
	v_cvt_i32_f32_e32 v18, v1
.LBB380_2155:
	s_or_b32 exec_lo, exec_lo, s14
	s_mov_b32 s14, 0
	s_branch .LBB380_2161
.LBB380_2156:
	s_mov_b32 s14, -1
                                        ; implicit-def: $vgpr18
	s_branch .LBB380_2167
.LBB380_2157:
	s_and_not1_saveexec_b32 s15, s15
	s_cbranch_execz .LBB380_2142
.LBB380_2158:
	v_cmp_ne_u16_e32 vcc_lo, 0, v1
	s_and_not1_b32 s16, s16, exec_lo
	s_and_b32 s17, vcc_lo, exec_lo
	s_delay_alu instid0(SALU_CYCLE_1)
	s_or_b32 s16, s16, s17
	s_or_b32 exec_lo, exec_lo, s15
	v_mov_b32_e32 v18, 0
	s_and_saveexec_b32 s15, s16
	s_cbranch_execnz .LBB380_2143
	s_branch .LBB380_2144
.LBB380_2159:
	s_mov_b32 s14, -1
                                        ; implicit-def: $vgpr18
	s_branch .LBB380_2164
.LBB380_2160:
	s_mov_b32 s14, -1
                                        ; implicit-def: $vgpr18
.LBB380_2161:
	s_delay_alu instid0(SALU_CYCLE_1)
	s_and_b32 vcc_lo, exec_lo, s14
	s_cbranch_vccz .LBB380_2163
; %bb.2162:
	global_load_u8 v1, v[24:25], off
	s_wait_loadcnt 0x0
	v_lshlrev_b32_e32 v1, 24, v1
	s_delay_alu instid0(VALU_DEP_1) | instskip(NEXT) | instid1(VALU_DEP_1)
	v_and_b32_e32 v3, 0x7f000000, v1
	v_clz_i32_u32_e32 v5, v3
	v_add_nc_u32_e32 v9, 0x1000000, v3
	v_cmp_ne_u32_e32 vcc_lo, 0, v3
	s_delay_alu instid0(VALU_DEP_3) | instskip(NEXT) | instid1(VALU_DEP_1)
	v_min_u32_e32 v5, 32, v5
	v_sub_nc_u32_e64 v5, v5, 4 clamp
	s_delay_alu instid0(VALU_DEP_1) | instskip(NEXT) | instid1(VALU_DEP_1)
	v_dual_lshlrev_b32 v7, v5, v3 :: v_dual_lshlrev_b32 v5, 23, v5
	v_lshrrev_b32_e32 v7, 4, v7
	s_delay_alu instid0(VALU_DEP_1) | instskip(SKIP_1) | instid1(VALU_DEP_2)
	v_sub_nc_u32_e32 v5, v7, v5
	v_ashrrev_i32_e32 v7, 8, v9
	v_add_nc_u32_e32 v5, 0x3c000000, v5
	s_delay_alu instid0(VALU_DEP_1) | instskip(NEXT) | instid1(VALU_DEP_1)
	v_and_or_b32 v5, 0x7f800000, v7, v5
	v_cndmask_b32_e32 v3, 0, v5, vcc_lo
	s_delay_alu instid0(VALU_DEP_1) | instskip(NEXT) | instid1(VALU_DEP_1)
	v_and_or_b32 v1, 0x80000000, v1, v3
	v_cvt_i32_f32_e32 v18, v1
.LBB380_2163:
	s_mov_b32 s14, 0
.LBB380_2164:
	s_delay_alu instid0(SALU_CYCLE_1)
	s_and_not1_b32 vcc_lo, exec_lo, s14
	s_cbranch_vccnz .LBB380_2166
; %bb.2165:
	global_load_u8 v1, v[24:25], off
	s_wait_loadcnt 0x0
	v_lshlrev_b32_e32 v3, 25, v1
	v_lshlrev_b16 v1, 8, v1
	s_delay_alu instid0(VALU_DEP_1) | instskip(SKIP_1) | instid1(VALU_DEP_2)
	v_and_or_b32 v7, 0x7f00, v1, 0.5
	v_bfe_i32 v1, v1, 0, 16
	v_add_f32_e32 v7, -0.5, v7
	v_lshrrev_b32_e32 v5, 4, v3
	v_cmp_gt_u32_e32 vcc_lo, 0x8000000, v3
	s_delay_alu instid0(VALU_DEP_2) | instskip(NEXT) | instid1(VALU_DEP_1)
	v_or_b32_e32 v5, 0x70000000, v5
	v_mul_f32_e32 v5, 0x7800000, v5
	s_delay_alu instid0(VALU_DEP_1) | instskip(NEXT) | instid1(VALU_DEP_1)
	v_cndmask_b32_e32 v3, v5, v7, vcc_lo
	v_and_or_b32 v1, 0x80000000, v1, v3
	s_delay_alu instid0(VALU_DEP_1)
	v_cvt_i32_f32_e32 v18, v1
.LBB380_2166:
	s_mov_b32 s14, 0
	s_mov_b32 s15, -1
.LBB380_2167:
	s_and_not1_b32 vcc_lo, exec_lo, s14
	s_mov_b32 s14, 0
	s_cbranch_vccnz .LBB380_2178
; %bb.2168:
	s_cmp_gt_i32 s11, 14
	s_cbranch_scc0 .LBB380_2171
; %bb.2169:
	s_cmp_eq_u32 s11, 15
	s_cbranch_scc0 .LBB380_2174
; %bb.2170:
	global_load_u16 v1, v[24:25], off
	s_mov_b32 s13, 0
	s_mov_b32 s15, -1
	s_wait_loadcnt 0x0
	v_lshlrev_b32_e32 v1, 16, v1
	s_delay_alu instid0(VALU_DEP_1)
	v_cvt_i32_f32_e32 v18, v1
	s_branch .LBB380_2176
.LBB380_2171:
	s_mov_b32 s14, -1
	s_branch .LBB380_2175
.LBB380_2172:
	s_and_not1_saveexec_b32 s14, s14
	s_cbranch_execz .LBB380_2153
.LBB380_2173:
	v_cmp_ne_u16_e32 vcc_lo, 0, v1
	s_and_not1_b32 s15, s15, exec_lo
	s_and_b32 s16, vcc_lo, exec_lo
	s_delay_alu instid0(SALU_CYCLE_1)
	s_or_b32 s15, s15, s16
	s_or_b32 exec_lo, exec_lo, s14
	v_mov_b32_e32 v18, 0
	s_and_saveexec_b32 s14, s15
	s_cbranch_execnz .LBB380_2154
	s_branch .LBB380_2155
.LBB380_2174:
	s_mov_b32 s13, -1
.LBB380_2175:
                                        ; implicit-def: $vgpr18
.LBB380_2176:
	s_and_b32 vcc_lo, exec_lo, s14
	s_mov_b32 s14, 0
	s_cbranch_vccz .LBB380_2178
; %bb.2177:
	s_cmp_lg_u32 s11, 11
	s_mov_b32 s14, -1
	s_cselect_b32 s13, -1, 0
.LBB380_2178:
	s_delay_alu instid0(SALU_CYCLE_1)
	s_and_b32 vcc_lo, exec_lo, s13
	s_cbranch_vccnz .LBB380_2243
; %bb.2179:
	s_and_not1_b32 vcc_lo, exec_lo, s14
	s_cbranch_vccnz .LBB380_2181
.LBB380_2180:
	global_load_u8 v1, v[24:25], off
	s_mov_b32 s15, -1
	s_wait_loadcnt 0x0
	v_cmp_ne_u16_e32 vcc_lo, 0, v1
	v_cndmask_b32_e64 v18, 0, 1, vcc_lo
.LBB380_2181:
	s_mov_b32 s13, 0
.LBB380_2182:
	s_delay_alu instid0(SALU_CYCLE_1)
	s_and_b32 vcc_lo, exec_lo, s13
	s_cbranch_vccz .LBB380_2231
; %bb.2183:
	s_cmp_lt_i32 s11, 5
	s_cbranch_scc1 .LBB380_2188
; %bb.2184:
	s_cmp_lt_i32 s11, 8
	s_cbranch_scc1 .LBB380_2189
	;; [unrolled: 3-line block ×3, first 2 shown]
; %bb.2186:
	s_cmp_gt_i32 s11, 9
	s_cbranch_scc0 .LBB380_2191
; %bb.2187:
	s_wait_loadcnt 0x0
	global_load_b64 v[18:19], v[24:25], off
	s_mov_b32 s13, 0
	s_wait_loadcnt 0x0
	v_cvt_i32_f64_e32 v18, v[18:19]
	s_branch .LBB380_2192
.LBB380_2188:
	s_mov_b32 s13, -1
                                        ; implicit-def: $vgpr18
	s_branch .LBB380_2210
.LBB380_2189:
	s_mov_b32 s13, -1
                                        ; implicit-def: $vgpr18
	s_branch .LBB380_2198
.LBB380_2190:
	s_mov_b32 s13, -1
                                        ; implicit-def: $vgpr18
	s_branch .LBB380_2195
.LBB380_2191:
	s_mov_b32 s13, -1
                                        ; implicit-def: $vgpr18
.LBB380_2192:
	s_delay_alu instid0(SALU_CYCLE_1)
	s_and_not1_b32 vcc_lo, exec_lo, s13
	s_cbranch_vccnz .LBB380_2194
; %bb.2193:
	global_load_b32 v1, v[24:25], off
	s_wait_loadcnt 0x0
	v_cvt_i32_f32_e32 v18, v1
.LBB380_2194:
	s_mov_b32 s13, 0
.LBB380_2195:
	s_delay_alu instid0(SALU_CYCLE_1)
	s_and_not1_b32 vcc_lo, exec_lo, s13
	s_cbranch_vccnz .LBB380_2197
; %bb.2196:
	global_load_b32 v1, v[24:25], off
	s_wait_loadcnt 0x0
	v_cvt_i16_f16_e32 v18, v1
.LBB380_2197:
	s_mov_b32 s13, 0
.LBB380_2198:
	s_delay_alu instid0(SALU_CYCLE_1)
	s_and_not1_b32 vcc_lo, exec_lo, s13
	s_cbranch_vccnz .LBB380_2209
; %bb.2199:
	s_cmp_lt_i32 s11, 6
	s_cbranch_scc1 .LBB380_2202
; %bb.2200:
	s_cmp_gt_i32 s11, 6
	s_cbranch_scc0 .LBB380_2203
; %bb.2201:
	s_wait_loadcnt 0x0
	global_load_b64 v[18:19], v[24:25], off
	s_mov_b32 s13, 0
	s_wait_loadcnt 0x0
	v_cvt_i32_f64_e32 v18, v[18:19]
	s_branch .LBB380_2204
.LBB380_2202:
	s_mov_b32 s13, -1
                                        ; implicit-def: $vgpr18
	s_branch .LBB380_2207
.LBB380_2203:
	s_mov_b32 s13, -1
                                        ; implicit-def: $vgpr18
.LBB380_2204:
	s_delay_alu instid0(SALU_CYCLE_1)
	s_and_not1_b32 vcc_lo, exec_lo, s13
	s_cbranch_vccnz .LBB380_2206
; %bb.2205:
	global_load_b32 v1, v[24:25], off
	s_wait_loadcnt 0x0
	v_cvt_i32_f32_e32 v18, v1
.LBB380_2206:
	s_mov_b32 s13, 0
.LBB380_2207:
	s_delay_alu instid0(SALU_CYCLE_1)
	s_and_not1_b32 vcc_lo, exec_lo, s13
	s_cbranch_vccnz .LBB380_2209
; %bb.2208:
	global_load_u16 v1, v[24:25], off
	s_wait_loadcnt 0x0
	v_cvt_i16_f16_e32 v18, v1
.LBB380_2209:
	s_mov_b32 s13, 0
.LBB380_2210:
	s_delay_alu instid0(SALU_CYCLE_1)
	s_and_not1_b32 vcc_lo, exec_lo, s13
	s_cbranch_vccnz .LBB380_2230
; %bb.2211:
	s_cmp_lt_i32 s11, 2
	s_cbranch_scc1 .LBB380_2215
; %bb.2212:
	s_cmp_lt_i32 s11, 3
	s_cbranch_scc1 .LBB380_2216
; %bb.2213:
	s_cmp_gt_i32 s11, 3
	s_cbranch_scc0 .LBB380_2217
; %bb.2214:
	s_wait_loadcnt 0x0
	global_load_b64 v[18:19], v[24:25], off
	s_mov_b32 s13, 0
	s_branch .LBB380_2218
.LBB380_2215:
	s_mov_b32 s13, -1
                                        ; implicit-def: $vgpr18
	s_branch .LBB380_2224
.LBB380_2216:
	s_mov_b32 s13, -1
                                        ; implicit-def: $vgpr18
	s_branch .LBB380_2221
.LBB380_2217:
	s_mov_b32 s13, -1
                                        ; implicit-def: $vgpr18
.LBB380_2218:
	s_delay_alu instid0(SALU_CYCLE_1)
	s_and_not1_b32 vcc_lo, exec_lo, s13
	s_cbranch_vccnz .LBB380_2220
; %bb.2219:
	s_wait_loadcnt 0x0
	global_load_b32 v18, v[24:25], off
.LBB380_2220:
	s_mov_b32 s13, 0
.LBB380_2221:
	s_delay_alu instid0(SALU_CYCLE_1)
	s_and_not1_b32 vcc_lo, exec_lo, s13
	s_cbranch_vccnz .LBB380_2223
; %bb.2222:
	s_wait_loadcnt 0x0
	global_load_u16 v18, v[24:25], off
.LBB380_2223:
	s_mov_b32 s13, 0
.LBB380_2224:
	s_delay_alu instid0(SALU_CYCLE_1)
	s_and_not1_b32 vcc_lo, exec_lo, s13
	s_cbranch_vccnz .LBB380_2230
; %bb.2225:
	s_cmp_gt_i32 s11, 0
	s_mov_b32 s13, 0
	s_cbranch_scc0 .LBB380_2227
; %bb.2226:
	s_wait_loadcnt 0x0
	global_load_u8 v18, v[24:25], off
	s_branch .LBB380_2228
.LBB380_2227:
	s_mov_b32 s13, -1
                                        ; implicit-def: $vgpr18
.LBB380_2228:
	s_delay_alu instid0(SALU_CYCLE_1)
	s_and_not1_b32 vcc_lo, exec_lo, s13
	s_cbranch_vccnz .LBB380_2230
; %bb.2229:
	s_wait_loadcnt 0x0
	global_load_u8 v18, v[24:25], off
.LBB380_2230:
	s_mov_b32 s15, -1
.LBB380_2231:
	s_delay_alu instid0(SALU_CYCLE_1)
	s_and_not1_b32 vcc_lo, exec_lo, s15
	s_cbranch_vccnz .LBB380_3047
; %bb.2232:
	v_mov_b32_e32 v23, 0
	s_cmp_lt_i32 s12, 11
	s_wait_xcnt 0x0
	s_delay_alu instid0(VALU_DEP_1)
	v_add_nc_u64_e32 v[24:25], s[0:1], v[22:23]
	s_cbranch_scc1 .LBB380_2239
; %bb.2233:
	s_cmp_gt_i32 s12, 25
	s_mov_b32 s14, 0
	s_cbranch_scc0 .LBB380_2240
; %bb.2234:
	s_cmp_gt_i32 s12, 28
	s_cbranch_scc0 .LBB380_2241
; %bb.2235:
	s_cmp_gt_i32 s12, 43
	;; [unrolled: 3-line block ×3, first 2 shown]
	s_cbranch_scc0 .LBB380_2244
; %bb.2237:
	s_cmp_eq_u32 s12, 46
	s_mov_b32 s16, 0
	s_cbranch_scc0 .LBB380_2247
; %bb.2238:
	global_load_b32 v1, v[24:25], off
	s_mov_b32 s13, 0
	s_mov_b32 s15, -1
	s_wait_loadcnt 0x0
	v_lshlrev_b32_e32 v1, 16, v1
	s_delay_alu instid0(VALU_DEP_1)
	v_cvt_i32_f32_e32 v22, v1
	s_branch .LBB380_2249
.LBB380_2239:
	s_mov_b32 s13, -1
	s_mov_b32 s15, 0
                                        ; implicit-def: $vgpr22
	s_branch .LBB380_2311
.LBB380_2240:
	s_mov_b32 s16, -1
	s_mov_b32 s15, 0
	s_mov_b32 s13, 0
                                        ; implicit-def: $vgpr22
	s_branch .LBB380_2276
.LBB380_2241:
	s_mov_b32 s16, -1
	s_mov_b32 s15, 0
	s_mov_b32 s13, 0
                                        ; implicit-def: $vgpr22
	s_branch .LBB380_2259
.LBB380_2242:
	s_mov_b32 s16, -1
	s_mov_b32 s15, 0
	s_mov_b32 s13, 0
                                        ; implicit-def: $vgpr22
	s_branch .LBB380_2254
.LBB380_2243:
	s_or_b32 s10, s10, exec_lo
	s_trap 2
	s_cbranch_execz .LBB380_2180
	s_branch .LBB380_2181
.LBB380_2244:
	s_mov_b32 s16, -1
	s_mov_b32 s15, 0
	s_mov_b32 s13, 0
	s_branch .LBB380_2248
.LBB380_2245:
	s_and_not1_saveexec_b32 s53, s53
	s_cbranch_execz .LBB380_1097
.LBB380_2246:
	v_add_f32_e32 v1, 0x42800000, v4
	s_and_not1_b32 s52, s52, exec_lo
	s_delay_alu instid0(VALU_DEP_1) | instskip(NEXT) | instid1(VALU_DEP_1)
	v_and_b32_e32 v1, 0xff, v1
	v_cmp_ne_u32_e32 vcc_lo, 0, v1
	s_and_b32 s54, vcc_lo, exec_lo
	s_delay_alu instid0(SALU_CYCLE_1)
	s_or_b32 s52, s52, s54
	s_or_b32 exec_lo, exec_lo, s53
	v_mov_b32_e32 v5, 0
	s_and_saveexec_b32 s53, s52
	s_cbranch_execnz .LBB380_1098
	s_branch .LBB380_1099
.LBB380_2247:
	s_mov_b32 s13, -1
	s_mov_b32 s15, 0
.LBB380_2248:
                                        ; implicit-def: $vgpr22
.LBB380_2249:
	s_and_b32 vcc_lo, exec_lo, s16
	s_cbranch_vccz .LBB380_2253
; %bb.2250:
	s_cmp_eq_u32 s12, 44
	s_cbranch_scc0 .LBB380_2252
; %bb.2251:
	global_load_u8 v1, v[24:25], off
	s_mov_b32 s13, 0
	s_mov_b32 s15, -1
	s_wait_loadcnt 0x0
	v_lshlrev_b32_e32 v3, 23, v1
	v_cmp_ne_u32_e32 vcc_lo, 0, v1
	s_delay_alu instid0(VALU_DEP_2) | instskip(NEXT) | instid1(VALU_DEP_1)
	v_cvt_i32_f32_e32 v3, v3
	v_cndmask_b32_e32 v22, 0, v3, vcc_lo
	s_branch .LBB380_2253
.LBB380_2252:
	s_mov_b32 s13, -1
                                        ; implicit-def: $vgpr22
.LBB380_2253:
	s_mov_b32 s16, 0
.LBB380_2254:
	s_delay_alu instid0(SALU_CYCLE_1)
	s_and_b32 vcc_lo, exec_lo, s16
	s_cbranch_vccz .LBB380_2258
; %bb.2255:
	s_cmp_eq_u32 s12, 29
	s_cbranch_scc0 .LBB380_2257
; %bb.2256:
	global_load_b64 v[22:23], v[24:25], off
	s_mov_b32 s13, 0
	s_mov_b32 s15, -1
	s_branch .LBB380_2258
.LBB380_2257:
	s_mov_b32 s13, -1
                                        ; implicit-def: $vgpr22
.LBB380_2258:
	s_mov_b32 s16, 0
.LBB380_2259:
	s_delay_alu instid0(SALU_CYCLE_1)
	s_and_b32 vcc_lo, exec_lo, s16
	s_cbranch_vccz .LBB380_2275
; %bb.2260:
	s_cmp_lt_i32 s12, 27
	s_cbranch_scc1 .LBB380_2263
; %bb.2261:
	s_cmp_gt_i32 s12, 27
	s_cbranch_scc0 .LBB380_2264
; %bb.2262:
	s_wait_loadcnt 0x0
	global_load_b32 v22, v[24:25], off
	s_mov_b32 s15, 0
	s_branch .LBB380_2265
.LBB380_2263:
	s_mov_b32 s15, -1
                                        ; implicit-def: $vgpr22
	s_branch .LBB380_2268
.LBB380_2264:
	s_mov_b32 s15, -1
                                        ; implicit-def: $vgpr22
.LBB380_2265:
	s_delay_alu instid0(SALU_CYCLE_1)
	s_and_not1_b32 vcc_lo, exec_lo, s15
	s_cbranch_vccnz .LBB380_2267
; %bb.2266:
	s_wait_loadcnt 0x0
	global_load_u16 v22, v[24:25], off
.LBB380_2267:
	s_mov_b32 s15, 0
.LBB380_2268:
	s_delay_alu instid0(SALU_CYCLE_1)
	s_and_not1_b32 vcc_lo, exec_lo, s15
	s_cbranch_vccnz .LBB380_2274
; %bb.2269:
	global_load_u8 v1, v[24:25], off
	s_mov_b32 s16, 0
	s_mov_b32 s15, exec_lo
	s_wait_loadcnt 0x0
	v_cmpx_lt_i16_e32 0x7f, v1
	s_xor_b32 s15, exec_lo, s15
	s_cbranch_execz .LBB380_2286
; %bb.2270:
	v_cmp_ne_u16_e32 vcc_lo, 0x80, v1
	s_and_b32 s16, vcc_lo, exec_lo
	s_and_not1_saveexec_b32 s15, s15
	s_cbranch_execnz .LBB380_2287
.LBB380_2271:
	s_or_b32 exec_lo, exec_lo, s15
	v_mov_b32_e32 v22, 0
	s_and_saveexec_b32 s15, s16
	s_cbranch_execz .LBB380_2273
.LBB380_2272:
	v_and_b32_e32 v3, 0xffff, v1
	s_delay_alu instid0(VALU_DEP_1) | instskip(SKIP_1) | instid1(VALU_DEP_2)
	v_dual_lshlrev_b32 v1, 24, v1 :: v_dual_bitop2_b32 v5, 7, v3 bitop3:0x40
	v_bfe_u32 v11, v3, 3, 4
	v_and_b32_e32 v1, 0x80000000, v1
	s_delay_alu instid0(VALU_DEP_3) | instskip(NEXT) | instid1(VALU_DEP_3)
	v_clz_i32_u32_e32 v7, v5
	v_cmp_eq_u32_e32 vcc_lo, 0, v11
	s_delay_alu instid0(VALU_DEP_2) | instskip(NEXT) | instid1(VALU_DEP_1)
	v_min_u32_e32 v7, 32, v7
	v_subrev_nc_u32_e32 v9, 28, v7
	v_sub_nc_u32_e32 v7, 29, v7
	s_delay_alu instid0(VALU_DEP_2) | instskip(NEXT) | instid1(VALU_DEP_2)
	v_lshlrev_b32_e32 v3, v9, v3
	v_cndmask_b32_e32 v7, v11, v7, vcc_lo
	s_delay_alu instid0(VALU_DEP_2) | instskip(NEXT) | instid1(VALU_DEP_1)
	v_and_b32_e32 v3, 7, v3
	v_cndmask_b32_e32 v3, v5, v3, vcc_lo
	s_delay_alu instid0(VALU_DEP_3) | instskip(NEXT) | instid1(VALU_DEP_2)
	v_lshl_add_u32 v5, v7, 23, 0x3b800000
	v_lshlrev_b32_e32 v3, 20, v3
	s_delay_alu instid0(VALU_DEP_1) | instskip(NEXT) | instid1(VALU_DEP_1)
	v_or3_b32 v1, v1, v5, v3
	v_cvt_i32_f32_e32 v22, v1
.LBB380_2273:
	s_or_b32 exec_lo, exec_lo, s15
.LBB380_2274:
	s_mov_b32 s15, -1
.LBB380_2275:
	s_mov_b32 s16, 0
.LBB380_2276:
	s_delay_alu instid0(SALU_CYCLE_1)
	s_and_b32 vcc_lo, exec_lo, s16
	s_cbranch_vccz .LBB380_2307
; %bb.2277:
	s_cmp_gt_i32 s12, 22
	s_cbranch_scc0 .LBB380_2285
; %bb.2278:
	s_cmp_lt_i32 s12, 24
	s_cbranch_scc1 .LBB380_2288
; %bb.2279:
	s_cmp_gt_i32 s12, 24
	s_cbranch_scc0 .LBB380_2289
; %bb.2280:
	global_load_u8 v1, v[24:25], off
	s_mov_b32 s15, 0
	s_mov_b32 s14, exec_lo
	s_wait_loadcnt 0x0
	v_cmpx_lt_i16_e32 0x7f, v1
	s_xor_b32 s14, exec_lo, s14
	s_cbranch_execz .LBB380_2301
; %bb.2281:
	v_cmp_ne_u16_e32 vcc_lo, 0x80, v1
	s_and_b32 s15, vcc_lo, exec_lo
	s_and_not1_saveexec_b32 s14, s14
	s_cbranch_execnz .LBB380_2302
.LBB380_2282:
	s_or_b32 exec_lo, exec_lo, s14
	v_mov_b32_e32 v22, 0
	s_and_saveexec_b32 s14, s15
	s_cbranch_execz .LBB380_2284
.LBB380_2283:
	v_and_b32_e32 v3, 0xffff, v1
	s_delay_alu instid0(VALU_DEP_1) | instskip(SKIP_1) | instid1(VALU_DEP_2)
	v_dual_lshlrev_b32 v1, 24, v1 :: v_dual_bitop2_b32 v5, 3, v3 bitop3:0x40
	v_bfe_u32 v11, v3, 2, 5
	v_and_b32_e32 v1, 0x80000000, v1
	s_delay_alu instid0(VALU_DEP_3) | instskip(NEXT) | instid1(VALU_DEP_3)
	v_clz_i32_u32_e32 v7, v5
	v_cmp_eq_u32_e32 vcc_lo, 0, v11
	s_delay_alu instid0(VALU_DEP_2) | instskip(NEXT) | instid1(VALU_DEP_1)
	v_min_u32_e32 v7, 32, v7
	v_subrev_nc_u32_e32 v9, 29, v7
	v_sub_nc_u32_e32 v7, 30, v7
	s_delay_alu instid0(VALU_DEP_2) | instskip(NEXT) | instid1(VALU_DEP_2)
	v_lshlrev_b32_e32 v3, v9, v3
	v_cndmask_b32_e32 v7, v11, v7, vcc_lo
	s_delay_alu instid0(VALU_DEP_2) | instskip(NEXT) | instid1(VALU_DEP_1)
	v_and_b32_e32 v3, 3, v3
	v_cndmask_b32_e32 v3, v5, v3, vcc_lo
	s_delay_alu instid0(VALU_DEP_3) | instskip(NEXT) | instid1(VALU_DEP_2)
	v_lshl_add_u32 v5, v7, 23, 0x37800000
	v_lshlrev_b32_e32 v3, 21, v3
	s_delay_alu instid0(VALU_DEP_1) | instskip(NEXT) | instid1(VALU_DEP_1)
	v_or3_b32 v1, v1, v5, v3
	v_cvt_i32_f32_e32 v22, v1
.LBB380_2284:
	s_or_b32 exec_lo, exec_lo, s14
	s_mov_b32 s14, 0
	s_branch .LBB380_2290
.LBB380_2285:
	s_mov_b32 s14, -1
                                        ; implicit-def: $vgpr22
	s_branch .LBB380_2296
.LBB380_2286:
	s_and_not1_saveexec_b32 s15, s15
	s_cbranch_execz .LBB380_2271
.LBB380_2287:
	v_cmp_ne_u16_e32 vcc_lo, 0, v1
	s_and_not1_b32 s16, s16, exec_lo
	s_and_b32 s17, vcc_lo, exec_lo
	s_delay_alu instid0(SALU_CYCLE_1)
	s_or_b32 s16, s16, s17
	s_or_b32 exec_lo, exec_lo, s15
	v_mov_b32_e32 v22, 0
	s_and_saveexec_b32 s15, s16
	s_cbranch_execnz .LBB380_2272
	s_branch .LBB380_2273
.LBB380_2288:
	s_mov_b32 s14, -1
                                        ; implicit-def: $vgpr22
	s_branch .LBB380_2293
.LBB380_2289:
	s_mov_b32 s14, -1
                                        ; implicit-def: $vgpr22
.LBB380_2290:
	s_delay_alu instid0(SALU_CYCLE_1)
	s_and_b32 vcc_lo, exec_lo, s14
	s_cbranch_vccz .LBB380_2292
; %bb.2291:
	global_load_u8 v1, v[24:25], off
	s_wait_loadcnt 0x0
	v_lshlrev_b32_e32 v1, 24, v1
	s_delay_alu instid0(VALU_DEP_1) | instskip(NEXT) | instid1(VALU_DEP_1)
	v_and_b32_e32 v3, 0x7f000000, v1
	v_clz_i32_u32_e32 v5, v3
	v_add_nc_u32_e32 v9, 0x1000000, v3
	v_cmp_ne_u32_e32 vcc_lo, 0, v3
	s_delay_alu instid0(VALU_DEP_3) | instskip(NEXT) | instid1(VALU_DEP_1)
	v_min_u32_e32 v5, 32, v5
	v_sub_nc_u32_e64 v5, v5, 4 clamp
	s_delay_alu instid0(VALU_DEP_1) | instskip(NEXT) | instid1(VALU_DEP_1)
	v_dual_lshlrev_b32 v7, v5, v3 :: v_dual_lshlrev_b32 v5, 23, v5
	v_lshrrev_b32_e32 v7, 4, v7
	s_delay_alu instid0(VALU_DEP_1) | instskip(SKIP_1) | instid1(VALU_DEP_2)
	v_sub_nc_u32_e32 v5, v7, v5
	v_ashrrev_i32_e32 v7, 8, v9
	v_add_nc_u32_e32 v5, 0x3c000000, v5
	s_delay_alu instid0(VALU_DEP_1) | instskip(NEXT) | instid1(VALU_DEP_1)
	v_and_or_b32 v5, 0x7f800000, v7, v5
	v_cndmask_b32_e32 v3, 0, v5, vcc_lo
	s_delay_alu instid0(VALU_DEP_1) | instskip(NEXT) | instid1(VALU_DEP_1)
	v_and_or_b32 v1, 0x80000000, v1, v3
	v_cvt_i32_f32_e32 v22, v1
.LBB380_2292:
	s_mov_b32 s14, 0
.LBB380_2293:
	s_delay_alu instid0(SALU_CYCLE_1)
	s_and_not1_b32 vcc_lo, exec_lo, s14
	s_cbranch_vccnz .LBB380_2295
; %bb.2294:
	global_load_u8 v1, v[24:25], off
	s_wait_loadcnt 0x0
	v_lshlrev_b32_e32 v3, 25, v1
	v_lshlrev_b16 v1, 8, v1
	s_delay_alu instid0(VALU_DEP_1) | instskip(SKIP_1) | instid1(VALU_DEP_2)
	v_and_or_b32 v7, 0x7f00, v1, 0.5
	v_bfe_i32 v1, v1, 0, 16
	v_add_f32_e32 v7, -0.5, v7
	v_lshrrev_b32_e32 v5, 4, v3
	v_cmp_gt_u32_e32 vcc_lo, 0x8000000, v3
	s_delay_alu instid0(VALU_DEP_2) | instskip(NEXT) | instid1(VALU_DEP_1)
	v_or_b32_e32 v5, 0x70000000, v5
	v_mul_f32_e32 v5, 0x7800000, v5
	s_delay_alu instid0(VALU_DEP_1) | instskip(NEXT) | instid1(VALU_DEP_1)
	v_cndmask_b32_e32 v3, v5, v7, vcc_lo
	v_and_or_b32 v1, 0x80000000, v1, v3
	s_delay_alu instid0(VALU_DEP_1)
	v_cvt_i32_f32_e32 v22, v1
.LBB380_2295:
	s_mov_b32 s14, 0
	s_mov_b32 s15, -1
.LBB380_2296:
	s_and_not1_b32 vcc_lo, exec_lo, s14
	s_mov_b32 s14, 0
	s_cbranch_vccnz .LBB380_2307
; %bb.2297:
	s_cmp_gt_i32 s12, 14
	s_cbranch_scc0 .LBB380_2300
; %bb.2298:
	s_cmp_eq_u32 s12, 15
	s_cbranch_scc0 .LBB380_2303
; %bb.2299:
	global_load_u16 v1, v[24:25], off
	s_mov_b32 s13, 0
	s_mov_b32 s15, -1
	s_wait_loadcnt 0x0
	v_lshlrev_b32_e32 v1, 16, v1
	s_delay_alu instid0(VALU_DEP_1)
	v_cvt_i32_f32_e32 v22, v1
	s_branch .LBB380_2305
.LBB380_2300:
	s_mov_b32 s14, -1
	s_branch .LBB380_2304
.LBB380_2301:
	s_and_not1_saveexec_b32 s14, s14
	s_cbranch_execz .LBB380_2282
.LBB380_2302:
	v_cmp_ne_u16_e32 vcc_lo, 0, v1
	s_and_not1_b32 s15, s15, exec_lo
	s_and_b32 s16, vcc_lo, exec_lo
	s_delay_alu instid0(SALU_CYCLE_1)
	s_or_b32 s15, s15, s16
	s_or_b32 exec_lo, exec_lo, s14
	v_mov_b32_e32 v22, 0
	s_and_saveexec_b32 s14, s15
	s_cbranch_execnz .LBB380_2283
	s_branch .LBB380_2284
.LBB380_2303:
	s_mov_b32 s13, -1
.LBB380_2304:
                                        ; implicit-def: $vgpr22
.LBB380_2305:
	s_and_b32 vcc_lo, exec_lo, s14
	s_mov_b32 s14, 0
	s_cbranch_vccz .LBB380_2307
; %bb.2306:
	s_cmp_lg_u32 s12, 11
	s_mov_b32 s14, -1
	s_cselect_b32 s13, -1, 0
.LBB380_2307:
	s_delay_alu instid0(SALU_CYCLE_1)
	s_and_b32 vcc_lo, exec_lo, s13
	s_cbranch_vccnz .LBB380_2372
; %bb.2308:
	s_and_not1_b32 vcc_lo, exec_lo, s14
	s_cbranch_vccnz .LBB380_2310
.LBB380_2309:
	global_load_u8 v1, v[24:25], off
	s_mov_b32 s15, -1
	s_wait_loadcnt 0x0
	v_cmp_ne_u16_e32 vcc_lo, 0, v1
	v_cndmask_b32_e64 v22, 0, 1, vcc_lo
.LBB380_2310:
	s_mov_b32 s13, 0
.LBB380_2311:
	s_delay_alu instid0(SALU_CYCLE_1)
	s_and_b32 vcc_lo, exec_lo, s13
	s_cbranch_vccz .LBB380_2360
; %bb.2312:
	s_cmp_lt_i32 s12, 5
	s_cbranch_scc1 .LBB380_2317
; %bb.2313:
	s_cmp_lt_i32 s12, 8
	s_cbranch_scc1 .LBB380_2318
	;; [unrolled: 3-line block ×3, first 2 shown]
; %bb.2315:
	s_cmp_gt_i32 s12, 9
	s_cbranch_scc0 .LBB380_2320
; %bb.2316:
	s_wait_loadcnt 0x0
	global_load_b64 v[22:23], v[24:25], off
	s_mov_b32 s13, 0
	s_wait_loadcnt 0x0
	v_cvt_i32_f64_e32 v22, v[22:23]
	s_branch .LBB380_2321
.LBB380_2317:
	s_mov_b32 s13, -1
                                        ; implicit-def: $vgpr22
	s_branch .LBB380_2339
.LBB380_2318:
	s_mov_b32 s13, -1
                                        ; implicit-def: $vgpr22
	s_branch .LBB380_2327
.LBB380_2319:
	s_mov_b32 s13, -1
                                        ; implicit-def: $vgpr22
	s_branch .LBB380_2324
.LBB380_2320:
	s_mov_b32 s13, -1
                                        ; implicit-def: $vgpr22
.LBB380_2321:
	s_delay_alu instid0(SALU_CYCLE_1)
	s_and_not1_b32 vcc_lo, exec_lo, s13
	s_cbranch_vccnz .LBB380_2323
; %bb.2322:
	global_load_b32 v1, v[24:25], off
	s_wait_loadcnt 0x0
	v_cvt_i32_f32_e32 v22, v1
.LBB380_2323:
	s_mov_b32 s13, 0
.LBB380_2324:
	s_delay_alu instid0(SALU_CYCLE_1)
	s_and_not1_b32 vcc_lo, exec_lo, s13
	s_cbranch_vccnz .LBB380_2326
; %bb.2325:
	global_load_b32 v1, v[24:25], off
	s_wait_loadcnt 0x0
	v_cvt_i16_f16_e32 v22, v1
.LBB380_2326:
	s_mov_b32 s13, 0
.LBB380_2327:
	s_delay_alu instid0(SALU_CYCLE_1)
	s_and_not1_b32 vcc_lo, exec_lo, s13
	s_cbranch_vccnz .LBB380_2338
; %bb.2328:
	s_cmp_lt_i32 s12, 6
	s_cbranch_scc1 .LBB380_2331
; %bb.2329:
	s_cmp_gt_i32 s12, 6
	s_cbranch_scc0 .LBB380_2332
; %bb.2330:
	s_wait_loadcnt 0x0
	global_load_b64 v[22:23], v[24:25], off
	s_mov_b32 s13, 0
	s_wait_loadcnt 0x0
	v_cvt_i32_f64_e32 v22, v[22:23]
	s_branch .LBB380_2333
.LBB380_2331:
	s_mov_b32 s13, -1
                                        ; implicit-def: $vgpr22
	s_branch .LBB380_2336
.LBB380_2332:
	s_mov_b32 s13, -1
                                        ; implicit-def: $vgpr22
.LBB380_2333:
	s_delay_alu instid0(SALU_CYCLE_1)
	s_and_not1_b32 vcc_lo, exec_lo, s13
	s_cbranch_vccnz .LBB380_2335
; %bb.2334:
	global_load_b32 v1, v[24:25], off
	s_wait_loadcnt 0x0
	v_cvt_i32_f32_e32 v22, v1
.LBB380_2335:
	s_mov_b32 s13, 0
.LBB380_2336:
	s_delay_alu instid0(SALU_CYCLE_1)
	s_and_not1_b32 vcc_lo, exec_lo, s13
	s_cbranch_vccnz .LBB380_2338
; %bb.2337:
	global_load_u16 v1, v[24:25], off
	s_wait_loadcnt 0x0
	v_cvt_i16_f16_e32 v22, v1
.LBB380_2338:
	s_mov_b32 s13, 0
.LBB380_2339:
	s_delay_alu instid0(SALU_CYCLE_1)
	s_and_not1_b32 vcc_lo, exec_lo, s13
	s_cbranch_vccnz .LBB380_2359
; %bb.2340:
	s_cmp_lt_i32 s12, 2
	s_cbranch_scc1 .LBB380_2344
; %bb.2341:
	s_cmp_lt_i32 s12, 3
	s_cbranch_scc1 .LBB380_2345
; %bb.2342:
	s_cmp_gt_i32 s12, 3
	s_cbranch_scc0 .LBB380_2346
; %bb.2343:
	s_wait_loadcnt 0x0
	global_load_b64 v[22:23], v[24:25], off
	s_mov_b32 s13, 0
	s_branch .LBB380_2347
.LBB380_2344:
	s_mov_b32 s13, -1
                                        ; implicit-def: $vgpr22
	s_branch .LBB380_2353
.LBB380_2345:
	s_mov_b32 s13, -1
                                        ; implicit-def: $vgpr22
	s_branch .LBB380_2350
.LBB380_2346:
	s_mov_b32 s13, -1
                                        ; implicit-def: $vgpr22
.LBB380_2347:
	s_delay_alu instid0(SALU_CYCLE_1)
	s_and_not1_b32 vcc_lo, exec_lo, s13
	s_cbranch_vccnz .LBB380_2349
; %bb.2348:
	s_wait_loadcnt 0x0
	global_load_b32 v22, v[24:25], off
.LBB380_2349:
	s_mov_b32 s13, 0
.LBB380_2350:
	s_delay_alu instid0(SALU_CYCLE_1)
	s_and_not1_b32 vcc_lo, exec_lo, s13
	s_cbranch_vccnz .LBB380_2352
; %bb.2351:
	s_wait_loadcnt 0x0
	global_load_u16 v22, v[24:25], off
.LBB380_2352:
	s_mov_b32 s13, 0
.LBB380_2353:
	s_delay_alu instid0(SALU_CYCLE_1)
	s_and_not1_b32 vcc_lo, exec_lo, s13
	s_cbranch_vccnz .LBB380_2359
; %bb.2354:
	s_cmp_gt_i32 s12, 0
	s_mov_b32 s13, 0
	s_cbranch_scc0 .LBB380_2356
; %bb.2355:
	s_wait_loadcnt 0x0
	global_load_u8 v22, v[24:25], off
	s_branch .LBB380_2357
.LBB380_2356:
	s_mov_b32 s13, -1
                                        ; implicit-def: $vgpr22
.LBB380_2357:
	s_delay_alu instid0(SALU_CYCLE_1)
	s_and_not1_b32 vcc_lo, exec_lo, s13
	s_cbranch_vccnz .LBB380_2359
; %bb.2358:
	s_wait_loadcnt 0x0
	global_load_u8 v22, v[24:25], off
.LBB380_2359:
	s_mov_b32 s15, -1
.LBB380_2360:
	s_delay_alu instid0(SALU_CYCLE_1)
	s_and_not1_b32 vcc_lo, exec_lo, s15
	s_cbranch_vccnz .LBB380_3047
; %bb.2361:
	v_mov_b32_e32 v17, 0
	s_cmp_lt_i32 s11, 11
	s_wait_xcnt 0x0
	s_delay_alu instid0(VALU_DEP_1)
	v_add_nc_u64_e32 v[24:25], s[6:7], v[16:17]
	s_cbranch_scc1 .LBB380_2368
; %bb.2362:
	s_cmp_gt_i32 s11, 25
	s_mov_b32 s7, 0
	s_cbranch_scc0 .LBB380_2369
; %bb.2363:
	s_cmp_gt_i32 s11, 28
	s_cbranch_scc0 .LBB380_2370
; %bb.2364:
	s_cmp_gt_i32 s11, 43
	;; [unrolled: 3-line block ×3, first 2 shown]
	s_cbranch_scc0 .LBB380_2373
; %bb.2366:
	s_cmp_eq_u32 s11, 46
	s_mov_b32 s14, 0
	s_cbranch_scc0 .LBB380_2374
; %bb.2367:
	global_load_b32 v1, v[24:25], off
	s_mov_b32 s6, 0
	s_mov_b32 s13, -1
	s_wait_loadcnt 0x0
	v_lshlrev_b32_e32 v1, 16, v1
	s_delay_alu instid0(VALU_DEP_1)
	v_cvt_i32_f32_e32 v16, v1
	s_branch .LBB380_2376
.LBB380_2368:
	s_mov_b32 s6, -1
	s_mov_b32 s13, 0
                                        ; implicit-def: $vgpr16
	s_branch .LBB380_2438
.LBB380_2369:
	s_mov_b32 s14, -1
	s_mov_b32 s13, 0
	s_mov_b32 s6, 0
                                        ; implicit-def: $vgpr16
	s_branch .LBB380_2403
.LBB380_2370:
	s_mov_b32 s14, -1
	s_mov_b32 s13, 0
	s_mov_b32 s6, 0
                                        ; implicit-def: $vgpr16
	s_branch .LBB380_2386
.LBB380_2371:
	s_mov_b32 s14, -1
	s_mov_b32 s13, 0
	s_mov_b32 s6, 0
                                        ; implicit-def: $vgpr16
	s_branch .LBB380_2381
.LBB380_2372:
	s_or_b32 s10, s10, exec_lo
	s_trap 2
	s_cbranch_execz .LBB380_2309
	s_branch .LBB380_2310
.LBB380_2373:
	s_mov_b32 s14, -1
	s_mov_b32 s13, 0
	s_mov_b32 s6, 0
	s_branch .LBB380_2375
.LBB380_2374:
	s_mov_b32 s6, -1
	s_mov_b32 s13, 0
.LBB380_2375:
                                        ; implicit-def: $vgpr16
.LBB380_2376:
	s_and_b32 vcc_lo, exec_lo, s14
	s_cbranch_vccz .LBB380_2380
; %bb.2377:
	s_cmp_eq_u32 s11, 44
	s_cbranch_scc0 .LBB380_2379
; %bb.2378:
	global_load_u8 v1, v[24:25], off
	s_mov_b32 s6, 0
	s_mov_b32 s13, -1
	s_wait_loadcnt 0x0
	v_lshlrev_b32_e32 v3, 23, v1
	v_cmp_ne_u32_e32 vcc_lo, 0, v1
	s_delay_alu instid0(VALU_DEP_2) | instskip(NEXT) | instid1(VALU_DEP_1)
	v_cvt_i32_f32_e32 v3, v3
	v_cndmask_b32_e32 v16, 0, v3, vcc_lo
	s_branch .LBB380_2380
.LBB380_2379:
	s_mov_b32 s6, -1
                                        ; implicit-def: $vgpr16
.LBB380_2380:
	s_mov_b32 s14, 0
.LBB380_2381:
	s_delay_alu instid0(SALU_CYCLE_1)
	s_and_b32 vcc_lo, exec_lo, s14
	s_cbranch_vccz .LBB380_2385
; %bb.2382:
	s_cmp_eq_u32 s11, 29
	s_cbranch_scc0 .LBB380_2384
; %bb.2383:
	global_load_b64 v[16:17], v[24:25], off
	s_mov_b32 s6, 0
	s_mov_b32 s13, -1
	s_branch .LBB380_2385
.LBB380_2384:
	s_mov_b32 s6, -1
                                        ; implicit-def: $vgpr16
.LBB380_2385:
	s_mov_b32 s14, 0
.LBB380_2386:
	s_delay_alu instid0(SALU_CYCLE_1)
	s_and_b32 vcc_lo, exec_lo, s14
	s_cbranch_vccz .LBB380_2402
; %bb.2387:
	s_cmp_lt_i32 s11, 27
	s_cbranch_scc1 .LBB380_2390
; %bb.2388:
	s_cmp_gt_i32 s11, 27
	s_cbranch_scc0 .LBB380_2391
; %bb.2389:
	s_wait_loadcnt 0x0
	global_load_b32 v16, v[24:25], off
	s_mov_b32 s13, 0
	s_branch .LBB380_2392
.LBB380_2390:
	s_mov_b32 s13, -1
                                        ; implicit-def: $vgpr16
	s_branch .LBB380_2395
.LBB380_2391:
	s_mov_b32 s13, -1
                                        ; implicit-def: $vgpr16
.LBB380_2392:
	s_delay_alu instid0(SALU_CYCLE_1)
	s_and_not1_b32 vcc_lo, exec_lo, s13
	s_cbranch_vccnz .LBB380_2394
; %bb.2393:
	s_wait_loadcnt 0x0
	global_load_u16 v16, v[24:25], off
.LBB380_2394:
	s_mov_b32 s13, 0
.LBB380_2395:
	s_delay_alu instid0(SALU_CYCLE_1)
	s_and_not1_b32 vcc_lo, exec_lo, s13
	s_cbranch_vccnz .LBB380_2401
; %bb.2396:
	global_load_u8 v1, v[24:25], off
	s_mov_b32 s14, 0
	s_mov_b32 s13, exec_lo
	s_wait_loadcnt 0x0
	v_cmpx_lt_i16_e32 0x7f, v1
	s_xor_b32 s13, exec_lo, s13
	s_cbranch_execz .LBB380_2413
; %bb.2397:
	v_cmp_ne_u16_e32 vcc_lo, 0x80, v1
	s_and_b32 s14, vcc_lo, exec_lo
	s_and_not1_saveexec_b32 s13, s13
	s_cbranch_execnz .LBB380_2414
.LBB380_2398:
	s_or_b32 exec_lo, exec_lo, s13
	v_mov_b32_e32 v16, 0
	s_and_saveexec_b32 s13, s14
	s_cbranch_execz .LBB380_2400
.LBB380_2399:
	v_and_b32_e32 v3, 0xffff, v1
	s_delay_alu instid0(VALU_DEP_1) | instskip(SKIP_1) | instid1(VALU_DEP_2)
	v_dual_lshlrev_b32 v1, 24, v1 :: v_dual_bitop2_b32 v5, 7, v3 bitop3:0x40
	v_bfe_u32 v11, v3, 3, 4
	v_and_b32_e32 v1, 0x80000000, v1
	s_delay_alu instid0(VALU_DEP_3) | instskip(NEXT) | instid1(VALU_DEP_3)
	v_clz_i32_u32_e32 v7, v5
	v_cmp_eq_u32_e32 vcc_lo, 0, v11
	s_delay_alu instid0(VALU_DEP_2) | instskip(NEXT) | instid1(VALU_DEP_1)
	v_min_u32_e32 v7, 32, v7
	v_subrev_nc_u32_e32 v9, 28, v7
	v_sub_nc_u32_e32 v7, 29, v7
	s_delay_alu instid0(VALU_DEP_2) | instskip(NEXT) | instid1(VALU_DEP_2)
	v_lshlrev_b32_e32 v3, v9, v3
	v_cndmask_b32_e32 v7, v11, v7, vcc_lo
	s_delay_alu instid0(VALU_DEP_2) | instskip(NEXT) | instid1(VALU_DEP_1)
	v_and_b32_e32 v3, 7, v3
	v_cndmask_b32_e32 v3, v5, v3, vcc_lo
	s_delay_alu instid0(VALU_DEP_3) | instskip(NEXT) | instid1(VALU_DEP_2)
	v_lshl_add_u32 v5, v7, 23, 0x3b800000
	v_lshlrev_b32_e32 v3, 20, v3
	s_delay_alu instid0(VALU_DEP_1) | instskip(NEXT) | instid1(VALU_DEP_1)
	v_or3_b32 v1, v1, v5, v3
	v_cvt_i32_f32_e32 v16, v1
.LBB380_2400:
	s_or_b32 exec_lo, exec_lo, s13
.LBB380_2401:
	s_mov_b32 s13, -1
.LBB380_2402:
	s_mov_b32 s14, 0
.LBB380_2403:
	s_delay_alu instid0(SALU_CYCLE_1)
	s_and_b32 vcc_lo, exec_lo, s14
	s_cbranch_vccz .LBB380_2434
; %bb.2404:
	s_cmp_gt_i32 s11, 22
	s_cbranch_scc0 .LBB380_2412
; %bb.2405:
	s_cmp_lt_i32 s11, 24
	s_cbranch_scc1 .LBB380_2415
; %bb.2406:
	s_cmp_gt_i32 s11, 24
	s_cbranch_scc0 .LBB380_2416
; %bb.2407:
	global_load_u8 v1, v[24:25], off
	s_mov_b32 s13, 0
	s_mov_b32 s7, exec_lo
	s_wait_loadcnt 0x0
	v_cmpx_lt_i16_e32 0x7f, v1
	s_xor_b32 s7, exec_lo, s7
	s_cbranch_execz .LBB380_2428
; %bb.2408:
	v_cmp_ne_u16_e32 vcc_lo, 0x80, v1
	s_and_b32 s13, vcc_lo, exec_lo
	s_and_not1_saveexec_b32 s7, s7
	s_cbranch_execnz .LBB380_2429
.LBB380_2409:
	s_or_b32 exec_lo, exec_lo, s7
	v_mov_b32_e32 v16, 0
	s_and_saveexec_b32 s7, s13
	s_cbranch_execz .LBB380_2411
.LBB380_2410:
	v_and_b32_e32 v3, 0xffff, v1
	s_delay_alu instid0(VALU_DEP_1) | instskip(SKIP_1) | instid1(VALU_DEP_2)
	v_dual_lshlrev_b32 v1, 24, v1 :: v_dual_bitop2_b32 v5, 3, v3 bitop3:0x40
	v_bfe_u32 v11, v3, 2, 5
	v_and_b32_e32 v1, 0x80000000, v1
	s_delay_alu instid0(VALU_DEP_3) | instskip(NEXT) | instid1(VALU_DEP_3)
	v_clz_i32_u32_e32 v7, v5
	v_cmp_eq_u32_e32 vcc_lo, 0, v11
	s_delay_alu instid0(VALU_DEP_2) | instskip(NEXT) | instid1(VALU_DEP_1)
	v_min_u32_e32 v7, 32, v7
	v_subrev_nc_u32_e32 v9, 29, v7
	v_sub_nc_u32_e32 v7, 30, v7
	s_delay_alu instid0(VALU_DEP_2) | instskip(NEXT) | instid1(VALU_DEP_2)
	v_lshlrev_b32_e32 v3, v9, v3
	v_cndmask_b32_e32 v7, v11, v7, vcc_lo
	s_delay_alu instid0(VALU_DEP_2) | instskip(NEXT) | instid1(VALU_DEP_1)
	v_and_b32_e32 v3, 3, v3
	v_cndmask_b32_e32 v3, v5, v3, vcc_lo
	s_delay_alu instid0(VALU_DEP_3) | instskip(NEXT) | instid1(VALU_DEP_2)
	v_lshl_add_u32 v5, v7, 23, 0x37800000
	v_lshlrev_b32_e32 v3, 21, v3
	s_delay_alu instid0(VALU_DEP_1) | instskip(NEXT) | instid1(VALU_DEP_1)
	v_or3_b32 v1, v1, v5, v3
	v_cvt_i32_f32_e32 v16, v1
.LBB380_2411:
	s_or_b32 exec_lo, exec_lo, s7
	s_mov_b32 s7, 0
	s_branch .LBB380_2417
.LBB380_2412:
	s_mov_b32 s7, -1
                                        ; implicit-def: $vgpr16
	s_branch .LBB380_2423
.LBB380_2413:
	s_and_not1_saveexec_b32 s13, s13
	s_cbranch_execz .LBB380_2398
.LBB380_2414:
	v_cmp_ne_u16_e32 vcc_lo, 0, v1
	s_and_not1_b32 s14, s14, exec_lo
	s_and_b32 s15, vcc_lo, exec_lo
	s_delay_alu instid0(SALU_CYCLE_1)
	s_or_b32 s14, s14, s15
	s_or_b32 exec_lo, exec_lo, s13
	v_mov_b32_e32 v16, 0
	s_and_saveexec_b32 s13, s14
	s_cbranch_execnz .LBB380_2399
	s_branch .LBB380_2400
.LBB380_2415:
	s_mov_b32 s7, -1
                                        ; implicit-def: $vgpr16
	s_branch .LBB380_2420
.LBB380_2416:
	s_mov_b32 s7, -1
                                        ; implicit-def: $vgpr16
.LBB380_2417:
	s_delay_alu instid0(SALU_CYCLE_1)
	s_and_b32 vcc_lo, exec_lo, s7
	s_cbranch_vccz .LBB380_2419
; %bb.2418:
	global_load_u8 v1, v[24:25], off
	s_wait_loadcnt 0x0
	v_lshlrev_b32_e32 v1, 24, v1
	s_delay_alu instid0(VALU_DEP_1) | instskip(NEXT) | instid1(VALU_DEP_1)
	v_and_b32_e32 v3, 0x7f000000, v1
	v_clz_i32_u32_e32 v5, v3
	v_add_nc_u32_e32 v9, 0x1000000, v3
	v_cmp_ne_u32_e32 vcc_lo, 0, v3
	s_delay_alu instid0(VALU_DEP_3) | instskip(NEXT) | instid1(VALU_DEP_1)
	v_min_u32_e32 v5, 32, v5
	v_sub_nc_u32_e64 v5, v5, 4 clamp
	s_delay_alu instid0(VALU_DEP_1) | instskip(NEXT) | instid1(VALU_DEP_1)
	v_dual_lshlrev_b32 v7, v5, v3 :: v_dual_lshlrev_b32 v5, 23, v5
	v_lshrrev_b32_e32 v7, 4, v7
	s_delay_alu instid0(VALU_DEP_1) | instskip(SKIP_1) | instid1(VALU_DEP_2)
	v_sub_nc_u32_e32 v5, v7, v5
	v_ashrrev_i32_e32 v7, 8, v9
	v_add_nc_u32_e32 v5, 0x3c000000, v5
	s_delay_alu instid0(VALU_DEP_1) | instskip(NEXT) | instid1(VALU_DEP_1)
	v_and_or_b32 v5, 0x7f800000, v7, v5
	v_cndmask_b32_e32 v3, 0, v5, vcc_lo
	s_delay_alu instid0(VALU_DEP_1) | instskip(NEXT) | instid1(VALU_DEP_1)
	v_and_or_b32 v1, 0x80000000, v1, v3
	v_cvt_i32_f32_e32 v16, v1
.LBB380_2419:
	s_mov_b32 s7, 0
.LBB380_2420:
	s_delay_alu instid0(SALU_CYCLE_1)
	s_and_not1_b32 vcc_lo, exec_lo, s7
	s_cbranch_vccnz .LBB380_2422
; %bb.2421:
	global_load_u8 v1, v[24:25], off
	s_wait_loadcnt 0x0
	v_lshlrev_b32_e32 v3, 25, v1
	v_lshlrev_b16 v1, 8, v1
	s_delay_alu instid0(VALU_DEP_1) | instskip(SKIP_1) | instid1(VALU_DEP_2)
	v_and_or_b32 v7, 0x7f00, v1, 0.5
	v_bfe_i32 v1, v1, 0, 16
	v_add_f32_e32 v7, -0.5, v7
	v_lshrrev_b32_e32 v5, 4, v3
	v_cmp_gt_u32_e32 vcc_lo, 0x8000000, v3
	s_delay_alu instid0(VALU_DEP_2) | instskip(NEXT) | instid1(VALU_DEP_1)
	v_or_b32_e32 v5, 0x70000000, v5
	v_mul_f32_e32 v5, 0x7800000, v5
	s_delay_alu instid0(VALU_DEP_1) | instskip(NEXT) | instid1(VALU_DEP_1)
	v_cndmask_b32_e32 v3, v5, v7, vcc_lo
	v_and_or_b32 v1, 0x80000000, v1, v3
	s_delay_alu instid0(VALU_DEP_1)
	v_cvt_i32_f32_e32 v16, v1
.LBB380_2422:
	s_mov_b32 s7, 0
	s_mov_b32 s13, -1
.LBB380_2423:
	s_and_not1_b32 vcc_lo, exec_lo, s7
	s_mov_b32 s7, 0
	s_cbranch_vccnz .LBB380_2434
; %bb.2424:
	s_cmp_gt_i32 s11, 14
	s_cbranch_scc0 .LBB380_2427
; %bb.2425:
	s_cmp_eq_u32 s11, 15
	s_cbranch_scc0 .LBB380_2430
; %bb.2426:
	global_load_u16 v1, v[24:25], off
	s_mov_b32 s6, 0
	s_mov_b32 s13, -1
	s_wait_loadcnt 0x0
	v_lshlrev_b32_e32 v1, 16, v1
	s_delay_alu instid0(VALU_DEP_1)
	v_cvt_i32_f32_e32 v16, v1
	s_branch .LBB380_2432
.LBB380_2427:
	s_mov_b32 s7, -1
	s_branch .LBB380_2431
.LBB380_2428:
	s_and_not1_saveexec_b32 s7, s7
	s_cbranch_execz .LBB380_2409
.LBB380_2429:
	v_cmp_ne_u16_e32 vcc_lo, 0, v1
	s_and_not1_b32 s13, s13, exec_lo
	s_and_b32 s14, vcc_lo, exec_lo
	s_delay_alu instid0(SALU_CYCLE_1)
	s_or_b32 s13, s13, s14
	s_or_b32 exec_lo, exec_lo, s7
	v_mov_b32_e32 v16, 0
	s_and_saveexec_b32 s7, s13
	s_cbranch_execnz .LBB380_2410
	s_branch .LBB380_2411
.LBB380_2430:
	s_mov_b32 s6, -1
.LBB380_2431:
                                        ; implicit-def: $vgpr16
.LBB380_2432:
	s_and_b32 vcc_lo, exec_lo, s7
	s_mov_b32 s7, 0
	s_cbranch_vccz .LBB380_2434
; %bb.2433:
	s_cmp_lg_u32 s11, 11
	s_mov_b32 s7, -1
	s_cselect_b32 s6, -1, 0
.LBB380_2434:
	s_delay_alu instid0(SALU_CYCLE_1)
	s_and_b32 vcc_lo, exec_lo, s6
	s_cbranch_vccnz .LBB380_2499
; %bb.2435:
	s_and_not1_b32 vcc_lo, exec_lo, s7
	s_cbranch_vccnz .LBB380_2437
.LBB380_2436:
	global_load_u8 v1, v[24:25], off
	s_mov_b32 s13, -1
	s_wait_loadcnt 0x0
	v_cmp_ne_u16_e32 vcc_lo, 0, v1
	v_cndmask_b32_e64 v16, 0, 1, vcc_lo
.LBB380_2437:
	s_mov_b32 s6, 0
.LBB380_2438:
	s_delay_alu instid0(SALU_CYCLE_1)
	s_and_b32 vcc_lo, exec_lo, s6
	s_cbranch_vccz .LBB380_2487
; %bb.2439:
	s_cmp_lt_i32 s11, 5
	s_cbranch_scc1 .LBB380_2444
; %bb.2440:
	s_cmp_lt_i32 s11, 8
	s_cbranch_scc1 .LBB380_2445
	;; [unrolled: 3-line block ×3, first 2 shown]
; %bb.2442:
	s_cmp_gt_i32 s11, 9
	s_cbranch_scc0 .LBB380_2447
; %bb.2443:
	s_wait_loadcnt 0x0
	global_load_b64 v[16:17], v[24:25], off
	s_mov_b32 s6, 0
	s_wait_loadcnt 0x0
	v_cvt_i32_f64_e32 v16, v[16:17]
	s_branch .LBB380_2448
.LBB380_2444:
	s_mov_b32 s6, -1
                                        ; implicit-def: $vgpr16
	s_branch .LBB380_2466
.LBB380_2445:
	s_mov_b32 s6, -1
                                        ; implicit-def: $vgpr16
	s_branch .LBB380_2454
.LBB380_2446:
	s_mov_b32 s6, -1
                                        ; implicit-def: $vgpr16
	s_branch .LBB380_2451
.LBB380_2447:
	s_mov_b32 s6, -1
                                        ; implicit-def: $vgpr16
.LBB380_2448:
	s_delay_alu instid0(SALU_CYCLE_1)
	s_and_not1_b32 vcc_lo, exec_lo, s6
	s_cbranch_vccnz .LBB380_2450
; %bb.2449:
	global_load_b32 v1, v[24:25], off
	s_wait_loadcnt 0x0
	v_cvt_i32_f32_e32 v16, v1
.LBB380_2450:
	s_mov_b32 s6, 0
.LBB380_2451:
	s_delay_alu instid0(SALU_CYCLE_1)
	s_and_not1_b32 vcc_lo, exec_lo, s6
	s_cbranch_vccnz .LBB380_2453
; %bb.2452:
	global_load_b32 v1, v[24:25], off
	s_wait_loadcnt 0x0
	v_cvt_i16_f16_e32 v16, v1
.LBB380_2453:
	s_mov_b32 s6, 0
.LBB380_2454:
	s_delay_alu instid0(SALU_CYCLE_1)
	s_and_not1_b32 vcc_lo, exec_lo, s6
	s_cbranch_vccnz .LBB380_2465
; %bb.2455:
	s_cmp_lt_i32 s11, 6
	s_cbranch_scc1 .LBB380_2458
; %bb.2456:
	s_cmp_gt_i32 s11, 6
	s_cbranch_scc0 .LBB380_2459
; %bb.2457:
	s_wait_loadcnt 0x0
	global_load_b64 v[16:17], v[24:25], off
	s_mov_b32 s6, 0
	s_wait_loadcnt 0x0
	v_cvt_i32_f64_e32 v16, v[16:17]
	s_branch .LBB380_2460
.LBB380_2458:
	s_mov_b32 s6, -1
                                        ; implicit-def: $vgpr16
	s_branch .LBB380_2463
.LBB380_2459:
	s_mov_b32 s6, -1
                                        ; implicit-def: $vgpr16
.LBB380_2460:
	s_delay_alu instid0(SALU_CYCLE_1)
	s_and_not1_b32 vcc_lo, exec_lo, s6
	s_cbranch_vccnz .LBB380_2462
; %bb.2461:
	global_load_b32 v1, v[24:25], off
	s_wait_loadcnt 0x0
	v_cvt_i32_f32_e32 v16, v1
.LBB380_2462:
	s_mov_b32 s6, 0
.LBB380_2463:
	s_delay_alu instid0(SALU_CYCLE_1)
	s_and_not1_b32 vcc_lo, exec_lo, s6
	s_cbranch_vccnz .LBB380_2465
; %bb.2464:
	global_load_u16 v1, v[24:25], off
	s_wait_loadcnt 0x0
	v_cvt_i16_f16_e32 v16, v1
.LBB380_2465:
	s_mov_b32 s6, 0
.LBB380_2466:
	s_delay_alu instid0(SALU_CYCLE_1)
	s_and_not1_b32 vcc_lo, exec_lo, s6
	s_cbranch_vccnz .LBB380_2486
; %bb.2467:
	s_cmp_lt_i32 s11, 2
	s_cbranch_scc1 .LBB380_2471
; %bb.2468:
	s_cmp_lt_i32 s11, 3
	s_cbranch_scc1 .LBB380_2472
; %bb.2469:
	s_cmp_gt_i32 s11, 3
	s_cbranch_scc0 .LBB380_2473
; %bb.2470:
	s_wait_loadcnt 0x0
	global_load_b64 v[16:17], v[24:25], off
	s_mov_b32 s6, 0
	s_branch .LBB380_2474
.LBB380_2471:
	s_mov_b32 s6, -1
                                        ; implicit-def: $vgpr16
	s_branch .LBB380_2480
.LBB380_2472:
	s_mov_b32 s6, -1
                                        ; implicit-def: $vgpr16
	s_branch .LBB380_2477
.LBB380_2473:
	s_mov_b32 s6, -1
                                        ; implicit-def: $vgpr16
.LBB380_2474:
	s_delay_alu instid0(SALU_CYCLE_1)
	s_and_not1_b32 vcc_lo, exec_lo, s6
	s_cbranch_vccnz .LBB380_2476
; %bb.2475:
	s_wait_loadcnt 0x0
	global_load_b32 v16, v[24:25], off
.LBB380_2476:
	s_mov_b32 s6, 0
.LBB380_2477:
	s_delay_alu instid0(SALU_CYCLE_1)
	s_and_not1_b32 vcc_lo, exec_lo, s6
	s_cbranch_vccnz .LBB380_2479
; %bb.2478:
	s_wait_loadcnt 0x0
	global_load_u16 v16, v[24:25], off
.LBB380_2479:
	s_mov_b32 s6, 0
.LBB380_2480:
	s_delay_alu instid0(SALU_CYCLE_1)
	s_and_not1_b32 vcc_lo, exec_lo, s6
	s_cbranch_vccnz .LBB380_2486
; %bb.2481:
	s_cmp_gt_i32 s11, 0
	s_mov_b32 s6, 0
	s_cbranch_scc0 .LBB380_2483
; %bb.2482:
	s_wait_loadcnt 0x0
	global_load_u8 v16, v[24:25], off
	s_branch .LBB380_2484
.LBB380_2483:
	s_mov_b32 s6, -1
                                        ; implicit-def: $vgpr16
.LBB380_2484:
	s_delay_alu instid0(SALU_CYCLE_1)
	s_and_not1_b32 vcc_lo, exec_lo, s6
	s_cbranch_vccnz .LBB380_2486
; %bb.2485:
	s_wait_loadcnt 0x0
	global_load_u8 v16, v[24:25], off
.LBB380_2486:
	s_mov_b32 s13, -1
.LBB380_2487:
	s_delay_alu instid0(SALU_CYCLE_1)
	s_and_not1_b32 vcc_lo, exec_lo, s13
	s_cbranch_vccnz .LBB380_3047
; %bb.2488:
	v_mov_b32_e32 v11, 0
	s_cmp_lt_i32 s12, 11
	s_wait_xcnt 0x0
	s_delay_alu instid0(VALU_DEP_1)
	v_add_nc_u64_e32 v[24:25], s[0:1], v[10:11]
	s_cbranch_scc1 .LBB380_2495
; %bb.2489:
	s_cmp_gt_i32 s12, 25
	s_mov_b32 s1, 0
	s_cbranch_scc0 .LBB380_2496
; %bb.2490:
	s_cmp_gt_i32 s12, 28
	s_cbranch_scc0 .LBB380_2497
; %bb.2491:
	s_cmp_gt_i32 s12, 43
	;; [unrolled: 3-line block ×3, first 2 shown]
	s_cbranch_scc0 .LBB380_2500
; %bb.2493:
	s_cmp_eq_u32 s12, 46
	s_mov_b32 s7, 0
	s_cbranch_scc0 .LBB380_2501
; %bb.2494:
	global_load_b32 v1, v[24:25], off
	s_mov_b32 s0, 0
	s_mov_b32 s6, -1
	s_wait_loadcnt 0x0
	v_lshlrev_b32_e32 v1, 16, v1
	s_delay_alu instid0(VALU_DEP_1)
	v_cvt_i32_f32_e32 v10, v1
	s_branch .LBB380_2503
.LBB380_2495:
	s_mov_b32 s0, -1
	s_mov_b32 s6, 0
                                        ; implicit-def: $vgpr10
	s_branch .LBB380_2565
.LBB380_2496:
	s_mov_b32 s7, -1
	s_mov_b32 s6, 0
	s_mov_b32 s0, 0
                                        ; implicit-def: $vgpr10
	s_branch .LBB380_2530
.LBB380_2497:
	s_mov_b32 s7, -1
	s_mov_b32 s6, 0
	s_mov_b32 s0, 0
                                        ; implicit-def: $vgpr10
	s_branch .LBB380_2513
.LBB380_2498:
	s_mov_b32 s7, -1
	s_mov_b32 s6, 0
	s_mov_b32 s0, 0
                                        ; implicit-def: $vgpr10
	s_branch .LBB380_2508
.LBB380_2499:
	s_or_b32 s10, s10, exec_lo
	s_trap 2
	s_cbranch_execz .LBB380_2436
	s_branch .LBB380_2437
.LBB380_2500:
	s_mov_b32 s7, -1
	s_mov_b32 s6, 0
	s_mov_b32 s0, 0
	s_branch .LBB380_2502
.LBB380_2501:
	s_mov_b32 s0, -1
	s_mov_b32 s6, 0
.LBB380_2502:
                                        ; implicit-def: $vgpr10
.LBB380_2503:
	s_and_b32 vcc_lo, exec_lo, s7
	s_cbranch_vccz .LBB380_2507
; %bb.2504:
	s_cmp_eq_u32 s12, 44
	s_cbranch_scc0 .LBB380_2506
; %bb.2505:
	global_load_u8 v1, v[24:25], off
	s_mov_b32 s0, 0
	s_mov_b32 s6, -1
	s_wait_loadcnt 0x0
	v_lshlrev_b32_e32 v3, 23, v1
	v_cmp_ne_u32_e32 vcc_lo, 0, v1
	s_delay_alu instid0(VALU_DEP_2) | instskip(NEXT) | instid1(VALU_DEP_1)
	v_cvt_i32_f32_e32 v3, v3
	v_cndmask_b32_e32 v10, 0, v3, vcc_lo
	s_branch .LBB380_2507
.LBB380_2506:
	s_mov_b32 s0, -1
                                        ; implicit-def: $vgpr10
.LBB380_2507:
	s_mov_b32 s7, 0
.LBB380_2508:
	s_delay_alu instid0(SALU_CYCLE_1)
	s_and_b32 vcc_lo, exec_lo, s7
	s_cbranch_vccz .LBB380_2512
; %bb.2509:
	s_cmp_eq_u32 s12, 29
	s_cbranch_scc0 .LBB380_2511
; %bb.2510:
	global_load_b64 v[10:11], v[24:25], off
	s_mov_b32 s0, 0
	s_mov_b32 s6, -1
	s_branch .LBB380_2512
.LBB380_2511:
	s_mov_b32 s0, -1
                                        ; implicit-def: $vgpr10
.LBB380_2512:
	s_mov_b32 s7, 0
.LBB380_2513:
	s_delay_alu instid0(SALU_CYCLE_1)
	s_and_b32 vcc_lo, exec_lo, s7
	s_cbranch_vccz .LBB380_2529
; %bb.2514:
	s_cmp_lt_i32 s12, 27
	s_cbranch_scc1 .LBB380_2517
; %bb.2515:
	s_cmp_gt_i32 s12, 27
	s_cbranch_scc0 .LBB380_2518
; %bb.2516:
	s_wait_loadcnt 0x0
	global_load_b32 v10, v[24:25], off
	s_mov_b32 s6, 0
	s_branch .LBB380_2519
.LBB380_2517:
	s_mov_b32 s6, -1
                                        ; implicit-def: $vgpr10
	s_branch .LBB380_2522
.LBB380_2518:
	s_mov_b32 s6, -1
                                        ; implicit-def: $vgpr10
.LBB380_2519:
	s_delay_alu instid0(SALU_CYCLE_1)
	s_and_not1_b32 vcc_lo, exec_lo, s6
	s_cbranch_vccnz .LBB380_2521
; %bb.2520:
	s_wait_loadcnt 0x0
	global_load_u16 v10, v[24:25], off
.LBB380_2521:
	s_mov_b32 s6, 0
.LBB380_2522:
	s_delay_alu instid0(SALU_CYCLE_1)
	s_and_not1_b32 vcc_lo, exec_lo, s6
	s_cbranch_vccnz .LBB380_2528
; %bb.2523:
	global_load_u8 v1, v[24:25], off
	s_mov_b32 s7, 0
	s_mov_b32 s6, exec_lo
	s_wait_loadcnt 0x0
	v_cmpx_lt_i16_e32 0x7f, v1
	s_xor_b32 s6, exec_lo, s6
	s_cbranch_execz .LBB380_2540
; %bb.2524:
	v_cmp_ne_u16_e32 vcc_lo, 0x80, v1
	s_and_b32 s7, vcc_lo, exec_lo
	s_and_not1_saveexec_b32 s6, s6
	s_cbranch_execnz .LBB380_2541
.LBB380_2525:
	s_or_b32 exec_lo, exec_lo, s6
	v_mov_b32_e32 v10, 0
	s_and_saveexec_b32 s6, s7
	s_cbranch_execz .LBB380_2527
.LBB380_2526:
	v_and_b32_e32 v3, 0xffff, v1
	s_delay_alu instid0(VALU_DEP_1) | instskip(SKIP_1) | instid1(VALU_DEP_2)
	v_dual_lshlrev_b32 v1, 24, v1 :: v_dual_bitop2_b32 v5, 7, v3 bitop3:0x40
	v_bfe_u32 v10, v3, 3, 4
	v_and_b32_e32 v1, 0x80000000, v1
	s_delay_alu instid0(VALU_DEP_3) | instskip(NEXT) | instid1(VALU_DEP_3)
	v_clz_i32_u32_e32 v7, v5
	v_cmp_eq_u32_e32 vcc_lo, 0, v10
	s_delay_alu instid0(VALU_DEP_2) | instskip(NEXT) | instid1(VALU_DEP_1)
	v_min_u32_e32 v7, 32, v7
	v_subrev_nc_u32_e32 v9, 28, v7
	v_sub_nc_u32_e32 v7, 29, v7
	s_delay_alu instid0(VALU_DEP_2) | instskip(NEXT) | instid1(VALU_DEP_2)
	v_lshlrev_b32_e32 v3, v9, v3
	v_cndmask_b32_e32 v7, v10, v7, vcc_lo
	s_delay_alu instid0(VALU_DEP_2) | instskip(NEXT) | instid1(VALU_DEP_1)
	v_and_b32_e32 v3, 7, v3
	v_cndmask_b32_e32 v3, v5, v3, vcc_lo
	s_delay_alu instid0(VALU_DEP_3) | instskip(NEXT) | instid1(VALU_DEP_2)
	v_lshl_add_u32 v5, v7, 23, 0x3b800000
	v_lshlrev_b32_e32 v3, 20, v3
	s_delay_alu instid0(VALU_DEP_1) | instskip(NEXT) | instid1(VALU_DEP_1)
	v_or3_b32 v1, v1, v5, v3
	v_cvt_i32_f32_e32 v10, v1
.LBB380_2527:
	s_or_b32 exec_lo, exec_lo, s6
.LBB380_2528:
	s_mov_b32 s6, -1
.LBB380_2529:
	s_mov_b32 s7, 0
.LBB380_2530:
	s_delay_alu instid0(SALU_CYCLE_1)
	s_and_b32 vcc_lo, exec_lo, s7
	s_cbranch_vccz .LBB380_2561
; %bb.2531:
	s_cmp_gt_i32 s12, 22
	s_cbranch_scc0 .LBB380_2539
; %bb.2532:
	s_cmp_lt_i32 s12, 24
	s_cbranch_scc1 .LBB380_2542
; %bb.2533:
	s_cmp_gt_i32 s12, 24
	s_cbranch_scc0 .LBB380_2543
; %bb.2534:
	global_load_u8 v1, v[24:25], off
	s_mov_b32 s6, 0
	s_mov_b32 s1, exec_lo
	s_wait_loadcnt 0x0
	v_cmpx_lt_i16_e32 0x7f, v1
	s_xor_b32 s1, exec_lo, s1
	s_cbranch_execz .LBB380_2555
; %bb.2535:
	v_cmp_ne_u16_e32 vcc_lo, 0x80, v1
	s_and_b32 s6, vcc_lo, exec_lo
	s_and_not1_saveexec_b32 s1, s1
	s_cbranch_execnz .LBB380_2556
.LBB380_2536:
	s_or_b32 exec_lo, exec_lo, s1
	v_mov_b32_e32 v10, 0
	s_and_saveexec_b32 s1, s6
	s_cbranch_execz .LBB380_2538
.LBB380_2537:
	v_and_b32_e32 v3, 0xffff, v1
	s_delay_alu instid0(VALU_DEP_1) | instskip(SKIP_1) | instid1(VALU_DEP_2)
	v_dual_lshlrev_b32 v1, 24, v1 :: v_dual_bitop2_b32 v5, 3, v3 bitop3:0x40
	v_bfe_u32 v10, v3, 2, 5
	v_and_b32_e32 v1, 0x80000000, v1
	s_delay_alu instid0(VALU_DEP_3) | instskip(NEXT) | instid1(VALU_DEP_3)
	v_clz_i32_u32_e32 v7, v5
	v_cmp_eq_u32_e32 vcc_lo, 0, v10
	s_delay_alu instid0(VALU_DEP_2) | instskip(NEXT) | instid1(VALU_DEP_1)
	v_min_u32_e32 v7, 32, v7
	v_subrev_nc_u32_e32 v9, 29, v7
	v_sub_nc_u32_e32 v7, 30, v7
	s_delay_alu instid0(VALU_DEP_2) | instskip(NEXT) | instid1(VALU_DEP_2)
	v_lshlrev_b32_e32 v3, v9, v3
	v_cndmask_b32_e32 v7, v10, v7, vcc_lo
	s_delay_alu instid0(VALU_DEP_2) | instskip(NEXT) | instid1(VALU_DEP_1)
	v_and_b32_e32 v3, 3, v3
	v_cndmask_b32_e32 v3, v5, v3, vcc_lo
	s_delay_alu instid0(VALU_DEP_3) | instskip(NEXT) | instid1(VALU_DEP_2)
	v_lshl_add_u32 v5, v7, 23, 0x37800000
	v_lshlrev_b32_e32 v3, 21, v3
	s_delay_alu instid0(VALU_DEP_1) | instskip(NEXT) | instid1(VALU_DEP_1)
	v_or3_b32 v1, v1, v5, v3
	v_cvt_i32_f32_e32 v10, v1
.LBB380_2538:
	s_or_b32 exec_lo, exec_lo, s1
	s_mov_b32 s1, 0
	s_branch .LBB380_2544
.LBB380_2539:
	s_mov_b32 s1, -1
                                        ; implicit-def: $vgpr10
	s_branch .LBB380_2550
.LBB380_2540:
	s_and_not1_saveexec_b32 s6, s6
	s_cbranch_execz .LBB380_2525
.LBB380_2541:
	v_cmp_ne_u16_e32 vcc_lo, 0, v1
	s_and_not1_b32 s7, s7, exec_lo
	s_and_b32 s11, vcc_lo, exec_lo
	s_delay_alu instid0(SALU_CYCLE_1)
	s_or_b32 s7, s7, s11
	s_or_b32 exec_lo, exec_lo, s6
	v_mov_b32_e32 v10, 0
	s_and_saveexec_b32 s6, s7
	s_cbranch_execnz .LBB380_2526
	s_branch .LBB380_2527
.LBB380_2542:
	s_mov_b32 s1, -1
                                        ; implicit-def: $vgpr10
	s_branch .LBB380_2547
.LBB380_2543:
	s_mov_b32 s1, -1
                                        ; implicit-def: $vgpr10
.LBB380_2544:
	s_delay_alu instid0(SALU_CYCLE_1)
	s_and_b32 vcc_lo, exec_lo, s1
	s_cbranch_vccz .LBB380_2546
; %bb.2545:
	global_load_u8 v1, v[24:25], off
	s_wait_loadcnt 0x0
	v_lshlrev_b32_e32 v1, 24, v1
	s_delay_alu instid0(VALU_DEP_1) | instskip(NEXT) | instid1(VALU_DEP_1)
	v_and_b32_e32 v3, 0x7f000000, v1
	v_clz_i32_u32_e32 v5, v3
	v_add_nc_u32_e32 v9, 0x1000000, v3
	v_cmp_ne_u32_e32 vcc_lo, 0, v3
	s_delay_alu instid0(VALU_DEP_3) | instskip(NEXT) | instid1(VALU_DEP_1)
	v_min_u32_e32 v5, 32, v5
	v_sub_nc_u32_e64 v5, v5, 4 clamp
	s_delay_alu instid0(VALU_DEP_1) | instskip(NEXT) | instid1(VALU_DEP_1)
	v_dual_lshlrev_b32 v7, v5, v3 :: v_dual_lshlrev_b32 v5, 23, v5
	v_lshrrev_b32_e32 v7, 4, v7
	s_delay_alu instid0(VALU_DEP_1) | instskip(SKIP_1) | instid1(VALU_DEP_2)
	v_sub_nc_u32_e32 v5, v7, v5
	v_ashrrev_i32_e32 v7, 8, v9
	v_add_nc_u32_e32 v5, 0x3c000000, v5
	s_delay_alu instid0(VALU_DEP_1) | instskip(NEXT) | instid1(VALU_DEP_1)
	v_and_or_b32 v5, 0x7f800000, v7, v5
	v_cndmask_b32_e32 v3, 0, v5, vcc_lo
	s_delay_alu instid0(VALU_DEP_1) | instskip(NEXT) | instid1(VALU_DEP_1)
	v_and_or_b32 v1, 0x80000000, v1, v3
	v_cvt_i32_f32_e32 v10, v1
.LBB380_2546:
	s_mov_b32 s1, 0
.LBB380_2547:
	s_delay_alu instid0(SALU_CYCLE_1)
	s_and_not1_b32 vcc_lo, exec_lo, s1
	s_cbranch_vccnz .LBB380_2549
; %bb.2548:
	global_load_u8 v1, v[24:25], off
	s_wait_loadcnt 0x0
	v_lshlrev_b32_e32 v3, 25, v1
	v_lshlrev_b16 v1, 8, v1
	s_delay_alu instid0(VALU_DEP_1) | instskip(SKIP_1) | instid1(VALU_DEP_2)
	v_and_or_b32 v7, 0x7f00, v1, 0.5
	v_bfe_i32 v1, v1, 0, 16
	v_add_f32_e32 v7, -0.5, v7
	v_lshrrev_b32_e32 v5, 4, v3
	v_cmp_gt_u32_e32 vcc_lo, 0x8000000, v3
	s_delay_alu instid0(VALU_DEP_2) | instskip(NEXT) | instid1(VALU_DEP_1)
	v_or_b32_e32 v5, 0x70000000, v5
	v_mul_f32_e32 v5, 0x7800000, v5
	s_delay_alu instid0(VALU_DEP_1) | instskip(NEXT) | instid1(VALU_DEP_1)
	v_cndmask_b32_e32 v3, v5, v7, vcc_lo
	v_and_or_b32 v1, 0x80000000, v1, v3
	s_delay_alu instid0(VALU_DEP_1)
	v_cvt_i32_f32_e32 v10, v1
.LBB380_2549:
	s_mov_b32 s1, 0
	s_mov_b32 s6, -1
.LBB380_2550:
	s_and_not1_b32 vcc_lo, exec_lo, s1
	s_mov_b32 s1, 0
	s_cbranch_vccnz .LBB380_2561
; %bb.2551:
	s_cmp_gt_i32 s12, 14
	s_cbranch_scc0 .LBB380_2554
; %bb.2552:
	s_cmp_eq_u32 s12, 15
	s_cbranch_scc0 .LBB380_2557
; %bb.2553:
	global_load_u16 v1, v[24:25], off
	s_mov_b32 s0, 0
	s_mov_b32 s6, -1
	s_wait_loadcnt 0x0
	v_lshlrev_b32_e32 v1, 16, v1
	s_delay_alu instid0(VALU_DEP_1)
	v_cvt_i32_f32_e32 v10, v1
	s_branch .LBB380_2559
.LBB380_2554:
	s_mov_b32 s1, -1
	s_branch .LBB380_2558
.LBB380_2555:
	s_and_not1_saveexec_b32 s1, s1
	s_cbranch_execz .LBB380_2536
.LBB380_2556:
	v_cmp_ne_u16_e32 vcc_lo, 0, v1
	s_and_not1_b32 s6, s6, exec_lo
	s_and_b32 s7, vcc_lo, exec_lo
	s_delay_alu instid0(SALU_CYCLE_1)
	s_or_b32 s6, s6, s7
	s_or_b32 exec_lo, exec_lo, s1
	v_mov_b32_e32 v10, 0
	s_and_saveexec_b32 s1, s6
	s_cbranch_execnz .LBB380_2537
	s_branch .LBB380_2538
.LBB380_2557:
	s_mov_b32 s0, -1
.LBB380_2558:
                                        ; implicit-def: $vgpr10
.LBB380_2559:
	s_and_b32 vcc_lo, exec_lo, s1
	s_mov_b32 s1, 0
	s_cbranch_vccz .LBB380_2561
; %bb.2560:
	s_cmp_lg_u32 s12, 11
	s_mov_b32 s1, -1
	s_cselect_b32 s0, -1, 0
.LBB380_2561:
	s_delay_alu instid0(SALU_CYCLE_1)
	s_and_b32 vcc_lo, exec_lo, s0
	s_cbranch_vccnz .LBB380_3093
; %bb.2562:
	s_and_not1_b32 vcc_lo, exec_lo, s1
	s_cbranch_vccnz .LBB380_2564
.LBB380_2563:
	global_load_u8 v1, v[24:25], off
	s_mov_b32 s6, -1
	s_wait_loadcnt 0x0
	v_cmp_ne_u16_e32 vcc_lo, 0, v1
	v_cndmask_b32_e64 v10, 0, 1, vcc_lo
.LBB380_2564:
	s_mov_b32 s0, 0
.LBB380_2565:
	s_delay_alu instid0(SALU_CYCLE_1)
	s_and_b32 vcc_lo, exec_lo, s0
	s_cbranch_vccz .LBB380_2614
; %bb.2566:
	s_cmp_lt_i32 s12, 5
	s_cbranch_scc1 .LBB380_2571
; %bb.2567:
	s_cmp_lt_i32 s12, 8
	s_cbranch_scc1 .LBB380_2572
	;; [unrolled: 3-line block ×3, first 2 shown]
; %bb.2569:
	s_cmp_gt_i32 s12, 9
	s_cbranch_scc0 .LBB380_2574
; %bb.2570:
	s_wait_loadcnt 0x0
	global_load_b64 v[10:11], v[24:25], off
	s_mov_b32 s0, 0
	s_wait_loadcnt 0x0
	v_cvt_i32_f64_e32 v10, v[10:11]
	s_branch .LBB380_2575
.LBB380_2571:
	s_mov_b32 s0, -1
                                        ; implicit-def: $vgpr10
	s_branch .LBB380_2593
.LBB380_2572:
	s_mov_b32 s0, -1
                                        ; implicit-def: $vgpr10
	s_branch .LBB380_2581
.LBB380_2573:
	s_mov_b32 s0, -1
                                        ; implicit-def: $vgpr10
	s_branch .LBB380_2578
.LBB380_2574:
	s_mov_b32 s0, -1
                                        ; implicit-def: $vgpr10
.LBB380_2575:
	s_delay_alu instid0(SALU_CYCLE_1)
	s_and_not1_b32 vcc_lo, exec_lo, s0
	s_cbranch_vccnz .LBB380_2577
; %bb.2576:
	global_load_b32 v1, v[24:25], off
	s_wait_loadcnt 0x0
	v_cvt_i32_f32_e32 v10, v1
.LBB380_2577:
	s_mov_b32 s0, 0
.LBB380_2578:
	s_delay_alu instid0(SALU_CYCLE_1)
	s_and_not1_b32 vcc_lo, exec_lo, s0
	s_cbranch_vccnz .LBB380_2580
; %bb.2579:
	global_load_b32 v1, v[24:25], off
	s_wait_loadcnt 0x0
	v_cvt_i16_f16_e32 v10, v1
.LBB380_2580:
	s_mov_b32 s0, 0
.LBB380_2581:
	s_delay_alu instid0(SALU_CYCLE_1)
	s_and_not1_b32 vcc_lo, exec_lo, s0
	s_cbranch_vccnz .LBB380_2592
; %bb.2582:
	s_cmp_lt_i32 s12, 6
	s_cbranch_scc1 .LBB380_2585
; %bb.2583:
	s_cmp_gt_i32 s12, 6
	s_cbranch_scc0 .LBB380_2586
; %bb.2584:
	s_wait_loadcnt 0x0
	global_load_b64 v[10:11], v[24:25], off
	s_mov_b32 s0, 0
	s_wait_loadcnt 0x0
	v_cvt_i32_f64_e32 v10, v[10:11]
	s_branch .LBB380_2587
.LBB380_2585:
	s_mov_b32 s0, -1
                                        ; implicit-def: $vgpr10
	s_branch .LBB380_2590
.LBB380_2586:
	s_mov_b32 s0, -1
                                        ; implicit-def: $vgpr10
.LBB380_2587:
	s_delay_alu instid0(SALU_CYCLE_1)
	s_and_not1_b32 vcc_lo, exec_lo, s0
	s_cbranch_vccnz .LBB380_2589
; %bb.2588:
	global_load_b32 v1, v[24:25], off
	s_wait_loadcnt 0x0
	v_cvt_i32_f32_e32 v10, v1
.LBB380_2589:
	s_mov_b32 s0, 0
.LBB380_2590:
	s_delay_alu instid0(SALU_CYCLE_1)
	s_and_not1_b32 vcc_lo, exec_lo, s0
	s_cbranch_vccnz .LBB380_2592
; %bb.2591:
	global_load_u16 v1, v[24:25], off
	s_wait_loadcnt 0x0
	v_cvt_i16_f16_e32 v10, v1
.LBB380_2592:
	s_mov_b32 s0, 0
.LBB380_2593:
	s_delay_alu instid0(SALU_CYCLE_1)
	s_and_not1_b32 vcc_lo, exec_lo, s0
	s_cbranch_vccnz .LBB380_2613
; %bb.2594:
	s_cmp_lt_i32 s12, 2
	s_cbranch_scc1 .LBB380_2598
; %bb.2595:
	s_cmp_lt_i32 s12, 3
	s_cbranch_scc1 .LBB380_2599
; %bb.2596:
	s_cmp_gt_i32 s12, 3
	s_cbranch_scc0 .LBB380_2600
; %bb.2597:
	s_wait_loadcnt 0x0
	global_load_b64 v[10:11], v[24:25], off
	s_mov_b32 s0, 0
	s_branch .LBB380_2601
.LBB380_2598:
	s_mov_b32 s0, -1
                                        ; implicit-def: $vgpr10
	s_branch .LBB380_2607
.LBB380_2599:
	s_mov_b32 s0, -1
                                        ; implicit-def: $vgpr10
	s_branch .LBB380_2604
.LBB380_2600:
	s_mov_b32 s0, -1
                                        ; implicit-def: $vgpr10
.LBB380_2601:
	s_delay_alu instid0(SALU_CYCLE_1)
	s_and_not1_b32 vcc_lo, exec_lo, s0
	s_cbranch_vccnz .LBB380_2603
; %bb.2602:
	s_wait_loadcnt 0x0
	global_load_b32 v10, v[24:25], off
.LBB380_2603:
	s_mov_b32 s0, 0
.LBB380_2604:
	s_delay_alu instid0(SALU_CYCLE_1)
	s_and_not1_b32 vcc_lo, exec_lo, s0
	s_cbranch_vccnz .LBB380_2606
; %bb.2605:
	s_wait_loadcnt 0x0
	global_load_u16 v10, v[24:25], off
.LBB380_2606:
	s_mov_b32 s0, 0
.LBB380_2607:
	s_delay_alu instid0(SALU_CYCLE_1)
	s_and_not1_b32 vcc_lo, exec_lo, s0
	s_cbranch_vccnz .LBB380_2613
; %bb.2608:
	s_cmp_gt_i32 s12, 0
	s_mov_b32 s0, 0
	s_cbranch_scc0 .LBB380_2610
; %bb.2609:
	s_wait_loadcnt 0x0
	global_load_u8 v10, v[24:25], off
	s_branch .LBB380_2611
.LBB380_2610:
	s_mov_b32 s0, -1
                                        ; implicit-def: $vgpr10
.LBB380_2611:
	s_delay_alu instid0(SALU_CYCLE_1)
	s_and_not1_b32 vcc_lo, exec_lo, s0
	s_cbranch_vccnz .LBB380_2613
; %bb.2612:
	s_wait_loadcnt 0x0
	global_load_u8 v10, v[24:25], off
.LBB380_2613:
	s_mov_b32 s6, -1
.LBB380_2614:
	s_delay_alu instid0(SALU_CYCLE_1)
	s_and_not1_b32 vcc_lo, exec_lo, s6
	s_cbranch_vccnz .LBB380_3047
; %bb.2615:
	s_load_b64 s[0:1], s[2:3], 0x1a0
	s_wait_loadcnt 0x0
	v_and_b32_e32 v1, 0xff, v14
	v_and_b32_e32 v3, 0xff, v8
	v_mov_b32_e32 v7, 0
	s_mov_b32 s11, 0
	s_delay_alu instid0(VALU_DEP_2) | instskip(NEXT) | instid1(VALU_DEP_2)
	v_cmp_ne_u16_e32 vcc_lo, v3, v1
	v_add_nc_u64_e32 v[6:7], s[4:5], v[6:7]
	s_wait_kmcnt 0x0
	s_cmp_eq_u32 s0, 0
	s_mov_b32 s0, -1
	s_cselect_b32 s2, -1, 0
	s_and_b32 s1, s1, 0xff
	s_xor_b32 s3, s2, vcc_lo
	s_cmp_lt_i32 s1, 11
	s_cbranch_scc1 .LBB380_2694
; %bb.2616:
	s_and_b32 s6, 0xffff, s1
	s_mov_b32 s12, -1
	s_mov_b32 s7, 0
	s_cmp_gt_i32 s6, 25
	s_mov_b32 s0, 0
	s_cbranch_scc0 .LBB380_2649
; %bb.2617:
	s_cmp_gt_i32 s6, 28
	s_cbranch_scc0 .LBB380_2632
; %bb.2618:
	s_cmp_gt_i32 s6, 43
	;; [unrolled: 3-line block ×3, first 2 shown]
	s_cbranch_scc0 .LBB380_2622
; %bb.2620:
	s_mov_b32 s0, -1
	s_mov_b32 s12, 0
	s_cmp_eq_u32 s6, 46
	s_cbranch_scc0 .LBB380_2622
; %bb.2621:
	v_cndmask_b32_e64 v1, 0, 1.0, s3
	s_mov_b32 s0, 0
	s_mov_b32 s11, -1
	s_delay_alu instid0(VALU_DEP_1) | instskip(NEXT) | instid1(VALU_DEP_1)
	v_bfe_u32 v3, v1, 16, 1
	v_add3_u32 v1, v1, v3, 0x7fff
	s_delay_alu instid0(VALU_DEP_1)
	v_lshrrev_b32_e32 v1, 16, v1
	global_store_b32 v[6:7], v1, off
.LBB380_2622:
	s_and_b32 vcc_lo, exec_lo, s12
	s_cbranch_vccz .LBB380_2627
; %bb.2623:
	s_cmp_eq_u32 s6, 44
	s_mov_b32 s0, -1
	s_cbranch_scc0 .LBB380_2627
; %bb.2624:
	v_cndmask_b32_e64 v5, 0, 1.0, s3
	v_mov_b32_e32 v3, 0xff
	s_mov_b32 s11, exec_lo
	s_wait_xcnt 0x0
	s_delay_alu instid0(VALU_DEP_2) | instskip(NEXT) | instid1(VALU_DEP_1)
	v_lshrrev_b32_e32 v1, 23, v5
	v_cmpx_ne_u32_e32 0xff, v1
; %bb.2625:
	v_and_b32_e32 v3, 0x400000, v5
	v_and_or_b32 v5, 0x3fffff, v5, v1
	s_delay_alu instid0(VALU_DEP_2) | instskip(NEXT) | instid1(VALU_DEP_2)
	v_cmp_ne_u32_e32 vcc_lo, 0, v3
	v_cmp_ne_u32_e64 s0, 0, v5
	s_and_b32 s0, vcc_lo, s0
	s_delay_alu instid0(SALU_CYCLE_1) | instskip(NEXT) | instid1(VALU_DEP_1)
	v_cndmask_b32_e64 v3, 0, 1, s0
	v_add_nc_u32_e32 v3, v1, v3
; %bb.2626:
	s_or_b32 exec_lo, exec_lo, s11
	s_mov_b32 s0, 0
	s_mov_b32 s11, -1
	global_store_b8 v[6:7], v3, off
.LBB380_2627:
	s_mov_b32 s12, 0
.LBB380_2628:
	s_delay_alu instid0(SALU_CYCLE_1)
	s_and_b32 vcc_lo, exec_lo, s12
	s_cbranch_vccz .LBB380_2631
; %bb.2629:
	s_cmp_eq_u32 s6, 29
	s_mov_b32 s0, -1
	s_cbranch_scc0 .LBB380_2631
; %bb.2630:
	s_mov_b32 s0, 0
	v_cndmask_b32_e64 v8, 0, 1, s3
	v_mov_b32_e32 v9, s0
	s_mov_b32 s11, -1
	global_store_b64 v[6:7], v[8:9], off
.LBB380_2631:
	s_mov_b32 s12, 0
.LBB380_2632:
	s_delay_alu instid0(SALU_CYCLE_1)
	s_and_b32 vcc_lo, exec_lo, s12
	s_cbranch_vccz .LBB380_2648
; %bb.2633:
	s_cmp_lt_i32 s6, 27
	s_mov_b32 s11, -1
	s_cbranch_scc1 .LBB380_2639
; %bb.2634:
	s_cmp_gt_i32 s6, 27
	s_cbranch_scc0 .LBB380_2636
; %bb.2635:
	s_wait_xcnt 0x0
	v_cndmask_b32_e64 v1, 0, 1, s3
	s_mov_b32 s11, 0
	global_store_b32 v[6:7], v1, off
.LBB380_2636:
	s_and_not1_b32 vcc_lo, exec_lo, s11
	s_cbranch_vccnz .LBB380_2638
; %bb.2637:
	s_wait_xcnt 0x0
	v_cndmask_b32_e64 v1, 0, 1, s3
	global_store_b16 v[6:7], v1, off
.LBB380_2638:
	s_mov_b32 s11, 0
.LBB380_2639:
	s_delay_alu instid0(SALU_CYCLE_1)
	s_and_not1_b32 vcc_lo, exec_lo, s11
	s_cbranch_vccnz .LBB380_2647
; %bb.2640:
	s_wait_xcnt 0x0
	v_cndmask_b32_e64 v3, 0, 1.0, s3
	v_mov_b32_e32 v5, 0x80
	s_mov_b32 s11, exec_lo
	s_delay_alu instid0(VALU_DEP_2)
	v_cmpx_gt_u32_e32 0x43800000, v3
	s_cbranch_execz .LBB380_2646
; %bb.2641:
	s_mov_b32 s12, 0
	s_mov_b32 s13, exec_lo
                                        ; implicit-def: $vgpr1
	v_cmpx_lt_u32_e32 0x3bffffff, v3
	s_xor_b32 s13, exec_lo, s13
	s_cbranch_execz .LBB380_3094
; %bb.2642:
	v_bfe_u32 v1, v3, 20, 1
	s_mov_b32 s12, exec_lo
	s_delay_alu instid0(VALU_DEP_1) | instskip(NEXT) | instid1(VALU_DEP_1)
	v_add3_u32 v1, v3, v1, 0x487ffff
                                        ; implicit-def: $vgpr3
	v_lshrrev_b32_e32 v1, 20, v1
	s_and_not1_saveexec_b32 s13, s13
	s_cbranch_execnz .LBB380_3095
.LBB380_2643:
	s_or_b32 exec_lo, exec_lo, s13
	v_mov_b32_e32 v5, 0
	s_and_saveexec_b32 s13, s12
.LBB380_2644:
	v_mov_b32_e32 v5, v1
.LBB380_2645:
	s_or_b32 exec_lo, exec_lo, s13
.LBB380_2646:
	s_delay_alu instid0(SALU_CYCLE_1)
	s_or_b32 exec_lo, exec_lo, s11
	global_store_b8 v[6:7], v5, off
.LBB380_2647:
	s_mov_b32 s11, -1
.LBB380_2648:
	s_mov_b32 s12, 0
.LBB380_2649:
	s_delay_alu instid0(SALU_CYCLE_1)
	s_and_b32 vcc_lo, exec_lo, s12
	s_cbranch_vccz .LBB380_2689
; %bb.2650:
	s_cmp_gt_i32 s6, 22
	s_mov_b32 s7, -1
	s_cbranch_scc0 .LBB380_2682
; %bb.2651:
	s_cmp_lt_i32 s6, 24
	s_cbranch_scc1 .LBB380_2671
; %bb.2652:
	s_cmp_gt_i32 s6, 24
	s_cbranch_scc0 .LBB380_2660
; %bb.2653:
	s_wait_xcnt 0x0
	v_cndmask_b32_e64 v3, 0, 1.0, s3
	v_mov_b32_e32 v5, 0x80
	s_mov_b32 s7, exec_lo
	s_delay_alu instid0(VALU_DEP_2)
	v_cmpx_gt_u32_e32 0x47800000, v3
	s_cbranch_execz .LBB380_2659
; %bb.2654:
	s_mov_b32 s11, 0
	s_mov_b32 s12, exec_lo
                                        ; implicit-def: $vgpr1
	v_cmpx_lt_u32_e32 0x37ffffff, v3
	s_xor_b32 s12, exec_lo, s12
	s_cbranch_execz .LBB380_3097
; %bb.2655:
	v_bfe_u32 v1, v3, 21, 1
	s_mov_b32 s11, exec_lo
	s_delay_alu instid0(VALU_DEP_1) | instskip(NEXT) | instid1(VALU_DEP_1)
	v_add3_u32 v1, v3, v1, 0x88fffff
                                        ; implicit-def: $vgpr3
	v_lshrrev_b32_e32 v1, 21, v1
	s_and_not1_saveexec_b32 s12, s12
	s_cbranch_execnz .LBB380_3098
.LBB380_2656:
	s_or_b32 exec_lo, exec_lo, s12
	v_mov_b32_e32 v5, 0
	s_and_saveexec_b32 s12, s11
.LBB380_2657:
	v_mov_b32_e32 v5, v1
.LBB380_2658:
	s_or_b32 exec_lo, exec_lo, s12
.LBB380_2659:
	s_delay_alu instid0(SALU_CYCLE_1)
	s_or_b32 exec_lo, exec_lo, s7
	s_mov_b32 s7, 0
	global_store_b8 v[6:7], v5, off
.LBB380_2660:
	s_and_b32 vcc_lo, exec_lo, s7
	s_cbranch_vccz .LBB380_2670
; %bb.2661:
	s_wait_xcnt 0x0
	v_cndmask_b32_e64 v3, 0, 1.0, s3
	s_mov_b32 s7, exec_lo
                                        ; implicit-def: $vgpr1
	s_delay_alu instid0(VALU_DEP_1)
	v_cmpx_gt_u32_e32 0x43f00000, v3
	s_xor_b32 s7, exec_lo, s7
	s_cbranch_execz .LBB380_2667
; %bb.2662:
	s_mov_b32 s11, exec_lo
                                        ; implicit-def: $vgpr1
	v_cmpx_lt_u32_e32 0x3c7fffff, v3
	s_xor_b32 s11, exec_lo, s11
; %bb.2663:
	v_bfe_u32 v1, v3, 20, 1
	s_delay_alu instid0(VALU_DEP_1) | instskip(NEXT) | instid1(VALU_DEP_1)
	v_add3_u32 v1, v3, v1, 0x407ffff
	v_and_b32_e32 v3, 0xff00000, v1
	v_lshrrev_b32_e32 v1, 20, v1
	s_delay_alu instid0(VALU_DEP_2) | instskip(NEXT) | instid1(VALU_DEP_2)
	v_cmp_ne_u32_e32 vcc_lo, 0x7f00000, v3
                                        ; implicit-def: $vgpr3
	v_cndmask_b32_e32 v1, 0x7e, v1, vcc_lo
; %bb.2664:
	s_and_not1_saveexec_b32 s11, s11
; %bb.2665:
	v_add_f32_e32 v1, 0x46800000, v3
; %bb.2666:
	s_or_b32 exec_lo, exec_lo, s11
                                        ; implicit-def: $vgpr3
.LBB380_2667:
	s_and_not1_saveexec_b32 s7, s7
; %bb.2668:
	v_mov_b32_e32 v1, 0x7f
	v_cmp_lt_u32_e32 vcc_lo, 0x7f800000, v3
	s_delay_alu instid0(VALU_DEP_2)
	v_cndmask_b32_e32 v1, 0x7e, v1, vcc_lo
; %bb.2669:
	s_or_b32 exec_lo, exec_lo, s7
	global_store_b8 v[6:7], v1, off
.LBB380_2670:
	s_mov_b32 s7, 0
.LBB380_2671:
	s_delay_alu instid0(SALU_CYCLE_1)
	s_and_not1_b32 vcc_lo, exec_lo, s7
	s_cbranch_vccnz .LBB380_2681
; %bb.2672:
	s_wait_xcnt 0x0
	v_cndmask_b32_e64 v3, 0, 1.0, s3
	s_mov_b32 s7, exec_lo
                                        ; implicit-def: $vgpr1
	s_delay_alu instid0(VALU_DEP_1)
	v_cmpx_gt_u32_e32 0x47800000, v3
	s_xor_b32 s7, exec_lo, s7
	s_cbranch_execz .LBB380_2678
; %bb.2673:
	s_mov_b32 s11, exec_lo
                                        ; implicit-def: $vgpr1
	v_cmpx_lt_u32_e32 0x387fffff, v3
	s_xor_b32 s11, exec_lo, s11
; %bb.2674:
	v_bfe_u32 v1, v3, 21, 1
	s_delay_alu instid0(VALU_DEP_1) | instskip(NEXT) | instid1(VALU_DEP_1)
	v_add3_u32 v1, v3, v1, 0x80fffff
                                        ; implicit-def: $vgpr3
	v_lshrrev_b32_e32 v1, 21, v1
; %bb.2675:
	s_and_not1_saveexec_b32 s11, s11
; %bb.2676:
	v_add_f32_e32 v1, 0x43000000, v3
; %bb.2677:
	s_or_b32 exec_lo, exec_lo, s11
                                        ; implicit-def: $vgpr3
.LBB380_2678:
	s_and_not1_saveexec_b32 s7, s7
; %bb.2679:
	v_mov_b32_e32 v1, 0x7f
	v_cmp_lt_u32_e32 vcc_lo, 0x7f800000, v3
	s_delay_alu instid0(VALU_DEP_2)
	v_cndmask_b32_e32 v1, 0x7c, v1, vcc_lo
; %bb.2680:
	s_or_b32 exec_lo, exec_lo, s7
	global_store_b8 v[6:7], v1, off
.LBB380_2681:
	s_mov_b32 s7, 0
	s_mov_b32 s11, -1
.LBB380_2682:
	s_and_not1_b32 vcc_lo, exec_lo, s7
	s_mov_b32 s7, 0
	s_cbranch_vccnz .LBB380_2689
; %bb.2683:
	s_cmp_gt_i32 s6, 14
	s_mov_b32 s7, -1
	s_cbranch_scc0 .LBB380_2687
; %bb.2684:
	s_cmp_eq_u32 s6, 15
	s_mov_b32 s0, -1
	s_cbranch_scc0 .LBB380_2686
; %bb.2685:
	s_wait_xcnt 0x0
	v_cndmask_b32_e64 v1, 0, 1.0, s3
	s_mov_b32 s0, 0
	s_mov_b32 s11, -1
	s_delay_alu instid0(VALU_DEP_1) | instskip(NEXT) | instid1(VALU_DEP_1)
	v_bfe_u32 v3, v1, 16, 1
	v_add3_u32 v1, v1, v3, 0x7fff
	global_store_d16_hi_b16 v[6:7], v1, off
.LBB380_2686:
	s_mov_b32 s7, 0
.LBB380_2687:
	s_delay_alu instid0(SALU_CYCLE_1)
	s_and_b32 vcc_lo, exec_lo, s7
	s_mov_b32 s7, 0
	s_cbranch_vccz .LBB380_2689
; %bb.2688:
	s_cmp_lg_u32 s6, 11
	s_mov_b32 s7, -1
	s_cselect_b32 s0, -1, 0
.LBB380_2689:
	s_delay_alu instid0(SALU_CYCLE_1)
	s_and_b32 vcc_lo, exec_lo, s0
	s_cbranch_vccnz .LBB380_3096
; %bb.2690:
	s_and_not1_b32 vcc_lo, exec_lo, s7
	s_cbranch_vccnz .LBB380_2692
.LBB380_2691:
	s_wait_xcnt 0x0
	v_cndmask_b32_e64 v1, 0, 1, s3
	s_mov_b32 s11, -1
	global_store_b8 v[6:7], v1, off
.LBB380_2692:
.LBB380_2693:
	s_and_not1_b32 vcc_lo, exec_lo, s11
	s_cbranch_vccnz .LBB380_3047
	s_branch .LBB380_2733
.LBB380_2694:
	s_and_b32 vcc_lo, exec_lo, s0
	s_cbranch_vccz .LBB380_2693
; %bb.2695:
	s_and_b32 s0, 0xffff, s1
	s_mov_b32 s6, -1
	s_cmp_lt_i32 s0, 5
	s_cbranch_scc1 .LBB380_2716
; %bb.2696:
	s_cmp_lt_i32 s0, 8
	s_cbranch_scc1 .LBB380_2706
; %bb.2697:
	;; [unrolled: 3-line block ×3, first 2 shown]
	s_cmp_gt_i32 s0, 9
	s_cbranch_scc0 .LBB380_2700
; %bb.2699:
	s_wait_xcnt 0x0
	v_cndmask_b32_e64 v1, 0, 1, s3
	v_mov_b32_e32 v26, 0
	s_mov_b32 s6, 0
	s_delay_alu instid0(VALU_DEP_2) | instskip(NEXT) | instid1(VALU_DEP_2)
	v_cvt_f64_u32_e32 v[24:25], v1
	v_mov_b32_e32 v27, v26
	global_store_b128 v[6:7], v[24:27], off
.LBB380_2700:
	s_and_not1_b32 vcc_lo, exec_lo, s6
	s_cbranch_vccnz .LBB380_2702
; %bb.2701:
	s_wait_xcnt 0x0
	v_cndmask_b32_e64 v8, 0, 1.0, s3
	v_mov_b32_e32 v9, 0
	global_store_b64 v[6:7], v[8:9], off
.LBB380_2702:
	s_mov_b32 s6, 0
.LBB380_2703:
	s_delay_alu instid0(SALU_CYCLE_1)
	s_and_not1_b32 vcc_lo, exec_lo, s6
	s_cbranch_vccnz .LBB380_2705
; %bb.2704:
	s_wait_xcnt 0x0
	v_cndmask_b32_e64 v1, 0, 1.0, s3
	s_delay_alu instid0(VALU_DEP_1) | instskip(NEXT) | instid1(VALU_DEP_1)
	v_cvt_f16_f32_e32 v1, v1
	v_and_b32_e32 v1, 0xffff, v1
	global_store_b32 v[6:7], v1, off
.LBB380_2705:
	s_mov_b32 s6, 0
.LBB380_2706:
	s_delay_alu instid0(SALU_CYCLE_1)
	s_and_not1_b32 vcc_lo, exec_lo, s6
	s_cbranch_vccnz .LBB380_2715
; %bb.2707:
	s_cmp_lt_i32 s0, 6
	s_mov_b32 s6, -1
	s_cbranch_scc1 .LBB380_2713
; %bb.2708:
	s_cmp_gt_i32 s0, 6
	s_cbranch_scc0 .LBB380_2710
; %bb.2709:
	s_wait_xcnt 0x0
	v_cndmask_b32_e64 v1, 0, 1, s3
	s_mov_b32 s6, 0
	s_delay_alu instid0(VALU_DEP_1)
	v_cvt_f64_u32_e32 v[8:9], v1
	global_store_b64 v[6:7], v[8:9], off
.LBB380_2710:
	s_and_not1_b32 vcc_lo, exec_lo, s6
	s_cbranch_vccnz .LBB380_2712
; %bb.2711:
	s_wait_xcnt 0x0
	v_cndmask_b32_e64 v1, 0, 1.0, s3
	global_store_b32 v[6:7], v1, off
.LBB380_2712:
	s_mov_b32 s6, 0
.LBB380_2713:
	s_delay_alu instid0(SALU_CYCLE_1)
	s_and_not1_b32 vcc_lo, exec_lo, s6
	s_cbranch_vccnz .LBB380_2715
; %bb.2714:
	s_wait_xcnt 0x0
	v_cndmask_b32_e64 v1, 0, 1.0, s3
	s_delay_alu instid0(VALU_DEP_1)
	v_cvt_f16_f32_e32 v1, v1
	global_store_b16 v[6:7], v1, off
.LBB380_2715:
	s_mov_b32 s6, 0
.LBB380_2716:
	s_delay_alu instid0(SALU_CYCLE_1)
	s_and_not1_b32 vcc_lo, exec_lo, s6
	s_cbranch_vccnz .LBB380_2732
; %bb.2717:
	s_cmp_lt_i32 s0, 2
	s_mov_b32 s6, -1
	s_cbranch_scc1 .LBB380_2727
; %bb.2718:
	s_cmp_lt_i32 s0, 3
	s_cbranch_scc1 .LBB380_2724
; %bb.2719:
	s_cmp_gt_i32 s0, 3
	s_cbranch_scc0 .LBB380_2721
; %bb.2720:
	s_mov_b32 s6, 0
	s_wait_xcnt 0x0
	v_cndmask_b32_e64 v8, 0, 1, s3
	v_mov_b32_e32 v9, s6
	global_store_b64 v[6:7], v[8:9], off
.LBB380_2721:
	s_and_not1_b32 vcc_lo, exec_lo, s6
	s_cbranch_vccnz .LBB380_2723
; %bb.2722:
	s_wait_xcnt 0x0
	v_cndmask_b32_e64 v1, 0, 1, s3
	global_store_b32 v[6:7], v1, off
.LBB380_2723:
	s_mov_b32 s6, 0
.LBB380_2724:
	s_delay_alu instid0(SALU_CYCLE_1)
	s_and_not1_b32 vcc_lo, exec_lo, s6
	s_cbranch_vccnz .LBB380_2726
; %bb.2725:
	s_wait_xcnt 0x0
	v_cndmask_b32_e64 v1, 0, 1, s3
	global_store_b16 v[6:7], v1, off
.LBB380_2726:
	s_mov_b32 s6, 0
.LBB380_2727:
	s_delay_alu instid0(SALU_CYCLE_1)
	s_and_not1_b32 vcc_lo, exec_lo, s6
	s_cbranch_vccnz .LBB380_2732
; %bb.2728:
	s_wait_xcnt 0x0
	v_cndmask_b32_e64 v1, 0, 1, s3
	s_cmp_gt_i32 s0, 0
	s_mov_b32 s0, -1
	s_cbranch_scc0 .LBB380_2730
; %bb.2729:
	s_mov_b32 s0, 0
	global_store_b8 v[6:7], v1, off
.LBB380_2730:
	s_and_not1_b32 vcc_lo, exec_lo, s0
	s_cbranch_vccnz .LBB380_2732
; %bb.2731:
	global_store_b8 v[6:7], v1, off
.LBB380_2732:
.LBB380_2733:
	s_wait_xcnt 0x0
	v_and_b32_e32 v1, 0xff, v20
	v_and_b32_e32 v3, 0xff, v12
	v_mov_b32_e32 v5, 0
	s_and_b32 s3, 0xffff, s1
	s_delay_alu instid0(VALU_DEP_2) | instskip(NEXT) | instid1(VALU_DEP_2)
	v_cmp_ne_u16_e32 vcc_lo, v3, v1
	v_add_nc_u64_e32 v[4:5], s[4:5], v[4:5]
	s_xor_b32 s6, s2, vcc_lo
	s_cmp_lt_i32 s3, 11
	s_cbranch_scc1 .LBB380_2811
; %bb.2734:
	s_mov_b32 s12, -1
	s_mov_b32 s7, 0
	s_cmp_gt_i32 s3, 25
	s_mov_b32 s11, 0
	s_mov_b32 s0, 0
	s_cbranch_scc0 .LBB380_2767
; %bb.2735:
	s_cmp_gt_i32 s3, 28
	s_cbranch_scc0 .LBB380_2750
; %bb.2736:
	s_cmp_gt_i32 s3, 43
	s_cbranch_scc0 .LBB380_2746
; %bb.2737:
	s_cmp_gt_i32 s3, 45
	s_cbranch_scc0 .LBB380_2740
; %bb.2738:
	s_mov_b32 s0, -1
	s_mov_b32 s12, 0
	s_cmp_eq_u32 s3, 46
	s_cbranch_scc0 .LBB380_2740
; %bb.2739:
	v_cndmask_b32_e64 v1, 0, 1.0, s6
	s_mov_b32 s0, 0
	s_mov_b32 s11, -1
	s_delay_alu instid0(VALU_DEP_1) | instskip(NEXT) | instid1(VALU_DEP_1)
	v_bfe_u32 v3, v1, 16, 1
	v_add3_u32 v1, v1, v3, 0x7fff
	s_delay_alu instid0(VALU_DEP_1)
	v_lshrrev_b32_e32 v1, 16, v1
	global_store_b32 v[4:5], v1, off
.LBB380_2740:
	s_and_b32 vcc_lo, exec_lo, s12
	s_cbranch_vccz .LBB380_2745
; %bb.2741:
	s_cmp_eq_u32 s3, 44
	s_mov_b32 s0, -1
	s_cbranch_scc0 .LBB380_2745
; %bb.2742:
	v_cndmask_b32_e64 v6, 0, 1.0, s6
	v_mov_b32_e32 v3, 0xff
	s_mov_b32 s11, exec_lo
	s_wait_xcnt 0x0
	s_delay_alu instid0(VALU_DEP_2) | instskip(NEXT) | instid1(VALU_DEP_1)
	v_lshrrev_b32_e32 v1, 23, v6
	v_cmpx_ne_u32_e32 0xff, v1
; %bb.2743:
	v_and_b32_e32 v3, 0x400000, v6
	v_and_or_b32 v6, 0x3fffff, v6, v1
	s_delay_alu instid0(VALU_DEP_2) | instskip(NEXT) | instid1(VALU_DEP_2)
	v_cmp_ne_u32_e32 vcc_lo, 0, v3
	v_cmp_ne_u32_e64 s0, 0, v6
	s_and_b32 s0, vcc_lo, s0
	s_delay_alu instid0(SALU_CYCLE_1) | instskip(NEXT) | instid1(VALU_DEP_1)
	v_cndmask_b32_e64 v3, 0, 1, s0
	v_add_nc_u32_e32 v3, v1, v3
; %bb.2744:
	s_or_b32 exec_lo, exec_lo, s11
	s_mov_b32 s0, 0
	s_mov_b32 s11, -1
	global_store_b8 v[4:5], v3, off
.LBB380_2745:
	s_mov_b32 s12, 0
.LBB380_2746:
	s_delay_alu instid0(SALU_CYCLE_1)
	s_and_b32 vcc_lo, exec_lo, s12
	s_cbranch_vccz .LBB380_2749
; %bb.2747:
	s_cmp_eq_u32 s3, 29
	s_mov_b32 s0, -1
	s_cbranch_scc0 .LBB380_2749
; %bb.2748:
	s_mov_b32 s0, 0
	v_cndmask_b32_e64 v6, 0, 1, s6
	v_mov_b32_e32 v7, s0
	s_mov_b32 s11, -1
	global_store_b64 v[4:5], v[6:7], off
.LBB380_2749:
	s_mov_b32 s12, 0
.LBB380_2750:
	s_delay_alu instid0(SALU_CYCLE_1)
	s_and_b32 vcc_lo, exec_lo, s12
	s_cbranch_vccz .LBB380_2766
; %bb.2751:
	s_cmp_lt_i32 s3, 27
	s_mov_b32 s11, -1
	s_cbranch_scc1 .LBB380_2757
; %bb.2752:
	s_cmp_gt_i32 s3, 27
	s_cbranch_scc0 .LBB380_2754
; %bb.2753:
	s_wait_xcnt 0x0
	v_cndmask_b32_e64 v1, 0, 1, s6
	s_mov_b32 s11, 0
	global_store_b32 v[4:5], v1, off
.LBB380_2754:
	s_and_not1_b32 vcc_lo, exec_lo, s11
	s_cbranch_vccnz .LBB380_2756
; %bb.2755:
	s_wait_xcnt 0x0
	v_cndmask_b32_e64 v1, 0, 1, s6
	global_store_b16 v[4:5], v1, off
.LBB380_2756:
	s_mov_b32 s11, 0
.LBB380_2757:
	s_delay_alu instid0(SALU_CYCLE_1)
	s_and_not1_b32 vcc_lo, exec_lo, s11
	s_cbranch_vccnz .LBB380_2765
; %bb.2758:
	s_wait_xcnt 0x0
	v_cndmask_b32_e64 v3, 0, 1.0, s6
	v_mov_b32_e32 v6, 0x80
	s_mov_b32 s11, exec_lo
	s_delay_alu instid0(VALU_DEP_2)
	v_cmpx_gt_u32_e32 0x43800000, v3
	s_cbranch_execz .LBB380_2764
; %bb.2759:
	s_mov_b32 s12, 0
	s_mov_b32 s13, exec_lo
                                        ; implicit-def: $vgpr1
	v_cmpx_lt_u32_e32 0x3bffffff, v3
	s_xor_b32 s13, exec_lo, s13
	s_cbranch_execz .LBB380_3099
; %bb.2760:
	v_bfe_u32 v1, v3, 20, 1
	s_mov_b32 s12, exec_lo
	s_delay_alu instid0(VALU_DEP_1) | instskip(NEXT) | instid1(VALU_DEP_1)
	v_add3_u32 v1, v3, v1, 0x487ffff
                                        ; implicit-def: $vgpr3
	v_lshrrev_b32_e32 v1, 20, v1
	s_and_not1_saveexec_b32 s13, s13
	s_cbranch_execnz .LBB380_3100
.LBB380_2761:
	s_or_b32 exec_lo, exec_lo, s13
	v_mov_b32_e32 v6, 0
	s_and_saveexec_b32 s13, s12
.LBB380_2762:
	v_mov_b32_e32 v6, v1
.LBB380_2763:
	s_or_b32 exec_lo, exec_lo, s13
.LBB380_2764:
	s_delay_alu instid0(SALU_CYCLE_1)
	s_or_b32 exec_lo, exec_lo, s11
	global_store_b8 v[4:5], v6, off
.LBB380_2765:
	s_mov_b32 s11, -1
.LBB380_2766:
	s_mov_b32 s12, 0
.LBB380_2767:
	s_delay_alu instid0(SALU_CYCLE_1)
	s_and_b32 vcc_lo, exec_lo, s12
	s_cbranch_vccz .LBB380_2807
; %bb.2768:
	s_cmp_gt_i32 s3, 22
	s_mov_b32 s7, -1
	s_cbranch_scc0 .LBB380_2800
; %bb.2769:
	s_cmp_lt_i32 s3, 24
	s_cbranch_scc1 .LBB380_2789
; %bb.2770:
	s_cmp_gt_i32 s3, 24
	s_cbranch_scc0 .LBB380_2778
; %bb.2771:
	s_wait_xcnt 0x0
	v_cndmask_b32_e64 v3, 0, 1.0, s6
	v_mov_b32_e32 v6, 0x80
	s_mov_b32 s7, exec_lo
	s_delay_alu instid0(VALU_DEP_2)
	v_cmpx_gt_u32_e32 0x47800000, v3
	s_cbranch_execz .LBB380_2777
; %bb.2772:
	s_mov_b32 s11, 0
	s_mov_b32 s12, exec_lo
                                        ; implicit-def: $vgpr1
	v_cmpx_lt_u32_e32 0x37ffffff, v3
	s_xor_b32 s12, exec_lo, s12
	s_cbranch_execz .LBB380_3102
; %bb.2773:
	v_bfe_u32 v1, v3, 21, 1
	s_mov_b32 s11, exec_lo
	s_delay_alu instid0(VALU_DEP_1) | instskip(NEXT) | instid1(VALU_DEP_1)
	v_add3_u32 v1, v3, v1, 0x88fffff
                                        ; implicit-def: $vgpr3
	v_lshrrev_b32_e32 v1, 21, v1
	s_and_not1_saveexec_b32 s12, s12
	s_cbranch_execnz .LBB380_3103
.LBB380_2774:
	s_or_b32 exec_lo, exec_lo, s12
	v_mov_b32_e32 v6, 0
	s_and_saveexec_b32 s12, s11
.LBB380_2775:
	v_mov_b32_e32 v6, v1
.LBB380_2776:
	s_or_b32 exec_lo, exec_lo, s12
.LBB380_2777:
	s_delay_alu instid0(SALU_CYCLE_1)
	s_or_b32 exec_lo, exec_lo, s7
	s_mov_b32 s7, 0
	global_store_b8 v[4:5], v6, off
.LBB380_2778:
	s_and_b32 vcc_lo, exec_lo, s7
	s_cbranch_vccz .LBB380_2788
; %bb.2779:
	s_wait_xcnt 0x0
	v_cndmask_b32_e64 v3, 0, 1.0, s6
	s_mov_b32 s7, exec_lo
                                        ; implicit-def: $vgpr1
	s_delay_alu instid0(VALU_DEP_1)
	v_cmpx_gt_u32_e32 0x43f00000, v3
	s_xor_b32 s7, exec_lo, s7
	s_cbranch_execz .LBB380_2785
; %bb.2780:
	s_mov_b32 s11, exec_lo
                                        ; implicit-def: $vgpr1
	v_cmpx_lt_u32_e32 0x3c7fffff, v3
	s_xor_b32 s11, exec_lo, s11
; %bb.2781:
	v_bfe_u32 v1, v3, 20, 1
	s_delay_alu instid0(VALU_DEP_1) | instskip(NEXT) | instid1(VALU_DEP_1)
	v_add3_u32 v1, v3, v1, 0x407ffff
	v_and_b32_e32 v3, 0xff00000, v1
	v_lshrrev_b32_e32 v1, 20, v1
	s_delay_alu instid0(VALU_DEP_2) | instskip(NEXT) | instid1(VALU_DEP_2)
	v_cmp_ne_u32_e32 vcc_lo, 0x7f00000, v3
                                        ; implicit-def: $vgpr3
	v_cndmask_b32_e32 v1, 0x7e, v1, vcc_lo
; %bb.2782:
	s_and_not1_saveexec_b32 s11, s11
; %bb.2783:
	v_add_f32_e32 v1, 0x46800000, v3
; %bb.2784:
	s_or_b32 exec_lo, exec_lo, s11
                                        ; implicit-def: $vgpr3
.LBB380_2785:
	s_and_not1_saveexec_b32 s7, s7
; %bb.2786:
	v_mov_b32_e32 v1, 0x7f
	v_cmp_lt_u32_e32 vcc_lo, 0x7f800000, v3
	s_delay_alu instid0(VALU_DEP_2)
	v_cndmask_b32_e32 v1, 0x7e, v1, vcc_lo
; %bb.2787:
	s_or_b32 exec_lo, exec_lo, s7
	global_store_b8 v[4:5], v1, off
.LBB380_2788:
	s_mov_b32 s7, 0
.LBB380_2789:
	s_delay_alu instid0(SALU_CYCLE_1)
	s_and_not1_b32 vcc_lo, exec_lo, s7
	s_cbranch_vccnz .LBB380_2799
; %bb.2790:
	s_wait_xcnt 0x0
	v_cndmask_b32_e64 v3, 0, 1.0, s6
	s_mov_b32 s7, exec_lo
                                        ; implicit-def: $vgpr1
	s_delay_alu instid0(VALU_DEP_1)
	v_cmpx_gt_u32_e32 0x47800000, v3
	s_xor_b32 s7, exec_lo, s7
	s_cbranch_execz .LBB380_2796
; %bb.2791:
	s_mov_b32 s11, exec_lo
                                        ; implicit-def: $vgpr1
	v_cmpx_lt_u32_e32 0x387fffff, v3
	s_xor_b32 s11, exec_lo, s11
; %bb.2792:
	v_bfe_u32 v1, v3, 21, 1
	s_delay_alu instid0(VALU_DEP_1) | instskip(NEXT) | instid1(VALU_DEP_1)
	v_add3_u32 v1, v3, v1, 0x80fffff
                                        ; implicit-def: $vgpr3
	v_lshrrev_b32_e32 v1, 21, v1
; %bb.2793:
	s_and_not1_saveexec_b32 s11, s11
; %bb.2794:
	v_add_f32_e32 v1, 0x43000000, v3
; %bb.2795:
	s_or_b32 exec_lo, exec_lo, s11
                                        ; implicit-def: $vgpr3
.LBB380_2796:
	s_and_not1_saveexec_b32 s7, s7
; %bb.2797:
	v_mov_b32_e32 v1, 0x7f
	v_cmp_lt_u32_e32 vcc_lo, 0x7f800000, v3
	s_delay_alu instid0(VALU_DEP_2)
	v_cndmask_b32_e32 v1, 0x7c, v1, vcc_lo
; %bb.2798:
	s_or_b32 exec_lo, exec_lo, s7
	global_store_b8 v[4:5], v1, off
.LBB380_2799:
	s_mov_b32 s7, 0
	s_mov_b32 s11, -1
.LBB380_2800:
	s_and_not1_b32 vcc_lo, exec_lo, s7
	s_mov_b32 s7, 0
	s_cbranch_vccnz .LBB380_2807
; %bb.2801:
	s_cmp_gt_i32 s3, 14
	s_mov_b32 s7, -1
	s_cbranch_scc0 .LBB380_2805
; %bb.2802:
	s_cmp_eq_u32 s3, 15
	s_mov_b32 s0, -1
	s_cbranch_scc0 .LBB380_2804
; %bb.2803:
	s_wait_xcnt 0x0
	v_cndmask_b32_e64 v1, 0, 1.0, s6
	s_mov_b32 s0, 0
	s_mov_b32 s11, -1
	s_delay_alu instid0(VALU_DEP_1) | instskip(NEXT) | instid1(VALU_DEP_1)
	v_bfe_u32 v3, v1, 16, 1
	v_add3_u32 v1, v1, v3, 0x7fff
	global_store_d16_hi_b16 v[4:5], v1, off
.LBB380_2804:
	s_mov_b32 s7, 0
.LBB380_2805:
	s_delay_alu instid0(SALU_CYCLE_1)
	s_and_b32 vcc_lo, exec_lo, s7
	s_mov_b32 s7, 0
	s_cbranch_vccz .LBB380_2807
; %bb.2806:
	s_cmp_lg_u32 s3, 11
	s_mov_b32 s7, -1
	s_cselect_b32 s0, -1, 0
.LBB380_2807:
	s_delay_alu instid0(SALU_CYCLE_1)
	s_and_b32 vcc_lo, exec_lo, s0
	s_cbranch_vccnz .LBB380_3101
; %bb.2808:
	s_and_not1_b32 vcc_lo, exec_lo, s7
	s_cbranch_vccnz .LBB380_2810
.LBB380_2809:
	s_wait_xcnt 0x0
	v_cndmask_b32_e64 v1, 0, 1, s6
	s_mov_b32 s11, -1
	global_store_b8 v[4:5], v1, off
.LBB380_2810:
	s_mov_b32 s0, 0
	s_branch .LBB380_2812
.LBB380_2811:
	s_mov_b32 s0, -1
	s_mov_b32 s11, 0
.LBB380_2812:
	s_and_b32 vcc_lo, exec_lo, s0
	s_cbranch_vccz .LBB380_2851
; %bb.2813:
	s_cmp_lt_i32 s3, 5
	s_mov_b32 s0, -1
	s_cbranch_scc1 .LBB380_2834
; %bb.2814:
	s_cmp_lt_i32 s3, 8
	s_cbranch_scc1 .LBB380_2824
; %bb.2815:
	s_cmp_lt_i32 s3, 9
	s_cbranch_scc1 .LBB380_2821
; %bb.2816:
	s_cmp_gt_i32 s3, 9
	s_cbranch_scc0 .LBB380_2818
; %bb.2817:
	s_wait_xcnt 0x0
	v_cndmask_b32_e64 v1, 0, 1, s6
	v_mov_b32_e32 v8, 0
	s_mov_b32 s0, 0
	s_delay_alu instid0(VALU_DEP_2) | instskip(NEXT) | instid1(VALU_DEP_2)
	v_cvt_f64_u32_e32 v[6:7], v1
	v_mov_b32_e32 v9, v8
	global_store_b128 v[4:5], v[6:9], off
.LBB380_2818:
	s_and_not1_b32 vcc_lo, exec_lo, s0
	s_cbranch_vccnz .LBB380_2820
; %bb.2819:
	s_wait_xcnt 0x0
	v_cndmask_b32_e64 v6, 0, 1.0, s6
	v_mov_b32_e32 v7, 0
	global_store_b64 v[4:5], v[6:7], off
.LBB380_2820:
	s_mov_b32 s0, 0
.LBB380_2821:
	s_delay_alu instid0(SALU_CYCLE_1)
	s_and_not1_b32 vcc_lo, exec_lo, s0
	s_cbranch_vccnz .LBB380_2823
; %bb.2822:
	s_wait_xcnt 0x0
	v_cndmask_b32_e64 v1, 0, 1.0, s6
	s_delay_alu instid0(VALU_DEP_1) | instskip(NEXT) | instid1(VALU_DEP_1)
	v_cvt_f16_f32_e32 v1, v1
	v_and_b32_e32 v1, 0xffff, v1
	global_store_b32 v[4:5], v1, off
.LBB380_2823:
	s_mov_b32 s0, 0
.LBB380_2824:
	s_delay_alu instid0(SALU_CYCLE_1)
	s_and_not1_b32 vcc_lo, exec_lo, s0
	s_cbranch_vccnz .LBB380_2833
; %bb.2825:
	s_cmp_lt_i32 s3, 6
	s_mov_b32 s0, -1
	s_cbranch_scc1 .LBB380_2831
; %bb.2826:
	s_cmp_gt_i32 s3, 6
	s_cbranch_scc0 .LBB380_2828
; %bb.2827:
	s_wait_xcnt 0x0
	v_cndmask_b32_e64 v1, 0, 1, s6
	s_mov_b32 s0, 0
	s_delay_alu instid0(VALU_DEP_1)
	v_cvt_f64_u32_e32 v[6:7], v1
	global_store_b64 v[4:5], v[6:7], off
.LBB380_2828:
	s_and_not1_b32 vcc_lo, exec_lo, s0
	s_cbranch_vccnz .LBB380_2830
; %bb.2829:
	s_wait_xcnt 0x0
	v_cndmask_b32_e64 v1, 0, 1.0, s6
	global_store_b32 v[4:5], v1, off
.LBB380_2830:
	s_mov_b32 s0, 0
.LBB380_2831:
	s_delay_alu instid0(SALU_CYCLE_1)
	s_and_not1_b32 vcc_lo, exec_lo, s0
	s_cbranch_vccnz .LBB380_2833
; %bb.2832:
	s_wait_xcnt 0x0
	v_cndmask_b32_e64 v1, 0, 1.0, s6
	s_delay_alu instid0(VALU_DEP_1)
	v_cvt_f16_f32_e32 v1, v1
	global_store_b16 v[4:5], v1, off
.LBB380_2833:
	s_mov_b32 s0, 0
.LBB380_2834:
	s_delay_alu instid0(SALU_CYCLE_1)
	s_and_not1_b32 vcc_lo, exec_lo, s0
	s_cbranch_vccnz .LBB380_2850
; %bb.2835:
	s_cmp_lt_i32 s3, 2
	s_mov_b32 s0, -1
	s_cbranch_scc1 .LBB380_2845
; %bb.2836:
	s_cmp_lt_i32 s3, 3
	s_cbranch_scc1 .LBB380_2842
; %bb.2837:
	s_cmp_gt_i32 s3, 3
	s_cbranch_scc0 .LBB380_2839
; %bb.2838:
	s_mov_b32 s0, 0
	s_wait_xcnt 0x0
	v_cndmask_b32_e64 v6, 0, 1, s6
	v_mov_b32_e32 v7, s0
	global_store_b64 v[4:5], v[6:7], off
.LBB380_2839:
	s_and_not1_b32 vcc_lo, exec_lo, s0
	s_cbranch_vccnz .LBB380_2841
; %bb.2840:
	s_wait_xcnt 0x0
	v_cndmask_b32_e64 v1, 0, 1, s6
	global_store_b32 v[4:5], v1, off
.LBB380_2841:
	s_mov_b32 s0, 0
.LBB380_2842:
	s_delay_alu instid0(SALU_CYCLE_1)
	s_and_not1_b32 vcc_lo, exec_lo, s0
	s_cbranch_vccnz .LBB380_2844
; %bb.2843:
	s_wait_xcnt 0x0
	v_cndmask_b32_e64 v1, 0, 1, s6
	global_store_b16 v[4:5], v1, off
.LBB380_2844:
	s_mov_b32 s0, 0
.LBB380_2845:
	s_delay_alu instid0(SALU_CYCLE_1)
	s_and_not1_b32 vcc_lo, exec_lo, s0
	s_cbranch_vccnz .LBB380_2850
; %bb.2846:
	s_wait_xcnt 0x0
	v_cndmask_b32_e64 v1, 0, 1, s6
	s_cmp_gt_i32 s3, 0
	s_mov_b32 s0, -1
	s_cbranch_scc0 .LBB380_2848
; %bb.2847:
	s_mov_b32 s0, 0
	global_store_b8 v[4:5], v1, off
.LBB380_2848:
	s_and_not1_b32 vcc_lo, exec_lo, s0
	s_cbranch_vccnz .LBB380_2850
; %bb.2849:
	global_store_b8 v[4:5], v1, off
.LBB380_2850:
	s_mov_b32 s11, -1
.LBB380_2851:
	s_delay_alu instid0(SALU_CYCLE_1)
	s_and_not1_b32 vcc_lo, exec_lo, s11
	s_cbranch_vccnz .LBB380_3047
; %bb.2852:
	s_wait_xcnt 0x0
	v_and_b32_e32 v1, 0xff, v22
	v_and_b32_e32 v4, 0xff, v18
	v_mov_b32_e32 v3, 0
	s_delay_alu instid0(VALU_DEP_2) | instskip(NEXT) | instid1(VALU_DEP_2)
	v_cmp_ne_u16_e32 vcc_lo, v4, v1
	v_add_nc_u64_e32 v[2:3], s[4:5], v[2:3]
	s_xor_b32 s6, s2, vcc_lo
	s_cmp_lt_i32 s3, 11
	s_cbranch_scc1 .LBB380_2930
; %bb.2853:
	s_mov_b32 s12, -1
	s_mov_b32 s7, 0
	s_cmp_gt_i32 s3, 25
	s_mov_b32 s11, 0
	s_mov_b32 s0, 0
	s_cbranch_scc0 .LBB380_2886
; %bb.2854:
	s_cmp_gt_i32 s3, 28
	s_cbranch_scc0 .LBB380_2869
; %bb.2855:
	s_cmp_gt_i32 s3, 43
	;; [unrolled: 3-line block ×3, first 2 shown]
	s_cbranch_scc0 .LBB380_2859
; %bb.2857:
	s_mov_b32 s0, -1
	s_mov_b32 s12, 0
	s_cmp_eq_u32 s3, 46
	s_cbranch_scc0 .LBB380_2859
; %bb.2858:
	v_cndmask_b32_e64 v1, 0, 1.0, s6
	s_mov_b32 s0, 0
	s_mov_b32 s11, -1
	s_delay_alu instid0(VALU_DEP_1) | instskip(NEXT) | instid1(VALU_DEP_1)
	v_bfe_u32 v4, v1, 16, 1
	v_add3_u32 v1, v1, v4, 0x7fff
	s_delay_alu instid0(VALU_DEP_1)
	v_lshrrev_b32_e32 v1, 16, v1
	global_store_b32 v[2:3], v1, off
.LBB380_2859:
	s_and_b32 vcc_lo, exec_lo, s12
	s_cbranch_vccz .LBB380_2864
; %bb.2860:
	s_cmp_eq_u32 s3, 44
	s_mov_b32 s0, -1
	s_cbranch_scc0 .LBB380_2864
; %bb.2861:
	v_cndmask_b32_e64 v5, 0, 1.0, s6
	s_mov_b32 s11, exec_lo
	s_wait_xcnt 0x0
	s_delay_alu instid0(VALU_DEP_1) | instskip(NEXT) | instid1(VALU_DEP_1)
	v_dual_mov_b32 v4, 0xff :: v_dual_lshrrev_b32 v1, 23, v5
	v_cmpx_ne_u32_e32 0xff, v1
; %bb.2862:
	v_and_b32_e32 v4, 0x400000, v5
	v_and_or_b32 v5, 0x3fffff, v5, v1
	s_delay_alu instid0(VALU_DEP_2) | instskip(NEXT) | instid1(VALU_DEP_2)
	v_cmp_ne_u32_e32 vcc_lo, 0, v4
	v_cmp_ne_u32_e64 s0, 0, v5
	s_and_b32 s0, vcc_lo, s0
	s_delay_alu instid0(SALU_CYCLE_1) | instskip(NEXT) | instid1(VALU_DEP_1)
	v_cndmask_b32_e64 v4, 0, 1, s0
	v_add_nc_u32_e32 v4, v1, v4
; %bb.2863:
	s_or_b32 exec_lo, exec_lo, s11
	s_mov_b32 s0, 0
	s_mov_b32 s11, -1
	global_store_b8 v[2:3], v4, off
.LBB380_2864:
	s_mov_b32 s12, 0
.LBB380_2865:
	s_delay_alu instid0(SALU_CYCLE_1)
	s_and_b32 vcc_lo, exec_lo, s12
	s_cbranch_vccz .LBB380_2868
; %bb.2866:
	s_cmp_eq_u32 s3, 29
	s_mov_b32 s0, -1
	s_cbranch_scc0 .LBB380_2868
; %bb.2867:
	s_mov_b32 s0, 0
	s_wait_xcnt 0x0
	v_cndmask_b32_e64 v4, 0, 1, s6
	v_mov_b32_e32 v5, s0
	s_mov_b32 s11, -1
	global_store_b64 v[2:3], v[4:5], off
.LBB380_2868:
	s_mov_b32 s12, 0
.LBB380_2869:
	s_delay_alu instid0(SALU_CYCLE_1)
	s_and_b32 vcc_lo, exec_lo, s12
	s_cbranch_vccz .LBB380_2885
; %bb.2870:
	s_cmp_lt_i32 s3, 27
	s_mov_b32 s11, -1
	s_cbranch_scc1 .LBB380_2876
; %bb.2871:
	s_cmp_gt_i32 s3, 27
	s_cbranch_scc0 .LBB380_2873
; %bb.2872:
	s_wait_xcnt 0x0
	v_cndmask_b32_e64 v1, 0, 1, s6
	s_mov_b32 s11, 0
	global_store_b32 v[2:3], v1, off
.LBB380_2873:
	s_and_not1_b32 vcc_lo, exec_lo, s11
	s_cbranch_vccnz .LBB380_2875
; %bb.2874:
	s_wait_xcnt 0x0
	v_cndmask_b32_e64 v1, 0, 1, s6
	global_store_b16 v[2:3], v1, off
.LBB380_2875:
	s_mov_b32 s11, 0
.LBB380_2876:
	s_delay_alu instid0(SALU_CYCLE_1)
	s_and_not1_b32 vcc_lo, exec_lo, s11
	s_cbranch_vccnz .LBB380_2884
; %bb.2877:
	s_wait_xcnt 0x0
	v_cndmask_b32_e64 v4, 0, 1.0, s6
	v_mov_b32_e32 v5, 0x80
	s_mov_b32 s11, exec_lo
	s_delay_alu instid0(VALU_DEP_2)
	v_cmpx_gt_u32_e32 0x43800000, v4
	s_cbranch_execz .LBB380_2883
; %bb.2878:
	s_mov_b32 s12, 0
	s_mov_b32 s13, exec_lo
                                        ; implicit-def: $vgpr1
	v_cmpx_lt_u32_e32 0x3bffffff, v4
	s_xor_b32 s13, exec_lo, s13
	s_cbranch_execz .LBB380_3104
; %bb.2879:
	v_bfe_u32 v1, v4, 20, 1
	s_mov_b32 s12, exec_lo
	s_delay_alu instid0(VALU_DEP_1) | instskip(NEXT) | instid1(VALU_DEP_1)
	v_add3_u32 v1, v4, v1, 0x487ffff
                                        ; implicit-def: $vgpr4
	v_lshrrev_b32_e32 v1, 20, v1
	s_and_not1_saveexec_b32 s13, s13
	s_cbranch_execnz .LBB380_3105
.LBB380_2880:
	s_or_b32 exec_lo, exec_lo, s13
	v_mov_b32_e32 v5, 0
	s_and_saveexec_b32 s13, s12
.LBB380_2881:
	v_mov_b32_e32 v5, v1
.LBB380_2882:
	s_or_b32 exec_lo, exec_lo, s13
.LBB380_2883:
	s_delay_alu instid0(SALU_CYCLE_1)
	s_or_b32 exec_lo, exec_lo, s11
	global_store_b8 v[2:3], v5, off
.LBB380_2884:
	s_mov_b32 s11, -1
.LBB380_2885:
	s_mov_b32 s12, 0
.LBB380_2886:
	s_delay_alu instid0(SALU_CYCLE_1)
	s_and_b32 vcc_lo, exec_lo, s12
	s_cbranch_vccz .LBB380_2926
; %bb.2887:
	s_cmp_gt_i32 s3, 22
	s_mov_b32 s7, -1
	s_cbranch_scc0 .LBB380_2919
; %bb.2888:
	s_cmp_lt_i32 s3, 24
	s_cbranch_scc1 .LBB380_2908
; %bb.2889:
	s_cmp_gt_i32 s3, 24
	s_cbranch_scc0 .LBB380_2897
; %bb.2890:
	s_wait_xcnt 0x0
	v_cndmask_b32_e64 v4, 0, 1.0, s6
	v_mov_b32_e32 v5, 0x80
	s_mov_b32 s7, exec_lo
	s_delay_alu instid0(VALU_DEP_2)
	v_cmpx_gt_u32_e32 0x47800000, v4
	s_cbranch_execz .LBB380_2896
; %bb.2891:
	s_mov_b32 s11, 0
	s_mov_b32 s12, exec_lo
                                        ; implicit-def: $vgpr1
	v_cmpx_lt_u32_e32 0x37ffffff, v4
	s_xor_b32 s12, exec_lo, s12
	s_cbranch_execz .LBB380_3107
; %bb.2892:
	v_bfe_u32 v1, v4, 21, 1
	s_mov_b32 s11, exec_lo
	s_delay_alu instid0(VALU_DEP_1) | instskip(NEXT) | instid1(VALU_DEP_1)
	v_add3_u32 v1, v4, v1, 0x88fffff
                                        ; implicit-def: $vgpr4
	v_lshrrev_b32_e32 v1, 21, v1
	s_and_not1_saveexec_b32 s12, s12
	s_cbranch_execnz .LBB380_3108
.LBB380_2893:
	s_or_b32 exec_lo, exec_lo, s12
	v_mov_b32_e32 v5, 0
	s_and_saveexec_b32 s12, s11
.LBB380_2894:
	v_mov_b32_e32 v5, v1
.LBB380_2895:
	s_or_b32 exec_lo, exec_lo, s12
.LBB380_2896:
	s_delay_alu instid0(SALU_CYCLE_1)
	s_or_b32 exec_lo, exec_lo, s7
	s_mov_b32 s7, 0
	global_store_b8 v[2:3], v5, off
.LBB380_2897:
	s_and_b32 vcc_lo, exec_lo, s7
	s_cbranch_vccz .LBB380_2907
; %bb.2898:
	s_wait_xcnt 0x0
	v_cndmask_b32_e64 v4, 0, 1.0, s6
	s_mov_b32 s7, exec_lo
                                        ; implicit-def: $vgpr1
	s_delay_alu instid0(VALU_DEP_1)
	v_cmpx_gt_u32_e32 0x43f00000, v4
	s_xor_b32 s7, exec_lo, s7
	s_cbranch_execz .LBB380_2904
; %bb.2899:
	s_mov_b32 s11, exec_lo
                                        ; implicit-def: $vgpr1
	v_cmpx_lt_u32_e32 0x3c7fffff, v4
	s_xor_b32 s11, exec_lo, s11
; %bb.2900:
	v_bfe_u32 v1, v4, 20, 1
	s_delay_alu instid0(VALU_DEP_1) | instskip(NEXT) | instid1(VALU_DEP_1)
	v_add3_u32 v1, v4, v1, 0x407ffff
	v_and_b32_e32 v4, 0xff00000, v1
	v_lshrrev_b32_e32 v1, 20, v1
	s_delay_alu instid0(VALU_DEP_2) | instskip(NEXT) | instid1(VALU_DEP_2)
	v_cmp_ne_u32_e32 vcc_lo, 0x7f00000, v4
                                        ; implicit-def: $vgpr4
	v_cndmask_b32_e32 v1, 0x7e, v1, vcc_lo
; %bb.2901:
	s_and_not1_saveexec_b32 s11, s11
; %bb.2902:
	v_add_f32_e32 v1, 0x46800000, v4
; %bb.2903:
	s_or_b32 exec_lo, exec_lo, s11
                                        ; implicit-def: $vgpr4
.LBB380_2904:
	s_and_not1_saveexec_b32 s7, s7
; %bb.2905:
	v_mov_b32_e32 v1, 0x7f
	v_cmp_lt_u32_e32 vcc_lo, 0x7f800000, v4
	s_delay_alu instid0(VALU_DEP_2)
	v_cndmask_b32_e32 v1, 0x7e, v1, vcc_lo
; %bb.2906:
	s_or_b32 exec_lo, exec_lo, s7
	global_store_b8 v[2:3], v1, off
.LBB380_2907:
	s_mov_b32 s7, 0
.LBB380_2908:
	s_delay_alu instid0(SALU_CYCLE_1)
	s_and_not1_b32 vcc_lo, exec_lo, s7
	s_cbranch_vccnz .LBB380_2918
; %bb.2909:
	s_wait_xcnt 0x0
	v_cndmask_b32_e64 v4, 0, 1.0, s6
	s_mov_b32 s7, exec_lo
                                        ; implicit-def: $vgpr1
	s_delay_alu instid0(VALU_DEP_1)
	v_cmpx_gt_u32_e32 0x47800000, v4
	s_xor_b32 s7, exec_lo, s7
	s_cbranch_execz .LBB380_2915
; %bb.2910:
	s_mov_b32 s11, exec_lo
                                        ; implicit-def: $vgpr1
	v_cmpx_lt_u32_e32 0x387fffff, v4
	s_xor_b32 s11, exec_lo, s11
; %bb.2911:
	v_bfe_u32 v1, v4, 21, 1
	s_delay_alu instid0(VALU_DEP_1) | instskip(NEXT) | instid1(VALU_DEP_1)
	v_add3_u32 v1, v4, v1, 0x80fffff
                                        ; implicit-def: $vgpr4
	v_lshrrev_b32_e32 v1, 21, v1
; %bb.2912:
	s_and_not1_saveexec_b32 s11, s11
; %bb.2913:
	v_add_f32_e32 v1, 0x43000000, v4
; %bb.2914:
	s_or_b32 exec_lo, exec_lo, s11
                                        ; implicit-def: $vgpr4
.LBB380_2915:
	s_and_not1_saveexec_b32 s7, s7
; %bb.2916:
	v_mov_b32_e32 v1, 0x7f
	v_cmp_lt_u32_e32 vcc_lo, 0x7f800000, v4
	s_delay_alu instid0(VALU_DEP_2)
	v_cndmask_b32_e32 v1, 0x7c, v1, vcc_lo
; %bb.2917:
	s_or_b32 exec_lo, exec_lo, s7
	global_store_b8 v[2:3], v1, off
.LBB380_2918:
	s_mov_b32 s7, 0
	s_mov_b32 s11, -1
.LBB380_2919:
	s_and_not1_b32 vcc_lo, exec_lo, s7
	s_mov_b32 s7, 0
	s_cbranch_vccnz .LBB380_2926
; %bb.2920:
	s_cmp_gt_i32 s3, 14
	s_mov_b32 s7, -1
	s_cbranch_scc0 .LBB380_2924
; %bb.2921:
	s_cmp_eq_u32 s3, 15
	s_mov_b32 s0, -1
	s_cbranch_scc0 .LBB380_2923
; %bb.2922:
	s_wait_xcnt 0x0
	v_cndmask_b32_e64 v1, 0, 1.0, s6
	s_mov_b32 s0, 0
	s_mov_b32 s11, -1
	s_delay_alu instid0(VALU_DEP_1) | instskip(NEXT) | instid1(VALU_DEP_1)
	v_bfe_u32 v4, v1, 16, 1
	v_add3_u32 v1, v1, v4, 0x7fff
	global_store_d16_hi_b16 v[2:3], v1, off
.LBB380_2923:
	s_mov_b32 s7, 0
.LBB380_2924:
	s_delay_alu instid0(SALU_CYCLE_1)
	s_and_b32 vcc_lo, exec_lo, s7
	s_mov_b32 s7, 0
	s_cbranch_vccz .LBB380_2926
; %bb.2925:
	s_cmp_lg_u32 s3, 11
	s_mov_b32 s7, -1
	s_cselect_b32 s0, -1, 0
.LBB380_2926:
	s_delay_alu instid0(SALU_CYCLE_1)
	s_and_b32 vcc_lo, exec_lo, s0
	s_cbranch_vccnz .LBB380_3106
; %bb.2927:
	s_and_not1_b32 vcc_lo, exec_lo, s7
	s_cbranch_vccnz .LBB380_2929
.LBB380_2928:
	s_wait_xcnt 0x0
	v_cndmask_b32_e64 v1, 0, 1, s6
	s_mov_b32 s11, -1
	global_store_b8 v[2:3], v1, off
.LBB380_2929:
	s_mov_b32 s0, 0
	s_branch .LBB380_2931
.LBB380_2930:
	s_mov_b32 s0, -1
	s_mov_b32 s11, 0
.LBB380_2931:
	s_and_b32 vcc_lo, exec_lo, s0
	s_cbranch_vccz .LBB380_2970
; %bb.2932:
	s_cmp_lt_i32 s3, 5
	s_mov_b32 s0, -1
	s_cbranch_scc1 .LBB380_2953
; %bb.2933:
	s_cmp_lt_i32 s3, 8
	s_cbranch_scc1 .LBB380_2943
; %bb.2934:
	s_cmp_lt_i32 s3, 9
	s_cbranch_scc1 .LBB380_2940
; %bb.2935:
	s_cmp_gt_i32 s3, 9
	s_cbranch_scc0 .LBB380_2937
; %bb.2936:
	s_wait_xcnt 0x0
	v_cndmask_b32_e64 v1, 0, 1, s6
	v_mov_b32_e32 v6, 0
	s_mov_b32 s0, 0
	s_delay_alu instid0(VALU_DEP_2) | instskip(NEXT) | instid1(VALU_DEP_2)
	v_cvt_f64_u32_e32 v[4:5], v1
	v_mov_b32_e32 v7, v6
	global_store_b128 v[2:3], v[4:7], off
.LBB380_2937:
	s_and_not1_b32 vcc_lo, exec_lo, s0
	s_cbranch_vccnz .LBB380_2939
; %bb.2938:
	s_wait_xcnt 0x0
	v_cndmask_b32_e64 v4, 0, 1.0, s6
	v_mov_b32_e32 v5, 0
	global_store_b64 v[2:3], v[4:5], off
.LBB380_2939:
	s_mov_b32 s0, 0
.LBB380_2940:
	s_delay_alu instid0(SALU_CYCLE_1)
	s_and_not1_b32 vcc_lo, exec_lo, s0
	s_cbranch_vccnz .LBB380_2942
; %bb.2941:
	s_wait_xcnt 0x0
	v_cndmask_b32_e64 v1, 0, 1.0, s6
	s_delay_alu instid0(VALU_DEP_1) | instskip(NEXT) | instid1(VALU_DEP_1)
	v_cvt_f16_f32_e32 v1, v1
	v_and_b32_e32 v1, 0xffff, v1
	global_store_b32 v[2:3], v1, off
.LBB380_2942:
	s_mov_b32 s0, 0
.LBB380_2943:
	s_delay_alu instid0(SALU_CYCLE_1)
	s_and_not1_b32 vcc_lo, exec_lo, s0
	s_cbranch_vccnz .LBB380_2952
; %bb.2944:
	s_cmp_lt_i32 s3, 6
	s_mov_b32 s0, -1
	s_cbranch_scc1 .LBB380_2950
; %bb.2945:
	s_cmp_gt_i32 s3, 6
	s_cbranch_scc0 .LBB380_2947
; %bb.2946:
	s_wait_xcnt 0x0
	v_cndmask_b32_e64 v1, 0, 1, s6
	s_mov_b32 s0, 0
	s_delay_alu instid0(VALU_DEP_1)
	v_cvt_f64_u32_e32 v[4:5], v1
	global_store_b64 v[2:3], v[4:5], off
.LBB380_2947:
	s_and_not1_b32 vcc_lo, exec_lo, s0
	s_cbranch_vccnz .LBB380_2949
; %bb.2948:
	s_wait_xcnt 0x0
	v_cndmask_b32_e64 v1, 0, 1.0, s6
	global_store_b32 v[2:3], v1, off
.LBB380_2949:
	s_mov_b32 s0, 0
.LBB380_2950:
	s_delay_alu instid0(SALU_CYCLE_1)
	s_and_not1_b32 vcc_lo, exec_lo, s0
	s_cbranch_vccnz .LBB380_2952
; %bb.2951:
	s_wait_xcnt 0x0
	v_cndmask_b32_e64 v1, 0, 1.0, s6
	s_delay_alu instid0(VALU_DEP_1)
	v_cvt_f16_f32_e32 v1, v1
	global_store_b16 v[2:3], v1, off
.LBB380_2952:
	s_mov_b32 s0, 0
.LBB380_2953:
	s_delay_alu instid0(SALU_CYCLE_1)
	s_and_not1_b32 vcc_lo, exec_lo, s0
	s_cbranch_vccnz .LBB380_2969
; %bb.2954:
	s_cmp_lt_i32 s3, 2
	s_mov_b32 s0, -1
	s_cbranch_scc1 .LBB380_2964
; %bb.2955:
	s_cmp_lt_i32 s3, 3
	s_cbranch_scc1 .LBB380_2961
; %bb.2956:
	s_cmp_gt_i32 s3, 3
	s_cbranch_scc0 .LBB380_2958
; %bb.2957:
	s_mov_b32 s0, 0
	s_wait_xcnt 0x0
	v_cndmask_b32_e64 v4, 0, 1, s6
	v_mov_b32_e32 v5, s0
	global_store_b64 v[2:3], v[4:5], off
.LBB380_2958:
	s_and_not1_b32 vcc_lo, exec_lo, s0
	s_cbranch_vccnz .LBB380_2960
; %bb.2959:
	s_wait_xcnt 0x0
	v_cndmask_b32_e64 v1, 0, 1, s6
	global_store_b32 v[2:3], v1, off
.LBB380_2960:
	s_mov_b32 s0, 0
.LBB380_2961:
	s_delay_alu instid0(SALU_CYCLE_1)
	s_and_not1_b32 vcc_lo, exec_lo, s0
	s_cbranch_vccnz .LBB380_2963
; %bb.2962:
	s_wait_xcnt 0x0
	v_cndmask_b32_e64 v1, 0, 1, s6
	global_store_b16 v[2:3], v1, off
.LBB380_2963:
	s_mov_b32 s0, 0
.LBB380_2964:
	s_delay_alu instid0(SALU_CYCLE_1)
	s_and_not1_b32 vcc_lo, exec_lo, s0
	s_cbranch_vccnz .LBB380_2969
; %bb.2965:
	s_cmp_gt_i32 s3, 0
	s_mov_b32 s0, -1
	s_cbranch_scc0 .LBB380_2967
; %bb.2966:
	s_wait_xcnt 0x0
	v_cndmask_b32_e64 v1, 0, 1, s6
	s_mov_b32 s0, 0
	global_store_b8 v[2:3], v1, off
.LBB380_2967:
	s_and_not1_b32 vcc_lo, exec_lo, s0
	s_cbranch_vccnz .LBB380_2969
; %bb.2968:
	s_wait_xcnt 0x0
	v_cndmask_b32_e64 v1, 0, 1, s6
	global_store_b8 v[2:3], v1, off
.LBB380_2969:
	s_mov_b32 s11, -1
.LBB380_2970:
	s_delay_alu instid0(SALU_CYCLE_1)
	s_and_not1_b32 vcc_lo, exec_lo, s11
	s_cbranch_vccnz .LBB380_3047
; %bb.2971:
	s_wait_xcnt 0x0
	v_and_b32_e32 v2, 0xff, v10
	v_and_b32_e32 v3, 0xff, v16
	v_mov_b32_e32 v1, 0
	s_delay_alu instid0(VALU_DEP_2) | instskip(NEXT) | instid1(VALU_DEP_2)
	v_cmp_ne_u16_e32 vcc_lo, v3, v2
	v_add_nc_u64_e32 v[2:3], s[4:5], v[0:1]
	s_xor_b32 s4, s2, vcc_lo
	s_cmp_lt_i32 s3, 11
	s_cbranch_scc1 .LBB380_3092
; %bb.2972:
	s_mov_b32 s5, -1
	s_mov_b32 s2, 0
	s_cmp_gt_i32 s3, 25
	s_mov_b32 s0, 0
	s_cbranch_scc0 .LBB380_3005
; %bb.2973:
	s_cmp_gt_i32 s3, 28
	s_cbranch_scc0 .LBB380_2989
; %bb.2974:
	s_cmp_gt_i32 s3, 43
	;; [unrolled: 3-line block ×3, first 2 shown]
	s_cbranch_scc0 .LBB380_2979
; %bb.2976:
	s_cmp_eq_u32 s3, 46
	s_mov_b32 s0, -1
	s_cbranch_scc0 .LBB380_2978
; %bb.2977:
	v_cndmask_b32_e64 v0, 0, 1.0, s4
	s_mov_b32 s0, 0
	s_delay_alu instid0(VALU_DEP_1) | instskip(NEXT) | instid1(VALU_DEP_1)
	v_bfe_u32 v1, v0, 16, 1
	v_add3_u32 v0, v0, v1, 0x7fff
	s_delay_alu instid0(VALU_DEP_1)
	v_lshrrev_b32_e32 v0, 16, v0
	global_store_b32 v[2:3], v0, off
.LBB380_2978:
	s_mov_b32 s5, 0
.LBB380_2979:
	s_delay_alu instid0(SALU_CYCLE_1)
	s_and_b32 vcc_lo, exec_lo, s5
	s_cbranch_vccz .LBB380_2984
; %bb.2980:
	s_cmp_eq_u32 s3, 44
	s_mov_b32 s0, -1
	s_cbranch_scc0 .LBB380_2984
; %bb.2981:
	v_cndmask_b32_e64 v4, 0, 1.0, s4
	s_mov_b32 s5, exec_lo
	s_wait_xcnt 0x0
	s_delay_alu instid0(VALU_DEP_1) | instskip(NEXT) | instid1(VALU_DEP_1)
	v_dual_mov_b32 v1, 0xff :: v_dual_lshrrev_b32 v0, 23, v4
	v_cmpx_ne_u32_e32 0xff, v0
; %bb.2982:
	v_and_b32_e32 v1, 0x400000, v4
	v_and_or_b32 v4, 0x3fffff, v4, v0
	s_delay_alu instid0(VALU_DEP_2) | instskip(NEXT) | instid1(VALU_DEP_2)
	v_cmp_ne_u32_e32 vcc_lo, 0, v1
	v_cmp_ne_u32_e64 s0, 0, v4
	s_and_b32 s0, vcc_lo, s0
	s_delay_alu instid0(SALU_CYCLE_1) | instskip(NEXT) | instid1(VALU_DEP_1)
	v_cndmask_b32_e64 v1, 0, 1, s0
	v_add_nc_u32_e32 v1, v0, v1
; %bb.2983:
	s_or_b32 exec_lo, exec_lo, s5
	s_mov_b32 s0, 0
	global_store_b8 v[2:3], v1, off
.LBB380_2984:
	s_mov_b32 s5, 0
.LBB380_2985:
	s_delay_alu instid0(SALU_CYCLE_1)
	s_and_b32 vcc_lo, exec_lo, s5
	s_cbranch_vccz .LBB380_2988
; %bb.2986:
	s_cmp_eq_u32 s3, 29
	s_mov_b32 s0, -1
	s_cbranch_scc0 .LBB380_2988
; %bb.2987:
	s_mov_b32 s0, 0
	s_wait_xcnt 0x0
	v_cndmask_b32_e64 v0, 0, 1, s4
	v_mov_b32_e32 v1, s0
	global_store_b64 v[2:3], v[0:1], off
.LBB380_2988:
	s_mov_b32 s5, 0
.LBB380_2989:
	s_delay_alu instid0(SALU_CYCLE_1)
	s_and_b32 vcc_lo, exec_lo, s5
	s_cbranch_vccz .LBB380_3004
; %bb.2990:
	s_cmp_lt_i32 s3, 27
	s_mov_b32 s5, -1
	s_cbranch_scc1 .LBB380_2996
; %bb.2991:
	s_wait_xcnt 0x0
	v_cndmask_b32_e64 v0, 0, 1, s4
	s_cmp_gt_i32 s3, 27
	s_cbranch_scc0 .LBB380_2993
; %bb.2992:
	s_mov_b32 s5, 0
	global_store_b32 v[2:3], v0, off
.LBB380_2993:
	s_and_not1_b32 vcc_lo, exec_lo, s5
	s_cbranch_vccnz .LBB380_2995
; %bb.2994:
	global_store_b16 v[2:3], v0, off
.LBB380_2995:
	s_mov_b32 s5, 0
.LBB380_2996:
	s_delay_alu instid0(SALU_CYCLE_1)
	s_and_not1_b32 vcc_lo, exec_lo, s5
	s_cbranch_vccnz .LBB380_3004
; %bb.2997:
	s_wait_xcnt 0x0
	v_cndmask_b32_e64 v1, 0, 1.0, s4
	v_mov_b32_e32 v4, 0x80
	s_mov_b32 s5, exec_lo
	s_delay_alu instid0(VALU_DEP_2)
	v_cmpx_gt_u32_e32 0x43800000, v1
	s_cbranch_execz .LBB380_3003
; %bb.2998:
	s_mov_b32 s6, 0
	s_mov_b32 s7, exec_lo
                                        ; implicit-def: $vgpr0
	v_cmpx_lt_u32_e32 0x3bffffff, v1
	s_xor_b32 s7, exec_lo, s7
	s_cbranch_execz .LBB380_3109
; %bb.2999:
	v_bfe_u32 v0, v1, 20, 1
	s_mov_b32 s6, exec_lo
	s_delay_alu instid0(VALU_DEP_1) | instskip(NEXT) | instid1(VALU_DEP_1)
	v_add3_u32 v0, v1, v0, 0x487ffff
                                        ; implicit-def: $vgpr1
	v_lshrrev_b32_e32 v0, 20, v0
	s_and_not1_saveexec_b32 s7, s7
	s_cbranch_execnz .LBB380_3110
.LBB380_3000:
	s_or_b32 exec_lo, exec_lo, s7
	v_mov_b32_e32 v4, 0
	s_and_saveexec_b32 s7, s6
.LBB380_3001:
	v_mov_b32_e32 v4, v0
.LBB380_3002:
	s_or_b32 exec_lo, exec_lo, s7
.LBB380_3003:
	s_delay_alu instid0(SALU_CYCLE_1)
	s_or_b32 exec_lo, exec_lo, s5
	global_store_b8 v[2:3], v4, off
.LBB380_3004:
	s_mov_b32 s5, 0
.LBB380_3005:
	s_delay_alu instid0(SALU_CYCLE_1)
	s_and_b32 vcc_lo, exec_lo, s5
	s_cbranch_vccz .LBB380_3045
; %bb.3006:
	s_cmp_gt_i32 s3, 22
	s_mov_b32 s2, -1
	s_cbranch_scc0 .LBB380_3038
; %bb.3007:
	s_cmp_lt_i32 s3, 24
	s_cbranch_scc1 .LBB380_3027
; %bb.3008:
	s_cmp_gt_i32 s3, 24
	s_cbranch_scc0 .LBB380_3016
; %bb.3009:
	s_wait_xcnt 0x0
	v_cndmask_b32_e64 v1, 0, 1.0, s4
	v_mov_b32_e32 v4, 0x80
	s_mov_b32 s2, exec_lo
	s_delay_alu instid0(VALU_DEP_2)
	v_cmpx_gt_u32_e32 0x47800000, v1
	s_cbranch_execz .LBB380_3015
; %bb.3010:
	s_mov_b32 s5, 0
	s_mov_b32 s6, exec_lo
                                        ; implicit-def: $vgpr0
	v_cmpx_lt_u32_e32 0x37ffffff, v1
	s_xor_b32 s6, exec_lo, s6
	s_cbranch_execz .LBB380_3112
; %bb.3011:
	v_bfe_u32 v0, v1, 21, 1
	s_mov_b32 s5, exec_lo
	s_delay_alu instid0(VALU_DEP_1) | instskip(NEXT) | instid1(VALU_DEP_1)
	v_add3_u32 v0, v1, v0, 0x88fffff
                                        ; implicit-def: $vgpr1
	v_lshrrev_b32_e32 v0, 21, v0
	s_and_not1_saveexec_b32 s6, s6
	s_cbranch_execnz .LBB380_3113
.LBB380_3012:
	s_or_b32 exec_lo, exec_lo, s6
	v_mov_b32_e32 v4, 0
	s_and_saveexec_b32 s6, s5
.LBB380_3013:
	v_mov_b32_e32 v4, v0
.LBB380_3014:
	s_or_b32 exec_lo, exec_lo, s6
.LBB380_3015:
	s_delay_alu instid0(SALU_CYCLE_1)
	s_or_b32 exec_lo, exec_lo, s2
	s_mov_b32 s2, 0
	global_store_b8 v[2:3], v4, off
.LBB380_3016:
	s_and_b32 vcc_lo, exec_lo, s2
	s_cbranch_vccz .LBB380_3026
; %bb.3017:
	s_wait_xcnt 0x0
	v_cndmask_b32_e64 v1, 0, 1.0, s4
	s_mov_b32 s2, exec_lo
                                        ; implicit-def: $vgpr0
	s_delay_alu instid0(VALU_DEP_1)
	v_cmpx_gt_u32_e32 0x43f00000, v1
	s_xor_b32 s2, exec_lo, s2
	s_cbranch_execz .LBB380_3023
; %bb.3018:
	s_mov_b32 s5, exec_lo
                                        ; implicit-def: $vgpr0
	v_cmpx_lt_u32_e32 0x3c7fffff, v1
	s_xor_b32 s5, exec_lo, s5
; %bb.3019:
	v_bfe_u32 v0, v1, 20, 1
	s_delay_alu instid0(VALU_DEP_1) | instskip(NEXT) | instid1(VALU_DEP_1)
	v_add3_u32 v0, v1, v0, 0x407ffff
	v_and_b32_e32 v1, 0xff00000, v0
	v_lshrrev_b32_e32 v0, 20, v0
	s_delay_alu instid0(VALU_DEP_2) | instskip(NEXT) | instid1(VALU_DEP_2)
	v_cmp_ne_u32_e32 vcc_lo, 0x7f00000, v1
                                        ; implicit-def: $vgpr1
	v_cndmask_b32_e32 v0, 0x7e, v0, vcc_lo
; %bb.3020:
	s_and_not1_saveexec_b32 s5, s5
; %bb.3021:
	v_add_f32_e32 v0, 0x46800000, v1
; %bb.3022:
	s_or_b32 exec_lo, exec_lo, s5
                                        ; implicit-def: $vgpr1
.LBB380_3023:
	s_and_not1_saveexec_b32 s2, s2
; %bb.3024:
	v_mov_b32_e32 v0, 0x7f
	v_cmp_lt_u32_e32 vcc_lo, 0x7f800000, v1
	s_delay_alu instid0(VALU_DEP_2)
	v_cndmask_b32_e32 v0, 0x7e, v0, vcc_lo
; %bb.3025:
	s_or_b32 exec_lo, exec_lo, s2
	global_store_b8 v[2:3], v0, off
.LBB380_3026:
	s_mov_b32 s2, 0
.LBB380_3027:
	s_delay_alu instid0(SALU_CYCLE_1)
	s_and_not1_b32 vcc_lo, exec_lo, s2
	s_cbranch_vccnz .LBB380_3037
; %bb.3028:
	s_wait_xcnt 0x0
	v_cndmask_b32_e64 v1, 0, 1.0, s4
	s_mov_b32 s2, exec_lo
                                        ; implicit-def: $vgpr0
	s_delay_alu instid0(VALU_DEP_1)
	v_cmpx_gt_u32_e32 0x47800000, v1
	s_xor_b32 s2, exec_lo, s2
	s_cbranch_execz .LBB380_3034
; %bb.3029:
	s_mov_b32 s5, exec_lo
                                        ; implicit-def: $vgpr0
	v_cmpx_lt_u32_e32 0x387fffff, v1
	s_xor_b32 s5, exec_lo, s5
; %bb.3030:
	v_bfe_u32 v0, v1, 21, 1
	s_delay_alu instid0(VALU_DEP_1) | instskip(NEXT) | instid1(VALU_DEP_1)
	v_add3_u32 v0, v1, v0, 0x80fffff
                                        ; implicit-def: $vgpr1
	v_lshrrev_b32_e32 v0, 21, v0
; %bb.3031:
	s_and_not1_saveexec_b32 s5, s5
; %bb.3032:
	v_add_f32_e32 v0, 0x43000000, v1
; %bb.3033:
	s_or_b32 exec_lo, exec_lo, s5
                                        ; implicit-def: $vgpr1
.LBB380_3034:
	s_and_not1_saveexec_b32 s2, s2
; %bb.3035:
	v_mov_b32_e32 v0, 0x7f
	v_cmp_lt_u32_e32 vcc_lo, 0x7f800000, v1
	s_delay_alu instid0(VALU_DEP_2)
	v_cndmask_b32_e32 v0, 0x7c, v0, vcc_lo
; %bb.3036:
	s_or_b32 exec_lo, exec_lo, s2
	global_store_b8 v[2:3], v0, off
.LBB380_3037:
	s_mov_b32 s2, 0
.LBB380_3038:
	s_delay_alu instid0(SALU_CYCLE_1)
	s_and_not1_b32 vcc_lo, exec_lo, s2
	s_mov_b32 s2, 0
	s_cbranch_vccnz .LBB380_3045
; %bb.3039:
	s_cmp_gt_i32 s3, 14
	s_mov_b32 s2, -1
	s_cbranch_scc0 .LBB380_3043
; %bb.3040:
	s_cmp_eq_u32 s3, 15
	s_mov_b32 s0, -1
	s_cbranch_scc0 .LBB380_3042
; %bb.3041:
	s_wait_xcnt 0x0
	v_cndmask_b32_e64 v0, 0, 1.0, s4
	s_mov_b32 s0, 0
	s_delay_alu instid0(VALU_DEP_1) | instskip(NEXT) | instid1(VALU_DEP_1)
	v_bfe_u32 v1, v0, 16, 1
	v_add3_u32 v0, v0, v1, 0x7fff
	global_store_d16_hi_b16 v[2:3], v0, off
.LBB380_3042:
	s_mov_b32 s2, 0
.LBB380_3043:
	s_delay_alu instid0(SALU_CYCLE_1)
	s_and_b32 vcc_lo, exec_lo, s2
	s_mov_b32 s2, 0
	s_cbranch_vccz .LBB380_3045
; %bb.3044:
	s_cmp_lg_u32 s3, 11
	s_mov_b32 s2, -1
	s_cselect_b32 s0, -1, 0
.LBB380_3045:
	s_delay_alu instid0(SALU_CYCLE_1)
	s_and_b32 vcc_lo, exec_lo, s0
	s_cbranch_vccnz .LBB380_3111
.LBB380_3046:
	s_mov_b32 s0, 0
	s_branch .LBB380_3048
.LBB380_3047:
	s_mov_b32 s0, 0
	s_wait_xcnt 0x0
	s_mov_b32 s2, 0
                                        ; implicit-def: $sgpr4
                                        ; implicit-def: $vgpr2_vgpr3
                                        ; implicit-def: $sgpr1
.LBB380_3048:
	s_and_not1_b32 s3, s8, exec_lo
	s_and_b32 s5, s10, exec_lo
	s_and_b32 s0, s0, exec_lo
	s_and_b32 s30, s2, exec_lo
	s_or_b32 s8, s3, s5
.LBB380_3049:
	s_wait_xcnt 0x0
	s_or_b32 exec_lo, exec_lo, s9
	s_and_saveexec_b32 s2, s8
	s_cbranch_execz .LBB380_3052
; %bb.3050:
	; divergent unreachable
	s_or_b32 exec_lo, exec_lo, s2
	s_and_saveexec_b32 s2, s30
	s_delay_alu instid0(SALU_CYCLE_1)
	s_xor_b32 s2, exec_lo, s2
	s_cbranch_execnz .LBB380_3053
.LBB380_3051:
	s_or_b32 exec_lo, exec_lo, s2
	s_and_saveexec_b32 s2, s0
	s_cbranch_execnz .LBB380_3054
	s_branch .LBB380_3091
.LBB380_3052:
	s_or_b32 exec_lo, exec_lo, s2
	s_and_saveexec_b32 s2, s30
	s_delay_alu instid0(SALU_CYCLE_1)
	s_xor_b32 s2, exec_lo, s2
	s_cbranch_execz .LBB380_3051
.LBB380_3053:
	v_cndmask_b32_e64 v0, 0, 1, s4
	global_store_b8 v[2:3], v0, off
	s_wait_xcnt 0x0
	s_or_b32 exec_lo, exec_lo, s2
	s_and_saveexec_b32 s2, s0
	s_cbranch_execz .LBB380_3091
.LBB380_3054:
	s_sext_i32_i16 s2, s1
	s_mov_b32 s0, -1
	s_cmp_lt_i32 s2, 5
	s_cbranch_scc1 .LBB380_3075
; %bb.3055:
	s_cmp_lt_i32 s2, 8
	s_cbranch_scc1 .LBB380_3065
; %bb.3056:
	;; [unrolled: 3-line block ×3, first 2 shown]
	s_cmp_gt_i32 s2, 9
	s_cbranch_scc0 .LBB380_3059
; %bb.3058:
	v_cndmask_b32_e64 v0, 0, 1, s4
	v_mov_b32_e32 v6, 0
	s_mov_b32 s0, 0
	s_wait_loadcnt 0x0
	s_delay_alu instid0(VALU_DEP_2) | instskip(NEXT) | instid1(VALU_DEP_2)
	v_cvt_f64_u32_e32 v[4:5], v0
	v_mov_b32_e32 v7, v6
	global_store_b128 v[2:3], v[4:7], off
.LBB380_3059:
	s_and_not1_b32 vcc_lo, exec_lo, s0
	s_cbranch_vccnz .LBB380_3061
; %bb.3060:
	v_cndmask_b32_e64 v0, 0, 1.0, s4
	v_mov_b32_e32 v1, 0
	global_store_b64 v[2:3], v[0:1], off
.LBB380_3061:
	s_mov_b32 s0, 0
.LBB380_3062:
	s_delay_alu instid0(SALU_CYCLE_1)
	s_and_not1_b32 vcc_lo, exec_lo, s0
	s_cbranch_vccnz .LBB380_3064
; %bb.3063:
	s_wait_xcnt 0x0
	v_cndmask_b32_e64 v0, 0, 1.0, s4
	s_delay_alu instid0(VALU_DEP_1) | instskip(NEXT) | instid1(VALU_DEP_1)
	v_cvt_f16_f32_e32 v0, v0
	v_and_b32_e32 v0, 0xffff, v0
	global_store_b32 v[2:3], v0, off
.LBB380_3064:
	s_mov_b32 s0, 0
.LBB380_3065:
	s_delay_alu instid0(SALU_CYCLE_1)
	s_and_not1_b32 vcc_lo, exec_lo, s0
	s_cbranch_vccnz .LBB380_3074
; %bb.3066:
	s_sext_i32_i16 s2, s1
	s_mov_b32 s0, -1
	s_cmp_lt_i32 s2, 6
	s_cbranch_scc1 .LBB380_3072
; %bb.3067:
	s_cmp_gt_i32 s2, 6
	s_cbranch_scc0 .LBB380_3069
; %bb.3068:
	s_wait_xcnt 0x0
	v_cndmask_b32_e64 v0, 0, 1, s4
	s_mov_b32 s0, 0
	s_delay_alu instid0(VALU_DEP_1)
	v_cvt_f64_u32_e32 v[0:1], v0
	global_store_b64 v[2:3], v[0:1], off
.LBB380_3069:
	s_and_not1_b32 vcc_lo, exec_lo, s0
	s_cbranch_vccnz .LBB380_3071
; %bb.3070:
	s_wait_xcnt 0x0
	v_cndmask_b32_e64 v0, 0, 1.0, s4
	global_store_b32 v[2:3], v0, off
.LBB380_3071:
	s_mov_b32 s0, 0
.LBB380_3072:
	s_delay_alu instid0(SALU_CYCLE_1)
	s_and_not1_b32 vcc_lo, exec_lo, s0
	s_cbranch_vccnz .LBB380_3074
; %bb.3073:
	s_wait_xcnt 0x0
	v_cndmask_b32_e64 v0, 0, 1.0, s4
	s_delay_alu instid0(VALU_DEP_1)
	v_cvt_f16_f32_e32 v0, v0
	global_store_b16 v[2:3], v0, off
.LBB380_3074:
	s_mov_b32 s0, 0
.LBB380_3075:
	s_delay_alu instid0(SALU_CYCLE_1)
	s_and_not1_b32 vcc_lo, exec_lo, s0
	s_cbranch_vccnz .LBB380_3091
; %bb.3076:
	s_sext_i32_i16 s2, s1
	s_mov_b32 s0, -1
	s_cmp_lt_i32 s2, 2
	s_cbranch_scc1 .LBB380_3086
; %bb.3077:
	s_cmp_lt_i32 s2, 3
	s_cbranch_scc1 .LBB380_3083
; %bb.3078:
	s_cmp_gt_i32 s2, 3
	s_cbranch_scc0 .LBB380_3080
; %bb.3079:
	s_mov_b32 s0, 0
	s_wait_xcnt 0x0
	v_cndmask_b32_e64 v0, 0, 1, s4
	v_mov_b32_e32 v1, s0
	global_store_b64 v[2:3], v[0:1], off
.LBB380_3080:
	s_and_not1_b32 vcc_lo, exec_lo, s0
	s_cbranch_vccnz .LBB380_3082
; %bb.3081:
	s_wait_xcnt 0x0
	v_cndmask_b32_e64 v0, 0, 1, s4
	global_store_b32 v[2:3], v0, off
.LBB380_3082:
	s_mov_b32 s0, 0
.LBB380_3083:
	s_delay_alu instid0(SALU_CYCLE_1)
	s_and_not1_b32 vcc_lo, exec_lo, s0
	s_cbranch_vccnz .LBB380_3085
; %bb.3084:
	s_wait_xcnt 0x0
	v_cndmask_b32_e64 v0, 0, 1, s4
	global_store_b16 v[2:3], v0, off
.LBB380_3085:
	s_mov_b32 s0, 0
.LBB380_3086:
	s_delay_alu instid0(SALU_CYCLE_1)
	s_and_not1_b32 vcc_lo, exec_lo, s0
	s_cbranch_vccnz .LBB380_3091
; %bb.3087:
	s_sext_i32_i16 s0, s1
	s_delay_alu instid0(SALU_CYCLE_1)
	s_cmp_gt_i32 s0, 0
	s_mov_b32 s0, -1
	s_cbranch_scc0 .LBB380_3089
; %bb.3088:
	s_wait_xcnt 0x0
	v_cndmask_b32_e64 v0, 0, 1, s4
	s_mov_b32 s0, 0
	global_store_b8 v[2:3], v0, off
.LBB380_3089:
	s_and_not1_b32 vcc_lo, exec_lo, s0
	s_cbranch_vccnz .LBB380_3091
; %bb.3090:
	s_wait_xcnt 0x0
	v_cndmask_b32_e64 v0, 0, 1, s4
	global_store_b8 v[2:3], v0, off
	s_endpgm
.LBB380_3091:
	s_endpgm
.LBB380_3092:
	s_mov_b32 s2, 0
	s_mov_b32 s0, -1
	s_branch .LBB380_3048
.LBB380_3093:
	s_or_b32 s10, s10, exec_lo
	s_trap 2
	s_cbranch_execz .LBB380_2563
	s_branch .LBB380_2564
.LBB380_3094:
	s_and_not1_saveexec_b32 s13, s13
	s_cbranch_execz .LBB380_2643
.LBB380_3095:
	v_add_f32_e32 v1, 0x46000000, v3
	s_and_not1_b32 s12, s12, exec_lo
	s_delay_alu instid0(VALU_DEP_1) | instskip(NEXT) | instid1(VALU_DEP_1)
	v_and_b32_e32 v1, 0xff, v1
	v_cmp_ne_u32_e32 vcc_lo, 0, v1
	s_and_b32 s14, vcc_lo, exec_lo
	s_delay_alu instid0(SALU_CYCLE_1)
	s_or_b32 s12, s12, s14
	s_or_b32 exec_lo, exec_lo, s13
	v_mov_b32_e32 v5, 0
	s_and_saveexec_b32 s13, s12
	s_cbranch_execnz .LBB380_2644
	s_branch .LBB380_2645
.LBB380_3096:
	s_or_b32 s10, s10, exec_lo
	s_trap 2
	s_cbranch_execz .LBB380_2691
	s_branch .LBB380_2692
.LBB380_3097:
	s_and_not1_saveexec_b32 s12, s12
	s_cbranch_execz .LBB380_2656
.LBB380_3098:
	v_add_f32_e32 v1, 0x42800000, v3
	s_and_not1_b32 s11, s11, exec_lo
	s_delay_alu instid0(VALU_DEP_1) | instskip(NEXT) | instid1(VALU_DEP_1)
	v_and_b32_e32 v1, 0xff, v1
	v_cmp_ne_u32_e32 vcc_lo, 0, v1
	s_and_b32 s13, vcc_lo, exec_lo
	s_delay_alu instid0(SALU_CYCLE_1)
	s_or_b32 s11, s11, s13
	s_or_b32 exec_lo, exec_lo, s12
	v_mov_b32_e32 v5, 0
	s_and_saveexec_b32 s12, s11
	s_cbranch_execnz .LBB380_2657
	s_branch .LBB380_2658
.LBB380_3099:
	s_and_not1_saveexec_b32 s13, s13
	s_cbranch_execz .LBB380_2761
.LBB380_3100:
	v_add_f32_e32 v1, 0x46000000, v3
	s_and_not1_b32 s12, s12, exec_lo
	s_delay_alu instid0(VALU_DEP_1) | instskip(NEXT) | instid1(VALU_DEP_1)
	v_and_b32_e32 v1, 0xff, v1
	v_cmp_ne_u32_e32 vcc_lo, 0, v1
	s_and_b32 s14, vcc_lo, exec_lo
	s_delay_alu instid0(SALU_CYCLE_1)
	s_or_b32 s12, s12, s14
	s_or_b32 exec_lo, exec_lo, s13
	v_mov_b32_e32 v6, 0
	s_and_saveexec_b32 s13, s12
	s_cbranch_execnz .LBB380_2762
	s_branch .LBB380_2763
.LBB380_3101:
	s_or_b32 s10, s10, exec_lo
	s_trap 2
	s_cbranch_execz .LBB380_2809
	s_branch .LBB380_2810
.LBB380_3102:
	s_and_not1_saveexec_b32 s12, s12
	s_cbranch_execz .LBB380_2774
.LBB380_3103:
	v_add_f32_e32 v1, 0x42800000, v3
	s_and_not1_b32 s11, s11, exec_lo
	s_delay_alu instid0(VALU_DEP_1) | instskip(NEXT) | instid1(VALU_DEP_1)
	v_and_b32_e32 v1, 0xff, v1
	v_cmp_ne_u32_e32 vcc_lo, 0, v1
	s_and_b32 s13, vcc_lo, exec_lo
	s_delay_alu instid0(SALU_CYCLE_1)
	s_or_b32 s11, s11, s13
	s_or_b32 exec_lo, exec_lo, s12
	v_mov_b32_e32 v6, 0
	s_and_saveexec_b32 s12, s11
	s_cbranch_execnz .LBB380_2775
	s_branch .LBB380_2776
.LBB380_3104:
	s_and_not1_saveexec_b32 s13, s13
	s_cbranch_execz .LBB380_2880
.LBB380_3105:
	v_add_f32_e32 v1, 0x46000000, v4
	s_and_not1_b32 s12, s12, exec_lo
	s_delay_alu instid0(VALU_DEP_1) | instskip(NEXT) | instid1(VALU_DEP_1)
	v_and_b32_e32 v1, 0xff, v1
	v_cmp_ne_u32_e32 vcc_lo, 0, v1
	s_and_b32 s14, vcc_lo, exec_lo
	s_delay_alu instid0(SALU_CYCLE_1)
	s_or_b32 s12, s12, s14
	s_or_b32 exec_lo, exec_lo, s13
	v_mov_b32_e32 v5, 0
	s_and_saveexec_b32 s13, s12
	s_cbranch_execnz .LBB380_2881
	s_branch .LBB380_2882
.LBB380_3106:
	s_or_b32 s10, s10, exec_lo
	s_trap 2
	s_cbranch_execz .LBB380_2928
	s_branch .LBB380_2929
.LBB380_3107:
	s_and_not1_saveexec_b32 s12, s12
	s_cbranch_execz .LBB380_2893
.LBB380_3108:
	v_add_f32_e32 v1, 0x42800000, v4
	s_and_not1_b32 s11, s11, exec_lo
	s_delay_alu instid0(VALU_DEP_1) | instskip(NEXT) | instid1(VALU_DEP_1)
	v_and_b32_e32 v1, 0xff, v1
	v_cmp_ne_u32_e32 vcc_lo, 0, v1
	s_and_b32 s13, vcc_lo, exec_lo
	s_delay_alu instid0(SALU_CYCLE_1)
	s_or_b32 s11, s11, s13
	s_or_b32 exec_lo, exec_lo, s12
	v_mov_b32_e32 v5, 0
	s_and_saveexec_b32 s12, s11
	s_cbranch_execnz .LBB380_2894
	s_branch .LBB380_2895
.LBB380_3109:
	s_and_not1_saveexec_b32 s7, s7
	s_cbranch_execz .LBB380_3000
.LBB380_3110:
	v_add_f32_e32 v0, 0x46000000, v1
	s_and_not1_b32 s6, s6, exec_lo
	s_delay_alu instid0(VALU_DEP_1) | instskip(NEXT) | instid1(VALU_DEP_1)
	v_and_b32_e32 v0, 0xff, v0
	v_cmp_ne_u32_e32 vcc_lo, 0, v0
	s_and_b32 s11, vcc_lo, exec_lo
	s_delay_alu instid0(SALU_CYCLE_1)
	s_or_b32 s6, s6, s11
	s_or_b32 exec_lo, exec_lo, s7
	v_mov_b32_e32 v4, 0
	s_and_saveexec_b32 s7, s6
	s_cbranch_execnz .LBB380_3001
	s_branch .LBB380_3002
.LBB380_3111:
	s_mov_b32 s2, 0
	s_or_b32 s10, s10, exec_lo
	s_trap 2
	s_branch .LBB380_3046
.LBB380_3112:
	s_and_not1_saveexec_b32 s6, s6
	s_cbranch_execz .LBB380_3012
.LBB380_3113:
	v_add_f32_e32 v0, 0x42800000, v1
	s_and_not1_b32 s5, s5, exec_lo
	s_delay_alu instid0(VALU_DEP_1) | instskip(NEXT) | instid1(VALU_DEP_1)
	v_and_b32_e32 v0, 0xff, v0
	v_cmp_ne_u32_e32 vcc_lo, 0, v0
	s_and_b32 s7, vcc_lo, exec_lo
	s_delay_alu instid0(SALU_CYCLE_1)
	s_or_b32 s5, s5, s7
	s_or_b32 exec_lo, exec_lo, s6
	v_mov_b32_e32 v4, 0
	s_and_saveexec_b32 s6, s5
	s_cbranch_execnz .LBB380_3013
	s_branch .LBB380_3014
	.section	.rodata,"a",@progbits
	.p2align	6, 0x0
	.amdhsa_kernel _ZN2at6native32elementwise_kernel_manual_unrollILi128ELi4EZNS0_15gpu_kernel_implINS0_13BinaryFunctorIN3c1016Float4_e2m1fn_x2ES5_bNS0_12_GLOBAL__N_116CompareEqFunctorIS5_EEEEEEvRNS_18TensorIteratorBaseERKT_EUlibE0_EEviT1_
		.amdhsa_group_segment_fixed_size 0
		.amdhsa_private_segment_fixed_size 0
		.amdhsa_kernarg_size 432
		.amdhsa_user_sgpr_count 2
		.amdhsa_user_sgpr_dispatch_ptr 0
		.amdhsa_user_sgpr_queue_ptr 0
		.amdhsa_user_sgpr_kernarg_segment_ptr 1
		.amdhsa_user_sgpr_dispatch_id 0
		.amdhsa_user_sgpr_kernarg_preload_length 0
		.amdhsa_user_sgpr_kernarg_preload_offset 0
		.amdhsa_user_sgpr_private_segment_size 0
		.amdhsa_wavefront_size32 1
		.amdhsa_uses_dynamic_stack 0
		.amdhsa_enable_private_segment 0
		.amdhsa_system_sgpr_workgroup_id_x 1
		.amdhsa_system_sgpr_workgroup_id_y 0
		.amdhsa_system_sgpr_workgroup_id_z 0
		.amdhsa_system_sgpr_workgroup_info 0
		.amdhsa_system_vgpr_workitem_id 0
		.amdhsa_next_free_vgpr 28
		.amdhsa_next_free_sgpr 62
		.amdhsa_named_barrier_count 0
		.amdhsa_reserve_vcc 1
		.amdhsa_float_round_mode_32 0
		.amdhsa_float_round_mode_16_64 0
		.amdhsa_float_denorm_mode_32 3
		.amdhsa_float_denorm_mode_16_64 3
		.amdhsa_fp16_overflow 0
		.amdhsa_memory_ordered 1
		.amdhsa_forward_progress 1
		.amdhsa_inst_pref_size 255
		.amdhsa_round_robin_scheduling 0
		.amdhsa_exception_fp_ieee_invalid_op 0
		.amdhsa_exception_fp_denorm_src 0
		.amdhsa_exception_fp_ieee_div_zero 0
		.amdhsa_exception_fp_ieee_overflow 0
		.amdhsa_exception_fp_ieee_underflow 0
		.amdhsa_exception_fp_ieee_inexact 0
		.amdhsa_exception_int_div_zero 0
	.end_amdhsa_kernel
	.section	.text._ZN2at6native32elementwise_kernel_manual_unrollILi128ELi4EZNS0_15gpu_kernel_implINS0_13BinaryFunctorIN3c1016Float4_e2m1fn_x2ES5_bNS0_12_GLOBAL__N_116CompareEqFunctorIS5_EEEEEEvRNS_18TensorIteratorBaseERKT_EUlibE0_EEviT1_,"axG",@progbits,_ZN2at6native32elementwise_kernel_manual_unrollILi128ELi4EZNS0_15gpu_kernel_implINS0_13BinaryFunctorIN3c1016Float4_e2m1fn_x2ES5_bNS0_12_GLOBAL__N_116CompareEqFunctorIS5_EEEEEEvRNS_18TensorIteratorBaseERKT_EUlibE0_EEviT1_,comdat
.Lfunc_end380:
	.size	_ZN2at6native32elementwise_kernel_manual_unrollILi128ELi4EZNS0_15gpu_kernel_implINS0_13BinaryFunctorIN3c1016Float4_e2m1fn_x2ES5_bNS0_12_GLOBAL__N_116CompareEqFunctorIS5_EEEEEEvRNS_18TensorIteratorBaseERKT_EUlibE0_EEviT1_, .Lfunc_end380-_ZN2at6native32elementwise_kernel_manual_unrollILi128ELi4EZNS0_15gpu_kernel_implINS0_13BinaryFunctorIN3c1016Float4_e2m1fn_x2ES5_bNS0_12_GLOBAL__N_116CompareEqFunctorIS5_EEEEEEvRNS_18TensorIteratorBaseERKT_EUlibE0_EEviT1_
                                        ; -- End function
	.set _ZN2at6native32elementwise_kernel_manual_unrollILi128ELi4EZNS0_15gpu_kernel_implINS0_13BinaryFunctorIN3c1016Float4_e2m1fn_x2ES5_bNS0_12_GLOBAL__N_116CompareEqFunctorIS5_EEEEEEvRNS_18TensorIteratorBaseERKT_EUlibE0_EEviT1_.num_vgpr, 28
	.set _ZN2at6native32elementwise_kernel_manual_unrollILi128ELi4EZNS0_15gpu_kernel_implINS0_13BinaryFunctorIN3c1016Float4_e2m1fn_x2ES5_bNS0_12_GLOBAL__N_116CompareEqFunctorIS5_EEEEEEvRNS_18TensorIteratorBaseERKT_EUlibE0_EEviT1_.num_agpr, 0
	.set _ZN2at6native32elementwise_kernel_manual_unrollILi128ELi4EZNS0_15gpu_kernel_implINS0_13BinaryFunctorIN3c1016Float4_e2m1fn_x2ES5_bNS0_12_GLOBAL__N_116CompareEqFunctorIS5_EEEEEEvRNS_18TensorIteratorBaseERKT_EUlibE0_EEviT1_.numbered_sgpr, 62
	.set _ZN2at6native32elementwise_kernel_manual_unrollILi128ELi4EZNS0_15gpu_kernel_implINS0_13BinaryFunctorIN3c1016Float4_e2m1fn_x2ES5_bNS0_12_GLOBAL__N_116CompareEqFunctorIS5_EEEEEEvRNS_18TensorIteratorBaseERKT_EUlibE0_EEviT1_.num_named_barrier, 0
	.set _ZN2at6native32elementwise_kernel_manual_unrollILi128ELi4EZNS0_15gpu_kernel_implINS0_13BinaryFunctorIN3c1016Float4_e2m1fn_x2ES5_bNS0_12_GLOBAL__N_116CompareEqFunctorIS5_EEEEEEvRNS_18TensorIteratorBaseERKT_EUlibE0_EEviT1_.private_seg_size, 0
	.set _ZN2at6native32elementwise_kernel_manual_unrollILi128ELi4EZNS0_15gpu_kernel_implINS0_13BinaryFunctorIN3c1016Float4_e2m1fn_x2ES5_bNS0_12_GLOBAL__N_116CompareEqFunctorIS5_EEEEEEvRNS_18TensorIteratorBaseERKT_EUlibE0_EEviT1_.uses_vcc, 1
	.set _ZN2at6native32elementwise_kernel_manual_unrollILi128ELi4EZNS0_15gpu_kernel_implINS0_13BinaryFunctorIN3c1016Float4_e2m1fn_x2ES5_bNS0_12_GLOBAL__N_116CompareEqFunctorIS5_EEEEEEvRNS_18TensorIteratorBaseERKT_EUlibE0_EEviT1_.uses_flat_scratch, 0
	.set _ZN2at6native32elementwise_kernel_manual_unrollILi128ELi4EZNS0_15gpu_kernel_implINS0_13BinaryFunctorIN3c1016Float4_e2m1fn_x2ES5_bNS0_12_GLOBAL__N_116CompareEqFunctorIS5_EEEEEEvRNS_18TensorIteratorBaseERKT_EUlibE0_EEviT1_.has_dyn_sized_stack, 0
	.set _ZN2at6native32elementwise_kernel_manual_unrollILi128ELi4EZNS0_15gpu_kernel_implINS0_13BinaryFunctorIN3c1016Float4_e2m1fn_x2ES5_bNS0_12_GLOBAL__N_116CompareEqFunctorIS5_EEEEEEvRNS_18TensorIteratorBaseERKT_EUlibE0_EEviT1_.has_recursion, 0
	.set _ZN2at6native32elementwise_kernel_manual_unrollILi128ELi4EZNS0_15gpu_kernel_implINS0_13BinaryFunctorIN3c1016Float4_e2m1fn_x2ES5_bNS0_12_GLOBAL__N_116CompareEqFunctorIS5_EEEEEEvRNS_18TensorIteratorBaseERKT_EUlibE0_EEviT1_.has_indirect_call, 0
	.section	.AMDGPU.csdata,"",@progbits
; Kernel info:
; codeLenInByte = 55652
; TotalNumSgprs: 64
; NumVgprs: 28
; ScratchSize: 0
; MemoryBound: 1
; FloatMode: 240
; IeeeMode: 1
; LDSByteSize: 0 bytes/workgroup (compile time only)
; SGPRBlocks: 0
; VGPRBlocks: 1
; NumSGPRsForWavesPerEU: 64
; NumVGPRsForWavesPerEU: 28
; NamedBarCnt: 0
; Occupancy: 16
; WaveLimiterHint : 1
; COMPUTE_PGM_RSRC2:SCRATCH_EN: 0
; COMPUTE_PGM_RSRC2:USER_SGPR: 2
; COMPUTE_PGM_RSRC2:TRAP_HANDLER: 0
; COMPUTE_PGM_RSRC2:TGID_X_EN: 1
; COMPUTE_PGM_RSRC2:TGID_Y_EN: 0
; COMPUTE_PGM_RSRC2:TGID_Z_EN: 0
; COMPUTE_PGM_RSRC2:TIDIG_COMP_CNT: 0
	.section	.text._ZN2at6native29vectorized_elementwise_kernelILi16ENS0_13AUnaryFunctorIN3c1016Float4_e2m1fn_x2ES4_bNS0_12_GLOBAL__N_116CompareEqFunctorIS4_EEEESt5arrayIPcLm2EEEEviT0_T1_,"axG",@progbits,_ZN2at6native29vectorized_elementwise_kernelILi16ENS0_13AUnaryFunctorIN3c1016Float4_e2m1fn_x2ES4_bNS0_12_GLOBAL__N_116CompareEqFunctorIS4_EEEESt5arrayIPcLm2EEEEviT0_T1_,comdat
	.globl	_ZN2at6native29vectorized_elementwise_kernelILi16ENS0_13AUnaryFunctorIN3c1016Float4_e2m1fn_x2ES4_bNS0_12_GLOBAL__N_116CompareEqFunctorIS4_EEEESt5arrayIPcLm2EEEEviT0_T1_ ; -- Begin function _ZN2at6native29vectorized_elementwise_kernelILi16ENS0_13AUnaryFunctorIN3c1016Float4_e2m1fn_x2ES4_bNS0_12_GLOBAL__N_116CompareEqFunctorIS4_EEEESt5arrayIPcLm2EEEEviT0_T1_
	.p2align	8
	.type	_ZN2at6native29vectorized_elementwise_kernelILi16ENS0_13AUnaryFunctorIN3c1016Float4_e2m1fn_x2ES4_bNS0_12_GLOBAL__N_116CompareEqFunctorIS4_EEEESt5arrayIPcLm2EEEEviT0_T1_,@function
_ZN2at6native29vectorized_elementwise_kernelILi16ENS0_13AUnaryFunctorIN3c1016Float4_e2m1fn_x2ES4_bNS0_12_GLOBAL__N_116CompareEqFunctorIS4_EEEESt5arrayIPcLm2EEEEviT0_T1_: ; @_ZN2at6native29vectorized_elementwise_kernelILi16ENS0_13AUnaryFunctorIN3c1016Float4_e2m1fn_x2ES4_bNS0_12_GLOBAL__N_116CompareEqFunctorIS4_EEEESt5arrayIPcLm2EEEEviT0_T1_
; %bb.0:
	s_clause 0x1
	s_load_b96 s[20:22], s[0:1], 0x0
	s_load_b128 s[16:19], s[0:1], 0x10
	s_wait_xcnt 0x0
	s_bfe_u32 s0, ttmp6, 0x4000c
	s_and_b32 s1, ttmp6, 15
	s_add_co_i32 s0, s0, 1
	s_getreg_b32 s2, hwreg(HW_REG_IB_STS2, 6, 4)
	s_mul_i32 s0, ttmp9, s0
	s_delay_alu instid0(SALU_CYCLE_1) | instskip(SKIP_2) | instid1(SALU_CYCLE_1)
	s_add_co_i32 s1, s1, s0
	s_cmp_eq_u32 s2, 0
	s_cselect_b32 s0, ttmp9, s1
	s_lshl_b32 s24, s0, 12
	s_mov_b32 s0, -1
	s_wait_kmcnt 0x0
	s_sub_co_i32 s15, s20, s24
	s_delay_alu instid0(SALU_CYCLE_1)
	s_cmp_gt_i32 s15, 0xfff
	s_cbranch_scc0 .LBB381_2
; %bb.1:
	s_ashr_i32 s25, s24, 31
	s_cmp_eq_u32 s21, 0
	s_add_nc_u64 s[0:1], s[18:19], s[24:25]
	s_cselect_b32 s20, -1, 0
	global_load_b128 v[2:5], v0, s[0:1] scale_offset
	s_and_b32 s14, s22, 0xff
	s_wait_loadcnt 0x0
	v_and_b32_e32 v16, 0xff, v5
	v_dual_lshrrev_b32 v14, 16, v5 :: v_dual_lshrrev_b32 v15, 24, v5
	v_dual_lshrrev_b32 v11, 16, v4 :: v_dual_lshrrev_b32 v12, 24, v4
	v_and_b32_e32 v13, 0xff, v4
	v_lshrrev_b16 v4, 8, v4
	v_cmp_ne_u16_e64 s0, s14, v16
	v_dual_lshrrev_b32 v1, 16, v2 :: v_dual_lshrrev_b32 v6, 24, v2
	v_and_b32_e32 v7, 0xff, v2
	v_lshrrev_b16 v2, 8, v2
	v_cmp_ne_u16_e64 s1, s14, v15
	;; [unrolled: 4-line block ×3, first 2 shown]
	s_xor_b32 s0, s20, s0
	v_cmp_ne_u16_e64 s3, s14, v13
	v_cmp_ne_u16_e64 s8, s14, v2
	v_cndmask_b32_e64 v2, 0, 1, s0
	s_xor_b32 s0, s20, s1
	v_lshrrev_b16 v5, 8, v5
	v_cmp_ne_u16_e64 s4, s14, v12
	v_cmp_ne_u16_e64 s5, s14, v3
	v_cndmask_b32_e64 v3, 0, 1, s0
	s_xor_b32 s0, s20, s2
	v_cmp_ne_u16_e64 s6, s14, v10
	v_cndmask_b32_e64 v4, 0, 1, s0
	s_xor_b32 s0, s20, s3
	v_cmp_ne_u16_e32 vcc_lo, s14, v5
	v_cndmask_b32_e64 v5, 0, 1, s0
	s_xor_b32 s0, s20, s4
	v_and_b32_e32 v8, 0xff, v8
	v_cmp_ne_u16_e64 s7, s14, v9
	v_cmp_ne_u16_e64 s10, s14, v6
	v_cndmask_b32_e64 v6, 0, 1, s0
	s_xor_b32 s0, s20, s5
	v_and_b32_e32 v14, 0xff, v14
	v_cmp_ne_u16_e64 s9, s14, v7
	v_cndmask_b32_e64 v7, 0, 1, s0
	s_xor_b32 s0, s20, s6
	v_and_b32_e32 v11, 0xff, v11
	v_cmp_ne_u16_e64 s13, s14, v8
	v_cndmask_b32_e64 v8, 0, 1, s0
	s_xor_b32 s0, s20, s7
	v_cmp_ne_u16_e64 s11, s14, v14
	v_cndmask_b32_e64 v9, 0, 1, s0
	s_xor_b32 s0, s20, s8
	v_and_b32_e32 v1, 0xff, v1
	v_cndmask_b32_e64 v10, 0, 1, s0
	s_xor_b32 s0, s20, s9
	v_cmp_ne_u16_e64 s12, s14, v11
	v_cndmask_b32_e64 v11, 0, 1, s0
	s_xor_b32 s0, s20, s10
	v_cmp_ne_u16_e64 s14, s14, v1
	v_cndmask_b32_e64 v12, 0, 1, s0
	s_xor_b32 s0, s20, s11
	s_xor_b32 s23, s20, vcc_lo
	v_cndmask_b32_e64 v13, 0, 1, s0
	s_xor_b32 s0, s20, s12
	v_cndmask_b32_e64 v1, 0, 1, s23
	v_cndmask_b32_e64 v14, 0, 1, s0
	s_xor_b32 s0, s20, s13
	v_lshlrev_b16 v3, 8, v3
	v_cndmask_b32_e64 v15, 0, 1, s0
	s_xor_b32 s0, s20, s14
	v_lshlrev_b16 v1, 8, v1
	v_lshlrev_b16 v4, 8, v4
	v_lshlrev_b16 v6, 8, v6
	v_lshlrev_b16 v7, 8, v7
	v_lshlrev_b16 v9, 8, v9
	v_lshlrev_b16 v10, 8, v10
	v_lshlrev_b16 v12, 8, v12
	v_cndmask_b32_e64 v16, 0, 1, s0
	v_or_b32_e32 v1, v2, v1
	v_or_b32_e32 v2, v13, v3
	v_or_b32_e32 v3, v5, v4
	v_or_b32_e32 v5, v8, v7
	v_or_b32_e32 v7, v11, v10
	v_or_b32_e32 v8, v16, v12
	v_or_b32_e32 v4, v14, v6
	v_or_b32_e32 v6, v15, v9
	v_and_b32_e32 v9, 0xffff, v5
	v_and_b32_e32 v7, 0xffff, v7
	v_lshlrev_b32_e32 v8, 16, v8
	v_dual_lshlrev_b32 v4, 16, v4 :: v_dual_lshlrev_b32 v2, 16, v2
	v_and_b32_e32 v1, 0xffff, v1
	v_lshlrev_b32_e32 v6, 16, v6
	v_and_b32_e32 v3, 0xffff, v3
	s_add_nc_u64 s[2:3], s[16:17], s[24:25]
	s_mov_b32 s0, 0
	v_or_b32_e32 v5, v1, v2
	v_or_b32_e32 v2, v7, v8
	;; [unrolled: 1-line block ×4, first 2 shown]
	global_store_b128 v0, v[2:5], s[2:3] scale_offset
.LBB381_2:
	s_and_not1_b32 vcc_lo, exec_lo, s0
	s_cbranch_vccnz .LBB381_52
; %bb.3:
	v_cmp_gt_i32_e32 vcc_lo, s15, v0
	v_or_b32_e32 v1, 0x100, v0
	v_dual_mov_b32 v10, 0 :: v_dual_bitop2_b32 v6, s24, v0 bitop3:0x54
	v_dual_mov_b32 v14, 0 :: v_dual_mov_b32 v18, 0
	v_dual_mov_b32 v16, 0 :: v_dual_mov_b32 v7, 0
	;; [unrolled: 1-line block ×5, first 2 shown]
	s_wait_xcnt 0x0
	v_dual_mov_b32 v20, 0 :: v_dual_mov_b32 v4, 0
	v_dual_mov_b32 v3, 0 :: v_dual_mov_b32 v13, 0
	v_mov_b32_e32 v15, 0
	s_and_saveexec_b32 s1, vcc_lo
	s_cbranch_execz .LBB381_35
; %bb.4:
	global_load_u8 v15, v6, s[18:19]
	v_dual_mov_b32 v13, 0 :: v_dual_mov_b32 v3, 0
	v_dual_mov_b32 v4, 0 :: v_dual_mov_b32 v20, 0
	v_dual_mov_b32 v19, 0 :: v_dual_mov_b32 v17, 0
	v_dual_mov_b32 v12, 0 :: v_dual_mov_b32 v11, 0
	v_dual_mov_b32 v9, 0 :: v_dual_mov_b32 v8, 0
	v_dual_mov_b32 v7, 0 :: v_dual_mov_b32 v16, 0
	v_dual_mov_b32 v18, 0 :: v_dual_mov_b32 v14, 0
	v_mov_b32_e32 v10, 0
	s_mov_b32 s2, exec_lo
	s_wait_xcnt 0x0
	v_cmpx_gt_u32_e64 s15, v1
	s_cbranch_execz .LBB381_34
; %bb.5:
	v_dual_mov_b32 v3, 0 :: v_dual_add_nc_u32 v2, s24, v0
	v_or_b32_e32 v4, 0x200, v0
	v_dual_mov_b32 v19, 0 :: v_dual_mov_b32 v17, 0
	global_load_u8 v13, v2, s[18:19] offset:256
	v_mov_b32_e32 v20, 0
	v_cmp_gt_u32_e64 s0, s15, v4
	v_dual_mov_b32 v4, 0 :: v_dual_mov_b32 v12, 0
	v_dual_mov_b32 v11, 0 :: v_dual_mov_b32 v9, 0
	;; [unrolled: 1-line block ×5, first 2 shown]
	s_wait_xcnt 0x0
	s_and_saveexec_b32 s3, s0
	s_cbranch_execz .LBB381_33
; %bb.6:
	v_add_nc_u64_e32 v[4:5], s[18:19], v[2:3]
	v_or_b32_e32 v7, 0x300, v0
	v_dual_mov_b32 v20, 0 :: v_dual_mov_b32 v19, 0
	v_dual_mov_b32 v17, 0 :: v_dual_mov_b32 v12, 0
	s_delay_alu instid0(VALU_DEP_3)
	v_cmp_gt_u32_e64 s0, s15, v7
	global_load_u8 v2, v[4:5], off offset:512
	v_dual_mov_b32 v11, 0 :: v_dual_mov_b32 v9, 0
	v_dual_mov_b32 v8, 0 :: v_dual_mov_b32 v7, 0
	;; [unrolled: 1-line block ×4, first 2 shown]
	s_wait_xcnt 0x0
	s_and_saveexec_b32 s4, s0
	s_cbranch_execz .LBB381_32
; %bb.7:
	global_load_u8 v3, v[4:5], off offset:768
	v_or_b32_e32 v7, 0x400, v0
	v_dual_mov_b32 v20, 0 :: v_dual_mov_b32 v19, 0
	v_dual_mov_b32 v17, 0 :: v_dual_mov_b32 v12, 0
	s_delay_alu instid0(VALU_DEP_3)
	v_cmp_gt_u32_e64 s0, s15, v7
	v_dual_mov_b32 v11, 0 :: v_dual_mov_b32 v9, 0
	v_dual_mov_b32 v8, 0 :: v_dual_mov_b32 v7, 0
	;; [unrolled: 1-line block ×4, first 2 shown]
	s_wait_xcnt 0x0
	s_and_saveexec_b32 s5, s0
	s_cbranch_execz .LBB381_31
; %bb.8:
	global_load_u8 v20, v[4:5], off offset:1024
	v_or_b32_e32 v7, 0x500, v0
	v_dual_mov_b32 v19, 0 :: v_dual_mov_b32 v17, 0
	v_dual_mov_b32 v12, 0 :: v_dual_mov_b32 v11, 0
	s_delay_alu instid0(VALU_DEP_3)
	v_cmp_gt_u32_e64 s0, s15, v7
	v_dual_mov_b32 v9, 0 :: v_dual_mov_b32 v8, 0
	v_dual_mov_b32 v7, 0 :: v_dual_mov_b32 v16, 0
	;; [unrolled: 1-line block ×3, first 2 shown]
	v_mov_b32_e32 v10, 0
	s_wait_xcnt 0x0
	s_and_saveexec_b32 s6, s0
	s_cbranch_execz .LBB381_30
; %bb.9:
	global_load_u8 v19, v[4:5], off offset:1280
	v_or_b32_e32 v7, 0x600, v0
	v_dual_mov_b32 v17, 0 :: v_dual_mov_b32 v12, 0
	v_dual_mov_b32 v11, 0 :: v_dual_mov_b32 v9, 0
	s_delay_alu instid0(VALU_DEP_3)
	v_cmp_gt_u32_e64 s0, s15, v7
	v_dual_mov_b32 v8, 0 :: v_dual_mov_b32 v7, 0
	v_dual_mov_b32 v16, 0 :: v_dual_mov_b32 v18, 0
	v_dual_mov_b32 v14, 0 :: v_dual_mov_b32 v10, 0
	s_wait_xcnt 0x0
	s_and_saveexec_b32 s7, s0
	s_cbranch_execz .LBB381_29
; %bb.10:
	global_load_u8 v17, v[4:5], off offset:1536
	v_or_b32_e32 v7, 0x700, v0
	v_dual_mov_b32 v12, 0 :: v_dual_mov_b32 v11, 0
	v_dual_mov_b32 v9, 0 :: v_dual_mov_b32 v8, 0
	s_delay_alu instid0(VALU_DEP_3)
	v_cmp_gt_u32_e64 s0, s15, v7
	v_dual_mov_b32 v7, 0 :: v_dual_mov_b32 v16, 0
	v_dual_mov_b32 v18, 0 :: v_dual_mov_b32 v14, 0
	v_mov_b32_e32 v10, 0
	s_wait_xcnt 0x0
	s_and_saveexec_b32 s8, s0
	s_cbranch_execz .LBB381_28
; %bb.11:
	global_load_u8 v12, v[4:5], off offset:1792
	v_or_b32_e32 v7, 0x800, v0
	v_dual_mov_b32 v11, 0 :: v_dual_mov_b32 v9, 0
	v_dual_mov_b32 v8, 0 :: v_dual_mov_b32 v16, 0
	v_mov_b32_e32 v18, 0
	s_delay_alu instid0(VALU_DEP_4)
	v_cmp_gt_u32_e64 s0, s15, v7
	v_dual_mov_b32 v7, 0 :: v_dual_mov_b32 v14, 0
	v_mov_b32_e32 v10, 0
	s_wait_xcnt 0x0
	s_and_saveexec_b32 s9, s0
	s_cbranch_execz .LBB381_27
; %bb.12:
	global_load_u8 v11, v[4:5], off offset:2048
	v_or_b32_e32 v7, 0x900, v0
	v_dual_mov_b32 v9, 0 :: v_dual_mov_b32 v8, 0
	v_dual_mov_b32 v18, 0 :: v_dual_mov_b32 v14, 0
	s_delay_alu instid0(VALU_DEP_3)
	v_cmp_gt_u32_e64 s0, s15, v7
	v_dual_mov_b32 v7, 0 :: v_dual_mov_b32 v16, 0
	v_mov_b32_e32 v10, 0
	s_wait_xcnt 0x0
	s_and_saveexec_b32 s10, s0
	s_cbranch_execz .LBB381_26
; %bb.13:
	global_load_u8 v9, v[4:5], off offset:2304
	v_or_b32_e32 v7, 0xa00, v0
	v_dual_mov_b32 v8, 0 :: v_dual_mov_b32 v16, 0
	v_dual_mov_b32 v18, 0 :: v_dual_mov_b32 v14, 0
	v_mov_b32_e32 v10, 0
	s_delay_alu instid0(VALU_DEP_4)
	v_cmp_gt_u32_e64 s0, s15, v7
	v_mov_b32_e32 v7, 0
	s_wait_xcnt 0x0
	s_and_saveexec_b32 s11, s0
	s_cbranch_execz .LBB381_25
; %bb.14:
	global_load_u8 v8, v[4:5], off offset:2560
	v_or_b32_e32 v7, 0xb00, v0
	v_dual_mov_b32 v18, 0 :: v_dual_mov_b32 v14, 0
	v_dual_mov_b32 v10, 0 :: v_dual_mov_b32 v16, 0
	s_delay_alu instid0(VALU_DEP_3)
	v_cmp_gt_u32_e64 s0, s15, v7
	v_mov_b32_e32 v7, 0
	s_wait_xcnt 0x0
	s_and_saveexec_b32 s12, s0
	s_cbranch_execz .LBB381_24
; %bb.15:
	global_load_u8 v7, v[4:5], off offset:2816
	v_or_b32_e32 v10, 0xc00, v0
	v_dual_mov_b32 v16, 0 :: v_dual_mov_b32 v18, 0
	v_mov_b32_e32 v14, 0
	s_delay_alu instid0(VALU_DEP_3)
	v_cmp_gt_u32_e64 s0, s15, v10
	v_mov_b32_e32 v10, 0
	s_wait_xcnt 0x0
	s_and_saveexec_b32 s13, s0
	s_cbranch_execz .LBB381_23
; %bb.16:
	global_load_u8 v16, v[4:5], off offset:3072
	v_or_b32_e32 v10, 0xd00, v0
	v_dual_mov_b32 v18, 0 :: v_dual_mov_b32 v14, 0
	s_delay_alu instid0(VALU_DEP_2)
	v_cmp_gt_u32_e64 s0, s15, v10
	v_mov_b32_e32 v10, 0
	s_wait_xcnt 0x0
	s_and_saveexec_b32 s14, s0
	s_cbranch_execz .LBB381_22
; %bb.17:
	global_load_u8 v18, v[4:5], off offset:3328
	v_or_b32_e32 v10, 0xe00, v0
	v_mov_b32_e32 v14, 0
	s_delay_alu instid0(VALU_DEP_2)
	v_cmp_gt_u32_e64 s0, s15, v10
	v_mov_b32_e32 v10, 0
	s_wait_xcnt 0x0
	s_and_saveexec_b32 s18, s0
	s_cbranch_execz .LBB381_21
; %bb.18:
	global_load_u8 v14, v[4:5], off offset:3584
	v_or_b32_e32 v10, 0xf00, v0
	s_delay_alu instid0(VALU_DEP_1)
	v_cmp_gt_u32_e64 s0, s15, v10
	v_mov_b32_e32 v10, 0
	s_wait_xcnt 0x0
	s_and_saveexec_b32 s19, s0
	s_cbranch_execz .LBB381_20
; %bb.19:
	global_load_u8 v10, v[4:5], off offset:3840
.LBB381_20:
	s_wait_xcnt 0x0
	s_or_b32 exec_lo, exec_lo, s19
.LBB381_21:
	s_delay_alu instid0(SALU_CYCLE_1)
	s_or_b32 exec_lo, exec_lo, s18
.LBB381_22:
	s_delay_alu instid0(SALU_CYCLE_1)
	s_or_b32 exec_lo, exec_lo, s14
.LBB381_23:
	s_delay_alu instid0(SALU_CYCLE_1)
	s_or_b32 exec_lo, exec_lo, s13
.LBB381_24:
	s_delay_alu instid0(SALU_CYCLE_1)
	s_or_b32 exec_lo, exec_lo, s12
.LBB381_25:
	s_delay_alu instid0(SALU_CYCLE_1)
	s_or_b32 exec_lo, exec_lo, s11
.LBB381_26:
	s_delay_alu instid0(SALU_CYCLE_1)
	s_or_b32 exec_lo, exec_lo, s10
.LBB381_27:
	s_delay_alu instid0(SALU_CYCLE_1)
	s_or_b32 exec_lo, exec_lo, s9
.LBB381_28:
	s_delay_alu instid0(SALU_CYCLE_1)
	s_or_b32 exec_lo, exec_lo, s8
.LBB381_29:
	s_delay_alu instid0(SALU_CYCLE_1)
	s_or_b32 exec_lo, exec_lo, s7
.LBB381_30:
	s_delay_alu instid0(SALU_CYCLE_1)
	s_or_b32 exec_lo, exec_lo, s6
.LBB381_31:
	s_delay_alu instid0(SALU_CYCLE_1)
	s_or_b32 exec_lo, exec_lo, s5
.LBB381_32:
	s_delay_alu instid0(SALU_CYCLE_1)
	s_or_b32 exec_lo, exec_lo, s4
	s_wait_loadcnt 0x0
	v_dual_mov_b32 v4, v3 :: v_dual_mov_b32 v3, v2
.LBB381_33:
	s_or_b32 exec_lo, exec_lo, s3
.LBB381_34:
	s_delay_alu instid0(SALU_CYCLE_1)
	s_or_b32 exec_lo, exec_lo, s2
.LBB381_35:
	s_delay_alu instid0(SALU_CYCLE_1)
	s_or_b32 exec_lo, exec_lo, s1
	v_and_b32_e32 v2, 0xff, v20
	s_cmp_eq_u32 s21, 0
	v_and_b32_e32 v5, 0xff, v19
	s_cselect_b32 s4, -1, 0
	s_and_b32 s5, s22, 0xff
	s_wait_loadcnt 0x0
	v_and_b32_e32 v13, 0xff, v13
	v_cmp_ne_u16_e64 s0, s5, v2
	v_and_b32_e32 v2, 0xff, v15
	v_and_b32_e32 v3, 0xff, v3
	;; [unrolled: 1-line block ×3, first 2 shown]
	v_cmp_ne_u16_e64 s2, s5, v13
	s_xor_b32 s0, s4, s0
	v_cmp_ne_u16_e64 s1, s5, v2
	v_cndmask_b32_e64 v15, 0, 1, s0
	v_cmp_ne_u16_e64 s0, s5, v5
	v_or_b32_e32 v5, 0x400, v0
	v_and_b32_e32 v4, 0xff, v4
	v_and_b32_e32 v12, 0xff, v12
	v_bitop3_b16 v2, v15, 0, 0xff00 bitop3:0xf8
	s_xor_b32 s0, s4, s0
	v_and_b32_e32 v16, 0xff, v16
	v_cndmask_b32_e64 v13, 0, 1, s0
	s_xor_b32 s0, s4, s1
	v_and_b32_e32 v2, 0xffff, v2
	v_cndmask_b32_e64 v15, 0, 1, s0
	s_xor_b32 s0, s4, s2
	v_lshlrev_b16 v13, 8, v13
	v_cndmask_b32_e64 v19, 0, 1, s0
	v_cmp_gt_i32_e64 s0, s15, v5
	v_cndmask_b32_e32 v5, 0, v15, vcc_lo
	v_cmp_ne_u16_e64 s1, s5, v17
	v_and_b32_e32 v9, 0xff, v9
	v_lshlrev_b16 v15, 8, v19
	v_cndmask_b32_e64 v2, 0, v2, s0
	v_cmp_ne_u16_e64 s0, s5, v3
	v_or_b32_e32 v3, 0x500, v0
	v_cmp_ne_u16_e64 s3, s5, v9
	v_and_b32_e32 v11, 0xff, v11
	v_bitop3_b16 v13, v2, v13, 0xff bitop3:0xec
	s_xor_b32 s0, s4, s0
	v_and_b32_e32 v8, 0xff, v8
	v_cndmask_b32_e64 v17, 0, 1, s0
	v_cmp_gt_i32_e64 s0, s15, v3
	v_and_b32_e32 v13, 0xffff, v13
	v_or_b32_e32 v15, v5, v15
	v_and_b32_e32 v14, 0xff, v14
	v_and_b32_e32 v7, 0xff, v7
	;; [unrolled: 1-line block ×3, first 2 shown]
	v_cndmask_b32_e64 v2, v2, v13, s0
	s_xor_b32 s0, s4, s1
	v_and_b32_e32 v15, 0xffff, v15
	v_cndmask_b32_e64 v3, 0, 1, s0
	v_cmp_gt_i32_e64 s0, s15, v1
	s_delay_alu instid0(VALU_DEP_1) | instskip(SKIP_2) | instid1(VALU_DEP_3)
	v_dual_lshrrev_b32 v13, 16, v2 :: v_dual_cndmask_b32 v5, v5, v15, s0
	v_cmp_ne_u16_e64 s0, s5, v4
	v_or_b32_e32 v4, 0x200, v0
	v_bitop3_b16 v3, v3, v13, 0xff00 bitop3:0xf8
	s_delay_alu instid0(VALU_DEP_4) | instskip(SKIP_4) | instid1(VALU_DEP_2)
	v_lshl_or_b32 v15, v17, 16, v5
	s_xor_b32 s0, s4, s0
	v_or_b32_e32 v17, 0xd00, v0
	v_cndmask_b32_e64 v13, 0, 1, s0
	v_cmp_gt_i32_e64 s0, s15, v4
	v_lshlrev_b16 v13, 8, v13
	s_delay_alu instid0(VALU_DEP_2) | instskip(SKIP_2) | instid1(VALU_DEP_3)
	v_cndmask_b32_e64 v4, v5, v15, s0
	v_cmp_ne_u16_e64 s0, s5, v12
	v_or_b32_e32 v5, 0x600, v0
	v_dual_lshlrev_b32 v3, 16, v3 :: v_dual_lshrrev_b32 v15, 16, v4
	s_xor_b32 s0, s4, s0
	s_delay_alu instid0(VALU_DEP_2)
	v_cmp_gt_i32_e64 s1, s15, v5
	v_cndmask_b32_e64 v5, 0, 1, s0
	v_cmp_ne_u16_e64 s0, s5, v16
	v_and_or_b32 v3, 0xffff, v2, v3
	v_bitop3_b16 v12, v15, v13, 0xff bitop3:0xec
	v_or_b32_e32 v15, 0x800, v0
	v_lshlrev_b16 v5, 8, v5
	s_xor_b32 s0, s4, s0
	s_delay_alu instid0(SALU_CYCLE_1) | instskip(SKIP_4) | instid1(VALU_DEP_3)
	v_cndmask_b32_e64 v9, 0, 1, s0
	v_cndmask_b32_e64 v2, v2, v3, s1
	v_and_b32_e32 v3, 0xff, v18
	v_cmp_ne_u16_e64 s1, s5, v11
	v_lshlrev_b32_e32 v12, 16, v12
	v_cmp_ne_u16_e64 s2, s5, v3
	v_or_b32_e32 v3, 0xc00, v0
	s_delay_alu instid0(VALU_DEP_3) | instskip(SKIP_1) | instid1(SALU_CYCLE_1)
	v_and_or_b32 v12, 0xffff, v4, v12
	s_xor_b32 s0, s4, s2
	v_cndmask_b32_e64 v11, 0, 1, s0
	s_xor_b32 s0, s4, s1
	v_cmp_gt_i32_e64 s1, s15, v17
	v_cndmask_b32_e64 v16, 0, 1, s0
	v_cmp_gt_i32_e64 s0, s15, v3
	s_delay_alu instid0(VALU_DEP_1) | instskip(SKIP_2) | instid1(SALU_CYCLE_1)
	v_cndmask_b32_e64 v3, 0, v9, s0
	v_lshlrev_b16 v9, 8, v11
	s_xor_b32 s0, s4, s3
	v_cndmask_b32_e64 v11, 0, 1, s0
	v_cmp_gt_i32_e64 s0, s15, v15
	s_delay_alu instid0(VALU_DEP_3) | instskip(SKIP_1) | instid1(VALU_DEP_4)
	v_bitop3_b16 v9, v3, v9, 0xff bitop3:0xec
	v_lshrrev_b32_e32 v13, 16, v2
	v_lshlrev_b16 v11, 8, v11
	s_delay_alu instid0(VALU_DEP_4) | instskip(NEXT) | instid1(VALU_DEP_4)
	v_cndmask_b32_e64 v15, 0, v16, s0
	v_and_b32_e32 v9, 0xffff, v9
	v_cmp_ne_u16_e64 s0, s5, v8
	v_or_b32_e32 v16, 0x900, v0
	v_bitop3_b16 v5, v13, v5, 0xff bitop3:0xec
	v_or_b32_e32 v13, 0x300, v0
	v_cndmask_b32_e64 v3, v3, v9, s1
	v_cmp_ne_u16_e64 s1, s5, v14
	s_xor_b32 s0, s4, s0
	s_delay_alu instid0(SALU_CYCLE_1) | instskip(SKIP_1) | instid1(SALU_CYCLE_1)
	v_cndmask_b32_e64 v9, 0, 1, s0
	s_xor_b32 s0, s4, s1
	v_cndmask_b32_e64 v14, 0, 1, s0
	v_cmp_gt_i32_e64 s0, s15, v16
	s_delay_alu instid0(VALU_DEP_3) | instskip(NEXT) | instid1(VALU_DEP_1)
	v_dual_lshlrev_b32 v9, 16, v9 :: v_dual_bitop2_b32 v11, v15, v11 bitop3:0x54
	v_and_b32_e32 v8, 0xffff, v11
	s_delay_alu instid0(VALU_DEP_1) | instskip(SKIP_1) | instid1(VALU_DEP_2)
	v_cndmask_b32_e64 v8, v15, v8, s0
	v_cmp_ne_u16_e64 s0, s5, v7
	v_and_or_b32 v9, 0x1ff, v8, v9
	v_lshrrev_b32_e32 v11, 16, v3
	s_xor_b32 s0, s4, s0
	s_delay_alu instid0(VALU_DEP_1) | instskip(SKIP_1) | instid1(VALU_DEP_1)
	v_bitop3_b16 v11, v14, v11, 0xff00 bitop3:0xf8
	v_or_b32_e32 v14, 0xa00, v0
	v_cmp_gt_i32_e64 s1, s15, v14
	s_delay_alu instid0(VALU_DEP_1) | instskip(SKIP_3) | instid1(VALU_DEP_3)
	v_dual_cndmask_b32 v8, v8, v9, s1 :: v_dual_lshlrev_b32 v7, 16, v11
	v_or_b32_e32 v9, 0xe00, v0
	v_cmp_ne_u16_e64 s1, s5, v10
	v_cndmask_b32_e64 v10, 0, 1, s0
	v_cmp_gt_i32_e64 s0, s15, v9
	v_lshrrev_b32_e32 v9, 16, v8
	v_and_or_b32 v7, 0xffff, v3, v7
	s_delay_alu instid0(VALU_DEP_4) | instskip(NEXT) | instid1(VALU_DEP_2)
	v_lshlrev_b16 v10, 8, v10
	v_cndmask_b32_e64 v7, v3, v7, s0
	s_xor_b32 s0, s4, s1
	s_delay_alu instid0(VALU_DEP_2)
	v_bitop3_b16 v9, v9, v10, 0xff bitop3:0xec
	v_cndmask_b32_e64 v3, 0, 1, s0
	v_lshlrev_b32_e32 v10, 16, v5
	v_cmp_gt_i32_e64 s0, s15, v13
	v_lshrrev_b32_e32 v11, 16, v7
	v_or_b32_e32 v13, 0xf00, v0
	v_lshlrev_b16 v3, 8, v3
	v_and_or_b32 v10, 0xffff, v2, v10
	v_cndmask_b32_e64 v5, v4, v12, s0
	s_delay_alu instid0(VALU_DEP_3) | instskip(SKIP_3) | instid1(VALU_DEP_4)
	v_bitop3_b16 v3, v11, v3, 0xff bitop3:0xec
	v_lshlrev_b32_e32 v4, 16, v9
	v_or_b32_e32 v9, 0x700, v0
	v_or_b32_e32 v11, 0xb00, v0
	v_lshlrev_b32_e32 v3, 16, v3
	s_delay_alu instid0(VALU_DEP_4) | instskip(NEXT) | instid1(VALU_DEP_4)
	v_and_or_b32 v12, 0xffff, v8, v4
	v_cmp_gt_i32_e64 s0, s15, v9
	s_delay_alu instid0(VALU_DEP_3) | instskip(NEXT) | instid1(VALU_DEP_2)
	v_and_or_b32 v14, 0xffff, v7, v3
	v_cndmask_b32_e64 v4, v2, v10, s0
	v_cmp_gt_i32_e64 s0, s15, v11
	s_delay_alu instid0(VALU_DEP_1) | instskip(SKIP_1) | instid1(VALU_DEP_1)
	v_cndmask_b32_e64 v3, v8, v12, s0
	v_cmp_gt_i32_e64 s0, s15, v13
	v_cndmask_b32_e64 v2, v7, v14, s0
	s_and_saveexec_b32 s0, vcc_lo
	s_cbranch_execnz .LBB381_53
; %bb.36:
	s_or_b32 exec_lo, exec_lo, s0
	s_delay_alu instid0(SALU_CYCLE_1)
	s_mov_b32 s0, exec_lo
	v_cmpx_gt_i32_e64 s15, v0
	s_cbranch_execnz .LBB381_54
.LBB381_37:
	s_or_b32 exec_lo, exec_lo, s0
	s_delay_alu instid0(SALU_CYCLE_1)
	s_mov_b32 s0, exec_lo
	v_cmpx_gt_i32_e64 s15, v0
	s_cbranch_execnz .LBB381_55
.LBB381_38:
	s_or_b32 exec_lo, exec_lo, s0
	s_delay_alu instid0(SALU_CYCLE_1)
	s_mov_b32 s0, exec_lo
	v_cmpx_gt_i32_e64 s15, v0
	s_cbranch_execnz .LBB381_56
.LBB381_39:
	s_or_b32 exec_lo, exec_lo, s0
	s_delay_alu instid0(SALU_CYCLE_1)
	s_mov_b32 s0, exec_lo
	v_cmpx_gt_i32_e64 s15, v0
	s_cbranch_execnz .LBB381_57
.LBB381_40:
	s_or_b32 exec_lo, exec_lo, s0
	s_delay_alu instid0(SALU_CYCLE_1)
	s_mov_b32 s0, exec_lo
	v_cmpx_gt_i32_e64 s15, v0
	s_cbranch_execnz .LBB381_58
.LBB381_41:
	s_or_b32 exec_lo, exec_lo, s0
	s_delay_alu instid0(SALU_CYCLE_1)
	s_mov_b32 s0, exec_lo
	v_cmpx_gt_i32_e64 s15, v0
	s_cbranch_execnz .LBB381_59
.LBB381_42:
	s_or_b32 exec_lo, exec_lo, s0
	s_delay_alu instid0(SALU_CYCLE_1)
	s_mov_b32 s0, exec_lo
	v_cmpx_gt_i32_e64 s15, v0
	s_cbranch_execnz .LBB381_60
.LBB381_43:
	s_or_b32 exec_lo, exec_lo, s0
	s_delay_alu instid0(SALU_CYCLE_1)
	s_mov_b32 s0, exec_lo
	v_cmpx_gt_i32_e64 s15, v0
	s_cbranch_execnz .LBB381_61
.LBB381_44:
	s_or_b32 exec_lo, exec_lo, s0
	s_delay_alu instid0(SALU_CYCLE_1)
	s_mov_b32 s0, exec_lo
	v_cmpx_gt_i32_e64 s15, v0
	s_cbranch_execnz .LBB381_62
.LBB381_45:
	s_or_b32 exec_lo, exec_lo, s0
	s_delay_alu instid0(SALU_CYCLE_1)
	s_mov_b32 s0, exec_lo
	v_cmpx_gt_i32_e64 s15, v0
	s_cbranch_execnz .LBB381_63
.LBB381_46:
	s_or_b32 exec_lo, exec_lo, s0
	s_delay_alu instid0(SALU_CYCLE_1)
	s_mov_b32 s0, exec_lo
	v_cmpx_gt_i32_e64 s15, v0
	s_cbranch_execnz .LBB381_64
.LBB381_47:
	s_or_b32 exec_lo, exec_lo, s0
	s_delay_alu instid0(SALU_CYCLE_1)
	s_mov_b32 s0, exec_lo
	v_cmpx_gt_i32_e64 s15, v0
	s_cbranch_execnz .LBB381_65
.LBB381_48:
	s_or_b32 exec_lo, exec_lo, s0
	s_delay_alu instid0(SALU_CYCLE_1)
	s_mov_b32 s0, exec_lo
	v_cmpx_gt_i32_e64 s15, v0
	s_cbranch_execnz .LBB381_66
.LBB381_49:
	s_or_b32 exec_lo, exec_lo, s0
	s_delay_alu instid0(SALU_CYCLE_1)
	s_mov_b32 s0, exec_lo
	v_cmpx_gt_i32_e64 s15, v0
	s_cbranch_execnz .LBB381_67
.LBB381_50:
	s_or_b32 exec_lo, exec_lo, s0
	s_delay_alu instid0(SALU_CYCLE_1)
	s_mov_b32 s0, exec_lo
	v_cmpx_gt_i32_e64 s15, v0
	s_cbranch_execz .LBB381_52
.LBB381_51:
	v_dual_lshrrev_b32 v1, 24, v2 :: v_dual_add_nc_u32 v0, s24, v0
	global_store_b8 v0, v1, s[16:17]
.LBB381_52:
	s_endpgm
.LBB381_53:
	v_mov_b32_e32 v0, v1
	global_store_b8 v6, v5, s[16:17]
	s_wait_xcnt 0x0
	s_or_b32 exec_lo, exec_lo, s0
	s_delay_alu instid0(SALU_CYCLE_1)
	s_mov_b32 s0, exec_lo
	v_cmpx_gt_i32_e64 s15, v0
	s_cbranch_execz .LBB381_37
.LBB381_54:
	v_dual_lshrrev_b32 v1, 8, v5 :: v_dual_add_nc_u32 v6, s24, v0
	v_add_nc_u32_e32 v0, 0x100, v0
	global_store_b8 v6, v1, s[16:17]
	s_wait_xcnt 0x0
	s_or_b32 exec_lo, exec_lo, s0
	s_delay_alu instid0(SALU_CYCLE_1)
	s_mov_b32 s0, exec_lo
	v_cmpx_gt_i32_e64 s15, v0
	s_cbranch_execz .LBB381_38
.LBB381_55:
	v_add_nc_u32_e32 v1, s24, v0
	v_add_nc_u32_e32 v0, 0x100, v0
	global_store_d16_hi_b8 v1, v5, s[16:17]
	s_wait_xcnt 0x0
	s_or_b32 exec_lo, exec_lo, s0
	s_delay_alu instid0(SALU_CYCLE_1)
	s_mov_b32 s0, exec_lo
	v_cmpx_gt_i32_e64 s15, v0
	s_cbranch_execz .LBB381_39
.LBB381_56:
	v_dual_lshrrev_b32 v1, 24, v5 :: v_dual_add_nc_u32 v5, s24, v0
	v_add_nc_u32_e32 v0, 0x100, v0
	global_store_b8 v5, v1, s[16:17]
	s_wait_xcnt 0x0
	s_or_b32 exec_lo, exec_lo, s0
	s_delay_alu instid0(SALU_CYCLE_1)
	s_mov_b32 s0, exec_lo
	v_cmpx_gt_i32_e64 s15, v0
	s_cbranch_execz .LBB381_40
.LBB381_57:
	v_add_nc_u32_e32 v1, s24, v0
	v_add_nc_u32_e32 v0, 0x100, v0
	global_store_b8 v1, v4, s[16:17]
	s_wait_xcnt 0x0
	s_or_b32 exec_lo, exec_lo, s0
	s_delay_alu instid0(SALU_CYCLE_1)
	s_mov_b32 s0, exec_lo
	v_cmpx_gt_i32_e64 s15, v0
	s_cbranch_execz .LBB381_41
.LBB381_58:
	v_lshrrev_b32_e32 v1, 8, v4
	v_add_nc_u32_e32 v5, s24, v0
	v_add_nc_u32_e32 v0, 0x100, v0
	global_store_b8 v5, v1, s[16:17]
	s_wait_xcnt 0x0
	s_or_b32 exec_lo, exec_lo, s0
	s_delay_alu instid0(SALU_CYCLE_1)
	s_mov_b32 s0, exec_lo
	v_cmpx_gt_i32_e64 s15, v0
	s_cbranch_execz .LBB381_42
.LBB381_59:
	v_add_nc_u32_e32 v1, s24, v0
	v_add_nc_u32_e32 v0, 0x100, v0
	global_store_d16_hi_b8 v1, v4, s[16:17]
	s_wait_xcnt 0x0
	s_or_b32 exec_lo, exec_lo, s0
	s_delay_alu instid0(SALU_CYCLE_1)
	s_mov_b32 s0, exec_lo
	v_cmpx_gt_i32_e64 s15, v0
	s_cbranch_execz .LBB381_43
.LBB381_60:
	v_lshrrev_b32_e32 v1, 24, v4
	v_add_nc_u32_e32 v4, s24, v0
	v_add_nc_u32_e32 v0, 0x100, v0
	global_store_b8 v4, v1, s[16:17]
	s_wait_xcnt 0x0
	s_or_b32 exec_lo, exec_lo, s0
	s_delay_alu instid0(SALU_CYCLE_1)
	s_mov_b32 s0, exec_lo
	v_cmpx_gt_i32_e64 s15, v0
	s_cbranch_execz .LBB381_44
.LBB381_61:
	v_add_nc_u32_e32 v1, s24, v0
	v_add_nc_u32_e32 v0, 0x100, v0
	global_store_b8 v1, v3, s[16:17]
	s_wait_xcnt 0x0
	s_or_b32 exec_lo, exec_lo, s0
	s_delay_alu instid0(SALU_CYCLE_1)
	s_mov_b32 s0, exec_lo
	v_cmpx_gt_i32_e64 s15, v0
	s_cbranch_execz .LBB381_45
.LBB381_62:
	v_dual_lshrrev_b32 v1, 8, v3 :: v_dual_add_nc_u32 v4, s24, v0
	v_add_nc_u32_e32 v0, 0x100, v0
	global_store_b8 v4, v1, s[16:17]
	s_wait_xcnt 0x0
	s_or_b32 exec_lo, exec_lo, s0
	s_delay_alu instid0(SALU_CYCLE_1)
	s_mov_b32 s0, exec_lo
	v_cmpx_gt_i32_e64 s15, v0
	s_cbranch_execz .LBB381_46
.LBB381_63:
	v_add_nc_u32_e32 v1, s24, v0
	v_add_nc_u32_e32 v0, 0x100, v0
	global_store_d16_hi_b8 v1, v3, s[16:17]
	s_wait_xcnt 0x0
	s_or_b32 exec_lo, exec_lo, s0
	s_delay_alu instid0(SALU_CYCLE_1)
	s_mov_b32 s0, exec_lo
	v_cmpx_gt_i32_e64 s15, v0
	s_cbranch_execz .LBB381_47
.LBB381_64:
	v_dual_lshrrev_b32 v1, 24, v3 :: v_dual_add_nc_u32 v3, s24, v0
	v_add_nc_u32_e32 v0, 0x100, v0
	global_store_b8 v3, v1, s[16:17]
	s_wait_xcnt 0x0
	s_or_b32 exec_lo, exec_lo, s0
	s_delay_alu instid0(SALU_CYCLE_1)
	s_mov_b32 s0, exec_lo
	v_cmpx_gt_i32_e64 s15, v0
	s_cbranch_execz .LBB381_48
.LBB381_65:
	v_add_nc_u32_e32 v1, s24, v0
	v_add_nc_u32_e32 v0, 0x100, v0
	global_store_b8 v1, v2, s[16:17]
	s_wait_xcnt 0x0
	s_or_b32 exec_lo, exec_lo, s0
	s_delay_alu instid0(SALU_CYCLE_1)
	s_mov_b32 s0, exec_lo
	v_cmpx_gt_i32_e64 s15, v0
	s_cbranch_execz .LBB381_49
.LBB381_66:
	v_dual_lshrrev_b32 v1, 8, v2 :: v_dual_add_nc_u32 v3, s24, v0
	v_add_nc_u32_e32 v0, 0x100, v0
	global_store_b8 v3, v1, s[16:17]
	s_wait_xcnt 0x0
	s_or_b32 exec_lo, exec_lo, s0
	s_delay_alu instid0(SALU_CYCLE_1)
	s_mov_b32 s0, exec_lo
	v_cmpx_gt_i32_e64 s15, v0
	s_cbranch_execz .LBB381_50
.LBB381_67:
	v_add_nc_u32_e32 v1, s24, v0
	v_add_nc_u32_e32 v0, 0x100, v0
	global_store_d16_hi_b8 v1, v2, s[16:17]
	s_wait_xcnt 0x0
	s_or_b32 exec_lo, exec_lo, s0
	s_delay_alu instid0(SALU_CYCLE_1)
	s_mov_b32 s0, exec_lo
	v_cmpx_gt_i32_e64 s15, v0
	s_cbranch_execnz .LBB381_51
	s_branch .LBB381_52
	.section	.rodata,"a",@progbits
	.p2align	6, 0x0
	.amdhsa_kernel _ZN2at6native29vectorized_elementwise_kernelILi16ENS0_13AUnaryFunctorIN3c1016Float4_e2m1fn_x2ES4_bNS0_12_GLOBAL__N_116CompareEqFunctorIS4_EEEESt5arrayIPcLm2EEEEviT0_T1_
		.amdhsa_group_segment_fixed_size 0
		.amdhsa_private_segment_fixed_size 0
		.amdhsa_kernarg_size 32
		.amdhsa_user_sgpr_count 2
		.amdhsa_user_sgpr_dispatch_ptr 0
		.amdhsa_user_sgpr_queue_ptr 0
		.amdhsa_user_sgpr_kernarg_segment_ptr 1
		.amdhsa_user_sgpr_dispatch_id 0
		.amdhsa_user_sgpr_kernarg_preload_length 0
		.amdhsa_user_sgpr_kernarg_preload_offset 0
		.amdhsa_user_sgpr_private_segment_size 0
		.amdhsa_wavefront_size32 1
		.amdhsa_uses_dynamic_stack 0
		.amdhsa_enable_private_segment 0
		.amdhsa_system_sgpr_workgroup_id_x 1
		.amdhsa_system_sgpr_workgroup_id_y 0
		.amdhsa_system_sgpr_workgroup_id_z 0
		.amdhsa_system_sgpr_workgroup_info 0
		.amdhsa_system_vgpr_workitem_id 0
		.amdhsa_next_free_vgpr 21
		.amdhsa_next_free_sgpr 26
		.amdhsa_named_barrier_count 0
		.amdhsa_reserve_vcc 1
		.amdhsa_float_round_mode_32 0
		.amdhsa_float_round_mode_16_64 0
		.amdhsa_float_denorm_mode_32 3
		.amdhsa_float_denorm_mode_16_64 3
		.amdhsa_fp16_overflow 0
		.amdhsa_memory_ordered 1
		.amdhsa_forward_progress 1
		.amdhsa_inst_pref_size 38
		.amdhsa_round_robin_scheduling 0
		.amdhsa_exception_fp_ieee_invalid_op 0
		.amdhsa_exception_fp_denorm_src 0
		.amdhsa_exception_fp_ieee_div_zero 0
		.amdhsa_exception_fp_ieee_overflow 0
		.amdhsa_exception_fp_ieee_underflow 0
		.amdhsa_exception_fp_ieee_inexact 0
		.amdhsa_exception_int_div_zero 0
	.end_amdhsa_kernel
	.section	.text._ZN2at6native29vectorized_elementwise_kernelILi16ENS0_13AUnaryFunctorIN3c1016Float4_e2m1fn_x2ES4_bNS0_12_GLOBAL__N_116CompareEqFunctorIS4_EEEESt5arrayIPcLm2EEEEviT0_T1_,"axG",@progbits,_ZN2at6native29vectorized_elementwise_kernelILi16ENS0_13AUnaryFunctorIN3c1016Float4_e2m1fn_x2ES4_bNS0_12_GLOBAL__N_116CompareEqFunctorIS4_EEEESt5arrayIPcLm2EEEEviT0_T1_,comdat
.Lfunc_end381:
	.size	_ZN2at6native29vectorized_elementwise_kernelILi16ENS0_13AUnaryFunctorIN3c1016Float4_e2m1fn_x2ES4_bNS0_12_GLOBAL__N_116CompareEqFunctorIS4_EEEESt5arrayIPcLm2EEEEviT0_T1_, .Lfunc_end381-_ZN2at6native29vectorized_elementwise_kernelILi16ENS0_13AUnaryFunctorIN3c1016Float4_e2m1fn_x2ES4_bNS0_12_GLOBAL__N_116CompareEqFunctorIS4_EEEESt5arrayIPcLm2EEEEviT0_T1_
                                        ; -- End function
	.set _ZN2at6native29vectorized_elementwise_kernelILi16ENS0_13AUnaryFunctorIN3c1016Float4_e2m1fn_x2ES4_bNS0_12_GLOBAL__N_116CompareEqFunctorIS4_EEEESt5arrayIPcLm2EEEEviT0_T1_.num_vgpr, 21
	.set _ZN2at6native29vectorized_elementwise_kernelILi16ENS0_13AUnaryFunctorIN3c1016Float4_e2m1fn_x2ES4_bNS0_12_GLOBAL__N_116CompareEqFunctorIS4_EEEESt5arrayIPcLm2EEEEviT0_T1_.num_agpr, 0
	.set _ZN2at6native29vectorized_elementwise_kernelILi16ENS0_13AUnaryFunctorIN3c1016Float4_e2m1fn_x2ES4_bNS0_12_GLOBAL__N_116CompareEqFunctorIS4_EEEESt5arrayIPcLm2EEEEviT0_T1_.numbered_sgpr, 26
	.set _ZN2at6native29vectorized_elementwise_kernelILi16ENS0_13AUnaryFunctorIN3c1016Float4_e2m1fn_x2ES4_bNS0_12_GLOBAL__N_116CompareEqFunctorIS4_EEEESt5arrayIPcLm2EEEEviT0_T1_.num_named_barrier, 0
	.set _ZN2at6native29vectorized_elementwise_kernelILi16ENS0_13AUnaryFunctorIN3c1016Float4_e2m1fn_x2ES4_bNS0_12_GLOBAL__N_116CompareEqFunctorIS4_EEEESt5arrayIPcLm2EEEEviT0_T1_.private_seg_size, 0
	.set _ZN2at6native29vectorized_elementwise_kernelILi16ENS0_13AUnaryFunctorIN3c1016Float4_e2m1fn_x2ES4_bNS0_12_GLOBAL__N_116CompareEqFunctorIS4_EEEESt5arrayIPcLm2EEEEviT0_T1_.uses_vcc, 1
	.set _ZN2at6native29vectorized_elementwise_kernelILi16ENS0_13AUnaryFunctorIN3c1016Float4_e2m1fn_x2ES4_bNS0_12_GLOBAL__N_116CompareEqFunctorIS4_EEEESt5arrayIPcLm2EEEEviT0_T1_.uses_flat_scratch, 0
	.set _ZN2at6native29vectorized_elementwise_kernelILi16ENS0_13AUnaryFunctorIN3c1016Float4_e2m1fn_x2ES4_bNS0_12_GLOBAL__N_116CompareEqFunctorIS4_EEEESt5arrayIPcLm2EEEEviT0_T1_.has_dyn_sized_stack, 0
	.set _ZN2at6native29vectorized_elementwise_kernelILi16ENS0_13AUnaryFunctorIN3c1016Float4_e2m1fn_x2ES4_bNS0_12_GLOBAL__N_116CompareEqFunctorIS4_EEEESt5arrayIPcLm2EEEEviT0_T1_.has_recursion, 0
	.set _ZN2at6native29vectorized_elementwise_kernelILi16ENS0_13AUnaryFunctorIN3c1016Float4_e2m1fn_x2ES4_bNS0_12_GLOBAL__N_116CompareEqFunctorIS4_EEEESt5arrayIPcLm2EEEEviT0_T1_.has_indirect_call, 0
	.section	.AMDGPU.csdata,"",@progbits
; Kernel info:
; codeLenInByte = 4792
; TotalNumSgprs: 28
; NumVgprs: 21
; ScratchSize: 0
; MemoryBound: 0
; FloatMode: 240
; IeeeMode: 1
; LDSByteSize: 0 bytes/workgroup (compile time only)
; SGPRBlocks: 0
; VGPRBlocks: 1
; NumSGPRsForWavesPerEU: 28
; NumVGPRsForWavesPerEU: 21
; NamedBarCnt: 0
; Occupancy: 16
; WaveLimiterHint : 0
; COMPUTE_PGM_RSRC2:SCRATCH_EN: 0
; COMPUTE_PGM_RSRC2:USER_SGPR: 2
; COMPUTE_PGM_RSRC2:TRAP_HANDLER: 0
; COMPUTE_PGM_RSRC2:TGID_X_EN: 1
; COMPUTE_PGM_RSRC2:TGID_Y_EN: 0
; COMPUTE_PGM_RSRC2:TGID_Z_EN: 0
; COMPUTE_PGM_RSRC2:TIDIG_COMP_CNT: 0
	.section	.text._ZN2at6native29vectorized_elementwise_kernelILi8ENS0_13AUnaryFunctorIN3c1016Float4_e2m1fn_x2ES4_bNS0_12_GLOBAL__N_116CompareEqFunctorIS4_EEEESt5arrayIPcLm2EEEEviT0_T1_,"axG",@progbits,_ZN2at6native29vectorized_elementwise_kernelILi8ENS0_13AUnaryFunctorIN3c1016Float4_e2m1fn_x2ES4_bNS0_12_GLOBAL__N_116CompareEqFunctorIS4_EEEESt5arrayIPcLm2EEEEviT0_T1_,comdat
	.globl	_ZN2at6native29vectorized_elementwise_kernelILi8ENS0_13AUnaryFunctorIN3c1016Float4_e2m1fn_x2ES4_bNS0_12_GLOBAL__N_116CompareEqFunctorIS4_EEEESt5arrayIPcLm2EEEEviT0_T1_ ; -- Begin function _ZN2at6native29vectorized_elementwise_kernelILi8ENS0_13AUnaryFunctorIN3c1016Float4_e2m1fn_x2ES4_bNS0_12_GLOBAL__N_116CompareEqFunctorIS4_EEEESt5arrayIPcLm2EEEEviT0_T1_
	.p2align	8
	.type	_ZN2at6native29vectorized_elementwise_kernelILi8ENS0_13AUnaryFunctorIN3c1016Float4_e2m1fn_x2ES4_bNS0_12_GLOBAL__N_116CompareEqFunctorIS4_EEEESt5arrayIPcLm2EEEEviT0_T1_,@function
_ZN2at6native29vectorized_elementwise_kernelILi8ENS0_13AUnaryFunctorIN3c1016Float4_e2m1fn_x2ES4_bNS0_12_GLOBAL__N_116CompareEqFunctorIS4_EEEESt5arrayIPcLm2EEEEviT0_T1_: ; @_ZN2at6native29vectorized_elementwise_kernelILi8ENS0_13AUnaryFunctorIN3c1016Float4_e2m1fn_x2ES4_bNS0_12_GLOBAL__N_116CompareEqFunctorIS4_EEEESt5arrayIPcLm2EEEEviT0_T1_
; %bb.0:
	s_clause 0x1
	s_load_b96 s[12:14], s[0:1], 0x0
	s_load_b128 s[8:11], s[0:1], 0x10
	s_wait_xcnt 0x0
	s_bfe_u32 s0, ttmp6, 0x4000c
	s_and_b32 s1, ttmp6, 15
	s_add_co_i32 s0, s0, 1
	s_getreg_b32 s2, hwreg(HW_REG_IB_STS2, 6, 4)
	s_mul_i32 s0, ttmp9, s0
	s_delay_alu instid0(SALU_CYCLE_1) | instskip(SKIP_2) | instid1(SALU_CYCLE_1)
	s_add_co_i32 s1, s1, s0
	s_cmp_eq_u32 s2, 0
	s_cselect_b32 s0, ttmp9, s1
	s_lshl_b32 s16, s0, 12
	s_mov_b32 s0, -1
	s_wait_kmcnt 0x0
	s_sub_co_i32 s12, s12, s16
	s_delay_alu instid0(SALU_CYCLE_1)
	s_cmp_gt_i32 s12, 0xfff
	s_cbranch_scc0 .LBB382_2
; %bb.1:
	s_ashr_i32 s17, s16, 31
	s_cmp_eq_u32 s13, 0
	s_add_nc_u64 s[0:1], s[10:11], s[16:17]
	s_cselect_b32 s15, -1, 0
	s_clause 0x1
	global_load_b64 v[2:3], v0, s[0:1] scale_offset
	global_load_b64 v[4:5], v0, s[0:1] offset:2048 scale_offset
	s_and_b32 s18, s14, 0xff
	s_wait_loadcnt 0x1
	v_and_b32_e32 v1, 0xff, v2
	v_dual_lshrrev_b32 v6, 8, v2 :: v_dual_lshrrev_b32 v7, 16, v2
	v_dual_lshrrev_b32 v2, 24, v2 :: v_dual_lshrrev_b32 v9, 8, v3
	v_and_b32_e32 v8, 0xff, v3
	v_dual_lshrrev_b32 v10, 16, v3 :: v_dual_lshrrev_b32 v3, 24, v3
	s_wait_xcnt 0x0
	s_delay_alu instid0(VALU_DEP_3)
	v_cmp_ne_u16_e64 s0, s18, v2
	s_wait_loadcnt 0x0
	v_and_b32_e32 v11, 0xff, v4
	v_cmp_ne_u16_e32 vcc_lo, s18, v1
	v_and_b32_e32 v1, 0xff, v6
	v_cmp_ne_u16_e64 s1, s18, v8
	v_dual_lshrrev_b32 v12, 8, v4 :: v_dual_lshrrev_b32 v13, 16, v4
	v_dual_lshrrev_b32 v4, 24, v4 :: v_dual_lshrrev_b32 v15, 8, v5
	v_and_b32_e32 v14, 0xff, v5
	v_dual_lshrrev_b32 v16, 16, v5 :: v_dual_lshrrev_b32 v5, 24, v5
	v_and_b32_e32 v6, 0xff, v7
	v_and_b32_e32 v2, 0xff, v9
	v_cmp_ne_u16_e64 s2, s18, v3
	s_xor_b32 s0, s15, s0
	v_and_b32_e32 v7, 0xff, v10
	v_cmp_ne_u16_e64 s3, s18, v11
	s_xor_b32 s7, s15, vcc_lo
	v_cmp_ne_u16_e32 vcc_lo, s18, v1
	v_cndmask_b32_e64 v1, 0, 1, s0
	s_xor_b32 s0, s15, s1
	v_and_b32_e32 v3, 0xff, v12
	v_cmp_ne_u16_e64 s4, s18, v4
	v_cmp_ne_u16_e64 s6, s18, v5
	v_cndmask_b32_e64 v5, 0, 1, s7
	v_cmp_ne_u16_e64 s7, s18, v6
	v_cndmask_b32_e64 v6, 0, 1, s0
	v_cmp_ne_u16_e64 s0, s18, v2
	s_xor_b32 s2, s15, s2
	v_and_b32_e32 v8, 0xff, v13
	v_cmp_ne_u16_e64 s5, s18, v14
	v_cmp_ne_u16_e64 s1, s18, v7
	v_cndmask_b32_e64 v2, 0, 1, s2
	s_xor_b32 s2, s15, s3
	v_and_b32_e32 v4, 0xff, v15
	v_cndmask_b32_e64 v7, 0, 1, s2
	v_cmp_ne_u16_e64 s2, s18, v3
	s_xor_b32 s4, s15, s4
	s_xor_b32 s0, s15, s0
	v_cmp_ne_u16_e64 s3, s18, v8
	v_cndmask_b32_e64 v3, 0, 1, s4
	s_xor_b32 s4, s15, s5
	v_cndmask_b32_e64 v11, 0, 1, s0
	s_xor_b32 s0, s15, s1
	v_and_b32_e32 v9, 0xff, v16
	v_cndmask_b32_e64 v8, 0, 1, s4
	v_cmp_ne_u16_e64 s4, s18, v4
	v_cndmask_b32_e64 v12, 0, 1, s0
	s_xor_b32 s0, s15, s2
	s_xor_b32 s6, s15, s6
	v_cndmask_b32_e64 v13, 0, 1, s0
	s_xor_b32 s0, s15, s3
	v_cmp_ne_u16_e64 s5, s18, v9
	v_cndmask_b32_e64 v4, 0, 1, s6
	s_xor_b32 s6, s15, vcc_lo
	v_cndmask_b32_e64 v14, 0, 1, s0
	s_xor_b32 s0, s15, s4
	v_cndmask_b32_e64 v9, 0, 1, s6
	v_cndmask_b32_e64 v15, 0, 1, s0
	v_lshlrev_b16 v3, 8, v3
	s_xor_b32 s6, s15, s7
	s_xor_b32 s0, s15, s5
	v_cndmask_b32_e64 v10, 0, 1, s6
	v_cndmask_b32_e64 v16, 0, 1, s0
	v_lshlrev_b16 v4, 8, v4
	v_lshlrev_b16 v2, 8, v2
	;; [unrolled: 1-line block ×4, first 2 shown]
	v_or_b32_e32 v3, v14, v3
	v_lshlrev_b16 v11, 8, v11
	v_lshlrev_b16 v9, 8, v9
	;; [unrolled: 1-line block ×3, first 2 shown]
	v_or_b32_e32 v4, v16, v4
	v_or_b32_e32 v1, v10, v1
	;; [unrolled: 1-line block ×4, first 2 shown]
	v_lshlrev_b32_e32 v10, 16, v3
	v_or_b32_e32 v3, v6, v11
	v_or_b32_e32 v5, v5, v9
	v_dual_lshlrev_b32 v4, 16, v4 :: v_dual_bitop2_b32 v7, v7, v13 bitop3:0x54
	v_dual_lshlrev_b32 v1, 16, v1 :: v_dual_lshlrev_b32 v2, 16, v2
	v_and_b32_e32 v6, 0xffff, v8
	v_and_b32_e32 v8, 0xffff, v3
	;; [unrolled: 1-line block ×4, first 2 shown]
	s_add_nc_u64 s[2:3], s[8:9], s[16:17]
	v_or_b32_e32 v3, v6, v4
	v_or_b32_e32 v5, v8, v2
	;; [unrolled: 1-line block ×4, first 2 shown]
	s_mov_b32 s0, 0
	s_clause 0x1
	global_store_b64 v0, v[4:5], s[2:3] scale_offset
	global_store_b64 v0, v[2:3], s[2:3] offset:2048 scale_offset
.LBB382_2:
	s_and_not1_b32 vcc_lo, exec_lo, s0
	s_cbranch_vccnz .LBB382_52
; %bb.3:
	v_cmp_gt_i32_e32 vcc_lo, s12, v0
	v_or_b32_e32 v1, 0x100, v0
	v_dual_mov_b32 v10, 0 :: v_dual_bitop2_b32 v6, s16, v0 bitop3:0x54
	v_dual_mov_b32 v14, 0 :: v_dual_mov_b32 v18, 0
	v_dual_mov_b32 v16, 0 :: v_dual_mov_b32 v7, 0
	;; [unrolled: 1-line block ×5, first 2 shown]
	s_wait_xcnt 0x1
	v_dual_mov_b32 v20, 0 :: v_dual_mov_b32 v4, 0
	s_wait_xcnt 0x0
	v_dual_mov_b32 v3, 0 :: v_dual_mov_b32 v13, 0
	v_mov_b32_e32 v15, 0
	s_and_saveexec_b32 s1, vcc_lo
	s_cbranch_execz .LBB382_35
; %bb.4:
	global_load_u8 v15, v6, s[10:11]
	v_dual_mov_b32 v13, 0 :: v_dual_mov_b32 v3, 0
	v_dual_mov_b32 v4, 0 :: v_dual_mov_b32 v20, 0
	;; [unrolled: 1-line block ×7, first 2 shown]
	v_mov_b32_e32 v10, 0
	s_mov_b32 s2, exec_lo
	s_wait_xcnt 0x0
	v_cmpx_gt_u32_e64 s12, v1
	s_cbranch_execz .LBB382_34
; %bb.5:
	v_dual_mov_b32 v3, 0 :: v_dual_add_nc_u32 v2, s16, v0
	v_or_b32_e32 v4, 0x200, v0
	v_dual_mov_b32 v19, 0 :: v_dual_mov_b32 v17, 0
	global_load_u8 v13, v2, s[10:11] offset:256
	v_mov_b32_e32 v20, 0
	v_cmp_gt_u32_e64 s0, s12, v4
	v_dual_mov_b32 v4, 0 :: v_dual_mov_b32 v12, 0
	v_dual_mov_b32 v11, 0 :: v_dual_mov_b32 v9, 0
	;; [unrolled: 1-line block ×5, first 2 shown]
	s_wait_xcnt 0x0
	s_and_saveexec_b32 s3, s0
	s_cbranch_execz .LBB382_33
; %bb.6:
	v_add_nc_u64_e32 v[4:5], s[10:11], v[2:3]
	v_or_b32_e32 v7, 0x300, v0
	v_dual_mov_b32 v20, 0 :: v_dual_mov_b32 v19, 0
	v_dual_mov_b32 v17, 0 :: v_dual_mov_b32 v12, 0
	s_delay_alu instid0(VALU_DEP_3)
	v_cmp_gt_u32_e64 s0, s12, v7
	global_load_u8 v2, v[4:5], off offset:512
	v_dual_mov_b32 v11, 0 :: v_dual_mov_b32 v9, 0
	v_dual_mov_b32 v8, 0 :: v_dual_mov_b32 v7, 0
	;; [unrolled: 1-line block ×4, first 2 shown]
	s_wait_xcnt 0x0
	s_and_saveexec_b32 s4, s0
	s_cbranch_execz .LBB382_32
; %bb.7:
	global_load_u8 v3, v[4:5], off offset:768
	v_or_b32_e32 v7, 0x400, v0
	v_dual_mov_b32 v20, 0 :: v_dual_mov_b32 v19, 0
	v_dual_mov_b32 v17, 0 :: v_dual_mov_b32 v12, 0
	s_delay_alu instid0(VALU_DEP_3)
	v_cmp_gt_u32_e64 s0, s12, v7
	v_dual_mov_b32 v11, 0 :: v_dual_mov_b32 v9, 0
	v_dual_mov_b32 v8, 0 :: v_dual_mov_b32 v7, 0
	;; [unrolled: 1-line block ×4, first 2 shown]
	s_wait_xcnt 0x0
	s_and_saveexec_b32 s5, s0
	s_cbranch_execz .LBB382_31
; %bb.8:
	global_load_u8 v20, v[4:5], off offset:1024
	v_or_b32_e32 v7, 0x500, v0
	v_dual_mov_b32 v19, 0 :: v_dual_mov_b32 v17, 0
	v_dual_mov_b32 v12, 0 :: v_dual_mov_b32 v11, 0
	s_delay_alu instid0(VALU_DEP_3)
	v_cmp_gt_u32_e64 s0, s12, v7
	v_dual_mov_b32 v9, 0 :: v_dual_mov_b32 v8, 0
	v_dual_mov_b32 v7, 0 :: v_dual_mov_b32 v16, 0
	;; [unrolled: 1-line block ×3, first 2 shown]
	v_mov_b32_e32 v10, 0
	s_wait_xcnt 0x0
	s_and_saveexec_b32 s6, s0
	s_cbranch_execz .LBB382_30
; %bb.9:
	global_load_u8 v19, v[4:5], off offset:1280
	v_or_b32_e32 v7, 0x600, v0
	v_dual_mov_b32 v17, 0 :: v_dual_mov_b32 v12, 0
	v_dual_mov_b32 v11, 0 :: v_dual_mov_b32 v9, 0
	s_delay_alu instid0(VALU_DEP_3)
	v_cmp_gt_u32_e64 s0, s12, v7
	v_dual_mov_b32 v8, 0 :: v_dual_mov_b32 v7, 0
	v_dual_mov_b32 v16, 0 :: v_dual_mov_b32 v18, 0
	;; [unrolled: 1-line block ×3, first 2 shown]
	s_wait_xcnt 0x0
	s_and_saveexec_b32 s7, s0
	s_cbranch_execz .LBB382_29
; %bb.10:
	global_load_u8 v17, v[4:5], off offset:1536
	v_or_b32_e32 v7, 0x700, v0
	v_dual_mov_b32 v12, 0 :: v_dual_mov_b32 v11, 0
	v_dual_mov_b32 v9, 0 :: v_dual_mov_b32 v8, 0
	s_delay_alu instid0(VALU_DEP_3)
	v_cmp_gt_u32_e64 s0, s12, v7
	v_dual_mov_b32 v7, 0 :: v_dual_mov_b32 v16, 0
	v_dual_mov_b32 v18, 0 :: v_dual_mov_b32 v14, 0
	v_mov_b32_e32 v10, 0
	s_wait_xcnt 0x0
	s_and_saveexec_b32 s10, s0
	s_cbranch_execz .LBB382_28
; %bb.11:
	global_load_u8 v12, v[4:5], off offset:1792
	v_or_b32_e32 v7, 0x800, v0
	v_dual_mov_b32 v11, 0 :: v_dual_mov_b32 v9, 0
	v_dual_mov_b32 v8, 0 :: v_dual_mov_b32 v16, 0
	v_mov_b32_e32 v18, 0
	s_delay_alu instid0(VALU_DEP_4)
	v_cmp_gt_u32_e64 s0, s12, v7
	v_dual_mov_b32 v7, 0 :: v_dual_mov_b32 v14, 0
	v_mov_b32_e32 v10, 0
	s_wait_xcnt 0x0
	s_and_saveexec_b32 s11, s0
	s_cbranch_execz .LBB382_27
; %bb.12:
	global_load_u8 v11, v[4:5], off offset:2048
	v_or_b32_e32 v7, 0x900, v0
	v_dual_mov_b32 v9, 0 :: v_dual_mov_b32 v8, 0
	v_dual_mov_b32 v18, 0 :: v_dual_mov_b32 v14, 0
	s_delay_alu instid0(VALU_DEP_3)
	v_cmp_gt_u32_e64 s0, s12, v7
	v_dual_mov_b32 v7, 0 :: v_dual_mov_b32 v16, 0
	v_mov_b32_e32 v10, 0
	s_wait_xcnt 0x0
	s_and_saveexec_b32 s15, s0
	s_cbranch_execz .LBB382_26
; %bb.13:
	global_load_u8 v9, v[4:5], off offset:2304
	v_or_b32_e32 v7, 0xa00, v0
	v_dual_mov_b32 v8, 0 :: v_dual_mov_b32 v16, 0
	v_dual_mov_b32 v18, 0 :: v_dual_mov_b32 v14, 0
	v_mov_b32_e32 v10, 0
	s_delay_alu instid0(VALU_DEP_4)
	v_cmp_gt_u32_e64 s0, s12, v7
	v_mov_b32_e32 v7, 0
	s_wait_xcnt 0x0
	s_and_saveexec_b32 s17, s0
	s_cbranch_execz .LBB382_25
; %bb.14:
	global_load_u8 v8, v[4:5], off offset:2560
	v_or_b32_e32 v7, 0xb00, v0
	v_dual_mov_b32 v18, 0 :: v_dual_mov_b32 v14, 0
	v_dual_mov_b32 v10, 0 :: v_dual_mov_b32 v16, 0
	s_delay_alu instid0(VALU_DEP_3)
	v_cmp_gt_u32_e64 s0, s12, v7
	v_mov_b32_e32 v7, 0
	s_wait_xcnt 0x0
	s_and_saveexec_b32 s18, s0
	s_cbranch_execz .LBB382_24
; %bb.15:
	global_load_u8 v7, v[4:5], off offset:2816
	v_or_b32_e32 v10, 0xc00, v0
	v_dual_mov_b32 v16, 0 :: v_dual_mov_b32 v18, 0
	v_mov_b32_e32 v14, 0
	s_delay_alu instid0(VALU_DEP_3)
	v_cmp_gt_u32_e64 s0, s12, v10
	v_mov_b32_e32 v10, 0
	s_wait_xcnt 0x0
	s_and_saveexec_b32 s19, s0
	s_cbranch_execz .LBB382_23
; %bb.16:
	global_load_u8 v16, v[4:5], off offset:3072
	v_or_b32_e32 v10, 0xd00, v0
	v_dual_mov_b32 v18, 0 :: v_dual_mov_b32 v14, 0
	s_delay_alu instid0(VALU_DEP_2)
	v_cmp_gt_u32_e64 s0, s12, v10
	v_mov_b32_e32 v10, 0
	s_wait_xcnt 0x0
	s_and_saveexec_b32 s20, s0
	s_cbranch_execz .LBB382_22
; %bb.17:
	global_load_u8 v18, v[4:5], off offset:3328
	v_or_b32_e32 v10, 0xe00, v0
	v_mov_b32_e32 v14, 0
	s_delay_alu instid0(VALU_DEP_2)
	v_cmp_gt_u32_e64 s0, s12, v10
	v_mov_b32_e32 v10, 0
	s_wait_xcnt 0x0
	s_and_saveexec_b32 s21, s0
	s_cbranch_execz .LBB382_21
; %bb.18:
	global_load_u8 v14, v[4:5], off offset:3584
	v_or_b32_e32 v10, 0xf00, v0
	s_delay_alu instid0(VALU_DEP_1)
	v_cmp_gt_u32_e64 s0, s12, v10
	v_mov_b32_e32 v10, 0
	s_wait_xcnt 0x0
	s_and_saveexec_b32 s22, s0
	s_cbranch_execz .LBB382_20
; %bb.19:
	global_load_u8 v10, v[4:5], off offset:3840
.LBB382_20:
	s_wait_xcnt 0x0
	s_or_b32 exec_lo, exec_lo, s22
.LBB382_21:
	s_delay_alu instid0(SALU_CYCLE_1)
	s_or_b32 exec_lo, exec_lo, s21
.LBB382_22:
	s_delay_alu instid0(SALU_CYCLE_1)
	s_or_b32 exec_lo, exec_lo, s20
.LBB382_23:
	s_delay_alu instid0(SALU_CYCLE_1)
	s_or_b32 exec_lo, exec_lo, s19
.LBB382_24:
	s_delay_alu instid0(SALU_CYCLE_1)
	s_or_b32 exec_lo, exec_lo, s18
.LBB382_25:
	s_delay_alu instid0(SALU_CYCLE_1)
	s_or_b32 exec_lo, exec_lo, s17
.LBB382_26:
	s_delay_alu instid0(SALU_CYCLE_1)
	s_or_b32 exec_lo, exec_lo, s15
.LBB382_27:
	s_delay_alu instid0(SALU_CYCLE_1)
	s_or_b32 exec_lo, exec_lo, s11
.LBB382_28:
	s_delay_alu instid0(SALU_CYCLE_1)
	s_or_b32 exec_lo, exec_lo, s10
.LBB382_29:
	s_delay_alu instid0(SALU_CYCLE_1)
	s_or_b32 exec_lo, exec_lo, s7
.LBB382_30:
	s_delay_alu instid0(SALU_CYCLE_1)
	s_or_b32 exec_lo, exec_lo, s6
.LBB382_31:
	s_delay_alu instid0(SALU_CYCLE_1)
	s_or_b32 exec_lo, exec_lo, s5
.LBB382_32:
	s_delay_alu instid0(SALU_CYCLE_1)
	s_or_b32 exec_lo, exec_lo, s4
	s_wait_loadcnt 0x0
	v_dual_mov_b32 v4, v3 :: v_dual_mov_b32 v3, v2
.LBB382_33:
	s_or_b32 exec_lo, exec_lo, s3
.LBB382_34:
	s_delay_alu instid0(SALU_CYCLE_1)
	s_or_b32 exec_lo, exec_lo, s2
.LBB382_35:
	s_delay_alu instid0(SALU_CYCLE_1)
	s_or_b32 exec_lo, exec_lo, s1
	v_and_b32_e32 v2, 0xff, v20
	s_cmp_eq_u32 s13, 0
	v_and_b32_e32 v5, 0xff, v19
	s_cselect_b32 s4, -1, 0
	s_and_b32 s5, s14, 0xff
	s_wait_loadcnt 0x0
	v_and_b32_e32 v13, 0xff, v13
	v_cmp_ne_u16_e64 s0, s5, v2
	v_and_b32_e32 v2, 0xff, v15
	v_and_b32_e32 v3, 0xff, v3
	;; [unrolled: 1-line block ×3, first 2 shown]
	v_cmp_ne_u16_e64 s2, s5, v13
	s_xor_b32 s0, s4, s0
	v_cmp_ne_u16_e64 s1, s5, v2
	v_cndmask_b32_e64 v15, 0, 1, s0
	v_cmp_ne_u16_e64 s0, s5, v5
	v_or_b32_e32 v5, 0x400, v0
	v_and_b32_e32 v4, 0xff, v4
	v_and_b32_e32 v12, 0xff, v12
	v_bitop3_b16 v2, v15, 0, 0xff00 bitop3:0xf8
	s_xor_b32 s0, s4, s0
	v_and_b32_e32 v16, 0xff, v16
	v_cndmask_b32_e64 v13, 0, 1, s0
	s_xor_b32 s0, s4, s1
	v_and_b32_e32 v2, 0xffff, v2
	v_cndmask_b32_e64 v15, 0, 1, s0
	s_xor_b32 s0, s4, s2
	v_lshlrev_b16 v13, 8, v13
	v_cndmask_b32_e64 v19, 0, 1, s0
	v_cmp_gt_i32_e64 s0, s12, v5
	v_cndmask_b32_e32 v5, 0, v15, vcc_lo
	v_cmp_ne_u16_e64 s1, s5, v17
	v_and_b32_e32 v9, 0xff, v9
	v_lshlrev_b16 v15, 8, v19
	v_cndmask_b32_e64 v2, 0, v2, s0
	v_cmp_ne_u16_e64 s0, s5, v3
	v_or_b32_e32 v3, 0x500, v0
	v_cmp_ne_u16_e64 s3, s5, v9
	v_and_b32_e32 v11, 0xff, v11
	v_bitop3_b16 v13, v2, v13, 0xff bitop3:0xec
	s_xor_b32 s0, s4, s0
	v_and_b32_e32 v8, 0xff, v8
	v_cndmask_b32_e64 v17, 0, 1, s0
	v_cmp_gt_i32_e64 s0, s12, v3
	v_and_b32_e32 v13, 0xffff, v13
	v_or_b32_e32 v15, v5, v15
	v_and_b32_e32 v14, 0xff, v14
	v_and_b32_e32 v7, 0xff, v7
	;; [unrolled: 1-line block ×3, first 2 shown]
	v_cndmask_b32_e64 v2, v2, v13, s0
	s_xor_b32 s0, s4, s1
	v_and_b32_e32 v15, 0xffff, v15
	v_cndmask_b32_e64 v3, 0, 1, s0
	v_cmp_gt_i32_e64 s0, s12, v1
	s_delay_alu instid0(VALU_DEP_1) | instskip(SKIP_2) | instid1(VALU_DEP_3)
	v_dual_lshrrev_b32 v13, 16, v2 :: v_dual_cndmask_b32 v5, v5, v15, s0
	v_cmp_ne_u16_e64 s0, s5, v4
	v_or_b32_e32 v4, 0x200, v0
	v_bitop3_b16 v3, v3, v13, 0xff00 bitop3:0xf8
	s_delay_alu instid0(VALU_DEP_4) | instskip(SKIP_4) | instid1(VALU_DEP_2)
	v_lshl_or_b32 v15, v17, 16, v5
	s_xor_b32 s0, s4, s0
	v_or_b32_e32 v17, 0xd00, v0
	v_cndmask_b32_e64 v13, 0, 1, s0
	v_cmp_gt_i32_e64 s0, s12, v4
	v_lshlrev_b16 v13, 8, v13
	s_delay_alu instid0(VALU_DEP_2) | instskip(SKIP_2) | instid1(VALU_DEP_3)
	v_cndmask_b32_e64 v4, v5, v15, s0
	v_cmp_ne_u16_e64 s0, s5, v12
	v_or_b32_e32 v5, 0x600, v0
	v_dual_lshlrev_b32 v3, 16, v3 :: v_dual_lshrrev_b32 v15, 16, v4
	s_xor_b32 s0, s4, s0
	s_delay_alu instid0(VALU_DEP_2)
	v_cmp_gt_i32_e64 s1, s12, v5
	v_cndmask_b32_e64 v5, 0, 1, s0
	v_cmp_ne_u16_e64 s0, s5, v16
	v_and_or_b32 v3, 0xffff, v2, v3
	v_bitop3_b16 v12, v15, v13, 0xff bitop3:0xec
	v_or_b32_e32 v15, 0x800, v0
	v_lshlrev_b16 v5, 8, v5
	s_xor_b32 s0, s4, s0
	s_delay_alu instid0(SALU_CYCLE_1) | instskip(SKIP_4) | instid1(VALU_DEP_3)
	v_cndmask_b32_e64 v9, 0, 1, s0
	v_cndmask_b32_e64 v2, v2, v3, s1
	v_and_b32_e32 v3, 0xff, v18
	v_cmp_ne_u16_e64 s1, s5, v11
	v_lshlrev_b32_e32 v12, 16, v12
	v_cmp_ne_u16_e64 s2, s5, v3
	v_or_b32_e32 v3, 0xc00, v0
	s_delay_alu instid0(VALU_DEP_3) | instskip(SKIP_1) | instid1(SALU_CYCLE_1)
	v_and_or_b32 v12, 0xffff, v4, v12
	s_xor_b32 s0, s4, s2
	v_cndmask_b32_e64 v11, 0, 1, s0
	s_xor_b32 s0, s4, s1
	v_cmp_gt_i32_e64 s1, s12, v17
	v_cndmask_b32_e64 v16, 0, 1, s0
	v_cmp_gt_i32_e64 s0, s12, v3
	s_delay_alu instid0(VALU_DEP_1) | instskip(SKIP_2) | instid1(SALU_CYCLE_1)
	v_cndmask_b32_e64 v3, 0, v9, s0
	v_lshlrev_b16 v9, 8, v11
	s_xor_b32 s0, s4, s3
	v_cndmask_b32_e64 v11, 0, 1, s0
	v_cmp_gt_i32_e64 s0, s12, v15
	s_delay_alu instid0(VALU_DEP_3) | instskip(SKIP_1) | instid1(VALU_DEP_4)
	v_bitop3_b16 v9, v3, v9, 0xff bitop3:0xec
	v_lshrrev_b32_e32 v13, 16, v2
	v_lshlrev_b16 v11, 8, v11
	s_delay_alu instid0(VALU_DEP_4) | instskip(NEXT) | instid1(VALU_DEP_4)
	v_cndmask_b32_e64 v15, 0, v16, s0
	v_and_b32_e32 v9, 0xffff, v9
	v_cmp_ne_u16_e64 s0, s5, v8
	v_or_b32_e32 v16, 0x900, v0
	v_bitop3_b16 v5, v13, v5, 0xff bitop3:0xec
	v_or_b32_e32 v13, 0x300, v0
	v_cndmask_b32_e64 v3, v3, v9, s1
	v_cmp_ne_u16_e64 s1, s5, v14
	s_xor_b32 s0, s4, s0
	s_delay_alu instid0(SALU_CYCLE_1) | instskip(SKIP_1) | instid1(SALU_CYCLE_1)
	v_cndmask_b32_e64 v9, 0, 1, s0
	s_xor_b32 s0, s4, s1
	v_cndmask_b32_e64 v14, 0, 1, s0
	v_cmp_gt_i32_e64 s0, s12, v16
	s_delay_alu instid0(VALU_DEP_3) | instskip(NEXT) | instid1(VALU_DEP_1)
	v_dual_lshlrev_b32 v9, 16, v9 :: v_dual_bitop2_b32 v11, v15, v11 bitop3:0x54
	v_and_b32_e32 v8, 0xffff, v11
	s_delay_alu instid0(VALU_DEP_1) | instskip(SKIP_1) | instid1(VALU_DEP_2)
	v_cndmask_b32_e64 v8, v15, v8, s0
	v_cmp_ne_u16_e64 s0, s5, v7
	v_and_or_b32 v9, 0x1ff, v8, v9
	v_lshrrev_b32_e32 v11, 16, v3
	s_xor_b32 s0, s4, s0
	s_delay_alu instid0(VALU_DEP_1) | instskip(SKIP_1) | instid1(VALU_DEP_1)
	v_bitop3_b16 v11, v14, v11, 0xff00 bitop3:0xf8
	v_or_b32_e32 v14, 0xa00, v0
	v_cmp_gt_i32_e64 s1, s12, v14
	s_delay_alu instid0(VALU_DEP_1) | instskip(SKIP_3) | instid1(VALU_DEP_3)
	v_dual_cndmask_b32 v8, v8, v9, s1 :: v_dual_lshlrev_b32 v7, 16, v11
	v_or_b32_e32 v9, 0xe00, v0
	v_cmp_ne_u16_e64 s1, s5, v10
	v_cndmask_b32_e64 v10, 0, 1, s0
	v_cmp_gt_i32_e64 s0, s12, v9
	v_lshrrev_b32_e32 v9, 16, v8
	v_and_or_b32 v7, 0xffff, v3, v7
	s_delay_alu instid0(VALU_DEP_4) | instskip(NEXT) | instid1(VALU_DEP_2)
	v_lshlrev_b16 v10, 8, v10
	v_cndmask_b32_e64 v7, v3, v7, s0
	s_xor_b32 s0, s4, s1
	s_delay_alu instid0(VALU_DEP_2)
	v_bitop3_b16 v9, v9, v10, 0xff bitop3:0xec
	v_cndmask_b32_e64 v3, 0, 1, s0
	v_lshlrev_b32_e32 v10, 16, v5
	v_cmp_gt_i32_e64 s0, s12, v13
	v_lshrrev_b32_e32 v11, 16, v7
	v_or_b32_e32 v13, 0xf00, v0
	v_lshlrev_b16 v3, 8, v3
	v_and_or_b32 v10, 0xffff, v2, v10
	v_cndmask_b32_e64 v5, v4, v12, s0
	s_delay_alu instid0(VALU_DEP_3) | instskip(SKIP_3) | instid1(VALU_DEP_4)
	v_bitop3_b16 v3, v11, v3, 0xff bitop3:0xec
	v_lshlrev_b32_e32 v4, 16, v9
	v_or_b32_e32 v9, 0x700, v0
	v_or_b32_e32 v11, 0xb00, v0
	v_lshlrev_b32_e32 v3, 16, v3
	s_delay_alu instid0(VALU_DEP_4) | instskip(NEXT) | instid1(VALU_DEP_4)
	v_and_or_b32 v12, 0xffff, v8, v4
	v_cmp_gt_i32_e64 s0, s12, v9
	s_delay_alu instid0(VALU_DEP_3) | instskip(NEXT) | instid1(VALU_DEP_2)
	v_and_or_b32 v14, 0xffff, v7, v3
	v_cndmask_b32_e64 v4, v2, v10, s0
	v_cmp_gt_i32_e64 s0, s12, v11
	s_delay_alu instid0(VALU_DEP_1) | instskip(SKIP_1) | instid1(VALU_DEP_1)
	v_cndmask_b32_e64 v3, v8, v12, s0
	v_cmp_gt_i32_e64 s0, s12, v13
	v_cndmask_b32_e64 v2, v7, v14, s0
	s_and_saveexec_b32 s0, vcc_lo
	s_cbranch_execnz .LBB382_53
; %bb.36:
	s_or_b32 exec_lo, exec_lo, s0
	s_delay_alu instid0(SALU_CYCLE_1)
	s_mov_b32 s0, exec_lo
	v_cmpx_gt_i32_e64 s12, v0
	s_cbranch_execnz .LBB382_54
.LBB382_37:
	s_or_b32 exec_lo, exec_lo, s0
	s_delay_alu instid0(SALU_CYCLE_1)
	s_mov_b32 s0, exec_lo
	v_cmpx_gt_i32_e64 s12, v0
	s_cbranch_execnz .LBB382_55
.LBB382_38:
	s_or_b32 exec_lo, exec_lo, s0
	s_delay_alu instid0(SALU_CYCLE_1)
	s_mov_b32 s0, exec_lo
	v_cmpx_gt_i32_e64 s12, v0
	s_cbranch_execnz .LBB382_56
.LBB382_39:
	s_or_b32 exec_lo, exec_lo, s0
	s_delay_alu instid0(SALU_CYCLE_1)
	s_mov_b32 s0, exec_lo
	v_cmpx_gt_i32_e64 s12, v0
	s_cbranch_execnz .LBB382_57
.LBB382_40:
	s_or_b32 exec_lo, exec_lo, s0
	s_delay_alu instid0(SALU_CYCLE_1)
	s_mov_b32 s0, exec_lo
	v_cmpx_gt_i32_e64 s12, v0
	s_cbranch_execnz .LBB382_58
.LBB382_41:
	s_or_b32 exec_lo, exec_lo, s0
	s_delay_alu instid0(SALU_CYCLE_1)
	s_mov_b32 s0, exec_lo
	v_cmpx_gt_i32_e64 s12, v0
	s_cbranch_execnz .LBB382_59
.LBB382_42:
	s_or_b32 exec_lo, exec_lo, s0
	s_delay_alu instid0(SALU_CYCLE_1)
	s_mov_b32 s0, exec_lo
	v_cmpx_gt_i32_e64 s12, v0
	s_cbranch_execnz .LBB382_60
.LBB382_43:
	s_or_b32 exec_lo, exec_lo, s0
	s_delay_alu instid0(SALU_CYCLE_1)
	s_mov_b32 s0, exec_lo
	v_cmpx_gt_i32_e64 s12, v0
	s_cbranch_execnz .LBB382_61
.LBB382_44:
	s_or_b32 exec_lo, exec_lo, s0
	s_delay_alu instid0(SALU_CYCLE_1)
	s_mov_b32 s0, exec_lo
	v_cmpx_gt_i32_e64 s12, v0
	s_cbranch_execnz .LBB382_62
.LBB382_45:
	s_or_b32 exec_lo, exec_lo, s0
	s_delay_alu instid0(SALU_CYCLE_1)
	s_mov_b32 s0, exec_lo
	v_cmpx_gt_i32_e64 s12, v0
	s_cbranch_execnz .LBB382_63
.LBB382_46:
	s_or_b32 exec_lo, exec_lo, s0
	s_delay_alu instid0(SALU_CYCLE_1)
	s_mov_b32 s0, exec_lo
	v_cmpx_gt_i32_e64 s12, v0
	s_cbranch_execnz .LBB382_64
.LBB382_47:
	s_or_b32 exec_lo, exec_lo, s0
	s_delay_alu instid0(SALU_CYCLE_1)
	s_mov_b32 s0, exec_lo
	v_cmpx_gt_i32_e64 s12, v0
	s_cbranch_execnz .LBB382_65
.LBB382_48:
	s_or_b32 exec_lo, exec_lo, s0
	s_delay_alu instid0(SALU_CYCLE_1)
	s_mov_b32 s0, exec_lo
	v_cmpx_gt_i32_e64 s12, v0
	s_cbranch_execnz .LBB382_66
.LBB382_49:
	s_or_b32 exec_lo, exec_lo, s0
	s_delay_alu instid0(SALU_CYCLE_1)
	s_mov_b32 s0, exec_lo
	v_cmpx_gt_i32_e64 s12, v0
	s_cbranch_execnz .LBB382_67
.LBB382_50:
	s_or_b32 exec_lo, exec_lo, s0
	s_delay_alu instid0(SALU_CYCLE_1)
	s_mov_b32 s0, exec_lo
	v_cmpx_gt_i32_e64 s12, v0
	s_cbranch_execz .LBB382_52
.LBB382_51:
	v_dual_lshrrev_b32 v1, 24, v2 :: v_dual_add_nc_u32 v0, s16, v0
	global_store_b8 v0, v1, s[8:9]
.LBB382_52:
	s_endpgm
.LBB382_53:
	v_mov_b32_e32 v0, v1
	global_store_b8 v6, v5, s[8:9]
	s_wait_xcnt 0x0
	s_or_b32 exec_lo, exec_lo, s0
	s_delay_alu instid0(SALU_CYCLE_1)
	s_mov_b32 s0, exec_lo
	v_cmpx_gt_i32_e64 s12, v0
	s_cbranch_execz .LBB382_37
.LBB382_54:
	v_dual_lshrrev_b32 v1, 8, v5 :: v_dual_add_nc_u32 v6, s16, v0
	v_add_nc_u32_e32 v0, 0x100, v0
	global_store_b8 v6, v1, s[8:9]
	s_wait_xcnt 0x0
	s_or_b32 exec_lo, exec_lo, s0
	s_delay_alu instid0(SALU_CYCLE_1)
	s_mov_b32 s0, exec_lo
	v_cmpx_gt_i32_e64 s12, v0
	s_cbranch_execz .LBB382_38
.LBB382_55:
	v_add_nc_u32_e32 v1, s16, v0
	v_add_nc_u32_e32 v0, 0x100, v0
	global_store_d16_hi_b8 v1, v5, s[8:9]
	s_wait_xcnt 0x0
	s_or_b32 exec_lo, exec_lo, s0
	s_delay_alu instid0(SALU_CYCLE_1)
	s_mov_b32 s0, exec_lo
	v_cmpx_gt_i32_e64 s12, v0
	s_cbranch_execz .LBB382_39
.LBB382_56:
	v_dual_lshrrev_b32 v1, 24, v5 :: v_dual_add_nc_u32 v5, s16, v0
	v_add_nc_u32_e32 v0, 0x100, v0
	global_store_b8 v5, v1, s[8:9]
	s_wait_xcnt 0x0
	s_or_b32 exec_lo, exec_lo, s0
	s_delay_alu instid0(SALU_CYCLE_1)
	s_mov_b32 s0, exec_lo
	v_cmpx_gt_i32_e64 s12, v0
	s_cbranch_execz .LBB382_40
.LBB382_57:
	v_add_nc_u32_e32 v1, s16, v0
	v_add_nc_u32_e32 v0, 0x100, v0
	global_store_b8 v1, v4, s[8:9]
	s_wait_xcnt 0x0
	s_or_b32 exec_lo, exec_lo, s0
	s_delay_alu instid0(SALU_CYCLE_1)
	s_mov_b32 s0, exec_lo
	v_cmpx_gt_i32_e64 s12, v0
	s_cbranch_execz .LBB382_41
.LBB382_58:
	v_lshrrev_b32_e32 v1, 8, v4
	v_add_nc_u32_e32 v5, s16, v0
	v_add_nc_u32_e32 v0, 0x100, v0
	global_store_b8 v5, v1, s[8:9]
	s_wait_xcnt 0x0
	s_or_b32 exec_lo, exec_lo, s0
	s_delay_alu instid0(SALU_CYCLE_1)
	s_mov_b32 s0, exec_lo
	v_cmpx_gt_i32_e64 s12, v0
	s_cbranch_execz .LBB382_42
.LBB382_59:
	v_add_nc_u32_e32 v1, s16, v0
	v_add_nc_u32_e32 v0, 0x100, v0
	global_store_d16_hi_b8 v1, v4, s[8:9]
	s_wait_xcnt 0x0
	s_or_b32 exec_lo, exec_lo, s0
	s_delay_alu instid0(SALU_CYCLE_1)
	s_mov_b32 s0, exec_lo
	v_cmpx_gt_i32_e64 s12, v0
	s_cbranch_execz .LBB382_43
.LBB382_60:
	v_lshrrev_b32_e32 v1, 24, v4
	v_add_nc_u32_e32 v4, s16, v0
	v_add_nc_u32_e32 v0, 0x100, v0
	global_store_b8 v4, v1, s[8:9]
	s_wait_xcnt 0x0
	s_or_b32 exec_lo, exec_lo, s0
	s_delay_alu instid0(SALU_CYCLE_1)
	s_mov_b32 s0, exec_lo
	v_cmpx_gt_i32_e64 s12, v0
	s_cbranch_execz .LBB382_44
.LBB382_61:
	v_add_nc_u32_e32 v1, s16, v0
	v_add_nc_u32_e32 v0, 0x100, v0
	global_store_b8 v1, v3, s[8:9]
	s_wait_xcnt 0x0
	s_or_b32 exec_lo, exec_lo, s0
	s_delay_alu instid0(SALU_CYCLE_1)
	s_mov_b32 s0, exec_lo
	v_cmpx_gt_i32_e64 s12, v0
	s_cbranch_execz .LBB382_45
.LBB382_62:
	v_dual_lshrrev_b32 v1, 8, v3 :: v_dual_add_nc_u32 v4, s16, v0
	v_add_nc_u32_e32 v0, 0x100, v0
	global_store_b8 v4, v1, s[8:9]
	s_wait_xcnt 0x0
	s_or_b32 exec_lo, exec_lo, s0
	s_delay_alu instid0(SALU_CYCLE_1)
	s_mov_b32 s0, exec_lo
	v_cmpx_gt_i32_e64 s12, v0
	s_cbranch_execz .LBB382_46
.LBB382_63:
	v_add_nc_u32_e32 v1, s16, v0
	v_add_nc_u32_e32 v0, 0x100, v0
	global_store_d16_hi_b8 v1, v3, s[8:9]
	s_wait_xcnt 0x0
	s_or_b32 exec_lo, exec_lo, s0
	s_delay_alu instid0(SALU_CYCLE_1)
	s_mov_b32 s0, exec_lo
	v_cmpx_gt_i32_e64 s12, v0
	s_cbranch_execz .LBB382_47
.LBB382_64:
	v_dual_lshrrev_b32 v1, 24, v3 :: v_dual_add_nc_u32 v3, s16, v0
	v_add_nc_u32_e32 v0, 0x100, v0
	global_store_b8 v3, v1, s[8:9]
	s_wait_xcnt 0x0
	s_or_b32 exec_lo, exec_lo, s0
	s_delay_alu instid0(SALU_CYCLE_1)
	s_mov_b32 s0, exec_lo
	v_cmpx_gt_i32_e64 s12, v0
	s_cbranch_execz .LBB382_48
.LBB382_65:
	v_add_nc_u32_e32 v1, s16, v0
	v_add_nc_u32_e32 v0, 0x100, v0
	global_store_b8 v1, v2, s[8:9]
	s_wait_xcnt 0x0
	s_or_b32 exec_lo, exec_lo, s0
	s_delay_alu instid0(SALU_CYCLE_1)
	s_mov_b32 s0, exec_lo
	v_cmpx_gt_i32_e64 s12, v0
	s_cbranch_execz .LBB382_49
.LBB382_66:
	v_dual_lshrrev_b32 v1, 8, v2 :: v_dual_add_nc_u32 v3, s16, v0
	v_add_nc_u32_e32 v0, 0x100, v0
	global_store_b8 v3, v1, s[8:9]
	s_wait_xcnt 0x0
	s_or_b32 exec_lo, exec_lo, s0
	s_delay_alu instid0(SALU_CYCLE_1)
	s_mov_b32 s0, exec_lo
	v_cmpx_gt_i32_e64 s12, v0
	s_cbranch_execz .LBB382_50
.LBB382_67:
	v_add_nc_u32_e32 v1, s16, v0
	v_add_nc_u32_e32 v0, 0x100, v0
	global_store_d16_hi_b8 v1, v2, s[8:9]
	s_wait_xcnt 0x0
	s_or_b32 exec_lo, exec_lo, s0
	s_delay_alu instid0(SALU_CYCLE_1)
	s_mov_b32 s0, exec_lo
	v_cmpx_gt_i32_e64 s12, v0
	s_cbranch_execnz .LBB382_51
	s_branch .LBB382_52
	.section	.rodata,"a",@progbits
	.p2align	6, 0x0
	.amdhsa_kernel _ZN2at6native29vectorized_elementwise_kernelILi8ENS0_13AUnaryFunctorIN3c1016Float4_e2m1fn_x2ES4_bNS0_12_GLOBAL__N_116CompareEqFunctorIS4_EEEESt5arrayIPcLm2EEEEviT0_T1_
		.amdhsa_group_segment_fixed_size 0
		.amdhsa_private_segment_fixed_size 0
		.amdhsa_kernarg_size 32
		.amdhsa_user_sgpr_count 2
		.amdhsa_user_sgpr_dispatch_ptr 0
		.amdhsa_user_sgpr_queue_ptr 0
		.amdhsa_user_sgpr_kernarg_segment_ptr 1
		.amdhsa_user_sgpr_dispatch_id 0
		.amdhsa_user_sgpr_kernarg_preload_length 0
		.amdhsa_user_sgpr_kernarg_preload_offset 0
		.amdhsa_user_sgpr_private_segment_size 0
		.amdhsa_wavefront_size32 1
		.amdhsa_uses_dynamic_stack 0
		.amdhsa_enable_private_segment 0
		.amdhsa_system_sgpr_workgroup_id_x 1
		.amdhsa_system_sgpr_workgroup_id_y 0
		.amdhsa_system_sgpr_workgroup_id_z 0
		.amdhsa_system_sgpr_workgroup_info 0
		.amdhsa_system_vgpr_workitem_id 0
		.amdhsa_next_free_vgpr 21
		.amdhsa_next_free_sgpr 23
		.amdhsa_named_barrier_count 0
		.amdhsa_reserve_vcc 1
		.amdhsa_float_round_mode_32 0
		.amdhsa_float_round_mode_16_64 0
		.amdhsa_float_denorm_mode_32 3
		.amdhsa_float_denorm_mode_16_64 3
		.amdhsa_fp16_overflow 0
		.amdhsa_memory_ordered 1
		.amdhsa_forward_progress 1
		.amdhsa_inst_pref_size 38
		.amdhsa_round_robin_scheduling 0
		.amdhsa_exception_fp_ieee_invalid_op 0
		.amdhsa_exception_fp_denorm_src 0
		.amdhsa_exception_fp_ieee_div_zero 0
		.amdhsa_exception_fp_ieee_overflow 0
		.amdhsa_exception_fp_ieee_underflow 0
		.amdhsa_exception_fp_ieee_inexact 0
		.amdhsa_exception_int_div_zero 0
	.end_amdhsa_kernel
	.section	.text._ZN2at6native29vectorized_elementwise_kernelILi8ENS0_13AUnaryFunctorIN3c1016Float4_e2m1fn_x2ES4_bNS0_12_GLOBAL__N_116CompareEqFunctorIS4_EEEESt5arrayIPcLm2EEEEviT0_T1_,"axG",@progbits,_ZN2at6native29vectorized_elementwise_kernelILi8ENS0_13AUnaryFunctorIN3c1016Float4_e2m1fn_x2ES4_bNS0_12_GLOBAL__N_116CompareEqFunctorIS4_EEEESt5arrayIPcLm2EEEEviT0_T1_,comdat
.Lfunc_end382:
	.size	_ZN2at6native29vectorized_elementwise_kernelILi8ENS0_13AUnaryFunctorIN3c1016Float4_e2m1fn_x2ES4_bNS0_12_GLOBAL__N_116CompareEqFunctorIS4_EEEESt5arrayIPcLm2EEEEviT0_T1_, .Lfunc_end382-_ZN2at6native29vectorized_elementwise_kernelILi8ENS0_13AUnaryFunctorIN3c1016Float4_e2m1fn_x2ES4_bNS0_12_GLOBAL__N_116CompareEqFunctorIS4_EEEESt5arrayIPcLm2EEEEviT0_T1_
                                        ; -- End function
	.set _ZN2at6native29vectorized_elementwise_kernelILi8ENS0_13AUnaryFunctorIN3c1016Float4_e2m1fn_x2ES4_bNS0_12_GLOBAL__N_116CompareEqFunctorIS4_EEEESt5arrayIPcLm2EEEEviT0_T1_.num_vgpr, 21
	.set _ZN2at6native29vectorized_elementwise_kernelILi8ENS0_13AUnaryFunctorIN3c1016Float4_e2m1fn_x2ES4_bNS0_12_GLOBAL__N_116CompareEqFunctorIS4_EEEESt5arrayIPcLm2EEEEviT0_T1_.num_agpr, 0
	.set _ZN2at6native29vectorized_elementwise_kernelILi8ENS0_13AUnaryFunctorIN3c1016Float4_e2m1fn_x2ES4_bNS0_12_GLOBAL__N_116CompareEqFunctorIS4_EEEESt5arrayIPcLm2EEEEviT0_T1_.numbered_sgpr, 23
	.set _ZN2at6native29vectorized_elementwise_kernelILi8ENS0_13AUnaryFunctorIN3c1016Float4_e2m1fn_x2ES4_bNS0_12_GLOBAL__N_116CompareEqFunctorIS4_EEEESt5arrayIPcLm2EEEEviT0_T1_.num_named_barrier, 0
	.set _ZN2at6native29vectorized_elementwise_kernelILi8ENS0_13AUnaryFunctorIN3c1016Float4_e2m1fn_x2ES4_bNS0_12_GLOBAL__N_116CompareEqFunctorIS4_EEEESt5arrayIPcLm2EEEEviT0_T1_.private_seg_size, 0
	.set _ZN2at6native29vectorized_elementwise_kernelILi8ENS0_13AUnaryFunctorIN3c1016Float4_e2m1fn_x2ES4_bNS0_12_GLOBAL__N_116CompareEqFunctorIS4_EEEESt5arrayIPcLm2EEEEviT0_T1_.uses_vcc, 1
	.set _ZN2at6native29vectorized_elementwise_kernelILi8ENS0_13AUnaryFunctorIN3c1016Float4_e2m1fn_x2ES4_bNS0_12_GLOBAL__N_116CompareEqFunctorIS4_EEEESt5arrayIPcLm2EEEEviT0_T1_.uses_flat_scratch, 0
	.set _ZN2at6native29vectorized_elementwise_kernelILi8ENS0_13AUnaryFunctorIN3c1016Float4_e2m1fn_x2ES4_bNS0_12_GLOBAL__N_116CompareEqFunctorIS4_EEEESt5arrayIPcLm2EEEEviT0_T1_.has_dyn_sized_stack, 0
	.set _ZN2at6native29vectorized_elementwise_kernelILi8ENS0_13AUnaryFunctorIN3c1016Float4_e2m1fn_x2ES4_bNS0_12_GLOBAL__N_116CompareEqFunctorIS4_EEEESt5arrayIPcLm2EEEEviT0_T1_.has_recursion, 0
	.set _ZN2at6native29vectorized_elementwise_kernelILi8ENS0_13AUnaryFunctorIN3c1016Float4_e2m1fn_x2ES4_bNS0_12_GLOBAL__N_116CompareEqFunctorIS4_EEEESt5arrayIPcLm2EEEEviT0_T1_.has_indirect_call, 0
	.section	.AMDGPU.csdata,"",@progbits
; Kernel info:
; codeLenInByte = 4864
; TotalNumSgprs: 25
; NumVgprs: 21
; ScratchSize: 0
; MemoryBound: 0
; FloatMode: 240
; IeeeMode: 1
; LDSByteSize: 0 bytes/workgroup (compile time only)
; SGPRBlocks: 0
; VGPRBlocks: 1
; NumSGPRsForWavesPerEU: 25
; NumVGPRsForWavesPerEU: 21
; NamedBarCnt: 0
; Occupancy: 16
; WaveLimiterHint : 1
; COMPUTE_PGM_RSRC2:SCRATCH_EN: 0
; COMPUTE_PGM_RSRC2:USER_SGPR: 2
; COMPUTE_PGM_RSRC2:TRAP_HANDLER: 0
; COMPUTE_PGM_RSRC2:TGID_X_EN: 1
; COMPUTE_PGM_RSRC2:TGID_Y_EN: 0
; COMPUTE_PGM_RSRC2:TGID_Z_EN: 0
; COMPUTE_PGM_RSRC2:TIDIG_COMP_CNT: 0
	.section	.text._ZN2at6native29vectorized_elementwise_kernelILi4ENS0_13AUnaryFunctorIN3c1016Float4_e2m1fn_x2ES4_bNS0_12_GLOBAL__N_116CompareEqFunctorIS4_EEEESt5arrayIPcLm2EEEEviT0_T1_,"axG",@progbits,_ZN2at6native29vectorized_elementwise_kernelILi4ENS0_13AUnaryFunctorIN3c1016Float4_e2m1fn_x2ES4_bNS0_12_GLOBAL__N_116CompareEqFunctorIS4_EEEESt5arrayIPcLm2EEEEviT0_T1_,comdat
	.globl	_ZN2at6native29vectorized_elementwise_kernelILi4ENS0_13AUnaryFunctorIN3c1016Float4_e2m1fn_x2ES4_bNS0_12_GLOBAL__N_116CompareEqFunctorIS4_EEEESt5arrayIPcLm2EEEEviT0_T1_ ; -- Begin function _ZN2at6native29vectorized_elementwise_kernelILi4ENS0_13AUnaryFunctorIN3c1016Float4_e2m1fn_x2ES4_bNS0_12_GLOBAL__N_116CompareEqFunctorIS4_EEEESt5arrayIPcLm2EEEEviT0_T1_
	.p2align	8
	.type	_ZN2at6native29vectorized_elementwise_kernelILi4ENS0_13AUnaryFunctorIN3c1016Float4_e2m1fn_x2ES4_bNS0_12_GLOBAL__N_116CompareEqFunctorIS4_EEEESt5arrayIPcLm2EEEEviT0_T1_,@function
_ZN2at6native29vectorized_elementwise_kernelILi4ENS0_13AUnaryFunctorIN3c1016Float4_e2m1fn_x2ES4_bNS0_12_GLOBAL__N_116CompareEqFunctorIS4_EEEESt5arrayIPcLm2EEEEviT0_T1_: ; @_ZN2at6native29vectorized_elementwise_kernelILi4ENS0_13AUnaryFunctorIN3c1016Float4_e2m1fn_x2ES4_bNS0_12_GLOBAL__N_116CompareEqFunctorIS4_EEEESt5arrayIPcLm2EEEEviT0_T1_
; %bb.0:
	s_clause 0x1
	s_load_b96 s[12:14], s[0:1], 0x0
	s_load_b128 s[8:11], s[0:1], 0x10
	s_wait_xcnt 0x0
	s_bfe_u32 s0, ttmp6, 0x4000c
	s_and_b32 s1, ttmp6, 15
	s_add_co_i32 s0, s0, 1
	s_getreg_b32 s2, hwreg(HW_REG_IB_STS2, 6, 4)
	s_mul_i32 s0, ttmp9, s0
	s_delay_alu instid0(SALU_CYCLE_1) | instskip(SKIP_2) | instid1(SALU_CYCLE_1)
	s_add_co_i32 s1, s1, s0
	s_cmp_eq_u32 s2, 0
	s_cselect_b32 s0, ttmp9, s1
	s_lshl_b32 s16, s0, 12
	s_mov_b32 s0, -1
	s_wait_kmcnt 0x0
	s_sub_co_i32 s12, s12, s16
	s_delay_alu instid0(SALU_CYCLE_1)
	s_cmp_gt_i32 s12, 0xfff
	s_cbranch_scc0 .LBB383_2
; %bb.1:
	s_ashr_i32 s17, s16, 31
	s_cmp_eq_u32 s13, 0
	s_add_nc_u64 s[0:1], s[10:11], s[16:17]
	s_cselect_b32 s15, -1, 0
	s_clause 0x3
	global_load_b32 v1, v0, s[0:1] scale_offset
	global_load_b32 v2, v0, s[0:1] offset:1024 scale_offset
	global_load_b32 v3, v0, s[0:1] offset:2048 scale_offset
	;; [unrolled: 1-line block ×3, first 2 shown]
	s_and_b32 s18, s14, 0xff
	s_wait_loadcnt 0x3
	v_and_b32_e32 v5, 0xff, v1
	v_dual_lshrrev_b32 v6, 8, v1 :: v_dual_lshrrev_b32 v7, 16, v1
	s_wait_loadcnt 0x2
	v_dual_lshrrev_b32 v1, 24, v1 :: v_dual_lshrrev_b32 v9, 8, v2
	v_and_b32_e32 v8, 0xff, v2
	v_dual_lshrrev_b32 v10, 16, v2 :: v_dual_lshrrev_b32 v2, 24, v2
	s_wait_xcnt 0x0
	s_delay_alu instid0(VALU_DEP_3)
	v_cmp_ne_u16_e64 s0, s18, v1
	s_wait_loadcnt 0x1
	v_and_b32_e32 v11, 0xff, v3
	v_cmp_ne_u16_e32 vcc_lo, s18, v5
	v_and_b32_e32 v5, 0xff, v6
	v_cmp_ne_u16_e64 s1, s18, v8
	v_dual_lshrrev_b32 v12, 8, v3 :: v_dual_lshrrev_b32 v13, 16, v3
	s_wait_loadcnt 0x0
	v_dual_lshrrev_b32 v3, 24, v3 :: v_dual_lshrrev_b32 v15, 8, v4
	v_and_b32_e32 v14, 0xff, v4
	v_dual_lshrrev_b32 v16, 16, v4 :: v_dual_lshrrev_b32 v4, 24, v4
	v_and_b32_e32 v6, 0xff, v7
	v_and_b32_e32 v1, 0xff, v9
	v_cmp_ne_u16_e64 s2, s18, v2
	s_xor_b32 s0, s15, s0
	v_and_b32_e32 v7, 0xff, v10
	v_cmp_ne_u16_e64 s3, s18, v11
	s_xor_b32 s7, s15, vcc_lo
	v_cmp_ne_u16_e32 vcc_lo, s18, v5
	v_cndmask_b32_e64 v5, 0, 1, s0
	s_xor_b32 s0, s15, s1
	v_and_b32_e32 v2, 0xff, v12
	v_cmp_ne_u16_e64 s4, s18, v3
	v_cmp_ne_u16_e64 s6, s18, v4
	v_cndmask_b32_e64 v4, 0, 1, s7
	v_cmp_ne_u16_e64 s7, s18, v6
	v_cndmask_b32_e64 v6, 0, 1, s0
	v_cmp_ne_u16_e64 s0, s18, v1
	s_xor_b32 s2, s15, s2
	v_and_b32_e32 v8, 0xff, v13
	v_cmp_ne_u16_e64 s5, s18, v14
	v_cmp_ne_u16_e64 s1, s18, v7
	v_cndmask_b32_e64 v1, 0, 1, s2
	s_xor_b32 s2, s15, s3
	v_and_b32_e32 v3, 0xff, v15
	v_cndmask_b32_e64 v7, 0, 1, s2
	v_cmp_ne_u16_e64 s2, s18, v2
	s_xor_b32 s4, s15, s4
	s_xor_b32 s0, s15, s0
	v_cmp_ne_u16_e64 s3, s18, v8
	v_cndmask_b32_e64 v2, 0, 1, s4
	s_xor_b32 s4, s15, s5
	v_and_b32_e32 v9, 0xff, v16
	v_cndmask_b32_e64 v11, 0, 1, s0
	s_xor_b32 s0, s15, s1
	v_cndmask_b32_e64 v8, 0, 1, s4
	v_cmp_ne_u16_e64 s4, s18, v3
	s_xor_b32 s6, s15, s6
	v_cndmask_b32_e64 v12, 0, 1, s0
	s_xor_b32 s0, s15, s2
	v_cndmask_b32_e64 v3, 0, 1, s6
	s_xor_b32 s6, s15, vcc_lo
	v_cndmask_b32_e64 v13, 0, 1, s0
	s_xor_b32 s0, s15, s3
	v_cmp_ne_u16_e64 s5, s18, v9
	v_cndmask_b32_e64 v9, 0, 1, s6
	v_cndmask_b32_e64 v14, 0, 1, s0
	s_xor_b32 s0, s15, s4
	s_xor_b32 s6, s15, s7
	v_cndmask_b32_e64 v15, 0, 1, s0
	v_cndmask_b32_e64 v10, 0, 1, s6
	v_lshlrev_b16 v5, 8, v5
	v_lshlrev_b16 v9, 8, v9
	s_xor_b32 s0, s15, s5
	v_lshlrev_b16 v1, 8, v1
	v_lshlrev_b16 v11, 8, v11
	;; [unrolled: 1-line block ×4, first 2 shown]
	v_cndmask_b32_e64 v16, 0, 1, s0
	v_lshlrev_b16 v3, 8, v3
	v_lshlrev_b16 v15, 8, v15
	v_or_b32_e32 v5, v10, v5
	v_or_b32_e32 v4, v4, v9
	;; [unrolled: 1-line block ×7, first 2 shown]
	v_dual_lshlrev_b32 v1, 16, v1 :: v_dual_bitop2_b32 v8, v8, v15 bitop3:0x54
	v_lshlrev_b32_e32 v5, 16, v5
	v_and_b32_e32 v4, 0xffff, v4
	v_and_b32_e32 v6, 0xffff, v6
	v_lshlrev_b32_e32 v2, 16, v2
	v_and_b32_e32 v7, 0xffff, v7
	v_lshlrev_b32_e32 v3, 16, v3
	v_and_b32_e32 v8, 0xffff, v8
	v_or_b32_e32 v4, v4, v5
	v_or_b32_e32 v1, v6, v1
	;; [unrolled: 1-line block ×3, first 2 shown]
	s_add_nc_u64 s[2:3], s[8:9], s[16:17]
	v_or_b32_e32 v3, v8, v3
	s_mov_b32 s0, 0
	s_clause 0x3
	global_store_b32 v0, v4, s[2:3] scale_offset
	global_store_b32 v0, v1, s[2:3] offset:1024 scale_offset
	global_store_b32 v0, v2, s[2:3] offset:2048 scale_offset
	;; [unrolled: 1-line block ×3, first 2 shown]
.LBB383_2:
	s_and_not1_b32 vcc_lo, exec_lo, s0
	s_cbranch_vccnz .LBB383_52
; %bb.3:
	v_cmp_gt_i32_e32 vcc_lo, s12, v0
	s_wait_xcnt 0x2
	v_or_b32_e32 v1, 0x100, v0
	v_dual_mov_b32 v10, 0 :: v_dual_bitop2_b32 v6, s16, v0 bitop3:0x54
	v_dual_mov_b32 v14, 0 :: v_dual_mov_b32 v18, 0
	v_dual_mov_b32 v16, 0 :: v_dual_mov_b32 v7, 0
	;; [unrolled: 1-line block ×6, first 2 shown]
	s_wait_xcnt 0x0
	v_dual_mov_b32 v3, 0 :: v_dual_mov_b32 v13, 0
	v_mov_b32_e32 v15, 0
	s_and_saveexec_b32 s1, vcc_lo
	s_cbranch_execz .LBB383_35
; %bb.4:
	global_load_u8 v15, v6, s[10:11]
	v_dual_mov_b32 v13, 0 :: v_dual_mov_b32 v3, 0
	v_dual_mov_b32 v4, 0 :: v_dual_mov_b32 v20, 0
	;; [unrolled: 1-line block ×7, first 2 shown]
	v_mov_b32_e32 v10, 0
	s_mov_b32 s2, exec_lo
	s_wait_xcnt 0x0
	v_cmpx_gt_u32_e64 s12, v1
	s_cbranch_execz .LBB383_34
; %bb.5:
	v_dual_mov_b32 v3, 0 :: v_dual_add_nc_u32 v2, s16, v0
	v_or_b32_e32 v4, 0x200, v0
	v_dual_mov_b32 v19, 0 :: v_dual_mov_b32 v17, 0
	global_load_u8 v13, v2, s[10:11] offset:256
	v_mov_b32_e32 v20, 0
	v_cmp_gt_u32_e64 s0, s12, v4
	v_dual_mov_b32 v4, 0 :: v_dual_mov_b32 v12, 0
	v_dual_mov_b32 v11, 0 :: v_dual_mov_b32 v9, 0
	;; [unrolled: 1-line block ×5, first 2 shown]
	s_wait_xcnt 0x0
	s_and_saveexec_b32 s3, s0
	s_cbranch_execz .LBB383_33
; %bb.6:
	v_add_nc_u64_e32 v[4:5], s[10:11], v[2:3]
	v_or_b32_e32 v7, 0x300, v0
	v_dual_mov_b32 v20, 0 :: v_dual_mov_b32 v19, 0
	v_dual_mov_b32 v17, 0 :: v_dual_mov_b32 v12, 0
	s_delay_alu instid0(VALU_DEP_3)
	v_cmp_gt_u32_e64 s0, s12, v7
	global_load_u8 v2, v[4:5], off offset:512
	v_dual_mov_b32 v11, 0 :: v_dual_mov_b32 v9, 0
	v_dual_mov_b32 v8, 0 :: v_dual_mov_b32 v7, 0
	;; [unrolled: 1-line block ×4, first 2 shown]
	s_wait_xcnt 0x0
	s_and_saveexec_b32 s4, s0
	s_cbranch_execz .LBB383_32
; %bb.7:
	global_load_u8 v3, v[4:5], off offset:768
	v_or_b32_e32 v7, 0x400, v0
	v_dual_mov_b32 v20, 0 :: v_dual_mov_b32 v19, 0
	v_dual_mov_b32 v17, 0 :: v_dual_mov_b32 v12, 0
	s_delay_alu instid0(VALU_DEP_3)
	v_cmp_gt_u32_e64 s0, s12, v7
	v_dual_mov_b32 v11, 0 :: v_dual_mov_b32 v9, 0
	v_dual_mov_b32 v8, 0 :: v_dual_mov_b32 v7, 0
	;; [unrolled: 1-line block ×4, first 2 shown]
	s_wait_xcnt 0x0
	s_and_saveexec_b32 s5, s0
	s_cbranch_execz .LBB383_31
; %bb.8:
	global_load_u8 v20, v[4:5], off offset:1024
	v_or_b32_e32 v7, 0x500, v0
	v_dual_mov_b32 v19, 0 :: v_dual_mov_b32 v17, 0
	v_dual_mov_b32 v12, 0 :: v_dual_mov_b32 v11, 0
	s_delay_alu instid0(VALU_DEP_3)
	v_cmp_gt_u32_e64 s0, s12, v7
	v_dual_mov_b32 v9, 0 :: v_dual_mov_b32 v8, 0
	v_dual_mov_b32 v7, 0 :: v_dual_mov_b32 v16, 0
	;; [unrolled: 1-line block ×3, first 2 shown]
	v_mov_b32_e32 v10, 0
	s_wait_xcnt 0x0
	s_and_saveexec_b32 s6, s0
	s_cbranch_execz .LBB383_30
; %bb.9:
	global_load_u8 v19, v[4:5], off offset:1280
	v_or_b32_e32 v7, 0x600, v0
	v_dual_mov_b32 v17, 0 :: v_dual_mov_b32 v12, 0
	v_dual_mov_b32 v11, 0 :: v_dual_mov_b32 v9, 0
	s_delay_alu instid0(VALU_DEP_3)
	v_cmp_gt_u32_e64 s0, s12, v7
	v_dual_mov_b32 v8, 0 :: v_dual_mov_b32 v7, 0
	v_dual_mov_b32 v16, 0 :: v_dual_mov_b32 v18, 0
	;; [unrolled: 1-line block ×3, first 2 shown]
	s_wait_xcnt 0x0
	s_and_saveexec_b32 s7, s0
	s_cbranch_execz .LBB383_29
; %bb.10:
	global_load_u8 v17, v[4:5], off offset:1536
	v_or_b32_e32 v7, 0x700, v0
	v_dual_mov_b32 v12, 0 :: v_dual_mov_b32 v11, 0
	v_dual_mov_b32 v9, 0 :: v_dual_mov_b32 v8, 0
	s_delay_alu instid0(VALU_DEP_3)
	v_cmp_gt_u32_e64 s0, s12, v7
	v_dual_mov_b32 v7, 0 :: v_dual_mov_b32 v16, 0
	v_dual_mov_b32 v18, 0 :: v_dual_mov_b32 v14, 0
	v_mov_b32_e32 v10, 0
	s_wait_xcnt 0x0
	s_and_saveexec_b32 s10, s0
	s_cbranch_execz .LBB383_28
; %bb.11:
	global_load_u8 v12, v[4:5], off offset:1792
	v_or_b32_e32 v7, 0x800, v0
	v_dual_mov_b32 v11, 0 :: v_dual_mov_b32 v9, 0
	v_dual_mov_b32 v8, 0 :: v_dual_mov_b32 v16, 0
	v_mov_b32_e32 v18, 0
	s_delay_alu instid0(VALU_DEP_4)
	v_cmp_gt_u32_e64 s0, s12, v7
	v_dual_mov_b32 v7, 0 :: v_dual_mov_b32 v14, 0
	v_mov_b32_e32 v10, 0
	s_wait_xcnt 0x0
	s_and_saveexec_b32 s11, s0
	s_cbranch_execz .LBB383_27
; %bb.12:
	global_load_u8 v11, v[4:5], off offset:2048
	v_or_b32_e32 v7, 0x900, v0
	v_dual_mov_b32 v9, 0 :: v_dual_mov_b32 v8, 0
	v_dual_mov_b32 v18, 0 :: v_dual_mov_b32 v14, 0
	s_delay_alu instid0(VALU_DEP_3)
	v_cmp_gt_u32_e64 s0, s12, v7
	v_dual_mov_b32 v7, 0 :: v_dual_mov_b32 v16, 0
	v_mov_b32_e32 v10, 0
	s_wait_xcnt 0x0
	s_and_saveexec_b32 s15, s0
	s_cbranch_execz .LBB383_26
; %bb.13:
	global_load_u8 v9, v[4:5], off offset:2304
	v_or_b32_e32 v7, 0xa00, v0
	v_dual_mov_b32 v8, 0 :: v_dual_mov_b32 v16, 0
	v_dual_mov_b32 v18, 0 :: v_dual_mov_b32 v14, 0
	v_mov_b32_e32 v10, 0
	s_delay_alu instid0(VALU_DEP_4)
	v_cmp_gt_u32_e64 s0, s12, v7
	v_mov_b32_e32 v7, 0
	s_wait_xcnt 0x0
	s_and_saveexec_b32 s17, s0
	s_cbranch_execz .LBB383_25
; %bb.14:
	global_load_u8 v8, v[4:5], off offset:2560
	v_or_b32_e32 v7, 0xb00, v0
	v_dual_mov_b32 v18, 0 :: v_dual_mov_b32 v14, 0
	v_dual_mov_b32 v10, 0 :: v_dual_mov_b32 v16, 0
	s_delay_alu instid0(VALU_DEP_3)
	v_cmp_gt_u32_e64 s0, s12, v7
	v_mov_b32_e32 v7, 0
	s_wait_xcnt 0x0
	s_and_saveexec_b32 s18, s0
	s_cbranch_execz .LBB383_24
; %bb.15:
	global_load_u8 v7, v[4:5], off offset:2816
	v_or_b32_e32 v10, 0xc00, v0
	v_dual_mov_b32 v16, 0 :: v_dual_mov_b32 v18, 0
	v_mov_b32_e32 v14, 0
	s_delay_alu instid0(VALU_DEP_3)
	v_cmp_gt_u32_e64 s0, s12, v10
	v_mov_b32_e32 v10, 0
	s_wait_xcnt 0x0
	s_and_saveexec_b32 s19, s0
	s_cbranch_execz .LBB383_23
; %bb.16:
	global_load_u8 v16, v[4:5], off offset:3072
	v_or_b32_e32 v10, 0xd00, v0
	v_dual_mov_b32 v18, 0 :: v_dual_mov_b32 v14, 0
	s_delay_alu instid0(VALU_DEP_2)
	v_cmp_gt_u32_e64 s0, s12, v10
	v_mov_b32_e32 v10, 0
	s_wait_xcnt 0x0
	s_and_saveexec_b32 s20, s0
	s_cbranch_execz .LBB383_22
; %bb.17:
	global_load_u8 v18, v[4:5], off offset:3328
	v_or_b32_e32 v10, 0xe00, v0
	v_mov_b32_e32 v14, 0
	s_delay_alu instid0(VALU_DEP_2)
	v_cmp_gt_u32_e64 s0, s12, v10
	v_mov_b32_e32 v10, 0
	s_wait_xcnt 0x0
	s_and_saveexec_b32 s21, s0
	s_cbranch_execz .LBB383_21
; %bb.18:
	global_load_u8 v14, v[4:5], off offset:3584
	v_or_b32_e32 v10, 0xf00, v0
	s_delay_alu instid0(VALU_DEP_1)
	v_cmp_gt_u32_e64 s0, s12, v10
	v_mov_b32_e32 v10, 0
	s_wait_xcnt 0x0
	s_and_saveexec_b32 s22, s0
	s_cbranch_execz .LBB383_20
; %bb.19:
	global_load_u8 v10, v[4:5], off offset:3840
.LBB383_20:
	s_wait_xcnt 0x0
	s_or_b32 exec_lo, exec_lo, s22
.LBB383_21:
	s_delay_alu instid0(SALU_CYCLE_1)
	s_or_b32 exec_lo, exec_lo, s21
.LBB383_22:
	s_delay_alu instid0(SALU_CYCLE_1)
	s_or_b32 exec_lo, exec_lo, s20
.LBB383_23:
	s_delay_alu instid0(SALU_CYCLE_1)
	s_or_b32 exec_lo, exec_lo, s19
.LBB383_24:
	s_delay_alu instid0(SALU_CYCLE_1)
	s_or_b32 exec_lo, exec_lo, s18
.LBB383_25:
	s_delay_alu instid0(SALU_CYCLE_1)
	s_or_b32 exec_lo, exec_lo, s17
.LBB383_26:
	s_delay_alu instid0(SALU_CYCLE_1)
	s_or_b32 exec_lo, exec_lo, s15
.LBB383_27:
	s_delay_alu instid0(SALU_CYCLE_1)
	s_or_b32 exec_lo, exec_lo, s11
.LBB383_28:
	s_delay_alu instid0(SALU_CYCLE_1)
	s_or_b32 exec_lo, exec_lo, s10
.LBB383_29:
	s_delay_alu instid0(SALU_CYCLE_1)
	s_or_b32 exec_lo, exec_lo, s7
.LBB383_30:
	s_delay_alu instid0(SALU_CYCLE_1)
	s_or_b32 exec_lo, exec_lo, s6
.LBB383_31:
	s_delay_alu instid0(SALU_CYCLE_1)
	s_or_b32 exec_lo, exec_lo, s5
.LBB383_32:
	s_delay_alu instid0(SALU_CYCLE_1)
	s_or_b32 exec_lo, exec_lo, s4
	s_wait_loadcnt 0x0
	v_dual_mov_b32 v4, v3 :: v_dual_mov_b32 v3, v2
.LBB383_33:
	s_or_b32 exec_lo, exec_lo, s3
.LBB383_34:
	s_delay_alu instid0(SALU_CYCLE_1)
	s_or_b32 exec_lo, exec_lo, s2
.LBB383_35:
	s_delay_alu instid0(SALU_CYCLE_1)
	s_or_b32 exec_lo, exec_lo, s1
	v_and_b32_e32 v2, 0xff, v20
	s_cmp_eq_u32 s13, 0
	v_and_b32_e32 v5, 0xff, v19
	s_cselect_b32 s4, -1, 0
	s_and_b32 s5, s14, 0xff
	s_wait_loadcnt 0x0
	v_and_b32_e32 v13, 0xff, v13
	v_cmp_ne_u16_e64 s0, s5, v2
	v_and_b32_e32 v2, 0xff, v15
	v_and_b32_e32 v3, 0xff, v3
	;; [unrolled: 1-line block ×3, first 2 shown]
	v_cmp_ne_u16_e64 s2, s5, v13
	s_xor_b32 s0, s4, s0
	v_cmp_ne_u16_e64 s1, s5, v2
	v_cndmask_b32_e64 v15, 0, 1, s0
	v_cmp_ne_u16_e64 s0, s5, v5
	v_or_b32_e32 v5, 0x400, v0
	v_and_b32_e32 v4, 0xff, v4
	v_and_b32_e32 v12, 0xff, v12
	v_bitop3_b16 v2, v15, 0, 0xff00 bitop3:0xf8
	s_xor_b32 s0, s4, s0
	v_and_b32_e32 v16, 0xff, v16
	v_cndmask_b32_e64 v13, 0, 1, s0
	s_xor_b32 s0, s4, s1
	v_and_b32_e32 v2, 0xffff, v2
	v_cndmask_b32_e64 v15, 0, 1, s0
	s_xor_b32 s0, s4, s2
	v_lshlrev_b16 v13, 8, v13
	v_cndmask_b32_e64 v19, 0, 1, s0
	v_cmp_gt_i32_e64 s0, s12, v5
	v_cndmask_b32_e32 v5, 0, v15, vcc_lo
	v_cmp_ne_u16_e64 s1, s5, v17
	v_and_b32_e32 v9, 0xff, v9
	v_lshlrev_b16 v15, 8, v19
	v_cndmask_b32_e64 v2, 0, v2, s0
	v_cmp_ne_u16_e64 s0, s5, v3
	v_or_b32_e32 v3, 0x500, v0
	v_cmp_ne_u16_e64 s3, s5, v9
	v_and_b32_e32 v11, 0xff, v11
	v_bitop3_b16 v13, v2, v13, 0xff bitop3:0xec
	s_xor_b32 s0, s4, s0
	v_and_b32_e32 v8, 0xff, v8
	v_cndmask_b32_e64 v17, 0, 1, s0
	v_cmp_gt_i32_e64 s0, s12, v3
	v_and_b32_e32 v13, 0xffff, v13
	v_or_b32_e32 v15, v5, v15
	v_and_b32_e32 v14, 0xff, v14
	v_and_b32_e32 v7, 0xff, v7
	;; [unrolled: 1-line block ×3, first 2 shown]
	v_cndmask_b32_e64 v2, v2, v13, s0
	s_xor_b32 s0, s4, s1
	v_and_b32_e32 v15, 0xffff, v15
	v_cndmask_b32_e64 v3, 0, 1, s0
	v_cmp_gt_i32_e64 s0, s12, v1
	s_delay_alu instid0(VALU_DEP_1) | instskip(SKIP_2) | instid1(VALU_DEP_3)
	v_dual_lshrrev_b32 v13, 16, v2 :: v_dual_cndmask_b32 v5, v5, v15, s0
	v_cmp_ne_u16_e64 s0, s5, v4
	v_or_b32_e32 v4, 0x200, v0
	v_bitop3_b16 v3, v3, v13, 0xff00 bitop3:0xf8
	s_delay_alu instid0(VALU_DEP_4) | instskip(SKIP_4) | instid1(VALU_DEP_2)
	v_lshl_or_b32 v15, v17, 16, v5
	s_xor_b32 s0, s4, s0
	v_or_b32_e32 v17, 0xd00, v0
	v_cndmask_b32_e64 v13, 0, 1, s0
	v_cmp_gt_i32_e64 s0, s12, v4
	v_lshlrev_b16 v13, 8, v13
	s_delay_alu instid0(VALU_DEP_2) | instskip(SKIP_2) | instid1(VALU_DEP_3)
	v_cndmask_b32_e64 v4, v5, v15, s0
	v_cmp_ne_u16_e64 s0, s5, v12
	v_or_b32_e32 v5, 0x600, v0
	v_dual_lshlrev_b32 v3, 16, v3 :: v_dual_lshrrev_b32 v15, 16, v4
	s_xor_b32 s0, s4, s0
	s_delay_alu instid0(VALU_DEP_2)
	v_cmp_gt_i32_e64 s1, s12, v5
	v_cndmask_b32_e64 v5, 0, 1, s0
	v_cmp_ne_u16_e64 s0, s5, v16
	v_and_or_b32 v3, 0xffff, v2, v3
	v_bitop3_b16 v12, v15, v13, 0xff bitop3:0xec
	v_or_b32_e32 v15, 0x800, v0
	v_lshlrev_b16 v5, 8, v5
	s_xor_b32 s0, s4, s0
	s_delay_alu instid0(SALU_CYCLE_1) | instskip(SKIP_4) | instid1(VALU_DEP_3)
	v_cndmask_b32_e64 v9, 0, 1, s0
	v_cndmask_b32_e64 v2, v2, v3, s1
	v_and_b32_e32 v3, 0xff, v18
	v_cmp_ne_u16_e64 s1, s5, v11
	v_lshlrev_b32_e32 v12, 16, v12
	v_cmp_ne_u16_e64 s2, s5, v3
	v_or_b32_e32 v3, 0xc00, v0
	s_delay_alu instid0(VALU_DEP_3) | instskip(SKIP_1) | instid1(SALU_CYCLE_1)
	v_and_or_b32 v12, 0xffff, v4, v12
	s_xor_b32 s0, s4, s2
	v_cndmask_b32_e64 v11, 0, 1, s0
	s_xor_b32 s0, s4, s1
	v_cmp_gt_i32_e64 s1, s12, v17
	v_cndmask_b32_e64 v16, 0, 1, s0
	v_cmp_gt_i32_e64 s0, s12, v3
	s_delay_alu instid0(VALU_DEP_1) | instskip(SKIP_2) | instid1(SALU_CYCLE_1)
	v_cndmask_b32_e64 v3, 0, v9, s0
	v_lshlrev_b16 v9, 8, v11
	s_xor_b32 s0, s4, s3
	v_cndmask_b32_e64 v11, 0, 1, s0
	v_cmp_gt_i32_e64 s0, s12, v15
	s_delay_alu instid0(VALU_DEP_3) | instskip(SKIP_1) | instid1(VALU_DEP_4)
	v_bitop3_b16 v9, v3, v9, 0xff bitop3:0xec
	v_lshrrev_b32_e32 v13, 16, v2
	v_lshlrev_b16 v11, 8, v11
	s_delay_alu instid0(VALU_DEP_4) | instskip(NEXT) | instid1(VALU_DEP_4)
	v_cndmask_b32_e64 v15, 0, v16, s0
	v_and_b32_e32 v9, 0xffff, v9
	v_cmp_ne_u16_e64 s0, s5, v8
	v_or_b32_e32 v16, 0x900, v0
	v_bitop3_b16 v5, v13, v5, 0xff bitop3:0xec
	v_or_b32_e32 v13, 0x300, v0
	v_cndmask_b32_e64 v3, v3, v9, s1
	v_cmp_ne_u16_e64 s1, s5, v14
	s_xor_b32 s0, s4, s0
	s_delay_alu instid0(SALU_CYCLE_1) | instskip(SKIP_1) | instid1(SALU_CYCLE_1)
	v_cndmask_b32_e64 v9, 0, 1, s0
	s_xor_b32 s0, s4, s1
	v_cndmask_b32_e64 v14, 0, 1, s0
	v_cmp_gt_i32_e64 s0, s12, v16
	s_delay_alu instid0(VALU_DEP_3) | instskip(NEXT) | instid1(VALU_DEP_1)
	v_dual_lshlrev_b32 v9, 16, v9 :: v_dual_bitop2_b32 v11, v15, v11 bitop3:0x54
	v_and_b32_e32 v8, 0xffff, v11
	s_delay_alu instid0(VALU_DEP_1) | instskip(SKIP_1) | instid1(VALU_DEP_2)
	v_cndmask_b32_e64 v8, v15, v8, s0
	v_cmp_ne_u16_e64 s0, s5, v7
	v_and_or_b32 v9, 0x1ff, v8, v9
	v_lshrrev_b32_e32 v11, 16, v3
	s_xor_b32 s0, s4, s0
	s_delay_alu instid0(VALU_DEP_1) | instskip(SKIP_1) | instid1(VALU_DEP_1)
	v_bitop3_b16 v11, v14, v11, 0xff00 bitop3:0xf8
	v_or_b32_e32 v14, 0xa00, v0
	v_cmp_gt_i32_e64 s1, s12, v14
	s_delay_alu instid0(VALU_DEP_1) | instskip(SKIP_3) | instid1(VALU_DEP_3)
	v_dual_cndmask_b32 v8, v8, v9, s1 :: v_dual_lshlrev_b32 v7, 16, v11
	v_or_b32_e32 v9, 0xe00, v0
	v_cmp_ne_u16_e64 s1, s5, v10
	v_cndmask_b32_e64 v10, 0, 1, s0
	v_cmp_gt_i32_e64 s0, s12, v9
	v_lshrrev_b32_e32 v9, 16, v8
	v_and_or_b32 v7, 0xffff, v3, v7
	s_delay_alu instid0(VALU_DEP_4) | instskip(NEXT) | instid1(VALU_DEP_2)
	v_lshlrev_b16 v10, 8, v10
	v_cndmask_b32_e64 v7, v3, v7, s0
	s_xor_b32 s0, s4, s1
	s_delay_alu instid0(VALU_DEP_2)
	v_bitop3_b16 v9, v9, v10, 0xff bitop3:0xec
	v_cndmask_b32_e64 v3, 0, 1, s0
	v_lshlrev_b32_e32 v10, 16, v5
	v_cmp_gt_i32_e64 s0, s12, v13
	v_lshrrev_b32_e32 v11, 16, v7
	v_or_b32_e32 v13, 0xf00, v0
	v_lshlrev_b16 v3, 8, v3
	v_and_or_b32 v10, 0xffff, v2, v10
	v_cndmask_b32_e64 v5, v4, v12, s0
	s_delay_alu instid0(VALU_DEP_3) | instskip(SKIP_3) | instid1(VALU_DEP_4)
	v_bitop3_b16 v3, v11, v3, 0xff bitop3:0xec
	v_lshlrev_b32_e32 v4, 16, v9
	v_or_b32_e32 v9, 0x700, v0
	v_or_b32_e32 v11, 0xb00, v0
	v_lshlrev_b32_e32 v3, 16, v3
	s_delay_alu instid0(VALU_DEP_4) | instskip(NEXT) | instid1(VALU_DEP_4)
	v_and_or_b32 v12, 0xffff, v8, v4
	v_cmp_gt_i32_e64 s0, s12, v9
	s_delay_alu instid0(VALU_DEP_3) | instskip(NEXT) | instid1(VALU_DEP_2)
	v_and_or_b32 v14, 0xffff, v7, v3
	v_cndmask_b32_e64 v4, v2, v10, s0
	v_cmp_gt_i32_e64 s0, s12, v11
	s_delay_alu instid0(VALU_DEP_1) | instskip(SKIP_1) | instid1(VALU_DEP_1)
	v_cndmask_b32_e64 v3, v8, v12, s0
	v_cmp_gt_i32_e64 s0, s12, v13
	v_cndmask_b32_e64 v2, v7, v14, s0
	s_and_saveexec_b32 s0, vcc_lo
	s_cbranch_execnz .LBB383_53
; %bb.36:
	s_or_b32 exec_lo, exec_lo, s0
	s_delay_alu instid0(SALU_CYCLE_1)
	s_mov_b32 s0, exec_lo
	v_cmpx_gt_i32_e64 s12, v0
	s_cbranch_execnz .LBB383_54
.LBB383_37:
	s_or_b32 exec_lo, exec_lo, s0
	s_delay_alu instid0(SALU_CYCLE_1)
	s_mov_b32 s0, exec_lo
	v_cmpx_gt_i32_e64 s12, v0
	s_cbranch_execnz .LBB383_55
.LBB383_38:
	s_or_b32 exec_lo, exec_lo, s0
	s_delay_alu instid0(SALU_CYCLE_1)
	s_mov_b32 s0, exec_lo
	v_cmpx_gt_i32_e64 s12, v0
	s_cbranch_execnz .LBB383_56
.LBB383_39:
	s_or_b32 exec_lo, exec_lo, s0
	s_delay_alu instid0(SALU_CYCLE_1)
	s_mov_b32 s0, exec_lo
	v_cmpx_gt_i32_e64 s12, v0
	s_cbranch_execnz .LBB383_57
.LBB383_40:
	s_or_b32 exec_lo, exec_lo, s0
	s_delay_alu instid0(SALU_CYCLE_1)
	s_mov_b32 s0, exec_lo
	v_cmpx_gt_i32_e64 s12, v0
	s_cbranch_execnz .LBB383_58
.LBB383_41:
	s_or_b32 exec_lo, exec_lo, s0
	s_delay_alu instid0(SALU_CYCLE_1)
	s_mov_b32 s0, exec_lo
	v_cmpx_gt_i32_e64 s12, v0
	s_cbranch_execnz .LBB383_59
.LBB383_42:
	s_or_b32 exec_lo, exec_lo, s0
	s_delay_alu instid0(SALU_CYCLE_1)
	s_mov_b32 s0, exec_lo
	v_cmpx_gt_i32_e64 s12, v0
	s_cbranch_execnz .LBB383_60
.LBB383_43:
	s_or_b32 exec_lo, exec_lo, s0
	s_delay_alu instid0(SALU_CYCLE_1)
	s_mov_b32 s0, exec_lo
	v_cmpx_gt_i32_e64 s12, v0
	s_cbranch_execnz .LBB383_61
.LBB383_44:
	s_or_b32 exec_lo, exec_lo, s0
	s_delay_alu instid0(SALU_CYCLE_1)
	s_mov_b32 s0, exec_lo
	v_cmpx_gt_i32_e64 s12, v0
	s_cbranch_execnz .LBB383_62
.LBB383_45:
	s_or_b32 exec_lo, exec_lo, s0
	s_delay_alu instid0(SALU_CYCLE_1)
	s_mov_b32 s0, exec_lo
	v_cmpx_gt_i32_e64 s12, v0
	s_cbranch_execnz .LBB383_63
.LBB383_46:
	s_or_b32 exec_lo, exec_lo, s0
	s_delay_alu instid0(SALU_CYCLE_1)
	s_mov_b32 s0, exec_lo
	v_cmpx_gt_i32_e64 s12, v0
	s_cbranch_execnz .LBB383_64
.LBB383_47:
	s_or_b32 exec_lo, exec_lo, s0
	s_delay_alu instid0(SALU_CYCLE_1)
	s_mov_b32 s0, exec_lo
	v_cmpx_gt_i32_e64 s12, v0
	s_cbranch_execnz .LBB383_65
.LBB383_48:
	s_or_b32 exec_lo, exec_lo, s0
	s_delay_alu instid0(SALU_CYCLE_1)
	s_mov_b32 s0, exec_lo
	v_cmpx_gt_i32_e64 s12, v0
	s_cbranch_execnz .LBB383_66
.LBB383_49:
	s_or_b32 exec_lo, exec_lo, s0
	s_delay_alu instid0(SALU_CYCLE_1)
	s_mov_b32 s0, exec_lo
	v_cmpx_gt_i32_e64 s12, v0
	s_cbranch_execnz .LBB383_67
.LBB383_50:
	s_or_b32 exec_lo, exec_lo, s0
	s_delay_alu instid0(SALU_CYCLE_1)
	s_mov_b32 s0, exec_lo
	v_cmpx_gt_i32_e64 s12, v0
	s_cbranch_execz .LBB383_52
.LBB383_51:
	v_dual_lshrrev_b32 v1, 24, v2 :: v_dual_add_nc_u32 v0, s16, v0
	global_store_b8 v0, v1, s[8:9]
.LBB383_52:
	s_endpgm
.LBB383_53:
	v_mov_b32_e32 v0, v1
	global_store_b8 v6, v5, s[8:9]
	s_wait_xcnt 0x0
	s_or_b32 exec_lo, exec_lo, s0
	s_delay_alu instid0(SALU_CYCLE_1)
	s_mov_b32 s0, exec_lo
	v_cmpx_gt_i32_e64 s12, v0
	s_cbranch_execz .LBB383_37
.LBB383_54:
	v_dual_lshrrev_b32 v1, 8, v5 :: v_dual_add_nc_u32 v6, s16, v0
	v_add_nc_u32_e32 v0, 0x100, v0
	global_store_b8 v6, v1, s[8:9]
	s_wait_xcnt 0x0
	s_or_b32 exec_lo, exec_lo, s0
	s_delay_alu instid0(SALU_CYCLE_1)
	s_mov_b32 s0, exec_lo
	v_cmpx_gt_i32_e64 s12, v0
	s_cbranch_execz .LBB383_38
.LBB383_55:
	v_add_nc_u32_e32 v1, s16, v0
	v_add_nc_u32_e32 v0, 0x100, v0
	global_store_d16_hi_b8 v1, v5, s[8:9]
	s_wait_xcnt 0x0
	s_or_b32 exec_lo, exec_lo, s0
	s_delay_alu instid0(SALU_CYCLE_1)
	s_mov_b32 s0, exec_lo
	v_cmpx_gt_i32_e64 s12, v0
	s_cbranch_execz .LBB383_39
.LBB383_56:
	v_dual_lshrrev_b32 v1, 24, v5 :: v_dual_add_nc_u32 v5, s16, v0
	v_add_nc_u32_e32 v0, 0x100, v0
	global_store_b8 v5, v1, s[8:9]
	s_wait_xcnt 0x0
	s_or_b32 exec_lo, exec_lo, s0
	s_delay_alu instid0(SALU_CYCLE_1)
	s_mov_b32 s0, exec_lo
	v_cmpx_gt_i32_e64 s12, v0
	s_cbranch_execz .LBB383_40
.LBB383_57:
	v_add_nc_u32_e32 v1, s16, v0
	v_add_nc_u32_e32 v0, 0x100, v0
	global_store_b8 v1, v4, s[8:9]
	s_wait_xcnt 0x0
	s_or_b32 exec_lo, exec_lo, s0
	s_delay_alu instid0(SALU_CYCLE_1)
	s_mov_b32 s0, exec_lo
	v_cmpx_gt_i32_e64 s12, v0
	s_cbranch_execz .LBB383_41
.LBB383_58:
	v_lshrrev_b32_e32 v1, 8, v4
	v_add_nc_u32_e32 v5, s16, v0
	v_add_nc_u32_e32 v0, 0x100, v0
	global_store_b8 v5, v1, s[8:9]
	s_wait_xcnt 0x0
	s_or_b32 exec_lo, exec_lo, s0
	s_delay_alu instid0(SALU_CYCLE_1)
	s_mov_b32 s0, exec_lo
	v_cmpx_gt_i32_e64 s12, v0
	s_cbranch_execz .LBB383_42
.LBB383_59:
	v_add_nc_u32_e32 v1, s16, v0
	v_add_nc_u32_e32 v0, 0x100, v0
	global_store_d16_hi_b8 v1, v4, s[8:9]
	s_wait_xcnt 0x0
	s_or_b32 exec_lo, exec_lo, s0
	s_delay_alu instid0(SALU_CYCLE_1)
	s_mov_b32 s0, exec_lo
	v_cmpx_gt_i32_e64 s12, v0
	s_cbranch_execz .LBB383_43
.LBB383_60:
	v_lshrrev_b32_e32 v1, 24, v4
	v_add_nc_u32_e32 v4, s16, v0
	v_add_nc_u32_e32 v0, 0x100, v0
	global_store_b8 v4, v1, s[8:9]
	s_wait_xcnt 0x0
	s_or_b32 exec_lo, exec_lo, s0
	s_delay_alu instid0(SALU_CYCLE_1)
	s_mov_b32 s0, exec_lo
	v_cmpx_gt_i32_e64 s12, v0
	s_cbranch_execz .LBB383_44
.LBB383_61:
	v_add_nc_u32_e32 v1, s16, v0
	v_add_nc_u32_e32 v0, 0x100, v0
	global_store_b8 v1, v3, s[8:9]
	s_wait_xcnt 0x0
	s_or_b32 exec_lo, exec_lo, s0
	s_delay_alu instid0(SALU_CYCLE_1)
	s_mov_b32 s0, exec_lo
	v_cmpx_gt_i32_e64 s12, v0
	s_cbranch_execz .LBB383_45
.LBB383_62:
	v_dual_lshrrev_b32 v1, 8, v3 :: v_dual_add_nc_u32 v4, s16, v0
	v_add_nc_u32_e32 v0, 0x100, v0
	global_store_b8 v4, v1, s[8:9]
	s_wait_xcnt 0x0
	s_or_b32 exec_lo, exec_lo, s0
	s_delay_alu instid0(SALU_CYCLE_1)
	s_mov_b32 s0, exec_lo
	v_cmpx_gt_i32_e64 s12, v0
	s_cbranch_execz .LBB383_46
.LBB383_63:
	v_add_nc_u32_e32 v1, s16, v0
	v_add_nc_u32_e32 v0, 0x100, v0
	global_store_d16_hi_b8 v1, v3, s[8:9]
	s_wait_xcnt 0x0
	s_or_b32 exec_lo, exec_lo, s0
	s_delay_alu instid0(SALU_CYCLE_1)
	s_mov_b32 s0, exec_lo
	v_cmpx_gt_i32_e64 s12, v0
	s_cbranch_execz .LBB383_47
.LBB383_64:
	v_dual_lshrrev_b32 v1, 24, v3 :: v_dual_add_nc_u32 v3, s16, v0
	v_add_nc_u32_e32 v0, 0x100, v0
	global_store_b8 v3, v1, s[8:9]
	s_wait_xcnt 0x0
	s_or_b32 exec_lo, exec_lo, s0
	s_delay_alu instid0(SALU_CYCLE_1)
	s_mov_b32 s0, exec_lo
	v_cmpx_gt_i32_e64 s12, v0
	s_cbranch_execz .LBB383_48
.LBB383_65:
	v_add_nc_u32_e32 v1, s16, v0
	v_add_nc_u32_e32 v0, 0x100, v0
	global_store_b8 v1, v2, s[8:9]
	s_wait_xcnt 0x0
	s_or_b32 exec_lo, exec_lo, s0
	s_delay_alu instid0(SALU_CYCLE_1)
	s_mov_b32 s0, exec_lo
	v_cmpx_gt_i32_e64 s12, v0
	s_cbranch_execz .LBB383_49
.LBB383_66:
	v_dual_lshrrev_b32 v1, 8, v2 :: v_dual_add_nc_u32 v3, s16, v0
	v_add_nc_u32_e32 v0, 0x100, v0
	global_store_b8 v3, v1, s[8:9]
	s_wait_xcnt 0x0
	s_or_b32 exec_lo, exec_lo, s0
	s_delay_alu instid0(SALU_CYCLE_1)
	s_mov_b32 s0, exec_lo
	v_cmpx_gt_i32_e64 s12, v0
	s_cbranch_execz .LBB383_50
.LBB383_67:
	v_add_nc_u32_e32 v1, s16, v0
	v_add_nc_u32_e32 v0, 0x100, v0
	global_store_d16_hi_b8 v1, v2, s[8:9]
	s_wait_xcnt 0x0
	s_or_b32 exec_lo, exec_lo, s0
	s_delay_alu instid0(SALU_CYCLE_1)
	s_mov_b32 s0, exec_lo
	v_cmpx_gt_i32_e64 s12, v0
	s_cbranch_execnz .LBB383_51
	s_branch .LBB383_52
	.section	.rodata,"a",@progbits
	.p2align	6, 0x0
	.amdhsa_kernel _ZN2at6native29vectorized_elementwise_kernelILi4ENS0_13AUnaryFunctorIN3c1016Float4_e2m1fn_x2ES4_bNS0_12_GLOBAL__N_116CompareEqFunctorIS4_EEEESt5arrayIPcLm2EEEEviT0_T1_
		.amdhsa_group_segment_fixed_size 0
		.amdhsa_private_segment_fixed_size 0
		.amdhsa_kernarg_size 32
		.amdhsa_user_sgpr_count 2
		.amdhsa_user_sgpr_dispatch_ptr 0
		.amdhsa_user_sgpr_queue_ptr 0
		.amdhsa_user_sgpr_kernarg_segment_ptr 1
		.amdhsa_user_sgpr_dispatch_id 0
		.amdhsa_user_sgpr_kernarg_preload_length 0
		.amdhsa_user_sgpr_kernarg_preload_offset 0
		.amdhsa_user_sgpr_private_segment_size 0
		.amdhsa_wavefront_size32 1
		.amdhsa_uses_dynamic_stack 0
		.amdhsa_enable_private_segment 0
		.amdhsa_system_sgpr_workgroup_id_x 1
		.amdhsa_system_sgpr_workgroup_id_y 0
		.amdhsa_system_sgpr_workgroup_id_z 0
		.amdhsa_system_sgpr_workgroup_info 0
		.amdhsa_system_vgpr_workitem_id 0
		.amdhsa_next_free_vgpr 21
		.amdhsa_next_free_sgpr 23
		.amdhsa_named_barrier_count 0
		.amdhsa_reserve_vcc 1
		.amdhsa_float_round_mode_32 0
		.amdhsa_float_round_mode_16_64 0
		.amdhsa_float_denorm_mode_32 3
		.amdhsa_float_denorm_mode_16_64 3
		.amdhsa_fp16_overflow 0
		.amdhsa_memory_ordered 1
		.amdhsa_forward_progress 1
		.amdhsa_inst_pref_size 39
		.amdhsa_round_robin_scheduling 0
		.amdhsa_exception_fp_ieee_invalid_op 0
		.amdhsa_exception_fp_denorm_src 0
		.amdhsa_exception_fp_ieee_div_zero 0
		.amdhsa_exception_fp_ieee_overflow 0
		.amdhsa_exception_fp_ieee_underflow 0
		.amdhsa_exception_fp_ieee_inexact 0
		.amdhsa_exception_int_div_zero 0
	.end_amdhsa_kernel
	.section	.text._ZN2at6native29vectorized_elementwise_kernelILi4ENS0_13AUnaryFunctorIN3c1016Float4_e2m1fn_x2ES4_bNS0_12_GLOBAL__N_116CompareEqFunctorIS4_EEEESt5arrayIPcLm2EEEEviT0_T1_,"axG",@progbits,_ZN2at6native29vectorized_elementwise_kernelILi4ENS0_13AUnaryFunctorIN3c1016Float4_e2m1fn_x2ES4_bNS0_12_GLOBAL__N_116CompareEqFunctorIS4_EEEESt5arrayIPcLm2EEEEviT0_T1_,comdat
.Lfunc_end383:
	.size	_ZN2at6native29vectorized_elementwise_kernelILi4ENS0_13AUnaryFunctorIN3c1016Float4_e2m1fn_x2ES4_bNS0_12_GLOBAL__N_116CompareEqFunctorIS4_EEEESt5arrayIPcLm2EEEEviT0_T1_, .Lfunc_end383-_ZN2at6native29vectorized_elementwise_kernelILi4ENS0_13AUnaryFunctorIN3c1016Float4_e2m1fn_x2ES4_bNS0_12_GLOBAL__N_116CompareEqFunctorIS4_EEEESt5arrayIPcLm2EEEEviT0_T1_
                                        ; -- End function
	.set _ZN2at6native29vectorized_elementwise_kernelILi4ENS0_13AUnaryFunctorIN3c1016Float4_e2m1fn_x2ES4_bNS0_12_GLOBAL__N_116CompareEqFunctorIS4_EEEESt5arrayIPcLm2EEEEviT0_T1_.num_vgpr, 21
	.set _ZN2at6native29vectorized_elementwise_kernelILi4ENS0_13AUnaryFunctorIN3c1016Float4_e2m1fn_x2ES4_bNS0_12_GLOBAL__N_116CompareEqFunctorIS4_EEEESt5arrayIPcLm2EEEEviT0_T1_.num_agpr, 0
	.set _ZN2at6native29vectorized_elementwise_kernelILi4ENS0_13AUnaryFunctorIN3c1016Float4_e2m1fn_x2ES4_bNS0_12_GLOBAL__N_116CompareEqFunctorIS4_EEEESt5arrayIPcLm2EEEEviT0_T1_.numbered_sgpr, 23
	.set _ZN2at6native29vectorized_elementwise_kernelILi4ENS0_13AUnaryFunctorIN3c1016Float4_e2m1fn_x2ES4_bNS0_12_GLOBAL__N_116CompareEqFunctorIS4_EEEESt5arrayIPcLm2EEEEviT0_T1_.num_named_barrier, 0
	.set _ZN2at6native29vectorized_elementwise_kernelILi4ENS0_13AUnaryFunctorIN3c1016Float4_e2m1fn_x2ES4_bNS0_12_GLOBAL__N_116CompareEqFunctorIS4_EEEESt5arrayIPcLm2EEEEviT0_T1_.private_seg_size, 0
	.set _ZN2at6native29vectorized_elementwise_kernelILi4ENS0_13AUnaryFunctorIN3c1016Float4_e2m1fn_x2ES4_bNS0_12_GLOBAL__N_116CompareEqFunctorIS4_EEEESt5arrayIPcLm2EEEEviT0_T1_.uses_vcc, 1
	.set _ZN2at6native29vectorized_elementwise_kernelILi4ENS0_13AUnaryFunctorIN3c1016Float4_e2m1fn_x2ES4_bNS0_12_GLOBAL__N_116CompareEqFunctorIS4_EEEESt5arrayIPcLm2EEEEviT0_T1_.uses_flat_scratch, 0
	.set _ZN2at6native29vectorized_elementwise_kernelILi4ENS0_13AUnaryFunctorIN3c1016Float4_e2m1fn_x2ES4_bNS0_12_GLOBAL__N_116CompareEqFunctorIS4_EEEESt5arrayIPcLm2EEEEviT0_T1_.has_dyn_sized_stack, 0
	.set _ZN2at6native29vectorized_elementwise_kernelILi4ENS0_13AUnaryFunctorIN3c1016Float4_e2m1fn_x2ES4_bNS0_12_GLOBAL__N_116CompareEqFunctorIS4_EEEESt5arrayIPcLm2EEEEviT0_T1_.has_recursion, 0
	.set _ZN2at6native29vectorized_elementwise_kernelILi4ENS0_13AUnaryFunctorIN3c1016Float4_e2m1fn_x2ES4_bNS0_12_GLOBAL__N_116CompareEqFunctorIS4_EEEESt5arrayIPcLm2EEEEviT0_T1_.has_indirect_call, 0
	.section	.AMDGPU.csdata,"",@progbits
; Kernel info:
; codeLenInByte = 4916
; TotalNumSgprs: 25
; NumVgprs: 21
; ScratchSize: 0
; MemoryBound: 0
; FloatMode: 240
; IeeeMode: 1
; LDSByteSize: 0 bytes/workgroup (compile time only)
; SGPRBlocks: 0
; VGPRBlocks: 1
; NumSGPRsForWavesPerEU: 25
; NumVGPRsForWavesPerEU: 21
; NamedBarCnt: 0
; Occupancy: 16
; WaveLimiterHint : 1
; COMPUTE_PGM_RSRC2:SCRATCH_EN: 0
; COMPUTE_PGM_RSRC2:USER_SGPR: 2
; COMPUTE_PGM_RSRC2:TRAP_HANDLER: 0
; COMPUTE_PGM_RSRC2:TGID_X_EN: 1
; COMPUTE_PGM_RSRC2:TGID_Y_EN: 0
; COMPUTE_PGM_RSRC2:TGID_Z_EN: 0
; COMPUTE_PGM_RSRC2:TIDIG_COMP_CNT: 0
	.section	.text._ZN2at6native29vectorized_elementwise_kernelILi2ENS0_13AUnaryFunctorIN3c1016Float4_e2m1fn_x2ES4_bNS0_12_GLOBAL__N_116CompareEqFunctorIS4_EEEESt5arrayIPcLm2EEEEviT0_T1_,"axG",@progbits,_ZN2at6native29vectorized_elementwise_kernelILi2ENS0_13AUnaryFunctorIN3c1016Float4_e2m1fn_x2ES4_bNS0_12_GLOBAL__N_116CompareEqFunctorIS4_EEEESt5arrayIPcLm2EEEEviT0_T1_,comdat
	.globl	_ZN2at6native29vectorized_elementwise_kernelILi2ENS0_13AUnaryFunctorIN3c1016Float4_e2m1fn_x2ES4_bNS0_12_GLOBAL__N_116CompareEqFunctorIS4_EEEESt5arrayIPcLm2EEEEviT0_T1_ ; -- Begin function _ZN2at6native29vectorized_elementwise_kernelILi2ENS0_13AUnaryFunctorIN3c1016Float4_e2m1fn_x2ES4_bNS0_12_GLOBAL__N_116CompareEqFunctorIS4_EEEESt5arrayIPcLm2EEEEviT0_T1_
	.p2align	8
	.type	_ZN2at6native29vectorized_elementwise_kernelILi2ENS0_13AUnaryFunctorIN3c1016Float4_e2m1fn_x2ES4_bNS0_12_GLOBAL__N_116CompareEqFunctorIS4_EEEESt5arrayIPcLm2EEEEviT0_T1_,@function
_ZN2at6native29vectorized_elementwise_kernelILi2ENS0_13AUnaryFunctorIN3c1016Float4_e2m1fn_x2ES4_bNS0_12_GLOBAL__N_116CompareEqFunctorIS4_EEEESt5arrayIPcLm2EEEEviT0_T1_: ; @_ZN2at6native29vectorized_elementwise_kernelILi2ENS0_13AUnaryFunctorIN3c1016Float4_e2m1fn_x2ES4_bNS0_12_GLOBAL__N_116CompareEqFunctorIS4_EEEESt5arrayIPcLm2EEEEviT0_T1_
; %bb.0:
	s_clause 0x1
	s_load_b96 s[20:22], s[0:1], 0x0
	s_load_b128 s[16:19], s[0:1], 0x10
	s_wait_xcnt 0x0
	s_bfe_u32 s0, ttmp6, 0x4000c
	s_and_b32 s1, ttmp6, 15
	s_add_co_i32 s0, s0, 1
	s_getreg_b32 s2, hwreg(HW_REG_IB_STS2, 6, 4)
	s_mul_i32 s0, ttmp9, s0
	s_delay_alu instid0(SALU_CYCLE_1) | instskip(SKIP_2) | instid1(SALU_CYCLE_1)
	s_add_co_i32 s1, s1, s0
	s_cmp_eq_u32 s2, 0
	s_cselect_b32 s0, ttmp9, s1
	s_lshl_b32 s24, s0, 12
	s_wait_kmcnt 0x0
	s_sub_co_i32 s15, s20, s24
	s_mov_b32 s20, -1
	s_cmp_gt_i32 s15, 0xfff
	s_cbranch_scc0 .LBB384_2
; %bb.1:
	s_ashr_i32 s25, s24, 31
	s_cmp_eq_u32 s21, 0
	s_add_nc_u64 s[0:1], s[18:19], s[24:25]
	s_cselect_b32 s23, -1, 0
	s_clause 0x7
	global_load_u16 v1, v0, s[0:1] scale_offset
	global_load_u16 v2, v0, s[0:1] offset:512 scale_offset
	global_load_u16 v3, v0, s[0:1] offset:1024 scale_offset
	;; [unrolled: 1-line block ×7, first 2 shown]
	s_and_b32 s14, s22, 0xff
	s_add_nc_u64 s[26:27], s[16:17], s[24:25]
	s_mov_b32 s20, 0
	s_wait_loadcnt 0x7
	v_and_b32_e32 v9, 0xff, v1
	v_lshrrev_b16 v1, 8, v1
	s_wait_loadcnt 0x6
	v_and_b32_e32 v10, 0xff, v2
	v_lshrrev_b16 v2, 8, v2
	;; [unrolled: 3-line block ×3, first 2 shown]
	s_wait_xcnt 0x0
	v_cmp_ne_u16_e64 s0, s14, v1
	v_cmp_ne_u16_e64 s1, s14, v10
	;; [unrolled: 1-line block ×3, first 2 shown]
	s_wait_loadcnt 0x4
	v_and_b32_e32 v12, 0xff, v4
	v_lshrrev_b16 v4, 8, v4
	s_xor_b32 s0, s23, s0
	v_cmp_ne_u16_e64 s3, s14, v11
	v_cndmask_b32_e64 v2, 0, 1, s0
	s_xor_b32 s0, s23, s1
	s_wait_loadcnt 0x3
	v_and_b32_e32 v13, 0xff, v5
	v_lshrrev_b16 v5, 8, v5
	v_cmp_ne_u16_e64 s4, s14, v3
	v_cndmask_b32_e64 v3, 0, 1, s0
	s_xor_b32 s0, s23, s2
	s_wait_loadcnt 0x2
	v_and_b32_e32 v14, 0xff, v6
	v_lshrrev_b16 v6, 8, v6
	v_cmp_ne_u16_e64 s5, s14, v12
	v_cmp_ne_u16_e64 s6, s14, v4
	v_cndmask_b32_e64 v4, 0, 1, s0
	s_xor_b32 s0, s23, s3
	s_wait_loadcnt 0x1
	v_and_b32_e32 v15, 0xff, v7
	v_lshrrev_b16 v7, 8, v7
	v_cmp_ne_u16_e64 s8, s14, v5
	v_cndmask_b32_e64 v5, 0, 1, s0
	s_xor_b32 s0, s23, s4
	s_wait_loadcnt 0x0
	v_and_b32_e32 v16, 0xff, v8
	v_lshrrev_b16 v8, 8, v8
	v_cmp_ne_u16_e64 s7, s14, v13
	v_cmp_ne_u16_e64 s10, s14, v6
	v_cndmask_b32_e64 v6, 0, 1, s0
	s_xor_b32 s0, s23, s5
	v_cmp_ne_u16_e64 s12, s14, v7
	v_cndmask_b32_e64 v7, 0, 1, s0
	s_xor_b32 s0, s23, s6
	v_cmp_ne_u16_e64 s9, s14, v14
	v_cmp_ne_u16_e32 vcc_lo, s14, v9
	v_cmp_ne_u16_e64 s11, s14, v15
	v_cmp_ne_u16_e64 s13, s14, v16
	;; [unrolled: 1-line block ×3, first 2 shown]
	v_cndmask_b32_e64 v8, 0, 1, s0
	s_xor_b32 s0, s23, s7
	s_xor_b32 s25, s23, vcc_lo
	v_cndmask_b32_e64 v9, 0, 1, s0
	s_xor_b32 s0, s23, s8
	v_cndmask_b32_e64 v1, 0, 1, s25
	v_cndmask_b32_e64 v10, 0, 1, s0
	s_xor_b32 s0, s23, s9
	v_lshlrev_b16 v2, 8, v2
	v_cndmask_b32_e64 v11, 0, 1, s0
	s_xor_b32 s0, s23, s10
	v_lshlrev_b16 v4, 8, v4
	;; [unrolled: 3-line block ×6, first 2 shown]
	v_cndmask_b32_e64 v16, 0, 1, s0
	v_lshlrev_b16 v13, 8, v13
	v_lshlrev_b16 v12, 8, v12
	v_or_b32_e32 v1, v1, v2
	v_or_b32_e32 v2, v3, v4
	;; [unrolled: 1-line block ×8, first 2 shown]
	s_clause 0x7
	global_store_b16 v0, v1, s[26:27] scale_offset
	global_store_b16 v0, v2, s[26:27] offset:512 scale_offset
	global_store_b16 v0, v3, s[26:27] offset:1024 scale_offset
	;; [unrolled: 1-line block ×7, first 2 shown]
.LBB384_2:
	s_and_not1_b32 vcc_lo, exec_lo, s20
	s_cbranch_vccnz .LBB384_52
; %bb.3:
	v_cmp_gt_i32_e32 vcc_lo, s15, v0
	s_wait_xcnt 0x7
	v_or_b32_e32 v1, 0x100, v0
	v_dual_mov_b32 v10, 0 :: v_dual_bitop2_b32 v6, s24, v0 bitop3:0x54
	s_wait_xcnt 0x0
	v_dual_mov_b32 v14, 0 :: v_dual_mov_b32 v18, 0
	v_dual_mov_b32 v16, 0 :: v_dual_mov_b32 v7, 0
	;; [unrolled: 1-line block ×7, first 2 shown]
	v_mov_b32_e32 v15, 0
	s_and_saveexec_b32 s1, vcc_lo
	s_cbranch_execz .LBB384_35
; %bb.4:
	global_load_u8 v15, v6, s[18:19]
	v_dual_mov_b32 v13, 0 :: v_dual_mov_b32 v3, 0
	v_dual_mov_b32 v4, 0 :: v_dual_mov_b32 v20, 0
	;; [unrolled: 1-line block ×7, first 2 shown]
	v_mov_b32_e32 v10, 0
	s_mov_b32 s2, exec_lo
	s_wait_xcnt 0x0
	v_cmpx_gt_u32_e64 s15, v1
	s_cbranch_execz .LBB384_34
; %bb.5:
	v_dual_mov_b32 v3, 0 :: v_dual_add_nc_u32 v2, s24, v0
	v_or_b32_e32 v4, 0x200, v0
	v_dual_mov_b32 v19, 0 :: v_dual_mov_b32 v17, 0
	global_load_u8 v13, v2, s[18:19] offset:256
	v_mov_b32_e32 v20, 0
	v_cmp_gt_u32_e64 s0, s15, v4
	v_dual_mov_b32 v4, 0 :: v_dual_mov_b32 v12, 0
	v_dual_mov_b32 v11, 0 :: v_dual_mov_b32 v9, 0
	;; [unrolled: 1-line block ×5, first 2 shown]
	s_wait_xcnt 0x0
	s_and_saveexec_b32 s3, s0
	s_cbranch_execz .LBB384_33
; %bb.6:
	v_add_nc_u64_e32 v[4:5], s[18:19], v[2:3]
	v_or_b32_e32 v7, 0x300, v0
	v_dual_mov_b32 v20, 0 :: v_dual_mov_b32 v19, 0
	v_dual_mov_b32 v17, 0 :: v_dual_mov_b32 v12, 0
	s_delay_alu instid0(VALU_DEP_3)
	v_cmp_gt_u32_e64 s0, s15, v7
	global_load_u8 v2, v[4:5], off offset:512
	v_dual_mov_b32 v11, 0 :: v_dual_mov_b32 v9, 0
	v_dual_mov_b32 v8, 0 :: v_dual_mov_b32 v7, 0
	;; [unrolled: 1-line block ×4, first 2 shown]
	s_wait_xcnt 0x0
	s_and_saveexec_b32 s4, s0
	s_cbranch_execz .LBB384_32
; %bb.7:
	global_load_u8 v3, v[4:5], off offset:768
	v_or_b32_e32 v7, 0x400, v0
	v_dual_mov_b32 v20, 0 :: v_dual_mov_b32 v19, 0
	v_dual_mov_b32 v17, 0 :: v_dual_mov_b32 v12, 0
	s_delay_alu instid0(VALU_DEP_3)
	v_cmp_gt_u32_e64 s0, s15, v7
	v_dual_mov_b32 v11, 0 :: v_dual_mov_b32 v9, 0
	v_dual_mov_b32 v8, 0 :: v_dual_mov_b32 v7, 0
	;; [unrolled: 1-line block ×4, first 2 shown]
	s_wait_xcnt 0x0
	s_and_saveexec_b32 s5, s0
	s_cbranch_execz .LBB384_31
; %bb.8:
	global_load_u8 v20, v[4:5], off offset:1024
	v_or_b32_e32 v7, 0x500, v0
	v_dual_mov_b32 v19, 0 :: v_dual_mov_b32 v17, 0
	v_dual_mov_b32 v12, 0 :: v_dual_mov_b32 v11, 0
	s_delay_alu instid0(VALU_DEP_3)
	v_cmp_gt_u32_e64 s0, s15, v7
	v_dual_mov_b32 v9, 0 :: v_dual_mov_b32 v8, 0
	v_dual_mov_b32 v7, 0 :: v_dual_mov_b32 v16, 0
	;; [unrolled: 1-line block ×3, first 2 shown]
	v_mov_b32_e32 v10, 0
	s_wait_xcnt 0x0
	s_and_saveexec_b32 s6, s0
	s_cbranch_execz .LBB384_30
; %bb.9:
	global_load_u8 v19, v[4:5], off offset:1280
	v_or_b32_e32 v7, 0x600, v0
	v_dual_mov_b32 v17, 0 :: v_dual_mov_b32 v12, 0
	v_dual_mov_b32 v11, 0 :: v_dual_mov_b32 v9, 0
	s_delay_alu instid0(VALU_DEP_3)
	v_cmp_gt_u32_e64 s0, s15, v7
	v_dual_mov_b32 v8, 0 :: v_dual_mov_b32 v7, 0
	v_dual_mov_b32 v16, 0 :: v_dual_mov_b32 v18, 0
	;; [unrolled: 1-line block ×3, first 2 shown]
	s_wait_xcnt 0x0
	s_and_saveexec_b32 s7, s0
	s_cbranch_execz .LBB384_29
; %bb.10:
	global_load_u8 v17, v[4:5], off offset:1536
	v_or_b32_e32 v7, 0x700, v0
	v_dual_mov_b32 v12, 0 :: v_dual_mov_b32 v11, 0
	v_dual_mov_b32 v9, 0 :: v_dual_mov_b32 v8, 0
	s_delay_alu instid0(VALU_DEP_3)
	v_cmp_gt_u32_e64 s0, s15, v7
	v_dual_mov_b32 v7, 0 :: v_dual_mov_b32 v16, 0
	v_dual_mov_b32 v18, 0 :: v_dual_mov_b32 v14, 0
	v_mov_b32_e32 v10, 0
	s_wait_xcnt 0x0
	s_and_saveexec_b32 s8, s0
	s_cbranch_execz .LBB384_28
; %bb.11:
	global_load_u8 v12, v[4:5], off offset:1792
	v_or_b32_e32 v7, 0x800, v0
	v_dual_mov_b32 v11, 0 :: v_dual_mov_b32 v9, 0
	v_dual_mov_b32 v8, 0 :: v_dual_mov_b32 v16, 0
	v_mov_b32_e32 v18, 0
	s_delay_alu instid0(VALU_DEP_4)
	v_cmp_gt_u32_e64 s0, s15, v7
	v_dual_mov_b32 v7, 0 :: v_dual_mov_b32 v14, 0
	v_mov_b32_e32 v10, 0
	s_wait_xcnt 0x0
	s_and_saveexec_b32 s9, s0
	s_cbranch_execz .LBB384_27
; %bb.12:
	global_load_u8 v11, v[4:5], off offset:2048
	v_or_b32_e32 v7, 0x900, v0
	v_dual_mov_b32 v9, 0 :: v_dual_mov_b32 v8, 0
	v_dual_mov_b32 v18, 0 :: v_dual_mov_b32 v14, 0
	s_delay_alu instid0(VALU_DEP_3)
	v_cmp_gt_u32_e64 s0, s15, v7
	v_dual_mov_b32 v7, 0 :: v_dual_mov_b32 v16, 0
	v_mov_b32_e32 v10, 0
	s_wait_xcnt 0x0
	s_and_saveexec_b32 s10, s0
	s_cbranch_execz .LBB384_26
; %bb.13:
	global_load_u8 v9, v[4:5], off offset:2304
	v_or_b32_e32 v7, 0xa00, v0
	v_dual_mov_b32 v8, 0 :: v_dual_mov_b32 v16, 0
	v_dual_mov_b32 v18, 0 :: v_dual_mov_b32 v14, 0
	v_mov_b32_e32 v10, 0
	s_delay_alu instid0(VALU_DEP_4)
	v_cmp_gt_u32_e64 s0, s15, v7
	v_mov_b32_e32 v7, 0
	s_wait_xcnt 0x0
	s_and_saveexec_b32 s11, s0
	s_cbranch_execz .LBB384_25
; %bb.14:
	global_load_u8 v8, v[4:5], off offset:2560
	v_or_b32_e32 v7, 0xb00, v0
	v_dual_mov_b32 v18, 0 :: v_dual_mov_b32 v14, 0
	v_dual_mov_b32 v10, 0 :: v_dual_mov_b32 v16, 0
	s_delay_alu instid0(VALU_DEP_3)
	v_cmp_gt_u32_e64 s0, s15, v7
	v_mov_b32_e32 v7, 0
	s_wait_xcnt 0x0
	s_and_saveexec_b32 s12, s0
	s_cbranch_execz .LBB384_24
; %bb.15:
	global_load_u8 v7, v[4:5], off offset:2816
	v_or_b32_e32 v10, 0xc00, v0
	v_dual_mov_b32 v16, 0 :: v_dual_mov_b32 v18, 0
	v_mov_b32_e32 v14, 0
	s_delay_alu instid0(VALU_DEP_3)
	v_cmp_gt_u32_e64 s0, s15, v10
	v_mov_b32_e32 v10, 0
	s_wait_xcnt 0x0
	s_and_saveexec_b32 s13, s0
	s_cbranch_execz .LBB384_23
; %bb.16:
	global_load_u8 v16, v[4:5], off offset:3072
	v_or_b32_e32 v10, 0xd00, v0
	v_dual_mov_b32 v18, 0 :: v_dual_mov_b32 v14, 0
	s_delay_alu instid0(VALU_DEP_2)
	v_cmp_gt_u32_e64 s0, s15, v10
	v_mov_b32_e32 v10, 0
	s_wait_xcnt 0x0
	s_and_saveexec_b32 s14, s0
	s_cbranch_execz .LBB384_22
; %bb.17:
	global_load_u8 v18, v[4:5], off offset:3328
	v_or_b32_e32 v10, 0xe00, v0
	v_mov_b32_e32 v14, 0
	s_delay_alu instid0(VALU_DEP_2)
	v_cmp_gt_u32_e64 s0, s15, v10
	v_mov_b32_e32 v10, 0
	s_wait_xcnt 0x0
	s_and_saveexec_b32 s18, s0
	s_cbranch_execz .LBB384_21
; %bb.18:
	global_load_u8 v14, v[4:5], off offset:3584
	v_or_b32_e32 v10, 0xf00, v0
	s_delay_alu instid0(VALU_DEP_1)
	v_cmp_gt_u32_e64 s0, s15, v10
	v_mov_b32_e32 v10, 0
	s_wait_xcnt 0x0
	s_and_saveexec_b32 s19, s0
	s_cbranch_execz .LBB384_20
; %bb.19:
	global_load_u8 v10, v[4:5], off offset:3840
.LBB384_20:
	s_wait_xcnt 0x0
	s_or_b32 exec_lo, exec_lo, s19
.LBB384_21:
	s_delay_alu instid0(SALU_CYCLE_1)
	s_or_b32 exec_lo, exec_lo, s18
.LBB384_22:
	s_delay_alu instid0(SALU_CYCLE_1)
	s_or_b32 exec_lo, exec_lo, s14
.LBB384_23:
	s_delay_alu instid0(SALU_CYCLE_1)
	s_or_b32 exec_lo, exec_lo, s13
.LBB384_24:
	s_delay_alu instid0(SALU_CYCLE_1)
	s_or_b32 exec_lo, exec_lo, s12
.LBB384_25:
	s_delay_alu instid0(SALU_CYCLE_1)
	s_or_b32 exec_lo, exec_lo, s11
.LBB384_26:
	s_delay_alu instid0(SALU_CYCLE_1)
	s_or_b32 exec_lo, exec_lo, s10
.LBB384_27:
	s_delay_alu instid0(SALU_CYCLE_1)
	s_or_b32 exec_lo, exec_lo, s9
.LBB384_28:
	s_delay_alu instid0(SALU_CYCLE_1)
	s_or_b32 exec_lo, exec_lo, s8
.LBB384_29:
	s_delay_alu instid0(SALU_CYCLE_1)
	s_or_b32 exec_lo, exec_lo, s7
.LBB384_30:
	s_delay_alu instid0(SALU_CYCLE_1)
	s_or_b32 exec_lo, exec_lo, s6
.LBB384_31:
	s_delay_alu instid0(SALU_CYCLE_1)
	s_or_b32 exec_lo, exec_lo, s5
.LBB384_32:
	s_delay_alu instid0(SALU_CYCLE_1)
	s_or_b32 exec_lo, exec_lo, s4
	s_wait_loadcnt 0x0
	v_dual_mov_b32 v4, v3 :: v_dual_mov_b32 v3, v2
.LBB384_33:
	s_or_b32 exec_lo, exec_lo, s3
.LBB384_34:
	s_delay_alu instid0(SALU_CYCLE_1)
	s_or_b32 exec_lo, exec_lo, s2
.LBB384_35:
	s_delay_alu instid0(SALU_CYCLE_1)
	s_or_b32 exec_lo, exec_lo, s1
	v_and_b32_e32 v2, 0xff, v20
	s_cmp_eq_u32 s21, 0
	v_and_b32_e32 v5, 0xff, v19
	s_cselect_b32 s4, -1, 0
	s_and_b32 s5, s22, 0xff
	s_wait_loadcnt 0x0
	v_and_b32_e32 v13, 0xff, v13
	v_cmp_ne_u16_e64 s0, s5, v2
	v_and_b32_e32 v2, 0xff, v15
	v_and_b32_e32 v3, 0xff, v3
	;; [unrolled: 1-line block ×3, first 2 shown]
	v_cmp_ne_u16_e64 s2, s5, v13
	s_xor_b32 s0, s4, s0
	v_cmp_ne_u16_e64 s1, s5, v2
	v_cndmask_b32_e64 v15, 0, 1, s0
	v_cmp_ne_u16_e64 s0, s5, v5
	v_or_b32_e32 v5, 0x400, v0
	v_and_b32_e32 v4, 0xff, v4
	v_and_b32_e32 v12, 0xff, v12
	v_bitop3_b16 v2, v15, 0, 0xff00 bitop3:0xf8
	s_xor_b32 s0, s4, s0
	v_and_b32_e32 v16, 0xff, v16
	v_cndmask_b32_e64 v13, 0, 1, s0
	s_xor_b32 s0, s4, s1
	v_and_b32_e32 v2, 0xffff, v2
	v_cndmask_b32_e64 v15, 0, 1, s0
	s_xor_b32 s0, s4, s2
	v_lshlrev_b16 v13, 8, v13
	v_cndmask_b32_e64 v19, 0, 1, s0
	v_cmp_gt_i32_e64 s0, s15, v5
	v_cndmask_b32_e32 v5, 0, v15, vcc_lo
	v_cmp_ne_u16_e64 s1, s5, v17
	v_and_b32_e32 v9, 0xff, v9
	v_lshlrev_b16 v15, 8, v19
	v_cndmask_b32_e64 v2, 0, v2, s0
	v_cmp_ne_u16_e64 s0, s5, v3
	v_or_b32_e32 v3, 0x500, v0
	v_cmp_ne_u16_e64 s3, s5, v9
	v_and_b32_e32 v11, 0xff, v11
	v_bitop3_b16 v13, v2, v13, 0xff bitop3:0xec
	s_xor_b32 s0, s4, s0
	v_and_b32_e32 v8, 0xff, v8
	v_cndmask_b32_e64 v17, 0, 1, s0
	v_cmp_gt_i32_e64 s0, s15, v3
	v_and_b32_e32 v13, 0xffff, v13
	v_or_b32_e32 v15, v5, v15
	v_and_b32_e32 v14, 0xff, v14
	v_and_b32_e32 v7, 0xff, v7
	;; [unrolled: 1-line block ×3, first 2 shown]
	v_cndmask_b32_e64 v2, v2, v13, s0
	s_xor_b32 s0, s4, s1
	v_and_b32_e32 v15, 0xffff, v15
	v_cndmask_b32_e64 v3, 0, 1, s0
	v_cmp_gt_i32_e64 s0, s15, v1
	s_delay_alu instid0(VALU_DEP_1) | instskip(SKIP_2) | instid1(VALU_DEP_3)
	v_dual_lshrrev_b32 v13, 16, v2 :: v_dual_cndmask_b32 v5, v5, v15, s0
	v_cmp_ne_u16_e64 s0, s5, v4
	v_or_b32_e32 v4, 0x200, v0
	v_bitop3_b16 v3, v3, v13, 0xff00 bitop3:0xf8
	s_delay_alu instid0(VALU_DEP_4) | instskip(SKIP_4) | instid1(VALU_DEP_2)
	v_lshl_or_b32 v15, v17, 16, v5
	s_xor_b32 s0, s4, s0
	v_or_b32_e32 v17, 0xd00, v0
	v_cndmask_b32_e64 v13, 0, 1, s0
	v_cmp_gt_i32_e64 s0, s15, v4
	v_lshlrev_b16 v13, 8, v13
	s_delay_alu instid0(VALU_DEP_2) | instskip(SKIP_2) | instid1(VALU_DEP_3)
	v_cndmask_b32_e64 v4, v5, v15, s0
	v_cmp_ne_u16_e64 s0, s5, v12
	v_or_b32_e32 v5, 0x600, v0
	v_dual_lshlrev_b32 v3, 16, v3 :: v_dual_lshrrev_b32 v15, 16, v4
	s_xor_b32 s0, s4, s0
	s_delay_alu instid0(VALU_DEP_2)
	v_cmp_gt_i32_e64 s1, s15, v5
	v_cndmask_b32_e64 v5, 0, 1, s0
	v_cmp_ne_u16_e64 s0, s5, v16
	v_and_or_b32 v3, 0xffff, v2, v3
	v_bitop3_b16 v12, v15, v13, 0xff bitop3:0xec
	v_or_b32_e32 v15, 0x800, v0
	v_lshlrev_b16 v5, 8, v5
	s_xor_b32 s0, s4, s0
	s_delay_alu instid0(SALU_CYCLE_1) | instskip(SKIP_4) | instid1(VALU_DEP_3)
	v_cndmask_b32_e64 v9, 0, 1, s0
	v_cndmask_b32_e64 v2, v2, v3, s1
	v_and_b32_e32 v3, 0xff, v18
	v_cmp_ne_u16_e64 s1, s5, v11
	v_lshlrev_b32_e32 v12, 16, v12
	v_cmp_ne_u16_e64 s2, s5, v3
	v_or_b32_e32 v3, 0xc00, v0
	s_delay_alu instid0(VALU_DEP_3) | instskip(SKIP_1) | instid1(SALU_CYCLE_1)
	v_and_or_b32 v12, 0xffff, v4, v12
	s_xor_b32 s0, s4, s2
	v_cndmask_b32_e64 v11, 0, 1, s0
	s_xor_b32 s0, s4, s1
	v_cmp_gt_i32_e64 s1, s15, v17
	v_cndmask_b32_e64 v16, 0, 1, s0
	v_cmp_gt_i32_e64 s0, s15, v3
	s_delay_alu instid0(VALU_DEP_1) | instskip(SKIP_2) | instid1(SALU_CYCLE_1)
	v_cndmask_b32_e64 v3, 0, v9, s0
	v_lshlrev_b16 v9, 8, v11
	s_xor_b32 s0, s4, s3
	v_cndmask_b32_e64 v11, 0, 1, s0
	v_cmp_gt_i32_e64 s0, s15, v15
	s_delay_alu instid0(VALU_DEP_3) | instskip(SKIP_1) | instid1(VALU_DEP_4)
	v_bitop3_b16 v9, v3, v9, 0xff bitop3:0xec
	v_lshrrev_b32_e32 v13, 16, v2
	v_lshlrev_b16 v11, 8, v11
	s_delay_alu instid0(VALU_DEP_4) | instskip(NEXT) | instid1(VALU_DEP_4)
	v_cndmask_b32_e64 v15, 0, v16, s0
	v_and_b32_e32 v9, 0xffff, v9
	v_cmp_ne_u16_e64 s0, s5, v8
	v_or_b32_e32 v16, 0x900, v0
	v_bitop3_b16 v5, v13, v5, 0xff bitop3:0xec
	v_or_b32_e32 v13, 0x300, v0
	v_cndmask_b32_e64 v3, v3, v9, s1
	v_cmp_ne_u16_e64 s1, s5, v14
	s_xor_b32 s0, s4, s0
	s_delay_alu instid0(SALU_CYCLE_1) | instskip(SKIP_1) | instid1(SALU_CYCLE_1)
	v_cndmask_b32_e64 v9, 0, 1, s0
	s_xor_b32 s0, s4, s1
	v_cndmask_b32_e64 v14, 0, 1, s0
	v_cmp_gt_i32_e64 s0, s15, v16
	s_delay_alu instid0(VALU_DEP_3) | instskip(NEXT) | instid1(VALU_DEP_1)
	v_dual_lshlrev_b32 v9, 16, v9 :: v_dual_bitop2_b32 v11, v15, v11 bitop3:0x54
	v_and_b32_e32 v8, 0xffff, v11
	s_delay_alu instid0(VALU_DEP_1) | instskip(SKIP_1) | instid1(VALU_DEP_2)
	v_cndmask_b32_e64 v8, v15, v8, s0
	v_cmp_ne_u16_e64 s0, s5, v7
	v_and_or_b32 v9, 0x1ff, v8, v9
	v_lshrrev_b32_e32 v11, 16, v3
	s_xor_b32 s0, s4, s0
	s_delay_alu instid0(VALU_DEP_1) | instskip(SKIP_1) | instid1(VALU_DEP_1)
	v_bitop3_b16 v11, v14, v11, 0xff00 bitop3:0xf8
	v_or_b32_e32 v14, 0xa00, v0
	v_cmp_gt_i32_e64 s1, s15, v14
	s_delay_alu instid0(VALU_DEP_1) | instskip(SKIP_3) | instid1(VALU_DEP_3)
	v_dual_cndmask_b32 v8, v8, v9, s1 :: v_dual_lshlrev_b32 v7, 16, v11
	v_or_b32_e32 v9, 0xe00, v0
	v_cmp_ne_u16_e64 s1, s5, v10
	v_cndmask_b32_e64 v10, 0, 1, s0
	v_cmp_gt_i32_e64 s0, s15, v9
	v_lshrrev_b32_e32 v9, 16, v8
	v_and_or_b32 v7, 0xffff, v3, v7
	s_delay_alu instid0(VALU_DEP_4) | instskip(NEXT) | instid1(VALU_DEP_2)
	v_lshlrev_b16 v10, 8, v10
	v_cndmask_b32_e64 v7, v3, v7, s0
	s_xor_b32 s0, s4, s1
	s_delay_alu instid0(VALU_DEP_2)
	v_bitop3_b16 v9, v9, v10, 0xff bitop3:0xec
	v_cndmask_b32_e64 v3, 0, 1, s0
	v_lshlrev_b32_e32 v10, 16, v5
	v_cmp_gt_i32_e64 s0, s15, v13
	v_lshrrev_b32_e32 v11, 16, v7
	v_or_b32_e32 v13, 0xf00, v0
	v_lshlrev_b16 v3, 8, v3
	v_and_or_b32 v10, 0xffff, v2, v10
	v_cndmask_b32_e64 v5, v4, v12, s0
	s_delay_alu instid0(VALU_DEP_3) | instskip(SKIP_3) | instid1(VALU_DEP_4)
	v_bitop3_b16 v3, v11, v3, 0xff bitop3:0xec
	v_lshlrev_b32_e32 v4, 16, v9
	v_or_b32_e32 v9, 0x700, v0
	v_or_b32_e32 v11, 0xb00, v0
	v_lshlrev_b32_e32 v3, 16, v3
	s_delay_alu instid0(VALU_DEP_4) | instskip(NEXT) | instid1(VALU_DEP_4)
	v_and_or_b32 v12, 0xffff, v8, v4
	v_cmp_gt_i32_e64 s0, s15, v9
	s_delay_alu instid0(VALU_DEP_3) | instskip(NEXT) | instid1(VALU_DEP_2)
	v_and_or_b32 v14, 0xffff, v7, v3
	v_cndmask_b32_e64 v4, v2, v10, s0
	v_cmp_gt_i32_e64 s0, s15, v11
	s_delay_alu instid0(VALU_DEP_1) | instskip(SKIP_1) | instid1(VALU_DEP_1)
	v_cndmask_b32_e64 v3, v8, v12, s0
	v_cmp_gt_i32_e64 s0, s15, v13
	v_cndmask_b32_e64 v2, v7, v14, s0
	s_and_saveexec_b32 s0, vcc_lo
	s_cbranch_execnz .LBB384_53
; %bb.36:
	s_or_b32 exec_lo, exec_lo, s0
	s_delay_alu instid0(SALU_CYCLE_1)
	s_mov_b32 s0, exec_lo
	v_cmpx_gt_i32_e64 s15, v0
	s_cbranch_execnz .LBB384_54
.LBB384_37:
	s_or_b32 exec_lo, exec_lo, s0
	s_delay_alu instid0(SALU_CYCLE_1)
	s_mov_b32 s0, exec_lo
	v_cmpx_gt_i32_e64 s15, v0
	s_cbranch_execnz .LBB384_55
.LBB384_38:
	s_or_b32 exec_lo, exec_lo, s0
	s_delay_alu instid0(SALU_CYCLE_1)
	s_mov_b32 s0, exec_lo
	v_cmpx_gt_i32_e64 s15, v0
	s_cbranch_execnz .LBB384_56
.LBB384_39:
	s_or_b32 exec_lo, exec_lo, s0
	s_delay_alu instid0(SALU_CYCLE_1)
	s_mov_b32 s0, exec_lo
	v_cmpx_gt_i32_e64 s15, v0
	s_cbranch_execnz .LBB384_57
.LBB384_40:
	s_or_b32 exec_lo, exec_lo, s0
	s_delay_alu instid0(SALU_CYCLE_1)
	s_mov_b32 s0, exec_lo
	v_cmpx_gt_i32_e64 s15, v0
	s_cbranch_execnz .LBB384_58
.LBB384_41:
	s_or_b32 exec_lo, exec_lo, s0
	s_delay_alu instid0(SALU_CYCLE_1)
	s_mov_b32 s0, exec_lo
	v_cmpx_gt_i32_e64 s15, v0
	s_cbranch_execnz .LBB384_59
.LBB384_42:
	s_or_b32 exec_lo, exec_lo, s0
	s_delay_alu instid0(SALU_CYCLE_1)
	s_mov_b32 s0, exec_lo
	v_cmpx_gt_i32_e64 s15, v0
	s_cbranch_execnz .LBB384_60
.LBB384_43:
	s_or_b32 exec_lo, exec_lo, s0
	s_delay_alu instid0(SALU_CYCLE_1)
	s_mov_b32 s0, exec_lo
	v_cmpx_gt_i32_e64 s15, v0
	s_cbranch_execnz .LBB384_61
.LBB384_44:
	s_or_b32 exec_lo, exec_lo, s0
	s_delay_alu instid0(SALU_CYCLE_1)
	s_mov_b32 s0, exec_lo
	v_cmpx_gt_i32_e64 s15, v0
	s_cbranch_execnz .LBB384_62
.LBB384_45:
	s_or_b32 exec_lo, exec_lo, s0
	s_delay_alu instid0(SALU_CYCLE_1)
	s_mov_b32 s0, exec_lo
	v_cmpx_gt_i32_e64 s15, v0
	s_cbranch_execnz .LBB384_63
.LBB384_46:
	s_or_b32 exec_lo, exec_lo, s0
	s_delay_alu instid0(SALU_CYCLE_1)
	s_mov_b32 s0, exec_lo
	v_cmpx_gt_i32_e64 s15, v0
	s_cbranch_execnz .LBB384_64
.LBB384_47:
	s_or_b32 exec_lo, exec_lo, s0
	s_delay_alu instid0(SALU_CYCLE_1)
	s_mov_b32 s0, exec_lo
	v_cmpx_gt_i32_e64 s15, v0
	s_cbranch_execnz .LBB384_65
.LBB384_48:
	s_or_b32 exec_lo, exec_lo, s0
	s_delay_alu instid0(SALU_CYCLE_1)
	s_mov_b32 s0, exec_lo
	v_cmpx_gt_i32_e64 s15, v0
	s_cbranch_execnz .LBB384_66
.LBB384_49:
	s_or_b32 exec_lo, exec_lo, s0
	s_delay_alu instid0(SALU_CYCLE_1)
	s_mov_b32 s0, exec_lo
	v_cmpx_gt_i32_e64 s15, v0
	s_cbranch_execnz .LBB384_67
.LBB384_50:
	s_or_b32 exec_lo, exec_lo, s0
	s_delay_alu instid0(SALU_CYCLE_1)
	s_mov_b32 s0, exec_lo
	v_cmpx_gt_i32_e64 s15, v0
	s_cbranch_execz .LBB384_52
.LBB384_51:
	v_dual_lshrrev_b32 v1, 24, v2 :: v_dual_add_nc_u32 v0, s24, v0
	global_store_b8 v0, v1, s[16:17]
.LBB384_52:
	s_endpgm
.LBB384_53:
	v_mov_b32_e32 v0, v1
	global_store_b8 v6, v5, s[16:17]
	s_wait_xcnt 0x0
	s_or_b32 exec_lo, exec_lo, s0
	s_delay_alu instid0(SALU_CYCLE_1)
	s_mov_b32 s0, exec_lo
	v_cmpx_gt_i32_e64 s15, v0
	s_cbranch_execz .LBB384_37
.LBB384_54:
	v_dual_lshrrev_b32 v1, 8, v5 :: v_dual_add_nc_u32 v6, s24, v0
	v_add_nc_u32_e32 v0, 0x100, v0
	global_store_b8 v6, v1, s[16:17]
	s_wait_xcnt 0x0
	s_or_b32 exec_lo, exec_lo, s0
	s_delay_alu instid0(SALU_CYCLE_1)
	s_mov_b32 s0, exec_lo
	v_cmpx_gt_i32_e64 s15, v0
	s_cbranch_execz .LBB384_38
.LBB384_55:
	v_add_nc_u32_e32 v1, s24, v0
	v_add_nc_u32_e32 v0, 0x100, v0
	global_store_d16_hi_b8 v1, v5, s[16:17]
	s_wait_xcnt 0x0
	s_or_b32 exec_lo, exec_lo, s0
	s_delay_alu instid0(SALU_CYCLE_1)
	s_mov_b32 s0, exec_lo
	v_cmpx_gt_i32_e64 s15, v0
	s_cbranch_execz .LBB384_39
.LBB384_56:
	v_dual_lshrrev_b32 v1, 24, v5 :: v_dual_add_nc_u32 v5, s24, v0
	v_add_nc_u32_e32 v0, 0x100, v0
	global_store_b8 v5, v1, s[16:17]
	s_wait_xcnt 0x0
	s_or_b32 exec_lo, exec_lo, s0
	s_delay_alu instid0(SALU_CYCLE_1)
	s_mov_b32 s0, exec_lo
	v_cmpx_gt_i32_e64 s15, v0
	s_cbranch_execz .LBB384_40
.LBB384_57:
	v_add_nc_u32_e32 v1, s24, v0
	v_add_nc_u32_e32 v0, 0x100, v0
	global_store_b8 v1, v4, s[16:17]
	s_wait_xcnt 0x0
	s_or_b32 exec_lo, exec_lo, s0
	s_delay_alu instid0(SALU_CYCLE_1)
	s_mov_b32 s0, exec_lo
	v_cmpx_gt_i32_e64 s15, v0
	s_cbranch_execz .LBB384_41
.LBB384_58:
	v_lshrrev_b32_e32 v1, 8, v4
	v_add_nc_u32_e32 v5, s24, v0
	v_add_nc_u32_e32 v0, 0x100, v0
	global_store_b8 v5, v1, s[16:17]
	s_wait_xcnt 0x0
	s_or_b32 exec_lo, exec_lo, s0
	s_delay_alu instid0(SALU_CYCLE_1)
	s_mov_b32 s0, exec_lo
	v_cmpx_gt_i32_e64 s15, v0
	s_cbranch_execz .LBB384_42
.LBB384_59:
	v_add_nc_u32_e32 v1, s24, v0
	v_add_nc_u32_e32 v0, 0x100, v0
	global_store_d16_hi_b8 v1, v4, s[16:17]
	s_wait_xcnt 0x0
	s_or_b32 exec_lo, exec_lo, s0
	s_delay_alu instid0(SALU_CYCLE_1)
	s_mov_b32 s0, exec_lo
	v_cmpx_gt_i32_e64 s15, v0
	s_cbranch_execz .LBB384_43
.LBB384_60:
	v_lshrrev_b32_e32 v1, 24, v4
	v_add_nc_u32_e32 v4, s24, v0
	v_add_nc_u32_e32 v0, 0x100, v0
	global_store_b8 v4, v1, s[16:17]
	s_wait_xcnt 0x0
	s_or_b32 exec_lo, exec_lo, s0
	s_delay_alu instid0(SALU_CYCLE_1)
	s_mov_b32 s0, exec_lo
	v_cmpx_gt_i32_e64 s15, v0
	s_cbranch_execz .LBB384_44
.LBB384_61:
	v_add_nc_u32_e32 v1, s24, v0
	v_add_nc_u32_e32 v0, 0x100, v0
	global_store_b8 v1, v3, s[16:17]
	s_wait_xcnt 0x0
	s_or_b32 exec_lo, exec_lo, s0
	s_delay_alu instid0(SALU_CYCLE_1)
	s_mov_b32 s0, exec_lo
	v_cmpx_gt_i32_e64 s15, v0
	s_cbranch_execz .LBB384_45
.LBB384_62:
	v_dual_lshrrev_b32 v1, 8, v3 :: v_dual_add_nc_u32 v4, s24, v0
	v_add_nc_u32_e32 v0, 0x100, v0
	global_store_b8 v4, v1, s[16:17]
	s_wait_xcnt 0x0
	s_or_b32 exec_lo, exec_lo, s0
	s_delay_alu instid0(SALU_CYCLE_1)
	s_mov_b32 s0, exec_lo
	v_cmpx_gt_i32_e64 s15, v0
	s_cbranch_execz .LBB384_46
.LBB384_63:
	v_add_nc_u32_e32 v1, s24, v0
	v_add_nc_u32_e32 v0, 0x100, v0
	global_store_d16_hi_b8 v1, v3, s[16:17]
	s_wait_xcnt 0x0
	s_or_b32 exec_lo, exec_lo, s0
	s_delay_alu instid0(SALU_CYCLE_1)
	s_mov_b32 s0, exec_lo
	v_cmpx_gt_i32_e64 s15, v0
	s_cbranch_execz .LBB384_47
.LBB384_64:
	v_dual_lshrrev_b32 v1, 24, v3 :: v_dual_add_nc_u32 v3, s24, v0
	v_add_nc_u32_e32 v0, 0x100, v0
	global_store_b8 v3, v1, s[16:17]
	s_wait_xcnt 0x0
	s_or_b32 exec_lo, exec_lo, s0
	s_delay_alu instid0(SALU_CYCLE_1)
	s_mov_b32 s0, exec_lo
	v_cmpx_gt_i32_e64 s15, v0
	s_cbranch_execz .LBB384_48
.LBB384_65:
	v_add_nc_u32_e32 v1, s24, v0
	v_add_nc_u32_e32 v0, 0x100, v0
	global_store_b8 v1, v2, s[16:17]
	s_wait_xcnt 0x0
	s_or_b32 exec_lo, exec_lo, s0
	s_delay_alu instid0(SALU_CYCLE_1)
	s_mov_b32 s0, exec_lo
	v_cmpx_gt_i32_e64 s15, v0
	s_cbranch_execz .LBB384_49
.LBB384_66:
	v_dual_lshrrev_b32 v1, 8, v2 :: v_dual_add_nc_u32 v3, s24, v0
	v_add_nc_u32_e32 v0, 0x100, v0
	global_store_b8 v3, v1, s[16:17]
	s_wait_xcnt 0x0
	s_or_b32 exec_lo, exec_lo, s0
	s_delay_alu instid0(SALU_CYCLE_1)
	s_mov_b32 s0, exec_lo
	v_cmpx_gt_i32_e64 s15, v0
	s_cbranch_execz .LBB384_50
.LBB384_67:
	v_add_nc_u32_e32 v1, s24, v0
	v_add_nc_u32_e32 v0, 0x100, v0
	global_store_d16_hi_b8 v1, v2, s[16:17]
	s_wait_xcnt 0x0
	s_or_b32 exec_lo, exec_lo, s0
	s_delay_alu instid0(SALU_CYCLE_1)
	s_mov_b32 s0, exec_lo
	v_cmpx_gt_i32_e64 s15, v0
	s_cbranch_execnz .LBB384_51
	s_branch .LBB384_52
	.section	.rodata,"a",@progbits
	.p2align	6, 0x0
	.amdhsa_kernel _ZN2at6native29vectorized_elementwise_kernelILi2ENS0_13AUnaryFunctorIN3c1016Float4_e2m1fn_x2ES4_bNS0_12_GLOBAL__N_116CompareEqFunctorIS4_EEEESt5arrayIPcLm2EEEEviT0_T1_
		.amdhsa_group_segment_fixed_size 0
		.amdhsa_private_segment_fixed_size 0
		.amdhsa_kernarg_size 32
		.amdhsa_user_sgpr_count 2
		.amdhsa_user_sgpr_dispatch_ptr 0
		.amdhsa_user_sgpr_queue_ptr 0
		.amdhsa_user_sgpr_kernarg_segment_ptr 1
		.amdhsa_user_sgpr_dispatch_id 0
		.amdhsa_user_sgpr_kernarg_preload_length 0
		.amdhsa_user_sgpr_kernarg_preload_offset 0
		.amdhsa_user_sgpr_private_segment_size 0
		.amdhsa_wavefront_size32 1
		.amdhsa_uses_dynamic_stack 0
		.amdhsa_enable_private_segment 0
		.amdhsa_system_sgpr_workgroup_id_x 1
		.amdhsa_system_sgpr_workgroup_id_y 0
		.amdhsa_system_sgpr_workgroup_id_z 0
		.amdhsa_system_sgpr_workgroup_info 0
		.amdhsa_system_vgpr_workitem_id 0
		.amdhsa_next_free_vgpr 21
		.amdhsa_next_free_sgpr 28
		.amdhsa_named_barrier_count 0
		.amdhsa_reserve_vcc 1
		.amdhsa_float_round_mode_32 0
		.amdhsa_float_round_mode_16_64 0
		.amdhsa_float_denorm_mode_32 3
		.amdhsa_float_denorm_mode_16_64 3
		.amdhsa_fp16_overflow 0
		.amdhsa_memory_ordered 1
		.amdhsa_forward_progress 1
		.amdhsa_inst_pref_size 39
		.amdhsa_round_robin_scheduling 0
		.amdhsa_exception_fp_ieee_invalid_op 0
		.amdhsa_exception_fp_denorm_src 0
		.amdhsa_exception_fp_ieee_div_zero 0
		.amdhsa_exception_fp_ieee_overflow 0
		.amdhsa_exception_fp_ieee_underflow 0
		.amdhsa_exception_fp_ieee_inexact 0
		.amdhsa_exception_int_div_zero 0
	.end_amdhsa_kernel
	.section	.text._ZN2at6native29vectorized_elementwise_kernelILi2ENS0_13AUnaryFunctorIN3c1016Float4_e2m1fn_x2ES4_bNS0_12_GLOBAL__N_116CompareEqFunctorIS4_EEEESt5arrayIPcLm2EEEEviT0_T1_,"axG",@progbits,_ZN2at6native29vectorized_elementwise_kernelILi2ENS0_13AUnaryFunctorIN3c1016Float4_e2m1fn_x2ES4_bNS0_12_GLOBAL__N_116CompareEqFunctorIS4_EEEESt5arrayIPcLm2EEEEviT0_T1_,comdat
.Lfunc_end384:
	.size	_ZN2at6native29vectorized_elementwise_kernelILi2ENS0_13AUnaryFunctorIN3c1016Float4_e2m1fn_x2ES4_bNS0_12_GLOBAL__N_116CompareEqFunctorIS4_EEEESt5arrayIPcLm2EEEEviT0_T1_, .Lfunc_end384-_ZN2at6native29vectorized_elementwise_kernelILi2ENS0_13AUnaryFunctorIN3c1016Float4_e2m1fn_x2ES4_bNS0_12_GLOBAL__N_116CompareEqFunctorIS4_EEEESt5arrayIPcLm2EEEEviT0_T1_
                                        ; -- End function
	.set _ZN2at6native29vectorized_elementwise_kernelILi2ENS0_13AUnaryFunctorIN3c1016Float4_e2m1fn_x2ES4_bNS0_12_GLOBAL__N_116CompareEqFunctorIS4_EEEESt5arrayIPcLm2EEEEviT0_T1_.num_vgpr, 21
	.set _ZN2at6native29vectorized_elementwise_kernelILi2ENS0_13AUnaryFunctorIN3c1016Float4_e2m1fn_x2ES4_bNS0_12_GLOBAL__N_116CompareEqFunctorIS4_EEEESt5arrayIPcLm2EEEEviT0_T1_.num_agpr, 0
	.set _ZN2at6native29vectorized_elementwise_kernelILi2ENS0_13AUnaryFunctorIN3c1016Float4_e2m1fn_x2ES4_bNS0_12_GLOBAL__N_116CompareEqFunctorIS4_EEEESt5arrayIPcLm2EEEEviT0_T1_.numbered_sgpr, 28
	.set _ZN2at6native29vectorized_elementwise_kernelILi2ENS0_13AUnaryFunctorIN3c1016Float4_e2m1fn_x2ES4_bNS0_12_GLOBAL__N_116CompareEqFunctorIS4_EEEESt5arrayIPcLm2EEEEviT0_T1_.num_named_barrier, 0
	.set _ZN2at6native29vectorized_elementwise_kernelILi2ENS0_13AUnaryFunctorIN3c1016Float4_e2m1fn_x2ES4_bNS0_12_GLOBAL__N_116CompareEqFunctorIS4_EEEESt5arrayIPcLm2EEEEviT0_T1_.private_seg_size, 0
	.set _ZN2at6native29vectorized_elementwise_kernelILi2ENS0_13AUnaryFunctorIN3c1016Float4_e2m1fn_x2ES4_bNS0_12_GLOBAL__N_116CompareEqFunctorIS4_EEEESt5arrayIPcLm2EEEEviT0_T1_.uses_vcc, 1
	.set _ZN2at6native29vectorized_elementwise_kernelILi2ENS0_13AUnaryFunctorIN3c1016Float4_e2m1fn_x2ES4_bNS0_12_GLOBAL__N_116CompareEqFunctorIS4_EEEESt5arrayIPcLm2EEEEviT0_T1_.uses_flat_scratch, 0
	.set _ZN2at6native29vectorized_elementwise_kernelILi2ENS0_13AUnaryFunctorIN3c1016Float4_e2m1fn_x2ES4_bNS0_12_GLOBAL__N_116CompareEqFunctorIS4_EEEESt5arrayIPcLm2EEEEviT0_T1_.has_dyn_sized_stack, 0
	.set _ZN2at6native29vectorized_elementwise_kernelILi2ENS0_13AUnaryFunctorIN3c1016Float4_e2m1fn_x2ES4_bNS0_12_GLOBAL__N_116CompareEqFunctorIS4_EEEESt5arrayIPcLm2EEEEviT0_T1_.has_recursion, 0
	.set _ZN2at6native29vectorized_elementwise_kernelILi2ENS0_13AUnaryFunctorIN3c1016Float4_e2m1fn_x2ES4_bNS0_12_GLOBAL__N_116CompareEqFunctorIS4_EEEESt5arrayIPcLm2EEEEviT0_T1_.has_indirect_call, 0
	.section	.AMDGPU.csdata,"",@progbits
; Kernel info:
; codeLenInByte = 4916
; TotalNumSgprs: 30
; NumVgprs: 21
; ScratchSize: 0
; MemoryBound: 0
; FloatMode: 240
; IeeeMode: 1
; LDSByteSize: 0 bytes/workgroup (compile time only)
; SGPRBlocks: 0
; VGPRBlocks: 1
; NumSGPRsForWavesPerEU: 30
; NumVGPRsForWavesPerEU: 21
; NamedBarCnt: 0
; Occupancy: 16
; WaveLimiterHint : 1
; COMPUTE_PGM_RSRC2:SCRATCH_EN: 0
; COMPUTE_PGM_RSRC2:USER_SGPR: 2
; COMPUTE_PGM_RSRC2:TRAP_HANDLER: 0
; COMPUTE_PGM_RSRC2:TGID_X_EN: 1
; COMPUTE_PGM_RSRC2:TGID_Y_EN: 0
; COMPUTE_PGM_RSRC2:TGID_Z_EN: 0
; COMPUTE_PGM_RSRC2:TIDIG_COMP_CNT: 0
	.section	.text._ZN2at6native27unrolled_elementwise_kernelINS0_13AUnaryFunctorIN3c1016Float4_e2m1fn_x2ES4_bNS0_12_GLOBAL__N_116CompareEqFunctorIS4_EEEESt5arrayIPcLm2EELi4E23TrivialOffsetCalculatorILi1EjESD_NS0_6memory15LoadWithoutCastENSE_16StoreWithoutCastEEEviT_T0_T2_T3_T4_T5_,"axG",@progbits,_ZN2at6native27unrolled_elementwise_kernelINS0_13AUnaryFunctorIN3c1016Float4_e2m1fn_x2ES4_bNS0_12_GLOBAL__N_116CompareEqFunctorIS4_EEEESt5arrayIPcLm2EELi4E23TrivialOffsetCalculatorILi1EjESD_NS0_6memory15LoadWithoutCastENSE_16StoreWithoutCastEEEviT_T0_T2_T3_T4_T5_,comdat
	.globl	_ZN2at6native27unrolled_elementwise_kernelINS0_13AUnaryFunctorIN3c1016Float4_e2m1fn_x2ES4_bNS0_12_GLOBAL__N_116CompareEqFunctorIS4_EEEESt5arrayIPcLm2EELi4E23TrivialOffsetCalculatorILi1EjESD_NS0_6memory15LoadWithoutCastENSE_16StoreWithoutCastEEEviT_T0_T2_T3_T4_T5_ ; -- Begin function _ZN2at6native27unrolled_elementwise_kernelINS0_13AUnaryFunctorIN3c1016Float4_e2m1fn_x2ES4_bNS0_12_GLOBAL__N_116CompareEqFunctorIS4_EEEESt5arrayIPcLm2EELi4E23TrivialOffsetCalculatorILi1EjESD_NS0_6memory15LoadWithoutCastENSE_16StoreWithoutCastEEEviT_T0_T2_T3_T4_T5_
	.p2align	8
	.type	_ZN2at6native27unrolled_elementwise_kernelINS0_13AUnaryFunctorIN3c1016Float4_e2m1fn_x2ES4_bNS0_12_GLOBAL__N_116CompareEqFunctorIS4_EEEESt5arrayIPcLm2EELi4E23TrivialOffsetCalculatorILi1EjESD_NS0_6memory15LoadWithoutCastENSE_16StoreWithoutCastEEEviT_T0_T2_T3_T4_T5_,@function
_ZN2at6native27unrolled_elementwise_kernelINS0_13AUnaryFunctorIN3c1016Float4_e2m1fn_x2ES4_bNS0_12_GLOBAL__N_116CompareEqFunctorIS4_EEEESt5arrayIPcLm2EELi4E23TrivialOffsetCalculatorILi1EjESD_NS0_6memory15LoadWithoutCastENSE_16StoreWithoutCastEEEviT_T0_T2_T3_T4_T5_: ; @_ZN2at6native27unrolled_elementwise_kernelINS0_13AUnaryFunctorIN3c1016Float4_e2m1fn_x2ES4_bNS0_12_GLOBAL__N_116CompareEqFunctorIS4_EEEESt5arrayIPcLm2EELi4E23TrivialOffsetCalculatorILi1EjESD_NS0_6memory15LoadWithoutCastENSE_16StoreWithoutCastEEEviT_T0_T2_T3_T4_T5_
; %bb.0:
	s_clause 0x1
	s_load_b96 s[8:10], s[0:1], 0x0
	s_load_b128 s[4:7], s[0:1], 0x10
	s_bfe_u32 s3, ttmp6, 0x4000c
	s_and_b32 s2, ttmp6, 15
	s_add_co_i32 s3, s3, 1
	s_wait_xcnt 0x0
	s_getreg_b32 s0, hwreg(HW_REG_IB_STS2, 6, 4)
	s_mul_i32 s1, ttmp9, s3
	v_dual_mov_b32 v3, 0 :: v_dual_mov_b32 v4, 0
	s_add_co_i32 s2, s2, s1
	s_cmp_eq_u32 s0, 0
	v_or_b32_e32 v1, 0x100, v0
	s_cselect_b32 s0, ttmp9, s2
	v_mov_b32_e32 v6, 0
	s_lshl_b32 s2, s0, 10
	s_delay_alu instid0(SALU_CYCLE_1) | instskip(SKIP_2) | instid1(SALU_CYCLE_1)
	v_dual_mov_b32 v5, 0 :: v_dual_bitop2_b32 v2, s2, v0 bitop3:0x54
	s_wait_kmcnt 0x0
	s_sub_co_i32 s3, s8, s2
	v_cmp_gt_i32_e32 vcc_lo, s3, v0
	s_and_saveexec_b32 s1, vcc_lo
	s_cbranch_execz .LBB385_8
; %bb.1:
	global_load_u8 v6, v2, s[6:7]
	v_dual_mov_b32 v5, 0 :: v_dual_mov_b32 v4, 0
	v_mov_b32_e32 v3, 0
	s_mov_b32 s8, exec_lo
	s_wait_xcnt 0x0
	v_cmpx_gt_u32_e64 s3, v1
	s_cbranch_execz .LBB385_7
; %bb.2:
	v_dual_mov_b32 v4, 0 :: v_dual_add_nc_u32 v3, s2, v1
	v_or_b32_e32 v7, 0x200, v0
	s_mov_b32 s11, exec_lo
	global_load_u8 v5, v3, s[6:7]
	s_wait_xcnt 0x0
	v_mov_b32_e32 v3, 0
	v_cmpx_gt_u32_e64 s3, v7
	s_cbranch_execz .LBB385_6
; %bb.3:
	v_add_nc_u32_e32 v3, s2, v7
	v_or_b32_e32 v7, 0x300, v0
	s_mov_b32 s12, exec_lo
	global_load_u8 v4, v3, s[6:7]
	s_wait_xcnt 0x0
	v_mov_b32_e32 v3, 0
	v_cmpx_gt_u32_e64 s3, v7
	s_cbranch_execz .LBB385_5
; %bb.4:
	v_add_nc_u32_e32 v3, s2, v7
	global_load_u8 v3, v3, s[6:7]
.LBB385_5:
	s_wait_xcnt 0x0
	s_or_b32 exec_lo, exec_lo, s12
.LBB385_6:
	s_delay_alu instid0(SALU_CYCLE_1)
	s_or_b32 exec_lo, exec_lo, s11
.LBB385_7:
	s_delay_alu instid0(SALU_CYCLE_1)
	s_or_b32 exec_lo, exec_lo, s8
.LBB385_8:
	s_delay_alu instid0(SALU_CYCLE_1)
	s_or_b32 exec_lo, exec_lo, s1
	s_wait_loadcnt 0x0
	v_and_b32_e32 v6, 0xff, v6
	v_and_b32_e32 v5, 0xff, v5
	s_and_b32 s6, s10, 0xff
	s_cmp_eq_u32 s9, 0
	v_and_b32_e32 v4, 0xff, v4
	v_cmp_ne_u16_e64 s0, s6, v6
	v_cmp_ne_u16_e64 s1, s6, v5
	s_cselect_b32 s7, -1, 0
	v_and_b32_e32 v3, 0xff, v3
	s_xor_b32 s0, s7, s0
	s_delay_alu instid0(SALU_CYCLE_1) | instskip(SKIP_1) | instid1(SALU_CYCLE_1)
	v_cndmask_b32_e64 v5, 0, 1, s0
	s_xor_b32 s0, s7, s1
	v_cndmask_b32_e64 v6, 0, 1, s0
	v_cmp_ne_u16_e64 s0, s6, v4
	s_delay_alu instid0(VALU_DEP_3) | instskip(NEXT) | instid1(VALU_DEP_3)
	v_cndmask_b32_e32 v5, 0, v5, vcc_lo
	v_lshlrev_b16 v6, 8, v6
	s_xor_b32 s0, s7, s0
	s_delay_alu instid0(VALU_DEP_1) | instskip(SKIP_2) | instid1(VALU_DEP_3)
	v_or_b32_e32 v4, v5, v6
	v_cndmask_b32_e64 v6, 0, 1, s0
	v_cmp_gt_i32_e64 s0, s3, v1
	v_and_b32_e32 v4, 0xffff, v4
	s_delay_alu instid0(VALU_DEP_1) | instskip(SKIP_2) | instid1(VALU_DEP_3)
	v_dual_lshlrev_b32 v6, 16, v6 :: v_dual_cndmask_b32 v4, v5, v4, s0
	v_or_b32_e32 v5, 0x200, v0
	v_cmp_ne_u16_e64 s0, s6, v3
	v_or_b32_e32 v6, v4, v6
	s_delay_alu instid0(VALU_DEP_3) | instskip(SKIP_3) | instid1(VALU_DEP_2)
	v_cmp_gt_i32_e64 s1, s3, v5
	s_xor_b32 s0, s7, s0
	v_cndmask_b32_e64 v3, v4, v6, s1
	v_cndmask_b32_e64 v4, 0, 1, s0
	v_lshrrev_b32_e32 v5, 16, v3
	s_delay_alu instid0(VALU_DEP_2) | instskip(NEXT) | instid1(VALU_DEP_1)
	v_lshlrev_b16 v4, 8, v4
	v_bitop3_b16 v4, v5, v4, 0xff bitop3:0xec
	v_or_b32_e32 v5, 0x300, v0
	s_delay_alu instid0(VALU_DEP_2) | instskip(NEXT) | instid1(VALU_DEP_2)
	v_lshlrev_b32_e32 v4, 16, v4
	v_cmp_gt_i32_e64 s0, s3, v5
	s_delay_alu instid0(VALU_DEP_2) | instskip(NEXT) | instid1(VALU_DEP_1)
	v_and_or_b32 v4, 0xffff, v3, v4
	v_cndmask_b32_e64 v3, v3, v4, s0
	s_and_saveexec_b32 s0, vcc_lo
	s_cbranch_execnz .LBB385_13
; %bb.9:
	s_or_b32 exec_lo, exec_lo, s0
	s_delay_alu instid0(SALU_CYCLE_1)
	s_mov_b32 s0, exec_lo
	v_cmpx_gt_i32_e64 s3, v0
	s_cbranch_execnz .LBB385_14
.LBB385_10:
	s_or_b32 exec_lo, exec_lo, s0
	s_delay_alu instid0(SALU_CYCLE_1)
	s_mov_b32 s0, exec_lo
	v_cmpx_gt_i32_e64 s3, v0
	s_cbranch_execnz .LBB385_15
.LBB385_11:
	s_or_b32 exec_lo, exec_lo, s0
	s_delay_alu instid0(SALU_CYCLE_1)
	s_mov_b32 s0, exec_lo
	v_cmpx_gt_i32_e64 s3, v0
	s_cbranch_execnz .LBB385_16
.LBB385_12:
	s_endpgm
.LBB385_13:
	v_mov_b32_e32 v0, v1
	global_store_b8 v2, v3, s[4:5]
	s_wait_xcnt 0x0
	s_or_b32 exec_lo, exec_lo, s0
	s_delay_alu instid0(SALU_CYCLE_1)
	s_mov_b32 s0, exec_lo
	v_cmpx_gt_i32_e64 s3, v0
	s_cbranch_execz .LBB385_10
.LBB385_14:
	v_add_nc_u32_e32 v1, 0x100, v0
	v_dual_add_nc_u32 v2, s2, v0 :: v_dual_lshrrev_b32 v4, 8, v3
	s_delay_alu instid0(VALU_DEP_2) | instskip(SKIP_3) | instid1(SALU_CYCLE_1)
	v_mov_b32_e32 v0, v1
	global_store_b8 v2, v4, s[4:5]
	s_wait_xcnt 0x0
	s_or_b32 exec_lo, exec_lo, s0
	s_mov_b32 s0, exec_lo
	v_cmpx_gt_i32_e64 s3, v0
	s_cbranch_execz .LBB385_11
.LBB385_15:
	v_add_nc_u32_e32 v1, 0x100, v0
	s_delay_alu instid0(VALU_DEP_1) | instskip(SKIP_3) | instid1(SALU_CYCLE_1)
	v_dual_add_nc_u32 v2, s2, v0 :: v_dual_mov_b32 v0, v1
	global_store_d16_hi_b8 v2, v3, s[4:5]
	s_wait_xcnt 0x0
	s_or_b32 exec_lo, exec_lo, s0
	s_mov_b32 s0, exec_lo
	v_cmpx_gt_i32_e64 s3, v0
	s_cbranch_execz .LBB385_12
.LBB385_16:
	v_dual_add_nc_u32 v0, s2, v0 :: v_dual_lshrrev_b32 v1, 24, v3
	global_store_b8 v0, v1, s[4:5]
	s_endpgm
	.section	.rodata,"a",@progbits
	.p2align	6, 0x0
	.amdhsa_kernel _ZN2at6native27unrolled_elementwise_kernelINS0_13AUnaryFunctorIN3c1016Float4_e2m1fn_x2ES4_bNS0_12_GLOBAL__N_116CompareEqFunctorIS4_EEEESt5arrayIPcLm2EELi4E23TrivialOffsetCalculatorILi1EjESD_NS0_6memory15LoadWithoutCastENSE_16StoreWithoutCastEEEviT_T0_T2_T3_T4_T5_
		.amdhsa_group_segment_fixed_size 0
		.amdhsa_private_segment_fixed_size 0
		.amdhsa_kernarg_size 36
		.amdhsa_user_sgpr_count 2
		.amdhsa_user_sgpr_dispatch_ptr 0
		.amdhsa_user_sgpr_queue_ptr 0
		.amdhsa_user_sgpr_kernarg_segment_ptr 1
		.amdhsa_user_sgpr_dispatch_id 0
		.amdhsa_user_sgpr_kernarg_preload_length 0
		.amdhsa_user_sgpr_kernarg_preload_offset 0
		.amdhsa_user_sgpr_private_segment_size 0
		.amdhsa_wavefront_size32 1
		.amdhsa_uses_dynamic_stack 0
		.amdhsa_enable_private_segment 0
		.amdhsa_system_sgpr_workgroup_id_x 1
		.amdhsa_system_sgpr_workgroup_id_y 0
		.amdhsa_system_sgpr_workgroup_id_z 0
		.amdhsa_system_sgpr_workgroup_info 0
		.amdhsa_system_vgpr_workitem_id 0
		.amdhsa_next_free_vgpr 8
		.amdhsa_next_free_sgpr 13
		.amdhsa_named_barrier_count 0
		.amdhsa_reserve_vcc 1
		.amdhsa_float_round_mode_32 0
		.amdhsa_float_round_mode_16_64 0
		.amdhsa_float_denorm_mode_32 3
		.amdhsa_float_denorm_mode_16_64 3
		.amdhsa_fp16_overflow 0
		.amdhsa_memory_ordered 1
		.amdhsa_forward_progress 1
		.amdhsa_inst_pref_size 7
		.amdhsa_round_robin_scheduling 0
		.amdhsa_exception_fp_ieee_invalid_op 0
		.amdhsa_exception_fp_denorm_src 0
		.amdhsa_exception_fp_ieee_div_zero 0
		.amdhsa_exception_fp_ieee_overflow 0
		.amdhsa_exception_fp_ieee_underflow 0
		.amdhsa_exception_fp_ieee_inexact 0
		.amdhsa_exception_int_div_zero 0
	.end_amdhsa_kernel
	.section	.text._ZN2at6native27unrolled_elementwise_kernelINS0_13AUnaryFunctorIN3c1016Float4_e2m1fn_x2ES4_bNS0_12_GLOBAL__N_116CompareEqFunctorIS4_EEEESt5arrayIPcLm2EELi4E23TrivialOffsetCalculatorILi1EjESD_NS0_6memory15LoadWithoutCastENSE_16StoreWithoutCastEEEviT_T0_T2_T3_T4_T5_,"axG",@progbits,_ZN2at6native27unrolled_elementwise_kernelINS0_13AUnaryFunctorIN3c1016Float4_e2m1fn_x2ES4_bNS0_12_GLOBAL__N_116CompareEqFunctorIS4_EEEESt5arrayIPcLm2EELi4E23TrivialOffsetCalculatorILi1EjESD_NS0_6memory15LoadWithoutCastENSE_16StoreWithoutCastEEEviT_T0_T2_T3_T4_T5_,comdat
.Lfunc_end385:
	.size	_ZN2at6native27unrolled_elementwise_kernelINS0_13AUnaryFunctorIN3c1016Float4_e2m1fn_x2ES4_bNS0_12_GLOBAL__N_116CompareEqFunctorIS4_EEEESt5arrayIPcLm2EELi4E23TrivialOffsetCalculatorILi1EjESD_NS0_6memory15LoadWithoutCastENSE_16StoreWithoutCastEEEviT_T0_T2_T3_T4_T5_, .Lfunc_end385-_ZN2at6native27unrolled_elementwise_kernelINS0_13AUnaryFunctorIN3c1016Float4_e2m1fn_x2ES4_bNS0_12_GLOBAL__N_116CompareEqFunctorIS4_EEEESt5arrayIPcLm2EELi4E23TrivialOffsetCalculatorILi1EjESD_NS0_6memory15LoadWithoutCastENSE_16StoreWithoutCastEEEviT_T0_T2_T3_T4_T5_
                                        ; -- End function
	.set _ZN2at6native27unrolled_elementwise_kernelINS0_13AUnaryFunctorIN3c1016Float4_e2m1fn_x2ES4_bNS0_12_GLOBAL__N_116CompareEqFunctorIS4_EEEESt5arrayIPcLm2EELi4E23TrivialOffsetCalculatorILi1EjESD_NS0_6memory15LoadWithoutCastENSE_16StoreWithoutCastEEEviT_T0_T2_T3_T4_T5_.num_vgpr, 8
	.set _ZN2at6native27unrolled_elementwise_kernelINS0_13AUnaryFunctorIN3c1016Float4_e2m1fn_x2ES4_bNS0_12_GLOBAL__N_116CompareEqFunctorIS4_EEEESt5arrayIPcLm2EELi4E23TrivialOffsetCalculatorILi1EjESD_NS0_6memory15LoadWithoutCastENSE_16StoreWithoutCastEEEviT_T0_T2_T3_T4_T5_.num_agpr, 0
	.set _ZN2at6native27unrolled_elementwise_kernelINS0_13AUnaryFunctorIN3c1016Float4_e2m1fn_x2ES4_bNS0_12_GLOBAL__N_116CompareEqFunctorIS4_EEEESt5arrayIPcLm2EELi4E23TrivialOffsetCalculatorILi1EjESD_NS0_6memory15LoadWithoutCastENSE_16StoreWithoutCastEEEviT_T0_T2_T3_T4_T5_.numbered_sgpr, 13
	.set _ZN2at6native27unrolled_elementwise_kernelINS0_13AUnaryFunctorIN3c1016Float4_e2m1fn_x2ES4_bNS0_12_GLOBAL__N_116CompareEqFunctorIS4_EEEESt5arrayIPcLm2EELi4E23TrivialOffsetCalculatorILi1EjESD_NS0_6memory15LoadWithoutCastENSE_16StoreWithoutCastEEEviT_T0_T2_T3_T4_T5_.num_named_barrier, 0
	.set _ZN2at6native27unrolled_elementwise_kernelINS0_13AUnaryFunctorIN3c1016Float4_e2m1fn_x2ES4_bNS0_12_GLOBAL__N_116CompareEqFunctorIS4_EEEESt5arrayIPcLm2EELi4E23TrivialOffsetCalculatorILi1EjESD_NS0_6memory15LoadWithoutCastENSE_16StoreWithoutCastEEEviT_T0_T2_T3_T4_T5_.private_seg_size, 0
	.set _ZN2at6native27unrolled_elementwise_kernelINS0_13AUnaryFunctorIN3c1016Float4_e2m1fn_x2ES4_bNS0_12_GLOBAL__N_116CompareEqFunctorIS4_EEEESt5arrayIPcLm2EELi4E23TrivialOffsetCalculatorILi1EjESD_NS0_6memory15LoadWithoutCastENSE_16StoreWithoutCastEEEviT_T0_T2_T3_T4_T5_.uses_vcc, 1
	.set _ZN2at6native27unrolled_elementwise_kernelINS0_13AUnaryFunctorIN3c1016Float4_e2m1fn_x2ES4_bNS0_12_GLOBAL__N_116CompareEqFunctorIS4_EEEESt5arrayIPcLm2EELi4E23TrivialOffsetCalculatorILi1EjESD_NS0_6memory15LoadWithoutCastENSE_16StoreWithoutCastEEEviT_T0_T2_T3_T4_T5_.uses_flat_scratch, 0
	.set _ZN2at6native27unrolled_elementwise_kernelINS0_13AUnaryFunctorIN3c1016Float4_e2m1fn_x2ES4_bNS0_12_GLOBAL__N_116CompareEqFunctorIS4_EEEESt5arrayIPcLm2EELi4E23TrivialOffsetCalculatorILi1EjESD_NS0_6memory15LoadWithoutCastENSE_16StoreWithoutCastEEEviT_T0_T2_T3_T4_T5_.has_dyn_sized_stack, 0
	.set _ZN2at6native27unrolled_elementwise_kernelINS0_13AUnaryFunctorIN3c1016Float4_e2m1fn_x2ES4_bNS0_12_GLOBAL__N_116CompareEqFunctorIS4_EEEESt5arrayIPcLm2EELi4E23TrivialOffsetCalculatorILi1EjESD_NS0_6memory15LoadWithoutCastENSE_16StoreWithoutCastEEEviT_T0_T2_T3_T4_T5_.has_recursion, 0
	.set _ZN2at6native27unrolled_elementwise_kernelINS0_13AUnaryFunctorIN3c1016Float4_e2m1fn_x2ES4_bNS0_12_GLOBAL__N_116CompareEqFunctorIS4_EEEESt5arrayIPcLm2EELi4E23TrivialOffsetCalculatorILi1EjESD_NS0_6memory15LoadWithoutCastENSE_16StoreWithoutCastEEEviT_T0_T2_T3_T4_T5_.has_indirect_call, 0
	.section	.AMDGPU.csdata,"",@progbits
; Kernel info:
; codeLenInByte = 892
; TotalNumSgprs: 15
; NumVgprs: 8
; ScratchSize: 0
; MemoryBound: 0
; FloatMode: 240
; IeeeMode: 1
; LDSByteSize: 0 bytes/workgroup (compile time only)
; SGPRBlocks: 0
; VGPRBlocks: 0
; NumSGPRsForWavesPerEU: 15
; NumVGPRsForWavesPerEU: 8
; NamedBarCnt: 0
; Occupancy: 16
; WaveLimiterHint : 0
; COMPUTE_PGM_RSRC2:SCRATCH_EN: 0
; COMPUTE_PGM_RSRC2:USER_SGPR: 2
; COMPUTE_PGM_RSRC2:TRAP_HANDLER: 0
; COMPUTE_PGM_RSRC2:TGID_X_EN: 1
; COMPUTE_PGM_RSRC2:TGID_Y_EN: 0
; COMPUTE_PGM_RSRC2:TGID_Z_EN: 0
; COMPUTE_PGM_RSRC2:TIDIG_COMP_CNT: 0
	.section	.text._ZN2at6native32elementwise_kernel_manual_unrollILi128ELi8EZNS0_22gpu_kernel_impl_nocastINS0_13AUnaryFunctorIN3c1016Float4_e2m1fn_x2ES5_bNS0_12_GLOBAL__N_116CompareEqFunctorIS5_EEEEEEvRNS_18TensorIteratorBaseERKT_EUlibE_EEviT1_,"axG",@progbits,_ZN2at6native32elementwise_kernel_manual_unrollILi128ELi8EZNS0_22gpu_kernel_impl_nocastINS0_13AUnaryFunctorIN3c1016Float4_e2m1fn_x2ES5_bNS0_12_GLOBAL__N_116CompareEqFunctorIS5_EEEEEEvRNS_18TensorIteratorBaseERKT_EUlibE_EEviT1_,comdat
	.globl	_ZN2at6native32elementwise_kernel_manual_unrollILi128ELi8EZNS0_22gpu_kernel_impl_nocastINS0_13AUnaryFunctorIN3c1016Float4_e2m1fn_x2ES5_bNS0_12_GLOBAL__N_116CompareEqFunctorIS5_EEEEEEvRNS_18TensorIteratorBaseERKT_EUlibE_EEviT1_ ; -- Begin function _ZN2at6native32elementwise_kernel_manual_unrollILi128ELi8EZNS0_22gpu_kernel_impl_nocastINS0_13AUnaryFunctorIN3c1016Float4_e2m1fn_x2ES5_bNS0_12_GLOBAL__N_116CompareEqFunctorIS5_EEEEEEvRNS_18TensorIteratorBaseERKT_EUlibE_EEviT1_
	.p2align	8
	.type	_ZN2at6native32elementwise_kernel_manual_unrollILi128ELi8EZNS0_22gpu_kernel_impl_nocastINS0_13AUnaryFunctorIN3c1016Float4_e2m1fn_x2ES5_bNS0_12_GLOBAL__N_116CompareEqFunctorIS5_EEEEEEvRNS_18TensorIteratorBaseERKT_EUlibE_EEviT1_,@function
_ZN2at6native32elementwise_kernel_manual_unrollILi128ELi8EZNS0_22gpu_kernel_impl_nocastINS0_13AUnaryFunctorIN3c1016Float4_e2m1fn_x2ES5_bNS0_12_GLOBAL__N_116CompareEqFunctorIS5_EEEEEEvRNS_18TensorIteratorBaseERKT_EUlibE_EEviT1_: ; @_ZN2at6native32elementwise_kernel_manual_unrollILi128ELi8EZNS0_22gpu_kernel_impl_nocastINS0_13AUnaryFunctorIN3c1016Float4_e2m1fn_x2ES5_bNS0_12_GLOBAL__N_116CompareEqFunctorIS5_EEEEEEvRNS_18TensorIteratorBaseERKT_EUlibE_EEviT1_
; %bb.0:
	s_clause 0x1
	s_load_b32 s30, s[0:1], 0x8
	s_load_b32 s36, s[0:1], 0x0
	s_bfe_u32 s2, ttmp6, 0x4000c
	s_and_b32 s3, ttmp6, 15
	s_add_co_i32 s2, s2, 1
	s_getreg_b32 s4, hwreg(HW_REG_IB_STS2, 6, 4)
	s_mul_i32 s2, ttmp9, s2
	s_add_nc_u64 s[12:13], s[0:1], 8
	s_add_co_i32 s3, s3, s2
	s_cmp_eq_u32 s4, 0
	s_mov_b32 s19, 0
	s_cselect_b32 s2, ttmp9, s3
	s_wait_xcnt 0x0
	s_mov_b32 s0, exec_lo
	v_lshl_or_b32 v0, s2, 10, v0
	s_delay_alu instid0(VALU_DEP_1) | instskip(SKIP_2) | instid1(SALU_CYCLE_1)
	v_or_b32_e32 v16, 0x380, v0
	s_wait_kmcnt 0x0
	s_add_co_i32 s31, s30, -1
	s_cmp_gt_u32 s31, 1
	s_cselect_b32 s33, -1, 0
	v_cmpx_le_i32_e64 s36, v16
	s_xor_b32 s34, exec_lo, s0
	s_cbranch_execz .LBB386_7
; %bb.1:
	s_clause 0x4
	s_load_b128 s[4:7], s[12:13], 0x4
	s_load_b64 s[16:17], s[12:13], 0x14
	s_load_b64 s[14:15], s[12:13], 0x158
	s_load_b128 s[8:11], s[12:13], 0xc4
	s_load_b128 s[0:3], s[12:13], 0x148
	s_cmp_lg_u32 s30, 0
	s_add_nc_u64 s[22:23], s[12:13], 0xc4
	s_cselect_b32 s38, -1, 0
	s_min_u32 s37, s31, 15
	s_cmp_gt_u32 s30, 1
	s_mov_b32 s21, s19
	s_cselect_b32 s35, -1, 0
	s_wait_kmcnt 0x0
	s_mov_b32 s18, s5
	s_mov_b32 s20, s16
	s_cmp_eq_u32 s14, 0
	s_mov_b32 s14, exec_lo
	s_cselect_b32 s5, -1, 0
	v_cmpx_gt_i32_e64 s36, v0
	s_cbranch_execz .LBB386_14
; %bb.2:
	s_and_not1_b32 vcc_lo, exec_lo, s33
	s_cbranch_vccnz .LBB386_21
; %bb.3:
	s_and_not1_b32 vcc_lo, exec_lo, s38
	s_cbranch_vccnz .LBB386_129
; %bb.4:
	s_add_co_i32 s16, s37, 1
	s_cmp_eq_u32 s31, 2
	s_cbranch_scc1 .LBB386_131
; %bb.5:
	v_dual_mov_b32 v2, 0 :: v_dual_mov_b32 v3, 0
	v_mov_b32_e32 v1, v0
	s_and_b32 s24, s16, 28
	s_mov_b32 s25, 0
	s_mov_b64 s[26:27], s[12:13]
	s_mov_b64 s[28:29], s[22:23]
.LBB386_6:                              ; =>This Inner Loop Header: Depth=1
	s_clause 0x1
	s_load_b256 s[40:47], s[26:27], 0x4
	s_load_b128 s[56:59], s[26:27], 0x24
	s_load_b256 s[48:55], s[28:29], 0x0
	s_add_co_i32 s25, s25, 4
	s_wait_xcnt 0x0
	s_add_nc_u64 s[26:27], s[26:27], 48
	s_cmp_lg_u32 s24, s25
	s_add_nc_u64 s[28:29], s[28:29], 32
	s_wait_kmcnt 0x0
	v_mul_hi_u32 v4, s41, v1
	s_delay_alu instid0(VALU_DEP_1) | instskip(NEXT) | instid1(VALU_DEP_1)
	v_add_nc_u32_e32 v4, v1, v4
	v_lshrrev_b32_e32 v4, s42, v4
	s_delay_alu instid0(VALU_DEP_1) | instskip(NEXT) | instid1(VALU_DEP_1)
	v_mul_hi_u32 v5, s44, v4
	v_add_nc_u32_e32 v5, v4, v5
	s_delay_alu instid0(VALU_DEP_1) | instskip(NEXT) | instid1(VALU_DEP_1)
	v_lshrrev_b32_e32 v5, s45, v5
	v_mul_hi_u32 v6, s47, v5
	s_delay_alu instid0(VALU_DEP_1) | instskip(SKIP_1) | instid1(VALU_DEP_1)
	v_add_nc_u32_e32 v6, v5, v6
	v_mul_lo_u32 v7, v4, s40
	v_sub_nc_u32_e32 v1, v1, v7
	v_mul_lo_u32 v7, v5, s43
	s_delay_alu instid0(VALU_DEP_4) | instskip(NEXT) | instid1(VALU_DEP_3)
	v_lshrrev_b32_e32 v6, s56, v6
	v_mad_u32 v3, v1, s49, v3
	v_mad_u32 v1, v1, s48, v2
	s_delay_alu instid0(VALU_DEP_4) | instskip(NEXT) | instid1(VALU_DEP_4)
	v_sub_nc_u32_e32 v2, v4, v7
	v_mul_hi_u32 v8, s58, v6
	v_mul_lo_u32 v4, v6, s46
	s_delay_alu instid0(VALU_DEP_3) | instskip(SKIP_1) | instid1(VALU_DEP_4)
	v_mad_u32 v3, v2, s51, v3
	v_mad_u32 v2, v2, s50, v1
	v_add_nc_u32_e32 v7, v6, v8
	s_delay_alu instid0(VALU_DEP_1) | instskip(NEXT) | instid1(VALU_DEP_1)
	v_dual_sub_nc_u32 v4, v5, v4 :: v_dual_lshrrev_b32 v1, s59, v7
	v_mad_u32 v3, v4, s53, v3
	s_delay_alu instid0(VALU_DEP_4) | instskip(NEXT) | instid1(VALU_DEP_3)
	v_mad_u32 v2, v4, s52, v2
	v_mul_lo_u32 v5, v1, s57
	s_delay_alu instid0(VALU_DEP_1) | instskip(NEXT) | instid1(VALU_DEP_1)
	v_sub_nc_u32_e32 v4, v6, v5
	v_mad_u32 v3, v4, s55, v3
	s_delay_alu instid0(VALU_DEP_4)
	v_mad_u32 v2, v4, s54, v2
	s_cbranch_scc1 .LBB386_6
	s_branch .LBB386_132
.LBB386_7:
	s_and_not1_saveexec_b32 s0, s34
	s_cbranch_execz .LBB386_221
.LBB386_8:
	v_cndmask_b32_e64 v14, 0, 1, s33
	s_and_not1_b32 vcc_lo, exec_lo, s33
	s_cbranch_vccnz .LBB386_20
; %bb.9:
	s_cmp_lg_u32 s30, 0
	s_mov_b32 s6, 0
	s_cbranch_scc0 .LBB386_23
; %bb.10:
	s_min_u32 s1, s31, 15
	s_delay_alu instid0(SALU_CYCLE_1)
	s_add_co_i32 s1, s1, 1
	s_cmp_eq_u32 s31, 2
	s_cbranch_scc1 .LBB386_24
; %bb.11:
	v_dual_mov_b32 v2, 0 :: v_dual_mov_b32 v3, 0
	v_mov_b32_e32 v1, v0
	s_and_b32 s0, s1, 28
	s_add_nc_u64 s[2:3], s[12:13], 0xc4
	s_mov_b32 s7, 0
	s_mov_b64 s[4:5], s[12:13]
.LBB386_12:                             ; =>This Inner Loop Header: Depth=1
	s_clause 0x1
	s_load_b256 s[16:23], s[4:5], 0x4
	s_load_b128 s[8:11], s[4:5], 0x24
	s_load_b256 s[36:43], s[2:3], 0x0
	s_add_co_i32 s7, s7, 4
	s_wait_xcnt 0x0
	s_add_nc_u64 s[4:5], s[4:5], 48
	s_cmp_lg_u32 s0, s7
	s_add_nc_u64 s[2:3], s[2:3], 32
	s_wait_kmcnt 0x0
	v_mul_hi_u32 v4, s17, v1
	s_delay_alu instid0(VALU_DEP_1) | instskip(NEXT) | instid1(VALU_DEP_1)
	v_add_nc_u32_e32 v4, v1, v4
	v_lshrrev_b32_e32 v4, s18, v4
	s_delay_alu instid0(VALU_DEP_1) | instskip(NEXT) | instid1(VALU_DEP_1)
	v_mul_hi_u32 v5, s20, v4
	v_add_nc_u32_e32 v5, v4, v5
	s_delay_alu instid0(VALU_DEP_1) | instskip(NEXT) | instid1(VALU_DEP_1)
	v_lshrrev_b32_e32 v5, s21, v5
	v_mul_hi_u32 v6, s23, v5
	s_delay_alu instid0(VALU_DEP_1) | instskip(SKIP_1) | instid1(VALU_DEP_1)
	v_add_nc_u32_e32 v6, v5, v6
	v_mul_lo_u32 v7, v4, s16
	v_sub_nc_u32_e32 v1, v1, v7
	v_mul_lo_u32 v7, v5, s19
	s_delay_alu instid0(VALU_DEP_4) | instskip(NEXT) | instid1(VALU_DEP_3)
	v_lshrrev_b32_e32 v6, s8, v6
	v_mad_u32 v3, v1, s37, v3
	v_mad_u32 v1, v1, s36, v2
	s_delay_alu instid0(VALU_DEP_4) | instskip(NEXT) | instid1(VALU_DEP_4)
	v_sub_nc_u32_e32 v2, v4, v7
	v_mul_hi_u32 v8, s10, v6
	v_mul_lo_u32 v4, v6, s22
	s_delay_alu instid0(VALU_DEP_3) | instskip(SKIP_1) | instid1(VALU_DEP_4)
	v_mad_u32 v3, v2, s39, v3
	v_mad_u32 v2, v2, s38, v1
	v_add_nc_u32_e32 v7, v6, v8
	s_delay_alu instid0(VALU_DEP_1) | instskip(NEXT) | instid1(VALU_DEP_1)
	v_dual_sub_nc_u32 v4, v5, v4 :: v_dual_lshrrev_b32 v1, s11, v7
	v_mad_u32 v3, v4, s41, v3
	s_delay_alu instid0(VALU_DEP_4) | instskip(NEXT) | instid1(VALU_DEP_3)
	v_mad_u32 v2, v4, s40, v2
	v_mul_lo_u32 v5, v1, s9
	s_delay_alu instid0(VALU_DEP_1) | instskip(NEXT) | instid1(VALU_DEP_1)
	v_sub_nc_u32_e32 v4, v6, v5
	v_mad_u32 v3, v4, s43, v3
	s_delay_alu instid0(VALU_DEP_4)
	v_mad_u32 v2, v4, s42, v2
	s_cbranch_scc1 .LBB386_12
; %bb.13:
	s_and_b32 s4, s1, 3
	s_mov_b32 s1, 0
	s_cmp_eq_u32 s4, 0
	s_cbranch_scc0 .LBB386_25
	s_branch .LBB386_27
.LBB386_14:
	s_or_b32 exec_lo, exec_lo, s14
	s_delay_alu instid0(SALU_CYCLE_1)
	s_mov_b32 s14, exec_lo
	v_cmpx_gt_i32_e64 s36, v0
	s_cbranch_execz .LBB386_139
.LBB386_15:
	s_and_not1_b32 vcc_lo, exec_lo, s33
	s_cbranch_vccnz .LBB386_22
; %bb.16:
	s_and_not1_b32 vcc_lo, exec_lo, s38
	s_cbranch_vccnz .LBB386_130
; %bb.17:
	s_add_co_i32 s16, s37, 1
	s_cmp_eq_u32 s31, 2
	s_cbranch_scc1 .LBB386_147
; %bb.18:
	v_dual_mov_b32 v2, 0 :: v_dual_mov_b32 v3, 0
	v_mov_b32_e32 v1, v0
	s_and_b32 s24, s16, 28
	s_mov_b32 s25, 0
	s_mov_b64 s[26:27], s[12:13]
	s_mov_b64 s[28:29], s[22:23]
.LBB386_19:                             ; =>This Inner Loop Header: Depth=1
	s_clause 0x1
	s_load_b256 s[40:47], s[26:27], 0x4
	s_load_b128 s[56:59], s[26:27], 0x24
	s_load_b256 s[48:55], s[28:29], 0x0
	s_add_co_i32 s25, s25, 4
	s_wait_xcnt 0x0
	s_add_nc_u64 s[26:27], s[26:27], 48
	s_cmp_eq_u32 s24, s25
	s_add_nc_u64 s[28:29], s[28:29], 32
	s_wait_kmcnt 0x0
	v_mul_hi_u32 v4, s41, v1
	s_delay_alu instid0(VALU_DEP_1) | instskip(NEXT) | instid1(VALU_DEP_1)
	v_add_nc_u32_e32 v4, v1, v4
	v_lshrrev_b32_e32 v4, s42, v4
	s_delay_alu instid0(VALU_DEP_1) | instskip(NEXT) | instid1(VALU_DEP_1)
	v_mul_hi_u32 v5, s44, v4
	v_add_nc_u32_e32 v5, v4, v5
	s_delay_alu instid0(VALU_DEP_1) | instskip(NEXT) | instid1(VALU_DEP_1)
	v_lshrrev_b32_e32 v5, s45, v5
	v_mul_hi_u32 v6, s47, v5
	s_delay_alu instid0(VALU_DEP_1) | instskip(SKIP_1) | instid1(VALU_DEP_1)
	v_add_nc_u32_e32 v6, v5, v6
	v_mul_lo_u32 v7, v4, s40
	v_sub_nc_u32_e32 v1, v1, v7
	v_mul_lo_u32 v7, v5, s43
	s_delay_alu instid0(VALU_DEP_4) | instskip(NEXT) | instid1(VALU_DEP_3)
	v_lshrrev_b32_e32 v6, s56, v6
	v_mad_u32 v3, v1, s49, v3
	v_mad_u32 v1, v1, s48, v2
	s_delay_alu instid0(VALU_DEP_4) | instskip(NEXT) | instid1(VALU_DEP_4)
	v_sub_nc_u32_e32 v2, v4, v7
	v_mul_hi_u32 v8, s58, v6
	v_mul_lo_u32 v4, v6, s46
	s_delay_alu instid0(VALU_DEP_3) | instskip(SKIP_1) | instid1(VALU_DEP_4)
	v_mad_u32 v3, v2, s51, v3
	v_mad_u32 v2, v2, s50, v1
	v_add_nc_u32_e32 v7, v6, v8
	s_delay_alu instid0(VALU_DEP_1) | instskip(NEXT) | instid1(VALU_DEP_1)
	v_dual_sub_nc_u32 v4, v5, v4 :: v_dual_lshrrev_b32 v1, s59, v7
	v_mad_u32 v3, v4, s53, v3
	s_delay_alu instid0(VALU_DEP_4) | instskip(NEXT) | instid1(VALU_DEP_3)
	v_mad_u32 v2, v4, s52, v2
	v_mul_lo_u32 v5, v1, s57
	s_delay_alu instid0(VALU_DEP_1) | instskip(NEXT) | instid1(VALU_DEP_1)
	v_sub_nc_u32_e32 v4, v6, v5
	v_mad_u32 v3, v4, s55, v3
	s_delay_alu instid0(VALU_DEP_4)
	v_mad_u32 v2, v4, s54, v2
	s_cbranch_scc0 .LBB386_19
	s_branch .LBB386_148
.LBB386_20:
	s_mov_b32 s6, -1
                                        ; implicit-def: $vgpr3
	s_branch .LBB386_27
.LBB386_21:
                                        ; implicit-def: $vgpr3
	s_branch .LBB386_136
.LBB386_22:
                                        ; implicit-def: $vgpr3
	s_branch .LBB386_152
.LBB386_23:
	v_dual_mov_b32 v3, 0 :: v_dual_mov_b32 v2, 0
	s_branch .LBB386_27
.LBB386_24:
	v_mov_b64_e32 v[2:3], 0
	v_mov_b32_e32 v1, v0
	s_mov_b32 s0, 0
	s_and_b32 s4, s1, 3
	s_mov_b32 s1, 0
	s_cmp_eq_u32 s4, 0
	s_cbranch_scc1 .LBB386_27
.LBB386_25:
	s_lshl_b32 s2, s0, 3
	s_mov_b32 s3, s1
	s_mul_u64 s[8:9], s[0:1], 12
	s_add_nc_u64 s[2:3], s[12:13], s[2:3]
	s_delay_alu instid0(SALU_CYCLE_1)
	s_add_nc_u64 s[0:1], s[2:3], 0xc4
	s_add_nc_u64 s[2:3], s[12:13], s[8:9]
.LBB386_26:                             ; =>This Inner Loop Header: Depth=1
	s_load_b96 s[8:10], s[2:3], 0x4
	s_add_co_i32 s4, s4, -1
	s_wait_xcnt 0x0
	s_add_nc_u64 s[2:3], s[2:3], 12
	s_cmp_lg_u32 s4, 0
	s_wait_kmcnt 0x0
	v_mul_hi_u32 v4, s9, v1
	s_delay_alu instid0(VALU_DEP_1) | instskip(NEXT) | instid1(VALU_DEP_1)
	v_add_nc_u32_e32 v4, v1, v4
	v_lshrrev_b32_e32 v4, s10, v4
	s_load_b64 s[10:11], s[0:1], 0x0
	s_wait_xcnt 0x0
	s_add_nc_u64 s[0:1], s[0:1], 8
	s_delay_alu instid0(VALU_DEP_1) | instskip(NEXT) | instid1(VALU_DEP_1)
	v_mul_lo_u32 v5, v4, s8
	v_sub_nc_u32_e32 v1, v1, v5
	s_wait_kmcnt 0x0
	s_delay_alu instid0(VALU_DEP_1)
	v_mad_u32 v3, v1, s11, v3
	v_mad_u32 v2, v1, s10, v2
	v_mov_b32_e32 v1, v4
	s_cbranch_scc1 .LBB386_26
.LBB386_27:
	s_and_not1_b32 vcc_lo, exec_lo, s6
	s_cbranch_vccnz .LBB386_30
; %bb.28:
	s_clause 0x1
	s_load_b96 s[0:2], s[12:13], 0x4
	s_load_b64 s[4:5], s[12:13], 0xc4
	s_cmp_lt_u32 s30, 2
	s_wait_kmcnt 0x0
	v_mul_hi_u32 v1, s1, v0
	s_delay_alu instid0(VALU_DEP_1) | instskip(NEXT) | instid1(VALU_DEP_1)
	v_add_nc_u32_e32 v1, v0, v1
	v_lshrrev_b32_e32 v1, s2, v1
	s_delay_alu instid0(VALU_DEP_1) | instskip(NEXT) | instid1(VALU_DEP_1)
	v_mul_lo_u32 v2, v1, s0
	v_sub_nc_u32_e32 v2, v0, v2
	s_delay_alu instid0(VALU_DEP_1)
	v_mul_lo_u32 v3, v2, s5
	v_mul_lo_u32 v2, v2, s4
	s_cbranch_scc1 .LBB386_30
; %bb.29:
	s_clause 0x1
	s_load_b96 s[0:2], s[12:13], 0x10
	s_load_b64 s[4:5], s[12:13], 0xcc
	s_wait_kmcnt 0x0
	v_mul_hi_u32 v4, s1, v1
	s_delay_alu instid0(VALU_DEP_1) | instskip(NEXT) | instid1(VALU_DEP_1)
	v_add_nc_u32_e32 v4, v1, v4
	v_lshrrev_b32_e32 v4, s2, v4
	s_delay_alu instid0(VALU_DEP_1) | instskip(NEXT) | instid1(VALU_DEP_1)
	v_mul_lo_u32 v4, v4, s0
	v_sub_nc_u32_e32 v1, v1, v4
	s_delay_alu instid0(VALU_DEP_1)
	v_mad_u32 v2, v1, s4, v2
	v_mad_u32 v3, v1, s5, v3
.LBB386_30:
	v_cmp_ne_u32_e32 vcc_lo, 1, v14
	v_add_nc_u32_e32 v1, 0x80, v0
	s_cbranch_vccnz .LBB386_36
; %bb.31:
	s_cmp_lg_u32 s30, 0
	s_mov_b32 s6, 0
	s_cbranch_scc0 .LBB386_37
; %bb.32:
	s_min_u32 s1, s31, 15
	s_delay_alu instid0(SALU_CYCLE_1)
	s_add_co_i32 s1, s1, 1
	s_cmp_eq_u32 s31, 2
	s_cbranch_scc1 .LBB386_38
; %bb.33:
	v_dual_mov_b32 v4, 0 :: v_dual_mov_b32 v5, 0
	v_mov_b32_e32 v6, v1
	s_and_b32 s0, s1, 28
	s_add_nc_u64 s[2:3], s[12:13], 0xc4
	s_mov_b32 s7, 0
	s_mov_b64 s[4:5], s[12:13]
.LBB386_34:                             ; =>This Inner Loop Header: Depth=1
	s_clause 0x1
	s_load_b256 s[16:23], s[4:5], 0x4
	s_load_b128 s[8:11], s[4:5], 0x24
	s_load_b256 s[36:43], s[2:3], 0x0
	s_add_co_i32 s7, s7, 4
	s_wait_xcnt 0x0
	s_add_nc_u64 s[4:5], s[4:5], 48
	s_cmp_lg_u32 s0, s7
	s_add_nc_u64 s[2:3], s[2:3], 32
	s_wait_kmcnt 0x0
	v_mul_hi_u32 v7, s17, v6
	s_delay_alu instid0(VALU_DEP_1) | instskip(NEXT) | instid1(VALU_DEP_1)
	v_add_nc_u32_e32 v7, v6, v7
	v_lshrrev_b32_e32 v7, s18, v7
	s_delay_alu instid0(VALU_DEP_1) | instskip(NEXT) | instid1(VALU_DEP_1)
	v_mul_hi_u32 v8, s20, v7
	v_add_nc_u32_e32 v8, v7, v8
	s_delay_alu instid0(VALU_DEP_1) | instskip(NEXT) | instid1(VALU_DEP_1)
	v_lshrrev_b32_e32 v8, s21, v8
	v_mul_hi_u32 v9, s23, v8
	s_delay_alu instid0(VALU_DEP_1) | instskip(SKIP_1) | instid1(VALU_DEP_1)
	v_add_nc_u32_e32 v9, v8, v9
	v_mul_lo_u32 v10, v7, s16
	v_sub_nc_u32_e32 v6, v6, v10
	v_mul_lo_u32 v10, v8, s19
	s_delay_alu instid0(VALU_DEP_4) | instskip(NEXT) | instid1(VALU_DEP_3)
	v_lshrrev_b32_e32 v9, s8, v9
	v_mad_u32 v5, v6, s37, v5
	v_mad_u32 v4, v6, s36, v4
	s_delay_alu instid0(VALU_DEP_4) | instskip(NEXT) | instid1(VALU_DEP_4)
	v_sub_nc_u32_e32 v6, v7, v10
	v_mul_hi_u32 v11, s10, v9
	v_mul_lo_u32 v7, v9, s22
	s_delay_alu instid0(VALU_DEP_3) | instskip(SKIP_1) | instid1(VALU_DEP_4)
	v_mad_u32 v5, v6, s39, v5
	v_mad_u32 v4, v6, s38, v4
	v_add_nc_u32_e32 v10, v9, v11
	s_delay_alu instid0(VALU_DEP_1) | instskip(NEXT) | instid1(VALU_DEP_1)
	v_dual_sub_nc_u32 v7, v8, v7 :: v_dual_lshrrev_b32 v6, s11, v10
	v_mad_u32 v5, v7, s41, v5
	s_delay_alu instid0(VALU_DEP_4) | instskip(NEXT) | instid1(VALU_DEP_3)
	v_mad_u32 v4, v7, s40, v4
	v_mul_lo_u32 v8, v6, s9
	s_delay_alu instid0(VALU_DEP_1) | instskip(NEXT) | instid1(VALU_DEP_1)
	v_sub_nc_u32_e32 v7, v9, v8
	v_mad_u32 v5, v7, s43, v5
	s_delay_alu instid0(VALU_DEP_4)
	v_mad_u32 v4, v7, s42, v4
	s_cbranch_scc1 .LBB386_34
; %bb.35:
	s_and_b32 s4, s1, 3
	s_mov_b32 s1, 0
	s_cmp_eq_u32 s4, 0
	s_cbranch_scc0 .LBB386_39
	s_branch .LBB386_41
.LBB386_36:
	s_mov_b32 s6, -1
                                        ; implicit-def: $vgpr5
	s_branch .LBB386_41
.LBB386_37:
	v_dual_mov_b32 v5, 0 :: v_dual_mov_b32 v4, 0
	s_branch .LBB386_41
.LBB386_38:
	v_mov_b64_e32 v[4:5], 0
	v_mov_b32_e32 v6, v1
	s_mov_b32 s0, 0
	s_and_b32 s4, s1, 3
	s_mov_b32 s1, 0
	s_cmp_eq_u32 s4, 0
	s_cbranch_scc1 .LBB386_41
.LBB386_39:
	s_lshl_b32 s2, s0, 3
	s_mov_b32 s3, s1
	s_mul_u64 s[8:9], s[0:1], 12
	s_add_nc_u64 s[2:3], s[12:13], s[2:3]
	s_delay_alu instid0(SALU_CYCLE_1)
	s_add_nc_u64 s[0:1], s[2:3], 0xc4
	s_add_nc_u64 s[2:3], s[12:13], s[8:9]
.LBB386_40:                             ; =>This Inner Loop Header: Depth=1
	s_load_b96 s[8:10], s[2:3], 0x4
	s_add_co_i32 s4, s4, -1
	s_wait_xcnt 0x0
	s_add_nc_u64 s[2:3], s[2:3], 12
	s_cmp_lg_u32 s4, 0
	s_wait_kmcnt 0x0
	v_mul_hi_u32 v7, s9, v6
	s_delay_alu instid0(VALU_DEP_1) | instskip(NEXT) | instid1(VALU_DEP_1)
	v_add_nc_u32_e32 v7, v6, v7
	v_lshrrev_b32_e32 v7, s10, v7
	s_load_b64 s[10:11], s[0:1], 0x0
	s_wait_xcnt 0x0
	s_add_nc_u64 s[0:1], s[0:1], 8
	s_delay_alu instid0(VALU_DEP_1) | instskip(NEXT) | instid1(VALU_DEP_1)
	v_mul_lo_u32 v8, v7, s8
	v_sub_nc_u32_e32 v6, v6, v8
	s_wait_kmcnt 0x0
	s_delay_alu instid0(VALU_DEP_1)
	v_mad_u32 v5, v6, s11, v5
	v_mad_u32 v4, v6, s10, v4
	v_mov_b32_e32 v6, v7
	s_cbranch_scc1 .LBB386_40
.LBB386_41:
	s_and_not1_b32 vcc_lo, exec_lo, s6
	s_cbranch_vccnz .LBB386_44
; %bb.42:
	s_clause 0x1
	s_load_b96 s[0:2], s[12:13], 0x4
	s_load_b64 s[4:5], s[12:13], 0xc4
	s_cmp_lt_u32 s30, 2
	s_wait_kmcnt 0x0
	v_mul_hi_u32 v4, s1, v1
	s_delay_alu instid0(VALU_DEP_1) | instskip(NEXT) | instid1(VALU_DEP_1)
	v_add_nc_u32_e32 v4, v1, v4
	v_lshrrev_b32_e32 v6, s2, v4
	s_delay_alu instid0(VALU_DEP_1) | instskip(NEXT) | instid1(VALU_DEP_1)
	v_mul_lo_u32 v4, v6, s0
	v_sub_nc_u32_e32 v1, v1, v4
	s_delay_alu instid0(VALU_DEP_1)
	v_mul_lo_u32 v5, v1, s5
	v_mul_lo_u32 v4, v1, s4
	s_cbranch_scc1 .LBB386_44
; %bb.43:
	s_clause 0x1
	s_load_b96 s[0:2], s[12:13], 0x10
	s_load_b64 s[4:5], s[12:13], 0xcc
	s_wait_kmcnt 0x0
	v_mul_hi_u32 v1, s1, v6
	s_delay_alu instid0(VALU_DEP_1) | instskip(NEXT) | instid1(VALU_DEP_1)
	v_add_nc_u32_e32 v1, v6, v1
	v_lshrrev_b32_e32 v1, s2, v1
	s_delay_alu instid0(VALU_DEP_1) | instskip(NEXT) | instid1(VALU_DEP_1)
	v_mul_lo_u32 v1, v1, s0
	v_sub_nc_u32_e32 v1, v6, v1
	s_delay_alu instid0(VALU_DEP_1)
	v_mad_u32 v4, v1, s4, v4
	v_mad_u32 v5, v1, s5, v5
.LBB386_44:
	v_cmp_ne_u32_e32 vcc_lo, 1, v14
	v_add_nc_u32_e32 v1, 0x100, v0
	s_cbranch_vccnz .LBB386_50
; %bb.45:
	s_cmp_lg_u32 s30, 0
	s_mov_b32 s6, 0
	s_cbranch_scc0 .LBB386_51
; %bb.46:
	s_min_u32 s1, s31, 15
	s_delay_alu instid0(SALU_CYCLE_1)
	s_add_co_i32 s1, s1, 1
	s_cmp_eq_u32 s31, 2
	s_cbranch_scc1 .LBB386_52
; %bb.47:
	v_dual_mov_b32 v6, 0 :: v_dual_mov_b32 v7, 0
	v_mov_b32_e32 v8, v1
	s_and_b32 s0, s1, 28
	s_add_nc_u64 s[2:3], s[12:13], 0xc4
	s_mov_b32 s7, 0
	s_mov_b64 s[4:5], s[12:13]
.LBB386_48:                             ; =>This Inner Loop Header: Depth=1
	s_clause 0x1
	s_load_b256 s[16:23], s[4:5], 0x4
	s_load_b128 s[8:11], s[4:5], 0x24
	s_load_b256 s[36:43], s[2:3], 0x0
	s_add_co_i32 s7, s7, 4
	s_wait_xcnt 0x0
	s_add_nc_u64 s[4:5], s[4:5], 48
	s_cmp_lg_u32 s0, s7
	s_add_nc_u64 s[2:3], s[2:3], 32
	s_wait_kmcnt 0x0
	v_mul_hi_u32 v9, s17, v8
	s_delay_alu instid0(VALU_DEP_1) | instskip(NEXT) | instid1(VALU_DEP_1)
	v_add_nc_u32_e32 v9, v8, v9
	v_lshrrev_b32_e32 v9, s18, v9
	s_delay_alu instid0(VALU_DEP_1) | instskip(NEXT) | instid1(VALU_DEP_1)
	v_mul_hi_u32 v10, s20, v9
	v_add_nc_u32_e32 v10, v9, v10
	s_delay_alu instid0(VALU_DEP_1) | instskip(NEXT) | instid1(VALU_DEP_1)
	v_lshrrev_b32_e32 v10, s21, v10
	v_mul_hi_u32 v11, s23, v10
	s_delay_alu instid0(VALU_DEP_1) | instskip(SKIP_1) | instid1(VALU_DEP_1)
	v_add_nc_u32_e32 v11, v10, v11
	v_mul_lo_u32 v12, v9, s16
	v_sub_nc_u32_e32 v8, v8, v12
	v_mul_lo_u32 v12, v10, s19
	s_delay_alu instid0(VALU_DEP_4) | instskip(NEXT) | instid1(VALU_DEP_3)
	v_lshrrev_b32_e32 v11, s8, v11
	v_mad_u32 v7, v8, s37, v7
	v_mad_u32 v6, v8, s36, v6
	s_delay_alu instid0(VALU_DEP_4) | instskip(NEXT) | instid1(VALU_DEP_4)
	v_sub_nc_u32_e32 v8, v9, v12
	v_mul_hi_u32 v13, s10, v11
	v_mul_lo_u32 v9, v11, s22
	s_delay_alu instid0(VALU_DEP_3) | instskip(SKIP_1) | instid1(VALU_DEP_4)
	v_mad_u32 v7, v8, s39, v7
	v_mad_u32 v6, v8, s38, v6
	v_add_nc_u32_e32 v12, v11, v13
	s_delay_alu instid0(VALU_DEP_1) | instskip(NEXT) | instid1(VALU_DEP_1)
	v_dual_sub_nc_u32 v9, v10, v9 :: v_dual_lshrrev_b32 v8, s11, v12
	v_mad_u32 v7, v9, s41, v7
	s_delay_alu instid0(VALU_DEP_4) | instskip(NEXT) | instid1(VALU_DEP_3)
	v_mad_u32 v6, v9, s40, v6
	v_mul_lo_u32 v10, v8, s9
	s_delay_alu instid0(VALU_DEP_1) | instskip(NEXT) | instid1(VALU_DEP_1)
	v_sub_nc_u32_e32 v9, v11, v10
	v_mad_u32 v7, v9, s43, v7
	s_delay_alu instid0(VALU_DEP_4)
	v_mad_u32 v6, v9, s42, v6
	s_cbranch_scc1 .LBB386_48
; %bb.49:
	s_and_b32 s4, s1, 3
	s_mov_b32 s1, 0
	s_cmp_eq_u32 s4, 0
	s_cbranch_scc0 .LBB386_53
	s_branch .LBB386_55
.LBB386_50:
	s_mov_b32 s6, -1
                                        ; implicit-def: $vgpr7
	s_branch .LBB386_55
.LBB386_51:
	v_dual_mov_b32 v7, 0 :: v_dual_mov_b32 v6, 0
	s_branch .LBB386_55
.LBB386_52:
	v_mov_b64_e32 v[6:7], 0
	v_mov_b32_e32 v8, v1
	s_mov_b32 s0, 0
	s_and_b32 s4, s1, 3
	s_mov_b32 s1, 0
	s_cmp_eq_u32 s4, 0
	s_cbranch_scc1 .LBB386_55
.LBB386_53:
	s_lshl_b32 s2, s0, 3
	s_mov_b32 s3, s1
	s_mul_u64 s[8:9], s[0:1], 12
	s_add_nc_u64 s[2:3], s[12:13], s[2:3]
	s_delay_alu instid0(SALU_CYCLE_1)
	s_add_nc_u64 s[0:1], s[2:3], 0xc4
	s_add_nc_u64 s[2:3], s[12:13], s[8:9]
.LBB386_54:                             ; =>This Inner Loop Header: Depth=1
	s_load_b96 s[8:10], s[2:3], 0x4
	s_add_co_i32 s4, s4, -1
	s_wait_xcnt 0x0
	s_add_nc_u64 s[2:3], s[2:3], 12
	s_cmp_lg_u32 s4, 0
	s_wait_kmcnt 0x0
	v_mul_hi_u32 v9, s9, v8
	s_delay_alu instid0(VALU_DEP_1) | instskip(NEXT) | instid1(VALU_DEP_1)
	v_add_nc_u32_e32 v9, v8, v9
	v_lshrrev_b32_e32 v9, s10, v9
	s_load_b64 s[10:11], s[0:1], 0x0
	s_wait_xcnt 0x0
	s_add_nc_u64 s[0:1], s[0:1], 8
	s_delay_alu instid0(VALU_DEP_1) | instskip(NEXT) | instid1(VALU_DEP_1)
	v_mul_lo_u32 v10, v9, s8
	v_sub_nc_u32_e32 v8, v8, v10
	s_wait_kmcnt 0x0
	s_delay_alu instid0(VALU_DEP_1)
	v_mad_u32 v7, v8, s11, v7
	v_mad_u32 v6, v8, s10, v6
	v_mov_b32_e32 v8, v9
	s_cbranch_scc1 .LBB386_54
.LBB386_55:
	s_and_not1_b32 vcc_lo, exec_lo, s6
	s_cbranch_vccnz .LBB386_58
; %bb.56:
	s_clause 0x1
	s_load_b96 s[0:2], s[12:13], 0x4
	s_load_b64 s[4:5], s[12:13], 0xc4
	s_cmp_lt_u32 s30, 2
	s_wait_kmcnt 0x0
	v_mul_hi_u32 v6, s1, v1
	s_delay_alu instid0(VALU_DEP_1) | instskip(NEXT) | instid1(VALU_DEP_1)
	v_add_nc_u32_e32 v6, v1, v6
	v_lshrrev_b32_e32 v8, s2, v6
	s_delay_alu instid0(VALU_DEP_1) | instskip(NEXT) | instid1(VALU_DEP_1)
	v_mul_lo_u32 v6, v8, s0
	v_sub_nc_u32_e32 v1, v1, v6
	s_delay_alu instid0(VALU_DEP_1)
	v_mul_lo_u32 v7, v1, s5
	v_mul_lo_u32 v6, v1, s4
	s_cbranch_scc1 .LBB386_58
; %bb.57:
	s_clause 0x1
	s_load_b96 s[0:2], s[12:13], 0x10
	s_load_b64 s[4:5], s[12:13], 0xcc
	s_wait_kmcnt 0x0
	v_mul_hi_u32 v1, s1, v8
	s_delay_alu instid0(VALU_DEP_1) | instskip(NEXT) | instid1(VALU_DEP_1)
	v_add_nc_u32_e32 v1, v8, v1
	v_lshrrev_b32_e32 v1, s2, v1
	s_delay_alu instid0(VALU_DEP_1) | instskip(NEXT) | instid1(VALU_DEP_1)
	v_mul_lo_u32 v1, v1, s0
	v_sub_nc_u32_e32 v1, v8, v1
	s_delay_alu instid0(VALU_DEP_1)
	v_mad_u32 v6, v1, s4, v6
	v_mad_u32 v7, v1, s5, v7
.LBB386_58:
	v_cmp_ne_u32_e32 vcc_lo, 1, v14
	v_add_nc_u32_e32 v1, 0x180, v0
	s_cbranch_vccnz .LBB386_64
; %bb.59:
	s_cmp_lg_u32 s30, 0
	s_mov_b32 s6, 0
	s_cbranch_scc0 .LBB386_65
; %bb.60:
	s_min_u32 s1, s31, 15
	s_delay_alu instid0(SALU_CYCLE_1)
	s_add_co_i32 s1, s1, 1
	s_cmp_eq_u32 s31, 2
	s_cbranch_scc1 .LBB386_66
; %bb.61:
	v_dual_mov_b32 v8, 0 :: v_dual_mov_b32 v9, 0
	v_mov_b32_e32 v10, v1
	s_and_b32 s0, s1, 28
	s_add_nc_u64 s[2:3], s[12:13], 0xc4
	s_mov_b32 s7, 0
	s_mov_b64 s[4:5], s[12:13]
.LBB386_62:                             ; =>This Inner Loop Header: Depth=1
	s_clause 0x1
	s_load_b256 s[16:23], s[4:5], 0x4
	s_load_b128 s[8:11], s[4:5], 0x24
	s_load_b256 s[36:43], s[2:3], 0x0
	s_add_co_i32 s7, s7, 4
	s_wait_xcnt 0x0
	s_add_nc_u64 s[4:5], s[4:5], 48
	s_cmp_lg_u32 s0, s7
	s_add_nc_u64 s[2:3], s[2:3], 32
	s_wait_kmcnt 0x0
	v_mul_hi_u32 v11, s17, v10
	s_delay_alu instid0(VALU_DEP_1) | instskip(NEXT) | instid1(VALU_DEP_1)
	v_add_nc_u32_e32 v11, v10, v11
	v_lshrrev_b32_e32 v11, s18, v11
	s_delay_alu instid0(VALU_DEP_1) | instskip(NEXT) | instid1(VALU_DEP_1)
	v_mul_hi_u32 v12, s20, v11
	v_add_nc_u32_e32 v12, v11, v12
	s_delay_alu instid0(VALU_DEP_1) | instskip(NEXT) | instid1(VALU_DEP_1)
	v_lshrrev_b32_e32 v12, s21, v12
	v_mul_hi_u32 v13, s23, v12
	s_delay_alu instid0(VALU_DEP_1) | instskip(SKIP_1) | instid1(VALU_DEP_1)
	v_add_nc_u32_e32 v13, v12, v13
	v_mul_lo_u32 v15, v11, s16
	v_sub_nc_u32_e32 v10, v10, v15
	v_mul_lo_u32 v15, v12, s19
	s_delay_alu instid0(VALU_DEP_4) | instskip(NEXT) | instid1(VALU_DEP_3)
	v_lshrrev_b32_e32 v13, s8, v13
	v_mad_u32 v9, v10, s37, v9
	v_mad_u32 v8, v10, s36, v8
	s_delay_alu instid0(VALU_DEP_4) | instskip(NEXT) | instid1(VALU_DEP_4)
	v_sub_nc_u32_e32 v10, v11, v15
	v_mul_hi_u32 v17, s10, v13
	v_mul_lo_u32 v11, v13, s22
	s_delay_alu instid0(VALU_DEP_3) | instskip(SKIP_1) | instid1(VALU_DEP_3)
	v_mad_u32 v9, v10, s39, v9
	v_mad_u32 v8, v10, s38, v8
	v_dual_add_nc_u32 v15, v13, v17 :: v_dual_sub_nc_u32 v11, v12, v11
	s_delay_alu instid0(VALU_DEP_1) | instskip(NEXT) | instid1(VALU_DEP_2)
	v_lshrrev_b32_e32 v10, s11, v15
	v_mad_u32 v9, v11, s41, v9
	s_delay_alu instid0(VALU_DEP_4) | instskip(NEXT) | instid1(VALU_DEP_3)
	v_mad_u32 v8, v11, s40, v8
	v_mul_lo_u32 v12, v10, s9
	s_delay_alu instid0(VALU_DEP_1) | instskip(NEXT) | instid1(VALU_DEP_1)
	v_sub_nc_u32_e32 v11, v13, v12
	v_mad_u32 v9, v11, s43, v9
	s_delay_alu instid0(VALU_DEP_4)
	v_mad_u32 v8, v11, s42, v8
	s_cbranch_scc1 .LBB386_62
; %bb.63:
	s_and_b32 s4, s1, 3
	s_mov_b32 s1, 0
	s_cmp_eq_u32 s4, 0
	s_cbranch_scc0 .LBB386_67
	s_branch .LBB386_69
.LBB386_64:
	s_mov_b32 s6, -1
                                        ; implicit-def: $vgpr9
	s_branch .LBB386_69
.LBB386_65:
	v_dual_mov_b32 v9, 0 :: v_dual_mov_b32 v8, 0
	s_branch .LBB386_69
.LBB386_66:
	v_mov_b64_e32 v[8:9], 0
	v_mov_b32_e32 v10, v1
	s_mov_b32 s0, 0
	s_and_b32 s4, s1, 3
	s_mov_b32 s1, 0
	s_cmp_eq_u32 s4, 0
	s_cbranch_scc1 .LBB386_69
.LBB386_67:
	s_lshl_b32 s2, s0, 3
	s_mov_b32 s3, s1
	s_mul_u64 s[8:9], s[0:1], 12
	s_add_nc_u64 s[2:3], s[12:13], s[2:3]
	s_delay_alu instid0(SALU_CYCLE_1)
	s_add_nc_u64 s[0:1], s[2:3], 0xc4
	s_add_nc_u64 s[2:3], s[12:13], s[8:9]
.LBB386_68:                             ; =>This Inner Loop Header: Depth=1
	s_load_b96 s[8:10], s[2:3], 0x4
	s_add_co_i32 s4, s4, -1
	s_wait_xcnt 0x0
	s_add_nc_u64 s[2:3], s[2:3], 12
	s_cmp_lg_u32 s4, 0
	s_wait_kmcnt 0x0
	v_mul_hi_u32 v11, s9, v10
	s_delay_alu instid0(VALU_DEP_1) | instskip(NEXT) | instid1(VALU_DEP_1)
	v_add_nc_u32_e32 v11, v10, v11
	v_lshrrev_b32_e32 v11, s10, v11
	s_load_b64 s[10:11], s[0:1], 0x0
	s_wait_xcnt 0x0
	s_add_nc_u64 s[0:1], s[0:1], 8
	s_delay_alu instid0(VALU_DEP_1) | instskip(NEXT) | instid1(VALU_DEP_1)
	v_mul_lo_u32 v12, v11, s8
	v_sub_nc_u32_e32 v10, v10, v12
	s_wait_kmcnt 0x0
	s_delay_alu instid0(VALU_DEP_1)
	v_mad_u32 v9, v10, s11, v9
	v_mad_u32 v8, v10, s10, v8
	v_mov_b32_e32 v10, v11
	s_cbranch_scc1 .LBB386_68
.LBB386_69:
	s_and_not1_b32 vcc_lo, exec_lo, s6
	s_cbranch_vccnz .LBB386_72
; %bb.70:
	s_clause 0x1
	s_load_b96 s[0:2], s[12:13], 0x4
	s_load_b64 s[4:5], s[12:13], 0xc4
	s_cmp_lt_u32 s30, 2
	s_wait_kmcnt 0x0
	v_mul_hi_u32 v8, s1, v1
	s_delay_alu instid0(VALU_DEP_1) | instskip(NEXT) | instid1(VALU_DEP_1)
	v_add_nc_u32_e32 v8, v1, v8
	v_lshrrev_b32_e32 v10, s2, v8
	s_delay_alu instid0(VALU_DEP_1) | instskip(NEXT) | instid1(VALU_DEP_1)
	v_mul_lo_u32 v8, v10, s0
	v_sub_nc_u32_e32 v1, v1, v8
	s_delay_alu instid0(VALU_DEP_1)
	v_mul_lo_u32 v9, v1, s5
	v_mul_lo_u32 v8, v1, s4
	s_cbranch_scc1 .LBB386_72
; %bb.71:
	s_clause 0x1
	s_load_b96 s[0:2], s[12:13], 0x10
	s_load_b64 s[4:5], s[12:13], 0xcc
	s_wait_kmcnt 0x0
	v_mul_hi_u32 v1, s1, v10
	s_delay_alu instid0(VALU_DEP_1) | instskip(NEXT) | instid1(VALU_DEP_1)
	v_add_nc_u32_e32 v1, v10, v1
	v_lshrrev_b32_e32 v1, s2, v1
	s_delay_alu instid0(VALU_DEP_1) | instskip(NEXT) | instid1(VALU_DEP_1)
	v_mul_lo_u32 v1, v1, s0
	v_sub_nc_u32_e32 v1, v10, v1
	s_delay_alu instid0(VALU_DEP_1)
	v_mad_u32 v8, v1, s4, v8
	v_mad_u32 v9, v1, s5, v9
.LBB386_72:
	v_cmp_ne_u32_e32 vcc_lo, 1, v14
	v_add_nc_u32_e32 v1, 0x200, v0
	s_cbranch_vccnz .LBB386_78
; %bb.73:
	s_cmp_lg_u32 s30, 0
	s_mov_b32 s6, 0
	s_cbranch_scc0 .LBB386_79
; %bb.74:
	s_min_u32 s1, s31, 15
	s_delay_alu instid0(SALU_CYCLE_1)
	s_add_co_i32 s1, s1, 1
	s_cmp_eq_u32 s31, 2
	s_cbranch_scc1 .LBB386_80
; %bb.75:
	v_dual_mov_b32 v10, 0 :: v_dual_mov_b32 v11, 0
	v_mov_b32_e32 v12, v1
	s_and_b32 s0, s1, 28
	s_add_nc_u64 s[2:3], s[12:13], 0xc4
	s_mov_b32 s7, 0
	s_mov_b64 s[4:5], s[12:13]
.LBB386_76:                             ; =>This Inner Loop Header: Depth=1
	s_clause 0x1
	s_load_b256 s[16:23], s[4:5], 0x4
	s_load_b128 s[8:11], s[4:5], 0x24
	s_load_b256 s[36:43], s[2:3], 0x0
	s_add_co_i32 s7, s7, 4
	s_wait_xcnt 0x0
	s_add_nc_u64 s[4:5], s[4:5], 48
	s_cmp_lg_u32 s0, s7
	s_add_nc_u64 s[2:3], s[2:3], 32
	s_wait_kmcnt 0x0
	v_mul_hi_u32 v13, s17, v12
	s_delay_alu instid0(VALU_DEP_1) | instskip(NEXT) | instid1(VALU_DEP_1)
	v_add_nc_u32_e32 v13, v12, v13
	v_lshrrev_b32_e32 v13, s18, v13
	s_delay_alu instid0(VALU_DEP_1) | instskip(NEXT) | instid1(VALU_DEP_1)
	v_mul_lo_u32 v18, v13, s16
	v_sub_nc_u32_e32 v12, v12, v18
	v_mul_hi_u32 v15, s20, v13
	s_delay_alu instid0(VALU_DEP_2) | instskip(SKIP_1) | instid1(VALU_DEP_3)
	v_mad_u32 v11, v12, s37, v11
	v_mad_u32 v10, v12, s36, v10
	v_add_nc_u32_e32 v15, v13, v15
	s_delay_alu instid0(VALU_DEP_1) | instskip(NEXT) | instid1(VALU_DEP_1)
	v_lshrrev_b32_e32 v15, s21, v15
	v_mul_hi_u32 v17, s23, v15
	v_mul_lo_u32 v18, v15, s19
	s_delay_alu instid0(VALU_DEP_1) | instskip(NEXT) | instid1(VALU_DEP_1)
	v_dual_add_nc_u32 v17, v15, v17 :: v_dual_sub_nc_u32 v12, v13, v18
	v_lshrrev_b32_e32 v17, s8, v17
	s_delay_alu instid0(VALU_DEP_2) | instskip(SKIP_1) | instid1(VALU_DEP_3)
	v_mad_u32 v11, v12, s39, v11
	v_mad_u32 v10, v12, s38, v10
	v_mul_hi_u32 v19, s10, v17
	v_mul_lo_u32 v13, v17, s22
	s_delay_alu instid0(VALU_DEP_1) | instskip(NEXT) | instid1(VALU_DEP_1)
	v_dual_add_nc_u32 v18, v17, v19 :: v_dual_sub_nc_u32 v13, v15, v13
	v_lshrrev_b32_e32 v12, s11, v18
	s_delay_alu instid0(VALU_DEP_2) | instskip(SKIP_1) | instid1(VALU_DEP_3)
	v_mad_u32 v11, v13, s41, v11
	v_mad_u32 v10, v13, s40, v10
	v_mul_lo_u32 v15, v12, s9
	s_delay_alu instid0(VALU_DEP_1) | instskip(NEXT) | instid1(VALU_DEP_1)
	v_sub_nc_u32_e32 v13, v17, v15
	v_mad_u32 v11, v13, s43, v11
	s_delay_alu instid0(VALU_DEP_4)
	v_mad_u32 v10, v13, s42, v10
	s_cbranch_scc1 .LBB386_76
; %bb.77:
	s_and_b32 s4, s1, 3
	s_mov_b32 s1, 0
	s_cmp_eq_u32 s4, 0
	s_cbranch_scc0 .LBB386_81
	s_branch .LBB386_83
.LBB386_78:
	s_mov_b32 s6, -1
                                        ; implicit-def: $vgpr11
	s_branch .LBB386_83
.LBB386_79:
	v_dual_mov_b32 v11, 0 :: v_dual_mov_b32 v10, 0
	s_branch .LBB386_83
.LBB386_80:
	v_mov_b64_e32 v[10:11], 0
	v_mov_b32_e32 v12, v1
	s_mov_b32 s0, 0
	s_and_b32 s4, s1, 3
	s_mov_b32 s1, 0
	s_cmp_eq_u32 s4, 0
	s_cbranch_scc1 .LBB386_83
.LBB386_81:
	s_lshl_b32 s2, s0, 3
	s_mov_b32 s3, s1
	s_mul_u64 s[8:9], s[0:1], 12
	s_add_nc_u64 s[2:3], s[12:13], s[2:3]
	s_delay_alu instid0(SALU_CYCLE_1)
	s_add_nc_u64 s[0:1], s[2:3], 0xc4
	s_add_nc_u64 s[2:3], s[12:13], s[8:9]
.LBB386_82:                             ; =>This Inner Loop Header: Depth=1
	s_load_b96 s[8:10], s[2:3], 0x4
	s_add_co_i32 s4, s4, -1
	s_wait_xcnt 0x0
	s_add_nc_u64 s[2:3], s[2:3], 12
	s_cmp_lg_u32 s4, 0
	s_wait_kmcnt 0x0
	v_mul_hi_u32 v13, s9, v12
	s_delay_alu instid0(VALU_DEP_1) | instskip(NEXT) | instid1(VALU_DEP_1)
	v_add_nc_u32_e32 v13, v12, v13
	v_lshrrev_b32_e32 v13, s10, v13
	s_load_b64 s[10:11], s[0:1], 0x0
	s_wait_xcnt 0x0
	s_add_nc_u64 s[0:1], s[0:1], 8
	s_delay_alu instid0(VALU_DEP_1) | instskip(NEXT) | instid1(VALU_DEP_1)
	v_mul_lo_u32 v15, v13, s8
	v_sub_nc_u32_e32 v12, v12, v15
	s_wait_kmcnt 0x0
	s_delay_alu instid0(VALU_DEP_1)
	v_mad_u32 v11, v12, s11, v11
	v_mad_u32 v10, v12, s10, v10
	v_mov_b32_e32 v12, v13
	s_cbranch_scc1 .LBB386_82
.LBB386_83:
	s_and_not1_b32 vcc_lo, exec_lo, s6
	s_cbranch_vccnz .LBB386_86
; %bb.84:
	s_clause 0x1
	s_load_b96 s[0:2], s[12:13], 0x4
	s_load_b64 s[4:5], s[12:13], 0xc4
	s_cmp_lt_u32 s30, 2
	s_wait_kmcnt 0x0
	v_mul_hi_u32 v10, s1, v1
	s_delay_alu instid0(VALU_DEP_1) | instskip(NEXT) | instid1(VALU_DEP_1)
	v_add_nc_u32_e32 v10, v1, v10
	v_lshrrev_b32_e32 v12, s2, v10
	s_delay_alu instid0(VALU_DEP_1) | instskip(NEXT) | instid1(VALU_DEP_1)
	v_mul_lo_u32 v10, v12, s0
	v_sub_nc_u32_e32 v1, v1, v10
	s_delay_alu instid0(VALU_DEP_1)
	v_mul_lo_u32 v11, v1, s5
	v_mul_lo_u32 v10, v1, s4
	s_cbranch_scc1 .LBB386_86
; %bb.85:
	s_clause 0x1
	s_load_b96 s[0:2], s[12:13], 0x10
	s_load_b64 s[4:5], s[12:13], 0xcc
	s_wait_kmcnt 0x0
	v_mul_hi_u32 v1, s1, v12
	s_delay_alu instid0(VALU_DEP_1) | instskip(NEXT) | instid1(VALU_DEP_1)
	v_add_nc_u32_e32 v1, v12, v1
	v_lshrrev_b32_e32 v1, s2, v1
	s_delay_alu instid0(VALU_DEP_1) | instskip(NEXT) | instid1(VALU_DEP_1)
	v_mul_lo_u32 v1, v1, s0
	v_sub_nc_u32_e32 v1, v12, v1
	s_delay_alu instid0(VALU_DEP_1)
	v_mad_u32 v10, v1, s4, v10
	v_mad_u32 v11, v1, s5, v11
.LBB386_86:
	v_cmp_ne_u32_e32 vcc_lo, 1, v14
	v_add_nc_u32_e32 v1, 0x280, v0
	s_cbranch_vccnz .LBB386_92
; %bb.87:
	s_cmp_lg_u32 s30, 0
	s_mov_b32 s6, 0
	s_cbranch_scc0 .LBB386_93
; %bb.88:
	s_min_u32 s1, s31, 15
	s_delay_alu instid0(SALU_CYCLE_1)
	s_add_co_i32 s1, s1, 1
	s_cmp_eq_u32 s31, 2
	s_cbranch_scc1 .LBB386_94
; %bb.89:
	v_dual_mov_b32 v12, 0 :: v_dual_mov_b32 v13, 0
	v_mov_b32_e32 v15, v1
	s_and_b32 s0, s1, 28
	s_add_nc_u64 s[2:3], s[12:13], 0xc4
	s_mov_b32 s7, 0
	s_mov_b64 s[4:5], s[12:13]
.LBB386_90:                             ; =>This Inner Loop Header: Depth=1
	s_clause 0x1
	s_load_b256 s[16:23], s[4:5], 0x4
	s_load_b128 s[8:11], s[4:5], 0x24
	s_load_b256 s[36:43], s[2:3], 0x0
	s_add_co_i32 s7, s7, 4
	s_wait_xcnt 0x0
	s_add_nc_u64 s[4:5], s[4:5], 48
	s_cmp_lg_u32 s0, s7
	s_add_nc_u64 s[2:3], s[2:3], 32
	s_wait_kmcnt 0x0
	v_mul_hi_u32 v17, s17, v15
	s_delay_alu instid0(VALU_DEP_1) | instskip(NEXT) | instid1(VALU_DEP_1)
	v_add_nc_u32_e32 v17, v15, v17
	v_lshrrev_b32_e32 v17, s18, v17
	s_delay_alu instid0(VALU_DEP_1) | instskip(NEXT) | instid1(VALU_DEP_1)
	v_mul_hi_u32 v18, s20, v17
	v_add_nc_u32_e32 v18, v17, v18
	s_delay_alu instid0(VALU_DEP_1) | instskip(NEXT) | instid1(VALU_DEP_1)
	v_lshrrev_b32_e32 v18, s21, v18
	v_mul_hi_u32 v19, s23, v18
	s_delay_alu instid0(VALU_DEP_1) | instskip(SKIP_1) | instid1(VALU_DEP_1)
	v_add_nc_u32_e32 v19, v18, v19
	v_mul_lo_u32 v20, v17, s16
	v_sub_nc_u32_e32 v15, v15, v20
	v_mul_lo_u32 v20, v18, s19
	s_delay_alu instid0(VALU_DEP_4) | instskip(NEXT) | instid1(VALU_DEP_3)
	v_lshrrev_b32_e32 v19, s8, v19
	v_mad_u32 v13, v15, s37, v13
	v_mad_u32 v12, v15, s36, v12
	s_delay_alu instid0(VALU_DEP_4) | instskip(NEXT) | instid1(VALU_DEP_4)
	v_sub_nc_u32_e32 v15, v17, v20
	v_mul_hi_u32 v21, s10, v19
	v_mul_lo_u32 v17, v19, s22
	s_delay_alu instid0(VALU_DEP_3) | instskip(SKIP_1) | instid1(VALU_DEP_4)
	v_mad_u32 v13, v15, s39, v13
	v_mad_u32 v12, v15, s38, v12
	v_add_nc_u32_e32 v20, v19, v21
	s_delay_alu instid0(VALU_DEP_1) | instskip(NEXT) | instid1(VALU_DEP_1)
	v_dual_sub_nc_u32 v17, v18, v17 :: v_dual_lshrrev_b32 v15, s11, v20
	v_mad_u32 v13, v17, s41, v13
	s_delay_alu instid0(VALU_DEP_4) | instskip(NEXT) | instid1(VALU_DEP_3)
	v_mad_u32 v12, v17, s40, v12
	v_mul_lo_u32 v18, v15, s9
	s_delay_alu instid0(VALU_DEP_1) | instskip(NEXT) | instid1(VALU_DEP_1)
	v_sub_nc_u32_e32 v17, v19, v18
	v_mad_u32 v13, v17, s43, v13
	s_delay_alu instid0(VALU_DEP_4)
	v_mad_u32 v12, v17, s42, v12
	s_cbranch_scc1 .LBB386_90
; %bb.91:
	s_and_b32 s4, s1, 3
	s_mov_b32 s1, 0
	s_cmp_eq_u32 s4, 0
	s_cbranch_scc0 .LBB386_95
	s_branch .LBB386_97
.LBB386_92:
	s_mov_b32 s6, -1
                                        ; implicit-def: $vgpr13
	s_branch .LBB386_97
.LBB386_93:
	v_dual_mov_b32 v13, 0 :: v_dual_mov_b32 v12, 0
	s_branch .LBB386_97
.LBB386_94:
	v_mov_b64_e32 v[12:13], 0
	v_mov_b32_e32 v15, v1
	s_mov_b32 s0, 0
	s_and_b32 s4, s1, 3
	s_mov_b32 s1, 0
	s_cmp_eq_u32 s4, 0
	s_cbranch_scc1 .LBB386_97
.LBB386_95:
	s_lshl_b32 s2, s0, 3
	s_mov_b32 s3, s1
	s_mul_u64 s[8:9], s[0:1], 12
	s_add_nc_u64 s[2:3], s[12:13], s[2:3]
	s_delay_alu instid0(SALU_CYCLE_1)
	s_add_nc_u64 s[0:1], s[2:3], 0xc4
	s_add_nc_u64 s[2:3], s[12:13], s[8:9]
.LBB386_96:                             ; =>This Inner Loop Header: Depth=1
	s_load_b96 s[8:10], s[2:3], 0x4
	s_add_co_i32 s4, s4, -1
	s_wait_xcnt 0x0
	s_add_nc_u64 s[2:3], s[2:3], 12
	s_cmp_lg_u32 s4, 0
	s_wait_kmcnt 0x0
	v_mul_hi_u32 v17, s9, v15
	s_delay_alu instid0(VALU_DEP_1) | instskip(NEXT) | instid1(VALU_DEP_1)
	v_add_nc_u32_e32 v17, v15, v17
	v_lshrrev_b32_e32 v17, s10, v17
	s_load_b64 s[10:11], s[0:1], 0x0
	s_wait_xcnt 0x0
	s_add_nc_u64 s[0:1], s[0:1], 8
	s_delay_alu instid0(VALU_DEP_1) | instskip(NEXT) | instid1(VALU_DEP_1)
	v_mul_lo_u32 v18, v17, s8
	v_sub_nc_u32_e32 v15, v15, v18
	s_wait_kmcnt 0x0
	s_delay_alu instid0(VALU_DEP_1)
	v_mad_u32 v13, v15, s11, v13
	v_mad_u32 v12, v15, s10, v12
	v_mov_b32_e32 v15, v17
	s_cbranch_scc1 .LBB386_96
.LBB386_97:
	s_and_not1_b32 vcc_lo, exec_lo, s6
	s_cbranch_vccnz .LBB386_100
; %bb.98:
	s_clause 0x1
	s_load_b96 s[0:2], s[12:13], 0x4
	s_load_b64 s[4:5], s[12:13], 0xc4
	s_cmp_lt_u32 s30, 2
	s_wait_kmcnt 0x0
	v_mul_hi_u32 v12, s1, v1
	s_delay_alu instid0(VALU_DEP_1) | instskip(NEXT) | instid1(VALU_DEP_1)
	v_add_nc_u32_e32 v12, v1, v12
	v_lshrrev_b32_e32 v15, s2, v12
	s_delay_alu instid0(VALU_DEP_1) | instskip(NEXT) | instid1(VALU_DEP_1)
	v_mul_lo_u32 v12, v15, s0
	v_sub_nc_u32_e32 v1, v1, v12
	s_delay_alu instid0(VALU_DEP_1)
	v_mul_lo_u32 v13, v1, s5
	v_mul_lo_u32 v12, v1, s4
	s_cbranch_scc1 .LBB386_100
; %bb.99:
	s_clause 0x1
	s_load_b96 s[0:2], s[12:13], 0x10
	s_load_b64 s[4:5], s[12:13], 0xcc
	s_wait_kmcnt 0x0
	v_mul_hi_u32 v1, s1, v15
	s_delay_alu instid0(VALU_DEP_1) | instskip(NEXT) | instid1(VALU_DEP_1)
	v_add_nc_u32_e32 v1, v15, v1
	v_lshrrev_b32_e32 v1, s2, v1
	s_delay_alu instid0(VALU_DEP_1) | instskip(NEXT) | instid1(VALU_DEP_1)
	v_mul_lo_u32 v1, v1, s0
	v_sub_nc_u32_e32 v1, v15, v1
	s_delay_alu instid0(VALU_DEP_1)
	v_mad_u32 v12, v1, s4, v12
	v_mad_u32 v13, v1, s5, v13
.LBB386_100:
	v_cmp_ne_u32_e32 vcc_lo, 1, v14
	v_add_nc_u32_e32 v15, 0x300, v0
	s_cbranch_vccnz .LBB386_106
; %bb.101:
	s_cmp_lg_u32 s30, 0
	s_mov_b32 s6, 0
	s_cbranch_scc0 .LBB386_107
; %bb.102:
	s_min_u32 s1, s31, 15
	s_delay_alu instid0(SALU_CYCLE_1)
	s_add_co_i32 s1, s1, 1
	s_cmp_eq_u32 s31, 2
	s_cbranch_scc1 .LBB386_108
; %bb.103:
	v_dual_mov_b32 v0, 0 :: v_dual_mov_b32 v1, 0
	v_mov_b32_e32 v17, v15
	s_and_b32 s0, s1, 28
	s_add_nc_u64 s[2:3], s[12:13], 0xc4
	s_mov_b32 s7, 0
	s_mov_b64 s[4:5], s[12:13]
.LBB386_104:                            ; =>This Inner Loop Header: Depth=1
	s_clause 0x1
	s_load_b256 s[16:23], s[4:5], 0x4
	s_load_b128 s[8:11], s[4:5], 0x24
	s_load_b256 s[36:43], s[2:3], 0x0
	s_add_co_i32 s7, s7, 4
	s_wait_xcnt 0x0
	s_add_nc_u64 s[4:5], s[4:5], 48
	s_cmp_lg_u32 s0, s7
	s_add_nc_u64 s[2:3], s[2:3], 32
	s_wait_kmcnt 0x0
	v_mul_hi_u32 v18, s17, v17
	s_delay_alu instid0(VALU_DEP_1) | instskip(NEXT) | instid1(VALU_DEP_1)
	v_add_nc_u32_e32 v18, v17, v18
	v_lshrrev_b32_e32 v18, s18, v18
	s_delay_alu instid0(VALU_DEP_1) | instskip(NEXT) | instid1(VALU_DEP_1)
	v_mul_hi_u32 v19, s20, v18
	v_add_nc_u32_e32 v19, v18, v19
	s_delay_alu instid0(VALU_DEP_1) | instskip(NEXT) | instid1(VALU_DEP_1)
	v_lshrrev_b32_e32 v19, s21, v19
	v_mul_hi_u32 v20, s23, v19
	s_delay_alu instid0(VALU_DEP_1) | instskip(SKIP_1) | instid1(VALU_DEP_1)
	v_add_nc_u32_e32 v20, v19, v20
	v_mul_lo_u32 v21, v18, s16
	v_sub_nc_u32_e32 v17, v17, v21
	v_mul_lo_u32 v21, v19, s19
	s_delay_alu instid0(VALU_DEP_4) | instskip(NEXT) | instid1(VALU_DEP_3)
	v_lshrrev_b32_e32 v20, s8, v20
	v_mad_u32 v1, v17, s37, v1
	v_mad_u32 v0, v17, s36, v0
	s_delay_alu instid0(VALU_DEP_4) | instskip(NEXT) | instid1(VALU_DEP_4)
	v_sub_nc_u32_e32 v17, v18, v21
	v_mul_hi_u32 v22, s10, v20
	v_mul_lo_u32 v18, v20, s22
	s_delay_alu instid0(VALU_DEP_3) | instskip(SKIP_1) | instid1(VALU_DEP_4)
	v_mad_u32 v1, v17, s39, v1
	v_mad_u32 v0, v17, s38, v0
	v_add_nc_u32_e32 v21, v20, v22
	s_delay_alu instid0(VALU_DEP_1) | instskip(NEXT) | instid1(VALU_DEP_1)
	v_dual_sub_nc_u32 v18, v19, v18 :: v_dual_lshrrev_b32 v17, s11, v21
	v_mad_u32 v1, v18, s41, v1
	s_delay_alu instid0(VALU_DEP_4) | instskip(NEXT) | instid1(VALU_DEP_3)
	v_mad_u32 v0, v18, s40, v0
	v_mul_lo_u32 v19, v17, s9
	s_delay_alu instid0(VALU_DEP_1) | instskip(NEXT) | instid1(VALU_DEP_1)
	v_sub_nc_u32_e32 v18, v20, v19
	v_mad_u32 v1, v18, s43, v1
	s_delay_alu instid0(VALU_DEP_4)
	v_mad_u32 v0, v18, s42, v0
	s_cbranch_scc1 .LBB386_104
; %bb.105:
	s_and_b32 s4, s1, 3
	s_mov_b32 s1, 0
	s_cmp_eq_u32 s4, 0
	s_cbranch_scc0 .LBB386_109
	s_branch .LBB386_111
.LBB386_106:
	s_mov_b32 s6, -1
                                        ; implicit-def: $vgpr1
	s_branch .LBB386_111
.LBB386_107:
	v_dual_mov_b32 v1, 0 :: v_dual_mov_b32 v0, 0
	s_branch .LBB386_111
.LBB386_108:
	v_mov_b64_e32 v[0:1], 0
	v_mov_b32_e32 v17, v15
	s_mov_b32 s0, 0
	s_and_b32 s4, s1, 3
	s_mov_b32 s1, 0
	s_cmp_eq_u32 s4, 0
	s_cbranch_scc1 .LBB386_111
.LBB386_109:
	s_lshl_b32 s2, s0, 3
	s_mov_b32 s3, s1
	s_mul_u64 s[8:9], s[0:1], 12
	s_add_nc_u64 s[2:3], s[12:13], s[2:3]
	s_delay_alu instid0(SALU_CYCLE_1)
	s_add_nc_u64 s[0:1], s[2:3], 0xc4
	s_add_nc_u64 s[2:3], s[12:13], s[8:9]
.LBB386_110:                            ; =>This Inner Loop Header: Depth=1
	s_load_b96 s[8:10], s[2:3], 0x4
	s_add_co_i32 s4, s4, -1
	s_wait_xcnt 0x0
	s_add_nc_u64 s[2:3], s[2:3], 12
	s_cmp_lg_u32 s4, 0
	s_wait_kmcnt 0x0
	v_mul_hi_u32 v18, s9, v17
	s_delay_alu instid0(VALU_DEP_1) | instskip(NEXT) | instid1(VALU_DEP_1)
	v_add_nc_u32_e32 v18, v17, v18
	v_lshrrev_b32_e32 v18, s10, v18
	s_load_b64 s[10:11], s[0:1], 0x0
	s_wait_xcnt 0x0
	s_add_nc_u64 s[0:1], s[0:1], 8
	s_delay_alu instid0(VALU_DEP_1) | instskip(NEXT) | instid1(VALU_DEP_1)
	v_mul_lo_u32 v19, v18, s8
	v_sub_nc_u32_e32 v17, v17, v19
	s_wait_kmcnt 0x0
	s_delay_alu instid0(VALU_DEP_1)
	v_mad_u32 v1, v17, s11, v1
	v_mad_u32 v0, v17, s10, v0
	v_mov_b32_e32 v17, v18
	s_cbranch_scc1 .LBB386_110
.LBB386_111:
	s_and_not1_b32 vcc_lo, exec_lo, s6
	s_cbranch_vccnz .LBB386_114
; %bb.112:
	s_clause 0x1
	s_load_b96 s[0:2], s[12:13], 0x4
	s_load_b64 s[4:5], s[12:13], 0xc4
	s_cmp_lt_u32 s30, 2
	s_wait_kmcnt 0x0
	v_mul_hi_u32 v0, s1, v15
	s_delay_alu instid0(VALU_DEP_1) | instskip(NEXT) | instid1(VALU_DEP_1)
	v_add_nc_u32_e32 v0, v15, v0
	v_lshrrev_b32_e32 v17, s2, v0
	s_delay_alu instid0(VALU_DEP_1) | instskip(NEXT) | instid1(VALU_DEP_1)
	v_mul_lo_u32 v0, v17, s0
	v_sub_nc_u32_e32 v0, v15, v0
	s_delay_alu instid0(VALU_DEP_1)
	v_mul_lo_u32 v1, v0, s5
	v_mul_lo_u32 v0, v0, s4
	s_cbranch_scc1 .LBB386_114
; %bb.113:
	s_clause 0x1
	s_load_b96 s[0:2], s[12:13], 0x10
	s_load_b64 s[4:5], s[12:13], 0xcc
	s_wait_kmcnt 0x0
	v_mul_hi_u32 v15, s1, v17
	s_delay_alu instid0(VALU_DEP_1) | instskip(NEXT) | instid1(VALU_DEP_1)
	v_add_nc_u32_e32 v15, v17, v15
	v_lshrrev_b32_e32 v15, s2, v15
	s_delay_alu instid0(VALU_DEP_1) | instskip(NEXT) | instid1(VALU_DEP_1)
	v_mul_lo_u32 v15, v15, s0
	v_sub_nc_u32_e32 v15, v17, v15
	s_delay_alu instid0(VALU_DEP_1)
	v_mad_u32 v0, v15, s4, v0
	v_mad_u32 v1, v15, s5, v1
.LBB386_114:
	v_cmp_ne_u32_e32 vcc_lo, 1, v14
	s_cbranch_vccnz .LBB386_120
; %bb.115:
	s_cmp_lg_u32 s30, 0
	s_mov_b32 s6, 0
	s_cbranch_scc0 .LBB386_121
; %bb.116:
	s_min_u32 s1, s31, 15
	s_delay_alu instid0(SALU_CYCLE_1)
	s_add_co_i32 s1, s1, 1
	s_cmp_eq_u32 s31, 2
	s_cbranch_scc1 .LBB386_122
; %bb.117:
	v_dual_mov_b32 v14, 0 :: v_dual_mov_b32 v15, 0
	v_mov_b32_e32 v17, v16
	s_and_b32 s0, s1, 28
	s_add_nc_u64 s[2:3], s[12:13], 0xc4
	s_mov_b32 s7, 0
	s_mov_b64 s[4:5], s[12:13]
.LBB386_118:                            ; =>This Inner Loop Header: Depth=1
	s_clause 0x1
	s_load_b256 s[16:23], s[4:5], 0x4
	s_load_b128 s[8:11], s[4:5], 0x24
	s_load_b256 s[36:43], s[2:3], 0x0
	s_add_co_i32 s7, s7, 4
	s_wait_xcnt 0x0
	s_add_nc_u64 s[4:5], s[4:5], 48
	s_cmp_lg_u32 s0, s7
	s_add_nc_u64 s[2:3], s[2:3], 32
	s_wait_kmcnt 0x0
	v_mul_hi_u32 v18, s17, v17
	s_delay_alu instid0(VALU_DEP_1) | instskip(NEXT) | instid1(VALU_DEP_1)
	v_add_nc_u32_e32 v18, v17, v18
	v_lshrrev_b32_e32 v18, s18, v18
	s_delay_alu instid0(VALU_DEP_1) | instskip(NEXT) | instid1(VALU_DEP_1)
	v_mul_hi_u32 v19, s20, v18
	v_add_nc_u32_e32 v19, v18, v19
	s_delay_alu instid0(VALU_DEP_1) | instskip(NEXT) | instid1(VALU_DEP_1)
	v_lshrrev_b32_e32 v19, s21, v19
	v_mul_hi_u32 v20, s23, v19
	s_delay_alu instid0(VALU_DEP_1) | instskip(SKIP_1) | instid1(VALU_DEP_1)
	v_add_nc_u32_e32 v20, v19, v20
	v_mul_lo_u32 v21, v18, s16
	v_sub_nc_u32_e32 v17, v17, v21
	v_mul_lo_u32 v21, v19, s19
	s_delay_alu instid0(VALU_DEP_4) | instskip(NEXT) | instid1(VALU_DEP_3)
	v_lshrrev_b32_e32 v20, s8, v20
	v_mad_u32 v15, v17, s37, v15
	v_mad_u32 v14, v17, s36, v14
	s_delay_alu instid0(VALU_DEP_4) | instskip(NEXT) | instid1(VALU_DEP_4)
	v_sub_nc_u32_e32 v17, v18, v21
	v_mul_hi_u32 v22, s10, v20
	v_mul_lo_u32 v18, v20, s22
	s_delay_alu instid0(VALU_DEP_3) | instskip(SKIP_1) | instid1(VALU_DEP_4)
	v_mad_u32 v15, v17, s39, v15
	v_mad_u32 v14, v17, s38, v14
	v_add_nc_u32_e32 v21, v20, v22
	s_delay_alu instid0(VALU_DEP_1) | instskip(NEXT) | instid1(VALU_DEP_1)
	v_dual_sub_nc_u32 v18, v19, v18 :: v_dual_lshrrev_b32 v17, s11, v21
	v_mad_u32 v15, v18, s41, v15
	s_delay_alu instid0(VALU_DEP_4) | instskip(NEXT) | instid1(VALU_DEP_3)
	v_mad_u32 v14, v18, s40, v14
	v_mul_lo_u32 v19, v17, s9
	s_delay_alu instid0(VALU_DEP_1) | instskip(NEXT) | instid1(VALU_DEP_1)
	v_sub_nc_u32_e32 v18, v20, v19
	v_mad_u32 v15, v18, s43, v15
	s_delay_alu instid0(VALU_DEP_4)
	v_mad_u32 v14, v18, s42, v14
	s_cbranch_scc1 .LBB386_118
; %bb.119:
	s_and_b32 s4, s1, 3
	s_mov_b32 s1, 0
	s_cmp_eq_u32 s4, 0
	s_cbranch_scc0 .LBB386_123
	s_branch .LBB386_125
.LBB386_120:
	s_mov_b32 s6, -1
                                        ; implicit-def: $vgpr15
	s_branch .LBB386_125
.LBB386_121:
	v_dual_mov_b32 v15, 0 :: v_dual_mov_b32 v14, 0
	s_branch .LBB386_125
.LBB386_122:
	v_mov_b64_e32 v[14:15], 0
	v_mov_b32_e32 v17, v16
	s_mov_b32 s0, 0
	s_and_b32 s4, s1, 3
	s_mov_b32 s1, 0
	s_cmp_eq_u32 s4, 0
	s_cbranch_scc1 .LBB386_125
.LBB386_123:
	s_lshl_b32 s2, s0, 3
	s_mov_b32 s3, s1
	s_mul_u64 s[8:9], s[0:1], 12
	s_add_nc_u64 s[2:3], s[12:13], s[2:3]
	s_delay_alu instid0(SALU_CYCLE_1)
	s_add_nc_u64 s[0:1], s[2:3], 0xc4
	s_add_nc_u64 s[2:3], s[12:13], s[8:9]
.LBB386_124:                            ; =>This Inner Loop Header: Depth=1
	s_load_b96 s[8:10], s[2:3], 0x4
	s_add_co_i32 s4, s4, -1
	s_wait_xcnt 0x0
	s_add_nc_u64 s[2:3], s[2:3], 12
	s_cmp_lg_u32 s4, 0
	s_wait_kmcnt 0x0
	v_mul_hi_u32 v18, s9, v17
	s_delay_alu instid0(VALU_DEP_1) | instskip(NEXT) | instid1(VALU_DEP_1)
	v_add_nc_u32_e32 v18, v17, v18
	v_lshrrev_b32_e32 v18, s10, v18
	s_load_b64 s[10:11], s[0:1], 0x0
	s_wait_xcnt 0x0
	s_add_nc_u64 s[0:1], s[0:1], 8
	s_delay_alu instid0(VALU_DEP_1) | instskip(NEXT) | instid1(VALU_DEP_1)
	v_mul_lo_u32 v19, v18, s8
	v_sub_nc_u32_e32 v17, v17, v19
	s_wait_kmcnt 0x0
	s_delay_alu instid0(VALU_DEP_1)
	v_mad_u32 v15, v17, s11, v15
	v_mad_u32 v14, v17, s10, v14
	v_mov_b32_e32 v17, v18
	s_cbranch_scc1 .LBB386_124
.LBB386_125:
	s_and_not1_b32 vcc_lo, exec_lo, s6
	s_cbranch_vccnz .LBB386_128
; %bb.126:
	s_clause 0x1
	s_load_b96 s[0:2], s[12:13], 0x4
	s_load_b64 s[4:5], s[12:13], 0xc4
	s_cmp_lt_u32 s30, 2
	s_wait_kmcnt 0x0
	v_mul_hi_u32 v14, s1, v16
	s_delay_alu instid0(VALU_DEP_1) | instskip(NEXT) | instid1(VALU_DEP_1)
	v_add_nc_u32_e32 v14, v16, v14
	v_lshrrev_b32_e32 v17, s2, v14
	s_delay_alu instid0(VALU_DEP_1) | instskip(NEXT) | instid1(VALU_DEP_1)
	v_mul_lo_u32 v14, v17, s0
	v_sub_nc_u32_e32 v14, v16, v14
	s_delay_alu instid0(VALU_DEP_1)
	v_mul_lo_u32 v15, v14, s5
	v_mul_lo_u32 v14, v14, s4
	s_cbranch_scc1 .LBB386_128
; %bb.127:
	s_clause 0x1
	s_load_b96 s[0:2], s[12:13], 0x10
	s_load_b64 s[4:5], s[12:13], 0xcc
	s_wait_kmcnt 0x0
	v_mul_hi_u32 v16, s1, v17
	s_delay_alu instid0(VALU_DEP_1) | instskip(NEXT) | instid1(VALU_DEP_1)
	v_add_nc_u32_e32 v16, v17, v16
	v_lshrrev_b32_e32 v16, s2, v16
	s_delay_alu instid0(VALU_DEP_1) | instskip(NEXT) | instid1(VALU_DEP_1)
	v_mul_lo_u32 v16, v16, s0
	v_sub_nc_u32_e32 v16, v17, v16
	s_delay_alu instid0(VALU_DEP_1)
	v_mad_u32 v14, v16, s4, v14
	v_mad_u32 v15, v16, s5, v15
.LBB386_128:
	s_clause 0x1
	s_load_b128 s[8:11], s[12:13], 0x148
	s_load_b64 s[0:1], s[12:13], 0x158
	s_wait_kmcnt 0x0
	s_clause 0x7
	global_load_u8 v16, v3, s[10:11]
	global_load_u8 v17, v5, s[10:11]
	;; [unrolled: 1-line block ×8, first 2 shown]
	s_and_b32 s6, s1, 0xff
	s_cmp_eq_u32 s0, 0
	s_cselect_b32 s7, -1, 0
	s_wait_loadcnt 0x7
	v_cmp_ne_u16_e32 vcc_lo, s6, v16
	s_wait_loadcnt 0x6
	v_cmp_ne_u16_e64 s0, s6, v17
	s_wait_loadcnt 0x5
	v_cmp_ne_u16_e64 s1, s6, v18
	;; [unrolled: 2-line block ×5, first 2 shown]
	s_xor_b32 s0, s7, s0
	s_wait_loadcnt 0x1
	v_cmp_ne_u16_e64 s5, s6, v22
	s_wait_xcnt 0x7
	v_cndmask_b32_e64 v3, 0, 1, s0
	s_xor_b32 s0, s7, s1
	s_wait_loadcnt 0x0
	v_cmp_ne_u16_e64 s6, s6, v23
	s_wait_xcnt 0x6
	v_cndmask_b32_e64 v5, 0, 1, s0
	s_xor_b32 s0, s7, s2
	s_wait_xcnt 0x0
	s_xor_b32 s10, s7, vcc_lo
	v_cndmask_b32_e64 v7, 0, 1, s0
	s_xor_b32 s0, s7, s3
	v_cndmask_b32_e64 v1, 0, 1, s10
	v_cndmask_b32_e64 v9, 0, 1, s0
	s_xor_b32 s0, s7, s4
	s_delay_alu instid0(SALU_CYCLE_1) | instskip(SKIP_1) | instid1(SALU_CYCLE_1)
	v_cndmask_b32_e64 v11, 0, 1, s0
	s_xor_b32 s0, s7, s5
	v_cndmask_b32_e64 v13, 0, 1, s0
	s_xor_b32 s0, s7, s6
	s_delay_alu instid0(SALU_CYCLE_1)
	v_cndmask_b32_e64 v15, 0, 1, s0
	s_clause 0x7
	global_store_b8 v2, v1, s[8:9]
	global_store_b8 v4, v3, s[8:9]
	;; [unrolled: 1-line block ×8, first 2 shown]
	s_endpgm
.LBB386_129:
	v_dual_mov_b32 v3, 0 :: v_dual_mov_b32 v2, 0
	s_branch .LBB386_135
.LBB386_130:
	v_dual_mov_b32 v3, 0 :: v_dual_mov_b32 v2, 0
	s_branch .LBB386_151
.LBB386_131:
	v_mov_b64_e32 v[2:3], 0
	v_mov_b32_e32 v1, v0
	s_mov_b32 s24, 0
.LBB386_132:
	s_and_b32 s16, s16, 3
	s_mov_b32 s25, 0
	s_cmp_eq_u32 s16, 0
	s_cbranch_scc1 .LBB386_135
; %bb.133:
	s_lshl_b32 s26, s24, 3
	s_mov_b32 s27, s25
	s_mul_u64 s[28:29], s[24:25], 12
	s_add_nc_u64 s[26:27], s[12:13], s[26:27]
	s_delay_alu instid0(SALU_CYCLE_1)
	s_add_nc_u64 s[24:25], s[26:27], 0xc4
	s_add_nc_u64 s[26:27], s[12:13], s[28:29]
.LBB386_134:                            ; =>This Inner Loop Header: Depth=1
	s_load_b96 s[40:42], s[26:27], 0x4
	s_load_b64 s[28:29], s[24:25], 0x0
	s_add_co_i32 s16, s16, -1
	s_wait_xcnt 0x0
	s_add_nc_u64 s[26:27], s[26:27], 12
	s_cmp_lg_u32 s16, 0
	s_add_nc_u64 s[24:25], s[24:25], 8
	s_wait_kmcnt 0x0
	v_mul_hi_u32 v4, s41, v1
	s_delay_alu instid0(VALU_DEP_1) | instskip(NEXT) | instid1(VALU_DEP_1)
	v_add_nc_u32_e32 v4, v1, v4
	v_lshrrev_b32_e32 v4, s42, v4
	s_delay_alu instid0(VALU_DEP_1) | instskip(NEXT) | instid1(VALU_DEP_1)
	v_mul_lo_u32 v5, v4, s40
	v_sub_nc_u32_e32 v1, v1, v5
	s_delay_alu instid0(VALU_DEP_1)
	v_mad_u32 v3, v1, s29, v3
	v_mad_u32 v2, v1, s28, v2
	v_mov_b32_e32 v1, v4
	s_cbranch_scc1 .LBB386_134
.LBB386_135:
	s_cbranch_execnz .LBB386_138
.LBB386_136:
	v_mov_b32_e32 v1, 0
	s_and_not1_b32 vcc_lo, exec_lo, s35
	s_delay_alu instid0(VALU_DEP_1) | instskip(NEXT) | instid1(VALU_DEP_1)
	v_mul_u64_e32 v[2:3], s[18:19], v[0:1]
	v_add_nc_u32_e32 v2, v0, v3
	s_delay_alu instid0(VALU_DEP_1) | instskip(NEXT) | instid1(VALU_DEP_1)
	v_lshrrev_b32_e32 v4, s6, v2
	v_mul_lo_u32 v2, v4, s4
	s_delay_alu instid0(VALU_DEP_1) | instskip(NEXT) | instid1(VALU_DEP_1)
	v_sub_nc_u32_e32 v2, v0, v2
	v_mul_lo_u32 v3, v2, s9
	v_mul_lo_u32 v2, v2, s8
	s_cbranch_vccnz .LBB386_138
; %bb.137:
	v_mov_b32_e32 v5, v1
	s_delay_alu instid0(VALU_DEP_1) | instskip(NEXT) | instid1(VALU_DEP_1)
	v_mul_u64_e32 v[6:7], s[20:21], v[4:5]
	v_add_nc_u32_e32 v1, v4, v7
	s_delay_alu instid0(VALU_DEP_1) | instskip(NEXT) | instid1(VALU_DEP_1)
	v_lshrrev_b32_e32 v1, s17, v1
	v_mul_lo_u32 v1, v1, s7
	s_delay_alu instid0(VALU_DEP_1) | instskip(NEXT) | instid1(VALU_DEP_1)
	v_sub_nc_u32_e32 v1, v4, v1
	v_mad_u32 v2, v1, s10, v2
	v_mad_u32 v3, v1, s11, v3
.LBB386_138:
	global_load_u8 v1, v3, s[2:3]
	s_and_b32 s16, s15, 0xff
	v_add_nc_u32_e32 v0, 0x80, v0
	s_wait_loadcnt 0x0
	v_cmp_ne_u16_e32 vcc_lo, s16, v1
	s_xor_b32 s16, s5, vcc_lo
	s_delay_alu instid0(SALU_CYCLE_1) | instskip(SKIP_3) | instid1(SALU_CYCLE_1)
	v_cndmask_b32_e64 v1, 0, 1, s16
	global_store_b8 v2, v1, s[0:1]
	s_wait_xcnt 0x0
	s_or_b32 exec_lo, exec_lo, s14
	s_mov_b32 s14, exec_lo
	v_cmpx_gt_i32_e64 s36, v0
	s_cbranch_execnz .LBB386_15
.LBB386_139:
	s_or_b32 exec_lo, exec_lo, s14
	s_delay_alu instid0(SALU_CYCLE_1)
	s_mov_b32 s14, exec_lo
	v_cmpx_gt_i32_e64 s36, v0
	s_cbranch_execz .LBB386_155
.LBB386_140:
	s_and_not1_b32 vcc_lo, exec_lo, s33
	s_cbranch_vccnz .LBB386_145
; %bb.141:
	s_and_not1_b32 vcc_lo, exec_lo, s38
	s_cbranch_vccnz .LBB386_146
; %bb.142:
	s_add_co_i32 s16, s37, 1
	s_cmp_eq_u32 s31, 2
	s_cbranch_scc1 .LBB386_163
; %bb.143:
	v_dual_mov_b32 v2, 0 :: v_dual_mov_b32 v3, 0
	v_mov_b32_e32 v1, v0
	s_and_b32 s24, s16, 28
	s_mov_b32 s25, 0
	s_mov_b64 s[26:27], s[12:13]
	s_mov_b64 s[28:29], s[22:23]
.LBB386_144:                            ; =>This Inner Loop Header: Depth=1
	s_clause 0x1
	s_load_b256 s[40:47], s[26:27], 0x4
	s_load_b128 s[56:59], s[26:27], 0x24
	s_load_b256 s[48:55], s[28:29], 0x0
	s_add_co_i32 s25, s25, 4
	s_wait_xcnt 0x0
	s_add_nc_u64 s[26:27], s[26:27], 48
	s_cmp_eq_u32 s24, s25
	s_add_nc_u64 s[28:29], s[28:29], 32
	s_wait_kmcnt 0x0
	v_mul_hi_u32 v4, s41, v1
	s_delay_alu instid0(VALU_DEP_1) | instskip(NEXT) | instid1(VALU_DEP_1)
	v_add_nc_u32_e32 v4, v1, v4
	v_lshrrev_b32_e32 v4, s42, v4
	s_delay_alu instid0(VALU_DEP_1) | instskip(NEXT) | instid1(VALU_DEP_1)
	v_mul_hi_u32 v5, s44, v4
	v_add_nc_u32_e32 v5, v4, v5
	s_delay_alu instid0(VALU_DEP_1) | instskip(NEXT) | instid1(VALU_DEP_1)
	v_lshrrev_b32_e32 v5, s45, v5
	v_mul_hi_u32 v6, s47, v5
	s_delay_alu instid0(VALU_DEP_1) | instskip(SKIP_1) | instid1(VALU_DEP_1)
	v_add_nc_u32_e32 v6, v5, v6
	v_mul_lo_u32 v7, v4, s40
	v_sub_nc_u32_e32 v1, v1, v7
	v_mul_lo_u32 v7, v5, s43
	s_delay_alu instid0(VALU_DEP_4) | instskip(NEXT) | instid1(VALU_DEP_3)
	v_lshrrev_b32_e32 v6, s56, v6
	v_mad_u32 v3, v1, s49, v3
	v_mad_u32 v1, v1, s48, v2
	s_delay_alu instid0(VALU_DEP_4) | instskip(NEXT) | instid1(VALU_DEP_4)
	v_sub_nc_u32_e32 v2, v4, v7
	v_mul_hi_u32 v8, s58, v6
	v_mul_lo_u32 v4, v6, s46
	s_delay_alu instid0(VALU_DEP_3) | instskip(SKIP_1) | instid1(VALU_DEP_4)
	v_mad_u32 v3, v2, s51, v3
	v_mad_u32 v2, v2, s50, v1
	v_add_nc_u32_e32 v7, v6, v8
	s_delay_alu instid0(VALU_DEP_1) | instskip(NEXT) | instid1(VALU_DEP_1)
	v_dual_sub_nc_u32 v4, v5, v4 :: v_dual_lshrrev_b32 v1, s59, v7
	v_mad_u32 v3, v4, s53, v3
	s_delay_alu instid0(VALU_DEP_4) | instskip(NEXT) | instid1(VALU_DEP_3)
	v_mad_u32 v2, v4, s52, v2
	v_mul_lo_u32 v5, v1, s57
	s_delay_alu instid0(VALU_DEP_1) | instskip(NEXT) | instid1(VALU_DEP_1)
	v_sub_nc_u32_e32 v4, v6, v5
	v_mad_u32 v3, v4, s55, v3
	s_delay_alu instid0(VALU_DEP_4)
	v_mad_u32 v2, v4, s54, v2
	s_cbranch_scc0 .LBB386_144
	s_branch .LBB386_164
.LBB386_145:
                                        ; implicit-def: $vgpr3
	s_branch .LBB386_168
.LBB386_146:
	v_dual_mov_b32 v3, 0 :: v_dual_mov_b32 v2, 0
	s_branch .LBB386_167
.LBB386_147:
	v_mov_b64_e32 v[2:3], 0
	v_mov_b32_e32 v1, v0
	s_mov_b32 s24, 0
.LBB386_148:
	s_and_b32 s16, s16, 3
	s_mov_b32 s25, 0
	s_cmp_eq_u32 s16, 0
	s_cbranch_scc1 .LBB386_151
; %bb.149:
	s_lshl_b32 s26, s24, 3
	s_mov_b32 s27, s25
	s_mul_u64 s[28:29], s[24:25], 12
	s_add_nc_u64 s[26:27], s[12:13], s[26:27]
	s_delay_alu instid0(SALU_CYCLE_1)
	s_add_nc_u64 s[24:25], s[26:27], 0xc4
	s_add_nc_u64 s[26:27], s[12:13], s[28:29]
.LBB386_150:                            ; =>This Inner Loop Header: Depth=1
	s_load_b96 s[40:42], s[26:27], 0x4
	s_load_b64 s[28:29], s[24:25], 0x0
	s_add_co_i32 s16, s16, -1
	s_wait_xcnt 0x0
	s_add_nc_u64 s[26:27], s[26:27], 12
	s_cmp_lg_u32 s16, 0
	s_add_nc_u64 s[24:25], s[24:25], 8
	s_wait_kmcnt 0x0
	v_mul_hi_u32 v4, s41, v1
	s_delay_alu instid0(VALU_DEP_1) | instskip(NEXT) | instid1(VALU_DEP_1)
	v_add_nc_u32_e32 v4, v1, v4
	v_lshrrev_b32_e32 v4, s42, v4
	s_delay_alu instid0(VALU_DEP_1) | instskip(NEXT) | instid1(VALU_DEP_1)
	v_mul_lo_u32 v5, v4, s40
	v_sub_nc_u32_e32 v1, v1, v5
	s_delay_alu instid0(VALU_DEP_1)
	v_mad_u32 v3, v1, s29, v3
	v_mad_u32 v2, v1, s28, v2
	v_mov_b32_e32 v1, v4
	s_cbranch_scc1 .LBB386_150
.LBB386_151:
	s_cbranch_execnz .LBB386_154
.LBB386_152:
	v_mov_b32_e32 v1, 0
	s_and_not1_b32 vcc_lo, exec_lo, s35
	s_delay_alu instid0(VALU_DEP_1) | instskip(NEXT) | instid1(VALU_DEP_1)
	v_mul_u64_e32 v[2:3], s[18:19], v[0:1]
	v_add_nc_u32_e32 v2, v0, v3
	s_delay_alu instid0(VALU_DEP_1) | instskip(NEXT) | instid1(VALU_DEP_1)
	v_lshrrev_b32_e32 v4, s6, v2
	v_mul_lo_u32 v2, v4, s4
	s_delay_alu instid0(VALU_DEP_1) | instskip(NEXT) | instid1(VALU_DEP_1)
	v_sub_nc_u32_e32 v2, v0, v2
	v_mul_lo_u32 v3, v2, s9
	v_mul_lo_u32 v2, v2, s8
	s_cbranch_vccnz .LBB386_154
; %bb.153:
	v_mov_b32_e32 v5, v1
	s_delay_alu instid0(VALU_DEP_1) | instskip(NEXT) | instid1(VALU_DEP_1)
	v_mul_u64_e32 v[6:7], s[20:21], v[4:5]
	v_add_nc_u32_e32 v1, v4, v7
	s_delay_alu instid0(VALU_DEP_1) | instskip(NEXT) | instid1(VALU_DEP_1)
	v_lshrrev_b32_e32 v1, s17, v1
	v_mul_lo_u32 v1, v1, s7
	s_delay_alu instid0(VALU_DEP_1) | instskip(NEXT) | instid1(VALU_DEP_1)
	v_sub_nc_u32_e32 v1, v4, v1
	v_mad_u32 v2, v1, s10, v2
	v_mad_u32 v3, v1, s11, v3
.LBB386_154:
	global_load_u8 v1, v3, s[2:3]
	s_and_b32 s16, s15, 0xff
	v_add_nc_u32_e32 v0, 0x80, v0
	s_wait_loadcnt 0x0
	v_cmp_ne_u16_e32 vcc_lo, s16, v1
	s_xor_b32 s16, s5, vcc_lo
	s_delay_alu instid0(SALU_CYCLE_1) | instskip(SKIP_3) | instid1(SALU_CYCLE_1)
	v_cndmask_b32_e64 v1, 0, 1, s16
	global_store_b8 v2, v1, s[0:1]
	s_wait_xcnt 0x0
	s_or_b32 exec_lo, exec_lo, s14
	s_mov_b32 s14, exec_lo
	v_cmpx_gt_i32_e64 s36, v0
	s_cbranch_execnz .LBB386_140
.LBB386_155:
	s_or_b32 exec_lo, exec_lo, s14
	s_delay_alu instid0(SALU_CYCLE_1)
	s_mov_b32 s14, exec_lo
	v_cmpx_gt_i32_e64 s36, v0
	s_cbranch_execz .LBB386_171
.LBB386_156:
	s_and_not1_b32 vcc_lo, exec_lo, s33
	s_cbranch_vccnz .LBB386_161
; %bb.157:
	s_and_not1_b32 vcc_lo, exec_lo, s38
	s_cbranch_vccnz .LBB386_162
; %bb.158:
	s_add_co_i32 s16, s37, 1
	s_cmp_eq_u32 s31, 2
	s_cbranch_scc1 .LBB386_179
; %bb.159:
	v_dual_mov_b32 v2, 0 :: v_dual_mov_b32 v3, 0
	v_mov_b32_e32 v1, v0
	s_and_b32 s24, s16, 28
	s_mov_b32 s25, 0
	s_mov_b64 s[26:27], s[12:13]
	s_mov_b64 s[28:29], s[22:23]
.LBB386_160:                            ; =>This Inner Loop Header: Depth=1
	s_clause 0x1
	s_load_b256 s[40:47], s[26:27], 0x4
	s_load_b128 s[56:59], s[26:27], 0x24
	s_load_b256 s[48:55], s[28:29], 0x0
	s_add_co_i32 s25, s25, 4
	s_wait_xcnt 0x0
	s_add_nc_u64 s[26:27], s[26:27], 48
	s_cmp_eq_u32 s24, s25
	s_add_nc_u64 s[28:29], s[28:29], 32
	s_wait_kmcnt 0x0
	v_mul_hi_u32 v4, s41, v1
	s_delay_alu instid0(VALU_DEP_1) | instskip(NEXT) | instid1(VALU_DEP_1)
	v_add_nc_u32_e32 v4, v1, v4
	v_lshrrev_b32_e32 v4, s42, v4
	s_delay_alu instid0(VALU_DEP_1) | instskip(NEXT) | instid1(VALU_DEP_1)
	v_mul_hi_u32 v5, s44, v4
	v_add_nc_u32_e32 v5, v4, v5
	s_delay_alu instid0(VALU_DEP_1) | instskip(NEXT) | instid1(VALU_DEP_1)
	v_lshrrev_b32_e32 v5, s45, v5
	v_mul_hi_u32 v6, s47, v5
	s_delay_alu instid0(VALU_DEP_1) | instskip(SKIP_1) | instid1(VALU_DEP_1)
	v_add_nc_u32_e32 v6, v5, v6
	v_mul_lo_u32 v7, v4, s40
	v_sub_nc_u32_e32 v1, v1, v7
	v_mul_lo_u32 v7, v5, s43
	s_delay_alu instid0(VALU_DEP_4) | instskip(NEXT) | instid1(VALU_DEP_3)
	v_lshrrev_b32_e32 v6, s56, v6
	v_mad_u32 v3, v1, s49, v3
	v_mad_u32 v1, v1, s48, v2
	s_delay_alu instid0(VALU_DEP_4) | instskip(NEXT) | instid1(VALU_DEP_4)
	v_sub_nc_u32_e32 v2, v4, v7
	v_mul_hi_u32 v8, s58, v6
	v_mul_lo_u32 v4, v6, s46
	s_delay_alu instid0(VALU_DEP_3) | instskip(SKIP_1) | instid1(VALU_DEP_4)
	v_mad_u32 v3, v2, s51, v3
	v_mad_u32 v2, v2, s50, v1
	v_add_nc_u32_e32 v7, v6, v8
	s_delay_alu instid0(VALU_DEP_1) | instskip(NEXT) | instid1(VALU_DEP_1)
	v_dual_sub_nc_u32 v4, v5, v4 :: v_dual_lshrrev_b32 v1, s59, v7
	v_mad_u32 v3, v4, s53, v3
	s_delay_alu instid0(VALU_DEP_4) | instskip(NEXT) | instid1(VALU_DEP_3)
	v_mad_u32 v2, v4, s52, v2
	v_mul_lo_u32 v5, v1, s57
	s_delay_alu instid0(VALU_DEP_1) | instskip(NEXT) | instid1(VALU_DEP_1)
	v_sub_nc_u32_e32 v4, v6, v5
	v_mad_u32 v3, v4, s55, v3
	s_delay_alu instid0(VALU_DEP_4)
	v_mad_u32 v2, v4, s54, v2
	s_cbranch_scc0 .LBB386_160
	s_branch .LBB386_180
.LBB386_161:
                                        ; implicit-def: $vgpr3
	s_branch .LBB386_184
.LBB386_162:
	v_dual_mov_b32 v3, 0 :: v_dual_mov_b32 v2, 0
	s_branch .LBB386_183
.LBB386_163:
	v_mov_b64_e32 v[2:3], 0
	v_mov_b32_e32 v1, v0
	s_mov_b32 s24, 0
.LBB386_164:
	s_and_b32 s16, s16, 3
	s_mov_b32 s25, 0
	s_cmp_eq_u32 s16, 0
	s_cbranch_scc1 .LBB386_167
; %bb.165:
	s_lshl_b32 s26, s24, 3
	s_mov_b32 s27, s25
	s_mul_u64 s[28:29], s[24:25], 12
	s_add_nc_u64 s[26:27], s[12:13], s[26:27]
	s_delay_alu instid0(SALU_CYCLE_1)
	s_add_nc_u64 s[24:25], s[26:27], 0xc4
	s_add_nc_u64 s[26:27], s[12:13], s[28:29]
.LBB386_166:                            ; =>This Inner Loop Header: Depth=1
	s_load_b96 s[40:42], s[26:27], 0x4
	s_load_b64 s[28:29], s[24:25], 0x0
	s_add_co_i32 s16, s16, -1
	s_wait_xcnt 0x0
	s_add_nc_u64 s[26:27], s[26:27], 12
	s_cmp_lg_u32 s16, 0
	s_add_nc_u64 s[24:25], s[24:25], 8
	s_wait_kmcnt 0x0
	v_mul_hi_u32 v4, s41, v1
	s_delay_alu instid0(VALU_DEP_1) | instskip(NEXT) | instid1(VALU_DEP_1)
	v_add_nc_u32_e32 v4, v1, v4
	v_lshrrev_b32_e32 v4, s42, v4
	s_delay_alu instid0(VALU_DEP_1) | instskip(NEXT) | instid1(VALU_DEP_1)
	v_mul_lo_u32 v5, v4, s40
	v_sub_nc_u32_e32 v1, v1, v5
	s_delay_alu instid0(VALU_DEP_1)
	v_mad_u32 v3, v1, s29, v3
	v_mad_u32 v2, v1, s28, v2
	v_mov_b32_e32 v1, v4
	s_cbranch_scc1 .LBB386_166
.LBB386_167:
	s_cbranch_execnz .LBB386_170
.LBB386_168:
	v_mov_b32_e32 v1, 0
	s_and_not1_b32 vcc_lo, exec_lo, s35
	s_delay_alu instid0(VALU_DEP_1) | instskip(NEXT) | instid1(VALU_DEP_1)
	v_mul_u64_e32 v[2:3], s[18:19], v[0:1]
	v_add_nc_u32_e32 v2, v0, v3
	s_delay_alu instid0(VALU_DEP_1) | instskip(NEXT) | instid1(VALU_DEP_1)
	v_lshrrev_b32_e32 v4, s6, v2
	v_mul_lo_u32 v2, v4, s4
	s_delay_alu instid0(VALU_DEP_1) | instskip(NEXT) | instid1(VALU_DEP_1)
	v_sub_nc_u32_e32 v2, v0, v2
	v_mul_lo_u32 v3, v2, s9
	v_mul_lo_u32 v2, v2, s8
	s_cbranch_vccnz .LBB386_170
; %bb.169:
	v_mov_b32_e32 v5, v1
	s_delay_alu instid0(VALU_DEP_1) | instskip(NEXT) | instid1(VALU_DEP_1)
	v_mul_u64_e32 v[6:7], s[20:21], v[4:5]
	v_add_nc_u32_e32 v1, v4, v7
	s_delay_alu instid0(VALU_DEP_1) | instskip(NEXT) | instid1(VALU_DEP_1)
	v_lshrrev_b32_e32 v1, s17, v1
	v_mul_lo_u32 v1, v1, s7
	s_delay_alu instid0(VALU_DEP_1) | instskip(NEXT) | instid1(VALU_DEP_1)
	v_sub_nc_u32_e32 v1, v4, v1
	v_mad_u32 v2, v1, s10, v2
	v_mad_u32 v3, v1, s11, v3
.LBB386_170:
	global_load_u8 v1, v3, s[2:3]
	s_and_b32 s16, s15, 0xff
	v_add_nc_u32_e32 v0, 0x80, v0
	s_wait_loadcnt 0x0
	v_cmp_ne_u16_e32 vcc_lo, s16, v1
	s_xor_b32 s16, s5, vcc_lo
	s_delay_alu instid0(SALU_CYCLE_1) | instskip(SKIP_3) | instid1(SALU_CYCLE_1)
	v_cndmask_b32_e64 v1, 0, 1, s16
	global_store_b8 v2, v1, s[0:1]
	s_wait_xcnt 0x0
	s_or_b32 exec_lo, exec_lo, s14
	s_mov_b32 s14, exec_lo
	v_cmpx_gt_i32_e64 s36, v0
	s_cbranch_execnz .LBB386_156
.LBB386_171:
	s_or_b32 exec_lo, exec_lo, s14
	s_delay_alu instid0(SALU_CYCLE_1)
	s_mov_b32 s14, exec_lo
	v_cmpx_gt_i32_e64 s36, v0
	s_cbranch_execz .LBB386_187
.LBB386_172:
	s_and_not1_b32 vcc_lo, exec_lo, s33
	s_cbranch_vccnz .LBB386_177
; %bb.173:
	s_and_not1_b32 vcc_lo, exec_lo, s38
	s_cbranch_vccnz .LBB386_178
; %bb.174:
	s_add_co_i32 s16, s37, 1
	s_cmp_eq_u32 s31, 2
	s_cbranch_scc1 .LBB386_195
; %bb.175:
	v_dual_mov_b32 v2, 0 :: v_dual_mov_b32 v3, 0
	v_mov_b32_e32 v1, v0
	s_and_b32 s24, s16, 28
	s_mov_b32 s25, 0
	s_mov_b64 s[26:27], s[12:13]
	s_mov_b64 s[28:29], s[22:23]
.LBB386_176:                            ; =>This Inner Loop Header: Depth=1
	s_clause 0x1
	s_load_b256 s[40:47], s[26:27], 0x4
	s_load_b128 s[56:59], s[26:27], 0x24
	s_load_b256 s[48:55], s[28:29], 0x0
	s_add_co_i32 s25, s25, 4
	s_wait_xcnt 0x0
	s_add_nc_u64 s[26:27], s[26:27], 48
	s_cmp_eq_u32 s24, s25
	s_add_nc_u64 s[28:29], s[28:29], 32
	s_wait_kmcnt 0x0
	v_mul_hi_u32 v4, s41, v1
	s_delay_alu instid0(VALU_DEP_1) | instskip(NEXT) | instid1(VALU_DEP_1)
	v_add_nc_u32_e32 v4, v1, v4
	v_lshrrev_b32_e32 v4, s42, v4
	s_delay_alu instid0(VALU_DEP_1) | instskip(NEXT) | instid1(VALU_DEP_1)
	v_mul_hi_u32 v5, s44, v4
	v_add_nc_u32_e32 v5, v4, v5
	s_delay_alu instid0(VALU_DEP_1) | instskip(NEXT) | instid1(VALU_DEP_1)
	v_lshrrev_b32_e32 v5, s45, v5
	v_mul_hi_u32 v6, s47, v5
	s_delay_alu instid0(VALU_DEP_1) | instskip(SKIP_1) | instid1(VALU_DEP_1)
	v_add_nc_u32_e32 v6, v5, v6
	v_mul_lo_u32 v7, v4, s40
	v_sub_nc_u32_e32 v1, v1, v7
	v_mul_lo_u32 v7, v5, s43
	s_delay_alu instid0(VALU_DEP_4) | instskip(NEXT) | instid1(VALU_DEP_3)
	v_lshrrev_b32_e32 v6, s56, v6
	v_mad_u32 v3, v1, s49, v3
	v_mad_u32 v1, v1, s48, v2
	s_delay_alu instid0(VALU_DEP_4) | instskip(NEXT) | instid1(VALU_DEP_4)
	v_sub_nc_u32_e32 v2, v4, v7
	v_mul_hi_u32 v8, s58, v6
	v_mul_lo_u32 v4, v6, s46
	s_delay_alu instid0(VALU_DEP_3) | instskip(SKIP_1) | instid1(VALU_DEP_4)
	v_mad_u32 v3, v2, s51, v3
	v_mad_u32 v2, v2, s50, v1
	v_add_nc_u32_e32 v7, v6, v8
	s_delay_alu instid0(VALU_DEP_1) | instskip(NEXT) | instid1(VALU_DEP_1)
	v_dual_sub_nc_u32 v4, v5, v4 :: v_dual_lshrrev_b32 v1, s59, v7
	v_mad_u32 v3, v4, s53, v3
	s_delay_alu instid0(VALU_DEP_4) | instskip(NEXT) | instid1(VALU_DEP_3)
	v_mad_u32 v2, v4, s52, v2
	v_mul_lo_u32 v5, v1, s57
	s_delay_alu instid0(VALU_DEP_1) | instskip(NEXT) | instid1(VALU_DEP_1)
	v_sub_nc_u32_e32 v4, v6, v5
	v_mad_u32 v3, v4, s55, v3
	s_delay_alu instid0(VALU_DEP_4)
	v_mad_u32 v2, v4, s54, v2
	s_cbranch_scc0 .LBB386_176
	s_branch .LBB386_196
.LBB386_177:
                                        ; implicit-def: $vgpr3
	s_branch .LBB386_200
.LBB386_178:
	v_dual_mov_b32 v3, 0 :: v_dual_mov_b32 v2, 0
	s_branch .LBB386_199
.LBB386_179:
	v_mov_b64_e32 v[2:3], 0
	v_mov_b32_e32 v1, v0
	s_mov_b32 s24, 0
.LBB386_180:
	s_and_b32 s16, s16, 3
	s_mov_b32 s25, 0
	s_cmp_eq_u32 s16, 0
	s_cbranch_scc1 .LBB386_183
; %bb.181:
	s_lshl_b32 s26, s24, 3
	s_mov_b32 s27, s25
	s_mul_u64 s[28:29], s[24:25], 12
	s_add_nc_u64 s[26:27], s[12:13], s[26:27]
	s_delay_alu instid0(SALU_CYCLE_1)
	s_add_nc_u64 s[24:25], s[26:27], 0xc4
	s_add_nc_u64 s[26:27], s[12:13], s[28:29]
.LBB386_182:                            ; =>This Inner Loop Header: Depth=1
	s_load_b96 s[40:42], s[26:27], 0x4
	s_load_b64 s[28:29], s[24:25], 0x0
	s_add_co_i32 s16, s16, -1
	s_wait_xcnt 0x0
	s_add_nc_u64 s[26:27], s[26:27], 12
	s_cmp_lg_u32 s16, 0
	s_add_nc_u64 s[24:25], s[24:25], 8
	s_wait_kmcnt 0x0
	v_mul_hi_u32 v4, s41, v1
	s_delay_alu instid0(VALU_DEP_1) | instskip(NEXT) | instid1(VALU_DEP_1)
	v_add_nc_u32_e32 v4, v1, v4
	v_lshrrev_b32_e32 v4, s42, v4
	s_delay_alu instid0(VALU_DEP_1) | instskip(NEXT) | instid1(VALU_DEP_1)
	v_mul_lo_u32 v5, v4, s40
	v_sub_nc_u32_e32 v1, v1, v5
	s_delay_alu instid0(VALU_DEP_1)
	v_mad_u32 v3, v1, s29, v3
	v_mad_u32 v2, v1, s28, v2
	v_mov_b32_e32 v1, v4
	s_cbranch_scc1 .LBB386_182
.LBB386_183:
	s_cbranch_execnz .LBB386_186
.LBB386_184:
	v_mov_b32_e32 v1, 0
	s_and_not1_b32 vcc_lo, exec_lo, s35
	s_delay_alu instid0(VALU_DEP_1) | instskip(NEXT) | instid1(VALU_DEP_1)
	v_mul_u64_e32 v[2:3], s[18:19], v[0:1]
	v_add_nc_u32_e32 v2, v0, v3
	s_delay_alu instid0(VALU_DEP_1) | instskip(NEXT) | instid1(VALU_DEP_1)
	v_lshrrev_b32_e32 v4, s6, v2
	v_mul_lo_u32 v2, v4, s4
	s_delay_alu instid0(VALU_DEP_1) | instskip(NEXT) | instid1(VALU_DEP_1)
	v_sub_nc_u32_e32 v2, v0, v2
	v_mul_lo_u32 v3, v2, s9
	v_mul_lo_u32 v2, v2, s8
	s_cbranch_vccnz .LBB386_186
; %bb.185:
	v_mov_b32_e32 v5, v1
	s_delay_alu instid0(VALU_DEP_1) | instskip(NEXT) | instid1(VALU_DEP_1)
	v_mul_u64_e32 v[6:7], s[20:21], v[4:5]
	v_add_nc_u32_e32 v1, v4, v7
	s_delay_alu instid0(VALU_DEP_1) | instskip(NEXT) | instid1(VALU_DEP_1)
	v_lshrrev_b32_e32 v1, s17, v1
	v_mul_lo_u32 v1, v1, s7
	s_delay_alu instid0(VALU_DEP_1) | instskip(NEXT) | instid1(VALU_DEP_1)
	v_sub_nc_u32_e32 v1, v4, v1
	v_mad_u32 v2, v1, s10, v2
	v_mad_u32 v3, v1, s11, v3
.LBB386_186:
	global_load_u8 v1, v3, s[2:3]
	s_and_b32 s16, s15, 0xff
	v_add_nc_u32_e32 v0, 0x80, v0
	s_wait_loadcnt 0x0
	v_cmp_ne_u16_e32 vcc_lo, s16, v1
	s_xor_b32 s16, s5, vcc_lo
	s_delay_alu instid0(SALU_CYCLE_1) | instskip(SKIP_3) | instid1(SALU_CYCLE_1)
	v_cndmask_b32_e64 v1, 0, 1, s16
	global_store_b8 v2, v1, s[0:1]
	s_wait_xcnt 0x0
	s_or_b32 exec_lo, exec_lo, s14
	s_mov_b32 s14, exec_lo
	v_cmpx_gt_i32_e64 s36, v0
	s_cbranch_execnz .LBB386_172
.LBB386_187:
	s_or_b32 exec_lo, exec_lo, s14
	s_delay_alu instid0(SALU_CYCLE_1)
	s_mov_b32 s14, exec_lo
	v_cmpx_gt_i32_e64 s36, v0
	s_cbranch_execz .LBB386_203
.LBB386_188:
	s_and_not1_b32 vcc_lo, exec_lo, s33
	s_cbranch_vccnz .LBB386_193
; %bb.189:
	s_and_not1_b32 vcc_lo, exec_lo, s38
	s_cbranch_vccnz .LBB386_194
; %bb.190:
	s_add_co_i32 s16, s37, 1
	s_cmp_eq_u32 s31, 2
	s_cbranch_scc1 .LBB386_211
; %bb.191:
	v_dual_mov_b32 v2, 0 :: v_dual_mov_b32 v3, 0
	v_mov_b32_e32 v1, v0
	s_and_b32 s24, s16, 28
	s_mov_b32 s25, 0
	s_mov_b64 s[26:27], s[12:13]
	s_mov_b64 s[28:29], s[22:23]
.LBB386_192:                            ; =>This Inner Loop Header: Depth=1
	s_clause 0x1
	s_load_b256 s[40:47], s[26:27], 0x4
	s_load_b128 s[56:59], s[26:27], 0x24
	s_load_b256 s[48:55], s[28:29], 0x0
	s_add_co_i32 s25, s25, 4
	s_wait_xcnt 0x0
	s_add_nc_u64 s[26:27], s[26:27], 48
	s_cmp_eq_u32 s24, s25
	s_add_nc_u64 s[28:29], s[28:29], 32
	s_wait_kmcnt 0x0
	v_mul_hi_u32 v4, s41, v1
	s_delay_alu instid0(VALU_DEP_1) | instskip(NEXT) | instid1(VALU_DEP_1)
	v_add_nc_u32_e32 v4, v1, v4
	v_lshrrev_b32_e32 v4, s42, v4
	s_delay_alu instid0(VALU_DEP_1) | instskip(NEXT) | instid1(VALU_DEP_1)
	v_mul_hi_u32 v5, s44, v4
	v_add_nc_u32_e32 v5, v4, v5
	s_delay_alu instid0(VALU_DEP_1) | instskip(NEXT) | instid1(VALU_DEP_1)
	v_lshrrev_b32_e32 v5, s45, v5
	v_mul_hi_u32 v6, s47, v5
	s_delay_alu instid0(VALU_DEP_1) | instskip(SKIP_1) | instid1(VALU_DEP_1)
	v_add_nc_u32_e32 v6, v5, v6
	v_mul_lo_u32 v7, v4, s40
	v_sub_nc_u32_e32 v1, v1, v7
	v_mul_lo_u32 v7, v5, s43
	s_delay_alu instid0(VALU_DEP_4) | instskip(NEXT) | instid1(VALU_DEP_3)
	v_lshrrev_b32_e32 v6, s56, v6
	v_mad_u32 v3, v1, s49, v3
	v_mad_u32 v1, v1, s48, v2
	s_delay_alu instid0(VALU_DEP_4) | instskip(NEXT) | instid1(VALU_DEP_4)
	v_sub_nc_u32_e32 v2, v4, v7
	v_mul_hi_u32 v8, s58, v6
	v_mul_lo_u32 v4, v6, s46
	s_delay_alu instid0(VALU_DEP_3) | instskip(SKIP_1) | instid1(VALU_DEP_4)
	v_mad_u32 v3, v2, s51, v3
	v_mad_u32 v2, v2, s50, v1
	v_add_nc_u32_e32 v7, v6, v8
	s_delay_alu instid0(VALU_DEP_1) | instskip(NEXT) | instid1(VALU_DEP_1)
	v_dual_sub_nc_u32 v4, v5, v4 :: v_dual_lshrrev_b32 v1, s59, v7
	v_mad_u32 v3, v4, s53, v3
	s_delay_alu instid0(VALU_DEP_4) | instskip(NEXT) | instid1(VALU_DEP_3)
	v_mad_u32 v2, v4, s52, v2
	v_mul_lo_u32 v5, v1, s57
	s_delay_alu instid0(VALU_DEP_1) | instskip(NEXT) | instid1(VALU_DEP_1)
	v_sub_nc_u32_e32 v4, v6, v5
	v_mad_u32 v3, v4, s55, v3
	s_delay_alu instid0(VALU_DEP_4)
	v_mad_u32 v2, v4, s54, v2
	s_cbranch_scc0 .LBB386_192
	s_branch .LBB386_212
.LBB386_193:
                                        ; implicit-def: $vgpr3
	s_branch .LBB386_216
.LBB386_194:
	v_dual_mov_b32 v3, 0 :: v_dual_mov_b32 v2, 0
	s_branch .LBB386_215
.LBB386_195:
	v_mov_b64_e32 v[2:3], 0
	v_mov_b32_e32 v1, v0
	s_mov_b32 s24, 0
.LBB386_196:
	s_and_b32 s16, s16, 3
	s_mov_b32 s25, 0
	s_cmp_eq_u32 s16, 0
	s_cbranch_scc1 .LBB386_199
; %bb.197:
	s_lshl_b32 s26, s24, 3
	s_mov_b32 s27, s25
	s_mul_u64 s[28:29], s[24:25], 12
	s_add_nc_u64 s[26:27], s[12:13], s[26:27]
	s_delay_alu instid0(SALU_CYCLE_1)
	s_add_nc_u64 s[24:25], s[26:27], 0xc4
	s_add_nc_u64 s[26:27], s[12:13], s[28:29]
.LBB386_198:                            ; =>This Inner Loop Header: Depth=1
	s_load_b96 s[40:42], s[26:27], 0x4
	s_load_b64 s[28:29], s[24:25], 0x0
	s_add_co_i32 s16, s16, -1
	s_wait_xcnt 0x0
	s_add_nc_u64 s[26:27], s[26:27], 12
	s_cmp_lg_u32 s16, 0
	s_add_nc_u64 s[24:25], s[24:25], 8
	s_wait_kmcnt 0x0
	v_mul_hi_u32 v4, s41, v1
	s_delay_alu instid0(VALU_DEP_1) | instskip(NEXT) | instid1(VALU_DEP_1)
	v_add_nc_u32_e32 v4, v1, v4
	v_lshrrev_b32_e32 v4, s42, v4
	s_delay_alu instid0(VALU_DEP_1) | instskip(NEXT) | instid1(VALU_DEP_1)
	v_mul_lo_u32 v5, v4, s40
	v_sub_nc_u32_e32 v1, v1, v5
	s_delay_alu instid0(VALU_DEP_1)
	v_mad_u32 v3, v1, s29, v3
	v_mad_u32 v2, v1, s28, v2
	v_mov_b32_e32 v1, v4
	s_cbranch_scc1 .LBB386_198
.LBB386_199:
	s_cbranch_execnz .LBB386_202
.LBB386_200:
	v_mov_b32_e32 v1, 0
	s_and_not1_b32 vcc_lo, exec_lo, s35
	s_delay_alu instid0(VALU_DEP_1) | instskip(NEXT) | instid1(VALU_DEP_1)
	v_mul_u64_e32 v[2:3], s[18:19], v[0:1]
	v_add_nc_u32_e32 v2, v0, v3
	s_delay_alu instid0(VALU_DEP_1) | instskip(NEXT) | instid1(VALU_DEP_1)
	v_lshrrev_b32_e32 v4, s6, v2
	v_mul_lo_u32 v2, v4, s4
	s_delay_alu instid0(VALU_DEP_1) | instskip(NEXT) | instid1(VALU_DEP_1)
	v_sub_nc_u32_e32 v2, v0, v2
	v_mul_lo_u32 v3, v2, s9
	v_mul_lo_u32 v2, v2, s8
	s_cbranch_vccnz .LBB386_202
; %bb.201:
	v_mov_b32_e32 v5, v1
	s_delay_alu instid0(VALU_DEP_1) | instskip(NEXT) | instid1(VALU_DEP_1)
	v_mul_u64_e32 v[6:7], s[20:21], v[4:5]
	v_add_nc_u32_e32 v1, v4, v7
	s_delay_alu instid0(VALU_DEP_1) | instskip(NEXT) | instid1(VALU_DEP_1)
	v_lshrrev_b32_e32 v1, s17, v1
	v_mul_lo_u32 v1, v1, s7
	s_delay_alu instid0(VALU_DEP_1) | instskip(NEXT) | instid1(VALU_DEP_1)
	v_sub_nc_u32_e32 v1, v4, v1
	v_mad_u32 v2, v1, s10, v2
	v_mad_u32 v3, v1, s11, v3
.LBB386_202:
	global_load_u8 v1, v3, s[2:3]
	s_and_b32 s16, s15, 0xff
	v_add_nc_u32_e32 v0, 0x80, v0
	s_wait_loadcnt 0x0
	v_cmp_ne_u16_e32 vcc_lo, s16, v1
	s_xor_b32 s16, s5, vcc_lo
	s_delay_alu instid0(SALU_CYCLE_1) | instskip(SKIP_3) | instid1(SALU_CYCLE_1)
	v_cndmask_b32_e64 v1, 0, 1, s16
	global_store_b8 v2, v1, s[0:1]
	s_wait_xcnt 0x0
	s_or_b32 exec_lo, exec_lo, s14
	s_mov_b32 s14, exec_lo
	v_cmpx_gt_i32_e64 s36, v0
	s_cbranch_execnz .LBB386_188
.LBB386_203:
	s_or_b32 exec_lo, exec_lo, s14
	s_delay_alu instid0(SALU_CYCLE_1)
	s_mov_b32 s14, exec_lo
	v_cmpx_gt_i32_e64 s36, v0
	s_cbranch_execz .LBB386_219
.LBB386_204:
	s_and_not1_b32 vcc_lo, exec_lo, s33
	s_cbranch_vccnz .LBB386_209
; %bb.205:
	s_and_not1_b32 vcc_lo, exec_lo, s38
	s_cbranch_vccnz .LBB386_210
; %bb.206:
	s_add_co_i32 s16, s37, 1
	s_cmp_eq_u32 s31, 2
	s_cbranch_scc1 .LBB386_222
; %bb.207:
	v_dual_mov_b32 v2, 0 :: v_dual_mov_b32 v3, 0
	v_mov_b32_e32 v1, v0
	s_and_b32 s24, s16, 28
	s_mov_b32 s25, 0
	s_mov_b64 s[26:27], s[12:13]
	s_mov_b64 s[28:29], s[22:23]
.LBB386_208:                            ; =>This Inner Loop Header: Depth=1
	s_clause 0x1
	s_load_b256 s[40:47], s[26:27], 0x4
	s_load_b128 s[56:59], s[26:27], 0x24
	s_load_b256 s[48:55], s[28:29], 0x0
	s_add_co_i32 s25, s25, 4
	s_wait_xcnt 0x0
	s_add_nc_u64 s[26:27], s[26:27], 48
	s_cmp_eq_u32 s24, s25
	s_add_nc_u64 s[28:29], s[28:29], 32
	s_wait_kmcnt 0x0
	v_mul_hi_u32 v4, s41, v1
	s_delay_alu instid0(VALU_DEP_1) | instskip(NEXT) | instid1(VALU_DEP_1)
	v_add_nc_u32_e32 v4, v1, v4
	v_lshrrev_b32_e32 v4, s42, v4
	s_delay_alu instid0(VALU_DEP_1) | instskip(NEXT) | instid1(VALU_DEP_1)
	v_mul_hi_u32 v5, s44, v4
	v_add_nc_u32_e32 v5, v4, v5
	s_delay_alu instid0(VALU_DEP_1) | instskip(NEXT) | instid1(VALU_DEP_1)
	v_lshrrev_b32_e32 v5, s45, v5
	v_mul_hi_u32 v6, s47, v5
	s_delay_alu instid0(VALU_DEP_1) | instskip(SKIP_1) | instid1(VALU_DEP_1)
	v_add_nc_u32_e32 v6, v5, v6
	v_mul_lo_u32 v7, v4, s40
	v_sub_nc_u32_e32 v1, v1, v7
	v_mul_lo_u32 v7, v5, s43
	s_delay_alu instid0(VALU_DEP_4) | instskip(NEXT) | instid1(VALU_DEP_3)
	v_lshrrev_b32_e32 v6, s56, v6
	v_mad_u32 v3, v1, s49, v3
	v_mad_u32 v1, v1, s48, v2
	s_delay_alu instid0(VALU_DEP_4) | instskip(NEXT) | instid1(VALU_DEP_4)
	v_sub_nc_u32_e32 v2, v4, v7
	v_mul_hi_u32 v8, s58, v6
	v_mul_lo_u32 v4, v6, s46
	s_delay_alu instid0(VALU_DEP_3) | instskip(SKIP_1) | instid1(VALU_DEP_4)
	v_mad_u32 v3, v2, s51, v3
	v_mad_u32 v2, v2, s50, v1
	v_add_nc_u32_e32 v7, v6, v8
	s_delay_alu instid0(VALU_DEP_1) | instskip(NEXT) | instid1(VALU_DEP_1)
	v_dual_sub_nc_u32 v4, v5, v4 :: v_dual_lshrrev_b32 v1, s59, v7
	v_mad_u32 v3, v4, s53, v3
	s_delay_alu instid0(VALU_DEP_4) | instskip(NEXT) | instid1(VALU_DEP_3)
	v_mad_u32 v2, v4, s52, v2
	v_mul_lo_u32 v5, v1, s57
	s_delay_alu instid0(VALU_DEP_1) | instskip(NEXT) | instid1(VALU_DEP_1)
	v_sub_nc_u32_e32 v4, v6, v5
	v_mad_u32 v3, v4, s55, v3
	s_delay_alu instid0(VALU_DEP_4)
	v_mad_u32 v2, v4, s54, v2
	s_cbranch_scc0 .LBB386_208
	s_branch .LBB386_223
.LBB386_209:
                                        ; implicit-def: $vgpr3
	s_branch .LBB386_227
.LBB386_210:
	v_dual_mov_b32 v3, 0 :: v_dual_mov_b32 v2, 0
	s_branch .LBB386_226
.LBB386_211:
	v_mov_b64_e32 v[2:3], 0
	v_mov_b32_e32 v1, v0
	s_mov_b32 s24, 0
.LBB386_212:
	s_and_b32 s16, s16, 3
	s_mov_b32 s25, 0
	s_cmp_eq_u32 s16, 0
	s_cbranch_scc1 .LBB386_215
; %bb.213:
	s_lshl_b32 s26, s24, 3
	s_mov_b32 s27, s25
	s_mul_u64 s[28:29], s[24:25], 12
	s_add_nc_u64 s[26:27], s[12:13], s[26:27]
	s_delay_alu instid0(SALU_CYCLE_1)
	s_add_nc_u64 s[24:25], s[26:27], 0xc4
	s_add_nc_u64 s[26:27], s[12:13], s[28:29]
.LBB386_214:                            ; =>This Inner Loop Header: Depth=1
	s_load_b96 s[40:42], s[26:27], 0x4
	s_load_b64 s[28:29], s[24:25], 0x0
	s_add_co_i32 s16, s16, -1
	s_wait_xcnt 0x0
	s_add_nc_u64 s[26:27], s[26:27], 12
	s_cmp_lg_u32 s16, 0
	s_add_nc_u64 s[24:25], s[24:25], 8
	s_wait_kmcnt 0x0
	v_mul_hi_u32 v4, s41, v1
	s_delay_alu instid0(VALU_DEP_1) | instskip(NEXT) | instid1(VALU_DEP_1)
	v_add_nc_u32_e32 v4, v1, v4
	v_lshrrev_b32_e32 v4, s42, v4
	s_delay_alu instid0(VALU_DEP_1) | instskip(NEXT) | instid1(VALU_DEP_1)
	v_mul_lo_u32 v5, v4, s40
	v_sub_nc_u32_e32 v1, v1, v5
	s_delay_alu instid0(VALU_DEP_1)
	v_mad_u32 v3, v1, s29, v3
	v_mad_u32 v2, v1, s28, v2
	v_mov_b32_e32 v1, v4
	s_cbranch_scc1 .LBB386_214
.LBB386_215:
	s_cbranch_execnz .LBB386_218
.LBB386_216:
	v_mov_b32_e32 v1, 0
	s_and_not1_b32 vcc_lo, exec_lo, s35
	s_delay_alu instid0(VALU_DEP_1) | instskip(NEXT) | instid1(VALU_DEP_1)
	v_mul_u64_e32 v[2:3], s[18:19], v[0:1]
	v_add_nc_u32_e32 v2, v0, v3
	s_delay_alu instid0(VALU_DEP_1) | instskip(NEXT) | instid1(VALU_DEP_1)
	v_lshrrev_b32_e32 v4, s6, v2
	v_mul_lo_u32 v2, v4, s4
	s_delay_alu instid0(VALU_DEP_1) | instskip(NEXT) | instid1(VALU_DEP_1)
	v_sub_nc_u32_e32 v2, v0, v2
	v_mul_lo_u32 v3, v2, s9
	v_mul_lo_u32 v2, v2, s8
	s_cbranch_vccnz .LBB386_218
; %bb.217:
	v_mov_b32_e32 v5, v1
	s_delay_alu instid0(VALU_DEP_1) | instskip(NEXT) | instid1(VALU_DEP_1)
	v_mul_u64_e32 v[6:7], s[20:21], v[4:5]
	v_add_nc_u32_e32 v1, v4, v7
	s_delay_alu instid0(VALU_DEP_1) | instskip(NEXT) | instid1(VALU_DEP_1)
	v_lshrrev_b32_e32 v1, s17, v1
	v_mul_lo_u32 v1, v1, s7
	s_delay_alu instid0(VALU_DEP_1) | instskip(NEXT) | instid1(VALU_DEP_1)
	v_sub_nc_u32_e32 v1, v4, v1
	v_mad_u32 v2, v1, s10, v2
	v_mad_u32 v3, v1, s11, v3
.LBB386_218:
	global_load_u8 v1, v3, s[2:3]
	s_and_b32 s16, s15, 0xff
	v_add_nc_u32_e32 v0, 0x80, v0
	s_wait_loadcnt 0x0
	v_cmp_ne_u16_e32 vcc_lo, s16, v1
	s_xor_b32 s16, s5, vcc_lo
	s_delay_alu instid0(SALU_CYCLE_1) | instskip(SKIP_3) | instid1(SALU_CYCLE_1)
	v_cndmask_b32_e64 v1, 0, 1, s16
	global_store_b8 v2, v1, s[0:1]
	s_wait_xcnt 0x0
	s_or_b32 exec_lo, exec_lo, s14
	s_mov_b32 s14, exec_lo
	v_cmpx_gt_i32_e64 s36, v0
	s_cbranch_execnz .LBB386_204
.LBB386_219:
	s_or_b32 exec_lo, exec_lo, s14
	s_delay_alu instid0(SALU_CYCLE_1)
	s_mov_b32 s14, exec_lo
	v_cmpx_gt_i32_e64 s36, v0
	s_cbranch_execnz .LBB386_230
.LBB386_220:
	s_or_b32 exec_lo, exec_lo, s14
                                        ; implicit-def: $vgpr16
                                        ; implicit-def: $vgpr0
	s_and_not1_saveexec_b32 s0, s34
	s_cbranch_execnz .LBB386_8
.LBB386_221:
	s_endpgm
.LBB386_222:
	v_mov_b64_e32 v[2:3], 0
	v_mov_b32_e32 v1, v0
	s_mov_b32 s24, 0
.LBB386_223:
	s_and_b32 s16, s16, 3
	s_mov_b32 s25, 0
	s_cmp_eq_u32 s16, 0
	s_cbranch_scc1 .LBB386_226
; %bb.224:
	s_lshl_b32 s26, s24, 3
	s_mov_b32 s27, s25
	s_mul_u64 s[28:29], s[24:25], 12
	s_add_nc_u64 s[26:27], s[12:13], s[26:27]
	s_delay_alu instid0(SALU_CYCLE_1)
	s_add_nc_u64 s[24:25], s[26:27], 0xc4
	s_add_nc_u64 s[26:27], s[12:13], s[28:29]
.LBB386_225:                            ; =>This Inner Loop Header: Depth=1
	s_load_b96 s[40:42], s[26:27], 0x4
	s_load_b64 s[28:29], s[24:25], 0x0
	s_add_co_i32 s16, s16, -1
	s_wait_xcnt 0x0
	s_add_nc_u64 s[26:27], s[26:27], 12
	s_cmp_lg_u32 s16, 0
	s_add_nc_u64 s[24:25], s[24:25], 8
	s_wait_kmcnt 0x0
	v_mul_hi_u32 v4, s41, v1
	s_delay_alu instid0(VALU_DEP_1) | instskip(NEXT) | instid1(VALU_DEP_1)
	v_add_nc_u32_e32 v4, v1, v4
	v_lshrrev_b32_e32 v4, s42, v4
	s_delay_alu instid0(VALU_DEP_1) | instskip(NEXT) | instid1(VALU_DEP_1)
	v_mul_lo_u32 v5, v4, s40
	v_sub_nc_u32_e32 v1, v1, v5
	s_delay_alu instid0(VALU_DEP_1)
	v_mad_u32 v3, v1, s29, v3
	v_mad_u32 v2, v1, s28, v2
	v_mov_b32_e32 v1, v4
	s_cbranch_scc1 .LBB386_225
.LBB386_226:
	s_cbranch_execnz .LBB386_229
.LBB386_227:
	v_mov_b32_e32 v1, 0
	s_and_not1_b32 vcc_lo, exec_lo, s35
	s_delay_alu instid0(VALU_DEP_1) | instskip(NEXT) | instid1(VALU_DEP_1)
	v_mul_u64_e32 v[2:3], s[18:19], v[0:1]
	v_add_nc_u32_e32 v2, v0, v3
	s_delay_alu instid0(VALU_DEP_1) | instskip(NEXT) | instid1(VALU_DEP_1)
	v_lshrrev_b32_e32 v4, s6, v2
	v_mul_lo_u32 v2, v4, s4
	s_delay_alu instid0(VALU_DEP_1) | instskip(NEXT) | instid1(VALU_DEP_1)
	v_sub_nc_u32_e32 v2, v0, v2
	v_mul_lo_u32 v3, v2, s9
	v_mul_lo_u32 v2, v2, s8
	s_cbranch_vccnz .LBB386_229
; %bb.228:
	v_mov_b32_e32 v5, v1
	s_delay_alu instid0(VALU_DEP_1) | instskip(NEXT) | instid1(VALU_DEP_1)
	v_mul_u64_e32 v[6:7], s[20:21], v[4:5]
	v_add_nc_u32_e32 v1, v4, v7
	s_delay_alu instid0(VALU_DEP_1) | instskip(NEXT) | instid1(VALU_DEP_1)
	v_lshrrev_b32_e32 v1, s17, v1
	v_mul_lo_u32 v1, v1, s7
	s_delay_alu instid0(VALU_DEP_1) | instskip(NEXT) | instid1(VALU_DEP_1)
	v_sub_nc_u32_e32 v1, v4, v1
	v_mad_u32 v2, v1, s10, v2
	v_mad_u32 v3, v1, s11, v3
.LBB386_229:
	global_load_u8 v1, v3, s[2:3]
	s_and_b32 s16, s15, 0xff
	v_add_nc_u32_e32 v0, 0x80, v0
	s_wait_loadcnt 0x0
	v_cmp_ne_u16_e32 vcc_lo, s16, v1
	s_xor_b32 s16, s5, vcc_lo
	s_delay_alu instid0(SALU_CYCLE_1) | instskip(SKIP_3) | instid1(SALU_CYCLE_1)
	v_cndmask_b32_e64 v1, 0, 1, s16
	global_store_b8 v2, v1, s[0:1]
	s_wait_xcnt 0x0
	s_or_b32 exec_lo, exec_lo, s14
	s_mov_b32 s14, exec_lo
	v_cmpx_gt_i32_e64 s36, v0
	s_cbranch_execz .LBB386_220
.LBB386_230:
	s_and_not1_b32 vcc_lo, exec_lo, s33
	s_cbranch_vccnz .LBB386_235
; %bb.231:
	s_and_not1_b32 vcc_lo, exec_lo, s38
	s_cbranch_vccnz .LBB386_236
; %bb.232:
	s_add_co_i32 s37, s37, 1
	s_cmp_eq_u32 s31, 2
	s_cbranch_scc1 .LBB386_237
; %bb.233:
	v_dual_mov_b32 v2, 0 :: v_dual_mov_b32 v3, 0
	v_mov_b32_e32 v1, v0
	s_and_b32 s24, s37, 28
	s_mov_b32 s16, 0
	s_mov_b64 s[26:27], s[12:13]
.LBB386_234:                            ; =>This Inner Loop Header: Depth=1
	s_clause 0x1
	s_load_b256 s[40:47], s[26:27], 0x4
	s_load_b128 s[56:59], s[26:27], 0x24
	s_load_b256 s[48:55], s[22:23], 0x0
	s_add_co_i32 s16, s16, 4
	s_wait_xcnt 0x0
	s_add_nc_u64 s[26:27], s[26:27], 48
	s_cmp_eq_u32 s24, s16
	s_add_nc_u64 s[22:23], s[22:23], 32
	s_wait_kmcnt 0x0
	v_mul_hi_u32 v4, s41, v1
	s_delay_alu instid0(VALU_DEP_1) | instskip(NEXT) | instid1(VALU_DEP_1)
	v_add_nc_u32_e32 v4, v1, v4
	v_lshrrev_b32_e32 v4, s42, v4
	s_delay_alu instid0(VALU_DEP_1) | instskip(NEXT) | instid1(VALU_DEP_1)
	v_mul_hi_u32 v5, s44, v4
	v_add_nc_u32_e32 v5, v4, v5
	s_delay_alu instid0(VALU_DEP_1) | instskip(NEXT) | instid1(VALU_DEP_1)
	v_lshrrev_b32_e32 v5, s45, v5
	v_mul_hi_u32 v6, s47, v5
	s_delay_alu instid0(VALU_DEP_1) | instskip(SKIP_1) | instid1(VALU_DEP_1)
	v_add_nc_u32_e32 v6, v5, v6
	v_mul_lo_u32 v7, v4, s40
	v_sub_nc_u32_e32 v1, v1, v7
	v_mul_lo_u32 v7, v5, s43
	s_delay_alu instid0(VALU_DEP_4) | instskip(NEXT) | instid1(VALU_DEP_3)
	v_lshrrev_b32_e32 v6, s56, v6
	v_mad_u32 v3, v1, s49, v3
	v_mad_u32 v1, v1, s48, v2
	s_delay_alu instid0(VALU_DEP_4) | instskip(NEXT) | instid1(VALU_DEP_4)
	v_sub_nc_u32_e32 v2, v4, v7
	v_mul_hi_u32 v8, s58, v6
	v_mul_lo_u32 v4, v6, s46
	s_delay_alu instid0(VALU_DEP_3) | instskip(SKIP_1) | instid1(VALU_DEP_4)
	v_mad_u32 v3, v2, s51, v3
	v_mad_u32 v2, v2, s50, v1
	v_add_nc_u32_e32 v7, v6, v8
	s_delay_alu instid0(VALU_DEP_1) | instskip(NEXT) | instid1(VALU_DEP_1)
	v_dual_sub_nc_u32 v4, v5, v4 :: v_dual_lshrrev_b32 v1, s59, v7
	v_mad_u32 v3, v4, s53, v3
	s_delay_alu instid0(VALU_DEP_4) | instskip(NEXT) | instid1(VALU_DEP_3)
	v_mad_u32 v2, v4, s52, v2
	v_mul_lo_u32 v5, v1, s57
	s_delay_alu instid0(VALU_DEP_1) | instskip(NEXT) | instid1(VALU_DEP_1)
	v_sub_nc_u32_e32 v4, v6, v5
	v_mad_u32 v3, v4, s55, v3
	s_delay_alu instid0(VALU_DEP_4)
	v_mad_u32 v2, v4, s54, v2
	s_cbranch_scc0 .LBB386_234
	s_branch .LBB386_238
.LBB386_235:
                                        ; implicit-def: $vgpr3
	s_branch .LBB386_242
.LBB386_236:
	v_dual_mov_b32 v3, 0 :: v_dual_mov_b32 v2, 0
	s_branch .LBB386_241
.LBB386_237:
	v_mov_b64_e32 v[2:3], 0
	v_mov_b32_e32 v1, v0
	s_mov_b32 s24, 0
.LBB386_238:
	s_and_b32 s16, s37, 3
	s_mov_b32 s25, 0
	s_cmp_eq_u32 s16, 0
	s_cbranch_scc1 .LBB386_241
; %bb.239:
	s_lshl_b32 s22, s24, 3
	s_mov_b32 s23, s25
	s_mul_u64 s[24:25], s[24:25], 12
	s_add_nc_u64 s[22:23], s[12:13], s[22:23]
	s_add_nc_u64 s[24:25], s[12:13], s[24:25]
	;; [unrolled: 1-line block ×3, first 2 shown]
.LBB386_240:                            ; =>This Inner Loop Header: Depth=1
	s_load_b96 s[36:38], s[24:25], 0x4
	s_load_b64 s[26:27], s[22:23], 0x0
	s_add_co_i32 s16, s16, -1
	s_wait_xcnt 0x0
	s_add_nc_u64 s[24:25], s[24:25], 12
	s_cmp_lg_u32 s16, 0
	s_add_nc_u64 s[22:23], s[22:23], 8
	s_wait_kmcnt 0x0
	v_mul_hi_u32 v4, s37, v1
	s_delay_alu instid0(VALU_DEP_1) | instskip(NEXT) | instid1(VALU_DEP_1)
	v_add_nc_u32_e32 v4, v1, v4
	v_lshrrev_b32_e32 v4, s38, v4
	s_delay_alu instid0(VALU_DEP_1) | instskip(NEXT) | instid1(VALU_DEP_1)
	v_mul_lo_u32 v5, v4, s36
	v_sub_nc_u32_e32 v1, v1, v5
	s_delay_alu instid0(VALU_DEP_1)
	v_mad_u32 v3, v1, s27, v3
	v_mad_u32 v2, v1, s26, v2
	v_mov_b32_e32 v1, v4
	s_cbranch_scc1 .LBB386_240
.LBB386_241:
	s_cbranch_execnz .LBB386_244
.LBB386_242:
	v_mov_b32_e32 v1, 0
	s_and_not1_b32 vcc_lo, exec_lo, s35
	s_delay_alu instid0(VALU_DEP_1) | instskip(NEXT) | instid1(VALU_DEP_1)
	v_mul_u64_e32 v[2:3], s[18:19], v[0:1]
	v_add_nc_u32_e32 v2, v0, v3
	s_delay_alu instid0(VALU_DEP_1) | instskip(NEXT) | instid1(VALU_DEP_1)
	v_lshrrev_b32_e32 v4, s6, v2
	v_mul_lo_u32 v2, v4, s4
	s_delay_alu instid0(VALU_DEP_1) | instskip(NEXT) | instid1(VALU_DEP_1)
	v_sub_nc_u32_e32 v0, v0, v2
	v_mul_lo_u32 v3, v0, s9
	v_mul_lo_u32 v2, v0, s8
	s_cbranch_vccnz .LBB386_244
; %bb.243:
	v_mov_b32_e32 v5, v1
	s_delay_alu instid0(VALU_DEP_1) | instskip(NEXT) | instid1(VALU_DEP_1)
	v_mul_u64_e32 v[0:1], s[20:21], v[4:5]
	v_add_nc_u32_e32 v0, v4, v1
	s_delay_alu instid0(VALU_DEP_1) | instskip(NEXT) | instid1(VALU_DEP_1)
	v_lshrrev_b32_e32 v0, s17, v0
	v_mul_lo_u32 v0, v0, s7
	s_delay_alu instid0(VALU_DEP_1) | instskip(NEXT) | instid1(VALU_DEP_1)
	v_sub_nc_u32_e32 v0, v4, v0
	v_mad_u32 v2, v0, s10, v2
	v_mad_u32 v3, v0, s11, v3
.LBB386_244:
	global_load_u8 v0, v3, s[2:3]
	s_wait_xcnt 0x0
	s_and_b32 s2, s15, 0xff
	s_wait_loadcnt 0x0
	v_cmp_ne_u16_e32 vcc_lo, s2, v0
	s_xor_b32 s2, s5, vcc_lo
	s_delay_alu instid0(SALU_CYCLE_1)
	v_cndmask_b32_e64 v0, 0, 1, s2
	global_store_b8 v2, v0, s[0:1]
	s_wait_xcnt 0x0
	s_or_b32 exec_lo, exec_lo, s14
                                        ; implicit-def: $vgpr16
                                        ; implicit-def: $vgpr0
	s_and_not1_saveexec_b32 s0, s34
	s_cbranch_execz .LBB386_221
	s_branch .LBB386_8
	.section	.rodata,"a",@progbits
	.p2align	6, 0x0
	.amdhsa_kernel _ZN2at6native32elementwise_kernel_manual_unrollILi128ELi8EZNS0_22gpu_kernel_impl_nocastINS0_13AUnaryFunctorIN3c1016Float4_e2m1fn_x2ES5_bNS0_12_GLOBAL__N_116CompareEqFunctorIS5_EEEEEEvRNS_18TensorIteratorBaseERKT_EUlibE_EEviT1_
		.amdhsa_group_segment_fixed_size 0
		.amdhsa_private_segment_fixed_size 0
		.amdhsa_kernarg_size 360
		.amdhsa_user_sgpr_count 2
		.amdhsa_user_sgpr_dispatch_ptr 0
		.amdhsa_user_sgpr_queue_ptr 0
		.amdhsa_user_sgpr_kernarg_segment_ptr 1
		.amdhsa_user_sgpr_dispatch_id 0
		.amdhsa_user_sgpr_kernarg_preload_length 0
		.amdhsa_user_sgpr_kernarg_preload_offset 0
		.amdhsa_user_sgpr_private_segment_size 0
		.amdhsa_wavefront_size32 1
		.amdhsa_uses_dynamic_stack 0
		.amdhsa_enable_private_segment 0
		.amdhsa_system_sgpr_workgroup_id_x 1
		.amdhsa_system_sgpr_workgroup_id_y 0
		.amdhsa_system_sgpr_workgroup_id_z 0
		.amdhsa_system_sgpr_workgroup_info 0
		.amdhsa_system_vgpr_workitem_id 0
		.amdhsa_next_free_vgpr 24
		.amdhsa_next_free_sgpr 60
		.amdhsa_named_barrier_count 0
		.amdhsa_reserve_vcc 1
		.amdhsa_float_round_mode_32 0
		.amdhsa_float_round_mode_16_64 0
		.amdhsa_float_denorm_mode_32 3
		.amdhsa_float_denorm_mode_16_64 3
		.amdhsa_fp16_overflow 0
		.amdhsa_memory_ordered 1
		.amdhsa_forward_progress 1
		.amdhsa_inst_pref_size 100
		.amdhsa_round_robin_scheduling 0
		.amdhsa_exception_fp_ieee_invalid_op 0
		.amdhsa_exception_fp_denorm_src 0
		.amdhsa_exception_fp_ieee_div_zero 0
		.amdhsa_exception_fp_ieee_overflow 0
		.amdhsa_exception_fp_ieee_underflow 0
		.amdhsa_exception_fp_ieee_inexact 0
		.amdhsa_exception_int_div_zero 0
	.end_amdhsa_kernel
	.section	.text._ZN2at6native32elementwise_kernel_manual_unrollILi128ELi8EZNS0_22gpu_kernel_impl_nocastINS0_13AUnaryFunctorIN3c1016Float4_e2m1fn_x2ES5_bNS0_12_GLOBAL__N_116CompareEqFunctorIS5_EEEEEEvRNS_18TensorIteratorBaseERKT_EUlibE_EEviT1_,"axG",@progbits,_ZN2at6native32elementwise_kernel_manual_unrollILi128ELi8EZNS0_22gpu_kernel_impl_nocastINS0_13AUnaryFunctorIN3c1016Float4_e2m1fn_x2ES5_bNS0_12_GLOBAL__N_116CompareEqFunctorIS5_EEEEEEvRNS_18TensorIteratorBaseERKT_EUlibE_EEviT1_,comdat
.Lfunc_end386:
	.size	_ZN2at6native32elementwise_kernel_manual_unrollILi128ELi8EZNS0_22gpu_kernel_impl_nocastINS0_13AUnaryFunctorIN3c1016Float4_e2m1fn_x2ES5_bNS0_12_GLOBAL__N_116CompareEqFunctorIS5_EEEEEEvRNS_18TensorIteratorBaseERKT_EUlibE_EEviT1_, .Lfunc_end386-_ZN2at6native32elementwise_kernel_manual_unrollILi128ELi8EZNS0_22gpu_kernel_impl_nocastINS0_13AUnaryFunctorIN3c1016Float4_e2m1fn_x2ES5_bNS0_12_GLOBAL__N_116CompareEqFunctorIS5_EEEEEEvRNS_18TensorIteratorBaseERKT_EUlibE_EEviT1_
                                        ; -- End function
	.set _ZN2at6native32elementwise_kernel_manual_unrollILi128ELi8EZNS0_22gpu_kernel_impl_nocastINS0_13AUnaryFunctorIN3c1016Float4_e2m1fn_x2ES5_bNS0_12_GLOBAL__N_116CompareEqFunctorIS5_EEEEEEvRNS_18TensorIteratorBaseERKT_EUlibE_EEviT1_.num_vgpr, 24
	.set _ZN2at6native32elementwise_kernel_manual_unrollILi128ELi8EZNS0_22gpu_kernel_impl_nocastINS0_13AUnaryFunctorIN3c1016Float4_e2m1fn_x2ES5_bNS0_12_GLOBAL__N_116CompareEqFunctorIS5_EEEEEEvRNS_18TensorIteratorBaseERKT_EUlibE_EEviT1_.num_agpr, 0
	.set _ZN2at6native32elementwise_kernel_manual_unrollILi128ELi8EZNS0_22gpu_kernel_impl_nocastINS0_13AUnaryFunctorIN3c1016Float4_e2m1fn_x2ES5_bNS0_12_GLOBAL__N_116CompareEqFunctorIS5_EEEEEEvRNS_18TensorIteratorBaseERKT_EUlibE_EEviT1_.numbered_sgpr, 60
	.set _ZN2at6native32elementwise_kernel_manual_unrollILi128ELi8EZNS0_22gpu_kernel_impl_nocastINS0_13AUnaryFunctorIN3c1016Float4_e2m1fn_x2ES5_bNS0_12_GLOBAL__N_116CompareEqFunctorIS5_EEEEEEvRNS_18TensorIteratorBaseERKT_EUlibE_EEviT1_.num_named_barrier, 0
	.set _ZN2at6native32elementwise_kernel_manual_unrollILi128ELi8EZNS0_22gpu_kernel_impl_nocastINS0_13AUnaryFunctorIN3c1016Float4_e2m1fn_x2ES5_bNS0_12_GLOBAL__N_116CompareEqFunctorIS5_EEEEEEvRNS_18TensorIteratorBaseERKT_EUlibE_EEviT1_.private_seg_size, 0
	.set _ZN2at6native32elementwise_kernel_manual_unrollILi128ELi8EZNS0_22gpu_kernel_impl_nocastINS0_13AUnaryFunctorIN3c1016Float4_e2m1fn_x2ES5_bNS0_12_GLOBAL__N_116CompareEqFunctorIS5_EEEEEEvRNS_18TensorIteratorBaseERKT_EUlibE_EEviT1_.uses_vcc, 1
	.set _ZN2at6native32elementwise_kernel_manual_unrollILi128ELi8EZNS0_22gpu_kernel_impl_nocastINS0_13AUnaryFunctorIN3c1016Float4_e2m1fn_x2ES5_bNS0_12_GLOBAL__N_116CompareEqFunctorIS5_EEEEEEvRNS_18TensorIteratorBaseERKT_EUlibE_EEviT1_.uses_flat_scratch, 0
	.set _ZN2at6native32elementwise_kernel_manual_unrollILi128ELi8EZNS0_22gpu_kernel_impl_nocastINS0_13AUnaryFunctorIN3c1016Float4_e2m1fn_x2ES5_bNS0_12_GLOBAL__N_116CompareEqFunctorIS5_EEEEEEvRNS_18TensorIteratorBaseERKT_EUlibE_EEviT1_.has_dyn_sized_stack, 0
	.set _ZN2at6native32elementwise_kernel_manual_unrollILi128ELi8EZNS0_22gpu_kernel_impl_nocastINS0_13AUnaryFunctorIN3c1016Float4_e2m1fn_x2ES5_bNS0_12_GLOBAL__N_116CompareEqFunctorIS5_EEEEEEvRNS_18TensorIteratorBaseERKT_EUlibE_EEviT1_.has_recursion, 0
	.set _ZN2at6native32elementwise_kernel_manual_unrollILi128ELi8EZNS0_22gpu_kernel_impl_nocastINS0_13AUnaryFunctorIN3c1016Float4_e2m1fn_x2ES5_bNS0_12_GLOBAL__N_116CompareEqFunctorIS5_EEEEEEvRNS_18TensorIteratorBaseERKT_EUlibE_EEviT1_.has_indirect_call, 0
	.section	.AMDGPU.csdata,"",@progbits
; Kernel info:
; codeLenInByte = 12696
; TotalNumSgprs: 62
; NumVgprs: 24
; ScratchSize: 0
; MemoryBound: 0
; FloatMode: 240
; IeeeMode: 1
; LDSByteSize: 0 bytes/workgroup (compile time only)
; SGPRBlocks: 0
; VGPRBlocks: 1
; NumSGPRsForWavesPerEU: 62
; NumVGPRsForWavesPerEU: 24
; NamedBarCnt: 0
; Occupancy: 16
; WaveLimiterHint : 1
; COMPUTE_PGM_RSRC2:SCRATCH_EN: 0
; COMPUTE_PGM_RSRC2:USER_SGPR: 2
; COMPUTE_PGM_RSRC2:TRAP_HANDLER: 0
; COMPUTE_PGM_RSRC2:TGID_X_EN: 1
; COMPUTE_PGM_RSRC2:TGID_Y_EN: 0
; COMPUTE_PGM_RSRC2:TGID_Z_EN: 0
; COMPUTE_PGM_RSRC2:TIDIG_COMP_CNT: 0
	.section	.text._ZN2at6native32elementwise_kernel_manual_unrollILi128ELi4EZNS0_15gpu_kernel_implINS0_13AUnaryFunctorIN3c1016Float4_e2m1fn_x2ES5_bNS0_12_GLOBAL__N_116CompareEqFunctorIS5_EEEEEEvRNS_18TensorIteratorBaseERKT_EUlibE_EEviT1_,"axG",@progbits,_ZN2at6native32elementwise_kernel_manual_unrollILi128ELi4EZNS0_15gpu_kernel_implINS0_13AUnaryFunctorIN3c1016Float4_e2m1fn_x2ES5_bNS0_12_GLOBAL__N_116CompareEqFunctorIS5_EEEEEEvRNS_18TensorIteratorBaseERKT_EUlibE_EEviT1_,comdat
	.globl	_ZN2at6native32elementwise_kernel_manual_unrollILi128ELi4EZNS0_15gpu_kernel_implINS0_13AUnaryFunctorIN3c1016Float4_e2m1fn_x2ES5_bNS0_12_GLOBAL__N_116CompareEqFunctorIS5_EEEEEEvRNS_18TensorIteratorBaseERKT_EUlibE_EEviT1_ ; -- Begin function _ZN2at6native32elementwise_kernel_manual_unrollILi128ELi4EZNS0_15gpu_kernel_implINS0_13AUnaryFunctorIN3c1016Float4_e2m1fn_x2ES5_bNS0_12_GLOBAL__N_116CompareEqFunctorIS5_EEEEEEvRNS_18TensorIteratorBaseERKT_EUlibE_EEviT1_
	.p2align	8
	.type	_ZN2at6native32elementwise_kernel_manual_unrollILi128ELi4EZNS0_15gpu_kernel_implINS0_13AUnaryFunctorIN3c1016Float4_e2m1fn_x2ES5_bNS0_12_GLOBAL__N_116CompareEqFunctorIS5_EEEEEEvRNS_18TensorIteratorBaseERKT_EUlibE_EEviT1_,@function
_ZN2at6native32elementwise_kernel_manual_unrollILi128ELi4EZNS0_15gpu_kernel_implINS0_13AUnaryFunctorIN3c1016Float4_e2m1fn_x2ES5_bNS0_12_GLOBAL__N_116CompareEqFunctorIS5_EEEEEEvRNS_18TensorIteratorBaseERKT_EUlibE_EEviT1_: ; @_ZN2at6native32elementwise_kernel_manual_unrollILi128ELi4EZNS0_15gpu_kernel_implINS0_13AUnaryFunctorIN3c1016Float4_e2m1fn_x2ES5_bNS0_12_GLOBAL__N_116CompareEqFunctorIS5_EEEEEEvRNS_18TensorIteratorBaseERKT_EUlibE_EEviT1_
; %bb.0:
	s_load_b32 s2, s[0:1], 0x28
	s_bfe_u32 s3, ttmp6, 0x4000c
	s_clause 0x1
	s_load_b32 s14, s[0:1], 0x0
	s_load_b256 s[4:11], s[0:1], 0x8
	s_add_co_i32 s3, s3, 1
	s_and_b32 s12, ttmp6, 15
	s_wait_xcnt 0x0
	s_mul_i32 s0, ttmp9, s3
	s_getreg_b32 s13, hwreg(HW_REG_IB_STS2, 6, 4)
	s_add_co_i32 s12, s12, s0
	s_mov_b32 s1, 0
	s_wait_kmcnt 0x0
	s_bfe_u32 s3, s2, 0x80008
	s_cmp_eq_u32 s13, 0
	s_mov_b32 s13, 0
	s_cselect_b32 s0, ttmp9, s12
	s_delay_alu instid0(SALU_CYCLE_1) | instskip(SKIP_1) | instid1(VALU_DEP_1)
	v_lshl_or_b32 v10, s0, 9, v0
	s_mov_b32 s0, exec_lo
	v_or_b32_e32 v0, 0x180, v10
	s_delay_alu instid0(VALU_DEP_1)
	v_cmpx_le_i32_e64 s14, v0
	s_xor_b32 s12, exec_lo, s0
	s_cbranch_execz .LBB387_1015
; %bb.1:
	s_cmp_eq_u32 s10, 0
	s_mov_b32 s18, 0
	s_cselect_b32 s13, -1, 0
	s_mov_b32 s20, -1
	s_mov_b32 s16, 0
	s_mov_b32 s15, 0
	s_mov_b32 s17, exec_lo
	v_cmpx_gt_i32_e64 s14, v10
	s_cbranch_execz .LBB387_248
; %bb.2:
	v_mul_lo_u32 v0, v10, s9
	s_and_b32 s0, 0xffff, s3
	s_delay_alu instid0(SALU_CYCLE_1) | instskip(NEXT) | instid1(VALU_DEP_1)
	s_cmp_lt_i32 s0, 11
	v_ashrrev_i32_e32 v1, 31, v0
	s_delay_alu instid0(VALU_DEP_1)
	v_add_nc_u64_e32 v[0:1], s[6:7], v[0:1]
	s_cbranch_scc1 .LBB387_9
; %bb.3:
	s_cmp_gt_i32 s0, 25
	s_cbranch_scc0 .LBB387_18
; %bb.4:
	s_cmp_gt_i32 s0, 28
	s_cbranch_scc0 .LBB387_21
	;; [unrolled: 3-line block ×4, first 2 shown]
; %bb.7:
	s_cmp_eq_u32 s0, 46
	s_mov_b32 s19, 0
	s_cbranch_scc0 .LBB387_27
; %bb.8:
	global_load_b32 v2, v[0:1], off
	s_mov_b32 s15, -1
	s_wait_loadcnt 0x0
	v_lshlrev_b32_e32 v2, 16, v2
	s_delay_alu instid0(VALU_DEP_1)
	v_cvt_i32_f32_e32 v2, v2
	s_branch .LBB387_29
.LBB387_9:
                                        ; implicit-def: $vgpr2
	s_cbranch_execnz .LBB387_198
.LBB387_10:
	s_and_not1_b32 vcc_lo, exec_lo, s15
	s_cbranch_vccnz .LBB387_245
.LBB387_11:
	s_wait_xcnt 0x0
	v_mul_lo_u32 v0, v10, s8
	s_wait_loadcnt 0x0
	s_delay_alu instid0(VALU_DEP_2) | instskip(SKIP_2) | instid1(VALU_DEP_1)
	v_and_b32_e32 v2, 0xff, v2
	s_and_b32 s0, s11, 0xff
	s_and_b32 s19, s2, 0xff
	v_cmp_ne_u16_e32 vcc_lo, s0, v2
	s_xor_b32 s15, s13, vcc_lo
	s_delay_alu instid0(VALU_DEP_3) | instskip(SKIP_1) | instid1(VALU_DEP_1)
	v_ashrrev_i32_e32 v1, 31, v0
	s_cmp_lt_i32 s19, 11
	v_add_nc_u64_e32 v[0:1], s[4:5], v[0:1]
	s_cbranch_scc1 .LBB387_19
; %bb.12:
	s_and_b32 s20, 0xffff, s19
	s_delay_alu instid0(SALU_CYCLE_1)
	s_cmp_gt_i32 s20, 25
	s_cbranch_scc0 .LBB387_22
; %bb.13:
	s_cmp_gt_i32 s20, 28
	s_cbranch_scc0 .LBB387_24
; %bb.14:
	;; [unrolled: 3-line block ×4, first 2 shown]
	s_mov_b32 s22, 0
	s_mov_b32 s0, -1
	s_cmp_eq_u32 s20, 46
	s_mov_b32 s21, 0
	s_cbranch_scc0 .LBB387_33
; %bb.17:
	v_cndmask_b32_e64 v2, 0, 1.0, s15
	s_mov_b32 s21, -1
	s_mov_b32 s0, 0
	s_delay_alu instid0(VALU_DEP_1) | instskip(NEXT) | instid1(VALU_DEP_1)
	v_bfe_u32 v3, v2, 16, 1
	v_add3_u32 v2, v2, v3, 0x7fff
	s_delay_alu instid0(VALU_DEP_1)
	v_lshrrev_b32_e32 v2, 16, v2
	global_store_b32 v[0:1], v2, off
	s_branch .LBB387_33
.LBB387_18:
                                        ; implicit-def: $vgpr2
	s_cbranch_execnz .LBB387_165
	s_branch .LBB387_197
.LBB387_19:
	s_mov_b32 s0, 0
	s_mov_b32 s21, 0
	s_cbranch_execnz .LBB387_102
.LBB387_20:
	s_and_not1_b32 vcc_lo, exec_lo, s21
	s_cbranch_vccnz .LBB387_246
	s_branch .LBB387_140
.LBB387_21:
	s_mov_b32 s19, -1
                                        ; implicit-def: $vgpr2
	s_branch .LBB387_148
.LBB387_22:
	s_mov_b32 s22, -1
	s_mov_b32 s0, 0
	s_mov_b32 s21, 0
	s_branch .LBB387_60
.LBB387_23:
	s_mov_b32 s19, -1
                                        ; implicit-def: $vgpr2
	s_branch .LBB387_143
.LBB387_24:
	s_mov_b32 s22, -1
	s_mov_b32 s0, 0
	s_mov_b32 s21, 0
	s_branch .LBB387_43
.LBB387_25:
	s_mov_b32 s19, -1
	s_branch .LBB387_28
.LBB387_26:
	s_mov_b32 s22, -1
	s_mov_b32 s0, 0
	s_mov_b32 s21, 0
	s_branch .LBB387_39
.LBB387_27:
	s_mov_b32 s16, -1
.LBB387_28:
                                        ; implicit-def: $vgpr2
.LBB387_29:
	s_and_b32 vcc_lo, exec_lo, s19
	s_cbranch_vccz .LBB387_142
; %bb.30:
	s_cmp_eq_u32 s0, 44
	s_cbranch_scc0 .LBB387_141
; %bb.31:
	global_load_u8 v2, v[0:1], off
	s_mov_b32 s16, 0
	s_mov_b32 s15, -1
	s_wait_loadcnt 0x0
	v_lshlrev_b32_e32 v3, 23, v2
	v_cmp_ne_u32_e32 vcc_lo, 0, v2
	s_delay_alu instid0(VALU_DEP_2) | instskip(NEXT) | instid1(VALU_DEP_1)
	v_cvt_i32_f32_e32 v3, v3
	v_cndmask_b32_e32 v2, 0, v3, vcc_lo
	s_branch .LBB387_142
.LBB387_32:
	s_mov_b32 s22, -1
	s_mov_b32 s0, 0
	s_mov_b32 s21, 0
.LBB387_33:
	s_and_b32 vcc_lo, exec_lo, s22
	s_cbranch_vccz .LBB387_38
; %bb.34:
	s_cmp_eq_u32 s20, 44
	s_mov_b32 s0, -1
	s_cbranch_scc0 .LBB387_38
; %bb.35:
	v_cndmask_b32_e64 v4, 0, 1.0, s15
	s_mov_b32 s21, exec_lo
	s_wait_xcnt 0x0
	s_delay_alu instid0(VALU_DEP_1) | instskip(NEXT) | instid1(VALU_DEP_1)
	v_dual_mov_b32 v3, 0xff :: v_dual_lshrrev_b32 v2, 23, v4
	v_cmpx_ne_u32_e32 0xff, v2
; %bb.36:
	v_and_b32_e32 v3, 0x400000, v4
	v_and_or_b32 v4, 0x3fffff, v4, v2
	s_delay_alu instid0(VALU_DEP_2) | instskip(NEXT) | instid1(VALU_DEP_2)
	v_cmp_ne_u32_e32 vcc_lo, 0, v3
	v_cmp_ne_u32_e64 s0, 0, v4
	s_and_b32 s0, vcc_lo, s0
	s_delay_alu instid0(SALU_CYCLE_1) | instskip(NEXT) | instid1(VALU_DEP_1)
	v_cndmask_b32_e64 v3, 0, 1, s0
	v_add_nc_u32_e32 v3, v2, v3
; %bb.37:
	s_or_b32 exec_lo, exec_lo, s21
	s_mov_b32 s21, -1
	s_mov_b32 s0, 0
	global_store_b8 v[0:1], v3, off
.LBB387_38:
	s_mov_b32 s22, 0
.LBB387_39:
	s_delay_alu instid0(SALU_CYCLE_1)
	s_and_b32 vcc_lo, exec_lo, s22
	s_cbranch_vccz .LBB387_42
; %bb.40:
	s_cmp_eq_u32 s20, 29
	s_mov_b32 s0, -1
	s_cbranch_scc0 .LBB387_42
; %bb.41:
	s_mov_b32 s0, 0
	s_wait_xcnt 0x0
	v_cndmask_b32_e64 v2, 0, 1, s15
	v_mov_b32_e32 v3, s0
	s_mov_b32 s21, -1
	s_mov_b32 s22, 0
	global_store_b64 v[0:1], v[2:3], off
	s_branch .LBB387_43
.LBB387_42:
	s_mov_b32 s22, 0
.LBB387_43:
	s_delay_alu instid0(SALU_CYCLE_1)
	s_and_b32 vcc_lo, exec_lo, s22
	s_cbranch_vccz .LBB387_59
; %bb.44:
	s_cmp_lt_i32 s20, 27
	s_mov_b32 s21, -1
	s_cbranch_scc1 .LBB387_50
; %bb.45:
	s_cmp_gt_i32 s20, 27
	s_cbranch_scc0 .LBB387_47
; %bb.46:
	s_wait_xcnt 0x0
	v_cndmask_b32_e64 v2, 0, 1, s15
	s_mov_b32 s21, 0
	global_store_b32 v[0:1], v2, off
.LBB387_47:
	s_and_not1_b32 vcc_lo, exec_lo, s21
	s_cbranch_vccnz .LBB387_49
; %bb.48:
	s_wait_xcnt 0x0
	v_cndmask_b32_e64 v2, 0, 1, s15
	global_store_b16 v[0:1], v2, off
.LBB387_49:
	s_mov_b32 s21, 0
.LBB387_50:
	s_delay_alu instid0(SALU_CYCLE_1)
	s_and_not1_b32 vcc_lo, exec_lo, s21
	s_cbranch_vccnz .LBB387_58
; %bb.51:
	s_wait_xcnt 0x0
	v_cndmask_b32_e64 v3, 0, 1.0, s15
	v_mov_b32_e32 v4, 0x80
	s_mov_b32 s21, exec_lo
	s_delay_alu instid0(VALU_DEP_2)
	v_cmpx_gt_u32_e32 0x43800000, v3
	s_cbranch_execz .LBB387_57
; %bb.52:
	s_mov_b32 s22, 0
	s_mov_b32 s23, exec_lo
                                        ; implicit-def: $vgpr2
	v_cmpx_lt_u32_e32 0x3bffffff, v3
	s_xor_b32 s23, exec_lo, s23
	s_cbranch_execz .LBB387_275
; %bb.53:
	v_bfe_u32 v2, v3, 20, 1
	s_mov_b32 s22, exec_lo
	s_delay_alu instid0(VALU_DEP_1) | instskip(NEXT) | instid1(VALU_DEP_1)
	v_add3_u32 v2, v3, v2, 0x487ffff
                                        ; implicit-def: $vgpr3
	v_lshrrev_b32_e32 v2, 20, v2
	s_and_not1_saveexec_b32 s23, s23
	s_cbranch_execnz .LBB387_276
.LBB387_54:
	s_or_b32 exec_lo, exec_lo, s23
	v_mov_b32_e32 v4, 0
	s_and_saveexec_b32 s23, s22
.LBB387_55:
	v_mov_b32_e32 v4, v2
.LBB387_56:
	s_or_b32 exec_lo, exec_lo, s23
.LBB387_57:
	s_delay_alu instid0(SALU_CYCLE_1)
	s_or_b32 exec_lo, exec_lo, s21
	global_store_b8 v[0:1], v4, off
.LBB387_58:
	s_mov_b32 s21, -1
.LBB387_59:
	s_mov_b32 s22, 0
.LBB387_60:
	s_delay_alu instid0(SALU_CYCLE_1)
	s_and_b32 vcc_lo, exec_lo, s22
	s_cbranch_vccz .LBB387_101
; %bb.61:
	s_cmp_gt_i32 s20, 22
	s_mov_b32 s22, -1
	s_cbranch_scc0 .LBB387_93
; %bb.62:
	s_cmp_lt_i32 s20, 24
	s_mov_b32 s21, -1
	s_cbranch_scc1 .LBB387_82
; %bb.63:
	s_cmp_gt_i32 s20, 24
	s_cbranch_scc0 .LBB387_71
; %bb.64:
	s_wait_xcnt 0x0
	v_cndmask_b32_e64 v3, 0, 1.0, s15
	v_mov_b32_e32 v4, 0x80
	s_mov_b32 s21, exec_lo
	s_delay_alu instid0(VALU_DEP_2)
	v_cmpx_gt_u32_e32 0x47800000, v3
	s_cbranch_execz .LBB387_70
; %bb.65:
	s_mov_b32 s22, 0
	s_mov_b32 s23, exec_lo
                                        ; implicit-def: $vgpr2
	v_cmpx_lt_u32_e32 0x37ffffff, v3
	s_xor_b32 s23, exec_lo, s23
	s_cbranch_execz .LBB387_279
; %bb.66:
	v_bfe_u32 v2, v3, 21, 1
	s_mov_b32 s22, exec_lo
	s_delay_alu instid0(VALU_DEP_1) | instskip(NEXT) | instid1(VALU_DEP_1)
	v_add3_u32 v2, v3, v2, 0x88fffff
                                        ; implicit-def: $vgpr3
	v_lshrrev_b32_e32 v2, 21, v2
	s_and_not1_saveexec_b32 s23, s23
	s_cbranch_execnz .LBB387_280
.LBB387_67:
	s_or_b32 exec_lo, exec_lo, s23
	v_mov_b32_e32 v4, 0
	s_and_saveexec_b32 s23, s22
.LBB387_68:
	v_mov_b32_e32 v4, v2
.LBB387_69:
	s_or_b32 exec_lo, exec_lo, s23
.LBB387_70:
	s_delay_alu instid0(SALU_CYCLE_1)
	s_or_b32 exec_lo, exec_lo, s21
	s_mov_b32 s21, 0
	global_store_b8 v[0:1], v4, off
.LBB387_71:
	s_and_b32 vcc_lo, exec_lo, s21
	s_cbranch_vccz .LBB387_81
; %bb.72:
	s_wait_xcnt 0x0
	v_cndmask_b32_e64 v3, 0, 1.0, s15
	s_mov_b32 s21, exec_lo
                                        ; implicit-def: $vgpr2
	s_delay_alu instid0(VALU_DEP_1)
	v_cmpx_gt_u32_e32 0x43f00000, v3
	s_xor_b32 s21, exec_lo, s21
	s_cbranch_execz .LBB387_78
; %bb.73:
	s_mov_b32 s22, exec_lo
                                        ; implicit-def: $vgpr2
	v_cmpx_lt_u32_e32 0x3c7fffff, v3
	s_xor_b32 s22, exec_lo, s22
; %bb.74:
	v_bfe_u32 v2, v3, 20, 1
	s_delay_alu instid0(VALU_DEP_1) | instskip(NEXT) | instid1(VALU_DEP_1)
	v_add3_u32 v2, v3, v2, 0x407ffff
	v_and_b32_e32 v3, 0xff00000, v2
	v_lshrrev_b32_e32 v2, 20, v2
	s_delay_alu instid0(VALU_DEP_2) | instskip(NEXT) | instid1(VALU_DEP_2)
	v_cmp_ne_u32_e32 vcc_lo, 0x7f00000, v3
                                        ; implicit-def: $vgpr3
	v_cndmask_b32_e32 v2, 0x7e, v2, vcc_lo
; %bb.75:
	s_and_not1_saveexec_b32 s22, s22
; %bb.76:
	v_add_f32_e32 v2, 0x46800000, v3
; %bb.77:
	s_or_b32 exec_lo, exec_lo, s22
                                        ; implicit-def: $vgpr3
.LBB387_78:
	s_and_not1_saveexec_b32 s21, s21
; %bb.79:
	v_mov_b32_e32 v2, 0x7f
	v_cmp_lt_u32_e32 vcc_lo, 0x7f800000, v3
	s_delay_alu instid0(VALU_DEP_2)
	v_cndmask_b32_e32 v2, 0x7e, v2, vcc_lo
; %bb.80:
	s_or_b32 exec_lo, exec_lo, s21
	global_store_b8 v[0:1], v2, off
.LBB387_81:
	s_mov_b32 s21, 0
.LBB387_82:
	s_delay_alu instid0(SALU_CYCLE_1)
	s_and_not1_b32 vcc_lo, exec_lo, s21
	s_cbranch_vccnz .LBB387_92
; %bb.83:
	s_wait_xcnt 0x0
	v_cndmask_b32_e64 v3, 0, 1.0, s15
	s_mov_b32 s21, exec_lo
                                        ; implicit-def: $vgpr2
	s_delay_alu instid0(VALU_DEP_1)
	v_cmpx_gt_u32_e32 0x47800000, v3
	s_xor_b32 s21, exec_lo, s21
	s_cbranch_execz .LBB387_89
; %bb.84:
	s_mov_b32 s22, exec_lo
                                        ; implicit-def: $vgpr2
	v_cmpx_lt_u32_e32 0x387fffff, v3
	s_xor_b32 s22, exec_lo, s22
; %bb.85:
	v_bfe_u32 v2, v3, 21, 1
	s_delay_alu instid0(VALU_DEP_1) | instskip(NEXT) | instid1(VALU_DEP_1)
	v_add3_u32 v2, v3, v2, 0x80fffff
                                        ; implicit-def: $vgpr3
	v_lshrrev_b32_e32 v2, 21, v2
; %bb.86:
	s_and_not1_saveexec_b32 s22, s22
; %bb.87:
	v_add_f32_e32 v2, 0x43000000, v3
; %bb.88:
	s_or_b32 exec_lo, exec_lo, s22
                                        ; implicit-def: $vgpr3
.LBB387_89:
	s_and_not1_saveexec_b32 s21, s21
; %bb.90:
	v_mov_b32_e32 v2, 0x7f
	v_cmp_lt_u32_e32 vcc_lo, 0x7f800000, v3
	s_delay_alu instid0(VALU_DEP_2)
	v_cndmask_b32_e32 v2, 0x7c, v2, vcc_lo
; %bb.91:
	s_or_b32 exec_lo, exec_lo, s21
	global_store_b8 v[0:1], v2, off
.LBB387_92:
	s_mov_b32 s22, 0
	s_mov_b32 s21, -1
.LBB387_93:
	s_and_not1_b32 vcc_lo, exec_lo, s22
	s_cbranch_vccnz .LBB387_101
; %bb.94:
	s_cmp_gt_i32 s20, 14
	s_mov_b32 s22, -1
	s_cbranch_scc0 .LBB387_98
; %bb.95:
	s_cmp_eq_u32 s20, 15
	s_mov_b32 s0, -1
	s_cbranch_scc0 .LBB387_97
; %bb.96:
	s_wait_xcnt 0x0
	v_cndmask_b32_e64 v2, 0, 1.0, s15
	s_mov_b32 s21, -1
	s_mov_b32 s0, 0
	s_delay_alu instid0(VALU_DEP_1) | instskip(NEXT) | instid1(VALU_DEP_1)
	v_bfe_u32 v3, v2, 16, 1
	v_add3_u32 v2, v2, v3, 0x7fff
	global_store_d16_hi_b16 v[0:1], v2, off
.LBB387_97:
	s_mov_b32 s22, 0
.LBB387_98:
	s_delay_alu instid0(SALU_CYCLE_1)
	s_and_b32 vcc_lo, exec_lo, s22
	s_cbranch_vccz .LBB387_101
; %bb.99:
	s_cmp_eq_u32 s20, 11
	s_mov_b32 s0, -1
	s_cbranch_scc0 .LBB387_101
; %bb.100:
	s_wait_xcnt 0x0
	v_cndmask_b32_e64 v2, 0, 1, s15
	s_mov_b32 s21, -1
	s_mov_b32 s0, 0
	global_store_b8 v[0:1], v2, off
.LBB387_101:
	s_branch .LBB387_20
.LBB387_102:
	s_and_b32 s19, 0xffff, s19
	s_mov_b32 s20, -1
	s_cmp_lt_i32 s19, 5
	s_cbranch_scc1 .LBB387_123
; %bb.103:
	s_cmp_lt_i32 s19, 8
	s_cbranch_scc1 .LBB387_113
; %bb.104:
	;; [unrolled: 3-line block ×3, first 2 shown]
	s_cmp_gt_i32 s19, 9
	s_cbranch_scc0 .LBB387_107
; %bb.106:
	s_wait_xcnt 0x0
	v_cndmask_b32_e64 v2, 0, 1, s15
	v_mov_b32_e32 v4, 0
	s_mov_b32 s20, 0
	s_delay_alu instid0(VALU_DEP_2) | instskip(NEXT) | instid1(VALU_DEP_2)
	v_cvt_f64_u32_e32 v[2:3], v2
	v_mov_b32_e32 v5, v4
	global_store_b128 v[0:1], v[2:5], off
.LBB387_107:
	s_and_not1_b32 vcc_lo, exec_lo, s20
	s_cbranch_vccnz .LBB387_109
; %bb.108:
	s_wait_xcnt 0x0
	v_cndmask_b32_e64 v2, 0, 1.0, s15
	v_mov_b32_e32 v3, 0
	global_store_b64 v[0:1], v[2:3], off
.LBB387_109:
	s_mov_b32 s20, 0
.LBB387_110:
	s_delay_alu instid0(SALU_CYCLE_1)
	s_and_not1_b32 vcc_lo, exec_lo, s20
	s_cbranch_vccnz .LBB387_112
; %bb.111:
	s_wait_xcnt 0x0
	v_cndmask_b32_e64 v2, 0, 1.0, s15
	s_delay_alu instid0(VALU_DEP_1) | instskip(NEXT) | instid1(VALU_DEP_1)
	v_cvt_f16_f32_e32 v2, v2
	v_and_b32_e32 v2, 0xffff, v2
	global_store_b32 v[0:1], v2, off
.LBB387_112:
	s_mov_b32 s20, 0
.LBB387_113:
	s_delay_alu instid0(SALU_CYCLE_1)
	s_and_not1_b32 vcc_lo, exec_lo, s20
	s_cbranch_vccnz .LBB387_122
; %bb.114:
	s_cmp_lt_i32 s19, 6
	s_mov_b32 s20, -1
	s_cbranch_scc1 .LBB387_120
; %bb.115:
	s_cmp_gt_i32 s19, 6
	s_cbranch_scc0 .LBB387_117
; %bb.116:
	s_wait_xcnt 0x0
	v_cndmask_b32_e64 v2, 0, 1, s15
	s_mov_b32 s20, 0
	s_delay_alu instid0(VALU_DEP_1)
	v_cvt_f64_u32_e32 v[2:3], v2
	global_store_b64 v[0:1], v[2:3], off
.LBB387_117:
	s_and_not1_b32 vcc_lo, exec_lo, s20
	s_cbranch_vccnz .LBB387_119
; %bb.118:
	s_wait_xcnt 0x0
	v_cndmask_b32_e64 v2, 0, 1.0, s15
	global_store_b32 v[0:1], v2, off
.LBB387_119:
	s_mov_b32 s20, 0
.LBB387_120:
	s_delay_alu instid0(SALU_CYCLE_1)
	s_and_not1_b32 vcc_lo, exec_lo, s20
	s_cbranch_vccnz .LBB387_122
; %bb.121:
	s_wait_xcnt 0x0
	v_cndmask_b32_e64 v2, 0, 1.0, s15
	s_delay_alu instid0(VALU_DEP_1)
	v_cvt_f16_f32_e32 v2, v2
	global_store_b16 v[0:1], v2, off
.LBB387_122:
	s_mov_b32 s20, 0
.LBB387_123:
	s_delay_alu instid0(SALU_CYCLE_1)
	s_and_not1_b32 vcc_lo, exec_lo, s20
	s_cbranch_vccnz .LBB387_139
; %bb.124:
	s_cmp_lt_i32 s19, 2
	s_mov_b32 s20, -1
	s_cbranch_scc1 .LBB387_134
; %bb.125:
	s_cmp_lt_i32 s19, 3
	s_cbranch_scc1 .LBB387_131
; %bb.126:
	s_cmp_gt_i32 s19, 3
	s_cbranch_scc0 .LBB387_128
; %bb.127:
	s_mov_b32 s20, 0
	s_wait_xcnt 0x0
	v_cndmask_b32_e64 v2, 0, 1, s15
	v_mov_b32_e32 v3, s20
	global_store_b64 v[0:1], v[2:3], off
.LBB387_128:
	s_and_not1_b32 vcc_lo, exec_lo, s20
	s_cbranch_vccnz .LBB387_130
; %bb.129:
	s_wait_xcnt 0x0
	v_cndmask_b32_e64 v2, 0, 1, s15
	global_store_b32 v[0:1], v2, off
.LBB387_130:
	s_mov_b32 s20, 0
.LBB387_131:
	s_delay_alu instid0(SALU_CYCLE_1)
	s_and_not1_b32 vcc_lo, exec_lo, s20
	s_cbranch_vccnz .LBB387_133
; %bb.132:
	s_wait_xcnt 0x0
	v_cndmask_b32_e64 v2, 0, 1, s15
	global_store_b16 v[0:1], v2, off
.LBB387_133:
	s_mov_b32 s20, 0
.LBB387_134:
	s_delay_alu instid0(SALU_CYCLE_1)
	s_and_not1_b32 vcc_lo, exec_lo, s20
	s_cbranch_vccnz .LBB387_139
; %bb.135:
	s_wait_xcnt 0x0
	v_cndmask_b32_e64 v2, 0, 1, s15
	s_cmp_gt_i32 s19, 0
	s_mov_b32 s15, -1
	s_cbranch_scc0 .LBB387_137
; %bb.136:
	s_mov_b32 s15, 0
	global_store_b8 v[0:1], v2, off
.LBB387_137:
	s_and_not1_b32 vcc_lo, exec_lo, s15
	s_cbranch_vccnz .LBB387_139
; %bb.138:
	global_store_b8 v[0:1], v2, off
.LBB387_139:
.LBB387_140:
	v_add_nc_u32_e32 v10, 0x80, v10
	s_mov_b32 s19, -1
	s_branch .LBB387_247
.LBB387_141:
	s_mov_b32 s16, -1
                                        ; implicit-def: $vgpr2
.LBB387_142:
	s_mov_b32 s19, 0
.LBB387_143:
	s_delay_alu instid0(SALU_CYCLE_1)
	s_and_b32 vcc_lo, exec_lo, s19
	s_cbranch_vccz .LBB387_147
; %bb.144:
	s_cmp_eq_u32 s0, 29
	s_cbranch_scc0 .LBB387_146
; %bb.145:
	global_load_b64 v[2:3], v[0:1], off
	s_mov_b32 s15, -1
	s_mov_b32 s16, 0
	s_branch .LBB387_147
.LBB387_146:
	s_mov_b32 s16, -1
                                        ; implicit-def: $vgpr2
.LBB387_147:
	s_mov_b32 s19, 0
.LBB387_148:
	s_delay_alu instid0(SALU_CYCLE_1)
	s_and_b32 vcc_lo, exec_lo, s19
	s_cbranch_vccz .LBB387_164
; %bb.149:
	s_cmp_lt_i32 s0, 27
	s_cbranch_scc1 .LBB387_152
; %bb.150:
	s_cmp_gt_i32 s0, 27
	s_cbranch_scc0 .LBB387_153
; %bb.151:
	s_wait_loadcnt 0x0
	global_load_b32 v2, v[0:1], off
	s_mov_b32 s15, 0
	s_branch .LBB387_154
.LBB387_152:
	s_mov_b32 s15, -1
                                        ; implicit-def: $vgpr2
	s_branch .LBB387_157
.LBB387_153:
	s_mov_b32 s15, -1
                                        ; implicit-def: $vgpr2
.LBB387_154:
	s_delay_alu instid0(SALU_CYCLE_1)
	s_and_not1_b32 vcc_lo, exec_lo, s15
	s_cbranch_vccnz .LBB387_156
; %bb.155:
	s_wait_loadcnt 0x0
	global_load_u16 v2, v[0:1], off
.LBB387_156:
	s_mov_b32 s15, 0
.LBB387_157:
	s_delay_alu instid0(SALU_CYCLE_1)
	s_and_not1_b32 vcc_lo, exec_lo, s15
	s_cbranch_vccnz .LBB387_163
; %bb.158:
	s_wait_loadcnt 0x0
	global_load_u8 v3, v[0:1], off
	s_mov_b32 s19, 0
	s_mov_b32 s15, exec_lo
	s_wait_loadcnt 0x0
	v_cmpx_lt_i16_e32 0x7f, v3
	s_xor_b32 s15, exec_lo, s15
	s_cbranch_execz .LBB387_174
; %bb.159:
	v_cmp_ne_u16_e32 vcc_lo, 0x80, v3
	s_and_b32 s19, vcc_lo, exec_lo
	s_and_not1_saveexec_b32 s15, s15
	s_cbranch_execnz .LBB387_175
.LBB387_160:
	s_or_b32 exec_lo, exec_lo, s15
	v_mov_b32_e32 v2, 0
	s_and_saveexec_b32 s15, s19
	s_cbranch_execz .LBB387_162
.LBB387_161:
	v_and_b32_e32 v2, 0xffff, v3
	s_delay_alu instid0(VALU_DEP_1) | instskip(SKIP_1) | instid1(VALU_DEP_2)
	v_and_b32_e32 v4, 7, v2
	v_bfe_u32 v7, v2, 3, 4
	v_clz_i32_u32_e32 v5, v4
	s_delay_alu instid0(VALU_DEP_2) | instskip(NEXT) | instid1(VALU_DEP_2)
	v_cmp_eq_u32_e32 vcc_lo, 0, v7
	v_min_u32_e32 v5, 32, v5
	s_delay_alu instid0(VALU_DEP_1) | instskip(NEXT) | instid1(VALU_DEP_1)
	v_subrev_nc_u32_e32 v6, 28, v5
	v_dual_lshlrev_b32 v2, v6, v2 :: v_dual_sub_nc_u32 v5, 29, v5
	s_delay_alu instid0(VALU_DEP_1) | instskip(NEXT) | instid1(VALU_DEP_1)
	v_dual_lshlrev_b32 v3, 24, v3 :: v_dual_bitop2_b32 v2, 7, v2 bitop3:0x40
	v_dual_cndmask_b32 v5, v7, v5 :: v_dual_cndmask_b32 v2, v4, v2
	s_delay_alu instid0(VALU_DEP_2) | instskip(NEXT) | instid1(VALU_DEP_2)
	v_and_b32_e32 v3, 0x80000000, v3
	v_lshl_add_u32 v4, v5, 23, 0x3b800000
	s_delay_alu instid0(VALU_DEP_3) | instskip(NEXT) | instid1(VALU_DEP_1)
	v_lshlrev_b32_e32 v2, 20, v2
	v_or3_b32 v2, v3, v4, v2
	s_delay_alu instid0(VALU_DEP_1)
	v_cvt_i32_f32_e32 v2, v2
.LBB387_162:
	s_or_b32 exec_lo, exec_lo, s15
.LBB387_163:
	s_mov_b32 s15, -1
.LBB387_164:
	s_branch .LBB387_197
.LBB387_165:
	s_cmp_gt_i32 s0, 22
	s_cbranch_scc0 .LBB387_173
; %bb.166:
	s_cmp_lt_i32 s0, 24
	s_cbranch_scc1 .LBB387_176
; %bb.167:
	s_cmp_gt_i32 s0, 24
	s_cbranch_scc0 .LBB387_177
; %bb.168:
	s_wait_loadcnt 0x0
	global_load_u8 v3, v[0:1], off
	s_mov_b32 s19, 0
	s_mov_b32 s15, exec_lo
	s_wait_loadcnt 0x0
	v_cmpx_lt_i16_e32 0x7f, v3
	s_xor_b32 s15, exec_lo, s15
	s_cbranch_execz .LBB387_189
; %bb.169:
	v_cmp_ne_u16_e32 vcc_lo, 0x80, v3
	s_and_b32 s19, vcc_lo, exec_lo
	s_and_not1_saveexec_b32 s15, s15
	s_cbranch_execnz .LBB387_190
.LBB387_170:
	s_or_b32 exec_lo, exec_lo, s15
	v_mov_b32_e32 v2, 0
	s_and_saveexec_b32 s15, s19
	s_cbranch_execz .LBB387_172
.LBB387_171:
	v_and_b32_e32 v2, 0xffff, v3
	s_delay_alu instid0(VALU_DEP_1) | instskip(SKIP_1) | instid1(VALU_DEP_2)
	v_and_b32_e32 v4, 3, v2
	v_bfe_u32 v7, v2, 2, 5
	v_clz_i32_u32_e32 v5, v4
	s_delay_alu instid0(VALU_DEP_2) | instskip(NEXT) | instid1(VALU_DEP_2)
	v_cmp_eq_u32_e32 vcc_lo, 0, v7
	v_min_u32_e32 v5, 32, v5
	s_delay_alu instid0(VALU_DEP_1) | instskip(NEXT) | instid1(VALU_DEP_1)
	v_subrev_nc_u32_e32 v6, 29, v5
	v_dual_lshlrev_b32 v2, v6, v2 :: v_dual_sub_nc_u32 v5, 30, v5
	s_delay_alu instid0(VALU_DEP_1) | instskip(NEXT) | instid1(VALU_DEP_1)
	v_dual_lshlrev_b32 v3, 24, v3 :: v_dual_bitop2_b32 v2, 3, v2 bitop3:0x40
	v_dual_cndmask_b32 v5, v7, v5 :: v_dual_cndmask_b32 v2, v4, v2
	s_delay_alu instid0(VALU_DEP_2) | instskip(NEXT) | instid1(VALU_DEP_2)
	v_and_b32_e32 v3, 0x80000000, v3
	v_lshl_add_u32 v4, v5, 23, 0x37800000
	s_delay_alu instid0(VALU_DEP_3) | instskip(NEXT) | instid1(VALU_DEP_1)
	v_lshlrev_b32_e32 v2, 21, v2
	v_or3_b32 v2, v3, v4, v2
	s_delay_alu instid0(VALU_DEP_1)
	v_cvt_i32_f32_e32 v2, v2
.LBB387_172:
	s_or_b32 exec_lo, exec_lo, s15
	s_mov_b32 s15, 0
	s_branch .LBB387_178
.LBB387_173:
	s_mov_b32 s19, -1
                                        ; implicit-def: $vgpr2
	s_branch .LBB387_184
.LBB387_174:
	s_and_not1_saveexec_b32 s15, s15
	s_cbranch_execz .LBB387_160
.LBB387_175:
	v_cmp_ne_u16_e32 vcc_lo, 0, v3
	s_and_not1_b32 s19, s19, exec_lo
	s_and_b32 s20, vcc_lo, exec_lo
	s_delay_alu instid0(SALU_CYCLE_1)
	s_or_b32 s19, s19, s20
	s_or_b32 exec_lo, exec_lo, s15
	v_mov_b32_e32 v2, 0
	s_and_saveexec_b32 s15, s19
	s_cbranch_execnz .LBB387_161
	s_branch .LBB387_162
.LBB387_176:
	s_mov_b32 s15, -1
                                        ; implicit-def: $vgpr2
	s_branch .LBB387_181
.LBB387_177:
	s_mov_b32 s15, -1
                                        ; implicit-def: $vgpr2
.LBB387_178:
	s_delay_alu instid0(SALU_CYCLE_1)
	s_and_b32 vcc_lo, exec_lo, s15
	s_cbranch_vccz .LBB387_180
; %bb.179:
	s_wait_loadcnt 0x0
	global_load_u8 v2, v[0:1], off
	s_wait_loadcnt 0x0
	v_lshlrev_b32_e32 v2, 24, v2
	s_delay_alu instid0(VALU_DEP_1) | instskip(NEXT) | instid1(VALU_DEP_1)
	v_and_b32_e32 v3, 0x7f000000, v2
	v_clz_i32_u32_e32 v4, v3
	v_cmp_ne_u32_e32 vcc_lo, 0, v3
	v_add_nc_u32_e32 v6, 0x1000000, v3
	s_delay_alu instid0(VALU_DEP_3) | instskip(NEXT) | instid1(VALU_DEP_1)
	v_min_u32_e32 v4, 32, v4
	v_sub_nc_u32_e64 v4, v4, 4 clamp
	s_delay_alu instid0(VALU_DEP_1) | instskip(NEXT) | instid1(VALU_DEP_1)
	v_dual_lshlrev_b32 v5, v4, v3 :: v_dual_lshlrev_b32 v4, 23, v4
	v_lshrrev_b32_e32 v5, 4, v5
	s_delay_alu instid0(VALU_DEP_1) | instskip(NEXT) | instid1(VALU_DEP_1)
	v_dual_sub_nc_u32 v4, v5, v4 :: v_dual_ashrrev_i32 v5, 8, v6
	v_add_nc_u32_e32 v4, 0x3c000000, v4
	s_delay_alu instid0(VALU_DEP_1) | instskip(NEXT) | instid1(VALU_DEP_1)
	v_and_or_b32 v4, 0x7f800000, v5, v4
	v_cndmask_b32_e32 v3, 0, v4, vcc_lo
	s_delay_alu instid0(VALU_DEP_1) | instskip(NEXT) | instid1(VALU_DEP_1)
	v_and_or_b32 v2, 0x80000000, v2, v3
	v_cvt_i32_f32_e32 v2, v2
.LBB387_180:
	s_mov_b32 s15, 0
.LBB387_181:
	s_delay_alu instid0(SALU_CYCLE_1)
	s_and_not1_b32 vcc_lo, exec_lo, s15
	s_cbranch_vccnz .LBB387_183
; %bb.182:
	s_wait_loadcnt 0x0
	global_load_u8 v2, v[0:1], off
	s_wait_loadcnt 0x0
	v_lshlrev_b32_e32 v3, 25, v2
	v_lshlrev_b16 v2, 8, v2
	s_delay_alu instid0(VALU_DEP_1) | instskip(SKIP_1) | instid1(VALU_DEP_2)
	v_and_or_b32 v5, 0x7f00, v2, 0.5
	v_bfe_i32 v2, v2, 0, 16
	v_dual_add_f32 v5, -0.5, v5 :: v_dual_lshrrev_b32 v4, 4, v3
	v_cmp_gt_u32_e32 vcc_lo, 0x8000000, v3
	s_delay_alu instid0(VALU_DEP_2) | instskip(NEXT) | instid1(VALU_DEP_1)
	v_or_b32_e32 v4, 0x70000000, v4
	v_mul_f32_e32 v4, 0x7800000, v4
	s_delay_alu instid0(VALU_DEP_1) | instskip(NEXT) | instid1(VALU_DEP_1)
	v_cndmask_b32_e32 v3, v4, v5, vcc_lo
	v_and_or_b32 v2, 0x80000000, v2, v3
	s_delay_alu instid0(VALU_DEP_1)
	v_cvt_i32_f32_e32 v2, v2
.LBB387_183:
	s_mov_b32 s19, 0
	s_mov_b32 s15, -1
.LBB387_184:
	s_and_not1_b32 vcc_lo, exec_lo, s19
	s_cbranch_vccnz .LBB387_197
; %bb.185:
	s_cmp_gt_i32 s0, 14
	s_cbranch_scc0 .LBB387_188
; %bb.186:
	s_cmp_eq_u32 s0, 15
	s_cbranch_scc0 .LBB387_191
; %bb.187:
	s_wait_loadcnt 0x0
	global_load_u16 v2, v[0:1], off
	s_mov_b32 s15, -1
	s_mov_b32 s16, 0
	s_wait_loadcnt 0x0
	v_lshlrev_b32_e32 v2, 16, v2
	s_delay_alu instid0(VALU_DEP_1)
	v_cvt_i32_f32_e32 v2, v2
	s_branch .LBB387_192
.LBB387_188:
	s_mov_b32 s19, -1
                                        ; implicit-def: $vgpr2
	s_branch .LBB387_193
.LBB387_189:
	s_and_not1_saveexec_b32 s15, s15
	s_cbranch_execz .LBB387_170
.LBB387_190:
	v_cmp_ne_u16_e32 vcc_lo, 0, v3
	s_and_not1_b32 s19, s19, exec_lo
	s_and_b32 s20, vcc_lo, exec_lo
	s_delay_alu instid0(SALU_CYCLE_1)
	s_or_b32 s19, s19, s20
	s_or_b32 exec_lo, exec_lo, s15
	v_mov_b32_e32 v2, 0
	s_and_saveexec_b32 s15, s19
	s_cbranch_execnz .LBB387_171
	s_branch .LBB387_172
.LBB387_191:
	s_mov_b32 s16, -1
                                        ; implicit-def: $vgpr2
.LBB387_192:
	s_mov_b32 s19, 0
.LBB387_193:
	s_delay_alu instid0(SALU_CYCLE_1)
	s_and_b32 vcc_lo, exec_lo, s19
	s_cbranch_vccz .LBB387_197
; %bb.194:
	s_cmp_eq_u32 s0, 11
	s_cbranch_scc0 .LBB387_196
; %bb.195:
	s_wait_loadcnt 0x0
	global_load_u8 v2, v[0:1], off
	s_mov_b32 s16, 0
	s_mov_b32 s15, -1
	s_wait_loadcnt 0x0
	v_cmp_ne_u16_e32 vcc_lo, 0, v2
	v_cndmask_b32_e64 v2, 0, 1, vcc_lo
	s_branch .LBB387_197
.LBB387_196:
	s_mov_b32 s16, -1
                                        ; implicit-def: $vgpr2
.LBB387_197:
	s_branch .LBB387_10
.LBB387_198:
	s_cmp_lt_i32 s0, 5
	s_cbranch_scc1 .LBB387_203
; %bb.199:
	s_cmp_lt_i32 s0, 8
	s_cbranch_scc1 .LBB387_204
; %bb.200:
	;; [unrolled: 3-line block ×3, first 2 shown]
	s_cmp_gt_i32 s0, 9
	s_cbranch_scc0 .LBB387_206
; %bb.202:
	s_wait_loadcnt 0x0
	global_load_b64 v[2:3], v[0:1], off
	s_mov_b32 s15, 0
	s_wait_loadcnt 0x0
	v_cvt_i32_f64_e32 v2, v[2:3]
	s_branch .LBB387_207
.LBB387_203:
                                        ; implicit-def: $vgpr2
	s_branch .LBB387_225
.LBB387_204:
	s_mov_b32 s15, -1
                                        ; implicit-def: $vgpr2
	s_branch .LBB387_213
.LBB387_205:
	s_mov_b32 s15, -1
                                        ; implicit-def: $vgpr2
	s_branch .LBB387_210
.LBB387_206:
	s_mov_b32 s15, -1
                                        ; implicit-def: $vgpr2
.LBB387_207:
	s_delay_alu instid0(SALU_CYCLE_1)
	s_and_not1_b32 vcc_lo, exec_lo, s15
	s_cbranch_vccnz .LBB387_209
; %bb.208:
	s_wait_loadcnt 0x0
	global_load_b32 v2, v[0:1], off
	s_wait_loadcnt 0x0
	v_cvt_i32_f32_e32 v2, v2
.LBB387_209:
	s_mov_b32 s15, 0
.LBB387_210:
	s_delay_alu instid0(SALU_CYCLE_1)
	s_and_not1_b32 vcc_lo, exec_lo, s15
	s_cbranch_vccnz .LBB387_212
; %bb.211:
	s_wait_loadcnt 0x0
	global_load_b32 v2, v[0:1], off
	s_wait_loadcnt 0x0
	v_cvt_i16_f16_e32 v2, v2
.LBB387_212:
	s_mov_b32 s15, 0
.LBB387_213:
	s_delay_alu instid0(SALU_CYCLE_1)
	s_and_not1_b32 vcc_lo, exec_lo, s15
	s_cbranch_vccnz .LBB387_224
; %bb.214:
	s_cmp_lt_i32 s0, 6
	s_cbranch_scc1 .LBB387_217
; %bb.215:
	s_cmp_gt_i32 s0, 6
	s_cbranch_scc0 .LBB387_218
; %bb.216:
	s_wait_loadcnt 0x0
	global_load_b64 v[2:3], v[0:1], off
	s_mov_b32 s15, 0
	s_wait_loadcnt 0x0
	v_cvt_i32_f64_e32 v2, v[2:3]
	s_branch .LBB387_219
.LBB387_217:
	s_mov_b32 s15, -1
                                        ; implicit-def: $vgpr2
	s_branch .LBB387_222
.LBB387_218:
	s_mov_b32 s15, -1
                                        ; implicit-def: $vgpr2
.LBB387_219:
	s_delay_alu instid0(SALU_CYCLE_1)
	s_and_not1_b32 vcc_lo, exec_lo, s15
	s_cbranch_vccnz .LBB387_221
; %bb.220:
	s_wait_loadcnt 0x0
	global_load_b32 v2, v[0:1], off
	s_wait_loadcnt 0x0
	v_cvt_i32_f32_e32 v2, v2
.LBB387_221:
	s_mov_b32 s15, 0
.LBB387_222:
	s_delay_alu instid0(SALU_CYCLE_1)
	s_and_not1_b32 vcc_lo, exec_lo, s15
	s_cbranch_vccnz .LBB387_224
; %bb.223:
	s_wait_loadcnt 0x0
	global_load_u16 v2, v[0:1], off
	s_wait_loadcnt 0x0
	v_cvt_i16_f16_e32 v2, v2
.LBB387_224:
	s_cbranch_execnz .LBB387_244
.LBB387_225:
	s_cmp_lt_i32 s0, 2
	s_cbranch_scc1 .LBB387_229
; %bb.226:
	s_cmp_lt_i32 s0, 3
	s_cbranch_scc1 .LBB387_230
; %bb.227:
	s_cmp_gt_i32 s0, 3
	s_cbranch_scc0 .LBB387_231
; %bb.228:
	s_wait_loadcnt 0x0
	global_load_b64 v[2:3], v[0:1], off
	s_mov_b32 s15, 0
	s_branch .LBB387_232
.LBB387_229:
	s_mov_b32 s15, -1
                                        ; implicit-def: $vgpr2
	s_branch .LBB387_238
.LBB387_230:
	s_mov_b32 s15, -1
                                        ; implicit-def: $vgpr2
	s_branch .LBB387_235
.LBB387_231:
	s_mov_b32 s15, -1
                                        ; implicit-def: $vgpr2
.LBB387_232:
	s_delay_alu instid0(SALU_CYCLE_1)
	s_and_not1_b32 vcc_lo, exec_lo, s15
	s_cbranch_vccnz .LBB387_234
; %bb.233:
	s_wait_loadcnt 0x0
	global_load_b32 v2, v[0:1], off
.LBB387_234:
	s_mov_b32 s15, 0
.LBB387_235:
	s_delay_alu instid0(SALU_CYCLE_1)
	s_and_not1_b32 vcc_lo, exec_lo, s15
	s_cbranch_vccnz .LBB387_237
; %bb.236:
	s_wait_loadcnt 0x0
	global_load_u16 v2, v[0:1], off
.LBB387_237:
	s_mov_b32 s15, 0
.LBB387_238:
	s_delay_alu instid0(SALU_CYCLE_1)
	s_and_not1_b32 vcc_lo, exec_lo, s15
	s_cbranch_vccnz .LBB387_244
; %bb.239:
	s_cmp_gt_i32 s0, 0
	s_mov_b32 s0, 0
	s_cbranch_scc0 .LBB387_241
; %bb.240:
	s_wait_loadcnt 0x0
	global_load_u8 v2, v[0:1], off
	s_branch .LBB387_242
.LBB387_241:
	s_mov_b32 s0, -1
                                        ; implicit-def: $vgpr2
.LBB387_242:
	s_delay_alu instid0(SALU_CYCLE_1)
	s_and_not1_b32 vcc_lo, exec_lo, s0
	s_cbranch_vccnz .LBB387_244
; %bb.243:
	s_wait_loadcnt 0x0
	global_load_u8 v2, v[0:1], off
.LBB387_244:
	s_branch .LBB387_11
.LBB387_245:
	s_mov_b32 s0, 0
.LBB387_246:
	s_mov_b32 s19, 0
                                        ; implicit-def: $vgpr10
.LBB387_247:
	s_and_b32 s15, s0, exec_lo
	s_and_b32 s16, s16, exec_lo
	s_or_not1_b32 s20, s19, exec_lo
.LBB387_248:
	s_wait_xcnt 0x0
	s_or_b32 exec_lo, exec_lo, s17
	s_mov_b32 s19, 0
	s_mov_b32 s0, 0
                                        ; implicit-def: $vgpr0_vgpr1
                                        ; implicit-def: $vgpr2
	s_and_saveexec_b32 s17, s20
	s_cbranch_execz .LBB387_257
; %bb.249:
	s_mov_b32 s0, -1
	s_mov_b32 s18, s16
	s_mov_b32 s19, s15
	s_mov_b32 s20, exec_lo
	v_cmpx_gt_i32_e64 s14, v10
	s_cbranch_execz .LBB387_507
; %bb.250:
	v_mul_lo_u32 v0, v10, s9
	s_and_b32 s0, 0xffff, s3
	s_delay_alu instid0(SALU_CYCLE_1) | instskip(NEXT) | instid1(VALU_DEP_1)
	s_cmp_lt_i32 s0, 11
	v_ashrrev_i32_e32 v1, 31, v0
	s_delay_alu instid0(VALU_DEP_1)
	v_add_nc_u64_e32 v[0:1], s[6:7], v[0:1]
	s_cbranch_scc1 .LBB387_260
; %bb.251:
	s_cmp_gt_i32 s0, 25
	s_cbranch_scc0 .LBB387_269
; %bb.252:
	s_cmp_gt_i32 s0, 28
	s_cbranch_scc0 .LBB387_271
	;; [unrolled: 3-line block ×4, first 2 shown]
; %bb.255:
	s_cmp_eq_u32 s0, 46
	s_mov_b32 s21, 0
	s_cbranch_scc0 .LBB387_281
; %bb.256:
	s_wait_loadcnt 0x0
	global_load_b32 v2, v[0:1], off
	s_mov_b32 s19, -1
	s_mov_b32 s18, 0
	s_wait_loadcnt 0x0
	v_lshlrev_b32_e32 v2, 16, v2
	s_delay_alu instid0(VALU_DEP_1)
	v_cvt_i32_f32_e32 v2, v2
	s_branch .LBB387_283
.LBB387_257:
	s_or_b32 exec_lo, exec_lo, s17
	s_mov_b32 s14, 0
	s_and_saveexec_b32 s17, s16
	s_cbranch_execnz .LBB387_847
.LBB387_258:
	s_or_b32 exec_lo, exec_lo, s17
	s_and_saveexec_b32 s16, s18
	s_delay_alu instid0(SALU_CYCLE_1)
	s_xor_b32 s16, exec_lo, s16
	s_cbranch_execz .LBB387_848
.LBB387_259:
	s_wait_loadcnt 0x0
	global_load_u8 v2, v[0:1], off
	s_or_b32 s0, s0, exec_lo
	s_wait_loadcnt 0x0
	v_cmp_ne_u16_e32 vcc_lo, 0, v2
	v_cndmask_b32_e64 v2, 0, 1, vcc_lo
	s_wait_xcnt 0x0
	s_or_b32 exec_lo, exec_lo, s16
	s_and_saveexec_b32 s16, s19
	s_cbranch_execz .LBB387_894
	s_branch .LBB387_849
.LBB387_260:
	s_mov_b32 s19, 0
	s_mov_b32 s18, s16
                                        ; implicit-def: $vgpr2
	s_cbranch_execnz .LBB387_456
.LBB387_261:
	s_and_not1_b32 vcc_lo, exec_lo, s19
	s_cbranch_vccnz .LBB387_504
.LBB387_262:
	s_wait_xcnt 0x0
	v_mul_lo_u32 v0, v10, s8
	s_wait_loadcnt 0x0
	s_delay_alu instid0(VALU_DEP_2) | instskip(SKIP_2) | instid1(VALU_DEP_1)
	v_and_b32_e32 v2, 0xff, v2
	s_and_b32 s0, s11, 0xff
	s_and_b32 s21, s2, 0xff
	v_cmp_ne_u16_e32 vcc_lo, s0, v2
	s_xor_b32 s19, s13, vcc_lo
	s_delay_alu instid0(VALU_DEP_3) | instskip(SKIP_1) | instid1(VALU_DEP_1)
	v_ashrrev_i32_e32 v1, 31, v0
	s_cmp_lt_i32 s21, 11
	v_add_nc_u64_e32 v[0:1], s[4:5], v[0:1]
	s_cbranch_scc1 .LBB387_270
; %bb.263:
	s_and_b32 s22, 0xffff, s21
	s_delay_alu instid0(SALU_CYCLE_1)
	s_cmp_gt_i32 s22, 25
	s_cbranch_scc0 .LBB387_272
; %bb.264:
	s_cmp_gt_i32 s22, 28
	s_cbranch_scc0 .LBB387_274
; %bb.265:
	s_cmp_gt_i32 s22, 43
	s_cbranch_scc0 .LBB387_278
; %bb.266:
	s_cmp_gt_i32 s22, 45
	s_cbranch_scc0 .LBB387_286
; %bb.267:
	s_mov_b32 s24, 0
	s_mov_b32 s0, -1
	s_cmp_eq_u32 s22, 46
	s_mov_b32 s23, 0
	s_cbranch_scc0 .LBB387_287
; %bb.268:
	v_cndmask_b32_e64 v2, 0, 1.0, s19
	s_mov_b32 s23, -1
	s_mov_b32 s0, 0
	s_delay_alu instid0(VALU_DEP_1) | instskip(NEXT) | instid1(VALU_DEP_1)
	v_bfe_u32 v3, v2, 16, 1
	v_add3_u32 v2, v2, v3, 0x7fff
	s_delay_alu instid0(VALU_DEP_1)
	v_lshrrev_b32_e32 v2, 16, v2
	global_store_b32 v[0:1], v2, off
	s_branch .LBB387_287
.LBB387_269:
	s_mov_b32 s21, -1
	s_mov_b32 s19, 0
	s_mov_b32 s18, s16
                                        ; implicit-def: $vgpr2
	s_branch .LBB387_422
.LBB387_270:
	s_mov_b32 s22, -1
	s_mov_b32 s23, 0
	s_mov_b32 s0, s15
	s_branch .LBB387_356
.LBB387_271:
	s_mov_b32 s21, -1
	s_mov_b32 s19, 0
	s_mov_b32 s18, s16
                                        ; implicit-def: $vgpr2
	s_branch .LBB387_405
.LBB387_272:
	s_mov_b32 s24, -1
	s_mov_b32 s23, 0
	s_mov_b32 s0, s15
	s_branch .LBB387_314
.LBB387_273:
	s_mov_b32 s21, -1
	s_mov_b32 s19, 0
	s_mov_b32 s18, s16
                                        ; implicit-def: $vgpr2
	s_branch .LBB387_400
.LBB387_274:
	s_mov_b32 s24, -1
	s_mov_b32 s23, 0
	s_mov_b32 s0, s15
	s_branch .LBB387_297
.LBB387_275:
	s_and_not1_saveexec_b32 s23, s23
	s_cbranch_execz .LBB387_54
.LBB387_276:
	v_add_f32_e32 v2, 0x46000000, v3
	s_and_not1_b32 s22, s22, exec_lo
	s_delay_alu instid0(VALU_DEP_1) | instskip(NEXT) | instid1(VALU_DEP_1)
	v_and_b32_e32 v2, 0xff, v2
	v_cmp_ne_u32_e32 vcc_lo, 0, v2
	s_and_b32 s24, vcc_lo, exec_lo
	s_delay_alu instid0(SALU_CYCLE_1)
	s_or_b32 s22, s22, s24
	s_or_b32 exec_lo, exec_lo, s23
	v_mov_b32_e32 v4, 0
	s_and_saveexec_b32 s23, s22
	s_cbranch_execnz .LBB387_55
	s_branch .LBB387_56
.LBB387_277:
	s_mov_b32 s21, -1
	s_mov_b32 s19, 0
	s_mov_b32 s18, s16
	s_branch .LBB387_282
.LBB387_278:
	s_mov_b32 s24, -1
	s_mov_b32 s23, 0
	s_mov_b32 s0, s15
	s_branch .LBB387_293
.LBB387_279:
	s_and_not1_saveexec_b32 s23, s23
	s_cbranch_execz .LBB387_67
.LBB387_280:
	v_add_f32_e32 v2, 0x42800000, v3
	s_and_not1_b32 s22, s22, exec_lo
	s_delay_alu instid0(VALU_DEP_1) | instskip(NEXT) | instid1(VALU_DEP_1)
	v_and_b32_e32 v2, 0xff, v2
	v_cmp_ne_u32_e32 vcc_lo, 0, v2
	s_and_b32 s24, vcc_lo, exec_lo
	s_delay_alu instid0(SALU_CYCLE_1)
	s_or_b32 s22, s22, s24
	s_or_b32 exec_lo, exec_lo, s23
	v_mov_b32_e32 v4, 0
	s_and_saveexec_b32 s23, s22
	s_cbranch_execnz .LBB387_68
	s_branch .LBB387_69
.LBB387_281:
	s_mov_b32 s18, -1
	s_mov_b32 s19, 0
.LBB387_282:
                                        ; implicit-def: $vgpr2
.LBB387_283:
	s_and_b32 vcc_lo, exec_lo, s21
	s_cbranch_vccz .LBB387_399
; %bb.284:
	s_cmp_eq_u32 s0, 44
	s_cbranch_scc0 .LBB387_398
; %bb.285:
	s_wait_loadcnt 0x0
	global_load_u8 v2, v[0:1], off
	s_mov_b32 s18, 0
	s_mov_b32 s19, -1
	s_wait_loadcnt 0x0
	v_lshlrev_b32_e32 v3, 23, v2
	v_cmp_ne_u32_e32 vcc_lo, 0, v2
	s_delay_alu instid0(VALU_DEP_2) | instskip(NEXT) | instid1(VALU_DEP_1)
	v_cvt_i32_f32_e32 v3, v3
	v_cndmask_b32_e32 v2, 0, v3, vcc_lo
	s_branch .LBB387_399
.LBB387_286:
	s_mov_b32 s24, -1
	s_mov_b32 s23, 0
	s_mov_b32 s0, s15
.LBB387_287:
	s_and_b32 vcc_lo, exec_lo, s24
	s_cbranch_vccz .LBB387_292
; %bb.288:
	s_cmp_eq_u32 s22, 44
	s_mov_b32 s0, -1
	s_cbranch_scc0 .LBB387_292
; %bb.289:
	v_cndmask_b32_e64 v4, 0, 1.0, s19
	s_mov_b32 s23, exec_lo
	s_wait_xcnt 0x0
	s_delay_alu instid0(VALU_DEP_1) | instskip(NEXT) | instid1(VALU_DEP_1)
	v_dual_mov_b32 v3, 0xff :: v_dual_lshrrev_b32 v2, 23, v4
	v_cmpx_ne_u32_e32 0xff, v2
; %bb.290:
	v_and_b32_e32 v3, 0x400000, v4
	v_and_or_b32 v4, 0x3fffff, v4, v2
	s_delay_alu instid0(VALU_DEP_2) | instskip(NEXT) | instid1(VALU_DEP_2)
	v_cmp_ne_u32_e32 vcc_lo, 0, v3
	v_cmp_ne_u32_e64 s0, 0, v4
	s_and_b32 s0, vcc_lo, s0
	s_delay_alu instid0(SALU_CYCLE_1) | instskip(NEXT) | instid1(VALU_DEP_1)
	v_cndmask_b32_e64 v3, 0, 1, s0
	v_add_nc_u32_e32 v3, v2, v3
; %bb.291:
	s_or_b32 exec_lo, exec_lo, s23
	s_mov_b32 s23, -1
	s_mov_b32 s0, 0
	global_store_b8 v[0:1], v3, off
.LBB387_292:
	s_mov_b32 s24, 0
.LBB387_293:
	s_delay_alu instid0(SALU_CYCLE_1)
	s_and_b32 vcc_lo, exec_lo, s24
	s_cbranch_vccz .LBB387_296
; %bb.294:
	s_cmp_eq_u32 s22, 29
	s_mov_b32 s0, -1
	s_cbranch_scc0 .LBB387_296
; %bb.295:
	s_mov_b32 s0, 0
	s_wait_xcnt 0x0
	v_cndmask_b32_e64 v2, 0, 1, s19
	v_mov_b32_e32 v3, s0
	s_mov_b32 s23, -1
	s_mov_b32 s24, 0
	global_store_b64 v[0:1], v[2:3], off
	s_branch .LBB387_297
.LBB387_296:
	s_mov_b32 s24, 0
.LBB387_297:
	s_delay_alu instid0(SALU_CYCLE_1)
	s_and_b32 vcc_lo, exec_lo, s24
	s_cbranch_vccz .LBB387_313
; %bb.298:
	s_cmp_lt_i32 s22, 27
	s_mov_b32 s23, -1
	s_cbranch_scc1 .LBB387_304
; %bb.299:
	s_cmp_gt_i32 s22, 27
	s_cbranch_scc0 .LBB387_301
; %bb.300:
	s_wait_xcnt 0x0
	v_cndmask_b32_e64 v2, 0, 1, s19
	s_mov_b32 s23, 0
	global_store_b32 v[0:1], v2, off
.LBB387_301:
	s_and_not1_b32 vcc_lo, exec_lo, s23
	s_cbranch_vccnz .LBB387_303
; %bb.302:
	s_wait_xcnt 0x0
	v_cndmask_b32_e64 v2, 0, 1, s19
	global_store_b16 v[0:1], v2, off
.LBB387_303:
	s_mov_b32 s23, 0
.LBB387_304:
	s_delay_alu instid0(SALU_CYCLE_1)
	s_and_not1_b32 vcc_lo, exec_lo, s23
	s_cbranch_vccnz .LBB387_312
; %bb.305:
	s_wait_xcnt 0x0
	v_cndmask_b32_e64 v3, 0, 1.0, s19
	v_mov_b32_e32 v4, 0x80
	s_mov_b32 s23, exec_lo
	s_delay_alu instid0(VALU_DEP_2)
	v_cmpx_gt_u32_e32 0x43800000, v3
	s_cbranch_execz .LBB387_311
; %bb.306:
	s_mov_b32 s24, 0
	s_mov_b32 s25, exec_lo
                                        ; implicit-def: $vgpr2
	v_cmpx_lt_u32_e32 0x3bffffff, v3
	s_xor_b32 s25, exec_lo, s25
	s_cbranch_execz .LBB387_520
; %bb.307:
	v_bfe_u32 v2, v3, 20, 1
	s_mov_b32 s24, exec_lo
	s_delay_alu instid0(VALU_DEP_1) | instskip(NEXT) | instid1(VALU_DEP_1)
	v_add3_u32 v2, v3, v2, 0x487ffff
                                        ; implicit-def: $vgpr3
	v_lshrrev_b32_e32 v2, 20, v2
	s_and_not1_saveexec_b32 s25, s25
	s_cbranch_execnz .LBB387_521
.LBB387_308:
	s_or_b32 exec_lo, exec_lo, s25
	v_mov_b32_e32 v4, 0
	s_and_saveexec_b32 s25, s24
.LBB387_309:
	v_mov_b32_e32 v4, v2
.LBB387_310:
	s_or_b32 exec_lo, exec_lo, s25
.LBB387_311:
	s_delay_alu instid0(SALU_CYCLE_1)
	s_or_b32 exec_lo, exec_lo, s23
	global_store_b8 v[0:1], v4, off
.LBB387_312:
	s_mov_b32 s23, -1
.LBB387_313:
	s_mov_b32 s24, 0
.LBB387_314:
	s_delay_alu instid0(SALU_CYCLE_1)
	s_and_b32 vcc_lo, exec_lo, s24
	s_cbranch_vccz .LBB387_355
; %bb.315:
	s_cmp_gt_i32 s22, 22
	s_mov_b32 s24, -1
	s_cbranch_scc0 .LBB387_347
; %bb.316:
	s_cmp_lt_i32 s22, 24
	s_mov_b32 s23, -1
	s_cbranch_scc1 .LBB387_336
; %bb.317:
	s_cmp_gt_i32 s22, 24
	s_cbranch_scc0 .LBB387_325
; %bb.318:
	s_wait_xcnt 0x0
	v_cndmask_b32_e64 v3, 0, 1.0, s19
	v_mov_b32_e32 v4, 0x80
	s_mov_b32 s23, exec_lo
	s_delay_alu instid0(VALU_DEP_2)
	v_cmpx_gt_u32_e32 0x47800000, v3
	s_cbranch_execz .LBB387_324
; %bb.319:
	s_mov_b32 s24, 0
	s_mov_b32 s25, exec_lo
                                        ; implicit-def: $vgpr2
	v_cmpx_lt_u32_e32 0x37ffffff, v3
	s_xor_b32 s25, exec_lo, s25
	s_cbranch_execz .LBB387_523
; %bb.320:
	v_bfe_u32 v2, v3, 21, 1
	s_mov_b32 s24, exec_lo
	s_delay_alu instid0(VALU_DEP_1) | instskip(NEXT) | instid1(VALU_DEP_1)
	v_add3_u32 v2, v3, v2, 0x88fffff
                                        ; implicit-def: $vgpr3
	v_lshrrev_b32_e32 v2, 21, v2
	s_and_not1_saveexec_b32 s25, s25
	s_cbranch_execnz .LBB387_524
.LBB387_321:
	s_or_b32 exec_lo, exec_lo, s25
	v_mov_b32_e32 v4, 0
	s_and_saveexec_b32 s25, s24
.LBB387_322:
	v_mov_b32_e32 v4, v2
.LBB387_323:
	s_or_b32 exec_lo, exec_lo, s25
.LBB387_324:
	s_delay_alu instid0(SALU_CYCLE_1)
	s_or_b32 exec_lo, exec_lo, s23
	s_mov_b32 s23, 0
	global_store_b8 v[0:1], v4, off
.LBB387_325:
	s_and_b32 vcc_lo, exec_lo, s23
	s_cbranch_vccz .LBB387_335
; %bb.326:
	s_wait_xcnt 0x0
	v_cndmask_b32_e64 v3, 0, 1.0, s19
	s_mov_b32 s23, exec_lo
                                        ; implicit-def: $vgpr2
	s_delay_alu instid0(VALU_DEP_1)
	v_cmpx_gt_u32_e32 0x43f00000, v3
	s_xor_b32 s23, exec_lo, s23
	s_cbranch_execz .LBB387_332
; %bb.327:
	s_mov_b32 s24, exec_lo
                                        ; implicit-def: $vgpr2
	v_cmpx_lt_u32_e32 0x3c7fffff, v3
	s_xor_b32 s24, exec_lo, s24
; %bb.328:
	v_bfe_u32 v2, v3, 20, 1
	s_delay_alu instid0(VALU_DEP_1) | instskip(NEXT) | instid1(VALU_DEP_1)
	v_add3_u32 v2, v3, v2, 0x407ffff
	v_and_b32_e32 v3, 0xff00000, v2
	v_lshrrev_b32_e32 v2, 20, v2
	s_delay_alu instid0(VALU_DEP_2) | instskip(NEXT) | instid1(VALU_DEP_2)
	v_cmp_ne_u32_e32 vcc_lo, 0x7f00000, v3
                                        ; implicit-def: $vgpr3
	v_cndmask_b32_e32 v2, 0x7e, v2, vcc_lo
; %bb.329:
	s_and_not1_saveexec_b32 s24, s24
; %bb.330:
	v_add_f32_e32 v2, 0x46800000, v3
; %bb.331:
	s_or_b32 exec_lo, exec_lo, s24
                                        ; implicit-def: $vgpr3
.LBB387_332:
	s_and_not1_saveexec_b32 s23, s23
; %bb.333:
	v_mov_b32_e32 v2, 0x7f
	v_cmp_lt_u32_e32 vcc_lo, 0x7f800000, v3
	s_delay_alu instid0(VALU_DEP_2)
	v_cndmask_b32_e32 v2, 0x7e, v2, vcc_lo
; %bb.334:
	s_or_b32 exec_lo, exec_lo, s23
	global_store_b8 v[0:1], v2, off
.LBB387_335:
	s_mov_b32 s23, 0
.LBB387_336:
	s_delay_alu instid0(SALU_CYCLE_1)
	s_and_not1_b32 vcc_lo, exec_lo, s23
	s_cbranch_vccnz .LBB387_346
; %bb.337:
	s_wait_xcnt 0x0
	v_cndmask_b32_e64 v3, 0, 1.0, s19
	s_mov_b32 s23, exec_lo
                                        ; implicit-def: $vgpr2
	s_delay_alu instid0(VALU_DEP_1)
	v_cmpx_gt_u32_e32 0x47800000, v3
	s_xor_b32 s23, exec_lo, s23
	s_cbranch_execz .LBB387_343
; %bb.338:
	s_mov_b32 s24, exec_lo
                                        ; implicit-def: $vgpr2
	v_cmpx_lt_u32_e32 0x387fffff, v3
	s_xor_b32 s24, exec_lo, s24
; %bb.339:
	v_bfe_u32 v2, v3, 21, 1
	s_delay_alu instid0(VALU_DEP_1) | instskip(NEXT) | instid1(VALU_DEP_1)
	v_add3_u32 v2, v3, v2, 0x80fffff
                                        ; implicit-def: $vgpr3
	v_lshrrev_b32_e32 v2, 21, v2
; %bb.340:
	s_and_not1_saveexec_b32 s24, s24
; %bb.341:
	v_add_f32_e32 v2, 0x43000000, v3
; %bb.342:
	s_or_b32 exec_lo, exec_lo, s24
                                        ; implicit-def: $vgpr3
.LBB387_343:
	s_and_not1_saveexec_b32 s23, s23
; %bb.344:
	v_mov_b32_e32 v2, 0x7f
	v_cmp_lt_u32_e32 vcc_lo, 0x7f800000, v3
	s_delay_alu instid0(VALU_DEP_2)
	v_cndmask_b32_e32 v2, 0x7c, v2, vcc_lo
; %bb.345:
	s_or_b32 exec_lo, exec_lo, s23
	global_store_b8 v[0:1], v2, off
.LBB387_346:
	s_mov_b32 s24, 0
	s_mov_b32 s23, -1
.LBB387_347:
	s_and_not1_b32 vcc_lo, exec_lo, s24
	s_cbranch_vccnz .LBB387_355
; %bb.348:
	s_cmp_gt_i32 s22, 14
	s_mov_b32 s24, -1
	s_cbranch_scc0 .LBB387_352
; %bb.349:
	s_cmp_eq_u32 s22, 15
	s_mov_b32 s0, -1
	s_cbranch_scc0 .LBB387_351
; %bb.350:
	s_wait_xcnt 0x0
	v_cndmask_b32_e64 v2, 0, 1.0, s19
	s_mov_b32 s23, -1
	s_mov_b32 s0, 0
	s_delay_alu instid0(VALU_DEP_1) | instskip(NEXT) | instid1(VALU_DEP_1)
	v_bfe_u32 v3, v2, 16, 1
	v_add3_u32 v2, v2, v3, 0x7fff
	global_store_d16_hi_b16 v[0:1], v2, off
.LBB387_351:
	s_mov_b32 s24, 0
.LBB387_352:
	s_delay_alu instid0(SALU_CYCLE_1)
	s_and_b32 vcc_lo, exec_lo, s24
	s_cbranch_vccz .LBB387_355
; %bb.353:
	s_cmp_eq_u32 s22, 11
	s_mov_b32 s0, -1
	s_cbranch_scc0 .LBB387_355
; %bb.354:
	s_wait_xcnt 0x0
	v_cndmask_b32_e64 v2, 0, 1, s19
	s_mov_b32 s23, -1
	s_mov_b32 s0, 0
	global_store_b8 v[0:1], v2, off
.LBB387_355:
	s_mov_b32 s22, 0
.LBB387_356:
	s_delay_alu instid0(SALU_CYCLE_1)
	s_and_b32 vcc_lo, exec_lo, s22
	s_cbranch_vccz .LBB387_395
; %bb.357:
	s_and_b32 s21, 0xffff, s21
	s_mov_b32 s22, -1
	s_cmp_lt_i32 s21, 5
	s_cbranch_scc1 .LBB387_378
; %bb.358:
	s_cmp_lt_i32 s21, 8
	s_cbranch_scc1 .LBB387_368
; %bb.359:
	;; [unrolled: 3-line block ×3, first 2 shown]
	s_cmp_gt_i32 s21, 9
	s_cbranch_scc0 .LBB387_362
; %bb.361:
	s_wait_xcnt 0x0
	v_cndmask_b32_e64 v2, 0, 1, s19
	v_mov_b32_e32 v4, 0
	s_mov_b32 s22, 0
	s_delay_alu instid0(VALU_DEP_2) | instskip(NEXT) | instid1(VALU_DEP_2)
	v_cvt_f64_u32_e32 v[2:3], v2
	v_mov_b32_e32 v5, v4
	global_store_b128 v[0:1], v[2:5], off
.LBB387_362:
	s_and_not1_b32 vcc_lo, exec_lo, s22
	s_cbranch_vccnz .LBB387_364
; %bb.363:
	s_wait_xcnt 0x0
	v_cndmask_b32_e64 v2, 0, 1.0, s19
	v_mov_b32_e32 v3, 0
	global_store_b64 v[0:1], v[2:3], off
.LBB387_364:
	s_mov_b32 s22, 0
.LBB387_365:
	s_delay_alu instid0(SALU_CYCLE_1)
	s_and_not1_b32 vcc_lo, exec_lo, s22
	s_cbranch_vccnz .LBB387_367
; %bb.366:
	s_wait_xcnt 0x0
	v_cndmask_b32_e64 v2, 0, 1.0, s19
	s_delay_alu instid0(VALU_DEP_1) | instskip(NEXT) | instid1(VALU_DEP_1)
	v_cvt_f16_f32_e32 v2, v2
	v_and_b32_e32 v2, 0xffff, v2
	global_store_b32 v[0:1], v2, off
.LBB387_367:
	s_mov_b32 s22, 0
.LBB387_368:
	s_delay_alu instid0(SALU_CYCLE_1)
	s_and_not1_b32 vcc_lo, exec_lo, s22
	s_cbranch_vccnz .LBB387_377
; %bb.369:
	s_cmp_lt_i32 s21, 6
	s_mov_b32 s22, -1
	s_cbranch_scc1 .LBB387_375
; %bb.370:
	s_cmp_gt_i32 s21, 6
	s_cbranch_scc0 .LBB387_372
; %bb.371:
	s_wait_xcnt 0x0
	v_cndmask_b32_e64 v2, 0, 1, s19
	s_mov_b32 s22, 0
	s_delay_alu instid0(VALU_DEP_1)
	v_cvt_f64_u32_e32 v[2:3], v2
	global_store_b64 v[0:1], v[2:3], off
.LBB387_372:
	s_and_not1_b32 vcc_lo, exec_lo, s22
	s_cbranch_vccnz .LBB387_374
; %bb.373:
	s_wait_xcnt 0x0
	v_cndmask_b32_e64 v2, 0, 1.0, s19
	global_store_b32 v[0:1], v2, off
.LBB387_374:
	s_mov_b32 s22, 0
.LBB387_375:
	s_delay_alu instid0(SALU_CYCLE_1)
	s_and_not1_b32 vcc_lo, exec_lo, s22
	s_cbranch_vccnz .LBB387_377
; %bb.376:
	s_wait_xcnt 0x0
	v_cndmask_b32_e64 v2, 0, 1.0, s19
	s_delay_alu instid0(VALU_DEP_1)
	v_cvt_f16_f32_e32 v2, v2
	global_store_b16 v[0:1], v2, off
.LBB387_377:
	s_mov_b32 s22, 0
.LBB387_378:
	s_delay_alu instid0(SALU_CYCLE_1)
	s_and_not1_b32 vcc_lo, exec_lo, s22
	s_cbranch_vccnz .LBB387_394
; %bb.379:
	s_cmp_lt_i32 s21, 2
	s_mov_b32 s22, -1
	s_cbranch_scc1 .LBB387_389
; %bb.380:
	s_cmp_lt_i32 s21, 3
	s_cbranch_scc1 .LBB387_386
; %bb.381:
	s_cmp_gt_i32 s21, 3
	s_cbranch_scc0 .LBB387_383
; %bb.382:
	s_mov_b32 s22, 0
	s_wait_xcnt 0x0
	v_cndmask_b32_e64 v2, 0, 1, s19
	v_mov_b32_e32 v3, s22
	global_store_b64 v[0:1], v[2:3], off
.LBB387_383:
	s_and_not1_b32 vcc_lo, exec_lo, s22
	s_cbranch_vccnz .LBB387_385
; %bb.384:
	s_wait_xcnt 0x0
	v_cndmask_b32_e64 v2, 0, 1, s19
	global_store_b32 v[0:1], v2, off
.LBB387_385:
	s_mov_b32 s22, 0
.LBB387_386:
	s_delay_alu instid0(SALU_CYCLE_1)
	s_and_not1_b32 vcc_lo, exec_lo, s22
	s_cbranch_vccnz .LBB387_388
; %bb.387:
	s_wait_xcnt 0x0
	v_cndmask_b32_e64 v2, 0, 1, s19
	global_store_b16 v[0:1], v2, off
.LBB387_388:
	s_mov_b32 s22, 0
.LBB387_389:
	s_delay_alu instid0(SALU_CYCLE_1)
	s_and_not1_b32 vcc_lo, exec_lo, s22
	s_cbranch_vccnz .LBB387_394
; %bb.390:
	s_wait_xcnt 0x0
	v_cndmask_b32_e64 v2, 0, 1, s19
	s_cmp_gt_i32 s21, 0
	s_mov_b32 s19, -1
	s_cbranch_scc0 .LBB387_392
; %bb.391:
	s_mov_b32 s19, 0
	global_store_b8 v[0:1], v2, off
.LBB387_392:
	s_and_not1_b32 vcc_lo, exec_lo, s19
	s_cbranch_vccnz .LBB387_394
; %bb.393:
	global_store_b8 v[0:1], v2, off
.LBB387_394:
	s_mov_b32 s23, -1
.LBB387_395:
	s_delay_alu instid0(SALU_CYCLE_1)
	s_and_not1_b32 vcc_lo, exec_lo, s23
	s_cbranch_vccnz .LBB387_397
; %bb.396:
	v_add_nc_u32_e32 v10, 0x80, v10
	s_mov_b32 s21, -1
	s_branch .LBB387_506
.LBB387_397:
	s_mov_b32 s21, 0
	s_branch .LBB387_505
.LBB387_398:
	s_mov_b32 s18, -1
                                        ; implicit-def: $vgpr2
.LBB387_399:
	s_mov_b32 s21, 0
.LBB387_400:
	s_delay_alu instid0(SALU_CYCLE_1)
	s_and_b32 vcc_lo, exec_lo, s21
	s_cbranch_vccz .LBB387_404
; %bb.401:
	s_cmp_eq_u32 s0, 29
	s_cbranch_scc0 .LBB387_403
; %bb.402:
	s_wait_loadcnt 0x0
	global_load_b64 v[2:3], v[0:1], off
	s_mov_b32 s19, -1
	s_mov_b32 s18, 0
	s_branch .LBB387_404
.LBB387_403:
	s_mov_b32 s18, -1
                                        ; implicit-def: $vgpr2
.LBB387_404:
	s_mov_b32 s21, 0
.LBB387_405:
	s_delay_alu instid0(SALU_CYCLE_1)
	s_and_b32 vcc_lo, exec_lo, s21
	s_cbranch_vccz .LBB387_421
; %bb.406:
	s_cmp_lt_i32 s0, 27
	s_cbranch_scc1 .LBB387_409
; %bb.407:
	s_cmp_gt_i32 s0, 27
	s_cbranch_scc0 .LBB387_410
; %bb.408:
	s_wait_loadcnt 0x0
	global_load_b32 v2, v[0:1], off
	s_mov_b32 s19, 0
	s_branch .LBB387_411
.LBB387_409:
	s_mov_b32 s19, -1
                                        ; implicit-def: $vgpr2
	s_branch .LBB387_414
.LBB387_410:
	s_mov_b32 s19, -1
                                        ; implicit-def: $vgpr2
.LBB387_411:
	s_delay_alu instid0(SALU_CYCLE_1)
	s_and_not1_b32 vcc_lo, exec_lo, s19
	s_cbranch_vccnz .LBB387_413
; %bb.412:
	s_wait_loadcnt 0x0
	global_load_u16 v2, v[0:1], off
.LBB387_413:
	s_mov_b32 s19, 0
.LBB387_414:
	s_delay_alu instid0(SALU_CYCLE_1)
	s_and_not1_b32 vcc_lo, exec_lo, s19
	s_cbranch_vccnz .LBB387_420
; %bb.415:
	s_wait_loadcnt 0x0
	global_load_u8 v3, v[0:1], off
	s_mov_b32 s21, 0
	s_mov_b32 s19, exec_lo
	s_wait_loadcnt 0x0
	v_cmpx_lt_i16_e32 0x7f, v3
	s_xor_b32 s19, exec_lo, s19
	s_cbranch_execz .LBB387_432
; %bb.416:
	v_cmp_ne_u16_e32 vcc_lo, 0x80, v3
	s_and_b32 s21, vcc_lo, exec_lo
	s_and_not1_saveexec_b32 s19, s19
	s_cbranch_execnz .LBB387_433
.LBB387_417:
	s_or_b32 exec_lo, exec_lo, s19
	v_mov_b32_e32 v2, 0
	s_and_saveexec_b32 s19, s21
	s_cbranch_execz .LBB387_419
.LBB387_418:
	v_and_b32_e32 v2, 0xffff, v3
	s_delay_alu instid0(VALU_DEP_1) | instskip(SKIP_1) | instid1(VALU_DEP_2)
	v_and_b32_e32 v4, 7, v2
	v_bfe_u32 v7, v2, 3, 4
	v_clz_i32_u32_e32 v5, v4
	s_delay_alu instid0(VALU_DEP_2) | instskip(NEXT) | instid1(VALU_DEP_2)
	v_cmp_eq_u32_e32 vcc_lo, 0, v7
	v_min_u32_e32 v5, 32, v5
	s_delay_alu instid0(VALU_DEP_1) | instskip(NEXT) | instid1(VALU_DEP_1)
	v_subrev_nc_u32_e32 v6, 28, v5
	v_dual_lshlrev_b32 v2, v6, v2 :: v_dual_sub_nc_u32 v5, 29, v5
	s_delay_alu instid0(VALU_DEP_1) | instskip(NEXT) | instid1(VALU_DEP_1)
	v_dual_lshlrev_b32 v3, 24, v3 :: v_dual_bitop2_b32 v2, 7, v2 bitop3:0x40
	v_dual_cndmask_b32 v5, v7, v5 :: v_dual_cndmask_b32 v2, v4, v2
	s_delay_alu instid0(VALU_DEP_2) | instskip(NEXT) | instid1(VALU_DEP_2)
	v_and_b32_e32 v3, 0x80000000, v3
	v_lshl_add_u32 v4, v5, 23, 0x3b800000
	s_delay_alu instid0(VALU_DEP_3) | instskip(NEXT) | instid1(VALU_DEP_1)
	v_lshlrev_b32_e32 v2, 20, v2
	v_or3_b32 v2, v3, v4, v2
	s_delay_alu instid0(VALU_DEP_1)
	v_cvt_i32_f32_e32 v2, v2
.LBB387_419:
	s_or_b32 exec_lo, exec_lo, s19
.LBB387_420:
	s_mov_b32 s19, -1
.LBB387_421:
	s_mov_b32 s21, 0
.LBB387_422:
	s_delay_alu instid0(SALU_CYCLE_1)
	s_and_b32 vcc_lo, exec_lo, s21
	s_cbranch_vccz .LBB387_455
; %bb.423:
	s_cmp_gt_i32 s0, 22
	s_cbranch_scc0 .LBB387_431
; %bb.424:
	s_cmp_lt_i32 s0, 24
	s_cbranch_scc1 .LBB387_434
; %bb.425:
	s_cmp_gt_i32 s0, 24
	s_cbranch_scc0 .LBB387_435
; %bb.426:
	s_wait_loadcnt 0x0
	global_load_u8 v3, v[0:1], off
	s_mov_b32 s21, 0
	s_mov_b32 s19, exec_lo
	s_wait_loadcnt 0x0
	v_cmpx_lt_i16_e32 0x7f, v3
	s_xor_b32 s19, exec_lo, s19
	s_cbranch_execz .LBB387_447
; %bb.427:
	v_cmp_ne_u16_e32 vcc_lo, 0x80, v3
	s_and_b32 s21, vcc_lo, exec_lo
	s_and_not1_saveexec_b32 s19, s19
	s_cbranch_execnz .LBB387_448
.LBB387_428:
	s_or_b32 exec_lo, exec_lo, s19
	v_mov_b32_e32 v2, 0
	s_and_saveexec_b32 s19, s21
	s_cbranch_execz .LBB387_430
.LBB387_429:
	v_and_b32_e32 v2, 0xffff, v3
	s_delay_alu instid0(VALU_DEP_1) | instskip(SKIP_1) | instid1(VALU_DEP_2)
	v_and_b32_e32 v4, 3, v2
	v_bfe_u32 v7, v2, 2, 5
	v_clz_i32_u32_e32 v5, v4
	s_delay_alu instid0(VALU_DEP_2) | instskip(NEXT) | instid1(VALU_DEP_2)
	v_cmp_eq_u32_e32 vcc_lo, 0, v7
	v_min_u32_e32 v5, 32, v5
	s_delay_alu instid0(VALU_DEP_1) | instskip(NEXT) | instid1(VALU_DEP_1)
	v_subrev_nc_u32_e32 v6, 29, v5
	v_dual_lshlrev_b32 v2, v6, v2 :: v_dual_sub_nc_u32 v5, 30, v5
	s_delay_alu instid0(VALU_DEP_1) | instskip(NEXT) | instid1(VALU_DEP_1)
	v_dual_lshlrev_b32 v3, 24, v3 :: v_dual_bitop2_b32 v2, 3, v2 bitop3:0x40
	v_dual_cndmask_b32 v5, v7, v5 :: v_dual_cndmask_b32 v2, v4, v2
	s_delay_alu instid0(VALU_DEP_2) | instskip(NEXT) | instid1(VALU_DEP_2)
	v_and_b32_e32 v3, 0x80000000, v3
	v_lshl_add_u32 v4, v5, 23, 0x37800000
	s_delay_alu instid0(VALU_DEP_3) | instskip(NEXT) | instid1(VALU_DEP_1)
	v_lshlrev_b32_e32 v2, 21, v2
	v_or3_b32 v2, v3, v4, v2
	s_delay_alu instid0(VALU_DEP_1)
	v_cvt_i32_f32_e32 v2, v2
.LBB387_430:
	s_or_b32 exec_lo, exec_lo, s19
	s_mov_b32 s19, 0
	s_branch .LBB387_436
.LBB387_431:
	s_mov_b32 s21, -1
                                        ; implicit-def: $vgpr2
	s_branch .LBB387_442
.LBB387_432:
	s_and_not1_saveexec_b32 s19, s19
	s_cbranch_execz .LBB387_417
.LBB387_433:
	v_cmp_ne_u16_e32 vcc_lo, 0, v3
	s_and_not1_b32 s21, s21, exec_lo
	s_and_b32 s22, vcc_lo, exec_lo
	s_delay_alu instid0(SALU_CYCLE_1)
	s_or_b32 s21, s21, s22
	s_or_b32 exec_lo, exec_lo, s19
	v_mov_b32_e32 v2, 0
	s_and_saveexec_b32 s19, s21
	s_cbranch_execnz .LBB387_418
	s_branch .LBB387_419
.LBB387_434:
	s_mov_b32 s19, -1
                                        ; implicit-def: $vgpr2
	s_branch .LBB387_439
.LBB387_435:
	s_mov_b32 s19, -1
                                        ; implicit-def: $vgpr2
.LBB387_436:
	s_delay_alu instid0(SALU_CYCLE_1)
	s_and_b32 vcc_lo, exec_lo, s19
	s_cbranch_vccz .LBB387_438
; %bb.437:
	s_wait_loadcnt 0x0
	global_load_u8 v2, v[0:1], off
	s_wait_loadcnt 0x0
	v_lshlrev_b32_e32 v2, 24, v2
	s_delay_alu instid0(VALU_DEP_1) | instskip(NEXT) | instid1(VALU_DEP_1)
	v_and_b32_e32 v3, 0x7f000000, v2
	v_clz_i32_u32_e32 v4, v3
	v_cmp_ne_u32_e32 vcc_lo, 0, v3
	v_add_nc_u32_e32 v6, 0x1000000, v3
	s_delay_alu instid0(VALU_DEP_3) | instskip(NEXT) | instid1(VALU_DEP_1)
	v_min_u32_e32 v4, 32, v4
	v_sub_nc_u32_e64 v4, v4, 4 clamp
	s_delay_alu instid0(VALU_DEP_1) | instskip(NEXT) | instid1(VALU_DEP_1)
	v_dual_lshlrev_b32 v5, v4, v3 :: v_dual_lshlrev_b32 v4, 23, v4
	v_lshrrev_b32_e32 v5, 4, v5
	s_delay_alu instid0(VALU_DEP_1) | instskip(NEXT) | instid1(VALU_DEP_1)
	v_dual_sub_nc_u32 v4, v5, v4 :: v_dual_ashrrev_i32 v5, 8, v6
	v_add_nc_u32_e32 v4, 0x3c000000, v4
	s_delay_alu instid0(VALU_DEP_1) | instskip(NEXT) | instid1(VALU_DEP_1)
	v_and_or_b32 v4, 0x7f800000, v5, v4
	v_cndmask_b32_e32 v3, 0, v4, vcc_lo
	s_delay_alu instid0(VALU_DEP_1) | instskip(NEXT) | instid1(VALU_DEP_1)
	v_and_or_b32 v2, 0x80000000, v2, v3
	v_cvt_i32_f32_e32 v2, v2
.LBB387_438:
	s_mov_b32 s19, 0
.LBB387_439:
	s_delay_alu instid0(SALU_CYCLE_1)
	s_and_not1_b32 vcc_lo, exec_lo, s19
	s_cbranch_vccnz .LBB387_441
; %bb.440:
	s_wait_loadcnt 0x0
	global_load_u8 v2, v[0:1], off
	s_wait_loadcnt 0x0
	v_lshlrev_b32_e32 v3, 25, v2
	v_lshlrev_b16 v2, 8, v2
	s_delay_alu instid0(VALU_DEP_1) | instskip(SKIP_1) | instid1(VALU_DEP_2)
	v_and_or_b32 v5, 0x7f00, v2, 0.5
	v_bfe_i32 v2, v2, 0, 16
	v_dual_add_f32 v5, -0.5, v5 :: v_dual_lshrrev_b32 v4, 4, v3
	v_cmp_gt_u32_e32 vcc_lo, 0x8000000, v3
	s_delay_alu instid0(VALU_DEP_2) | instskip(NEXT) | instid1(VALU_DEP_1)
	v_or_b32_e32 v4, 0x70000000, v4
	v_mul_f32_e32 v4, 0x7800000, v4
	s_delay_alu instid0(VALU_DEP_1) | instskip(NEXT) | instid1(VALU_DEP_1)
	v_cndmask_b32_e32 v3, v4, v5, vcc_lo
	v_and_or_b32 v2, 0x80000000, v2, v3
	s_delay_alu instid0(VALU_DEP_1)
	v_cvt_i32_f32_e32 v2, v2
.LBB387_441:
	s_mov_b32 s21, 0
	s_mov_b32 s19, -1
.LBB387_442:
	s_and_not1_b32 vcc_lo, exec_lo, s21
	s_cbranch_vccnz .LBB387_455
; %bb.443:
	s_cmp_gt_i32 s0, 14
	s_cbranch_scc0 .LBB387_446
; %bb.444:
	s_cmp_eq_u32 s0, 15
	s_cbranch_scc0 .LBB387_449
; %bb.445:
	s_wait_loadcnt 0x0
	global_load_u16 v2, v[0:1], off
	s_mov_b32 s19, -1
	s_mov_b32 s18, 0
	s_wait_loadcnt 0x0
	v_lshlrev_b32_e32 v2, 16, v2
	s_delay_alu instid0(VALU_DEP_1)
	v_cvt_i32_f32_e32 v2, v2
	s_branch .LBB387_450
.LBB387_446:
	s_mov_b32 s21, -1
                                        ; implicit-def: $vgpr2
	s_branch .LBB387_451
.LBB387_447:
	s_and_not1_saveexec_b32 s19, s19
	s_cbranch_execz .LBB387_428
.LBB387_448:
	v_cmp_ne_u16_e32 vcc_lo, 0, v3
	s_and_not1_b32 s21, s21, exec_lo
	s_and_b32 s22, vcc_lo, exec_lo
	s_delay_alu instid0(SALU_CYCLE_1)
	s_or_b32 s21, s21, s22
	s_or_b32 exec_lo, exec_lo, s19
	v_mov_b32_e32 v2, 0
	s_and_saveexec_b32 s19, s21
	s_cbranch_execnz .LBB387_429
	s_branch .LBB387_430
.LBB387_449:
	s_mov_b32 s18, -1
                                        ; implicit-def: $vgpr2
.LBB387_450:
	s_mov_b32 s21, 0
.LBB387_451:
	s_delay_alu instid0(SALU_CYCLE_1)
	s_and_b32 vcc_lo, exec_lo, s21
	s_cbranch_vccz .LBB387_455
; %bb.452:
	s_cmp_eq_u32 s0, 11
	s_cbranch_scc0 .LBB387_454
; %bb.453:
	s_wait_loadcnt 0x0
	global_load_u8 v2, v[0:1], off
	s_mov_b32 s18, 0
	s_mov_b32 s19, -1
	s_wait_loadcnt 0x0
	v_cmp_ne_u16_e32 vcc_lo, 0, v2
	v_cndmask_b32_e64 v2, 0, 1, vcc_lo
	s_branch .LBB387_455
.LBB387_454:
	s_mov_b32 s18, -1
                                        ; implicit-def: $vgpr2
.LBB387_455:
	s_branch .LBB387_261
.LBB387_456:
	s_cmp_lt_i32 s0, 5
	s_cbranch_scc1 .LBB387_461
; %bb.457:
	s_cmp_lt_i32 s0, 8
	s_cbranch_scc1 .LBB387_462
; %bb.458:
	;; [unrolled: 3-line block ×3, first 2 shown]
	s_cmp_gt_i32 s0, 9
	s_cbranch_scc0 .LBB387_464
; %bb.460:
	s_wait_loadcnt 0x0
	global_load_b64 v[2:3], v[0:1], off
	s_mov_b32 s19, 0
	s_wait_loadcnt 0x0
	v_cvt_i32_f64_e32 v2, v[2:3]
	s_branch .LBB387_465
.LBB387_461:
	s_mov_b32 s19, -1
                                        ; implicit-def: $vgpr2
	s_branch .LBB387_483
.LBB387_462:
	s_mov_b32 s19, -1
                                        ; implicit-def: $vgpr2
	s_branch .LBB387_471
.LBB387_463:
	s_mov_b32 s19, -1
                                        ; implicit-def: $vgpr2
	s_branch .LBB387_468
.LBB387_464:
	s_mov_b32 s19, -1
                                        ; implicit-def: $vgpr2
.LBB387_465:
	s_delay_alu instid0(SALU_CYCLE_1)
	s_and_not1_b32 vcc_lo, exec_lo, s19
	s_cbranch_vccnz .LBB387_467
; %bb.466:
	s_wait_loadcnt 0x0
	global_load_b32 v2, v[0:1], off
	s_wait_loadcnt 0x0
	v_cvt_i32_f32_e32 v2, v2
.LBB387_467:
	s_mov_b32 s19, 0
.LBB387_468:
	s_delay_alu instid0(SALU_CYCLE_1)
	s_and_not1_b32 vcc_lo, exec_lo, s19
	s_cbranch_vccnz .LBB387_470
; %bb.469:
	s_wait_loadcnt 0x0
	global_load_b32 v2, v[0:1], off
	s_wait_loadcnt 0x0
	v_cvt_i16_f16_e32 v2, v2
.LBB387_470:
	s_mov_b32 s19, 0
.LBB387_471:
	s_delay_alu instid0(SALU_CYCLE_1)
	s_and_not1_b32 vcc_lo, exec_lo, s19
	s_cbranch_vccnz .LBB387_482
; %bb.472:
	s_cmp_lt_i32 s0, 6
	s_cbranch_scc1 .LBB387_475
; %bb.473:
	s_cmp_gt_i32 s0, 6
	s_cbranch_scc0 .LBB387_476
; %bb.474:
	s_wait_loadcnt 0x0
	global_load_b64 v[2:3], v[0:1], off
	s_mov_b32 s19, 0
	s_wait_loadcnt 0x0
	v_cvt_i32_f64_e32 v2, v[2:3]
	s_branch .LBB387_477
.LBB387_475:
	s_mov_b32 s19, -1
                                        ; implicit-def: $vgpr2
	s_branch .LBB387_480
.LBB387_476:
	s_mov_b32 s19, -1
                                        ; implicit-def: $vgpr2
.LBB387_477:
	s_delay_alu instid0(SALU_CYCLE_1)
	s_and_not1_b32 vcc_lo, exec_lo, s19
	s_cbranch_vccnz .LBB387_479
; %bb.478:
	s_wait_loadcnt 0x0
	global_load_b32 v2, v[0:1], off
	s_wait_loadcnt 0x0
	v_cvt_i32_f32_e32 v2, v2
.LBB387_479:
	s_mov_b32 s19, 0
.LBB387_480:
	s_delay_alu instid0(SALU_CYCLE_1)
	s_and_not1_b32 vcc_lo, exec_lo, s19
	s_cbranch_vccnz .LBB387_482
; %bb.481:
	s_wait_loadcnt 0x0
	global_load_u16 v2, v[0:1], off
	s_wait_loadcnt 0x0
	v_cvt_i16_f16_e32 v2, v2
.LBB387_482:
	s_mov_b32 s19, 0
.LBB387_483:
	s_delay_alu instid0(SALU_CYCLE_1)
	s_and_not1_b32 vcc_lo, exec_lo, s19
	s_cbranch_vccnz .LBB387_503
; %bb.484:
	s_cmp_lt_i32 s0, 2
	s_cbranch_scc1 .LBB387_488
; %bb.485:
	s_cmp_lt_i32 s0, 3
	s_cbranch_scc1 .LBB387_489
; %bb.486:
	s_cmp_gt_i32 s0, 3
	s_cbranch_scc0 .LBB387_490
; %bb.487:
	s_wait_loadcnt 0x0
	global_load_b64 v[2:3], v[0:1], off
	s_mov_b32 s19, 0
	s_branch .LBB387_491
.LBB387_488:
	s_mov_b32 s19, -1
                                        ; implicit-def: $vgpr2
	s_branch .LBB387_497
.LBB387_489:
	s_mov_b32 s19, -1
                                        ; implicit-def: $vgpr2
	s_branch .LBB387_494
.LBB387_490:
	s_mov_b32 s19, -1
                                        ; implicit-def: $vgpr2
.LBB387_491:
	s_delay_alu instid0(SALU_CYCLE_1)
	s_and_not1_b32 vcc_lo, exec_lo, s19
	s_cbranch_vccnz .LBB387_493
; %bb.492:
	s_wait_loadcnt 0x0
	global_load_b32 v2, v[0:1], off
.LBB387_493:
	s_mov_b32 s19, 0
.LBB387_494:
	s_delay_alu instid0(SALU_CYCLE_1)
	s_and_not1_b32 vcc_lo, exec_lo, s19
	s_cbranch_vccnz .LBB387_496
; %bb.495:
	s_wait_loadcnt 0x0
	global_load_u16 v2, v[0:1], off
.LBB387_496:
	s_mov_b32 s19, 0
.LBB387_497:
	s_delay_alu instid0(SALU_CYCLE_1)
	s_and_not1_b32 vcc_lo, exec_lo, s19
	s_cbranch_vccnz .LBB387_503
; %bb.498:
	s_cmp_gt_i32 s0, 0
	s_mov_b32 s0, 0
	s_cbranch_scc0 .LBB387_500
; %bb.499:
	s_wait_loadcnt 0x0
	global_load_u8 v2, v[0:1], off
	s_branch .LBB387_501
.LBB387_500:
	s_mov_b32 s0, -1
                                        ; implicit-def: $vgpr2
.LBB387_501:
	s_delay_alu instid0(SALU_CYCLE_1)
	s_and_not1_b32 vcc_lo, exec_lo, s0
	s_cbranch_vccnz .LBB387_503
; %bb.502:
	s_wait_loadcnt 0x0
	global_load_u8 v2, v[0:1], off
.LBB387_503:
	s_branch .LBB387_262
.LBB387_504:
	s_mov_b32 s21, 0
	s_mov_b32 s0, s15
.LBB387_505:
                                        ; implicit-def: $vgpr10
.LBB387_506:
	s_and_not1_b32 s19, s15, exec_lo
	s_and_b32 s0, s0, exec_lo
	s_and_not1_b32 s22, s16, exec_lo
	s_and_b32 s18, s18, exec_lo
	s_or_b32 s19, s19, s0
	s_or_b32 s18, s22, s18
	s_or_not1_b32 s0, s21, exec_lo
.LBB387_507:
	s_wait_xcnt 0x0
	s_or_b32 exec_lo, exec_lo, s20
	s_mov_b32 s21, 0
	s_mov_b32 s22, 0
	;; [unrolled: 1-line block ×3, first 2 shown]
                                        ; implicit-def: $vgpr0_vgpr1
                                        ; implicit-def: $vgpr2
	s_and_saveexec_b32 s20, s0
	s_cbranch_execz .LBB387_846
; %bb.508:
	s_mov_b32 s23, -1
	s_mov_b32 s0, s18
	s_mov_b32 s22, s19
	s_mov_b32 s21, exec_lo
	v_cmpx_gt_i32_e64 s14, v10
	s_cbranch_execz .LBB387_764
; %bb.509:
	v_mul_lo_u32 v0, v10, s9
	s_and_b32 s0, 0xffff, s3
	s_delay_alu instid0(SALU_CYCLE_1) | instskip(NEXT) | instid1(VALU_DEP_1)
	s_cmp_lt_i32 s0, 11
	v_ashrrev_i32_e32 v1, 31, v0
	s_delay_alu instid0(VALU_DEP_1)
	v_add_nc_u64_e32 v[0:1], s[6:7], v[0:1]
	s_cbranch_scc1 .LBB387_516
; %bb.510:
	s_cmp_gt_i32 s0, 25
	s_cbranch_scc0 .LBB387_517
; %bb.511:
	s_cmp_gt_i32 s0, 28
	s_cbranch_scc0 .LBB387_518
	;; [unrolled: 3-line block ×4, first 2 shown]
; %bb.514:
	s_cmp_eq_u32 s0, 46
	s_mov_b32 s24, 0
	s_cbranch_scc0 .LBB387_525
; %bb.515:
	s_wait_loadcnt 0x0
	global_load_b32 v2, v[0:1], off
	s_mov_b32 s22, 0
	s_wait_loadcnt 0x0
	v_lshlrev_b32_e32 v2, 16, v2
	s_delay_alu instid0(VALU_DEP_1)
	v_cvt_i32_f32_e32 v2, v2
	s_branch .LBB387_527
.LBB387_516:
	s_mov_b32 s24, -1
	s_mov_b32 s23, 0
	s_mov_b32 s22, s18
                                        ; implicit-def: $vgpr2
	s_branch .LBB387_588
.LBB387_517:
	s_mov_b32 s24, -1
	s_mov_b32 s23, 0
	s_mov_b32 s22, s18
                                        ; implicit-def: $vgpr2
	s_branch .LBB387_554
.LBB387_518:
	s_mov_b32 s24, -1
	s_mov_b32 s23, 0
	s_mov_b32 s22, s18
                                        ; implicit-def: $vgpr2
	s_branch .LBB387_537
.LBB387_519:
	s_mov_b32 s24, -1
	s_mov_b32 s23, 0
	s_mov_b32 s22, s18
                                        ; implicit-def: $vgpr2
	s_branch .LBB387_532
.LBB387_520:
	s_and_not1_saveexec_b32 s25, s25
	s_cbranch_execz .LBB387_308
.LBB387_521:
	v_add_f32_e32 v2, 0x46000000, v3
	s_and_not1_b32 s24, s24, exec_lo
	s_delay_alu instid0(VALU_DEP_1) | instskip(NEXT) | instid1(VALU_DEP_1)
	v_and_b32_e32 v2, 0xff, v2
	v_cmp_ne_u32_e32 vcc_lo, 0, v2
	s_and_b32 s26, vcc_lo, exec_lo
	s_delay_alu instid0(SALU_CYCLE_1)
	s_or_b32 s24, s24, s26
	s_or_b32 exec_lo, exec_lo, s25
	v_mov_b32_e32 v4, 0
	s_and_saveexec_b32 s25, s24
	s_cbranch_execnz .LBB387_309
	s_branch .LBB387_310
.LBB387_522:
	s_mov_b32 s24, -1
	s_mov_b32 s23, 0
	s_mov_b32 s22, s18
	s_branch .LBB387_526
.LBB387_523:
	s_and_not1_saveexec_b32 s25, s25
	s_cbranch_execz .LBB387_321
.LBB387_524:
	v_add_f32_e32 v2, 0x42800000, v3
	s_and_not1_b32 s24, s24, exec_lo
	s_delay_alu instid0(VALU_DEP_1) | instskip(NEXT) | instid1(VALU_DEP_1)
	v_and_b32_e32 v2, 0xff, v2
	v_cmp_ne_u32_e32 vcc_lo, 0, v2
	s_and_b32 s26, vcc_lo, exec_lo
	s_delay_alu instid0(SALU_CYCLE_1)
	s_or_b32 s24, s24, s26
	s_or_b32 exec_lo, exec_lo, s25
	v_mov_b32_e32 v4, 0
	s_and_saveexec_b32 s25, s24
	s_cbranch_execnz .LBB387_322
	s_branch .LBB387_323
.LBB387_525:
	s_mov_b32 s22, -1
	s_mov_b32 s23, 0
.LBB387_526:
                                        ; implicit-def: $vgpr2
.LBB387_527:
	s_and_b32 vcc_lo, exec_lo, s24
	s_cbranch_vccz .LBB387_531
; %bb.528:
	s_cmp_eq_u32 s0, 44
	s_cbranch_scc0 .LBB387_530
; %bb.529:
	s_wait_loadcnt 0x0
	global_load_u8 v2, v[0:1], off
	s_mov_b32 s22, 0
	s_mov_b32 s23, -1
	s_wait_loadcnt 0x0
	v_lshlrev_b32_e32 v3, 23, v2
	v_cmp_ne_u32_e32 vcc_lo, 0, v2
	s_delay_alu instid0(VALU_DEP_2) | instskip(NEXT) | instid1(VALU_DEP_1)
	v_cvt_i32_f32_e32 v3, v3
	v_cndmask_b32_e32 v2, 0, v3, vcc_lo
	s_branch .LBB387_531
.LBB387_530:
	s_mov_b32 s22, -1
                                        ; implicit-def: $vgpr2
.LBB387_531:
	s_mov_b32 s24, 0
.LBB387_532:
	s_delay_alu instid0(SALU_CYCLE_1)
	s_and_b32 vcc_lo, exec_lo, s24
	s_cbranch_vccz .LBB387_536
; %bb.533:
	s_cmp_eq_u32 s0, 29
	s_cbranch_scc0 .LBB387_535
; %bb.534:
	s_wait_loadcnt 0x0
	global_load_b64 v[2:3], v[0:1], off
	s_mov_b32 s23, -1
	s_mov_b32 s22, 0
	s_branch .LBB387_536
.LBB387_535:
	s_mov_b32 s22, -1
                                        ; implicit-def: $vgpr2
.LBB387_536:
	s_mov_b32 s24, 0
.LBB387_537:
	s_delay_alu instid0(SALU_CYCLE_1)
	s_and_b32 vcc_lo, exec_lo, s24
	s_cbranch_vccz .LBB387_553
; %bb.538:
	s_cmp_lt_i32 s0, 27
	s_cbranch_scc1 .LBB387_541
; %bb.539:
	s_cmp_gt_i32 s0, 27
	s_cbranch_scc0 .LBB387_542
; %bb.540:
	s_wait_loadcnt 0x0
	global_load_b32 v2, v[0:1], off
	s_mov_b32 s23, 0
	s_branch .LBB387_543
.LBB387_541:
	s_mov_b32 s23, -1
                                        ; implicit-def: $vgpr2
	s_branch .LBB387_546
.LBB387_542:
	s_mov_b32 s23, -1
                                        ; implicit-def: $vgpr2
.LBB387_543:
	s_delay_alu instid0(SALU_CYCLE_1)
	s_and_not1_b32 vcc_lo, exec_lo, s23
	s_cbranch_vccnz .LBB387_545
; %bb.544:
	s_wait_loadcnt 0x0
	global_load_u16 v2, v[0:1], off
.LBB387_545:
	s_mov_b32 s23, 0
.LBB387_546:
	s_delay_alu instid0(SALU_CYCLE_1)
	s_and_not1_b32 vcc_lo, exec_lo, s23
	s_cbranch_vccnz .LBB387_552
; %bb.547:
	s_wait_loadcnt 0x0
	global_load_u8 v3, v[0:1], off
	s_mov_b32 s24, 0
	s_mov_b32 s23, exec_lo
	s_wait_loadcnt 0x0
	v_cmpx_lt_i16_e32 0x7f, v3
	s_xor_b32 s23, exec_lo, s23
	s_cbranch_execz .LBB387_564
; %bb.548:
	v_cmp_ne_u16_e32 vcc_lo, 0x80, v3
	s_and_b32 s24, vcc_lo, exec_lo
	s_and_not1_saveexec_b32 s23, s23
	s_cbranch_execnz .LBB387_565
.LBB387_549:
	s_or_b32 exec_lo, exec_lo, s23
	v_mov_b32_e32 v2, 0
	s_and_saveexec_b32 s23, s24
	s_cbranch_execz .LBB387_551
.LBB387_550:
	v_and_b32_e32 v2, 0xffff, v3
	s_delay_alu instid0(VALU_DEP_1) | instskip(SKIP_1) | instid1(VALU_DEP_2)
	v_and_b32_e32 v4, 7, v2
	v_bfe_u32 v7, v2, 3, 4
	v_clz_i32_u32_e32 v5, v4
	s_delay_alu instid0(VALU_DEP_2) | instskip(NEXT) | instid1(VALU_DEP_2)
	v_cmp_eq_u32_e32 vcc_lo, 0, v7
	v_min_u32_e32 v5, 32, v5
	s_delay_alu instid0(VALU_DEP_1) | instskip(NEXT) | instid1(VALU_DEP_1)
	v_subrev_nc_u32_e32 v6, 28, v5
	v_dual_lshlrev_b32 v2, v6, v2 :: v_dual_sub_nc_u32 v5, 29, v5
	s_delay_alu instid0(VALU_DEP_1) | instskip(NEXT) | instid1(VALU_DEP_1)
	v_dual_lshlrev_b32 v3, 24, v3 :: v_dual_bitop2_b32 v2, 7, v2 bitop3:0x40
	v_dual_cndmask_b32 v5, v7, v5 :: v_dual_cndmask_b32 v2, v4, v2
	s_delay_alu instid0(VALU_DEP_2) | instskip(NEXT) | instid1(VALU_DEP_2)
	v_and_b32_e32 v3, 0x80000000, v3
	v_lshl_add_u32 v4, v5, 23, 0x3b800000
	s_delay_alu instid0(VALU_DEP_3) | instskip(NEXT) | instid1(VALU_DEP_1)
	v_lshlrev_b32_e32 v2, 20, v2
	v_or3_b32 v2, v3, v4, v2
	s_delay_alu instid0(VALU_DEP_1)
	v_cvt_i32_f32_e32 v2, v2
.LBB387_551:
	s_or_b32 exec_lo, exec_lo, s23
.LBB387_552:
	s_mov_b32 s23, -1
.LBB387_553:
	s_mov_b32 s24, 0
.LBB387_554:
	s_delay_alu instid0(SALU_CYCLE_1)
	s_and_b32 vcc_lo, exec_lo, s24
	s_cbranch_vccz .LBB387_587
; %bb.555:
	s_cmp_gt_i32 s0, 22
	s_cbranch_scc0 .LBB387_563
; %bb.556:
	s_cmp_lt_i32 s0, 24
	s_cbranch_scc1 .LBB387_566
; %bb.557:
	s_cmp_gt_i32 s0, 24
	s_cbranch_scc0 .LBB387_567
; %bb.558:
	s_wait_loadcnt 0x0
	global_load_u8 v3, v[0:1], off
	s_mov_b32 s24, 0
	s_mov_b32 s23, exec_lo
	s_wait_loadcnt 0x0
	v_cmpx_lt_i16_e32 0x7f, v3
	s_xor_b32 s23, exec_lo, s23
	s_cbranch_execz .LBB387_579
; %bb.559:
	v_cmp_ne_u16_e32 vcc_lo, 0x80, v3
	s_and_b32 s24, vcc_lo, exec_lo
	s_and_not1_saveexec_b32 s23, s23
	s_cbranch_execnz .LBB387_580
.LBB387_560:
	s_or_b32 exec_lo, exec_lo, s23
	v_mov_b32_e32 v2, 0
	s_and_saveexec_b32 s23, s24
	s_cbranch_execz .LBB387_562
.LBB387_561:
	v_and_b32_e32 v2, 0xffff, v3
	s_delay_alu instid0(VALU_DEP_1) | instskip(SKIP_1) | instid1(VALU_DEP_2)
	v_and_b32_e32 v4, 3, v2
	v_bfe_u32 v7, v2, 2, 5
	v_clz_i32_u32_e32 v5, v4
	s_delay_alu instid0(VALU_DEP_2) | instskip(NEXT) | instid1(VALU_DEP_2)
	v_cmp_eq_u32_e32 vcc_lo, 0, v7
	v_min_u32_e32 v5, 32, v5
	s_delay_alu instid0(VALU_DEP_1) | instskip(NEXT) | instid1(VALU_DEP_1)
	v_subrev_nc_u32_e32 v6, 29, v5
	v_dual_lshlrev_b32 v2, v6, v2 :: v_dual_sub_nc_u32 v5, 30, v5
	s_delay_alu instid0(VALU_DEP_1) | instskip(NEXT) | instid1(VALU_DEP_1)
	v_dual_lshlrev_b32 v3, 24, v3 :: v_dual_bitop2_b32 v2, 3, v2 bitop3:0x40
	v_dual_cndmask_b32 v5, v7, v5 :: v_dual_cndmask_b32 v2, v4, v2
	s_delay_alu instid0(VALU_DEP_2) | instskip(NEXT) | instid1(VALU_DEP_2)
	v_and_b32_e32 v3, 0x80000000, v3
	v_lshl_add_u32 v4, v5, 23, 0x37800000
	s_delay_alu instid0(VALU_DEP_3) | instskip(NEXT) | instid1(VALU_DEP_1)
	v_lshlrev_b32_e32 v2, 21, v2
	v_or3_b32 v2, v3, v4, v2
	s_delay_alu instid0(VALU_DEP_1)
	v_cvt_i32_f32_e32 v2, v2
.LBB387_562:
	s_or_b32 exec_lo, exec_lo, s23
	s_mov_b32 s23, 0
	s_branch .LBB387_568
.LBB387_563:
	s_mov_b32 s24, -1
                                        ; implicit-def: $vgpr2
	s_branch .LBB387_574
.LBB387_564:
	s_and_not1_saveexec_b32 s23, s23
	s_cbranch_execz .LBB387_549
.LBB387_565:
	v_cmp_ne_u16_e32 vcc_lo, 0, v3
	s_and_not1_b32 s24, s24, exec_lo
	s_and_b32 s25, vcc_lo, exec_lo
	s_delay_alu instid0(SALU_CYCLE_1)
	s_or_b32 s24, s24, s25
	s_or_b32 exec_lo, exec_lo, s23
	v_mov_b32_e32 v2, 0
	s_and_saveexec_b32 s23, s24
	s_cbranch_execnz .LBB387_550
	s_branch .LBB387_551
.LBB387_566:
	s_mov_b32 s23, -1
                                        ; implicit-def: $vgpr2
	s_branch .LBB387_571
.LBB387_567:
	s_mov_b32 s23, -1
                                        ; implicit-def: $vgpr2
.LBB387_568:
	s_delay_alu instid0(SALU_CYCLE_1)
	s_and_b32 vcc_lo, exec_lo, s23
	s_cbranch_vccz .LBB387_570
; %bb.569:
	s_wait_loadcnt 0x0
	global_load_u8 v2, v[0:1], off
	s_wait_loadcnt 0x0
	v_lshlrev_b32_e32 v2, 24, v2
	s_delay_alu instid0(VALU_DEP_1) | instskip(NEXT) | instid1(VALU_DEP_1)
	v_and_b32_e32 v3, 0x7f000000, v2
	v_clz_i32_u32_e32 v4, v3
	v_cmp_ne_u32_e32 vcc_lo, 0, v3
	v_add_nc_u32_e32 v6, 0x1000000, v3
	s_delay_alu instid0(VALU_DEP_3) | instskip(NEXT) | instid1(VALU_DEP_1)
	v_min_u32_e32 v4, 32, v4
	v_sub_nc_u32_e64 v4, v4, 4 clamp
	s_delay_alu instid0(VALU_DEP_1) | instskip(NEXT) | instid1(VALU_DEP_1)
	v_dual_lshlrev_b32 v5, v4, v3 :: v_dual_lshlrev_b32 v4, 23, v4
	v_lshrrev_b32_e32 v5, 4, v5
	s_delay_alu instid0(VALU_DEP_1) | instskip(NEXT) | instid1(VALU_DEP_1)
	v_dual_sub_nc_u32 v4, v5, v4 :: v_dual_ashrrev_i32 v5, 8, v6
	v_add_nc_u32_e32 v4, 0x3c000000, v4
	s_delay_alu instid0(VALU_DEP_1) | instskip(NEXT) | instid1(VALU_DEP_1)
	v_and_or_b32 v4, 0x7f800000, v5, v4
	v_cndmask_b32_e32 v3, 0, v4, vcc_lo
	s_delay_alu instid0(VALU_DEP_1) | instskip(NEXT) | instid1(VALU_DEP_1)
	v_and_or_b32 v2, 0x80000000, v2, v3
	v_cvt_i32_f32_e32 v2, v2
.LBB387_570:
	s_mov_b32 s23, 0
.LBB387_571:
	s_delay_alu instid0(SALU_CYCLE_1)
	s_and_not1_b32 vcc_lo, exec_lo, s23
	s_cbranch_vccnz .LBB387_573
; %bb.572:
	s_wait_loadcnt 0x0
	global_load_u8 v2, v[0:1], off
	s_wait_loadcnt 0x0
	v_lshlrev_b32_e32 v3, 25, v2
	v_lshlrev_b16 v2, 8, v2
	s_delay_alu instid0(VALU_DEP_1) | instskip(SKIP_1) | instid1(VALU_DEP_2)
	v_and_or_b32 v5, 0x7f00, v2, 0.5
	v_bfe_i32 v2, v2, 0, 16
	v_dual_add_f32 v5, -0.5, v5 :: v_dual_lshrrev_b32 v4, 4, v3
	v_cmp_gt_u32_e32 vcc_lo, 0x8000000, v3
	s_delay_alu instid0(VALU_DEP_2) | instskip(NEXT) | instid1(VALU_DEP_1)
	v_or_b32_e32 v4, 0x70000000, v4
	v_mul_f32_e32 v4, 0x7800000, v4
	s_delay_alu instid0(VALU_DEP_1) | instskip(NEXT) | instid1(VALU_DEP_1)
	v_cndmask_b32_e32 v3, v4, v5, vcc_lo
	v_and_or_b32 v2, 0x80000000, v2, v3
	s_delay_alu instid0(VALU_DEP_1)
	v_cvt_i32_f32_e32 v2, v2
.LBB387_573:
	s_mov_b32 s24, 0
	s_mov_b32 s23, -1
.LBB387_574:
	s_and_not1_b32 vcc_lo, exec_lo, s24
	s_cbranch_vccnz .LBB387_587
; %bb.575:
	s_cmp_gt_i32 s0, 14
	s_cbranch_scc0 .LBB387_578
; %bb.576:
	s_cmp_eq_u32 s0, 15
	s_cbranch_scc0 .LBB387_581
; %bb.577:
	s_wait_loadcnt 0x0
	global_load_u16 v2, v[0:1], off
	s_mov_b32 s23, -1
	s_mov_b32 s22, 0
	s_wait_loadcnt 0x0
	v_lshlrev_b32_e32 v2, 16, v2
	s_delay_alu instid0(VALU_DEP_1)
	v_cvt_i32_f32_e32 v2, v2
	s_branch .LBB387_582
.LBB387_578:
	s_mov_b32 s24, -1
                                        ; implicit-def: $vgpr2
	s_branch .LBB387_583
.LBB387_579:
	s_and_not1_saveexec_b32 s23, s23
	s_cbranch_execz .LBB387_560
.LBB387_580:
	v_cmp_ne_u16_e32 vcc_lo, 0, v3
	s_and_not1_b32 s24, s24, exec_lo
	s_and_b32 s25, vcc_lo, exec_lo
	s_delay_alu instid0(SALU_CYCLE_1)
	s_or_b32 s24, s24, s25
	s_or_b32 exec_lo, exec_lo, s23
	v_mov_b32_e32 v2, 0
	s_and_saveexec_b32 s23, s24
	s_cbranch_execnz .LBB387_561
	s_branch .LBB387_562
.LBB387_581:
	s_mov_b32 s22, -1
                                        ; implicit-def: $vgpr2
.LBB387_582:
	s_mov_b32 s24, 0
.LBB387_583:
	s_delay_alu instid0(SALU_CYCLE_1)
	s_and_b32 vcc_lo, exec_lo, s24
	s_cbranch_vccz .LBB387_587
; %bb.584:
	s_cmp_eq_u32 s0, 11
	s_cbranch_scc0 .LBB387_586
; %bb.585:
	s_wait_loadcnt 0x0
	global_load_u8 v2, v[0:1], off
	s_mov_b32 s22, 0
	s_mov_b32 s23, -1
	s_wait_loadcnt 0x0
	v_cmp_ne_u16_e32 vcc_lo, 0, v2
	v_cndmask_b32_e64 v2, 0, 1, vcc_lo
	s_branch .LBB387_587
.LBB387_586:
	s_mov_b32 s22, -1
                                        ; implicit-def: $vgpr2
.LBB387_587:
	s_mov_b32 s24, 0
.LBB387_588:
	s_delay_alu instid0(SALU_CYCLE_1)
	s_and_b32 vcc_lo, exec_lo, s24
	s_cbranch_vccz .LBB387_637
; %bb.589:
	s_cmp_lt_i32 s0, 5
	s_cbranch_scc1 .LBB387_594
; %bb.590:
	s_cmp_lt_i32 s0, 8
	s_cbranch_scc1 .LBB387_595
; %bb.591:
	s_cmp_lt_i32 s0, 9
	s_cbranch_scc1 .LBB387_596
; %bb.592:
	s_cmp_gt_i32 s0, 9
	s_cbranch_scc0 .LBB387_597
; %bb.593:
	s_wait_loadcnt 0x0
	global_load_b64 v[2:3], v[0:1], off
	s_mov_b32 s23, 0
	s_wait_loadcnt 0x0
	v_cvt_i32_f64_e32 v2, v[2:3]
	s_branch .LBB387_598
.LBB387_594:
	s_mov_b32 s23, -1
                                        ; implicit-def: $vgpr2
	s_branch .LBB387_616
.LBB387_595:
	s_mov_b32 s23, -1
                                        ; implicit-def: $vgpr2
	s_branch .LBB387_604
.LBB387_596:
	s_mov_b32 s23, -1
                                        ; implicit-def: $vgpr2
	s_branch .LBB387_601
.LBB387_597:
	s_mov_b32 s23, -1
                                        ; implicit-def: $vgpr2
.LBB387_598:
	s_delay_alu instid0(SALU_CYCLE_1)
	s_and_not1_b32 vcc_lo, exec_lo, s23
	s_cbranch_vccnz .LBB387_600
; %bb.599:
	s_wait_loadcnt 0x0
	global_load_b32 v2, v[0:1], off
	s_wait_loadcnt 0x0
	v_cvt_i32_f32_e32 v2, v2
.LBB387_600:
	s_mov_b32 s23, 0
.LBB387_601:
	s_delay_alu instid0(SALU_CYCLE_1)
	s_and_not1_b32 vcc_lo, exec_lo, s23
	s_cbranch_vccnz .LBB387_603
; %bb.602:
	s_wait_loadcnt 0x0
	global_load_b32 v2, v[0:1], off
	s_wait_loadcnt 0x0
	v_cvt_i16_f16_e32 v2, v2
.LBB387_603:
	s_mov_b32 s23, 0
.LBB387_604:
	s_delay_alu instid0(SALU_CYCLE_1)
	s_and_not1_b32 vcc_lo, exec_lo, s23
	s_cbranch_vccnz .LBB387_615
; %bb.605:
	s_cmp_lt_i32 s0, 6
	s_cbranch_scc1 .LBB387_608
; %bb.606:
	s_cmp_gt_i32 s0, 6
	s_cbranch_scc0 .LBB387_609
; %bb.607:
	s_wait_loadcnt 0x0
	global_load_b64 v[2:3], v[0:1], off
	s_mov_b32 s23, 0
	s_wait_loadcnt 0x0
	v_cvt_i32_f64_e32 v2, v[2:3]
	s_branch .LBB387_610
.LBB387_608:
	s_mov_b32 s23, -1
                                        ; implicit-def: $vgpr2
	s_branch .LBB387_613
.LBB387_609:
	s_mov_b32 s23, -1
                                        ; implicit-def: $vgpr2
.LBB387_610:
	s_delay_alu instid0(SALU_CYCLE_1)
	s_and_not1_b32 vcc_lo, exec_lo, s23
	s_cbranch_vccnz .LBB387_612
; %bb.611:
	s_wait_loadcnt 0x0
	global_load_b32 v2, v[0:1], off
	s_wait_loadcnt 0x0
	v_cvt_i32_f32_e32 v2, v2
.LBB387_612:
	s_mov_b32 s23, 0
.LBB387_613:
	s_delay_alu instid0(SALU_CYCLE_1)
	s_and_not1_b32 vcc_lo, exec_lo, s23
	s_cbranch_vccnz .LBB387_615
; %bb.614:
	s_wait_loadcnt 0x0
	global_load_u16 v2, v[0:1], off
	s_wait_loadcnt 0x0
	v_cvt_i16_f16_e32 v2, v2
.LBB387_615:
	s_mov_b32 s23, 0
.LBB387_616:
	s_delay_alu instid0(SALU_CYCLE_1)
	s_and_not1_b32 vcc_lo, exec_lo, s23
	s_cbranch_vccnz .LBB387_636
; %bb.617:
	s_cmp_lt_i32 s0, 2
	s_cbranch_scc1 .LBB387_621
; %bb.618:
	s_cmp_lt_i32 s0, 3
	s_cbranch_scc1 .LBB387_622
; %bb.619:
	s_cmp_gt_i32 s0, 3
	s_cbranch_scc0 .LBB387_623
; %bb.620:
	s_wait_loadcnt 0x0
	global_load_b64 v[2:3], v[0:1], off
	s_mov_b32 s23, 0
	s_branch .LBB387_624
.LBB387_621:
	s_mov_b32 s23, -1
                                        ; implicit-def: $vgpr2
	s_branch .LBB387_630
.LBB387_622:
	s_mov_b32 s23, -1
                                        ; implicit-def: $vgpr2
	s_branch .LBB387_627
.LBB387_623:
	s_mov_b32 s23, -1
                                        ; implicit-def: $vgpr2
.LBB387_624:
	s_delay_alu instid0(SALU_CYCLE_1)
	s_and_not1_b32 vcc_lo, exec_lo, s23
	s_cbranch_vccnz .LBB387_626
; %bb.625:
	s_wait_loadcnt 0x0
	global_load_b32 v2, v[0:1], off
.LBB387_626:
	s_mov_b32 s23, 0
.LBB387_627:
	s_delay_alu instid0(SALU_CYCLE_1)
	s_and_not1_b32 vcc_lo, exec_lo, s23
	s_cbranch_vccnz .LBB387_629
; %bb.628:
	s_wait_loadcnt 0x0
	global_load_u16 v2, v[0:1], off
.LBB387_629:
	s_mov_b32 s23, 0
.LBB387_630:
	s_delay_alu instid0(SALU_CYCLE_1)
	s_and_not1_b32 vcc_lo, exec_lo, s23
	s_cbranch_vccnz .LBB387_636
; %bb.631:
	s_cmp_gt_i32 s0, 0
	s_mov_b32 s0, 0
	s_cbranch_scc0 .LBB387_633
; %bb.632:
	s_wait_loadcnt 0x0
	global_load_u8 v2, v[0:1], off
	s_branch .LBB387_634
.LBB387_633:
	s_mov_b32 s0, -1
                                        ; implicit-def: $vgpr2
.LBB387_634:
	s_delay_alu instid0(SALU_CYCLE_1)
	s_and_not1_b32 vcc_lo, exec_lo, s0
	s_cbranch_vccnz .LBB387_636
; %bb.635:
	s_wait_loadcnt 0x0
	global_load_u8 v2, v[0:1], off
.LBB387_636:
	s_mov_b32 s23, -1
.LBB387_637:
	s_delay_alu instid0(SALU_CYCLE_1)
	s_and_not1_b32 vcc_lo, exec_lo, s23
	s_cbranch_vccnz .LBB387_645
; %bb.638:
	s_wait_xcnt 0x0
	v_mul_lo_u32 v0, v10, s8
	s_wait_loadcnt 0x0
	s_delay_alu instid0(VALU_DEP_2) | instskip(SKIP_2) | instid1(VALU_DEP_1)
	v_and_b32_e32 v2, 0xff, v2
	s_and_b32 s0, s11, 0xff
	s_and_b32 s24, s2, 0xff
	v_cmp_ne_u16_e32 vcc_lo, s0, v2
	s_xor_b32 s23, s13, vcc_lo
	s_delay_alu instid0(VALU_DEP_3) | instskip(SKIP_1) | instid1(VALU_DEP_1)
	v_ashrrev_i32_e32 v1, 31, v0
	s_cmp_lt_i32 s24, 11
	v_add_nc_u64_e32 v[0:1], s[4:5], v[0:1]
	s_cbranch_scc1 .LBB387_646
; %bb.639:
	s_and_b32 s25, 0xffff, s24
	s_delay_alu instid0(SALU_CYCLE_1)
	s_cmp_gt_i32 s25, 25
	s_cbranch_scc0 .LBB387_647
; %bb.640:
	s_cmp_gt_i32 s25, 28
	s_cbranch_scc0 .LBB387_648
; %bb.641:
	;; [unrolled: 3-line block ×4, first 2 shown]
	s_mov_b32 s27, 0
	s_mov_b32 s0, -1
	s_cmp_eq_u32 s25, 46
	s_mov_b32 s26, 0
	s_cbranch_scc0 .LBB387_651
; %bb.644:
	v_cndmask_b32_e64 v2, 0, 1.0, s23
	s_mov_b32 s26, -1
	s_mov_b32 s0, 0
	s_delay_alu instid0(VALU_DEP_1) | instskip(NEXT) | instid1(VALU_DEP_1)
	v_bfe_u32 v3, v2, 16, 1
	v_add3_u32 v2, v2, v3, 0x7fff
	s_delay_alu instid0(VALU_DEP_1)
	v_lshrrev_b32_e32 v2, 16, v2
	global_store_b32 v[0:1], v2, off
	s_branch .LBB387_651
.LBB387_645:
	s_mov_b32 s23, 0
	s_mov_b32 s0, s19
	s_branch .LBB387_762
.LBB387_646:
	s_mov_b32 s25, -1
	s_mov_b32 s26, 0
	s_mov_b32 s0, s19
	s_branch .LBB387_720
.LBB387_647:
	s_mov_b32 s27, -1
	s_mov_b32 s26, 0
	s_mov_b32 s0, s19
	s_branch .LBB387_678
.LBB387_648:
	s_mov_b32 s27, -1
	s_mov_b32 s26, 0
	s_mov_b32 s0, s19
	s_branch .LBB387_661
.LBB387_649:
	s_mov_b32 s27, -1
	s_mov_b32 s26, 0
	s_mov_b32 s0, s19
	s_branch .LBB387_657
.LBB387_650:
	s_mov_b32 s27, -1
	s_mov_b32 s26, 0
	s_mov_b32 s0, s19
.LBB387_651:
	s_and_b32 vcc_lo, exec_lo, s27
	s_cbranch_vccz .LBB387_656
; %bb.652:
	s_cmp_eq_u32 s25, 44
	s_mov_b32 s0, -1
	s_cbranch_scc0 .LBB387_656
; %bb.653:
	v_cndmask_b32_e64 v4, 0, 1.0, s23
	s_mov_b32 s26, exec_lo
	s_wait_xcnt 0x0
	s_delay_alu instid0(VALU_DEP_1) | instskip(NEXT) | instid1(VALU_DEP_1)
	v_dual_mov_b32 v3, 0xff :: v_dual_lshrrev_b32 v2, 23, v4
	v_cmpx_ne_u32_e32 0xff, v2
; %bb.654:
	v_and_b32_e32 v3, 0x400000, v4
	v_and_or_b32 v4, 0x3fffff, v4, v2
	s_delay_alu instid0(VALU_DEP_2) | instskip(NEXT) | instid1(VALU_DEP_2)
	v_cmp_ne_u32_e32 vcc_lo, 0, v3
	v_cmp_ne_u32_e64 s0, 0, v4
	s_and_b32 s0, vcc_lo, s0
	s_delay_alu instid0(SALU_CYCLE_1) | instskip(NEXT) | instid1(VALU_DEP_1)
	v_cndmask_b32_e64 v3, 0, 1, s0
	v_add_nc_u32_e32 v3, v2, v3
; %bb.655:
	s_or_b32 exec_lo, exec_lo, s26
	s_mov_b32 s26, -1
	s_mov_b32 s0, 0
	global_store_b8 v[0:1], v3, off
.LBB387_656:
	s_mov_b32 s27, 0
.LBB387_657:
	s_delay_alu instid0(SALU_CYCLE_1)
	s_and_b32 vcc_lo, exec_lo, s27
	s_cbranch_vccz .LBB387_660
; %bb.658:
	s_cmp_eq_u32 s25, 29
	s_mov_b32 s0, -1
	s_cbranch_scc0 .LBB387_660
; %bb.659:
	s_mov_b32 s0, 0
	s_wait_xcnt 0x0
	v_cndmask_b32_e64 v2, 0, 1, s23
	v_mov_b32_e32 v3, s0
	s_mov_b32 s26, -1
	s_mov_b32 s27, 0
	global_store_b64 v[0:1], v[2:3], off
	s_branch .LBB387_661
.LBB387_660:
	s_mov_b32 s27, 0
.LBB387_661:
	s_delay_alu instid0(SALU_CYCLE_1)
	s_and_b32 vcc_lo, exec_lo, s27
	s_cbranch_vccz .LBB387_677
; %bb.662:
	s_cmp_lt_i32 s25, 27
	s_mov_b32 s26, -1
	s_cbranch_scc1 .LBB387_668
; %bb.663:
	s_cmp_gt_i32 s25, 27
	s_cbranch_scc0 .LBB387_665
; %bb.664:
	s_wait_xcnt 0x0
	v_cndmask_b32_e64 v2, 0, 1, s23
	s_mov_b32 s26, 0
	global_store_b32 v[0:1], v2, off
.LBB387_665:
	s_and_not1_b32 vcc_lo, exec_lo, s26
	s_cbranch_vccnz .LBB387_667
; %bb.666:
	s_wait_xcnt 0x0
	v_cndmask_b32_e64 v2, 0, 1, s23
	global_store_b16 v[0:1], v2, off
.LBB387_667:
	s_mov_b32 s26, 0
.LBB387_668:
	s_delay_alu instid0(SALU_CYCLE_1)
	s_and_not1_b32 vcc_lo, exec_lo, s26
	s_cbranch_vccnz .LBB387_676
; %bb.669:
	s_wait_xcnt 0x0
	v_cndmask_b32_e64 v3, 0, 1.0, s23
	v_mov_b32_e32 v4, 0x80
	s_mov_b32 s26, exec_lo
	s_delay_alu instid0(VALU_DEP_2)
	v_cmpx_gt_u32_e32 0x43800000, v3
	s_cbranch_execz .LBB387_675
; %bb.670:
	s_mov_b32 s27, 0
	s_mov_b32 s28, exec_lo
                                        ; implicit-def: $vgpr2
	v_cmpx_lt_u32_e32 0x3bffffff, v3
	s_xor_b32 s28, exec_lo, s28
	s_cbranch_execz .LBB387_777
; %bb.671:
	v_bfe_u32 v2, v3, 20, 1
	s_mov_b32 s27, exec_lo
	s_delay_alu instid0(VALU_DEP_1) | instskip(NEXT) | instid1(VALU_DEP_1)
	v_add3_u32 v2, v3, v2, 0x487ffff
                                        ; implicit-def: $vgpr3
	v_lshrrev_b32_e32 v2, 20, v2
	s_and_not1_saveexec_b32 s28, s28
	s_cbranch_execnz .LBB387_778
.LBB387_672:
	s_or_b32 exec_lo, exec_lo, s28
	v_mov_b32_e32 v4, 0
	s_and_saveexec_b32 s28, s27
.LBB387_673:
	v_mov_b32_e32 v4, v2
.LBB387_674:
	s_or_b32 exec_lo, exec_lo, s28
.LBB387_675:
	s_delay_alu instid0(SALU_CYCLE_1)
	s_or_b32 exec_lo, exec_lo, s26
	global_store_b8 v[0:1], v4, off
.LBB387_676:
	s_mov_b32 s26, -1
.LBB387_677:
	s_mov_b32 s27, 0
.LBB387_678:
	s_delay_alu instid0(SALU_CYCLE_1)
	s_and_b32 vcc_lo, exec_lo, s27
	s_cbranch_vccz .LBB387_719
; %bb.679:
	s_cmp_gt_i32 s25, 22
	s_mov_b32 s27, -1
	s_cbranch_scc0 .LBB387_711
; %bb.680:
	s_cmp_lt_i32 s25, 24
	s_mov_b32 s26, -1
	s_cbranch_scc1 .LBB387_700
; %bb.681:
	s_cmp_gt_i32 s25, 24
	s_cbranch_scc0 .LBB387_689
; %bb.682:
	s_wait_xcnt 0x0
	v_cndmask_b32_e64 v3, 0, 1.0, s23
	v_mov_b32_e32 v4, 0x80
	s_mov_b32 s26, exec_lo
	s_delay_alu instid0(VALU_DEP_2)
	v_cmpx_gt_u32_e32 0x47800000, v3
	s_cbranch_execz .LBB387_688
; %bb.683:
	s_mov_b32 s27, 0
	s_mov_b32 s28, exec_lo
                                        ; implicit-def: $vgpr2
	v_cmpx_lt_u32_e32 0x37ffffff, v3
	s_xor_b32 s28, exec_lo, s28
	s_cbranch_execz .LBB387_780
; %bb.684:
	v_bfe_u32 v2, v3, 21, 1
	s_mov_b32 s27, exec_lo
	s_delay_alu instid0(VALU_DEP_1) | instskip(NEXT) | instid1(VALU_DEP_1)
	v_add3_u32 v2, v3, v2, 0x88fffff
                                        ; implicit-def: $vgpr3
	v_lshrrev_b32_e32 v2, 21, v2
	s_and_not1_saveexec_b32 s28, s28
	s_cbranch_execnz .LBB387_781
.LBB387_685:
	s_or_b32 exec_lo, exec_lo, s28
	v_mov_b32_e32 v4, 0
	s_and_saveexec_b32 s28, s27
.LBB387_686:
	v_mov_b32_e32 v4, v2
.LBB387_687:
	s_or_b32 exec_lo, exec_lo, s28
.LBB387_688:
	s_delay_alu instid0(SALU_CYCLE_1)
	s_or_b32 exec_lo, exec_lo, s26
	s_mov_b32 s26, 0
	global_store_b8 v[0:1], v4, off
.LBB387_689:
	s_and_b32 vcc_lo, exec_lo, s26
	s_cbranch_vccz .LBB387_699
; %bb.690:
	s_wait_xcnt 0x0
	v_cndmask_b32_e64 v3, 0, 1.0, s23
	s_mov_b32 s26, exec_lo
                                        ; implicit-def: $vgpr2
	s_delay_alu instid0(VALU_DEP_1)
	v_cmpx_gt_u32_e32 0x43f00000, v3
	s_xor_b32 s26, exec_lo, s26
	s_cbranch_execz .LBB387_696
; %bb.691:
	s_mov_b32 s27, exec_lo
                                        ; implicit-def: $vgpr2
	v_cmpx_lt_u32_e32 0x3c7fffff, v3
	s_xor_b32 s27, exec_lo, s27
; %bb.692:
	v_bfe_u32 v2, v3, 20, 1
	s_delay_alu instid0(VALU_DEP_1) | instskip(NEXT) | instid1(VALU_DEP_1)
	v_add3_u32 v2, v3, v2, 0x407ffff
	v_and_b32_e32 v3, 0xff00000, v2
	v_lshrrev_b32_e32 v2, 20, v2
	s_delay_alu instid0(VALU_DEP_2) | instskip(NEXT) | instid1(VALU_DEP_2)
	v_cmp_ne_u32_e32 vcc_lo, 0x7f00000, v3
                                        ; implicit-def: $vgpr3
	v_cndmask_b32_e32 v2, 0x7e, v2, vcc_lo
; %bb.693:
	s_and_not1_saveexec_b32 s27, s27
; %bb.694:
	v_add_f32_e32 v2, 0x46800000, v3
; %bb.695:
	s_or_b32 exec_lo, exec_lo, s27
                                        ; implicit-def: $vgpr3
.LBB387_696:
	s_and_not1_saveexec_b32 s26, s26
; %bb.697:
	v_mov_b32_e32 v2, 0x7f
	v_cmp_lt_u32_e32 vcc_lo, 0x7f800000, v3
	s_delay_alu instid0(VALU_DEP_2)
	v_cndmask_b32_e32 v2, 0x7e, v2, vcc_lo
; %bb.698:
	s_or_b32 exec_lo, exec_lo, s26
	global_store_b8 v[0:1], v2, off
.LBB387_699:
	s_mov_b32 s26, 0
.LBB387_700:
	s_delay_alu instid0(SALU_CYCLE_1)
	s_and_not1_b32 vcc_lo, exec_lo, s26
	s_cbranch_vccnz .LBB387_710
; %bb.701:
	s_wait_xcnt 0x0
	v_cndmask_b32_e64 v3, 0, 1.0, s23
	s_mov_b32 s26, exec_lo
                                        ; implicit-def: $vgpr2
	s_delay_alu instid0(VALU_DEP_1)
	v_cmpx_gt_u32_e32 0x47800000, v3
	s_xor_b32 s26, exec_lo, s26
	s_cbranch_execz .LBB387_707
; %bb.702:
	s_mov_b32 s27, exec_lo
                                        ; implicit-def: $vgpr2
	v_cmpx_lt_u32_e32 0x387fffff, v3
	s_xor_b32 s27, exec_lo, s27
; %bb.703:
	v_bfe_u32 v2, v3, 21, 1
	s_delay_alu instid0(VALU_DEP_1) | instskip(NEXT) | instid1(VALU_DEP_1)
	v_add3_u32 v2, v3, v2, 0x80fffff
                                        ; implicit-def: $vgpr3
	v_lshrrev_b32_e32 v2, 21, v2
; %bb.704:
	s_and_not1_saveexec_b32 s27, s27
; %bb.705:
	v_add_f32_e32 v2, 0x43000000, v3
; %bb.706:
	s_or_b32 exec_lo, exec_lo, s27
                                        ; implicit-def: $vgpr3
.LBB387_707:
	s_and_not1_saveexec_b32 s26, s26
; %bb.708:
	v_mov_b32_e32 v2, 0x7f
	v_cmp_lt_u32_e32 vcc_lo, 0x7f800000, v3
	s_delay_alu instid0(VALU_DEP_2)
	v_cndmask_b32_e32 v2, 0x7c, v2, vcc_lo
; %bb.709:
	s_or_b32 exec_lo, exec_lo, s26
	global_store_b8 v[0:1], v2, off
.LBB387_710:
	s_mov_b32 s27, 0
	s_mov_b32 s26, -1
.LBB387_711:
	s_and_not1_b32 vcc_lo, exec_lo, s27
	s_cbranch_vccnz .LBB387_719
; %bb.712:
	s_cmp_gt_i32 s25, 14
	s_mov_b32 s27, -1
	s_cbranch_scc0 .LBB387_716
; %bb.713:
	s_cmp_eq_u32 s25, 15
	s_mov_b32 s0, -1
	s_cbranch_scc0 .LBB387_715
; %bb.714:
	s_wait_xcnt 0x0
	v_cndmask_b32_e64 v2, 0, 1.0, s23
	s_mov_b32 s26, -1
	s_mov_b32 s0, 0
	s_delay_alu instid0(VALU_DEP_1) | instskip(NEXT) | instid1(VALU_DEP_1)
	v_bfe_u32 v3, v2, 16, 1
	v_add3_u32 v2, v2, v3, 0x7fff
	global_store_d16_hi_b16 v[0:1], v2, off
.LBB387_715:
	s_mov_b32 s27, 0
.LBB387_716:
	s_delay_alu instid0(SALU_CYCLE_1)
	s_and_b32 vcc_lo, exec_lo, s27
	s_cbranch_vccz .LBB387_719
; %bb.717:
	s_cmp_eq_u32 s25, 11
	s_mov_b32 s0, -1
	s_cbranch_scc0 .LBB387_719
; %bb.718:
	s_wait_xcnt 0x0
	v_cndmask_b32_e64 v2, 0, 1, s23
	s_mov_b32 s26, -1
	s_mov_b32 s0, 0
	global_store_b8 v[0:1], v2, off
.LBB387_719:
	s_mov_b32 s25, 0
.LBB387_720:
	s_delay_alu instid0(SALU_CYCLE_1)
	s_and_b32 vcc_lo, exec_lo, s25
	s_cbranch_vccz .LBB387_759
; %bb.721:
	s_and_b32 s24, 0xffff, s24
	s_mov_b32 s25, -1
	s_cmp_lt_i32 s24, 5
	s_cbranch_scc1 .LBB387_742
; %bb.722:
	s_cmp_lt_i32 s24, 8
	s_cbranch_scc1 .LBB387_732
; %bb.723:
	;; [unrolled: 3-line block ×3, first 2 shown]
	s_cmp_gt_i32 s24, 9
	s_cbranch_scc0 .LBB387_726
; %bb.725:
	s_wait_xcnt 0x0
	v_cndmask_b32_e64 v2, 0, 1, s23
	v_mov_b32_e32 v4, 0
	s_mov_b32 s25, 0
	s_delay_alu instid0(VALU_DEP_2) | instskip(NEXT) | instid1(VALU_DEP_2)
	v_cvt_f64_u32_e32 v[2:3], v2
	v_mov_b32_e32 v5, v4
	global_store_b128 v[0:1], v[2:5], off
.LBB387_726:
	s_and_not1_b32 vcc_lo, exec_lo, s25
	s_cbranch_vccnz .LBB387_728
; %bb.727:
	s_wait_xcnt 0x0
	v_cndmask_b32_e64 v2, 0, 1.0, s23
	v_mov_b32_e32 v3, 0
	global_store_b64 v[0:1], v[2:3], off
.LBB387_728:
	s_mov_b32 s25, 0
.LBB387_729:
	s_delay_alu instid0(SALU_CYCLE_1)
	s_and_not1_b32 vcc_lo, exec_lo, s25
	s_cbranch_vccnz .LBB387_731
; %bb.730:
	s_wait_xcnt 0x0
	v_cndmask_b32_e64 v2, 0, 1.0, s23
	s_delay_alu instid0(VALU_DEP_1) | instskip(NEXT) | instid1(VALU_DEP_1)
	v_cvt_f16_f32_e32 v2, v2
	v_and_b32_e32 v2, 0xffff, v2
	global_store_b32 v[0:1], v2, off
.LBB387_731:
	s_mov_b32 s25, 0
.LBB387_732:
	s_delay_alu instid0(SALU_CYCLE_1)
	s_and_not1_b32 vcc_lo, exec_lo, s25
	s_cbranch_vccnz .LBB387_741
; %bb.733:
	s_cmp_lt_i32 s24, 6
	s_mov_b32 s25, -1
	s_cbranch_scc1 .LBB387_739
; %bb.734:
	s_cmp_gt_i32 s24, 6
	s_cbranch_scc0 .LBB387_736
; %bb.735:
	s_wait_xcnt 0x0
	v_cndmask_b32_e64 v2, 0, 1, s23
	s_mov_b32 s25, 0
	s_delay_alu instid0(VALU_DEP_1)
	v_cvt_f64_u32_e32 v[2:3], v2
	global_store_b64 v[0:1], v[2:3], off
.LBB387_736:
	s_and_not1_b32 vcc_lo, exec_lo, s25
	s_cbranch_vccnz .LBB387_738
; %bb.737:
	s_wait_xcnt 0x0
	v_cndmask_b32_e64 v2, 0, 1.0, s23
	global_store_b32 v[0:1], v2, off
.LBB387_738:
	s_mov_b32 s25, 0
.LBB387_739:
	s_delay_alu instid0(SALU_CYCLE_1)
	s_and_not1_b32 vcc_lo, exec_lo, s25
	s_cbranch_vccnz .LBB387_741
; %bb.740:
	s_wait_xcnt 0x0
	v_cndmask_b32_e64 v2, 0, 1.0, s23
	s_delay_alu instid0(VALU_DEP_1)
	v_cvt_f16_f32_e32 v2, v2
	global_store_b16 v[0:1], v2, off
.LBB387_741:
	s_mov_b32 s25, 0
.LBB387_742:
	s_delay_alu instid0(SALU_CYCLE_1)
	s_and_not1_b32 vcc_lo, exec_lo, s25
	s_cbranch_vccnz .LBB387_758
; %bb.743:
	s_cmp_lt_i32 s24, 2
	s_mov_b32 s25, -1
	s_cbranch_scc1 .LBB387_753
; %bb.744:
	s_cmp_lt_i32 s24, 3
	s_cbranch_scc1 .LBB387_750
; %bb.745:
	s_cmp_gt_i32 s24, 3
	s_cbranch_scc0 .LBB387_747
; %bb.746:
	s_mov_b32 s25, 0
	s_wait_xcnt 0x0
	v_cndmask_b32_e64 v2, 0, 1, s23
	v_mov_b32_e32 v3, s25
	global_store_b64 v[0:1], v[2:3], off
.LBB387_747:
	s_and_not1_b32 vcc_lo, exec_lo, s25
	s_cbranch_vccnz .LBB387_749
; %bb.748:
	s_wait_xcnt 0x0
	v_cndmask_b32_e64 v2, 0, 1, s23
	global_store_b32 v[0:1], v2, off
.LBB387_749:
	s_mov_b32 s25, 0
.LBB387_750:
	s_delay_alu instid0(SALU_CYCLE_1)
	s_and_not1_b32 vcc_lo, exec_lo, s25
	s_cbranch_vccnz .LBB387_752
; %bb.751:
	s_wait_xcnt 0x0
	v_cndmask_b32_e64 v2, 0, 1, s23
	global_store_b16 v[0:1], v2, off
.LBB387_752:
	s_mov_b32 s25, 0
.LBB387_753:
	s_delay_alu instid0(SALU_CYCLE_1)
	s_and_not1_b32 vcc_lo, exec_lo, s25
	s_cbranch_vccnz .LBB387_758
; %bb.754:
	s_wait_xcnt 0x0
	v_cndmask_b32_e64 v2, 0, 1, s23
	s_cmp_gt_i32 s24, 0
	s_mov_b32 s23, -1
	s_cbranch_scc0 .LBB387_756
; %bb.755:
	s_mov_b32 s23, 0
	global_store_b8 v[0:1], v2, off
.LBB387_756:
	s_and_not1_b32 vcc_lo, exec_lo, s23
	s_cbranch_vccnz .LBB387_758
; %bb.757:
	global_store_b8 v[0:1], v2, off
.LBB387_758:
	s_mov_b32 s26, -1
.LBB387_759:
	s_delay_alu instid0(SALU_CYCLE_1)
	s_and_not1_b32 vcc_lo, exec_lo, s26
	s_cbranch_vccnz .LBB387_761
; %bb.760:
	v_add_nc_u32_e32 v10, 0x80, v10
	s_mov_b32 s23, -1
	s_branch .LBB387_763
.LBB387_761:
	s_mov_b32 s23, 0
.LBB387_762:
                                        ; implicit-def: $vgpr10
.LBB387_763:
	s_and_not1_b32 s24, s19, exec_lo
	s_and_b32 s0, s0, exec_lo
	s_and_not1_b32 s25, s18, exec_lo
	s_and_b32 s26, s22, exec_lo
	s_or_b32 s22, s24, s0
	s_or_b32 s0, s25, s26
	s_or_not1_b32 s23, s23, exec_lo
.LBB387_764:
	s_wait_xcnt 0x0
	s_or_b32 exec_lo, exec_lo, s21
	s_mov_b32 s24, 0
	s_mov_b32 s25, 0
	;; [unrolled: 1-line block ×3, first 2 shown]
                                        ; implicit-def: $vgpr0_vgpr1
                                        ; implicit-def: $vgpr2
	s_and_saveexec_b32 s21, s23
	s_cbranch_execz .LBB387_845
; %bb.765:
	v_cmp_gt_i32_e32 vcc_lo, s14, v10
	s_mov_b32 s23, 0
	s_mov_b32 s24, s0
	;; [unrolled: 1-line block ×3, first 2 shown]
                                        ; implicit-def: $vgpr0_vgpr1
                                        ; implicit-def: $vgpr2
	s_and_saveexec_b32 s14, vcc_lo
	s_cbranch_execz .LBB387_844
; %bb.766:
	v_mul_lo_u32 v0, v10, s9
	s_and_b32 s23, 0xffff, s3
	s_delay_alu instid0(SALU_CYCLE_1) | instskip(NEXT) | instid1(VALU_DEP_1)
	s_cmp_lt_i32 s23, 11
	v_ashrrev_i32_e32 v1, 31, v0
	s_delay_alu instid0(VALU_DEP_1)
	v_add_nc_u64_e32 v[0:1], s[6:7], v[0:1]
	s_cbranch_scc1 .LBB387_773
; %bb.767:
	s_cmp_gt_i32 s23, 25
	s_cbranch_scc0 .LBB387_774
; %bb.768:
	s_cmp_gt_i32 s23, 28
	s_cbranch_scc0 .LBB387_775
	;; [unrolled: 3-line block ×4, first 2 shown]
; %bb.771:
	s_cmp_eq_u32 s23, 46
	s_cbranch_scc0 .LBB387_782
; %bb.772:
	s_wait_loadcnt 0x0
	global_load_b32 v2, v[0:1], off
	s_mov_b32 s24, 0
	s_mov_b32 s26, -1
	s_wait_loadcnt 0x0
	v_lshlrev_b32_e32 v2, 16, v2
	s_delay_alu instid0(VALU_DEP_1)
	v_cvt_i32_f32_e32 v2, v2
	s_branch .LBB387_784
.LBB387_773:
	s_mov_b32 s23, -1
	s_mov_b32 s24, s0
                                        ; implicit-def: $vgpr2
	s_branch .LBB387_843
.LBB387_774:
	s_mov_b32 s27, -1
	s_mov_b32 s24, s0
                                        ; implicit-def: $vgpr2
	s_branch .LBB387_811
.LBB387_775:
	s_mov_b32 s27, -1
	s_mov_b32 s24, s0
                                        ; implicit-def: $vgpr2
	s_branch .LBB387_794
.LBB387_776:
	s_mov_b32 s27, -1
	s_mov_b32 s24, s0
                                        ; implicit-def: $vgpr2
	s_branch .LBB387_789
.LBB387_777:
	s_and_not1_saveexec_b32 s28, s28
	s_cbranch_execz .LBB387_672
.LBB387_778:
	v_add_f32_e32 v2, 0x46000000, v3
	s_and_not1_b32 s27, s27, exec_lo
	s_delay_alu instid0(VALU_DEP_1) | instskip(NEXT) | instid1(VALU_DEP_1)
	v_and_b32_e32 v2, 0xff, v2
	v_cmp_ne_u32_e32 vcc_lo, 0, v2
	s_and_b32 s29, vcc_lo, exec_lo
	s_delay_alu instid0(SALU_CYCLE_1)
	s_or_b32 s27, s27, s29
	s_or_b32 exec_lo, exec_lo, s28
	v_mov_b32_e32 v4, 0
	s_and_saveexec_b32 s28, s27
	s_cbranch_execnz .LBB387_673
	s_branch .LBB387_674
.LBB387_779:
	s_mov_b32 s27, -1
	s_mov_b32 s24, s0
	s_branch .LBB387_783
.LBB387_780:
	s_and_not1_saveexec_b32 s28, s28
	s_cbranch_execz .LBB387_685
.LBB387_781:
	v_add_f32_e32 v2, 0x42800000, v3
	s_and_not1_b32 s27, s27, exec_lo
	s_delay_alu instid0(VALU_DEP_1) | instskip(NEXT) | instid1(VALU_DEP_1)
	v_and_b32_e32 v2, 0xff, v2
	v_cmp_ne_u32_e32 vcc_lo, 0, v2
	s_and_b32 s29, vcc_lo, exec_lo
	s_delay_alu instid0(SALU_CYCLE_1)
	s_or_b32 s27, s27, s29
	s_or_b32 exec_lo, exec_lo, s28
	v_mov_b32_e32 v4, 0
	s_and_saveexec_b32 s28, s27
	s_cbranch_execnz .LBB387_686
	s_branch .LBB387_687
.LBB387_782:
	s_mov_b32 s24, -1
.LBB387_783:
                                        ; implicit-def: $vgpr2
.LBB387_784:
	s_and_b32 vcc_lo, exec_lo, s27
	s_cbranch_vccz .LBB387_788
; %bb.785:
	s_cmp_eq_u32 s23, 44
	s_cbranch_scc0 .LBB387_787
; %bb.786:
	s_wait_loadcnt 0x0
	global_load_u8 v2, v[0:1], off
	s_mov_b32 s24, 0
	s_mov_b32 s26, -1
	s_wait_loadcnt 0x0
	v_lshlrev_b32_e32 v3, 23, v2
	v_cmp_ne_u32_e32 vcc_lo, 0, v2
	s_delay_alu instid0(VALU_DEP_2) | instskip(NEXT) | instid1(VALU_DEP_1)
	v_cvt_i32_f32_e32 v3, v3
	v_cndmask_b32_e32 v2, 0, v3, vcc_lo
	s_branch .LBB387_788
.LBB387_787:
	s_mov_b32 s24, -1
                                        ; implicit-def: $vgpr2
.LBB387_788:
	s_mov_b32 s27, 0
.LBB387_789:
	s_delay_alu instid0(SALU_CYCLE_1)
	s_and_b32 vcc_lo, exec_lo, s27
	s_cbranch_vccz .LBB387_793
; %bb.790:
	s_cmp_eq_u32 s23, 29
	s_cbranch_scc0 .LBB387_792
; %bb.791:
	s_wait_loadcnt 0x0
	global_load_b64 v[2:3], v[0:1], off
	s_mov_b32 s24, 0
	s_mov_b32 s26, -1
	s_branch .LBB387_793
.LBB387_792:
	s_mov_b32 s24, -1
                                        ; implicit-def: $vgpr2
.LBB387_793:
	s_mov_b32 s27, 0
.LBB387_794:
	s_delay_alu instid0(SALU_CYCLE_1)
	s_and_b32 vcc_lo, exec_lo, s27
	s_cbranch_vccz .LBB387_810
; %bb.795:
	s_cmp_lt_i32 s23, 27
	s_cbranch_scc1 .LBB387_798
; %bb.796:
	s_cmp_gt_i32 s23, 27
	s_cbranch_scc0 .LBB387_799
; %bb.797:
	s_wait_loadcnt 0x0
	global_load_b32 v2, v[0:1], off
	s_mov_b32 s26, 0
	s_branch .LBB387_800
.LBB387_798:
	s_mov_b32 s26, -1
                                        ; implicit-def: $vgpr2
	s_branch .LBB387_803
.LBB387_799:
	s_mov_b32 s26, -1
                                        ; implicit-def: $vgpr2
.LBB387_800:
	s_delay_alu instid0(SALU_CYCLE_1)
	s_and_not1_b32 vcc_lo, exec_lo, s26
	s_cbranch_vccnz .LBB387_802
; %bb.801:
	s_wait_loadcnt 0x0
	global_load_u16 v2, v[0:1], off
.LBB387_802:
	s_mov_b32 s26, 0
.LBB387_803:
	s_delay_alu instid0(SALU_CYCLE_1)
	s_and_not1_b32 vcc_lo, exec_lo, s26
	s_cbranch_vccnz .LBB387_809
; %bb.804:
	s_wait_loadcnt 0x0
	global_load_u8 v3, v[0:1], off
	s_mov_b32 s27, 0
	s_mov_b32 s26, exec_lo
	s_wait_loadcnt 0x0
	v_cmpx_lt_i16_e32 0x7f, v3
	s_xor_b32 s26, exec_lo, s26
	s_cbranch_execz .LBB387_821
; %bb.805:
	v_cmp_ne_u16_e32 vcc_lo, 0x80, v3
	s_and_b32 s27, vcc_lo, exec_lo
	s_and_not1_saveexec_b32 s26, s26
	s_cbranch_execnz .LBB387_822
.LBB387_806:
	s_or_b32 exec_lo, exec_lo, s26
	v_mov_b32_e32 v2, 0
	s_and_saveexec_b32 s26, s27
	s_cbranch_execz .LBB387_808
.LBB387_807:
	v_and_b32_e32 v2, 0xffff, v3
	s_delay_alu instid0(VALU_DEP_1) | instskip(SKIP_1) | instid1(VALU_DEP_2)
	v_and_b32_e32 v4, 7, v2
	v_bfe_u32 v7, v2, 3, 4
	v_clz_i32_u32_e32 v5, v4
	s_delay_alu instid0(VALU_DEP_2) | instskip(NEXT) | instid1(VALU_DEP_2)
	v_cmp_eq_u32_e32 vcc_lo, 0, v7
	v_min_u32_e32 v5, 32, v5
	s_delay_alu instid0(VALU_DEP_1) | instskip(NEXT) | instid1(VALU_DEP_1)
	v_subrev_nc_u32_e32 v6, 28, v5
	v_dual_lshlrev_b32 v2, v6, v2 :: v_dual_sub_nc_u32 v5, 29, v5
	s_delay_alu instid0(VALU_DEP_1) | instskip(NEXT) | instid1(VALU_DEP_1)
	v_dual_lshlrev_b32 v3, 24, v3 :: v_dual_bitop2_b32 v2, 7, v2 bitop3:0x40
	v_dual_cndmask_b32 v5, v7, v5 :: v_dual_cndmask_b32 v2, v4, v2
	s_delay_alu instid0(VALU_DEP_2) | instskip(NEXT) | instid1(VALU_DEP_2)
	v_and_b32_e32 v3, 0x80000000, v3
	v_lshl_add_u32 v4, v5, 23, 0x3b800000
	s_delay_alu instid0(VALU_DEP_3) | instskip(NEXT) | instid1(VALU_DEP_1)
	v_lshlrev_b32_e32 v2, 20, v2
	v_or3_b32 v2, v3, v4, v2
	s_delay_alu instid0(VALU_DEP_1)
	v_cvt_i32_f32_e32 v2, v2
.LBB387_808:
	s_or_b32 exec_lo, exec_lo, s26
.LBB387_809:
	s_mov_b32 s26, -1
.LBB387_810:
	s_mov_b32 s27, 0
.LBB387_811:
	s_delay_alu instid0(SALU_CYCLE_1)
	s_and_b32 vcc_lo, exec_lo, s27
	s_cbranch_vccz .LBB387_842
; %bb.812:
	s_cmp_gt_i32 s23, 22
	s_cbranch_scc0 .LBB387_820
; %bb.813:
	s_cmp_lt_i32 s23, 24
	s_cbranch_scc1 .LBB387_823
; %bb.814:
	s_cmp_gt_i32 s23, 24
	s_cbranch_scc0 .LBB387_824
; %bb.815:
	s_wait_loadcnt 0x0
	global_load_u8 v3, v[0:1], off
	s_mov_b32 s26, 0
	s_mov_b32 s25, exec_lo
	s_wait_loadcnt 0x0
	v_cmpx_lt_i16_e32 0x7f, v3
	s_xor_b32 s25, exec_lo, s25
	s_cbranch_execz .LBB387_836
; %bb.816:
	v_cmp_ne_u16_e32 vcc_lo, 0x80, v3
	s_and_b32 s26, vcc_lo, exec_lo
	s_and_not1_saveexec_b32 s25, s25
	s_cbranch_execnz .LBB387_837
.LBB387_817:
	s_or_b32 exec_lo, exec_lo, s25
	v_mov_b32_e32 v2, 0
	s_and_saveexec_b32 s25, s26
	s_cbranch_execz .LBB387_819
.LBB387_818:
	v_and_b32_e32 v2, 0xffff, v3
	s_delay_alu instid0(VALU_DEP_1) | instskip(SKIP_1) | instid1(VALU_DEP_2)
	v_and_b32_e32 v4, 3, v2
	v_bfe_u32 v7, v2, 2, 5
	v_clz_i32_u32_e32 v5, v4
	s_delay_alu instid0(VALU_DEP_2) | instskip(NEXT) | instid1(VALU_DEP_2)
	v_cmp_eq_u32_e32 vcc_lo, 0, v7
	v_min_u32_e32 v5, 32, v5
	s_delay_alu instid0(VALU_DEP_1) | instskip(NEXT) | instid1(VALU_DEP_1)
	v_subrev_nc_u32_e32 v6, 29, v5
	v_dual_lshlrev_b32 v2, v6, v2 :: v_dual_sub_nc_u32 v5, 30, v5
	s_delay_alu instid0(VALU_DEP_1) | instskip(NEXT) | instid1(VALU_DEP_1)
	v_dual_lshlrev_b32 v3, 24, v3 :: v_dual_bitop2_b32 v2, 3, v2 bitop3:0x40
	v_dual_cndmask_b32 v5, v7, v5 :: v_dual_cndmask_b32 v2, v4, v2
	s_delay_alu instid0(VALU_DEP_2) | instskip(NEXT) | instid1(VALU_DEP_2)
	v_and_b32_e32 v3, 0x80000000, v3
	v_lshl_add_u32 v4, v5, 23, 0x37800000
	s_delay_alu instid0(VALU_DEP_3) | instskip(NEXT) | instid1(VALU_DEP_1)
	v_lshlrev_b32_e32 v2, 21, v2
	v_or3_b32 v2, v3, v4, v2
	s_delay_alu instid0(VALU_DEP_1)
	v_cvt_i32_f32_e32 v2, v2
.LBB387_819:
	s_or_b32 exec_lo, exec_lo, s25
	s_mov_b32 s25, 0
	s_branch .LBB387_825
.LBB387_820:
	s_mov_b32 s25, -1
                                        ; implicit-def: $vgpr2
	s_branch .LBB387_831
.LBB387_821:
	s_and_not1_saveexec_b32 s26, s26
	s_cbranch_execz .LBB387_806
.LBB387_822:
	v_cmp_ne_u16_e32 vcc_lo, 0, v3
	s_and_not1_b32 s27, s27, exec_lo
	s_and_b32 s28, vcc_lo, exec_lo
	s_delay_alu instid0(SALU_CYCLE_1)
	s_or_b32 s27, s27, s28
	s_or_b32 exec_lo, exec_lo, s26
	v_mov_b32_e32 v2, 0
	s_and_saveexec_b32 s26, s27
	s_cbranch_execnz .LBB387_807
	s_branch .LBB387_808
.LBB387_823:
	s_mov_b32 s25, -1
                                        ; implicit-def: $vgpr2
	s_branch .LBB387_828
.LBB387_824:
	s_mov_b32 s25, -1
                                        ; implicit-def: $vgpr2
.LBB387_825:
	s_delay_alu instid0(SALU_CYCLE_1)
	s_and_b32 vcc_lo, exec_lo, s25
	s_cbranch_vccz .LBB387_827
; %bb.826:
	s_wait_loadcnt 0x0
	global_load_u8 v2, v[0:1], off
	s_wait_loadcnt 0x0
	v_lshlrev_b32_e32 v2, 24, v2
	s_delay_alu instid0(VALU_DEP_1) | instskip(NEXT) | instid1(VALU_DEP_1)
	v_and_b32_e32 v3, 0x7f000000, v2
	v_clz_i32_u32_e32 v4, v3
	v_cmp_ne_u32_e32 vcc_lo, 0, v3
	v_add_nc_u32_e32 v6, 0x1000000, v3
	s_delay_alu instid0(VALU_DEP_3) | instskip(NEXT) | instid1(VALU_DEP_1)
	v_min_u32_e32 v4, 32, v4
	v_sub_nc_u32_e64 v4, v4, 4 clamp
	s_delay_alu instid0(VALU_DEP_1) | instskip(NEXT) | instid1(VALU_DEP_1)
	v_dual_lshlrev_b32 v5, v4, v3 :: v_dual_lshlrev_b32 v4, 23, v4
	v_lshrrev_b32_e32 v5, 4, v5
	s_delay_alu instid0(VALU_DEP_1) | instskip(NEXT) | instid1(VALU_DEP_1)
	v_dual_sub_nc_u32 v4, v5, v4 :: v_dual_ashrrev_i32 v5, 8, v6
	v_add_nc_u32_e32 v4, 0x3c000000, v4
	s_delay_alu instid0(VALU_DEP_1) | instskip(NEXT) | instid1(VALU_DEP_1)
	v_and_or_b32 v4, 0x7f800000, v5, v4
	v_cndmask_b32_e32 v3, 0, v4, vcc_lo
	s_delay_alu instid0(VALU_DEP_1) | instskip(NEXT) | instid1(VALU_DEP_1)
	v_and_or_b32 v2, 0x80000000, v2, v3
	v_cvt_i32_f32_e32 v2, v2
.LBB387_827:
	s_mov_b32 s25, 0
.LBB387_828:
	s_delay_alu instid0(SALU_CYCLE_1)
	s_and_not1_b32 vcc_lo, exec_lo, s25
	s_cbranch_vccnz .LBB387_830
; %bb.829:
	s_wait_loadcnt 0x0
	global_load_u8 v2, v[0:1], off
	s_wait_loadcnt 0x0
	v_lshlrev_b32_e32 v3, 25, v2
	v_lshlrev_b16 v2, 8, v2
	s_delay_alu instid0(VALU_DEP_1) | instskip(SKIP_1) | instid1(VALU_DEP_2)
	v_and_or_b32 v5, 0x7f00, v2, 0.5
	v_bfe_i32 v2, v2, 0, 16
	v_dual_add_f32 v5, -0.5, v5 :: v_dual_lshrrev_b32 v4, 4, v3
	v_cmp_gt_u32_e32 vcc_lo, 0x8000000, v3
	s_delay_alu instid0(VALU_DEP_2) | instskip(NEXT) | instid1(VALU_DEP_1)
	v_or_b32_e32 v4, 0x70000000, v4
	v_mul_f32_e32 v4, 0x7800000, v4
	s_delay_alu instid0(VALU_DEP_1) | instskip(NEXT) | instid1(VALU_DEP_1)
	v_cndmask_b32_e32 v3, v4, v5, vcc_lo
	v_and_or_b32 v2, 0x80000000, v2, v3
	s_delay_alu instid0(VALU_DEP_1)
	v_cvt_i32_f32_e32 v2, v2
.LBB387_830:
	s_mov_b32 s25, 0
	s_mov_b32 s26, -1
.LBB387_831:
	s_and_not1_b32 vcc_lo, exec_lo, s25
	s_mov_b32 s25, 0
	s_cbranch_vccnz .LBB387_842
; %bb.832:
	s_cmp_gt_i32 s23, 14
	s_cbranch_scc0 .LBB387_835
; %bb.833:
	s_cmp_eq_u32 s23, 15
	s_cbranch_scc0 .LBB387_838
; %bb.834:
	s_wait_loadcnt 0x0
	global_load_u16 v2, v[0:1], off
	s_mov_b32 s24, 0
	s_mov_b32 s26, -1
	s_wait_loadcnt 0x0
	v_lshlrev_b32_e32 v2, 16, v2
	s_delay_alu instid0(VALU_DEP_1)
	v_cvt_i32_f32_e32 v2, v2
	s_branch .LBB387_840
.LBB387_835:
	s_mov_b32 s25, -1
	s_branch .LBB387_839
.LBB387_836:
	s_and_not1_saveexec_b32 s25, s25
	s_cbranch_execz .LBB387_817
.LBB387_837:
	v_cmp_ne_u16_e32 vcc_lo, 0, v3
	s_and_not1_b32 s26, s26, exec_lo
	s_and_b32 s27, vcc_lo, exec_lo
	s_delay_alu instid0(SALU_CYCLE_1)
	s_or_b32 s26, s26, s27
	s_or_b32 exec_lo, exec_lo, s25
	v_mov_b32_e32 v2, 0
	s_and_saveexec_b32 s25, s26
	s_cbranch_execnz .LBB387_818
	s_branch .LBB387_819
.LBB387_838:
	s_mov_b32 s24, -1
.LBB387_839:
                                        ; implicit-def: $vgpr2
.LBB387_840:
	s_and_b32 vcc_lo, exec_lo, s25
	s_mov_b32 s25, 0
	s_cbranch_vccz .LBB387_842
; %bb.841:
	s_cmp_lg_u32 s23, 11
	s_mov_b32 s25, -1
	s_cselect_b32 s23, -1, 0
	s_and_not1_b32 s24, s24, exec_lo
	s_and_b32 s23, s23, exec_lo
	s_delay_alu instid0(SALU_CYCLE_1)
	s_or_b32 s24, s24, s23
.LBB387_842:
	s_mov_b32 s23, 0
.LBB387_843:
	s_and_not1_b32 s28, s0, exec_lo
	s_and_b32 s24, s24, exec_lo
	s_and_b32 s26, s26, exec_lo
	;; [unrolled: 1-line block ×4, first 2 shown]
	s_or_b32 s24, s28, s24
.LBB387_844:
	s_wait_xcnt 0x0
	s_or_b32 exec_lo, exec_lo, s14
	s_delay_alu instid0(SALU_CYCLE_1)
	s_and_not1_b32 s0, s0, exec_lo
	s_and_b32 s14, s24, exec_lo
	s_and_b32 s26, s26, exec_lo
	;; [unrolled: 1-line block ×4, first 2 shown]
	s_or_b32 s0, s0, s14
.LBB387_845:
	s_or_b32 exec_lo, exec_lo, s21
	s_delay_alu instid0(SALU_CYCLE_1)
	s_and_not1_b32 s14, s19, exec_lo
	s_and_b32 s19, s22, exec_lo
	s_and_b32 s0, s0, exec_lo
	s_or_b32 s19, s14, s19
	s_and_not1_b32 s14, s18, exec_lo
	s_and_b32 s23, s26, exec_lo
	s_and_b32 s22, s25, exec_lo
	;; [unrolled: 1-line block ×3, first 2 shown]
	s_or_b32 s18, s14, s0
.LBB387_846:
	s_or_b32 exec_lo, exec_lo, s20
	s_delay_alu instid0(SALU_CYCLE_1)
	s_and_not1_b32 s0, s15, exec_lo
	s_and_b32 s14, s19, exec_lo
	s_and_b32 s19, s22, exec_lo
	s_or_b32 s15, s0, s14
	s_and_not1_b32 s14, s16, exec_lo
	s_and_b32 s16, s18, exec_lo
	s_and_b32 s0, s23, exec_lo
	;; [unrolled: 1-line block ×3, first 2 shown]
	s_or_b32 s16, s14, s16
	s_or_b32 exec_lo, exec_lo, s17
	s_mov_b32 s14, 0
	s_and_saveexec_b32 s17, s16
	s_cbranch_execz .LBB387_258
.LBB387_847:
	s_mov_b32 s14, exec_lo
	s_and_not1_b32 s18, s18, exec_lo
	s_trap 2
	s_or_b32 exec_lo, exec_lo, s17
	s_and_saveexec_b32 s16, s18
	s_delay_alu instid0(SALU_CYCLE_1)
	s_xor_b32 s16, exec_lo, s16
	s_cbranch_execnz .LBB387_259
.LBB387_848:
	s_or_b32 exec_lo, exec_lo, s16
	s_and_saveexec_b32 s16, s19
	s_cbranch_execz .LBB387_894
.LBB387_849:
	s_sext_i32_i16 s17, s3
	s_delay_alu instid0(SALU_CYCLE_1)
	s_cmp_lt_i32 s17, 5
	s_cbranch_scc1 .LBB387_854
; %bb.850:
	s_cmp_lt_i32 s17, 8
	s_cbranch_scc1 .LBB387_855
; %bb.851:
	;; [unrolled: 3-line block ×3, first 2 shown]
	s_cmp_gt_i32 s17, 9
	s_cbranch_scc0 .LBB387_857
; %bb.853:
	s_wait_loadcnt 0x0
	global_load_b64 v[2:3], v[0:1], off
	s_mov_b32 s17, 0
	s_wait_loadcnt 0x0
	v_cvt_i32_f64_e32 v2, v[2:3]
	s_branch .LBB387_858
.LBB387_854:
                                        ; implicit-def: $vgpr2
	s_branch .LBB387_875
.LBB387_855:
                                        ; implicit-def: $vgpr2
	s_branch .LBB387_864
.LBB387_856:
	s_mov_b32 s17, -1
                                        ; implicit-def: $vgpr2
	s_branch .LBB387_861
.LBB387_857:
	s_mov_b32 s17, -1
                                        ; implicit-def: $vgpr2
.LBB387_858:
	s_delay_alu instid0(SALU_CYCLE_1)
	s_and_not1_b32 vcc_lo, exec_lo, s17
	s_cbranch_vccnz .LBB387_860
; %bb.859:
	s_wait_loadcnt 0x0
	global_load_b32 v2, v[0:1], off
	s_wait_loadcnt 0x0
	v_cvt_i32_f32_e32 v2, v2
.LBB387_860:
	s_mov_b32 s17, 0
.LBB387_861:
	s_delay_alu instid0(SALU_CYCLE_1)
	s_and_not1_b32 vcc_lo, exec_lo, s17
	s_cbranch_vccnz .LBB387_863
; %bb.862:
	s_wait_loadcnt 0x0
	global_load_b32 v2, v[0:1], off
	s_wait_loadcnt 0x0
	v_cvt_i16_f16_e32 v2, v2
.LBB387_863:
	s_cbranch_execnz .LBB387_874
.LBB387_864:
	s_sext_i32_i16 s17, s3
	s_delay_alu instid0(SALU_CYCLE_1)
	s_cmp_lt_i32 s17, 6
	s_cbranch_scc1 .LBB387_867
; %bb.865:
	s_cmp_gt_i32 s17, 6
	s_cbranch_scc0 .LBB387_868
; %bb.866:
	s_wait_loadcnt 0x0
	global_load_b64 v[2:3], v[0:1], off
	s_mov_b32 s17, 0
	s_wait_loadcnt 0x0
	v_cvt_i32_f64_e32 v2, v[2:3]
	s_branch .LBB387_869
.LBB387_867:
	s_mov_b32 s17, -1
                                        ; implicit-def: $vgpr2
	s_branch .LBB387_872
.LBB387_868:
	s_mov_b32 s17, -1
                                        ; implicit-def: $vgpr2
.LBB387_869:
	s_delay_alu instid0(SALU_CYCLE_1)
	s_and_not1_b32 vcc_lo, exec_lo, s17
	s_cbranch_vccnz .LBB387_871
; %bb.870:
	s_wait_loadcnt 0x0
	global_load_b32 v2, v[0:1], off
	s_wait_loadcnt 0x0
	v_cvt_i32_f32_e32 v2, v2
.LBB387_871:
	s_mov_b32 s17, 0
.LBB387_872:
	s_delay_alu instid0(SALU_CYCLE_1)
	s_and_not1_b32 vcc_lo, exec_lo, s17
	s_cbranch_vccnz .LBB387_874
; %bb.873:
	s_wait_loadcnt 0x0
	global_load_u16 v2, v[0:1], off
	s_wait_loadcnt 0x0
	v_cvt_i16_f16_e32 v2, v2
.LBB387_874:
	s_cbranch_execnz .LBB387_893
.LBB387_875:
	s_sext_i32_i16 s17, s3
	s_delay_alu instid0(SALU_CYCLE_1)
	s_cmp_lt_i32 s17, 2
	s_cbranch_scc1 .LBB387_879
; %bb.876:
	s_cmp_lt_i32 s17, 3
	s_cbranch_scc1 .LBB387_880
; %bb.877:
	s_cmp_gt_i32 s17, 3
	s_cbranch_scc0 .LBB387_881
; %bb.878:
	s_wait_loadcnt 0x0
	global_load_b64 v[2:3], v[0:1], off
	s_mov_b32 s17, 0
	s_branch .LBB387_882
.LBB387_879:
                                        ; implicit-def: $vgpr2
	s_branch .LBB387_888
.LBB387_880:
	s_mov_b32 s17, -1
                                        ; implicit-def: $vgpr2
	s_branch .LBB387_885
.LBB387_881:
	s_mov_b32 s17, -1
                                        ; implicit-def: $vgpr2
.LBB387_882:
	s_delay_alu instid0(SALU_CYCLE_1)
	s_and_not1_b32 vcc_lo, exec_lo, s17
	s_cbranch_vccnz .LBB387_884
; %bb.883:
	s_wait_loadcnt 0x0
	global_load_b32 v2, v[0:1], off
.LBB387_884:
	s_mov_b32 s17, 0
.LBB387_885:
	s_delay_alu instid0(SALU_CYCLE_1)
	s_and_not1_b32 vcc_lo, exec_lo, s17
	s_cbranch_vccnz .LBB387_887
; %bb.886:
	s_wait_loadcnt 0x0
	global_load_u16 v2, v[0:1], off
.LBB387_887:
	s_cbranch_execnz .LBB387_893
.LBB387_888:
	s_sext_i32_i16 s17, s3
	s_delay_alu instid0(SALU_CYCLE_1)
	s_cmp_gt_i32 s17, 0
	s_mov_b32 s17, 0
	s_cbranch_scc0 .LBB387_890
; %bb.889:
	s_wait_loadcnt 0x0
	global_load_u8 v2, v[0:1], off
	s_branch .LBB387_891
.LBB387_890:
	s_mov_b32 s17, -1
                                        ; implicit-def: $vgpr2
.LBB387_891:
	s_delay_alu instid0(SALU_CYCLE_1)
	s_and_not1_b32 vcc_lo, exec_lo, s17
	s_cbranch_vccnz .LBB387_893
; %bb.892:
	s_wait_loadcnt 0x0
	global_load_u8 v2, v[0:1], off
.LBB387_893:
	s_or_b32 s0, s0, exec_lo
.LBB387_894:
	s_wait_xcnt 0x0
	s_or_b32 exec_lo, exec_lo, s16
	s_mov_b32 s20, 0
	s_mov_b32 s19, 0
                                        ; implicit-def: $sgpr16
                                        ; implicit-def: $sgpr17
                                        ; implicit-def: $vgpr0_vgpr1
	s_and_saveexec_b32 s18, s0
	s_cbranch_execz .LBB387_902
; %bb.895:
	v_mul_lo_u32 v0, v10, s8
	s_wait_loadcnt 0x0
	s_delay_alu instid0(VALU_DEP_2) | instskip(SKIP_2) | instid1(VALU_DEP_1)
	v_and_b32_e32 v2, 0xff, v2
	s_and_b32 s0, s11, 0xff
	s_and_b32 s17, s2, 0xff
	v_cmp_ne_u16_e32 vcc_lo, s0, v2
	s_xor_b32 s16, s13, vcc_lo
	s_delay_alu instid0(VALU_DEP_3) | instskip(SKIP_1) | instid1(VALU_DEP_1)
	v_ashrrev_i32_e32 v1, 31, v0
	s_cmp_lt_i32 s17, 11
	v_add_nc_u64_e32 v[0:1], s[4:5], v[0:1]
	s_cbranch_scc1 .LBB387_905
; %bb.896:
	s_and_b32 s13, 0xffff, s17
	s_mov_b32 s19, -1
	s_cmp_gt_i32 s13, 25
	s_mov_b32 s0, s15
	s_cbranch_scc0 .LBB387_933
; %bb.897:
	s_cmp_gt_i32 s13, 28
	s_mov_b32 s0, s15
	s_cbranch_scc0 .LBB387_917
; %bb.898:
	;; [unrolled: 4-line block ×4, first 2 shown]
	s_cmp_eq_u32 s13, 46
	s_mov_b32 s0, -1
	s_cbranch_scc0 .LBB387_906
; %bb.901:
	v_cndmask_b32_e64 v2, 0, 1.0, s16
	s_mov_b32 s0, 0
	s_mov_b32 s19, 0
	s_delay_alu instid0(VALU_DEP_1) | instskip(NEXT) | instid1(VALU_DEP_1)
	v_bfe_u32 v3, v2, 16, 1
	v_add3_u32 v2, v2, v3, 0x7fff
	s_delay_alu instid0(VALU_DEP_1)
	v_lshrrev_b32_e32 v2, 16, v2
	global_store_b32 v[0:1], v2, off
	s_branch .LBB387_907
.LBB387_902:
	s_or_b32 exec_lo, exec_lo, s18
	s_and_saveexec_b32 s0, s15
	s_cbranch_execnz .LBB387_975
.LBB387_903:
	s_or_b32 exec_lo, exec_lo, s0
	s_and_saveexec_b32 s0, s20
	s_delay_alu instid0(SALU_CYCLE_1)
	s_xor_b32 s0, exec_lo, s0
	s_cbranch_execz .LBB387_976
.LBB387_904:
	s_wait_loadcnt 0x0
	v_cndmask_b32_e64 v2, 0, 1, s16
	global_store_b8 v[0:1], v2, off
	s_wait_xcnt 0x0
	s_or_b32 exec_lo, exec_lo, s0
	s_and_saveexec_b32 s0, s19
	s_delay_alu instid0(SALU_CYCLE_1)
	s_xor_b32 s0, exec_lo, s0
	s_cbranch_execz .LBB387_1014
	s_branch .LBB387_977
.LBB387_905:
	s_mov_b32 s19, -1
	s_mov_b32 s0, s15
	s_branch .LBB387_974
.LBB387_906:
	s_mov_b32 s19, 0
.LBB387_907:
	s_delay_alu instid0(SALU_CYCLE_1)
	s_and_b32 vcc_lo, exec_lo, s19
	s_cbranch_vccz .LBB387_912
; %bb.908:
	s_cmp_eq_u32 s13, 44
	s_mov_b32 s0, -1
	s_cbranch_scc0 .LBB387_912
; %bb.909:
	v_cndmask_b32_e64 v4, 0, 1.0, s16
	s_mov_b32 s19, exec_lo
	s_wait_xcnt 0x0
	s_delay_alu instid0(VALU_DEP_1) | instskip(NEXT) | instid1(VALU_DEP_1)
	v_dual_mov_b32 v3, 0xff :: v_dual_lshrrev_b32 v2, 23, v4
	v_cmpx_ne_u32_e32 0xff, v2
; %bb.910:
	v_and_b32_e32 v3, 0x400000, v4
	v_and_or_b32 v4, 0x3fffff, v4, v2
	s_delay_alu instid0(VALU_DEP_2) | instskip(NEXT) | instid1(VALU_DEP_2)
	v_cmp_ne_u32_e32 vcc_lo, 0, v3
	v_cmp_ne_u32_e64 s0, 0, v4
	s_and_b32 s0, vcc_lo, s0
	s_delay_alu instid0(SALU_CYCLE_1) | instskip(NEXT) | instid1(VALU_DEP_1)
	v_cndmask_b32_e64 v3, 0, 1, s0
	v_add_nc_u32_e32 v3, v2, v3
; %bb.911:
	s_or_b32 exec_lo, exec_lo, s19
	s_mov_b32 s0, 0
	global_store_b8 v[0:1], v3, off
.LBB387_912:
	s_mov_b32 s19, 0
.LBB387_913:
	s_delay_alu instid0(SALU_CYCLE_1)
	s_and_b32 vcc_lo, exec_lo, s19
	s_cbranch_vccz .LBB387_916
; %bb.914:
	s_cmp_eq_u32 s13, 29
	s_mov_b32 s0, -1
	s_cbranch_scc0 .LBB387_916
; %bb.915:
	s_mov_b32 s0, 0
	s_wait_xcnt 0x0
	v_cndmask_b32_e64 v2, 0, 1, s16
	v_mov_b32_e32 v3, s0
	s_mov_b32 s19, 0
	global_store_b64 v[0:1], v[2:3], off
	s_branch .LBB387_917
.LBB387_916:
	s_mov_b32 s19, 0
.LBB387_917:
	s_delay_alu instid0(SALU_CYCLE_1)
	s_and_b32 vcc_lo, exec_lo, s19
	s_cbranch_vccz .LBB387_932
; %bb.918:
	s_cmp_lt_i32 s13, 27
	s_mov_b32 s19, -1
	s_cbranch_scc1 .LBB387_924
; %bb.919:
	s_wait_xcnt 0x0
	v_cndmask_b32_e64 v2, 0, 1, s16
	s_cmp_gt_i32 s13, 27
	s_cbranch_scc0 .LBB387_921
; %bb.920:
	s_mov_b32 s19, 0
	global_store_b32 v[0:1], v2, off
.LBB387_921:
	s_and_not1_b32 vcc_lo, exec_lo, s19
	s_cbranch_vccnz .LBB387_923
; %bb.922:
	global_store_b16 v[0:1], v2, off
.LBB387_923:
	s_mov_b32 s19, 0
.LBB387_924:
	s_delay_alu instid0(SALU_CYCLE_1)
	s_and_not1_b32 vcc_lo, exec_lo, s19
	s_cbranch_vccnz .LBB387_932
; %bb.925:
	s_wait_xcnt 0x0
	v_cndmask_b32_e64 v3, 0, 1.0, s16
	v_mov_b32_e32 v4, 0x80
	s_mov_b32 s19, exec_lo
	s_delay_alu instid0(VALU_DEP_2)
	v_cmpx_gt_u32_e32 0x43800000, v3
	s_cbranch_execz .LBB387_931
; %bb.926:
	s_mov_b32 s21, exec_lo
                                        ; implicit-def: $vgpr2
	v_cmpx_lt_u32_e32 0x3bffffff, v3
	s_xor_b32 s21, exec_lo, s21
	s_cbranch_execz .LBB387_1029
; %bb.927:
	v_bfe_u32 v2, v3, 20, 1
	s_mov_b32 s20, exec_lo
	s_delay_alu instid0(VALU_DEP_1) | instskip(NEXT) | instid1(VALU_DEP_1)
	v_add3_u32 v2, v3, v2, 0x487ffff
                                        ; implicit-def: $vgpr3
	v_lshrrev_b32_e32 v2, 20, v2
	s_and_not1_saveexec_b32 s21, s21
	s_cbranch_execnz .LBB387_1030
.LBB387_928:
	s_or_b32 exec_lo, exec_lo, s21
	v_mov_b32_e32 v4, 0
	s_and_saveexec_b32 s21, s20
.LBB387_929:
	v_mov_b32_e32 v4, v2
.LBB387_930:
	s_or_b32 exec_lo, exec_lo, s21
.LBB387_931:
	s_delay_alu instid0(SALU_CYCLE_1)
	s_or_b32 exec_lo, exec_lo, s19
	global_store_b8 v[0:1], v4, off
.LBB387_932:
	s_mov_b32 s19, 0
.LBB387_933:
	s_delay_alu instid0(SALU_CYCLE_1)
	s_and_b32 vcc_lo, exec_lo, s19
	s_mov_b32 s19, 0
	s_cbranch_vccz .LBB387_973
; %bb.934:
	s_cmp_gt_i32 s13, 22
	s_mov_b32 s20, -1
	s_cbranch_scc0 .LBB387_966
; %bb.935:
	s_cmp_lt_i32 s13, 24
	s_cbranch_scc1 .LBB387_955
; %bb.936:
	s_cmp_gt_i32 s13, 24
	s_cbranch_scc0 .LBB387_944
; %bb.937:
	s_wait_xcnt 0x0
	v_cndmask_b32_e64 v3, 0, 1.0, s16
	v_mov_b32_e32 v4, 0x80
	s_mov_b32 s20, exec_lo
	s_delay_alu instid0(VALU_DEP_2)
	v_cmpx_gt_u32_e32 0x47800000, v3
	s_cbranch_execz .LBB387_943
; %bb.938:
	s_mov_b32 s21, 0
	s_mov_b32 s22, exec_lo
                                        ; implicit-def: $vgpr2
	v_cmpx_lt_u32_e32 0x37ffffff, v3
	s_xor_b32 s22, exec_lo, s22
	s_cbranch_execz .LBB387_1150
; %bb.939:
	v_bfe_u32 v2, v3, 21, 1
	s_mov_b32 s21, exec_lo
	s_delay_alu instid0(VALU_DEP_1) | instskip(NEXT) | instid1(VALU_DEP_1)
	v_add3_u32 v2, v3, v2, 0x88fffff
                                        ; implicit-def: $vgpr3
	v_lshrrev_b32_e32 v2, 21, v2
	s_and_not1_saveexec_b32 s22, s22
	s_cbranch_execnz .LBB387_1151
.LBB387_940:
	s_or_b32 exec_lo, exec_lo, s22
	v_mov_b32_e32 v4, 0
	s_and_saveexec_b32 s22, s21
.LBB387_941:
	v_mov_b32_e32 v4, v2
.LBB387_942:
	s_or_b32 exec_lo, exec_lo, s22
.LBB387_943:
	s_delay_alu instid0(SALU_CYCLE_1)
	s_or_b32 exec_lo, exec_lo, s20
	s_mov_b32 s20, 0
	global_store_b8 v[0:1], v4, off
.LBB387_944:
	s_and_b32 vcc_lo, exec_lo, s20
	s_cbranch_vccz .LBB387_954
; %bb.945:
	s_wait_xcnt 0x0
	v_cndmask_b32_e64 v3, 0, 1.0, s16
	s_mov_b32 s20, exec_lo
                                        ; implicit-def: $vgpr2
	s_delay_alu instid0(VALU_DEP_1)
	v_cmpx_gt_u32_e32 0x43f00000, v3
	s_xor_b32 s20, exec_lo, s20
	s_cbranch_execz .LBB387_951
; %bb.946:
	s_mov_b32 s21, exec_lo
                                        ; implicit-def: $vgpr2
	v_cmpx_lt_u32_e32 0x3c7fffff, v3
	s_xor_b32 s21, exec_lo, s21
; %bb.947:
	v_bfe_u32 v2, v3, 20, 1
	s_delay_alu instid0(VALU_DEP_1) | instskip(NEXT) | instid1(VALU_DEP_1)
	v_add3_u32 v2, v3, v2, 0x407ffff
	v_and_b32_e32 v3, 0xff00000, v2
	v_lshrrev_b32_e32 v2, 20, v2
	s_delay_alu instid0(VALU_DEP_2) | instskip(NEXT) | instid1(VALU_DEP_2)
	v_cmp_ne_u32_e32 vcc_lo, 0x7f00000, v3
                                        ; implicit-def: $vgpr3
	v_cndmask_b32_e32 v2, 0x7e, v2, vcc_lo
; %bb.948:
	s_and_not1_saveexec_b32 s21, s21
; %bb.949:
	v_add_f32_e32 v2, 0x46800000, v3
; %bb.950:
	s_or_b32 exec_lo, exec_lo, s21
                                        ; implicit-def: $vgpr3
.LBB387_951:
	s_and_not1_saveexec_b32 s20, s20
; %bb.952:
	v_mov_b32_e32 v2, 0x7f
	v_cmp_lt_u32_e32 vcc_lo, 0x7f800000, v3
	s_delay_alu instid0(VALU_DEP_2)
	v_cndmask_b32_e32 v2, 0x7e, v2, vcc_lo
; %bb.953:
	s_or_b32 exec_lo, exec_lo, s20
	global_store_b8 v[0:1], v2, off
.LBB387_954:
	s_mov_b32 s20, 0
.LBB387_955:
	s_delay_alu instid0(SALU_CYCLE_1)
	s_and_not1_b32 vcc_lo, exec_lo, s20
	s_cbranch_vccnz .LBB387_965
; %bb.956:
	s_wait_xcnt 0x0
	v_cndmask_b32_e64 v3, 0, 1.0, s16
	s_mov_b32 s20, exec_lo
                                        ; implicit-def: $vgpr2
	s_delay_alu instid0(VALU_DEP_1)
	v_cmpx_gt_u32_e32 0x47800000, v3
	s_xor_b32 s20, exec_lo, s20
	s_cbranch_execz .LBB387_962
; %bb.957:
	s_mov_b32 s21, exec_lo
                                        ; implicit-def: $vgpr2
	v_cmpx_lt_u32_e32 0x387fffff, v3
	s_xor_b32 s21, exec_lo, s21
; %bb.958:
	v_bfe_u32 v2, v3, 21, 1
	s_delay_alu instid0(VALU_DEP_1) | instskip(NEXT) | instid1(VALU_DEP_1)
	v_add3_u32 v2, v3, v2, 0x80fffff
                                        ; implicit-def: $vgpr3
	v_lshrrev_b32_e32 v2, 21, v2
; %bb.959:
	s_and_not1_saveexec_b32 s21, s21
; %bb.960:
	v_add_f32_e32 v2, 0x43000000, v3
; %bb.961:
	s_or_b32 exec_lo, exec_lo, s21
                                        ; implicit-def: $vgpr3
.LBB387_962:
	s_and_not1_saveexec_b32 s20, s20
; %bb.963:
	v_mov_b32_e32 v2, 0x7f
	v_cmp_lt_u32_e32 vcc_lo, 0x7f800000, v3
	s_delay_alu instid0(VALU_DEP_2)
	v_cndmask_b32_e32 v2, 0x7c, v2, vcc_lo
; %bb.964:
	s_or_b32 exec_lo, exec_lo, s20
	global_store_b8 v[0:1], v2, off
.LBB387_965:
	s_mov_b32 s20, 0
.LBB387_966:
	s_delay_alu instid0(SALU_CYCLE_1)
	s_and_not1_b32 vcc_lo, exec_lo, s20
	s_mov_b32 s20, 0
	s_cbranch_vccnz .LBB387_974
; %bb.967:
	s_cmp_gt_i32 s13, 14
	s_mov_b32 s20, -1
	s_cbranch_scc0 .LBB387_971
; %bb.968:
	s_cmp_eq_u32 s13, 15
	s_mov_b32 s0, -1
	s_cbranch_scc0 .LBB387_970
; %bb.969:
	s_wait_xcnt 0x0
	v_cndmask_b32_e64 v2, 0, 1.0, s16
	s_mov_b32 s0, 0
	s_delay_alu instid0(VALU_DEP_1) | instskip(NEXT) | instid1(VALU_DEP_1)
	v_bfe_u32 v3, v2, 16, 1
	v_add3_u32 v2, v2, v3, 0x7fff
	global_store_d16_hi_b16 v[0:1], v2, off
.LBB387_970:
	s_mov_b32 s20, 0
.LBB387_971:
	s_delay_alu instid0(SALU_CYCLE_1)
	s_and_b32 vcc_lo, exec_lo, s20
	s_mov_b32 s20, 0
	s_cbranch_vccz .LBB387_974
; %bb.972:
	s_cmp_lg_u32 s13, 11
	s_mov_b32 s20, -1
	s_cselect_b32 s13, -1, 0
	s_and_not1_b32 s0, s0, exec_lo
	s_and_b32 s13, s13, exec_lo
	s_delay_alu instid0(SALU_CYCLE_1)
	s_or_b32 s0, s0, s13
	s_branch .LBB387_974
.LBB387_973:
	s_mov_b32 s20, 0
.LBB387_974:
	s_and_not1_b32 s13, s15, exec_lo
	s_and_b32 s0, s0, exec_lo
	s_and_b32 s19, s19, exec_lo
	;; [unrolled: 1-line block ×3, first 2 shown]
	s_or_b32 s15, s13, s0
	s_wait_xcnt 0x0
	s_or_b32 exec_lo, exec_lo, s18
	s_and_saveexec_b32 s0, s15
	s_cbranch_execz .LBB387_903
.LBB387_975:
	s_or_b32 s14, s14, exec_lo
	s_and_not1_b32 s20, s20, exec_lo
	s_trap 2
	s_or_b32 exec_lo, exec_lo, s0
	s_and_saveexec_b32 s0, s20
	s_delay_alu instid0(SALU_CYCLE_1)
	s_xor_b32 s0, exec_lo, s0
	s_cbranch_execnz .LBB387_904
.LBB387_976:
	s_or_b32 exec_lo, exec_lo, s0
	s_and_saveexec_b32 s0, s19
	s_delay_alu instid0(SALU_CYCLE_1)
	s_xor_b32 s0, exec_lo, s0
	s_cbranch_execz .LBB387_1014
.LBB387_977:
	s_sext_i32_i16 s15, s17
	s_mov_b32 s13, -1
	s_cmp_lt_i32 s15, 5
	s_cbranch_scc1 .LBB387_998
; %bb.978:
	s_cmp_lt_i32 s15, 8
	s_cbranch_scc1 .LBB387_988
; %bb.979:
	;; [unrolled: 3-line block ×3, first 2 shown]
	s_cmp_gt_i32 s15, 9
	s_cbranch_scc0 .LBB387_982
; %bb.981:
	s_wait_loadcnt 0x0
	v_cndmask_b32_e64 v2, 0, 1, s16
	v_mov_b32_e32 v4, 0
	s_mov_b32 s13, 0
	s_delay_alu instid0(VALU_DEP_2) | instskip(NEXT) | instid1(VALU_DEP_2)
	v_cvt_f64_u32_e32 v[2:3], v2
	v_mov_b32_e32 v5, v4
	global_store_b128 v[0:1], v[2:5], off
.LBB387_982:
	s_and_not1_b32 vcc_lo, exec_lo, s13
	s_cbranch_vccnz .LBB387_984
; %bb.983:
	s_wait_loadcnt 0x0
	v_cndmask_b32_e64 v2, 0, 1.0, s16
	v_mov_b32_e32 v3, 0
	global_store_b64 v[0:1], v[2:3], off
.LBB387_984:
	s_mov_b32 s13, 0
.LBB387_985:
	s_delay_alu instid0(SALU_CYCLE_1)
	s_and_not1_b32 vcc_lo, exec_lo, s13
	s_cbranch_vccnz .LBB387_987
; %bb.986:
	s_wait_loadcnt 0x0
	v_cndmask_b32_e64 v2, 0, 1.0, s16
	s_delay_alu instid0(VALU_DEP_1) | instskip(NEXT) | instid1(VALU_DEP_1)
	v_cvt_f16_f32_e32 v2, v2
	v_and_b32_e32 v2, 0xffff, v2
	global_store_b32 v[0:1], v2, off
.LBB387_987:
	s_mov_b32 s13, 0
.LBB387_988:
	s_delay_alu instid0(SALU_CYCLE_1)
	s_and_not1_b32 vcc_lo, exec_lo, s13
	s_cbranch_vccnz .LBB387_997
; %bb.989:
	s_sext_i32_i16 s15, s17
	s_mov_b32 s13, -1
	s_cmp_lt_i32 s15, 6
	s_cbranch_scc1 .LBB387_995
; %bb.990:
	s_cmp_gt_i32 s15, 6
	s_cbranch_scc0 .LBB387_992
; %bb.991:
	s_wait_loadcnt 0x0
	v_cndmask_b32_e64 v2, 0, 1, s16
	s_mov_b32 s13, 0
	s_delay_alu instid0(VALU_DEP_1)
	v_cvt_f64_u32_e32 v[2:3], v2
	global_store_b64 v[0:1], v[2:3], off
.LBB387_992:
	s_and_not1_b32 vcc_lo, exec_lo, s13
	s_cbranch_vccnz .LBB387_994
; %bb.993:
	s_wait_loadcnt 0x0
	v_cndmask_b32_e64 v2, 0, 1.0, s16
	global_store_b32 v[0:1], v2, off
.LBB387_994:
	s_mov_b32 s13, 0
.LBB387_995:
	s_delay_alu instid0(SALU_CYCLE_1)
	s_and_not1_b32 vcc_lo, exec_lo, s13
	s_cbranch_vccnz .LBB387_997
; %bb.996:
	s_wait_loadcnt 0x0
	v_cndmask_b32_e64 v2, 0, 1.0, s16
	s_delay_alu instid0(VALU_DEP_1)
	v_cvt_f16_f32_e32 v2, v2
	global_store_b16 v[0:1], v2, off
.LBB387_997:
	s_mov_b32 s13, 0
.LBB387_998:
	s_delay_alu instid0(SALU_CYCLE_1)
	s_and_not1_b32 vcc_lo, exec_lo, s13
	s_cbranch_vccnz .LBB387_1014
; %bb.999:
	s_sext_i32_i16 s15, s17
	s_mov_b32 s13, -1
	s_cmp_lt_i32 s15, 2
	s_cbranch_scc1 .LBB387_1009
; %bb.1000:
	s_cmp_lt_i32 s15, 3
	s_cbranch_scc1 .LBB387_1006
; %bb.1001:
	s_cmp_gt_i32 s15, 3
	s_cbranch_scc0 .LBB387_1003
; %bb.1002:
	s_mov_b32 s13, 0
	s_wait_loadcnt 0x0
	v_cndmask_b32_e64 v2, 0, 1, s16
	v_mov_b32_e32 v3, s13
	global_store_b64 v[0:1], v[2:3], off
.LBB387_1003:
	s_and_not1_b32 vcc_lo, exec_lo, s13
	s_cbranch_vccnz .LBB387_1005
; %bb.1004:
	s_wait_loadcnt 0x0
	v_cndmask_b32_e64 v2, 0, 1, s16
	global_store_b32 v[0:1], v2, off
.LBB387_1005:
	s_mov_b32 s13, 0
.LBB387_1006:
	s_delay_alu instid0(SALU_CYCLE_1)
	s_and_not1_b32 vcc_lo, exec_lo, s13
	s_cbranch_vccnz .LBB387_1008
; %bb.1007:
	s_wait_loadcnt 0x0
	v_cndmask_b32_e64 v2, 0, 1, s16
	global_store_b16 v[0:1], v2, off
.LBB387_1008:
	s_mov_b32 s13, 0
.LBB387_1009:
	s_delay_alu instid0(SALU_CYCLE_1)
	s_and_not1_b32 vcc_lo, exec_lo, s13
	s_cbranch_vccnz .LBB387_1014
; %bb.1010:
	s_wait_loadcnt 0x0
	v_cndmask_b32_e64 v2, 0, 1, s16
	s_sext_i32_i16 s13, s17
	s_delay_alu instid0(SALU_CYCLE_1)
	s_cmp_gt_i32 s13, 0
	s_mov_b32 s13, -1
	s_cbranch_scc0 .LBB387_1012
; %bb.1011:
	s_mov_b32 s13, 0
	global_store_b8 v[0:1], v2, off
.LBB387_1012:
	s_and_not1_b32 vcc_lo, exec_lo, s13
	s_cbranch_vccnz .LBB387_1014
; %bb.1013:
	global_store_b8 v[0:1], v2, off
.LBB387_1014:
	s_wait_xcnt 0x0
	s_or_b32 exec_lo, exec_lo, s0
	s_delay_alu instid0(SALU_CYCLE_1)
	s_and_b32 s13, s14, exec_lo
                                        ; implicit-def: $vgpr10
.LBB387_1015:
	s_or_saveexec_b32 s12, s12
	s_mov_b32 s0, 0
                                        ; implicit-def: $sgpr15
                                        ; implicit-def: $sgpr14
                                        ; implicit-def: $vgpr0_vgpr1
	s_xor_b32 exec_lo, exec_lo, s12
	s_cbranch_execz .LBB387_1949
; %bb.1016:
	v_mul_lo_u32 v0, s9, v10
	s_and_b32 s0, 0xffff, s3
	s_delay_alu instid0(SALU_CYCLE_1) | instskip(NEXT) | instid1(VALU_DEP_1)
	s_cmp_lt_i32 s0, 11
	v_ashrrev_i32_e32 v1, 31, v0
	s_wait_loadcnt 0x0
	s_delay_alu instid0(VALU_DEP_1)
	v_add_nc_u64_e32 v[2:3], s[6:7], v[0:1]
	s_cbranch_scc1 .LBB387_1023
; %bb.1017:
	s_cmp_gt_i32 s0, 25
	s_mov_b32 s3, 0
	s_cbranch_scc0 .LBB387_1025
; %bb.1018:
	s_cmp_gt_i32 s0, 28
	s_cbranch_scc0 .LBB387_1026
; %bb.1019:
	s_cmp_gt_i32 s0, 43
	;; [unrolled: 3-line block ×3, first 2 shown]
	s_cbranch_scc0 .LBB387_1028
; %bb.1021:
	s_cmp_eq_u32 s0, 46
	s_mov_b32 s15, 0
	s_cbranch_scc0 .LBB387_1031
; %bb.1022:
	global_load_b32 v1, v[2:3], off
	s_mov_b32 s14, -1
	s_wait_loadcnt 0x0
	v_lshlrev_b32_e32 v1, 16, v1
	s_delay_alu instid0(VALU_DEP_1)
	v_cvt_i32_f32_e32 v6, v1
	s_branch .LBB387_1033
.LBB387_1023:
	s_mov_b32 s14, 0
	s_mov_b32 s1, s13
                                        ; implicit-def: $vgpr6
	s_cbranch_execnz .LBB387_1091
.LBB387_1024:
	s_and_not1_b32 vcc_lo, exec_lo, s14
	s_cbranch_vccz .LBB387_1136
	s_branch .LBB387_1947
.LBB387_1025:
	s_mov_b32 s14, 0
                                        ; implicit-def: $vgpr6
	s_cbranch_execnz .LBB387_1058
	s_branch .LBB387_1087
.LBB387_1026:
	s_mov_b32 s14, 0
                                        ; implicit-def: $vgpr6
	s_cbranch_execz .LBB387_1057
	s_branch .LBB387_1042
.LBB387_1027:
	s_mov_b32 s14, 0
                                        ; implicit-def: $vgpr6
	s_cbranch_execnz .LBB387_1038
	s_branch .LBB387_1041
.LBB387_1028:
	s_mov_b32 s15, -1
	s_branch .LBB387_1032
.LBB387_1029:
	s_and_not1_saveexec_b32 s21, s21
	s_cbranch_execz .LBB387_928
.LBB387_1030:
	v_add_f32_e32 v2, 0x46000000, v3
	s_and_not1_b32 s20, s20, exec_lo
	s_delay_alu instid0(VALU_DEP_1) | instskip(NEXT) | instid1(VALU_DEP_1)
	v_and_b32_e32 v2, 0xff, v2
	v_cmp_ne_u32_e32 vcc_lo, 0, v2
	s_and_b32 s22, vcc_lo, exec_lo
	s_delay_alu instid0(SALU_CYCLE_1)
	s_or_b32 s20, s20, s22
	s_or_b32 exec_lo, exec_lo, s21
	v_mov_b32_e32 v4, 0
	s_and_saveexec_b32 s21, s20
	s_cbranch_execnz .LBB387_929
	s_branch .LBB387_930
.LBB387_1031:
	s_mov_b32 s1, -1
.LBB387_1032:
	s_mov_b32 s14, 0
                                        ; implicit-def: $vgpr6
.LBB387_1033:
	s_and_b32 vcc_lo, exec_lo, s15
	s_cbranch_vccz .LBB387_1036
; %bb.1034:
	s_cmp_eq_u32 s0, 44
	s_cbranch_scc0 .LBB387_1037
; %bb.1035:
	global_load_u8 v1, v[2:3], off
	s_mov_b32 s1, 0
	s_mov_b32 s14, -1
	s_wait_loadcnt 0x0
	v_lshlrev_b32_e32 v4, 23, v1
	v_cmp_ne_u32_e32 vcc_lo, 0, v1
	s_delay_alu instid0(VALU_DEP_2) | instskip(NEXT) | instid1(VALU_DEP_1)
	v_cvt_i32_f32_e32 v4, v4
	v_cndmask_b32_e32 v6, 0, v4, vcc_lo
.LBB387_1036:
	s_branch .LBB387_1041
.LBB387_1037:
	s_mov_b32 s1, -1
                                        ; implicit-def: $vgpr6
	s_branch .LBB387_1041
.LBB387_1038:
	s_cmp_eq_u32 s0, 29
	s_cbranch_scc0 .LBB387_1040
; %bb.1039:
	global_load_b64 v[6:7], v[2:3], off
	s_mov_b32 s1, 0
	s_mov_b32 s14, -1
	s_branch .LBB387_1041
.LBB387_1040:
	s_mov_b32 s1, -1
                                        ; implicit-def: $vgpr6
.LBB387_1041:
	s_branch .LBB387_1057
.LBB387_1042:
	s_cmp_lt_i32 s0, 27
	s_cbranch_scc1 .LBB387_1045
; %bb.1043:
	s_cmp_gt_i32 s0, 27
	s_cbranch_scc0 .LBB387_1046
; %bb.1044:
	s_wait_loadcnt 0x0
	global_load_b32 v6, v[2:3], off
	s_mov_b32 s14, 0
	s_branch .LBB387_1047
.LBB387_1045:
	s_mov_b32 s14, -1
                                        ; implicit-def: $vgpr6
	s_branch .LBB387_1050
.LBB387_1046:
	s_mov_b32 s14, -1
                                        ; implicit-def: $vgpr6
.LBB387_1047:
	s_delay_alu instid0(SALU_CYCLE_1)
	s_and_not1_b32 vcc_lo, exec_lo, s14
	s_cbranch_vccnz .LBB387_1049
; %bb.1048:
	s_wait_loadcnt 0x0
	global_load_u16 v6, v[2:3], off
.LBB387_1049:
	s_mov_b32 s14, 0
.LBB387_1050:
	s_delay_alu instid0(SALU_CYCLE_1)
	s_and_not1_b32 vcc_lo, exec_lo, s14
	s_cbranch_vccnz .LBB387_1056
; %bb.1051:
	global_load_u8 v1, v[2:3], off
	s_mov_b32 s15, 0
	s_mov_b32 s14, exec_lo
	s_wait_loadcnt 0x0
	v_cmpx_lt_i16_e32 0x7f, v1
	s_xor_b32 s14, exec_lo, s14
	s_cbranch_execz .LBB387_1067
; %bb.1052:
	v_cmp_ne_u16_e32 vcc_lo, 0x80, v1
	s_and_b32 s15, vcc_lo, exec_lo
	s_and_not1_saveexec_b32 s14, s14
	s_cbranch_execnz .LBB387_1068
.LBB387_1053:
	s_or_b32 exec_lo, exec_lo, s14
	v_mov_b32_e32 v6, 0
	s_and_saveexec_b32 s14, s15
	s_cbranch_execz .LBB387_1055
.LBB387_1054:
	v_and_b32_e32 v4, 0xffff, v1
	s_delay_alu instid0(VALU_DEP_1) | instskip(SKIP_1) | instid1(VALU_DEP_2)
	v_and_b32_e32 v5, 7, v4
	v_bfe_u32 v8, v4, 3, 4
	v_clz_i32_u32_e32 v6, v5
	s_delay_alu instid0(VALU_DEP_2) | instskip(NEXT) | instid1(VALU_DEP_2)
	v_cmp_eq_u32_e32 vcc_lo, 0, v8
	v_min_u32_e32 v6, 32, v6
	s_delay_alu instid0(VALU_DEP_1) | instskip(NEXT) | instid1(VALU_DEP_1)
	v_subrev_nc_u32_e32 v7, 28, v6
	v_dual_lshlrev_b32 v4, v7, v4 :: v_dual_sub_nc_u32 v6, 29, v6
	s_delay_alu instid0(VALU_DEP_1) | instskip(NEXT) | instid1(VALU_DEP_1)
	v_dual_lshlrev_b32 v1, 24, v1 :: v_dual_bitop2_b32 v4, 7, v4 bitop3:0x40
	v_dual_cndmask_b32 v6, v8, v6, vcc_lo :: v_dual_cndmask_b32 v4, v5, v4, vcc_lo
	s_delay_alu instid0(VALU_DEP_2) | instskip(NEXT) | instid1(VALU_DEP_2)
	v_and_b32_e32 v1, 0x80000000, v1
	v_lshl_add_u32 v5, v6, 23, 0x3b800000
	s_delay_alu instid0(VALU_DEP_3) | instskip(NEXT) | instid1(VALU_DEP_1)
	v_lshlrev_b32_e32 v4, 20, v4
	v_or3_b32 v1, v1, v5, v4
	s_delay_alu instid0(VALU_DEP_1)
	v_cvt_i32_f32_e32 v6, v1
.LBB387_1055:
	s_or_b32 exec_lo, exec_lo, s14
.LBB387_1056:
	s_mov_b32 s14, -1
.LBB387_1057:
	s_branch .LBB387_1087
.LBB387_1058:
	s_cmp_gt_i32 s0, 22
	s_cbranch_scc0 .LBB387_1066
; %bb.1059:
	s_cmp_lt_i32 s0, 24
	s_cbranch_scc1 .LBB387_1069
; %bb.1060:
	s_cmp_gt_i32 s0, 24
	s_cbranch_scc0 .LBB387_1070
; %bb.1061:
	global_load_u8 v1, v[2:3], off
	s_mov_b32 s14, 0
	s_mov_b32 s3, exec_lo
	s_wait_loadcnt 0x0
	v_cmpx_lt_i16_e32 0x7f, v1
	s_xor_b32 s3, exec_lo, s3
	s_cbranch_execz .LBB387_1081
; %bb.1062:
	v_cmp_ne_u16_e32 vcc_lo, 0x80, v1
	s_and_b32 s14, vcc_lo, exec_lo
	s_and_not1_saveexec_b32 s3, s3
	s_cbranch_execnz .LBB387_1082
.LBB387_1063:
	s_or_b32 exec_lo, exec_lo, s3
	v_mov_b32_e32 v6, 0
	s_and_saveexec_b32 s3, s14
	s_cbranch_execz .LBB387_1065
.LBB387_1064:
	v_and_b32_e32 v4, 0xffff, v1
	s_delay_alu instid0(VALU_DEP_1) | instskip(SKIP_1) | instid1(VALU_DEP_2)
	v_and_b32_e32 v5, 3, v4
	v_bfe_u32 v8, v4, 2, 5
	v_clz_i32_u32_e32 v6, v5
	s_delay_alu instid0(VALU_DEP_2) | instskip(NEXT) | instid1(VALU_DEP_2)
	v_cmp_eq_u32_e32 vcc_lo, 0, v8
	v_min_u32_e32 v6, 32, v6
	s_delay_alu instid0(VALU_DEP_1) | instskip(NEXT) | instid1(VALU_DEP_1)
	v_subrev_nc_u32_e32 v7, 29, v6
	v_dual_lshlrev_b32 v4, v7, v4 :: v_dual_sub_nc_u32 v6, 30, v6
	s_delay_alu instid0(VALU_DEP_1) | instskip(NEXT) | instid1(VALU_DEP_1)
	v_dual_lshlrev_b32 v1, 24, v1 :: v_dual_bitop2_b32 v4, 3, v4 bitop3:0x40
	v_dual_cndmask_b32 v6, v8, v6, vcc_lo :: v_dual_cndmask_b32 v4, v5, v4, vcc_lo
	s_delay_alu instid0(VALU_DEP_2) | instskip(NEXT) | instid1(VALU_DEP_2)
	v_and_b32_e32 v1, 0x80000000, v1
	v_lshl_add_u32 v5, v6, 23, 0x37800000
	s_delay_alu instid0(VALU_DEP_3) | instskip(NEXT) | instid1(VALU_DEP_1)
	v_lshlrev_b32_e32 v4, 21, v4
	v_or3_b32 v1, v1, v5, v4
	s_delay_alu instid0(VALU_DEP_1)
	v_cvt_i32_f32_e32 v6, v1
.LBB387_1065:
	s_or_b32 exec_lo, exec_lo, s3
	s_mov_b32 s3, 0
	s_branch .LBB387_1071
.LBB387_1066:
                                        ; implicit-def: $vgpr6
	s_mov_b32 s3, 0
	s_branch .LBB387_1077
.LBB387_1067:
	s_and_not1_saveexec_b32 s14, s14
	s_cbranch_execz .LBB387_1053
.LBB387_1068:
	v_cmp_ne_u16_e32 vcc_lo, 0, v1
	s_and_not1_b32 s15, s15, exec_lo
	s_and_b32 s16, vcc_lo, exec_lo
	s_delay_alu instid0(SALU_CYCLE_1)
	s_or_b32 s15, s15, s16
	s_or_b32 exec_lo, exec_lo, s14
	v_mov_b32_e32 v6, 0
	s_and_saveexec_b32 s14, s15
	s_cbranch_execnz .LBB387_1054
	s_branch .LBB387_1055
.LBB387_1069:
	s_mov_b32 s3, -1
                                        ; implicit-def: $vgpr6
	s_branch .LBB387_1074
.LBB387_1070:
	s_mov_b32 s3, -1
                                        ; implicit-def: $vgpr6
.LBB387_1071:
	s_delay_alu instid0(SALU_CYCLE_1)
	s_and_b32 vcc_lo, exec_lo, s3
	s_cbranch_vccz .LBB387_1073
; %bb.1072:
	global_load_u8 v1, v[2:3], off
	s_wait_loadcnt 0x0
	v_lshlrev_b32_e32 v1, 24, v1
	s_delay_alu instid0(VALU_DEP_1) | instskip(NEXT) | instid1(VALU_DEP_1)
	v_and_b32_e32 v4, 0x7f000000, v1
	v_clz_i32_u32_e32 v5, v4
	v_cmp_ne_u32_e32 vcc_lo, 0, v4
	v_add_nc_u32_e32 v7, 0x1000000, v4
	s_delay_alu instid0(VALU_DEP_3) | instskip(NEXT) | instid1(VALU_DEP_1)
	v_min_u32_e32 v5, 32, v5
	v_sub_nc_u32_e64 v5, v5, 4 clamp
	s_delay_alu instid0(VALU_DEP_1) | instskip(NEXT) | instid1(VALU_DEP_1)
	v_dual_lshlrev_b32 v6, v5, v4 :: v_dual_lshlrev_b32 v5, 23, v5
	v_lshrrev_b32_e32 v6, 4, v6
	s_delay_alu instid0(VALU_DEP_1) | instskip(NEXT) | instid1(VALU_DEP_1)
	v_dual_sub_nc_u32 v5, v6, v5 :: v_dual_ashrrev_i32 v6, 8, v7
	v_add_nc_u32_e32 v5, 0x3c000000, v5
	s_delay_alu instid0(VALU_DEP_1) | instskip(NEXT) | instid1(VALU_DEP_1)
	v_and_or_b32 v5, 0x7f800000, v6, v5
	v_cndmask_b32_e32 v4, 0, v5, vcc_lo
	s_delay_alu instid0(VALU_DEP_1) | instskip(NEXT) | instid1(VALU_DEP_1)
	v_and_or_b32 v1, 0x80000000, v1, v4
	v_cvt_i32_f32_e32 v6, v1
.LBB387_1073:
	s_mov_b32 s3, 0
.LBB387_1074:
	s_delay_alu instid0(SALU_CYCLE_1)
	s_and_not1_b32 vcc_lo, exec_lo, s3
	s_cbranch_vccnz .LBB387_1076
; %bb.1075:
	global_load_u8 v1, v[2:3], off
	s_wait_loadcnt 0x0
	v_lshlrev_b32_e32 v4, 25, v1
	v_lshlrev_b16 v1, 8, v1
	s_delay_alu instid0(VALU_DEP_1) | instskip(SKIP_1) | instid1(VALU_DEP_2)
	v_and_or_b32 v6, 0x7f00, v1, 0.5
	v_bfe_i32 v1, v1, 0, 16
	v_dual_add_f32 v6, -0.5, v6 :: v_dual_lshrrev_b32 v5, 4, v4
	v_cmp_gt_u32_e32 vcc_lo, 0x8000000, v4
	s_delay_alu instid0(VALU_DEP_2) | instskip(NEXT) | instid1(VALU_DEP_1)
	v_or_b32_e32 v5, 0x70000000, v5
	v_mul_f32_e32 v5, 0x7800000, v5
	s_delay_alu instid0(VALU_DEP_1) | instskip(NEXT) | instid1(VALU_DEP_1)
	v_cndmask_b32_e32 v4, v5, v6, vcc_lo
	v_and_or_b32 v1, 0x80000000, v1, v4
	s_delay_alu instid0(VALU_DEP_1)
	v_cvt_i32_f32_e32 v6, v1
.LBB387_1076:
	s_mov_b32 s14, -1
	s_mov_b32 s3, 0
	s_cbranch_execnz .LBB387_1087
.LBB387_1077:
	s_cmp_gt_i32 s0, 14
	s_cbranch_scc0 .LBB387_1080
; %bb.1078:
	s_cmp_eq_u32 s0, 15
	s_cbranch_scc0 .LBB387_1083
; %bb.1079:
	global_load_u16 v1, v[2:3], off
	s_mov_b32 s1, 0
	s_mov_b32 s14, -1
	s_wait_loadcnt 0x0
	v_lshlrev_b32_e32 v1, 16, v1
	s_delay_alu instid0(VALU_DEP_1)
	v_cvt_i32_f32_e32 v6, v1
	s_branch .LBB387_1085
.LBB387_1080:
	s_mov_b32 s3, -1
	s_branch .LBB387_1084
.LBB387_1081:
	s_and_not1_saveexec_b32 s3, s3
	s_cbranch_execz .LBB387_1063
.LBB387_1082:
	v_cmp_ne_u16_e32 vcc_lo, 0, v1
	s_and_not1_b32 s14, s14, exec_lo
	s_and_b32 s15, vcc_lo, exec_lo
	s_delay_alu instid0(SALU_CYCLE_1)
	s_or_b32 s14, s14, s15
	s_or_b32 exec_lo, exec_lo, s3
	v_mov_b32_e32 v6, 0
	s_and_saveexec_b32 s3, s14
	s_cbranch_execnz .LBB387_1064
	s_branch .LBB387_1065
.LBB387_1083:
	s_mov_b32 s1, -1
.LBB387_1084:
                                        ; implicit-def: $vgpr6
.LBB387_1085:
	s_and_b32 vcc_lo, exec_lo, s3
	s_mov_b32 s3, 0
	s_cbranch_vccz .LBB387_1087
; %bb.1086:
	s_cmp_lg_u32 s0, 11
	s_mov_b32 s3, -1
	s_cselect_b32 s1, -1, 0
.LBB387_1087:
	s_delay_alu instid0(SALU_CYCLE_1)
	s_and_b32 vcc_lo, exec_lo, s1
	s_mov_b32 s1, s13
	s_cbranch_vccnz .LBB387_1148
; %bb.1088:
	s_and_not1_b32 vcc_lo, exec_lo, s3
	s_cbranch_vccnz .LBB387_1090
.LBB387_1089:
	global_load_u8 v1, v[2:3], off
	s_mov_b32 s14, -1
	s_wait_loadcnt 0x0
	v_cmp_ne_u16_e32 vcc_lo, 0, v1
	v_cndmask_b32_e64 v6, 0, 1, vcc_lo
.LBB387_1090:
	s_branch .LBB387_1024
.LBB387_1091:
	s_cmp_lt_i32 s0, 5
	s_cbranch_scc1 .LBB387_1096
; %bb.1092:
	s_cmp_lt_i32 s0, 8
	s_cbranch_scc1 .LBB387_1097
; %bb.1093:
	s_cmp_lt_i32 s0, 9
	s_cbranch_scc1 .LBB387_1098
; %bb.1094:
	s_cmp_gt_i32 s0, 9
	s_cbranch_scc0 .LBB387_1099
; %bb.1095:
	global_load_b64 v[4:5], v[2:3], off
	s_mov_b32 s3, 0
	s_wait_loadcnt 0x0
	v_cvt_i32_f64_e32 v6, v[4:5]
	s_branch .LBB387_1100
.LBB387_1096:
                                        ; implicit-def: $vgpr6
	s_branch .LBB387_1117
.LBB387_1097:
                                        ; implicit-def: $vgpr6
	s_branch .LBB387_1106
.LBB387_1098:
	s_mov_b32 s3, -1
                                        ; implicit-def: $vgpr6
	s_branch .LBB387_1103
.LBB387_1099:
	s_mov_b32 s3, -1
                                        ; implicit-def: $vgpr6
.LBB387_1100:
	s_delay_alu instid0(SALU_CYCLE_1)
	s_and_not1_b32 vcc_lo, exec_lo, s3
	s_cbranch_vccnz .LBB387_1102
; %bb.1101:
	global_load_b32 v1, v[2:3], off
	s_wait_loadcnt 0x0
	v_cvt_i32_f32_e32 v6, v1
.LBB387_1102:
	s_mov_b32 s3, 0
.LBB387_1103:
	s_delay_alu instid0(SALU_CYCLE_1)
	s_and_not1_b32 vcc_lo, exec_lo, s3
	s_cbranch_vccnz .LBB387_1105
; %bb.1104:
	global_load_b32 v1, v[2:3], off
	s_wait_loadcnt 0x0
	v_cvt_i16_f16_e32 v6, v1
.LBB387_1105:
	s_cbranch_execnz .LBB387_1116
.LBB387_1106:
	s_cmp_lt_i32 s0, 6
	s_cbranch_scc1 .LBB387_1109
; %bb.1107:
	s_cmp_gt_i32 s0, 6
	s_cbranch_scc0 .LBB387_1110
; %bb.1108:
	global_load_b64 v[4:5], v[2:3], off
	s_mov_b32 s3, 0
	s_wait_loadcnt 0x0
	v_cvt_i32_f64_e32 v6, v[4:5]
	s_branch .LBB387_1111
.LBB387_1109:
	s_mov_b32 s3, -1
                                        ; implicit-def: $vgpr6
	s_branch .LBB387_1114
.LBB387_1110:
	s_mov_b32 s3, -1
                                        ; implicit-def: $vgpr6
.LBB387_1111:
	s_delay_alu instid0(SALU_CYCLE_1)
	s_and_not1_b32 vcc_lo, exec_lo, s3
	s_cbranch_vccnz .LBB387_1113
; %bb.1112:
	global_load_b32 v1, v[2:3], off
	s_wait_loadcnt 0x0
	v_cvt_i32_f32_e32 v6, v1
.LBB387_1113:
	s_mov_b32 s3, 0
.LBB387_1114:
	s_delay_alu instid0(SALU_CYCLE_1)
	s_and_not1_b32 vcc_lo, exec_lo, s3
	s_cbranch_vccnz .LBB387_1116
; %bb.1115:
	global_load_u16 v1, v[2:3], off
	s_wait_loadcnt 0x0
	v_cvt_i16_f16_e32 v6, v1
.LBB387_1116:
	s_cbranch_execnz .LBB387_1135
.LBB387_1117:
	s_cmp_lt_i32 s0, 2
	s_cbranch_scc1 .LBB387_1121
; %bb.1118:
	s_cmp_lt_i32 s0, 3
	s_cbranch_scc1 .LBB387_1122
; %bb.1119:
	s_cmp_gt_i32 s0, 3
	s_cbranch_scc0 .LBB387_1123
; %bb.1120:
	s_wait_loadcnt 0x0
	global_load_b64 v[6:7], v[2:3], off
	s_mov_b32 s3, 0
	s_branch .LBB387_1124
.LBB387_1121:
                                        ; implicit-def: $vgpr6
	s_branch .LBB387_1130
.LBB387_1122:
	s_mov_b32 s3, -1
                                        ; implicit-def: $vgpr6
	s_branch .LBB387_1127
.LBB387_1123:
	s_mov_b32 s3, -1
                                        ; implicit-def: $vgpr6
.LBB387_1124:
	s_delay_alu instid0(SALU_CYCLE_1)
	s_and_not1_b32 vcc_lo, exec_lo, s3
	s_cbranch_vccnz .LBB387_1126
; %bb.1125:
	s_wait_loadcnt 0x0
	global_load_b32 v6, v[2:3], off
.LBB387_1126:
	s_mov_b32 s3, 0
.LBB387_1127:
	s_delay_alu instid0(SALU_CYCLE_1)
	s_and_not1_b32 vcc_lo, exec_lo, s3
	s_cbranch_vccnz .LBB387_1129
; %bb.1128:
	s_wait_loadcnt 0x0
	global_load_u16 v6, v[2:3], off
.LBB387_1129:
	s_cbranch_execnz .LBB387_1135
.LBB387_1130:
	s_cmp_gt_i32 s0, 0
	s_mov_b32 s3, 0
	s_cbranch_scc0 .LBB387_1132
; %bb.1131:
	s_wait_loadcnt 0x0
	global_load_u8 v6, v[2:3], off
	s_branch .LBB387_1133
.LBB387_1132:
	s_mov_b32 s3, -1
                                        ; implicit-def: $vgpr6
.LBB387_1133:
	s_delay_alu instid0(SALU_CYCLE_1)
	s_and_not1_b32 vcc_lo, exec_lo, s3
	s_cbranch_vccnz .LBB387_1135
; %bb.1134:
	s_wait_loadcnt 0x0
	global_load_u8 v6, v[2:3], off
.LBB387_1135:
.LBB387_1136:
	s_lshl_b32 s3, s9, 7
	s_cmp_lt_i32 s0, 11
	v_add_nc_u32_e32 v0, s3, v0
	s_delay_alu instid0(VALU_DEP_1) | instskip(SKIP_1) | instid1(VALU_DEP_1)
	v_ashrrev_i32_e32 v1, 31, v0
	s_wait_xcnt 0x0
	v_add_nc_u64_e32 v[2:3], s[6:7], v[0:1]
	s_cbranch_scc1 .LBB387_1143
; %bb.1137:
	s_cmp_gt_i32 s0, 25
	s_mov_b32 s14, 0
	s_cbranch_scc0 .LBB387_1145
; %bb.1138:
	s_cmp_gt_i32 s0, 28
	s_cbranch_scc0 .LBB387_1146
; %bb.1139:
	s_cmp_gt_i32 s0, 43
	;; [unrolled: 3-line block ×3, first 2 shown]
	s_cbranch_scc0 .LBB387_1149
; %bb.1141:
	s_cmp_eq_u32 s0, 46
	s_mov_b32 s16, 0
	s_cbranch_scc0 .LBB387_1152
; %bb.1142:
	global_load_b32 v1, v[2:3], off
	s_mov_b32 s9, 0
	s_mov_b32 s15, -1
	s_wait_loadcnt 0x0
	v_lshlrev_b32_e32 v1, 16, v1
	s_delay_alu instid0(VALU_DEP_1)
	v_cvt_i32_f32_e32 v4, v1
	s_branch .LBB387_1154
.LBB387_1143:
	s_mov_b32 s15, 0
                                        ; implicit-def: $vgpr4
	s_cbranch_execnz .LBB387_1215
.LBB387_1144:
	s_and_not1_b32 vcc_lo, exec_lo, s15
	s_cbranch_vccnz .LBB387_1947
	s_branch .LBB387_1262
.LBB387_1145:
	s_mov_b32 s15, 0
	s_mov_b32 s9, 0
                                        ; implicit-def: $vgpr4
	s_cbranch_execnz .LBB387_1181
	s_branch .LBB387_1211
.LBB387_1146:
	s_mov_b32 s16, -1
	s_mov_b32 s15, 0
	s_mov_b32 s9, 0
                                        ; implicit-def: $vgpr4
	s_branch .LBB387_1164
.LBB387_1147:
	s_mov_b32 s16, -1
	s_mov_b32 s15, 0
	s_mov_b32 s9, 0
                                        ; implicit-def: $vgpr4
	s_branch .LBB387_1159
.LBB387_1148:
	s_or_b32 s1, s13, exec_lo
	s_trap 2
	s_cbranch_execz .LBB387_1089
	s_branch .LBB387_1090
.LBB387_1149:
	s_mov_b32 s16, -1
	s_mov_b32 s15, 0
	s_mov_b32 s9, 0
	s_branch .LBB387_1153
.LBB387_1150:
	s_and_not1_saveexec_b32 s22, s22
	s_cbranch_execz .LBB387_940
.LBB387_1151:
	v_add_f32_e32 v2, 0x42800000, v3
	s_and_not1_b32 s21, s21, exec_lo
	s_delay_alu instid0(VALU_DEP_1) | instskip(NEXT) | instid1(VALU_DEP_1)
	v_and_b32_e32 v2, 0xff, v2
	v_cmp_ne_u32_e32 vcc_lo, 0, v2
	s_and_b32 s23, vcc_lo, exec_lo
	s_delay_alu instid0(SALU_CYCLE_1)
	s_or_b32 s21, s21, s23
	s_or_b32 exec_lo, exec_lo, s22
	v_mov_b32_e32 v4, 0
	s_and_saveexec_b32 s22, s21
	s_cbranch_execnz .LBB387_941
	s_branch .LBB387_942
.LBB387_1152:
	s_mov_b32 s9, -1
	s_mov_b32 s15, 0
.LBB387_1153:
                                        ; implicit-def: $vgpr4
.LBB387_1154:
	s_and_b32 vcc_lo, exec_lo, s16
	s_cbranch_vccz .LBB387_1158
; %bb.1155:
	s_cmp_eq_u32 s0, 44
	s_cbranch_scc0 .LBB387_1157
; %bb.1156:
	global_load_u8 v1, v[2:3], off
	s_mov_b32 s9, 0
	s_mov_b32 s15, -1
	s_wait_loadcnt 0x0
	v_lshlrev_b32_e32 v4, 23, v1
	v_cmp_ne_u32_e32 vcc_lo, 0, v1
	s_delay_alu instid0(VALU_DEP_2) | instskip(NEXT) | instid1(VALU_DEP_1)
	v_cvt_i32_f32_e32 v4, v4
	v_cndmask_b32_e32 v4, 0, v4, vcc_lo
	s_branch .LBB387_1158
.LBB387_1157:
	s_mov_b32 s9, -1
                                        ; implicit-def: $vgpr4
.LBB387_1158:
	s_mov_b32 s16, 0
.LBB387_1159:
	s_delay_alu instid0(SALU_CYCLE_1)
	s_and_b32 vcc_lo, exec_lo, s16
	s_cbranch_vccz .LBB387_1163
; %bb.1160:
	s_cmp_eq_u32 s0, 29
	s_cbranch_scc0 .LBB387_1162
; %bb.1161:
	global_load_b64 v[4:5], v[2:3], off
	s_mov_b32 s9, 0
	s_mov_b32 s15, -1
	s_branch .LBB387_1163
.LBB387_1162:
	s_mov_b32 s9, -1
                                        ; implicit-def: $vgpr4
.LBB387_1163:
	s_mov_b32 s16, 0
.LBB387_1164:
	s_delay_alu instid0(SALU_CYCLE_1)
	s_and_b32 vcc_lo, exec_lo, s16
	s_cbranch_vccz .LBB387_1180
; %bb.1165:
	s_cmp_lt_i32 s0, 27
	s_cbranch_scc1 .LBB387_1168
; %bb.1166:
	s_cmp_gt_i32 s0, 27
	s_cbranch_scc0 .LBB387_1169
; %bb.1167:
	s_wait_loadcnt 0x0
	global_load_b32 v4, v[2:3], off
	s_mov_b32 s15, 0
	s_branch .LBB387_1170
.LBB387_1168:
	s_mov_b32 s15, -1
                                        ; implicit-def: $vgpr4
	s_branch .LBB387_1173
.LBB387_1169:
	s_mov_b32 s15, -1
                                        ; implicit-def: $vgpr4
.LBB387_1170:
	s_delay_alu instid0(SALU_CYCLE_1)
	s_and_not1_b32 vcc_lo, exec_lo, s15
	s_cbranch_vccnz .LBB387_1172
; %bb.1171:
	s_wait_loadcnt 0x0
	global_load_u16 v4, v[2:3], off
.LBB387_1172:
	s_mov_b32 s15, 0
.LBB387_1173:
	s_delay_alu instid0(SALU_CYCLE_1)
	s_and_not1_b32 vcc_lo, exec_lo, s15
	s_cbranch_vccnz .LBB387_1179
; %bb.1174:
	global_load_u8 v1, v[2:3], off
	s_mov_b32 s16, 0
	s_mov_b32 s15, exec_lo
	s_wait_loadcnt 0x0
	v_cmpx_lt_i16_e32 0x7f, v1
	s_xor_b32 s15, exec_lo, s15
	s_cbranch_execz .LBB387_1190
; %bb.1175:
	v_cmp_ne_u16_e32 vcc_lo, 0x80, v1
	s_and_b32 s16, vcc_lo, exec_lo
	s_and_not1_saveexec_b32 s15, s15
	s_cbranch_execnz .LBB387_1191
.LBB387_1176:
	s_or_b32 exec_lo, exec_lo, s15
	v_mov_b32_e32 v4, 0
	s_and_saveexec_b32 s15, s16
	s_cbranch_execz .LBB387_1178
.LBB387_1177:
	v_and_b32_e32 v4, 0xffff, v1
	s_delay_alu instid0(VALU_DEP_1) | instskip(SKIP_1) | instid1(VALU_DEP_2)
	v_and_b32_e32 v5, 7, v4
	v_bfe_u32 v9, v4, 3, 4
	v_clz_i32_u32_e32 v7, v5
	s_delay_alu instid0(VALU_DEP_2) | instskip(NEXT) | instid1(VALU_DEP_2)
	v_cmp_eq_u32_e32 vcc_lo, 0, v9
	v_min_u32_e32 v7, 32, v7
	s_delay_alu instid0(VALU_DEP_1) | instskip(NEXT) | instid1(VALU_DEP_1)
	v_subrev_nc_u32_e32 v8, 28, v7
	v_dual_lshlrev_b32 v4, v8, v4 :: v_dual_sub_nc_u32 v7, 29, v7
	s_delay_alu instid0(VALU_DEP_1) | instskip(NEXT) | instid1(VALU_DEP_2)
	v_dual_lshlrev_b32 v1, 24, v1 :: v_dual_bitop2_b32 v4, 7, v4 bitop3:0x40
	v_cndmask_b32_e32 v7, v9, v7, vcc_lo
	s_delay_alu instid0(VALU_DEP_2) | instskip(NEXT) | instid1(VALU_DEP_3)
	v_cndmask_b32_e32 v4, v5, v4, vcc_lo
	v_and_b32_e32 v1, 0x80000000, v1
	s_delay_alu instid0(VALU_DEP_3) | instskip(NEXT) | instid1(VALU_DEP_3)
	v_lshl_add_u32 v5, v7, 23, 0x3b800000
	v_lshlrev_b32_e32 v4, 20, v4
	s_delay_alu instid0(VALU_DEP_1) | instskip(NEXT) | instid1(VALU_DEP_1)
	v_or3_b32 v1, v1, v5, v4
	v_cvt_i32_f32_e32 v4, v1
.LBB387_1178:
	s_or_b32 exec_lo, exec_lo, s15
.LBB387_1179:
	s_mov_b32 s15, -1
.LBB387_1180:
	s_branch .LBB387_1211
.LBB387_1181:
	s_cmp_gt_i32 s0, 22
	s_cbranch_scc0 .LBB387_1189
; %bb.1182:
	s_cmp_lt_i32 s0, 24
	s_cbranch_scc1 .LBB387_1192
; %bb.1183:
	s_cmp_gt_i32 s0, 24
	s_cbranch_scc0 .LBB387_1193
; %bb.1184:
	global_load_u8 v1, v[2:3], off
	s_mov_b32 s15, 0
	s_mov_b32 s14, exec_lo
	s_wait_loadcnt 0x0
	v_cmpx_lt_i16_e32 0x7f, v1
	s_xor_b32 s14, exec_lo, s14
	s_cbranch_execz .LBB387_1205
; %bb.1185:
	v_cmp_ne_u16_e32 vcc_lo, 0x80, v1
	s_and_b32 s15, vcc_lo, exec_lo
	s_and_not1_saveexec_b32 s14, s14
	s_cbranch_execnz .LBB387_1206
.LBB387_1186:
	s_or_b32 exec_lo, exec_lo, s14
	v_mov_b32_e32 v4, 0
	s_and_saveexec_b32 s14, s15
	s_cbranch_execz .LBB387_1188
.LBB387_1187:
	v_and_b32_e32 v4, 0xffff, v1
	s_delay_alu instid0(VALU_DEP_1) | instskip(SKIP_1) | instid1(VALU_DEP_2)
	v_and_b32_e32 v5, 3, v4
	v_bfe_u32 v9, v4, 2, 5
	v_clz_i32_u32_e32 v7, v5
	s_delay_alu instid0(VALU_DEP_2) | instskip(NEXT) | instid1(VALU_DEP_2)
	v_cmp_eq_u32_e32 vcc_lo, 0, v9
	v_min_u32_e32 v7, 32, v7
	s_delay_alu instid0(VALU_DEP_1) | instskip(NEXT) | instid1(VALU_DEP_1)
	v_subrev_nc_u32_e32 v8, 29, v7
	v_dual_lshlrev_b32 v4, v8, v4 :: v_dual_sub_nc_u32 v7, 30, v7
	s_delay_alu instid0(VALU_DEP_1) | instskip(NEXT) | instid1(VALU_DEP_2)
	v_dual_lshlrev_b32 v1, 24, v1 :: v_dual_bitop2_b32 v4, 3, v4 bitop3:0x40
	v_cndmask_b32_e32 v7, v9, v7, vcc_lo
	s_delay_alu instid0(VALU_DEP_2) | instskip(NEXT) | instid1(VALU_DEP_3)
	v_cndmask_b32_e32 v4, v5, v4, vcc_lo
	v_and_b32_e32 v1, 0x80000000, v1
	s_delay_alu instid0(VALU_DEP_3) | instskip(NEXT) | instid1(VALU_DEP_3)
	v_lshl_add_u32 v5, v7, 23, 0x37800000
	v_lshlrev_b32_e32 v4, 21, v4
	s_delay_alu instid0(VALU_DEP_1) | instskip(NEXT) | instid1(VALU_DEP_1)
	v_or3_b32 v1, v1, v5, v4
	v_cvt_i32_f32_e32 v4, v1
.LBB387_1188:
	s_or_b32 exec_lo, exec_lo, s14
	s_mov_b32 s14, 0
	s_branch .LBB387_1194
.LBB387_1189:
	s_mov_b32 s14, -1
                                        ; implicit-def: $vgpr4
	s_branch .LBB387_1200
.LBB387_1190:
	s_and_not1_saveexec_b32 s15, s15
	s_cbranch_execz .LBB387_1176
.LBB387_1191:
	v_cmp_ne_u16_e32 vcc_lo, 0, v1
	s_and_not1_b32 s16, s16, exec_lo
	s_and_b32 s17, vcc_lo, exec_lo
	s_delay_alu instid0(SALU_CYCLE_1)
	s_or_b32 s16, s16, s17
	s_or_b32 exec_lo, exec_lo, s15
	v_mov_b32_e32 v4, 0
	s_and_saveexec_b32 s15, s16
	s_cbranch_execnz .LBB387_1177
	s_branch .LBB387_1178
.LBB387_1192:
	s_mov_b32 s14, -1
                                        ; implicit-def: $vgpr4
	s_branch .LBB387_1197
.LBB387_1193:
	s_mov_b32 s14, -1
                                        ; implicit-def: $vgpr4
.LBB387_1194:
	s_delay_alu instid0(SALU_CYCLE_1)
	s_and_b32 vcc_lo, exec_lo, s14
	s_cbranch_vccz .LBB387_1196
; %bb.1195:
	global_load_u8 v1, v[2:3], off
	s_wait_loadcnt 0x0
	v_lshlrev_b32_e32 v1, 24, v1
	s_delay_alu instid0(VALU_DEP_1) | instskip(NEXT) | instid1(VALU_DEP_1)
	v_and_b32_e32 v4, 0x7f000000, v1
	v_clz_i32_u32_e32 v5, v4
	v_add_nc_u32_e32 v8, 0x1000000, v4
	v_cmp_ne_u32_e32 vcc_lo, 0, v4
	s_delay_alu instid0(VALU_DEP_3) | instskip(NEXT) | instid1(VALU_DEP_1)
	v_min_u32_e32 v5, 32, v5
	v_sub_nc_u32_e64 v5, v5, 4 clamp
	s_delay_alu instid0(VALU_DEP_1) | instskip(NEXT) | instid1(VALU_DEP_1)
	v_dual_lshlrev_b32 v7, v5, v4 :: v_dual_lshlrev_b32 v5, 23, v5
	v_lshrrev_b32_e32 v7, 4, v7
	s_delay_alu instid0(VALU_DEP_1) | instskip(NEXT) | instid1(VALU_DEP_1)
	v_dual_sub_nc_u32 v5, v7, v5 :: v_dual_ashrrev_i32 v7, 8, v8
	v_add_nc_u32_e32 v5, 0x3c000000, v5
	s_delay_alu instid0(VALU_DEP_1) | instskip(NEXT) | instid1(VALU_DEP_1)
	v_and_or_b32 v5, 0x7f800000, v7, v5
	v_cndmask_b32_e32 v4, 0, v5, vcc_lo
	s_delay_alu instid0(VALU_DEP_1) | instskip(NEXT) | instid1(VALU_DEP_1)
	v_and_or_b32 v1, 0x80000000, v1, v4
	v_cvt_i32_f32_e32 v4, v1
.LBB387_1196:
	s_mov_b32 s14, 0
.LBB387_1197:
	s_delay_alu instid0(SALU_CYCLE_1)
	s_and_not1_b32 vcc_lo, exec_lo, s14
	s_cbranch_vccnz .LBB387_1199
; %bb.1198:
	global_load_u8 v1, v[2:3], off
	s_wait_loadcnt 0x0
	v_lshlrev_b32_e32 v4, 25, v1
	v_lshlrev_b16 v1, 8, v1
	s_delay_alu instid0(VALU_DEP_1) | instskip(SKIP_1) | instid1(VALU_DEP_2)
	v_and_or_b32 v7, 0x7f00, v1, 0.5
	v_bfe_i32 v1, v1, 0, 16
	v_dual_add_f32 v7, -0.5, v7 :: v_dual_lshrrev_b32 v5, 4, v4
	v_cmp_gt_u32_e32 vcc_lo, 0x8000000, v4
	s_delay_alu instid0(VALU_DEP_2) | instskip(NEXT) | instid1(VALU_DEP_1)
	v_or_b32_e32 v5, 0x70000000, v5
	v_mul_f32_e32 v5, 0x7800000, v5
	s_delay_alu instid0(VALU_DEP_1) | instskip(NEXT) | instid1(VALU_DEP_1)
	v_cndmask_b32_e32 v4, v5, v7, vcc_lo
	v_and_or_b32 v1, 0x80000000, v1, v4
	s_delay_alu instid0(VALU_DEP_1)
	v_cvt_i32_f32_e32 v4, v1
.LBB387_1199:
	s_mov_b32 s14, 0
	s_mov_b32 s15, -1
.LBB387_1200:
	s_and_not1_b32 vcc_lo, exec_lo, s14
	s_mov_b32 s14, 0
	s_cbranch_vccnz .LBB387_1211
; %bb.1201:
	s_cmp_gt_i32 s0, 14
	s_cbranch_scc0 .LBB387_1204
; %bb.1202:
	s_cmp_eq_u32 s0, 15
	s_cbranch_scc0 .LBB387_1207
; %bb.1203:
	global_load_u16 v1, v[2:3], off
	s_mov_b32 s9, 0
	s_mov_b32 s15, -1
	s_wait_loadcnt 0x0
	v_lshlrev_b32_e32 v1, 16, v1
	s_delay_alu instid0(VALU_DEP_1)
	v_cvt_i32_f32_e32 v4, v1
	s_branch .LBB387_1209
.LBB387_1204:
	s_mov_b32 s14, -1
	s_branch .LBB387_1208
.LBB387_1205:
	s_and_not1_saveexec_b32 s14, s14
	s_cbranch_execz .LBB387_1186
.LBB387_1206:
	v_cmp_ne_u16_e32 vcc_lo, 0, v1
	s_and_not1_b32 s15, s15, exec_lo
	s_and_b32 s16, vcc_lo, exec_lo
	s_delay_alu instid0(SALU_CYCLE_1)
	s_or_b32 s15, s15, s16
	s_or_b32 exec_lo, exec_lo, s14
	v_mov_b32_e32 v4, 0
	s_and_saveexec_b32 s14, s15
	s_cbranch_execnz .LBB387_1187
	s_branch .LBB387_1188
.LBB387_1207:
	s_mov_b32 s9, -1
.LBB387_1208:
                                        ; implicit-def: $vgpr4
.LBB387_1209:
	s_and_b32 vcc_lo, exec_lo, s14
	s_mov_b32 s14, 0
	s_cbranch_vccz .LBB387_1211
; %bb.1210:
	s_cmp_lg_u32 s0, 11
	s_mov_b32 s14, -1
	s_cselect_b32 s9, -1, 0
.LBB387_1211:
	s_delay_alu instid0(SALU_CYCLE_1)
	s_and_b32 vcc_lo, exec_lo, s9
	s_cbranch_vccnz .LBB387_1274
; %bb.1212:
	s_and_not1_b32 vcc_lo, exec_lo, s14
	s_cbranch_vccnz .LBB387_1214
.LBB387_1213:
	global_load_u8 v1, v[2:3], off
	s_mov_b32 s15, -1
	s_wait_loadcnt 0x0
	v_cmp_ne_u16_e32 vcc_lo, 0, v1
	v_cndmask_b32_e64 v4, 0, 1, vcc_lo
.LBB387_1214:
	s_branch .LBB387_1144
.LBB387_1215:
	s_cmp_lt_i32 s0, 5
	s_cbranch_scc1 .LBB387_1220
; %bb.1216:
	s_cmp_lt_i32 s0, 8
	s_cbranch_scc1 .LBB387_1221
; %bb.1217:
	;; [unrolled: 3-line block ×3, first 2 shown]
	s_cmp_gt_i32 s0, 9
	s_cbranch_scc0 .LBB387_1223
; %bb.1219:
	s_wait_loadcnt 0x0
	global_load_b64 v[4:5], v[2:3], off
	s_mov_b32 s9, 0
	s_wait_loadcnt 0x0
	v_cvt_i32_f64_e32 v4, v[4:5]
	s_branch .LBB387_1224
.LBB387_1220:
                                        ; implicit-def: $vgpr4
	s_branch .LBB387_1242
.LBB387_1221:
	s_mov_b32 s9, -1
                                        ; implicit-def: $vgpr4
	s_branch .LBB387_1230
.LBB387_1222:
	s_mov_b32 s9, -1
                                        ; implicit-def: $vgpr4
	s_branch .LBB387_1227
.LBB387_1223:
	s_mov_b32 s9, -1
                                        ; implicit-def: $vgpr4
.LBB387_1224:
	s_delay_alu instid0(SALU_CYCLE_1)
	s_and_not1_b32 vcc_lo, exec_lo, s9
	s_cbranch_vccnz .LBB387_1226
; %bb.1225:
	global_load_b32 v1, v[2:3], off
	s_wait_loadcnt 0x0
	v_cvt_i32_f32_e32 v4, v1
.LBB387_1226:
	s_mov_b32 s9, 0
.LBB387_1227:
	s_delay_alu instid0(SALU_CYCLE_1)
	s_and_not1_b32 vcc_lo, exec_lo, s9
	s_cbranch_vccnz .LBB387_1229
; %bb.1228:
	global_load_b32 v1, v[2:3], off
	s_wait_loadcnt 0x0
	v_cvt_i16_f16_e32 v4, v1
.LBB387_1229:
	s_mov_b32 s9, 0
.LBB387_1230:
	s_delay_alu instid0(SALU_CYCLE_1)
	s_and_not1_b32 vcc_lo, exec_lo, s9
	s_cbranch_vccnz .LBB387_1241
; %bb.1231:
	s_cmp_lt_i32 s0, 6
	s_cbranch_scc1 .LBB387_1234
; %bb.1232:
	s_cmp_gt_i32 s0, 6
	s_cbranch_scc0 .LBB387_1235
; %bb.1233:
	s_wait_loadcnt 0x0
	global_load_b64 v[4:5], v[2:3], off
	s_mov_b32 s9, 0
	s_wait_loadcnt 0x0
	v_cvt_i32_f64_e32 v4, v[4:5]
	s_branch .LBB387_1236
.LBB387_1234:
	s_mov_b32 s9, -1
                                        ; implicit-def: $vgpr4
	s_branch .LBB387_1239
.LBB387_1235:
	s_mov_b32 s9, -1
                                        ; implicit-def: $vgpr4
.LBB387_1236:
	s_delay_alu instid0(SALU_CYCLE_1)
	s_and_not1_b32 vcc_lo, exec_lo, s9
	s_cbranch_vccnz .LBB387_1238
; %bb.1237:
	global_load_b32 v1, v[2:3], off
	s_wait_loadcnt 0x0
	v_cvt_i32_f32_e32 v4, v1
.LBB387_1238:
	s_mov_b32 s9, 0
.LBB387_1239:
	s_delay_alu instid0(SALU_CYCLE_1)
	s_and_not1_b32 vcc_lo, exec_lo, s9
	s_cbranch_vccnz .LBB387_1241
; %bb.1240:
	global_load_u16 v1, v[2:3], off
	s_wait_loadcnt 0x0
	v_cvt_i16_f16_e32 v4, v1
.LBB387_1241:
	s_cbranch_execnz .LBB387_1261
.LBB387_1242:
	s_cmp_lt_i32 s0, 2
	s_cbranch_scc1 .LBB387_1246
; %bb.1243:
	s_cmp_lt_i32 s0, 3
	s_cbranch_scc1 .LBB387_1247
; %bb.1244:
	s_cmp_gt_i32 s0, 3
	s_cbranch_scc0 .LBB387_1248
; %bb.1245:
	s_wait_loadcnt 0x0
	global_load_b64 v[4:5], v[2:3], off
	s_mov_b32 s9, 0
	s_branch .LBB387_1249
.LBB387_1246:
	s_mov_b32 s9, -1
                                        ; implicit-def: $vgpr4
	s_branch .LBB387_1255
.LBB387_1247:
	s_mov_b32 s9, -1
                                        ; implicit-def: $vgpr4
	s_branch .LBB387_1252
.LBB387_1248:
	s_mov_b32 s9, -1
                                        ; implicit-def: $vgpr4
.LBB387_1249:
	s_delay_alu instid0(SALU_CYCLE_1)
	s_and_not1_b32 vcc_lo, exec_lo, s9
	s_cbranch_vccnz .LBB387_1251
; %bb.1250:
	s_wait_loadcnt 0x0
	global_load_b32 v4, v[2:3], off
.LBB387_1251:
	s_mov_b32 s9, 0
.LBB387_1252:
	s_delay_alu instid0(SALU_CYCLE_1)
	s_and_not1_b32 vcc_lo, exec_lo, s9
	s_cbranch_vccnz .LBB387_1254
; %bb.1253:
	s_wait_loadcnt 0x0
	global_load_u16 v4, v[2:3], off
.LBB387_1254:
	s_mov_b32 s9, 0
.LBB387_1255:
	s_delay_alu instid0(SALU_CYCLE_1)
	s_and_not1_b32 vcc_lo, exec_lo, s9
	s_cbranch_vccnz .LBB387_1261
; %bb.1256:
	s_cmp_gt_i32 s0, 0
	s_mov_b32 s9, 0
	s_cbranch_scc0 .LBB387_1258
; %bb.1257:
	s_wait_loadcnt 0x0
	global_load_u8 v4, v[2:3], off
	s_branch .LBB387_1259
.LBB387_1258:
	s_mov_b32 s9, -1
                                        ; implicit-def: $vgpr4
.LBB387_1259:
	s_delay_alu instid0(SALU_CYCLE_1)
	s_and_not1_b32 vcc_lo, exec_lo, s9
	s_cbranch_vccnz .LBB387_1261
; %bb.1260:
	s_wait_loadcnt 0x0
	global_load_u8 v4, v[2:3], off
.LBB387_1261:
.LBB387_1262:
	v_add_nc_u32_e32 v0, s3, v0
	s_cmp_lt_i32 s0, 11
	s_delay_alu instid0(VALU_DEP_1) | instskip(NEXT) | instid1(VALU_DEP_1)
	v_ashrrev_i32_e32 v1, 31, v0
	v_add_nc_u64_e32 v[8:9], s[6:7], v[0:1]
	s_cbranch_scc1 .LBB387_1269
; %bb.1263:
	s_cmp_gt_i32 s0, 25
	s_mov_b32 s14, 0
	s_cbranch_scc0 .LBB387_1271
; %bb.1264:
	s_cmp_gt_i32 s0, 28
	s_cbranch_scc0 .LBB387_1272
; %bb.1265:
	s_cmp_gt_i32 s0, 43
	;; [unrolled: 3-line block ×3, first 2 shown]
	s_cbranch_scc0 .LBB387_1275
; %bb.1267:
	s_cmp_eq_u32 s0, 46
	s_mov_b32 s16, 0
	s_cbranch_scc0 .LBB387_1276
; %bb.1268:
	global_load_b32 v1, v[8:9], off
	s_mov_b32 s9, 0
	s_mov_b32 s15, -1
	s_wait_loadcnt 0x0
	v_lshlrev_b32_e32 v1, 16, v1
	s_wait_xcnt 0x1
	s_delay_alu instid0(VALU_DEP_1)
	v_cvt_i32_f32_e32 v2, v1
	s_branch .LBB387_1278
.LBB387_1269:
	s_mov_b32 s15, 0
                                        ; implicit-def: $vgpr2
	s_cbranch_execnz .LBB387_1340
.LBB387_1270:
	s_and_not1_b32 vcc_lo, exec_lo, s15
	s_cbranch_vccnz .LBB387_1947
	s_branch .LBB387_1388
.LBB387_1271:
	s_mov_b32 s16, -1
	s_mov_b32 s15, 0
	s_mov_b32 s9, 0
                                        ; implicit-def: $vgpr2
	s_branch .LBB387_1305
.LBB387_1272:
	s_mov_b32 s16, -1
	s_mov_b32 s15, 0
	s_mov_b32 s9, 0
                                        ; implicit-def: $vgpr2
	s_branch .LBB387_1288
.LBB387_1273:
	s_mov_b32 s16, -1
	s_mov_b32 s15, 0
	s_mov_b32 s9, 0
                                        ; implicit-def: $vgpr2
	s_branch .LBB387_1283
.LBB387_1274:
	s_or_b32 s1, s1, exec_lo
	s_trap 2
	s_cbranch_execz .LBB387_1213
	s_branch .LBB387_1214
.LBB387_1275:
	s_mov_b32 s16, -1
	s_mov_b32 s15, 0
	s_mov_b32 s9, 0
	s_branch .LBB387_1277
.LBB387_1276:
	s_mov_b32 s9, -1
	s_mov_b32 s15, 0
.LBB387_1277:
                                        ; implicit-def: $vgpr2
.LBB387_1278:
	s_and_b32 vcc_lo, exec_lo, s16
	s_cbranch_vccz .LBB387_1282
; %bb.1279:
	s_cmp_eq_u32 s0, 44
	s_cbranch_scc0 .LBB387_1281
; %bb.1280:
	global_load_u8 v1, v[8:9], off
	s_mov_b32 s9, 0
	s_mov_b32 s15, -1
	s_wait_loadcnt 0x0
	s_wait_xcnt 0x1
	v_lshlrev_b32_e32 v2, 23, v1
	v_cmp_ne_u32_e32 vcc_lo, 0, v1
	s_delay_alu instid0(VALU_DEP_2) | instskip(NEXT) | instid1(VALU_DEP_1)
	v_cvt_i32_f32_e32 v2, v2
	v_cndmask_b32_e32 v2, 0, v2, vcc_lo
	s_branch .LBB387_1282
.LBB387_1281:
	s_mov_b32 s9, -1
                                        ; implicit-def: $vgpr2
.LBB387_1282:
	s_mov_b32 s16, 0
.LBB387_1283:
	s_delay_alu instid0(SALU_CYCLE_1)
	s_and_b32 vcc_lo, exec_lo, s16
	s_cbranch_vccz .LBB387_1287
; %bb.1284:
	s_cmp_eq_u32 s0, 29
	s_cbranch_scc0 .LBB387_1286
; %bb.1285:
	global_load_b64 v[2:3], v[8:9], off
	s_mov_b32 s9, 0
	s_mov_b32 s15, -1
	s_branch .LBB387_1287
.LBB387_1286:
	s_mov_b32 s9, -1
                                        ; implicit-def: $vgpr2
.LBB387_1287:
	s_mov_b32 s16, 0
.LBB387_1288:
	s_delay_alu instid0(SALU_CYCLE_1)
	s_and_b32 vcc_lo, exec_lo, s16
	s_cbranch_vccz .LBB387_1304
; %bb.1289:
	s_cmp_lt_i32 s0, 27
	s_cbranch_scc1 .LBB387_1292
; %bb.1290:
	s_cmp_gt_i32 s0, 27
	s_cbranch_scc0 .LBB387_1293
; %bb.1291:
	s_wait_loadcnt 0x0
	global_load_b32 v2, v[8:9], off
	s_mov_b32 s15, 0
	s_branch .LBB387_1294
.LBB387_1292:
	s_mov_b32 s15, -1
                                        ; implicit-def: $vgpr2
	s_branch .LBB387_1297
.LBB387_1293:
	s_mov_b32 s15, -1
                                        ; implicit-def: $vgpr2
.LBB387_1294:
	s_delay_alu instid0(SALU_CYCLE_1)
	s_and_not1_b32 vcc_lo, exec_lo, s15
	s_cbranch_vccnz .LBB387_1296
; %bb.1295:
	s_wait_loadcnt 0x0
	global_load_u16 v2, v[8:9], off
.LBB387_1296:
	s_mov_b32 s15, 0
.LBB387_1297:
	s_delay_alu instid0(SALU_CYCLE_1)
	s_and_not1_b32 vcc_lo, exec_lo, s15
	s_cbranch_vccnz .LBB387_1303
; %bb.1298:
	global_load_u8 v1, v[8:9], off
	s_mov_b32 s16, 0
	s_mov_b32 s15, exec_lo
	s_wait_loadcnt 0x0
	v_cmpx_lt_i16_e32 0x7f, v1
	s_xor_b32 s15, exec_lo, s15
	s_cbranch_execz .LBB387_1315
; %bb.1299:
	v_cmp_ne_u16_e32 vcc_lo, 0x80, v1
	s_and_b32 s16, vcc_lo, exec_lo
	s_and_not1_saveexec_b32 s15, s15
	s_cbranch_execnz .LBB387_1316
.LBB387_1300:
	s_or_b32 exec_lo, exec_lo, s15
	v_mov_b32_e32 v2, 0
	s_and_saveexec_b32 s15, s16
	s_cbranch_execz .LBB387_1302
.LBB387_1301:
	v_and_b32_e32 v2, 0xffff, v1
	s_delay_alu instid0(VALU_DEP_1) | instskip(SKIP_1) | instid1(VALU_DEP_2)
	v_and_b32_e32 v3, 7, v2
	v_bfe_u32 v11, v2, 3, 4
	v_clz_i32_u32_e32 v5, v3
	s_delay_alu instid0(VALU_DEP_2) | instskip(NEXT) | instid1(VALU_DEP_2)
	v_cmp_eq_u32_e32 vcc_lo, 0, v11
	v_min_u32_e32 v5, 32, v5
	s_delay_alu instid0(VALU_DEP_1) | instskip(NEXT) | instid1(VALU_DEP_1)
	v_subrev_nc_u32_e32 v7, 28, v5
	v_dual_lshlrev_b32 v2, v7, v2 :: v_dual_sub_nc_u32 v5, 29, v5
	s_delay_alu instid0(VALU_DEP_1) | instskip(NEXT) | instid1(VALU_DEP_1)
	v_dual_lshlrev_b32 v1, 24, v1 :: v_dual_bitop2_b32 v2, 7, v2 bitop3:0x40
	v_cndmask_b32_e32 v2, v3, v2, vcc_lo
	s_delay_alu instid0(VALU_DEP_3) | instskip(NEXT) | instid1(VALU_DEP_3)
	v_cndmask_b32_e32 v5, v11, v5, vcc_lo
	v_and_b32_e32 v1, 0x80000000, v1
	s_delay_alu instid0(VALU_DEP_3) | instskip(NEXT) | instid1(VALU_DEP_3)
	v_lshlrev_b32_e32 v2, 20, v2
	v_lshl_add_u32 v3, v5, 23, 0x3b800000
	s_delay_alu instid0(VALU_DEP_1) | instskip(NEXT) | instid1(VALU_DEP_1)
	v_or3_b32 v1, v1, v3, v2
	v_cvt_i32_f32_e32 v2, v1
.LBB387_1302:
	s_or_b32 exec_lo, exec_lo, s15
.LBB387_1303:
	s_mov_b32 s15, -1
.LBB387_1304:
	s_mov_b32 s16, 0
.LBB387_1305:
	s_delay_alu instid0(SALU_CYCLE_1)
	s_and_b32 vcc_lo, exec_lo, s16
	s_cbranch_vccz .LBB387_1336
; %bb.1306:
	s_cmp_gt_i32 s0, 22
	s_cbranch_scc0 .LBB387_1314
; %bb.1307:
	s_cmp_lt_i32 s0, 24
	s_cbranch_scc1 .LBB387_1317
; %bb.1308:
	s_cmp_gt_i32 s0, 24
	s_cbranch_scc0 .LBB387_1318
; %bb.1309:
	global_load_u8 v1, v[8:9], off
	s_mov_b32 s15, 0
	s_mov_b32 s14, exec_lo
	s_wait_loadcnt 0x0
	v_cmpx_lt_i16_e32 0x7f, v1
	s_xor_b32 s14, exec_lo, s14
	s_cbranch_execz .LBB387_1330
; %bb.1310:
	v_cmp_ne_u16_e32 vcc_lo, 0x80, v1
	s_and_b32 s15, vcc_lo, exec_lo
	s_and_not1_saveexec_b32 s14, s14
	s_cbranch_execnz .LBB387_1331
.LBB387_1311:
	s_or_b32 exec_lo, exec_lo, s14
	v_mov_b32_e32 v2, 0
	s_and_saveexec_b32 s14, s15
	s_cbranch_execz .LBB387_1313
.LBB387_1312:
	v_and_b32_e32 v2, 0xffff, v1
	s_delay_alu instid0(VALU_DEP_1) | instskip(SKIP_1) | instid1(VALU_DEP_2)
	v_and_b32_e32 v3, 3, v2
	v_bfe_u32 v11, v2, 2, 5
	v_clz_i32_u32_e32 v5, v3
	s_delay_alu instid0(VALU_DEP_2) | instskip(NEXT) | instid1(VALU_DEP_2)
	v_cmp_eq_u32_e32 vcc_lo, 0, v11
	v_min_u32_e32 v5, 32, v5
	s_delay_alu instid0(VALU_DEP_1) | instskip(NEXT) | instid1(VALU_DEP_1)
	v_subrev_nc_u32_e32 v7, 29, v5
	v_dual_lshlrev_b32 v2, v7, v2 :: v_dual_sub_nc_u32 v5, 30, v5
	s_delay_alu instid0(VALU_DEP_1) | instskip(NEXT) | instid1(VALU_DEP_1)
	v_dual_lshlrev_b32 v1, 24, v1 :: v_dual_bitop2_b32 v2, 3, v2 bitop3:0x40
	v_cndmask_b32_e32 v2, v3, v2, vcc_lo
	s_delay_alu instid0(VALU_DEP_3) | instskip(NEXT) | instid1(VALU_DEP_3)
	v_cndmask_b32_e32 v5, v11, v5, vcc_lo
	v_and_b32_e32 v1, 0x80000000, v1
	s_delay_alu instid0(VALU_DEP_3) | instskip(NEXT) | instid1(VALU_DEP_3)
	v_lshlrev_b32_e32 v2, 21, v2
	v_lshl_add_u32 v3, v5, 23, 0x37800000
	s_delay_alu instid0(VALU_DEP_1) | instskip(NEXT) | instid1(VALU_DEP_1)
	v_or3_b32 v1, v1, v3, v2
	v_cvt_i32_f32_e32 v2, v1
.LBB387_1313:
	s_or_b32 exec_lo, exec_lo, s14
	s_mov_b32 s14, 0
	s_branch .LBB387_1319
.LBB387_1314:
	s_mov_b32 s14, -1
                                        ; implicit-def: $vgpr2
	s_branch .LBB387_1325
.LBB387_1315:
	s_and_not1_saveexec_b32 s15, s15
	s_cbranch_execz .LBB387_1300
.LBB387_1316:
	v_cmp_ne_u16_e32 vcc_lo, 0, v1
	s_and_not1_b32 s16, s16, exec_lo
	s_and_b32 s17, vcc_lo, exec_lo
	s_delay_alu instid0(SALU_CYCLE_1)
	s_or_b32 s16, s16, s17
	s_or_b32 exec_lo, exec_lo, s15
	v_mov_b32_e32 v2, 0
	s_and_saveexec_b32 s15, s16
	s_cbranch_execnz .LBB387_1301
	s_branch .LBB387_1302
.LBB387_1317:
	s_mov_b32 s14, -1
                                        ; implicit-def: $vgpr2
	s_branch .LBB387_1322
.LBB387_1318:
	s_mov_b32 s14, -1
                                        ; implicit-def: $vgpr2
.LBB387_1319:
	s_delay_alu instid0(SALU_CYCLE_1)
	s_and_b32 vcc_lo, exec_lo, s14
	s_cbranch_vccz .LBB387_1321
; %bb.1320:
	global_load_u8 v1, v[8:9], off
	s_wait_loadcnt 0x0
	v_lshlrev_b32_e32 v1, 24, v1
	s_wait_xcnt 0x1
	s_delay_alu instid0(VALU_DEP_1) | instskip(NEXT) | instid1(VALU_DEP_1)
	v_and_b32_e32 v2, 0x7f000000, v1
	v_clz_i32_u32_e32 v3, v2
	v_cmp_ne_u32_e32 vcc_lo, 0, v2
	v_add_nc_u32_e32 v7, 0x1000000, v2
	s_delay_alu instid0(VALU_DEP_3) | instskip(NEXT) | instid1(VALU_DEP_1)
	v_min_u32_e32 v3, 32, v3
	v_sub_nc_u32_e64 v3, v3, 4 clamp
	s_delay_alu instid0(VALU_DEP_1) | instskip(NEXT) | instid1(VALU_DEP_1)
	v_dual_lshlrev_b32 v5, v3, v2 :: v_dual_lshlrev_b32 v3, 23, v3
	v_lshrrev_b32_e32 v5, 4, v5
	s_delay_alu instid0(VALU_DEP_1) | instskip(SKIP_1) | instid1(VALU_DEP_2)
	v_sub_nc_u32_e32 v3, v5, v3
	v_ashrrev_i32_e32 v5, 8, v7
	v_add_nc_u32_e32 v3, 0x3c000000, v3
	s_delay_alu instid0(VALU_DEP_1) | instskip(NEXT) | instid1(VALU_DEP_1)
	v_and_or_b32 v3, 0x7f800000, v5, v3
	v_cndmask_b32_e32 v2, 0, v3, vcc_lo
	s_delay_alu instid0(VALU_DEP_1) | instskip(NEXT) | instid1(VALU_DEP_1)
	v_and_or_b32 v1, 0x80000000, v1, v2
	v_cvt_i32_f32_e32 v2, v1
.LBB387_1321:
	s_mov_b32 s14, 0
.LBB387_1322:
	s_delay_alu instid0(SALU_CYCLE_1)
	s_and_not1_b32 vcc_lo, exec_lo, s14
	s_cbranch_vccnz .LBB387_1324
; %bb.1323:
	global_load_u8 v1, v[8:9], off
	s_wait_loadcnt 0x0
	s_wait_xcnt 0x1
	v_lshlrev_b32_e32 v2, 25, v1
	v_lshlrev_b16 v1, 8, v1
	s_delay_alu instid0(VALU_DEP_1) | instskip(NEXT) | instid1(VALU_DEP_3)
	v_and_or_b32 v5, 0x7f00, v1, 0.5
	v_lshrrev_b32_e32 v3, 4, v2
	v_bfe_i32 v1, v1, 0, 16
	s_delay_alu instid0(VALU_DEP_3) | instskip(NEXT) | instid1(VALU_DEP_3)
	v_add_f32_e32 v5, -0.5, v5
	v_or_b32_e32 v3, 0x70000000, v3
	s_delay_alu instid0(VALU_DEP_1) | instskip(SKIP_1) | instid1(VALU_DEP_2)
	v_mul_f32_e32 v3, 0x7800000, v3
	v_cmp_gt_u32_e32 vcc_lo, 0x8000000, v2
	v_cndmask_b32_e32 v2, v3, v5, vcc_lo
	s_delay_alu instid0(VALU_DEP_1) | instskip(NEXT) | instid1(VALU_DEP_1)
	v_and_or_b32 v1, 0x80000000, v1, v2
	v_cvt_i32_f32_e32 v2, v1
.LBB387_1324:
	s_mov_b32 s14, 0
	s_mov_b32 s15, -1
.LBB387_1325:
	s_and_not1_b32 vcc_lo, exec_lo, s14
	s_mov_b32 s14, 0
	s_cbranch_vccnz .LBB387_1336
; %bb.1326:
	s_cmp_gt_i32 s0, 14
	s_cbranch_scc0 .LBB387_1329
; %bb.1327:
	s_cmp_eq_u32 s0, 15
	s_cbranch_scc0 .LBB387_1332
; %bb.1328:
	global_load_u16 v1, v[8:9], off
	s_mov_b32 s9, 0
	s_mov_b32 s15, -1
	s_wait_loadcnt 0x0
	v_lshlrev_b32_e32 v1, 16, v1
	s_wait_xcnt 0x1
	s_delay_alu instid0(VALU_DEP_1)
	v_cvt_i32_f32_e32 v2, v1
	s_branch .LBB387_1334
.LBB387_1329:
	s_mov_b32 s14, -1
	s_branch .LBB387_1333
.LBB387_1330:
	s_and_not1_saveexec_b32 s14, s14
	s_cbranch_execz .LBB387_1311
.LBB387_1331:
	v_cmp_ne_u16_e32 vcc_lo, 0, v1
	s_and_not1_b32 s15, s15, exec_lo
	s_and_b32 s16, vcc_lo, exec_lo
	s_delay_alu instid0(SALU_CYCLE_1)
	s_or_b32 s15, s15, s16
	s_or_b32 exec_lo, exec_lo, s14
	v_mov_b32_e32 v2, 0
	s_and_saveexec_b32 s14, s15
	s_cbranch_execnz .LBB387_1312
	s_branch .LBB387_1313
.LBB387_1332:
	s_mov_b32 s9, -1
.LBB387_1333:
                                        ; implicit-def: $vgpr2
.LBB387_1334:
	s_and_b32 vcc_lo, exec_lo, s14
	s_mov_b32 s14, 0
	s_cbranch_vccz .LBB387_1336
; %bb.1335:
	s_cmp_lg_u32 s0, 11
	s_mov_b32 s14, -1
	s_cselect_b32 s9, -1, 0
.LBB387_1336:
	s_delay_alu instid0(SALU_CYCLE_1)
	s_and_b32 vcc_lo, exec_lo, s9
	s_cbranch_vccnz .LBB387_1399
; %bb.1337:
	s_and_not1_b32 vcc_lo, exec_lo, s14
	s_cbranch_vccnz .LBB387_1339
.LBB387_1338:
	global_load_u8 v1, v[8:9], off
	s_mov_b32 s15, -1
	s_wait_loadcnt 0x0
	v_cmp_ne_u16_e32 vcc_lo, 0, v1
	s_wait_xcnt 0x1
	v_cndmask_b32_e64 v2, 0, 1, vcc_lo
.LBB387_1339:
	s_branch .LBB387_1270
.LBB387_1340:
	s_cmp_lt_i32 s0, 5
	s_cbranch_scc1 .LBB387_1345
; %bb.1341:
	s_cmp_lt_i32 s0, 8
	s_cbranch_scc1 .LBB387_1346
; %bb.1342:
	;; [unrolled: 3-line block ×3, first 2 shown]
	s_cmp_gt_i32 s0, 9
	s_cbranch_scc0 .LBB387_1348
; %bb.1344:
	s_wait_loadcnt 0x0
	global_load_b64 v[2:3], v[8:9], off
	s_mov_b32 s9, 0
	s_wait_loadcnt 0x0
	v_cvt_i32_f64_e32 v2, v[2:3]
	s_branch .LBB387_1349
.LBB387_1345:
	s_mov_b32 s9, -1
                                        ; implicit-def: $vgpr2
	s_branch .LBB387_1367
.LBB387_1346:
	s_mov_b32 s9, -1
                                        ; implicit-def: $vgpr2
	s_branch .LBB387_1355
.LBB387_1347:
	s_mov_b32 s9, -1
                                        ; implicit-def: $vgpr2
	s_branch .LBB387_1352
.LBB387_1348:
	s_mov_b32 s9, -1
                                        ; implicit-def: $vgpr2
.LBB387_1349:
	s_delay_alu instid0(SALU_CYCLE_1)
	s_and_not1_b32 vcc_lo, exec_lo, s9
	s_cbranch_vccnz .LBB387_1351
; %bb.1350:
	global_load_b32 v1, v[8:9], off
	s_wait_loadcnt 0x0
	s_wait_xcnt 0x1
	v_cvt_i32_f32_e32 v2, v1
.LBB387_1351:
	s_mov_b32 s9, 0
.LBB387_1352:
	s_delay_alu instid0(SALU_CYCLE_1)
	s_and_not1_b32 vcc_lo, exec_lo, s9
	s_cbranch_vccnz .LBB387_1354
; %bb.1353:
	global_load_b32 v1, v[8:9], off
	s_wait_loadcnt 0x0
	s_wait_xcnt 0x1
	v_cvt_i16_f16_e32 v2, v1
.LBB387_1354:
	s_mov_b32 s9, 0
.LBB387_1355:
	s_delay_alu instid0(SALU_CYCLE_1)
	s_and_not1_b32 vcc_lo, exec_lo, s9
	s_cbranch_vccnz .LBB387_1366
; %bb.1356:
	s_cmp_lt_i32 s0, 6
	s_cbranch_scc1 .LBB387_1359
; %bb.1357:
	s_cmp_gt_i32 s0, 6
	s_cbranch_scc0 .LBB387_1360
; %bb.1358:
	s_wait_loadcnt 0x0
	global_load_b64 v[2:3], v[8:9], off
	s_mov_b32 s9, 0
	s_wait_loadcnt 0x0
	v_cvt_i32_f64_e32 v2, v[2:3]
	s_branch .LBB387_1361
.LBB387_1359:
	s_mov_b32 s9, -1
                                        ; implicit-def: $vgpr2
	s_branch .LBB387_1364
.LBB387_1360:
	s_mov_b32 s9, -1
                                        ; implicit-def: $vgpr2
.LBB387_1361:
	s_delay_alu instid0(SALU_CYCLE_1)
	s_and_not1_b32 vcc_lo, exec_lo, s9
	s_cbranch_vccnz .LBB387_1363
; %bb.1362:
	global_load_b32 v1, v[8:9], off
	s_wait_loadcnt 0x0
	s_wait_xcnt 0x1
	v_cvt_i32_f32_e32 v2, v1
.LBB387_1363:
	s_mov_b32 s9, 0
.LBB387_1364:
	s_delay_alu instid0(SALU_CYCLE_1)
	s_and_not1_b32 vcc_lo, exec_lo, s9
	s_cbranch_vccnz .LBB387_1366
; %bb.1365:
	global_load_u16 v1, v[8:9], off
	s_wait_loadcnt 0x0
	s_wait_xcnt 0x1
	v_cvt_i16_f16_e32 v2, v1
.LBB387_1366:
	s_mov_b32 s9, 0
.LBB387_1367:
	s_delay_alu instid0(SALU_CYCLE_1)
	s_and_not1_b32 vcc_lo, exec_lo, s9
	s_cbranch_vccnz .LBB387_1387
; %bb.1368:
	s_cmp_lt_i32 s0, 2
	s_cbranch_scc1 .LBB387_1372
; %bb.1369:
	s_cmp_lt_i32 s0, 3
	s_cbranch_scc1 .LBB387_1373
; %bb.1370:
	s_cmp_gt_i32 s0, 3
	s_cbranch_scc0 .LBB387_1374
; %bb.1371:
	s_wait_loadcnt 0x0
	global_load_b64 v[2:3], v[8:9], off
	s_mov_b32 s9, 0
	s_branch .LBB387_1375
.LBB387_1372:
	s_mov_b32 s9, -1
                                        ; implicit-def: $vgpr2
	s_branch .LBB387_1381
.LBB387_1373:
	s_mov_b32 s9, -1
                                        ; implicit-def: $vgpr2
	s_branch .LBB387_1378
.LBB387_1374:
	s_mov_b32 s9, -1
                                        ; implicit-def: $vgpr2
.LBB387_1375:
	s_delay_alu instid0(SALU_CYCLE_1)
	s_and_not1_b32 vcc_lo, exec_lo, s9
	s_cbranch_vccnz .LBB387_1377
; %bb.1376:
	s_wait_loadcnt 0x0
	global_load_b32 v2, v[8:9], off
.LBB387_1377:
	s_mov_b32 s9, 0
.LBB387_1378:
	s_delay_alu instid0(SALU_CYCLE_1)
	s_and_not1_b32 vcc_lo, exec_lo, s9
	s_cbranch_vccnz .LBB387_1380
; %bb.1379:
	s_wait_loadcnt 0x0
	global_load_u16 v2, v[8:9], off
.LBB387_1380:
	s_mov_b32 s9, 0
.LBB387_1381:
	s_delay_alu instid0(SALU_CYCLE_1)
	s_and_not1_b32 vcc_lo, exec_lo, s9
	s_cbranch_vccnz .LBB387_1387
; %bb.1382:
	s_cmp_gt_i32 s0, 0
	s_mov_b32 s9, 0
	s_cbranch_scc0 .LBB387_1384
; %bb.1383:
	s_wait_loadcnt 0x0
	global_load_u8 v2, v[8:9], off
	s_branch .LBB387_1385
.LBB387_1384:
	s_mov_b32 s9, -1
                                        ; implicit-def: $vgpr2
.LBB387_1385:
	s_delay_alu instid0(SALU_CYCLE_1)
	s_and_not1_b32 vcc_lo, exec_lo, s9
	s_cbranch_vccnz .LBB387_1387
; %bb.1386:
	s_wait_loadcnt 0x0
	global_load_u8 v2, v[8:9], off
.LBB387_1387:
.LBB387_1388:
	v_add_nc_u32_e32 v0, s3, v0
	s_cmp_lt_i32 s0, 11
	s_delay_alu instid0(VALU_DEP_1) | instskip(SKIP_1) | instid1(VALU_DEP_1)
	v_ashrrev_i32_e32 v1, 31, v0
	s_wait_xcnt 0x0
	v_add_nc_u64_e32 v[8:9], s[6:7], v[0:1]
	s_cbranch_scc1 .LBB387_1395
; %bb.1389:
	s_cmp_gt_i32 s0, 25
	s_mov_b32 s6, 0
	s_cbranch_scc0 .LBB387_1396
; %bb.1390:
	s_cmp_gt_i32 s0, 28
	s_cbranch_scc0 .LBB387_1397
; %bb.1391:
	s_cmp_gt_i32 s0, 43
	;; [unrolled: 3-line block ×3, first 2 shown]
	s_cbranch_scc0 .LBB387_1400
; %bb.1393:
	s_cmp_eq_u32 s0, 46
	s_mov_b32 s9, 0
	s_cbranch_scc0 .LBB387_1401
; %bb.1394:
	global_load_b32 v0, v[8:9], off
	s_mov_b32 s3, 0
	s_mov_b32 s7, -1
	s_wait_loadcnt 0x0
	v_lshlrev_b32_e32 v0, 16, v0
	s_delay_alu instid0(VALU_DEP_1)
	v_cvt_i32_f32_e32 v0, v0
	s_branch .LBB387_1403
.LBB387_1395:
	s_mov_b32 s3, -1
	s_mov_b32 s7, 0
                                        ; implicit-def: $vgpr0
	s_branch .LBB387_1465
.LBB387_1396:
	s_mov_b32 s9, -1
	s_mov_b32 s7, 0
	s_mov_b32 s3, 0
                                        ; implicit-def: $vgpr0
	s_branch .LBB387_1430
.LBB387_1397:
	s_mov_b32 s9, -1
	s_mov_b32 s7, 0
	s_mov_b32 s3, 0
                                        ; implicit-def: $vgpr0
	s_branch .LBB387_1413
.LBB387_1398:
	s_mov_b32 s9, -1
	s_mov_b32 s7, 0
	s_mov_b32 s3, 0
                                        ; implicit-def: $vgpr0
	s_branch .LBB387_1408
.LBB387_1399:
	s_or_b32 s1, s1, exec_lo
	s_trap 2
	s_cbranch_execz .LBB387_1338
	s_branch .LBB387_1339
.LBB387_1400:
	s_mov_b32 s9, -1
	s_mov_b32 s7, 0
	s_mov_b32 s3, 0
	s_branch .LBB387_1402
.LBB387_1401:
	s_mov_b32 s3, -1
	s_mov_b32 s7, 0
.LBB387_1402:
                                        ; implicit-def: $vgpr0
.LBB387_1403:
	s_and_b32 vcc_lo, exec_lo, s9
	s_cbranch_vccz .LBB387_1407
; %bb.1404:
	s_cmp_eq_u32 s0, 44
	s_cbranch_scc0 .LBB387_1406
; %bb.1405:
	global_load_u8 v0, v[8:9], off
	s_mov_b32 s3, 0
	s_mov_b32 s7, -1
	s_wait_loadcnt 0x0
	v_lshlrev_b32_e32 v1, 23, v0
	v_cmp_ne_u32_e32 vcc_lo, 0, v0
	s_delay_alu instid0(VALU_DEP_2) | instskip(NEXT) | instid1(VALU_DEP_1)
	v_cvt_i32_f32_e32 v1, v1
	v_cndmask_b32_e32 v0, 0, v1, vcc_lo
	s_branch .LBB387_1407
.LBB387_1406:
	s_mov_b32 s3, -1
                                        ; implicit-def: $vgpr0
.LBB387_1407:
	s_mov_b32 s9, 0
.LBB387_1408:
	s_delay_alu instid0(SALU_CYCLE_1)
	s_and_b32 vcc_lo, exec_lo, s9
	s_cbranch_vccz .LBB387_1412
; %bb.1409:
	s_cmp_eq_u32 s0, 29
	s_cbranch_scc0 .LBB387_1411
; %bb.1410:
	global_load_b64 v[0:1], v[8:9], off
	s_mov_b32 s3, 0
	s_mov_b32 s7, -1
	s_branch .LBB387_1412
.LBB387_1411:
	s_mov_b32 s3, -1
                                        ; implicit-def: $vgpr0
.LBB387_1412:
	s_mov_b32 s9, 0
.LBB387_1413:
	s_delay_alu instid0(SALU_CYCLE_1)
	s_and_b32 vcc_lo, exec_lo, s9
	s_cbranch_vccz .LBB387_1429
; %bb.1414:
	s_cmp_lt_i32 s0, 27
	s_cbranch_scc1 .LBB387_1417
; %bb.1415:
	s_cmp_gt_i32 s0, 27
	s_cbranch_scc0 .LBB387_1418
; %bb.1416:
	s_wait_loadcnt 0x0
	global_load_b32 v0, v[8:9], off
	s_mov_b32 s7, 0
	s_branch .LBB387_1419
.LBB387_1417:
	s_mov_b32 s7, -1
                                        ; implicit-def: $vgpr0
	s_branch .LBB387_1422
.LBB387_1418:
	s_mov_b32 s7, -1
                                        ; implicit-def: $vgpr0
.LBB387_1419:
	s_delay_alu instid0(SALU_CYCLE_1)
	s_and_not1_b32 vcc_lo, exec_lo, s7
	s_cbranch_vccnz .LBB387_1421
; %bb.1420:
	s_wait_loadcnt 0x0
	global_load_u16 v0, v[8:9], off
.LBB387_1421:
	s_mov_b32 s7, 0
.LBB387_1422:
	s_delay_alu instid0(SALU_CYCLE_1)
	s_and_not1_b32 vcc_lo, exec_lo, s7
	s_cbranch_vccnz .LBB387_1428
; %bb.1423:
	s_wait_loadcnt 0x0
	global_load_u8 v1, v[8:9], off
	s_mov_b32 s9, 0
	s_mov_b32 s7, exec_lo
	s_wait_loadcnt 0x0
	v_cmpx_lt_i16_e32 0x7f, v1
	s_xor_b32 s7, exec_lo, s7
	s_cbranch_execz .LBB387_1440
; %bb.1424:
	v_cmp_ne_u16_e32 vcc_lo, 0x80, v1
	s_and_b32 s9, vcc_lo, exec_lo
	s_and_not1_saveexec_b32 s7, s7
	s_cbranch_execnz .LBB387_1441
.LBB387_1425:
	s_or_b32 exec_lo, exec_lo, s7
	v_mov_b32_e32 v0, 0
	s_and_saveexec_b32 s7, s9
	s_cbranch_execz .LBB387_1427
.LBB387_1426:
	v_and_b32_e32 v0, 0xffff, v1
	s_delay_alu instid0(VALU_DEP_1) | instskip(SKIP_1) | instid1(VALU_DEP_2)
	v_and_b32_e32 v3, 7, v0
	v_bfe_u32 v11, v0, 3, 4
	v_clz_i32_u32_e32 v5, v3
	s_delay_alu instid0(VALU_DEP_2) | instskip(NEXT) | instid1(VALU_DEP_2)
	v_cmp_eq_u32_e32 vcc_lo, 0, v11
	v_min_u32_e32 v5, 32, v5
	s_delay_alu instid0(VALU_DEP_1) | instskip(NEXT) | instid1(VALU_DEP_1)
	v_subrev_nc_u32_e32 v7, 28, v5
	v_dual_lshlrev_b32 v0, v7, v0 :: v_dual_sub_nc_u32 v5, 29, v5
	s_delay_alu instid0(VALU_DEP_1) | instskip(NEXT) | instid1(VALU_DEP_1)
	v_dual_lshlrev_b32 v1, 24, v1 :: v_dual_bitop2_b32 v0, 7, v0 bitop3:0x40
	v_cndmask_b32_e32 v0, v3, v0, vcc_lo
	s_delay_alu instid0(VALU_DEP_3) | instskip(NEXT) | instid1(VALU_DEP_3)
	v_cndmask_b32_e32 v5, v11, v5, vcc_lo
	v_and_b32_e32 v1, 0x80000000, v1
	s_delay_alu instid0(VALU_DEP_3) | instskip(NEXT) | instid1(VALU_DEP_3)
	v_lshlrev_b32_e32 v0, 20, v0
	v_lshl_add_u32 v3, v5, 23, 0x3b800000
	s_delay_alu instid0(VALU_DEP_1) | instskip(NEXT) | instid1(VALU_DEP_1)
	v_or3_b32 v0, v1, v3, v0
	v_cvt_i32_f32_e32 v0, v0
.LBB387_1427:
	s_or_b32 exec_lo, exec_lo, s7
.LBB387_1428:
	s_mov_b32 s7, -1
.LBB387_1429:
	s_mov_b32 s9, 0
.LBB387_1430:
	s_delay_alu instid0(SALU_CYCLE_1)
	s_and_b32 vcc_lo, exec_lo, s9
	s_cbranch_vccz .LBB387_1461
; %bb.1431:
	s_cmp_gt_i32 s0, 22
	s_cbranch_scc0 .LBB387_1439
; %bb.1432:
	s_cmp_lt_i32 s0, 24
	s_cbranch_scc1 .LBB387_1442
; %bb.1433:
	s_cmp_gt_i32 s0, 24
	s_cbranch_scc0 .LBB387_1443
; %bb.1434:
	s_wait_loadcnt 0x0
	global_load_u8 v1, v[8:9], off
	s_mov_b32 s7, 0
	s_mov_b32 s6, exec_lo
	s_wait_loadcnt 0x0
	v_cmpx_lt_i16_e32 0x7f, v1
	s_xor_b32 s6, exec_lo, s6
	s_cbranch_execz .LBB387_1455
; %bb.1435:
	v_cmp_ne_u16_e32 vcc_lo, 0x80, v1
	s_and_b32 s7, vcc_lo, exec_lo
	s_and_not1_saveexec_b32 s6, s6
	s_cbranch_execnz .LBB387_1456
.LBB387_1436:
	s_or_b32 exec_lo, exec_lo, s6
	v_mov_b32_e32 v0, 0
	s_and_saveexec_b32 s6, s7
	s_cbranch_execz .LBB387_1438
.LBB387_1437:
	v_and_b32_e32 v0, 0xffff, v1
	s_delay_alu instid0(VALU_DEP_1) | instskip(SKIP_1) | instid1(VALU_DEP_2)
	v_and_b32_e32 v3, 3, v0
	v_bfe_u32 v11, v0, 2, 5
	v_clz_i32_u32_e32 v5, v3
	s_delay_alu instid0(VALU_DEP_2) | instskip(NEXT) | instid1(VALU_DEP_2)
	v_cmp_eq_u32_e32 vcc_lo, 0, v11
	v_min_u32_e32 v5, 32, v5
	s_delay_alu instid0(VALU_DEP_1) | instskip(NEXT) | instid1(VALU_DEP_1)
	v_subrev_nc_u32_e32 v7, 29, v5
	v_dual_lshlrev_b32 v0, v7, v0 :: v_dual_sub_nc_u32 v5, 30, v5
	s_delay_alu instid0(VALU_DEP_1) | instskip(NEXT) | instid1(VALU_DEP_1)
	v_dual_lshlrev_b32 v1, 24, v1 :: v_dual_bitop2_b32 v0, 3, v0 bitop3:0x40
	v_cndmask_b32_e32 v0, v3, v0, vcc_lo
	s_delay_alu instid0(VALU_DEP_3) | instskip(NEXT) | instid1(VALU_DEP_3)
	v_cndmask_b32_e32 v5, v11, v5, vcc_lo
	v_and_b32_e32 v1, 0x80000000, v1
	s_delay_alu instid0(VALU_DEP_3) | instskip(NEXT) | instid1(VALU_DEP_3)
	v_lshlrev_b32_e32 v0, 21, v0
	v_lshl_add_u32 v3, v5, 23, 0x37800000
	s_delay_alu instid0(VALU_DEP_1) | instskip(NEXT) | instid1(VALU_DEP_1)
	v_or3_b32 v0, v1, v3, v0
	v_cvt_i32_f32_e32 v0, v0
.LBB387_1438:
	s_or_b32 exec_lo, exec_lo, s6
	s_mov_b32 s6, 0
	s_branch .LBB387_1444
.LBB387_1439:
	s_mov_b32 s6, -1
                                        ; implicit-def: $vgpr0
	s_branch .LBB387_1450
.LBB387_1440:
	s_and_not1_saveexec_b32 s7, s7
	s_cbranch_execz .LBB387_1425
.LBB387_1441:
	v_cmp_ne_u16_e32 vcc_lo, 0, v1
	s_and_not1_b32 s9, s9, exec_lo
	s_and_b32 s14, vcc_lo, exec_lo
	s_delay_alu instid0(SALU_CYCLE_1)
	s_or_b32 s9, s9, s14
	s_or_b32 exec_lo, exec_lo, s7
	v_mov_b32_e32 v0, 0
	s_and_saveexec_b32 s7, s9
	s_cbranch_execnz .LBB387_1426
	s_branch .LBB387_1427
.LBB387_1442:
	s_mov_b32 s6, -1
                                        ; implicit-def: $vgpr0
	s_branch .LBB387_1447
.LBB387_1443:
	s_mov_b32 s6, -1
                                        ; implicit-def: $vgpr0
.LBB387_1444:
	s_delay_alu instid0(SALU_CYCLE_1)
	s_and_b32 vcc_lo, exec_lo, s6
	s_cbranch_vccz .LBB387_1446
; %bb.1445:
	s_wait_loadcnt 0x0
	global_load_u8 v0, v[8:9], off
	s_wait_loadcnt 0x0
	v_lshlrev_b32_e32 v0, 24, v0
	s_delay_alu instid0(VALU_DEP_1) | instskip(NEXT) | instid1(VALU_DEP_1)
	v_and_b32_e32 v1, 0x7f000000, v0
	v_clz_i32_u32_e32 v3, v1
	v_add_nc_u32_e32 v7, 0x1000000, v1
	v_cmp_ne_u32_e32 vcc_lo, 0, v1
	s_delay_alu instid0(VALU_DEP_3) | instskip(NEXT) | instid1(VALU_DEP_1)
	v_min_u32_e32 v3, 32, v3
	v_sub_nc_u32_e64 v3, v3, 4 clamp
	s_delay_alu instid0(VALU_DEP_1) | instskip(NEXT) | instid1(VALU_DEP_1)
	v_dual_lshlrev_b32 v5, v3, v1 :: v_dual_lshlrev_b32 v3, 23, v3
	v_lshrrev_b32_e32 v5, 4, v5
	s_delay_alu instid0(VALU_DEP_1) | instskip(SKIP_1) | instid1(VALU_DEP_2)
	v_sub_nc_u32_e32 v3, v5, v3
	v_ashrrev_i32_e32 v5, 8, v7
	v_add_nc_u32_e32 v3, 0x3c000000, v3
	s_delay_alu instid0(VALU_DEP_1) | instskip(NEXT) | instid1(VALU_DEP_1)
	v_and_or_b32 v3, 0x7f800000, v5, v3
	v_cndmask_b32_e32 v1, 0, v3, vcc_lo
	s_delay_alu instid0(VALU_DEP_1) | instskip(NEXT) | instid1(VALU_DEP_1)
	v_and_or_b32 v0, 0x80000000, v0, v1
	v_cvt_i32_f32_e32 v0, v0
.LBB387_1446:
	s_mov_b32 s6, 0
.LBB387_1447:
	s_delay_alu instid0(SALU_CYCLE_1)
	s_and_not1_b32 vcc_lo, exec_lo, s6
	s_cbranch_vccnz .LBB387_1449
; %bb.1448:
	s_wait_loadcnt 0x0
	global_load_u8 v0, v[8:9], off
	s_wait_loadcnt 0x0
	v_lshlrev_b32_e32 v1, 25, v0
	v_lshlrev_b16 v0, 8, v0
	s_delay_alu instid0(VALU_DEP_1) | instskip(SKIP_1) | instid1(VALU_DEP_2)
	v_and_or_b32 v5, 0x7f00, v0, 0.5
	v_bfe_i32 v0, v0, 0, 16
	v_add_f32_e32 v5, -0.5, v5
	v_lshrrev_b32_e32 v3, 4, v1
	v_cmp_gt_u32_e32 vcc_lo, 0x8000000, v1
	s_delay_alu instid0(VALU_DEP_2) | instskip(NEXT) | instid1(VALU_DEP_1)
	v_or_b32_e32 v3, 0x70000000, v3
	v_mul_f32_e32 v3, 0x7800000, v3
	s_delay_alu instid0(VALU_DEP_1) | instskip(NEXT) | instid1(VALU_DEP_1)
	v_cndmask_b32_e32 v1, v3, v5, vcc_lo
	v_and_or_b32 v0, 0x80000000, v0, v1
	s_delay_alu instid0(VALU_DEP_1)
	v_cvt_i32_f32_e32 v0, v0
.LBB387_1449:
	s_mov_b32 s6, 0
	s_mov_b32 s7, -1
.LBB387_1450:
	s_and_not1_b32 vcc_lo, exec_lo, s6
	s_mov_b32 s6, 0
	s_cbranch_vccnz .LBB387_1461
; %bb.1451:
	s_cmp_gt_i32 s0, 14
	s_cbranch_scc0 .LBB387_1454
; %bb.1452:
	s_cmp_eq_u32 s0, 15
	s_cbranch_scc0 .LBB387_1457
; %bb.1453:
	s_wait_loadcnt 0x0
	global_load_u16 v0, v[8:9], off
	s_mov_b32 s3, 0
	s_mov_b32 s7, -1
	s_wait_loadcnt 0x0
	v_lshlrev_b32_e32 v0, 16, v0
	s_delay_alu instid0(VALU_DEP_1)
	v_cvt_i32_f32_e32 v0, v0
	s_branch .LBB387_1459
.LBB387_1454:
	s_mov_b32 s6, -1
	s_branch .LBB387_1458
.LBB387_1455:
	s_and_not1_saveexec_b32 s6, s6
	s_cbranch_execz .LBB387_1436
.LBB387_1456:
	v_cmp_ne_u16_e32 vcc_lo, 0, v1
	s_and_not1_b32 s7, s7, exec_lo
	s_and_b32 s9, vcc_lo, exec_lo
	s_delay_alu instid0(SALU_CYCLE_1)
	s_or_b32 s7, s7, s9
	s_or_b32 exec_lo, exec_lo, s6
	v_mov_b32_e32 v0, 0
	s_and_saveexec_b32 s6, s7
	s_cbranch_execnz .LBB387_1437
	s_branch .LBB387_1438
.LBB387_1457:
	s_mov_b32 s3, -1
.LBB387_1458:
                                        ; implicit-def: $vgpr0
.LBB387_1459:
	s_and_b32 vcc_lo, exec_lo, s6
	s_mov_b32 s6, 0
	s_cbranch_vccz .LBB387_1461
; %bb.1460:
	s_cmp_lg_u32 s0, 11
	s_mov_b32 s6, -1
	s_cselect_b32 s3, -1, 0
.LBB387_1461:
	s_delay_alu instid0(SALU_CYCLE_1)
	s_and_b32 vcc_lo, exec_lo, s3
	s_cbranch_vccnz .LBB387_1993
; %bb.1462:
	s_and_not1_b32 vcc_lo, exec_lo, s6
	s_cbranch_vccnz .LBB387_1464
.LBB387_1463:
	s_wait_loadcnt 0x0
	global_load_u8 v0, v[8:9], off
	s_mov_b32 s7, -1
	s_wait_loadcnt 0x0
	v_cmp_ne_u16_e32 vcc_lo, 0, v0
	v_cndmask_b32_e64 v0, 0, 1, vcc_lo
.LBB387_1464:
	s_mov_b32 s3, 0
.LBB387_1465:
	s_delay_alu instid0(SALU_CYCLE_1)
	s_and_b32 vcc_lo, exec_lo, s3
	s_cbranch_vccz .LBB387_1514
; %bb.1466:
	s_cmp_lt_i32 s0, 5
	s_cbranch_scc1 .LBB387_1471
; %bb.1467:
	s_cmp_lt_i32 s0, 8
	s_cbranch_scc1 .LBB387_1472
; %bb.1468:
	s_cmp_lt_i32 s0, 9
	s_cbranch_scc1 .LBB387_1473
; %bb.1469:
	s_cmp_gt_i32 s0, 9
	s_cbranch_scc0 .LBB387_1474
; %bb.1470:
	s_wait_loadcnt 0x0
	global_load_b64 v[0:1], v[8:9], off
	s_mov_b32 s3, 0
	s_wait_loadcnt 0x0
	v_cvt_i32_f64_e32 v0, v[0:1]
	s_branch .LBB387_1475
.LBB387_1471:
	s_mov_b32 s3, -1
                                        ; implicit-def: $vgpr0
	s_branch .LBB387_1493
.LBB387_1472:
	s_mov_b32 s3, -1
                                        ; implicit-def: $vgpr0
	s_branch .LBB387_1481
.LBB387_1473:
	s_mov_b32 s3, -1
                                        ; implicit-def: $vgpr0
	s_branch .LBB387_1478
.LBB387_1474:
	s_mov_b32 s3, -1
                                        ; implicit-def: $vgpr0
.LBB387_1475:
	s_delay_alu instid0(SALU_CYCLE_1)
	s_and_not1_b32 vcc_lo, exec_lo, s3
	s_cbranch_vccnz .LBB387_1477
; %bb.1476:
	s_wait_loadcnt 0x0
	global_load_b32 v0, v[8:9], off
	s_wait_loadcnt 0x0
	v_cvt_i32_f32_e32 v0, v0
.LBB387_1477:
	s_mov_b32 s3, 0
.LBB387_1478:
	s_delay_alu instid0(SALU_CYCLE_1)
	s_and_not1_b32 vcc_lo, exec_lo, s3
	s_cbranch_vccnz .LBB387_1480
; %bb.1479:
	s_wait_loadcnt 0x0
	global_load_b32 v0, v[8:9], off
	s_wait_loadcnt 0x0
	v_cvt_i16_f16_e32 v0, v0
.LBB387_1480:
	s_mov_b32 s3, 0
.LBB387_1481:
	s_delay_alu instid0(SALU_CYCLE_1)
	s_and_not1_b32 vcc_lo, exec_lo, s3
	s_cbranch_vccnz .LBB387_1492
; %bb.1482:
	s_cmp_lt_i32 s0, 6
	s_cbranch_scc1 .LBB387_1485
; %bb.1483:
	s_cmp_gt_i32 s0, 6
	s_cbranch_scc0 .LBB387_1486
; %bb.1484:
	s_wait_loadcnt 0x0
	global_load_b64 v[0:1], v[8:9], off
	s_mov_b32 s3, 0
	s_wait_loadcnt 0x0
	v_cvt_i32_f64_e32 v0, v[0:1]
	s_branch .LBB387_1487
.LBB387_1485:
	s_mov_b32 s3, -1
                                        ; implicit-def: $vgpr0
	s_branch .LBB387_1490
.LBB387_1486:
	s_mov_b32 s3, -1
                                        ; implicit-def: $vgpr0
.LBB387_1487:
	s_delay_alu instid0(SALU_CYCLE_1)
	s_and_not1_b32 vcc_lo, exec_lo, s3
	s_cbranch_vccnz .LBB387_1489
; %bb.1488:
	s_wait_loadcnt 0x0
	global_load_b32 v0, v[8:9], off
	s_wait_loadcnt 0x0
	v_cvt_i32_f32_e32 v0, v0
.LBB387_1489:
	s_mov_b32 s3, 0
.LBB387_1490:
	s_delay_alu instid0(SALU_CYCLE_1)
	s_and_not1_b32 vcc_lo, exec_lo, s3
	s_cbranch_vccnz .LBB387_1492
; %bb.1491:
	s_wait_loadcnt 0x0
	global_load_u16 v0, v[8:9], off
	s_wait_loadcnt 0x0
	v_cvt_i16_f16_e32 v0, v0
.LBB387_1492:
	s_mov_b32 s3, 0
.LBB387_1493:
	s_delay_alu instid0(SALU_CYCLE_1)
	s_and_not1_b32 vcc_lo, exec_lo, s3
	s_cbranch_vccnz .LBB387_1513
; %bb.1494:
	s_cmp_lt_i32 s0, 2
	s_cbranch_scc1 .LBB387_1498
; %bb.1495:
	s_cmp_lt_i32 s0, 3
	s_cbranch_scc1 .LBB387_1499
; %bb.1496:
	s_cmp_gt_i32 s0, 3
	s_cbranch_scc0 .LBB387_1500
; %bb.1497:
	s_wait_loadcnt 0x0
	global_load_b64 v[0:1], v[8:9], off
	s_mov_b32 s3, 0
	s_branch .LBB387_1501
.LBB387_1498:
	s_mov_b32 s3, -1
                                        ; implicit-def: $vgpr0
	s_branch .LBB387_1507
.LBB387_1499:
	s_mov_b32 s3, -1
                                        ; implicit-def: $vgpr0
	s_branch .LBB387_1504
.LBB387_1500:
	s_mov_b32 s3, -1
                                        ; implicit-def: $vgpr0
.LBB387_1501:
	s_delay_alu instid0(SALU_CYCLE_1)
	s_and_not1_b32 vcc_lo, exec_lo, s3
	s_cbranch_vccnz .LBB387_1503
; %bb.1502:
	s_wait_loadcnt 0x0
	global_load_b32 v0, v[8:9], off
.LBB387_1503:
	s_mov_b32 s3, 0
.LBB387_1504:
	s_delay_alu instid0(SALU_CYCLE_1)
	s_and_not1_b32 vcc_lo, exec_lo, s3
	s_cbranch_vccnz .LBB387_1506
; %bb.1505:
	s_wait_loadcnt 0x0
	global_load_u16 v0, v[8:9], off
.LBB387_1506:
	s_mov_b32 s3, 0
.LBB387_1507:
	s_delay_alu instid0(SALU_CYCLE_1)
	s_and_not1_b32 vcc_lo, exec_lo, s3
	s_cbranch_vccnz .LBB387_1513
; %bb.1508:
	s_cmp_gt_i32 s0, 0
	s_mov_b32 s0, 0
	s_cbranch_scc0 .LBB387_1510
; %bb.1509:
	s_wait_loadcnt 0x0
	global_load_u8 v0, v[8:9], off
	s_branch .LBB387_1511
.LBB387_1510:
	s_mov_b32 s0, -1
                                        ; implicit-def: $vgpr0
.LBB387_1511:
	s_delay_alu instid0(SALU_CYCLE_1)
	s_and_not1_b32 vcc_lo, exec_lo, s0
	s_cbranch_vccnz .LBB387_1513
; %bb.1512:
	s_wait_loadcnt 0x0
	global_load_u8 v0, v[8:9], off
.LBB387_1513:
	s_mov_b32 s7, -1
.LBB387_1514:
	s_delay_alu instid0(SALU_CYCLE_1)
	s_and_not1_b32 vcc_lo, exec_lo, s7
	s_cbranch_vccnz .LBB387_1947
; %bb.1515:
	s_wait_xcnt 0x0
	v_mul_lo_u32 v8, s8, v10
	s_wait_loadcnt 0x0
	v_and_b32_e32 v1, 0xff, v6
	s_cmp_eq_u32 s10, 0
	s_mov_b32 s10, 0
	s_cselect_b32 s3, -1, 0
	s_and_b32 s6, s11, 0xff
	s_and_b32 s14, s2, 0xff
	v_cmp_ne_u16_e32 vcc_lo, s6, v1
	s_mov_b32 s0, -1
	s_delay_alu instid0(VALU_DEP_3) | instskip(SKIP_2) | instid1(VALU_DEP_1)
	v_ashrrev_i32_e32 v9, 31, v8
	s_xor_b32 s2, s3, vcc_lo
	s_cmp_lt_i32 s14, 11
	v_add_nc_u64_e32 v[6:7], s[4:5], v[8:9]
	s_cbranch_scc1 .LBB387_1594
; %bb.1516:
	s_and_b32 s7, 0xffff, s14
	s_mov_b32 s11, -1
	s_mov_b32 s9, 0
	s_cmp_gt_i32 s7, 25
	s_mov_b32 s0, 0
	s_cbranch_scc0 .LBB387_1549
; %bb.1517:
	s_cmp_gt_i32 s7, 28
	s_cbranch_scc0 .LBB387_1532
; %bb.1518:
	s_cmp_gt_i32 s7, 43
	;; [unrolled: 3-line block ×3, first 2 shown]
	s_cbranch_scc0 .LBB387_1522
; %bb.1520:
	s_mov_b32 s0, -1
	s_mov_b32 s11, 0
	s_cmp_eq_u32 s7, 46
	s_cbranch_scc0 .LBB387_1522
; %bb.1521:
	v_cndmask_b32_e64 v1, 0, 1.0, s2
	s_mov_b32 s0, 0
	s_mov_b32 s10, -1
	s_delay_alu instid0(VALU_DEP_1) | instskip(NEXT) | instid1(VALU_DEP_1)
	v_bfe_u32 v3, v1, 16, 1
	v_add3_u32 v1, v1, v3, 0x7fff
	s_delay_alu instid0(VALU_DEP_1)
	v_lshrrev_b32_e32 v1, 16, v1
	global_store_b32 v[6:7], v1, off
.LBB387_1522:
	s_and_b32 vcc_lo, exec_lo, s11
	s_cbranch_vccz .LBB387_1527
; %bb.1523:
	s_cmp_eq_u32 s7, 44
	s_mov_b32 s0, -1
	s_cbranch_scc0 .LBB387_1527
; %bb.1524:
	v_cndmask_b32_e64 v5, 0, 1.0, s2
	v_mov_b32_e32 v3, 0xff
	s_mov_b32 s10, exec_lo
	s_wait_xcnt 0x0
	s_delay_alu instid0(VALU_DEP_2) | instskip(NEXT) | instid1(VALU_DEP_1)
	v_lshrrev_b32_e32 v1, 23, v5
	v_cmpx_ne_u32_e32 0xff, v1
; %bb.1525:
	v_and_b32_e32 v3, 0x400000, v5
	v_and_or_b32 v5, 0x3fffff, v5, v1
	s_delay_alu instid0(VALU_DEP_2) | instskip(NEXT) | instid1(VALU_DEP_2)
	v_cmp_ne_u32_e32 vcc_lo, 0, v3
	v_cmp_ne_u32_e64 s0, 0, v5
	s_and_b32 s0, vcc_lo, s0
	s_delay_alu instid0(SALU_CYCLE_1) | instskip(NEXT) | instid1(VALU_DEP_1)
	v_cndmask_b32_e64 v3, 0, 1, s0
	v_add_nc_u32_e32 v3, v1, v3
; %bb.1526:
	s_or_b32 exec_lo, exec_lo, s10
	s_mov_b32 s0, 0
	s_mov_b32 s10, -1
	global_store_b8 v[6:7], v3, off
.LBB387_1527:
	s_mov_b32 s11, 0
.LBB387_1528:
	s_delay_alu instid0(SALU_CYCLE_1)
	s_and_b32 vcc_lo, exec_lo, s11
	s_cbranch_vccz .LBB387_1531
; %bb.1529:
	s_cmp_eq_u32 s7, 29
	s_mov_b32 s0, -1
	s_cbranch_scc0 .LBB387_1531
; %bb.1530:
	s_mov_b32 s0, 0
	v_cndmask_b32_e64 v10, 0, 1, s2
	v_mov_b32_e32 v11, s0
	s_mov_b32 s10, -1
	global_store_b64 v[6:7], v[10:11], off
.LBB387_1531:
	s_mov_b32 s11, 0
.LBB387_1532:
	s_delay_alu instid0(SALU_CYCLE_1)
	s_and_b32 vcc_lo, exec_lo, s11
	s_cbranch_vccz .LBB387_1548
; %bb.1533:
	s_cmp_lt_i32 s7, 27
	s_mov_b32 s10, -1
	s_cbranch_scc1 .LBB387_1539
; %bb.1534:
	s_cmp_gt_i32 s7, 27
	s_cbranch_scc0 .LBB387_1536
; %bb.1535:
	s_wait_xcnt 0x0
	v_cndmask_b32_e64 v1, 0, 1, s2
	s_mov_b32 s10, 0
	global_store_b32 v[6:7], v1, off
.LBB387_1536:
	s_and_not1_b32 vcc_lo, exec_lo, s10
	s_cbranch_vccnz .LBB387_1538
; %bb.1537:
	s_wait_xcnt 0x0
	v_cndmask_b32_e64 v1, 0, 1, s2
	global_store_b16 v[6:7], v1, off
.LBB387_1538:
	s_mov_b32 s10, 0
.LBB387_1539:
	s_delay_alu instid0(SALU_CYCLE_1)
	s_and_not1_b32 vcc_lo, exec_lo, s10
	s_cbranch_vccnz .LBB387_1547
; %bb.1540:
	s_wait_xcnt 0x0
	v_cndmask_b32_e64 v3, 0, 1.0, s2
	v_mov_b32_e32 v5, 0x80
	s_mov_b32 s10, exec_lo
	s_delay_alu instid0(VALU_DEP_2)
	v_cmpx_gt_u32_e32 0x43800000, v3
	s_cbranch_execz .LBB387_1546
; %bb.1541:
	s_mov_b32 s11, 0
	s_mov_b32 s15, exec_lo
                                        ; implicit-def: $vgpr1
	v_cmpx_lt_u32_e32 0x3bffffff, v3
	s_xor_b32 s15, exec_lo, s15
	s_cbranch_execz .LBB387_1994
; %bb.1542:
	v_bfe_u32 v1, v3, 20, 1
	s_mov_b32 s11, exec_lo
	s_delay_alu instid0(VALU_DEP_1) | instskip(NEXT) | instid1(VALU_DEP_1)
	v_add3_u32 v1, v3, v1, 0x487ffff
                                        ; implicit-def: $vgpr3
	v_lshrrev_b32_e32 v1, 20, v1
	s_and_not1_saveexec_b32 s15, s15
	s_cbranch_execnz .LBB387_1995
.LBB387_1543:
	s_or_b32 exec_lo, exec_lo, s15
	v_mov_b32_e32 v5, 0
	s_and_saveexec_b32 s15, s11
.LBB387_1544:
	v_mov_b32_e32 v5, v1
.LBB387_1545:
	s_or_b32 exec_lo, exec_lo, s15
.LBB387_1546:
	s_delay_alu instid0(SALU_CYCLE_1)
	s_or_b32 exec_lo, exec_lo, s10
	global_store_b8 v[6:7], v5, off
.LBB387_1547:
	s_mov_b32 s10, -1
.LBB387_1548:
	s_mov_b32 s11, 0
.LBB387_1549:
	s_delay_alu instid0(SALU_CYCLE_1)
	s_and_b32 vcc_lo, exec_lo, s11
	s_cbranch_vccz .LBB387_1589
; %bb.1550:
	s_cmp_gt_i32 s7, 22
	s_mov_b32 s9, -1
	s_cbranch_scc0 .LBB387_1582
; %bb.1551:
	s_cmp_lt_i32 s7, 24
	s_cbranch_scc1 .LBB387_1571
; %bb.1552:
	s_cmp_gt_i32 s7, 24
	s_cbranch_scc0 .LBB387_1560
; %bb.1553:
	s_wait_xcnt 0x0
	v_cndmask_b32_e64 v3, 0, 1.0, s2
	v_mov_b32_e32 v5, 0x80
	s_mov_b32 s9, exec_lo
	s_delay_alu instid0(VALU_DEP_2)
	v_cmpx_gt_u32_e32 0x47800000, v3
	s_cbranch_execz .LBB387_1559
; %bb.1554:
	s_mov_b32 s10, 0
	s_mov_b32 s11, exec_lo
                                        ; implicit-def: $vgpr1
	v_cmpx_lt_u32_e32 0x37ffffff, v3
	s_xor_b32 s11, exec_lo, s11
	s_cbranch_execz .LBB387_1997
; %bb.1555:
	v_bfe_u32 v1, v3, 21, 1
	s_mov_b32 s10, exec_lo
	s_delay_alu instid0(VALU_DEP_1) | instskip(NEXT) | instid1(VALU_DEP_1)
	v_add3_u32 v1, v3, v1, 0x88fffff
                                        ; implicit-def: $vgpr3
	v_lshrrev_b32_e32 v1, 21, v1
	s_and_not1_saveexec_b32 s11, s11
	s_cbranch_execnz .LBB387_1998
.LBB387_1556:
	s_or_b32 exec_lo, exec_lo, s11
	v_mov_b32_e32 v5, 0
	s_and_saveexec_b32 s11, s10
.LBB387_1557:
	v_mov_b32_e32 v5, v1
.LBB387_1558:
	s_or_b32 exec_lo, exec_lo, s11
.LBB387_1559:
	s_delay_alu instid0(SALU_CYCLE_1)
	s_or_b32 exec_lo, exec_lo, s9
	s_mov_b32 s9, 0
	global_store_b8 v[6:7], v5, off
.LBB387_1560:
	s_and_b32 vcc_lo, exec_lo, s9
	s_cbranch_vccz .LBB387_1570
; %bb.1561:
	s_wait_xcnt 0x0
	v_cndmask_b32_e64 v3, 0, 1.0, s2
	s_mov_b32 s9, exec_lo
                                        ; implicit-def: $vgpr1
	s_delay_alu instid0(VALU_DEP_1)
	v_cmpx_gt_u32_e32 0x43f00000, v3
	s_xor_b32 s9, exec_lo, s9
	s_cbranch_execz .LBB387_1567
; %bb.1562:
	s_mov_b32 s10, exec_lo
                                        ; implicit-def: $vgpr1
	v_cmpx_lt_u32_e32 0x3c7fffff, v3
	s_xor_b32 s10, exec_lo, s10
; %bb.1563:
	v_bfe_u32 v1, v3, 20, 1
	s_delay_alu instid0(VALU_DEP_1) | instskip(NEXT) | instid1(VALU_DEP_1)
	v_add3_u32 v1, v3, v1, 0x407ffff
	v_and_b32_e32 v3, 0xff00000, v1
	v_lshrrev_b32_e32 v1, 20, v1
	s_delay_alu instid0(VALU_DEP_2) | instskip(NEXT) | instid1(VALU_DEP_2)
	v_cmp_ne_u32_e32 vcc_lo, 0x7f00000, v3
                                        ; implicit-def: $vgpr3
	v_cndmask_b32_e32 v1, 0x7e, v1, vcc_lo
; %bb.1564:
	s_and_not1_saveexec_b32 s10, s10
; %bb.1565:
	v_add_f32_e32 v1, 0x46800000, v3
; %bb.1566:
	s_or_b32 exec_lo, exec_lo, s10
                                        ; implicit-def: $vgpr3
.LBB387_1567:
	s_and_not1_saveexec_b32 s9, s9
; %bb.1568:
	v_mov_b32_e32 v1, 0x7f
	v_cmp_lt_u32_e32 vcc_lo, 0x7f800000, v3
	s_delay_alu instid0(VALU_DEP_2)
	v_cndmask_b32_e32 v1, 0x7e, v1, vcc_lo
; %bb.1569:
	s_or_b32 exec_lo, exec_lo, s9
	global_store_b8 v[6:7], v1, off
.LBB387_1570:
	s_mov_b32 s9, 0
.LBB387_1571:
	s_delay_alu instid0(SALU_CYCLE_1)
	s_and_not1_b32 vcc_lo, exec_lo, s9
	s_cbranch_vccnz .LBB387_1581
; %bb.1572:
	s_wait_xcnt 0x0
	v_cndmask_b32_e64 v3, 0, 1.0, s2
	s_mov_b32 s9, exec_lo
                                        ; implicit-def: $vgpr1
	s_delay_alu instid0(VALU_DEP_1)
	v_cmpx_gt_u32_e32 0x47800000, v3
	s_xor_b32 s9, exec_lo, s9
	s_cbranch_execz .LBB387_1578
; %bb.1573:
	s_mov_b32 s10, exec_lo
                                        ; implicit-def: $vgpr1
	v_cmpx_lt_u32_e32 0x387fffff, v3
	s_xor_b32 s10, exec_lo, s10
; %bb.1574:
	v_bfe_u32 v1, v3, 21, 1
	s_delay_alu instid0(VALU_DEP_1) | instskip(NEXT) | instid1(VALU_DEP_1)
	v_add3_u32 v1, v3, v1, 0x80fffff
                                        ; implicit-def: $vgpr3
	v_lshrrev_b32_e32 v1, 21, v1
; %bb.1575:
	s_and_not1_saveexec_b32 s10, s10
; %bb.1576:
	v_add_f32_e32 v1, 0x43000000, v3
; %bb.1577:
	s_or_b32 exec_lo, exec_lo, s10
                                        ; implicit-def: $vgpr3
.LBB387_1578:
	s_and_not1_saveexec_b32 s9, s9
; %bb.1579:
	v_mov_b32_e32 v1, 0x7f
	v_cmp_lt_u32_e32 vcc_lo, 0x7f800000, v3
	s_delay_alu instid0(VALU_DEP_2)
	v_cndmask_b32_e32 v1, 0x7c, v1, vcc_lo
; %bb.1580:
	s_or_b32 exec_lo, exec_lo, s9
	global_store_b8 v[6:7], v1, off
.LBB387_1581:
	s_mov_b32 s9, 0
	s_mov_b32 s10, -1
.LBB387_1582:
	s_and_not1_b32 vcc_lo, exec_lo, s9
	s_mov_b32 s9, 0
	s_cbranch_vccnz .LBB387_1589
; %bb.1583:
	s_cmp_gt_i32 s7, 14
	s_mov_b32 s9, -1
	s_cbranch_scc0 .LBB387_1587
; %bb.1584:
	s_cmp_eq_u32 s7, 15
	s_mov_b32 s0, -1
	s_cbranch_scc0 .LBB387_1586
; %bb.1585:
	s_wait_xcnt 0x0
	v_cndmask_b32_e64 v1, 0, 1.0, s2
	s_mov_b32 s0, 0
	s_mov_b32 s10, -1
	s_delay_alu instid0(VALU_DEP_1) | instskip(NEXT) | instid1(VALU_DEP_1)
	v_bfe_u32 v3, v1, 16, 1
	v_add3_u32 v1, v1, v3, 0x7fff
	global_store_d16_hi_b16 v[6:7], v1, off
.LBB387_1586:
	s_mov_b32 s9, 0
.LBB387_1587:
	s_delay_alu instid0(SALU_CYCLE_1)
	s_and_b32 vcc_lo, exec_lo, s9
	s_mov_b32 s9, 0
	s_cbranch_vccz .LBB387_1589
; %bb.1588:
	s_cmp_lg_u32 s7, 11
	s_mov_b32 s9, -1
	s_cselect_b32 s0, -1, 0
.LBB387_1589:
	s_delay_alu instid0(SALU_CYCLE_1)
	s_and_b32 vcc_lo, exec_lo, s0
	s_cbranch_vccnz .LBB387_1996
; %bb.1590:
	s_and_not1_b32 vcc_lo, exec_lo, s9
	s_cbranch_vccnz .LBB387_1592
.LBB387_1591:
	s_wait_xcnt 0x0
	v_cndmask_b32_e64 v1, 0, 1, s2
	s_mov_b32 s10, -1
	global_store_b8 v[6:7], v1, off
.LBB387_1592:
.LBB387_1593:
	s_and_not1_b32 vcc_lo, exec_lo, s10
	s_cbranch_vccnz .LBB387_1947
	s_branch .LBB387_1633
.LBB387_1594:
	s_and_b32 vcc_lo, exec_lo, s0
	s_cbranch_vccz .LBB387_1593
; %bb.1595:
	s_and_b32 s0, 0xffff, s14
	s_mov_b32 s7, -1
	s_cmp_lt_i32 s0, 5
	s_cbranch_scc1 .LBB387_1616
; %bb.1596:
	s_cmp_lt_i32 s0, 8
	s_cbranch_scc1 .LBB387_1606
; %bb.1597:
	;; [unrolled: 3-line block ×3, first 2 shown]
	s_cmp_gt_i32 s0, 9
	s_cbranch_scc0 .LBB387_1600
; %bb.1599:
	s_wait_xcnt 0x0
	v_cndmask_b32_e64 v1, 0, 1, s2
	v_mov_b32_e32 v12, 0
	s_mov_b32 s7, 0
	s_delay_alu instid0(VALU_DEP_2) | instskip(NEXT) | instid1(VALU_DEP_2)
	v_cvt_f64_u32_e32 v[10:11], v1
	v_mov_b32_e32 v13, v12
	global_store_b128 v[6:7], v[10:13], off
.LBB387_1600:
	s_and_not1_b32 vcc_lo, exec_lo, s7
	s_cbranch_vccnz .LBB387_1602
; %bb.1601:
	s_wait_xcnt 0x0
	v_cndmask_b32_e64 v10, 0, 1.0, s2
	v_mov_b32_e32 v11, 0
	global_store_b64 v[6:7], v[10:11], off
.LBB387_1602:
	s_mov_b32 s7, 0
.LBB387_1603:
	s_delay_alu instid0(SALU_CYCLE_1)
	s_and_not1_b32 vcc_lo, exec_lo, s7
	s_cbranch_vccnz .LBB387_1605
; %bb.1604:
	s_wait_xcnt 0x0
	v_cndmask_b32_e64 v1, 0, 1.0, s2
	s_delay_alu instid0(VALU_DEP_1) | instskip(NEXT) | instid1(VALU_DEP_1)
	v_cvt_f16_f32_e32 v1, v1
	v_and_b32_e32 v1, 0xffff, v1
	global_store_b32 v[6:7], v1, off
.LBB387_1605:
	s_mov_b32 s7, 0
.LBB387_1606:
	s_delay_alu instid0(SALU_CYCLE_1)
	s_and_not1_b32 vcc_lo, exec_lo, s7
	s_cbranch_vccnz .LBB387_1615
; %bb.1607:
	s_cmp_lt_i32 s0, 6
	s_mov_b32 s7, -1
	s_cbranch_scc1 .LBB387_1613
; %bb.1608:
	s_cmp_gt_i32 s0, 6
	s_cbranch_scc0 .LBB387_1610
; %bb.1609:
	s_wait_xcnt 0x0
	v_cndmask_b32_e64 v1, 0, 1, s2
	s_mov_b32 s7, 0
	s_delay_alu instid0(VALU_DEP_1)
	v_cvt_f64_u32_e32 v[10:11], v1
	global_store_b64 v[6:7], v[10:11], off
.LBB387_1610:
	s_and_not1_b32 vcc_lo, exec_lo, s7
	s_cbranch_vccnz .LBB387_1612
; %bb.1611:
	s_wait_xcnt 0x0
	v_cndmask_b32_e64 v1, 0, 1.0, s2
	global_store_b32 v[6:7], v1, off
.LBB387_1612:
	s_mov_b32 s7, 0
.LBB387_1613:
	s_delay_alu instid0(SALU_CYCLE_1)
	s_and_not1_b32 vcc_lo, exec_lo, s7
	s_cbranch_vccnz .LBB387_1615
; %bb.1614:
	s_wait_xcnt 0x0
	v_cndmask_b32_e64 v1, 0, 1.0, s2
	s_delay_alu instid0(VALU_DEP_1)
	v_cvt_f16_f32_e32 v1, v1
	global_store_b16 v[6:7], v1, off
.LBB387_1615:
	s_mov_b32 s7, 0
.LBB387_1616:
	s_delay_alu instid0(SALU_CYCLE_1)
	s_and_not1_b32 vcc_lo, exec_lo, s7
	s_cbranch_vccnz .LBB387_1632
; %bb.1617:
	s_cmp_lt_i32 s0, 2
	s_mov_b32 s7, -1
	s_cbranch_scc1 .LBB387_1627
; %bb.1618:
	s_cmp_lt_i32 s0, 3
	s_cbranch_scc1 .LBB387_1624
; %bb.1619:
	s_cmp_gt_i32 s0, 3
	s_cbranch_scc0 .LBB387_1621
; %bb.1620:
	s_mov_b32 s7, 0
	s_wait_xcnt 0x0
	v_cndmask_b32_e64 v10, 0, 1, s2
	v_mov_b32_e32 v11, s7
	global_store_b64 v[6:7], v[10:11], off
.LBB387_1621:
	s_and_not1_b32 vcc_lo, exec_lo, s7
	s_cbranch_vccnz .LBB387_1623
; %bb.1622:
	s_wait_xcnt 0x0
	v_cndmask_b32_e64 v1, 0, 1, s2
	global_store_b32 v[6:7], v1, off
.LBB387_1623:
	s_mov_b32 s7, 0
.LBB387_1624:
	s_delay_alu instid0(SALU_CYCLE_1)
	s_and_not1_b32 vcc_lo, exec_lo, s7
	s_cbranch_vccnz .LBB387_1626
; %bb.1625:
	s_wait_xcnt 0x0
	v_cndmask_b32_e64 v1, 0, 1, s2
	global_store_b16 v[6:7], v1, off
.LBB387_1626:
	s_mov_b32 s7, 0
.LBB387_1627:
	s_delay_alu instid0(SALU_CYCLE_1)
	s_and_not1_b32 vcc_lo, exec_lo, s7
	s_cbranch_vccnz .LBB387_1632
; %bb.1628:
	s_wait_xcnt 0x0
	v_cndmask_b32_e64 v1, 0, 1, s2
	s_cmp_gt_i32 s0, 0
	s_mov_b32 s0, -1
	s_cbranch_scc0 .LBB387_1630
; %bb.1629:
	s_mov_b32 s0, 0
	global_store_b8 v[6:7], v1, off
.LBB387_1630:
	s_and_not1_b32 vcc_lo, exec_lo, s0
	s_cbranch_vccnz .LBB387_1632
; %bb.1631:
	global_store_b8 v[6:7], v1, off
.LBB387_1632:
.LBB387_1633:
	s_lshl_b32 s2, s8, 7
	s_wait_xcnt 0x0
	v_and_b32_e32 v1, 0xff, v4
	v_add_nc_u32_e32 v6, s2, v8
	s_delay_alu instid0(VALU_DEP_2) | instskip(NEXT) | instid1(VALU_DEP_2)
	v_cmp_ne_u16_e32 vcc_lo, s6, v1
	v_ashrrev_i32_e32 v7, 31, v6
	s_xor_b32 s7, s3, vcc_lo
	s_delay_alu instid0(VALU_DEP_1)
	v_add_nc_u64_e32 v[4:5], s[4:5], v[6:7]
	s_cmp_lt_i32 s14, 11
	s_cbranch_scc1 .LBB387_1711
; %bb.1634:
	s_and_b32 s8, 0xffff, s14
	s_mov_b32 s11, -1
	s_mov_b32 s9, 0
	s_cmp_gt_i32 s8, 25
	s_mov_b32 s10, 0
	s_mov_b32 s0, 0
	s_cbranch_scc0 .LBB387_1667
; %bb.1635:
	s_cmp_gt_i32 s8, 28
	s_cbranch_scc0 .LBB387_1650
; %bb.1636:
	s_cmp_gt_i32 s8, 43
	;; [unrolled: 3-line block ×3, first 2 shown]
	s_cbranch_scc0 .LBB387_1640
; %bb.1638:
	s_mov_b32 s0, -1
	s_mov_b32 s11, 0
	s_cmp_eq_u32 s8, 46
	s_cbranch_scc0 .LBB387_1640
; %bb.1639:
	v_cndmask_b32_e64 v1, 0, 1.0, s7
	s_mov_b32 s0, 0
	s_mov_b32 s10, -1
	s_delay_alu instid0(VALU_DEP_1) | instskip(NEXT) | instid1(VALU_DEP_1)
	v_bfe_u32 v3, v1, 16, 1
	v_add3_u32 v1, v1, v3, 0x7fff
	s_delay_alu instid0(VALU_DEP_1)
	v_lshrrev_b32_e32 v1, 16, v1
	global_store_b32 v[4:5], v1, off
.LBB387_1640:
	s_and_b32 vcc_lo, exec_lo, s11
	s_cbranch_vccz .LBB387_1645
; %bb.1641:
	s_cmp_eq_u32 s8, 44
	s_mov_b32 s0, -1
	s_cbranch_scc0 .LBB387_1645
; %bb.1642:
	v_cndmask_b32_e64 v7, 0, 1.0, s7
	v_mov_b32_e32 v3, 0xff
	s_mov_b32 s10, exec_lo
	s_wait_xcnt 0x0
	s_delay_alu instid0(VALU_DEP_2) | instskip(NEXT) | instid1(VALU_DEP_1)
	v_lshrrev_b32_e32 v1, 23, v7
	v_cmpx_ne_u32_e32 0xff, v1
; %bb.1643:
	v_and_b32_e32 v3, 0x400000, v7
	v_and_or_b32 v7, 0x3fffff, v7, v1
	s_delay_alu instid0(VALU_DEP_2) | instskip(NEXT) | instid1(VALU_DEP_2)
	v_cmp_ne_u32_e32 vcc_lo, 0, v3
	v_cmp_ne_u32_e64 s0, 0, v7
	s_and_b32 s0, vcc_lo, s0
	s_delay_alu instid0(SALU_CYCLE_1) | instskip(NEXT) | instid1(VALU_DEP_1)
	v_cndmask_b32_e64 v3, 0, 1, s0
	v_add_nc_u32_e32 v3, v1, v3
; %bb.1644:
	s_or_b32 exec_lo, exec_lo, s10
	s_mov_b32 s0, 0
	s_mov_b32 s10, -1
	global_store_b8 v[4:5], v3, off
.LBB387_1645:
	s_mov_b32 s11, 0
.LBB387_1646:
	s_delay_alu instid0(SALU_CYCLE_1)
	s_and_b32 vcc_lo, exec_lo, s11
	s_cbranch_vccz .LBB387_1649
; %bb.1647:
	s_cmp_eq_u32 s8, 29
	s_mov_b32 s0, -1
	s_cbranch_scc0 .LBB387_1649
; %bb.1648:
	s_mov_b32 s0, 0
	v_cndmask_b32_e64 v8, 0, 1, s7
	v_mov_b32_e32 v9, s0
	s_mov_b32 s10, -1
	global_store_b64 v[4:5], v[8:9], off
.LBB387_1649:
	s_mov_b32 s11, 0
.LBB387_1650:
	s_delay_alu instid0(SALU_CYCLE_1)
	s_and_b32 vcc_lo, exec_lo, s11
	s_cbranch_vccz .LBB387_1666
; %bb.1651:
	s_cmp_lt_i32 s8, 27
	s_mov_b32 s10, -1
	s_cbranch_scc1 .LBB387_1657
; %bb.1652:
	s_cmp_gt_i32 s8, 27
	s_cbranch_scc0 .LBB387_1654
; %bb.1653:
	s_wait_xcnt 0x0
	v_cndmask_b32_e64 v1, 0, 1, s7
	s_mov_b32 s10, 0
	global_store_b32 v[4:5], v1, off
.LBB387_1654:
	s_and_not1_b32 vcc_lo, exec_lo, s10
	s_cbranch_vccnz .LBB387_1656
; %bb.1655:
	s_wait_xcnt 0x0
	v_cndmask_b32_e64 v1, 0, 1, s7
	global_store_b16 v[4:5], v1, off
.LBB387_1656:
	s_mov_b32 s10, 0
.LBB387_1657:
	s_delay_alu instid0(SALU_CYCLE_1)
	s_and_not1_b32 vcc_lo, exec_lo, s10
	s_cbranch_vccnz .LBB387_1665
; %bb.1658:
	s_wait_xcnt 0x0
	v_cndmask_b32_e64 v3, 0, 1.0, s7
	v_mov_b32_e32 v7, 0x80
	s_mov_b32 s10, exec_lo
	s_delay_alu instid0(VALU_DEP_2)
	v_cmpx_gt_u32_e32 0x43800000, v3
	s_cbranch_execz .LBB387_1664
; %bb.1659:
	s_mov_b32 s11, 0
	s_mov_b32 s15, exec_lo
                                        ; implicit-def: $vgpr1
	v_cmpx_lt_u32_e32 0x3bffffff, v3
	s_xor_b32 s15, exec_lo, s15
	s_cbranch_execz .LBB387_1999
; %bb.1660:
	v_bfe_u32 v1, v3, 20, 1
	s_mov_b32 s11, exec_lo
	s_delay_alu instid0(VALU_DEP_1) | instskip(NEXT) | instid1(VALU_DEP_1)
	v_add3_u32 v1, v3, v1, 0x487ffff
                                        ; implicit-def: $vgpr3
	v_lshrrev_b32_e32 v1, 20, v1
	s_and_not1_saveexec_b32 s15, s15
	s_cbranch_execnz .LBB387_2000
.LBB387_1661:
	s_or_b32 exec_lo, exec_lo, s15
	v_mov_b32_e32 v7, 0
	s_and_saveexec_b32 s15, s11
.LBB387_1662:
	v_mov_b32_e32 v7, v1
.LBB387_1663:
	s_or_b32 exec_lo, exec_lo, s15
.LBB387_1664:
	s_delay_alu instid0(SALU_CYCLE_1)
	s_or_b32 exec_lo, exec_lo, s10
	global_store_b8 v[4:5], v7, off
.LBB387_1665:
	s_mov_b32 s10, -1
.LBB387_1666:
	s_mov_b32 s11, 0
.LBB387_1667:
	s_delay_alu instid0(SALU_CYCLE_1)
	s_and_b32 vcc_lo, exec_lo, s11
	s_cbranch_vccz .LBB387_1707
; %bb.1668:
	s_cmp_gt_i32 s8, 22
	s_mov_b32 s9, -1
	s_cbranch_scc0 .LBB387_1700
; %bb.1669:
	s_cmp_lt_i32 s8, 24
	s_cbranch_scc1 .LBB387_1689
; %bb.1670:
	s_cmp_gt_i32 s8, 24
	s_cbranch_scc0 .LBB387_1678
; %bb.1671:
	s_wait_xcnt 0x0
	v_cndmask_b32_e64 v3, 0, 1.0, s7
	v_mov_b32_e32 v7, 0x80
	s_mov_b32 s9, exec_lo
	s_delay_alu instid0(VALU_DEP_2)
	v_cmpx_gt_u32_e32 0x47800000, v3
	s_cbranch_execz .LBB387_1677
; %bb.1672:
	s_mov_b32 s10, 0
	s_mov_b32 s11, exec_lo
                                        ; implicit-def: $vgpr1
	v_cmpx_lt_u32_e32 0x37ffffff, v3
	s_xor_b32 s11, exec_lo, s11
	s_cbranch_execz .LBB387_2002
; %bb.1673:
	v_bfe_u32 v1, v3, 21, 1
	s_mov_b32 s10, exec_lo
	s_delay_alu instid0(VALU_DEP_1) | instskip(NEXT) | instid1(VALU_DEP_1)
	v_add3_u32 v1, v3, v1, 0x88fffff
                                        ; implicit-def: $vgpr3
	v_lshrrev_b32_e32 v1, 21, v1
	s_and_not1_saveexec_b32 s11, s11
	s_cbranch_execnz .LBB387_2003
.LBB387_1674:
	s_or_b32 exec_lo, exec_lo, s11
	v_mov_b32_e32 v7, 0
	s_and_saveexec_b32 s11, s10
.LBB387_1675:
	v_mov_b32_e32 v7, v1
.LBB387_1676:
	s_or_b32 exec_lo, exec_lo, s11
.LBB387_1677:
	s_delay_alu instid0(SALU_CYCLE_1)
	s_or_b32 exec_lo, exec_lo, s9
	s_mov_b32 s9, 0
	global_store_b8 v[4:5], v7, off
.LBB387_1678:
	s_and_b32 vcc_lo, exec_lo, s9
	s_cbranch_vccz .LBB387_1688
; %bb.1679:
	s_wait_xcnt 0x0
	v_cndmask_b32_e64 v3, 0, 1.0, s7
	s_mov_b32 s9, exec_lo
                                        ; implicit-def: $vgpr1
	s_delay_alu instid0(VALU_DEP_1)
	v_cmpx_gt_u32_e32 0x43f00000, v3
	s_xor_b32 s9, exec_lo, s9
	s_cbranch_execz .LBB387_1685
; %bb.1680:
	s_mov_b32 s10, exec_lo
                                        ; implicit-def: $vgpr1
	v_cmpx_lt_u32_e32 0x3c7fffff, v3
	s_xor_b32 s10, exec_lo, s10
; %bb.1681:
	v_bfe_u32 v1, v3, 20, 1
	s_delay_alu instid0(VALU_DEP_1) | instskip(NEXT) | instid1(VALU_DEP_1)
	v_add3_u32 v1, v3, v1, 0x407ffff
	v_and_b32_e32 v3, 0xff00000, v1
	v_lshrrev_b32_e32 v1, 20, v1
	s_delay_alu instid0(VALU_DEP_2) | instskip(NEXT) | instid1(VALU_DEP_2)
	v_cmp_ne_u32_e32 vcc_lo, 0x7f00000, v3
                                        ; implicit-def: $vgpr3
	v_cndmask_b32_e32 v1, 0x7e, v1, vcc_lo
; %bb.1682:
	s_and_not1_saveexec_b32 s10, s10
; %bb.1683:
	v_add_f32_e32 v1, 0x46800000, v3
; %bb.1684:
	s_or_b32 exec_lo, exec_lo, s10
                                        ; implicit-def: $vgpr3
.LBB387_1685:
	s_and_not1_saveexec_b32 s9, s9
; %bb.1686:
	v_mov_b32_e32 v1, 0x7f
	v_cmp_lt_u32_e32 vcc_lo, 0x7f800000, v3
	s_delay_alu instid0(VALU_DEP_2)
	v_cndmask_b32_e32 v1, 0x7e, v1, vcc_lo
; %bb.1687:
	s_or_b32 exec_lo, exec_lo, s9
	global_store_b8 v[4:5], v1, off
.LBB387_1688:
	s_mov_b32 s9, 0
.LBB387_1689:
	s_delay_alu instid0(SALU_CYCLE_1)
	s_and_not1_b32 vcc_lo, exec_lo, s9
	s_cbranch_vccnz .LBB387_1699
; %bb.1690:
	s_wait_xcnt 0x0
	v_cndmask_b32_e64 v3, 0, 1.0, s7
	s_mov_b32 s9, exec_lo
                                        ; implicit-def: $vgpr1
	s_delay_alu instid0(VALU_DEP_1)
	v_cmpx_gt_u32_e32 0x47800000, v3
	s_xor_b32 s9, exec_lo, s9
	s_cbranch_execz .LBB387_1696
; %bb.1691:
	s_mov_b32 s10, exec_lo
                                        ; implicit-def: $vgpr1
	v_cmpx_lt_u32_e32 0x387fffff, v3
	s_xor_b32 s10, exec_lo, s10
; %bb.1692:
	v_bfe_u32 v1, v3, 21, 1
	s_delay_alu instid0(VALU_DEP_1) | instskip(NEXT) | instid1(VALU_DEP_1)
	v_add3_u32 v1, v3, v1, 0x80fffff
                                        ; implicit-def: $vgpr3
	v_lshrrev_b32_e32 v1, 21, v1
; %bb.1693:
	s_and_not1_saveexec_b32 s10, s10
; %bb.1694:
	v_add_f32_e32 v1, 0x43000000, v3
; %bb.1695:
	s_or_b32 exec_lo, exec_lo, s10
                                        ; implicit-def: $vgpr3
.LBB387_1696:
	s_and_not1_saveexec_b32 s9, s9
; %bb.1697:
	v_mov_b32_e32 v1, 0x7f
	v_cmp_lt_u32_e32 vcc_lo, 0x7f800000, v3
	s_delay_alu instid0(VALU_DEP_2)
	v_cndmask_b32_e32 v1, 0x7c, v1, vcc_lo
; %bb.1698:
	s_or_b32 exec_lo, exec_lo, s9
	global_store_b8 v[4:5], v1, off
.LBB387_1699:
	s_mov_b32 s9, 0
	s_mov_b32 s10, -1
.LBB387_1700:
	s_and_not1_b32 vcc_lo, exec_lo, s9
	s_mov_b32 s9, 0
	s_cbranch_vccnz .LBB387_1707
; %bb.1701:
	s_cmp_gt_i32 s8, 14
	s_mov_b32 s9, -1
	s_cbranch_scc0 .LBB387_1705
; %bb.1702:
	s_cmp_eq_u32 s8, 15
	s_mov_b32 s0, -1
	s_cbranch_scc0 .LBB387_1704
; %bb.1703:
	s_wait_xcnt 0x0
	v_cndmask_b32_e64 v1, 0, 1.0, s7
	s_mov_b32 s0, 0
	s_mov_b32 s10, -1
	s_delay_alu instid0(VALU_DEP_1) | instskip(NEXT) | instid1(VALU_DEP_1)
	v_bfe_u32 v3, v1, 16, 1
	v_add3_u32 v1, v1, v3, 0x7fff
	global_store_d16_hi_b16 v[4:5], v1, off
.LBB387_1704:
	s_mov_b32 s9, 0
.LBB387_1705:
	s_delay_alu instid0(SALU_CYCLE_1)
	s_and_b32 vcc_lo, exec_lo, s9
	s_mov_b32 s9, 0
	s_cbranch_vccz .LBB387_1707
; %bb.1706:
	s_cmp_lg_u32 s8, 11
	s_mov_b32 s9, -1
	s_cselect_b32 s0, -1, 0
.LBB387_1707:
	s_delay_alu instid0(SALU_CYCLE_1)
	s_and_b32 vcc_lo, exec_lo, s0
	s_cbranch_vccnz .LBB387_2001
; %bb.1708:
	s_and_not1_b32 vcc_lo, exec_lo, s9
	s_cbranch_vccnz .LBB387_1710
.LBB387_1709:
	s_wait_xcnt 0x0
	v_cndmask_b32_e64 v1, 0, 1, s7
	s_mov_b32 s10, -1
	global_store_b8 v[4:5], v1, off
.LBB387_1710:
	s_mov_b32 s0, 0
	s_branch .LBB387_1712
.LBB387_1711:
	s_mov_b32 s0, -1
	s_mov_b32 s10, 0
.LBB387_1712:
	s_and_b32 vcc_lo, exec_lo, s0
	s_cbranch_vccz .LBB387_1751
; %bb.1713:
	s_and_b32 s0, 0xffff, s14
	s_mov_b32 s8, -1
	s_cmp_lt_i32 s0, 5
	s_cbranch_scc1 .LBB387_1734
; %bb.1714:
	s_cmp_lt_i32 s0, 8
	s_cbranch_scc1 .LBB387_1724
; %bb.1715:
	s_cmp_lt_i32 s0, 9
	s_cbranch_scc1 .LBB387_1721
; %bb.1716:
	s_cmp_gt_i32 s0, 9
	s_cbranch_scc0 .LBB387_1718
; %bb.1717:
	s_wait_xcnt 0x0
	v_cndmask_b32_e64 v1, 0, 1, s7
	v_mov_b32_e32 v10, 0
	s_mov_b32 s8, 0
	s_delay_alu instid0(VALU_DEP_2) | instskip(NEXT) | instid1(VALU_DEP_2)
	v_cvt_f64_u32_e32 v[8:9], v1
	v_mov_b32_e32 v11, v10
	global_store_b128 v[4:5], v[8:11], off
.LBB387_1718:
	s_and_not1_b32 vcc_lo, exec_lo, s8
	s_cbranch_vccnz .LBB387_1720
; %bb.1719:
	s_wait_xcnt 0x0
	v_cndmask_b32_e64 v8, 0, 1.0, s7
	v_mov_b32_e32 v9, 0
	global_store_b64 v[4:5], v[8:9], off
.LBB387_1720:
	s_mov_b32 s8, 0
.LBB387_1721:
	s_delay_alu instid0(SALU_CYCLE_1)
	s_and_not1_b32 vcc_lo, exec_lo, s8
	s_cbranch_vccnz .LBB387_1723
; %bb.1722:
	s_wait_xcnt 0x0
	v_cndmask_b32_e64 v1, 0, 1.0, s7
	s_delay_alu instid0(VALU_DEP_1) | instskip(NEXT) | instid1(VALU_DEP_1)
	v_cvt_f16_f32_e32 v1, v1
	v_and_b32_e32 v1, 0xffff, v1
	global_store_b32 v[4:5], v1, off
.LBB387_1723:
	s_mov_b32 s8, 0
.LBB387_1724:
	s_delay_alu instid0(SALU_CYCLE_1)
	s_and_not1_b32 vcc_lo, exec_lo, s8
	s_cbranch_vccnz .LBB387_1733
; %bb.1725:
	s_cmp_lt_i32 s0, 6
	s_mov_b32 s8, -1
	s_cbranch_scc1 .LBB387_1731
; %bb.1726:
	s_cmp_gt_i32 s0, 6
	s_cbranch_scc0 .LBB387_1728
; %bb.1727:
	s_wait_xcnt 0x0
	v_cndmask_b32_e64 v1, 0, 1, s7
	s_mov_b32 s8, 0
	s_delay_alu instid0(VALU_DEP_1)
	v_cvt_f64_u32_e32 v[8:9], v1
	global_store_b64 v[4:5], v[8:9], off
.LBB387_1728:
	s_and_not1_b32 vcc_lo, exec_lo, s8
	s_cbranch_vccnz .LBB387_1730
; %bb.1729:
	s_wait_xcnt 0x0
	v_cndmask_b32_e64 v1, 0, 1.0, s7
	global_store_b32 v[4:5], v1, off
.LBB387_1730:
	s_mov_b32 s8, 0
.LBB387_1731:
	s_delay_alu instid0(SALU_CYCLE_1)
	s_and_not1_b32 vcc_lo, exec_lo, s8
	s_cbranch_vccnz .LBB387_1733
; %bb.1732:
	s_wait_xcnt 0x0
	v_cndmask_b32_e64 v1, 0, 1.0, s7
	s_delay_alu instid0(VALU_DEP_1)
	v_cvt_f16_f32_e32 v1, v1
	global_store_b16 v[4:5], v1, off
.LBB387_1733:
	s_mov_b32 s8, 0
.LBB387_1734:
	s_delay_alu instid0(SALU_CYCLE_1)
	s_and_not1_b32 vcc_lo, exec_lo, s8
	s_cbranch_vccnz .LBB387_1750
; %bb.1735:
	s_cmp_lt_i32 s0, 2
	s_mov_b32 s8, -1
	s_cbranch_scc1 .LBB387_1745
; %bb.1736:
	s_cmp_lt_i32 s0, 3
	s_cbranch_scc1 .LBB387_1742
; %bb.1737:
	s_cmp_gt_i32 s0, 3
	s_cbranch_scc0 .LBB387_1739
; %bb.1738:
	s_mov_b32 s8, 0
	s_wait_xcnt 0x0
	v_cndmask_b32_e64 v8, 0, 1, s7
	v_mov_b32_e32 v9, s8
	global_store_b64 v[4:5], v[8:9], off
.LBB387_1739:
	s_and_not1_b32 vcc_lo, exec_lo, s8
	s_cbranch_vccnz .LBB387_1741
; %bb.1740:
	s_wait_xcnt 0x0
	v_cndmask_b32_e64 v1, 0, 1, s7
	global_store_b32 v[4:5], v1, off
.LBB387_1741:
	s_mov_b32 s8, 0
.LBB387_1742:
	s_delay_alu instid0(SALU_CYCLE_1)
	s_and_not1_b32 vcc_lo, exec_lo, s8
	s_cbranch_vccnz .LBB387_1744
; %bb.1743:
	s_wait_xcnt 0x0
	v_cndmask_b32_e64 v1, 0, 1, s7
	global_store_b16 v[4:5], v1, off
.LBB387_1744:
	s_mov_b32 s8, 0
.LBB387_1745:
	s_delay_alu instid0(SALU_CYCLE_1)
	s_and_not1_b32 vcc_lo, exec_lo, s8
	s_cbranch_vccnz .LBB387_1750
; %bb.1746:
	s_wait_xcnt 0x0
	v_cndmask_b32_e64 v1, 0, 1, s7
	s_cmp_gt_i32 s0, 0
	s_mov_b32 s0, -1
	s_cbranch_scc0 .LBB387_1748
; %bb.1747:
	s_mov_b32 s0, 0
	global_store_b8 v[4:5], v1, off
.LBB387_1748:
	s_and_not1_b32 vcc_lo, exec_lo, s0
	s_cbranch_vccnz .LBB387_1750
; %bb.1749:
	global_store_b8 v[4:5], v1, off
.LBB387_1750:
	s_mov_b32 s10, -1
.LBB387_1751:
	s_delay_alu instid0(SALU_CYCLE_1)
	s_and_not1_b32 vcc_lo, exec_lo, s10
	s_cbranch_vccnz .LBB387_1947
; %bb.1752:
	s_wait_xcnt 0x0
	v_add_nc_u32_e32 v4, s2, v6
	v_and_b32_e32 v1, 0xff, v2
	s_delay_alu instid0(VALU_DEP_2) | instskip(NEXT) | instid1(VALU_DEP_2)
	v_ashrrev_i32_e32 v5, 31, v4
	v_cmp_ne_u16_e32 vcc_lo, s6, v1
	s_delay_alu instid0(VALU_DEP_2)
	v_add_nc_u64_e32 v[2:3], s[4:5], v[4:5]
	s_xor_b32 s7, s3, vcc_lo
	s_cmp_lt_i32 s14, 11
	s_cbranch_scc1 .LBB387_1830
; %bb.1753:
	s_and_b32 s8, 0xffff, s14
	s_mov_b32 s11, -1
	s_mov_b32 s9, 0
	s_cmp_gt_i32 s8, 25
	s_mov_b32 s10, 0
	s_mov_b32 s0, 0
	s_cbranch_scc0 .LBB387_1786
; %bb.1754:
	s_cmp_gt_i32 s8, 28
	s_cbranch_scc0 .LBB387_1769
; %bb.1755:
	s_cmp_gt_i32 s8, 43
	;; [unrolled: 3-line block ×3, first 2 shown]
	s_cbranch_scc0 .LBB387_1759
; %bb.1757:
	s_mov_b32 s0, -1
	s_mov_b32 s11, 0
	s_cmp_eq_u32 s8, 46
	s_cbranch_scc0 .LBB387_1759
; %bb.1758:
	v_cndmask_b32_e64 v1, 0, 1.0, s7
	s_mov_b32 s0, 0
	s_mov_b32 s10, -1
	s_delay_alu instid0(VALU_DEP_1) | instskip(NEXT) | instid1(VALU_DEP_1)
	v_bfe_u32 v5, v1, 16, 1
	v_add3_u32 v1, v1, v5, 0x7fff
	s_delay_alu instid0(VALU_DEP_1)
	v_lshrrev_b32_e32 v1, 16, v1
	global_store_b32 v[2:3], v1, off
.LBB387_1759:
	s_and_b32 vcc_lo, exec_lo, s11
	s_cbranch_vccz .LBB387_1764
; %bb.1760:
	s_cmp_eq_u32 s8, 44
	s_mov_b32 s0, -1
	s_cbranch_scc0 .LBB387_1764
; %bb.1761:
	v_cndmask_b32_e64 v6, 0, 1.0, s7
	v_mov_b32_e32 v5, 0xff
	s_mov_b32 s10, exec_lo
	s_wait_xcnt 0x0
	s_delay_alu instid0(VALU_DEP_2) | instskip(NEXT) | instid1(VALU_DEP_1)
	v_lshrrev_b32_e32 v1, 23, v6
	v_cmpx_ne_u32_e32 0xff, v1
; %bb.1762:
	v_and_b32_e32 v5, 0x400000, v6
	v_and_or_b32 v6, 0x3fffff, v6, v1
	s_delay_alu instid0(VALU_DEP_2) | instskip(NEXT) | instid1(VALU_DEP_2)
	v_cmp_ne_u32_e32 vcc_lo, 0, v5
	v_cmp_ne_u32_e64 s0, 0, v6
	s_and_b32 s0, vcc_lo, s0
	s_delay_alu instid0(SALU_CYCLE_1) | instskip(NEXT) | instid1(VALU_DEP_1)
	v_cndmask_b32_e64 v5, 0, 1, s0
	v_add_nc_u32_e32 v5, v1, v5
; %bb.1763:
	s_or_b32 exec_lo, exec_lo, s10
	s_mov_b32 s0, 0
	s_mov_b32 s10, -1
	global_store_b8 v[2:3], v5, off
.LBB387_1764:
	s_mov_b32 s11, 0
.LBB387_1765:
	s_delay_alu instid0(SALU_CYCLE_1)
	s_and_b32 vcc_lo, exec_lo, s11
	s_cbranch_vccz .LBB387_1768
; %bb.1766:
	s_cmp_eq_u32 s8, 29
	s_mov_b32 s0, -1
	s_cbranch_scc0 .LBB387_1768
; %bb.1767:
	s_mov_b32 s0, 0
	v_cndmask_b32_e64 v6, 0, 1, s7
	v_mov_b32_e32 v7, s0
	s_mov_b32 s10, -1
	global_store_b64 v[2:3], v[6:7], off
.LBB387_1768:
	s_mov_b32 s11, 0
.LBB387_1769:
	s_delay_alu instid0(SALU_CYCLE_1)
	s_and_b32 vcc_lo, exec_lo, s11
	s_cbranch_vccz .LBB387_1785
; %bb.1770:
	s_cmp_lt_i32 s8, 27
	s_mov_b32 s10, -1
	s_cbranch_scc1 .LBB387_1776
; %bb.1771:
	s_cmp_gt_i32 s8, 27
	s_cbranch_scc0 .LBB387_1773
; %bb.1772:
	s_wait_xcnt 0x0
	v_cndmask_b32_e64 v1, 0, 1, s7
	s_mov_b32 s10, 0
	global_store_b32 v[2:3], v1, off
.LBB387_1773:
	s_and_not1_b32 vcc_lo, exec_lo, s10
	s_cbranch_vccnz .LBB387_1775
; %bb.1774:
	s_wait_xcnt 0x0
	v_cndmask_b32_e64 v1, 0, 1, s7
	global_store_b16 v[2:3], v1, off
.LBB387_1775:
	s_mov_b32 s10, 0
.LBB387_1776:
	s_delay_alu instid0(SALU_CYCLE_1)
	s_and_not1_b32 vcc_lo, exec_lo, s10
	s_cbranch_vccnz .LBB387_1784
; %bb.1777:
	s_wait_xcnt 0x0
	v_cndmask_b32_e64 v5, 0, 1.0, s7
	v_mov_b32_e32 v6, 0x80
	s_mov_b32 s10, exec_lo
	s_delay_alu instid0(VALU_DEP_2)
	v_cmpx_gt_u32_e32 0x43800000, v5
	s_cbranch_execz .LBB387_1783
; %bb.1778:
	s_mov_b32 s11, 0
	s_mov_b32 s15, exec_lo
                                        ; implicit-def: $vgpr1
	v_cmpx_lt_u32_e32 0x3bffffff, v5
	s_xor_b32 s15, exec_lo, s15
	s_cbranch_execz .LBB387_2004
; %bb.1779:
	v_bfe_u32 v1, v5, 20, 1
	s_mov_b32 s11, exec_lo
	s_delay_alu instid0(VALU_DEP_1) | instskip(NEXT) | instid1(VALU_DEP_1)
	v_add3_u32 v1, v5, v1, 0x487ffff
                                        ; implicit-def: $vgpr5
	v_lshrrev_b32_e32 v1, 20, v1
	s_and_not1_saveexec_b32 s15, s15
	s_cbranch_execnz .LBB387_2005
.LBB387_1780:
	s_or_b32 exec_lo, exec_lo, s15
	v_mov_b32_e32 v6, 0
	s_and_saveexec_b32 s15, s11
.LBB387_1781:
	v_mov_b32_e32 v6, v1
.LBB387_1782:
	s_or_b32 exec_lo, exec_lo, s15
.LBB387_1783:
	s_delay_alu instid0(SALU_CYCLE_1)
	s_or_b32 exec_lo, exec_lo, s10
	global_store_b8 v[2:3], v6, off
.LBB387_1784:
	s_mov_b32 s10, -1
.LBB387_1785:
	s_mov_b32 s11, 0
.LBB387_1786:
	s_delay_alu instid0(SALU_CYCLE_1)
	s_and_b32 vcc_lo, exec_lo, s11
	s_cbranch_vccz .LBB387_1826
; %bb.1787:
	s_cmp_gt_i32 s8, 22
	s_mov_b32 s9, -1
	s_cbranch_scc0 .LBB387_1819
; %bb.1788:
	s_cmp_lt_i32 s8, 24
	s_cbranch_scc1 .LBB387_1808
; %bb.1789:
	s_cmp_gt_i32 s8, 24
	s_cbranch_scc0 .LBB387_1797
; %bb.1790:
	s_wait_xcnt 0x0
	v_cndmask_b32_e64 v5, 0, 1.0, s7
	v_mov_b32_e32 v6, 0x80
	s_mov_b32 s9, exec_lo
	s_delay_alu instid0(VALU_DEP_2)
	v_cmpx_gt_u32_e32 0x47800000, v5
	s_cbranch_execz .LBB387_1796
; %bb.1791:
	s_mov_b32 s10, 0
	s_mov_b32 s11, exec_lo
                                        ; implicit-def: $vgpr1
	v_cmpx_lt_u32_e32 0x37ffffff, v5
	s_xor_b32 s11, exec_lo, s11
	s_cbranch_execz .LBB387_2007
; %bb.1792:
	v_bfe_u32 v1, v5, 21, 1
	s_mov_b32 s10, exec_lo
	s_delay_alu instid0(VALU_DEP_1) | instskip(NEXT) | instid1(VALU_DEP_1)
	v_add3_u32 v1, v5, v1, 0x88fffff
                                        ; implicit-def: $vgpr5
	v_lshrrev_b32_e32 v1, 21, v1
	s_and_not1_saveexec_b32 s11, s11
	s_cbranch_execnz .LBB387_2008
.LBB387_1793:
	s_or_b32 exec_lo, exec_lo, s11
	v_mov_b32_e32 v6, 0
	s_and_saveexec_b32 s11, s10
.LBB387_1794:
	v_mov_b32_e32 v6, v1
.LBB387_1795:
	s_or_b32 exec_lo, exec_lo, s11
.LBB387_1796:
	s_delay_alu instid0(SALU_CYCLE_1)
	s_or_b32 exec_lo, exec_lo, s9
	s_mov_b32 s9, 0
	global_store_b8 v[2:3], v6, off
.LBB387_1797:
	s_and_b32 vcc_lo, exec_lo, s9
	s_cbranch_vccz .LBB387_1807
; %bb.1798:
	s_wait_xcnt 0x0
	v_cndmask_b32_e64 v5, 0, 1.0, s7
	s_mov_b32 s9, exec_lo
                                        ; implicit-def: $vgpr1
	s_delay_alu instid0(VALU_DEP_1)
	v_cmpx_gt_u32_e32 0x43f00000, v5
	s_xor_b32 s9, exec_lo, s9
	s_cbranch_execz .LBB387_1804
; %bb.1799:
	s_mov_b32 s10, exec_lo
                                        ; implicit-def: $vgpr1
	v_cmpx_lt_u32_e32 0x3c7fffff, v5
	s_xor_b32 s10, exec_lo, s10
; %bb.1800:
	v_bfe_u32 v1, v5, 20, 1
	s_delay_alu instid0(VALU_DEP_1) | instskip(NEXT) | instid1(VALU_DEP_1)
	v_add3_u32 v1, v5, v1, 0x407ffff
	v_and_b32_e32 v5, 0xff00000, v1
	v_lshrrev_b32_e32 v1, 20, v1
	s_delay_alu instid0(VALU_DEP_2) | instskip(NEXT) | instid1(VALU_DEP_2)
	v_cmp_ne_u32_e32 vcc_lo, 0x7f00000, v5
                                        ; implicit-def: $vgpr5
	v_cndmask_b32_e32 v1, 0x7e, v1, vcc_lo
; %bb.1801:
	s_and_not1_saveexec_b32 s10, s10
; %bb.1802:
	v_add_f32_e32 v1, 0x46800000, v5
; %bb.1803:
	s_or_b32 exec_lo, exec_lo, s10
                                        ; implicit-def: $vgpr5
.LBB387_1804:
	s_and_not1_saveexec_b32 s9, s9
; %bb.1805:
	v_mov_b32_e32 v1, 0x7f
	v_cmp_lt_u32_e32 vcc_lo, 0x7f800000, v5
	s_delay_alu instid0(VALU_DEP_2)
	v_cndmask_b32_e32 v1, 0x7e, v1, vcc_lo
; %bb.1806:
	s_or_b32 exec_lo, exec_lo, s9
	global_store_b8 v[2:3], v1, off
.LBB387_1807:
	s_mov_b32 s9, 0
.LBB387_1808:
	s_delay_alu instid0(SALU_CYCLE_1)
	s_and_not1_b32 vcc_lo, exec_lo, s9
	s_cbranch_vccnz .LBB387_1818
; %bb.1809:
	s_wait_xcnt 0x0
	v_cndmask_b32_e64 v5, 0, 1.0, s7
	s_mov_b32 s9, exec_lo
                                        ; implicit-def: $vgpr1
	s_delay_alu instid0(VALU_DEP_1)
	v_cmpx_gt_u32_e32 0x47800000, v5
	s_xor_b32 s9, exec_lo, s9
	s_cbranch_execz .LBB387_1815
; %bb.1810:
	s_mov_b32 s10, exec_lo
                                        ; implicit-def: $vgpr1
	v_cmpx_lt_u32_e32 0x387fffff, v5
	s_xor_b32 s10, exec_lo, s10
; %bb.1811:
	v_bfe_u32 v1, v5, 21, 1
	s_delay_alu instid0(VALU_DEP_1) | instskip(NEXT) | instid1(VALU_DEP_1)
	v_add3_u32 v1, v5, v1, 0x80fffff
                                        ; implicit-def: $vgpr5
	v_lshrrev_b32_e32 v1, 21, v1
; %bb.1812:
	s_and_not1_saveexec_b32 s10, s10
; %bb.1813:
	v_add_f32_e32 v1, 0x43000000, v5
; %bb.1814:
	s_or_b32 exec_lo, exec_lo, s10
                                        ; implicit-def: $vgpr5
.LBB387_1815:
	s_and_not1_saveexec_b32 s9, s9
; %bb.1816:
	v_mov_b32_e32 v1, 0x7f
	v_cmp_lt_u32_e32 vcc_lo, 0x7f800000, v5
	s_delay_alu instid0(VALU_DEP_2)
	v_cndmask_b32_e32 v1, 0x7c, v1, vcc_lo
; %bb.1817:
	s_or_b32 exec_lo, exec_lo, s9
	global_store_b8 v[2:3], v1, off
.LBB387_1818:
	s_mov_b32 s9, 0
	s_mov_b32 s10, -1
.LBB387_1819:
	s_and_not1_b32 vcc_lo, exec_lo, s9
	s_mov_b32 s9, 0
	s_cbranch_vccnz .LBB387_1826
; %bb.1820:
	s_cmp_gt_i32 s8, 14
	s_mov_b32 s9, -1
	s_cbranch_scc0 .LBB387_1824
; %bb.1821:
	s_cmp_eq_u32 s8, 15
	s_mov_b32 s0, -1
	s_cbranch_scc0 .LBB387_1823
; %bb.1822:
	s_wait_xcnt 0x0
	v_cndmask_b32_e64 v1, 0, 1.0, s7
	s_mov_b32 s0, 0
	s_mov_b32 s10, -1
	s_delay_alu instid0(VALU_DEP_1) | instskip(NEXT) | instid1(VALU_DEP_1)
	v_bfe_u32 v5, v1, 16, 1
	v_add3_u32 v1, v1, v5, 0x7fff
	global_store_d16_hi_b16 v[2:3], v1, off
.LBB387_1823:
	s_mov_b32 s9, 0
.LBB387_1824:
	s_delay_alu instid0(SALU_CYCLE_1)
	s_and_b32 vcc_lo, exec_lo, s9
	s_mov_b32 s9, 0
	s_cbranch_vccz .LBB387_1826
; %bb.1825:
	s_cmp_lg_u32 s8, 11
	s_mov_b32 s9, -1
	s_cselect_b32 s0, -1, 0
.LBB387_1826:
	s_delay_alu instid0(SALU_CYCLE_1)
	s_and_b32 vcc_lo, exec_lo, s0
	s_cbranch_vccnz .LBB387_2006
; %bb.1827:
	s_and_not1_b32 vcc_lo, exec_lo, s9
	s_cbranch_vccnz .LBB387_1829
.LBB387_1828:
	s_wait_xcnt 0x0
	v_cndmask_b32_e64 v1, 0, 1, s7
	s_mov_b32 s10, -1
	global_store_b8 v[2:3], v1, off
.LBB387_1829:
	s_mov_b32 s0, 0
	s_branch .LBB387_1831
.LBB387_1830:
	s_mov_b32 s0, -1
	s_mov_b32 s10, 0
.LBB387_1831:
	s_and_b32 vcc_lo, exec_lo, s0
	s_cbranch_vccz .LBB387_1870
; %bb.1832:
	s_and_b32 s0, 0xffff, s14
	s_mov_b32 s8, -1
	s_cmp_lt_i32 s0, 5
	s_cbranch_scc1 .LBB387_1853
; %bb.1833:
	s_cmp_lt_i32 s0, 8
	s_cbranch_scc1 .LBB387_1843
; %bb.1834:
	;; [unrolled: 3-line block ×3, first 2 shown]
	s_cmp_gt_i32 s0, 9
	s_cbranch_scc0 .LBB387_1837
; %bb.1836:
	s_wait_xcnt 0x0
	v_cndmask_b32_e64 v1, 0, 1, s7
	v_mov_b32_e32 v8, 0
	s_mov_b32 s8, 0
	s_delay_alu instid0(VALU_DEP_2) | instskip(NEXT) | instid1(VALU_DEP_2)
	v_cvt_f64_u32_e32 v[6:7], v1
	v_mov_b32_e32 v9, v8
	global_store_b128 v[2:3], v[6:9], off
.LBB387_1837:
	s_and_not1_b32 vcc_lo, exec_lo, s8
	s_cbranch_vccnz .LBB387_1839
; %bb.1838:
	s_wait_xcnt 0x0
	v_cndmask_b32_e64 v6, 0, 1.0, s7
	v_mov_b32_e32 v7, 0
	global_store_b64 v[2:3], v[6:7], off
.LBB387_1839:
	s_mov_b32 s8, 0
.LBB387_1840:
	s_delay_alu instid0(SALU_CYCLE_1)
	s_and_not1_b32 vcc_lo, exec_lo, s8
	s_cbranch_vccnz .LBB387_1842
; %bb.1841:
	s_wait_xcnt 0x0
	v_cndmask_b32_e64 v1, 0, 1.0, s7
	s_delay_alu instid0(VALU_DEP_1) | instskip(NEXT) | instid1(VALU_DEP_1)
	v_cvt_f16_f32_e32 v1, v1
	v_and_b32_e32 v1, 0xffff, v1
	global_store_b32 v[2:3], v1, off
.LBB387_1842:
	s_mov_b32 s8, 0
.LBB387_1843:
	s_delay_alu instid0(SALU_CYCLE_1)
	s_and_not1_b32 vcc_lo, exec_lo, s8
	s_cbranch_vccnz .LBB387_1852
; %bb.1844:
	s_cmp_lt_i32 s0, 6
	s_mov_b32 s8, -1
	s_cbranch_scc1 .LBB387_1850
; %bb.1845:
	s_cmp_gt_i32 s0, 6
	s_cbranch_scc0 .LBB387_1847
; %bb.1846:
	s_wait_xcnt 0x0
	v_cndmask_b32_e64 v1, 0, 1, s7
	s_mov_b32 s8, 0
	s_delay_alu instid0(VALU_DEP_1)
	v_cvt_f64_u32_e32 v[6:7], v1
	global_store_b64 v[2:3], v[6:7], off
.LBB387_1847:
	s_and_not1_b32 vcc_lo, exec_lo, s8
	s_cbranch_vccnz .LBB387_1849
; %bb.1848:
	s_wait_xcnt 0x0
	v_cndmask_b32_e64 v1, 0, 1.0, s7
	global_store_b32 v[2:3], v1, off
.LBB387_1849:
	s_mov_b32 s8, 0
.LBB387_1850:
	s_delay_alu instid0(SALU_CYCLE_1)
	s_and_not1_b32 vcc_lo, exec_lo, s8
	s_cbranch_vccnz .LBB387_1852
; %bb.1851:
	s_wait_xcnt 0x0
	v_cndmask_b32_e64 v1, 0, 1.0, s7
	s_delay_alu instid0(VALU_DEP_1)
	v_cvt_f16_f32_e32 v1, v1
	global_store_b16 v[2:3], v1, off
.LBB387_1852:
	s_mov_b32 s8, 0
.LBB387_1853:
	s_delay_alu instid0(SALU_CYCLE_1)
	s_and_not1_b32 vcc_lo, exec_lo, s8
	s_cbranch_vccnz .LBB387_1869
; %bb.1854:
	s_cmp_lt_i32 s0, 2
	s_mov_b32 s8, -1
	s_cbranch_scc1 .LBB387_1864
; %bb.1855:
	s_cmp_lt_i32 s0, 3
	s_cbranch_scc1 .LBB387_1861
; %bb.1856:
	s_cmp_gt_i32 s0, 3
	s_cbranch_scc0 .LBB387_1858
; %bb.1857:
	s_mov_b32 s8, 0
	s_wait_xcnt 0x0
	v_cndmask_b32_e64 v6, 0, 1, s7
	v_mov_b32_e32 v7, s8
	global_store_b64 v[2:3], v[6:7], off
.LBB387_1858:
	s_and_not1_b32 vcc_lo, exec_lo, s8
	s_cbranch_vccnz .LBB387_1860
; %bb.1859:
	s_wait_xcnt 0x0
	v_cndmask_b32_e64 v1, 0, 1, s7
	global_store_b32 v[2:3], v1, off
.LBB387_1860:
	s_mov_b32 s8, 0
.LBB387_1861:
	s_delay_alu instid0(SALU_CYCLE_1)
	s_and_not1_b32 vcc_lo, exec_lo, s8
	s_cbranch_vccnz .LBB387_1863
; %bb.1862:
	s_wait_xcnt 0x0
	v_cndmask_b32_e64 v1, 0, 1, s7
	global_store_b16 v[2:3], v1, off
.LBB387_1863:
	s_mov_b32 s8, 0
.LBB387_1864:
	s_delay_alu instid0(SALU_CYCLE_1)
	s_and_not1_b32 vcc_lo, exec_lo, s8
	s_cbranch_vccnz .LBB387_1869
; %bb.1865:
	s_wait_xcnt 0x0
	v_cndmask_b32_e64 v1, 0, 1, s7
	s_cmp_gt_i32 s0, 0
	s_mov_b32 s0, -1
	s_cbranch_scc0 .LBB387_1867
; %bb.1866:
	s_mov_b32 s0, 0
	global_store_b8 v[2:3], v1, off
.LBB387_1867:
	s_and_not1_b32 vcc_lo, exec_lo, s0
	s_cbranch_vccnz .LBB387_1869
; %bb.1868:
	global_store_b8 v[2:3], v1, off
.LBB387_1869:
	s_mov_b32 s10, -1
.LBB387_1870:
	s_delay_alu instid0(SALU_CYCLE_1)
	s_and_not1_b32 vcc_lo, exec_lo, s10
	s_cbranch_vccnz .LBB387_1947
; %bb.1871:
	s_wait_xcnt 0x0
	v_add_nc_u32_e32 v2, s2, v4
	v_and_b32_e32 v0, 0xff, v0
	s_delay_alu instid0(VALU_DEP_2) | instskip(NEXT) | instid1(VALU_DEP_2)
	v_ashrrev_i32_e32 v3, 31, v2
	v_cmp_ne_u16_e32 vcc_lo, s6, v0
	s_delay_alu instid0(VALU_DEP_2)
	v_add_nc_u64_e32 v[0:1], s[4:5], v[2:3]
	s_xor_b32 s15, s3, vcc_lo
	s_cmp_lt_i32 s14, 11
	s_cbranch_scc1 .LBB387_1992
; %bb.1872:
	s_and_b32 s2, 0xffff, s14
	s_mov_b32 s4, -1
	s_mov_b32 s3, 0
	s_cmp_gt_i32 s2, 25
	s_mov_b32 s0, 0
	s_cbranch_scc0 .LBB387_1905
; %bb.1873:
	s_cmp_gt_i32 s2, 28
	s_cbranch_scc0 .LBB387_1889
; %bb.1874:
	s_cmp_gt_i32 s2, 43
	;; [unrolled: 3-line block ×3, first 2 shown]
	s_cbranch_scc0 .LBB387_1879
; %bb.1876:
	s_cmp_eq_u32 s2, 46
	s_mov_b32 s0, -1
	s_cbranch_scc0 .LBB387_1878
; %bb.1877:
	v_cndmask_b32_e64 v2, 0, 1.0, s15
	s_mov_b32 s0, 0
	s_delay_alu instid0(VALU_DEP_1) | instskip(NEXT) | instid1(VALU_DEP_1)
	v_bfe_u32 v3, v2, 16, 1
	v_add3_u32 v2, v2, v3, 0x7fff
	s_delay_alu instid0(VALU_DEP_1)
	v_lshrrev_b32_e32 v2, 16, v2
	global_store_b32 v[0:1], v2, off
.LBB387_1878:
	s_mov_b32 s4, 0
.LBB387_1879:
	s_delay_alu instid0(SALU_CYCLE_1)
	s_and_b32 vcc_lo, exec_lo, s4
	s_cbranch_vccz .LBB387_1884
; %bb.1880:
	s_cmp_eq_u32 s2, 44
	s_mov_b32 s0, -1
	s_cbranch_scc0 .LBB387_1884
; %bb.1881:
	v_cndmask_b32_e64 v4, 0, 1.0, s15
	s_mov_b32 s4, exec_lo
	s_wait_xcnt 0x0
	s_delay_alu instid0(VALU_DEP_1) | instskip(NEXT) | instid1(VALU_DEP_1)
	v_dual_mov_b32 v3, 0xff :: v_dual_lshrrev_b32 v2, 23, v4
	v_cmpx_ne_u32_e32 0xff, v2
; %bb.1882:
	v_and_b32_e32 v3, 0x400000, v4
	v_and_or_b32 v4, 0x3fffff, v4, v2
	s_delay_alu instid0(VALU_DEP_2) | instskip(NEXT) | instid1(VALU_DEP_2)
	v_cmp_ne_u32_e32 vcc_lo, 0, v3
	v_cmp_ne_u32_e64 s0, 0, v4
	s_and_b32 s0, vcc_lo, s0
	s_delay_alu instid0(SALU_CYCLE_1) | instskip(NEXT) | instid1(VALU_DEP_1)
	v_cndmask_b32_e64 v3, 0, 1, s0
	v_add_nc_u32_e32 v3, v2, v3
; %bb.1883:
	s_or_b32 exec_lo, exec_lo, s4
	s_mov_b32 s0, 0
	global_store_b8 v[0:1], v3, off
.LBB387_1884:
	s_mov_b32 s4, 0
.LBB387_1885:
	s_delay_alu instid0(SALU_CYCLE_1)
	s_and_b32 vcc_lo, exec_lo, s4
	s_cbranch_vccz .LBB387_1888
; %bb.1886:
	s_cmp_eq_u32 s2, 29
	s_mov_b32 s0, -1
	s_cbranch_scc0 .LBB387_1888
; %bb.1887:
	s_mov_b32 s0, 0
	s_wait_xcnt 0x0
	v_cndmask_b32_e64 v2, 0, 1, s15
	v_mov_b32_e32 v3, s0
	global_store_b64 v[0:1], v[2:3], off
.LBB387_1888:
	s_mov_b32 s4, 0
.LBB387_1889:
	s_delay_alu instid0(SALU_CYCLE_1)
	s_and_b32 vcc_lo, exec_lo, s4
	s_cbranch_vccz .LBB387_1904
; %bb.1890:
	s_cmp_lt_i32 s2, 27
	s_mov_b32 s4, -1
	s_cbranch_scc1 .LBB387_1896
; %bb.1891:
	s_wait_xcnt 0x0
	v_cndmask_b32_e64 v2, 0, 1, s15
	s_cmp_gt_i32 s2, 27
	s_cbranch_scc0 .LBB387_1893
; %bb.1892:
	s_mov_b32 s4, 0
	global_store_b32 v[0:1], v2, off
.LBB387_1893:
	s_and_not1_b32 vcc_lo, exec_lo, s4
	s_cbranch_vccnz .LBB387_1895
; %bb.1894:
	global_store_b16 v[0:1], v2, off
.LBB387_1895:
	s_mov_b32 s4, 0
.LBB387_1896:
	s_delay_alu instid0(SALU_CYCLE_1)
	s_and_not1_b32 vcc_lo, exec_lo, s4
	s_cbranch_vccnz .LBB387_1904
; %bb.1897:
	s_wait_xcnt 0x0
	v_cndmask_b32_e64 v3, 0, 1.0, s15
	v_mov_b32_e32 v4, 0x80
	s_mov_b32 s4, exec_lo
	s_delay_alu instid0(VALU_DEP_2)
	v_cmpx_gt_u32_e32 0x43800000, v3
	s_cbranch_execz .LBB387_1903
; %bb.1898:
	s_mov_b32 s5, 0
	s_mov_b32 s6, exec_lo
                                        ; implicit-def: $vgpr2
	v_cmpx_lt_u32_e32 0x3bffffff, v3
	s_xor_b32 s6, exec_lo, s6
	s_cbranch_execz .LBB387_2009
; %bb.1899:
	v_bfe_u32 v2, v3, 20, 1
	s_mov_b32 s5, exec_lo
	s_delay_alu instid0(VALU_DEP_1) | instskip(NEXT) | instid1(VALU_DEP_1)
	v_add3_u32 v2, v3, v2, 0x487ffff
                                        ; implicit-def: $vgpr3
	v_lshrrev_b32_e32 v2, 20, v2
	s_and_not1_saveexec_b32 s6, s6
	s_cbranch_execnz .LBB387_2010
.LBB387_1900:
	s_or_b32 exec_lo, exec_lo, s6
	v_mov_b32_e32 v4, 0
	s_and_saveexec_b32 s6, s5
.LBB387_1901:
	v_mov_b32_e32 v4, v2
.LBB387_1902:
	s_or_b32 exec_lo, exec_lo, s6
.LBB387_1903:
	s_delay_alu instid0(SALU_CYCLE_1)
	s_or_b32 exec_lo, exec_lo, s4
	global_store_b8 v[0:1], v4, off
.LBB387_1904:
	s_mov_b32 s4, 0
.LBB387_1905:
	s_delay_alu instid0(SALU_CYCLE_1)
	s_and_b32 vcc_lo, exec_lo, s4
	s_cbranch_vccz .LBB387_1945
; %bb.1906:
	s_cmp_gt_i32 s2, 22
	s_mov_b32 s3, -1
	s_cbranch_scc0 .LBB387_1938
; %bb.1907:
	s_cmp_lt_i32 s2, 24
	s_cbranch_scc1 .LBB387_1927
; %bb.1908:
	s_cmp_gt_i32 s2, 24
	s_cbranch_scc0 .LBB387_1916
; %bb.1909:
	s_wait_xcnt 0x0
	v_cndmask_b32_e64 v3, 0, 1.0, s15
	v_mov_b32_e32 v4, 0x80
	s_mov_b32 s3, exec_lo
	s_delay_alu instid0(VALU_DEP_2)
	v_cmpx_gt_u32_e32 0x47800000, v3
	s_cbranch_execz .LBB387_1915
; %bb.1910:
	s_mov_b32 s4, 0
	s_mov_b32 s5, exec_lo
                                        ; implicit-def: $vgpr2
	v_cmpx_lt_u32_e32 0x37ffffff, v3
	s_xor_b32 s5, exec_lo, s5
	s_cbranch_execz .LBB387_2012
; %bb.1911:
	v_bfe_u32 v2, v3, 21, 1
	s_mov_b32 s4, exec_lo
	s_delay_alu instid0(VALU_DEP_1) | instskip(NEXT) | instid1(VALU_DEP_1)
	v_add3_u32 v2, v3, v2, 0x88fffff
                                        ; implicit-def: $vgpr3
	v_lshrrev_b32_e32 v2, 21, v2
	s_and_not1_saveexec_b32 s5, s5
	s_cbranch_execnz .LBB387_2013
.LBB387_1912:
	s_or_b32 exec_lo, exec_lo, s5
	v_mov_b32_e32 v4, 0
	s_and_saveexec_b32 s5, s4
.LBB387_1913:
	v_mov_b32_e32 v4, v2
.LBB387_1914:
	s_or_b32 exec_lo, exec_lo, s5
.LBB387_1915:
	s_delay_alu instid0(SALU_CYCLE_1)
	s_or_b32 exec_lo, exec_lo, s3
	s_mov_b32 s3, 0
	global_store_b8 v[0:1], v4, off
.LBB387_1916:
	s_and_b32 vcc_lo, exec_lo, s3
	s_cbranch_vccz .LBB387_1926
; %bb.1917:
	s_wait_xcnt 0x0
	v_cndmask_b32_e64 v3, 0, 1.0, s15
	s_mov_b32 s3, exec_lo
                                        ; implicit-def: $vgpr2
	s_delay_alu instid0(VALU_DEP_1)
	v_cmpx_gt_u32_e32 0x43f00000, v3
	s_xor_b32 s3, exec_lo, s3
	s_cbranch_execz .LBB387_1923
; %bb.1918:
	s_mov_b32 s4, exec_lo
                                        ; implicit-def: $vgpr2
	v_cmpx_lt_u32_e32 0x3c7fffff, v3
	s_xor_b32 s4, exec_lo, s4
; %bb.1919:
	v_bfe_u32 v2, v3, 20, 1
	s_delay_alu instid0(VALU_DEP_1) | instskip(NEXT) | instid1(VALU_DEP_1)
	v_add3_u32 v2, v3, v2, 0x407ffff
	v_and_b32_e32 v3, 0xff00000, v2
	v_lshrrev_b32_e32 v2, 20, v2
	s_delay_alu instid0(VALU_DEP_2) | instskip(NEXT) | instid1(VALU_DEP_2)
	v_cmp_ne_u32_e32 vcc_lo, 0x7f00000, v3
                                        ; implicit-def: $vgpr3
	v_cndmask_b32_e32 v2, 0x7e, v2, vcc_lo
; %bb.1920:
	s_and_not1_saveexec_b32 s4, s4
; %bb.1921:
	v_add_f32_e32 v2, 0x46800000, v3
; %bb.1922:
	s_or_b32 exec_lo, exec_lo, s4
                                        ; implicit-def: $vgpr3
.LBB387_1923:
	s_and_not1_saveexec_b32 s3, s3
; %bb.1924:
	v_mov_b32_e32 v2, 0x7f
	v_cmp_lt_u32_e32 vcc_lo, 0x7f800000, v3
	s_delay_alu instid0(VALU_DEP_2)
	v_cndmask_b32_e32 v2, 0x7e, v2, vcc_lo
; %bb.1925:
	s_or_b32 exec_lo, exec_lo, s3
	global_store_b8 v[0:1], v2, off
.LBB387_1926:
	s_mov_b32 s3, 0
.LBB387_1927:
	s_delay_alu instid0(SALU_CYCLE_1)
	s_and_not1_b32 vcc_lo, exec_lo, s3
	s_cbranch_vccnz .LBB387_1937
; %bb.1928:
	s_wait_xcnt 0x0
	v_cndmask_b32_e64 v3, 0, 1.0, s15
	s_mov_b32 s3, exec_lo
                                        ; implicit-def: $vgpr2
	s_delay_alu instid0(VALU_DEP_1)
	v_cmpx_gt_u32_e32 0x47800000, v3
	s_xor_b32 s3, exec_lo, s3
	s_cbranch_execz .LBB387_1934
; %bb.1929:
	s_mov_b32 s4, exec_lo
                                        ; implicit-def: $vgpr2
	v_cmpx_lt_u32_e32 0x387fffff, v3
	s_xor_b32 s4, exec_lo, s4
; %bb.1930:
	v_bfe_u32 v2, v3, 21, 1
	s_delay_alu instid0(VALU_DEP_1) | instskip(NEXT) | instid1(VALU_DEP_1)
	v_add3_u32 v2, v3, v2, 0x80fffff
                                        ; implicit-def: $vgpr3
	v_lshrrev_b32_e32 v2, 21, v2
; %bb.1931:
	s_and_not1_saveexec_b32 s4, s4
; %bb.1932:
	v_add_f32_e32 v2, 0x43000000, v3
; %bb.1933:
	s_or_b32 exec_lo, exec_lo, s4
                                        ; implicit-def: $vgpr3
.LBB387_1934:
	s_and_not1_saveexec_b32 s3, s3
; %bb.1935:
	v_mov_b32_e32 v2, 0x7f
	v_cmp_lt_u32_e32 vcc_lo, 0x7f800000, v3
	s_delay_alu instid0(VALU_DEP_2)
	v_cndmask_b32_e32 v2, 0x7c, v2, vcc_lo
; %bb.1936:
	s_or_b32 exec_lo, exec_lo, s3
	global_store_b8 v[0:1], v2, off
.LBB387_1937:
	s_mov_b32 s3, 0
.LBB387_1938:
	s_delay_alu instid0(SALU_CYCLE_1)
	s_and_not1_b32 vcc_lo, exec_lo, s3
	s_mov_b32 s3, 0
	s_cbranch_vccnz .LBB387_1945
; %bb.1939:
	s_cmp_gt_i32 s2, 14
	s_mov_b32 s3, -1
	s_cbranch_scc0 .LBB387_1943
; %bb.1940:
	s_cmp_eq_u32 s2, 15
	s_mov_b32 s0, -1
	s_cbranch_scc0 .LBB387_1942
; %bb.1941:
	s_wait_xcnt 0x0
	v_cndmask_b32_e64 v2, 0, 1.0, s15
	s_mov_b32 s0, 0
	s_delay_alu instid0(VALU_DEP_1) | instskip(NEXT) | instid1(VALU_DEP_1)
	v_bfe_u32 v3, v2, 16, 1
	v_add3_u32 v2, v2, v3, 0x7fff
	global_store_d16_hi_b16 v[0:1], v2, off
.LBB387_1942:
	s_mov_b32 s3, 0
.LBB387_1943:
	s_delay_alu instid0(SALU_CYCLE_1)
	s_and_b32 vcc_lo, exec_lo, s3
	s_mov_b32 s3, 0
	s_cbranch_vccz .LBB387_1945
; %bb.1944:
	s_cmp_lg_u32 s2, 11
	s_mov_b32 s3, -1
	s_cselect_b32 s0, -1, 0
.LBB387_1945:
	s_delay_alu instid0(SALU_CYCLE_1)
	s_and_b32 vcc_lo, exec_lo, s0
	s_cbranch_vccnz .LBB387_2011
.LBB387_1946:
	s_mov_b32 s0, 0
	s_branch .LBB387_1948
.LBB387_1947:
	s_mov_b32 s0, 0
	s_mov_b32 s3, 0
                                        ; implicit-def: $sgpr15
                                        ; implicit-def: $sgpr14
                                        ; implicit-def: $vgpr0_vgpr1
.LBB387_1948:
	s_and_not1_b32 s2, s13, exec_lo
	s_and_b32 s4, s1, exec_lo
	s_and_b32 s0, s0, exec_lo
	;; [unrolled: 1-line block ×3, first 2 shown]
	s_or_b32 s13, s2, s4
.LBB387_1949:
	s_wait_xcnt 0x0
	s_or_b32 exec_lo, exec_lo, s12
	s_and_saveexec_b32 s2, s13
	s_cbranch_execz .LBB387_1952
; %bb.1950:
	; divergent unreachable
	s_or_b32 exec_lo, exec_lo, s2
	s_and_saveexec_b32 s2, s1
	s_delay_alu instid0(SALU_CYCLE_1)
	s_xor_b32 s1, exec_lo, s2
	s_cbranch_execnz .LBB387_1953
.LBB387_1951:
	s_or_b32 exec_lo, exec_lo, s1
	s_and_saveexec_b32 s1, s0
	s_cbranch_execnz .LBB387_1954
	s_branch .LBB387_1991
.LBB387_1952:
	s_or_b32 exec_lo, exec_lo, s2
	s_and_saveexec_b32 s2, s1
	s_delay_alu instid0(SALU_CYCLE_1)
	s_xor_b32 s1, exec_lo, s2
	s_cbranch_execz .LBB387_1951
.LBB387_1953:
	s_wait_loadcnt 0x0
	v_cndmask_b32_e64 v2, 0, 1, s15
	global_store_b8 v[0:1], v2, off
	s_wait_xcnt 0x0
	s_or_b32 exec_lo, exec_lo, s1
	s_and_saveexec_b32 s1, s0
	s_cbranch_execz .LBB387_1991
.LBB387_1954:
	s_sext_i32_i16 s1, s14
	s_mov_b32 s0, -1
	s_cmp_lt_i32 s1, 5
	s_cbranch_scc1 .LBB387_1975
; %bb.1955:
	s_cmp_lt_i32 s1, 8
	s_cbranch_scc1 .LBB387_1965
; %bb.1956:
	;; [unrolled: 3-line block ×3, first 2 shown]
	s_cmp_gt_i32 s1, 9
	s_cbranch_scc0 .LBB387_1959
; %bb.1958:
	s_wait_loadcnt 0x0
	v_cndmask_b32_e64 v2, 0, 1, s15
	v_mov_b32_e32 v4, 0
	s_mov_b32 s0, 0
	s_delay_alu instid0(VALU_DEP_2) | instskip(NEXT) | instid1(VALU_DEP_2)
	v_cvt_f64_u32_e32 v[2:3], v2
	v_mov_b32_e32 v5, v4
	global_store_b128 v[0:1], v[2:5], off
.LBB387_1959:
	s_and_not1_b32 vcc_lo, exec_lo, s0
	s_cbranch_vccnz .LBB387_1961
; %bb.1960:
	s_wait_loadcnt 0x0
	v_cndmask_b32_e64 v2, 0, 1.0, s15
	v_mov_b32_e32 v3, 0
	global_store_b64 v[0:1], v[2:3], off
.LBB387_1961:
	s_mov_b32 s0, 0
.LBB387_1962:
	s_delay_alu instid0(SALU_CYCLE_1)
	s_and_not1_b32 vcc_lo, exec_lo, s0
	s_cbranch_vccnz .LBB387_1964
; %bb.1963:
	s_wait_loadcnt 0x0
	v_cndmask_b32_e64 v2, 0, 1.0, s15
	s_delay_alu instid0(VALU_DEP_1) | instskip(NEXT) | instid1(VALU_DEP_1)
	v_cvt_f16_f32_e32 v2, v2
	v_and_b32_e32 v2, 0xffff, v2
	global_store_b32 v[0:1], v2, off
.LBB387_1964:
	s_mov_b32 s0, 0
.LBB387_1965:
	s_delay_alu instid0(SALU_CYCLE_1)
	s_and_not1_b32 vcc_lo, exec_lo, s0
	s_cbranch_vccnz .LBB387_1974
; %bb.1966:
	s_sext_i32_i16 s1, s14
	s_mov_b32 s0, -1
	s_cmp_lt_i32 s1, 6
	s_cbranch_scc1 .LBB387_1972
; %bb.1967:
	s_cmp_gt_i32 s1, 6
	s_cbranch_scc0 .LBB387_1969
; %bb.1968:
	s_wait_loadcnt 0x0
	v_cndmask_b32_e64 v2, 0, 1, s15
	s_mov_b32 s0, 0
	s_delay_alu instid0(VALU_DEP_1)
	v_cvt_f64_u32_e32 v[2:3], v2
	global_store_b64 v[0:1], v[2:3], off
.LBB387_1969:
	s_and_not1_b32 vcc_lo, exec_lo, s0
	s_cbranch_vccnz .LBB387_1971
; %bb.1970:
	s_wait_loadcnt 0x0
	v_cndmask_b32_e64 v2, 0, 1.0, s15
	global_store_b32 v[0:1], v2, off
.LBB387_1971:
	s_mov_b32 s0, 0
.LBB387_1972:
	s_delay_alu instid0(SALU_CYCLE_1)
	s_and_not1_b32 vcc_lo, exec_lo, s0
	s_cbranch_vccnz .LBB387_1974
; %bb.1973:
	s_wait_loadcnt 0x0
	v_cndmask_b32_e64 v2, 0, 1.0, s15
	s_delay_alu instid0(VALU_DEP_1)
	v_cvt_f16_f32_e32 v2, v2
	global_store_b16 v[0:1], v2, off
.LBB387_1974:
	s_mov_b32 s0, 0
.LBB387_1975:
	s_delay_alu instid0(SALU_CYCLE_1)
	s_and_not1_b32 vcc_lo, exec_lo, s0
	s_cbranch_vccnz .LBB387_1991
; %bb.1976:
	s_sext_i32_i16 s1, s14
	s_mov_b32 s0, -1
	s_cmp_lt_i32 s1, 2
	s_cbranch_scc1 .LBB387_1986
; %bb.1977:
	s_cmp_lt_i32 s1, 3
	s_cbranch_scc1 .LBB387_1983
; %bb.1978:
	s_cmp_gt_i32 s1, 3
	s_cbranch_scc0 .LBB387_1980
; %bb.1979:
	s_mov_b32 s0, 0
	s_wait_loadcnt 0x0
	v_cndmask_b32_e64 v2, 0, 1, s15
	v_mov_b32_e32 v3, s0
	global_store_b64 v[0:1], v[2:3], off
.LBB387_1980:
	s_and_not1_b32 vcc_lo, exec_lo, s0
	s_cbranch_vccnz .LBB387_1982
; %bb.1981:
	s_wait_loadcnt 0x0
	v_cndmask_b32_e64 v2, 0, 1, s15
	global_store_b32 v[0:1], v2, off
.LBB387_1982:
	s_mov_b32 s0, 0
.LBB387_1983:
	s_delay_alu instid0(SALU_CYCLE_1)
	s_and_not1_b32 vcc_lo, exec_lo, s0
	s_cbranch_vccnz .LBB387_1985
; %bb.1984:
	s_wait_loadcnt 0x0
	v_cndmask_b32_e64 v2, 0, 1, s15
	global_store_b16 v[0:1], v2, off
.LBB387_1985:
	s_mov_b32 s0, 0
.LBB387_1986:
	s_delay_alu instid0(SALU_CYCLE_1)
	s_and_not1_b32 vcc_lo, exec_lo, s0
	s_cbranch_vccnz .LBB387_1991
; %bb.1987:
	s_wait_loadcnt 0x0
	v_cndmask_b32_e64 v2, 0, 1, s15
	s_sext_i32_i16 s0, s14
	s_delay_alu instid0(SALU_CYCLE_1)
	s_cmp_gt_i32 s0, 0
	s_mov_b32 s0, -1
	s_cbranch_scc0 .LBB387_1989
; %bb.1988:
	s_mov_b32 s0, 0
	global_store_b8 v[0:1], v2, off
.LBB387_1989:
	s_and_not1_b32 vcc_lo, exec_lo, s0
	s_cbranch_vccnz .LBB387_1991
; %bb.1990:
	global_store_b8 v[0:1], v2, off
	s_endpgm
.LBB387_1991:
	s_endpgm
.LBB387_1992:
	s_mov_b32 s3, 0
	s_mov_b32 s0, -1
	s_branch .LBB387_1948
.LBB387_1993:
	s_or_b32 s1, s1, exec_lo
	s_trap 2
	s_cbranch_execz .LBB387_1463
	s_branch .LBB387_1464
.LBB387_1994:
	s_and_not1_saveexec_b32 s15, s15
	s_cbranch_execz .LBB387_1543
.LBB387_1995:
	v_add_f32_e32 v1, 0x46000000, v3
	s_and_not1_b32 s11, s11, exec_lo
	s_delay_alu instid0(VALU_DEP_1) | instskip(NEXT) | instid1(VALU_DEP_1)
	v_and_b32_e32 v1, 0xff, v1
	v_cmp_ne_u32_e32 vcc_lo, 0, v1
	s_and_b32 s16, vcc_lo, exec_lo
	s_delay_alu instid0(SALU_CYCLE_1)
	s_or_b32 s11, s11, s16
	s_or_b32 exec_lo, exec_lo, s15
	v_mov_b32_e32 v5, 0
	s_and_saveexec_b32 s15, s11
	s_cbranch_execnz .LBB387_1544
	s_branch .LBB387_1545
.LBB387_1996:
	s_or_b32 s1, s1, exec_lo
	s_trap 2
	s_cbranch_execz .LBB387_1591
	s_branch .LBB387_1592
.LBB387_1997:
	s_and_not1_saveexec_b32 s11, s11
	s_cbranch_execz .LBB387_1556
.LBB387_1998:
	v_add_f32_e32 v1, 0x42800000, v3
	s_and_not1_b32 s10, s10, exec_lo
	s_delay_alu instid0(VALU_DEP_1) | instskip(NEXT) | instid1(VALU_DEP_1)
	v_and_b32_e32 v1, 0xff, v1
	v_cmp_ne_u32_e32 vcc_lo, 0, v1
	s_and_b32 s15, vcc_lo, exec_lo
	s_delay_alu instid0(SALU_CYCLE_1)
	s_or_b32 s10, s10, s15
	s_or_b32 exec_lo, exec_lo, s11
	v_mov_b32_e32 v5, 0
	s_and_saveexec_b32 s11, s10
	s_cbranch_execnz .LBB387_1557
	s_branch .LBB387_1558
.LBB387_1999:
	s_and_not1_saveexec_b32 s15, s15
	s_cbranch_execz .LBB387_1661
.LBB387_2000:
	v_add_f32_e32 v1, 0x46000000, v3
	s_and_not1_b32 s11, s11, exec_lo
	s_delay_alu instid0(VALU_DEP_1) | instskip(NEXT) | instid1(VALU_DEP_1)
	v_and_b32_e32 v1, 0xff, v1
	v_cmp_ne_u32_e32 vcc_lo, 0, v1
	s_and_b32 s16, vcc_lo, exec_lo
	s_delay_alu instid0(SALU_CYCLE_1)
	s_or_b32 s11, s11, s16
	s_or_b32 exec_lo, exec_lo, s15
	v_mov_b32_e32 v7, 0
	s_and_saveexec_b32 s15, s11
	s_cbranch_execnz .LBB387_1662
	s_branch .LBB387_1663
.LBB387_2001:
	s_or_b32 s1, s1, exec_lo
	s_trap 2
	s_cbranch_execz .LBB387_1709
	s_branch .LBB387_1710
.LBB387_2002:
	s_and_not1_saveexec_b32 s11, s11
	s_cbranch_execz .LBB387_1674
.LBB387_2003:
	v_add_f32_e32 v1, 0x42800000, v3
	s_and_not1_b32 s10, s10, exec_lo
	s_delay_alu instid0(VALU_DEP_1) | instskip(NEXT) | instid1(VALU_DEP_1)
	v_and_b32_e32 v1, 0xff, v1
	v_cmp_ne_u32_e32 vcc_lo, 0, v1
	s_and_b32 s15, vcc_lo, exec_lo
	s_delay_alu instid0(SALU_CYCLE_1)
	s_or_b32 s10, s10, s15
	s_or_b32 exec_lo, exec_lo, s11
	v_mov_b32_e32 v7, 0
	s_and_saveexec_b32 s11, s10
	s_cbranch_execnz .LBB387_1675
	s_branch .LBB387_1676
.LBB387_2004:
	s_and_not1_saveexec_b32 s15, s15
	s_cbranch_execz .LBB387_1780
.LBB387_2005:
	v_add_f32_e32 v1, 0x46000000, v5
	s_and_not1_b32 s11, s11, exec_lo
	s_delay_alu instid0(VALU_DEP_1) | instskip(NEXT) | instid1(VALU_DEP_1)
	v_and_b32_e32 v1, 0xff, v1
	v_cmp_ne_u32_e32 vcc_lo, 0, v1
	s_and_b32 s16, vcc_lo, exec_lo
	s_delay_alu instid0(SALU_CYCLE_1)
	s_or_b32 s11, s11, s16
	s_or_b32 exec_lo, exec_lo, s15
	v_mov_b32_e32 v6, 0
	s_and_saveexec_b32 s15, s11
	s_cbranch_execnz .LBB387_1781
	s_branch .LBB387_1782
.LBB387_2006:
	s_or_b32 s1, s1, exec_lo
	s_trap 2
	s_cbranch_execz .LBB387_1828
	s_branch .LBB387_1829
.LBB387_2007:
	s_and_not1_saveexec_b32 s11, s11
	s_cbranch_execz .LBB387_1793
.LBB387_2008:
	v_add_f32_e32 v1, 0x42800000, v5
	s_and_not1_b32 s10, s10, exec_lo
	s_delay_alu instid0(VALU_DEP_1) | instskip(NEXT) | instid1(VALU_DEP_1)
	v_and_b32_e32 v1, 0xff, v1
	v_cmp_ne_u32_e32 vcc_lo, 0, v1
	s_and_b32 s15, vcc_lo, exec_lo
	s_delay_alu instid0(SALU_CYCLE_1)
	s_or_b32 s10, s10, s15
	s_or_b32 exec_lo, exec_lo, s11
	v_mov_b32_e32 v6, 0
	s_and_saveexec_b32 s11, s10
	s_cbranch_execnz .LBB387_1794
	s_branch .LBB387_1795
.LBB387_2009:
	s_and_not1_saveexec_b32 s6, s6
	s_cbranch_execz .LBB387_1900
.LBB387_2010:
	v_add_f32_e32 v2, 0x46000000, v3
	s_and_not1_b32 s5, s5, exec_lo
	s_delay_alu instid0(VALU_DEP_1) | instskip(NEXT) | instid1(VALU_DEP_1)
	v_and_b32_e32 v2, 0xff, v2
	v_cmp_ne_u32_e32 vcc_lo, 0, v2
	s_and_b32 s7, vcc_lo, exec_lo
	s_delay_alu instid0(SALU_CYCLE_1)
	s_or_b32 s5, s5, s7
	s_or_b32 exec_lo, exec_lo, s6
	v_mov_b32_e32 v4, 0
	s_and_saveexec_b32 s6, s5
	s_cbranch_execnz .LBB387_1901
	s_branch .LBB387_1902
.LBB387_2011:
	s_mov_b32 s3, 0
	s_or_b32 s1, s1, exec_lo
	s_trap 2
	s_branch .LBB387_1946
.LBB387_2012:
	s_and_not1_saveexec_b32 s5, s5
	s_cbranch_execz .LBB387_1912
.LBB387_2013:
	v_add_f32_e32 v2, 0x42800000, v3
	s_and_not1_b32 s4, s4, exec_lo
	s_delay_alu instid0(VALU_DEP_1) | instskip(NEXT) | instid1(VALU_DEP_1)
	v_and_b32_e32 v2, 0xff, v2
	v_cmp_ne_u32_e32 vcc_lo, 0, v2
	s_and_b32 s6, vcc_lo, exec_lo
	s_delay_alu instid0(SALU_CYCLE_1)
	s_or_b32 s4, s4, s6
	s_or_b32 exec_lo, exec_lo, s5
	v_mov_b32_e32 v4, 0
	s_and_saveexec_b32 s5, s4
	s_cbranch_execnz .LBB387_1913
	s_branch .LBB387_1914
	.section	.rodata,"a",@progbits
	.p2align	6, 0x0
	.amdhsa_kernel _ZN2at6native32elementwise_kernel_manual_unrollILi128ELi4EZNS0_15gpu_kernel_implINS0_13AUnaryFunctorIN3c1016Float4_e2m1fn_x2ES5_bNS0_12_GLOBAL__N_116CompareEqFunctorIS5_EEEEEEvRNS_18TensorIteratorBaseERKT_EUlibE_EEviT1_
		.amdhsa_group_segment_fixed_size 0
		.amdhsa_private_segment_fixed_size 0
		.amdhsa_kernarg_size 48
		.amdhsa_user_sgpr_count 2
		.amdhsa_user_sgpr_dispatch_ptr 0
		.amdhsa_user_sgpr_queue_ptr 0
		.amdhsa_user_sgpr_kernarg_segment_ptr 1
		.amdhsa_user_sgpr_dispatch_id 0
		.amdhsa_user_sgpr_kernarg_preload_length 0
		.amdhsa_user_sgpr_kernarg_preload_offset 0
		.amdhsa_user_sgpr_private_segment_size 0
		.amdhsa_wavefront_size32 1
		.amdhsa_uses_dynamic_stack 0
		.amdhsa_enable_private_segment 0
		.amdhsa_system_sgpr_workgroup_id_x 1
		.amdhsa_system_sgpr_workgroup_id_y 0
		.amdhsa_system_sgpr_workgroup_id_z 0
		.amdhsa_system_sgpr_workgroup_info 0
		.amdhsa_system_vgpr_workitem_id 0
		.amdhsa_next_free_vgpr 14
		.amdhsa_next_free_sgpr 30
		.amdhsa_named_barrier_count 0
		.amdhsa_reserve_vcc 1
		.amdhsa_float_round_mode_32 0
		.amdhsa_float_round_mode_16_64 0
		.amdhsa_float_denorm_mode_32 3
		.amdhsa_float_denorm_mode_16_64 3
		.amdhsa_fp16_overflow 0
		.amdhsa_memory_ordered 1
		.amdhsa_forward_progress 1
		.amdhsa_inst_pref_size 255
		.amdhsa_round_robin_scheduling 0
		.amdhsa_exception_fp_ieee_invalid_op 0
		.amdhsa_exception_fp_denorm_src 0
		.amdhsa_exception_fp_ieee_div_zero 0
		.amdhsa_exception_fp_ieee_overflow 0
		.amdhsa_exception_fp_ieee_underflow 0
		.amdhsa_exception_fp_ieee_inexact 0
		.amdhsa_exception_int_div_zero 0
	.end_amdhsa_kernel
	.section	.text._ZN2at6native32elementwise_kernel_manual_unrollILi128ELi4EZNS0_15gpu_kernel_implINS0_13AUnaryFunctorIN3c1016Float4_e2m1fn_x2ES5_bNS0_12_GLOBAL__N_116CompareEqFunctorIS5_EEEEEEvRNS_18TensorIteratorBaseERKT_EUlibE_EEviT1_,"axG",@progbits,_ZN2at6native32elementwise_kernel_manual_unrollILi128ELi4EZNS0_15gpu_kernel_implINS0_13AUnaryFunctorIN3c1016Float4_e2m1fn_x2ES5_bNS0_12_GLOBAL__N_116CompareEqFunctorIS5_EEEEEEvRNS_18TensorIteratorBaseERKT_EUlibE_EEviT1_,comdat
.Lfunc_end387:
	.size	_ZN2at6native32elementwise_kernel_manual_unrollILi128ELi4EZNS0_15gpu_kernel_implINS0_13AUnaryFunctorIN3c1016Float4_e2m1fn_x2ES5_bNS0_12_GLOBAL__N_116CompareEqFunctorIS5_EEEEEEvRNS_18TensorIteratorBaseERKT_EUlibE_EEviT1_, .Lfunc_end387-_ZN2at6native32elementwise_kernel_manual_unrollILi128ELi4EZNS0_15gpu_kernel_implINS0_13AUnaryFunctorIN3c1016Float4_e2m1fn_x2ES5_bNS0_12_GLOBAL__N_116CompareEqFunctorIS5_EEEEEEvRNS_18TensorIteratorBaseERKT_EUlibE_EEviT1_
                                        ; -- End function
	.set _ZN2at6native32elementwise_kernel_manual_unrollILi128ELi4EZNS0_15gpu_kernel_implINS0_13AUnaryFunctorIN3c1016Float4_e2m1fn_x2ES5_bNS0_12_GLOBAL__N_116CompareEqFunctorIS5_EEEEEEvRNS_18TensorIteratorBaseERKT_EUlibE_EEviT1_.num_vgpr, 14
	.set _ZN2at6native32elementwise_kernel_manual_unrollILi128ELi4EZNS0_15gpu_kernel_implINS0_13AUnaryFunctorIN3c1016Float4_e2m1fn_x2ES5_bNS0_12_GLOBAL__N_116CompareEqFunctorIS5_EEEEEEvRNS_18TensorIteratorBaseERKT_EUlibE_EEviT1_.num_agpr, 0
	.set _ZN2at6native32elementwise_kernel_manual_unrollILi128ELi4EZNS0_15gpu_kernel_implINS0_13AUnaryFunctorIN3c1016Float4_e2m1fn_x2ES5_bNS0_12_GLOBAL__N_116CompareEqFunctorIS5_EEEEEEvRNS_18TensorIteratorBaseERKT_EUlibE_EEviT1_.numbered_sgpr, 30
	.set _ZN2at6native32elementwise_kernel_manual_unrollILi128ELi4EZNS0_15gpu_kernel_implINS0_13AUnaryFunctorIN3c1016Float4_e2m1fn_x2ES5_bNS0_12_GLOBAL__N_116CompareEqFunctorIS5_EEEEEEvRNS_18TensorIteratorBaseERKT_EUlibE_EEviT1_.num_named_barrier, 0
	.set _ZN2at6native32elementwise_kernel_manual_unrollILi128ELi4EZNS0_15gpu_kernel_implINS0_13AUnaryFunctorIN3c1016Float4_e2m1fn_x2ES5_bNS0_12_GLOBAL__N_116CompareEqFunctorIS5_EEEEEEvRNS_18TensorIteratorBaseERKT_EUlibE_EEviT1_.private_seg_size, 0
	.set _ZN2at6native32elementwise_kernel_manual_unrollILi128ELi4EZNS0_15gpu_kernel_implINS0_13AUnaryFunctorIN3c1016Float4_e2m1fn_x2ES5_bNS0_12_GLOBAL__N_116CompareEqFunctorIS5_EEEEEEvRNS_18TensorIteratorBaseERKT_EUlibE_EEviT1_.uses_vcc, 1
	.set _ZN2at6native32elementwise_kernel_manual_unrollILi128ELi4EZNS0_15gpu_kernel_implINS0_13AUnaryFunctorIN3c1016Float4_e2m1fn_x2ES5_bNS0_12_GLOBAL__N_116CompareEqFunctorIS5_EEEEEEvRNS_18TensorIteratorBaseERKT_EUlibE_EEviT1_.uses_flat_scratch, 0
	.set _ZN2at6native32elementwise_kernel_manual_unrollILi128ELi4EZNS0_15gpu_kernel_implINS0_13AUnaryFunctorIN3c1016Float4_e2m1fn_x2ES5_bNS0_12_GLOBAL__N_116CompareEqFunctorIS5_EEEEEEvRNS_18TensorIteratorBaseERKT_EUlibE_EEviT1_.has_dyn_sized_stack, 0
	.set _ZN2at6native32elementwise_kernel_manual_unrollILi128ELi4EZNS0_15gpu_kernel_implINS0_13AUnaryFunctorIN3c1016Float4_e2m1fn_x2ES5_bNS0_12_GLOBAL__N_116CompareEqFunctorIS5_EEEEEEvRNS_18TensorIteratorBaseERKT_EUlibE_EEviT1_.has_recursion, 0
	.set _ZN2at6native32elementwise_kernel_manual_unrollILi128ELi4EZNS0_15gpu_kernel_implINS0_13AUnaryFunctorIN3c1016Float4_e2m1fn_x2ES5_bNS0_12_GLOBAL__N_116CompareEqFunctorIS5_EEEEEEvRNS_18TensorIteratorBaseERKT_EUlibE_EEviT1_.has_indirect_call, 0
	.section	.AMDGPU.csdata,"",@progbits
; Kernel info:
; codeLenInByte = 34300
; TotalNumSgprs: 32
; NumVgprs: 14
; ScratchSize: 0
; MemoryBound: 1
; FloatMode: 240
; IeeeMode: 1
; LDSByteSize: 0 bytes/workgroup (compile time only)
; SGPRBlocks: 0
; VGPRBlocks: 0
; NumSGPRsForWavesPerEU: 32
; NumVGPRsForWavesPerEU: 14
; NamedBarCnt: 0
; Occupancy: 16
; WaveLimiterHint : 0
; COMPUTE_PGM_RSRC2:SCRATCH_EN: 0
; COMPUTE_PGM_RSRC2:USER_SGPR: 2
; COMPUTE_PGM_RSRC2:TRAP_HANDLER: 0
; COMPUTE_PGM_RSRC2:TGID_X_EN: 1
; COMPUTE_PGM_RSRC2:TGID_Y_EN: 0
; COMPUTE_PGM_RSRC2:TGID_Z_EN: 0
; COMPUTE_PGM_RSRC2:TIDIG_COMP_CNT: 0
	.section	.text._ZN2at6native32elementwise_kernel_manual_unrollILi128ELi4EZNS0_15gpu_kernel_implINS0_13AUnaryFunctorIN3c1016Float4_e2m1fn_x2ES5_bNS0_12_GLOBAL__N_116CompareEqFunctorIS5_EEEEEEvRNS_18TensorIteratorBaseERKT_EUlibE0_EEviT1_,"axG",@progbits,_ZN2at6native32elementwise_kernel_manual_unrollILi128ELi4EZNS0_15gpu_kernel_implINS0_13AUnaryFunctorIN3c1016Float4_e2m1fn_x2ES5_bNS0_12_GLOBAL__N_116CompareEqFunctorIS5_EEEEEEvRNS_18TensorIteratorBaseERKT_EUlibE0_EEviT1_,comdat
	.globl	_ZN2at6native32elementwise_kernel_manual_unrollILi128ELi4EZNS0_15gpu_kernel_implINS0_13AUnaryFunctorIN3c1016Float4_e2m1fn_x2ES5_bNS0_12_GLOBAL__N_116CompareEqFunctorIS5_EEEEEEvRNS_18TensorIteratorBaseERKT_EUlibE0_EEviT1_ ; -- Begin function _ZN2at6native32elementwise_kernel_manual_unrollILi128ELi4EZNS0_15gpu_kernel_implINS0_13AUnaryFunctorIN3c1016Float4_e2m1fn_x2ES5_bNS0_12_GLOBAL__N_116CompareEqFunctorIS5_EEEEEEvRNS_18TensorIteratorBaseERKT_EUlibE0_EEviT1_
	.p2align	8
	.type	_ZN2at6native32elementwise_kernel_manual_unrollILi128ELi4EZNS0_15gpu_kernel_implINS0_13AUnaryFunctorIN3c1016Float4_e2m1fn_x2ES5_bNS0_12_GLOBAL__N_116CompareEqFunctorIS5_EEEEEEvRNS_18TensorIteratorBaseERKT_EUlibE0_EEviT1_,@function
_ZN2at6native32elementwise_kernel_manual_unrollILi128ELi4EZNS0_15gpu_kernel_implINS0_13AUnaryFunctorIN3c1016Float4_e2m1fn_x2ES5_bNS0_12_GLOBAL__N_116CompareEqFunctorIS5_EEEEEEvRNS_18TensorIteratorBaseERKT_EUlibE0_EEviT1_: ; @_ZN2at6native32elementwise_kernel_manual_unrollILi128ELi4EZNS0_15gpu_kernel_implINS0_13AUnaryFunctorIN3c1016Float4_e2m1fn_x2ES5_bNS0_12_GLOBAL__N_116CompareEqFunctorIS5_EEEEEEvRNS_18TensorIteratorBaseERKT_EUlibE0_EEviT1_
; %bb.0:
	s_clause 0x1
	s_load_b32 s33, s[0:1], 0x8
	s_load_b32 s39, s[0:1], 0x0
	s_bfe_u32 s2, ttmp6, 0x4000c
	s_and_b32 s3, ttmp6, 15
	s_add_co_i32 s2, s2, 1
	s_getreg_b32 s4, hwreg(HW_REG_IB_STS2, 6, 4)
	s_mul_i32 s2, ttmp9, s2
	s_mov_b32 s26, -1
	s_add_co_i32 s3, s3, s2
	s_cmp_eq_u32 s4, 0
	s_add_nc_u64 s[16:17], s[0:1], 8
	s_cselect_b32 s2, ttmp9, s3
	s_mov_b32 s3, 0
	v_lshl_or_b32 v0, s2, 9, v0
	s_mov_b32 s8, 0
	s_wait_xcnt 0x0
	s_mov_b32 s0, exec_lo
	s_delay_alu instid0(VALU_DEP_1) | instskip(SKIP_2) | instid1(SALU_CYCLE_1)
	v_or_b32_e32 v9, 0x180, v0
	s_wait_kmcnt 0x0
	s_add_co_i32 s34, s33, -1
	s_cmp_gt_u32 s34, 1
	s_cselect_b32 s35, -1, 0
	v_cmpx_le_i32_e64 s39, v9
	s_xor_b32 s36, exec_lo, s0
	s_cbranch_execz .LBB388_1080
; %bb.1:
	s_clause 0x4
	s_load_b128 s[8:11], s[16:17], 0x4
	s_load_b96 s[0:2], s[16:17], 0x158
	s_load_b64 s[20:21], s[16:17], 0x14
	s_load_b128 s[12:15], s[16:17], 0xc4
	s_load_b128 s[4:7], s[16:17], 0x148
	s_cmp_lg_u32 s33, 0
	s_mov_b32 s19, 0
	s_cselect_b32 s41, -1, 0
	s_min_u32 s40, s34, 15
	s_cmp_gt_u32 s33, 1
	s_add_nc_u64 s[24:25], s[16:17], 0xc4
	s_cselect_b32 s38, -1, 0
	s_mov_b32 s23, s19
	s_mov_b32 s42, s19
	s_mov_b32 s43, exec_lo
	s_wait_kmcnt 0x0
	s_mov_b32 s18, s9
	s_bfe_u32 s37, s2, 0x80008
	s_cmp_eq_u32 s0, 0
	s_mov_b32 s22, s20
	s_cselect_b32 s9, -1, 0
	s_mov_b32 s20, s19
	v_cmpx_gt_i32_e64 s39, v0
	s_cbranch_execz .LBB388_263
; %bb.2:
	s_and_not1_b32 vcc_lo, exec_lo, s35
	s_cbranch_vccnz .LBB388_8
; %bb.3:
	s_and_not1_b32 vcc_lo, exec_lo, s41
	s_cbranch_vccnz .LBB388_9
; %bb.4:
	s_add_co_i32 s0, s40, 1
	s_cmp_eq_u32 s34, 2
	s_cbranch_scc1 .LBB388_10
; %bb.5:
	v_dual_mov_b32 v2, 0 :: v_dual_mov_b32 v4, 0
	v_mov_b32_e32 v1, v0
	s_and_b32 s26, s0, 28
	s_mov_b32 s20, 0
	s_mov_b64 s[28:29], s[16:17]
	s_mov_b64 s[30:31], s[24:25]
.LBB388_6:                              ; =>This Inner Loop Header: Depth=1
	s_clause 0x1
	s_load_b256 s[44:51], s[28:29], 0x4
	s_load_b128 s[60:63], s[28:29], 0x24
	s_load_b256 s[52:59], s[30:31], 0x0
	s_add_co_i32 s20, s20, 4
	s_wait_xcnt 0x0
	s_add_nc_u64 s[28:29], s[28:29], 48
	s_cmp_lg_u32 s26, s20
	s_add_nc_u64 s[30:31], s[30:31], 32
	s_wait_kmcnt 0x0
	v_mul_hi_u32 v3, s45, v1
	s_delay_alu instid0(VALU_DEP_1) | instskip(NEXT) | instid1(VALU_DEP_1)
	v_add_nc_u32_e32 v3, v1, v3
	v_lshrrev_b32_e32 v3, s46, v3
	s_delay_alu instid0(VALU_DEP_1) | instskip(NEXT) | instid1(VALU_DEP_1)
	v_mul_hi_u32 v5, s48, v3
	v_add_nc_u32_e32 v5, v3, v5
	s_delay_alu instid0(VALU_DEP_1) | instskip(NEXT) | instid1(VALU_DEP_1)
	v_lshrrev_b32_e32 v5, s49, v5
	v_mul_hi_u32 v6, s51, v5
	s_delay_alu instid0(VALU_DEP_1) | instskip(SKIP_1) | instid1(VALU_DEP_1)
	v_add_nc_u32_e32 v6, v5, v6
	v_mul_lo_u32 v7, v3, s44
	v_sub_nc_u32_e32 v1, v1, v7
	v_mul_lo_u32 v7, v5, s47
	s_delay_alu instid0(VALU_DEP_4) | instskip(NEXT) | instid1(VALU_DEP_3)
	v_lshrrev_b32_e32 v6, s60, v6
	v_mad_u32 v4, v1, s53, v4
	v_mad_u32 v1, v1, s52, v2
	s_delay_alu instid0(VALU_DEP_4) | instskip(NEXT) | instid1(VALU_DEP_4)
	v_sub_nc_u32_e32 v2, v3, v7
	v_mul_hi_u32 v8, s62, v6
	v_mul_lo_u32 v3, v6, s50
	s_delay_alu instid0(VALU_DEP_3) | instskip(SKIP_1) | instid1(VALU_DEP_3)
	v_mad_u32 v4, v2, s55, v4
	v_mad_u32 v2, v2, s54, v1
	v_dual_add_nc_u32 v7, v6, v8 :: v_dual_sub_nc_u32 v3, v5, v3
	s_delay_alu instid0(VALU_DEP_1) | instskip(NEXT) | instid1(VALU_DEP_2)
	v_lshrrev_b32_e32 v1, s63, v7
	v_mad_u32 v4, v3, s57, v4
	s_delay_alu instid0(VALU_DEP_4) | instskip(NEXT) | instid1(VALU_DEP_3)
	v_mad_u32 v2, v3, s56, v2
	v_mul_lo_u32 v5, v1, s61
	s_delay_alu instid0(VALU_DEP_1) | instskip(NEXT) | instid1(VALU_DEP_1)
	v_sub_nc_u32_e32 v3, v6, v5
	v_mad_u32 v4, v3, s59, v4
	s_delay_alu instid0(VALU_DEP_4)
	v_mad_u32 v2, v3, s58, v2
	s_cbranch_scc1 .LBB388_6
; %bb.7:
	s_delay_alu instid0(VALU_DEP_2)
	v_mov_b32_e32 v3, v4
	s_and_b32 s0, s0, 3
	s_mov_b32 s27, 0
	s_cmp_eq_u32 s0, 0
	s_cbranch_scc0 .LBB388_11
	s_branch .LBB388_14
.LBB388_8:
                                        ; implicit-def: $vgpr4
                                        ; implicit-def: $vgpr2
	s_branch .LBB388_15
.LBB388_9:
	v_dual_mov_b32 v4, 0 :: v_dual_mov_b32 v2, 0
	s_branch .LBB388_14
.LBB388_10:
	v_mov_b64_e32 v[2:3], 0
	v_mov_b32_e32 v1, v0
	s_mov_b32 s26, 0
                                        ; implicit-def: $vgpr4
	s_and_b32 s0, s0, 3
	s_mov_b32 s27, 0
	s_cmp_eq_u32 s0, 0
	s_cbranch_scc1 .LBB388_14
.LBB388_11:
	s_lshl_b32 s28, s26, 3
	s_mov_b32 s29, s27
	s_mul_u64 s[30:31], s[26:27], 12
	s_add_nc_u64 s[28:29], s[16:17], s[28:29]
	s_delay_alu instid0(SALU_CYCLE_1)
	s_add_nc_u64 s[26:27], s[28:29], 0xc4
	s_add_nc_u64 s[28:29], s[16:17], s[30:31]
.LBB388_12:                             ; =>This Inner Loop Header: Depth=1
	s_load_b96 s[44:46], s[28:29], 0x4
	s_load_b64 s[30:31], s[26:27], 0x0
	s_add_co_i32 s0, s0, -1
	s_wait_xcnt 0x0
	s_add_nc_u64 s[28:29], s[28:29], 12
	s_cmp_lg_u32 s0, 0
	s_add_nc_u64 s[26:27], s[26:27], 8
	s_wait_kmcnt 0x0
	v_mul_hi_u32 v4, s45, v1
	s_delay_alu instid0(VALU_DEP_1) | instskip(NEXT) | instid1(VALU_DEP_1)
	v_add_nc_u32_e32 v4, v1, v4
	v_lshrrev_b32_e32 v4, s46, v4
	s_delay_alu instid0(VALU_DEP_1) | instskip(NEXT) | instid1(VALU_DEP_1)
	v_mul_lo_u32 v5, v4, s44
	v_sub_nc_u32_e32 v1, v1, v5
	s_delay_alu instid0(VALU_DEP_1)
	v_mad_u32 v3, v1, s31, v3
	v_mad_u32 v2, v1, s30, v2
	v_mov_b32_e32 v1, v4
	s_cbranch_scc1 .LBB388_12
; %bb.13:
	s_delay_alu instid0(VALU_DEP_3)
	v_mov_b32_e32 v4, v3
.LBB388_14:
	s_cbranch_execnz .LBB388_17
.LBB388_15:
	v_mov_b32_e32 v1, 0
	s_and_not1_b32 vcc_lo, exec_lo, s38
	s_delay_alu instid0(VALU_DEP_1) | instskip(NEXT) | instid1(VALU_DEP_1)
	v_mul_u64_e32 v[2:3], s[18:19], v[0:1]
	v_add_nc_u32_e32 v2, v0, v3
	s_delay_alu instid0(VALU_DEP_1) | instskip(NEXT) | instid1(VALU_DEP_1)
	v_lshrrev_b32_e32 v6, s10, v2
	v_mul_lo_u32 v2, v6, s8
	s_delay_alu instid0(VALU_DEP_1) | instskip(NEXT) | instid1(VALU_DEP_1)
	v_sub_nc_u32_e32 v2, v0, v2
	v_mul_lo_u32 v4, v2, s13
	v_mul_lo_u32 v2, v2, s12
	s_cbranch_vccnz .LBB388_17
; %bb.16:
	v_mov_b32_e32 v7, v1
	s_delay_alu instid0(VALU_DEP_1) | instskip(NEXT) | instid1(VALU_DEP_1)
	v_mul_u64_e32 v[8:9], s[22:23], v[6:7]
	v_add_nc_u32_e32 v1, v6, v9
	s_delay_alu instid0(VALU_DEP_1) | instskip(NEXT) | instid1(VALU_DEP_1)
	v_lshrrev_b32_e32 v1, s21, v1
	v_mul_lo_u32 v1, v1, s11
	s_delay_alu instid0(VALU_DEP_1) | instskip(NEXT) | instid1(VALU_DEP_1)
	v_sub_nc_u32_e32 v1, v6, v1
	v_mad_u32 v2, v1, s14, v2
	v_mad_u32 v4, v1, s15, v4
.LBB388_17:
	v_mov_b32_e32 v5, 0
	s_and_b32 s0, 0xffff, s37
	s_delay_alu instid0(SALU_CYCLE_1) | instskip(NEXT) | instid1(VALU_DEP_1)
	s_cmp_lt_i32 s0, 11
	v_add_nc_u64_e32 v[4:5], s[6:7], v[4:5]
	s_cbranch_scc1 .LBB388_24
; %bb.18:
	s_cmp_gt_i32 s0, 25
	s_cbranch_scc0 .LBB388_33
; %bb.19:
	s_cmp_gt_i32 s0, 28
	s_cbranch_scc0 .LBB388_36
	;; [unrolled: 3-line block ×4, first 2 shown]
; %bb.22:
	s_cmp_eq_u32 s0, 46
	s_mov_b32 s27, 0
	s_cbranch_scc0 .LBB388_42
; %bb.23:
	global_load_b32 v1, v[4:5], off
	s_mov_b32 s20, -1
	s_mov_b32 s26, 0
	s_wait_loadcnt 0x0
	v_lshlrev_b32_e32 v1, 16, v1
	s_delay_alu instid0(VALU_DEP_1)
	v_cvt_i32_f32_e32 v6, v1
	s_branch .LBB388_44
.LBB388_24:
	s_mov_b32 s26, 0
	s_mov_b32 s20, 0
                                        ; implicit-def: $vgpr6
	s_cbranch_execnz .LBB388_213
.LBB388_25:
	s_and_not1_b32 vcc_lo, exec_lo, s20
	s_cbranch_vccnz .LBB388_260
.LBB388_26:
	s_wait_loadcnt 0x0
	s_delay_alu instid0(VALU_DEP_1) | instskip(SKIP_3) | instid1(VALU_DEP_2)
	v_and_b32_e32 v1, 0xff, v6
	v_mov_b32_e32 v3, 0
	s_and_b32 s0, s1, 0xff
	s_and_b32 s27, s2, 0xff
	v_cmp_ne_u16_e32 vcc_lo, s0, v1
	s_delay_alu instid0(VALU_DEP_2)
	v_add_nc_u64_e32 v[2:3], s[4:5], v[2:3]
	s_xor_b32 s20, s9, vcc_lo
	s_cmp_lt_i32 s27, 11
	s_cbranch_scc1 .LBB388_34
; %bb.27:
	s_and_b32 s28, 0xffff, s27
	s_delay_alu instid0(SALU_CYCLE_1)
	s_cmp_gt_i32 s28, 25
	s_cbranch_scc0 .LBB388_37
; %bb.28:
	s_cmp_gt_i32 s28, 28
	s_cbranch_scc0 .LBB388_39
; %bb.29:
	;; [unrolled: 3-line block ×4, first 2 shown]
	s_mov_b32 s30, 0
	s_mov_b32 s0, -1
	s_cmp_eq_u32 s28, 46
	s_mov_b32 s29, 0
	s_cbranch_scc0 .LBB388_48
; %bb.32:
	v_cndmask_b32_e64 v1, 0, 1.0, s20
	s_mov_b32 s29, -1
	s_mov_b32 s0, 0
	s_delay_alu instid0(VALU_DEP_1) | instskip(NEXT) | instid1(VALU_DEP_1)
	v_bfe_u32 v4, v1, 16, 1
	v_add3_u32 v1, v1, v4, 0x7fff
	s_delay_alu instid0(VALU_DEP_1)
	v_lshrrev_b32_e32 v1, 16, v1
	global_store_b32 v[2:3], v1, off
	s_branch .LBB388_48
.LBB388_33:
	s_mov_b32 s26, 0
	s_mov_b32 s20, 0
                                        ; implicit-def: $vgpr6
	s_cbranch_execnz .LBB388_180
	s_branch .LBB388_212
.LBB388_34:
	s_mov_b32 s0, 0
	s_mov_b32 s29, 0
	s_cbranch_execnz .LBB388_117
.LBB388_35:
	s_and_not1_b32 vcc_lo, exec_lo, s29
	s_cbranch_vccz .LBB388_155
	s_branch .LBB388_261
.LBB388_36:
	s_mov_b32 s27, -1
	s_mov_b32 s26, 0
	s_mov_b32 s20, 0
                                        ; implicit-def: $vgpr6
	s_branch .LBB388_163
.LBB388_37:
	s_mov_b32 s30, -1
	s_mov_b32 s0, 0
	s_mov_b32 s29, 0
	s_branch .LBB388_75
.LBB388_38:
	s_mov_b32 s27, -1
	s_mov_b32 s26, 0
	s_mov_b32 s20, 0
                                        ; implicit-def: $vgpr6
	s_branch .LBB388_158
.LBB388_39:
	s_mov_b32 s30, -1
	s_mov_b32 s0, 0
	s_mov_b32 s29, 0
	s_branch .LBB388_58
.LBB388_40:
	s_mov_b32 s27, -1
	s_mov_b32 s26, 0
	s_branch .LBB388_43
.LBB388_41:
	s_mov_b32 s30, -1
	s_mov_b32 s0, 0
	s_mov_b32 s29, 0
	s_branch .LBB388_54
.LBB388_42:
	s_mov_b32 s26, -1
.LBB388_43:
	s_mov_b32 s20, 0
                                        ; implicit-def: $vgpr6
.LBB388_44:
	s_and_b32 vcc_lo, exec_lo, s27
	s_cbranch_vccz .LBB388_157
; %bb.45:
	s_cmp_eq_u32 s0, 44
	s_cbranch_scc0 .LBB388_156
; %bb.46:
	global_load_u8 v1, v[4:5], off
	s_mov_b32 s26, 0
	s_mov_b32 s20, -1
	s_wait_loadcnt 0x0
	v_lshlrev_b32_e32 v3, 23, v1
	v_cmp_ne_u32_e32 vcc_lo, 0, v1
	s_delay_alu instid0(VALU_DEP_2) | instskip(NEXT) | instid1(VALU_DEP_1)
	v_cvt_i32_f32_e32 v3, v3
	v_cndmask_b32_e32 v6, 0, v3, vcc_lo
	s_branch .LBB388_157
.LBB388_47:
	s_mov_b32 s30, -1
	s_mov_b32 s0, 0
	s_mov_b32 s29, 0
.LBB388_48:
	s_and_b32 vcc_lo, exec_lo, s30
	s_cbranch_vccz .LBB388_53
; %bb.49:
	s_cmp_eq_u32 s28, 44
	s_mov_b32 s0, -1
	s_cbranch_scc0 .LBB388_53
; %bb.50:
	v_cndmask_b32_e64 v5, 0, 1.0, s20
	s_mov_b32 s29, exec_lo
	s_wait_xcnt 0x0
	s_delay_alu instid0(VALU_DEP_1) | instskip(NEXT) | instid1(VALU_DEP_1)
	v_dual_mov_b32 v4, 0xff :: v_dual_lshrrev_b32 v1, 23, v5
	v_cmpx_ne_u32_e32 0xff, v1
; %bb.51:
	v_and_b32_e32 v4, 0x400000, v5
	v_and_or_b32 v5, 0x3fffff, v5, v1
	s_delay_alu instid0(VALU_DEP_2) | instskip(NEXT) | instid1(VALU_DEP_2)
	v_cmp_ne_u32_e32 vcc_lo, 0, v4
	v_cmp_ne_u32_e64 s0, 0, v5
	s_and_b32 s0, vcc_lo, s0
	s_delay_alu instid0(SALU_CYCLE_1) | instskip(NEXT) | instid1(VALU_DEP_1)
	v_cndmask_b32_e64 v4, 0, 1, s0
	v_add_nc_u32_e32 v4, v1, v4
; %bb.52:
	s_or_b32 exec_lo, exec_lo, s29
	s_mov_b32 s29, -1
	s_mov_b32 s0, 0
	global_store_b8 v[2:3], v4, off
.LBB388_53:
	s_mov_b32 s30, 0
.LBB388_54:
	s_delay_alu instid0(SALU_CYCLE_1)
	s_and_b32 vcc_lo, exec_lo, s30
	s_cbranch_vccz .LBB388_57
; %bb.55:
	s_cmp_eq_u32 s28, 29
	s_mov_b32 s0, -1
	s_cbranch_scc0 .LBB388_57
; %bb.56:
	s_mov_b32 s0, 0
	s_wait_xcnt 0x0
	v_cndmask_b32_e64 v4, 0, 1, s20
	v_mov_b32_e32 v5, s0
	s_mov_b32 s29, -1
	s_mov_b32 s30, 0
	global_store_b64 v[2:3], v[4:5], off
	s_branch .LBB388_58
.LBB388_57:
	s_mov_b32 s30, 0
.LBB388_58:
	s_delay_alu instid0(SALU_CYCLE_1)
	s_and_b32 vcc_lo, exec_lo, s30
	s_cbranch_vccz .LBB388_74
; %bb.59:
	s_cmp_lt_i32 s28, 27
	s_mov_b32 s29, -1
	s_cbranch_scc1 .LBB388_65
; %bb.60:
	s_cmp_gt_i32 s28, 27
	s_cbranch_scc0 .LBB388_62
; %bb.61:
	s_wait_xcnt 0x0
	v_cndmask_b32_e64 v1, 0, 1, s20
	s_mov_b32 s29, 0
	global_store_b32 v[2:3], v1, off
.LBB388_62:
	s_and_not1_b32 vcc_lo, exec_lo, s29
	s_cbranch_vccnz .LBB388_64
; %bb.63:
	s_wait_xcnt 0x0
	v_cndmask_b32_e64 v1, 0, 1, s20
	global_store_b16 v[2:3], v1, off
.LBB388_64:
	s_mov_b32 s29, 0
.LBB388_65:
	s_delay_alu instid0(SALU_CYCLE_1)
	s_and_not1_b32 vcc_lo, exec_lo, s29
	s_cbranch_vccnz .LBB388_73
; %bb.66:
	s_wait_xcnt 0x0
	v_cndmask_b32_e64 v4, 0, 1.0, s20
	v_mov_b32_e32 v5, 0x80
	s_mov_b32 s29, exec_lo
	s_delay_alu instid0(VALU_DEP_2)
	v_cmpx_gt_u32_e32 0x43800000, v4
	s_cbranch_execz .LBB388_72
; %bb.67:
	s_mov_b32 s30, 0
	s_mov_b32 s31, exec_lo
                                        ; implicit-def: $vgpr1
	v_cmpx_lt_u32_e32 0x3bffffff, v4
	s_xor_b32 s31, exec_lo, s31
	s_cbranch_execz .LBB388_306
; %bb.68:
	v_bfe_u32 v1, v4, 20, 1
	s_mov_b32 s30, exec_lo
	s_delay_alu instid0(VALU_DEP_1) | instskip(NEXT) | instid1(VALU_DEP_1)
	v_add3_u32 v1, v4, v1, 0x487ffff
                                        ; implicit-def: $vgpr4
	v_lshrrev_b32_e32 v1, 20, v1
	s_and_not1_saveexec_b32 s31, s31
	s_cbranch_execnz .LBB388_307
.LBB388_69:
	s_or_b32 exec_lo, exec_lo, s31
	v_mov_b32_e32 v5, 0
	s_and_saveexec_b32 s31, s30
.LBB388_70:
	v_mov_b32_e32 v5, v1
.LBB388_71:
	s_or_b32 exec_lo, exec_lo, s31
.LBB388_72:
	s_delay_alu instid0(SALU_CYCLE_1)
	s_or_b32 exec_lo, exec_lo, s29
	global_store_b8 v[2:3], v5, off
.LBB388_73:
	s_mov_b32 s29, -1
.LBB388_74:
	s_mov_b32 s30, 0
.LBB388_75:
	s_delay_alu instid0(SALU_CYCLE_1)
	s_and_b32 vcc_lo, exec_lo, s30
	s_cbranch_vccz .LBB388_116
; %bb.76:
	s_cmp_gt_i32 s28, 22
	s_mov_b32 s30, -1
	s_cbranch_scc0 .LBB388_108
; %bb.77:
	s_cmp_lt_i32 s28, 24
	s_mov_b32 s29, -1
	s_cbranch_scc1 .LBB388_97
; %bb.78:
	s_cmp_gt_i32 s28, 24
	s_cbranch_scc0 .LBB388_86
; %bb.79:
	s_wait_xcnt 0x0
	v_cndmask_b32_e64 v4, 0, 1.0, s20
	v_mov_b32_e32 v5, 0x80
	s_mov_b32 s29, exec_lo
	s_delay_alu instid0(VALU_DEP_2)
	v_cmpx_gt_u32_e32 0x47800000, v4
	s_cbranch_execz .LBB388_85
; %bb.80:
	s_mov_b32 s30, 0
	s_mov_b32 s31, exec_lo
                                        ; implicit-def: $vgpr1
	v_cmpx_lt_u32_e32 0x37ffffff, v4
	s_xor_b32 s31, exec_lo, s31
	s_cbranch_execz .LBB388_310
; %bb.81:
	v_bfe_u32 v1, v4, 21, 1
	s_mov_b32 s30, exec_lo
	s_delay_alu instid0(VALU_DEP_1) | instskip(NEXT) | instid1(VALU_DEP_1)
	v_add3_u32 v1, v4, v1, 0x88fffff
                                        ; implicit-def: $vgpr4
	v_lshrrev_b32_e32 v1, 21, v1
	s_and_not1_saveexec_b32 s31, s31
	s_cbranch_execnz .LBB388_311
.LBB388_82:
	s_or_b32 exec_lo, exec_lo, s31
	v_mov_b32_e32 v5, 0
	s_and_saveexec_b32 s31, s30
.LBB388_83:
	v_mov_b32_e32 v5, v1
.LBB388_84:
	s_or_b32 exec_lo, exec_lo, s31
.LBB388_85:
	s_delay_alu instid0(SALU_CYCLE_1)
	s_or_b32 exec_lo, exec_lo, s29
	s_mov_b32 s29, 0
	global_store_b8 v[2:3], v5, off
.LBB388_86:
	s_and_b32 vcc_lo, exec_lo, s29
	s_cbranch_vccz .LBB388_96
; %bb.87:
	s_wait_xcnt 0x0
	v_cndmask_b32_e64 v4, 0, 1.0, s20
	s_mov_b32 s29, exec_lo
                                        ; implicit-def: $vgpr1
	s_delay_alu instid0(VALU_DEP_1)
	v_cmpx_gt_u32_e32 0x43f00000, v4
	s_xor_b32 s29, exec_lo, s29
	s_cbranch_execz .LBB388_93
; %bb.88:
	s_mov_b32 s30, exec_lo
                                        ; implicit-def: $vgpr1
	v_cmpx_lt_u32_e32 0x3c7fffff, v4
	s_xor_b32 s30, exec_lo, s30
; %bb.89:
	v_bfe_u32 v1, v4, 20, 1
	s_delay_alu instid0(VALU_DEP_1) | instskip(NEXT) | instid1(VALU_DEP_1)
	v_add3_u32 v1, v4, v1, 0x407ffff
	v_and_b32_e32 v4, 0xff00000, v1
	v_lshrrev_b32_e32 v1, 20, v1
	s_delay_alu instid0(VALU_DEP_2) | instskip(NEXT) | instid1(VALU_DEP_2)
	v_cmp_ne_u32_e32 vcc_lo, 0x7f00000, v4
                                        ; implicit-def: $vgpr4
	v_cndmask_b32_e32 v1, 0x7e, v1, vcc_lo
; %bb.90:
	s_and_not1_saveexec_b32 s30, s30
; %bb.91:
	v_add_f32_e32 v1, 0x46800000, v4
; %bb.92:
	s_or_b32 exec_lo, exec_lo, s30
                                        ; implicit-def: $vgpr4
.LBB388_93:
	s_and_not1_saveexec_b32 s29, s29
; %bb.94:
	v_mov_b32_e32 v1, 0x7f
	v_cmp_lt_u32_e32 vcc_lo, 0x7f800000, v4
	s_delay_alu instid0(VALU_DEP_2)
	v_cndmask_b32_e32 v1, 0x7e, v1, vcc_lo
; %bb.95:
	s_or_b32 exec_lo, exec_lo, s29
	global_store_b8 v[2:3], v1, off
.LBB388_96:
	s_mov_b32 s29, 0
.LBB388_97:
	s_delay_alu instid0(SALU_CYCLE_1)
	s_and_not1_b32 vcc_lo, exec_lo, s29
	s_cbranch_vccnz .LBB388_107
; %bb.98:
	s_wait_xcnt 0x0
	v_cndmask_b32_e64 v4, 0, 1.0, s20
	s_mov_b32 s29, exec_lo
                                        ; implicit-def: $vgpr1
	s_delay_alu instid0(VALU_DEP_1)
	v_cmpx_gt_u32_e32 0x47800000, v4
	s_xor_b32 s29, exec_lo, s29
	s_cbranch_execz .LBB388_104
; %bb.99:
	s_mov_b32 s30, exec_lo
                                        ; implicit-def: $vgpr1
	v_cmpx_lt_u32_e32 0x387fffff, v4
	s_xor_b32 s30, exec_lo, s30
; %bb.100:
	v_bfe_u32 v1, v4, 21, 1
	s_delay_alu instid0(VALU_DEP_1) | instskip(NEXT) | instid1(VALU_DEP_1)
	v_add3_u32 v1, v4, v1, 0x80fffff
                                        ; implicit-def: $vgpr4
	v_lshrrev_b32_e32 v1, 21, v1
; %bb.101:
	s_and_not1_saveexec_b32 s30, s30
; %bb.102:
	v_add_f32_e32 v1, 0x43000000, v4
; %bb.103:
	s_or_b32 exec_lo, exec_lo, s30
                                        ; implicit-def: $vgpr4
.LBB388_104:
	s_and_not1_saveexec_b32 s29, s29
; %bb.105:
	v_mov_b32_e32 v1, 0x7f
	v_cmp_lt_u32_e32 vcc_lo, 0x7f800000, v4
	s_delay_alu instid0(VALU_DEP_2)
	v_cndmask_b32_e32 v1, 0x7c, v1, vcc_lo
; %bb.106:
	s_or_b32 exec_lo, exec_lo, s29
	global_store_b8 v[2:3], v1, off
.LBB388_107:
	s_mov_b32 s30, 0
	s_mov_b32 s29, -1
.LBB388_108:
	s_and_not1_b32 vcc_lo, exec_lo, s30
	s_cbranch_vccnz .LBB388_116
; %bb.109:
	s_cmp_gt_i32 s28, 14
	s_mov_b32 s30, -1
	s_cbranch_scc0 .LBB388_113
; %bb.110:
	s_cmp_eq_u32 s28, 15
	s_mov_b32 s0, -1
	s_cbranch_scc0 .LBB388_112
; %bb.111:
	s_wait_xcnt 0x0
	v_cndmask_b32_e64 v1, 0, 1.0, s20
	s_mov_b32 s29, -1
	s_mov_b32 s0, 0
	s_delay_alu instid0(VALU_DEP_1) | instskip(NEXT) | instid1(VALU_DEP_1)
	v_bfe_u32 v4, v1, 16, 1
	v_add3_u32 v1, v1, v4, 0x7fff
	global_store_d16_hi_b16 v[2:3], v1, off
.LBB388_112:
	s_mov_b32 s30, 0
.LBB388_113:
	s_delay_alu instid0(SALU_CYCLE_1)
	s_and_b32 vcc_lo, exec_lo, s30
	s_cbranch_vccz .LBB388_116
; %bb.114:
	s_cmp_eq_u32 s28, 11
	s_mov_b32 s0, -1
	s_cbranch_scc0 .LBB388_116
; %bb.115:
	s_wait_xcnt 0x0
	v_cndmask_b32_e64 v1, 0, 1, s20
	s_mov_b32 s29, -1
	s_mov_b32 s0, 0
	global_store_b8 v[2:3], v1, off
.LBB388_116:
	s_branch .LBB388_35
.LBB388_117:
	s_and_b32 s27, 0xffff, s27
	s_mov_b32 s28, -1
	s_cmp_lt_i32 s27, 5
	s_cbranch_scc1 .LBB388_138
; %bb.118:
	s_cmp_lt_i32 s27, 8
	s_cbranch_scc1 .LBB388_128
; %bb.119:
	;; [unrolled: 3-line block ×3, first 2 shown]
	s_cmp_gt_i32 s27, 9
	s_cbranch_scc0 .LBB388_122
; %bb.121:
	s_wait_xcnt 0x0
	v_cndmask_b32_e64 v1, 0, 1, s20
	v_mov_b32_e32 v6, 0
	s_mov_b32 s28, 0
	s_delay_alu instid0(VALU_DEP_2) | instskip(NEXT) | instid1(VALU_DEP_2)
	v_cvt_f64_u32_e32 v[4:5], v1
	v_mov_b32_e32 v7, v6
	global_store_b128 v[2:3], v[4:7], off
.LBB388_122:
	s_and_not1_b32 vcc_lo, exec_lo, s28
	s_cbranch_vccnz .LBB388_124
; %bb.123:
	s_wait_xcnt 0x0
	v_cndmask_b32_e64 v4, 0, 1.0, s20
	v_mov_b32_e32 v5, 0
	global_store_b64 v[2:3], v[4:5], off
.LBB388_124:
	s_mov_b32 s28, 0
.LBB388_125:
	s_delay_alu instid0(SALU_CYCLE_1)
	s_and_not1_b32 vcc_lo, exec_lo, s28
	s_cbranch_vccnz .LBB388_127
; %bb.126:
	s_wait_xcnt 0x0
	v_cndmask_b32_e64 v1, 0, 1.0, s20
	s_delay_alu instid0(VALU_DEP_1) | instskip(NEXT) | instid1(VALU_DEP_1)
	v_cvt_f16_f32_e32 v1, v1
	v_and_b32_e32 v1, 0xffff, v1
	global_store_b32 v[2:3], v1, off
.LBB388_127:
	s_mov_b32 s28, 0
.LBB388_128:
	s_delay_alu instid0(SALU_CYCLE_1)
	s_and_not1_b32 vcc_lo, exec_lo, s28
	s_cbranch_vccnz .LBB388_137
; %bb.129:
	s_cmp_lt_i32 s27, 6
	s_mov_b32 s28, -1
	s_cbranch_scc1 .LBB388_135
; %bb.130:
	s_cmp_gt_i32 s27, 6
	s_cbranch_scc0 .LBB388_132
; %bb.131:
	s_wait_xcnt 0x0
	v_cndmask_b32_e64 v1, 0, 1, s20
	s_mov_b32 s28, 0
	s_delay_alu instid0(VALU_DEP_1)
	v_cvt_f64_u32_e32 v[4:5], v1
	global_store_b64 v[2:3], v[4:5], off
.LBB388_132:
	s_and_not1_b32 vcc_lo, exec_lo, s28
	s_cbranch_vccnz .LBB388_134
; %bb.133:
	s_wait_xcnt 0x0
	v_cndmask_b32_e64 v1, 0, 1.0, s20
	global_store_b32 v[2:3], v1, off
.LBB388_134:
	s_mov_b32 s28, 0
.LBB388_135:
	s_delay_alu instid0(SALU_CYCLE_1)
	s_and_not1_b32 vcc_lo, exec_lo, s28
	s_cbranch_vccnz .LBB388_137
; %bb.136:
	s_wait_xcnt 0x0
	v_cndmask_b32_e64 v1, 0, 1.0, s20
	s_delay_alu instid0(VALU_DEP_1)
	v_cvt_f16_f32_e32 v1, v1
	global_store_b16 v[2:3], v1, off
.LBB388_137:
	s_mov_b32 s28, 0
.LBB388_138:
	s_delay_alu instid0(SALU_CYCLE_1)
	s_and_not1_b32 vcc_lo, exec_lo, s28
	s_cbranch_vccnz .LBB388_154
; %bb.139:
	s_cmp_lt_i32 s27, 2
	s_mov_b32 s28, -1
	s_cbranch_scc1 .LBB388_149
; %bb.140:
	s_cmp_lt_i32 s27, 3
	s_cbranch_scc1 .LBB388_146
; %bb.141:
	s_cmp_gt_i32 s27, 3
	s_cbranch_scc0 .LBB388_143
; %bb.142:
	s_mov_b32 s28, 0
	s_wait_xcnt 0x0
	v_cndmask_b32_e64 v4, 0, 1, s20
	v_mov_b32_e32 v5, s28
	global_store_b64 v[2:3], v[4:5], off
.LBB388_143:
	s_and_not1_b32 vcc_lo, exec_lo, s28
	s_cbranch_vccnz .LBB388_145
; %bb.144:
	s_wait_xcnt 0x0
	v_cndmask_b32_e64 v1, 0, 1, s20
	global_store_b32 v[2:3], v1, off
.LBB388_145:
	s_mov_b32 s28, 0
.LBB388_146:
	s_delay_alu instid0(SALU_CYCLE_1)
	s_and_not1_b32 vcc_lo, exec_lo, s28
	s_cbranch_vccnz .LBB388_148
; %bb.147:
	s_wait_xcnt 0x0
	v_cndmask_b32_e64 v1, 0, 1, s20
	global_store_b16 v[2:3], v1, off
.LBB388_148:
	s_mov_b32 s28, 0
.LBB388_149:
	s_delay_alu instid0(SALU_CYCLE_1)
	s_and_not1_b32 vcc_lo, exec_lo, s28
	s_cbranch_vccnz .LBB388_154
; %bb.150:
	s_cmp_gt_i32 s27, 0
	s_mov_b32 s27, -1
	s_cbranch_scc0 .LBB388_152
; %bb.151:
	s_wait_xcnt 0x0
	v_cndmask_b32_e64 v1, 0, 1, s20
	s_mov_b32 s27, 0
	global_store_b8 v[2:3], v1, off
.LBB388_152:
	s_and_not1_b32 vcc_lo, exec_lo, s27
	s_cbranch_vccnz .LBB388_154
; %bb.153:
	s_wait_xcnt 0x0
	v_cndmask_b32_e64 v1, 0, 1, s20
	global_store_b8 v[2:3], v1, off
.LBB388_154:
.LBB388_155:
	v_add_nc_u32_e32 v0, 0x80, v0
	s_mov_b32 s27, -1
	s_branch .LBB388_262
.LBB388_156:
	s_mov_b32 s26, -1
                                        ; implicit-def: $vgpr6
.LBB388_157:
	s_mov_b32 s27, 0
.LBB388_158:
	s_delay_alu instid0(SALU_CYCLE_1)
	s_and_b32 vcc_lo, exec_lo, s27
	s_cbranch_vccz .LBB388_162
; %bb.159:
	s_cmp_eq_u32 s0, 29
	s_cbranch_scc0 .LBB388_161
; %bb.160:
	global_load_b64 v[6:7], v[4:5], off
	s_mov_b32 s20, -1
	s_mov_b32 s26, 0
	s_branch .LBB388_162
.LBB388_161:
	s_mov_b32 s26, -1
                                        ; implicit-def: $vgpr6
.LBB388_162:
	s_mov_b32 s27, 0
.LBB388_163:
	s_delay_alu instid0(SALU_CYCLE_1)
	s_and_b32 vcc_lo, exec_lo, s27
	s_cbranch_vccz .LBB388_179
; %bb.164:
	s_cmp_lt_i32 s0, 27
	s_cbranch_scc1 .LBB388_167
; %bb.165:
	s_cmp_gt_i32 s0, 27
	s_cbranch_scc0 .LBB388_168
; %bb.166:
	s_wait_loadcnt 0x0
	global_load_b32 v6, v[4:5], off
	s_mov_b32 s20, 0
	s_branch .LBB388_169
.LBB388_167:
	s_mov_b32 s20, -1
                                        ; implicit-def: $vgpr6
	s_branch .LBB388_172
.LBB388_168:
	s_mov_b32 s20, -1
                                        ; implicit-def: $vgpr6
.LBB388_169:
	s_delay_alu instid0(SALU_CYCLE_1)
	s_and_not1_b32 vcc_lo, exec_lo, s20
	s_cbranch_vccnz .LBB388_171
; %bb.170:
	s_wait_loadcnt 0x0
	global_load_u16 v6, v[4:5], off
.LBB388_171:
	s_mov_b32 s20, 0
.LBB388_172:
	s_delay_alu instid0(SALU_CYCLE_1)
	s_and_not1_b32 vcc_lo, exec_lo, s20
	s_cbranch_vccnz .LBB388_178
; %bb.173:
	global_load_u8 v1, v[4:5], off
	s_mov_b32 s27, 0
	s_mov_b32 s20, exec_lo
	s_wait_loadcnt 0x0
	v_cmpx_lt_i16_e32 0x7f, v1
	s_xor_b32 s20, exec_lo, s20
	s_cbranch_execz .LBB388_189
; %bb.174:
	v_cmp_ne_u16_e32 vcc_lo, 0x80, v1
	s_and_b32 s27, vcc_lo, exec_lo
	s_and_not1_saveexec_b32 s20, s20
	s_cbranch_execnz .LBB388_190
.LBB388_175:
	s_or_b32 exec_lo, exec_lo, s20
	v_mov_b32_e32 v6, 0
	s_and_saveexec_b32 s20, s27
	s_cbranch_execz .LBB388_177
.LBB388_176:
	v_and_b32_e32 v3, 0xffff, v1
	s_delay_alu instid0(VALU_DEP_1) | instskip(SKIP_1) | instid1(VALU_DEP_2)
	v_dual_lshlrev_b32 v1, 24, v1 :: v_dual_bitop2_b32 v6, 7, v3 bitop3:0x40
	v_bfe_u32 v9, v3, 3, 4
	v_and_b32_e32 v1, 0x80000000, v1
	s_delay_alu instid0(VALU_DEP_3) | instskip(NEXT) | instid1(VALU_DEP_3)
	v_clz_i32_u32_e32 v7, v6
	v_cmp_eq_u32_e32 vcc_lo, 0, v9
	s_delay_alu instid0(VALU_DEP_2) | instskip(NEXT) | instid1(VALU_DEP_1)
	v_min_u32_e32 v7, 32, v7
	v_subrev_nc_u32_e32 v8, 28, v7
	v_sub_nc_u32_e32 v7, 29, v7
	s_delay_alu instid0(VALU_DEP_2) | instskip(NEXT) | instid1(VALU_DEP_2)
	v_lshlrev_b32_e32 v3, v8, v3
	v_cndmask_b32_e32 v7, v9, v7, vcc_lo
	s_delay_alu instid0(VALU_DEP_2) | instskip(NEXT) | instid1(VALU_DEP_1)
	v_and_b32_e32 v3, 7, v3
	v_cndmask_b32_e32 v3, v6, v3, vcc_lo
	s_delay_alu instid0(VALU_DEP_3) | instskip(NEXT) | instid1(VALU_DEP_2)
	v_lshl_add_u32 v6, v7, 23, 0x3b800000
	v_lshlrev_b32_e32 v3, 20, v3
	s_delay_alu instid0(VALU_DEP_1) | instskip(NEXT) | instid1(VALU_DEP_1)
	v_or3_b32 v1, v1, v6, v3
	v_cvt_i32_f32_e32 v6, v1
.LBB388_177:
	s_or_b32 exec_lo, exec_lo, s20
.LBB388_178:
	s_mov_b32 s20, -1
.LBB388_179:
	s_branch .LBB388_212
.LBB388_180:
	s_cmp_gt_i32 s0, 22
	s_cbranch_scc0 .LBB388_188
; %bb.181:
	s_cmp_lt_i32 s0, 24
	s_cbranch_scc1 .LBB388_191
; %bb.182:
	s_cmp_gt_i32 s0, 24
	s_cbranch_scc0 .LBB388_192
; %bb.183:
	global_load_u8 v1, v[4:5], off
	s_mov_b32 s27, 0
	s_mov_b32 s20, exec_lo
	s_wait_loadcnt 0x0
	v_cmpx_lt_i16_e32 0x7f, v1
	s_xor_b32 s20, exec_lo, s20
	s_cbranch_execz .LBB388_204
; %bb.184:
	v_cmp_ne_u16_e32 vcc_lo, 0x80, v1
	s_and_b32 s27, vcc_lo, exec_lo
	s_and_not1_saveexec_b32 s20, s20
	s_cbranch_execnz .LBB388_205
.LBB388_185:
	s_or_b32 exec_lo, exec_lo, s20
	v_mov_b32_e32 v6, 0
	s_and_saveexec_b32 s20, s27
	s_cbranch_execz .LBB388_187
.LBB388_186:
	v_and_b32_e32 v3, 0xffff, v1
	s_delay_alu instid0(VALU_DEP_1) | instskip(SKIP_1) | instid1(VALU_DEP_2)
	v_dual_lshlrev_b32 v1, 24, v1 :: v_dual_bitop2_b32 v6, 3, v3 bitop3:0x40
	v_bfe_u32 v9, v3, 2, 5
	v_and_b32_e32 v1, 0x80000000, v1
	s_delay_alu instid0(VALU_DEP_3) | instskip(NEXT) | instid1(VALU_DEP_3)
	v_clz_i32_u32_e32 v7, v6
	v_cmp_eq_u32_e32 vcc_lo, 0, v9
	s_delay_alu instid0(VALU_DEP_2) | instskip(NEXT) | instid1(VALU_DEP_1)
	v_min_u32_e32 v7, 32, v7
	v_subrev_nc_u32_e32 v8, 29, v7
	v_sub_nc_u32_e32 v7, 30, v7
	s_delay_alu instid0(VALU_DEP_2) | instskip(NEXT) | instid1(VALU_DEP_2)
	v_lshlrev_b32_e32 v3, v8, v3
	v_cndmask_b32_e32 v7, v9, v7, vcc_lo
	s_delay_alu instid0(VALU_DEP_2) | instskip(NEXT) | instid1(VALU_DEP_1)
	v_and_b32_e32 v3, 3, v3
	v_cndmask_b32_e32 v3, v6, v3, vcc_lo
	s_delay_alu instid0(VALU_DEP_3) | instskip(NEXT) | instid1(VALU_DEP_2)
	v_lshl_add_u32 v6, v7, 23, 0x37800000
	v_lshlrev_b32_e32 v3, 21, v3
	s_delay_alu instid0(VALU_DEP_1) | instskip(NEXT) | instid1(VALU_DEP_1)
	v_or3_b32 v1, v1, v6, v3
	v_cvt_i32_f32_e32 v6, v1
.LBB388_187:
	s_or_b32 exec_lo, exec_lo, s20
	s_mov_b32 s20, 0
	s_branch .LBB388_193
.LBB388_188:
	s_mov_b32 s27, -1
                                        ; implicit-def: $vgpr6
	s_branch .LBB388_199
.LBB388_189:
	s_and_not1_saveexec_b32 s20, s20
	s_cbranch_execz .LBB388_175
.LBB388_190:
	v_cmp_ne_u16_e32 vcc_lo, 0, v1
	s_and_not1_b32 s27, s27, exec_lo
	s_and_b32 s28, vcc_lo, exec_lo
	s_delay_alu instid0(SALU_CYCLE_1)
	s_or_b32 s27, s27, s28
	s_or_b32 exec_lo, exec_lo, s20
	v_mov_b32_e32 v6, 0
	s_and_saveexec_b32 s20, s27
	s_cbranch_execnz .LBB388_176
	s_branch .LBB388_177
.LBB388_191:
	s_mov_b32 s20, -1
                                        ; implicit-def: $vgpr6
	s_branch .LBB388_196
.LBB388_192:
	s_mov_b32 s20, -1
                                        ; implicit-def: $vgpr6
.LBB388_193:
	s_delay_alu instid0(SALU_CYCLE_1)
	s_and_b32 vcc_lo, exec_lo, s20
	s_cbranch_vccz .LBB388_195
; %bb.194:
	global_load_u8 v1, v[4:5], off
	s_wait_loadcnt 0x0
	v_lshlrev_b32_e32 v1, 24, v1
	s_delay_alu instid0(VALU_DEP_1) | instskip(NEXT) | instid1(VALU_DEP_1)
	v_and_b32_e32 v3, 0x7f000000, v1
	v_clz_i32_u32_e32 v6, v3
	v_cmp_ne_u32_e32 vcc_lo, 0, v3
	v_add_nc_u32_e32 v8, 0x1000000, v3
	s_delay_alu instid0(VALU_DEP_3) | instskip(NEXT) | instid1(VALU_DEP_1)
	v_min_u32_e32 v6, 32, v6
	v_sub_nc_u32_e64 v6, v6, 4 clamp
	s_delay_alu instid0(VALU_DEP_1) | instskip(NEXT) | instid1(VALU_DEP_1)
	v_dual_lshlrev_b32 v7, v6, v3 :: v_dual_lshlrev_b32 v6, 23, v6
	v_lshrrev_b32_e32 v7, 4, v7
	s_delay_alu instid0(VALU_DEP_1) | instskip(NEXT) | instid1(VALU_DEP_1)
	v_dual_sub_nc_u32 v6, v7, v6 :: v_dual_ashrrev_i32 v7, 8, v8
	v_add_nc_u32_e32 v6, 0x3c000000, v6
	s_delay_alu instid0(VALU_DEP_1) | instskip(NEXT) | instid1(VALU_DEP_1)
	v_and_or_b32 v6, 0x7f800000, v7, v6
	v_cndmask_b32_e32 v3, 0, v6, vcc_lo
	s_delay_alu instid0(VALU_DEP_1) | instskip(NEXT) | instid1(VALU_DEP_1)
	v_and_or_b32 v1, 0x80000000, v1, v3
	v_cvt_i32_f32_e32 v6, v1
.LBB388_195:
	s_mov_b32 s20, 0
.LBB388_196:
	s_delay_alu instid0(SALU_CYCLE_1)
	s_and_not1_b32 vcc_lo, exec_lo, s20
	s_cbranch_vccnz .LBB388_198
; %bb.197:
	global_load_u8 v1, v[4:5], off
	s_wait_loadcnt 0x0
	v_lshlrev_b32_e32 v3, 25, v1
	v_lshlrev_b16 v1, 8, v1
	s_delay_alu instid0(VALU_DEP_1) | instskip(SKIP_1) | instid1(VALU_DEP_2)
	v_and_or_b32 v7, 0x7f00, v1, 0.5
	v_bfe_i32 v1, v1, 0, 16
	v_add_f32_e32 v7, -0.5, v7
	v_lshrrev_b32_e32 v6, 4, v3
	v_cmp_gt_u32_e32 vcc_lo, 0x8000000, v3
	s_delay_alu instid0(VALU_DEP_2) | instskip(NEXT) | instid1(VALU_DEP_1)
	v_or_b32_e32 v6, 0x70000000, v6
	v_mul_f32_e32 v6, 0x7800000, v6
	s_delay_alu instid0(VALU_DEP_1) | instskip(NEXT) | instid1(VALU_DEP_1)
	v_cndmask_b32_e32 v3, v6, v7, vcc_lo
	v_and_or_b32 v1, 0x80000000, v1, v3
	s_delay_alu instid0(VALU_DEP_1)
	v_cvt_i32_f32_e32 v6, v1
.LBB388_198:
	s_mov_b32 s27, 0
	s_mov_b32 s20, -1
.LBB388_199:
	s_and_not1_b32 vcc_lo, exec_lo, s27
	s_cbranch_vccnz .LBB388_212
; %bb.200:
	s_cmp_gt_i32 s0, 14
	s_cbranch_scc0 .LBB388_203
; %bb.201:
	s_cmp_eq_u32 s0, 15
	s_cbranch_scc0 .LBB388_206
; %bb.202:
	global_load_u16 v1, v[4:5], off
	s_mov_b32 s20, -1
	s_mov_b32 s26, 0
	s_wait_loadcnt 0x0
	v_lshlrev_b32_e32 v1, 16, v1
	s_delay_alu instid0(VALU_DEP_1)
	v_cvt_i32_f32_e32 v6, v1
	s_branch .LBB388_207
.LBB388_203:
	s_mov_b32 s27, -1
                                        ; implicit-def: $vgpr6
	s_branch .LBB388_208
.LBB388_204:
	s_and_not1_saveexec_b32 s20, s20
	s_cbranch_execz .LBB388_185
.LBB388_205:
	v_cmp_ne_u16_e32 vcc_lo, 0, v1
	s_and_not1_b32 s27, s27, exec_lo
	s_and_b32 s28, vcc_lo, exec_lo
	s_delay_alu instid0(SALU_CYCLE_1)
	s_or_b32 s27, s27, s28
	s_or_b32 exec_lo, exec_lo, s20
	v_mov_b32_e32 v6, 0
	s_and_saveexec_b32 s20, s27
	s_cbranch_execnz .LBB388_186
	s_branch .LBB388_187
.LBB388_206:
	s_mov_b32 s26, -1
                                        ; implicit-def: $vgpr6
.LBB388_207:
	s_mov_b32 s27, 0
.LBB388_208:
	s_delay_alu instid0(SALU_CYCLE_1)
	s_and_b32 vcc_lo, exec_lo, s27
	s_cbranch_vccz .LBB388_212
; %bb.209:
	s_cmp_eq_u32 s0, 11
	s_cbranch_scc0 .LBB388_211
; %bb.210:
	global_load_u8 v1, v[4:5], off
	s_mov_b32 s26, 0
	s_mov_b32 s20, -1
	s_wait_loadcnt 0x0
	v_cmp_ne_u16_e32 vcc_lo, 0, v1
	v_cndmask_b32_e64 v6, 0, 1, vcc_lo
	s_branch .LBB388_212
.LBB388_211:
	s_mov_b32 s26, -1
                                        ; implicit-def: $vgpr6
.LBB388_212:
	s_branch .LBB388_25
.LBB388_213:
	s_cmp_lt_i32 s0, 5
	s_cbranch_scc1 .LBB388_218
; %bb.214:
	s_cmp_lt_i32 s0, 8
	s_cbranch_scc1 .LBB388_219
; %bb.215:
	;; [unrolled: 3-line block ×3, first 2 shown]
	s_cmp_gt_i32 s0, 9
	s_cbranch_scc0 .LBB388_221
; %bb.217:
	s_wait_loadcnt 0x0
	global_load_b64 v[6:7], v[4:5], off
	s_mov_b32 s20, 0
	s_wait_loadcnt 0x0
	v_cvt_i32_f64_e32 v6, v[6:7]
	s_branch .LBB388_222
.LBB388_218:
                                        ; implicit-def: $vgpr6
	s_branch .LBB388_240
.LBB388_219:
	s_mov_b32 s20, -1
                                        ; implicit-def: $vgpr6
	s_branch .LBB388_228
.LBB388_220:
	s_mov_b32 s20, -1
                                        ; implicit-def: $vgpr6
	s_branch .LBB388_225
.LBB388_221:
	s_mov_b32 s20, -1
                                        ; implicit-def: $vgpr6
.LBB388_222:
	s_delay_alu instid0(SALU_CYCLE_1)
	s_and_not1_b32 vcc_lo, exec_lo, s20
	s_cbranch_vccnz .LBB388_224
; %bb.223:
	global_load_b32 v1, v[4:5], off
	s_wait_loadcnt 0x0
	v_cvt_i32_f32_e32 v6, v1
.LBB388_224:
	s_mov_b32 s20, 0
.LBB388_225:
	s_delay_alu instid0(SALU_CYCLE_1)
	s_and_not1_b32 vcc_lo, exec_lo, s20
	s_cbranch_vccnz .LBB388_227
; %bb.226:
	global_load_b32 v1, v[4:5], off
	s_wait_loadcnt 0x0
	v_cvt_i16_f16_e32 v6, v1
.LBB388_227:
	s_mov_b32 s20, 0
.LBB388_228:
	s_delay_alu instid0(SALU_CYCLE_1)
	s_and_not1_b32 vcc_lo, exec_lo, s20
	s_cbranch_vccnz .LBB388_239
; %bb.229:
	s_cmp_lt_i32 s0, 6
	s_cbranch_scc1 .LBB388_232
; %bb.230:
	s_cmp_gt_i32 s0, 6
	s_cbranch_scc0 .LBB388_233
; %bb.231:
	s_wait_loadcnt 0x0
	global_load_b64 v[6:7], v[4:5], off
	s_mov_b32 s20, 0
	s_wait_loadcnt 0x0
	v_cvt_i32_f64_e32 v6, v[6:7]
	s_branch .LBB388_234
.LBB388_232:
	s_mov_b32 s20, -1
                                        ; implicit-def: $vgpr6
	s_branch .LBB388_237
.LBB388_233:
	s_mov_b32 s20, -1
                                        ; implicit-def: $vgpr6
.LBB388_234:
	s_delay_alu instid0(SALU_CYCLE_1)
	s_and_not1_b32 vcc_lo, exec_lo, s20
	s_cbranch_vccnz .LBB388_236
; %bb.235:
	global_load_b32 v1, v[4:5], off
	s_wait_loadcnt 0x0
	v_cvt_i32_f32_e32 v6, v1
.LBB388_236:
	s_mov_b32 s20, 0
.LBB388_237:
	s_delay_alu instid0(SALU_CYCLE_1)
	s_and_not1_b32 vcc_lo, exec_lo, s20
	s_cbranch_vccnz .LBB388_239
; %bb.238:
	global_load_u16 v1, v[4:5], off
	s_wait_loadcnt 0x0
	v_cvt_i16_f16_e32 v6, v1
.LBB388_239:
	s_cbranch_execnz .LBB388_259
.LBB388_240:
	s_cmp_lt_i32 s0, 2
	s_cbranch_scc1 .LBB388_244
; %bb.241:
	s_cmp_lt_i32 s0, 3
	s_cbranch_scc1 .LBB388_245
; %bb.242:
	s_cmp_gt_i32 s0, 3
	s_cbranch_scc0 .LBB388_246
; %bb.243:
	s_wait_loadcnt 0x0
	global_load_b64 v[6:7], v[4:5], off
	s_mov_b32 s20, 0
	s_branch .LBB388_247
.LBB388_244:
	s_mov_b32 s20, -1
                                        ; implicit-def: $vgpr6
	s_branch .LBB388_253
.LBB388_245:
	s_mov_b32 s20, -1
                                        ; implicit-def: $vgpr6
	s_branch .LBB388_250
.LBB388_246:
	s_mov_b32 s20, -1
                                        ; implicit-def: $vgpr6
.LBB388_247:
	s_delay_alu instid0(SALU_CYCLE_1)
	s_and_not1_b32 vcc_lo, exec_lo, s20
	s_cbranch_vccnz .LBB388_249
; %bb.248:
	s_wait_loadcnt 0x0
	global_load_b32 v6, v[4:5], off
.LBB388_249:
	s_mov_b32 s20, 0
.LBB388_250:
	s_delay_alu instid0(SALU_CYCLE_1)
	s_and_not1_b32 vcc_lo, exec_lo, s20
	s_cbranch_vccnz .LBB388_252
; %bb.251:
	s_wait_loadcnt 0x0
	global_load_u16 v6, v[4:5], off
.LBB388_252:
	s_mov_b32 s20, 0
.LBB388_253:
	s_delay_alu instid0(SALU_CYCLE_1)
	s_and_not1_b32 vcc_lo, exec_lo, s20
	s_cbranch_vccnz .LBB388_259
; %bb.254:
	s_cmp_gt_i32 s0, 0
	s_mov_b32 s0, 0
	s_cbranch_scc0 .LBB388_256
; %bb.255:
	s_wait_loadcnt 0x0
	global_load_u8 v6, v[4:5], off
	s_branch .LBB388_257
.LBB388_256:
	s_mov_b32 s0, -1
                                        ; implicit-def: $vgpr6
.LBB388_257:
	s_delay_alu instid0(SALU_CYCLE_1)
	s_and_not1_b32 vcc_lo, exec_lo, s0
	s_cbranch_vccnz .LBB388_259
; %bb.258:
	s_wait_loadcnt 0x0
	global_load_u8 v6, v[4:5], off
.LBB388_259:
	s_branch .LBB388_26
.LBB388_260:
	s_mov_b32 s0, 0
.LBB388_261:
	s_mov_b32 s27, 0
                                        ; implicit-def: $vgpr0
.LBB388_262:
	s_and_b32 s20, s0, exec_lo
	s_and_b32 s42, s26, exec_lo
	s_or_not1_b32 s26, s27, exec_lo
.LBB388_263:
	s_wait_xcnt 0x0
	s_or_b32 exec_lo, exec_lo, s43
	s_mov_b32 s27, 0
	s_mov_b32 s0, 0
                                        ; implicit-def: $vgpr4_vgpr5
                                        ; implicit-def: $vgpr2
                                        ; implicit-def: $vgpr6
	s_and_saveexec_b32 s43, s26
	s_cbranch_execz .LBB388_271
; %bb.264:
	s_mov_b32 s0, -1
	s_mov_b32 s44, s42
	s_mov_b32 s45, s20
	s_mov_b32 s46, exec_lo
	v_cmpx_gt_i32_e64 s39, v0
	s_cbranch_execz .LBB388_538
; %bb.265:
	s_and_not1_b32 vcc_lo, exec_lo, s35
	s_cbranch_vccnz .LBB388_274
; %bb.266:
	s_and_not1_b32 vcc_lo, exec_lo, s41
	s_cbranch_vccnz .LBB388_275
; %bb.267:
	s_add_co_i32 s0, s40, 1
	s_cmp_eq_u32 s34, 2
	s_cbranch_scc1 .LBB388_276
; %bb.268:
	v_dual_mov_b32 v2, 0 :: v_dual_mov_b32 v4, 0
	v_mov_b32_e32 v1, v0
	s_and_b32 s26, s0, 28
	s_mov_b64 s[28:29], s[16:17]
	s_mov_b64 s[30:31], s[24:25]
.LBB388_269:                            ; =>This Inner Loop Header: Depth=1
	s_clause 0x1
	s_load_b256 s[48:55], s[28:29], 0x4
	s_load_b128 s[64:67], s[28:29], 0x24
	s_load_b256 s[56:63], s[30:31], 0x0
	s_add_co_i32 s27, s27, 4
	s_wait_xcnt 0x0
	s_add_nc_u64 s[28:29], s[28:29], 48
	s_cmp_eq_u32 s26, s27
	s_add_nc_u64 s[30:31], s[30:31], 32
	s_wait_kmcnt 0x0
	v_mul_hi_u32 v3, s49, v1
	s_delay_alu instid0(VALU_DEP_1) | instskip(NEXT) | instid1(VALU_DEP_1)
	v_add_nc_u32_e32 v3, v1, v3
	v_lshrrev_b32_e32 v3, s50, v3
	s_delay_alu instid0(VALU_DEP_1) | instskip(NEXT) | instid1(VALU_DEP_1)
	v_mul_hi_u32 v5, s52, v3
	v_add_nc_u32_e32 v5, v3, v5
	s_delay_alu instid0(VALU_DEP_1) | instskip(SKIP_1) | instid1(VALU_DEP_1)
	v_lshrrev_b32_e32 v5, s53, v5
	s_wait_loadcnt 0x0
	v_mul_hi_u32 v6, s55, v5
	s_delay_alu instid0(VALU_DEP_1) | instskip(SKIP_1) | instid1(VALU_DEP_1)
	v_add_nc_u32_e32 v6, v5, v6
	v_mul_lo_u32 v7, v3, s48
	v_sub_nc_u32_e32 v1, v1, v7
	v_mul_lo_u32 v7, v5, s51
	s_delay_alu instid0(VALU_DEP_4) | instskip(NEXT) | instid1(VALU_DEP_3)
	v_lshrrev_b32_e32 v6, s64, v6
	v_mad_u32 v4, v1, s57, v4
	v_mad_u32 v1, v1, s56, v2
	s_delay_alu instid0(VALU_DEP_4) | instskip(NEXT) | instid1(VALU_DEP_4)
	v_sub_nc_u32_e32 v2, v3, v7
	v_mul_hi_u32 v8, s66, v6
	v_mul_lo_u32 v3, v6, s54
	s_delay_alu instid0(VALU_DEP_3) | instskip(SKIP_1) | instid1(VALU_DEP_3)
	v_mad_u32 v4, v2, s59, v4
	v_mad_u32 v2, v2, s58, v1
	v_dual_add_nc_u32 v7, v6, v8 :: v_dual_sub_nc_u32 v3, v5, v3
	s_delay_alu instid0(VALU_DEP_1) | instskip(NEXT) | instid1(VALU_DEP_2)
	v_lshrrev_b32_e32 v1, s67, v7
	v_mad_u32 v4, v3, s61, v4
	s_delay_alu instid0(VALU_DEP_4) | instskip(NEXT) | instid1(VALU_DEP_3)
	v_mad_u32 v2, v3, s60, v2
	v_mul_lo_u32 v5, v1, s65
	s_delay_alu instid0(VALU_DEP_1) | instskip(NEXT) | instid1(VALU_DEP_1)
	v_sub_nc_u32_e32 v3, v6, v5
	v_mad_u32 v4, v3, s63, v4
	s_delay_alu instid0(VALU_DEP_4)
	v_mad_u32 v2, v3, s62, v2
	s_cbranch_scc0 .LBB388_269
; %bb.270:
	s_delay_alu instid0(VALU_DEP_2)
	v_mov_b32_e32 v3, v4
	s_branch .LBB388_277
.LBB388_271:
	s_or_b32 exec_lo, exec_lo, s43
	s_mov_b32 s6, 0
	s_and_saveexec_b32 s7, s42
	s_cbranch_execnz .LBB388_912
.LBB388_272:
	s_or_b32 exec_lo, exec_lo, s7
	s_and_saveexec_b32 s7, s19
	s_delay_alu instid0(SALU_CYCLE_1)
	s_xor_b32 s7, exec_lo, s7
	s_cbranch_execz .LBB388_913
.LBB388_273:
	global_load_u8 v0, v[4:5], off
	s_or_b32 s0, s0, exec_lo
	s_wait_loadcnt 0x0
	v_cmp_ne_u16_e32 vcc_lo, 0, v0
	v_cndmask_b32_e64 v6, 0, 1, vcc_lo
	s_wait_xcnt 0x0
	s_or_b32 exec_lo, exec_lo, s7
	s_and_saveexec_b32 s7, s27
	s_cbranch_execz .LBB388_959
	s_branch .LBB388_914
.LBB388_274:
                                        ; implicit-def: $vgpr4
                                        ; implicit-def: $vgpr2
	s_and_not1_b32 vcc_lo, exec_lo, s0
	s_cbranch_vccnz .LBB388_284
	s_branch .LBB388_282
.LBB388_275:
	v_dual_mov_b32 v4, 0 :: v_dual_mov_b32 v2, 0
	s_branch .LBB388_281
.LBB388_276:
	v_mov_b64_e32 v[2:3], 0
	v_mov_b32_e32 v1, v0
	s_mov_b32 s26, 0
                                        ; implicit-def: $vgpr4
.LBB388_277:
	s_and_b32 s0, s0, 3
	s_mov_b32 s27, 0
	s_cmp_eq_u32 s0, 0
	s_cbranch_scc1 .LBB388_281
; %bb.278:
	s_lshl_b32 s28, s26, 3
	s_mov_b32 s29, s27
	s_mul_u64 s[30:31], s[26:27], 12
	s_add_nc_u64 s[28:29], s[16:17], s[28:29]
	s_delay_alu instid0(SALU_CYCLE_1)
	s_add_nc_u64 s[26:27], s[28:29], 0xc4
	s_add_nc_u64 s[28:29], s[16:17], s[30:31]
.LBB388_279:                            ; =>This Inner Loop Header: Depth=1
	s_load_b96 s[48:50], s[28:29], 0x4
	s_load_b64 s[30:31], s[26:27], 0x0
	s_add_co_i32 s0, s0, -1
	s_wait_xcnt 0x0
	s_add_nc_u64 s[28:29], s[28:29], 12
	s_cmp_lg_u32 s0, 0
	s_add_nc_u64 s[26:27], s[26:27], 8
	s_wait_kmcnt 0x0
	v_mul_hi_u32 v4, s49, v1
	s_delay_alu instid0(VALU_DEP_1) | instskip(NEXT) | instid1(VALU_DEP_1)
	v_add_nc_u32_e32 v4, v1, v4
	v_lshrrev_b32_e32 v4, s50, v4
	s_delay_alu instid0(VALU_DEP_1) | instskip(NEXT) | instid1(VALU_DEP_1)
	v_mul_lo_u32 v5, v4, s48
	v_sub_nc_u32_e32 v1, v1, v5
	s_delay_alu instid0(VALU_DEP_1)
	v_mad_u32 v3, v1, s31, v3
	v_mad_u32 v2, v1, s30, v2
	v_mov_b32_e32 v1, v4
	s_cbranch_scc1 .LBB388_279
; %bb.280:
	s_delay_alu instid0(VALU_DEP_3)
	v_mov_b32_e32 v4, v3
.LBB388_281:
	s_cbranch_execnz .LBB388_284
.LBB388_282:
	v_mov_b32_e32 v1, 0
	s_and_not1_b32 vcc_lo, exec_lo, s38
	s_delay_alu instid0(VALU_DEP_1) | instskip(NEXT) | instid1(VALU_DEP_1)
	v_mul_u64_e32 v[2:3], s[18:19], v[0:1]
	v_add_nc_u32_e32 v2, v0, v3
	s_wait_loadcnt 0x0
	s_delay_alu instid0(VALU_DEP_1) | instskip(NEXT) | instid1(VALU_DEP_1)
	v_lshrrev_b32_e32 v6, s10, v2
	v_mul_lo_u32 v2, v6, s8
	s_delay_alu instid0(VALU_DEP_1) | instskip(NEXT) | instid1(VALU_DEP_1)
	v_sub_nc_u32_e32 v2, v0, v2
	v_mul_lo_u32 v4, v2, s13
	v_mul_lo_u32 v2, v2, s12
	s_cbranch_vccnz .LBB388_284
; %bb.283:
	v_mov_b32_e32 v7, v1
	s_delay_alu instid0(VALU_DEP_1) | instskip(NEXT) | instid1(VALU_DEP_1)
	v_mul_u64_e32 v[8:9], s[22:23], v[6:7]
	v_add_nc_u32_e32 v1, v6, v9
	s_delay_alu instid0(VALU_DEP_1) | instskip(NEXT) | instid1(VALU_DEP_1)
	v_lshrrev_b32_e32 v1, s21, v1
	v_mul_lo_u32 v1, v1, s11
	s_delay_alu instid0(VALU_DEP_1) | instskip(NEXT) | instid1(VALU_DEP_1)
	v_sub_nc_u32_e32 v1, v6, v1
	v_mad_u32 v2, v1, s14, v2
	v_mad_u32 v4, v1, s15, v4
.LBB388_284:
	v_mov_b32_e32 v5, 0
	s_and_b32 s0, 0xffff, s37
	s_delay_alu instid0(SALU_CYCLE_1) | instskip(NEXT) | instid1(VALU_DEP_1)
	s_cmp_lt_i32 s0, 11
	v_add_nc_u64_e32 v[4:5], s[6:7], v[4:5]
	s_cbranch_scc1 .LBB388_291
; %bb.285:
	s_cmp_gt_i32 s0, 25
	s_cbranch_scc0 .LBB388_300
; %bb.286:
	s_cmp_gt_i32 s0, 28
	s_cbranch_scc0 .LBB388_302
	;; [unrolled: 3-line block ×4, first 2 shown]
; %bb.289:
	s_cmp_eq_u32 s0, 46
	s_mov_b32 s28, 0
	s_cbranch_scc0 .LBB388_312
; %bb.290:
	global_load_b32 v1, v[4:5], off
	s_mov_b32 s27, -1
	s_mov_b32 s26, 0
	s_wait_loadcnt 0x0
	v_lshlrev_b32_e32 v1, 16, v1
	s_delay_alu instid0(VALU_DEP_1)
	v_cvt_i32_f32_e32 v6, v1
	s_branch .LBB388_314
.LBB388_291:
	s_mov_b32 s27, 0
	s_mov_b32 s26, s42
                                        ; implicit-def: $vgpr6
	s_cbranch_execnz .LBB388_487
.LBB388_292:
	s_and_not1_b32 vcc_lo, exec_lo, s27
	s_cbranch_vccnz .LBB388_535
.LBB388_293:
	s_wait_loadcnt 0x0
	s_delay_alu instid0(VALU_DEP_1) | instskip(SKIP_3) | instid1(VALU_DEP_2)
	v_and_b32_e32 v1, 0xff, v6
	v_mov_b32_e32 v3, 0
	s_and_b32 s0, s1, 0xff
	s_and_b32 s28, s2, 0xff
	v_cmp_ne_u16_e32 vcc_lo, s0, v1
	s_delay_alu instid0(VALU_DEP_2)
	v_add_nc_u64_e32 v[2:3], s[4:5], v[2:3]
	s_xor_b32 s27, s9, vcc_lo
	s_cmp_lt_i32 s28, 11
	s_cbranch_scc1 .LBB388_301
; %bb.294:
	s_and_b32 s29, 0xffff, s28
	s_delay_alu instid0(SALU_CYCLE_1)
	s_cmp_gt_i32 s29, 25
	s_cbranch_scc0 .LBB388_303
; %bb.295:
	s_cmp_gt_i32 s29, 28
	s_cbranch_scc0 .LBB388_305
; %bb.296:
	;; [unrolled: 3-line block ×4, first 2 shown]
	s_mov_b32 s31, 0
	s_mov_b32 s0, -1
	s_cmp_eq_u32 s29, 46
	s_mov_b32 s30, 0
	s_cbranch_scc0 .LBB388_318
; %bb.299:
	v_cndmask_b32_e64 v1, 0, 1.0, s27
	s_mov_b32 s30, -1
	s_mov_b32 s0, 0
	s_wait_xcnt 0x0
	s_delay_alu instid0(VALU_DEP_1) | instskip(NEXT) | instid1(VALU_DEP_1)
	v_bfe_u32 v4, v1, 16, 1
	v_add3_u32 v1, v1, v4, 0x7fff
	s_delay_alu instid0(VALU_DEP_1)
	v_lshrrev_b32_e32 v1, 16, v1
	global_store_b32 v[2:3], v1, off
	s_branch .LBB388_318
.LBB388_300:
	s_mov_b32 s28, -1
	s_mov_b32 s27, 0
	s_mov_b32 s26, s42
                                        ; implicit-def: $vgpr6
	s_branch .LBB388_453
.LBB388_301:
	s_mov_b32 s29, -1
	s_mov_b32 s30, 0
	s_mov_b32 s0, s20
	s_branch .LBB388_387
.LBB388_302:
	s_mov_b32 s28, -1
	s_mov_b32 s27, 0
	s_mov_b32 s26, s42
                                        ; implicit-def: $vgpr6
	s_branch .LBB388_436
.LBB388_303:
	s_mov_b32 s31, -1
	s_mov_b32 s30, 0
	s_mov_b32 s0, s20
	s_branch .LBB388_345
.LBB388_304:
	s_mov_b32 s28, -1
	s_mov_b32 s27, 0
	s_mov_b32 s26, s42
                                        ; implicit-def: $vgpr6
	s_branch .LBB388_431
.LBB388_305:
	s_mov_b32 s31, -1
	s_mov_b32 s30, 0
	s_mov_b32 s0, s20
	s_branch .LBB388_328
.LBB388_306:
	s_and_not1_saveexec_b32 s31, s31
	s_cbranch_execz .LBB388_69
.LBB388_307:
	v_add_f32_e32 v1, 0x46000000, v4
	s_and_not1_b32 s30, s30, exec_lo
	s_delay_alu instid0(VALU_DEP_1) | instskip(NEXT) | instid1(VALU_DEP_1)
	v_and_b32_e32 v1, 0xff, v1
	v_cmp_ne_u32_e32 vcc_lo, 0, v1
	s_and_b32 s42, vcc_lo, exec_lo
	s_delay_alu instid0(SALU_CYCLE_1)
	s_or_b32 s30, s30, s42
	s_or_b32 exec_lo, exec_lo, s31
	v_mov_b32_e32 v5, 0
	s_and_saveexec_b32 s31, s30
	s_cbranch_execnz .LBB388_70
	s_branch .LBB388_71
.LBB388_308:
	s_mov_b32 s28, -1
	s_mov_b32 s27, 0
	s_mov_b32 s26, s42
	s_branch .LBB388_313
.LBB388_309:
	s_mov_b32 s31, -1
	s_mov_b32 s30, 0
	s_mov_b32 s0, s20
	s_branch .LBB388_324
.LBB388_310:
	s_and_not1_saveexec_b32 s31, s31
	s_cbranch_execz .LBB388_82
.LBB388_311:
	v_add_f32_e32 v1, 0x42800000, v4
	s_and_not1_b32 s30, s30, exec_lo
	s_delay_alu instid0(VALU_DEP_1) | instskip(NEXT) | instid1(VALU_DEP_1)
	v_and_b32_e32 v1, 0xff, v1
	v_cmp_ne_u32_e32 vcc_lo, 0, v1
	s_and_b32 s42, vcc_lo, exec_lo
	s_delay_alu instid0(SALU_CYCLE_1)
	s_or_b32 s30, s30, s42
	s_or_b32 exec_lo, exec_lo, s31
	v_mov_b32_e32 v5, 0
	s_and_saveexec_b32 s31, s30
	s_cbranch_execnz .LBB388_83
	s_branch .LBB388_84
.LBB388_312:
	s_mov_b32 s26, -1
	s_mov_b32 s27, 0
.LBB388_313:
                                        ; implicit-def: $vgpr6
.LBB388_314:
	s_and_b32 vcc_lo, exec_lo, s28
	s_cbranch_vccz .LBB388_430
; %bb.315:
	s_cmp_eq_u32 s0, 44
	s_cbranch_scc0 .LBB388_429
; %bb.316:
	global_load_u8 v1, v[4:5], off
	s_mov_b32 s26, 0
	s_mov_b32 s27, -1
	s_wait_loadcnt 0x0
	v_lshlrev_b32_e32 v3, 23, v1
	v_cmp_ne_u32_e32 vcc_lo, 0, v1
	s_delay_alu instid0(VALU_DEP_2) | instskip(NEXT) | instid1(VALU_DEP_1)
	v_cvt_i32_f32_e32 v3, v3
	v_cndmask_b32_e32 v6, 0, v3, vcc_lo
	s_branch .LBB388_430
.LBB388_317:
	s_mov_b32 s31, -1
	s_mov_b32 s30, 0
	s_mov_b32 s0, s20
.LBB388_318:
	s_and_b32 vcc_lo, exec_lo, s31
	s_cbranch_vccz .LBB388_323
; %bb.319:
	s_cmp_eq_u32 s29, 44
	s_mov_b32 s0, -1
	s_cbranch_scc0 .LBB388_323
; %bb.320:
	s_wait_xcnt 0x0
	v_cndmask_b32_e64 v5, 0, 1.0, s27
	s_mov_b32 s30, exec_lo
	s_delay_alu instid0(VALU_DEP_1) | instskip(NEXT) | instid1(VALU_DEP_1)
	v_dual_mov_b32 v4, 0xff :: v_dual_lshrrev_b32 v1, 23, v5
	v_cmpx_ne_u32_e32 0xff, v1
; %bb.321:
	v_and_b32_e32 v4, 0x400000, v5
	v_and_or_b32 v5, 0x3fffff, v5, v1
	s_delay_alu instid0(VALU_DEP_2) | instskip(NEXT) | instid1(VALU_DEP_2)
	v_cmp_ne_u32_e32 vcc_lo, 0, v4
	v_cmp_ne_u32_e64 s0, 0, v5
	s_and_b32 s0, vcc_lo, s0
	s_delay_alu instid0(SALU_CYCLE_1) | instskip(NEXT) | instid1(VALU_DEP_1)
	v_cndmask_b32_e64 v4, 0, 1, s0
	v_add_nc_u32_e32 v4, v1, v4
; %bb.322:
	s_or_b32 exec_lo, exec_lo, s30
	s_mov_b32 s30, -1
	s_mov_b32 s0, 0
	global_store_b8 v[2:3], v4, off
.LBB388_323:
	s_mov_b32 s31, 0
.LBB388_324:
	s_delay_alu instid0(SALU_CYCLE_1)
	s_and_b32 vcc_lo, exec_lo, s31
	s_cbranch_vccz .LBB388_327
; %bb.325:
	s_cmp_eq_u32 s29, 29
	s_mov_b32 s0, -1
	s_cbranch_scc0 .LBB388_327
; %bb.326:
	s_mov_b32 s0, 0
	s_wait_xcnt 0x0
	v_cndmask_b32_e64 v4, 0, 1, s27
	v_mov_b32_e32 v5, s0
	s_mov_b32 s30, -1
	s_mov_b32 s31, 0
	global_store_b64 v[2:3], v[4:5], off
	s_branch .LBB388_328
.LBB388_327:
	s_mov_b32 s31, 0
.LBB388_328:
	s_delay_alu instid0(SALU_CYCLE_1)
	s_and_b32 vcc_lo, exec_lo, s31
	s_cbranch_vccz .LBB388_344
; %bb.329:
	s_cmp_lt_i32 s29, 27
	s_mov_b32 s30, -1
	s_cbranch_scc1 .LBB388_335
; %bb.330:
	s_cmp_gt_i32 s29, 27
	s_cbranch_scc0 .LBB388_332
; %bb.331:
	s_wait_xcnt 0x0
	v_cndmask_b32_e64 v1, 0, 1, s27
	s_mov_b32 s30, 0
	global_store_b32 v[2:3], v1, off
.LBB388_332:
	s_and_not1_b32 vcc_lo, exec_lo, s30
	s_cbranch_vccnz .LBB388_334
; %bb.333:
	s_wait_xcnt 0x0
	v_cndmask_b32_e64 v1, 0, 1, s27
	global_store_b16 v[2:3], v1, off
.LBB388_334:
	s_mov_b32 s30, 0
.LBB388_335:
	s_delay_alu instid0(SALU_CYCLE_1)
	s_and_not1_b32 vcc_lo, exec_lo, s30
	s_cbranch_vccnz .LBB388_343
; %bb.336:
	s_wait_xcnt 0x0
	v_cndmask_b32_e64 v4, 0, 1.0, s27
	v_mov_b32_e32 v5, 0x80
	s_mov_b32 s30, exec_lo
	s_delay_alu instid0(VALU_DEP_2)
	v_cmpx_gt_u32_e32 0x43800000, v4
	s_cbranch_execz .LBB388_342
; %bb.337:
	s_mov_b32 s31, 0
	s_mov_b32 s44, exec_lo
                                        ; implicit-def: $vgpr1
	v_cmpx_lt_u32_e32 0x3bffffff, v4
	s_xor_b32 s44, exec_lo, s44
	s_cbranch_execz .LBB388_568
; %bb.338:
	v_bfe_u32 v1, v4, 20, 1
	s_mov_b32 s31, exec_lo
	s_delay_alu instid0(VALU_DEP_1) | instskip(NEXT) | instid1(VALU_DEP_1)
	v_add3_u32 v1, v4, v1, 0x487ffff
                                        ; implicit-def: $vgpr4
	v_lshrrev_b32_e32 v1, 20, v1
	s_and_not1_saveexec_b32 s44, s44
	s_cbranch_execnz .LBB388_569
.LBB388_339:
	s_or_b32 exec_lo, exec_lo, s44
	v_mov_b32_e32 v5, 0
	s_and_saveexec_b32 s44, s31
.LBB388_340:
	v_mov_b32_e32 v5, v1
.LBB388_341:
	s_or_b32 exec_lo, exec_lo, s44
.LBB388_342:
	s_delay_alu instid0(SALU_CYCLE_1)
	s_or_b32 exec_lo, exec_lo, s30
	global_store_b8 v[2:3], v5, off
.LBB388_343:
	s_mov_b32 s30, -1
.LBB388_344:
	s_mov_b32 s31, 0
.LBB388_345:
	s_delay_alu instid0(SALU_CYCLE_1)
	s_and_b32 vcc_lo, exec_lo, s31
	s_cbranch_vccz .LBB388_386
; %bb.346:
	s_cmp_gt_i32 s29, 22
	s_mov_b32 s31, -1
	s_cbranch_scc0 .LBB388_378
; %bb.347:
	s_cmp_lt_i32 s29, 24
	s_mov_b32 s30, -1
	s_cbranch_scc1 .LBB388_367
; %bb.348:
	s_cmp_gt_i32 s29, 24
	s_cbranch_scc0 .LBB388_356
; %bb.349:
	s_wait_xcnt 0x0
	v_cndmask_b32_e64 v4, 0, 1.0, s27
	v_mov_b32_e32 v5, 0x80
	s_mov_b32 s30, exec_lo
	s_delay_alu instid0(VALU_DEP_2)
	v_cmpx_gt_u32_e32 0x47800000, v4
	s_cbranch_execz .LBB388_355
; %bb.350:
	s_mov_b32 s31, 0
	s_mov_b32 s44, exec_lo
                                        ; implicit-def: $vgpr1
	v_cmpx_lt_u32_e32 0x37ffffff, v4
	s_xor_b32 s44, exec_lo, s44
	s_cbranch_execz .LBB388_571
; %bb.351:
	v_bfe_u32 v1, v4, 21, 1
	s_mov_b32 s31, exec_lo
	s_delay_alu instid0(VALU_DEP_1) | instskip(NEXT) | instid1(VALU_DEP_1)
	v_add3_u32 v1, v4, v1, 0x88fffff
                                        ; implicit-def: $vgpr4
	v_lshrrev_b32_e32 v1, 21, v1
	s_and_not1_saveexec_b32 s44, s44
	s_cbranch_execnz .LBB388_572
.LBB388_352:
	s_or_b32 exec_lo, exec_lo, s44
	v_mov_b32_e32 v5, 0
	s_and_saveexec_b32 s44, s31
.LBB388_353:
	v_mov_b32_e32 v5, v1
.LBB388_354:
	s_or_b32 exec_lo, exec_lo, s44
.LBB388_355:
	s_delay_alu instid0(SALU_CYCLE_1)
	s_or_b32 exec_lo, exec_lo, s30
	s_mov_b32 s30, 0
	global_store_b8 v[2:3], v5, off
.LBB388_356:
	s_and_b32 vcc_lo, exec_lo, s30
	s_cbranch_vccz .LBB388_366
; %bb.357:
	s_wait_xcnt 0x0
	v_cndmask_b32_e64 v4, 0, 1.0, s27
	s_mov_b32 s30, exec_lo
                                        ; implicit-def: $vgpr1
	s_delay_alu instid0(VALU_DEP_1)
	v_cmpx_gt_u32_e32 0x43f00000, v4
	s_xor_b32 s30, exec_lo, s30
	s_cbranch_execz .LBB388_363
; %bb.358:
	s_mov_b32 s31, exec_lo
                                        ; implicit-def: $vgpr1
	v_cmpx_lt_u32_e32 0x3c7fffff, v4
	s_xor_b32 s31, exec_lo, s31
; %bb.359:
	v_bfe_u32 v1, v4, 20, 1
	s_delay_alu instid0(VALU_DEP_1) | instskip(NEXT) | instid1(VALU_DEP_1)
	v_add3_u32 v1, v4, v1, 0x407ffff
	v_and_b32_e32 v4, 0xff00000, v1
	v_lshrrev_b32_e32 v1, 20, v1
	s_delay_alu instid0(VALU_DEP_2) | instskip(NEXT) | instid1(VALU_DEP_2)
	v_cmp_ne_u32_e32 vcc_lo, 0x7f00000, v4
                                        ; implicit-def: $vgpr4
	v_cndmask_b32_e32 v1, 0x7e, v1, vcc_lo
; %bb.360:
	s_and_not1_saveexec_b32 s31, s31
; %bb.361:
	v_add_f32_e32 v1, 0x46800000, v4
; %bb.362:
	s_or_b32 exec_lo, exec_lo, s31
                                        ; implicit-def: $vgpr4
.LBB388_363:
	s_and_not1_saveexec_b32 s30, s30
; %bb.364:
	v_mov_b32_e32 v1, 0x7f
	v_cmp_lt_u32_e32 vcc_lo, 0x7f800000, v4
	s_delay_alu instid0(VALU_DEP_2)
	v_cndmask_b32_e32 v1, 0x7e, v1, vcc_lo
; %bb.365:
	s_or_b32 exec_lo, exec_lo, s30
	global_store_b8 v[2:3], v1, off
.LBB388_366:
	s_mov_b32 s30, 0
.LBB388_367:
	s_delay_alu instid0(SALU_CYCLE_1)
	s_and_not1_b32 vcc_lo, exec_lo, s30
	s_cbranch_vccnz .LBB388_377
; %bb.368:
	s_wait_xcnt 0x0
	v_cndmask_b32_e64 v4, 0, 1.0, s27
	s_mov_b32 s30, exec_lo
                                        ; implicit-def: $vgpr1
	s_delay_alu instid0(VALU_DEP_1)
	v_cmpx_gt_u32_e32 0x47800000, v4
	s_xor_b32 s30, exec_lo, s30
	s_cbranch_execz .LBB388_374
; %bb.369:
	s_mov_b32 s31, exec_lo
                                        ; implicit-def: $vgpr1
	v_cmpx_lt_u32_e32 0x387fffff, v4
	s_xor_b32 s31, exec_lo, s31
; %bb.370:
	v_bfe_u32 v1, v4, 21, 1
	s_delay_alu instid0(VALU_DEP_1) | instskip(NEXT) | instid1(VALU_DEP_1)
	v_add3_u32 v1, v4, v1, 0x80fffff
                                        ; implicit-def: $vgpr4
	v_lshrrev_b32_e32 v1, 21, v1
; %bb.371:
	s_and_not1_saveexec_b32 s31, s31
; %bb.372:
	v_add_f32_e32 v1, 0x43000000, v4
; %bb.373:
	s_or_b32 exec_lo, exec_lo, s31
                                        ; implicit-def: $vgpr4
.LBB388_374:
	s_and_not1_saveexec_b32 s30, s30
; %bb.375:
	v_mov_b32_e32 v1, 0x7f
	v_cmp_lt_u32_e32 vcc_lo, 0x7f800000, v4
	s_delay_alu instid0(VALU_DEP_2)
	v_cndmask_b32_e32 v1, 0x7c, v1, vcc_lo
; %bb.376:
	s_or_b32 exec_lo, exec_lo, s30
	global_store_b8 v[2:3], v1, off
.LBB388_377:
	s_mov_b32 s31, 0
	s_mov_b32 s30, -1
.LBB388_378:
	s_and_not1_b32 vcc_lo, exec_lo, s31
	s_cbranch_vccnz .LBB388_386
; %bb.379:
	s_cmp_gt_i32 s29, 14
	s_mov_b32 s31, -1
	s_cbranch_scc0 .LBB388_383
; %bb.380:
	s_cmp_eq_u32 s29, 15
	s_mov_b32 s0, -1
	s_cbranch_scc0 .LBB388_382
; %bb.381:
	s_wait_xcnt 0x0
	v_cndmask_b32_e64 v1, 0, 1.0, s27
	s_mov_b32 s30, -1
	s_mov_b32 s0, 0
	s_delay_alu instid0(VALU_DEP_1) | instskip(NEXT) | instid1(VALU_DEP_1)
	v_bfe_u32 v4, v1, 16, 1
	v_add3_u32 v1, v1, v4, 0x7fff
	global_store_d16_hi_b16 v[2:3], v1, off
.LBB388_382:
	s_mov_b32 s31, 0
.LBB388_383:
	s_delay_alu instid0(SALU_CYCLE_1)
	s_and_b32 vcc_lo, exec_lo, s31
	s_cbranch_vccz .LBB388_386
; %bb.384:
	s_cmp_eq_u32 s29, 11
	s_mov_b32 s0, -1
	s_cbranch_scc0 .LBB388_386
; %bb.385:
	s_wait_xcnt 0x0
	v_cndmask_b32_e64 v1, 0, 1, s27
	s_mov_b32 s30, -1
	s_mov_b32 s0, 0
	global_store_b8 v[2:3], v1, off
.LBB388_386:
	s_mov_b32 s29, 0
.LBB388_387:
	s_delay_alu instid0(SALU_CYCLE_1)
	s_and_b32 vcc_lo, exec_lo, s29
	s_cbranch_vccz .LBB388_426
; %bb.388:
	s_and_b32 s28, 0xffff, s28
	s_mov_b32 s29, -1
	s_cmp_lt_i32 s28, 5
	s_cbranch_scc1 .LBB388_409
; %bb.389:
	s_cmp_lt_i32 s28, 8
	s_cbranch_scc1 .LBB388_399
; %bb.390:
	;; [unrolled: 3-line block ×3, first 2 shown]
	s_cmp_gt_i32 s28, 9
	s_cbranch_scc0 .LBB388_393
; %bb.392:
	s_wait_xcnt 0x0
	v_cndmask_b32_e64 v1, 0, 1, s27
	v_mov_b32_e32 v6, 0
	s_mov_b32 s29, 0
	s_delay_alu instid0(VALU_DEP_2) | instskip(NEXT) | instid1(VALU_DEP_2)
	v_cvt_f64_u32_e32 v[4:5], v1
	v_mov_b32_e32 v7, v6
	global_store_b128 v[2:3], v[4:7], off
.LBB388_393:
	s_and_not1_b32 vcc_lo, exec_lo, s29
	s_cbranch_vccnz .LBB388_395
; %bb.394:
	s_wait_xcnt 0x0
	v_cndmask_b32_e64 v4, 0, 1.0, s27
	v_mov_b32_e32 v5, 0
	global_store_b64 v[2:3], v[4:5], off
.LBB388_395:
	s_mov_b32 s29, 0
.LBB388_396:
	s_delay_alu instid0(SALU_CYCLE_1)
	s_and_not1_b32 vcc_lo, exec_lo, s29
	s_cbranch_vccnz .LBB388_398
; %bb.397:
	s_wait_xcnt 0x0
	v_cndmask_b32_e64 v1, 0, 1.0, s27
	s_delay_alu instid0(VALU_DEP_1) | instskip(NEXT) | instid1(VALU_DEP_1)
	v_cvt_f16_f32_e32 v1, v1
	v_and_b32_e32 v1, 0xffff, v1
	global_store_b32 v[2:3], v1, off
.LBB388_398:
	s_mov_b32 s29, 0
.LBB388_399:
	s_delay_alu instid0(SALU_CYCLE_1)
	s_and_not1_b32 vcc_lo, exec_lo, s29
	s_cbranch_vccnz .LBB388_408
; %bb.400:
	s_cmp_lt_i32 s28, 6
	s_mov_b32 s29, -1
	s_cbranch_scc1 .LBB388_406
; %bb.401:
	s_cmp_gt_i32 s28, 6
	s_cbranch_scc0 .LBB388_403
; %bb.402:
	s_wait_xcnt 0x0
	v_cndmask_b32_e64 v1, 0, 1, s27
	s_mov_b32 s29, 0
	s_delay_alu instid0(VALU_DEP_1)
	v_cvt_f64_u32_e32 v[4:5], v1
	global_store_b64 v[2:3], v[4:5], off
.LBB388_403:
	s_and_not1_b32 vcc_lo, exec_lo, s29
	s_cbranch_vccnz .LBB388_405
; %bb.404:
	s_wait_xcnt 0x0
	v_cndmask_b32_e64 v1, 0, 1.0, s27
	global_store_b32 v[2:3], v1, off
.LBB388_405:
	s_mov_b32 s29, 0
.LBB388_406:
	s_delay_alu instid0(SALU_CYCLE_1)
	s_and_not1_b32 vcc_lo, exec_lo, s29
	s_cbranch_vccnz .LBB388_408
; %bb.407:
	s_wait_xcnt 0x0
	v_cndmask_b32_e64 v1, 0, 1.0, s27
	s_delay_alu instid0(VALU_DEP_1)
	v_cvt_f16_f32_e32 v1, v1
	global_store_b16 v[2:3], v1, off
.LBB388_408:
	s_mov_b32 s29, 0
.LBB388_409:
	s_delay_alu instid0(SALU_CYCLE_1)
	s_and_not1_b32 vcc_lo, exec_lo, s29
	s_cbranch_vccnz .LBB388_425
; %bb.410:
	s_cmp_lt_i32 s28, 2
	s_mov_b32 s29, -1
	s_cbranch_scc1 .LBB388_420
; %bb.411:
	s_cmp_lt_i32 s28, 3
	s_cbranch_scc1 .LBB388_417
; %bb.412:
	s_cmp_gt_i32 s28, 3
	s_cbranch_scc0 .LBB388_414
; %bb.413:
	s_mov_b32 s29, 0
	s_wait_xcnt 0x0
	v_cndmask_b32_e64 v4, 0, 1, s27
	v_mov_b32_e32 v5, s29
	global_store_b64 v[2:3], v[4:5], off
.LBB388_414:
	s_and_not1_b32 vcc_lo, exec_lo, s29
	s_cbranch_vccnz .LBB388_416
; %bb.415:
	s_wait_xcnt 0x0
	v_cndmask_b32_e64 v1, 0, 1, s27
	global_store_b32 v[2:3], v1, off
.LBB388_416:
	s_mov_b32 s29, 0
.LBB388_417:
	s_delay_alu instid0(SALU_CYCLE_1)
	s_and_not1_b32 vcc_lo, exec_lo, s29
	s_cbranch_vccnz .LBB388_419
; %bb.418:
	s_wait_xcnt 0x0
	v_cndmask_b32_e64 v1, 0, 1, s27
	global_store_b16 v[2:3], v1, off
.LBB388_419:
	s_mov_b32 s29, 0
.LBB388_420:
	s_delay_alu instid0(SALU_CYCLE_1)
	s_and_not1_b32 vcc_lo, exec_lo, s29
	s_cbranch_vccnz .LBB388_425
; %bb.421:
	s_wait_xcnt 0x0
	v_cndmask_b32_e64 v1, 0, 1, s27
	s_cmp_gt_i32 s28, 0
	s_mov_b32 s27, -1
	s_cbranch_scc0 .LBB388_423
; %bb.422:
	s_mov_b32 s27, 0
	global_store_b8 v[2:3], v1, off
.LBB388_423:
	s_and_not1_b32 vcc_lo, exec_lo, s27
	s_cbranch_vccnz .LBB388_425
; %bb.424:
	global_store_b8 v[2:3], v1, off
.LBB388_425:
	s_mov_b32 s30, -1
.LBB388_426:
	s_delay_alu instid0(SALU_CYCLE_1)
	s_and_not1_b32 vcc_lo, exec_lo, s30
	s_cbranch_vccnz .LBB388_428
; %bb.427:
	v_add_nc_u32_e32 v0, 0x80, v0
	s_mov_b32 s27, -1
	s_branch .LBB388_537
.LBB388_428:
	s_mov_b32 s27, 0
	s_branch .LBB388_536
.LBB388_429:
	s_mov_b32 s26, -1
                                        ; implicit-def: $vgpr6
.LBB388_430:
	s_mov_b32 s28, 0
.LBB388_431:
	s_delay_alu instid0(SALU_CYCLE_1)
	s_and_b32 vcc_lo, exec_lo, s28
	s_cbranch_vccz .LBB388_435
; %bb.432:
	s_cmp_eq_u32 s0, 29
	s_cbranch_scc0 .LBB388_434
; %bb.433:
	s_wait_loadcnt 0x0
	global_load_b64 v[6:7], v[4:5], off
	s_mov_b32 s27, -1
	s_mov_b32 s26, 0
	s_branch .LBB388_435
.LBB388_434:
	s_mov_b32 s26, -1
                                        ; implicit-def: $vgpr6
.LBB388_435:
	s_mov_b32 s28, 0
.LBB388_436:
	s_delay_alu instid0(SALU_CYCLE_1)
	s_and_b32 vcc_lo, exec_lo, s28
	s_cbranch_vccz .LBB388_452
; %bb.437:
	s_cmp_lt_i32 s0, 27
	s_cbranch_scc1 .LBB388_440
; %bb.438:
	s_cmp_gt_i32 s0, 27
	s_cbranch_scc0 .LBB388_441
; %bb.439:
	s_wait_loadcnt 0x0
	global_load_b32 v6, v[4:5], off
	s_mov_b32 s27, 0
	s_branch .LBB388_442
.LBB388_440:
	s_mov_b32 s27, -1
                                        ; implicit-def: $vgpr6
	s_branch .LBB388_445
.LBB388_441:
	s_mov_b32 s27, -1
                                        ; implicit-def: $vgpr6
.LBB388_442:
	s_delay_alu instid0(SALU_CYCLE_1)
	s_and_not1_b32 vcc_lo, exec_lo, s27
	s_cbranch_vccnz .LBB388_444
; %bb.443:
	s_wait_loadcnt 0x0
	global_load_u16 v6, v[4:5], off
.LBB388_444:
	s_mov_b32 s27, 0
.LBB388_445:
	s_delay_alu instid0(SALU_CYCLE_1)
	s_and_not1_b32 vcc_lo, exec_lo, s27
	s_cbranch_vccnz .LBB388_451
; %bb.446:
	global_load_u8 v1, v[4:5], off
	s_mov_b32 s28, 0
	s_mov_b32 s27, exec_lo
	s_wait_loadcnt 0x0
	v_cmpx_lt_i16_e32 0x7f, v1
	s_xor_b32 s27, exec_lo, s27
	s_cbranch_execz .LBB388_463
; %bb.447:
	v_cmp_ne_u16_e32 vcc_lo, 0x80, v1
	s_and_b32 s28, vcc_lo, exec_lo
	s_and_not1_saveexec_b32 s27, s27
	s_cbranch_execnz .LBB388_464
.LBB388_448:
	s_or_b32 exec_lo, exec_lo, s27
	v_mov_b32_e32 v6, 0
	s_and_saveexec_b32 s27, s28
	s_cbranch_execz .LBB388_450
.LBB388_449:
	v_and_b32_e32 v3, 0xffff, v1
	s_delay_alu instid0(VALU_DEP_1) | instskip(SKIP_1) | instid1(VALU_DEP_2)
	v_dual_lshlrev_b32 v1, 24, v1 :: v_dual_bitop2_b32 v6, 7, v3 bitop3:0x40
	v_bfe_u32 v9, v3, 3, 4
	v_and_b32_e32 v1, 0x80000000, v1
	s_delay_alu instid0(VALU_DEP_3) | instskip(NEXT) | instid1(VALU_DEP_3)
	v_clz_i32_u32_e32 v7, v6
	v_cmp_eq_u32_e32 vcc_lo, 0, v9
	s_delay_alu instid0(VALU_DEP_2) | instskip(NEXT) | instid1(VALU_DEP_1)
	v_min_u32_e32 v7, 32, v7
	v_subrev_nc_u32_e32 v8, 28, v7
	v_sub_nc_u32_e32 v7, 29, v7
	s_delay_alu instid0(VALU_DEP_2) | instskip(NEXT) | instid1(VALU_DEP_2)
	v_lshlrev_b32_e32 v3, v8, v3
	v_cndmask_b32_e32 v7, v9, v7, vcc_lo
	s_delay_alu instid0(VALU_DEP_2) | instskip(NEXT) | instid1(VALU_DEP_1)
	v_and_b32_e32 v3, 7, v3
	v_cndmask_b32_e32 v3, v6, v3, vcc_lo
	s_delay_alu instid0(VALU_DEP_3) | instskip(NEXT) | instid1(VALU_DEP_2)
	v_lshl_add_u32 v6, v7, 23, 0x3b800000
	v_lshlrev_b32_e32 v3, 20, v3
	s_delay_alu instid0(VALU_DEP_1) | instskip(NEXT) | instid1(VALU_DEP_1)
	v_or3_b32 v1, v1, v6, v3
	v_cvt_i32_f32_e32 v6, v1
.LBB388_450:
	s_or_b32 exec_lo, exec_lo, s27
.LBB388_451:
	s_mov_b32 s27, -1
.LBB388_452:
	s_mov_b32 s28, 0
.LBB388_453:
	s_delay_alu instid0(SALU_CYCLE_1)
	s_and_b32 vcc_lo, exec_lo, s28
	s_cbranch_vccz .LBB388_486
; %bb.454:
	s_cmp_gt_i32 s0, 22
	s_cbranch_scc0 .LBB388_462
; %bb.455:
	s_cmp_lt_i32 s0, 24
	s_cbranch_scc1 .LBB388_465
; %bb.456:
	s_cmp_gt_i32 s0, 24
	s_cbranch_scc0 .LBB388_466
; %bb.457:
	global_load_u8 v1, v[4:5], off
	s_mov_b32 s28, 0
	s_mov_b32 s27, exec_lo
	s_wait_loadcnt 0x0
	v_cmpx_lt_i16_e32 0x7f, v1
	s_xor_b32 s27, exec_lo, s27
	s_cbranch_execz .LBB388_478
; %bb.458:
	v_cmp_ne_u16_e32 vcc_lo, 0x80, v1
	s_and_b32 s28, vcc_lo, exec_lo
	s_and_not1_saveexec_b32 s27, s27
	s_cbranch_execnz .LBB388_479
.LBB388_459:
	s_or_b32 exec_lo, exec_lo, s27
	v_mov_b32_e32 v6, 0
	s_and_saveexec_b32 s27, s28
	s_cbranch_execz .LBB388_461
.LBB388_460:
	v_and_b32_e32 v3, 0xffff, v1
	s_delay_alu instid0(VALU_DEP_1) | instskip(SKIP_1) | instid1(VALU_DEP_2)
	v_dual_lshlrev_b32 v1, 24, v1 :: v_dual_bitop2_b32 v6, 3, v3 bitop3:0x40
	v_bfe_u32 v9, v3, 2, 5
	v_and_b32_e32 v1, 0x80000000, v1
	s_delay_alu instid0(VALU_DEP_3) | instskip(NEXT) | instid1(VALU_DEP_3)
	v_clz_i32_u32_e32 v7, v6
	v_cmp_eq_u32_e32 vcc_lo, 0, v9
	s_delay_alu instid0(VALU_DEP_2) | instskip(NEXT) | instid1(VALU_DEP_1)
	v_min_u32_e32 v7, 32, v7
	v_subrev_nc_u32_e32 v8, 29, v7
	v_sub_nc_u32_e32 v7, 30, v7
	s_delay_alu instid0(VALU_DEP_2) | instskip(NEXT) | instid1(VALU_DEP_2)
	v_lshlrev_b32_e32 v3, v8, v3
	v_cndmask_b32_e32 v7, v9, v7, vcc_lo
	s_delay_alu instid0(VALU_DEP_2) | instskip(NEXT) | instid1(VALU_DEP_1)
	v_and_b32_e32 v3, 3, v3
	v_cndmask_b32_e32 v3, v6, v3, vcc_lo
	s_delay_alu instid0(VALU_DEP_3) | instskip(NEXT) | instid1(VALU_DEP_2)
	v_lshl_add_u32 v6, v7, 23, 0x37800000
	v_lshlrev_b32_e32 v3, 21, v3
	s_delay_alu instid0(VALU_DEP_1) | instskip(NEXT) | instid1(VALU_DEP_1)
	v_or3_b32 v1, v1, v6, v3
	v_cvt_i32_f32_e32 v6, v1
.LBB388_461:
	s_or_b32 exec_lo, exec_lo, s27
	s_mov_b32 s27, 0
	s_branch .LBB388_467
.LBB388_462:
	s_mov_b32 s28, -1
                                        ; implicit-def: $vgpr6
	s_branch .LBB388_473
.LBB388_463:
	s_and_not1_saveexec_b32 s27, s27
	s_cbranch_execz .LBB388_448
.LBB388_464:
	v_cmp_ne_u16_e32 vcc_lo, 0, v1
	s_and_not1_b32 s28, s28, exec_lo
	s_and_b32 s29, vcc_lo, exec_lo
	s_delay_alu instid0(SALU_CYCLE_1)
	s_or_b32 s28, s28, s29
	s_or_b32 exec_lo, exec_lo, s27
	v_mov_b32_e32 v6, 0
	s_and_saveexec_b32 s27, s28
	s_cbranch_execnz .LBB388_449
	s_branch .LBB388_450
.LBB388_465:
	s_mov_b32 s27, -1
                                        ; implicit-def: $vgpr6
	s_branch .LBB388_470
.LBB388_466:
	s_mov_b32 s27, -1
                                        ; implicit-def: $vgpr6
.LBB388_467:
	s_delay_alu instid0(SALU_CYCLE_1)
	s_and_b32 vcc_lo, exec_lo, s27
	s_cbranch_vccz .LBB388_469
; %bb.468:
	global_load_u8 v1, v[4:5], off
	s_wait_loadcnt 0x0
	v_lshlrev_b32_e32 v1, 24, v1
	s_delay_alu instid0(VALU_DEP_1) | instskip(NEXT) | instid1(VALU_DEP_1)
	v_and_b32_e32 v3, 0x7f000000, v1
	v_clz_i32_u32_e32 v6, v3
	v_cmp_ne_u32_e32 vcc_lo, 0, v3
	v_add_nc_u32_e32 v8, 0x1000000, v3
	s_delay_alu instid0(VALU_DEP_3) | instskip(NEXT) | instid1(VALU_DEP_1)
	v_min_u32_e32 v6, 32, v6
	v_sub_nc_u32_e64 v6, v6, 4 clamp
	s_delay_alu instid0(VALU_DEP_1) | instskip(NEXT) | instid1(VALU_DEP_1)
	v_dual_lshlrev_b32 v7, v6, v3 :: v_dual_lshlrev_b32 v6, 23, v6
	v_lshrrev_b32_e32 v7, 4, v7
	s_delay_alu instid0(VALU_DEP_1) | instskip(NEXT) | instid1(VALU_DEP_1)
	v_dual_sub_nc_u32 v6, v7, v6 :: v_dual_ashrrev_i32 v7, 8, v8
	v_add_nc_u32_e32 v6, 0x3c000000, v6
	s_delay_alu instid0(VALU_DEP_1) | instskip(NEXT) | instid1(VALU_DEP_1)
	v_and_or_b32 v6, 0x7f800000, v7, v6
	v_cndmask_b32_e32 v3, 0, v6, vcc_lo
	s_delay_alu instid0(VALU_DEP_1) | instskip(NEXT) | instid1(VALU_DEP_1)
	v_and_or_b32 v1, 0x80000000, v1, v3
	v_cvt_i32_f32_e32 v6, v1
.LBB388_469:
	s_mov_b32 s27, 0
.LBB388_470:
	s_delay_alu instid0(SALU_CYCLE_1)
	s_and_not1_b32 vcc_lo, exec_lo, s27
	s_cbranch_vccnz .LBB388_472
; %bb.471:
	global_load_u8 v1, v[4:5], off
	s_wait_loadcnt 0x0
	v_lshlrev_b32_e32 v3, 25, v1
	v_lshlrev_b16 v1, 8, v1
	s_delay_alu instid0(VALU_DEP_1) | instskip(SKIP_1) | instid1(VALU_DEP_2)
	v_and_or_b32 v7, 0x7f00, v1, 0.5
	v_bfe_i32 v1, v1, 0, 16
	v_add_f32_e32 v7, -0.5, v7
	v_lshrrev_b32_e32 v6, 4, v3
	v_cmp_gt_u32_e32 vcc_lo, 0x8000000, v3
	s_delay_alu instid0(VALU_DEP_2) | instskip(NEXT) | instid1(VALU_DEP_1)
	v_or_b32_e32 v6, 0x70000000, v6
	v_mul_f32_e32 v6, 0x7800000, v6
	s_delay_alu instid0(VALU_DEP_1) | instskip(NEXT) | instid1(VALU_DEP_1)
	v_cndmask_b32_e32 v3, v6, v7, vcc_lo
	v_and_or_b32 v1, 0x80000000, v1, v3
	s_delay_alu instid0(VALU_DEP_1)
	v_cvt_i32_f32_e32 v6, v1
.LBB388_472:
	s_mov_b32 s28, 0
	s_mov_b32 s27, -1
.LBB388_473:
	s_and_not1_b32 vcc_lo, exec_lo, s28
	s_cbranch_vccnz .LBB388_486
; %bb.474:
	s_cmp_gt_i32 s0, 14
	s_cbranch_scc0 .LBB388_477
; %bb.475:
	s_cmp_eq_u32 s0, 15
	s_cbranch_scc0 .LBB388_480
; %bb.476:
	global_load_u16 v1, v[4:5], off
	s_mov_b32 s27, -1
	s_mov_b32 s26, 0
	s_wait_loadcnt 0x0
	v_lshlrev_b32_e32 v1, 16, v1
	s_delay_alu instid0(VALU_DEP_1)
	v_cvt_i32_f32_e32 v6, v1
	s_branch .LBB388_481
.LBB388_477:
	s_mov_b32 s28, -1
                                        ; implicit-def: $vgpr6
	s_branch .LBB388_482
.LBB388_478:
	s_and_not1_saveexec_b32 s27, s27
	s_cbranch_execz .LBB388_459
.LBB388_479:
	v_cmp_ne_u16_e32 vcc_lo, 0, v1
	s_and_not1_b32 s28, s28, exec_lo
	s_and_b32 s29, vcc_lo, exec_lo
	s_delay_alu instid0(SALU_CYCLE_1)
	s_or_b32 s28, s28, s29
	s_or_b32 exec_lo, exec_lo, s27
	v_mov_b32_e32 v6, 0
	s_and_saveexec_b32 s27, s28
	s_cbranch_execnz .LBB388_460
	s_branch .LBB388_461
.LBB388_480:
	s_mov_b32 s26, -1
                                        ; implicit-def: $vgpr6
.LBB388_481:
	s_mov_b32 s28, 0
.LBB388_482:
	s_delay_alu instid0(SALU_CYCLE_1)
	s_and_b32 vcc_lo, exec_lo, s28
	s_cbranch_vccz .LBB388_486
; %bb.483:
	s_cmp_eq_u32 s0, 11
	s_cbranch_scc0 .LBB388_485
; %bb.484:
	global_load_u8 v1, v[4:5], off
	s_mov_b32 s26, 0
	s_mov_b32 s27, -1
	s_wait_loadcnt 0x0
	v_cmp_ne_u16_e32 vcc_lo, 0, v1
	v_cndmask_b32_e64 v6, 0, 1, vcc_lo
	s_branch .LBB388_486
.LBB388_485:
	s_mov_b32 s26, -1
                                        ; implicit-def: $vgpr6
.LBB388_486:
	s_branch .LBB388_292
.LBB388_487:
	s_cmp_lt_i32 s0, 5
	s_cbranch_scc1 .LBB388_492
; %bb.488:
	s_cmp_lt_i32 s0, 8
	s_cbranch_scc1 .LBB388_493
; %bb.489:
	;; [unrolled: 3-line block ×3, first 2 shown]
	s_cmp_gt_i32 s0, 9
	s_cbranch_scc0 .LBB388_495
; %bb.491:
	s_wait_loadcnt 0x0
	global_load_b64 v[6:7], v[4:5], off
	s_mov_b32 s27, 0
	s_wait_loadcnt 0x0
	v_cvt_i32_f64_e32 v6, v[6:7]
	s_branch .LBB388_496
.LBB388_492:
	s_mov_b32 s27, -1
                                        ; implicit-def: $vgpr6
	s_branch .LBB388_514
.LBB388_493:
	s_mov_b32 s27, -1
                                        ; implicit-def: $vgpr6
	s_branch .LBB388_502
.LBB388_494:
	s_mov_b32 s27, -1
                                        ; implicit-def: $vgpr6
	s_branch .LBB388_499
.LBB388_495:
	s_mov_b32 s27, -1
                                        ; implicit-def: $vgpr6
.LBB388_496:
	s_delay_alu instid0(SALU_CYCLE_1)
	s_and_not1_b32 vcc_lo, exec_lo, s27
	s_cbranch_vccnz .LBB388_498
; %bb.497:
	global_load_b32 v1, v[4:5], off
	s_wait_loadcnt 0x0
	v_cvt_i32_f32_e32 v6, v1
.LBB388_498:
	s_mov_b32 s27, 0
.LBB388_499:
	s_delay_alu instid0(SALU_CYCLE_1)
	s_and_not1_b32 vcc_lo, exec_lo, s27
	s_cbranch_vccnz .LBB388_501
; %bb.500:
	global_load_b32 v1, v[4:5], off
	s_wait_loadcnt 0x0
	v_cvt_i16_f16_e32 v6, v1
.LBB388_501:
	s_mov_b32 s27, 0
.LBB388_502:
	s_delay_alu instid0(SALU_CYCLE_1)
	s_and_not1_b32 vcc_lo, exec_lo, s27
	s_cbranch_vccnz .LBB388_513
; %bb.503:
	s_cmp_lt_i32 s0, 6
	s_cbranch_scc1 .LBB388_506
; %bb.504:
	s_cmp_gt_i32 s0, 6
	s_cbranch_scc0 .LBB388_507
; %bb.505:
	s_wait_loadcnt 0x0
	global_load_b64 v[6:7], v[4:5], off
	s_mov_b32 s27, 0
	s_wait_loadcnt 0x0
	v_cvt_i32_f64_e32 v6, v[6:7]
	s_branch .LBB388_508
.LBB388_506:
	s_mov_b32 s27, -1
                                        ; implicit-def: $vgpr6
	s_branch .LBB388_511
.LBB388_507:
	s_mov_b32 s27, -1
                                        ; implicit-def: $vgpr6
.LBB388_508:
	s_delay_alu instid0(SALU_CYCLE_1)
	s_and_not1_b32 vcc_lo, exec_lo, s27
	s_cbranch_vccnz .LBB388_510
; %bb.509:
	global_load_b32 v1, v[4:5], off
	s_wait_loadcnt 0x0
	v_cvt_i32_f32_e32 v6, v1
.LBB388_510:
	s_mov_b32 s27, 0
.LBB388_511:
	s_delay_alu instid0(SALU_CYCLE_1)
	s_and_not1_b32 vcc_lo, exec_lo, s27
	s_cbranch_vccnz .LBB388_513
; %bb.512:
	global_load_u16 v1, v[4:5], off
	s_wait_loadcnt 0x0
	v_cvt_i16_f16_e32 v6, v1
.LBB388_513:
	s_mov_b32 s27, 0
.LBB388_514:
	s_delay_alu instid0(SALU_CYCLE_1)
	s_and_not1_b32 vcc_lo, exec_lo, s27
	s_cbranch_vccnz .LBB388_534
; %bb.515:
	s_cmp_lt_i32 s0, 2
	s_cbranch_scc1 .LBB388_519
; %bb.516:
	s_cmp_lt_i32 s0, 3
	s_cbranch_scc1 .LBB388_520
; %bb.517:
	s_cmp_gt_i32 s0, 3
	s_cbranch_scc0 .LBB388_521
; %bb.518:
	s_wait_loadcnt 0x0
	global_load_b64 v[6:7], v[4:5], off
	s_mov_b32 s27, 0
	s_branch .LBB388_522
.LBB388_519:
	s_mov_b32 s27, -1
                                        ; implicit-def: $vgpr6
	s_branch .LBB388_528
.LBB388_520:
	s_mov_b32 s27, -1
                                        ; implicit-def: $vgpr6
	s_branch .LBB388_525
.LBB388_521:
	s_mov_b32 s27, -1
                                        ; implicit-def: $vgpr6
.LBB388_522:
	s_delay_alu instid0(SALU_CYCLE_1)
	s_and_not1_b32 vcc_lo, exec_lo, s27
	s_cbranch_vccnz .LBB388_524
; %bb.523:
	s_wait_loadcnt 0x0
	global_load_b32 v6, v[4:5], off
.LBB388_524:
	s_mov_b32 s27, 0
.LBB388_525:
	s_delay_alu instid0(SALU_CYCLE_1)
	s_and_not1_b32 vcc_lo, exec_lo, s27
	s_cbranch_vccnz .LBB388_527
; %bb.526:
	s_wait_loadcnt 0x0
	global_load_u16 v6, v[4:5], off
.LBB388_527:
	s_mov_b32 s27, 0
.LBB388_528:
	s_delay_alu instid0(SALU_CYCLE_1)
	s_and_not1_b32 vcc_lo, exec_lo, s27
	s_cbranch_vccnz .LBB388_534
; %bb.529:
	s_cmp_gt_i32 s0, 0
	s_mov_b32 s0, 0
	s_cbranch_scc0 .LBB388_531
; %bb.530:
	s_wait_loadcnt 0x0
	global_load_u8 v6, v[4:5], off
	s_branch .LBB388_532
.LBB388_531:
	s_mov_b32 s0, -1
                                        ; implicit-def: $vgpr6
.LBB388_532:
	s_delay_alu instid0(SALU_CYCLE_1)
	s_and_not1_b32 vcc_lo, exec_lo, s0
	s_cbranch_vccnz .LBB388_534
; %bb.533:
	s_wait_loadcnt 0x0
	global_load_u8 v6, v[4:5], off
.LBB388_534:
	s_branch .LBB388_293
.LBB388_535:
	s_mov_b32 s27, 0
	s_mov_b32 s0, s20
.LBB388_536:
                                        ; implicit-def: $vgpr0
.LBB388_537:
	s_and_not1_b32 s28, s20, exec_lo
	s_and_b32 s0, s0, exec_lo
	s_and_not1_b32 s29, s42, exec_lo
	s_and_b32 s26, s26, exec_lo
	s_or_b32 s45, s28, s0
	s_or_b32 s44, s29, s26
	s_or_not1_b32 s0, s27, exec_lo
.LBB388_538:
	s_wait_xcnt 0x0
	s_or_b32 exec_lo, exec_lo, s46
	s_mov_b32 s26, 0
	s_mov_b32 s27, 0
	;; [unrolled: 1-line block ×3, first 2 shown]
                                        ; implicit-def: $vgpr4_vgpr5
                                        ; implicit-def: $vgpr2
                                        ; implicit-def: $vgpr6
	s_and_saveexec_b32 s46, s0
	s_cbranch_execz .LBB388_911
; %bb.539:
	s_mov_b32 s29, -1
	s_mov_b32 s0, s44
	s_mov_b32 s30, s45
	s_mov_b32 s47, exec_lo
	v_cmpx_gt_i32_e64 s39, v0
	s_cbranch_execz .LBB388_812
; %bb.540:
	s_and_not1_b32 vcc_lo, exec_lo, s35
	s_cbranch_vccnz .LBB388_546
; %bb.541:
	s_and_not1_b32 vcc_lo, exec_lo, s41
	s_cbranch_vccnz .LBB388_547
; %bb.542:
	s_add_co_i32 s0, s40, 1
	s_cmp_eq_u32 s34, 2
	s_cbranch_scc1 .LBB388_548
; %bb.543:
	v_dual_mov_b32 v2, 0 :: v_dual_mov_b32 v4, 0
	v_mov_b32_e32 v1, v0
	s_and_b32 s26, s0, 28
	s_mov_b64 s[28:29], s[16:17]
	s_mov_b64 s[30:31], s[24:25]
.LBB388_544:                            ; =>This Inner Loop Header: Depth=1
	s_clause 0x1
	s_load_b256 s[48:55], s[28:29], 0x4
	s_load_b128 s[64:67], s[28:29], 0x24
	s_load_b256 s[56:63], s[30:31], 0x0
	s_add_co_i32 s27, s27, 4
	s_wait_xcnt 0x0
	s_add_nc_u64 s[28:29], s[28:29], 48
	s_cmp_eq_u32 s26, s27
	s_add_nc_u64 s[30:31], s[30:31], 32
	s_wait_kmcnt 0x0
	v_mul_hi_u32 v3, s49, v1
	s_delay_alu instid0(VALU_DEP_1) | instskip(NEXT) | instid1(VALU_DEP_1)
	v_add_nc_u32_e32 v3, v1, v3
	v_lshrrev_b32_e32 v3, s50, v3
	s_delay_alu instid0(VALU_DEP_1) | instskip(NEXT) | instid1(VALU_DEP_1)
	v_mul_hi_u32 v5, s52, v3
	v_add_nc_u32_e32 v5, v3, v5
	s_delay_alu instid0(VALU_DEP_1) | instskip(SKIP_1) | instid1(VALU_DEP_1)
	v_lshrrev_b32_e32 v5, s53, v5
	s_wait_loadcnt 0x0
	v_mul_hi_u32 v6, s55, v5
	s_delay_alu instid0(VALU_DEP_1) | instskip(SKIP_1) | instid1(VALU_DEP_1)
	v_add_nc_u32_e32 v6, v5, v6
	v_mul_lo_u32 v7, v3, s48
	v_sub_nc_u32_e32 v1, v1, v7
	v_mul_lo_u32 v7, v5, s51
	s_delay_alu instid0(VALU_DEP_4) | instskip(NEXT) | instid1(VALU_DEP_3)
	v_lshrrev_b32_e32 v6, s64, v6
	v_mad_u32 v4, v1, s57, v4
	v_mad_u32 v1, v1, s56, v2
	s_delay_alu instid0(VALU_DEP_4) | instskip(NEXT) | instid1(VALU_DEP_4)
	v_sub_nc_u32_e32 v2, v3, v7
	v_mul_hi_u32 v8, s66, v6
	v_mul_lo_u32 v3, v6, s54
	s_delay_alu instid0(VALU_DEP_3) | instskip(SKIP_1) | instid1(VALU_DEP_3)
	v_mad_u32 v4, v2, s59, v4
	v_mad_u32 v2, v2, s58, v1
	v_dual_add_nc_u32 v7, v6, v8 :: v_dual_sub_nc_u32 v3, v5, v3
	s_delay_alu instid0(VALU_DEP_1) | instskip(NEXT) | instid1(VALU_DEP_2)
	v_lshrrev_b32_e32 v1, s67, v7
	v_mad_u32 v4, v3, s61, v4
	s_delay_alu instid0(VALU_DEP_4) | instskip(NEXT) | instid1(VALU_DEP_3)
	v_mad_u32 v2, v3, s60, v2
	v_mul_lo_u32 v5, v1, s65
	s_delay_alu instid0(VALU_DEP_1) | instskip(NEXT) | instid1(VALU_DEP_1)
	v_sub_nc_u32_e32 v3, v6, v5
	v_mad_u32 v4, v3, s63, v4
	s_delay_alu instid0(VALU_DEP_4)
	v_mad_u32 v2, v3, s62, v2
	s_cbranch_scc0 .LBB388_544
; %bb.545:
	s_delay_alu instid0(VALU_DEP_2)
	v_mov_b32_e32 v3, v4
	s_branch .LBB388_549
.LBB388_546:
	s_mov_b32 s0, -1
                                        ; implicit-def: $vgpr4
                                        ; implicit-def: $vgpr2
	s_branch .LBB388_554
.LBB388_547:
	v_dual_mov_b32 v4, 0 :: v_dual_mov_b32 v2, 0
	s_branch .LBB388_553
.LBB388_548:
	v_mov_b64_e32 v[2:3], 0
	v_mov_b32_e32 v1, v0
                                        ; implicit-def: $vgpr4
.LBB388_549:
	s_and_b32 s0, s0, 3
	s_mov_b32 s27, 0
	s_cmp_eq_u32 s0, 0
	s_cbranch_scc1 .LBB388_553
; %bb.550:
	s_lshl_b32 s28, s26, 3
	s_mov_b32 s29, s27
	s_mul_u64 s[30:31], s[26:27], 12
	s_add_nc_u64 s[28:29], s[16:17], s[28:29]
	s_delay_alu instid0(SALU_CYCLE_1)
	s_add_nc_u64 s[26:27], s[28:29], 0xc4
	s_add_nc_u64 s[28:29], s[16:17], s[30:31]
.LBB388_551:                            ; =>This Inner Loop Header: Depth=1
	s_load_b96 s[48:50], s[28:29], 0x4
	s_load_b64 s[30:31], s[26:27], 0x0
	s_add_co_i32 s0, s0, -1
	s_wait_xcnt 0x0
	s_add_nc_u64 s[28:29], s[28:29], 12
	s_cmp_lg_u32 s0, 0
	s_add_nc_u64 s[26:27], s[26:27], 8
	s_wait_kmcnt 0x0
	v_mul_hi_u32 v4, s49, v1
	s_delay_alu instid0(VALU_DEP_1) | instskip(NEXT) | instid1(VALU_DEP_1)
	v_add_nc_u32_e32 v4, v1, v4
	v_lshrrev_b32_e32 v4, s50, v4
	s_delay_alu instid0(VALU_DEP_1) | instskip(NEXT) | instid1(VALU_DEP_1)
	v_mul_lo_u32 v5, v4, s48
	v_sub_nc_u32_e32 v1, v1, v5
	s_delay_alu instid0(VALU_DEP_1)
	v_mad_u32 v3, v1, s31, v3
	v_mad_u32 v2, v1, s30, v2
	v_mov_b32_e32 v1, v4
	s_cbranch_scc1 .LBB388_551
; %bb.552:
	s_delay_alu instid0(VALU_DEP_3)
	v_mov_b32_e32 v4, v3
.LBB388_553:
	s_mov_b32 s0, 0
.LBB388_554:
	s_delay_alu instid0(SALU_CYCLE_1)
	s_and_not1_b32 vcc_lo, exec_lo, s0
	s_cbranch_vccnz .LBB388_557
; %bb.555:
	v_mov_b32_e32 v1, 0
	s_and_not1_b32 vcc_lo, exec_lo, s38
	s_delay_alu instid0(VALU_DEP_1) | instskip(NEXT) | instid1(VALU_DEP_1)
	v_mul_u64_e32 v[2:3], s[18:19], v[0:1]
	v_add_nc_u32_e32 v2, v0, v3
	s_wait_loadcnt 0x0
	s_delay_alu instid0(VALU_DEP_1) | instskip(NEXT) | instid1(VALU_DEP_1)
	v_lshrrev_b32_e32 v6, s10, v2
	v_mul_lo_u32 v2, v6, s8
	s_delay_alu instid0(VALU_DEP_1) | instskip(NEXT) | instid1(VALU_DEP_1)
	v_sub_nc_u32_e32 v2, v0, v2
	v_mul_lo_u32 v4, v2, s13
	v_mul_lo_u32 v2, v2, s12
	s_cbranch_vccnz .LBB388_557
; %bb.556:
	v_mov_b32_e32 v7, v1
	s_delay_alu instid0(VALU_DEP_1) | instskip(NEXT) | instid1(VALU_DEP_1)
	v_mul_u64_e32 v[8:9], s[22:23], v[6:7]
	v_add_nc_u32_e32 v1, v6, v9
	s_delay_alu instid0(VALU_DEP_1) | instskip(NEXT) | instid1(VALU_DEP_1)
	v_lshrrev_b32_e32 v1, s21, v1
	v_mul_lo_u32 v1, v1, s11
	s_delay_alu instid0(VALU_DEP_1) | instskip(NEXT) | instid1(VALU_DEP_1)
	v_sub_nc_u32_e32 v1, v6, v1
	v_mad_u32 v2, v1, s14, v2
	v_mad_u32 v4, v1, s15, v4
.LBB388_557:
	v_mov_b32_e32 v5, 0
	s_and_b32 s0, 0xffff, s37
	s_delay_alu instid0(SALU_CYCLE_1) | instskip(NEXT) | instid1(VALU_DEP_1)
	s_cmp_lt_i32 s0, 11
	v_add_nc_u64_e32 v[4:5], s[6:7], v[4:5]
	s_cbranch_scc1 .LBB388_564
; %bb.558:
	s_cmp_gt_i32 s0, 25
	s_cbranch_scc0 .LBB388_565
; %bb.559:
	s_cmp_gt_i32 s0, 28
	s_cbranch_scc0 .LBB388_566
	;; [unrolled: 3-line block ×4, first 2 shown]
; %bb.562:
	s_cmp_eq_u32 s0, 46
	s_mov_b32 s28, 0
	s_cbranch_scc0 .LBB388_573
; %bb.563:
	global_load_b32 v1, v[4:5], off
	s_mov_b32 s27, -1
	s_mov_b32 s26, 0
	s_wait_loadcnt 0x0
	v_lshlrev_b32_e32 v1, 16, v1
	s_delay_alu instid0(VALU_DEP_1)
	v_cvt_i32_f32_e32 v6, v1
	s_branch .LBB388_575
.LBB388_564:
	s_mov_b32 s28, -1
	s_mov_b32 s27, 0
	s_mov_b32 s26, s44
                                        ; implicit-def: $vgpr6
	s_branch .LBB388_636
.LBB388_565:
	s_mov_b32 s28, -1
	s_mov_b32 s27, 0
	s_mov_b32 s26, s44
                                        ; implicit-def: $vgpr6
	s_branch .LBB388_602
.LBB388_566:
	s_mov_b32 s28, -1
	s_mov_b32 s27, 0
	s_mov_b32 s26, s44
                                        ; implicit-def: $vgpr6
	s_branch .LBB388_585
.LBB388_567:
	s_mov_b32 s28, -1
	s_mov_b32 s27, 0
	s_mov_b32 s26, s44
                                        ; implicit-def: $vgpr6
	s_branch .LBB388_580
.LBB388_568:
	s_and_not1_saveexec_b32 s44, s44
	s_cbranch_execz .LBB388_339
.LBB388_569:
	v_add_f32_e32 v1, 0x46000000, v4
	s_and_not1_b32 s31, s31, exec_lo
	s_delay_alu instid0(VALU_DEP_1) | instskip(NEXT) | instid1(VALU_DEP_1)
	v_and_b32_e32 v1, 0xff, v1
	v_cmp_ne_u32_e32 vcc_lo, 0, v1
	s_and_b32 s45, vcc_lo, exec_lo
	s_delay_alu instid0(SALU_CYCLE_1)
	s_or_b32 s31, s31, s45
	s_or_b32 exec_lo, exec_lo, s44
	v_mov_b32_e32 v5, 0
	s_and_saveexec_b32 s44, s31
	s_cbranch_execnz .LBB388_340
	s_branch .LBB388_341
.LBB388_570:
	s_mov_b32 s28, -1
	s_mov_b32 s27, 0
	s_mov_b32 s26, s44
	s_branch .LBB388_574
.LBB388_571:
	s_and_not1_saveexec_b32 s44, s44
	s_cbranch_execz .LBB388_352
.LBB388_572:
	v_add_f32_e32 v1, 0x42800000, v4
	s_and_not1_b32 s31, s31, exec_lo
	s_delay_alu instid0(VALU_DEP_1) | instskip(NEXT) | instid1(VALU_DEP_1)
	v_and_b32_e32 v1, 0xff, v1
	v_cmp_ne_u32_e32 vcc_lo, 0, v1
	s_and_b32 s45, vcc_lo, exec_lo
	s_delay_alu instid0(SALU_CYCLE_1)
	s_or_b32 s31, s31, s45
	s_or_b32 exec_lo, exec_lo, s44
	v_mov_b32_e32 v5, 0
	s_and_saveexec_b32 s44, s31
	s_cbranch_execnz .LBB388_353
	s_branch .LBB388_354
.LBB388_573:
	s_mov_b32 s26, -1
	s_mov_b32 s27, 0
.LBB388_574:
                                        ; implicit-def: $vgpr6
.LBB388_575:
	s_and_b32 vcc_lo, exec_lo, s28
	s_cbranch_vccz .LBB388_579
; %bb.576:
	s_cmp_eq_u32 s0, 44
	s_cbranch_scc0 .LBB388_578
; %bb.577:
	global_load_u8 v1, v[4:5], off
	s_mov_b32 s26, 0
	s_mov_b32 s27, -1
	s_wait_loadcnt 0x0
	v_lshlrev_b32_e32 v3, 23, v1
	v_cmp_ne_u32_e32 vcc_lo, 0, v1
	s_delay_alu instid0(VALU_DEP_2) | instskip(NEXT) | instid1(VALU_DEP_1)
	v_cvt_i32_f32_e32 v3, v3
	v_cndmask_b32_e32 v6, 0, v3, vcc_lo
	s_branch .LBB388_579
.LBB388_578:
	s_mov_b32 s26, -1
                                        ; implicit-def: $vgpr6
.LBB388_579:
	s_mov_b32 s28, 0
.LBB388_580:
	s_delay_alu instid0(SALU_CYCLE_1)
	s_and_b32 vcc_lo, exec_lo, s28
	s_cbranch_vccz .LBB388_584
; %bb.581:
	s_cmp_eq_u32 s0, 29
	s_cbranch_scc0 .LBB388_583
; %bb.582:
	s_wait_loadcnt 0x0
	global_load_b64 v[6:7], v[4:5], off
	s_mov_b32 s27, -1
	s_mov_b32 s26, 0
	s_branch .LBB388_584
.LBB388_583:
	s_mov_b32 s26, -1
                                        ; implicit-def: $vgpr6
.LBB388_584:
	s_mov_b32 s28, 0
.LBB388_585:
	s_delay_alu instid0(SALU_CYCLE_1)
	s_and_b32 vcc_lo, exec_lo, s28
	s_cbranch_vccz .LBB388_601
; %bb.586:
	s_cmp_lt_i32 s0, 27
	s_cbranch_scc1 .LBB388_589
; %bb.587:
	s_cmp_gt_i32 s0, 27
	s_cbranch_scc0 .LBB388_590
; %bb.588:
	s_wait_loadcnt 0x0
	global_load_b32 v6, v[4:5], off
	s_mov_b32 s27, 0
	s_branch .LBB388_591
.LBB388_589:
	s_mov_b32 s27, -1
                                        ; implicit-def: $vgpr6
	s_branch .LBB388_594
.LBB388_590:
	s_mov_b32 s27, -1
                                        ; implicit-def: $vgpr6
.LBB388_591:
	s_delay_alu instid0(SALU_CYCLE_1)
	s_and_not1_b32 vcc_lo, exec_lo, s27
	s_cbranch_vccnz .LBB388_593
; %bb.592:
	s_wait_loadcnt 0x0
	global_load_u16 v6, v[4:5], off
.LBB388_593:
	s_mov_b32 s27, 0
.LBB388_594:
	s_delay_alu instid0(SALU_CYCLE_1)
	s_and_not1_b32 vcc_lo, exec_lo, s27
	s_cbranch_vccnz .LBB388_600
; %bb.595:
	global_load_u8 v1, v[4:5], off
	s_mov_b32 s28, 0
	s_mov_b32 s27, exec_lo
	s_wait_loadcnt 0x0
	v_cmpx_lt_i16_e32 0x7f, v1
	s_xor_b32 s27, exec_lo, s27
	s_cbranch_execz .LBB388_612
; %bb.596:
	v_cmp_ne_u16_e32 vcc_lo, 0x80, v1
	s_and_b32 s28, vcc_lo, exec_lo
	s_and_not1_saveexec_b32 s27, s27
	s_cbranch_execnz .LBB388_613
.LBB388_597:
	s_or_b32 exec_lo, exec_lo, s27
	v_mov_b32_e32 v6, 0
	s_and_saveexec_b32 s27, s28
	s_cbranch_execz .LBB388_599
.LBB388_598:
	v_and_b32_e32 v3, 0xffff, v1
	s_delay_alu instid0(VALU_DEP_1) | instskip(SKIP_1) | instid1(VALU_DEP_2)
	v_dual_lshlrev_b32 v1, 24, v1 :: v_dual_bitop2_b32 v6, 7, v3 bitop3:0x40
	v_bfe_u32 v9, v3, 3, 4
	v_and_b32_e32 v1, 0x80000000, v1
	s_delay_alu instid0(VALU_DEP_3) | instskip(NEXT) | instid1(VALU_DEP_3)
	v_clz_i32_u32_e32 v7, v6
	v_cmp_eq_u32_e32 vcc_lo, 0, v9
	s_delay_alu instid0(VALU_DEP_2) | instskip(NEXT) | instid1(VALU_DEP_1)
	v_min_u32_e32 v7, 32, v7
	v_subrev_nc_u32_e32 v8, 28, v7
	v_sub_nc_u32_e32 v7, 29, v7
	s_delay_alu instid0(VALU_DEP_2) | instskip(NEXT) | instid1(VALU_DEP_2)
	v_lshlrev_b32_e32 v3, v8, v3
	v_cndmask_b32_e32 v7, v9, v7, vcc_lo
	s_delay_alu instid0(VALU_DEP_2) | instskip(NEXT) | instid1(VALU_DEP_1)
	v_and_b32_e32 v3, 7, v3
	v_cndmask_b32_e32 v3, v6, v3, vcc_lo
	s_delay_alu instid0(VALU_DEP_3) | instskip(NEXT) | instid1(VALU_DEP_2)
	v_lshl_add_u32 v6, v7, 23, 0x3b800000
	v_lshlrev_b32_e32 v3, 20, v3
	s_delay_alu instid0(VALU_DEP_1) | instskip(NEXT) | instid1(VALU_DEP_1)
	v_or3_b32 v1, v1, v6, v3
	v_cvt_i32_f32_e32 v6, v1
.LBB388_599:
	s_or_b32 exec_lo, exec_lo, s27
.LBB388_600:
	s_mov_b32 s27, -1
.LBB388_601:
	s_mov_b32 s28, 0
.LBB388_602:
	s_delay_alu instid0(SALU_CYCLE_1)
	s_and_b32 vcc_lo, exec_lo, s28
	s_cbranch_vccz .LBB388_635
; %bb.603:
	s_cmp_gt_i32 s0, 22
	s_cbranch_scc0 .LBB388_611
; %bb.604:
	s_cmp_lt_i32 s0, 24
	s_cbranch_scc1 .LBB388_614
; %bb.605:
	s_cmp_gt_i32 s0, 24
	s_cbranch_scc0 .LBB388_615
; %bb.606:
	global_load_u8 v1, v[4:5], off
	s_mov_b32 s28, 0
	s_mov_b32 s27, exec_lo
	s_wait_loadcnt 0x0
	v_cmpx_lt_i16_e32 0x7f, v1
	s_xor_b32 s27, exec_lo, s27
	s_cbranch_execz .LBB388_627
; %bb.607:
	v_cmp_ne_u16_e32 vcc_lo, 0x80, v1
	s_and_b32 s28, vcc_lo, exec_lo
	s_and_not1_saveexec_b32 s27, s27
	s_cbranch_execnz .LBB388_628
.LBB388_608:
	s_or_b32 exec_lo, exec_lo, s27
	v_mov_b32_e32 v6, 0
	s_and_saveexec_b32 s27, s28
	s_cbranch_execz .LBB388_610
.LBB388_609:
	v_and_b32_e32 v3, 0xffff, v1
	s_delay_alu instid0(VALU_DEP_1) | instskip(SKIP_1) | instid1(VALU_DEP_2)
	v_dual_lshlrev_b32 v1, 24, v1 :: v_dual_bitop2_b32 v6, 3, v3 bitop3:0x40
	v_bfe_u32 v9, v3, 2, 5
	v_and_b32_e32 v1, 0x80000000, v1
	s_delay_alu instid0(VALU_DEP_3) | instskip(NEXT) | instid1(VALU_DEP_3)
	v_clz_i32_u32_e32 v7, v6
	v_cmp_eq_u32_e32 vcc_lo, 0, v9
	s_delay_alu instid0(VALU_DEP_2) | instskip(NEXT) | instid1(VALU_DEP_1)
	v_min_u32_e32 v7, 32, v7
	v_subrev_nc_u32_e32 v8, 29, v7
	v_sub_nc_u32_e32 v7, 30, v7
	s_delay_alu instid0(VALU_DEP_2) | instskip(NEXT) | instid1(VALU_DEP_2)
	v_lshlrev_b32_e32 v3, v8, v3
	v_cndmask_b32_e32 v7, v9, v7, vcc_lo
	s_delay_alu instid0(VALU_DEP_2) | instskip(NEXT) | instid1(VALU_DEP_1)
	v_and_b32_e32 v3, 3, v3
	v_cndmask_b32_e32 v3, v6, v3, vcc_lo
	s_delay_alu instid0(VALU_DEP_3) | instskip(NEXT) | instid1(VALU_DEP_2)
	v_lshl_add_u32 v6, v7, 23, 0x37800000
	v_lshlrev_b32_e32 v3, 21, v3
	s_delay_alu instid0(VALU_DEP_1) | instskip(NEXT) | instid1(VALU_DEP_1)
	v_or3_b32 v1, v1, v6, v3
	v_cvt_i32_f32_e32 v6, v1
.LBB388_610:
	s_or_b32 exec_lo, exec_lo, s27
	s_mov_b32 s27, 0
	s_branch .LBB388_616
.LBB388_611:
	s_mov_b32 s28, -1
                                        ; implicit-def: $vgpr6
	s_branch .LBB388_622
.LBB388_612:
	s_and_not1_saveexec_b32 s27, s27
	s_cbranch_execz .LBB388_597
.LBB388_613:
	v_cmp_ne_u16_e32 vcc_lo, 0, v1
	s_and_not1_b32 s28, s28, exec_lo
	s_and_b32 s29, vcc_lo, exec_lo
	s_delay_alu instid0(SALU_CYCLE_1)
	s_or_b32 s28, s28, s29
	s_or_b32 exec_lo, exec_lo, s27
	v_mov_b32_e32 v6, 0
	s_and_saveexec_b32 s27, s28
	s_cbranch_execnz .LBB388_598
	s_branch .LBB388_599
.LBB388_614:
	s_mov_b32 s27, -1
                                        ; implicit-def: $vgpr6
	s_branch .LBB388_619
.LBB388_615:
	s_mov_b32 s27, -1
                                        ; implicit-def: $vgpr6
.LBB388_616:
	s_delay_alu instid0(SALU_CYCLE_1)
	s_and_b32 vcc_lo, exec_lo, s27
	s_cbranch_vccz .LBB388_618
; %bb.617:
	global_load_u8 v1, v[4:5], off
	s_wait_loadcnt 0x0
	v_lshlrev_b32_e32 v1, 24, v1
	s_delay_alu instid0(VALU_DEP_1) | instskip(NEXT) | instid1(VALU_DEP_1)
	v_and_b32_e32 v3, 0x7f000000, v1
	v_clz_i32_u32_e32 v6, v3
	v_cmp_ne_u32_e32 vcc_lo, 0, v3
	v_add_nc_u32_e32 v8, 0x1000000, v3
	s_delay_alu instid0(VALU_DEP_3) | instskip(NEXT) | instid1(VALU_DEP_1)
	v_min_u32_e32 v6, 32, v6
	v_sub_nc_u32_e64 v6, v6, 4 clamp
	s_delay_alu instid0(VALU_DEP_1) | instskip(NEXT) | instid1(VALU_DEP_1)
	v_dual_lshlrev_b32 v7, v6, v3 :: v_dual_lshlrev_b32 v6, 23, v6
	v_lshrrev_b32_e32 v7, 4, v7
	s_delay_alu instid0(VALU_DEP_1) | instskip(NEXT) | instid1(VALU_DEP_1)
	v_dual_sub_nc_u32 v6, v7, v6 :: v_dual_ashrrev_i32 v7, 8, v8
	v_add_nc_u32_e32 v6, 0x3c000000, v6
	s_delay_alu instid0(VALU_DEP_1) | instskip(NEXT) | instid1(VALU_DEP_1)
	v_and_or_b32 v6, 0x7f800000, v7, v6
	v_cndmask_b32_e32 v3, 0, v6, vcc_lo
	s_delay_alu instid0(VALU_DEP_1) | instskip(NEXT) | instid1(VALU_DEP_1)
	v_and_or_b32 v1, 0x80000000, v1, v3
	v_cvt_i32_f32_e32 v6, v1
.LBB388_618:
	s_mov_b32 s27, 0
.LBB388_619:
	s_delay_alu instid0(SALU_CYCLE_1)
	s_and_not1_b32 vcc_lo, exec_lo, s27
	s_cbranch_vccnz .LBB388_621
; %bb.620:
	global_load_u8 v1, v[4:5], off
	s_wait_loadcnt 0x0
	v_lshlrev_b32_e32 v3, 25, v1
	v_lshlrev_b16 v1, 8, v1
	s_delay_alu instid0(VALU_DEP_1) | instskip(SKIP_1) | instid1(VALU_DEP_2)
	v_and_or_b32 v7, 0x7f00, v1, 0.5
	v_bfe_i32 v1, v1, 0, 16
	v_add_f32_e32 v7, -0.5, v7
	v_lshrrev_b32_e32 v6, 4, v3
	v_cmp_gt_u32_e32 vcc_lo, 0x8000000, v3
	s_delay_alu instid0(VALU_DEP_2) | instskip(NEXT) | instid1(VALU_DEP_1)
	v_or_b32_e32 v6, 0x70000000, v6
	v_mul_f32_e32 v6, 0x7800000, v6
	s_delay_alu instid0(VALU_DEP_1) | instskip(NEXT) | instid1(VALU_DEP_1)
	v_cndmask_b32_e32 v3, v6, v7, vcc_lo
	v_and_or_b32 v1, 0x80000000, v1, v3
	s_delay_alu instid0(VALU_DEP_1)
	v_cvt_i32_f32_e32 v6, v1
.LBB388_621:
	s_mov_b32 s28, 0
	s_mov_b32 s27, -1
.LBB388_622:
	s_and_not1_b32 vcc_lo, exec_lo, s28
	s_cbranch_vccnz .LBB388_635
; %bb.623:
	s_cmp_gt_i32 s0, 14
	s_cbranch_scc0 .LBB388_626
; %bb.624:
	s_cmp_eq_u32 s0, 15
	s_cbranch_scc0 .LBB388_629
; %bb.625:
	global_load_u16 v1, v[4:5], off
	s_mov_b32 s27, -1
	s_mov_b32 s26, 0
	s_wait_loadcnt 0x0
	v_lshlrev_b32_e32 v1, 16, v1
	s_delay_alu instid0(VALU_DEP_1)
	v_cvt_i32_f32_e32 v6, v1
	s_branch .LBB388_630
.LBB388_626:
	s_mov_b32 s28, -1
                                        ; implicit-def: $vgpr6
	s_branch .LBB388_631
.LBB388_627:
	s_and_not1_saveexec_b32 s27, s27
	s_cbranch_execz .LBB388_608
.LBB388_628:
	v_cmp_ne_u16_e32 vcc_lo, 0, v1
	s_and_not1_b32 s28, s28, exec_lo
	s_and_b32 s29, vcc_lo, exec_lo
	s_delay_alu instid0(SALU_CYCLE_1)
	s_or_b32 s28, s28, s29
	s_or_b32 exec_lo, exec_lo, s27
	v_mov_b32_e32 v6, 0
	s_and_saveexec_b32 s27, s28
	s_cbranch_execnz .LBB388_609
	s_branch .LBB388_610
.LBB388_629:
	s_mov_b32 s26, -1
                                        ; implicit-def: $vgpr6
.LBB388_630:
	s_mov_b32 s28, 0
.LBB388_631:
	s_delay_alu instid0(SALU_CYCLE_1)
	s_and_b32 vcc_lo, exec_lo, s28
	s_cbranch_vccz .LBB388_635
; %bb.632:
	s_cmp_eq_u32 s0, 11
	s_cbranch_scc0 .LBB388_634
; %bb.633:
	global_load_u8 v1, v[4:5], off
	s_mov_b32 s26, 0
	s_mov_b32 s27, -1
	s_wait_loadcnt 0x0
	v_cmp_ne_u16_e32 vcc_lo, 0, v1
	v_cndmask_b32_e64 v6, 0, 1, vcc_lo
	s_branch .LBB388_635
.LBB388_634:
	s_mov_b32 s26, -1
                                        ; implicit-def: $vgpr6
.LBB388_635:
	s_mov_b32 s28, 0
.LBB388_636:
	s_delay_alu instid0(SALU_CYCLE_1)
	s_and_b32 vcc_lo, exec_lo, s28
	s_cbranch_vccz .LBB388_685
; %bb.637:
	s_cmp_lt_i32 s0, 5
	s_cbranch_scc1 .LBB388_642
; %bb.638:
	s_cmp_lt_i32 s0, 8
	s_cbranch_scc1 .LBB388_643
	;; [unrolled: 3-line block ×3, first 2 shown]
; %bb.640:
	s_cmp_gt_i32 s0, 9
	s_cbranch_scc0 .LBB388_645
; %bb.641:
	s_wait_loadcnt 0x0
	global_load_b64 v[6:7], v[4:5], off
	s_mov_b32 s27, 0
	s_wait_loadcnt 0x0
	v_cvt_i32_f64_e32 v6, v[6:7]
	s_branch .LBB388_646
.LBB388_642:
	s_mov_b32 s27, -1
                                        ; implicit-def: $vgpr6
	s_branch .LBB388_664
.LBB388_643:
	s_mov_b32 s27, -1
                                        ; implicit-def: $vgpr6
	s_branch .LBB388_652
.LBB388_644:
	s_mov_b32 s27, -1
                                        ; implicit-def: $vgpr6
	s_branch .LBB388_649
.LBB388_645:
	s_mov_b32 s27, -1
                                        ; implicit-def: $vgpr6
.LBB388_646:
	s_delay_alu instid0(SALU_CYCLE_1)
	s_and_not1_b32 vcc_lo, exec_lo, s27
	s_cbranch_vccnz .LBB388_648
; %bb.647:
	global_load_b32 v1, v[4:5], off
	s_wait_loadcnt 0x0
	v_cvt_i32_f32_e32 v6, v1
.LBB388_648:
	s_mov_b32 s27, 0
.LBB388_649:
	s_delay_alu instid0(SALU_CYCLE_1)
	s_and_not1_b32 vcc_lo, exec_lo, s27
	s_cbranch_vccnz .LBB388_651
; %bb.650:
	global_load_b32 v1, v[4:5], off
	s_wait_loadcnt 0x0
	v_cvt_i16_f16_e32 v6, v1
.LBB388_651:
	s_mov_b32 s27, 0
.LBB388_652:
	s_delay_alu instid0(SALU_CYCLE_1)
	s_and_not1_b32 vcc_lo, exec_lo, s27
	s_cbranch_vccnz .LBB388_663
; %bb.653:
	s_cmp_lt_i32 s0, 6
	s_cbranch_scc1 .LBB388_656
; %bb.654:
	s_cmp_gt_i32 s0, 6
	s_cbranch_scc0 .LBB388_657
; %bb.655:
	s_wait_loadcnt 0x0
	global_load_b64 v[6:7], v[4:5], off
	s_mov_b32 s27, 0
	s_wait_loadcnt 0x0
	v_cvt_i32_f64_e32 v6, v[6:7]
	s_branch .LBB388_658
.LBB388_656:
	s_mov_b32 s27, -1
                                        ; implicit-def: $vgpr6
	s_branch .LBB388_661
.LBB388_657:
	s_mov_b32 s27, -1
                                        ; implicit-def: $vgpr6
.LBB388_658:
	s_delay_alu instid0(SALU_CYCLE_1)
	s_and_not1_b32 vcc_lo, exec_lo, s27
	s_cbranch_vccnz .LBB388_660
; %bb.659:
	global_load_b32 v1, v[4:5], off
	s_wait_loadcnt 0x0
	v_cvt_i32_f32_e32 v6, v1
.LBB388_660:
	s_mov_b32 s27, 0
.LBB388_661:
	s_delay_alu instid0(SALU_CYCLE_1)
	s_and_not1_b32 vcc_lo, exec_lo, s27
	s_cbranch_vccnz .LBB388_663
; %bb.662:
	global_load_u16 v1, v[4:5], off
	s_wait_loadcnt 0x0
	v_cvt_i16_f16_e32 v6, v1
.LBB388_663:
	s_mov_b32 s27, 0
.LBB388_664:
	s_delay_alu instid0(SALU_CYCLE_1)
	s_and_not1_b32 vcc_lo, exec_lo, s27
	s_cbranch_vccnz .LBB388_684
; %bb.665:
	s_cmp_lt_i32 s0, 2
	s_cbranch_scc1 .LBB388_669
; %bb.666:
	s_cmp_lt_i32 s0, 3
	s_cbranch_scc1 .LBB388_670
; %bb.667:
	s_cmp_gt_i32 s0, 3
	s_cbranch_scc0 .LBB388_671
; %bb.668:
	s_wait_loadcnt 0x0
	global_load_b64 v[6:7], v[4:5], off
	s_mov_b32 s27, 0
	s_branch .LBB388_672
.LBB388_669:
	s_mov_b32 s27, -1
                                        ; implicit-def: $vgpr6
	s_branch .LBB388_678
.LBB388_670:
	s_mov_b32 s27, -1
                                        ; implicit-def: $vgpr6
	s_branch .LBB388_675
.LBB388_671:
	s_mov_b32 s27, -1
                                        ; implicit-def: $vgpr6
.LBB388_672:
	s_delay_alu instid0(SALU_CYCLE_1)
	s_and_not1_b32 vcc_lo, exec_lo, s27
	s_cbranch_vccnz .LBB388_674
; %bb.673:
	s_wait_loadcnt 0x0
	global_load_b32 v6, v[4:5], off
.LBB388_674:
	s_mov_b32 s27, 0
.LBB388_675:
	s_delay_alu instid0(SALU_CYCLE_1)
	s_and_not1_b32 vcc_lo, exec_lo, s27
	s_cbranch_vccnz .LBB388_677
; %bb.676:
	s_wait_loadcnt 0x0
	global_load_u16 v6, v[4:5], off
.LBB388_677:
	s_mov_b32 s27, 0
.LBB388_678:
	s_delay_alu instid0(SALU_CYCLE_1)
	s_and_not1_b32 vcc_lo, exec_lo, s27
	s_cbranch_vccnz .LBB388_684
; %bb.679:
	s_cmp_gt_i32 s0, 0
	s_mov_b32 s0, 0
	s_cbranch_scc0 .LBB388_681
; %bb.680:
	s_wait_loadcnt 0x0
	global_load_u8 v6, v[4:5], off
	s_branch .LBB388_682
.LBB388_681:
	s_mov_b32 s0, -1
                                        ; implicit-def: $vgpr6
.LBB388_682:
	s_delay_alu instid0(SALU_CYCLE_1)
	s_and_not1_b32 vcc_lo, exec_lo, s0
	s_cbranch_vccnz .LBB388_684
; %bb.683:
	s_wait_loadcnt 0x0
	global_load_u8 v6, v[4:5], off
.LBB388_684:
	s_mov_b32 s27, -1
.LBB388_685:
	s_delay_alu instid0(SALU_CYCLE_1)
	s_and_not1_b32 vcc_lo, exec_lo, s27
	s_cbranch_vccnz .LBB388_693
; %bb.686:
	s_wait_loadcnt 0x0
	s_delay_alu instid0(VALU_DEP_1) | instskip(SKIP_3) | instid1(VALU_DEP_2)
	v_and_b32_e32 v1, 0xff, v6
	v_mov_b32_e32 v3, 0
	s_and_b32 s0, s1, 0xff
	s_and_b32 s28, s2, 0xff
	v_cmp_ne_u16_e32 vcc_lo, s0, v1
	s_delay_alu instid0(VALU_DEP_2)
	v_add_nc_u64_e32 v[2:3], s[4:5], v[2:3]
	s_xor_b32 s27, s9, vcc_lo
	s_cmp_lt_i32 s28, 11
	s_cbranch_scc1 .LBB388_694
; %bb.687:
	s_and_b32 s29, 0xffff, s28
	s_delay_alu instid0(SALU_CYCLE_1)
	s_cmp_gt_i32 s29, 25
	s_cbranch_scc0 .LBB388_695
; %bb.688:
	s_cmp_gt_i32 s29, 28
	s_cbranch_scc0 .LBB388_696
; %bb.689:
	;; [unrolled: 3-line block ×4, first 2 shown]
	s_mov_b32 s31, 0
	s_mov_b32 s0, -1
	s_cmp_eq_u32 s29, 46
	s_mov_b32 s30, 0
	s_cbranch_scc0 .LBB388_699
; %bb.692:
	v_cndmask_b32_e64 v1, 0, 1.0, s27
	s_mov_b32 s30, -1
	s_mov_b32 s0, 0
	s_wait_xcnt 0x0
	s_delay_alu instid0(VALU_DEP_1) | instskip(NEXT) | instid1(VALU_DEP_1)
	v_bfe_u32 v4, v1, 16, 1
	v_add3_u32 v1, v1, v4, 0x7fff
	s_delay_alu instid0(VALU_DEP_1)
	v_lshrrev_b32_e32 v1, 16, v1
	global_store_b32 v[2:3], v1, off
	s_branch .LBB388_699
.LBB388_693:
	s_mov_b32 s27, 0
	s_mov_b32 s0, s45
	s_branch .LBB388_810
.LBB388_694:
	s_mov_b32 s29, -1
	s_mov_b32 s30, 0
	s_mov_b32 s0, s45
	s_branch .LBB388_768
.LBB388_695:
	s_mov_b32 s31, -1
	s_mov_b32 s30, 0
	s_mov_b32 s0, s45
	s_branch .LBB388_726
.LBB388_696:
	s_mov_b32 s31, -1
	s_mov_b32 s30, 0
	s_mov_b32 s0, s45
	s_branch .LBB388_709
.LBB388_697:
	s_mov_b32 s31, -1
	s_mov_b32 s30, 0
	s_mov_b32 s0, s45
	s_branch .LBB388_705
.LBB388_698:
	s_mov_b32 s31, -1
	s_mov_b32 s30, 0
	s_mov_b32 s0, s45
.LBB388_699:
	s_and_b32 vcc_lo, exec_lo, s31
	s_cbranch_vccz .LBB388_704
; %bb.700:
	s_cmp_eq_u32 s29, 44
	s_mov_b32 s0, -1
	s_cbranch_scc0 .LBB388_704
; %bb.701:
	s_wait_xcnt 0x0
	v_cndmask_b32_e64 v5, 0, 1.0, s27
	s_mov_b32 s30, exec_lo
	s_delay_alu instid0(VALU_DEP_1) | instskip(NEXT) | instid1(VALU_DEP_1)
	v_dual_mov_b32 v4, 0xff :: v_dual_lshrrev_b32 v1, 23, v5
	v_cmpx_ne_u32_e32 0xff, v1
; %bb.702:
	v_and_b32_e32 v4, 0x400000, v5
	v_and_or_b32 v5, 0x3fffff, v5, v1
	s_delay_alu instid0(VALU_DEP_2) | instskip(NEXT) | instid1(VALU_DEP_2)
	v_cmp_ne_u32_e32 vcc_lo, 0, v4
	v_cmp_ne_u32_e64 s0, 0, v5
	s_and_b32 s0, vcc_lo, s0
	s_delay_alu instid0(SALU_CYCLE_1) | instskip(NEXT) | instid1(VALU_DEP_1)
	v_cndmask_b32_e64 v4, 0, 1, s0
	v_add_nc_u32_e32 v4, v1, v4
; %bb.703:
	s_or_b32 exec_lo, exec_lo, s30
	s_mov_b32 s30, -1
	s_mov_b32 s0, 0
	global_store_b8 v[2:3], v4, off
.LBB388_704:
	s_mov_b32 s31, 0
.LBB388_705:
	s_delay_alu instid0(SALU_CYCLE_1)
	s_and_b32 vcc_lo, exec_lo, s31
	s_cbranch_vccz .LBB388_708
; %bb.706:
	s_cmp_eq_u32 s29, 29
	s_mov_b32 s0, -1
	s_cbranch_scc0 .LBB388_708
; %bb.707:
	s_mov_b32 s0, 0
	s_wait_xcnt 0x0
	v_cndmask_b32_e64 v4, 0, 1, s27
	v_mov_b32_e32 v5, s0
	s_mov_b32 s30, -1
	s_mov_b32 s31, 0
	global_store_b64 v[2:3], v[4:5], off
	s_branch .LBB388_709
.LBB388_708:
	s_mov_b32 s31, 0
.LBB388_709:
	s_delay_alu instid0(SALU_CYCLE_1)
	s_and_b32 vcc_lo, exec_lo, s31
	s_cbranch_vccz .LBB388_725
; %bb.710:
	s_cmp_lt_i32 s29, 27
	s_mov_b32 s30, -1
	s_cbranch_scc1 .LBB388_716
; %bb.711:
	s_cmp_gt_i32 s29, 27
	s_cbranch_scc0 .LBB388_713
; %bb.712:
	s_wait_xcnt 0x0
	v_cndmask_b32_e64 v1, 0, 1, s27
	s_mov_b32 s30, 0
	global_store_b32 v[2:3], v1, off
.LBB388_713:
	s_and_not1_b32 vcc_lo, exec_lo, s30
	s_cbranch_vccnz .LBB388_715
; %bb.714:
	s_wait_xcnt 0x0
	v_cndmask_b32_e64 v1, 0, 1, s27
	global_store_b16 v[2:3], v1, off
.LBB388_715:
	s_mov_b32 s30, 0
.LBB388_716:
	s_delay_alu instid0(SALU_CYCLE_1)
	s_and_not1_b32 vcc_lo, exec_lo, s30
	s_cbranch_vccnz .LBB388_724
; %bb.717:
	s_wait_xcnt 0x0
	v_cndmask_b32_e64 v4, 0, 1.0, s27
	v_mov_b32_e32 v5, 0x80
	s_mov_b32 s30, exec_lo
	s_delay_alu instid0(VALU_DEP_2)
	v_cmpx_gt_u32_e32 0x43800000, v4
	s_cbranch_execz .LBB388_723
; %bb.718:
	s_mov_b32 s31, 0
	s_mov_b32 s48, exec_lo
                                        ; implicit-def: $vgpr1
	v_cmpx_lt_u32_e32 0x3bffffff, v4
	s_xor_b32 s48, exec_lo, s48
	s_cbranch_execz .LBB388_842
; %bb.719:
	v_bfe_u32 v1, v4, 20, 1
	s_mov_b32 s31, exec_lo
	s_delay_alu instid0(VALU_DEP_1) | instskip(NEXT) | instid1(VALU_DEP_1)
	v_add3_u32 v1, v4, v1, 0x487ffff
                                        ; implicit-def: $vgpr4
	v_lshrrev_b32_e32 v1, 20, v1
	s_and_not1_saveexec_b32 s48, s48
	s_cbranch_execnz .LBB388_843
.LBB388_720:
	s_or_b32 exec_lo, exec_lo, s48
	v_mov_b32_e32 v5, 0
	s_and_saveexec_b32 s48, s31
.LBB388_721:
	v_mov_b32_e32 v5, v1
.LBB388_722:
	s_or_b32 exec_lo, exec_lo, s48
.LBB388_723:
	s_delay_alu instid0(SALU_CYCLE_1)
	s_or_b32 exec_lo, exec_lo, s30
	global_store_b8 v[2:3], v5, off
.LBB388_724:
	s_mov_b32 s30, -1
.LBB388_725:
	s_mov_b32 s31, 0
.LBB388_726:
	s_delay_alu instid0(SALU_CYCLE_1)
	s_and_b32 vcc_lo, exec_lo, s31
	s_cbranch_vccz .LBB388_767
; %bb.727:
	s_cmp_gt_i32 s29, 22
	s_mov_b32 s31, -1
	s_cbranch_scc0 .LBB388_759
; %bb.728:
	s_cmp_lt_i32 s29, 24
	s_mov_b32 s30, -1
	s_cbranch_scc1 .LBB388_748
; %bb.729:
	s_cmp_gt_i32 s29, 24
	s_cbranch_scc0 .LBB388_737
; %bb.730:
	s_wait_xcnt 0x0
	v_cndmask_b32_e64 v4, 0, 1.0, s27
	v_mov_b32_e32 v5, 0x80
	s_mov_b32 s30, exec_lo
	s_delay_alu instid0(VALU_DEP_2)
	v_cmpx_gt_u32_e32 0x47800000, v4
	s_cbranch_execz .LBB388_736
; %bb.731:
	s_mov_b32 s31, 0
	s_mov_b32 s48, exec_lo
                                        ; implicit-def: $vgpr1
	v_cmpx_lt_u32_e32 0x37ffffff, v4
	s_xor_b32 s48, exec_lo, s48
	s_cbranch_execz .LBB388_845
; %bb.732:
	v_bfe_u32 v1, v4, 21, 1
	s_mov_b32 s31, exec_lo
	s_delay_alu instid0(VALU_DEP_1) | instskip(NEXT) | instid1(VALU_DEP_1)
	v_add3_u32 v1, v4, v1, 0x88fffff
                                        ; implicit-def: $vgpr4
	v_lshrrev_b32_e32 v1, 21, v1
	s_and_not1_saveexec_b32 s48, s48
	s_cbranch_execnz .LBB388_846
.LBB388_733:
	s_or_b32 exec_lo, exec_lo, s48
	v_mov_b32_e32 v5, 0
	s_and_saveexec_b32 s48, s31
.LBB388_734:
	v_mov_b32_e32 v5, v1
.LBB388_735:
	s_or_b32 exec_lo, exec_lo, s48
.LBB388_736:
	s_delay_alu instid0(SALU_CYCLE_1)
	s_or_b32 exec_lo, exec_lo, s30
	s_mov_b32 s30, 0
	global_store_b8 v[2:3], v5, off
.LBB388_737:
	s_and_b32 vcc_lo, exec_lo, s30
	s_cbranch_vccz .LBB388_747
; %bb.738:
	s_wait_xcnt 0x0
	v_cndmask_b32_e64 v4, 0, 1.0, s27
	s_mov_b32 s30, exec_lo
                                        ; implicit-def: $vgpr1
	s_delay_alu instid0(VALU_DEP_1)
	v_cmpx_gt_u32_e32 0x43f00000, v4
	s_xor_b32 s30, exec_lo, s30
	s_cbranch_execz .LBB388_744
; %bb.739:
	s_mov_b32 s31, exec_lo
                                        ; implicit-def: $vgpr1
	v_cmpx_lt_u32_e32 0x3c7fffff, v4
	s_xor_b32 s31, exec_lo, s31
; %bb.740:
	v_bfe_u32 v1, v4, 20, 1
	s_delay_alu instid0(VALU_DEP_1) | instskip(NEXT) | instid1(VALU_DEP_1)
	v_add3_u32 v1, v4, v1, 0x407ffff
	v_and_b32_e32 v4, 0xff00000, v1
	v_lshrrev_b32_e32 v1, 20, v1
	s_delay_alu instid0(VALU_DEP_2) | instskip(NEXT) | instid1(VALU_DEP_2)
	v_cmp_ne_u32_e32 vcc_lo, 0x7f00000, v4
                                        ; implicit-def: $vgpr4
	v_cndmask_b32_e32 v1, 0x7e, v1, vcc_lo
; %bb.741:
	s_and_not1_saveexec_b32 s31, s31
; %bb.742:
	v_add_f32_e32 v1, 0x46800000, v4
; %bb.743:
	s_or_b32 exec_lo, exec_lo, s31
                                        ; implicit-def: $vgpr4
.LBB388_744:
	s_and_not1_saveexec_b32 s30, s30
; %bb.745:
	v_mov_b32_e32 v1, 0x7f
	v_cmp_lt_u32_e32 vcc_lo, 0x7f800000, v4
	s_delay_alu instid0(VALU_DEP_2)
	v_cndmask_b32_e32 v1, 0x7e, v1, vcc_lo
; %bb.746:
	s_or_b32 exec_lo, exec_lo, s30
	global_store_b8 v[2:3], v1, off
.LBB388_747:
	s_mov_b32 s30, 0
.LBB388_748:
	s_delay_alu instid0(SALU_CYCLE_1)
	s_and_not1_b32 vcc_lo, exec_lo, s30
	s_cbranch_vccnz .LBB388_758
; %bb.749:
	s_wait_xcnt 0x0
	v_cndmask_b32_e64 v4, 0, 1.0, s27
	s_mov_b32 s30, exec_lo
                                        ; implicit-def: $vgpr1
	s_delay_alu instid0(VALU_DEP_1)
	v_cmpx_gt_u32_e32 0x47800000, v4
	s_xor_b32 s30, exec_lo, s30
	s_cbranch_execz .LBB388_755
; %bb.750:
	s_mov_b32 s31, exec_lo
                                        ; implicit-def: $vgpr1
	v_cmpx_lt_u32_e32 0x387fffff, v4
	s_xor_b32 s31, exec_lo, s31
; %bb.751:
	v_bfe_u32 v1, v4, 21, 1
	s_delay_alu instid0(VALU_DEP_1) | instskip(NEXT) | instid1(VALU_DEP_1)
	v_add3_u32 v1, v4, v1, 0x80fffff
                                        ; implicit-def: $vgpr4
	v_lshrrev_b32_e32 v1, 21, v1
; %bb.752:
	s_and_not1_saveexec_b32 s31, s31
; %bb.753:
	v_add_f32_e32 v1, 0x43000000, v4
; %bb.754:
	s_or_b32 exec_lo, exec_lo, s31
                                        ; implicit-def: $vgpr4
.LBB388_755:
	s_and_not1_saveexec_b32 s30, s30
; %bb.756:
	v_mov_b32_e32 v1, 0x7f
	v_cmp_lt_u32_e32 vcc_lo, 0x7f800000, v4
	s_delay_alu instid0(VALU_DEP_2)
	v_cndmask_b32_e32 v1, 0x7c, v1, vcc_lo
; %bb.757:
	s_or_b32 exec_lo, exec_lo, s30
	global_store_b8 v[2:3], v1, off
.LBB388_758:
	s_mov_b32 s31, 0
	s_mov_b32 s30, -1
.LBB388_759:
	s_and_not1_b32 vcc_lo, exec_lo, s31
	s_cbranch_vccnz .LBB388_767
; %bb.760:
	s_cmp_gt_i32 s29, 14
	s_mov_b32 s31, -1
	s_cbranch_scc0 .LBB388_764
; %bb.761:
	s_cmp_eq_u32 s29, 15
	s_mov_b32 s0, -1
	s_cbranch_scc0 .LBB388_763
; %bb.762:
	s_wait_xcnt 0x0
	v_cndmask_b32_e64 v1, 0, 1.0, s27
	s_mov_b32 s30, -1
	s_mov_b32 s0, 0
	s_delay_alu instid0(VALU_DEP_1) | instskip(NEXT) | instid1(VALU_DEP_1)
	v_bfe_u32 v4, v1, 16, 1
	v_add3_u32 v1, v1, v4, 0x7fff
	global_store_d16_hi_b16 v[2:3], v1, off
.LBB388_763:
	s_mov_b32 s31, 0
.LBB388_764:
	s_delay_alu instid0(SALU_CYCLE_1)
	s_and_b32 vcc_lo, exec_lo, s31
	s_cbranch_vccz .LBB388_767
; %bb.765:
	s_cmp_eq_u32 s29, 11
	s_mov_b32 s0, -1
	s_cbranch_scc0 .LBB388_767
; %bb.766:
	s_wait_xcnt 0x0
	v_cndmask_b32_e64 v1, 0, 1, s27
	s_mov_b32 s30, -1
	s_mov_b32 s0, 0
	global_store_b8 v[2:3], v1, off
.LBB388_767:
	s_mov_b32 s29, 0
.LBB388_768:
	s_delay_alu instid0(SALU_CYCLE_1)
	s_and_b32 vcc_lo, exec_lo, s29
	s_cbranch_vccz .LBB388_807
; %bb.769:
	s_and_b32 s28, 0xffff, s28
	s_mov_b32 s29, -1
	s_cmp_lt_i32 s28, 5
	s_cbranch_scc1 .LBB388_790
; %bb.770:
	s_cmp_lt_i32 s28, 8
	s_cbranch_scc1 .LBB388_780
; %bb.771:
	s_cmp_lt_i32 s28, 9
	s_cbranch_scc1 .LBB388_777
; %bb.772:
	s_cmp_gt_i32 s28, 9
	s_cbranch_scc0 .LBB388_774
; %bb.773:
	s_wait_xcnt 0x0
	v_cndmask_b32_e64 v1, 0, 1, s27
	v_mov_b32_e32 v6, 0
	s_mov_b32 s29, 0
	s_delay_alu instid0(VALU_DEP_2) | instskip(NEXT) | instid1(VALU_DEP_2)
	v_cvt_f64_u32_e32 v[4:5], v1
	v_mov_b32_e32 v7, v6
	global_store_b128 v[2:3], v[4:7], off
.LBB388_774:
	s_and_not1_b32 vcc_lo, exec_lo, s29
	s_cbranch_vccnz .LBB388_776
; %bb.775:
	s_wait_xcnt 0x0
	v_cndmask_b32_e64 v4, 0, 1.0, s27
	v_mov_b32_e32 v5, 0
	global_store_b64 v[2:3], v[4:5], off
.LBB388_776:
	s_mov_b32 s29, 0
.LBB388_777:
	s_delay_alu instid0(SALU_CYCLE_1)
	s_and_not1_b32 vcc_lo, exec_lo, s29
	s_cbranch_vccnz .LBB388_779
; %bb.778:
	s_wait_xcnt 0x0
	v_cndmask_b32_e64 v1, 0, 1.0, s27
	s_delay_alu instid0(VALU_DEP_1) | instskip(NEXT) | instid1(VALU_DEP_1)
	v_cvt_f16_f32_e32 v1, v1
	v_and_b32_e32 v1, 0xffff, v1
	global_store_b32 v[2:3], v1, off
.LBB388_779:
	s_mov_b32 s29, 0
.LBB388_780:
	s_delay_alu instid0(SALU_CYCLE_1)
	s_and_not1_b32 vcc_lo, exec_lo, s29
	s_cbranch_vccnz .LBB388_789
; %bb.781:
	s_cmp_lt_i32 s28, 6
	s_mov_b32 s29, -1
	s_cbranch_scc1 .LBB388_787
; %bb.782:
	s_cmp_gt_i32 s28, 6
	s_cbranch_scc0 .LBB388_784
; %bb.783:
	s_wait_xcnt 0x0
	v_cndmask_b32_e64 v1, 0, 1, s27
	s_mov_b32 s29, 0
	s_delay_alu instid0(VALU_DEP_1)
	v_cvt_f64_u32_e32 v[4:5], v1
	global_store_b64 v[2:3], v[4:5], off
.LBB388_784:
	s_and_not1_b32 vcc_lo, exec_lo, s29
	s_cbranch_vccnz .LBB388_786
; %bb.785:
	s_wait_xcnt 0x0
	v_cndmask_b32_e64 v1, 0, 1.0, s27
	global_store_b32 v[2:3], v1, off
.LBB388_786:
	s_mov_b32 s29, 0
.LBB388_787:
	s_delay_alu instid0(SALU_CYCLE_1)
	s_and_not1_b32 vcc_lo, exec_lo, s29
	s_cbranch_vccnz .LBB388_789
; %bb.788:
	s_wait_xcnt 0x0
	v_cndmask_b32_e64 v1, 0, 1.0, s27
	s_delay_alu instid0(VALU_DEP_1)
	v_cvt_f16_f32_e32 v1, v1
	global_store_b16 v[2:3], v1, off
.LBB388_789:
	s_mov_b32 s29, 0
.LBB388_790:
	s_delay_alu instid0(SALU_CYCLE_1)
	s_and_not1_b32 vcc_lo, exec_lo, s29
	s_cbranch_vccnz .LBB388_806
; %bb.791:
	s_cmp_lt_i32 s28, 2
	s_mov_b32 s29, -1
	s_cbranch_scc1 .LBB388_801
; %bb.792:
	s_cmp_lt_i32 s28, 3
	s_cbranch_scc1 .LBB388_798
; %bb.793:
	s_cmp_gt_i32 s28, 3
	s_cbranch_scc0 .LBB388_795
; %bb.794:
	s_mov_b32 s29, 0
	s_wait_xcnt 0x0
	v_cndmask_b32_e64 v4, 0, 1, s27
	v_mov_b32_e32 v5, s29
	global_store_b64 v[2:3], v[4:5], off
.LBB388_795:
	s_and_not1_b32 vcc_lo, exec_lo, s29
	s_cbranch_vccnz .LBB388_797
; %bb.796:
	s_wait_xcnt 0x0
	v_cndmask_b32_e64 v1, 0, 1, s27
	global_store_b32 v[2:3], v1, off
.LBB388_797:
	s_mov_b32 s29, 0
.LBB388_798:
	s_delay_alu instid0(SALU_CYCLE_1)
	s_and_not1_b32 vcc_lo, exec_lo, s29
	s_cbranch_vccnz .LBB388_800
; %bb.799:
	s_wait_xcnt 0x0
	v_cndmask_b32_e64 v1, 0, 1, s27
	global_store_b16 v[2:3], v1, off
.LBB388_800:
	s_mov_b32 s29, 0
.LBB388_801:
	s_delay_alu instid0(SALU_CYCLE_1)
	s_and_not1_b32 vcc_lo, exec_lo, s29
	s_cbranch_vccnz .LBB388_806
; %bb.802:
	s_wait_xcnt 0x0
	v_cndmask_b32_e64 v1, 0, 1, s27
	s_cmp_gt_i32 s28, 0
	s_mov_b32 s27, -1
	s_cbranch_scc0 .LBB388_804
; %bb.803:
	s_mov_b32 s27, 0
	global_store_b8 v[2:3], v1, off
.LBB388_804:
	s_and_not1_b32 vcc_lo, exec_lo, s27
	s_cbranch_vccnz .LBB388_806
; %bb.805:
	global_store_b8 v[2:3], v1, off
.LBB388_806:
	s_mov_b32 s30, -1
.LBB388_807:
	s_delay_alu instid0(SALU_CYCLE_1)
	s_and_not1_b32 vcc_lo, exec_lo, s30
	s_cbranch_vccnz .LBB388_809
; %bb.808:
	v_add_nc_u32_e32 v0, 0x80, v0
	s_mov_b32 s27, -1
	s_branch .LBB388_811
.LBB388_809:
	s_mov_b32 s27, 0
.LBB388_810:
                                        ; implicit-def: $vgpr0
.LBB388_811:
	s_and_not1_b32 s28, s45, exec_lo
	s_and_b32 s0, s0, exec_lo
	s_and_not1_b32 s29, s44, exec_lo
	s_and_b32 s26, s26, exec_lo
	s_or_b32 s30, s28, s0
	s_or_b32 s0, s29, s26
	s_or_not1_b32 s29, s27, exec_lo
.LBB388_812:
	s_wait_xcnt 0x0
	s_or_b32 exec_lo, exec_lo, s47
	s_mov_b32 s26, 0
	s_mov_b32 s27, 0
	s_mov_b32 s28, 0
                                        ; implicit-def: $vgpr4_vgpr5
                                        ; implicit-def: $vgpr2
                                        ; implicit-def: $vgpr6
	s_and_saveexec_b32 s31, s29
	s_cbranch_execz .LBB388_910
; %bb.813:
	v_cmp_gt_i32_e32 vcc_lo, s39, v0
	s_mov_b32 s29, s0
                                        ; implicit-def: $vgpr4_vgpr5
                                        ; implicit-def: $vgpr2
                                        ; implicit-def: $vgpr6
	s_and_saveexec_b32 s39, vcc_lo
	s_cbranch_execz .LBB388_909
; %bb.814:
	s_and_not1_b32 vcc_lo, exec_lo, s35
	s_cbranch_vccnz .LBB388_820
; %bb.815:
	s_and_not1_b32 vcc_lo, exec_lo, s41
	s_cbranch_vccnz .LBB388_821
; %bb.816:
	s_add_co_i32 s40, s40, 1
	s_cmp_eq_u32 s34, 2
	s_cbranch_scc1 .LBB388_822
; %bb.817:
	v_dual_mov_b32 v2, 0 :: v_dual_mov_b32 v4, 0
	v_mov_b32_e32 v1, v0
	s_and_b32 s26, s40, 28
	s_mov_b64 s[28:29], s[16:17]
.LBB388_818:                            ; =>This Inner Loop Header: Depth=1
	s_clause 0x1
	s_load_b256 s[48:55], s[28:29], 0x4
	s_load_b128 s[64:67], s[28:29], 0x24
	s_load_b256 s[56:63], s[24:25], 0x0
	s_add_co_i32 s27, s27, 4
	s_wait_xcnt 0x0
	s_add_nc_u64 s[28:29], s[28:29], 48
	s_cmp_eq_u32 s26, s27
	s_add_nc_u64 s[24:25], s[24:25], 32
	s_wait_kmcnt 0x0
	v_mul_hi_u32 v3, s49, v1
	s_delay_alu instid0(VALU_DEP_1) | instskip(NEXT) | instid1(VALU_DEP_1)
	v_add_nc_u32_e32 v3, v1, v3
	v_lshrrev_b32_e32 v3, s50, v3
	s_delay_alu instid0(VALU_DEP_1) | instskip(NEXT) | instid1(VALU_DEP_1)
	v_mul_hi_u32 v5, s52, v3
	v_add_nc_u32_e32 v5, v3, v5
	s_delay_alu instid0(VALU_DEP_1) | instskip(SKIP_1) | instid1(VALU_DEP_1)
	v_lshrrev_b32_e32 v5, s53, v5
	s_wait_loadcnt 0x0
	v_mul_hi_u32 v6, s55, v5
	s_delay_alu instid0(VALU_DEP_1) | instskip(SKIP_1) | instid1(VALU_DEP_1)
	v_add_nc_u32_e32 v6, v5, v6
	v_mul_lo_u32 v7, v3, s48
	v_sub_nc_u32_e32 v1, v1, v7
	v_mul_lo_u32 v7, v5, s51
	s_delay_alu instid0(VALU_DEP_4) | instskip(NEXT) | instid1(VALU_DEP_3)
	v_lshrrev_b32_e32 v6, s64, v6
	v_mad_u32 v4, v1, s57, v4
	v_mad_u32 v1, v1, s56, v2
	s_delay_alu instid0(VALU_DEP_4) | instskip(NEXT) | instid1(VALU_DEP_4)
	v_sub_nc_u32_e32 v2, v3, v7
	v_mul_hi_u32 v8, s66, v6
	v_mul_lo_u32 v3, v6, s54
	s_delay_alu instid0(VALU_DEP_3) | instskip(SKIP_1) | instid1(VALU_DEP_3)
	v_mad_u32 v4, v2, s59, v4
	v_mad_u32 v2, v2, s58, v1
	v_dual_add_nc_u32 v7, v6, v8 :: v_dual_sub_nc_u32 v3, v5, v3
	s_delay_alu instid0(VALU_DEP_1) | instskip(NEXT) | instid1(VALU_DEP_2)
	v_lshrrev_b32_e32 v1, s67, v7
	v_mad_u32 v4, v3, s61, v4
	s_delay_alu instid0(VALU_DEP_4) | instskip(NEXT) | instid1(VALU_DEP_3)
	v_mad_u32 v2, v3, s60, v2
	v_mul_lo_u32 v5, v1, s65
	s_delay_alu instid0(VALU_DEP_1) | instskip(NEXT) | instid1(VALU_DEP_1)
	v_sub_nc_u32_e32 v3, v6, v5
	v_mad_u32 v4, v3, s63, v4
	s_delay_alu instid0(VALU_DEP_4)
	v_mad_u32 v2, v3, s62, v2
	s_cbranch_scc0 .LBB388_818
; %bb.819:
	s_delay_alu instid0(VALU_DEP_2)
	v_mov_b32_e32 v3, v4
	s_branch .LBB388_823
.LBB388_820:
	s_mov_b32 s24, -1
                                        ; implicit-def: $vgpr4
                                        ; implicit-def: $vgpr2
	s_branch .LBB388_828
.LBB388_821:
	v_dual_mov_b32 v4, 0 :: v_dual_mov_b32 v2, 0
	s_branch .LBB388_827
.LBB388_822:
	v_mov_b64_e32 v[2:3], 0
	v_mov_b32_e32 v1, v0
                                        ; implicit-def: $vgpr4
.LBB388_823:
	s_and_b32 s28, s40, 3
	s_mov_b32 s27, 0
	s_cmp_eq_u32 s28, 0
	s_cbranch_scc1 .LBB388_827
; %bb.824:
	s_lshl_b32 s24, s26, 3
	s_mov_b32 s25, s27
	s_mul_u64 s[26:27], s[26:27], 12
	s_add_nc_u64 s[24:25], s[16:17], s[24:25]
	s_add_nc_u64 s[26:27], s[16:17], s[26:27]
	s_add_nc_u64 s[24:25], s[24:25], 0xc4
.LBB388_825:                            ; =>This Inner Loop Header: Depth=1
	s_load_b96 s[48:50], s[26:27], 0x4
	s_load_b64 s[40:41], s[24:25], 0x0
	s_add_co_i32 s28, s28, -1
	s_wait_xcnt 0x0
	s_add_nc_u64 s[26:27], s[26:27], 12
	s_cmp_lg_u32 s28, 0
	s_add_nc_u64 s[24:25], s[24:25], 8
	s_wait_kmcnt 0x0
	v_mul_hi_u32 v4, s49, v1
	s_delay_alu instid0(VALU_DEP_1) | instskip(NEXT) | instid1(VALU_DEP_1)
	v_add_nc_u32_e32 v4, v1, v4
	v_lshrrev_b32_e32 v4, s50, v4
	s_delay_alu instid0(VALU_DEP_1) | instskip(NEXT) | instid1(VALU_DEP_1)
	v_mul_lo_u32 v5, v4, s48
	v_sub_nc_u32_e32 v1, v1, v5
	s_delay_alu instid0(VALU_DEP_1)
	v_mad_u32 v3, v1, s41, v3
	v_mad_u32 v2, v1, s40, v2
	v_mov_b32_e32 v1, v4
	s_cbranch_scc1 .LBB388_825
; %bb.826:
	s_delay_alu instid0(VALU_DEP_3)
	v_mov_b32_e32 v4, v3
.LBB388_827:
	s_mov_b32 s24, 0
.LBB388_828:
	s_delay_alu instid0(SALU_CYCLE_1)
	s_and_not1_b32 vcc_lo, exec_lo, s24
	s_cbranch_vccnz .LBB388_831
; %bb.829:
	v_mov_b32_e32 v1, 0
	s_and_not1_b32 vcc_lo, exec_lo, s38
	s_delay_alu instid0(VALU_DEP_1) | instskip(NEXT) | instid1(VALU_DEP_1)
	v_mul_u64_e32 v[2:3], s[18:19], v[0:1]
	v_add_nc_u32_e32 v2, v0, v3
	s_wait_loadcnt 0x0
	s_delay_alu instid0(VALU_DEP_1) | instskip(NEXT) | instid1(VALU_DEP_1)
	v_lshrrev_b32_e32 v6, s10, v2
	v_mul_lo_u32 v2, v6, s8
	s_delay_alu instid0(VALU_DEP_1) | instskip(NEXT) | instid1(VALU_DEP_1)
	v_sub_nc_u32_e32 v0, v0, v2
	v_mul_lo_u32 v4, v0, s13
	v_mul_lo_u32 v2, v0, s12
	s_cbranch_vccnz .LBB388_831
; %bb.830:
	v_mov_b32_e32 v7, v1
	s_delay_alu instid0(VALU_DEP_1) | instskip(NEXT) | instid1(VALU_DEP_1)
	v_mul_u64_e32 v[0:1], s[22:23], v[6:7]
	v_add_nc_u32_e32 v0, v6, v1
	s_delay_alu instid0(VALU_DEP_1) | instskip(NEXT) | instid1(VALU_DEP_1)
	v_lshrrev_b32_e32 v0, s21, v0
	v_mul_lo_u32 v0, v0, s11
	s_delay_alu instid0(VALU_DEP_1) | instskip(NEXT) | instid1(VALU_DEP_1)
	v_sub_nc_u32_e32 v0, v6, v0
	v_mad_u32 v2, v0, s14, v2
	v_mad_u32 v4, v0, s15, v4
.LBB388_831:
	v_mov_b32_e32 v5, 0
	s_delay_alu instid0(VALU_DEP_1) | instskip(SKIP_1) | instid1(SALU_CYCLE_1)
	v_add_nc_u64_e32 v[4:5], s[6:7], v[4:5]
	s_and_b32 s6, 0xffff, s37
	s_cmp_lt_i32 s6, 11
	s_cbranch_scc1 .LBB388_838
; %bb.832:
	s_cmp_gt_i32 s6, 25
	s_mov_b32 s8, 0
	s_cbranch_scc0 .LBB388_839
; %bb.833:
	s_cmp_gt_i32 s6, 28
	s_cbranch_scc0 .LBB388_840
; %bb.834:
	s_cmp_gt_i32 s6, 43
	;; [unrolled: 3-line block ×3, first 2 shown]
	s_cbranch_scc0 .LBB388_844
; %bb.836:
	s_cmp_eq_u32 s6, 46
	s_mov_b32 s11, 0
	s_cbranch_scc0 .LBB388_847
; %bb.837:
	global_load_b32 v0, v[4:5], off
	s_mov_b32 s7, 0
	s_mov_b32 s10, -1
	s_wait_loadcnt 0x0
	v_lshlrev_b32_e32 v0, 16, v0
	s_delay_alu instid0(VALU_DEP_1)
	v_cvt_i32_f32_e32 v6, v0
	s_branch .LBB388_849
.LBB388_838:
	s_mov_b32 s6, -1
	s_mov_b32 s10, 0
	s_mov_b32 s8, 0
	;; [unrolled: 1-line block ×3, first 2 shown]
                                        ; implicit-def: $vgpr6
	s_branch .LBB388_908
.LBB388_839:
	s_mov_b32 s11, -1
	s_mov_b32 s10, 0
	s_mov_b32 s7, s0
                                        ; implicit-def: $vgpr6
	s_branch .LBB388_876
.LBB388_840:
	s_mov_b32 s11, -1
	s_mov_b32 s10, 0
	s_mov_b32 s7, s0
                                        ; implicit-def: $vgpr6
	s_branch .LBB388_859
.LBB388_841:
	s_mov_b32 s11, -1
	s_mov_b32 s10, 0
	s_mov_b32 s7, s0
                                        ; implicit-def: $vgpr6
	s_branch .LBB388_854
.LBB388_842:
	s_and_not1_saveexec_b32 s48, s48
	s_cbranch_execz .LBB388_720
.LBB388_843:
	v_add_f32_e32 v1, 0x46000000, v4
	s_and_not1_b32 s31, s31, exec_lo
	s_delay_alu instid0(VALU_DEP_1) | instskip(NEXT) | instid1(VALU_DEP_1)
	v_and_b32_e32 v1, 0xff, v1
	v_cmp_ne_u32_e32 vcc_lo, 0, v1
	s_and_b32 s49, vcc_lo, exec_lo
	s_delay_alu instid0(SALU_CYCLE_1)
	s_or_b32 s31, s31, s49
	s_or_b32 exec_lo, exec_lo, s48
	v_mov_b32_e32 v5, 0
	s_and_saveexec_b32 s48, s31
	s_cbranch_execnz .LBB388_721
	s_branch .LBB388_722
.LBB388_844:
	s_mov_b32 s11, -1
	s_mov_b32 s10, 0
	s_mov_b32 s7, s0
	s_branch .LBB388_848
.LBB388_845:
	s_and_not1_saveexec_b32 s48, s48
	s_cbranch_execz .LBB388_733
.LBB388_846:
	v_add_f32_e32 v1, 0x42800000, v4
	s_and_not1_b32 s31, s31, exec_lo
	s_delay_alu instid0(VALU_DEP_1) | instskip(NEXT) | instid1(VALU_DEP_1)
	v_and_b32_e32 v1, 0xff, v1
	v_cmp_ne_u32_e32 vcc_lo, 0, v1
	s_and_b32 s49, vcc_lo, exec_lo
	s_delay_alu instid0(SALU_CYCLE_1)
	s_or_b32 s31, s31, s49
	s_or_b32 exec_lo, exec_lo, s48
	v_mov_b32_e32 v5, 0
	s_and_saveexec_b32 s48, s31
	s_cbranch_execnz .LBB388_734
	s_branch .LBB388_735
.LBB388_847:
	s_mov_b32 s7, -1
	s_mov_b32 s10, 0
.LBB388_848:
                                        ; implicit-def: $vgpr6
.LBB388_849:
	s_and_b32 vcc_lo, exec_lo, s11
	s_cbranch_vccz .LBB388_853
; %bb.850:
	s_cmp_eq_u32 s6, 44
	s_cbranch_scc0 .LBB388_852
; %bb.851:
	global_load_u8 v0, v[4:5], off
	s_mov_b32 s7, 0
	s_mov_b32 s10, -1
	s_wait_loadcnt 0x0
	v_lshlrev_b32_e32 v1, 23, v0
	v_cmp_ne_u32_e32 vcc_lo, 0, v0
	s_delay_alu instid0(VALU_DEP_2) | instskip(NEXT) | instid1(VALU_DEP_1)
	v_cvt_i32_f32_e32 v1, v1
	v_cndmask_b32_e32 v6, 0, v1, vcc_lo
	s_branch .LBB388_853
.LBB388_852:
	s_mov_b32 s7, -1
                                        ; implicit-def: $vgpr6
.LBB388_853:
	s_mov_b32 s11, 0
.LBB388_854:
	s_delay_alu instid0(SALU_CYCLE_1)
	s_and_b32 vcc_lo, exec_lo, s11
	s_cbranch_vccz .LBB388_858
; %bb.855:
	s_cmp_eq_u32 s6, 29
	s_cbranch_scc0 .LBB388_857
; %bb.856:
	s_wait_loadcnt 0x0
	global_load_b64 v[6:7], v[4:5], off
	s_mov_b32 s7, 0
	s_mov_b32 s10, -1
	s_branch .LBB388_858
.LBB388_857:
	s_mov_b32 s7, -1
                                        ; implicit-def: $vgpr6
.LBB388_858:
	s_mov_b32 s11, 0
.LBB388_859:
	s_delay_alu instid0(SALU_CYCLE_1)
	s_and_b32 vcc_lo, exec_lo, s11
	s_cbranch_vccz .LBB388_875
; %bb.860:
	s_cmp_lt_i32 s6, 27
	s_cbranch_scc1 .LBB388_863
; %bb.861:
	s_cmp_gt_i32 s6, 27
	s_cbranch_scc0 .LBB388_864
; %bb.862:
	s_wait_loadcnt 0x0
	global_load_b32 v6, v[4:5], off
	s_mov_b32 s10, 0
	s_branch .LBB388_865
.LBB388_863:
	s_mov_b32 s10, -1
                                        ; implicit-def: $vgpr6
	s_branch .LBB388_868
.LBB388_864:
	s_mov_b32 s10, -1
                                        ; implicit-def: $vgpr6
.LBB388_865:
	s_delay_alu instid0(SALU_CYCLE_1)
	s_and_not1_b32 vcc_lo, exec_lo, s10
	s_cbranch_vccnz .LBB388_867
; %bb.866:
	s_wait_loadcnt 0x0
	global_load_u16 v6, v[4:5], off
.LBB388_867:
	s_mov_b32 s10, 0
.LBB388_868:
	s_delay_alu instid0(SALU_CYCLE_1)
	s_and_not1_b32 vcc_lo, exec_lo, s10
	s_cbranch_vccnz .LBB388_874
; %bb.869:
	global_load_u8 v0, v[4:5], off
	s_mov_b32 s11, 0
	s_mov_b32 s10, exec_lo
	s_wait_loadcnt 0x0
	v_cmpx_lt_i16_e32 0x7f, v0
	s_xor_b32 s10, exec_lo, s10
	s_cbranch_execz .LBB388_886
; %bb.870:
	v_cmp_ne_u16_e32 vcc_lo, 0x80, v0
	s_and_b32 s11, vcc_lo, exec_lo
	s_and_not1_saveexec_b32 s10, s10
	s_cbranch_execnz .LBB388_887
.LBB388_871:
	s_or_b32 exec_lo, exec_lo, s10
	v_mov_b32_e32 v6, 0
	s_and_saveexec_b32 s10, s11
	s_cbranch_execz .LBB388_873
.LBB388_872:
	v_and_b32_e32 v1, 0xffff, v0
	s_delay_alu instid0(VALU_DEP_1) | instskip(SKIP_1) | instid1(VALU_DEP_2)
	v_and_b32_e32 v3, 7, v1
	v_bfe_u32 v8, v1, 3, 4
	v_clz_i32_u32_e32 v6, v3
	s_delay_alu instid0(VALU_DEP_2) | instskip(NEXT) | instid1(VALU_DEP_2)
	v_cmp_eq_u32_e32 vcc_lo, 0, v8
	v_min_u32_e32 v6, 32, v6
	s_delay_alu instid0(VALU_DEP_1) | instskip(NEXT) | instid1(VALU_DEP_1)
	v_subrev_nc_u32_e32 v7, 28, v6
	v_dual_lshlrev_b32 v1, v7, v1 :: v_dual_sub_nc_u32 v6, 29, v6
	s_delay_alu instid0(VALU_DEP_1) | instskip(NEXT) | instid1(VALU_DEP_1)
	v_dual_lshlrev_b32 v0, 24, v0 :: v_dual_bitop2_b32 v1, 7, v1 bitop3:0x40
	v_dual_cndmask_b32 v6, v8, v6 :: v_dual_cndmask_b32 v1, v3, v1
	s_delay_alu instid0(VALU_DEP_2) | instskip(NEXT) | instid1(VALU_DEP_2)
	v_and_b32_e32 v0, 0x80000000, v0
	v_lshl_add_u32 v3, v6, 23, 0x3b800000
	s_delay_alu instid0(VALU_DEP_3) | instskip(NEXT) | instid1(VALU_DEP_1)
	v_lshlrev_b32_e32 v1, 20, v1
	v_or3_b32 v0, v0, v3, v1
	s_delay_alu instid0(VALU_DEP_1)
	v_cvt_i32_f32_e32 v6, v0
.LBB388_873:
	s_or_b32 exec_lo, exec_lo, s10
.LBB388_874:
	s_mov_b32 s10, -1
.LBB388_875:
	s_mov_b32 s11, 0
.LBB388_876:
	s_delay_alu instid0(SALU_CYCLE_1)
	s_and_b32 vcc_lo, exec_lo, s11
	s_cbranch_vccz .LBB388_907
; %bb.877:
	s_cmp_gt_i32 s6, 22
	s_cbranch_scc0 .LBB388_885
; %bb.878:
	s_cmp_lt_i32 s6, 24
	s_cbranch_scc1 .LBB388_888
; %bb.879:
	s_cmp_gt_i32 s6, 24
	s_cbranch_scc0 .LBB388_889
; %bb.880:
	global_load_u8 v0, v[4:5], off
	s_mov_b32 s10, 0
	s_mov_b32 s8, exec_lo
	s_wait_loadcnt 0x0
	v_cmpx_lt_i16_e32 0x7f, v0
	s_xor_b32 s8, exec_lo, s8
	s_cbranch_execz .LBB388_901
; %bb.881:
	v_cmp_ne_u16_e32 vcc_lo, 0x80, v0
	s_and_b32 s10, vcc_lo, exec_lo
	s_and_not1_saveexec_b32 s8, s8
	s_cbranch_execnz .LBB388_902
.LBB388_882:
	s_or_b32 exec_lo, exec_lo, s8
	v_mov_b32_e32 v6, 0
	s_and_saveexec_b32 s8, s10
	s_cbranch_execz .LBB388_884
.LBB388_883:
	v_and_b32_e32 v1, 0xffff, v0
	s_delay_alu instid0(VALU_DEP_1) | instskip(SKIP_1) | instid1(VALU_DEP_2)
	v_and_b32_e32 v3, 3, v1
	v_bfe_u32 v8, v1, 2, 5
	v_clz_i32_u32_e32 v6, v3
	s_delay_alu instid0(VALU_DEP_2) | instskip(NEXT) | instid1(VALU_DEP_2)
	v_cmp_eq_u32_e32 vcc_lo, 0, v8
	v_min_u32_e32 v6, 32, v6
	s_delay_alu instid0(VALU_DEP_1) | instskip(NEXT) | instid1(VALU_DEP_1)
	v_subrev_nc_u32_e32 v7, 29, v6
	v_dual_lshlrev_b32 v1, v7, v1 :: v_dual_sub_nc_u32 v6, 30, v6
	s_delay_alu instid0(VALU_DEP_1) | instskip(NEXT) | instid1(VALU_DEP_1)
	v_dual_lshlrev_b32 v0, 24, v0 :: v_dual_bitop2_b32 v1, 3, v1 bitop3:0x40
	v_dual_cndmask_b32 v6, v8, v6 :: v_dual_cndmask_b32 v1, v3, v1
	s_delay_alu instid0(VALU_DEP_2) | instskip(NEXT) | instid1(VALU_DEP_2)
	v_and_b32_e32 v0, 0x80000000, v0
	v_lshl_add_u32 v3, v6, 23, 0x37800000
	s_delay_alu instid0(VALU_DEP_3) | instskip(NEXT) | instid1(VALU_DEP_1)
	v_lshlrev_b32_e32 v1, 21, v1
	v_or3_b32 v0, v0, v3, v1
	s_delay_alu instid0(VALU_DEP_1)
	v_cvt_i32_f32_e32 v6, v0
.LBB388_884:
	s_or_b32 exec_lo, exec_lo, s8
	s_mov_b32 s8, 0
	s_branch .LBB388_890
.LBB388_885:
	s_mov_b32 s8, -1
                                        ; implicit-def: $vgpr6
	s_branch .LBB388_896
.LBB388_886:
	s_and_not1_saveexec_b32 s10, s10
	s_cbranch_execz .LBB388_871
.LBB388_887:
	v_cmp_ne_u16_e32 vcc_lo, 0, v0
	s_and_not1_b32 s11, s11, exec_lo
	s_and_b32 s12, vcc_lo, exec_lo
	s_delay_alu instid0(SALU_CYCLE_1)
	s_or_b32 s11, s11, s12
	s_or_b32 exec_lo, exec_lo, s10
	v_mov_b32_e32 v6, 0
	s_and_saveexec_b32 s10, s11
	s_cbranch_execnz .LBB388_872
	s_branch .LBB388_873
.LBB388_888:
	s_mov_b32 s8, -1
                                        ; implicit-def: $vgpr6
	s_branch .LBB388_893
.LBB388_889:
	s_mov_b32 s8, -1
                                        ; implicit-def: $vgpr6
.LBB388_890:
	s_delay_alu instid0(SALU_CYCLE_1)
	s_and_b32 vcc_lo, exec_lo, s8
	s_cbranch_vccz .LBB388_892
; %bb.891:
	global_load_u8 v0, v[4:5], off
	s_wait_loadcnt 0x0
	v_lshlrev_b32_e32 v0, 24, v0
	s_delay_alu instid0(VALU_DEP_1) | instskip(NEXT) | instid1(VALU_DEP_1)
	v_and_b32_e32 v1, 0x7f000000, v0
	v_clz_i32_u32_e32 v3, v1
	v_add_nc_u32_e32 v7, 0x1000000, v1
	v_cmp_ne_u32_e32 vcc_lo, 0, v1
	s_delay_alu instid0(VALU_DEP_3) | instskip(NEXT) | instid1(VALU_DEP_1)
	v_min_u32_e32 v3, 32, v3
	v_sub_nc_u32_e64 v3, v3, 4 clamp
	s_delay_alu instid0(VALU_DEP_1) | instskip(NEXT) | instid1(VALU_DEP_1)
	v_dual_lshlrev_b32 v6, v3, v1 :: v_dual_lshlrev_b32 v3, 23, v3
	v_lshrrev_b32_e32 v6, 4, v6
	s_delay_alu instid0(VALU_DEP_1) | instskip(SKIP_1) | instid1(VALU_DEP_2)
	v_sub_nc_u32_e32 v3, v6, v3
	v_ashrrev_i32_e32 v6, 8, v7
	v_add_nc_u32_e32 v3, 0x3c000000, v3
	s_delay_alu instid0(VALU_DEP_1) | instskip(NEXT) | instid1(VALU_DEP_1)
	v_and_or_b32 v3, 0x7f800000, v6, v3
	v_cndmask_b32_e32 v1, 0, v3, vcc_lo
	s_delay_alu instid0(VALU_DEP_1) | instskip(NEXT) | instid1(VALU_DEP_1)
	v_and_or_b32 v0, 0x80000000, v0, v1
	v_cvt_i32_f32_e32 v6, v0
.LBB388_892:
	s_mov_b32 s8, 0
.LBB388_893:
	s_delay_alu instid0(SALU_CYCLE_1)
	s_and_not1_b32 vcc_lo, exec_lo, s8
	s_cbranch_vccnz .LBB388_895
; %bb.894:
	global_load_u8 v0, v[4:5], off
	s_wait_loadcnt 0x0
	v_lshlrev_b32_e32 v1, 25, v0
	v_lshlrev_b16 v0, 8, v0
	s_delay_alu instid0(VALU_DEP_1) | instskip(SKIP_1) | instid1(VALU_DEP_2)
	v_and_or_b32 v6, 0x7f00, v0, 0.5
	v_bfe_i32 v0, v0, 0, 16
	v_dual_add_f32 v6, -0.5, v6 :: v_dual_lshrrev_b32 v3, 4, v1
	v_cmp_gt_u32_e32 vcc_lo, 0x8000000, v1
	s_delay_alu instid0(VALU_DEP_2) | instskip(NEXT) | instid1(VALU_DEP_1)
	v_or_b32_e32 v3, 0x70000000, v3
	v_mul_f32_e32 v3, 0x7800000, v3
	s_delay_alu instid0(VALU_DEP_1) | instskip(NEXT) | instid1(VALU_DEP_1)
	v_cndmask_b32_e32 v1, v3, v6, vcc_lo
	v_and_or_b32 v0, 0x80000000, v0, v1
	s_delay_alu instid0(VALU_DEP_1)
	v_cvt_i32_f32_e32 v6, v0
.LBB388_895:
	s_mov_b32 s8, 0
	s_mov_b32 s10, -1
.LBB388_896:
	s_and_not1_b32 vcc_lo, exec_lo, s8
	s_mov_b32 s8, 0
	s_cbranch_vccnz .LBB388_907
; %bb.897:
	s_cmp_gt_i32 s6, 14
	s_cbranch_scc0 .LBB388_900
; %bb.898:
	s_cmp_eq_u32 s6, 15
	s_cbranch_scc0 .LBB388_903
; %bb.899:
	global_load_u16 v0, v[4:5], off
	s_mov_b32 s7, 0
	s_mov_b32 s10, -1
	s_wait_loadcnt 0x0
	v_lshlrev_b32_e32 v0, 16, v0
	s_delay_alu instid0(VALU_DEP_1)
	v_cvt_i32_f32_e32 v6, v0
	s_branch .LBB388_905
.LBB388_900:
	s_mov_b32 s8, -1
	s_branch .LBB388_904
.LBB388_901:
	s_and_not1_saveexec_b32 s8, s8
	s_cbranch_execz .LBB388_882
.LBB388_902:
	v_cmp_ne_u16_e32 vcc_lo, 0, v0
	s_and_not1_b32 s10, s10, exec_lo
	s_and_b32 s11, vcc_lo, exec_lo
	s_delay_alu instid0(SALU_CYCLE_1)
	s_or_b32 s10, s10, s11
	s_or_b32 exec_lo, exec_lo, s8
	v_mov_b32_e32 v6, 0
	s_and_saveexec_b32 s8, s10
	s_cbranch_execnz .LBB388_883
	s_branch .LBB388_884
.LBB388_903:
	s_mov_b32 s7, -1
.LBB388_904:
                                        ; implicit-def: $vgpr6
.LBB388_905:
	s_and_b32 vcc_lo, exec_lo, s8
	s_mov_b32 s8, 0
	s_cbranch_vccz .LBB388_907
; %bb.906:
	s_cmp_lg_u32 s6, 11
	s_mov_b32 s8, -1
	s_cselect_b32 s6, -1, 0
	s_and_not1_b32 s7, s7, exec_lo
	s_and_b32 s6, s6, exec_lo
	s_delay_alu instid0(SALU_CYCLE_1)
	s_or_b32 s7, s7, s6
.LBB388_907:
	s_mov_b32 s6, 0
.LBB388_908:
	s_delay_alu instid0(SALU_CYCLE_1)
	s_and_b32 s27, s6, exec_lo
	s_and_not1_b32 s6, s0, exec_lo
	s_and_b32 s7, s7, exec_lo
	s_and_b32 s28, s10, exec_lo
	;; [unrolled: 1-line block ×3, first 2 shown]
	s_or_b32 s29, s6, s7
.LBB388_909:
	s_wait_xcnt 0x0
	s_or_b32 exec_lo, exec_lo, s39
	s_delay_alu instid0(SALU_CYCLE_1)
	s_and_not1_b32 s0, s0, exec_lo
	s_and_b32 s6, s29, exec_lo
	s_and_b32 s28, s28, exec_lo
	;; [unrolled: 1-line block ×4, first 2 shown]
	s_or_b32 s0, s0, s6
.LBB388_910:
	s_or_b32 exec_lo, exec_lo, s31
	s_delay_alu instid0(SALU_CYCLE_1)
	s_and_not1_b32 s6, s45, exec_lo
	s_and_b32 s7, s30, exec_lo
	s_and_b32 s0, s0, exec_lo
	s_or_b32 s45, s6, s7
	s_and_not1_b32 s6, s44, exec_lo
	s_and_b32 s28, s28, exec_lo
	s_and_b32 s27, s27, exec_lo
	s_and_b32 s26, s26, exec_lo
	s_or_b32 s44, s6, s0
.LBB388_911:
	s_or_b32 exec_lo, exec_lo, s46
	s_delay_alu instid0(SALU_CYCLE_1)
	s_and_not1_b32 s0, s20, exec_lo
	s_and_b32 s6, s45, exec_lo
	s_and_b32 s7, s44, exec_lo
	s_or_b32 s20, s0, s6
	s_and_not1_b32 s6, s42, exec_lo
	s_and_b32 s0, s28, exec_lo
	s_and_b32 s27, s27, exec_lo
	s_and_b32 s19, s26, exec_lo
	s_or_b32 s42, s6, s7
	s_or_b32 exec_lo, exec_lo, s43
	s_mov_b32 s6, 0
	s_and_saveexec_b32 s7, s42
	s_cbranch_execz .LBB388_272
.LBB388_912:
	s_mov_b32 s6, exec_lo
	s_and_not1_b32 s19, s19, exec_lo
	s_trap 2
	s_or_b32 exec_lo, exec_lo, s7
	s_and_saveexec_b32 s7, s19
	s_delay_alu instid0(SALU_CYCLE_1)
	s_xor_b32 s7, exec_lo, s7
	s_cbranch_execnz .LBB388_273
.LBB388_913:
	s_or_b32 exec_lo, exec_lo, s7
	s_and_saveexec_b32 s7, s27
	s_cbranch_execz .LBB388_959
.LBB388_914:
	s_sext_i32_i16 s8, s37
	s_delay_alu instid0(SALU_CYCLE_1)
	s_cmp_lt_i32 s8, 5
	s_cbranch_scc1 .LBB388_919
; %bb.915:
	s_cmp_lt_i32 s8, 8
	s_cbranch_scc1 .LBB388_920
; %bb.916:
	;; [unrolled: 3-line block ×3, first 2 shown]
	s_cmp_gt_i32 s8, 9
	s_cbranch_scc0 .LBB388_922
; %bb.918:
	global_load_b64 v[0:1], v[4:5], off
	s_mov_b32 s8, 0
	s_wait_loadcnt 0x0
	v_cvt_i32_f64_e32 v6, v[0:1]
	s_branch .LBB388_923
.LBB388_919:
                                        ; implicit-def: $vgpr6
	s_branch .LBB388_940
.LBB388_920:
                                        ; implicit-def: $vgpr6
	s_branch .LBB388_929
.LBB388_921:
	s_mov_b32 s8, -1
                                        ; implicit-def: $vgpr6
	s_branch .LBB388_926
.LBB388_922:
	s_mov_b32 s8, -1
                                        ; implicit-def: $vgpr6
.LBB388_923:
	s_delay_alu instid0(SALU_CYCLE_1)
	s_and_not1_b32 vcc_lo, exec_lo, s8
	s_cbranch_vccnz .LBB388_925
; %bb.924:
	global_load_b32 v0, v[4:5], off
	s_wait_loadcnt 0x0
	v_cvt_i32_f32_e32 v6, v0
.LBB388_925:
	s_mov_b32 s8, 0
.LBB388_926:
	s_delay_alu instid0(SALU_CYCLE_1)
	s_and_not1_b32 vcc_lo, exec_lo, s8
	s_cbranch_vccnz .LBB388_928
; %bb.927:
	global_load_b32 v0, v[4:5], off
	s_wait_loadcnt 0x0
	v_cvt_i16_f16_e32 v6, v0
.LBB388_928:
	s_cbranch_execnz .LBB388_939
.LBB388_929:
	s_sext_i32_i16 s8, s37
	s_delay_alu instid0(SALU_CYCLE_1)
	s_cmp_lt_i32 s8, 6
	s_cbranch_scc1 .LBB388_932
; %bb.930:
	s_cmp_gt_i32 s8, 6
	s_cbranch_scc0 .LBB388_933
; %bb.931:
	global_load_b64 v[0:1], v[4:5], off
	s_mov_b32 s8, 0
	s_wait_loadcnt 0x0
	v_cvt_i32_f64_e32 v6, v[0:1]
	s_branch .LBB388_934
.LBB388_932:
	s_mov_b32 s8, -1
                                        ; implicit-def: $vgpr6
	s_branch .LBB388_937
.LBB388_933:
	s_mov_b32 s8, -1
                                        ; implicit-def: $vgpr6
.LBB388_934:
	s_delay_alu instid0(SALU_CYCLE_1)
	s_and_not1_b32 vcc_lo, exec_lo, s8
	s_cbranch_vccnz .LBB388_936
; %bb.935:
	global_load_b32 v0, v[4:5], off
	s_wait_loadcnt 0x0
	v_cvt_i32_f32_e32 v6, v0
.LBB388_936:
	s_mov_b32 s8, 0
.LBB388_937:
	s_delay_alu instid0(SALU_CYCLE_1)
	s_and_not1_b32 vcc_lo, exec_lo, s8
	s_cbranch_vccnz .LBB388_939
; %bb.938:
	global_load_u16 v0, v[4:5], off
	s_wait_loadcnt 0x0
	v_cvt_i16_f16_e32 v6, v0
.LBB388_939:
	s_cbranch_execnz .LBB388_958
.LBB388_940:
	s_sext_i32_i16 s8, s37
	s_delay_alu instid0(SALU_CYCLE_1)
	s_cmp_lt_i32 s8, 2
	s_cbranch_scc1 .LBB388_944
; %bb.941:
	s_cmp_lt_i32 s8, 3
	s_cbranch_scc1 .LBB388_945
; %bb.942:
	s_cmp_gt_i32 s8, 3
	s_cbranch_scc0 .LBB388_946
; %bb.943:
	s_wait_loadcnt 0x0
	global_load_b64 v[6:7], v[4:5], off
	s_mov_b32 s8, 0
	s_branch .LBB388_947
.LBB388_944:
                                        ; implicit-def: $vgpr6
	s_branch .LBB388_953
.LBB388_945:
	s_mov_b32 s8, -1
                                        ; implicit-def: $vgpr6
	s_branch .LBB388_950
.LBB388_946:
	s_mov_b32 s8, -1
                                        ; implicit-def: $vgpr6
.LBB388_947:
	s_delay_alu instid0(SALU_CYCLE_1)
	s_and_not1_b32 vcc_lo, exec_lo, s8
	s_cbranch_vccnz .LBB388_949
; %bb.948:
	s_wait_loadcnt 0x0
	global_load_b32 v6, v[4:5], off
.LBB388_949:
	s_mov_b32 s8, 0
.LBB388_950:
	s_delay_alu instid0(SALU_CYCLE_1)
	s_and_not1_b32 vcc_lo, exec_lo, s8
	s_cbranch_vccnz .LBB388_952
; %bb.951:
	s_wait_loadcnt 0x0
	global_load_u16 v6, v[4:5], off
.LBB388_952:
	s_cbranch_execnz .LBB388_958
.LBB388_953:
	s_sext_i32_i16 s8, s37
	s_delay_alu instid0(SALU_CYCLE_1)
	s_cmp_gt_i32 s8, 0
	s_mov_b32 s8, 0
	s_cbranch_scc0 .LBB388_955
; %bb.954:
	s_wait_loadcnt 0x0
	global_load_u8 v6, v[4:5], off
	s_branch .LBB388_956
.LBB388_955:
	s_mov_b32 s8, -1
                                        ; implicit-def: $vgpr6
.LBB388_956:
	s_delay_alu instid0(SALU_CYCLE_1)
	s_and_not1_b32 vcc_lo, exec_lo, s8
	s_cbranch_vccnz .LBB388_958
; %bb.957:
	s_wait_loadcnt 0x0
	global_load_u8 v6, v[4:5], off
.LBB388_958:
	s_or_b32 s0, s0, exec_lo
.LBB388_959:
	s_wait_xcnt 0x0
	s_or_b32 exec_lo, exec_lo, s7
	s_mov_b32 s12, 0
	s_mov_b32 s11, 0
                                        ; implicit-def: $sgpr7
                                        ; implicit-def: $sgpr8
                                        ; implicit-def: $vgpr0_vgpr1
	s_and_saveexec_b32 s10, s0
	s_cbranch_execz .LBB388_967
; %bb.960:
	s_wait_loadcnt 0x0
	s_delay_alu instid0(VALU_DEP_1) | instskip(SKIP_3) | instid1(VALU_DEP_2)
	v_and_b32_e32 v0, 0xff, v6
	v_mov_b32_e32 v3, 0
	s_and_b32 s0, s1, 0xff
	s_and_b32 s8, s2, 0xff
	v_cmp_ne_u16_e32 vcc_lo, s0, v0
	s_delay_alu instid0(VALU_DEP_2)
	v_add_nc_u64_e32 v[0:1], s[4:5], v[2:3]
	s_xor_b32 s7, s9, vcc_lo
	s_cmp_lt_i32 s8, 11
	s_cbranch_scc1 .LBB388_970
; %bb.961:
	s_and_b32 s1, 0xffff, s8
	s_mov_b32 s2, -1
	s_cmp_gt_i32 s1, 25
	s_mov_b32 s0, s20
	s_cbranch_scc0 .LBB388_998
; %bb.962:
	s_cmp_gt_i32 s1, 28
	s_mov_b32 s0, s20
	s_cbranch_scc0 .LBB388_982
; %bb.963:
	;; [unrolled: 4-line block ×4, first 2 shown]
	s_cmp_eq_u32 s1, 46
	s_mov_b32 s0, -1
	s_cbranch_scc0 .LBB388_971
; %bb.966:
	v_cndmask_b32_e64 v2, 0, 1.0, s7
	s_mov_b32 s0, 0
	s_mov_b32 s2, 0
	s_delay_alu instid0(VALU_DEP_1) | instskip(NEXT) | instid1(VALU_DEP_1)
	v_bfe_u32 v3, v2, 16, 1
	v_add3_u32 v2, v2, v3, 0x7fff
	s_delay_alu instid0(VALU_DEP_1)
	v_lshrrev_b32_e32 v2, 16, v2
	global_store_b32 v[0:1], v2, off
	s_branch .LBB388_972
.LBB388_967:
	s_or_b32 exec_lo, exec_lo, s10
	s_and_saveexec_b32 s0, s20
	s_cbranch_execnz .LBB388_1040
.LBB388_968:
	s_or_b32 exec_lo, exec_lo, s0
	s_and_saveexec_b32 s0, s12
	s_delay_alu instid0(SALU_CYCLE_1)
	s_xor_b32 s0, exec_lo, s0
	s_cbranch_execz .LBB388_1041
.LBB388_969:
	v_cndmask_b32_e64 v2, 0, 1, s7
	global_store_b8 v[0:1], v2, off
	s_wait_xcnt 0x0
	s_or_b32 exec_lo, exec_lo, s0
	s_and_saveexec_b32 s0, s11
	s_delay_alu instid0(SALU_CYCLE_1)
	s_xor_b32 s0, exec_lo, s0
	s_cbranch_execz .LBB388_1079
	s_branch .LBB388_1042
.LBB388_970:
	s_mov_b32 s4, 0
	s_mov_b32 s2, -1
	s_mov_b32 s0, s20
	s_branch .LBB388_1039
.LBB388_971:
	s_mov_b32 s2, 0
.LBB388_972:
	s_delay_alu instid0(SALU_CYCLE_1)
	s_and_b32 vcc_lo, exec_lo, s2
	s_cbranch_vccz .LBB388_977
; %bb.973:
	s_cmp_eq_u32 s1, 44
	s_mov_b32 s0, -1
	s_cbranch_scc0 .LBB388_977
; %bb.974:
	v_cndmask_b32_e64 v4, 0, 1.0, s7
	s_mov_b32 s2, exec_lo
	s_wait_xcnt 0x0
	s_delay_alu instid0(VALU_DEP_1) | instskip(NEXT) | instid1(VALU_DEP_1)
	v_dual_mov_b32 v3, 0xff :: v_dual_lshrrev_b32 v2, 23, v4
	v_cmpx_ne_u32_e32 0xff, v2
; %bb.975:
	v_and_b32_e32 v3, 0x400000, v4
	v_and_or_b32 v4, 0x3fffff, v4, v2
	s_delay_alu instid0(VALU_DEP_2) | instskip(NEXT) | instid1(VALU_DEP_2)
	v_cmp_ne_u32_e32 vcc_lo, 0, v3
	v_cmp_ne_u32_e64 s0, 0, v4
	s_and_b32 s0, vcc_lo, s0
	s_delay_alu instid0(SALU_CYCLE_1) | instskip(NEXT) | instid1(VALU_DEP_1)
	v_cndmask_b32_e64 v3, 0, 1, s0
	v_add_nc_u32_e32 v3, v2, v3
; %bb.976:
	s_or_b32 exec_lo, exec_lo, s2
	s_mov_b32 s0, 0
	global_store_b8 v[0:1], v3, off
.LBB388_977:
	s_mov_b32 s2, 0
.LBB388_978:
	s_delay_alu instid0(SALU_CYCLE_1)
	s_and_b32 vcc_lo, exec_lo, s2
	s_cbranch_vccz .LBB388_981
; %bb.979:
	s_cmp_eq_u32 s1, 29
	s_mov_b32 s0, -1
	s_cbranch_scc0 .LBB388_981
; %bb.980:
	s_mov_b32 s0, 0
	s_wait_xcnt 0x0
	v_cndmask_b32_e64 v2, 0, 1, s7
	v_mov_b32_e32 v3, s0
	s_mov_b32 s2, 0
	global_store_b64 v[0:1], v[2:3], off
	s_branch .LBB388_982
.LBB388_981:
	s_mov_b32 s2, 0
.LBB388_982:
	s_delay_alu instid0(SALU_CYCLE_1)
	s_and_b32 vcc_lo, exec_lo, s2
	s_cbranch_vccz .LBB388_997
; %bb.983:
	s_cmp_lt_i32 s1, 27
	s_mov_b32 s2, -1
	s_cbranch_scc1 .LBB388_989
; %bb.984:
	s_cmp_gt_i32 s1, 27
	s_cbranch_scc0 .LBB388_986
; %bb.985:
	s_wait_xcnt 0x0
	v_cndmask_b32_e64 v2, 0, 1, s7
	s_mov_b32 s2, 0
	global_store_b32 v[0:1], v2, off
.LBB388_986:
	s_and_not1_b32 vcc_lo, exec_lo, s2
	s_cbranch_vccnz .LBB388_988
; %bb.987:
	s_wait_xcnt 0x0
	v_cndmask_b32_e64 v2, 0, 1, s7
	global_store_b16 v[0:1], v2, off
.LBB388_988:
	s_mov_b32 s2, 0
.LBB388_989:
	s_delay_alu instid0(SALU_CYCLE_1)
	s_and_not1_b32 vcc_lo, exec_lo, s2
	s_cbranch_vccnz .LBB388_997
; %bb.990:
	s_wait_xcnt 0x0
	v_cndmask_b32_e64 v3, 0, 1.0, s7
	v_mov_b32_e32 v4, 0x80
	s_mov_b32 s2, exec_lo
	s_delay_alu instid0(VALU_DEP_2)
	v_cmpx_gt_u32_e32 0x43800000, v3
	s_cbranch_execz .LBB388_996
; %bb.991:
	s_mov_b32 s4, 0
	s_mov_b32 s5, exec_lo
                                        ; implicit-def: $vgpr2
	v_cmpx_lt_u32_e32 0x3bffffff, v3
	s_xor_b32 s5, exec_lo, s5
	s_cbranch_execz .LBB388_1154
; %bb.992:
	v_bfe_u32 v2, v3, 20, 1
	s_mov_b32 s4, exec_lo
	s_delay_alu instid0(VALU_DEP_1) | instskip(NEXT) | instid1(VALU_DEP_1)
	v_add3_u32 v2, v3, v2, 0x487ffff
                                        ; implicit-def: $vgpr3
	v_lshrrev_b32_e32 v2, 20, v2
	s_and_not1_saveexec_b32 s5, s5
	s_cbranch_execnz .LBB388_1155
.LBB388_993:
	s_or_b32 exec_lo, exec_lo, s5
	v_mov_b32_e32 v4, 0
	s_and_saveexec_b32 s5, s4
.LBB388_994:
	v_mov_b32_e32 v4, v2
.LBB388_995:
	s_or_b32 exec_lo, exec_lo, s5
.LBB388_996:
	s_delay_alu instid0(SALU_CYCLE_1)
	s_or_b32 exec_lo, exec_lo, s2
	global_store_b8 v[0:1], v4, off
.LBB388_997:
	s_mov_b32 s2, 0
.LBB388_998:
	s_delay_alu instid0(SALU_CYCLE_1)
	s_and_b32 vcc_lo, exec_lo, s2
	s_mov_b32 s2, 0
	s_cbranch_vccz .LBB388_1038
; %bb.999:
	s_cmp_gt_i32 s1, 22
	s_mov_b32 s4, -1
	s_cbranch_scc0 .LBB388_1031
; %bb.1000:
	s_cmp_lt_i32 s1, 24
	s_cbranch_scc1 .LBB388_1020
; %bb.1001:
	s_cmp_gt_i32 s1, 24
	s_cbranch_scc0 .LBB388_1009
; %bb.1002:
	s_wait_xcnt 0x0
	v_cndmask_b32_e64 v3, 0, 1.0, s7
	v_mov_b32_e32 v4, 0x80
	s_mov_b32 s4, exec_lo
	s_delay_alu instid0(VALU_DEP_2)
	v_cmpx_gt_u32_e32 0x47800000, v3
	s_cbranch_execz .LBB388_1008
; %bb.1003:
	s_mov_b32 s5, 0
	s_mov_b32 s9, exec_lo
                                        ; implicit-def: $vgpr2
	v_cmpx_lt_u32_e32 0x37ffffff, v3
	s_xor_b32 s9, exec_lo, s9
	s_cbranch_execz .LBB388_1275
; %bb.1004:
	v_bfe_u32 v2, v3, 21, 1
	s_mov_b32 s5, exec_lo
	s_delay_alu instid0(VALU_DEP_1) | instskip(NEXT) | instid1(VALU_DEP_1)
	v_add3_u32 v2, v3, v2, 0x88fffff
                                        ; implicit-def: $vgpr3
	v_lshrrev_b32_e32 v2, 21, v2
	s_and_not1_saveexec_b32 s9, s9
	s_cbranch_execnz .LBB388_1276
.LBB388_1005:
	s_or_b32 exec_lo, exec_lo, s9
	v_mov_b32_e32 v4, 0
	s_and_saveexec_b32 s9, s5
.LBB388_1006:
	v_mov_b32_e32 v4, v2
.LBB388_1007:
	s_or_b32 exec_lo, exec_lo, s9
.LBB388_1008:
	s_delay_alu instid0(SALU_CYCLE_1)
	s_or_b32 exec_lo, exec_lo, s4
	s_mov_b32 s4, 0
	global_store_b8 v[0:1], v4, off
.LBB388_1009:
	s_and_b32 vcc_lo, exec_lo, s4
	s_cbranch_vccz .LBB388_1019
; %bb.1010:
	s_wait_xcnt 0x0
	v_cndmask_b32_e64 v3, 0, 1.0, s7
	s_mov_b32 s4, exec_lo
                                        ; implicit-def: $vgpr2
	s_delay_alu instid0(VALU_DEP_1)
	v_cmpx_gt_u32_e32 0x43f00000, v3
	s_xor_b32 s4, exec_lo, s4
	s_cbranch_execz .LBB388_1016
; %bb.1011:
	s_mov_b32 s5, exec_lo
                                        ; implicit-def: $vgpr2
	v_cmpx_lt_u32_e32 0x3c7fffff, v3
	s_xor_b32 s5, exec_lo, s5
; %bb.1012:
	v_bfe_u32 v2, v3, 20, 1
	s_delay_alu instid0(VALU_DEP_1) | instskip(NEXT) | instid1(VALU_DEP_1)
	v_add3_u32 v2, v3, v2, 0x407ffff
	v_and_b32_e32 v3, 0xff00000, v2
	v_lshrrev_b32_e32 v2, 20, v2
	s_delay_alu instid0(VALU_DEP_2) | instskip(NEXT) | instid1(VALU_DEP_2)
	v_cmp_ne_u32_e32 vcc_lo, 0x7f00000, v3
                                        ; implicit-def: $vgpr3
	v_cndmask_b32_e32 v2, 0x7e, v2, vcc_lo
; %bb.1013:
	s_and_not1_saveexec_b32 s5, s5
; %bb.1014:
	v_add_f32_e32 v2, 0x46800000, v3
; %bb.1015:
	s_or_b32 exec_lo, exec_lo, s5
                                        ; implicit-def: $vgpr3
.LBB388_1016:
	s_and_not1_saveexec_b32 s4, s4
; %bb.1017:
	v_mov_b32_e32 v2, 0x7f
	v_cmp_lt_u32_e32 vcc_lo, 0x7f800000, v3
	s_delay_alu instid0(VALU_DEP_2)
	v_cndmask_b32_e32 v2, 0x7e, v2, vcc_lo
; %bb.1018:
	s_or_b32 exec_lo, exec_lo, s4
	global_store_b8 v[0:1], v2, off
.LBB388_1019:
	s_mov_b32 s4, 0
.LBB388_1020:
	s_delay_alu instid0(SALU_CYCLE_1)
	s_and_not1_b32 vcc_lo, exec_lo, s4
	s_cbranch_vccnz .LBB388_1030
; %bb.1021:
	s_wait_xcnt 0x0
	v_cndmask_b32_e64 v3, 0, 1.0, s7
	s_mov_b32 s4, exec_lo
                                        ; implicit-def: $vgpr2
	s_delay_alu instid0(VALU_DEP_1)
	v_cmpx_gt_u32_e32 0x47800000, v3
	s_xor_b32 s4, exec_lo, s4
	s_cbranch_execz .LBB388_1027
; %bb.1022:
	s_mov_b32 s5, exec_lo
                                        ; implicit-def: $vgpr2
	v_cmpx_lt_u32_e32 0x387fffff, v3
	s_xor_b32 s5, exec_lo, s5
; %bb.1023:
	v_bfe_u32 v2, v3, 21, 1
	s_delay_alu instid0(VALU_DEP_1) | instskip(NEXT) | instid1(VALU_DEP_1)
	v_add3_u32 v2, v3, v2, 0x80fffff
                                        ; implicit-def: $vgpr3
	v_lshrrev_b32_e32 v2, 21, v2
; %bb.1024:
	s_and_not1_saveexec_b32 s5, s5
; %bb.1025:
	v_add_f32_e32 v2, 0x43000000, v3
; %bb.1026:
	s_or_b32 exec_lo, exec_lo, s5
                                        ; implicit-def: $vgpr3
.LBB388_1027:
	s_and_not1_saveexec_b32 s4, s4
; %bb.1028:
	v_mov_b32_e32 v2, 0x7f
	v_cmp_lt_u32_e32 vcc_lo, 0x7f800000, v3
	s_delay_alu instid0(VALU_DEP_2)
	v_cndmask_b32_e32 v2, 0x7c, v2, vcc_lo
; %bb.1029:
	s_or_b32 exec_lo, exec_lo, s4
	global_store_b8 v[0:1], v2, off
.LBB388_1030:
	s_mov_b32 s4, 0
.LBB388_1031:
	s_delay_alu instid0(SALU_CYCLE_1)
	s_and_not1_b32 vcc_lo, exec_lo, s4
	s_mov_b32 s4, 0
	s_cbranch_vccnz .LBB388_1039
; %bb.1032:
	s_cmp_gt_i32 s1, 14
	s_mov_b32 s4, -1
	s_cbranch_scc0 .LBB388_1036
; %bb.1033:
	s_cmp_eq_u32 s1, 15
	s_mov_b32 s0, -1
	s_cbranch_scc0 .LBB388_1035
; %bb.1034:
	s_wait_xcnt 0x0
	v_cndmask_b32_e64 v2, 0, 1.0, s7
	s_mov_b32 s0, 0
	s_delay_alu instid0(VALU_DEP_1) | instskip(NEXT) | instid1(VALU_DEP_1)
	v_bfe_u32 v3, v2, 16, 1
	v_add3_u32 v2, v2, v3, 0x7fff
	global_store_d16_hi_b16 v[0:1], v2, off
.LBB388_1035:
	s_mov_b32 s4, 0
.LBB388_1036:
	s_delay_alu instid0(SALU_CYCLE_1)
	s_and_b32 vcc_lo, exec_lo, s4
	s_mov_b32 s4, 0
	s_cbranch_vccz .LBB388_1039
; %bb.1037:
	s_cmp_lg_u32 s1, 11
	s_mov_b32 s4, -1
	s_cselect_b32 s1, -1, 0
	s_and_not1_b32 s0, s0, exec_lo
	s_and_b32 s1, s1, exec_lo
	s_delay_alu instid0(SALU_CYCLE_1)
	s_or_b32 s0, s0, s1
	s_branch .LBB388_1039
.LBB388_1038:
	s_mov_b32 s4, 0
.LBB388_1039:
	s_and_not1_b32 s1, s20, exec_lo
	s_and_b32 s0, s0, exec_lo
	s_and_b32 s11, s2, exec_lo
	;; [unrolled: 1-line block ×3, first 2 shown]
	s_or_b32 s20, s1, s0
	s_wait_xcnt 0x0
	s_or_b32 exec_lo, exec_lo, s10
	s_and_saveexec_b32 s0, s20
	s_cbranch_execz .LBB388_968
.LBB388_1040:
	s_or_b32 s6, s6, exec_lo
	s_and_not1_b32 s12, s12, exec_lo
	s_trap 2
	s_or_b32 exec_lo, exec_lo, s0
	s_and_saveexec_b32 s0, s12
	s_delay_alu instid0(SALU_CYCLE_1)
	s_xor_b32 s0, exec_lo, s0
	s_cbranch_execnz .LBB388_969
.LBB388_1041:
	s_or_b32 exec_lo, exec_lo, s0
	s_and_saveexec_b32 s0, s11
	s_delay_alu instid0(SALU_CYCLE_1)
	s_xor_b32 s0, exec_lo, s0
	s_cbranch_execz .LBB388_1079
.LBB388_1042:
	s_sext_i32_i16 s2, s8
	s_mov_b32 s1, -1
	s_cmp_lt_i32 s2, 5
	s_cbranch_scc1 .LBB388_1063
; %bb.1043:
	s_cmp_lt_i32 s2, 8
	s_cbranch_scc1 .LBB388_1053
; %bb.1044:
	;; [unrolled: 3-line block ×3, first 2 shown]
	s_cmp_gt_i32 s2, 9
	s_cbranch_scc0 .LBB388_1047
; %bb.1046:
	v_cndmask_b32_e64 v2, 0, 1, s7
	v_mov_b32_e32 v4, 0
	s_mov_b32 s1, 0
	s_delay_alu instid0(VALU_DEP_2) | instskip(NEXT) | instid1(VALU_DEP_2)
	v_cvt_f64_u32_e32 v[2:3], v2
	v_mov_b32_e32 v5, v4
	global_store_b128 v[0:1], v[2:5], off
.LBB388_1047:
	s_and_not1_b32 vcc_lo, exec_lo, s1
	s_cbranch_vccnz .LBB388_1049
; %bb.1048:
	s_wait_xcnt 0x0
	v_cndmask_b32_e64 v2, 0, 1.0, s7
	v_mov_b32_e32 v3, 0
	global_store_b64 v[0:1], v[2:3], off
.LBB388_1049:
	s_mov_b32 s1, 0
.LBB388_1050:
	s_delay_alu instid0(SALU_CYCLE_1)
	s_and_not1_b32 vcc_lo, exec_lo, s1
	s_cbranch_vccnz .LBB388_1052
; %bb.1051:
	s_wait_xcnt 0x0
	v_cndmask_b32_e64 v2, 0, 1.0, s7
	s_delay_alu instid0(VALU_DEP_1) | instskip(NEXT) | instid1(VALU_DEP_1)
	v_cvt_f16_f32_e32 v2, v2
	v_and_b32_e32 v2, 0xffff, v2
	global_store_b32 v[0:1], v2, off
.LBB388_1052:
	s_mov_b32 s1, 0
.LBB388_1053:
	s_delay_alu instid0(SALU_CYCLE_1)
	s_and_not1_b32 vcc_lo, exec_lo, s1
	s_cbranch_vccnz .LBB388_1062
; %bb.1054:
	s_sext_i32_i16 s2, s8
	s_mov_b32 s1, -1
	s_cmp_lt_i32 s2, 6
	s_cbranch_scc1 .LBB388_1060
; %bb.1055:
	s_cmp_gt_i32 s2, 6
	s_cbranch_scc0 .LBB388_1057
; %bb.1056:
	s_wait_xcnt 0x0
	v_cndmask_b32_e64 v2, 0, 1, s7
	s_mov_b32 s1, 0
	s_delay_alu instid0(VALU_DEP_1)
	v_cvt_f64_u32_e32 v[2:3], v2
	global_store_b64 v[0:1], v[2:3], off
.LBB388_1057:
	s_and_not1_b32 vcc_lo, exec_lo, s1
	s_cbranch_vccnz .LBB388_1059
; %bb.1058:
	s_wait_xcnt 0x0
	v_cndmask_b32_e64 v2, 0, 1.0, s7
	global_store_b32 v[0:1], v2, off
.LBB388_1059:
	s_mov_b32 s1, 0
.LBB388_1060:
	s_delay_alu instid0(SALU_CYCLE_1)
	s_and_not1_b32 vcc_lo, exec_lo, s1
	s_cbranch_vccnz .LBB388_1062
; %bb.1061:
	s_wait_xcnt 0x0
	v_cndmask_b32_e64 v2, 0, 1.0, s7
	s_delay_alu instid0(VALU_DEP_1)
	v_cvt_f16_f32_e32 v2, v2
	global_store_b16 v[0:1], v2, off
.LBB388_1062:
	s_mov_b32 s1, 0
.LBB388_1063:
	s_delay_alu instid0(SALU_CYCLE_1)
	s_and_not1_b32 vcc_lo, exec_lo, s1
	s_cbranch_vccnz .LBB388_1079
; %bb.1064:
	s_sext_i32_i16 s2, s8
	s_mov_b32 s1, -1
	s_cmp_lt_i32 s2, 2
	s_cbranch_scc1 .LBB388_1074
; %bb.1065:
	s_cmp_lt_i32 s2, 3
	s_cbranch_scc1 .LBB388_1071
; %bb.1066:
	s_cmp_gt_i32 s2, 3
	s_cbranch_scc0 .LBB388_1068
; %bb.1067:
	s_mov_b32 s1, 0
	s_wait_xcnt 0x0
	v_cndmask_b32_e64 v2, 0, 1, s7
	v_mov_b32_e32 v3, s1
	global_store_b64 v[0:1], v[2:3], off
.LBB388_1068:
	s_and_not1_b32 vcc_lo, exec_lo, s1
	s_cbranch_vccnz .LBB388_1070
; %bb.1069:
	s_wait_xcnt 0x0
	v_cndmask_b32_e64 v2, 0, 1, s7
	global_store_b32 v[0:1], v2, off
.LBB388_1070:
	s_mov_b32 s1, 0
.LBB388_1071:
	s_delay_alu instid0(SALU_CYCLE_1)
	s_and_not1_b32 vcc_lo, exec_lo, s1
	s_cbranch_vccnz .LBB388_1073
; %bb.1072:
	s_wait_xcnt 0x0
	v_cndmask_b32_e64 v2, 0, 1, s7
	global_store_b16 v[0:1], v2, off
.LBB388_1073:
	s_mov_b32 s1, 0
.LBB388_1074:
	s_delay_alu instid0(SALU_CYCLE_1)
	s_and_not1_b32 vcc_lo, exec_lo, s1
	s_cbranch_vccnz .LBB388_1079
; %bb.1075:
	s_sext_i32_i16 s1, s8
	s_delay_alu instid0(SALU_CYCLE_1)
	s_cmp_gt_i32 s1, 0
	s_mov_b32 s1, -1
	s_cbranch_scc0 .LBB388_1077
; %bb.1076:
	s_wait_xcnt 0x0
	v_cndmask_b32_e64 v2, 0, 1, s7
	s_mov_b32 s1, 0
	global_store_b8 v[0:1], v2, off
.LBB388_1077:
	s_and_not1_b32 vcc_lo, exec_lo, s1
	s_cbranch_vccnz .LBB388_1079
; %bb.1078:
	s_wait_xcnt 0x0
	v_cndmask_b32_e64 v2, 0, 1, s7
	global_store_b8 v[0:1], v2, off
.LBB388_1079:
	s_wait_xcnt 0x0
	s_or_b32 exec_lo, exec_lo, s0
	s_delay_alu instid0(SALU_CYCLE_1)
	s_and_b32 s8, s6, exec_lo
                                        ; implicit-def: $vgpr9
                                        ; implicit-def: $vgpr0
.LBB388_1080:
	s_or_saveexec_b32 s9, s36
	s_mov_b32 s0, 0
                                        ; implicit-def: $sgpr4
                                        ; implicit-def: $vgpr2_vgpr3
                                        ; implicit-def: $sgpr2
	s_xor_b32 exec_lo, exec_lo, s9
	s_cbranch_execz .LBB388_2074
; %bb.1081:
	v_cndmask_b32_e64 v1, 0, 1, s35
	s_and_not1_b32 vcc_lo, exec_lo, s35
	s_cbranch_vccnz .LBB388_1087
; %bb.1082:
	s_cmp_lg_u32 s33, 0
	s_mov_b32 s6, 0
	s_cbranch_scc0 .LBB388_1088
; %bb.1083:
	s_min_u32 s1, s34, 15
	s_delay_alu instid0(SALU_CYCLE_1)
	s_add_co_i32 s1, s1, 1
	s_cmp_eq_u32 s34, 2
	s_cbranch_scc1 .LBB388_1089
; %bb.1084:
	s_wait_loadcnt 0x0
	v_dual_mov_b32 v6, 0 :: v_dual_mov_b32 v14, 0
	v_mov_b32_e32 v2, v0
	s_and_b32 s0, s1, 28
	s_add_nc_u64 s[2:3], s[16:17], 0xc4
	s_mov_b32 s7, 0
	s_mov_b64 s[4:5], s[16:17]
.LBB388_1085:                           ; =>This Inner Loop Header: Depth=1
	s_clause 0x1
	s_load_b256 s[20:27], s[4:5], 0x4
	s_load_b128 s[12:15], s[4:5], 0x24
	s_load_b256 s[36:43], s[2:3], 0x0
	s_add_co_i32 s7, s7, 4
	s_wait_xcnt 0x0
	s_add_nc_u64 s[4:5], s[4:5], 48
	s_cmp_lg_u32 s0, s7
	s_add_nc_u64 s[2:3], s[2:3], 32
	s_wait_kmcnt 0x0
	v_mul_hi_u32 v3, s21, v2
	s_delay_alu instid0(VALU_DEP_1) | instskip(NEXT) | instid1(VALU_DEP_1)
	v_add_nc_u32_e32 v3, v2, v3
	v_lshrrev_b32_e32 v3, s22, v3
	s_delay_alu instid0(VALU_DEP_1) | instskip(NEXT) | instid1(VALU_DEP_1)
	v_mul_hi_u32 v4, s24, v3
	v_add_nc_u32_e32 v4, v3, v4
	s_delay_alu instid0(VALU_DEP_1) | instskip(NEXT) | instid1(VALU_DEP_1)
	v_lshrrev_b32_e32 v4, s25, v4
	v_mul_hi_u32 v5, s27, v4
	s_delay_alu instid0(VALU_DEP_1) | instskip(SKIP_1) | instid1(VALU_DEP_1)
	v_add_nc_u32_e32 v5, v4, v5
	v_mul_lo_u32 v7, v3, s20
	v_sub_nc_u32_e32 v2, v2, v7
	v_mul_lo_u32 v7, v4, s23
	s_delay_alu instid0(VALU_DEP_4) | instskip(NEXT) | instid1(VALU_DEP_3)
	v_lshrrev_b32_e32 v5, s12, v5
	v_mad_u32 v10, v2, s37, v14
	v_mad_u32 v2, v2, s36, v6
	s_delay_alu instid0(VALU_DEP_4) | instskip(NEXT) | instid1(VALU_DEP_4)
	v_sub_nc_u32_e32 v3, v3, v7
	v_mul_hi_u32 v8, s14, v5
	v_mul_lo_u32 v6, v5, s26
	s_delay_alu instid0(VALU_DEP_1) | instskip(NEXT) | instid1(VALU_DEP_4)
	v_dual_add_nc_u32 v7, v5, v8 :: v_dual_sub_nc_u32 v4, v4, v6
	v_mad_u32 v8, v3, s39, v10
	v_mad_u32 v3, v3, s38, v2
	s_delay_alu instid0(VALU_DEP_3) | instskip(NEXT) | instid1(VALU_DEP_1)
	v_lshrrev_b32_e32 v2, s15, v7
	v_mul_lo_u32 v6, v2, s13
	s_delay_alu instid0(VALU_DEP_4) | instskip(NEXT) | instid1(VALU_DEP_4)
	v_mad_u32 v7, v4, s41, v8
	v_mad_u32 v3, v4, s40, v3
	s_delay_alu instid0(VALU_DEP_3) | instskip(NEXT) | instid1(VALU_DEP_1)
	v_sub_nc_u32_e32 v4, v5, v6
	v_mad_u32 v14, v4, s43, v7
	s_delay_alu instid0(VALU_DEP_3)
	v_mad_u32 v6, v4, s42, v3
	s_cbranch_scc1 .LBB388_1085
; %bb.1086:
	s_delay_alu instid0(VALU_DEP_2)
	v_mov_b32_e32 v7, v14
	s_and_b32 s4, s1, 3
	s_mov_b32 s1, 0
	s_cmp_eq_u32 s4, 0
	s_cbranch_scc0 .LBB388_1090
	s_branch .LBB388_1093
.LBB388_1087:
	s_mov_b32 s6, -1
                                        ; implicit-def: $vgpr14
                                        ; implicit-def: $vgpr6
	s_branch .LBB388_1093
.LBB388_1088:
	s_wait_loadcnt 0x0
	v_dual_mov_b32 v14, 0 :: v_dual_mov_b32 v6, 0
	s_branch .LBB388_1093
.LBB388_1089:
	s_wait_loadcnt 0x0
	v_mov_b64_e32 v[6:7], 0
	v_mov_b32_e32 v2, v0
                                        ; implicit-def: $vgpr14
	s_and_b32 s4, s1, 3
	s_mov_b32 s1, 0
	s_cmp_eq_u32 s4, 0
	s_cbranch_scc1 .LBB388_1093
.LBB388_1090:
	s_lshl_b32 s2, s0, 3
	s_mov_b32 s3, s1
	s_mul_u64 s[10:11], s[0:1], 12
	s_add_nc_u64 s[2:3], s[16:17], s[2:3]
	s_delay_alu instid0(SALU_CYCLE_1)
	s_add_nc_u64 s[0:1], s[2:3], 0xc4
	s_add_nc_u64 s[2:3], s[16:17], s[10:11]
.LBB388_1091:                           ; =>This Inner Loop Header: Depth=1
	s_load_b96 s[12:14], s[2:3], 0x4
	s_load_b64 s[10:11], s[0:1], 0x0
	s_add_co_i32 s4, s4, -1
	s_wait_xcnt 0x0
	s_add_nc_u64 s[2:3], s[2:3], 12
	s_cmp_lg_u32 s4, 0
	s_add_nc_u64 s[0:1], s[0:1], 8
	s_wait_kmcnt 0x0
	v_mul_hi_u32 v3, s13, v2
	s_delay_alu instid0(VALU_DEP_1) | instskip(NEXT) | instid1(VALU_DEP_1)
	v_add_nc_u32_e32 v3, v2, v3
	v_lshrrev_b32_e32 v3, s14, v3
	s_delay_alu instid0(VALU_DEP_1) | instskip(NEXT) | instid1(VALU_DEP_1)
	v_mul_lo_u32 v4, v3, s12
	v_sub_nc_u32_e32 v2, v2, v4
	s_delay_alu instid0(VALU_DEP_1)
	v_mad_u32 v7, v2, s11, v7
	v_mad_u32 v6, v2, s10, v6
	v_mov_b32_e32 v2, v3
	s_cbranch_scc1 .LBB388_1091
; %bb.1092:
	s_delay_alu instid0(VALU_DEP_3)
	v_mov_b32_e32 v14, v7
.LBB388_1093:
	s_and_not1_b32 vcc_lo, exec_lo, s6
	s_cbranch_vccnz .LBB388_1096
; %bb.1094:
	s_clause 0x1
	s_load_b96 s[0:2], s[16:17], 0x4
	s_load_b64 s[4:5], s[16:17], 0xc4
	s_cmp_lt_u32 s33, 2
	s_wait_kmcnt 0x0
	v_mul_hi_u32 v2, s1, v0
	s_delay_alu instid0(VALU_DEP_1) | instskip(NEXT) | instid1(VALU_DEP_1)
	v_add_nc_u32_e32 v2, v0, v2
	v_lshrrev_b32_e32 v2, s2, v2
	s_delay_alu instid0(VALU_DEP_1) | instskip(NEXT) | instid1(VALU_DEP_1)
	v_mul_lo_u32 v3, v2, s0
	v_sub_nc_u32_e32 v3, v0, v3
	s_delay_alu instid0(VALU_DEP_1)
	v_mul_lo_u32 v14, v3, s5
	s_wait_loadcnt 0x0
	v_mul_lo_u32 v6, v3, s4
	s_cbranch_scc1 .LBB388_1096
; %bb.1095:
	s_clause 0x1
	s_load_b96 s[0:2], s[16:17], 0x10
	s_load_b64 s[4:5], s[16:17], 0xcc
	s_wait_kmcnt 0x0
	v_mul_hi_u32 v3, s1, v2
	s_delay_alu instid0(VALU_DEP_1) | instskip(NEXT) | instid1(VALU_DEP_1)
	v_add_nc_u32_e32 v3, v2, v3
	v_lshrrev_b32_e32 v3, s2, v3
	s_delay_alu instid0(VALU_DEP_1) | instskip(NEXT) | instid1(VALU_DEP_1)
	v_mul_lo_u32 v3, v3, s0
	v_sub_nc_u32_e32 v2, v2, v3
	s_delay_alu instid0(VALU_DEP_1)
	v_mad_u32 v6, v2, s4, v6
	v_mad_u32 v14, v2, s5, v14
.LBB388_1096:
	v_cmp_ne_u32_e32 vcc_lo, 1, v1
	v_add_nc_u32_e32 v2, 0x80, v0
	s_cbranch_vccnz .LBB388_1102
; %bb.1097:
	s_cmp_lg_u32 s33, 0
	s_mov_b32 s6, 0
	s_cbranch_scc0 .LBB388_1103
; %bb.1098:
	s_min_u32 s1, s34, 15
	s_delay_alu instid0(SALU_CYCLE_1)
	s_add_co_i32 s1, s1, 1
	s_cmp_eq_u32 s34, 2
	s_cbranch_scc1 .LBB388_1104
; %bb.1099:
	v_dual_mov_b32 v4, 0 :: v_dual_mov_b32 v12, 0
	v_mov_b32_e32 v3, v2
	s_and_b32 s0, s1, 28
	s_add_nc_u64 s[2:3], s[16:17], 0xc4
	s_mov_b32 s7, 0
	s_mov_b64 s[4:5], s[16:17]
.LBB388_1100:                           ; =>This Inner Loop Header: Depth=1
	s_clause 0x1
	s_load_b256 s[20:27], s[4:5], 0x4
	s_load_b128 s[12:15], s[4:5], 0x24
	s_load_b256 s[36:43], s[2:3], 0x0
	s_add_co_i32 s7, s7, 4
	s_wait_xcnt 0x0
	s_add_nc_u64 s[4:5], s[4:5], 48
	s_cmp_lg_u32 s0, s7
	s_add_nc_u64 s[2:3], s[2:3], 32
	s_wait_kmcnt 0x0
	v_mul_hi_u32 v5, s21, v3
	s_delay_alu instid0(VALU_DEP_1) | instskip(NEXT) | instid1(VALU_DEP_1)
	v_add_nc_u32_e32 v5, v3, v5
	v_lshrrev_b32_e32 v5, s22, v5
	s_wait_loadcnt 0x0
	s_delay_alu instid0(VALU_DEP_1) | instskip(NEXT) | instid1(VALU_DEP_1)
	v_mul_hi_u32 v7, s24, v5
	v_add_nc_u32_e32 v7, v5, v7
	s_delay_alu instid0(VALU_DEP_1) | instskip(NEXT) | instid1(VALU_DEP_1)
	v_lshrrev_b32_e32 v7, s25, v7
	v_mul_hi_u32 v8, s27, v7
	s_delay_alu instid0(VALU_DEP_1) | instskip(SKIP_1) | instid1(VALU_DEP_1)
	v_add_nc_u32_e32 v8, v7, v8
	v_mul_lo_u32 v10, v5, s20
	v_sub_nc_u32_e32 v3, v3, v10
	v_mul_lo_u32 v10, v7, s23
	s_delay_alu instid0(VALU_DEP_4) | instskip(NEXT) | instid1(VALU_DEP_3)
	v_lshrrev_b32_e32 v8, s12, v8
	v_mad_u32 v12, v3, s37, v12
	v_mad_u32 v3, v3, s36, v4
	s_delay_alu instid0(VALU_DEP_4) | instskip(NEXT) | instid1(VALU_DEP_4)
	v_sub_nc_u32_e32 v4, v5, v10
	v_mul_hi_u32 v11, s14, v8
	v_mul_lo_u32 v5, v8, s26
	s_delay_alu instid0(VALU_DEP_1) | instskip(NEXT) | instid1(VALU_DEP_4)
	v_dual_add_nc_u32 v10, v8, v11 :: v_dual_sub_nc_u32 v5, v7, v5
	v_mad_u32 v11, v4, s39, v12
	v_mad_u32 v4, v4, s38, v3
	s_delay_alu instid0(VALU_DEP_3) | instskip(NEXT) | instid1(VALU_DEP_1)
	v_lshrrev_b32_e32 v3, s15, v10
	v_mul_lo_u32 v7, v3, s13
	s_delay_alu instid0(VALU_DEP_4) | instskip(NEXT) | instid1(VALU_DEP_4)
	v_mad_u32 v10, v5, s41, v11
	v_mad_u32 v4, v5, s40, v4
	s_delay_alu instid0(VALU_DEP_3) | instskip(NEXT) | instid1(VALU_DEP_1)
	v_sub_nc_u32_e32 v5, v8, v7
	v_mad_u32 v12, v5, s43, v10
	s_delay_alu instid0(VALU_DEP_3)
	v_mad_u32 v4, v5, s42, v4
	s_cbranch_scc1 .LBB388_1100
; %bb.1101:
	s_delay_alu instid0(VALU_DEP_2)
	v_mov_b32_e32 v5, v12
	s_and_b32 s4, s1, 3
	s_mov_b32 s1, 0
	s_cmp_eq_u32 s4, 0
	s_cbranch_scc0 .LBB388_1105
	s_branch .LBB388_1108
.LBB388_1102:
	s_mov_b32 s6, -1
                                        ; implicit-def: $vgpr12
                                        ; implicit-def: $vgpr4
	s_branch .LBB388_1108
.LBB388_1103:
	v_dual_mov_b32 v12, 0 :: v_dual_mov_b32 v4, 0
	s_branch .LBB388_1108
.LBB388_1104:
	v_mov_b64_e32 v[4:5], 0
	v_mov_b32_e32 v3, v2
	s_mov_b32 s0, 0
                                        ; implicit-def: $vgpr12
	s_and_b32 s4, s1, 3
	s_mov_b32 s1, 0
	s_cmp_eq_u32 s4, 0
	s_cbranch_scc1 .LBB388_1108
.LBB388_1105:
	s_lshl_b32 s2, s0, 3
	s_mov_b32 s3, s1
	s_mul_u64 s[10:11], s[0:1], 12
	s_add_nc_u64 s[2:3], s[16:17], s[2:3]
	s_delay_alu instid0(SALU_CYCLE_1)
	s_add_nc_u64 s[0:1], s[2:3], 0xc4
	s_add_nc_u64 s[2:3], s[16:17], s[10:11]
.LBB388_1106:                           ; =>This Inner Loop Header: Depth=1
	s_load_b96 s[12:14], s[2:3], 0x4
	s_load_b64 s[10:11], s[0:1], 0x0
	s_add_co_i32 s4, s4, -1
	s_wait_xcnt 0x0
	s_add_nc_u64 s[2:3], s[2:3], 12
	s_cmp_lg_u32 s4, 0
	s_add_nc_u64 s[0:1], s[0:1], 8
	s_wait_loadcnt 0x0
	s_wait_kmcnt 0x0
	v_mul_hi_u32 v7, s13, v3
	s_delay_alu instid0(VALU_DEP_1) | instskip(NEXT) | instid1(VALU_DEP_1)
	v_add_nc_u32_e32 v7, v3, v7
	v_lshrrev_b32_e32 v7, s14, v7
	s_delay_alu instid0(VALU_DEP_1) | instskip(NEXT) | instid1(VALU_DEP_1)
	v_mul_lo_u32 v8, v7, s12
	v_sub_nc_u32_e32 v3, v3, v8
	s_delay_alu instid0(VALU_DEP_1)
	v_mad_u32 v5, v3, s11, v5
	v_mad_u32 v4, v3, s10, v4
	v_mov_b32_e32 v3, v7
	s_cbranch_scc1 .LBB388_1106
; %bb.1107:
	s_delay_alu instid0(VALU_DEP_3)
	v_mov_b32_e32 v12, v5
.LBB388_1108:
	s_and_not1_b32 vcc_lo, exec_lo, s6
	s_cbranch_vccnz .LBB388_1111
; %bb.1109:
	s_clause 0x1
	s_load_b96 s[0:2], s[16:17], 0x4
	s_load_b64 s[4:5], s[16:17], 0xc4
	s_cmp_lt_u32 s33, 2
	s_wait_kmcnt 0x0
	v_mul_hi_u32 v3, s1, v2
	s_delay_alu instid0(VALU_DEP_1) | instskip(NEXT) | instid1(VALU_DEP_1)
	v_add_nc_u32_e32 v3, v2, v3
	v_lshrrev_b32_e32 v3, s2, v3
	s_delay_alu instid0(VALU_DEP_1) | instskip(NEXT) | instid1(VALU_DEP_1)
	v_mul_lo_u32 v4, v3, s0
	v_sub_nc_u32_e32 v2, v2, v4
	s_delay_alu instid0(VALU_DEP_1)
	v_mul_lo_u32 v12, v2, s5
	v_mul_lo_u32 v4, v2, s4
	s_cbranch_scc1 .LBB388_1111
; %bb.1110:
	s_clause 0x1
	s_load_b96 s[0:2], s[16:17], 0x10
	s_load_b64 s[4:5], s[16:17], 0xcc
	s_wait_kmcnt 0x0
	v_mul_hi_u32 v2, s1, v3
	s_delay_alu instid0(VALU_DEP_1) | instskip(NEXT) | instid1(VALU_DEP_1)
	v_add_nc_u32_e32 v2, v3, v2
	v_lshrrev_b32_e32 v2, s2, v2
	s_delay_alu instid0(VALU_DEP_1) | instskip(NEXT) | instid1(VALU_DEP_1)
	v_mul_lo_u32 v2, v2, s0
	v_sub_nc_u32_e32 v2, v3, v2
	s_delay_alu instid0(VALU_DEP_1)
	v_mad_u32 v4, v2, s4, v4
	v_mad_u32 v12, v2, s5, v12
.LBB388_1111:
	v_cmp_ne_u32_e32 vcc_lo, 1, v1
	v_add_nc_u32_e32 v0, 0x100, v0
	s_cbranch_vccnz .LBB388_1117
; %bb.1112:
	s_cmp_lg_u32 s33, 0
	s_mov_b32 s6, 0
	s_cbranch_scc0 .LBB388_1118
; %bb.1113:
	s_min_u32 s1, s34, 15
	s_delay_alu instid0(SALU_CYCLE_1)
	s_add_co_i32 s1, s1, 1
	s_cmp_eq_u32 s34, 2
	s_cbranch_scc1 .LBB388_1119
; %bb.1114:
	v_dual_mov_b32 v2, 0 :: v_dual_mov_b32 v10, 0
	v_mov_b32_e32 v5, v0
	s_and_b32 s0, s1, 28
	s_add_nc_u64 s[2:3], s[16:17], 0xc4
	s_mov_b32 s7, 0
	s_mov_b64 s[4:5], s[16:17]
.LBB388_1115:                           ; =>This Inner Loop Header: Depth=1
	s_clause 0x1
	s_load_b256 s[20:27], s[4:5], 0x4
	s_load_b128 s[12:15], s[4:5], 0x24
	s_load_b256 s[36:43], s[2:3], 0x0
	s_add_co_i32 s7, s7, 4
	s_wait_xcnt 0x0
	s_add_nc_u64 s[4:5], s[4:5], 48
	s_cmp_lg_u32 s0, s7
	s_add_nc_u64 s[2:3], s[2:3], 32
	s_wait_kmcnt 0x0
	v_mul_hi_u32 v3, s21, v5
	s_delay_alu instid0(VALU_DEP_1) | instskip(NEXT) | instid1(VALU_DEP_1)
	v_add_nc_u32_e32 v3, v5, v3
	v_lshrrev_b32_e32 v3, s22, v3
	s_wait_loadcnt 0x0
	s_delay_alu instid0(VALU_DEP_1) | instskip(NEXT) | instid1(VALU_DEP_1)
	v_mul_hi_u32 v7, s24, v3
	v_add_nc_u32_e32 v7, v3, v7
	s_delay_alu instid0(VALU_DEP_1) | instskip(NEXT) | instid1(VALU_DEP_1)
	v_lshrrev_b32_e32 v7, s25, v7
	v_mul_hi_u32 v8, s27, v7
	s_delay_alu instid0(VALU_DEP_1) | instskip(NEXT) | instid1(VALU_DEP_1)
	v_add_nc_u32_e32 v8, v7, v8
	v_lshrrev_b32_e32 v8, s12, v8
	v_mul_lo_u32 v11, v3, s20
	s_delay_alu instid0(VALU_DEP_2) | instskip(NEXT) | instid1(VALU_DEP_2)
	v_mul_hi_u32 v13, s14, v8
	v_sub_nc_u32_e32 v5, v5, v11
	s_delay_alu instid0(VALU_DEP_1) | instskip(SKIP_1) | instid1(VALU_DEP_4)
	v_mad_u32 v10, v5, s37, v10
	v_mad_u32 v2, v5, s36, v2
	v_add_nc_u32_e32 v5, v8, v13
	s_delay_alu instid0(VALU_DEP_1) | instskip(SKIP_1) | instid1(VALU_DEP_1)
	v_lshrrev_b32_e32 v5, s15, v5
	v_mul_lo_u32 v11, v7, s23
	v_sub_nc_u32_e32 v3, v3, v11
	v_mul_lo_u32 v11, v8, s26
	s_delay_alu instid0(VALU_DEP_2) | instskip(SKIP_1) | instid1(VALU_DEP_3)
	v_mad_u32 v10, v3, s39, v10
	v_mad_u32 v2, v3, s38, v2
	v_sub_nc_u32_e32 v3, v7, v11
	v_mul_lo_u32 v7, v5, s13
	s_delay_alu instid0(VALU_DEP_2) | instskip(NEXT) | instid1(VALU_DEP_4)
	v_mad_u32 v10, v3, s41, v10
	v_mad_u32 v2, v3, s40, v2
	s_delay_alu instid0(VALU_DEP_3) | instskip(NEXT) | instid1(VALU_DEP_1)
	v_sub_nc_u32_e32 v3, v8, v7
	v_mad_u32 v10, v3, s43, v10
	s_delay_alu instid0(VALU_DEP_3)
	v_mad_u32 v2, v3, s42, v2
	s_cbranch_scc1 .LBB388_1115
; %bb.1116:
	s_delay_alu instid0(VALU_DEP_2)
	v_mov_b32_e32 v3, v10
	s_and_b32 s4, s1, 3
	s_mov_b32 s1, 0
	s_cmp_eq_u32 s4, 0
	s_cbranch_scc0 .LBB388_1120
	s_branch .LBB388_1123
.LBB388_1117:
	s_mov_b32 s6, -1
                                        ; implicit-def: $vgpr10
                                        ; implicit-def: $vgpr2
	s_branch .LBB388_1123
.LBB388_1118:
	v_dual_mov_b32 v10, 0 :: v_dual_mov_b32 v2, 0
	s_branch .LBB388_1123
.LBB388_1119:
	v_mov_b64_e32 v[2:3], 0
	v_mov_b32_e32 v5, v0
	s_mov_b32 s0, 0
                                        ; implicit-def: $vgpr10
	s_and_b32 s4, s1, 3
	s_mov_b32 s1, 0
	s_cmp_eq_u32 s4, 0
	s_cbranch_scc1 .LBB388_1123
.LBB388_1120:
	s_lshl_b32 s2, s0, 3
	s_mov_b32 s3, s1
	s_mul_u64 s[10:11], s[0:1], 12
	s_add_nc_u64 s[2:3], s[16:17], s[2:3]
	s_delay_alu instid0(SALU_CYCLE_1)
	s_add_nc_u64 s[0:1], s[2:3], 0xc4
	s_add_nc_u64 s[2:3], s[16:17], s[10:11]
.LBB388_1121:                           ; =>This Inner Loop Header: Depth=1
	s_load_b96 s[12:14], s[2:3], 0x4
	s_load_b64 s[10:11], s[0:1], 0x0
	s_add_co_i32 s4, s4, -1
	s_wait_xcnt 0x0
	s_add_nc_u64 s[2:3], s[2:3], 12
	s_cmp_lg_u32 s4, 0
	s_add_nc_u64 s[0:1], s[0:1], 8
	s_wait_loadcnt 0x0
	s_wait_kmcnt 0x0
	v_mul_hi_u32 v7, s13, v5
	s_delay_alu instid0(VALU_DEP_1) | instskip(NEXT) | instid1(VALU_DEP_1)
	v_add_nc_u32_e32 v7, v5, v7
	v_lshrrev_b32_e32 v7, s14, v7
	s_delay_alu instid0(VALU_DEP_1) | instskip(NEXT) | instid1(VALU_DEP_1)
	v_mul_lo_u32 v8, v7, s12
	v_sub_nc_u32_e32 v5, v5, v8
	s_delay_alu instid0(VALU_DEP_1)
	v_mad_u32 v3, v5, s11, v3
	v_mad_u32 v2, v5, s10, v2
	v_mov_b32_e32 v5, v7
	s_cbranch_scc1 .LBB388_1121
; %bb.1122:
	s_delay_alu instid0(VALU_DEP_3)
	v_mov_b32_e32 v10, v3
.LBB388_1123:
	s_and_not1_b32 vcc_lo, exec_lo, s6
	s_cbranch_vccnz .LBB388_1126
; %bb.1124:
	s_clause 0x1
	s_load_b96 s[0:2], s[16:17], 0x4
	s_load_b64 s[4:5], s[16:17], 0xc4
	s_cmp_lt_u32 s33, 2
	s_wait_kmcnt 0x0
	v_mul_hi_u32 v2, s1, v0
	s_delay_alu instid0(VALU_DEP_1) | instskip(NEXT) | instid1(VALU_DEP_1)
	v_add_nc_u32_e32 v2, v0, v2
	v_lshrrev_b32_e32 v3, s2, v2
	s_delay_alu instid0(VALU_DEP_1) | instskip(NEXT) | instid1(VALU_DEP_1)
	v_mul_lo_u32 v2, v3, s0
	v_sub_nc_u32_e32 v0, v0, v2
	s_delay_alu instid0(VALU_DEP_1)
	v_mul_lo_u32 v10, v0, s5
	v_mul_lo_u32 v2, v0, s4
	s_cbranch_scc1 .LBB388_1126
; %bb.1125:
	s_clause 0x1
	s_load_b96 s[0:2], s[16:17], 0x10
	s_load_b64 s[4:5], s[16:17], 0xcc
	s_wait_kmcnt 0x0
	v_mul_hi_u32 v0, s1, v3
	s_delay_alu instid0(VALU_DEP_1) | instskip(NEXT) | instid1(VALU_DEP_1)
	v_add_nc_u32_e32 v0, v3, v0
	v_lshrrev_b32_e32 v0, s2, v0
	s_delay_alu instid0(VALU_DEP_1) | instskip(NEXT) | instid1(VALU_DEP_1)
	v_mul_lo_u32 v0, v0, s0
	v_sub_nc_u32_e32 v0, v3, v0
	s_delay_alu instid0(VALU_DEP_1)
	v_mad_u32 v2, v0, s4, v2
	v_mad_u32 v10, v0, s5, v10
.LBB388_1126:
	v_cmp_ne_u32_e32 vcc_lo, 1, v1
	s_cbranch_vccnz .LBB388_1132
; %bb.1127:
	s_cmp_lg_u32 s33, 0
	s_mov_b32 s6, 0
	s_cbranch_scc0 .LBB388_1133
; %bb.1128:
	s_min_u32 s1, s34, 15
	s_delay_alu instid0(SALU_CYCLE_1)
	s_add_co_i32 s1, s1, 1
	s_cmp_eq_u32 s34, 2
	s_cbranch_scc1 .LBB388_1134
; %bb.1129:
	v_dual_mov_b32 v0, 0 :: v_dual_mov_b32 v8, 0
	v_mov_b32_e32 v3, v9
	s_and_b32 s0, s1, 28
	s_add_nc_u64 s[2:3], s[16:17], 0xc4
	s_mov_b32 s7, 0
	s_mov_b64 s[4:5], s[16:17]
.LBB388_1130:                           ; =>This Inner Loop Header: Depth=1
	s_clause 0x1
	s_load_b256 s[20:27], s[4:5], 0x4
	s_load_b128 s[12:15], s[4:5], 0x24
	s_load_b256 s[36:43], s[2:3], 0x0
	s_add_co_i32 s7, s7, 4
	s_wait_xcnt 0x0
	s_add_nc_u64 s[4:5], s[4:5], 48
	s_cmp_lg_u32 s0, s7
	s_add_nc_u64 s[2:3], s[2:3], 32
	s_wait_kmcnt 0x0
	v_mul_hi_u32 v1, s21, v3
	s_delay_alu instid0(VALU_DEP_1) | instskip(NEXT) | instid1(VALU_DEP_1)
	v_add_nc_u32_e32 v1, v3, v1
	v_lshrrev_b32_e32 v1, s22, v1
	s_delay_alu instid0(VALU_DEP_1) | instskip(NEXT) | instid1(VALU_DEP_1)
	v_mul_lo_u32 v11, v1, s20
	v_sub_nc_u32_e32 v3, v3, v11
	v_mul_hi_u32 v5, s24, v1
	s_delay_alu instid0(VALU_DEP_2) | instskip(SKIP_1) | instid1(VALU_DEP_3)
	v_mad_u32 v8, v3, s37, v8
	v_mad_u32 v0, v3, s36, v0
	v_add_nc_u32_e32 v5, v1, v5
	s_delay_alu instid0(VALU_DEP_1) | instskip(NEXT) | instid1(VALU_DEP_1)
	v_lshrrev_b32_e32 v5, s25, v5
	v_mul_lo_u32 v11, v5, s23
	s_delay_alu instid0(VALU_DEP_1) | instskip(SKIP_2) | instid1(VALU_DEP_2)
	v_sub_nc_u32_e32 v1, v1, v11
	s_wait_loadcnt 0x0
	v_mul_hi_u32 v7, s27, v5
	v_mad_u32 v8, v1, s39, v8
	v_mad_u32 v0, v1, s38, v0
	s_delay_alu instid0(VALU_DEP_3) | instskip(NEXT) | instid1(VALU_DEP_1)
	v_add_nc_u32_e32 v7, v5, v7
	v_lshrrev_b32_e32 v7, s12, v7
	s_delay_alu instid0(VALU_DEP_1) | instskip(SKIP_1) | instid1(VALU_DEP_1)
	v_mul_hi_u32 v13, s14, v7
	v_mul_lo_u32 v11, v7, s26
	v_dual_add_nc_u32 v3, v7, v13 :: v_dual_sub_nc_u32 v1, v5, v11
	s_delay_alu instid0(VALU_DEP_1) | instskip(NEXT) | instid1(VALU_DEP_2)
	v_lshrrev_b32_e32 v3, s15, v3
	v_mad_u32 v8, v1, s41, v8
	v_mad_u32 v0, v1, s40, v0
	s_delay_alu instid0(VALU_DEP_3) | instskip(NEXT) | instid1(VALU_DEP_1)
	v_mul_lo_u32 v5, v3, s13
	v_sub_nc_u32_e32 v1, v7, v5
	s_delay_alu instid0(VALU_DEP_1) | instskip(NEXT) | instid1(VALU_DEP_4)
	v_mad_u32 v8, v1, s43, v8
	v_mad_u32 v0, v1, s42, v0
	s_cbranch_scc1 .LBB388_1130
; %bb.1131:
	s_delay_alu instid0(VALU_DEP_2)
	v_mov_b32_e32 v1, v8
	s_and_b32 s4, s1, 3
	s_mov_b32 s1, 0
	s_cmp_eq_u32 s4, 0
	s_cbranch_scc0 .LBB388_1135
	s_branch .LBB388_1138
.LBB388_1132:
	s_mov_b32 s6, -1
                                        ; implicit-def: $vgpr8
                                        ; implicit-def: $vgpr0
	s_branch .LBB388_1138
.LBB388_1133:
	v_dual_mov_b32 v8, 0 :: v_dual_mov_b32 v0, 0
	s_branch .LBB388_1138
.LBB388_1134:
	v_mov_b64_e32 v[0:1], 0
	v_mov_b32_e32 v3, v9
	s_mov_b32 s0, 0
                                        ; implicit-def: $vgpr8
	s_and_b32 s4, s1, 3
	s_mov_b32 s1, 0
	s_cmp_eq_u32 s4, 0
	s_cbranch_scc1 .LBB388_1138
.LBB388_1135:
	s_lshl_b32 s2, s0, 3
	s_mov_b32 s3, s1
	s_mul_u64 s[10:11], s[0:1], 12
	s_add_nc_u64 s[2:3], s[16:17], s[2:3]
	s_delay_alu instid0(SALU_CYCLE_1)
	s_add_nc_u64 s[0:1], s[2:3], 0xc4
	s_add_nc_u64 s[2:3], s[16:17], s[10:11]
.LBB388_1136:                           ; =>This Inner Loop Header: Depth=1
	s_load_b96 s[12:14], s[2:3], 0x4
	s_load_b64 s[10:11], s[0:1], 0x0
	s_add_co_i32 s4, s4, -1
	s_wait_xcnt 0x0
	s_add_nc_u64 s[2:3], s[2:3], 12
	s_cmp_lg_u32 s4, 0
	s_add_nc_u64 s[0:1], s[0:1], 8
	s_wait_kmcnt 0x0
	v_mul_hi_u32 v5, s13, v3
	s_delay_alu instid0(VALU_DEP_1) | instskip(NEXT) | instid1(VALU_DEP_1)
	v_add_nc_u32_e32 v5, v3, v5
	v_lshrrev_b32_e32 v5, s14, v5
	s_wait_loadcnt 0x0
	s_delay_alu instid0(VALU_DEP_1) | instskip(NEXT) | instid1(VALU_DEP_1)
	v_mul_lo_u32 v7, v5, s12
	v_sub_nc_u32_e32 v3, v3, v7
	s_delay_alu instid0(VALU_DEP_1)
	v_mad_u32 v1, v3, s11, v1
	v_mad_u32 v0, v3, s10, v0
	v_mov_b32_e32 v3, v5
	s_cbranch_scc1 .LBB388_1136
; %bb.1137:
	s_delay_alu instid0(VALU_DEP_3)
	v_mov_b32_e32 v8, v1
.LBB388_1138:
	s_and_not1_b32 vcc_lo, exec_lo, s6
	s_cbranch_vccnz .LBB388_1141
; %bb.1139:
	s_clause 0x1
	s_load_b96 s[0:2], s[16:17], 0x4
	s_load_b64 s[4:5], s[16:17], 0xc4
	s_cmp_lt_u32 s33, 2
	s_wait_kmcnt 0x0
	v_mul_hi_u32 v0, s1, v9
	s_delay_alu instid0(VALU_DEP_1) | instskip(NEXT) | instid1(VALU_DEP_1)
	v_add_nc_u32_e32 v0, v9, v0
	v_lshrrev_b32_e32 v1, s2, v0
	s_delay_alu instid0(VALU_DEP_1) | instskip(NEXT) | instid1(VALU_DEP_1)
	v_mul_lo_u32 v0, v1, s0
	v_sub_nc_u32_e32 v0, v9, v0
	s_delay_alu instid0(VALU_DEP_1)
	v_mul_lo_u32 v8, v0, s5
	v_mul_lo_u32 v0, v0, s4
	s_cbranch_scc1 .LBB388_1141
; %bb.1140:
	s_clause 0x1
	s_load_b96 s[0:2], s[16:17], 0x10
	s_load_b64 s[4:5], s[16:17], 0xcc
	s_wait_kmcnt 0x0
	v_mul_hi_u32 v3, s1, v1
	s_delay_alu instid0(VALU_DEP_1) | instskip(NEXT) | instid1(VALU_DEP_1)
	v_add_nc_u32_e32 v3, v1, v3
	v_lshrrev_b32_e32 v3, s2, v3
	s_delay_alu instid0(VALU_DEP_1) | instskip(NEXT) | instid1(VALU_DEP_1)
	v_mul_lo_u32 v3, v3, s0
	v_sub_nc_u32_e32 v1, v1, v3
	s_delay_alu instid0(VALU_DEP_1)
	v_mad_u32 v0, v1, s4, v0
	v_mad_u32 v8, v1, s5, v8
.LBB388_1141:
	v_mov_b32_e32 v15, 0
	s_load_b128 s[4:7], s[16:17], 0x148
	global_load_u8 v1, v15, s[16:17] offset:353
	s_wait_kmcnt 0x0
	v_add_nc_u64_e32 v[16:17], s[6:7], v[14:15]
	s_wait_loadcnt 0x0
	v_and_b32_e32 v3, 0xffff, v1
	v_readfirstlane_b32 s0, v1
	s_delay_alu instid0(VALU_DEP_2)
	v_cmp_gt_i32_e32 vcc_lo, 11, v3
	s_cbranch_vccnz .LBB388_1148
; %bb.1142:
	s_and_b32 s1, 0xffff, s0
	s_mov_b32 s3, 0
	s_cmp_gt_i32 s1, 25
	s_cbranch_scc0 .LBB388_1150
; %bb.1143:
	s_cmp_gt_i32 s1, 28
	s_cbranch_scc0 .LBB388_1151
; %bb.1144:
	;; [unrolled: 3-line block ×4, first 2 shown]
	s_cmp_eq_u32 s1, 46
	s_mov_b32 s11, 0
	s_cbranch_scc0 .LBB388_1156
; %bb.1147:
	global_load_b32 v1, v[16:17], off
	s_mov_b32 s2, 0
	s_mov_b32 s10, -1
	s_wait_loadcnt 0x0
	v_lshlrev_b32_e32 v1, 16, v1
	s_delay_alu instid0(VALU_DEP_1)
	v_cvt_i32_f32_e32 v14, v1
	s_branch .LBB388_1158
.LBB388_1148:
	s_mov_b32 s10, 0
	s_mov_b32 s1, s8
                                        ; implicit-def: $vgpr14
	s_cbranch_execnz .LBB388_1216
.LBB388_1149:
	s_and_not1_b32 vcc_lo, exec_lo, s10
	s_cbranch_vccz .LBB388_1261
	s_branch .LBB388_2072
.LBB388_1150:
	s_mov_b32 s10, 0
	s_mov_b32 s2, 0
                                        ; implicit-def: $vgpr14
	s_cbranch_execnz .LBB388_1183
	s_branch .LBB388_1212
.LBB388_1151:
	s_mov_b32 s10, 0
	s_mov_b32 s2, 0
                                        ; implicit-def: $vgpr14
	s_cbranch_execz .LBB388_1182
	s_branch .LBB388_1167
.LBB388_1152:
	s_mov_b32 s10, 0
	s_mov_b32 s2, 0
                                        ; implicit-def: $vgpr14
	s_cbranch_execnz .LBB388_1163
	s_branch .LBB388_1166
.LBB388_1153:
	s_mov_b32 s11, -1
	s_mov_b32 s10, 0
	s_mov_b32 s2, 0
	s_branch .LBB388_1157
.LBB388_1154:
	s_and_not1_saveexec_b32 s5, s5
	s_cbranch_execz .LBB388_993
.LBB388_1155:
	v_add_f32_e32 v2, 0x46000000, v3
	s_and_not1_b32 s4, s4, exec_lo
	s_delay_alu instid0(VALU_DEP_1) | instskip(NEXT) | instid1(VALU_DEP_1)
	v_and_b32_e32 v2, 0xff, v2
	v_cmp_ne_u32_e32 vcc_lo, 0, v2
	s_and_b32 s9, vcc_lo, exec_lo
	s_delay_alu instid0(SALU_CYCLE_1)
	s_or_b32 s4, s4, s9
	s_or_b32 exec_lo, exec_lo, s5
	v_mov_b32_e32 v4, 0
	s_and_saveexec_b32 s5, s4
	s_cbranch_execnz .LBB388_994
	s_branch .LBB388_995
.LBB388_1156:
	s_mov_b32 s2, -1
	s_mov_b32 s10, 0
.LBB388_1157:
                                        ; implicit-def: $vgpr14
.LBB388_1158:
	s_and_b32 vcc_lo, exec_lo, s11
	s_cbranch_vccz .LBB388_1161
; %bb.1159:
	s_cmp_eq_u32 s1, 44
	s_cbranch_scc0 .LBB388_1162
; %bb.1160:
	global_load_u8 v1, v[16:17], off
	s_mov_b32 s2, 0
	s_mov_b32 s10, -1
	s_wait_loadcnt 0x0
	v_lshlrev_b32_e32 v3, 23, v1
	v_cmp_ne_u32_e32 vcc_lo, 0, v1
	s_delay_alu instid0(VALU_DEP_2) | instskip(NEXT) | instid1(VALU_DEP_1)
	v_cvt_i32_f32_e32 v3, v3
	v_cndmask_b32_e32 v14, 0, v3, vcc_lo
.LBB388_1161:
	s_branch .LBB388_1166
.LBB388_1162:
	s_mov_b32 s2, -1
                                        ; implicit-def: $vgpr14
	s_branch .LBB388_1166
.LBB388_1163:
	s_cmp_eq_u32 s1, 29
	s_cbranch_scc0 .LBB388_1165
; %bb.1164:
	global_load_b64 v[14:15], v[16:17], off
	s_mov_b32 s2, 0
	s_mov_b32 s10, -1
	s_branch .LBB388_1166
.LBB388_1165:
	s_mov_b32 s2, -1
                                        ; implicit-def: $vgpr14
.LBB388_1166:
	s_branch .LBB388_1182
.LBB388_1167:
	s_cmp_lt_i32 s1, 27
	s_cbranch_scc1 .LBB388_1170
; %bb.1168:
	s_cmp_gt_i32 s1, 27
	s_cbranch_scc0 .LBB388_1171
; %bb.1169:
	s_wait_loadcnt 0x0
	global_load_b32 v14, v[16:17], off
	s_mov_b32 s10, 0
	s_branch .LBB388_1172
.LBB388_1170:
	s_mov_b32 s10, -1
                                        ; implicit-def: $vgpr14
	s_branch .LBB388_1175
.LBB388_1171:
	s_mov_b32 s10, -1
                                        ; implicit-def: $vgpr14
.LBB388_1172:
	s_delay_alu instid0(SALU_CYCLE_1)
	s_and_not1_b32 vcc_lo, exec_lo, s10
	s_cbranch_vccnz .LBB388_1174
; %bb.1173:
	s_wait_loadcnt 0x0
	global_load_u16 v14, v[16:17], off
.LBB388_1174:
	s_mov_b32 s10, 0
.LBB388_1175:
	s_delay_alu instid0(SALU_CYCLE_1)
	s_and_not1_b32 vcc_lo, exec_lo, s10
	s_cbranch_vccnz .LBB388_1181
; %bb.1176:
	global_load_u8 v1, v[16:17], off
	s_mov_b32 s11, 0
	s_mov_b32 s10, exec_lo
	s_wait_loadcnt 0x0
	v_cmpx_lt_i16_e32 0x7f, v1
	s_xor_b32 s10, exec_lo, s10
	s_cbranch_execz .LBB388_1192
; %bb.1177:
	v_cmp_ne_u16_e32 vcc_lo, 0x80, v1
	s_and_b32 s11, vcc_lo, exec_lo
	s_and_not1_saveexec_b32 s10, s10
	s_cbranch_execnz .LBB388_1193
.LBB388_1178:
	s_or_b32 exec_lo, exec_lo, s10
	v_mov_b32_e32 v14, 0
	s_and_saveexec_b32 s10, s11
	s_cbranch_execz .LBB388_1180
.LBB388_1179:
	v_and_b32_e32 v3, 0xffff, v1
	s_delay_alu instid0(VALU_DEP_1) | instskip(SKIP_1) | instid1(VALU_DEP_2)
	v_dual_lshlrev_b32 v1, 24, v1 :: v_dual_bitop2_b32 v5, 7, v3 bitop3:0x40
	v_bfe_u32 v11, v3, 3, 4
	v_and_b32_e32 v1, 0x80000000, v1
	s_delay_alu instid0(VALU_DEP_3) | instskip(NEXT) | instid1(VALU_DEP_3)
	v_clz_i32_u32_e32 v7, v5
	v_cmp_eq_u32_e32 vcc_lo, 0, v11
	s_delay_alu instid0(VALU_DEP_2) | instskip(NEXT) | instid1(VALU_DEP_1)
	v_min_u32_e32 v7, 32, v7
	v_subrev_nc_u32_e32 v9, 28, v7
	v_sub_nc_u32_e32 v7, 29, v7
	s_delay_alu instid0(VALU_DEP_2) | instskip(NEXT) | instid1(VALU_DEP_2)
	v_lshlrev_b32_e32 v3, v9, v3
	v_cndmask_b32_e32 v7, v11, v7, vcc_lo
	s_delay_alu instid0(VALU_DEP_2) | instskip(NEXT) | instid1(VALU_DEP_1)
	v_and_b32_e32 v3, 7, v3
	v_cndmask_b32_e32 v3, v5, v3, vcc_lo
	s_delay_alu instid0(VALU_DEP_3) | instskip(NEXT) | instid1(VALU_DEP_2)
	v_lshl_add_u32 v5, v7, 23, 0x3b800000
	v_lshlrev_b32_e32 v3, 20, v3
	s_delay_alu instid0(VALU_DEP_1) | instskip(NEXT) | instid1(VALU_DEP_1)
	v_or3_b32 v1, v1, v5, v3
	v_cvt_i32_f32_e32 v14, v1
.LBB388_1180:
	s_or_b32 exec_lo, exec_lo, s10
.LBB388_1181:
	s_mov_b32 s10, -1
.LBB388_1182:
	s_branch .LBB388_1212
.LBB388_1183:
	s_cmp_gt_i32 s1, 22
	s_cbranch_scc0 .LBB388_1191
; %bb.1184:
	s_cmp_lt_i32 s1, 24
	s_cbranch_scc1 .LBB388_1194
; %bb.1185:
	s_cmp_gt_i32 s1, 24
	s_cbranch_scc0 .LBB388_1195
; %bb.1186:
	global_load_u8 v1, v[16:17], off
	s_mov_b32 s10, 0
	s_mov_b32 s3, exec_lo
	s_wait_loadcnt 0x0
	v_cmpx_lt_i16_e32 0x7f, v1
	s_xor_b32 s3, exec_lo, s3
	s_cbranch_execz .LBB388_1206
; %bb.1187:
	v_cmp_ne_u16_e32 vcc_lo, 0x80, v1
	s_and_b32 s10, vcc_lo, exec_lo
	s_and_not1_saveexec_b32 s3, s3
	s_cbranch_execnz .LBB388_1207
.LBB388_1188:
	s_or_b32 exec_lo, exec_lo, s3
	v_mov_b32_e32 v14, 0
	s_and_saveexec_b32 s3, s10
	s_cbranch_execz .LBB388_1190
.LBB388_1189:
	v_and_b32_e32 v3, 0xffff, v1
	s_delay_alu instid0(VALU_DEP_1) | instskip(SKIP_1) | instid1(VALU_DEP_2)
	v_dual_lshlrev_b32 v1, 24, v1 :: v_dual_bitop2_b32 v5, 3, v3 bitop3:0x40
	v_bfe_u32 v11, v3, 2, 5
	v_and_b32_e32 v1, 0x80000000, v1
	s_delay_alu instid0(VALU_DEP_3) | instskip(NEXT) | instid1(VALU_DEP_3)
	v_clz_i32_u32_e32 v7, v5
	v_cmp_eq_u32_e32 vcc_lo, 0, v11
	s_delay_alu instid0(VALU_DEP_2) | instskip(NEXT) | instid1(VALU_DEP_1)
	v_min_u32_e32 v7, 32, v7
	v_subrev_nc_u32_e32 v9, 29, v7
	v_sub_nc_u32_e32 v7, 30, v7
	s_delay_alu instid0(VALU_DEP_2) | instskip(NEXT) | instid1(VALU_DEP_2)
	v_lshlrev_b32_e32 v3, v9, v3
	v_cndmask_b32_e32 v7, v11, v7, vcc_lo
	s_delay_alu instid0(VALU_DEP_2) | instskip(NEXT) | instid1(VALU_DEP_1)
	v_and_b32_e32 v3, 3, v3
	v_cndmask_b32_e32 v3, v5, v3, vcc_lo
	s_delay_alu instid0(VALU_DEP_3) | instskip(NEXT) | instid1(VALU_DEP_2)
	v_lshl_add_u32 v5, v7, 23, 0x37800000
	v_lshlrev_b32_e32 v3, 21, v3
	s_delay_alu instid0(VALU_DEP_1) | instskip(NEXT) | instid1(VALU_DEP_1)
	v_or3_b32 v1, v1, v5, v3
	v_cvt_i32_f32_e32 v14, v1
.LBB388_1190:
	s_or_b32 exec_lo, exec_lo, s3
	s_mov_b32 s3, 0
	s_branch .LBB388_1196
.LBB388_1191:
                                        ; implicit-def: $vgpr14
	s_mov_b32 s3, 0
	s_branch .LBB388_1202
.LBB388_1192:
	s_and_not1_saveexec_b32 s10, s10
	s_cbranch_execz .LBB388_1178
.LBB388_1193:
	v_cmp_ne_u16_e32 vcc_lo, 0, v1
	s_and_not1_b32 s11, s11, exec_lo
	s_and_b32 s12, vcc_lo, exec_lo
	s_delay_alu instid0(SALU_CYCLE_1)
	s_or_b32 s11, s11, s12
	s_or_b32 exec_lo, exec_lo, s10
	v_mov_b32_e32 v14, 0
	s_and_saveexec_b32 s10, s11
	s_cbranch_execnz .LBB388_1179
	s_branch .LBB388_1180
.LBB388_1194:
	s_mov_b32 s3, -1
                                        ; implicit-def: $vgpr14
	s_branch .LBB388_1199
.LBB388_1195:
	s_mov_b32 s3, -1
                                        ; implicit-def: $vgpr14
.LBB388_1196:
	s_delay_alu instid0(SALU_CYCLE_1)
	s_and_b32 vcc_lo, exec_lo, s3
	s_cbranch_vccz .LBB388_1198
; %bb.1197:
	global_load_u8 v1, v[16:17], off
	s_wait_loadcnt 0x0
	v_lshlrev_b32_e32 v1, 24, v1
	s_delay_alu instid0(VALU_DEP_1) | instskip(NEXT) | instid1(VALU_DEP_1)
	v_and_b32_e32 v3, 0x7f000000, v1
	v_clz_i32_u32_e32 v5, v3
	v_add_nc_u32_e32 v9, 0x1000000, v3
	v_cmp_ne_u32_e32 vcc_lo, 0, v3
	s_delay_alu instid0(VALU_DEP_3) | instskip(NEXT) | instid1(VALU_DEP_1)
	v_min_u32_e32 v5, 32, v5
	v_sub_nc_u32_e64 v5, v5, 4 clamp
	s_delay_alu instid0(VALU_DEP_1) | instskip(NEXT) | instid1(VALU_DEP_1)
	v_dual_lshlrev_b32 v7, v5, v3 :: v_dual_lshlrev_b32 v5, 23, v5
	v_lshrrev_b32_e32 v7, 4, v7
	s_delay_alu instid0(VALU_DEP_1) | instskip(SKIP_1) | instid1(VALU_DEP_2)
	v_sub_nc_u32_e32 v5, v7, v5
	v_ashrrev_i32_e32 v7, 8, v9
	v_add_nc_u32_e32 v5, 0x3c000000, v5
	s_delay_alu instid0(VALU_DEP_1) | instskip(NEXT) | instid1(VALU_DEP_1)
	v_and_or_b32 v5, 0x7f800000, v7, v5
	v_cndmask_b32_e32 v3, 0, v5, vcc_lo
	s_delay_alu instid0(VALU_DEP_1) | instskip(NEXT) | instid1(VALU_DEP_1)
	v_and_or_b32 v1, 0x80000000, v1, v3
	v_cvt_i32_f32_e32 v14, v1
.LBB388_1198:
	s_mov_b32 s3, 0
.LBB388_1199:
	s_delay_alu instid0(SALU_CYCLE_1)
	s_and_not1_b32 vcc_lo, exec_lo, s3
	s_cbranch_vccnz .LBB388_1201
; %bb.1200:
	global_load_u8 v1, v[16:17], off
	s_wait_loadcnt 0x0
	v_lshlrev_b32_e32 v3, 25, v1
	v_lshlrev_b16 v1, 8, v1
	s_delay_alu instid0(VALU_DEP_1) | instskip(SKIP_1) | instid1(VALU_DEP_2)
	v_and_or_b32 v7, 0x7f00, v1, 0.5
	v_bfe_i32 v1, v1, 0, 16
	v_add_f32_e32 v7, -0.5, v7
	v_lshrrev_b32_e32 v5, 4, v3
	v_cmp_gt_u32_e32 vcc_lo, 0x8000000, v3
	s_delay_alu instid0(VALU_DEP_2) | instskip(NEXT) | instid1(VALU_DEP_1)
	v_or_b32_e32 v5, 0x70000000, v5
	v_mul_f32_e32 v5, 0x7800000, v5
	s_delay_alu instid0(VALU_DEP_1) | instskip(NEXT) | instid1(VALU_DEP_1)
	v_cndmask_b32_e32 v3, v5, v7, vcc_lo
	v_and_or_b32 v1, 0x80000000, v1, v3
	s_delay_alu instid0(VALU_DEP_1)
	v_cvt_i32_f32_e32 v14, v1
.LBB388_1201:
	s_mov_b32 s10, -1
	s_mov_b32 s3, 0
	s_cbranch_execnz .LBB388_1212
.LBB388_1202:
	s_cmp_gt_i32 s1, 14
	s_cbranch_scc0 .LBB388_1205
; %bb.1203:
	s_cmp_eq_u32 s1, 15
	s_cbranch_scc0 .LBB388_1208
; %bb.1204:
	global_load_u16 v1, v[16:17], off
	s_mov_b32 s2, 0
	s_mov_b32 s10, -1
	s_wait_loadcnt 0x0
	v_lshlrev_b32_e32 v1, 16, v1
	s_delay_alu instid0(VALU_DEP_1)
	v_cvt_i32_f32_e32 v14, v1
	s_branch .LBB388_1210
.LBB388_1205:
	s_mov_b32 s3, -1
	s_branch .LBB388_1209
.LBB388_1206:
	s_and_not1_saveexec_b32 s3, s3
	s_cbranch_execz .LBB388_1188
.LBB388_1207:
	v_cmp_ne_u16_e32 vcc_lo, 0, v1
	s_and_not1_b32 s10, s10, exec_lo
	s_and_b32 s11, vcc_lo, exec_lo
	s_delay_alu instid0(SALU_CYCLE_1)
	s_or_b32 s10, s10, s11
	s_or_b32 exec_lo, exec_lo, s3
	v_mov_b32_e32 v14, 0
	s_and_saveexec_b32 s3, s10
	s_cbranch_execnz .LBB388_1189
	s_branch .LBB388_1190
.LBB388_1208:
	s_mov_b32 s2, -1
.LBB388_1209:
                                        ; implicit-def: $vgpr14
.LBB388_1210:
	s_and_b32 vcc_lo, exec_lo, s3
	s_mov_b32 s3, 0
	s_cbranch_vccz .LBB388_1212
; %bb.1211:
	s_cmp_lg_u32 s1, 11
	s_mov_b32 s3, -1
	s_cselect_b32 s2, -1, 0
.LBB388_1212:
	s_delay_alu instid0(SALU_CYCLE_1)
	s_and_b32 vcc_lo, exec_lo, s2
	s_mov_b32 s1, s8
	s_cbranch_vccnz .LBB388_1273
; %bb.1213:
	s_and_not1_b32 vcc_lo, exec_lo, s3
	s_cbranch_vccnz .LBB388_1215
.LBB388_1214:
	global_load_u8 v1, v[16:17], off
	s_mov_b32 s10, -1
	s_wait_loadcnt 0x0
	v_cmp_ne_u16_e32 vcc_lo, 0, v1
	v_cndmask_b32_e64 v14, 0, 1, vcc_lo
.LBB388_1215:
	s_branch .LBB388_1149
.LBB388_1216:
	s_and_b32 s2, 0xffff, s0
	s_delay_alu instid0(SALU_CYCLE_1)
	s_cmp_lt_i32 s2, 5
	s_cbranch_scc1 .LBB388_1221
; %bb.1217:
	s_cmp_lt_i32 s2, 8
	s_cbranch_scc1 .LBB388_1222
; %bb.1218:
	;; [unrolled: 3-line block ×3, first 2 shown]
	s_cmp_gt_i32 s2, 9
	s_cbranch_scc0 .LBB388_1224
; %bb.1220:
	s_wait_loadcnt 0x0
	global_load_b64 v[14:15], v[16:17], off
	s_mov_b32 s3, 0
	s_wait_loadcnt 0x0
	v_cvt_i32_f64_e32 v14, v[14:15]
	s_branch .LBB388_1225
.LBB388_1221:
                                        ; implicit-def: $vgpr14
	s_branch .LBB388_1242
.LBB388_1222:
                                        ; implicit-def: $vgpr14
	s_branch .LBB388_1231
.LBB388_1223:
	s_mov_b32 s3, -1
                                        ; implicit-def: $vgpr14
	s_branch .LBB388_1228
.LBB388_1224:
	s_mov_b32 s3, -1
                                        ; implicit-def: $vgpr14
.LBB388_1225:
	s_delay_alu instid0(SALU_CYCLE_1)
	s_and_not1_b32 vcc_lo, exec_lo, s3
	s_cbranch_vccnz .LBB388_1227
; %bb.1226:
	global_load_b32 v1, v[16:17], off
	s_wait_loadcnt 0x0
	v_cvt_i32_f32_e32 v14, v1
.LBB388_1227:
	s_mov_b32 s3, 0
.LBB388_1228:
	s_delay_alu instid0(SALU_CYCLE_1)
	s_and_not1_b32 vcc_lo, exec_lo, s3
	s_cbranch_vccnz .LBB388_1230
; %bb.1229:
	global_load_b32 v1, v[16:17], off
	s_wait_loadcnt 0x0
	v_cvt_i16_f16_e32 v14, v1
.LBB388_1230:
	s_cbranch_execnz .LBB388_1241
.LBB388_1231:
	s_cmp_lt_i32 s2, 6
	s_cbranch_scc1 .LBB388_1234
; %bb.1232:
	s_cmp_gt_i32 s2, 6
	s_cbranch_scc0 .LBB388_1235
; %bb.1233:
	s_wait_loadcnt 0x0
	global_load_b64 v[14:15], v[16:17], off
	s_mov_b32 s3, 0
	s_wait_loadcnt 0x0
	v_cvt_i32_f64_e32 v14, v[14:15]
	s_branch .LBB388_1236
.LBB388_1234:
	s_mov_b32 s3, -1
                                        ; implicit-def: $vgpr14
	s_branch .LBB388_1239
.LBB388_1235:
	s_mov_b32 s3, -1
                                        ; implicit-def: $vgpr14
.LBB388_1236:
	s_delay_alu instid0(SALU_CYCLE_1)
	s_and_not1_b32 vcc_lo, exec_lo, s3
	s_cbranch_vccnz .LBB388_1238
; %bb.1237:
	global_load_b32 v1, v[16:17], off
	s_wait_loadcnt 0x0
	v_cvt_i32_f32_e32 v14, v1
.LBB388_1238:
	s_mov_b32 s3, 0
.LBB388_1239:
	s_delay_alu instid0(SALU_CYCLE_1)
	s_and_not1_b32 vcc_lo, exec_lo, s3
	s_cbranch_vccnz .LBB388_1241
; %bb.1240:
	global_load_u16 v1, v[16:17], off
	s_wait_loadcnt 0x0
	v_cvt_i16_f16_e32 v14, v1
.LBB388_1241:
	s_cbranch_execnz .LBB388_1260
.LBB388_1242:
	s_cmp_lt_i32 s2, 2
	s_cbranch_scc1 .LBB388_1246
; %bb.1243:
	s_cmp_lt_i32 s2, 3
	s_cbranch_scc1 .LBB388_1247
; %bb.1244:
	s_cmp_gt_i32 s2, 3
	s_cbranch_scc0 .LBB388_1248
; %bb.1245:
	s_wait_loadcnt 0x0
	global_load_b64 v[14:15], v[16:17], off
	s_mov_b32 s3, 0
	s_branch .LBB388_1249
.LBB388_1246:
                                        ; implicit-def: $vgpr14
	s_branch .LBB388_1255
.LBB388_1247:
	s_mov_b32 s3, -1
                                        ; implicit-def: $vgpr14
	s_branch .LBB388_1252
.LBB388_1248:
	s_mov_b32 s3, -1
                                        ; implicit-def: $vgpr14
.LBB388_1249:
	s_delay_alu instid0(SALU_CYCLE_1)
	s_and_not1_b32 vcc_lo, exec_lo, s3
	s_cbranch_vccnz .LBB388_1251
; %bb.1250:
	s_wait_loadcnt 0x0
	global_load_b32 v14, v[16:17], off
.LBB388_1251:
	s_mov_b32 s3, 0
.LBB388_1252:
	s_delay_alu instid0(SALU_CYCLE_1)
	s_and_not1_b32 vcc_lo, exec_lo, s3
	s_cbranch_vccnz .LBB388_1254
; %bb.1253:
	s_wait_loadcnt 0x0
	global_load_u16 v14, v[16:17], off
.LBB388_1254:
	s_cbranch_execnz .LBB388_1260
.LBB388_1255:
	s_cmp_gt_i32 s2, 0
	s_mov_b32 s2, 0
	s_cbranch_scc0 .LBB388_1257
; %bb.1256:
	s_wait_loadcnt 0x0
	global_load_u8 v14, v[16:17], off
	s_branch .LBB388_1258
.LBB388_1257:
	s_mov_b32 s2, -1
                                        ; implicit-def: $vgpr14
.LBB388_1258:
	s_delay_alu instid0(SALU_CYCLE_1)
	s_and_not1_b32 vcc_lo, exec_lo, s2
	s_cbranch_vccnz .LBB388_1260
; %bb.1259:
	s_wait_loadcnt 0x0
	global_load_u8 v14, v[16:17], off
.LBB388_1260:
.LBB388_1261:
	v_mov_b32_e32 v13, 0
	s_and_b32 s0, 0xffff, s0
	s_delay_alu instid0(SALU_CYCLE_1) | instskip(SKIP_1) | instid1(VALU_DEP_1)
	s_cmp_lt_i32 s0, 11
	s_wait_xcnt 0x0
	v_add_nc_u64_e32 v[16:17], s[6:7], v[12:13]
	s_cbranch_scc1 .LBB388_1268
; %bb.1262:
	s_cmp_gt_i32 s0, 25
	s_mov_b32 s3, 0
	s_cbranch_scc0 .LBB388_1270
; %bb.1263:
	s_cmp_gt_i32 s0, 28
	s_cbranch_scc0 .LBB388_1271
; %bb.1264:
	s_cmp_gt_i32 s0, 43
	;; [unrolled: 3-line block ×3, first 2 shown]
	s_cbranch_scc0 .LBB388_1274
; %bb.1266:
	s_cmp_eq_u32 s0, 46
	s_mov_b32 s11, 0
	s_cbranch_scc0 .LBB388_1277
; %bb.1267:
	global_load_b32 v1, v[16:17], off
	s_mov_b32 s2, 0
	s_mov_b32 s10, -1
	s_wait_loadcnt 0x0
	v_lshlrev_b32_e32 v1, 16, v1
	s_delay_alu instid0(VALU_DEP_1)
	v_cvt_i32_f32_e32 v12, v1
	s_branch .LBB388_1279
.LBB388_1268:
	s_mov_b32 s10, 0
                                        ; implicit-def: $vgpr12
	s_cbranch_execnz .LBB388_1340
.LBB388_1269:
	s_and_not1_b32 vcc_lo, exec_lo, s10
	s_cbranch_vccnz .LBB388_2072
	s_branch .LBB388_1387
.LBB388_1270:
	s_mov_b32 s10, 0
	s_mov_b32 s2, 0
                                        ; implicit-def: $vgpr12
	s_cbranch_execnz .LBB388_1306
	s_branch .LBB388_1336
.LBB388_1271:
	s_mov_b32 s11, -1
	s_mov_b32 s10, 0
	s_mov_b32 s2, 0
                                        ; implicit-def: $vgpr12
	s_branch .LBB388_1289
.LBB388_1272:
	s_mov_b32 s11, -1
	s_mov_b32 s10, 0
	s_mov_b32 s2, 0
                                        ; implicit-def: $vgpr12
	s_branch .LBB388_1284
.LBB388_1273:
	s_or_b32 s1, s8, exec_lo
	s_trap 2
	s_cbranch_execz .LBB388_1214
	s_branch .LBB388_1215
.LBB388_1274:
	s_mov_b32 s11, -1
	s_mov_b32 s10, 0
	s_mov_b32 s2, 0
	s_branch .LBB388_1278
.LBB388_1275:
	s_and_not1_saveexec_b32 s9, s9
	s_cbranch_execz .LBB388_1005
.LBB388_1276:
	v_add_f32_e32 v2, 0x42800000, v3
	s_and_not1_b32 s5, s5, exec_lo
	s_delay_alu instid0(VALU_DEP_1) | instskip(NEXT) | instid1(VALU_DEP_1)
	v_and_b32_e32 v2, 0xff, v2
	v_cmp_ne_u32_e32 vcc_lo, 0, v2
	s_and_b32 s11, vcc_lo, exec_lo
	s_delay_alu instid0(SALU_CYCLE_1)
	s_or_b32 s5, s5, s11
	s_or_b32 exec_lo, exec_lo, s9
	v_mov_b32_e32 v4, 0
	s_and_saveexec_b32 s9, s5
	s_cbranch_execnz .LBB388_1006
	s_branch .LBB388_1007
.LBB388_1277:
	s_mov_b32 s2, -1
	s_mov_b32 s10, 0
.LBB388_1278:
                                        ; implicit-def: $vgpr12
.LBB388_1279:
	s_and_b32 vcc_lo, exec_lo, s11
	s_cbranch_vccz .LBB388_1283
; %bb.1280:
	s_cmp_eq_u32 s0, 44
	s_cbranch_scc0 .LBB388_1282
; %bb.1281:
	global_load_u8 v1, v[16:17], off
	s_mov_b32 s2, 0
	s_mov_b32 s10, -1
	s_wait_loadcnt 0x0
	v_lshlrev_b32_e32 v3, 23, v1
	v_cmp_ne_u32_e32 vcc_lo, 0, v1
	s_delay_alu instid0(VALU_DEP_2) | instskip(NEXT) | instid1(VALU_DEP_1)
	v_cvt_i32_f32_e32 v3, v3
	v_cndmask_b32_e32 v12, 0, v3, vcc_lo
	s_branch .LBB388_1283
.LBB388_1282:
	s_mov_b32 s2, -1
                                        ; implicit-def: $vgpr12
.LBB388_1283:
	s_mov_b32 s11, 0
.LBB388_1284:
	s_delay_alu instid0(SALU_CYCLE_1)
	s_and_b32 vcc_lo, exec_lo, s11
	s_cbranch_vccz .LBB388_1288
; %bb.1285:
	s_cmp_eq_u32 s0, 29
	s_cbranch_scc0 .LBB388_1287
; %bb.1286:
	global_load_b64 v[12:13], v[16:17], off
	s_mov_b32 s2, 0
	s_mov_b32 s10, -1
	s_branch .LBB388_1288
.LBB388_1287:
	s_mov_b32 s2, -1
                                        ; implicit-def: $vgpr12
.LBB388_1288:
	s_mov_b32 s11, 0
.LBB388_1289:
	s_delay_alu instid0(SALU_CYCLE_1)
	s_and_b32 vcc_lo, exec_lo, s11
	s_cbranch_vccz .LBB388_1305
; %bb.1290:
	s_cmp_lt_i32 s0, 27
	s_cbranch_scc1 .LBB388_1293
; %bb.1291:
	s_cmp_gt_i32 s0, 27
	s_cbranch_scc0 .LBB388_1294
; %bb.1292:
	s_wait_loadcnt 0x0
	global_load_b32 v12, v[16:17], off
	s_mov_b32 s10, 0
	s_branch .LBB388_1295
.LBB388_1293:
	s_mov_b32 s10, -1
                                        ; implicit-def: $vgpr12
	s_branch .LBB388_1298
.LBB388_1294:
	s_mov_b32 s10, -1
                                        ; implicit-def: $vgpr12
.LBB388_1295:
	s_delay_alu instid0(SALU_CYCLE_1)
	s_and_not1_b32 vcc_lo, exec_lo, s10
	s_cbranch_vccnz .LBB388_1297
; %bb.1296:
	s_wait_loadcnt 0x0
	global_load_u16 v12, v[16:17], off
.LBB388_1297:
	s_mov_b32 s10, 0
.LBB388_1298:
	s_delay_alu instid0(SALU_CYCLE_1)
	s_and_not1_b32 vcc_lo, exec_lo, s10
	s_cbranch_vccnz .LBB388_1304
; %bb.1299:
	global_load_u8 v1, v[16:17], off
	s_mov_b32 s11, 0
	s_mov_b32 s10, exec_lo
	s_wait_loadcnt 0x0
	v_cmpx_lt_i16_e32 0x7f, v1
	s_xor_b32 s10, exec_lo, s10
	s_cbranch_execz .LBB388_1315
; %bb.1300:
	v_cmp_ne_u16_e32 vcc_lo, 0x80, v1
	s_and_b32 s11, vcc_lo, exec_lo
	s_and_not1_saveexec_b32 s10, s10
	s_cbranch_execnz .LBB388_1316
.LBB388_1301:
	s_or_b32 exec_lo, exec_lo, s10
	v_mov_b32_e32 v12, 0
	s_and_saveexec_b32 s10, s11
	s_cbranch_execz .LBB388_1303
.LBB388_1302:
	v_and_b32_e32 v3, 0xffff, v1
	s_delay_alu instid0(VALU_DEP_1) | instskip(SKIP_1) | instid1(VALU_DEP_2)
	v_dual_lshlrev_b32 v1, 24, v1 :: v_dual_bitop2_b32 v5, 7, v3 bitop3:0x40
	v_bfe_u32 v11, v3, 3, 4
	v_and_b32_e32 v1, 0x80000000, v1
	s_delay_alu instid0(VALU_DEP_3) | instskip(NEXT) | instid1(VALU_DEP_3)
	v_clz_i32_u32_e32 v7, v5
	v_cmp_eq_u32_e32 vcc_lo, 0, v11
	s_delay_alu instid0(VALU_DEP_2) | instskip(NEXT) | instid1(VALU_DEP_1)
	v_min_u32_e32 v7, 32, v7
	v_subrev_nc_u32_e32 v9, 28, v7
	v_sub_nc_u32_e32 v7, 29, v7
	s_delay_alu instid0(VALU_DEP_2) | instskip(NEXT) | instid1(VALU_DEP_2)
	v_lshlrev_b32_e32 v3, v9, v3
	v_cndmask_b32_e32 v7, v11, v7, vcc_lo
	s_delay_alu instid0(VALU_DEP_2) | instskip(NEXT) | instid1(VALU_DEP_1)
	v_and_b32_e32 v3, 7, v3
	v_cndmask_b32_e32 v3, v5, v3, vcc_lo
	s_delay_alu instid0(VALU_DEP_3) | instskip(NEXT) | instid1(VALU_DEP_2)
	v_lshl_add_u32 v5, v7, 23, 0x3b800000
	v_lshlrev_b32_e32 v3, 20, v3
	s_delay_alu instid0(VALU_DEP_1) | instskip(NEXT) | instid1(VALU_DEP_1)
	v_or3_b32 v1, v1, v5, v3
	v_cvt_i32_f32_e32 v12, v1
.LBB388_1303:
	s_or_b32 exec_lo, exec_lo, s10
.LBB388_1304:
	s_mov_b32 s10, -1
.LBB388_1305:
	s_branch .LBB388_1336
.LBB388_1306:
	s_cmp_gt_i32 s0, 22
	s_cbranch_scc0 .LBB388_1314
; %bb.1307:
	s_cmp_lt_i32 s0, 24
	s_cbranch_scc1 .LBB388_1317
; %bb.1308:
	s_cmp_gt_i32 s0, 24
	s_cbranch_scc0 .LBB388_1318
; %bb.1309:
	global_load_u8 v1, v[16:17], off
	s_mov_b32 s10, 0
	s_mov_b32 s3, exec_lo
	s_wait_loadcnt 0x0
	v_cmpx_lt_i16_e32 0x7f, v1
	s_xor_b32 s3, exec_lo, s3
	s_cbranch_execz .LBB388_1330
; %bb.1310:
	v_cmp_ne_u16_e32 vcc_lo, 0x80, v1
	s_and_b32 s10, vcc_lo, exec_lo
	s_and_not1_saveexec_b32 s3, s3
	s_cbranch_execnz .LBB388_1331
.LBB388_1311:
	s_or_b32 exec_lo, exec_lo, s3
	v_mov_b32_e32 v12, 0
	s_and_saveexec_b32 s3, s10
	s_cbranch_execz .LBB388_1313
.LBB388_1312:
	v_and_b32_e32 v3, 0xffff, v1
	s_delay_alu instid0(VALU_DEP_1) | instskip(SKIP_1) | instid1(VALU_DEP_2)
	v_dual_lshlrev_b32 v1, 24, v1 :: v_dual_bitop2_b32 v5, 3, v3 bitop3:0x40
	v_bfe_u32 v11, v3, 2, 5
	v_and_b32_e32 v1, 0x80000000, v1
	s_delay_alu instid0(VALU_DEP_3) | instskip(NEXT) | instid1(VALU_DEP_3)
	v_clz_i32_u32_e32 v7, v5
	v_cmp_eq_u32_e32 vcc_lo, 0, v11
	s_delay_alu instid0(VALU_DEP_2) | instskip(NEXT) | instid1(VALU_DEP_1)
	v_min_u32_e32 v7, 32, v7
	v_subrev_nc_u32_e32 v9, 29, v7
	v_sub_nc_u32_e32 v7, 30, v7
	s_delay_alu instid0(VALU_DEP_2) | instskip(NEXT) | instid1(VALU_DEP_2)
	v_lshlrev_b32_e32 v3, v9, v3
	v_cndmask_b32_e32 v7, v11, v7, vcc_lo
	s_delay_alu instid0(VALU_DEP_2) | instskip(NEXT) | instid1(VALU_DEP_1)
	v_and_b32_e32 v3, 3, v3
	v_cndmask_b32_e32 v3, v5, v3, vcc_lo
	s_delay_alu instid0(VALU_DEP_3) | instskip(NEXT) | instid1(VALU_DEP_2)
	v_lshl_add_u32 v5, v7, 23, 0x37800000
	v_lshlrev_b32_e32 v3, 21, v3
	s_delay_alu instid0(VALU_DEP_1) | instskip(NEXT) | instid1(VALU_DEP_1)
	v_or3_b32 v1, v1, v5, v3
	v_cvt_i32_f32_e32 v12, v1
.LBB388_1313:
	s_or_b32 exec_lo, exec_lo, s3
	s_mov_b32 s3, 0
	s_branch .LBB388_1319
.LBB388_1314:
	s_mov_b32 s3, -1
                                        ; implicit-def: $vgpr12
	s_branch .LBB388_1325
.LBB388_1315:
	s_and_not1_saveexec_b32 s10, s10
	s_cbranch_execz .LBB388_1301
.LBB388_1316:
	v_cmp_ne_u16_e32 vcc_lo, 0, v1
	s_and_not1_b32 s11, s11, exec_lo
	s_and_b32 s12, vcc_lo, exec_lo
	s_delay_alu instid0(SALU_CYCLE_1)
	s_or_b32 s11, s11, s12
	s_or_b32 exec_lo, exec_lo, s10
	v_mov_b32_e32 v12, 0
	s_and_saveexec_b32 s10, s11
	s_cbranch_execnz .LBB388_1302
	s_branch .LBB388_1303
.LBB388_1317:
	s_mov_b32 s3, -1
                                        ; implicit-def: $vgpr12
	s_branch .LBB388_1322
.LBB388_1318:
	s_mov_b32 s3, -1
                                        ; implicit-def: $vgpr12
.LBB388_1319:
	s_delay_alu instid0(SALU_CYCLE_1)
	s_and_b32 vcc_lo, exec_lo, s3
	s_cbranch_vccz .LBB388_1321
; %bb.1320:
	global_load_u8 v1, v[16:17], off
	s_wait_loadcnt 0x0
	v_lshlrev_b32_e32 v1, 24, v1
	s_delay_alu instid0(VALU_DEP_1) | instskip(NEXT) | instid1(VALU_DEP_1)
	v_and_b32_e32 v3, 0x7f000000, v1
	v_clz_i32_u32_e32 v5, v3
	v_add_nc_u32_e32 v9, 0x1000000, v3
	v_cmp_ne_u32_e32 vcc_lo, 0, v3
	s_delay_alu instid0(VALU_DEP_3) | instskip(NEXT) | instid1(VALU_DEP_1)
	v_min_u32_e32 v5, 32, v5
	v_sub_nc_u32_e64 v5, v5, 4 clamp
	s_delay_alu instid0(VALU_DEP_1) | instskip(NEXT) | instid1(VALU_DEP_1)
	v_dual_lshlrev_b32 v7, v5, v3 :: v_dual_lshlrev_b32 v5, 23, v5
	v_lshrrev_b32_e32 v7, 4, v7
	s_delay_alu instid0(VALU_DEP_1) | instskip(SKIP_1) | instid1(VALU_DEP_2)
	v_sub_nc_u32_e32 v5, v7, v5
	v_ashrrev_i32_e32 v7, 8, v9
	v_add_nc_u32_e32 v5, 0x3c000000, v5
	s_delay_alu instid0(VALU_DEP_1) | instskip(NEXT) | instid1(VALU_DEP_1)
	v_and_or_b32 v5, 0x7f800000, v7, v5
	v_cndmask_b32_e32 v3, 0, v5, vcc_lo
	s_delay_alu instid0(VALU_DEP_1) | instskip(NEXT) | instid1(VALU_DEP_1)
	v_and_or_b32 v1, 0x80000000, v1, v3
	v_cvt_i32_f32_e32 v12, v1
.LBB388_1321:
	s_mov_b32 s3, 0
.LBB388_1322:
	s_delay_alu instid0(SALU_CYCLE_1)
	s_and_not1_b32 vcc_lo, exec_lo, s3
	s_cbranch_vccnz .LBB388_1324
; %bb.1323:
	global_load_u8 v1, v[16:17], off
	s_wait_loadcnt 0x0
	v_lshlrev_b32_e32 v3, 25, v1
	v_lshlrev_b16 v1, 8, v1
	s_delay_alu instid0(VALU_DEP_1) | instskip(SKIP_1) | instid1(VALU_DEP_2)
	v_and_or_b32 v7, 0x7f00, v1, 0.5
	v_bfe_i32 v1, v1, 0, 16
	v_add_f32_e32 v7, -0.5, v7
	v_lshrrev_b32_e32 v5, 4, v3
	v_cmp_gt_u32_e32 vcc_lo, 0x8000000, v3
	s_delay_alu instid0(VALU_DEP_2) | instskip(NEXT) | instid1(VALU_DEP_1)
	v_or_b32_e32 v5, 0x70000000, v5
	v_mul_f32_e32 v5, 0x7800000, v5
	s_delay_alu instid0(VALU_DEP_1) | instskip(NEXT) | instid1(VALU_DEP_1)
	v_cndmask_b32_e32 v3, v5, v7, vcc_lo
	v_and_or_b32 v1, 0x80000000, v1, v3
	s_delay_alu instid0(VALU_DEP_1)
	v_cvt_i32_f32_e32 v12, v1
.LBB388_1324:
	s_mov_b32 s3, 0
	s_mov_b32 s10, -1
.LBB388_1325:
	s_and_not1_b32 vcc_lo, exec_lo, s3
	s_mov_b32 s3, 0
	s_cbranch_vccnz .LBB388_1336
; %bb.1326:
	s_cmp_gt_i32 s0, 14
	s_cbranch_scc0 .LBB388_1329
; %bb.1327:
	s_cmp_eq_u32 s0, 15
	s_cbranch_scc0 .LBB388_1332
; %bb.1328:
	global_load_u16 v1, v[16:17], off
	s_mov_b32 s2, 0
	s_mov_b32 s10, -1
	s_wait_loadcnt 0x0
	v_lshlrev_b32_e32 v1, 16, v1
	s_delay_alu instid0(VALU_DEP_1)
	v_cvt_i32_f32_e32 v12, v1
	s_branch .LBB388_1334
.LBB388_1329:
	s_mov_b32 s3, -1
	s_branch .LBB388_1333
.LBB388_1330:
	s_and_not1_saveexec_b32 s3, s3
	s_cbranch_execz .LBB388_1311
.LBB388_1331:
	v_cmp_ne_u16_e32 vcc_lo, 0, v1
	s_and_not1_b32 s10, s10, exec_lo
	s_and_b32 s11, vcc_lo, exec_lo
	s_delay_alu instid0(SALU_CYCLE_1)
	s_or_b32 s10, s10, s11
	s_or_b32 exec_lo, exec_lo, s3
	v_mov_b32_e32 v12, 0
	s_and_saveexec_b32 s3, s10
	s_cbranch_execnz .LBB388_1312
	s_branch .LBB388_1313
.LBB388_1332:
	s_mov_b32 s2, -1
.LBB388_1333:
                                        ; implicit-def: $vgpr12
.LBB388_1334:
	s_and_b32 vcc_lo, exec_lo, s3
	s_mov_b32 s3, 0
	s_cbranch_vccz .LBB388_1336
; %bb.1335:
	s_cmp_lg_u32 s0, 11
	s_mov_b32 s3, -1
	s_cselect_b32 s2, -1, 0
.LBB388_1336:
	s_delay_alu instid0(SALU_CYCLE_1)
	s_and_b32 vcc_lo, exec_lo, s2
	s_cbranch_vccnz .LBB388_1399
; %bb.1337:
	s_and_not1_b32 vcc_lo, exec_lo, s3
	s_cbranch_vccnz .LBB388_1339
.LBB388_1338:
	global_load_u8 v1, v[16:17], off
	s_mov_b32 s10, -1
	s_wait_loadcnt 0x0
	v_cmp_ne_u16_e32 vcc_lo, 0, v1
	v_cndmask_b32_e64 v12, 0, 1, vcc_lo
.LBB388_1339:
	s_branch .LBB388_1269
.LBB388_1340:
	s_cmp_lt_i32 s0, 5
	s_cbranch_scc1 .LBB388_1345
; %bb.1341:
	s_cmp_lt_i32 s0, 8
	s_cbranch_scc1 .LBB388_1346
; %bb.1342:
	;; [unrolled: 3-line block ×3, first 2 shown]
	s_cmp_gt_i32 s0, 9
	s_cbranch_scc0 .LBB388_1348
; %bb.1344:
	s_wait_loadcnt 0x0
	global_load_b64 v[12:13], v[16:17], off
	s_mov_b32 s2, 0
	s_wait_loadcnt 0x0
	v_cvt_i32_f64_e32 v12, v[12:13]
	s_branch .LBB388_1349
.LBB388_1345:
                                        ; implicit-def: $vgpr12
	s_branch .LBB388_1367
.LBB388_1346:
	s_mov_b32 s2, -1
                                        ; implicit-def: $vgpr12
	s_branch .LBB388_1355
.LBB388_1347:
	s_mov_b32 s2, -1
                                        ; implicit-def: $vgpr12
	s_branch .LBB388_1352
.LBB388_1348:
	s_mov_b32 s2, -1
                                        ; implicit-def: $vgpr12
.LBB388_1349:
	s_delay_alu instid0(SALU_CYCLE_1)
	s_and_not1_b32 vcc_lo, exec_lo, s2
	s_cbranch_vccnz .LBB388_1351
; %bb.1350:
	global_load_b32 v1, v[16:17], off
	s_wait_loadcnt 0x0
	v_cvt_i32_f32_e32 v12, v1
.LBB388_1351:
	s_mov_b32 s2, 0
.LBB388_1352:
	s_delay_alu instid0(SALU_CYCLE_1)
	s_and_not1_b32 vcc_lo, exec_lo, s2
	s_cbranch_vccnz .LBB388_1354
; %bb.1353:
	global_load_b32 v1, v[16:17], off
	s_wait_loadcnt 0x0
	v_cvt_i16_f16_e32 v12, v1
.LBB388_1354:
	s_mov_b32 s2, 0
.LBB388_1355:
	s_delay_alu instid0(SALU_CYCLE_1)
	s_and_not1_b32 vcc_lo, exec_lo, s2
	s_cbranch_vccnz .LBB388_1366
; %bb.1356:
	s_cmp_lt_i32 s0, 6
	s_cbranch_scc1 .LBB388_1359
; %bb.1357:
	s_cmp_gt_i32 s0, 6
	s_cbranch_scc0 .LBB388_1360
; %bb.1358:
	s_wait_loadcnt 0x0
	global_load_b64 v[12:13], v[16:17], off
	s_mov_b32 s2, 0
	s_wait_loadcnt 0x0
	v_cvt_i32_f64_e32 v12, v[12:13]
	s_branch .LBB388_1361
.LBB388_1359:
	s_mov_b32 s2, -1
                                        ; implicit-def: $vgpr12
	s_branch .LBB388_1364
.LBB388_1360:
	s_mov_b32 s2, -1
                                        ; implicit-def: $vgpr12
.LBB388_1361:
	s_delay_alu instid0(SALU_CYCLE_1)
	s_and_not1_b32 vcc_lo, exec_lo, s2
	s_cbranch_vccnz .LBB388_1363
; %bb.1362:
	global_load_b32 v1, v[16:17], off
	s_wait_loadcnt 0x0
	v_cvt_i32_f32_e32 v12, v1
.LBB388_1363:
	s_mov_b32 s2, 0
.LBB388_1364:
	s_delay_alu instid0(SALU_CYCLE_1)
	s_and_not1_b32 vcc_lo, exec_lo, s2
	s_cbranch_vccnz .LBB388_1366
; %bb.1365:
	global_load_u16 v1, v[16:17], off
	s_wait_loadcnt 0x0
	v_cvt_i16_f16_e32 v12, v1
.LBB388_1366:
	s_cbranch_execnz .LBB388_1386
.LBB388_1367:
	s_cmp_lt_i32 s0, 2
	s_cbranch_scc1 .LBB388_1371
; %bb.1368:
	s_cmp_lt_i32 s0, 3
	s_cbranch_scc1 .LBB388_1372
; %bb.1369:
	s_cmp_gt_i32 s0, 3
	s_cbranch_scc0 .LBB388_1373
; %bb.1370:
	s_wait_loadcnt 0x0
	global_load_b64 v[12:13], v[16:17], off
	s_mov_b32 s2, 0
	s_branch .LBB388_1374
.LBB388_1371:
	s_mov_b32 s2, -1
                                        ; implicit-def: $vgpr12
	s_branch .LBB388_1380
.LBB388_1372:
	s_mov_b32 s2, -1
                                        ; implicit-def: $vgpr12
	s_branch .LBB388_1377
.LBB388_1373:
	s_mov_b32 s2, -1
                                        ; implicit-def: $vgpr12
.LBB388_1374:
	s_delay_alu instid0(SALU_CYCLE_1)
	s_and_not1_b32 vcc_lo, exec_lo, s2
	s_cbranch_vccnz .LBB388_1376
; %bb.1375:
	s_wait_loadcnt 0x0
	global_load_b32 v12, v[16:17], off
.LBB388_1376:
	s_mov_b32 s2, 0
.LBB388_1377:
	s_delay_alu instid0(SALU_CYCLE_1)
	s_and_not1_b32 vcc_lo, exec_lo, s2
	s_cbranch_vccnz .LBB388_1379
; %bb.1378:
	s_wait_loadcnt 0x0
	global_load_u16 v12, v[16:17], off
.LBB388_1379:
	s_mov_b32 s2, 0
.LBB388_1380:
	s_delay_alu instid0(SALU_CYCLE_1)
	s_and_not1_b32 vcc_lo, exec_lo, s2
	s_cbranch_vccnz .LBB388_1386
; %bb.1381:
	s_cmp_gt_i32 s0, 0
	s_mov_b32 s2, 0
	s_cbranch_scc0 .LBB388_1383
; %bb.1382:
	s_wait_loadcnt 0x0
	global_load_u8 v12, v[16:17], off
	s_branch .LBB388_1384
.LBB388_1383:
	s_mov_b32 s2, -1
                                        ; implicit-def: $vgpr12
.LBB388_1384:
	s_delay_alu instid0(SALU_CYCLE_1)
	s_and_not1_b32 vcc_lo, exec_lo, s2
	s_cbranch_vccnz .LBB388_1386
; %bb.1385:
	s_wait_loadcnt 0x0
	global_load_u8 v12, v[16:17], off
.LBB388_1386:
.LBB388_1387:
	v_mov_b32_e32 v11, 0
	s_cmp_lt_i32 s0, 11
	s_wait_xcnt 0x0
	s_delay_alu instid0(VALU_DEP_1)
	v_add_nc_u64_e32 v[16:17], s[6:7], v[10:11]
	s_cbranch_scc1 .LBB388_1394
; %bb.1388:
	s_cmp_gt_i32 s0, 25
	s_mov_b32 s3, 0
	s_cbranch_scc0 .LBB388_1396
; %bb.1389:
	s_cmp_gt_i32 s0, 28
	s_cbranch_scc0 .LBB388_1397
; %bb.1390:
	s_cmp_gt_i32 s0, 43
	;; [unrolled: 3-line block ×3, first 2 shown]
	s_cbranch_scc0 .LBB388_1400
; %bb.1392:
	s_cmp_eq_u32 s0, 46
	s_mov_b32 s11, 0
	s_cbranch_scc0 .LBB388_1401
; %bb.1393:
	global_load_b32 v1, v[16:17], off
	s_mov_b32 s2, 0
	s_mov_b32 s10, -1
	s_wait_loadcnt 0x0
	v_lshlrev_b32_e32 v1, 16, v1
	s_delay_alu instid0(VALU_DEP_1)
	v_cvt_i32_f32_e32 v10, v1
	s_branch .LBB388_1403
.LBB388_1394:
	s_mov_b32 s10, 0
                                        ; implicit-def: $vgpr10
	s_cbranch_execnz .LBB388_1465
.LBB388_1395:
	s_and_not1_b32 vcc_lo, exec_lo, s10
	s_cbranch_vccnz .LBB388_2072
	s_branch .LBB388_1513
.LBB388_1396:
	s_mov_b32 s11, -1
	s_mov_b32 s10, 0
	s_mov_b32 s2, 0
                                        ; implicit-def: $vgpr10
	s_branch .LBB388_1430
.LBB388_1397:
	s_mov_b32 s11, -1
	s_mov_b32 s10, 0
	s_mov_b32 s2, 0
                                        ; implicit-def: $vgpr10
	s_branch .LBB388_1413
.LBB388_1398:
	s_mov_b32 s11, -1
	s_mov_b32 s10, 0
	s_mov_b32 s2, 0
                                        ; implicit-def: $vgpr10
	s_branch .LBB388_1408
.LBB388_1399:
	s_or_b32 s1, s1, exec_lo
	s_trap 2
	s_cbranch_execz .LBB388_1338
	s_branch .LBB388_1339
.LBB388_1400:
	s_mov_b32 s11, -1
	s_mov_b32 s10, 0
	s_mov_b32 s2, 0
	s_branch .LBB388_1402
.LBB388_1401:
	s_mov_b32 s2, -1
	s_mov_b32 s10, 0
.LBB388_1402:
                                        ; implicit-def: $vgpr10
.LBB388_1403:
	s_and_b32 vcc_lo, exec_lo, s11
	s_cbranch_vccz .LBB388_1407
; %bb.1404:
	s_cmp_eq_u32 s0, 44
	s_cbranch_scc0 .LBB388_1406
; %bb.1405:
	global_load_u8 v1, v[16:17], off
	s_mov_b32 s2, 0
	s_mov_b32 s10, -1
	s_wait_loadcnt 0x0
	v_lshlrev_b32_e32 v3, 23, v1
	v_cmp_ne_u32_e32 vcc_lo, 0, v1
	s_delay_alu instid0(VALU_DEP_2) | instskip(NEXT) | instid1(VALU_DEP_1)
	v_cvt_i32_f32_e32 v3, v3
	v_cndmask_b32_e32 v10, 0, v3, vcc_lo
	s_branch .LBB388_1407
.LBB388_1406:
	s_mov_b32 s2, -1
                                        ; implicit-def: $vgpr10
.LBB388_1407:
	s_mov_b32 s11, 0
.LBB388_1408:
	s_delay_alu instid0(SALU_CYCLE_1)
	s_and_b32 vcc_lo, exec_lo, s11
	s_cbranch_vccz .LBB388_1412
; %bb.1409:
	s_cmp_eq_u32 s0, 29
	s_cbranch_scc0 .LBB388_1411
; %bb.1410:
	global_load_b64 v[10:11], v[16:17], off
	s_mov_b32 s2, 0
	s_mov_b32 s10, -1
	s_branch .LBB388_1412
.LBB388_1411:
	s_mov_b32 s2, -1
                                        ; implicit-def: $vgpr10
.LBB388_1412:
	s_mov_b32 s11, 0
.LBB388_1413:
	s_delay_alu instid0(SALU_CYCLE_1)
	s_and_b32 vcc_lo, exec_lo, s11
	s_cbranch_vccz .LBB388_1429
; %bb.1414:
	s_cmp_lt_i32 s0, 27
	s_cbranch_scc1 .LBB388_1417
; %bb.1415:
	s_cmp_gt_i32 s0, 27
	s_cbranch_scc0 .LBB388_1418
; %bb.1416:
	s_wait_loadcnt 0x0
	global_load_b32 v10, v[16:17], off
	s_mov_b32 s10, 0
	s_branch .LBB388_1419
.LBB388_1417:
	s_mov_b32 s10, -1
                                        ; implicit-def: $vgpr10
	s_branch .LBB388_1422
.LBB388_1418:
	s_mov_b32 s10, -1
                                        ; implicit-def: $vgpr10
.LBB388_1419:
	s_delay_alu instid0(SALU_CYCLE_1)
	s_and_not1_b32 vcc_lo, exec_lo, s10
	s_cbranch_vccnz .LBB388_1421
; %bb.1420:
	s_wait_loadcnt 0x0
	global_load_u16 v10, v[16:17], off
.LBB388_1421:
	s_mov_b32 s10, 0
.LBB388_1422:
	s_delay_alu instid0(SALU_CYCLE_1)
	s_and_not1_b32 vcc_lo, exec_lo, s10
	s_cbranch_vccnz .LBB388_1428
; %bb.1423:
	global_load_u8 v1, v[16:17], off
	s_mov_b32 s11, 0
	s_mov_b32 s10, exec_lo
	s_wait_loadcnt 0x0
	v_cmpx_lt_i16_e32 0x7f, v1
	s_xor_b32 s10, exec_lo, s10
	s_cbranch_execz .LBB388_1440
; %bb.1424:
	v_cmp_ne_u16_e32 vcc_lo, 0x80, v1
	s_and_b32 s11, vcc_lo, exec_lo
	s_and_not1_saveexec_b32 s10, s10
	s_cbranch_execnz .LBB388_1441
.LBB388_1425:
	s_or_b32 exec_lo, exec_lo, s10
	v_mov_b32_e32 v10, 0
	s_and_saveexec_b32 s10, s11
	s_cbranch_execz .LBB388_1427
.LBB388_1426:
	v_and_b32_e32 v3, 0xffff, v1
	s_delay_alu instid0(VALU_DEP_1) | instskip(SKIP_1) | instid1(VALU_DEP_2)
	v_dual_lshlrev_b32 v1, 24, v1 :: v_dual_bitop2_b32 v5, 7, v3 bitop3:0x40
	v_bfe_u32 v10, v3, 3, 4
	v_and_b32_e32 v1, 0x80000000, v1
	s_delay_alu instid0(VALU_DEP_3) | instskip(NEXT) | instid1(VALU_DEP_3)
	v_clz_i32_u32_e32 v7, v5
	v_cmp_eq_u32_e32 vcc_lo, 0, v10
	s_delay_alu instid0(VALU_DEP_2) | instskip(NEXT) | instid1(VALU_DEP_1)
	v_min_u32_e32 v7, 32, v7
	v_subrev_nc_u32_e32 v9, 28, v7
	v_sub_nc_u32_e32 v7, 29, v7
	s_delay_alu instid0(VALU_DEP_2) | instskip(NEXT) | instid1(VALU_DEP_2)
	v_lshlrev_b32_e32 v3, v9, v3
	v_cndmask_b32_e32 v7, v10, v7, vcc_lo
	s_delay_alu instid0(VALU_DEP_2) | instskip(NEXT) | instid1(VALU_DEP_1)
	v_and_b32_e32 v3, 7, v3
	v_cndmask_b32_e32 v3, v5, v3, vcc_lo
	s_delay_alu instid0(VALU_DEP_3) | instskip(NEXT) | instid1(VALU_DEP_2)
	v_lshl_add_u32 v5, v7, 23, 0x3b800000
	v_lshlrev_b32_e32 v3, 20, v3
	s_delay_alu instid0(VALU_DEP_1) | instskip(NEXT) | instid1(VALU_DEP_1)
	v_or3_b32 v1, v1, v5, v3
	v_cvt_i32_f32_e32 v10, v1
.LBB388_1427:
	s_or_b32 exec_lo, exec_lo, s10
.LBB388_1428:
	s_mov_b32 s10, -1
.LBB388_1429:
	s_mov_b32 s11, 0
.LBB388_1430:
	s_delay_alu instid0(SALU_CYCLE_1)
	s_and_b32 vcc_lo, exec_lo, s11
	s_cbranch_vccz .LBB388_1461
; %bb.1431:
	s_cmp_gt_i32 s0, 22
	s_cbranch_scc0 .LBB388_1439
; %bb.1432:
	s_cmp_lt_i32 s0, 24
	s_cbranch_scc1 .LBB388_1442
; %bb.1433:
	s_cmp_gt_i32 s0, 24
	s_cbranch_scc0 .LBB388_1443
; %bb.1434:
	global_load_u8 v1, v[16:17], off
	s_mov_b32 s10, 0
	s_mov_b32 s3, exec_lo
	s_wait_loadcnt 0x0
	v_cmpx_lt_i16_e32 0x7f, v1
	s_xor_b32 s3, exec_lo, s3
	s_cbranch_execz .LBB388_1455
; %bb.1435:
	v_cmp_ne_u16_e32 vcc_lo, 0x80, v1
	s_and_b32 s10, vcc_lo, exec_lo
	s_and_not1_saveexec_b32 s3, s3
	s_cbranch_execnz .LBB388_1456
.LBB388_1436:
	s_or_b32 exec_lo, exec_lo, s3
	v_mov_b32_e32 v10, 0
	s_and_saveexec_b32 s3, s10
	s_cbranch_execz .LBB388_1438
.LBB388_1437:
	v_and_b32_e32 v3, 0xffff, v1
	s_delay_alu instid0(VALU_DEP_1) | instskip(SKIP_1) | instid1(VALU_DEP_2)
	v_dual_lshlrev_b32 v1, 24, v1 :: v_dual_bitop2_b32 v5, 3, v3 bitop3:0x40
	v_bfe_u32 v10, v3, 2, 5
	v_and_b32_e32 v1, 0x80000000, v1
	s_delay_alu instid0(VALU_DEP_3) | instskip(NEXT) | instid1(VALU_DEP_3)
	v_clz_i32_u32_e32 v7, v5
	v_cmp_eq_u32_e32 vcc_lo, 0, v10
	s_delay_alu instid0(VALU_DEP_2) | instskip(NEXT) | instid1(VALU_DEP_1)
	v_min_u32_e32 v7, 32, v7
	v_subrev_nc_u32_e32 v9, 29, v7
	v_sub_nc_u32_e32 v7, 30, v7
	s_delay_alu instid0(VALU_DEP_2) | instskip(NEXT) | instid1(VALU_DEP_2)
	v_lshlrev_b32_e32 v3, v9, v3
	v_cndmask_b32_e32 v7, v10, v7, vcc_lo
	s_delay_alu instid0(VALU_DEP_2) | instskip(NEXT) | instid1(VALU_DEP_1)
	v_and_b32_e32 v3, 3, v3
	v_cndmask_b32_e32 v3, v5, v3, vcc_lo
	s_delay_alu instid0(VALU_DEP_3) | instskip(NEXT) | instid1(VALU_DEP_2)
	v_lshl_add_u32 v5, v7, 23, 0x37800000
	v_lshlrev_b32_e32 v3, 21, v3
	s_delay_alu instid0(VALU_DEP_1) | instskip(NEXT) | instid1(VALU_DEP_1)
	v_or3_b32 v1, v1, v5, v3
	v_cvt_i32_f32_e32 v10, v1
.LBB388_1438:
	s_or_b32 exec_lo, exec_lo, s3
	s_mov_b32 s3, 0
	s_branch .LBB388_1444
.LBB388_1439:
	s_mov_b32 s3, -1
                                        ; implicit-def: $vgpr10
	s_branch .LBB388_1450
.LBB388_1440:
	s_and_not1_saveexec_b32 s10, s10
	s_cbranch_execz .LBB388_1425
.LBB388_1441:
	v_cmp_ne_u16_e32 vcc_lo, 0, v1
	s_and_not1_b32 s11, s11, exec_lo
	s_and_b32 s12, vcc_lo, exec_lo
	s_delay_alu instid0(SALU_CYCLE_1)
	s_or_b32 s11, s11, s12
	s_or_b32 exec_lo, exec_lo, s10
	v_mov_b32_e32 v10, 0
	s_and_saveexec_b32 s10, s11
	s_cbranch_execnz .LBB388_1426
	s_branch .LBB388_1427
.LBB388_1442:
	s_mov_b32 s3, -1
                                        ; implicit-def: $vgpr10
	s_branch .LBB388_1447
.LBB388_1443:
	s_mov_b32 s3, -1
                                        ; implicit-def: $vgpr10
.LBB388_1444:
	s_delay_alu instid0(SALU_CYCLE_1)
	s_and_b32 vcc_lo, exec_lo, s3
	s_cbranch_vccz .LBB388_1446
; %bb.1445:
	global_load_u8 v1, v[16:17], off
	s_wait_loadcnt 0x0
	v_lshlrev_b32_e32 v1, 24, v1
	s_delay_alu instid0(VALU_DEP_1) | instskip(NEXT) | instid1(VALU_DEP_1)
	v_and_b32_e32 v3, 0x7f000000, v1
	v_clz_i32_u32_e32 v5, v3
	v_add_nc_u32_e32 v9, 0x1000000, v3
	v_cmp_ne_u32_e32 vcc_lo, 0, v3
	s_delay_alu instid0(VALU_DEP_3) | instskip(NEXT) | instid1(VALU_DEP_1)
	v_min_u32_e32 v5, 32, v5
	v_sub_nc_u32_e64 v5, v5, 4 clamp
	s_delay_alu instid0(VALU_DEP_1) | instskip(NEXT) | instid1(VALU_DEP_1)
	v_dual_lshlrev_b32 v7, v5, v3 :: v_dual_lshlrev_b32 v5, 23, v5
	v_lshrrev_b32_e32 v7, 4, v7
	s_delay_alu instid0(VALU_DEP_1) | instskip(SKIP_1) | instid1(VALU_DEP_2)
	v_sub_nc_u32_e32 v5, v7, v5
	v_ashrrev_i32_e32 v7, 8, v9
	v_add_nc_u32_e32 v5, 0x3c000000, v5
	s_delay_alu instid0(VALU_DEP_1) | instskip(NEXT) | instid1(VALU_DEP_1)
	v_and_or_b32 v5, 0x7f800000, v7, v5
	v_cndmask_b32_e32 v3, 0, v5, vcc_lo
	s_delay_alu instid0(VALU_DEP_1) | instskip(NEXT) | instid1(VALU_DEP_1)
	v_and_or_b32 v1, 0x80000000, v1, v3
	v_cvt_i32_f32_e32 v10, v1
.LBB388_1446:
	s_mov_b32 s3, 0
.LBB388_1447:
	s_delay_alu instid0(SALU_CYCLE_1)
	s_and_not1_b32 vcc_lo, exec_lo, s3
	s_cbranch_vccnz .LBB388_1449
; %bb.1448:
	global_load_u8 v1, v[16:17], off
	s_wait_loadcnt 0x0
	v_lshlrev_b32_e32 v3, 25, v1
	v_lshlrev_b16 v1, 8, v1
	s_delay_alu instid0(VALU_DEP_1) | instskip(SKIP_1) | instid1(VALU_DEP_2)
	v_and_or_b32 v7, 0x7f00, v1, 0.5
	v_bfe_i32 v1, v1, 0, 16
	v_add_f32_e32 v7, -0.5, v7
	v_lshrrev_b32_e32 v5, 4, v3
	v_cmp_gt_u32_e32 vcc_lo, 0x8000000, v3
	s_delay_alu instid0(VALU_DEP_2) | instskip(NEXT) | instid1(VALU_DEP_1)
	v_or_b32_e32 v5, 0x70000000, v5
	v_mul_f32_e32 v5, 0x7800000, v5
	s_delay_alu instid0(VALU_DEP_1) | instskip(NEXT) | instid1(VALU_DEP_1)
	v_cndmask_b32_e32 v3, v5, v7, vcc_lo
	v_and_or_b32 v1, 0x80000000, v1, v3
	s_delay_alu instid0(VALU_DEP_1)
	v_cvt_i32_f32_e32 v10, v1
.LBB388_1449:
	s_mov_b32 s3, 0
	s_mov_b32 s10, -1
.LBB388_1450:
	s_and_not1_b32 vcc_lo, exec_lo, s3
	s_mov_b32 s3, 0
	s_cbranch_vccnz .LBB388_1461
; %bb.1451:
	s_cmp_gt_i32 s0, 14
	s_cbranch_scc0 .LBB388_1454
; %bb.1452:
	s_cmp_eq_u32 s0, 15
	s_cbranch_scc0 .LBB388_1457
; %bb.1453:
	global_load_u16 v1, v[16:17], off
	s_mov_b32 s2, 0
	s_mov_b32 s10, -1
	s_wait_loadcnt 0x0
	v_lshlrev_b32_e32 v1, 16, v1
	s_delay_alu instid0(VALU_DEP_1)
	v_cvt_i32_f32_e32 v10, v1
	s_branch .LBB388_1459
.LBB388_1454:
	s_mov_b32 s3, -1
	s_branch .LBB388_1458
.LBB388_1455:
	s_and_not1_saveexec_b32 s3, s3
	s_cbranch_execz .LBB388_1436
.LBB388_1456:
	v_cmp_ne_u16_e32 vcc_lo, 0, v1
	s_and_not1_b32 s10, s10, exec_lo
	s_and_b32 s11, vcc_lo, exec_lo
	s_delay_alu instid0(SALU_CYCLE_1)
	s_or_b32 s10, s10, s11
	s_or_b32 exec_lo, exec_lo, s3
	v_mov_b32_e32 v10, 0
	s_and_saveexec_b32 s3, s10
	s_cbranch_execnz .LBB388_1437
	s_branch .LBB388_1438
.LBB388_1457:
	s_mov_b32 s2, -1
.LBB388_1458:
                                        ; implicit-def: $vgpr10
.LBB388_1459:
	s_and_b32 vcc_lo, exec_lo, s3
	s_mov_b32 s3, 0
	s_cbranch_vccz .LBB388_1461
; %bb.1460:
	s_cmp_lg_u32 s0, 11
	s_mov_b32 s3, -1
	s_cselect_b32 s2, -1, 0
.LBB388_1461:
	s_delay_alu instid0(SALU_CYCLE_1)
	s_and_b32 vcc_lo, exec_lo, s2
	s_cbranch_vccnz .LBB388_1524
; %bb.1462:
	s_and_not1_b32 vcc_lo, exec_lo, s3
	s_cbranch_vccnz .LBB388_1464
.LBB388_1463:
	global_load_u8 v1, v[16:17], off
	s_mov_b32 s10, -1
	s_wait_loadcnt 0x0
	v_cmp_ne_u16_e32 vcc_lo, 0, v1
	v_cndmask_b32_e64 v10, 0, 1, vcc_lo
.LBB388_1464:
	s_branch .LBB388_1395
.LBB388_1465:
	s_cmp_lt_i32 s0, 5
	s_cbranch_scc1 .LBB388_1470
; %bb.1466:
	s_cmp_lt_i32 s0, 8
	s_cbranch_scc1 .LBB388_1471
; %bb.1467:
	;; [unrolled: 3-line block ×3, first 2 shown]
	s_cmp_gt_i32 s0, 9
	s_cbranch_scc0 .LBB388_1473
; %bb.1469:
	s_wait_loadcnt 0x0
	global_load_b64 v[10:11], v[16:17], off
	s_mov_b32 s2, 0
	s_wait_loadcnt 0x0
	v_cvt_i32_f64_e32 v10, v[10:11]
	s_branch .LBB388_1474
.LBB388_1470:
	s_mov_b32 s2, -1
                                        ; implicit-def: $vgpr10
	s_branch .LBB388_1492
.LBB388_1471:
	s_mov_b32 s2, -1
                                        ; implicit-def: $vgpr10
	s_branch .LBB388_1480
.LBB388_1472:
	s_mov_b32 s2, -1
                                        ; implicit-def: $vgpr10
	s_branch .LBB388_1477
.LBB388_1473:
	s_mov_b32 s2, -1
                                        ; implicit-def: $vgpr10
.LBB388_1474:
	s_delay_alu instid0(SALU_CYCLE_1)
	s_and_not1_b32 vcc_lo, exec_lo, s2
	s_cbranch_vccnz .LBB388_1476
; %bb.1475:
	global_load_b32 v1, v[16:17], off
	s_wait_loadcnt 0x0
	v_cvt_i32_f32_e32 v10, v1
.LBB388_1476:
	s_mov_b32 s2, 0
.LBB388_1477:
	s_delay_alu instid0(SALU_CYCLE_1)
	s_and_not1_b32 vcc_lo, exec_lo, s2
	s_cbranch_vccnz .LBB388_1479
; %bb.1478:
	global_load_b32 v1, v[16:17], off
	s_wait_loadcnt 0x0
	v_cvt_i16_f16_e32 v10, v1
.LBB388_1479:
	s_mov_b32 s2, 0
.LBB388_1480:
	s_delay_alu instid0(SALU_CYCLE_1)
	s_and_not1_b32 vcc_lo, exec_lo, s2
	s_cbranch_vccnz .LBB388_1491
; %bb.1481:
	s_cmp_lt_i32 s0, 6
	s_cbranch_scc1 .LBB388_1484
; %bb.1482:
	s_cmp_gt_i32 s0, 6
	s_cbranch_scc0 .LBB388_1485
; %bb.1483:
	s_wait_loadcnt 0x0
	global_load_b64 v[10:11], v[16:17], off
	s_mov_b32 s2, 0
	s_wait_loadcnt 0x0
	v_cvt_i32_f64_e32 v10, v[10:11]
	s_branch .LBB388_1486
.LBB388_1484:
	s_mov_b32 s2, -1
                                        ; implicit-def: $vgpr10
	s_branch .LBB388_1489
.LBB388_1485:
	s_mov_b32 s2, -1
                                        ; implicit-def: $vgpr10
.LBB388_1486:
	s_delay_alu instid0(SALU_CYCLE_1)
	s_and_not1_b32 vcc_lo, exec_lo, s2
	s_cbranch_vccnz .LBB388_1488
; %bb.1487:
	global_load_b32 v1, v[16:17], off
	s_wait_loadcnt 0x0
	v_cvt_i32_f32_e32 v10, v1
.LBB388_1488:
	s_mov_b32 s2, 0
.LBB388_1489:
	s_delay_alu instid0(SALU_CYCLE_1)
	s_and_not1_b32 vcc_lo, exec_lo, s2
	s_cbranch_vccnz .LBB388_1491
; %bb.1490:
	global_load_u16 v1, v[16:17], off
	s_wait_loadcnt 0x0
	v_cvt_i16_f16_e32 v10, v1
.LBB388_1491:
	s_mov_b32 s2, 0
.LBB388_1492:
	s_delay_alu instid0(SALU_CYCLE_1)
	s_and_not1_b32 vcc_lo, exec_lo, s2
	s_cbranch_vccnz .LBB388_1512
; %bb.1493:
	s_cmp_lt_i32 s0, 2
	s_cbranch_scc1 .LBB388_1497
; %bb.1494:
	s_cmp_lt_i32 s0, 3
	s_cbranch_scc1 .LBB388_1498
; %bb.1495:
	s_cmp_gt_i32 s0, 3
	s_cbranch_scc0 .LBB388_1499
; %bb.1496:
	s_wait_loadcnt 0x0
	global_load_b64 v[10:11], v[16:17], off
	s_mov_b32 s2, 0
	s_branch .LBB388_1500
.LBB388_1497:
	s_mov_b32 s2, -1
                                        ; implicit-def: $vgpr10
	s_branch .LBB388_1506
.LBB388_1498:
	s_mov_b32 s2, -1
                                        ; implicit-def: $vgpr10
	s_branch .LBB388_1503
.LBB388_1499:
	s_mov_b32 s2, -1
                                        ; implicit-def: $vgpr10
.LBB388_1500:
	s_delay_alu instid0(SALU_CYCLE_1)
	s_and_not1_b32 vcc_lo, exec_lo, s2
	s_cbranch_vccnz .LBB388_1502
; %bb.1501:
	s_wait_loadcnt 0x0
	global_load_b32 v10, v[16:17], off
.LBB388_1502:
	s_mov_b32 s2, 0
.LBB388_1503:
	s_delay_alu instid0(SALU_CYCLE_1)
	s_and_not1_b32 vcc_lo, exec_lo, s2
	s_cbranch_vccnz .LBB388_1505
; %bb.1504:
	s_wait_loadcnt 0x0
	global_load_u16 v10, v[16:17], off
.LBB388_1505:
	s_mov_b32 s2, 0
.LBB388_1506:
	s_delay_alu instid0(SALU_CYCLE_1)
	s_and_not1_b32 vcc_lo, exec_lo, s2
	s_cbranch_vccnz .LBB388_1512
; %bb.1507:
	s_cmp_gt_i32 s0, 0
	s_mov_b32 s2, 0
	s_cbranch_scc0 .LBB388_1509
; %bb.1508:
	s_wait_loadcnt 0x0
	global_load_u8 v10, v[16:17], off
	s_branch .LBB388_1510
.LBB388_1509:
	s_mov_b32 s2, -1
                                        ; implicit-def: $vgpr10
.LBB388_1510:
	s_delay_alu instid0(SALU_CYCLE_1)
	s_and_not1_b32 vcc_lo, exec_lo, s2
	s_cbranch_vccnz .LBB388_1512
; %bb.1511:
	s_wait_loadcnt 0x0
	global_load_u8 v10, v[16:17], off
.LBB388_1512:
.LBB388_1513:
	v_mov_b32_e32 v9, 0
	s_cmp_lt_i32 s0, 11
	s_wait_xcnt 0x0
	s_delay_alu instid0(VALU_DEP_1)
	v_add_nc_u64_e32 v[16:17], s[6:7], v[8:9]
	s_cbranch_scc1 .LBB388_1520
; %bb.1514:
	s_cmp_gt_i32 s0, 25
	s_mov_b32 s3, 0
	s_cbranch_scc0 .LBB388_1521
; %bb.1515:
	s_cmp_gt_i32 s0, 28
	s_cbranch_scc0 .LBB388_1522
; %bb.1516:
	s_cmp_gt_i32 s0, 43
	;; [unrolled: 3-line block ×3, first 2 shown]
	s_cbranch_scc0 .LBB388_1525
; %bb.1518:
	s_cmp_eq_u32 s0, 46
	s_mov_b32 s7, 0
	s_cbranch_scc0 .LBB388_1526
; %bb.1519:
	global_load_b32 v1, v[16:17], off
	s_mov_b32 s2, 0
	s_mov_b32 s6, -1
	s_wait_loadcnt 0x0
	v_lshlrev_b32_e32 v1, 16, v1
	s_delay_alu instid0(VALU_DEP_1)
	v_cvt_i32_f32_e32 v8, v1
	s_branch .LBB388_1528
.LBB388_1520:
	s_mov_b32 s2, -1
	s_mov_b32 s6, 0
                                        ; implicit-def: $vgpr8
	s_branch .LBB388_1590
.LBB388_1521:
	s_mov_b32 s7, -1
	s_mov_b32 s6, 0
	s_mov_b32 s2, 0
                                        ; implicit-def: $vgpr8
	s_branch .LBB388_1555
.LBB388_1522:
	s_mov_b32 s7, -1
	s_mov_b32 s6, 0
	s_mov_b32 s2, 0
                                        ; implicit-def: $vgpr8
	s_branch .LBB388_1538
.LBB388_1523:
	s_mov_b32 s7, -1
	s_mov_b32 s6, 0
	s_mov_b32 s2, 0
                                        ; implicit-def: $vgpr8
	s_branch .LBB388_1533
.LBB388_1524:
	s_or_b32 s1, s1, exec_lo
	s_trap 2
	s_cbranch_execz .LBB388_1463
	s_branch .LBB388_1464
.LBB388_1525:
	s_mov_b32 s7, -1
	s_mov_b32 s6, 0
	s_mov_b32 s2, 0
	s_branch .LBB388_1527
.LBB388_1526:
	s_mov_b32 s2, -1
	s_mov_b32 s6, 0
.LBB388_1527:
                                        ; implicit-def: $vgpr8
.LBB388_1528:
	s_and_b32 vcc_lo, exec_lo, s7
	s_cbranch_vccz .LBB388_1532
; %bb.1529:
	s_cmp_eq_u32 s0, 44
	s_cbranch_scc0 .LBB388_1531
; %bb.1530:
	global_load_u8 v1, v[16:17], off
	s_mov_b32 s2, 0
	s_mov_b32 s6, -1
	s_wait_loadcnt 0x0
	v_lshlrev_b32_e32 v3, 23, v1
	v_cmp_ne_u32_e32 vcc_lo, 0, v1
	s_delay_alu instid0(VALU_DEP_2) | instskip(NEXT) | instid1(VALU_DEP_1)
	v_cvt_i32_f32_e32 v3, v3
	v_cndmask_b32_e32 v8, 0, v3, vcc_lo
	s_branch .LBB388_1532
.LBB388_1531:
	s_mov_b32 s2, -1
                                        ; implicit-def: $vgpr8
.LBB388_1532:
	s_mov_b32 s7, 0
.LBB388_1533:
	s_delay_alu instid0(SALU_CYCLE_1)
	s_and_b32 vcc_lo, exec_lo, s7
	s_cbranch_vccz .LBB388_1537
; %bb.1534:
	s_cmp_eq_u32 s0, 29
	s_cbranch_scc0 .LBB388_1536
; %bb.1535:
	global_load_b64 v[8:9], v[16:17], off
	s_mov_b32 s2, 0
	s_mov_b32 s6, -1
	s_branch .LBB388_1537
.LBB388_1536:
	s_mov_b32 s2, -1
                                        ; implicit-def: $vgpr8
.LBB388_1537:
	s_mov_b32 s7, 0
.LBB388_1538:
	s_delay_alu instid0(SALU_CYCLE_1)
	s_and_b32 vcc_lo, exec_lo, s7
	s_cbranch_vccz .LBB388_1554
; %bb.1539:
	s_cmp_lt_i32 s0, 27
	s_cbranch_scc1 .LBB388_1542
; %bb.1540:
	s_cmp_gt_i32 s0, 27
	s_cbranch_scc0 .LBB388_1543
; %bb.1541:
	s_wait_loadcnt 0x0
	global_load_b32 v8, v[16:17], off
	s_mov_b32 s6, 0
	s_branch .LBB388_1544
.LBB388_1542:
	s_mov_b32 s6, -1
                                        ; implicit-def: $vgpr8
	s_branch .LBB388_1547
.LBB388_1543:
	s_mov_b32 s6, -1
                                        ; implicit-def: $vgpr8
.LBB388_1544:
	s_delay_alu instid0(SALU_CYCLE_1)
	s_and_not1_b32 vcc_lo, exec_lo, s6
	s_cbranch_vccnz .LBB388_1546
; %bb.1545:
	s_wait_loadcnt 0x0
	global_load_u16 v8, v[16:17], off
.LBB388_1546:
	s_mov_b32 s6, 0
.LBB388_1547:
	s_delay_alu instid0(SALU_CYCLE_1)
	s_and_not1_b32 vcc_lo, exec_lo, s6
	s_cbranch_vccnz .LBB388_1553
; %bb.1548:
	global_load_u8 v1, v[16:17], off
	s_mov_b32 s7, 0
	s_mov_b32 s6, exec_lo
	s_wait_loadcnt 0x0
	v_cmpx_lt_i16_e32 0x7f, v1
	s_xor_b32 s6, exec_lo, s6
	s_cbranch_execz .LBB388_1565
; %bb.1549:
	v_cmp_ne_u16_e32 vcc_lo, 0x80, v1
	s_and_b32 s7, vcc_lo, exec_lo
	s_and_not1_saveexec_b32 s6, s6
	s_cbranch_execnz .LBB388_1566
.LBB388_1550:
	s_or_b32 exec_lo, exec_lo, s6
	v_mov_b32_e32 v8, 0
	s_and_saveexec_b32 s6, s7
	s_cbranch_execz .LBB388_1552
.LBB388_1551:
	v_and_b32_e32 v3, 0xffff, v1
	s_delay_alu instid0(VALU_DEP_1) | instskip(SKIP_1) | instid1(VALU_DEP_2)
	v_dual_lshlrev_b32 v1, 24, v1 :: v_dual_bitop2_b32 v5, 7, v3 bitop3:0x40
	v_bfe_u32 v9, v3, 3, 4
	v_and_b32_e32 v1, 0x80000000, v1
	s_delay_alu instid0(VALU_DEP_3) | instskip(NEXT) | instid1(VALU_DEP_3)
	v_clz_i32_u32_e32 v7, v5
	v_cmp_eq_u32_e32 vcc_lo, 0, v9
	s_delay_alu instid0(VALU_DEP_2) | instskip(NEXT) | instid1(VALU_DEP_1)
	v_min_u32_e32 v7, 32, v7
	v_subrev_nc_u32_e32 v8, 28, v7
	v_sub_nc_u32_e32 v7, 29, v7
	s_delay_alu instid0(VALU_DEP_2) | instskip(NEXT) | instid1(VALU_DEP_2)
	v_lshlrev_b32_e32 v3, v8, v3
	v_cndmask_b32_e32 v7, v9, v7, vcc_lo
	s_delay_alu instid0(VALU_DEP_2) | instskip(NEXT) | instid1(VALU_DEP_1)
	v_and_b32_e32 v3, 7, v3
	v_cndmask_b32_e32 v3, v5, v3, vcc_lo
	s_delay_alu instid0(VALU_DEP_3) | instskip(NEXT) | instid1(VALU_DEP_2)
	v_lshl_add_u32 v5, v7, 23, 0x3b800000
	v_lshlrev_b32_e32 v3, 20, v3
	s_delay_alu instid0(VALU_DEP_1) | instskip(NEXT) | instid1(VALU_DEP_1)
	v_or3_b32 v1, v1, v5, v3
	v_cvt_i32_f32_e32 v8, v1
.LBB388_1552:
	s_or_b32 exec_lo, exec_lo, s6
.LBB388_1553:
	s_mov_b32 s6, -1
.LBB388_1554:
	s_mov_b32 s7, 0
.LBB388_1555:
	s_delay_alu instid0(SALU_CYCLE_1)
	s_and_b32 vcc_lo, exec_lo, s7
	s_cbranch_vccz .LBB388_1586
; %bb.1556:
	s_cmp_gt_i32 s0, 22
	s_cbranch_scc0 .LBB388_1564
; %bb.1557:
	s_cmp_lt_i32 s0, 24
	s_cbranch_scc1 .LBB388_1567
; %bb.1558:
	s_cmp_gt_i32 s0, 24
	s_cbranch_scc0 .LBB388_1568
; %bb.1559:
	global_load_u8 v1, v[16:17], off
	s_mov_b32 s6, 0
	s_mov_b32 s3, exec_lo
	s_wait_loadcnt 0x0
	v_cmpx_lt_i16_e32 0x7f, v1
	s_xor_b32 s3, exec_lo, s3
	s_cbranch_execz .LBB388_1580
; %bb.1560:
	v_cmp_ne_u16_e32 vcc_lo, 0x80, v1
	s_and_b32 s6, vcc_lo, exec_lo
	s_and_not1_saveexec_b32 s3, s3
	s_cbranch_execnz .LBB388_1581
.LBB388_1561:
	s_or_b32 exec_lo, exec_lo, s3
	v_mov_b32_e32 v8, 0
	s_and_saveexec_b32 s3, s6
	s_cbranch_execz .LBB388_1563
.LBB388_1562:
	v_and_b32_e32 v3, 0xffff, v1
	s_delay_alu instid0(VALU_DEP_1) | instskip(SKIP_1) | instid1(VALU_DEP_2)
	v_dual_lshlrev_b32 v1, 24, v1 :: v_dual_bitop2_b32 v5, 3, v3 bitop3:0x40
	v_bfe_u32 v9, v3, 2, 5
	v_and_b32_e32 v1, 0x80000000, v1
	s_delay_alu instid0(VALU_DEP_3) | instskip(NEXT) | instid1(VALU_DEP_3)
	v_clz_i32_u32_e32 v7, v5
	v_cmp_eq_u32_e32 vcc_lo, 0, v9
	s_delay_alu instid0(VALU_DEP_2) | instskip(NEXT) | instid1(VALU_DEP_1)
	v_min_u32_e32 v7, 32, v7
	v_subrev_nc_u32_e32 v8, 29, v7
	v_sub_nc_u32_e32 v7, 30, v7
	s_delay_alu instid0(VALU_DEP_2) | instskip(NEXT) | instid1(VALU_DEP_2)
	v_lshlrev_b32_e32 v3, v8, v3
	v_cndmask_b32_e32 v7, v9, v7, vcc_lo
	s_delay_alu instid0(VALU_DEP_2) | instskip(NEXT) | instid1(VALU_DEP_1)
	v_and_b32_e32 v3, 3, v3
	v_cndmask_b32_e32 v3, v5, v3, vcc_lo
	s_delay_alu instid0(VALU_DEP_3) | instskip(NEXT) | instid1(VALU_DEP_2)
	v_lshl_add_u32 v5, v7, 23, 0x37800000
	v_lshlrev_b32_e32 v3, 21, v3
	s_delay_alu instid0(VALU_DEP_1) | instskip(NEXT) | instid1(VALU_DEP_1)
	v_or3_b32 v1, v1, v5, v3
	v_cvt_i32_f32_e32 v8, v1
.LBB388_1563:
	s_or_b32 exec_lo, exec_lo, s3
	s_mov_b32 s3, 0
	s_branch .LBB388_1569
.LBB388_1564:
	s_mov_b32 s3, -1
                                        ; implicit-def: $vgpr8
	s_branch .LBB388_1575
.LBB388_1565:
	s_and_not1_saveexec_b32 s6, s6
	s_cbranch_execz .LBB388_1550
.LBB388_1566:
	v_cmp_ne_u16_e32 vcc_lo, 0, v1
	s_and_not1_b32 s7, s7, exec_lo
	s_and_b32 s10, vcc_lo, exec_lo
	s_delay_alu instid0(SALU_CYCLE_1)
	s_or_b32 s7, s7, s10
	s_or_b32 exec_lo, exec_lo, s6
	v_mov_b32_e32 v8, 0
	s_and_saveexec_b32 s6, s7
	s_cbranch_execnz .LBB388_1551
	s_branch .LBB388_1552
.LBB388_1567:
	s_mov_b32 s3, -1
                                        ; implicit-def: $vgpr8
	s_branch .LBB388_1572
.LBB388_1568:
	s_mov_b32 s3, -1
                                        ; implicit-def: $vgpr8
.LBB388_1569:
	s_delay_alu instid0(SALU_CYCLE_1)
	s_and_b32 vcc_lo, exec_lo, s3
	s_cbranch_vccz .LBB388_1571
; %bb.1570:
	global_load_u8 v1, v[16:17], off
	s_wait_loadcnt 0x0
	v_lshlrev_b32_e32 v1, 24, v1
	s_delay_alu instid0(VALU_DEP_1) | instskip(NEXT) | instid1(VALU_DEP_1)
	v_and_b32_e32 v3, 0x7f000000, v1
	v_clz_i32_u32_e32 v5, v3
	v_cmp_ne_u32_e32 vcc_lo, 0, v3
	v_add_nc_u32_e32 v8, 0x1000000, v3
	s_delay_alu instid0(VALU_DEP_3) | instskip(NEXT) | instid1(VALU_DEP_1)
	v_min_u32_e32 v5, 32, v5
	v_sub_nc_u32_e64 v5, v5, 4 clamp
	s_delay_alu instid0(VALU_DEP_1) | instskip(NEXT) | instid1(VALU_DEP_1)
	v_dual_lshlrev_b32 v7, v5, v3 :: v_dual_lshlrev_b32 v5, 23, v5
	v_lshrrev_b32_e32 v7, 4, v7
	s_delay_alu instid0(VALU_DEP_1) | instskip(NEXT) | instid1(VALU_DEP_1)
	v_dual_sub_nc_u32 v5, v7, v5 :: v_dual_ashrrev_i32 v7, 8, v8
	v_add_nc_u32_e32 v5, 0x3c000000, v5
	s_delay_alu instid0(VALU_DEP_1) | instskip(NEXT) | instid1(VALU_DEP_1)
	v_and_or_b32 v5, 0x7f800000, v7, v5
	v_cndmask_b32_e32 v3, 0, v5, vcc_lo
	s_delay_alu instid0(VALU_DEP_1) | instskip(NEXT) | instid1(VALU_DEP_1)
	v_and_or_b32 v1, 0x80000000, v1, v3
	v_cvt_i32_f32_e32 v8, v1
.LBB388_1571:
	s_mov_b32 s3, 0
.LBB388_1572:
	s_delay_alu instid0(SALU_CYCLE_1)
	s_and_not1_b32 vcc_lo, exec_lo, s3
	s_cbranch_vccnz .LBB388_1574
; %bb.1573:
	global_load_u8 v1, v[16:17], off
	s_wait_loadcnt 0x0
	v_lshlrev_b32_e32 v3, 25, v1
	v_lshlrev_b16 v1, 8, v1
	s_delay_alu instid0(VALU_DEP_1) | instskip(SKIP_1) | instid1(VALU_DEP_2)
	v_and_or_b32 v7, 0x7f00, v1, 0.5
	v_bfe_i32 v1, v1, 0, 16
	v_add_f32_e32 v7, -0.5, v7
	v_lshrrev_b32_e32 v5, 4, v3
	v_cmp_gt_u32_e32 vcc_lo, 0x8000000, v3
	s_delay_alu instid0(VALU_DEP_2) | instskip(NEXT) | instid1(VALU_DEP_1)
	v_or_b32_e32 v5, 0x70000000, v5
	v_mul_f32_e32 v5, 0x7800000, v5
	s_delay_alu instid0(VALU_DEP_1) | instskip(NEXT) | instid1(VALU_DEP_1)
	v_cndmask_b32_e32 v3, v5, v7, vcc_lo
	v_and_or_b32 v1, 0x80000000, v1, v3
	s_delay_alu instid0(VALU_DEP_1)
	v_cvt_i32_f32_e32 v8, v1
.LBB388_1574:
	s_mov_b32 s3, 0
	s_mov_b32 s6, -1
.LBB388_1575:
	s_and_not1_b32 vcc_lo, exec_lo, s3
	s_mov_b32 s3, 0
	s_cbranch_vccnz .LBB388_1586
; %bb.1576:
	s_cmp_gt_i32 s0, 14
	s_cbranch_scc0 .LBB388_1579
; %bb.1577:
	s_cmp_eq_u32 s0, 15
	s_cbranch_scc0 .LBB388_1582
; %bb.1578:
	global_load_u16 v1, v[16:17], off
	s_mov_b32 s2, 0
	s_mov_b32 s6, -1
	s_wait_loadcnt 0x0
	v_lshlrev_b32_e32 v1, 16, v1
	s_delay_alu instid0(VALU_DEP_1)
	v_cvt_i32_f32_e32 v8, v1
	s_branch .LBB388_1584
.LBB388_1579:
	s_mov_b32 s3, -1
	s_branch .LBB388_1583
.LBB388_1580:
	s_and_not1_saveexec_b32 s3, s3
	s_cbranch_execz .LBB388_1561
.LBB388_1581:
	v_cmp_ne_u16_e32 vcc_lo, 0, v1
	s_and_not1_b32 s6, s6, exec_lo
	s_and_b32 s7, vcc_lo, exec_lo
	s_delay_alu instid0(SALU_CYCLE_1)
	s_or_b32 s6, s6, s7
	s_or_b32 exec_lo, exec_lo, s3
	v_mov_b32_e32 v8, 0
	s_and_saveexec_b32 s3, s6
	s_cbranch_execnz .LBB388_1562
	s_branch .LBB388_1563
.LBB388_1582:
	s_mov_b32 s2, -1
.LBB388_1583:
                                        ; implicit-def: $vgpr8
.LBB388_1584:
	s_and_b32 vcc_lo, exec_lo, s3
	s_mov_b32 s3, 0
	s_cbranch_vccz .LBB388_1586
; %bb.1585:
	s_cmp_lg_u32 s0, 11
	s_mov_b32 s3, -1
	s_cselect_b32 s2, -1, 0
.LBB388_1586:
	s_delay_alu instid0(SALU_CYCLE_1)
	s_and_b32 vcc_lo, exec_lo, s2
	s_cbranch_vccnz .LBB388_2118
; %bb.1587:
	s_and_not1_b32 vcc_lo, exec_lo, s3
	s_cbranch_vccnz .LBB388_1589
.LBB388_1588:
	global_load_u8 v1, v[16:17], off
	s_mov_b32 s6, -1
	s_wait_loadcnt 0x0
	v_cmp_ne_u16_e32 vcc_lo, 0, v1
	v_cndmask_b32_e64 v8, 0, 1, vcc_lo
.LBB388_1589:
	s_mov_b32 s2, 0
.LBB388_1590:
	s_delay_alu instid0(SALU_CYCLE_1)
	s_and_b32 vcc_lo, exec_lo, s2
	s_cbranch_vccz .LBB388_1639
; %bb.1591:
	s_cmp_lt_i32 s0, 5
	s_cbranch_scc1 .LBB388_1596
; %bb.1592:
	s_cmp_lt_i32 s0, 8
	s_cbranch_scc1 .LBB388_1597
	;; [unrolled: 3-line block ×3, first 2 shown]
; %bb.1594:
	s_cmp_gt_i32 s0, 9
	s_cbranch_scc0 .LBB388_1599
; %bb.1595:
	s_wait_loadcnt 0x0
	global_load_b64 v[8:9], v[16:17], off
	s_mov_b32 s2, 0
	s_wait_loadcnt 0x0
	v_cvt_i32_f64_e32 v8, v[8:9]
	s_branch .LBB388_1600
.LBB388_1596:
	s_mov_b32 s2, -1
                                        ; implicit-def: $vgpr8
	s_branch .LBB388_1618
.LBB388_1597:
	s_mov_b32 s2, -1
                                        ; implicit-def: $vgpr8
	s_branch .LBB388_1606
.LBB388_1598:
	s_mov_b32 s2, -1
                                        ; implicit-def: $vgpr8
	s_branch .LBB388_1603
.LBB388_1599:
	s_mov_b32 s2, -1
                                        ; implicit-def: $vgpr8
.LBB388_1600:
	s_delay_alu instid0(SALU_CYCLE_1)
	s_and_not1_b32 vcc_lo, exec_lo, s2
	s_cbranch_vccnz .LBB388_1602
; %bb.1601:
	global_load_b32 v1, v[16:17], off
	s_wait_loadcnt 0x0
	v_cvt_i32_f32_e32 v8, v1
.LBB388_1602:
	s_mov_b32 s2, 0
.LBB388_1603:
	s_delay_alu instid0(SALU_CYCLE_1)
	s_and_not1_b32 vcc_lo, exec_lo, s2
	s_cbranch_vccnz .LBB388_1605
; %bb.1604:
	global_load_b32 v1, v[16:17], off
	s_wait_loadcnt 0x0
	v_cvt_i16_f16_e32 v8, v1
.LBB388_1605:
	s_mov_b32 s2, 0
.LBB388_1606:
	s_delay_alu instid0(SALU_CYCLE_1)
	s_and_not1_b32 vcc_lo, exec_lo, s2
	s_cbranch_vccnz .LBB388_1617
; %bb.1607:
	s_cmp_lt_i32 s0, 6
	s_cbranch_scc1 .LBB388_1610
; %bb.1608:
	s_cmp_gt_i32 s0, 6
	s_cbranch_scc0 .LBB388_1611
; %bb.1609:
	s_wait_loadcnt 0x0
	global_load_b64 v[8:9], v[16:17], off
	s_mov_b32 s2, 0
	s_wait_loadcnt 0x0
	v_cvt_i32_f64_e32 v8, v[8:9]
	s_branch .LBB388_1612
.LBB388_1610:
	s_mov_b32 s2, -1
                                        ; implicit-def: $vgpr8
	s_branch .LBB388_1615
.LBB388_1611:
	s_mov_b32 s2, -1
                                        ; implicit-def: $vgpr8
.LBB388_1612:
	s_delay_alu instid0(SALU_CYCLE_1)
	s_and_not1_b32 vcc_lo, exec_lo, s2
	s_cbranch_vccnz .LBB388_1614
; %bb.1613:
	global_load_b32 v1, v[16:17], off
	s_wait_loadcnt 0x0
	v_cvt_i32_f32_e32 v8, v1
.LBB388_1614:
	s_mov_b32 s2, 0
.LBB388_1615:
	s_delay_alu instid0(SALU_CYCLE_1)
	s_and_not1_b32 vcc_lo, exec_lo, s2
	s_cbranch_vccnz .LBB388_1617
; %bb.1616:
	global_load_u16 v1, v[16:17], off
	s_wait_loadcnt 0x0
	v_cvt_i16_f16_e32 v8, v1
.LBB388_1617:
	s_mov_b32 s2, 0
.LBB388_1618:
	s_delay_alu instid0(SALU_CYCLE_1)
	s_and_not1_b32 vcc_lo, exec_lo, s2
	s_cbranch_vccnz .LBB388_1638
; %bb.1619:
	s_cmp_lt_i32 s0, 2
	s_cbranch_scc1 .LBB388_1623
; %bb.1620:
	s_cmp_lt_i32 s0, 3
	s_cbranch_scc1 .LBB388_1624
; %bb.1621:
	s_cmp_gt_i32 s0, 3
	s_cbranch_scc0 .LBB388_1625
; %bb.1622:
	s_wait_loadcnt 0x0
	global_load_b64 v[8:9], v[16:17], off
	s_mov_b32 s2, 0
	s_branch .LBB388_1626
.LBB388_1623:
	s_mov_b32 s2, -1
                                        ; implicit-def: $vgpr8
	s_branch .LBB388_1632
.LBB388_1624:
	s_mov_b32 s2, -1
                                        ; implicit-def: $vgpr8
	s_branch .LBB388_1629
.LBB388_1625:
	s_mov_b32 s2, -1
                                        ; implicit-def: $vgpr8
.LBB388_1626:
	s_delay_alu instid0(SALU_CYCLE_1)
	s_and_not1_b32 vcc_lo, exec_lo, s2
	s_cbranch_vccnz .LBB388_1628
; %bb.1627:
	s_wait_loadcnt 0x0
	global_load_b32 v8, v[16:17], off
.LBB388_1628:
	s_mov_b32 s2, 0
.LBB388_1629:
	s_delay_alu instid0(SALU_CYCLE_1)
	s_and_not1_b32 vcc_lo, exec_lo, s2
	s_cbranch_vccnz .LBB388_1631
; %bb.1630:
	s_wait_loadcnt 0x0
	global_load_u16 v8, v[16:17], off
.LBB388_1631:
	s_mov_b32 s2, 0
.LBB388_1632:
	s_delay_alu instid0(SALU_CYCLE_1)
	s_and_not1_b32 vcc_lo, exec_lo, s2
	s_cbranch_vccnz .LBB388_1638
; %bb.1633:
	s_cmp_gt_i32 s0, 0
	s_mov_b32 s0, 0
	s_cbranch_scc0 .LBB388_1635
; %bb.1634:
	s_wait_loadcnt 0x0
	global_load_u8 v8, v[16:17], off
	s_branch .LBB388_1636
.LBB388_1635:
	s_mov_b32 s0, -1
                                        ; implicit-def: $vgpr8
.LBB388_1636:
	s_delay_alu instid0(SALU_CYCLE_1)
	s_and_not1_b32 vcc_lo, exec_lo, s0
	s_cbranch_vccnz .LBB388_1638
; %bb.1637:
	s_wait_loadcnt 0x0
	global_load_u8 v8, v[16:17], off
.LBB388_1638:
	s_mov_b32 s6, -1
.LBB388_1639:
	s_delay_alu instid0(SALU_CYCLE_1)
	s_and_not1_b32 vcc_lo, exec_lo, s6
	s_cbranch_vccnz .LBB388_2072
; %bb.1640:
	s_load_b96 s[12:14], s[16:17], 0x158
	s_wait_loadcnt 0x0
	v_and_b32_e32 v1, 0xff, v14
	v_mov_b32_e32 v7, 0
	s_mov_b32 s0, -1
	s_delay_alu instid0(VALU_DEP_1)
	v_add_nc_u64_e32 v[6:7], s[4:5], v[6:7]
	s_wait_kmcnt 0x0
	s_cmp_eq_u32 s12, 0
	s_mov_b32 s12, 0
	s_cselect_b32 s3, -1, 0
	s_and_b32 s6, s13, 0xff
	s_and_b32 s2, s14, 0xff
	v_cmp_ne_u16_e32 vcc_lo, s6, v1
	s_xor_b32 s7, s3, vcc_lo
	s_cmp_lt_i32 s2, 11
	s_cbranch_scc1 .LBB388_1719
; %bb.1641:
	s_and_b32 s10, 0xffff, s2
	s_mov_b32 s13, -1
	s_mov_b32 s11, 0
	s_cmp_gt_i32 s10, 25
	s_mov_b32 s0, 0
	s_cbranch_scc0 .LBB388_1674
; %bb.1642:
	s_cmp_gt_i32 s10, 28
	s_cbranch_scc0 .LBB388_1657
; %bb.1643:
	s_cmp_gt_i32 s10, 43
	;; [unrolled: 3-line block ×3, first 2 shown]
	s_cbranch_scc0 .LBB388_1647
; %bb.1645:
	s_mov_b32 s0, -1
	s_mov_b32 s13, 0
	s_cmp_eq_u32 s10, 46
	s_cbranch_scc0 .LBB388_1647
; %bb.1646:
	v_cndmask_b32_e64 v1, 0, 1.0, s7
	s_mov_b32 s0, 0
	s_mov_b32 s12, -1
	s_delay_alu instid0(VALU_DEP_1) | instskip(NEXT) | instid1(VALU_DEP_1)
	v_bfe_u32 v3, v1, 16, 1
	v_add3_u32 v1, v1, v3, 0x7fff
	s_delay_alu instid0(VALU_DEP_1)
	v_lshrrev_b32_e32 v1, 16, v1
	global_store_b32 v[6:7], v1, off
.LBB388_1647:
	s_and_b32 vcc_lo, exec_lo, s13
	s_cbranch_vccz .LBB388_1652
; %bb.1648:
	s_cmp_eq_u32 s10, 44
	s_mov_b32 s0, -1
	s_cbranch_scc0 .LBB388_1652
; %bb.1649:
	v_cndmask_b32_e64 v5, 0, 1.0, s7
	v_mov_b32_e32 v3, 0xff
	s_mov_b32 s12, exec_lo
	s_wait_xcnt 0x0
	s_delay_alu instid0(VALU_DEP_2) | instskip(NEXT) | instid1(VALU_DEP_1)
	v_lshrrev_b32_e32 v1, 23, v5
	v_cmpx_ne_u32_e32 0xff, v1
; %bb.1650:
	v_and_b32_e32 v3, 0x400000, v5
	v_and_or_b32 v5, 0x3fffff, v5, v1
	s_delay_alu instid0(VALU_DEP_2) | instskip(NEXT) | instid1(VALU_DEP_2)
	v_cmp_ne_u32_e32 vcc_lo, 0, v3
	v_cmp_ne_u32_e64 s0, 0, v5
	s_and_b32 s0, vcc_lo, s0
	s_delay_alu instid0(SALU_CYCLE_1) | instskip(NEXT) | instid1(VALU_DEP_1)
	v_cndmask_b32_e64 v3, 0, 1, s0
	v_add_nc_u32_e32 v3, v1, v3
; %bb.1651:
	s_or_b32 exec_lo, exec_lo, s12
	s_mov_b32 s0, 0
	s_mov_b32 s12, -1
	global_store_b8 v[6:7], v3, off
.LBB388_1652:
	s_mov_b32 s13, 0
.LBB388_1653:
	s_delay_alu instid0(SALU_CYCLE_1)
	s_and_b32 vcc_lo, exec_lo, s13
	s_cbranch_vccz .LBB388_1656
; %bb.1654:
	s_cmp_eq_u32 s10, 29
	s_mov_b32 s0, -1
	s_cbranch_scc0 .LBB388_1656
; %bb.1655:
	s_mov_b32 s0, 0
	v_cndmask_b32_e64 v14, 0, 1, s7
	v_mov_b32_e32 v15, s0
	s_mov_b32 s12, -1
	global_store_b64 v[6:7], v[14:15], off
.LBB388_1656:
	s_mov_b32 s13, 0
.LBB388_1657:
	s_delay_alu instid0(SALU_CYCLE_1)
	s_and_b32 vcc_lo, exec_lo, s13
	s_cbranch_vccz .LBB388_1673
; %bb.1658:
	s_cmp_lt_i32 s10, 27
	s_mov_b32 s12, -1
	s_cbranch_scc1 .LBB388_1664
; %bb.1659:
	s_cmp_gt_i32 s10, 27
	s_cbranch_scc0 .LBB388_1661
; %bb.1660:
	s_wait_xcnt 0x0
	v_cndmask_b32_e64 v1, 0, 1, s7
	s_mov_b32 s12, 0
	global_store_b32 v[6:7], v1, off
.LBB388_1661:
	s_and_not1_b32 vcc_lo, exec_lo, s12
	s_cbranch_vccnz .LBB388_1663
; %bb.1662:
	s_wait_xcnt 0x0
	v_cndmask_b32_e64 v1, 0, 1, s7
	global_store_b16 v[6:7], v1, off
.LBB388_1663:
	s_mov_b32 s12, 0
.LBB388_1664:
	s_delay_alu instid0(SALU_CYCLE_1)
	s_and_not1_b32 vcc_lo, exec_lo, s12
	s_cbranch_vccnz .LBB388_1672
; %bb.1665:
	s_wait_xcnt 0x0
	v_cndmask_b32_e64 v3, 0, 1.0, s7
	v_mov_b32_e32 v5, 0x80
	s_mov_b32 s12, exec_lo
	s_delay_alu instid0(VALU_DEP_2)
	v_cmpx_gt_u32_e32 0x43800000, v3
	s_cbranch_execz .LBB388_1671
; %bb.1666:
	s_mov_b32 s13, 0
	s_mov_b32 s14, exec_lo
                                        ; implicit-def: $vgpr1
	v_cmpx_lt_u32_e32 0x3bffffff, v3
	s_xor_b32 s14, exec_lo, s14
	s_cbranch_execz .LBB388_2119
; %bb.1667:
	v_bfe_u32 v1, v3, 20, 1
	s_mov_b32 s13, exec_lo
	s_delay_alu instid0(VALU_DEP_1) | instskip(NEXT) | instid1(VALU_DEP_1)
	v_add3_u32 v1, v3, v1, 0x487ffff
                                        ; implicit-def: $vgpr3
	v_lshrrev_b32_e32 v1, 20, v1
	s_and_not1_saveexec_b32 s14, s14
	s_cbranch_execnz .LBB388_2120
.LBB388_1668:
	s_or_b32 exec_lo, exec_lo, s14
	v_mov_b32_e32 v5, 0
	s_and_saveexec_b32 s14, s13
.LBB388_1669:
	v_mov_b32_e32 v5, v1
.LBB388_1670:
	s_or_b32 exec_lo, exec_lo, s14
.LBB388_1671:
	s_delay_alu instid0(SALU_CYCLE_1)
	s_or_b32 exec_lo, exec_lo, s12
	global_store_b8 v[6:7], v5, off
.LBB388_1672:
	s_mov_b32 s12, -1
.LBB388_1673:
	s_mov_b32 s13, 0
.LBB388_1674:
	s_delay_alu instid0(SALU_CYCLE_1)
	s_and_b32 vcc_lo, exec_lo, s13
	s_cbranch_vccz .LBB388_1714
; %bb.1675:
	s_cmp_gt_i32 s10, 22
	s_mov_b32 s11, -1
	s_cbranch_scc0 .LBB388_1707
; %bb.1676:
	s_cmp_lt_i32 s10, 24
	s_cbranch_scc1 .LBB388_1696
; %bb.1677:
	s_cmp_gt_i32 s10, 24
	s_cbranch_scc0 .LBB388_1685
; %bb.1678:
	s_wait_xcnt 0x0
	v_cndmask_b32_e64 v3, 0, 1.0, s7
	v_mov_b32_e32 v5, 0x80
	s_mov_b32 s11, exec_lo
	s_delay_alu instid0(VALU_DEP_2)
	v_cmpx_gt_u32_e32 0x47800000, v3
	s_cbranch_execz .LBB388_1684
; %bb.1679:
	s_mov_b32 s12, 0
	s_mov_b32 s13, exec_lo
                                        ; implicit-def: $vgpr1
	v_cmpx_lt_u32_e32 0x37ffffff, v3
	s_xor_b32 s13, exec_lo, s13
	s_cbranch_execz .LBB388_2122
; %bb.1680:
	v_bfe_u32 v1, v3, 21, 1
	s_mov_b32 s12, exec_lo
	s_delay_alu instid0(VALU_DEP_1) | instskip(NEXT) | instid1(VALU_DEP_1)
	v_add3_u32 v1, v3, v1, 0x88fffff
                                        ; implicit-def: $vgpr3
	v_lshrrev_b32_e32 v1, 21, v1
	s_and_not1_saveexec_b32 s13, s13
	s_cbranch_execnz .LBB388_2123
.LBB388_1681:
	s_or_b32 exec_lo, exec_lo, s13
	v_mov_b32_e32 v5, 0
	s_and_saveexec_b32 s13, s12
.LBB388_1682:
	v_mov_b32_e32 v5, v1
.LBB388_1683:
	s_or_b32 exec_lo, exec_lo, s13
.LBB388_1684:
	s_delay_alu instid0(SALU_CYCLE_1)
	s_or_b32 exec_lo, exec_lo, s11
	s_mov_b32 s11, 0
	global_store_b8 v[6:7], v5, off
.LBB388_1685:
	s_and_b32 vcc_lo, exec_lo, s11
	s_cbranch_vccz .LBB388_1695
; %bb.1686:
	s_wait_xcnt 0x0
	v_cndmask_b32_e64 v3, 0, 1.0, s7
	s_mov_b32 s11, exec_lo
                                        ; implicit-def: $vgpr1
	s_delay_alu instid0(VALU_DEP_1)
	v_cmpx_gt_u32_e32 0x43f00000, v3
	s_xor_b32 s11, exec_lo, s11
	s_cbranch_execz .LBB388_1692
; %bb.1687:
	s_mov_b32 s12, exec_lo
                                        ; implicit-def: $vgpr1
	v_cmpx_lt_u32_e32 0x3c7fffff, v3
	s_xor_b32 s12, exec_lo, s12
; %bb.1688:
	v_bfe_u32 v1, v3, 20, 1
	s_delay_alu instid0(VALU_DEP_1) | instskip(NEXT) | instid1(VALU_DEP_1)
	v_add3_u32 v1, v3, v1, 0x407ffff
	v_and_b32_e32 v3, 0xff00000, v1
	v_lshrrev_b32_e32 v1, 20, v1
	s_delay_alu instid0(VALU_DEP_2) | instskip(NEXT) | instid1(VALU_DEP_2)
	v_cmp_ne_u32_e32 vcc_lo, 0x7f00000, v3
                                        ; implicit-def: $vgpr3
	v_cndmask_b32_e32 v1, 0x7e, v1, vcc_lo
; %bb.1689:
	s_and_not1_saveexec_b32 s12, s12
; %bb.1690:
	v_add_f32_e32 v1, 0x46800000, v3
; %bb.1691:
	s_or_b32 exec_lo, exec_lo, s12
                                        ; implicit-def: $vgpr3
.LBB388_1692:
	s_and_not1_saveexec_b32 s11, s11
; %bb.1693:
	v_mov_b32_e32 v1, 0x7f
	v_cmp_lt_u32_e32 vcc_lo, 0x7f800000, v3
	s_delay_alu instid0(VALU_DEP_2)
	v_cndmask_b32_e32 v1, 0x7e, v1, vcc_lo
; %bb.1694:
	s_or_b32 exec_lo, exec_lo, s11
	global_store_b8 v[6:7], v1, off
.LBB388_1695:
	s_mov_b32 s11, 0
.LBB388_1696:
	s_delay_alu instid0(SALU_CYCLE_1)
	s_and_not1_b32 vcc_lo, exec_lo, s11
	s_cbranch_vccnz .LBB388_1706
; %bb.1697:
	s_wait_xcnt 0x0
	v_cndmask_b32_e64 v3, 0, 1.0, s7
	s_mov_b32 s11, exec_lo
                                        ; implicit-def: $vgpr1
	s_delay_alu instid0(VALU_DEP_1)
	v_cmpx_gt_u32_e32 0x47800000, v3
	s_xor_b32 s11, exec_lo, s11
	s_cbranch_execz .LBB388_1703
; %bb.1698:
	s_mov_b32 s12, exec_lo
                                        ; implicit-def: $vgpr1
	v_cmpx_lt_u32_e32 0x387fffff, v3
	s_xor_b32 s12, exec_lo, s12
; %bb.1699:
	v_bfe_u32 v1, v3, 21, 1
	s_delay_alu instid0(VALU_DEP_1) | instskip(NEXT) | instid1(VALU_DEP_1)
	v_add3_u32 v1, v3, v1, 0x80fffff
                                        ; implicit-def: $vgpr3
	v_lshrrev_b32_e32 v1, 21, v1
; %bb.1700:
	s_and_not1_saveexec_b32 s12, s12
; %bb.1701:
	v_add_f32_e32 v1, 0x43000000, v3
; %bb.1702:
	s_or_b32 exec_lo, exec_lo, s12
                                        ; implicit-def: $vgpr3
.LBB388_1703:
	s_and_not1_saveexec_b32 s11, s11
; %bb.1704:
	v_mov_b32_e32 v1, 0x7f
	v_cmp_lt_u32_e32 vcc_lo, 0x7f800000, v3
	s_delay_alu instid0(VALU_DEP_2)
	v_cndmask_b32_e32 v1, 0x7c, v1, vcc_lo
; %bb.1705:
	s_or_b32 exec_lo, exec_lo, s11
	global_store_b8 v[6:7], v1, off
.LBB388_1706:
	s_mov_b32 s11, 0
	s_mov_b32 s12, -1
.LBB388_1707:
	s_and_not1_b32 vcc_lo, exec_lo, s11
	s_mov_b32 s11, 0
	s_cbranch_vccnz .LBB388_1714
; %bb.1708:
	s_cmp_gt_i32 s10, 14
	s_mov_b32 s11, -1
	s_cbranch_scc0 .LBB388_1712
; %bb.1709:
	s_cmp_eq_u32 s10, 15
	s_mov_b32 s0, -1
	s_cbranch_scc0 .LBB388_1711
; %bb.1710:
	s_wait_xcnt 0x0
	v_cndmask_b32_e64 v1, 0, 1.0, s7
	s_mov_b32 s0, 0
	s_mov_b32 s12, -1
	s_delay_alu instid0(VALU_DEP_1) | instskip(NEXT) | instid1(VALU_DEP_1)
	v_bfe_u32 v3, v1, 16, 1
	v_add3_u32 v1, v1, v3, 0x7fff
	global_store_d16_hi_b16 v[6:7], v1, off
.LBB388_1711:
	s_mov_b32 s11, 0
.LBB388_1712:
	s_delay_alu instid0(SALU_CYCLE_1)
	s_and_b32 vcc_lo, exec_lo, s11
	s_mov_b32 s11, 0
	s_cbranch_vccz .LBB388_1714
; %bb.1713:
	s_cmp_lg_u32 s10, 11
	s_mov_b32 s11, -1
	s_cselect_b32 s0, -1, 0
.LBB388_1714:
	s_delay_alu instid0(SALU_CYCLE_1)
	s_and_b32 vcc_lo, exec_lo, s0
	s_cbranch_vccnz .LBB388_2121
; %bb.1715:
	s_and_not1_b32 vcc_lo, exec_lo, s11
	s_cbranch_vccnz .LBB388_1717
.LBB388_1716:
	s_wait_xcnt 0x0
	v_cndmask_b32_e64 v1, 0, 1, s7
	s_mov_b32 s12, -1
	global_store_b8 v[6:7], v1, off
.LBB388_1717:
.LBB388_1718:
	s_and_not1_b32 vcc_lo, exec_lo, s12
	s_cbranch_vccnz .LBB388_2072
	s_branch .LBB388_1758
.LBB388_1719:
	s_and_b32 vcc_lo, exec_lo, s0
	s_cbranch_vccz .LBB388_1718
; %bb.1720:
	s_and_b32 s0, 0xffff, s2
	s_mov_b32 s10, -1
	s_cmp_lt_i32 s0, 5
	s_cbranch_scc1 .LBB388_1741
; %bb.1721:
	s_cmp_lt_i32 s0, 8
	s_cbranch_scc1 .LBB388_1731
; %bb.1722:
	;; [unrolled: 3-line block ×3, first 2 shown]
	s_cmp_gt_i32 s0, 9
	s_cbranch_scc0 .LBB388_1725
; %bb.1724:
	s_wait_xcnt 0x0
	v_cndmask_b32_e64 v1, 0, 1, s7
	v_mov_b32_e32 v16, 0
	s_mov_b32 s10, 0
	s_delay_alu instid0(VALU_DEP_2) | instskip(NEXT) | instid1(VALU_DEP_2)
	v_cvt_f64_u32_e32 v[14:15], v1
	v_mov_b32_e32 v17, v16
	global_store_b128 v[6:7], v[14:17], off
.LBB388_1725:
	s_and_not1_b32 vcc_lo, exec_lo, s10
	s_cbranch_vccnz .LBB388_1727
; %bb.1726:
	s_wait_xcnt 0x0
	v_cndmask_b32_e64 v14, 0, 1.0, s7
	v_mov_b32_e32 v15, 0
	global_store_b64 v[6:7], v[14:15], off
.LBB388_1727:
	s_mov_b32 s10, 0
.LBB388_1728:
	s_delay_alu instid0(SALU_CYCLE_1)
	s_and_not1_b32 vcc_lo, exec_lo, s10
	s_cbranch_vccnz .LBB388_1730
; %bb.1729:
	s_wait_xcnt 0x0
	v_cndmask_b32_e64 v1, 0, 1.0, s7
	s_delay_alu instid0(VALU_DEP_1) | instskip(NEXT) | instid1(VALU_DEP_1)
	v_cvt_f16_f32_e32 v1, v1
	v_and_b32_e32 v1, 0xffff, v1
	global_store_b32 v[6:7], v1, off
.LBB388_1730:
	s_mov_b32 s10, 0
.LBB388_1731:
	s_delay_alu instid0(SALU_CYCLE_1)
	s_and_not1_b32 vcc_lo, exec_lo, s10
	s_cbranch_vccnz .LBB388_1740
; %bb.1732:
	s_cmp_lt_i32 s0, 6
	s_mov_b32 s10, -1
	s_cbranch_scc1 .LBB388_1738
; %bb.1733:
	s_cmp_gt_i32 s0, 6
	s_cbranch_scc0 .LBB388_1735
; %bb.1734:
	s_wait_xcnt 0x0
	v_cndmask_b32_e64 v1, 0, 1, s7
	s_mov_b32 s10, 0
	s_delay_alu instid0(VALU_DEP_1)
	v_cvt_f64_u32_e32 v[14:15], v1
	global_store_b64 v[6:7], v[14:15], off
.LBB388_1735:
	s_and_not1_b32 vcc_lo, exec_lo, s10
	s_cbranch_vccnz .LBB388_1737
; %bb.1736:
	s_wait_xcnt 0x0
	v_cndmask_b32_e64 v1, 0, 1.0, s7
	global_store_b32 v[6:7], v1, off
.LBB388_1737:
	s_mov_b32 s10, 0
.LBB388_1738:
	s_delay_alu instid0(SALU_CYCLE_1)
	s_and_not1_b32 vcc_lo, exec_lo, s10
	s_cbranch_vccnz .LBB388_1740
; %bb.1739:
	s_wait_xcnt 0x0
	v_cndmask_b32_e64 v1, 0, 1.0, s7
	s_delay_alu instid0(VALU_DEP_1)
	v_cvt_f16_f32_e32 v1, v1
	global_store_b16 v[6:7], v1, off
.LBB388_1740:
	s_mov_b32 s10, 0
.LBB388_1741:
	s_delay_alu instid0(SALU_CYCLE_1)
	s_and_not1_b32 vcc_lo, exec_lo, s10
	s_cbranch_vccnz .LBB388_1757
; %bb.1742:
	s_cmp_lt_i32 s0, 2
	s_mov_b32 s10, -1
	s_cbranch_scc1 .LBB388_1752
; %bb.1743:
	s_cmp_lt_i32 s0, 3
	s_cbranch_scc1 .LBB388_1749
; %bb.1744:
	s_cmp_gt_i32 s0, 3
	s_cbranch_scc0 .LBB388_1746
; %bb.1745:
	s_mov_b32 s10, 0
	s_wait_xcnt 0x0
	v_cndmask_b32_e64 v14, 0, 1, s7
	v_mov_b32_e32 v15, s10
	global_store_b64 v[6:7], v[14:15], off
.LBB388_1746:
	s_and_not1_b32 vcc_lo, exec_lo, s10
	s_cbranch_vccnz .LBB388_1748
; %bb.1747:
	s_wait_xcnt 0x0
	v_cndmask_b32_e64 v1, 0, 1, s7
	global_store_b32 v[6:7], v1, off
.LBB388_1748:
	s_mov_b32 s10, 0
.LBB388_1749:
	s_delay_alu instid0(SALU_CYCLE_1)
	s_and_not1_b32 vcc_lo, exec_lo, s10
	s_cbranch_vccnz .LBB388_1751
; %bb.1750:
	s_wait_xcnt 0x0
	v_cndmask_b32_e64 v1, 0, 1, s7
	global_store_b16 v[6:7], v1, off
.LBB388_1751:
	s_mov_b32 s10, 0
.LBB388_1752:
	s_delay_alu instid0(SALU_CYCLE_1)
	s_and_not1_b32 vcc_lo, exec_lo, s10
	s_cbranch_vccnz .LBB388_1757
; %bb.1753:
	s_wait_xcnt 0x0
	v_cndmask_b32_e64 v1, 0, 1, s7
	s_cmp_gt_i32 s0, 0
	s_mov_b32 s0, -1
	s_cbranch_scc0 .LBB388_1755
; %bb.1754:
	s_mov_b32 s0, 0
	global_store_b8 v[6:7], v1, off
.LBB388_1755:
	s_and_not1_b32 vcc_lo, exec_lo, s0
	s_cbranch_vccnz .LBB388_1757
; %bb.1756:
	global_store_b8 v[6:7], v1, off
.LBB388_1757:
.LBB388_1758:
	s_wait_xcnt 0x0
	v_and_b32_e32 v1, 0xff, v12
	v_mov_b32_e32 v5, 0
	s_and_b32 s7, 0xffff, s2
	s_delay_alu instid0(VALU_DEP_2) | instskip(NEXT) | instid1(VALU_DEP_2)
	v_cmp_ne_u16_e32 vcc_lo, s6, v1
	v_add_nc_u64_e32 v[4:5], s[4:5], v[4:5]
	s_xor_b32 s10, s3, vcc_lo
	s_cmp_lt_i32 s7, 11
	s_cbranch_scc1 .LBB388_1836
; %bb.1759:
	s_mov_b32 s13, -1
	s_mov_b32 s11, 0
	s_cmp_gt_i32 s7, 25
	s_mov_b32 s12, 0
	s_mov_b32 s0, 0
	s_cbranch_scc0 .LBB388_1792
; %bb.1760:
	s_cmp_gt_i32 s7, 28
	s_cbranch_scc0 .LBB388_1775
; %bb.1761:
	s_cmp_gt_i32 s7, 43
	s_cbranch_scc0 .LBB388_1771
; %bb.1762:
	s_cmp_gt_i32 s7, 45
	s_cbranch_scc0 .LBB388_1765
; %bb.1763:
	s_mov_b32 s0, -1
	s_mov_b32 s13, 0
	s_cmp_eq_u32 s7, 46
	s_cbranch_scc0 .LBB388_1765
; %bb.1764:
	v_cndmask_b32_e64 v1, 0, 1.0, s10
	s_mov_b32 s0, 0
	s_mov_b32 s12, -1
	s_delay_alu instid0(VALU_DEP_1) | instskip(NEXT) | instid1(VALU_DEP_1)
	v_bfe_u32 v3, v1, 16, 1
	v_add3_u32 v1, v1, v3, 0x7fff
	s_delay_alu instid0(VALU_DEP_1)
	v_lshrrev_b32_e32 v1, 16, v1
	global_store_b32 v[4:5], v1, off
.LBB388_1765:
	s_and_b32 vcc_lo, exec_lo, s13
	s_cbranch_vccz .LBB388_1770
; %bb.1766:
	s_cmp_eq_u32 s7, 44
	s_mov_b32 s0, -1
	s_cbranch_scc0 .LBB388_1770
; %bb.1767:
	v_cndmask_b32_e64 v6, 0, 1.0, s10
	v_mov_b32_e32 v3, 0xff
	s_mov_b32 s12, exec_lo
	s_wait_xcnt 0x0
	s_delay_alu instid0(VALU_DEP_2) | instskip(NEXT) | instid1(VALU_DEP_1)
	v_lshrrev_b32_e32 v1, 23, v6
	v_cmpx_ne_u32_e32 0xff, v1
; %bb.1768:
	v_and_b32_e32 v3, 0x400000, v6
	v_and_or_b32 v6, 0x3fffff, v6, v1
	s_delay_alu instid0(VALU_DEP_2) | instskip(NEXT) | instid1(VALU_DEP_2)
	v_cmp_ne_u32_e32 vcc_lo, 0, v3
	v_cmp_ne_u32_e64 s0, 0, v6
	s_and_b32 s0, vcc_lo, s0
	s_delay_alu instid0(SALU_CYCLE_1) | instskip(NEXT) | instid1(VALU_DEP_1)
	v_cndmask_b32_e64 v3, 0, 1, s0
	v_add_nc_u32_e32 v3, v1, v3
; %bb.1769:
	s_or_b32 exec_lo, exec_lo, s12
	s_mov_b32 s0, 0
	s_mov_b32 s12, -1
	global_store_b8 v[4:5], v3, off
.LBB388_1770:
	s_mov_b32 s13, 0
.LBB388_1771:
	s_delay_alu instid0(SALU_CYCLE_1)
	s_and_b32 vcc_lo, exec_lo, s13
	s_cbranch_vccz .LBB388_1774
; %bb.1772:
	s_cmp_eq_u32 s7, 29
	s_mov_b32 s0, -1
	s_cbranch_scc0 .LBB388_1774
; %bb.1773:
	s_mov_b32 s0, 0
	v_cndmask_b32_e64 v6, 0, 1, s10
	v_mov_b32_e32 v7, s0
	s_mov_b32 s12, -1
	global_store_b64 v[4:5], v[6:7], off
.LBB388_1774:
	s_mov_b32 s13, 0
.LBB388_1775:
	s_delay_alu instid0(SALU_CYCLE_1)
	s_and_b32 vcc_lo, exec_lo, s13
	s_cbranch_vccz .LBB388_1791
; %bb.1776:
	s_cmp_lt_i32 s7, 27
	s_mov_b32 s12, -1
	s_cbranch_scc1 .LBB388_1782
; %bb.1777:
	s_cmp_gt_i32 s7, 27
	s_cbranch_scc0 .LBB388_1779
; %bb.1778:
	s_wait_xcnt 0x0
	v_cndmask_b32_e64 v1, 0, 1, s10
	s_mov_b32 s12, 0
	global_store_b32 v[4:5], v1, off
.LBB388_1779:
	s_and_not1_b32 vcc_lo, exec_lo, s12
	s_cbranch_vccnz .LBB388_1781
; %bb.1780:
	s_wait_xcnt 0x0
	v_cndmask_b32_e64 v1, 0, 1, s10
	global_store_b16 v[4:5], v1, off
.LBB388_1781:
	s_mov_b32 s12, 0
.LBB388_1782:
	s_delay_alu instid0(SALU_CYCLE_1)
	s_and_not1_b32 vcc_lo, exec_lo, s12
	s_cbranch_vccnz .LBB388_1790
; %bb.1783:
	s_wait_xcnt 0x0
	v_cndmask_b32_e64 v3, 0, 1.0, s10
	v_mov_b32_e32 v6, 0x80
	s_mov_b32 s12, exec_lo
	s_delay_alu instid0(VALU_DEP_2)
	v_cmpx_gt_u32_e32 0x43800000, v3
	s_cbranch_execz .LBB388_1789
; %bb.1784:
	s_mov_b32 s13, 0
	s_mov_b32 s14, exec_lo
                                        ; implicit-def: $vgpr1
	v_cmpx_lt_u32_e32 0x3bffffff, v3
	s_xor_b32 s14, exec_lo, s14
	s_cbranch_execz .LBB388_2124
; %bb.1785:
	v_bfe_u32 v1, v3, 20, 1
	s_mov_b32 s13, exec_lo
	s_delay_alu instid0(VALU_DEP_1) | instskip(NEXT) | instid1(VALU_DEP_1)
	v_add3_u32 v1, v3, v1, 0x487ffff
                                        ; implicit-def: $vgpr3
	v_lshrrev_b32_e32 v1, 20, v1
	s_and_not1_saveexec_b32 s14, s14
	s_cbranch_execnz .LBB388_2125
.LBB388_1786:
	s_or_b32 exec_lo, exec_lo, s14
	v_mov_b32_e32 v6, 0
	s_and_saveexec_b32 s14, s13
.LBB388_1787:
	v_mov_b32_e32 v6, v1
.LBB388_1788:
	s_or_b32 exec_lo, exec_lo, s14
.LBB388_1789:
	s_delay_alu instid0(SALU_CYCLE_1)
	s_or_b32 exec_lo, exec_lo, s12
	global_store_b8 v[4:5], v6, off
.LBB388_1790:
	s_mov_b32 s12, -1
.LBB388_1791:
	s_mov_b32 s13, 0
.LBB388_1792:
	s_delay_alu instid0(SALU_CYCLE_1)
	s_and_b32 vcc_lo, exec_lo, s13
	s_cbranch_vccz .LBB388_1832
; %bb.1793:
	s_cmp_gt_i32 s7, 22
	s_mov_b32 s11, -1
	s_cbranch_scc0 .LBB388_1825
; %bb.1794:
	s_cmp_lt_i32 s7, 24
	s_cbranch_scc1 .LBB388_1814
; %bb.1795:
	s_cmp_gt_i32 s7, 24
	s_cbranch_scc0 .LBB388_1803
; %bb.1796:
	s_wait_xcnt 0x0
	v_cndmask_b32_e64 v3, 0, 1.0, s10
	v_mov_b32_e32 v6, 0x80
	s_mov_b32 s11, exec_lo
	s_delay_alu instid0(VALU_DEP_2)
	v_cmpx_gt_u32_e32 0x47800000, v3
	s_cbranch_execz .LBB388_1802
; %bb.1797:
	s_mov_b32 s12, 0
	s_mov_b32 s13, exec_lo
                                        ; implicit-def: $vgpr1
	v_cmpx_lt_u32_e32 0x37ffffff, v3
	s_xor_b32 s13, exec_lo, s13
	s_cbranch_execz .LBB388_2127
; %bb.1798:
	v_bfe_u32 v1, v3, 21, 1
	s_mov_b32 s12, exec_lo
	s_delay_alu instid0(VALU_DEP_1) | instskip(NEXT) | instid1(VALU_DEP_1)
	v_add3_u32 v1, v3, v1, 0x88fffff
                                        ; implicit-def: $vgpr3
	v_lshrrev_b32_e32 v1, 21, v1
	s_and_not1_saveexec_b32 s13, s13
	s_cbranch_execnz .LBB388_2128
.LBB388_1799:
	s_or_b32 exec_lo, exec_lo, s13
	v_mov_b32_e32 v6, 0
	s_and_saveexec_b32 s13, s12
.LBB388_1800:
	v_mov_b32_e32 v6, v1
.LBB388_1801:
	s_or_b32 exec_lo, exec_lo, s13
.LBB388_1802:
	s_delay_alu instid0(SALU_CYCLE_1)
	s_or_b32 exec_lo, exec_lo, s11
	s_mov_b32 s11, 0
	global_store_b8 v[4:5], v6, off
.LBB388_1803:
	s_and_b32 vcc_lo, exec_lo, s11
	s_cbranch_vccz .LBB388_1813
; %bb.1804:
	s_wait_xcnt 0x0
	v_cndmask_b32_e64 v3, 0, 1.0, s10
	s_mov_b32 s11, exec_lo
                                        ; implicit-def: $vgpr1
	s_delay_alu instid0(VALU_DEP_1)
	v_cmpx_gt_u32_e32 0x43f00000, v3
	s_xor_b32 s11, exec_lo, s11
	s_cbranch_execz .LBB388_1810
; %bb.1805:
	s_mov_b32 s12, exec_lo
                                        ; implicit-def: $vgpr1
	v_cmpx_lt_u32_e32 0x3c7fffff, v3
	s_xor_b32 s12, exec_lo, s12
; %bb.1806:
	v_bfe_u32 v1, v3, 20, 1
	s_delay_alu instid0(VALU_DEP_1) | instskip(NEXT) | instid1(VALU_DEP_1)
	v_add3_u32 v1, v3, v1, 0x407ffff
	v_and_b32_e32 v3, 0xff00000, v1
	v_lshrrev_b32_e32 v1, 20, v1
	s_delay_alu instid0(VALU_DEP_2) | instskip(NEXT) | instid1(VALU_DEP_2)
	v_cmp_ne_u32_e32 vcc_lo, 0x7f00000, v3
                                        ; implicit-def: $vgpr3
	v_cndmask_b32_e32 v1, 0x7e, v1, vcc_lo
; %bb.1807:
	s_and_not1_saveexec_b32 s12, s12
; %bb.1808:
	v_add_f32_e32 v1, 0x46800000, v3
; %bb.1809:
	s_or_b32 exec_lo, exec_lo, s12
                                        ; implicit-def: $vgpr3
.LBB388_1810:
	s_and_not1_saveexec_b32 s11, s11
; %bb.1811:
	v_mov_b32_e32 v1, 0x7f
	v_cmp_lt_u32_e32 vcc_lo, 0x7f800000, v3
	s_delay_alu instid0(VALU_DEP_2)
	v_cndmask_b32_e32 v1, 0x7e, v1, vcc_lo
; %bb.1812:
	s_or_b32 exec_lo, exec_lo, s11
	global_store_b8 v[4:5], v1, off
.LBB388_1813:
	s_mov_b32 s11, 0
.LBB388_1814:
	s_delay_alu instid0(SALU_CYCLE_1)
	s_and_not1_b32 vcc_lo, exec_lo, s11
	s_cbranch_vccnz .LBB388_1824
; %bb.1815:
	s_wait_xcnt 0x0
	v_cndmask_b32_e64 v3, 0, 1.0, s10
	s_mov_b32 s11, exec_lo
                                        ; implicit-def: $vgpr1
	s_delay_alu instid0(VALU_DEP_1)
	v_cmpx_gt_u32_e32 0x47800000, v3
	s_xor_b32 s11, exec_lo, s11
	s_cbranch_execz .LBB388_1821
; %bb.1816:
	s_mov_b32 s12, exec_lo
                                        ; implicit-def: $vgpr1
	v_cmpx_lt_u32_e32 0x387fffff, v3
	s_xor_b32 s12, exec_lo, s12
; %bb.1817:
	v_bfe_u32 v1, v3, 21, 1
	s_delay_alu instid0(VALU_DEP_1) | instskip(NEXT) | instid1(VALU_DEP_1)
	v_add3_u32 v1, v3, v1, 0x80fffff
                                        ; implicit-def: $vgpr3
	v_lshrrev_b32_e32 v1, 21, v1
; %bb.1818:
	s_and_not1_saveexec_b32 s12, s12
; %bb.1819:
	v_add_f32_e32 v1, 0x43000000, v3
; %bb.1820:
	s_or_b32 exec_lo, exec_lo, s12
                                        ; implicit-def: $vgpr3
.LBB388_1821:
	s_and_not1_saveexec_b32 s11, s11
; %bb.1822:
	v_mov_b32_e32 v1, 0x7f
	v_cmp_lt_u32_e32 vcc_lo, 0x7f800000, v3
	s_delay_alu instid0(VALU_DEP_2)
	v_cndmask_b32_e32 v1, 0x7c, v1, vcc_lo
; %bb.1823:
	s_or_b32 exec_lo, exec_lo, s11
	global_store_b8 v[4:5], v1, off
.LBB388_1824:
	s_mov_b32 s11, 0
	s_mov_b32 s12, -1
.LBB388_1825:
	s_and_not1_b32 vcc_lo, exec_lo, s11
	s_mov_b32 s11, 0
	s_cbranch_vccnz .LBB388_1832
; %bb.1826:
	s_cmp_gt_i32 s7, 14
	s_mov_b32 s11, -1
	s_cbranch_scc0 .LBB388_1830
; %bb.1827:
	s_cmp_eq_u32 s7, 15
	s_mov_b32 s0, -1
	s_cbranch_scc0 .LBB388_1829
; %bb.1828:
	s_wait_xcnt 0x0
	v_cndmask_b32_e64 v1, 0, 1.0, s10
	s_mov_b32 s0, 0
	s_mov_b32 s12, -1
	s_delay_alu instid0(VALU_DEP_1) | instskip(NEXT) | instid1(VALU_DEP_1)
	v_bfe_u32 v3, v1, 16, 1
	v_add3_u32 v1, v1, v3, 0x7fff
	global_store_d16_hi_b16 v[4:5], v1, off
.LBB388_1829:
	s_mov_b32 s11, 0
.LBB388_1830:
	s_delay_alu instid0(SALU_CYCLE_1)
	s_and_b32 vcc_lo, exec_lo, s11
	s_mov_b32 s11, 0
	s_cbranch_vccz .LBB388_1832
; %bb.1831:
	s_cmp_lg_u32 s7, 11
	s_mov_b32 s11, -1
	s_cselect_b32 s0, -1, 0
.LBB388_1832:
	s_delay_alu instid0(SALU_CYCLE_1)
	s_and_b32 vcc_lo, exec_lo, s0
	s_cbranch_vccnz .LBB388_2126
; %bb.1833:
	s_and_not1_b32 vcc_lo, exec_lo, s11
	s_cbranch_vccnz .LBB388_1835
.LBB388_1834:
	s_wait_xcnt 0x0
	v_cndmask_b32_e64 v1, 0, 1, s10
	s_mov_b32 s12, -1
	global_store_b8 v[4:5], v1, off
.LBB388_1835:
	s_mov_b32 s0, 0
	s_branch .LBB388_1837
.LBB388_1836:
	s_mov_b32 s0, -1
	s_mov_b32 s12, 0
.LBB388_1837:
	s_and_b32 vcc_lo, exec_lo, s0
	s_cbranch_vccz .LBB388_1876
; %bb.1838:
	s_cmp_lt_i32 s7, 5
	s_mov_b32 s0, -1
	s_cbranch_scc1 .LBB388_1859
; %bb.1839:
	s_cmp_lt_i32 s7, 8
	s_cbranch_scc1 .LBB388_1849
; %bb.1840:
	s_cmp_lt_i32 s7, 9
	s_cbranch_scc1 .LBB388_1846
; %bb.1841:
	s_cmp_gt_i32 s7, 9
	s_cbranch_scc0 .LBB388_1843
; %bb.1842:
	s_wait_xcnt 0x0
	v_cndmask_b32_e64 v1, 0, 1, s10
	v_mov_b32_e32 v14, 0
	s_mov_b32 s0, 0
	s_delay_alu instid0(VALU_DEP_2) | instskip(NEXT) | instid1(VALU_DEP_2)
	v_cvt_f64_u32_e32 v[12:13], v1
	v_mov_b32_e32 v15, v14
	global_store_b128 v[4:5], v[12:15], off
.LBB388_1843:
	s_and_not1_b32 vcc_lo, exec_lo, s0
	s_cbranch_vccnz .LBB388_1845
; %bb.1844:
	s_wait_xcnt 0x0
	v_cndmask_b32_e64 v6, 0, 1.0, s10
	v_mov_b32_e32 v7, 0
	global_store_b64 v[4:5], v[6:7], off
.LBB388_1845:
	s_mov_b32 s0, 0
.LBB388_1846:
	s_delay_alu instid0(SALU_CYCLE_1)
	s_and_not1_b32 vcc_lo, exec_lo, s0
	s_cbranch_vccnz .LBB388_1848
; %bb.1847:
	s_wait_xcnt 0x0
	v_cndmask_b32_e64 v1, 0, 1.0, s10
	s_delay_alu instid0(VALU_DEP_1) | instskip(NEXT) | instid1(VALU_DEP_1)
	v_cvt_f16_f32_e32 v1, v1
	v_and_b32_e32 v1, 0xffff, v1
	global_store_b32 v[4:5], v1, off
.LBB388_1848:
	s_mov_b32 s0, 0
.LBB388_1849:
	s_delay_alu instid0(SALU_CYCLE_1)
	s_and_not1_b32 vcc_lo, exec_lo, s0
	s_cbranch_vccnz .LBB388_1858
; %bb.1850:
	s_cmp_lt_i32 s7, 6
	s_mov_b32 s0, -1
	s_cbranch_scc1 .LBB388_1856
; %bb.1851:
	s_cmp_gt_i32 s7, 6
	s_cbranch_scc0 .LBB388_1853
; %bb.1852:
	s_wait_xcnt 0x0
	v_cndmask_b32_e64 v1, 0, 1, s10
	s_mov_b32 s0, 0
	s_delay_alu instid0(VALU_DEP_1)
	v_cvt_f64_u32_e32 v[6:7], v1
	global_store_b64 v[4:5], v[6:7], off
.LBB388_1853:
	s_and_not1_b32 vcc_lo, exec_lo, s0
	s_cbranch_vccnz .LBB388_1855
; %bb.1854:
	s_wait_xcnt 0x0
	v_cndmask_b32_e64 v1, 0, 1.0, s10
	global_store_b32 v[4:5], v1, off
.LBB388_1855:
	s_mov_b32 s0, 0
.LBB388_1856:
	s_delay_alu instid0(SALU_CYCLE_1)
	s_and_not1_b32 vcc_lo, exec_lo, s0
	s_cbranch_vccnz .LBB388_1858
; %bb.1857:
	s_wait_xcnt 0x0
	v_cndmask_b32_e64 v1, 0, 1.0, s10
	s_delay_alu instid0(VALU_DEP_1)
	v_cvt_f16_f32_e32 v1, v1
	global_store_b16 v[4:5], v1, off
.LBB388_1858:
	s_mov_b32 s0, 0
.LBB388_1859:
	s_delay_alu instid0(SALU_CYCLE_1)
	s_and_not1_b32 vcc_lo, exec_lo, s0
	s_cbranch_vccnz .LBB388_1875
; %bb.1860:
	s_cmp_lt_i32 s7, 2
	s_mov_b32 s0, -1
	s_cbranch_scc1 .LBB388_1870
; %bb.1861:
	s_cmp_lt_i32 s7, 3
	s_cbranch_scc1 .LBB388_1867
; %bb.1862:
	s_cmp_gt_i32 s7, 3
	s_cbranch_scc0 .LBB388_1864
; %bb.1863:
	s_mov_b32 s0, 0
	s_wait_xcnt 0x0
	v_cndmask_b32_e64 v6, 0, 1, s10
	v_mov_b32_e32 v7, s0
	global_store_b64 v[4:5], v[6:7], off
.LBB388_1864:
	s_and_not1_b32 vcc_lo, exec_lo, s0
	s_cbranch_vccnz .LBB388_1866
; %bb.1865:
	s_wait_xcnt 0x0
	v_cndmask_b32_e64 v1, 0, 1, s10
	global_store_b32 v[4:5], v1, off
.LBB388_1866:
	s_mov_b32 s0, 0
.LBB388_1867:
	s_delay_alu instid0(SALU_CYCLE_1)
	s_and_not1_b32 vcc_lo, exec_lo, s0
	s_cbranch_vccnz .LBB388_1869
; %bb.1868:
	s_wait_xcnt 0x0
	v_cndmask_b32_e64 v1, 0, 1, s10
	global_store_b16 v[4:5], v1, off
.LBB388_1869:
	s_mov_b32 s0, 0
.LBB388_1870:
	s_delay_alu instid0(SALU_CYCLE_1)
	s_and_not1_b32 vcc_lo, exec_lo, s0
	s_cbranch_vccnz .LBB388_1875
; %bb.1871:
	s_wait_xcnt 0x0
	v_cndmask_b32_e64 v1, 0, 1, s10
	s_cmp_gt_i32 s7, 0
	s_mov_b32 s0, -1
	s_cbranch_scc0 .LBB388_1873
; %bb.1872:
	s_mov_b32 s0, 0
	global_store_b8 v[4:5], v1, off
.LBB388_1873:
	s_and_not1_b32 vcc_lo, exec_lo, s0
	s_cbranch_vccnz .LBB388_1875
; %bb.1874:
	global_store_b8 v[4:5], v1, off
.LBB388_1875:
	s_mov_b32 s12, -1
.LBB388_1876:
	s_delay_alu instid0(SALU_CYCLE_1)
	s_and_not1_b32 vcc_lo, exec_lo, s12
	s_cbranch_vccnz .LBB388_2072
; %bb.1877:
	s_wait_xcnt 0x0
	v_and_b32_e32 v1, 0xff, v10
	v_mov_b32_e32 v3, 0
	s_delay_alu instid0(VALU_DEP_2) | instskip(NEXT) | instid1(VALU_DEP_2)
	v_cmp_ne_u16_e32 vcc_lo, s6, v1
	v_add_nc_u64_e32 v[2:3], s[4:5], v[2:3]
	s_xor_b32 s10, s3, vcc_lo
	s_cmp_lt_i32 s7, 11
	s_cbranch_scc1 .LBB388_1955
; %bb.1878:
	s_mov_b32 s13, -1
	s_mov_b32 s11, 0
	s_cmp_gt_i32 s7, 25
	s_mov_b32 s12, 0
	s_mov_b32 s0, 0
	s_cbranch_scc0 .LBB388_1911
; %bb.1879:
	s_cmp_gt_i32 s7, 28
	s_cbranch_scc0 .LBB388_1894
; %bb.1880:
	s_cmp_gt_i32 s7, 43
	s_cbranch_scc0 .LBB388_1890
; %bb.1881:
	s_cmp_gt_i32 s7, 45
	s_cbranch_scc0 .LBB388_1884
; %bb.1882:
	s_mov_b32 s0, -1
	s_mov_b32 s13, 0
	s_cmp_eq_u32 s7, 46
	s_cbranch_scc0 .LBB388_1884
; %bb.1883:
	v_cndmask_b32_e64 v1, 0, 1.0, s10
	s_mov_b32 s0, 0
	s_mov_b32 s12, -1
	s_delay_alu instid0(VALU_DEP_1) | instskip(NEXT) | instid1(VALU_DEP_1)
	v_bfe_u32 v4, v1, 16, 1
	v_add3_u32 v1, v1, v4, 0x7fff
	s_delay_alu instid0(VALU_DEP_1)
	v_lshrrev_b32_e32 v1, 16, v1
	global_store_b32 v[2:3], v1, off
.LBB388_1884:
	s_and_b32 vcc_lo, exec_lo, s13
	s_cbranch_vccz .LBB388_1889
; %bb.1885:
	s_cmp_eq_u32 s7, 44
	s_mov_b32 s0, -1
	s_cbranch_scc0 .LBB388_1889
; %bb.1886:
	v_cndmask_b32_e64 v5, 0, 1.0, s10
	s_mov_b32 s12, exec_lo
	s_wait_xcnt 0x0
	s_delay_alu instid0(VALU_DEP_1) | instskip(NEXT) | instid1(VALU_DEP_1)
	v_dual_mov_b32 v4, 0xff :: v_dual_lshrrev_b32 v1, 23, v5
	v_cmpx_ne_u32_e32 0xff, v1
; %bb.1887:
	v_and_b32_e32 v4, 0x400000, v5
	v_and_or_b32 v5, 0x3fffff, v5, v1
	s_delay_alu instid0(VALU_DEP_2) | instskip(NEXT) | instid1(VALU_DEP_2)
	v_cmp_ne_u32_e32 vcc_lo, 0, v4
	v_cmp_ne_u32_e64 s0, 0, v5
	s_and_b32 s0, vcc_lo, s0
	s_delay_alu instid0(SALU_CYCLE_1) | instskip(NEXT) | instid1(VALU_DEP_1)
	v_cndmask_b32_e64 v4, 0, 1, s0
	v_add_nc_u32_e32 v4, v1, v4
; %bb.1888:
	s_or_b32 exec_lo, exec_lo, s12
	s_mov_b32 s0, 0
	s_mov_b32 s12, -1
	global_store_b8 v[2:3], v4, off
.LBB388_1889:
	s_mov_b32 s13, 0
.LBB388_1890:
	s_delay_alu instid0(SALU_CYCLE_1)
	s_and_b32 vcc_lo, exec_lo, s13
	s_cbranch_vccz .LBB388_1893
; %bb.1891:
	s_cmp_eq_u32 s7, 29
	s_mov_b32 s0, -1
	s_cbranch_scc0 .LBB388_1893
; %bb.1892:
	s_mov_b32 s0, 0
	s_wait_xcnt 0x0
	v_cndmask_b32_e64 v4, 0, 1, s10
	v_mov_b32_e32 v5, s0
	s_mov_b32 s12, -1
	global_store_b64 v[2:3], v[4:5], off
.LBB388_1893:
	s_mov_b32 s13, 0
.LBB388_1894:
	s_delay_alu instid0(SALU_CYCLE_1)
	s_and_b32 vcc_lo, exec_lo, s13
	s_cbranch_vccz .LBB388_1910
; %bb.1895:
	s_cmp_lt_i32 s7, 27
	s_mov_b32 s12, -1
	s_cbranch_scc1 .LBB388_1901
; %bb.1896:
	s_cmp_gt_i32 s7, 27
	s_cbranch_scc0 .LBB388_1898
; %bb.1897:
	s_wait_xcnt 0x0
	v_cndmask_b32_e64 v1, 0, 1, s10
	s_mov_b32 s12, 0
	global_store_b32 v[2:3], v1, off
.LBB388_1898:
	s_and_not1_b32 vcc_lo, exec_lo, s12
	s_cbranch_vccnz .LBB388_1900
; %bb.1899:
	s_wait_xcnt 0x0
	v_cndmask_b32_e64 v1, 0, 1, s10
	global_store_b16 v[2:3], v1, off
.LBB388_1900:
	s_mov_b32 s12, 0
.LBB388_1901:
	s_delay_alu instid0(SALU_CYCLE_1)
	s_and_not1_b32 vcc_lo, exec_lo, s12
	s_cbranch_vccnz .LBB388_1909
; %bb.1902:
	s_wait_xcnt 0x0
	v_cndmask_b32_e64 v4, 0, 1.0, s10
	v_mov_b32_e32 v5, 0x80
	s_mov_b32 s12, exec_lo
	s_delay_alu instid0(VALU_DEP_2)
	v_cmpx_gt_u32_e32 0x43800000, v4
	s_cbranch_execz .LBB388_1908
; %bb.1903:
	s_mov_b32 s13, 0
	s_mov_b32 s14, exec_lo
                                        ; implicit-def: $vgpr1
	v_cmpx_lt_u32_e32 0x3bffffff, v4
	s_xor_b32 s14, exec_lo, s14
	s_cbranch_execz .LBB388_2129
; %bb.1904:
	v_bfe_u32 v1, v4, 20, 1
	s_mov_b32 s13, exec_lo
	s_delay_alu instid0(VALU_DEP_1) | instskip(NEXT) | instid1(VALU_DEP_1)
	v_add3_u32 v1, v4, v1, 0x487ffff
                                        ; implicit-def: $vgpr4
	v_lshrrev_b32_e32 v1, 20, v1
	s_and_not1_saveexec_b32 s14, s14
	s_cbranch_execnz .LBB388_2130
.LBB388_1905:
	s_or_b32 exec_lo, exec_lo, s14
	v_mov_b32_e32 v5, 0
	s_and_saveexec_b32 s14, s13
.LBB388_1906:
	v_mov_b32_e32 v5, v1
.LBB388_1907:
	s_or_b32 exec_lo, exec_lo, s14
.LBB388_1908:
	s_delay_alu instid0(SALU_CYCLE_1)
	s_or_b32 exec_lo, exec_lo, s12
	global_store_b8 v[2:3], v5, off
.LBB388_1909:
	s_mov_b32 s12, -1
.LBB388_1910:
	s_mov_b32 s13, 0
.LBB388_1911:
	s_delay_alu instid0(SALU_CYCLE_1)
	s_and_b32 vcc_lo, exec_lo, s13
	s_cbranch_vccz .LBB388_1951
; %bb.1912:
	s_cmp_gt_i32 s7, 22
	s_mov_b32 s11, -1
	s_cbranch_scc0 .LBB388_1944
; %bb.1913:
	s_cmp_lt_i32 s7, 24
	s_cbranch_scc1 .LBB388_1933
; %bb.1914:
	s_cmp_gt_i32 s7, 24
	s_cbranch_scc0 .LBB388_1922
; %bb.1915:
	s_wait_xcnt 0x0
	v_cndmask_b32_e64 v4, 0, 1.0, s10
	v_mov_b32_e32 v5, 0x80
	s_mov_b32 s11, exec_lo
	s_delay_alu instid0(VALU_DEP_2)
	v_cmpx_gt_u32_e32 0x47800000, v4
	s_cbranch_execz .LBB388_1921
; %bb.1916:
	s_mov_b32 s12, 0
	s_mov_b32 s13, exec_lo
                                        ; implicit-def: $vgpr1
	v_cmpx_lt_u32_e32 0x37ffffff, v4
	s_xor_b32 s13, exec_lo, s13
	s_cbranch_execz .LBB388_2132
; %bb.1917:
	v_bfe_u32 v1, v4, 21, 1
	s_mov_b32 s12, exec_lo
	s_delay_alu instid0(VALU_DEP_1) | instskip(NEXT) | instid1(VALU_DEP_1)
	v_add3_u32 v1, v4, v1, 0x88fffff
                                        ; implicit-def: $vgpr4
	v_lshrrev_b32_e32 v1, 21, v1
	s_and_not1_saveexec_b32 s13, s13
	s_cbranch_execnz .LBB388_2133
.LBB388_1918:
	s_or_b32 exec_lo, exec_lo, s13
	v_mov_b32_e32 v5, 0
	s_and_saveexec_b32 s13, s12
.LBB388_1919:
	v_mov_b32_e32 v5, v1
.LBB388_1920:
	s_or_b32 exec_lo, exec_lo, s13
.LBB388_1921:
	s_delay_alu instid0(SALU_CYCLE_1)
	s_or_b32 exec_lo, exec_lo, s11
	s_mov_b32 s11, 0
	global_store_b8 v[2:3], v5, off
.LBB388_1922:
	s_and_b32 vcc_lo, exec_lo, s11
	s_cbranch_vccz .LBB388_1932
; %bb.1923:
	s_wait_xcnt 0x0
	v_cndmask_b32_e64 v4, 0, 1.0, s10
	s_mov_b32 s11, exec_lo
                                        ; implicit-def: $vgpr1
	s_delay_alu instid0(VALU_DEP_1)
	v_cmpx_gt_u32_e32 0x43f00000, v4
	s_xor_b32 s11, exec_lo, s11
	s_cbranch_execz .LBB388_1929
; %bb.1924:
	s_mov_b32 s12, exec_lo
                                        ; implicit-def: $vgpr1
	v_cmpx_lt_u32_e32 0x3c7fffff, v4
	s_xor_b32 s12, exec_lo, s12
; %bb.1925:
	v_bfe_u32 v1, v4, 20, 1
	s_delay_alu instid0(VALU_DEP_1) | instskip(NEXT) | instid1(VALU_DEP_1)
	v_add3_u32 v1, v4, v1, 0x407ffff
	v_and_b32_e32 v4, 0xff00000, v1
	v_lshrrev_b32_e32 v1, 20, v1
	s_delay_alu instid0(VALU_DEP_2) | instskip(NEXT) | instid1(VALU_DEP_2)
	v_cmp_ne_u32_e32 vcc_lo, 0x7f00000, v4
                                        ; implicit-def: $vgpr4
	v_cndmask_b32_e32 v1, 0x7e, v1, vcc_lo
; %bb.1926:
	s_and_not1_saveexec_b32 s12, s12
; %bb.1927:
	v_add_f32_e32 v1, 0x46800000, v4
; %bb.1928:
	s_or_b32 exec_lo, exec_lo, s12
                                        ; implicit-def: $vgpr4
.LBB388_1929:
	s_and_not1_saveexec_b32 s11, s11
; %bb.1930:
	v_mov_b32_e32 v1, 0x7f
	v_cmp_lt_u32_e32 vcc_lo, 0x7f800000, v4
	s_delay_alu instid0(VALU_DEP_2)
	v_cndmask_b32_e32 v1, 0x7e, v1, vcc_lo
; %bb.1931:
	s_or_b32 exec_lo, exec_lo, s11
	global_store_b8 v[2:3], v1, off
.LBB388_1932:
	s_mov_b32 s11, 0
.LBB388_1933:
	s_delay_alu instid0(SALU_CYCLE_1)
	s_and_not1_b32 vcc_lo, exec_lo, s11
	s_cbranch_vccnz .LBB388_1943
; %bb.1934:
	s_wait_xcnt 0x0
	v_cndmask_b32_e64 v4, 0, 1.0, s10
	s_mov_b32 s11, exec_lo
                                        ; implicit-def: $vgpr1
	s_delay_alu instid0(VALU_DEP_1)
	v_cmpx_gt_u32_e32 0x47800000, v4
	s_xor_b32 s11, exec_lo, s11
	s_cbranch_execz .LBB388_1940
; %bb.1935:
	s_mov_b32 s12, exec_lo
                                        ; implicit-def: $vgpr1
	v_cmpx_lt_u32_e32 0x387fffff, v4
	s_xor_b32 s12, exec_lo, s12
; %bb.1936:
	v_bfe_u32 v1, v4, 21, 1
	s_delay_alu instid0(VALU_DEP_1) | instskip(NEXT) | instid1(VALU_DEP_1)
	v_add3_u32 v1, v4, v1, 0x80fffff
                                        ; implicit-def: $vgpr4
	v_lshrrev_b32_e32 v1, 21, v1
; %bb.1937:
	s_and_not1_saveexec_b32 s12, s12
; %bb.1938:
	v_add_f32_e32 v1, 0x43000000, v4
; %bb.1939:
	s_or_b32 exec_lo, exec_lo, s12
                                        ; implicit-def: $vgpr4
.LBB388_1940:
	s_and_not1_saveexec_b32 s11, s11
; %bb.1941:
	v_mov_b32_e32 v1, 0x7f
	v_cmp_lt_u32_e32 vcc_lo, 0x7f800000, v4
	s_delay_alu instid0(VALU_DEP_2)
	v_cndmask_b32_e32 v1, 0x7c, v1, vcc_lo
; %bb.1942:
	s_or_b32 exec_lo, exec_lo, s11
	global_store_b8 v[2:3], v1, off
.LBB388_1943:
	s_mov_b32 s11, 0
	s_mov_b32 s12, -1
.LBB388_1944:
	s_and_not1_b32 vcc_lo, exec_lo, s11
	s_mov_b32 s11, 0
	s_cbranch_vccnz .LBB388_1951
; %bb.1945:
	s_cmp_gt_i32 s7, 14
	s_mov_b32 s11, -1
	s_cbranch_scc0 .LBB388_1949
; %bb.1946:
	s_cmp_eq_u32 s7, 15
	s_mov_b32 s0, -1
	s_cbranch_scc0 .LBB388_1948
; %bb.1947:
	s_wait_xcnt 0x0
	v_cndmask_b32_e64 v1, 0, 1.0, s10
	s_mov_b32 s0, 0
	s_mov_b32 s12, -1
	s_delay_alu instid0(VALU_DEP_1) | instskip(NEXT) | instid1(VALU_DEP_1)
	v_bfe_u32 v4, v1, 16, 1
	v_add3_u32 v1, v1, v4, 0x7fff
	global_store_d16_hi_b16 v[2:3], v1, off
.LBB388_1948:
	s_mov_b32 s11, 0
.LBB388_1949:
	s_delay_alu instid0(SALU_CYCLE_1)
	s_and_b32 vcc_lo, exec_lo, s11
	s_mov_b32 s11, 0
	s_cbranch_vccz .LBB388_1951
; %bb.1950:
	s_cmp_lg_u32 s7, 11
	s_mov_b32 s11, -1
	s_cselect_b32 s0, -1, 0
.LBB388_1951:
	s_delay_alu instid0(SALU_CYCLE_1)
	s_and_b32 vcc_lo, exec_lo, s0
	s_cbranch_vccnz .LBB388_2131
; %bb.1952:
	s_and_not1_b32 vcc_lo, exec_lo, s11
	s_cbranch_vccnz .LBB388_1954
.LBB388_1953:
	s_wait_xcnt 0x0
	v_cndmask_b32_e64 v1, 0, 1, s10
	s_mov_b32 s12, -1
	global_store_b8 v[2:3], v1, off
.LBB388_1954:
	s_mov_b32 s0, 0
	s_branch .LBB388_1956
.LBB388_1955:
	s_mov_b32 s0, -1
	s_mov_b32 s12, 0
.LBB388_1956:
	s_and_b32 vcc_lo, exec_lo, s0
	s_cbranch_vccz .LBB388_1995
; %bb.1957:
	s_cmp_lt_i32 s7, 5
	s_mov_b32 s0, -1
	s_cbranch_scc1 .LBB388_1978
; %bb.1958:
	s_cmp_lt_i32 s7, 8
	s_cbranch_scc1 .LBB388_1968
; %bb.1959:
	s_cmp_lt_i32 s7, 9
	s_cbranch_scc1 .LBB388_1965
; %bb.1960:
	s_cmp_gt_i32 s7, 9
	s_cbranch_scc0 .LBB388_1962
; %bb.1961:
	s_wait_xcnt 0x0
	v_cndmask_b32_e64 v1, 0, 1, s10
	v_mov_b32_e32 v6, 0
	s_mov_b32 s0, 0
	s_delay_alu instid0(VALU_DEP_2) | instskip(NEXT) | instid1(VALU_DEP_2)
	v_cvt_f64_u32_e32 v[4:5], v1
	v_mov_b32_e32 v7, v6
	global_store_b128 v[2:3], v[4:7], off
.LBB388_1962:
	s_and_not1_b32 vcc_lo, exec_lo, s0
	s_cbranch_vccnz .LBB388_1964
; %bb.1963:
	s_wait_xcnt 0x0
	v_cndmask_b32_e64 v4, 0, 1.0, s10
	v_mov_b32_e32 v5, 0
	global_store_b64 v[2:3], v[4:5], off
.LBB388_1964:
	s_mov_b32 s0, 0
.LBB388_1965:
	s_delay_alu instid0(SALU_CYCLE_1)
	s_and_not1_b32 vcc_lo, exec_lo, s0
	s_cbranch_vccnz .LBB388_1967
; %bb.1966:
	s_wait_xcnt 0x0
	v_cndmask_b32_e64 v1, 0, 1.0, s10
	s_delay_alu instid0(VALU_DEP_1) | instskip(NEXT) | instid1(VALU_DEP_1)
	v_cvt_f16_f32_e32 v1, v1
	v_and_b32_e32 v1, 0xffff, v1
	global_store_b32 v[2:3], v1, off
.LBB388_1967:
	s_mov_b32 s0, 0
.LBB388_1968:
	s_delay_alu instid0(SALU_CYCLE_1)
	s_and_not1_b32 vcc_lo, exec_lo, s0
	s_cbranch_vccnz .LBB388_1977
; %bb.1969:
	s_cmp_lt_i32 s7, 6
	s_mov_b32 s0, -1
	s_cbranch_scc1 .LBB388_1975
; %bb.1970:
	s_cmp_gt_i32 s7, 6
	s_cbranch_scc0 .LBB388_1972
; %bb.1971:
	s_wait_xcnt 0x0
	v_cndmask_b32_e64 v1, 0, 1, s10
	s_mov_b32 s0, 0
	s_delay_alu instid0(VALU_DEP_1)
	v_cvt_f64_u32_e32 v[4:5], v1
	global_store_b64 v[2:3], v[4:5], off
.LBB388_1972:
	s_and_not1_b32 vcc_lo, exec_lo, s0
	s_cbranch_vccnz .LBB388_1974
; %bb.1973:
	s_wait_xcnt 0x0
	v_cndmask_b32_e64 v1, 0, 1.0, s10
	global_store_b32 v[2:3], v1, off
.LBB388_1974:
	s_mov_b32 s0, 0
.LBB388_1975:
	s_delay_alu instid0(SALU_CYCLE_1)
	s_and_not1_b32 vcc_lo, exec_lo, s0
	s_cbranch_vccnz .LBB388_1977
; %bb.1976:
	s_wait_xcnt 0x0
	v_cndmask_b32_e64 v1, 0, 1.0, s10
	s_delay_alu instid0(VALU_DEP_1)
	v_cvt_f16_f32_e32 v1, v1
	global_store_b16 v[2:3], v1, off
.LBB388_1977:
	s_mov_b32 s0, 0
.LBB388_1978:
	s_delay_alu instid0(SALU_CYCLE_1)
	s_and_not1_b32 vcc_lo, exec_lo, s0
	s_cbranch_vccnz .LBB388_1994
; %bb.1979:
	s_cmp_lt_i32 s7, 2
	s_mov_b32 s0, -1
	s_cbranch_scc1 .LBB388_1989
; %bb.1980:
	s_cmp_lt_i32 s7, 3
	s_cbranch_scc1 .LBB388_1986
; %bb.1981:
	s_cmp_gt_i32 s7, 3
	s_cbranch_scc0 .LBB388_1983
; %bb.1982:
	s_mov_b32 s0, 0
	s_wait_xcnt 0x0
	v_cndmask_b32_e64 v4, 0, 1, s10
	v_mov_b32_e32 v5, s0
	global_store_b64 v[2:3], v[4:5], off
.LBB388_1983:
	s_and_not1_b32 vcc_lo, exec_lo, s0
	s_cbranch_vccnz .LBB388_1985
; %bb.1984:
	s_wait_xcnt 0x0
	v_cndmask_b32_e64 v1, 0, 1, s10
	global_store_b32 v[2:3], v1, off
.LBB388_1985:
	s_mov_b32 s0, 0
.LBB388_1986:
	s_delay_alu instid0(SALU_CYCLE_1)
	s_and_not1_b32 vcc_lo, exec_lo, s0
	s_cbranch_vccnz .LBB388_1988
; %bb.1987:
	s_wait_xcnt 0x0
	v_cndmask_b32_e64 v1, 0, 1, s10
	global_store_b16 v[2:3], v1, off
.LBB388_1988:
	s_mov_b32 s0, 0
.LBB388_1989:
	s_delay_alu instid0(SALU_CYCLE_1)
	s_and_not1_b32 vcc_lo, exec_lo, s0
	s_cbranch_vccnz .LBB388_1994
; %bb.1990:
	s_cmp_gt_i32 s7, 0
	s_mov_b32 s0, -1
	s_cbranch_scc0 .LBB388_1992
; %bb.1991:
	s_wait_xcnt 0x0
	v_cndmask_b32_e64 v1, 0, 1, s10
	s_mov_b32 s0, 0
	global_store_b8 v[2:3], v1, off
.LBB388_1992:
	s_and_not1_b32 vcc_lo, exec_lo, s0
	s_cbranch_vccnz .LBB388_1994
; %bb.1993:
	s_wait_xcnt 0x0
	v_cndmask_b32_e64 v1, 0, 1, s10
	global_store_b8 v[2:3], v1, off
.LBB388_1994:
	s_mov_b32 s12, -1
.LBB388_1995:
	s_delay_alu instid0(SALU_CYCLE_1)
	s_and_not1_b32 vcc_lo, exec_lo, s12
	s_cbranch_vccnz .LBB388_2072
; %bb.1996:
	s_wait_xcnt 0x0
	v_and_b32_e32 v2, 0xff, v8
	v_mov_b32_e32 v1, 0
	s_delay_alu instid0(VALU_DEP_2) | instskip(NEXT) | instid1(VALU_DEP_2)
	v_cmp_ne_u16_e32 vcc_lo, s6, v2
	v_add_nc_u64_e32 v[2:3], s[4:5], v[0:1]
	s_xor_b32 s4, s3, vcc_lo
	s_cmp_lt_i32 s7, 11
	s_cbranch_scc1 .LBB388_2117
; %bb.1997:
	s_mov_b32 s5, -1
	s_mov_b32 s3, 0
	s_cmp_gt_i32 s7, 25
	s_mov_b32 s0, 0
	s_cbranch_scc0 .LBB388_2030
; %bb.1998:
	s_cmp_gt_i32 s7, 28
	s_cbranch_scc0 .LBB388_2014
; %bb.1999:
	s_cmp_gt_i32 s7, 43
	;; [unrolled: 3-line block ×3, first 2 shown]
	s_cbranch_scc0 .LBB388_2004
; %bb.2001:
	s_cmp_eq_u32 s7, 46
	s_mov_b32 s0, -1
	s_cbranch_scc0 .LBB388_2003
; %bb.2002:
	v_cndmask_b32_e64 v0, 0, 1.0, s4
	s_mov_b32 s0, 0
	s_delay_alu instid0(VALU_DEP_1) | instskip(NEXT) | instid1(VALU_DEP_1)
	v_bfe_u32 v1, v0, 16, 1
	v_add3_u32 v0, v0, v1, 0x7fff
	s_delay_alu instid0(VALU_DEP_1)
	v_lshrrev_b32_e32 v0, 16, v0
	global_store_b32 v[2:3], v0, off
.LBB388_2003:
	s_mov_b32 s5, 0
.LBB388_2004:
	s_delay_alu instid0(SALU_CYCLE_1)
	s_and_b32 vcc_lo, exec_lo, s5
	s_cbranch_vccz .LBB388_2009
; %bb.2005:
	s_cmp_eq_u32 s7, 44
	s_mov_b32 s0, -1
	s_cbranch_scc0 .LBB388_2009
; %bb.2006:
	v_cndmask_b32_e64 v4, 0, 1.0, s4
	s_mov_b32 s5, exec_lo
	s_wait_xcnt 0x0
	s_delay_alu instid0(VALU_DEP_1) | instskip(NEXT) | instid1(VALU_DEP_1)
	v_dual_mov_b32 v1, 0xff :: v_dual_lshrrev_b32 v0, 23, v4
	v_cmpx_ne_u32_e32 0xff, v0
; %bb.2007:
	v_and_b32_e32 v1, 0x400000, v4
	v_and_or_b32 v4, 0x3fffff, v4, v0
	s_delay_alu instid0(VALU_DEP_2) | instskip(NEXT) | instid1(VALU_DEP_2)
	v_cmp_ne_u32_e32 vcc_lo, 0, v1
	v_cmp_ne_u32_e64 s0, 0, v4
	s_and_b32 s0, vcc_lo, s0
	s_delay_alu instid0(SALU_CYCLE_1) | instskip(NEXT) | instid1(VALU_DEP_1)
	v_cndmask_b32_e64 v1, 0, 1, s0
	v_add_nc_u32_e32 v1, v0, v1
; %bb.2008:
	s_or_b32 exec_lo, exec_lo, s5
	s_mov_b32 s0, 0
	global_store_b8 v[2:3], v1, off
.LBB388_2009:
	s_mov_b32 s5, 0
.LBB388_2010:
	s_delay_alu instid0(SALU_CYCLE_1)
	s_and_b32 vcc_lo, exec_lo, s5
	s_cbranch_vccz .LBB388_2013
; %bb.2011:
	s_cmp_eq_u32 s7, 29
	s_mov_b32 s0, -1
	s_cbranch_scc0 .LBB388_2013
; %bb.2012:
	s_mov_b32 s0, 0
	s_wait_xcnt 0x0
	v_cndmask_b32_e64 v0, 0, 1, s4
	v_mov_b32_e32 v1, s0
	global_store_b64 v[2:3], v[0:1], off
.LBB388_2013:
	s_mov_b32 s5, 0
.LBB388_2014:
	s_delay_alu instid0(SALU_CYCLE_1)
	s_and_b32 vcc_lo, exec_lo, s5
	s_cbranch_vccz .LBB388_2029
; %bb.2015:
	s_cmp_lt_i32 s7, 27
	s_mov_b32 s5, -1
	s_cbranch_scc1 .LBB388_2021
; %bb.2016:
	s_cmp_gt_i32 s7, 27
	s_cbranch_scc0 .LBB388_2018
; %bb.2017:
	s_wait_xcnt 0x0
	v_cndmask_b32_e64 v0, 0, 1, s4
	s_mov_b32 s5, 0
	global_store_b32 v[2:3], v0, off
.LBB388_2018:
	s_and_not1_b32 vcc_lo, exec_lo, s5
	s_cbranch_vccnz .LBB388_2020
; %bb.2019:
	s_wait_xcnt 0x0
	v_cndmask_b32_e64 v0, 0, 1, s4
	global_store_b16 v[2:3], v0, off
.LBB388_2020:
	s_mov_b32 s5, 0
.LBB388_2021:
	s_delay_alu instid0(SALU_CYCLE_1)
	s_and_not1_b32 vcc_lo, exec_lo, s5
	s_cbranch_vccnz .LBB388_2029
; %bb.2022:
	s_wait_xcnt 0x0
	v_cndmask_b32_e64 v1, 0, 1.0, s4
	v_mov_b32_e32 v4, 0x80
	s_mov_b32 s5, exec_lo
	s_delay_alu instid0(VALU_DEP_2)
	v_cmpx_gt_u32_e32 0x43800000, v1
	s_cbranch_execz .LBB388_2028
; %bb.2023:
	s_mov_b32 s6, 0
	s_mov_b32 s10, exec_lo
                                        ; implicit-def: $vgpr0
	v_cmpx_lt_u32_e32 0x3bffffff, v1
	s_xor_b32 s10, exec_lo, s10
	s_cbranch_execz .LBB388_2134
; %bb.2024:
	v_bfe_u32 v0, v1, 20, 1
	s_mov_b32 s6, exec_lo
	s_delay_alu instid0(VALU_DEP_1) | instskip(NEXT) | instid1(VALU_DEP_1)
	v_add3_u32 v0, v1, v0, 0x487ffff
                                        ; implicit-def: $vgpr1
	v_lshrrev_b32_e32 v0, 20, v0
	s_and_not1_saveexec_b32 s10, s10
	s_cbranch_execnz .LBB388_2135
.LBB388_2025:
	s_or_b32 exec_lo, exec_lo, s10
	v_mov_b32_e32 v4, 0
	s_and_saveexec_b32 s10, s6
.LBB388_2026:
	v_mov_b32_e32 v4, v0
.LBB388_2027:
	s_or_b32 exec_lo, exec_lo, s10
.LBB388_2028:
	s_delay_alu instid0(SALU_CYCLE_1)
	s_or_b32 exec_lo, exec_lo, s5
	global_store_b8 v[2:3], v4, off
.LBB388_2029:
	s_mov_b32 s5, 0
.LBB388_2030:
	s_delay_alu instid0(SALU_CYCLE_1)
	s_and_b32 vcc_lo, exec_lo, s5
	s_cbranch_vccz .LBB388_2070
; %bb.2031:
	s_cmp_gt_i32 s7, 22
	s_mov_b32 s3, -1
	s_cbranch_scc0 .LBB388_2063
; %bb.2032:
	s_cmp_lt_i32 s7, 24
	s_cbranch_scc1 .LBB388_2052
; %bb.2033:
	s_cmp_gt_i32 s7, 24
	s_cbranch_scc0 .LBB388_2041
; %bb.2034:
	s_wait_xcnt 0x0
	v_cndmask_b32_e64 v1, 0, 1.0, s4
	v_mov_b32_e32 v4, 0x80
	s_mov_b32 s3, exec_lo
	s_delay_alu instid0(VALU_DEP_2)
	v_cmpx_gt_u32_e32 0x47800000, v1
	s_cbranch_execz .LBB388_2040
; %bb.2035:
	s_mov_b32 s5, 0
	s_mov_b32 s6, exec_lo
                                        ; implicit-def: $vgpr0
	v_cmpx_lt_u32_e32 0x37ffffff, v1
	s_xor_b32 s6, exec_lo, s6
	s_cbranch_execz .LBB388_2137
; %bb.2036:
	v_bfe_u32 v0, v1, 21, 1
	s_mov_b32 s5, exec_lo
	s_delay_alu instid0(VALU_DEP_1) | instskip(NEXT) | instid1(VALU_DEP_1)
	v_add3_u32 v0, v1, v0, 0x88fffff
                                        ; implicit-def: $vgpr1
	v_lshrrev_b32_e32 v0, 21, v0
	s_and_not1_saveexec_b32 s6, s6
	s_cbranch_execnz .LBB388_2138
.LBB388_2037:
	s_or_b32 exec_lo, exec_lo, s6
	v_mov_b32_e32 v4, 0
	s_and_saveexec_b32 s6, s5
.LBB388_2038:
	v_mov_b32_e32 v4, v0
.LBB388_2039:
	s_or_b32 exec_lo, exec_lo, s6
.LBB388_2040:
	s_delay_alu instid0(SALU_CYCLE_1)
	s_or_b32 exec_lo, exec_lo, s3
	s_mov_b32 s3, 0
	global_store_b8 v[2:3], v4, off
.LBB388_2041:
	s_and_b32 vcc_lo, exec_lo, s3
	s_cbranch_vccz .LBB388_2051
; %bb.2042:
	s_wait_xcnt 0x0
	v_cndmask_b32_e64 v1, 0, 1.0, s4
	s_mov_b32 s3, exec_lo
                                        ; implicit-def: $vgpr0
	s_delay_alu instid0(VALU_DEP_1)
	v_cmpx_gt_u32_e32 0x43f00000, v1
	s_xor_b32 s3, exec_lo, s3
	s_cbranch_execz .LBB388_2048
; %bb.2043:
	s_mov_b32 s5, exec_lo
                                        ; implicit-def: $vgpr0
	v_cmpx_lt_u32_e32 0x3c7fffff, v1
	s_xor_b32 s5, exec_lo, s5
; %bb.2044:
	v_bfe_u32 v0, v1, 20, 1
	s_delay_alu instid0(VALU_DEP_1) | instskip(NEXT) | instid1(VALU_DEP_1)
	v_add3_u32 v0, v1, v0, 0x407ffff
	v_and_b32_e32 v1, 0xff00000, v0
	v_lshrrev_b32_e32 v0, 20, v0
	s_delay_alu instid0(VALU_DEP_2) | instskip(NEXT) | instid1(VALU_DEP_2)
	v_cmp_ne_u32_e32 vcc_lo, 0x7f00000, v1
                                        ; implicit-def: $vgpr1
	v_cndmask_b32_e32 v0, 0x7e, v0, vcc_lo
; %bb.2045:
	s_and_not1_saveexec_b32 s5, s5
; %bb.2046:
	v_add_f32_e32 v0, 0x46800000, v1
; %bb.2047:
	s_or_b32 exec_lo, exec_lo, s5
                                        ; implicit-def: $vgpr1
.LBB388_2048:
	s_and_not1_saveexec_b32 s3, s3
; %bb.2049:
	v_mov_b32_e32 v0, 0x7f
	v_cmp_lt_u32_e32 vcc_lo, 0x7f800000, v1
	s_delay_alu instid0(VALU_DEP_2)
	v_cndmask_b32_e32 v0, 0x7e, v0, vcc_lo
; %bb.2050:
	s_or_b32 exec_lo, exec_lo, s3
	global_store_b8 v[2:3], v0, off
.LBB388_2051:
	s_mov_b32 s3, 0
.LBB388_2052:
	s_delay_alu instid0(SALU_CYCLE_1)
	s_and_not1_b32 vcc_lo, exec_lo, s3
	s_cbranch_vccnz .LBB388_2062
; %bb.2053:
	s_wait_xcnt 0x0
	v_cndmask_b32_e64 v1, 0, 1.0, s4
	s_mov_b32 s3, exec_lo
                                        ; implicit-def: $vgpr0
	s_delay_alu instid0(VALU_DEP_1)
	v_cmpx_gt_u32_e32 0x47800000, v1
	s_xor_b32 s3, exec_lo, s3
	s_cbranch_execz .LBB388_2059
; %bb.2054:
	s_mov_b32 s5, exec_lo
                                        ; implicit-def: $vgpr0
	v_cmpx_lt_u32_e32 0x387fffff, v1
	s_xor_b32 s5, exec_lo, s5
; %bb.2055:
	v_bfe_u32 v0, v1, 21, 1
	s_delay_alu instid0(VALU_DEP_1) | instskip(NEXT) | instid1(VALU_DEP_1)
	v_add3_u32 v0, v1, v0, 0x80fffff
                                        ; implicit-def: $vgpr1
	v_lshrrev_b32_e32 v0, 21, v0
; %bb.2056:
	s_and_not1_saveexec_b32 s5, s5
; %bb.2057:
	v_add_f32_e32 v0, 0x43000000, v1
; %bb.2058:
	s_or_b32 exec_lo, exec_lo, s5
                                        ; implicit-def: $vgpr1
.LBB388_2059:
	s_and_not1_saveexec_b32 s3, s3
; %bb.2060:
	v_mov_b32_e32 v0, 0x7f
	v_cmp_lt_u32_e32 vcc_lo, 0x7f800000, v1
	s_delay_alu instid0(VALU_DEP_2)
	v_cndmask_b32_e32 v0, 0x7c, v0, vcc_lo
; %bb.2061:
	s_or_b32 exec_lo, exec_lo, s3
	global_store_b8 v[2:3], v0, off
.LBB388_2062:
	s_mov_b32 s3, 0
.LBB388_2063:
	s_delay_alu instid0(SALU_CYCLE_1)
	s_and_not1_b32 vcc_lo, exec_lo, s3
	s_mov_b32 s3, 0
	s_cbranch_vccnz .LBB388_2070
; %bb.2064:
	s_cmp_gt_i32 s7, 14
	s_mov_b32 s3, -1
	s_cbranch_scc0 .LBB388_2068
; %bb.2065:
	s_cmp_eq_u32 s7, 15
	s_mov_b32 s0, -1
	s_cbranch_scc0 .LBB388_2067
; %bb.2066:
	s_wait_xcnt 0x0
	v_cndmask_b32_e64 v0, 0, 1.0, s4
	s_mov_b32 s0, 0
	s_delay_alu instid0(VALU_DEP_1) | instskip(NEXT) | instid1(VALU_DEP_1)
	v_bfe_u32 v1, v0, 16, 1
	v_add3_u32 v0, v0, v1, 0x7fff
	global_store_d16_hi_b16 v[2:3], v0, off
.LBB388_2067:
	s_mov_b32 s3, 0
.LBB388_2068:
	s_delay_alu instid0(SALU_CYCLE_1)
	s_and_b32 vcc_lo, exec_lo, s3
	s_mov_b32 s3, 0
	s_cbranch_vccz .LBB388_2070
; %bb.2069:
	s_cmp_lg_u32 s7, 11
	s_mov_b32 s3, -1
	s_cselect_b32 s0, -1, 0
.LBB388_2070:
	s_delay_alu instid0(SALU_CYCLE_1)
	s_and_b32 vcc_lo, exec_lo, s0
	s_cbranch_vccnz .LBB388_2136
.LBB388_2071:
	s_mov_b32 s0, 0
	s_branch .LBB388_2073
.LBB388_2072:
	s_mov_b32 s0, 0
	s_mov_b32 s3, 0
                                        ; implicit-def: $sgpr4
                                        ; implicit-def: $vgpr2_vgpr3
                                        ; implicit-def: $sgpr2
.LBB388_2073:
	s_and_not1_b32 s5, s8, exec_lo
	s_and_b32 s1, s1, exec_lo
	s_and_b32 s0, s0, exec_lo
	;; [unrolled: 1-line block ×3, first 2 shown]
	s_or_b32 s8, s5, s1
.LBB388_2074:
	s_wait_xcnt 0x0
	s_or_b32 exec_lo, exec_lo, s9
	s_and_saveexec_b32 s1, s8
	s_cbranch_execz .LBB388_2077
; %bb.2075:
	; divergent unreachable
	s_or_b32 exec_lo, exec_lo, s1
	s_and_saveexec_b32 s1, s3
	s_delay_alu instid0(SALU_CYCLE_1)
	s_xor_b32 s1, exec_lo, s1
	s_cbranch_execnz .LBB388_2078
.LBB388_2076:
	s_or_b32 exec_lo, exec_lo, s1
	s_and_saveexec_b32 s1, s0
	s_cbranch_execnz .LBB388_2079
	s_branch .LBB388_2116
.LBB388_2077:
	s_or_b32 exec_lo, exec_lo, s1
	s_and_saveexec_b32 s1, s3
	s_delay_alu instid0(SALU_CYCLE_1)
	s_xor_b32 s1, exec_lo, s1
	s_cbranch_execz .LBB388_2076
.LBB388_2078:
	v_cndmask_b32_e64 v0, 0, 1, s4
	global_store_b8 v[2:3], v0, off
	s_wait_xcnt 0x0
	s_or_b32 exec_lo, exec_lo, s1
	s_and_saveexec_b32 s1, s0
	s_cbranch_execz .LBB388_2116
.LBB388_2079:
	s_sext_i32_i16 s1, s2
	s_mov_b32 s0, -1
	s_cmp_lt_i32 s1, 5
	s_cbranch_scc1 .LBB388_2100
; %bb.2080:
	s_cmp_lt_i32 s1, 8
	s_cbranch_scc1 .LBB388_2090
; %bb.2081:
	;; [unrolled: 3-line block ×3, first 2 shown]
	s_cmp_gt_i32 s1, 9
	s_cbranch_scc0 .LBB388_2084
; %bb.2083:
	v_cndmask_b32_e64 v0, 0, 1, s4
	s_wait_loadcnt 0x0
	v_mov_b32_e32 v6, 0
	s_mov_b32 s0, 0
	s_delay_alu instid0(VALU_DEP_2) | instskip(NEXT) | instid1(VALU_DEP_2)
	v_cvt_f64_u32_e32 v[4:5], v0
	v_mov_b32_e32 v7, v6
	global_store_b128 v[2:3], v[4:7], off
.LBB388_2084:
	s_and_not1_b32 vcc_lo, exec_lo, s0
	s_cbranch_vccnz .LBB388_2086
; %bb.2085:
	v_cndmask_b32_e64 v0, 0, 1.0, s4
	v_mov_b32_e32 v1, 0
	global_store_b64 v[2:3], v[0:1], off
.LBB388_2086:
	s_mov_b32 s0, 0
.LBB388_2087:
	s_delay_alu instid0(SALU_CYCLE_1)
	s_and_not1_b32 vcc_lo, exec_lo, s0
	s_cbranch_vccnz .LBB388_2089
; %bb.2088:
	s_wait_xcnt 0x0
	v_cndmask_b32_e64 v0, 0, 1.0, s4
	s_delay_alu instid0(VALU_DEP_1) | instskip(NEXT) | instid1(VALU_DEP_1)
	v_cvt_f16_f32_e32 v0, v0
	v_and_b32_e32 v0, 0xffff, v0
	global_store_b32 v[2:3], v0, off
.LBB388_2089:
	s_mov_b32 s0, 0
.LBB388_2090:
	s_delay_alu instid0(SALU_CYCLE_1)
	s_and_not1_b32 vcc_lo, exec_lo, s0
	s_cbranch_vccnz .LBB388_2099
; %bb.2091:
	s_sext_i32_i16 s1, s2
	s_mov_b32 s0, -1
	s_cmp_lt_i32 s1, 6
	s_cbranch_scc1 .LBB388_2097
; %bb.2092:
	s_cmp_gt_i32 s1, 6
	s_cbranch_scc0 .LBB388_2094
; %bb.2093:
	s_wait_xcnt 0x0
	v_cndmask_b32_e64 v0, 0, 1, s4
	s_mov_b32 s0, 0
	s_delay_alu instid0(VALU_DEP_1)
	v_cvt_f64_u32_e32 v[0:1], v0
	global_store_b64 v[2:3], v[0:1], off
.LBB388_2094:
	s_and_not1_b32 vcc_lo, exec_lo, s0
	s_cbranch_vccnz .LBB388_2096
; %bb.2095:
	s_wait_xcnt 0x0
	v_cndmask_b32_e64 v0, 0, 1.0, s4
	global_store_b32 v[2:3], v0, off
.LBB388_2096:
	s_mov_b32 s0, 0
.LBB388_2097:
	s_delay_alu instid0(SALU_CYCLE_1)
	s_and_not1_b32 vcc_lo, exec_lo, s0
	s_cbranch_vccnz .LBB388_2099
; %bb.2098:
	s_wait_xcnt 0x0
	v_cndmask_b32_e64 v0, 0, 1.0, s4
	s_delay_alu instid0(VALU_DEP_1)
	v_cvt_f16_f32_e32 v0, v0
	global_store_b16 v[2:3], v0, off
.LBB388_2099:
	s_mov_b32 s0, 0
.LBB388_2100:
	s_delay_alu instid0(SALU_CYCLE_1)
	s_and_not1_b32 vcc_lo, exec_lo, s0
	s_cbranch_vccnz .LBB388_2116
; %bb.2101:
	s_sext_i32_i16 s1, s2
	s_mov_b32 s0, -1
	s_cmp_lt_i32 s1, 2
	s_cbranch_scc1 .LBB388_2111
; %bb.2102:
	s_cmp_lt_i32 s1, 3
	s_cbranch_scc1 .LBB388_2108
; %bb.2103:
	s_cmp_gt_i32 s1, 3
	s_cbranch_scc0 .LBB388_2105
; %bb.2104:
	s_mov_b32 s0, 0
	s_wait_xcnt 0x0
	v_cndmask_b32_e64 v0, 0, 1, s4
	v_mov_b32_e32 v1, s0
	global_store_b64 v[2:3], v[0:1], off
.LBB388_2105:
	s_and_not1_b32 vcc_lo, exec_lo, s0
	s_cbranch_vccnz .LBB388_2107
; %bb.2106:
	s_wait_xcnt 0x0
	v_cndmask_b32_e64 v0, 0, 1, s4
	global_store_b32 v[2:3], v0, off
.LBB388_2107:
	s_mov_b32 s0, 0
.LBB388_2108:
	s_delay_alu instid0(SALU_CYCLE_1)
	s_and_not1_b32 vcc_lo, exec_lo, s0
	s_cbranch_vccnz .LBB388_2110
; %bb.2109:
	s_wait_xcnt 0x0
	v_cndmask_b32_e64 v0, 0, 1, s4
	global_store_b16 v[2:3], v0, off
.LBB388_2110:
	s_mov_b32 s0, 0
.LBB388_2111:
	s_delay_alu instid0(SALU_CYCLE_1)
	s_and_not1_b32 vcc_lo, exec_lo, s0
	s_cbranch_vccnz .LBB388_2116
; %bb.2112:
	s_sext_i32_i16 s0, s2
	s_delay_alu instid0(SALU_CYCLE_1)
	s_cmp_gt_i32 s0, 0
	s_mov_b32 s0, -1
	s_cbranch_scc0 .LBB388_2114
; %bb.2113:
	s_wait_xcnt 0x0
	v_cndmask_b32_e64 v0, 0, 1, s4
	s_mov_b32 s0, 0
	global_store_b8 v[2:3], v0, off
.LBB388_2114:
	s_and_not1_b32 vcc_lo, exec_lo, s0
	s_cbranch_vccnz .LBB388_2116
; %bb.2115:
	s_wait_xcnt 0x0
	v_cndmask_b32_e64 v0, 0, 1, s4
	global_store_b8 v[2:3], v0, off
	s_endpgm
.LBB388_2116:
	s_endpgm
.LBB388_2117:
	s_mov_b32 s3, 0
	s_mov_b32 s0, -1
	s_branch .LBB388_2073
.LBB388_2118:
	s_or_b32 s1, s1, exec_lo
	s_trap 2
	s_cbranch_execz .LBB388_1588
	s_branch .LBB388_1589
.LBB388_2119:
	s_and_not1_saveexec_b32 s14, s14
	s_cbranch_execz .LBB388_1668
.LBB388_2120:
	v_add_f32_e32 v1, 0x46000000, v3
	s_and_not1_b32 s13, s13, exec_lo
	s_delay_alu instid0(VALU_DEP_1) | instskip(NEXT) | instid1(VALU_DEP_1)
	v_and_b32_e32 v1, 0xff, v1
	v_cmp_ne_u32_e32 vcc_lo, 0, v1
	s_and_b32 s15, vcc_lo, exec_lo
	s_delay_alu instid0(SALU_CYCLE_1)
	s_or_b32 s13, s13, s15
	s_or_b32 exec_lo, exec_lo, s14
	v_mov_b32_e32 v5, 0
	s_and_saveexec_b32 s14, s13
	s_cbranch_execnz .LBB388_1669
	s_branch .LBB388_1670
.LBB388_2121:
	s_or_b32 s1, s1, exec_lo
	s_trap 2
	s_cbranch_execz .LBB388_1716
	s_branch .LBB388_1717
.LBB388_2122:
	s_and_not1_saveexec_b32 s13, s13
	s_cbranch_execz .LBB388_1681
.LBB388_2123:
	v_add_f32_e32 v1, 0x42800000, v3
	s_and_not1_b32 s12, s12, exec_lo
	s_delay_alu instid0(VALU_DEP_1) | instskip(NEXT) | instid1(VALU_DEP_1)
	v_and_b32_e32 v1, 0xff, v1
	v_cmp_ne_u32_e32 vcc_lo, 0, v1
	s_and_b32 s14, vcc_lo, exec_lo
	s_delay_alu instid0(SALU_CYCLE_1)
	s_or_b32 s12, s12, s14
	s_or_b32 exec_lo, exec_lo, s13
	v_mov_b32_e32 v5, 0
	s_and_saveexec_b32 s13, s12
	s_cbranch_execnz .LBB388_1682
	s_branch .LBB388_1683
.LBB388_2124:
	s_and_not1_saveexec_b32 s14, s14
	s_cbranch_execz .LBB388_1786
.LBB388_2125:
	v_add_f32_e32 v1, 0x46000000, v3
	s_and_not1_b32 s13, s13, exec_lo
	s_delay_alu instid0(VALU_DEP_1) | instskip(NEXT) | instid1(VALU_DEP_1)
	v_and_b32_e32 v1, 0xff, v1
	v_cmp_ne_u32_e32 vcc_lo, 0, v1
	s_and_b32 s15, vcc_lo, exec_lo
	s_delay_alu instid0(SALU_CYCLE_1)
	s_or_b32 s13, s13, s15
	s_or_b32 exec_lo, exec_lo, s14
	v_mov_b32_e32 v6, 0
	s_and_saveexec_b32 s14, s13
	s_cbranch_execnz .LBB388_1787
	s_branch .LBB388_1788
.LBB388_2126:
	s_or_b32 s1, s1, exec_lo
	s_trap 2
	s_cbranch_execz .LBB388_1834
	s_branch .LBB388_1835
.LBB388_2127:
	s_and_not1_saveexec_b32 s13, s13
	s_cbranch_execz .LBB388_1799
.LBB388_2128:
	v_add_f32_e32 v1, 0x42800000, v3
	s_and_not1_b32 s12, s12, exec_lo
	s_delay_alu instid0(VALU_DEP_1) | instskip(NEXT) | instid1(VALU_DEP_1)
	v_and_b32_e32 v1, 0xff, v1
	v_cmp_ne_u32_e32 vcc_lo, 0, v1
	s_and_b32 s14, vcc_lo, exec_lo
	s_delay_alu instid0(SALU_CYCLE_1)
	s_or_b32 s12, s12, s14
	s_or_b32 exec_lo, exec_lo, s13
	v_mov_b32_e32 v6, 0
	s_and_saveexec_b32 s13, s12
	s_cbranch_execnz .LBB388_1800
	s_branch .LBB388_1801
.LBB388_2129:
	s_and_not1_saveexec_b32 s14, s14
	s_cbranch_execz .LBB388_1905
.LBB388_2130:
	v_add_f32_e32 v1, 0x46000000, v4
	s_and_not1_b32 s13, s13, exec_lo
	s_delay_alu instid0(VALU_DEP_1) | instskip(NEXT) | instid1(VALU_DEP_1)
	v_and_b32_e32 v1, 0xff, v1
	v_cmp_ne_u32_e32 vcc_lo, 0, v1
	s_and_b32 s15, vcc_lo, exec_lo
	s_delay_alu instid0(SALU_CYCLE_1)
	s_or_b32 s13, s13, s15
	s_or_b32 exec_lo, exec_lo, s14
	v_mov_b32_e32 v5, 0
	s_and_saveexec_b32 s14, s13
	s_cbranch_execnz .LBB388_1906
	s_branch .LBB388_1907
.LBB388_2131:
	s_or_b32 s1, s1, exec_lo
	s_trap 2
	s_cbranch_execz .LBB388_1953
	s_branch .LBB388_1954
.LBB388_2132:
	s_and_not1_saveexec_b32 s13, s13
	s_cbranch_execz .LBB388_1918
.LBB388_2133:
	v_add_f32_e32 v1, 0x42800000, v4
	s_and_not1_b32 s12, s12, exec_lo
	s_delay_alu instid0(VALU_DEP_1) | instskip(NEXT) | instid1(VALU_DEP_1)
	v_and_b32_e32 v1, 0xff, v1
	v_cmp_ne_u32_e32 vcc_lo, 0, v1
	s_and_b32 s14, vcc_lo, exec_lo
	s_delay_alu instid0(SALU_CYCLE_1)
	s_or_b32 s12, s12, s14
	s_or_b32 exec_lo, exec_lo, s13
	v_mov_b32_e32 v5, 0
	s_and_saveexec_b32 s13, s12
	s_cbranch_execnz .LBB388_1919
	s_branch .LBB388_1920
.LBB388_2134:
	s_and_not1_saveexec_b32 s10, s10
	s_cbranch_execz .LBB388_2025
.LBB388_2135:
	v_add_f32_e32 v0, 0x46000000, v1
	s_and_not1_b32 s6, s6, exec_lo
	s_delay_alu instid0(VALU_DEP_1) | instskip(NEXT) | instid1(VALU_DEP_1)
	v_and_b32_e32 v0, 0xff, v0
	v_cmp_ne_u32_e32 vcc_lo, 0, v0
	s_and_b32 s11, vcc_lo, exec_lo
	s_delay_alu instid0(SALU_CYCLE_1)
	s_or_b32 s6, s6, s11
	s_or_b32 exec_lo, exec_lo, s10
	v_mov_b32_e32 v4, 0
	s_and_saveexec_b32 s10, s6
	s_cbranch_execnz .LBB388_2026
	s_branch .LBB388_2027
.LBB388_2136:
	s_mov_b32 s3, 0
	s_or_b32 s1, s1, exec_lo
	s_trap 2
	s_branch .LBB388_2071
.LBB388_2137:
	s_and_not1_saveexec_b32 s6, s6
	s_cbranch_execz .LBB388_2037
.LBB388_2138:
	v_add_f32_e32 v0, 0x42800000, v1
	s_and_not1_b32 s5, s5, exec_lo
	s_delay_alu instid0(VALU_DEP_1) | instskip(NEXT) | instid1(VALU_DEP_1)
	v_and_b32_e32 v0, 0xff, v0
	v_cmp_ne_u32_e32 vcc_lo, 0, v0
	s_and_b32 s10, vcc_lo, exec_lo
	s_delay_alu instid0(SALU_CYCLE_1)
	s_or_b32 s5, s5, s10
	s_or_b32 exec_lo, exec_lo, s6
	v_mov_b32_e32 v4, 0
	s_and_saveexec_b32 s6, s5
	s_cbranch_execnz .LBB388_2038
	s_branch .LBB388_2039
	.section	.rodata,"a",@progbits
	.p2align	6, 0x0
	.amdhsa_kernel _ZN2at6native32elementwise_kernel_manual_unrollILi128ELi4EZNS0_15gpu_kernel_implINS0_13AUnaryFunctorIN3c1016Float4_e2m1fn_x2ES5_bNS0_12_GLOBAL__N_116CompareEqFunctorIS5_EEEEEEvRNS_18TensorIteratorBaseERKT_EUlibE0_EEviT1_
		.amdhsa_group_segment_fixed_size 0
		.amdhsa_private_segment_fixed_size 0
		.amdhsa_kernarg_size 368
		.amdhsa_user_sgpr_count 2
		.amdhsa_user_sgpr_dispatch_ptr 0
		.amdhsa_user_sgpr_queue_ptr 0
		.amdhsa_user_sgpr_kernarg_segment_ptr 1
		.amdhsa_user_sgpr_dispatch_id 0
		.amdhsa_user_sgpr_kernarg_preload_length 0
		.amdhsa_user_sgpr_kernarg_preload_offset 0
		.amdhsa_user_sgpr_private_segment_size 0
		.amdhsa_wavefront_size32 1
		.amdhsa_uses_dynamic_stack 0
		.amdhsa_enable_private_segment 0
		.amdhsa_system_sgpr_workgroup_id_x 1
		.amdhsa_system_sgpr_workgroup_id_y 0
		.amdhsa_system_sgpr_workgroup_id_z 0
		.amdhsa_system_sgpr_workgroup_info 0
		.amdhsa_system_vgpr_workitem_id 0
		.amdhsa_next_free_vgpr 18
		.amdhsa_next_free_sgpr 68
		.amdhsa_named_barrier_count 0
		.amdhsa_reserve_vcc 1
		.amdhsa_float_round_mode_32 0
		.amdhsa_float_round_mode_16_64 0
		.amdhsa_float_denorm_mode_32 3
		.amdhsa_float_denorm_mode_16_64 3
		.amdhsa_fp16_overflow 0
		.amdhsa_memory_ordered 1
		.amdhsa_forward_progress 1
		.amdhsa_inst_pref_size 255
		.amdhsa_round_robin_scheduling 0
		.amdhsa_exception_fp_ieee_invalid_op 0
		.amdhsa_exception_fp_denorm_src 0
		.amdhsa_exception_fp_ieee_div_zero 0
		.amdhsa_exception_fp_ieee_overflow 0
		.amdhsa_exception_fp_ieee_underflow 0
		.amdhsa_exception_fp_ieee_inexact 0
		.amdhsa_exception_int_div_zero 0
	.end_amdhsa_kernel
	.section	.text._ZN2at6native32elementwise_kernel_manual_unrollILi128ELi4EZNS0_15gpu_kernel_implINS0_13AUnaryFunctorIN3c1016Float4_e2m1fn_x2ES5_bNS0_12_GLOBAL__N_116CompareEqFunctorIS5_EEEEEEvRNS_18TensorIteratorBaseERKT_EUlibE0_EEviT1_,"axG",@progbits,_ZN2at6native32elementwise_kernel_manual_unrollILi128ELi4EZNS0_15gpu_kernel_implINS0_13AUnaryFunctorIN3c1016Float4_e2m1fn_x2ES5_bNS0_12_GLOBAL__N_116CompareEqFunctorIS5_EEEEEEvRNS_18TensorIteratorBaseERKT_EUlibE0_EEviT1_,comdat
.Lfunc_end388:
	.size	_ZN2at6native32elementwise_kernel_manual_unrollILi128ELi4EZNS0_15gpu_kernel_implINS0_13AUnaryFunctorIN3c1016Float4_e2m1fn_x2ES5_bNS0_12_GLOBAL__N_116CompareEqFunctorIS5_EEEEEEvRNS_18TensorIteratorBaseERKT_EUlibE0_EEviT1_, .Lfunc_end388-_ZN2at6native32elementwise_kernel_manual_unrollILi128ELi4EZNS0_15gpu_kernel_implINS0_13AUnaryFunctorIN3c1016Float4_e2m1fn_x2ES5_bNS0_12_GLOBAL__N_116CompareEqFunctorIS5_EEEEEEvRNS_18TensorIteratorBaseERKT_EUlibE0_EEviT1_
                                        ; -- End function
	.set _ZN2at6native32elementwise_kernel_manual_unrollILi128ELi4EZNS0_15gpu_kernel_implINS0_13AUnaryFunctorIN3c1016Float4_e2m1fn_x2ES5_bNS0_12_GLOBAL__N_116CompareEqFunctorIS5_EEEEEEvRNS_18TensorIteratorBaseERKT_EUlibE0_EEviT1_.num_vgpr, 18
	.set _ZN2at6native32elementwise_kernel_manual_unrollILi128ELi4EZNS0_15gpu_kernel_implINS0_13AUnaryFunctorIN3c1016Float4_e2m1fn_x2ES5_bNS0_12_GLOBAL__N_116CompareEqFunctorIS5_EEEEEEvRNS_18TensorIteratorBaseERKT_EUlibE0_EEviT1_.num_agpr, 0
	.set _ZN2at6native32elementwise_kernel_manual_unrollILi128ELi4EZNS0_15gpu_kernel_implINS0_13AUnaryFunctorIN3c1016Float4_e2m1fn_x2ES5_bNS0_12_GLOBAL__N_116CompareEqFunctorIS5_EEEEEEvRNS_18TensorIteratorBaseERKT_EUlibE0_EEviT1_.numbered_sgpr, 68
	.set _ZN2at6native32elementwise_kernel_manual_unrollILi128ELi4EZNS0_15gpu_kernel_implINS0_13AUnaryFunctorIN3c1016Float4_e2m1fn_x2ES5_bNS0_12_GLOBAL__N_116CompareEqFunctorIS5_EEEEEEvRNS_18TensorIteratorBaseERKT_EUlibE0_EEviT1_.num_named_barrier, 0
	.set _ZN2at6native32elementwise_kernel_manual_unrollILi128ELi4EZNS0_15gpu_kernel_implINS0_13AUnaryFunctorIN3c1016Float4_e2m1fn_x2ES5_bNS0_12_GLOBAL__N_116CompareEqFunctorIS5_EEEEEEvRNS_18TensorIteratorBaseERKT_EUlibE0_EEviT1_.private_seg_size, 0
	.set _ZN2at6native32elementwise_kernel_manual_unrollILi128ELi4EZNS0_15gpu_kernel_implINS0_13AUnaryFunctorIN3c1016Float4_e2m1fn_x2ES5_bNS0_12_GLOBAL__N_116CompareEqFunctorIS5_EEEEEEvRNS_18TensorIteratorBaseERKT_EUlibE0_EEviT1_.uses_vcc, 1
	.set _ZN2at6native32elementwise_kernel_manual_unrollILi128ELi4EZNS0_15gpu_kernel_implINS0_13AUnaryFunctorIN3c1016Float4_e2m1fn_x2ES5_bNS0_12_GLOBAL__N_116CompareEqFunctorIS5_EEEEEEvRNS_18TensorIteratorBaseERKT_EUlibE0_EEviT1_.uses_flat_scratch, 0
	.set _ZN2at6native32elementwise_kernel_manual_unrollILi128ELi4EZNS0_15gpu_kernel_implINS0_13AUnaryFunctorIN3c1016Float4_e2m1fn_x2ES5_bNS0_12_GLOBAL__N_116CompareEqFunctorIS5_EEEEEEvRNS_18TensorIteratorBaseERKT_EUlibE0_EEviT1_.has_dyn_sized_stack, 0
	.set _ZN2at6native32elementwise_kernel_manual_unrollILi128ELi4EZNS0_15gpu_kernel_implINS0_13AUnaryFunctorIN3c1016Float4_e2m1fn_x2ES5_bNS0_12_GLOBAL__N_116CompareEqFunctorIS5_EEEEEEvRNS_18TensorIteratorBaseERKT_EUlibE0_EEviT1_.has_recursion, 0
	.set _ZN2at6native32elementwise_kernel_manual_unrollILi128ELi4EZNS0_15gpu_kernel_implINS0_13AUnaryFunctorIN3c1016Float4_e2m1fn_x2ES5_bNS0_12_GLOBAL__N_116CompareEqFunctorIS5_EEEEEEvRNS_18TensorIteratorBaseERKT_EUlibE0_EEviT1_.has_indirect_call, 0
	.section	.AMDGPU.csdata,"",@progbits
; Kernel info:
; codeLenInByte = 39912
; TotalNumSgprs: 70
; NumVgprs: 18
; ScratchSize: 0
; MemoryBound: 1
; FloatMode: 240
; IeeeMode: 1
; LDSByteSize: 0 bytes/workgroup (compile time only)
; SGPRBlocks: 0
; VGPRBlocks: 1
; NumSGPRsForWavesPerEU: 70
; NumVGPRsForWavesPerEU: 18
; NamedBarCnt: 0
; Occupancy: 16
; WaveLimiterHint : 1
; COMPUTE_PGM_RSRC2:SCRATCH_EN: 0
; COMPUTE_PGM_RSRC2:USER_SGPR: 2
; COMPUTE_PGM_RSRC2:TRAP_HANDLER: 0
; COMPUTE_PGM_RSRC2:TGID_X_EN: 1
; COMPUTE_PGM_RSRC2:TGID_Y_EN: 0
; COMPUTE_PGM_RSRC2:TGID_Z_EN: 0
; COMPUTE_PGM_RSRC2:TIDIG_COMP_CNT: 0
	.text
	.p2alignl 7, 3214868480
	.fill 96, 4, 3214868480
	.section	.AMDGPU.gpr_maximums,"",@progbits
	.set amdgpu.max_num_vgpr, 67
	.set amdgpu.max_num_agpr, 0
	.set amdgpu.max_num_sgpr, 32
	.text
	.type	__hip_cuid_8f7eb85891493819,@object ; @__hip_cuid_8f7eb85891493819
	.section	.bss,"aw",@nobits
	.globl	__hip_cuid_8f7eb85891493819
__hip_cuid_8f7eb85891493819:
	.byte	0                               ; 0x0
	.size	__hip_cuid_8f7eb85891493819, 1

	.ident	"AMD clang version 22.0.0git (https://github.com/RadeonOpenCompute/llvm-project roc-7.2.4 26084 f58b06dce1f9c15707c5f808fd002e18c2accf7e)"
	.section	".note.GNU-stack","",@progbits
	.addrsig
	.addrsig_sym __hip_cuid_8f7eb85891493819
	.amdgpu_metadata
---
amdhsa.kernels:
  - .args:
      - .offset:         0
        .size:           4
        .value_kind:     by_value
      - .offset:         4
        .size:           4
        .value_kind:     by_value
      - .offset:         8
        .size:           24
        .value_kind:     by_value
    .group_segment_fixed_size: 0
    .kernarg_segment_align: 8
    .kernarg_segment_size: 32
    .language:       OpenCL C
    .language_version:
      - 2
      - 0
    .max_flat_workgroup_size: 256
    .name:           _ZN2at6native29vectorized_elementwise_kernelILi16ENS0_13BinaryFunctorIhhbNS0_12_GLOBAL__N_116CompareEqFunctorIhEEEESt5arrayIPcLm3EEEEviT0_T1_
    .private_segment_fixed_size: 0
    .sgpr_count:     27
    .sgpr_spill_count: 0
    .symbol:         _ZN2at6native29vectorized_elementwise_kernelILi16ENS0_13BinaryFunctorIhhbNS0_12_GLOBAL__N_116CompareEqFunctorIhEEEESt5arrayIPcLm3EEEEviT0_T1_.kd
    .uniform_work_group_size: 1
    .uses_dynamic_stack: false
    .vgpr_count:     39
    .vgpr_spill_count: 0
    .wavefront_size: 32
  - .args:
      - .offset:         0
        .size:           4
        .value_kind:     by_value
      - .offset:         4
        .size:           4
        .value_kind:     by_value
      - .offset:         8
        .size:           24
        .value_kind:     by_value
    .group_segment_fixed_size: 0
    .kernarg_segment_align: 8
    .kernarg_segment_size: 32
    .language:       OpenCL C
    .language_version:
      - 2
      - 0
    .max_flat_workgroup_size: 256
    .name:           _ZN2at6native29vectorized_elementwise_kernelILi8ENS0_13BinaryFunctorIhhbNS0_12_GLOBAL__N_116CompareEqFunctorIhEEEESt5arrayIPcLm3EEEEviT0_T1_
    .private_segment_fixed_size: 0
    .sgpr_count:     25
    .sgpr_spill_count: 0
    .symbol:         _ZN2at6native29vectorized_elementwise_kernelILi8ENS0_13BinaryFunctorIhhbNS0_12_GLOBAL__N_116CompareEqFunctorIhEEEESt5arrayIPcLm3EEEEviT0_T1_.kd
    .uniform_work_group_size: 1
    .uses_dynamic_stack: false
    .vgpr_count:     39
    .vgpr_spill_count: 0
    .wavefront_size: 32
  - .args:
      - .offset:         0
        .size:           4
        .value_kind:     by_value
      - .offset:         4
        .size:           4
        .value_kind:     by_value
      - .offset:         8
        .size:           24
        .value_kind:     by_value
    .group_segment_fixed_size: 0
    .kernarg_segment_align: 8
    .kernarg_segment_size: 32
    .language:       OpenCL C
    .language_version:
      - 2
      - 0
    .max_flat_workgroup_size: 256
    .name:           _ZN2at6native29vectorized_elementwise_kernelILi4ENS0_13BinaryFunctorIhhbNS0_12_GLOBAL__N_116CompareEqFunctorIhEEEESt5arrayIPcLm3EEEEviT0_T1_
    .private_segment_fixed_size: 0
    .sgpr_count:     25
    .sgpr_spill_count: 0
    .symbol:         _ZN2at6native29vectorized_elementwise_kernelILi4ENS0_13BinaryFunctorIhhbNS0_12_GLOBAL__N_116CompareEqFunctorIhEEEESt5arrayIPcLm3EEEEviT0_T1_.kd
    .uniform_work_group_size: 1
    .uses_dynamic_stack: false
    .vgpr_count:     39
    .vgpr_spill_count: 0
    .wavefront_size: 32
  - .args:
      - .offset:         0
        .size:           4
        .value_kind:     by_value
      - .offset:         4
        .size:           4
        .value_kind:     by_value
      - .offset:         8
        .size:           24
        .value_kind:     by_value
    .group_segment_fixed_size: 0
    .kernarg_segment_align: 8
    .kernarg_segment_size: 32
    .language:       OpenCL C
    .language_version:
      - 2
      - 0
    .max_flat_workgroup_size: 256
    .name:           _ZN2at6native29vectorized_elementwise_kernelILi2ENS0_13BinaryFunctorIhhbNS0_12_GLOBAL__N_116CompareEqFunctorIhEEEESt5arrayIPcLm3EEEEviT0_T1_
    .private_segment_fixed_size: 0
    .sgpr_count:     31
    .sgpr_spill_count: 0
    .symbol:         _ZN2at6native29vectorized_elementwise_kernelILi2ENS0_13BinaryFunctorIhhbNS0_12_GLOBAL__N_116CompareEqFunctorIhEEEESt5arrayIPcLm3EEEEviT0_T1_.kd
    .uniform_work_group_size: 1
    .uses_dynamic_stack: false
    .vgpr_count:     39
    .vgpr_spill_count: 0
    .wavefront_size: 32
  - .args:
      - .offset:         0
        .size:           4
        .value_kind:     by_value
      - .offset:         4
        .size:           4
        .value_kind:     by_value
      - .offset:         8
        .size:           24
        .value_kind:     by_value
      - .offset:         32
        .size:           1
        .value_kind:     by_value
      - .offset:         33
        .size:           1
        .value_kind:     by_value
      - .offset:         34
        .size:           1
        .value_kind:     by_value
      - .offset:         35
        .size:           1
        .value_kind:     by_value
    .group_segment_fixed_size: 0
    .kernarg_segment_align: 8
    .kernarg_segment_size: 36
    .language:       OpenCL C
    .language_version:
      - 2
      - 0
    .max_flat_workgroup_size: 256
    .name:           _ZN2at6native27unrolled_elementwise_kernelINS0_13BinaryFunctorIhhbNS0_12_GLOBAL__N_116CompareEqFunctorIhEEEESt5arrayIPcLm3EELi4E23TrivialOffsetCalculatorILi2EjESA_ILi1EjENS0_6memory15LoadWithoutCastENSD_16StoreWithoutCastEEEviT_T0_T2_T3_T4_T5_
    .private_segment_fixed_size: 0
    .sgpr_count:     17
    .sgpr_spill_count: 0
    .symbol:         _ZN2at6native27unrolled_elementwise_kernelINS0_13BinaryFunctorIhhbNS0_12_GLOBAL__N_116CompareEqFunctorIhEEEESt5arrayIPcLm3EELi4E23TrivialOffsetCalculatorILi2EjESA_ILi1EjENS0_6memory15LoadWithoutCastENSD_16StoreWithoutCastEEEviT_T0_T2_T3_T4_T5_.kd
    .uniform_work_group_size: 1
    .uses_dynamic_stack: false
    .vgpr_count:     12
    .vgpr_spill_count: 0
    .wavefront_size: 32
  - .args:
      - .offset:         0
        .size:           4
        .value_kind:     by_value
      - .offset:         8
        .size:           424
        .value_kind:     by_value
    .group_segment_fixed_size: 0
    .kernarg_segment_align: 8
    .kernarg_segment_size: 432
    .language:       OpenCL C
    .language_version:
      - 2
      - 0
    .max_flat_workgroup_size: 128
    .name:           _ZN2at6native32elementwise_kernel_manual_unrollILi128ELi8EZNS0_22gpu_kernel_impl_nocastINS0_13BinaryFunctorIhhbNS0_12_GLOBAL__N_116CompareEqFunctorIhEEEEEEvRNS_18TensorIteratorBaseERKT_EUlibE_EEviT1_
    .private_segment_fixed_size: 0
    .sgpr_count:     48
    .sgpr_spill_count: 0
    .symbol:         _ZN2at6native32elementwise_kernel_manual_unrollILi128ELi8EZNS0_22gpu_kernel_impl_nocastINS0_13BinaryFunctorIhhbNS0_12_GLOBAL__N_116CompareEqFunctorIhEEEEEEvRNS_18TensorIteratorBaseERKT_EUlibE_EEviT1_.kd
    .uniform_work_group_size: 1
    .uses_dynamic_stack: false
    .vgpr_count:     39
    .vgpr_spill_count: 0
    .wavefront_size: 32
  - .args:
      - .offset:         0
        .size:           4
        .value_kind:     by_value
      - .offset:         8
        .size:           48
        .value_kind:     by_value
    .group_segment_fixed_size: 0
    .kernarg_segment_align: 8
    .kernarg_segment_size: 56
    .language:       OpenCL C
    .language_version:
      - 2
      - 0
    .max_flat_workgroup_size: 128
    .name:           _ZN2at6native32elementwise_kernel_manual_unrollILi128ELi4EZNS0_15gpu_kernel_implINS0_13BinaryFunctorIhhbNS0_12_GLOBAL__N_116CompareEqFunctorIhEEEEEEvRNS_18TensorIteratorBaseERKT_EUlibE_EEviT1_
    .private_segment_fixed_size: 0
    .sgpr_count:     39
    .sgpr_spill_count: 0
    .symbol:         _ZN2at6native32elementwise_kernel_manual_unrollILi128ELi4EZNS0_15gpu_kernel_implINS0_13BinaryFunctorIhhbNS0_12_GLOBAL__N_116CompareEqFunctorIhEEEEEEvRNS_18TensorIteratorBaseERKT_EUlibE_EEviT1_.kd
    .uniform_work_group_size: 1
    .uses_dynamic_stack: false
    .vgpr_count:     22
    .vgpr_spill_count: 0
    .wavefront_size: 32
  - .args:
      - .offset:         0
        .size:           4
        .value_kind:     by_value
      - .offset:         8
        .size:           424
        .value_kind:     by_value
    .group_segment_fixed_size: 0
    .kernarg_segment_align: 8
    .kernarg_segment_size: 432
    .language:       OpenCL C
    .language_version:
      - 2
      - 0
    .max_flat_workgroup_size: 128
    .name:           _ZN2at6native32elementwise_kernel_manual_unrollILi128ELi4EZNS0_15gpu_kernel_implINS0_13BinaryFunctorIhhbNS0_12_GLOBAL__N_116CompareEqFunctorIhEEEEEEvRNS_18TensorIteratorBaseERKT_EUlibE0_EEviT1_
    .private_segment_fixed_size: 0
    .sgpr_count:     64
    .sgpr_spill_count: 0
    .symbol:         _ZN2at6native32elementwise_kernel_manual_unrollILi128ELi4EZNS0_15gpu_kernel_implINS0_13BinaryFunctorIhhbNS0_12_GLOBAL__N_116CompareEqFunctorIhEEEEEEvRNS_18TensorIteratorBaseERKT_EUlibE0_EEviT1_.kd
    .uniform_work_group_size: 1
    .uses_dynamic_stack: false
    .vgpr_count:     28
    .vgpr_spill_count: 0
    .wavefront_size: 32
  - .args:
      - .offset:         0
        .size:           4
        .value_kind:     by_value
      - .offset:         4
        .size:           8
        .value_kind:     by_value
      - .offset:         16
        .size:           16
        .value_kind:     by_value
    .group_segment_fixed_size: 0
    .kernarg_segment_align: 8
    .kernarg_segment_size: 32
    .language:       OpenCL C
    .language_version:
      - 2
      - 0
    .max_flat_workgroup_size: 256
    .name:           _ZN2at6native29vectorized_elementwise_kernelILi16ENS0_13AUnaryFunctorIhhbNS0_12_GLOBAL__N_116CompareEqFunctorIhEEEESt5arrayIPcLm2EEEEviT0_T1_
    .private_segment_fixed_size: 0
    .sgpr_count:     28
    .sgpr_spill_count: 0
    .symbol:         _ZN2at6native29vectorized_elementwise_kernelILi16ENS0_13AUnaryFunctorIhhbNS0_12_GLOBAL__N_116CompareEqFunctorIhEEEESt5arrayIPcLm2EEEEviT0_T1_.kd
    .uniform_work_group_size: 1
    .uses_dynamic_stack: false
    .vgpr_count:     21
    .vgpr_spill_count: 0
    .wavefront_size: 32
  - .args:
      - .offset:         0
        .size:           4
        .value_kind:     by_value
      - .offset:         4
        .size:           8
        .value_kind:     by_value
      - .offset:         16
        .size:           16
        .value_kind:     by_value
    .group_segment_fixed_size: 0
    .kernarg_segment_align: 8
    .kernarg_segment_size: 32
    .language:       OpenCL C
    .language_version:
      - 2
      - 0
    .max_flat_workgroup_size: 256
    .name:           _ZN2at6native29vectorized_elementwise_kernelILi8ENS0_13AUnaryFunctorIhhbNS0_12_GLOBAL__N_116CompareEqFunctorIhEEEESt5arrayIPcLm2EEEEviT0_T1_
    .private_segment_fixed_size: 0
    .sgpr_count:     25
    .sgpr_spill_count: 0
    .symbol:         _ZN2at6native29vectorized_elementwise_kernelILi8ENS0_13AUnaryFunctorIhhbNS0_12_GLOBAL__N_116CompareEqFunctorIhEEEESt5arrayIPcLm2EEEEviT0_T1_.kd
    .uniform_work_group_size: 1
    .uses_dynamic_stack: false
    .vgpr_count:     21
    .vgpr_spill_count: 0
    .wavefront_size: 32
  - .args:
      - .offset:         0
        .size:           4
        .value_kind:     by_value
      - .offset:         4
        .size:           8
        .value_kind:     by_value
      - .offset:         16
        .size:           16
        .value_kind:     by_value
    .group_segment_fixed_size: 0
    .kernarg_segment_align: 8
    .kernarg_segment_size: 32
    .language:       OpenCL C
    .language_version:
      - 2
      - 0
    .max_flat_workgroup_size: 256
    .name:           _ZN2at6native29vectorized_elementwise_kernelILi4ENS0_13AUnaryFunctorIhhbNS0_12_GLOBAL__N_116CompareEqFunctorIhEEEESt5arrayIPcLm2EEEEviT0_T1_
    .private_segment_fixed_size: 0
    .sgpr_count:     25
    .sgpr_spill_count: 0
    .symbol:         _ZN2at6native29vectorized_elementwise_kernelILi4ENS0_13AUnaryFunctorIhhbNS0_12_GLOBAL__N_116CompareEqFunctorIhEEEESt5arrayIPcLm2EEEEviT0_T1_.kd
    .uniform_work_group_size: 1
    .uses_dynamic_stack: false
    .vgpr_count:     21
    .vgpr_spill_count: 0
    .wavefront_size: 32
  - .args:
      - .offset:         0
        .size:           4
        .value_kind:     by_value
      - .offset:         4
        .size:           8
        .value_kind:     by_value
      - .offset:         16
        .size:           16
        .value_kind:     by_value
    .group_segment_fixed_size: 0
    .kernarg_segment_align: 8
    .kernarg_segment_size: 32
    .language:       OpenCL C
    .language_version:
      - 2
      - 0
    .max_flat_workgroup_size: 256
    .name:           _ZN2at6native29vectorized_elementwise_kernelILi2ENS0_13AUnaryFunctorIhhbNS0_12_GLOBAL__N_116CompareEqFunctorIhEEEESt5arrayIPcLm2EEEEviT0_T1_
    .private_segment_fixed_size: 0
    .sgpr_count:     30
    .sgpr_spill_count: 0
    .symbol:         _ZN2at6native29vectorized_elementwise_kernelILi2ENS0_13AUnaryFunctorIhhbNS0_12_GLOBAL__N_116CompareEqFunctorIhEEEESt5arrayIPcLm2EEEEviT0_T1_.kd
    .uniform_work_group_size: 1
    .uses_dynamic_stack: false
    .vgpr_count:     21
    .vgpr_spill_count: 0
    .wavefront_size: 32
  - .args:
      - .offset:         0
        .size:           4
        .value_kind:     by_value
      - .offset:         4
        .size:           8
        .value_kind:     by_value
      - .offset:         16
        .size:           16
        .value_kind:     by_value
      - .offset:         32
        .size:           1
        .value_kind:     by_value
      - .offset:         33
        .size:           1
        .value_kind:     by_value
      - .offset:         34
        .size:           1
        .value_kind:     by_value
      - .offset:         35
        .size:           1
        .value_kind:     by_value
    .group_segment_fixed_size: 0
    .kernarg_segment_align: 8
    .kernarg_segment_size: 36
    .language:       OpenCL C
    .language_version:
      - 2
      - 0
    .max_flat_workgroup_size: 256
    .name:           _ZN2at6native27unrolled_elementwise_kernelINS0_13AUnaryFunctorIhhbNS0_12_GLOBAL__N_116CompareEqFunctorIhEEEESt5arrayIPcLm2EELi4E23TrivialOffsetCalculatorILi1EjESB_NS0_6memory15LoadWithoutCastENSC_16StoreWithoutCastEEEviT_T0_T2_T3_T4_T5_
    .private_segment_fixed_size: 0
    .sgpr_count:     15
    .sgpr_spill_count: 0
    .symbol:         _ZN2at6native27unrolled_elementwise_kernelINS0_13AUnaryFunctorIhhbNS0_12_GLOBAL__N_116CompareEqFunctorIhEEEESt5arrayIPcLm2EELi4E23TrivialOffsetCalculatorILi1EjESB_NS0_6memory15LoadWithoutCastENSC_16StoreWithoutCastEEEviT_T0_T2_T3_T4_T5_.kd
    .uniform_work_group_size: 1
    .uses_dynamic_stack: false
    .vgpr_count:     8
    .vgpr_spill_count: 0
    .wavefront_size: 32
  - .args:
      - .offset:         0
        .size:           4
        .value_kind:     by_value
      - .offset:         8
        .size:           352
        .value_kind:     by_value
    .group_segment_fixed_size: 0
    .kernarg_segment_align: 8
    .kernarg_segment_size: 360
    .language:       OpenCL C
    .language_version:
      - 2
      - 0
    .max_flat_workgroup_size: 128
    .name:           _ZN2at6native32elementwise_kernel_manual_unrollILi128ELi8EZNS0_22gpu_kernel_impl_nocastINS0_13AUnaryFunctorIhhbNS0_12_GLOBAL__N_116CompareEqFunctorIhEEEEEEvRNS_18TensorIteratorBaseERKT_EUlibE_EEviT1_
    .private_segment_fixed_size: 0
    .sgpr_count:     62
    .sgpr_spill_count: 0
    .symbol:         _ZN2at6native32elementwise_kernel_manual_unrollILi128ELi8EZNS0_22gpu_kernel_impl_nocastINS0_13AUnaryFunctorIhhbNS0_12_GLOBAL__N_116CompareEqFunctorIhEEEEEEvRNS_18TensorIteratorBaseERKT_EUlibE_EEviT1_.kd
    .uniform_work_group_size: 1
    .uses_dynamic_stack: false
    .vgpr_count:     24
    .vgpr_spill_count: 0
    .wavefront_size: 32
  - .args:
      - .offset:         0
        .size:           4
        .value_kind:     by_value
      - .offset:         8
        .size:           40
        .value_kind:     by_value
    .group_segment_fixed_size: 0
    .kernarg_segment_align: 8
    .kernarg_segment_size: 48
    .language:       OpenCL C
    .language_version:
      - 2
      - 0
    .max_flat_workgroup_size: 128
    .name:           _ZN2at6native32elementwise_kernel_manual_unrollILi128ELi4EZNS0_15gpu_kernel_implINS0_13AUnaryFunctorIhhbNS0_12_GLOBAL__N_116CompareEqFunctorIhEEEEEEvRNS_18TensorIteratorBaseERKT_EUlibE_EEviT1_
    .private_segment_fixed_size: 0
    .sgpr_count:     32
    .sgpr_spill_count: 0
    .symbol:         _ZN2at6native32elementwise_kernel_manual_unrollILi128ELi4EZNS0_15gpu_kernel_implINS0_13AUnaryFunctorIhhbNS0_12_GLOBAL__N_116CompareEqFunctorIhEEEEEEvRNS_18TensorIteratorBaseERKT_EUlibE_EEviT1_.kd
    .uniform_work_group_size: 1
    .uses_dynamic_stack: false
    .vgpr_count:     14
    .vgpr_spill_count: 0
    .wavefront_size: 32
  - .args:
      - .offset:         0
        .size:           4
        .value_kind:     by_value
      - .offset:         8
        .size:           360
        .value_kind:     by_value
    .group_segment_fixed_size: 0
    .kernarg_segment_align: 8
    .kernarg_segment_size: 368
    .language:       OpenCL C
    .language_version:
      - 2
      - 0
    .max_flat_workgroup_size: 128
    .name:           _ZN2at6native32elementwise_kernel_manual_unrollILi128ELi4EZNS0_15gpu_kernel_implINS0_13AUnaryFunctorIhhbNS0_12_GLOBAL__N_116CompareEqFunctorIhEEEEEEvRNS_18TensorIteratorBaseERKT_EUlibE0_EEviT1_
    .private_segment_fixed_size: 0
    .sgpr_count:     70
    .sgpr_spill_count: 0
    .symbol:         _ZN2at6native32elementwise_kernel_manual_unrollILi128ELi4EZNS0_15gpu_kernel_implINS0_13AUnaryFunctorIhhbNS0_12_GLOBAL__N_116CompareEqFunctorIhEEEEEEvRNS_18TensorIteratorBaseERKT_EUlibE0_EEviT1_.kd
    .uniform_work_group_size: 1
    .uses_dynamic_stack: false
    .vgpr_count:     20
    .vgpr_spill_count: 0
    .wavefront_size: 32
  - .args:
      - .offset:         0
        .size:           4
        .value_kind:     by_value
      - .offset:         4
        .size:           4
        .value_kind:     by_value
      - .offset:         8
        .size:           24
        .value_kind:     by_value
    .group_segment_fixed_size: 0
    .kernarg_segment_align: 8
    .kernarg_segment_size: 32
    .language:       OpenCL C
    .language_version:
      - 2
      - 0
    .max_flat_workgroup_size: 256
    .name:           _ZN2at6native29vectorized_elementwise_kernelILi16ENS0_13BinaryFunctorIaabNS0_12_GLOBAL__N_116CompareEqFunctorIaEEEESt5arrayIPcLm3EEEEviT0_T1_
    .private_segment_fixed_size: 0
    .sgpr_count:     27
    .sgpr_spill_count: 0
    .symbol:         _ZN2at6native29vectorized_elementwise_kernelILi16ENS0_13BinaryFunctorIaabNS0_12_GLOBAL__N_116CompareEqFunctorIaEEEESt5arrayIPcLm3EEEEviT0_T1_.kd
    .uniform_work_group_size: 1
    .uses_dynamic_stack: false
    .vgpr_count:     39
    .vgpr_spill_count: 0
    .wavefront_size: 32
  - .args:
      - .offset:         0
        .size:           4
        .value_kind:     by_value
      - .offset:         4
        .size:           4
        .value_kind:     by_value
      - .offset:         8
        .size:           24
        .value_kind:     by_value
    .group_segment_fixed_size: 0
    .kernarg_segment_align: 8
    .kernarg_segment_size: 32
    .language:       OpenCL C
    .language_version:
      - 2
      - 0
    .max_flat_workgroup_size: 256
    .name:           _ZN2at6native29vectorized_elementwise_kernelILi8ENS0_13BinaryFunctorIaabNS0_12_GLOBAL__N_116CompareEqFunctorIaEEEESt5arrayIPcLm3EEEEviT0_T1_
    .private_segment_fixed_size: 0
    .sgpr_count:     25
    .sgpr_spill_count: 0
    .symbol:         _ZN2at6native29vectorized_elementwise_kernelILi8ENS0_13BinaryFunctorIaabNS0_12_GLOBAL__N_116CompareEqFunctorIaEEEESt5arrayIPcLm3EEEEviT0_T1_.kd
    .uniform_work_group_size: 1
    .uses_dynamic_stack: false
    .vgpr_count:     39
    .vgpr_spill_count: 0
    .wavefront_size: 32
  - .args:
      - .offset:         0
        .size:           4
        .value_kind:     by_value
      - .offset:         4
        .size:           4
        .value_kind:     by_value
      - .offset:         8
        .size:           24
        .value_kind:     by_value
    .group_segment_fixed_size: 0
    .kernarg_segment_align: 8
    .kernarg_segment_size: 32
    .language:       OpenCL C
    .language_version:
      - 2
      - 0
    .max_flat_workgroup_size: 256
    .name:           _ZN2at6native29vectorized_elementwise_kernelILi4ENS0_13BinaryFunctorIaabNS0_12_GLOBAL__N_116CompareEqFunctorIaEEEESt5arrayIPcLm3EEEEviT0_T1_
    .private_segment_fixed_size: 0
    .sgpr_count:     25
    .sgpr_spill_count: 0
    .symbol:         _ZN2at6native29vectorized_elementwise_kernelILi4ENS0_13BinaryFunctorIaabNS0_12_GLOBAL__N_116CompareEqFunctorIaEEEESt5arrayIPcLm3EEEEviT0_T1_.kd
    .uniform_work_group_size: 1
    .uses_dynamic_stack: false
    .vgpr_count:     39
    .vgpr_spill_count: 0
    .wavefront_size: 32
  - .args:
      - .offset:         0
        .size:           4
        .value_kind:     by_value
      - .offset:         4
        .size:           4
        .value_kind:     by_value
      - .offset:         8
        .size:           24
        .value_kind:     by_value
    .group_segment_fixed_size: 0
    .kernarg_segment_align: 8
    .kernarg_segment_size: 32
    .language:       OpenCL C
    .language_version:
      - 2
      - 0
    .max_flat_workgroup_size: 256
    .name:           _ZN2at6native29vectorized_elementwise_kernelILi2ENS0_13BinaryFunctorIaabNS0_12_GLOBAL__N_116CompareEqFunctorIaEEEESt5arrayIPcLm3EEEEviT0_T1_
    .private_segment_fixed_size: 0
    .sgpr_count:     31
    .sgpr_spill_count: 0
    .symbol:         _ZN2at6native29vectorized_elementwise_kernelILi2ENS0_13BinaryFunctorIaabNS0_12_GLOBAL__N_116CompareEqFunctorIaEEEESt5arrayIPcLm3EEEEviT0_T1_.kd
    .uniform_work_group_size: 1
    .uses_dynamic_stack: false
    .vgpr_count:     39
    .vgpr_spill_count: 0
    .wavefront_size: 32
  - .args:
      - .offset:         0
        .size:           4
        .value_kind:     by_value
      - .offset:         4
        .size:           4
        .value_kind:     by_value
      - .offset:         8
        .size:           24
        .value_kind:     by_value
      - .offset:         32
        .size:           1
        .value_kind:     by_value
      - .offset:         33
        .size:           1
        .value_kind:     by_value
      - .offset:         34
        .size:           1
        .value_kind:     by_value
      - .offset:         35
        .size:           1
        .value_kind:     by_value
    .group_segment_fixed_size: 0
    .kernarg_segment_align: 8
    .kernarg_segment_size: 36
    .language:       OpenCL C
    .language_version:
      - 2
      - 0
    .max_flat_workgroup_size: 256
    .name:           _ZN2at6native27unrolled_elementwise_kernelINS0_13BinaryFunctorIaabNS0_12_GLOBAL__N_116CompareEqFunctorIaEEEESt5arrayIPcLm3EELi4E23TrivialOffsetCalculatorILi2EjESA_ILi1EjENS0_6memory15LoadWithoutCastENSD_16StoreWithoutCastEEEviT_T0_T2_T3_T4_T5_
    .private_segment_fixed_size: 0
    .sgpr_count:     17
    .sgpr_spill_count: 0
    .symbol:         _ZN2at6native27unrolled_elementwise_kernelINS0_13BinaryFunctorIaabNS0_12_GLOBAL__N_116CompareEqFunctorIaEEEESt5arrayIPcLm3EELi4E23TrivialOffsetCalculatorILi2EjESA_ILi1EjENS0_6memory15LoadWithoutCastENSD_16StoreWithoutCastEEEviT_T0_T2_T3_T4_T5_.kd
    .uniform_work_group_size: 1
    .uses_dynamic_stack: false
    .vgpr_count:     12
    .vgpr_spill_count: 0
    .wavefront_size: 32
  - .args:
      - .offset:         0
        .size:           4
        .value_kind:     by_value
      - .offset:         8
        .size:           424
        .value_kind:     by_value
    .group_segment_fixed_size: 0
    .kernarg_segment_align: 8
    .kernarg_segment_size: 432
    .language:       OpenCL C
    .language_version:
      - 2
      - 0
    .max_flat_workgroup_size: 128
    .name:           _ZN2at6native32elementwise_kernel_manual_unrollILi128ELi8EZNS0_22gpu_kernel_impl_nocastINS0_13BinaryFunctorIaabNS0_12_GLOBAL__N_116CompareEqFunctorIaEEEEEEvRNS_18TensorIteratorBaseERKT_EUlibE_EEviT1_
    .private_segment_fixed_size: 0
    .sgpr_count:     48
    .sgpr_spill_count: 0
    .symbol:         _ZN2at6native32elementwise_kernel_manual_unrollILi128ELi8EZNS0_22gpu_kernel_impl_nocastINS0_13BinaryFunctorIaabNS0_12_GLOBAL__N_116CompareEqFunctorIaEEEEEEvRNS_18TensorIteratorBaseERKT_EUlibE_EEviT1_.kd
    .uniform_work_group_size: 1
    .uses_dynamic_stack: false
    .vgpr_count:     39
    .vgpr_spill_count: 0
    .wavefront_size: 32
  - .args:
      - .offset:         0
        .size:           4
        .value_kind:     by_value
      - .offset:         8
        .size:           48
        .value_kind:     by_value
    .group_segment_fixed_size: 0
    .kernarg_segment_align: 8
    .kernarg_segment_size: 56
    .language:       OpenCL C
    .language_version:
      - 2
      - 0
    .max_flat_workgroup_size: 128
    .name:           _ZN2at6native32elementwise_kernel_manual_unrollILi128ELi4EZNS0_15gpu_kernel_implINS0_13BinaryFunctorIaabNS0_12_GLOBAL__N_116CompareEqFunctorIaEEEEEEvRNS_18TensorIteratorBaseERKT_EUlibE_EEviT1_
    .private_segment_fixed_size: 0
    .sgpr_count:     39
    .sgpr_spill_count: 0
    .symbol:         _ZN2at6native32elementwise_kernel_manual_unrollILi128ELi4EZNS0_15gpu_kernel_implINS0_13BinaryFunctorIaabNS0_12_GLOBAL__N_116CompareEqFunctorIaEEEEEEvRNS_18TensorIteratorBaseERKT_EUlibE_EEviT1_.kd
    .uniform_work_group_size: 1
    .uses_dynamic_stack: false
    .vgpr_count:     22
    .vgpr_spill_count: 0
    .wavefront_size: 32
  - .args:
      - .offset:         0
        .size:           4
        .value_kind:     by_value
      - .offset:         8
        .size:           424
        .value_kind:     by_value
    .group_segment_fixed_size: 0
    .kernarg_segment_align: 8
    .kernarg_segment_size: 432
    .language:       OpenCL C
    .language_version:
      - 2
      - 0
    .max_flat_workgroup_size: 128
    .name:           _ZN2at6native32elementwise_kernel_manual_unrollILi128ELi4EZNS0_15gpu_kernel_implINS0_13BinaryFunctorIaabNS0_12_GLOBAL__N_116CompareEqFunctorIaEEEEEEvRNS_18TensorIteratorBaseERKT_EUlibE0_EEviT1_
    .private_segment_fixed_size: 0
    .sgpr_count:     64
    .sgpr_spill_count: 0
    .symbol:         _ZN2at6native32elementwise_kernel_manual_unrollILi128ELi4EZNS0_15gpu_kernel_implINS0_13BinaryFunctorIaabNS0_12_GLOBAL__N_116CompareEqFunctorIaEEEEEEvRNS_18TensorIteratorBaseERKT_EUlibE0_EEviT1_.kd
    .uniform_work_group_size: 1
    .uses_dynamic_stack: false
    .vgpr_count:     28
    .vgpr_spill_count: 0
    .wavefront_size: 32
  - .args:
      - .offset:         0
        .size:           4
        .value_kind:     by_value
      - .offset:         4
        .size:           8
        .value_kind:     by_value
      - .offset:         16
        .size:           16
        .value_kind:     by_value
    .group_segment_fixed_size: 0
    .kernarg_segment_align: 8
    .kernarg_segment_size: 32
    .language:       OpenCL C
    .language_version:
      - 2
      - 0
    .max_flat_workgroup_size: 256
    .name:           _ZN2at6native29vectorized_elementwise_kernelILi16ENS0_13AUnaryFunctorIaabNS0_12_GLOBAL__N_116CompareEqFunctorIaEEEESt5arrayIPcLm2EEEEviT0_T1_
    .private_segment_fixed_size: 0
    .sgpr_count:     28
    .sgpr_spill_count: 0
    .symbol:         _ZN2at6native29vectorized_elementwise_kernelILi16ENS0_13AUnaryFunctorIaabNS0_12_GLOBAL__N_116CompareEqFunctorIaEEEESt5arrayIPcLm2EEEEviT0_T1_.kd
    .uniform_work_group_size: 1
    .uses_dynamic_stack: false
    .vgpr_count:     21
    .vgpr_spill_count: 0
    .wavefront_size: 32
  - .args:
      - .offset:         0
        .size:           4
        .value_kind:     by_value
      - .offset:         4
        .size:           8
        .value_kind:     by_value
      - .offset:         16
        .size:           16
        .value_kind:     by_value
    .group_segment_fixed_size: 0
    .kernarg_segment_align: 8
    .kernarg_segment_size: 32
    .language:       OpenCL C
    .language_version:
      - 2
      - 0
    .max_flat_workgroup_size: 256
    .name:           _ZN2at6native29vectorized_elementwise_kernelILi8ENS0_13AUnaryFunctorIaabNS0_12_GLOBAL__N_116CompareEqFunctorIaEEEESt5arrayIPcLm2EEEEviT0_T1_
    .private_segment_fixed_size: 0
    .sgpr_count:     25
    .sgpr_spill_count: 0
    .symbol:         _ZN2at6native29vectorized_elementwise_kernelILi8ENS0_13AUnaryFunctorIaabNS0_12_GLOBAL__N_116CompareEqFunctorIaEEEESt5arrayIPcLm2EEEEviT0_T1_.kd
    .uniform_work_group_size: 1
    .uses_dynamic_stack: false
    .vgpr_count:     21
    .vgpr_spill_count: 0
    .wavefront_size: 32
  - .args:
      - .offset:         0
        .size:           4
        .value_kind:     by_value
      - .offset:         4
        .size:           8
        .value_kind:     by_value
      - .offset:         16
        .size:           16
        .value_kind:     by_value
    .group_segment_fixed_size: 0
    .kernarg_segment_align: 8
    .kernarg_segment_size: 32
    .language:       OpenCL C
    .language_version:
      - 2
      - 0
    .max_flat_workgroup_size: 256
    .name:           _ZN2at6native29vectorized_elementwise_kernelILi4ENS0_13AUnaryFunctorIaabNS0_12_GLOBAL__N_116CompareEqFunctorIaEEEESt5arrayIPcLm2EEEEviT0_T1_
    .private_segment_fixed_size: 0
    .sgpr_count:     25
    .sgpr_spill_count: 0
    .symbol:         _ZN2at6native29vectorized_elementwise_kernelILi4ENS0_13AUnaryFunctorIaabNS0_12_GLOBAL__N_116CompareEqFunctorIaEEEESt5arrayIPcLm2EEEEviT0_T1_.kd
    .uniform_work_group_size: 1
    .uses_dynamic_stack: false
    .vgpr_count:     21
    .vgpr_spill_count: 0
    .wavefront_size: 32
  - .args:
      - .offset:         0
        .size:           4
        .value_kind:     by_value
      - .offset:         4
        .size:           8
        .value_kind:     by_value
      - .offset:         16
        .size:           16
        .value_kind:     by_value
    .group_segment_fixed_size: 0
    .kernarg_segment_align: 8
    .kernarg_segment_size: 32
    .language:       OpenCL C
    .language_version:
      - 2
      - 0
    .max_flat_workgroup_size: 256
    .name:           _ZN2at6native29vectorized_elementwise_kernelILi2ENS0_13AUnaryFunctorIaabNS0_12_GLOBAL__N_116CompareEqFunctorIaEEEESt5arrayIPcLm2EEEEviT0_T1_
    .private_segment_fixed_size: 0
    .sgpr_count:     30
    .sgpr_spill_count: 0
    .symbol:         _ZN2at6native29vectorized_elementwise_kernelILi2ENS0_13AUnaryFunctorIaabNS0_12_GLOBAL__N_116CompareEqFunctorIaEEEESt5arrayIPcLm2EEEEviT0_T1_.kd
    .uniform_work_group_size: 1
    .uses_dynamic_stack: false
    .vgpr_count:     21
    .vgpr_spill_count: 0
    .wavefront_size: 32
  - .args:
      - .offset:         0
        .size:           4
        .value_kind:     by_value
      - .offset:         4
        .size:           8
        .value_kind:     by_value
      - .offset:         16
        .size:           16
        .value_kind:     by_value
      - .offset:         32
        .size:           1
        .value_kind:     by_value
      - .offset:         33
        .size:           1
        .value_kind:     by_value
      - .offset:         34
        .size:           1
        .value_kind:     by_value
      - .offset:         35
        .size:           1
        .value_kind:     by_value
    .group_segment_fixed_size: 0
    .kernarg_segment_align: 8
    .kernarg_segment_size: 36
    .language:       OpenCL C
    .language_version:
      - 2
      - 0
    .max_flat_workgroup_size: 256
    .name:           _ZN2at6native27unrolled_elementwise_kernelINS0_13AUnaryFunctorIaabNS0_12_GLOBAL__N_116CompareEqFunctorIaEEEESt5arrayIPcLm2EELi4E23TrivialOffsetCalculatorILi1EjESB_NS0_6memory15LoadWithoutCastENSC_16StoreWithoutCastEEEviT_T0_T2_T3_T4_T5_
    .private_segment_fixed_size: 0
    .sgpr_count:     15
    .sgpr_spill_count: 0
    .symbol:         _ZN2at6native27unrolled_elementwise_kernelINS0_13AUnaryFunctorIaabNS0_12_GLOBAL__N_116CompareEqFunctorIaEEEESt5arrayIPcLm2EELi4E23TrivialOffsetCalculatorILi1EjESB_NS0_6memory15LoadWithoutCastENSC_16StoreWithoutCastEEEviT_T0_T2_T3_T4_T5_.kd
    .uniform_work_group_size: 1
    .uses_dynamic_stack: false
    .vgpr_count:     8
    .vgpr_spill_count: 0
    .wavefront_size: 32
  - .args:
      - .offset:         0
        .size:           4
        .value_kind:     by_value
      - .offset:         8
        .size:           352
        .value_kind:     by_value
    .group_segment_fixed_size: 0
    .kernarg_segment_align: 8
    .kernarg_segment_size: 360
    .language:       OpenCL C
    .language_version:
      - 2
      - 0
    .max_flat_workgroup_size: 128
    .name:           _ZN2at6native32elementwise_kernel_manual_unrollILi128ELi8EZNS0_22gpu_kernel_impl_nocastINS0_13AUnaryFunctorIaabNS0_12_GLOBAL__N_116CompareEqFunctorIaEEEEEEvRNS_18TensorIteratorBaseERKT_EUlibE_EEviT1_
    .private_segment_fixed_size: 0
    .sgpr_count:     62
    .sgpr_spill_count: 0
    .symbol:         _ZN2at6native32elementwise_kernel_manual_unrollILi128ELi8EZNS0_22gpu_kernel_impl_nocastINS0_13AUnaryFunctorIaabNS0_12_GLOBAL__N_116CompareEqFunctorIaEEEEEEvRNS_18TensorIteratorBaseERKT_EUlibE_EEviT1_.kd
    .uniform_work_group_size: 1
    .uses_dynamic_stack: false
    .vgpr_count:     24
    .vgpr_spill_count: 0
    .wavefront_size: 32
  - .args:
      - .offset:         0
        .size:           4
        .value_kind:     by_value
      - .offset:         8
        .size:           40
        .value_kind:     by_value
    .group_segment_fixed_size: 0
    .kernarg_segment_align: 8
    .kernarg_segment_size: 48
    .language:       OpenCL C
    .language_version:
      - 2
      - 0
    .max_flat_workgroup_size: 128
    .name:           _ZN2at6native32elementwise_kernel_manual_unrollILi128ELi4EZNS0_15gpu_kernel_implINS0_13AUnaryFunctorIaabNS0_12_GLOBAL__N_116CompareEqFunctorIaEEEEEEvRNS_18TensorIteratorBaseERKT_EUlibE_EEviT1_
    .private_segment_fixed_size: 0
    .sgpr_count:     32
    .sgpr_spill_count: 0
    .symbol:         _ZN2at6native32elementwise_kernel_manual_unrollILi128ELi4EZNS0_15gpu_kernel_implINS0_13AUnaryFunctorIaabNS0_12_GLOBAL__N_116CompareEqFunctorIaEEEEEEvRNS_18TensorIteratorBaseERKT_EUlibE_EEviT1_.kd
    .uniform_work_group_size: 1
    .uses_dynamic_stack: false
    .vgpr_count:     14
    .vgpr_spill_count: 0
    .wavefront_size: 32
  - .args:
      - .offset:         0
        .size:           4
        .value_kind:     by_value
      - .offset:         8
        .size:           360
        .value_kind:     by_value
    .group_segment_fixed_size: 0
    .kernarg_segment_align: 8
    .kernarg_segment_size: 368
    .language:       OpenCL C
    .language_version:
      - 2
      - 0
    .max_flat_workgroup_size: 128
    .name:           _ZN2at6native32elementwise_kernel_manual_unrollILi128ELi4EZNS0_15gpu_kernel_implINS0_13AUnaryFunctorIaabNS0_12_GLOBAL__N_116CompareEqFunctorIaEEEEEEvRNS_18TensorIteratorBaseERKT_EUlibE0_EEviT1_
    .private_segment_fixed_size: 0
    .sgpr_count:     70
    .sgpr_spill_count: 0
    .symbol:         _ZN2at6native32elementwise_kernel_manual_unrollILi128ELi4EZNS0_15gpu_kernel_implINS0_13AUnaryFunctorIaabNS0_12_GLOBAL__N_116CompareEqFunctorIaEEEEEEvRNS_18TensorIteratorBaseERKT_EUlibE0_EEviT1_.kd
    .uniform_work_group_size: 1
    .uses_dynamic_stack: false
    .vgpr_count:     18
    .vgpr_spill_count: 0
    .wavefront_size: 32
  - .args:
      - .offset:         0
        .size:           4
        .value_kind:     by_value
      - .offset:         4
        .size:           4
        .value_kind:     by_value
      - .offset:         8
        .size:           24
        .value_kind:     by_value
    .group_segment_fixed_size: 0
    .kernarg_segment_align: 8
    .kernarg_segment_size: 32
    .language:       OpenCL C
    .language_version:
      - 2
      - 0
    .max_flat_workgroup_size: 256
    .name:           _ZN2at6native29vectorized_elementwise_kernelILi16ENS0_13BinaryFunctorIiibNS0_12_GLOBAL__N_116CompareEqFunctorIiEEEESt5arrayIPcLm3EEEEviT0_T1_
    .private_segment_fixed_size: 0
    .sgpr_count:     29
    .sgpr_spill_count: 0
    .symbol:         _ZN2at6native29vectorized_elementwise_kernelILi16ENS0_13BinaryFunctorIiibNS0_12_GLOBAL__N_116CompareEqFunctorIiEEEESt5arrayIPcLm3EEEEviT0_T1_.kd
    .uniform_work_group_size: 1
    .uses_dynamic_stack: false
    .vgpr_count:     39
    .vgpr_spill_count: 0
    .wavefront_size: 32
  - .args:
      - .offset:         0
        .size:           4
        .value_kind:     by_value
      - .offset:         4
        .size:           4
        .value_kind:     by_value
      - .offset:         8
        .size:           24
        .value_kind:     by_value
    .group_segment_fixed_size: 0
    .kernarg_segment_align: 8
    .kernarg_segment_size: 32
    .language:       OpenCL C
    .language_version:
      - 2
      - 0
    .max_flat_workgroup_size: 256
    .name:           _ZN2at6native29vectorized_elementwise_kernelILi8ENS0_13BinaryFunctorIiibNS0_12_GLOBAL__N_116CompareEqFunctorIiEEEESt5arrayIPcLm3EEEEviT0_T1_
    .private_segment_fixed_size: 0
    .sgpr_count:     29
    .sgpr_spill_count: 0
    .symbol:         _ZN2at6native29vectorized_elementwise_kernelILi8ENS0_13BinaryFunctorIiibNS0_12_GLOBAL__N_116CompareEqFunctorIiEEEESt5arrayIPcLm3EEEEviT0_T1_.kd
    .uniform_work_group_size: 1
    .uses_dynamic_stack: false
    .vgpr_count:     39
    .vgpr_spill_count: 0
    .wavefront_size: 32
  - .args:
      - .offset:         0
        .size:           4
        .value_kind:     by_value
      - .offset:         4
        .size:           4
        .value_kind:     by_value
      - .offset:         8
        .size:           24
        .value_kind:     by_value
    .group_segment_fixed_size: 0
    .kernarg_segment_align: 8
    .kernarg_segment_size: 32
    .language:       OpenCL C
    .language_version:
      - 2
      - 0
    .max_flat_workgroup_size: 256
    .name:           _ZN2at6native29vectorized_elementwise_kernelILi4ENS0_13BinaryFunctorIiibNS0_12_GLOBAL__N_116CompareEqFunctorIiEEEESt5arrayIPcLm3EEEEviT0_T1_
    .private_segment_fixed_size: 0
    .sgpr_count:     29
    .sgpr_spill_count: 0
    .symbol:         _ZN2at6native29vectorized_elementwise_kernelILi4ENS0_13BinaryFunctorIiibNS0_12_GLOBAL__N_116CompareEqFunctorIiEEEESt5arrayIPcLm3EEEEviT0_T1_.kd
    .uniform_work_group_size: 1
    .uses_dynamic_stack: false
    .vgpr_count:     39
    .vgpr_spill_count: 0
    .wavefront_size: 32
  - .args:
      - .offset:         0
        .size:           4
        .value_kind:     by_value
      - .offset:         4
        .size:           4
        .value_kind:     by_value
      - .offset:         8
        .size:           24
        .value_kind:     by_value
    .group_segment_fixed_size: 0
    .kernarg_segment_align: 8
    .kernarg_segment_size: 32
    .language:       OpenCL C
    .language_version:
      - 2
      - 0
    .max_flat_workgroup_size: 256
    .name:           _ZN2at6native29vectorized_elementwise_kernelILi2ENS0_13BinaryFunctorIiibNS0_12_GLOBAL__N_116CompareEqFunctorIiEEEESt5arrayIPcLm3EEEEviT0_T1_
    .private_segment_fixed_size: 0
    .sgpr_count:     31
    .sgpr_spill_count: 0
    .symbol:         _ZN2at6native29vectorized_elementwise_kernelILi2ENS0_13BinaryFunctorIiibNS0_12_GLOBAL__N_116CompareEqFunctorIiEEEESt5arrayIPcLm3EEEEviT0_T1_.kd
    .uniform_work_group_size: 1
    .uses_dynamic_stack: false
    .vgpr_count:     39
    .vgpr_spill_count: 0
    .wavefront_size: 32
  - .args:
      - .offset:         0
        .size:           4
        .value_kind:     by_value
      - .offset:         4
        .size:           4
        .value_kind:     by_value
      - .offset:         8
        .size:           24
        .value_kind:     by_value
      - .offset:         32
        .size:           1
        .value_kind:     by_value
      - .offset:         33
        .size:           1
        .value_kind:     by_value
      - .offset:         34
        .size:           1
        .value_kind:     by_value
      - .offset:         35
        .size:           1
        .value_kind:     by_value
    .group_segment_fixed_size: 0
    .kernarg_segment_align: 8
    .kernarg_segment_size: 36
    .language:       OpenCL C
    .language_version:
      - 2
      - 0
    .max_flat_workgroup_size: 256
    .name:           _ZN2at6native27unrolled_elementwise_kernelINS0_13BinaryFunctorIiibNS0_12_GLOBAL__N_116CompareEqFunctorIiEEEESt5arrayIPcLm3EELi4E23TrivialOffsetCalculatorILi2EjESA_ILi1EjENS0_6memory15LoadWithoutCastENSD_16StoreWithoutCastEEEviT_T0_T2_T3_T4_T5_
    .private_segment_fixed_size: 0
    .sgpr_count:     17
    .sgpr_spill_count: 0
    .symbol:         _ZN2at6native27unrolled_elementwise_kernelINS0_13BinaryFunctorIiibNS0_12_GLOBAL__N_116CompareEqFunctorIiEEEESt5arrayIPcLm3EELi4E23TrivialOffsetCalculatorILi2EjESA_ILi1EjENS0_6memory15LoadWithoutCastENSD_16StoreWithoutCastEEEviT_T0_T2_T3_T4_T5_.kd
    .uniform_work_group_size: 1
    .uses_dynamic_stack: false
    .vgpr_count:     12
    .vgpr_spill_count: 0
    .wavefront_size: 32
  - .args:
      - .offset:         0
        .size:           4
        .value_kind:     by_value
      - .offset:         8
        .size:           424
        .value_kind:     by_value
    .group_segment_fixed_size: 0
    .kernarg_segment_align: 8
    .kernarg_segment_size: 432
    .language:       OpenCL C
    .language_version:
      - 2
      - 0
    .max_flat_workgroup_size: 128
    .name:           _ZN2at6native32elementwise_kernel_manual_unrollILi128ELi8EZNS0_22gpu_kernel_impl_nocastINS0_13BinaryFunctorIiibNS0_12_GLOBAL__N_116CompareEqFunctorIiEEEEEEvRNS_18TensorIteratorBaseERKT_EUlibE_EEviT1_
    .private_segment_fixed_size: 0
    .sgpr_count:     48
    .sgpr_spill_count: 0
    .symbol:         _ZN2at6native32elementwise_kernel_manual_unrollILi128ELi8EZNS0_22gpu_kernel_impl_nocastINS0_13BinaryFunctorIiibNS0_12_GLOBAL__N_116CompareEqFunctorIiEEEEEEvRNS_18TensorIteratorBaseERKT_EUlibE_EEviT1_.kd
    .uniform_work_group_size: 1
    .uses_dynamic_stack: false
    .vgpr_count:     39
    .vgpr_spill_count: 0
    .wavefront_size: 32
  - .args:
      - .offset:         0
        .size:           4
        .value_kind:     by_value
      - .offset:         8
        .size:           48
        .value_kind:     by_value
    .group_segment_fixed_size: 0
    .kernarg_segment_align: 8
    .kernarg_segment_size: 56
    .language:       OpenCL C
    .language_version:
      - 2
      - 0
    .max_flat_workgroup_size: 128
    .name:           _ZN2at6native32elementwise_kernel_manual_unrollILi128ELi4EZNS0_15gpu_kernel_implINS0_13BinaryFunctorIiibNS0_12_GLOBAL__N_116CompareEqFunctorIiEEEEEEvRNS_18TensorIteratorBaseERKT_EUlibE_EEviT1_
    .private_segment_fixed_size: 0
    .sgpr_count:     39
    .sgpr_spill_count: 0
    .symbol:         _ZN2at6native32elementwise_kernel_manual_unrollILi128ELi4EZNS0_15gpu_kernel_implINS0_13BinaryFunctorIiibNS0_12_GLOBAL__N_116CompareEqFunctorIiEEEEEEvRNS_18TensorIteratorBaseERKT_EUlibE_EEviT1_.kd
    .uniform_work_group_size: 1
    .uses_dynamic_stack: false
    .vgpr_count:     18
    .vgpr_spill_count: 0
    .wavefront_size: 32
  - .args:
      - .offset:         0
        .size:           4
        .value_kind:     by_value
      - .offset:         8
        .size:           424
        .value_kind:     by_value
    .group_segment_fixed_size: 0
    .kernarg_segment_align: 8
    .kernarg_segment_size: 432
    .language:       OpenCL C
    .language_version:
      - 2
      - 0
    .max_flat_workgroup_size: 128
    .name:           _ZN2at6native32elementwise_kernel_manual_unrollILi128ELi4EZNS0_15gpu_kernel_implINS0_13BinaryFunctorIiibNS0_12_GLOBAL__N_116CompareEqFunctorIiEEEEEEvRNS_18TensorIteratorBaseERKT_EUlibE0_EEviT1_
    .private_segment_fixed_size: 0
    .sgpr_count:     64
    .sgpr_spill_count: 0
    .symbol:         _ZN2at6native32elementwise_kernel_manual_unrollILi128ELi4EZNS0_15gpu_kernel_implINS0_13BinaryFunctorIiibNS0_12_GLOBAL__N_116CompareEqFunctorIiEEEEEEvRNS_18TensorIteratorBaseERKT_EUlibE0_EEviT1_.kd
    .uniform_work_group_size: 1
    .uses_dynamic_stack: false
    .vgpr_count:     26
    .vgpr_spill_count: 0
    .wavefront_size: 32
  - .args:
      - .offset:         0
        .size:           4
        .value_kind:     by_value
      - .offset:         4
        .size:           8
        .value_kind:     by_value
      - .offset:         16
        .size:           16
        .value_kind:     by_value
    .group_segment_fixed_size: 0
    .kernarg_segment_align: 8
    .kernarg_segment_size: 32
    .language:       OpenCL C
    .language_version:
      - 2
      - 0
    .max_flat_workgroup_size: 256
    .name:           _ZN2at6native29vectorized_elementwise_kernelILi16ENS0_13AUnaryFunctorIiibNS0_12_GLOBAL__N_116CompareEqFunctorIiEEEESt5arrayIPcLm2EEEEviT0_T1_
    .private_segment_fixed_size: 0
    .sgpr_count:     28
    .sgpr_spill_count: 0
    .symbol:         _ZN2at6native29vectorized_elementwise_kernelILi16ENS0_13AUnaryFunctorIiibNS0_12_GLOBAL__N_116CompareEqFunctorIiEEEESt5arrayIPcLm2EEEEviT0_T1_.kd
    .uniform_work_group_size: 1
    .uses_dynamic_stack: false
    .vgpr_count:     21
    .vgpr_spill_count: 0
    .wavefront_size: 32
  - .args:
      - .offset:         0
        .size:           4
        .value_kind:     by_value
      - .offset:         4
        .size:           8
        .value_kind:     by_value
      - .offset:         16
        .size:           16
        .value_kind:     by_value
    .group_segment_fixed_size: 0
    .kernarg_segment_align: 8
    .kernarg_segment_size: 32
    .language:       OpenCL C
    .language_version:
      - 2
      - 0
    .max_flat_workgroup_size: 256
    .name:           _ZN2at6native29vectorized_elementwise_kernelILi8ENS0_13AUnaryFunctorIiibNS0_12_GLOBAL__N_116CompareEqFunctorIiEEEESt5arrayIPcLm2EEEEviT0_T1_
    .private_segment_fixed_size: 0
    .sgpr_count:     28
    .sgpr_spill_count: 0
    .symbol:         _ZN2at6native29vectorized_elementwise_kernelILi8ENS0_13AUnaryFunctorIiibNS0_12_GLOBAL__N_116CompareEqFunctorIiEEEESt5arrayIPcLm2EEEEviT0_T1_.kd
    .uniform_work_group_size: 1
    .uses_dynamic_stack: false
    .vgpr_count:     21
    .vgpr_spill_count: 0
    .wavefront_size: 32
  - .args:
      - .offset:         0
        .size:           4
        .value_kind:     by_value
      - .offset:         4
        .size:           8
        .value_kind:     by_value
      - .offset:         16
        .size:           16
        .value_kind:     by_value
    .group_segment_fixed_size: 0
    .kernarg_segment_align: 8
    .kernarg_segment_size: 32
    .language:       OpenCL C
    .language_version:
      - 2
      - 0
    .max_flat_workgroup_size: 256
    .name:           _ZN2at6native29vectorized_elementwise_kernelILi4ENS0_13AUnaryFunctorIiibNS0_12_GLOBAL__N_116CompareEqFunctorIiEEEESt5arrayIPcLm2EEEEviT0_T1_
    .private_segment_fixed_size: 0
    .sgpr_count:     28
    .sgpr_spill_count: 0
    .symbol:         _ZN2at6native29vectorized_elementwise_kernelILi4ENS0_13AUnaryFunctorIiibNS0_12_GLOBAL__N_116CompareEqFunctorIiEEEESt5arrayIPcLm2EEEEviT0_T1_.kd
    .uniform_work_group_size: 1
    .uses_dynamic_stack: false
    .vgpr_count:     21
    .vgpr_spill_count: 0
    .wavefront_size: 32
  - .args:
      - .offset:         0
        .size:           4
        .value_kind:     by_value
      - .offset:         4
        .size:           8
        .value_kind:     by_value
      - .offset:         16
        .size:           16
        .value_kind:     by_value
    .group_segment_fixed_size: 0
    .kernarg_segment_align: 8
    .kernarg_segment_size: 32
    .language:       OpenCL C
    .language_version:
      - 2
      - 0
    .max_flat_workgroup_size: 256
    .name:           _ZN2at6native29vectorized_elementwise_kernelILi2ENS0_13AUnaryFunctorIiibNS0_12_GLOBAL__N_116CompareEqFunctorIiEEEESt5arrayIPcLm2EEEEviT0_T1_
    .private_segment_fixed_size: 0
    .sgpr_count:     30
    .sgpr_spill_count: 0
    .symbol:         _ZN2at6native29vectorized_elementwise_kernelILi2ENS0_13AUnaryFunctorIiibNS0_12_GLOBAL__N_116CompareEqFunctorIiEEEESt5arrayIPcLm2EEEEviT0_T1_.kd
    .uniform_work_group_size: 1
    .uses_dynamic_stack: false
    .vgpr_count:     21
    .vgpr_spill_count: 0
    .wavefront_size: 32
  - .args:
      - .offset:         0
        .size:           4
        .value_kind:     by_value
      - .offset:         4
        .size:           8
        .value_kind:     by_value
      - .offset:         16
        .size:           16
        .value_kind:     by_value
      - .offset:         32
        .size:           1
        .value_kind:     by_value
      - .offset:         33
        .size:           1
        .value_kind:     by_value
      - .offset:         34
        .size:           1
        .value_kind:     by_value
      - .offset:         35
        .size:           1
        .value_kind:     by_value
    .group_segment_fixed_size: 0
    .kernarg_segment_align: 8
    .kernarg_segment_size: 36
    .language:       OpenCL C
    .language_version:
      - 2
      - 0
    .max_flat_workgroup_size: 256
    .name:           _ZN2at6native27unrolled_elementwise_kernelINS0_13AUnaryFunctorIiibNS0_12_GLOBAL__N_116CompareEqFunctorIiEEEESt5arrayIPcLm2EELi4E23TrivialOffsetCalculatorILi1EjESB_NS0_6memory15LoadWithoutCastENSC_16StoreWithoutCastEEEviT_T0_T2_T3_T4_T5_
    .private_segment_fixed_size: 0
    .sgpr_count:     15
    .sgpr_spill_count: 0
    .symbol:         _ZN2at6native27unrolled_elementwise_kernelINS0_13AUnaryFunctorIiibNS0_12_GLOBAL__N_116CompareEqFunctorIiEEEESt5arrayIPcLm2EELi4E23TrivialOffsetCalculatorILi1EjESB_NS0_6memory15LoadWithoutCastENSC_16StoreWithoutCastEEEviT_T0_T2_T3_T4_T5_.kd
    .uniform_work_group_size: 1
    .uses_dynamic_stack: false
    .vgpr_count:     8
    .vgpr_spill_count: 0
    .wavefront_size: 32
  - .args:
      - .offset:         0
        .size:           4
        .value_kind:     by_value
      - .offset:         8
        .size:           352
        .value_kind:     by_value
    .group_segment_fixed_size: 0
    .kernarg_segment_align: 8
    .kernarg_segment_size: 360
    .language:       OpenCL C
    .language_version:
      - 2
      - 0
    .max_flat_workgroup_size: 128
    .name:           _ZN2at6native32elementwise_kernel_manual_unrollILi128ELi8EZNS0_22gpu_kernel_impl_nocastINS0_13AUnaryFunctorIiibNS0_12_GLOBAL__N_116CompareEqFunctorIiEEEEEEvRNS_18TensorIteratorBaseERKT_EUlibE_EEviT1_
    .private_segment_fixed_size: 0
    .sgpr_count:     62
    .sgpr_spill_count: 0
    .symbol:         _ZN2at6native32elementwise_kernel_manual_unrollILi128ELi8EZNS0_22gpu_kernel_impl_nocastINS0_13AUnaryFunctorIiibNS0_12_GLOBAL__N_116CompareEqFunctorIiEEEEEEvRNS_18TensorIteratorBaseERKT_EUlibE_EEviT1_.kd
    .uniform_work_group_size: 1
    .uses_dynamic_stack: false
    .vgpr_count:     24
    .vgpr_spill_count: 0
    .wavefront_size: 32
  - .args:
      - .offset:         0
        .size:           4
        .value_kind:     by_value
      - .offset:         8
        .size:           40
        .value_kind:     by_value
    .group_segment_fixed_size: 0
    .kernarg_segment_align: 8
    .kernarg_segment_size: 48
    .language:       OpenCL C
    .language_version:
      - 2
      - 0
    .max_flat_workgroup_size: 128
    .name:           _ZN2at6native32elementwise_kernel_manual_unrollILi128ELi4EZNS0_15gpu_kernel_implINS0_13AUnaryFunctorIiibNS0_12_GLOBAL__N_116CompareEqFunctorIiEEEEEEvRNS_18TensorIteratorBaseERKT_EUlibE_EEviT1_
    .private_segment_fixed_size: 0
    .sgpr_count:     32
    .sgpr_spill_count: 0
    .symbol:         _ZN2at6native32elementwise_kernel_manual_unrollILi128ELi4EZNS0_15gpu_kernel_implINS0_13AUnaryFunctorIiibNS0_12_GLOBAL__N_116CompareEqFunctorIiEEEEEEvRNS_18TensorIteratorBaseERKT_EUlibE_EEviT1_.kd
    .uniform_work_group_size: 1
    .uses_dynamic_stack: false
    .vgpr_count:     12
    .vgpr_spill_count: 0
    .wavefront_size: 32
  - .args:
      - .offset:         0
        .size:           4
        .value_kind:     by_value
      - .offset:         8
        .size:           360
        .value_kind:     by_value
    .group_segment_fixed_size: 0
    .kernarg_segment_align: 8
    .kernarg_segment_size: 368
    .language:       OpenCL C
    .language_version:
      - 2
      - 0
    .max_flat_workgroup_size: 128
    .name:           _ZN2at6native32elementwise_kernel_manual_unrollILi128ELi4EZNS0_15gpu_kernel_implINS0_13AUnaryFunctorIiibNS0_12_GLOBAL__N_116CompareEqFunctorIiEEEEEEvRNS_18TensorIteratorBaseERKT_EUlibE0_EEviT1_
    .private_segment_fixed_size: 0
    .sgpr_count:     70
    .sgpr_spill_count: 0
    .symbol:         _ZN2at6native32elementwise_kernel_manual_unrollILi128ELi4EZNS0_15gpu_kernel_implINS0_13AUnaryFunctorIiibNS0_12_GLOBAL__N_116CompareEqFunctorIiEEEEEEvRNS_18TensorIteratorBaseERKT_EUlibE0_EEviT1_.kd
    .uniform_work_group_size: 1
    .uses_dynamic_stack: false
    .vgpr_count:     18
    .vgpr_spill_count: 0
    .wavefront_size: 32
  - .args:
      - .offset:         0
        .size:           4
        .value_kind:     by_value
      - .offset:         4
        .size:           4
        .value_kind:     by_value
      - .offset:         8
        .size:           24
        .value_kind:     by_value
    .group_segment_fixed_size: 0
    .kernarg_segment_align: 8
    .kernarg_segment_size: 32
    .language:       OpenCL C
    .language_version:
      - 2
      - 0
    .max_flat_workgroup_size: 256
    .name:           _ZN2at6native29vectorized_elementwise_kernelILi16ENS0_13BinaryFunctorIllbNS0_12_GLOBAL__N_116CompareEqFunctorIlEEEESt5arrayIPcLm3EEEEviT0_T1_
    .private_segment_fixed_size: 0
    .sgpr_count:     29
    .sgpr_spill_count: 0
    .symbol:         _ZN2at6native29vectorized_elementwise_kernelILi16ENS0_13BinaryFunctorIllbNS0_12_GLOBAL__N_116CompareEqFunctorIlEEEESt5arrayIPcLm3EEEEviT0_T1_.kd
    .uniform_work_group_size: 1
    .uses_dynamic_stack: false
    .vgpr_count:     58
    .vgpr_spill_count: 0
    .wavefront_size: 32
  - .args:
      - .offset:         0
        .size:           4
        .value_kind:     by_value
      - .offset:         4
        .size:           4
        .value_kind:     by_value
      - .offset:         8
        .size:           24
        .value_kind:     by_value
    .group_segment_fixed_size: 0
    .kernarg_segment_align: 8
    .kernarg_segment_size: 32
    .language:       OpenCL C
    .language_version:
      - 2
      - 0
    .max_flat_workgroup_size: 256
    .name:           _ZN2at6native29vectorized_elementwise_kernelILi8ENS0_13BinaryFunctorIllbNS0_12_GLOBAL__N_116CompareEqFunctorIlEEEESt5arrayIPcLm3EEEEviT0_T1_
    .private_segment_fixed_size: 0
    .sgpr_count:     29
    .sgpr_spill_count: 0
    .symbol:         _ZN2at6native29vectorized_elementwise_kernelILi8ENS0_13BinaryFunctorIllbNS0_12_GLOBAL__N_116CompareEqFunctorIlEEEESt5arrayIPcLm3EEEEviT0_T1_.kd
    .uniform_work_group_size: 1
    .uses_dynamic_stack: false
    .vgpr_count:     58
    .vgpr_spill_count: 0
    .wavefront_size: 32
  - .args:
      - .offset:         0
        .size:           4
        .value_kind:     by_value
      - .offset:         4
        .size:           4
        .value_kind:     by_value
      - .offset:         8
        .size:           24
        .value_kind:     by_value
    .group_segment_fixed_size: 0
    .kernarg_segment_align: 8
    .kernarg_segment_size: 32
    .language:       OpenCL C
    .language_version:
      - 2
      - 0
    .max_flat_workgroup_size: 256
    .name:           _ZN2at6native29vectorized_elementwise_kernelILi4ENS0_13BinaryFunctorIllbNS0_12_GLOBAL__N_116CompareEqFunctorIlEEEESt5arrayIPcLm3EEEEviT0_T1_
    .private_segment_fixed_size: 0
    .sgpr_count:     29
    .sgpr_spill_count: 0
    .symbol:         _ZN2at6native29vectorized_elementwise_kernelILi4ENS0_13BinaryFunctorIllbNS0_12_GLOBAL__N_116CompareEqFunctorIlEEEESt5arrayIPcLm3EEEEviT0_T1_.kd
    .uniform_work_group_size: 1
    .uses_dynamic_stack: false
    .vgpr_count:     58
    .vgpr_spill_count: 0
    .wavefront_size: 32
  - .args:
      - .offset:         0
        .size:           4
        .value_kind:     by_value
      - .offset:         4
        .size:           4
        .value_kind:     by_value
      - .offset:         8
        .size:           24
        .value_kind:     by_value
    .group_segment_fixed_size: 0
    .kernarg_segment_align: 8
    .kernarg_segment_size: 32
    .language:       OpenCL C
    .language_version:
      - 2
      - 0
    .max_flat_workgroup_size: 256
    .name:           _ZN2at6native29vectorized_elementwise_kernelILi2ENS0_13BinaryFunctorIllbNS0_12_GLOBAL__N_116CompareEqFunctorIlEEEESt5arrayIPcLm3EEEEviT0_T1_
    .private_segment_fixed_size: 0
    .sgpr_count:     31
    .sgpr_spill_count: 0
    .symbol:         _ZN2at6native29vectorized_elementwise_kernelILi2ENS0_13BinaryFunctorIllbNS0_12_GLOBAL__N_116CompareEqFunctorIlEEEESt5arrayIPcLm3EEEEviT0_T1_.kd
    .uniform_work_group_size: 1
    .uses_dynamic_stack: false
    .vgpr_count:     58
    .vgpr_spill_count: 0
    .wavefront_size: 32
  - .args:
      - .offset:         0
        .size:           4
        .value_kind:     by_value
      - .offset:         4
        .size:           4
        .value_kind:     by_value
      - .offset:         8
        .size:           24
        .value_kind:     by_value
      - .offset:         32
        .size:           1
        .value_kind:     by_value
      - .offset:         33
        .size:           1
        .value_kind:     by_value
      - .offset:         34
        .size:           1
        .value_kind:     by_value
      - .offset:         35
        .size:           1
        .value_kind:     by_value
    .group_segment_fixed_size: 0
    .kernarg_segment_align: 8
    .kernarg_segment_size: 36
    .language:       OpenCL C
    .language_version:
      - 2
      - 0
    .max_flat_workgroup_size: 256
    .name:           _ZN2at6native27unrolled_elementwise_kernelINS0_13BinaryFunctorIllbNS0_12_GLOBAL__N_116CompareEqFunctorIlEEEESt5arrayIPcLm3EELi4E23TrivialOffsetCalculatorILi2EjESA_ILi1EjENS0_6memory15LoadWithoutCastENSD_16StoreWithoutCastEEEviT_T0_T2_T3_T4_T5_
    .private_segment_fixed_size: 0
    .sgpr_count:     17
    .sgpr_spill_count: 0
    .symbol:         _ZN2at6native27unrolled_elementwise_kernelINS0_13BinaryFunctorIllbNS0_12_GLOBAL__N_116CompareEqFunctorIlEEEESt5arrayIPcLm3EELi4E23TrivialOffsetCalculatorILi2EjESA_ILi1EjENS0_6memory15LoadWithoutCastENSD_16StoreWithoutCastEEEviT_T0_T2_T3_T4_T5_.kd
    .uniform_work_group_size: 1
    .uses_dynamic_stack: false
    .vgpr_count:     9
    .vgpr_spill_count: 0
    .wavefront_size: 32
  - .args:
      - .offset:         0
        .size:           4
        .value_kind:     by_value
      - .offset:         8
        .size:           424
        .value_kind:     by_value
    .group_segment_fixed_size: 0
    .kernarg_segment_align: 8
    .kernarg_segment_size: 432
    .language:       OpenCL C
    .language_version:
      - 2
      - 0
    .max_flat_workgroup_size: 128
    .name:           _ZN2at6native32elementwise_kernel_manual_unrollILi128ELi8EZNS0_22gpu_kernel_impl_nocastINS0_13BinaryFunctorIllbNS0_12_GLOBAL__N_116CompareEqFunctorIlEEEEEEvRNS_18TensorIteratorBaseERKT_EUlibE_EEviT1_
    .private_segment_fixed_size: 0
    .sgpr_count:     48
    .sgpr_spill_count: 0
    .symbol:         _ZN2at6native32elementwise_kernel_manual_unrollILi128ELi8EZNS0_22gpu_kernel_impl_nocastINS0_13BinaryFunctorIllbNS0_12_GLOBAL__N_116CompareEqFunctorIlEEEEEEvRNS_18TensorIteratorBaseERKT_EUlibE_EEviT1_.kd
    .uniform_work_group_size: 1
    .uses_dynamic_stack: false
    .vgpr_count:     56
    .vgpr_spill_count: 0
    .wavefront_size: 32
  - .args:
      - .offset:         0
        .size:           4
        .value_kind:     by_value
      - .offset:         8
        .size:           48
        .value_kind:     by_value
    .group_segment_fixed_size: 0
    .kernarg_segment_align: 8
    .kernarg_segment_size: 56
    .language:       OpenCL C
    .language_version:
      - 2
      - 0
    .max_flat_workgroup_size: 128
    .name:           _ZN2at6native32elementwise_kernel_manual_unrollILi128ELi4EZNS0_15gpu_kernel_implINS0_13BinaryFunctorIllbNS0_12_GLOBAL__N_116CompareEqFunctorIlEEEEEEvRNS_18TensorIteratorBaseERKT_EUlibE_EEviT1_
    .private_segment_fixed_size: 0
    .sgpr_count:     39
    .sgpr_spill_count: 0
    .symbol:         _ZN2at6native32elementwise_kernel_manual_unrollILi128ELi4EZNS0_15gpu_kernel_implINS0_13BinaryFunctorIllbNS0_12_GLOBAL__N_116CompareEqFunctorIlEEEEEEvRNS_18TensorIteratorBaseERKT_EUlibE_EEviT1_.kd
    .uniform_work_group_size: 1
    .uses_dynamic_stack: false
    .vgpr_count:     24
    .vgpr_spill_count: 0
    .wavefront_size: 32
  - .args:
      - .offset:         0
        .size:           4
        .value_kind:     by_value
      - .offset:         8
        .size:           424
        .value_kind:     by_value
    .group_segment_fixed_size: 0
    .kernarg_segment_align: 8
    .kernarg_segment_size: 432
    .language:       OpenCL C
    .language_version:
      - 2
      - 0
    .max_flat_workgroup_size: 128
    .name:           _ZN2at6native32elementwise_kernel_manual_unrollILi128ELi4EZNS0_15gpu_kernel_implINS0_13BinaryFunctorIllbNS0_12_GLOBAL__N_116CompareEqFunctorIlEEEEEEvRNS_18TensorIteratorBaseERKT_EUlibE0_EEviT1_
    .private_segment_fixed_size: 0
    .sgpr_count:     64
    .sgpr_spill_count: 0
    .symbol:         _ZN2at6native32elementwise_kernel_manual_unrollILi128ELi4EZNS0_15gpu_kernel_implINS0_13BinaryFunctorIllbNS0_12_GLOBAL__N_116CompareEqFunctorIlEEEEEEvRNS_18TensorIteratorBaseERKT_EUlibE0_EEviT1_.kd
    .uniform_work_group_size: 1
    .uses_dynamic_stack: false
    .vgpr_count:     30
    .vgpr_spill_count: 0
    .wavefront_size: 32
  - .args:
      - .offset:         0
        .size:           4
        .value_kind:     by_value
      - .offset:         8
        .size:           16
        .value_kind:     by_value
      - .offset:         24
        .size:           16
        .value_kind:     by_value
    .group_segment_fixed_size: 0
    .kernarg_segment_align: 8
    .kernarg_segment_size: 40
    .language:       OpenCL C
    .language_version:
      - 2
      - 0
    .max_flat_workgroup_size: 256
    .name:           _ZN2at6native29vectorized_elementwise_kernelILi16ENS0_13AUnaryFunctorIllbNS0_12_GLOBAL__N_116CompareEqFunctorIlEEEESt5arrayIPcLm2EEEEviT0_T1_
    .private_segment_fixed_size: 0
    .sgpr_count:     29
    .sgpr_spill_count: 0
    .symbol:         _ZN2at6native29vectorized_elementwise_kernelILi16ENS0_13AUnaryFunctorIllbNS0_12_GLOBAL__N_116CompareEqFunctorIlEEEESt5arrayIPcLm2EEEEviT0_T1_.kd
    .uniform_work_group_size: 1
    .uses_dynamic_stack: false
    .vgpr_count:     36
    .vgpr_spill_count: 0
    .wavefront_size: 32
  - .args:
      - .offset:         0
        .size:           4
        .value_kind:     by_value
      - .offset:         8
        .size:           16
        .value_kind:     by_value
      - .offset:         24
        .size:           16
        .value_kind:     by_value
    .group_segment_fixed_size: 0
    .kernarg_segment_align: 8
    .kernarg_segment_size: 40
    .language:       OpenCL C
    .language_version:
      - 2
      - 0
    .max_flat_workgroup_size: 256
    .name:           _ZN2at6native29vectorized_elementwise_kernelILi8ENS0_13AUnaryFunctorIllbNS0_12_GLOBAL__N_116CompareEqFunctorIlEEEESt5arrayIPcLm2EEEEviT0_T1_
    .private_segment_fixed_size: 0
    .sgpr_count:     29
    .sgpr_spill_count: 0
    .symbol:         _ZN2at6native29vectorized_elementwise_kernelILi8ENS0_13AUnaryFunctorIllbNS0_12_GLOBAL__N_116CompareEqFunctorIlEEEESt5arrayIPcLm2EEEEviT0_T1_.kd
    .uniform_work_group_size: 1
    .uses_dynamic_stack: false
    .vgpr_count:     36
    .vgpr_spill_count: 0
    .wavefront_size: 32
  - .args:
      - .offset:         0
        .size:           4
        .value_kind:     by_value
      - .offset:         8
        .size:           16
        .value_kind:     by_value
      - .offset:         24
        .size:           16
        .value_kind:     by_value
    .group_segment_fixed_size: 0
    .kernarg_segment_align: 8
    .kernarg_segment_size: 40
    .language:       OpenCL C
    .language_version:
      - 2
      - 0
    .max_flat_workgroup_size: 256
    .name:           _ZN2at6native29vectorized_elementwise_kernelILi4ENS0_13AUnaryFunctorIllbNS0_12_GLOBAL__N_116CompareEqFunctorIlEEEESt5arrayIPcLm2EEEEviT0_T1_
    .private_segment_fixed_size: 0
    .sgpr_count:     29
    .sgpr_spill_count: 0
    .symbol:         _ZN2at6native29vectorized_elementwise_kernelILi4ENS0_13AUnaryFunctorIllbNS0_12_GLOBAL__N_116CompareEqFunctorIlEEEESt5arrayIPcLm2EEEEviT0_T1_.kd
    .uniform_work_group_size: 1
    .uses_dynamic_stack: false
    .vgpr_count:     36
    .vgpr_spill_count: 0
    .wavefront_size: 32
  - .args:
      - .offset:         0
        .size:           4
        .value_kind:     by_value
      - .offset:         8
        .size:           16
        .value_kind:     by_value
      - .offset:         24
        .size:           16
        .value_kind:     by_value
    .group_segment_fixed_size: 0
    .kernarg_segment_align: 8
    .kernarg_segment_size: 40
    .language:       OpenCL C
    .language_version:
      - 2
      - 0
    .max_flat_workgroup_size: 256
    .name:           _ZN2at6native29vectorized_elementwise_kernelILi2ENS0_13AUnaryFunctorIllbNS0_12_GLOBAL__N_116CompareEqFunctorIlEEEESt5arrayIPcLm2EEEEviT0_T1_
    .private_segment_fixed_size: 0
    .sgpr_count:     31
    .sgpr_spill_count: 0
    .symbol:         _ZN2at6native29vectorized_elementwise_kernelILi2ENS0_13AUnaryFunctorIllbNS0_12_GLOBAL__N_116CompareEqFunctorIlEEEESt5arrayIPcLm2EEEEviT0_T1_.kd
    .uniform_work_group_size: 1
    .uses_dynamic_stack: false
    .vgpr_count:     36
    .vgpr_spill_count: 0
    .wavefront_size: 32
  - .args:
      - .offset:         0
        .size:           4
        .value_kind:     by_value
      - .offset:         8
        .size:           16
        .value_kind:     by_value
      - .offset:         24
        .size:           16
        .value_kind:     by_value
      - .offset:         40
        .size:           1
        .value_kind:     by_value
      - .offset:         41
        .size:           1
        .value_kind:     by_value
      - .offset:         42
        .size:           1
        .value_kind:     by_value
      - .offset:         43
        .size:           1
        .value_kind:     by_value
    .group_segment_fixed_size: 0
    .kernarg_segment_align: 8
    .kernarg_segment_size: 44
    .language:       OpenCL C
    .language_version:
      - 2
      - 0
    .max_flat_workgroup_size: 256
    .name:           _ZN2at6native27unrolled_elementwise_kernelINS0_13AUnaryFunctorIllbNS0_12_GLOBAL__N_116CompareEqFunctorIlEEEESt5arrayIPcLm2EELi4E23TrivialOffsetCalculatorILi1EjESB_NS0_6memory15LoadWithoutCastENSC_16StoreWithoutCastEEEviT_T0_T2_T3_T4_T5_
    .private_segment_fixed_size: 0
    .sgpr_count:     14
    .sgpr_spill_count: 0
    .symbol:         _ZN2at6native27unrolled_elementwise_kernelINS0_13AUnaryFunctorIllbNS0_12_GLOBAL__N_116CompareEqFunctorIlEEEESt5arrayIPcLm2EELi4E23TrivialOffsetCalculatorILi1EjESB_NS0_6memory15LoadWithoutCastENSC_16StoreWithoutCastEEEviT_T0_T2_T3_T4_T5_.kd
    .uniform_work_group_size: 1
    .uses_dynamic_stack: false
    .vgpr_count:     12
    .vgpr_spill_count: 0
    .wavefront_size: 32
  - .args:
      - .offset:         0
        .size:           4
        .value_kind:     by_value
      - .offset:         8
        .size:           360
        .value_kind:     by_value
    .group_segment_fixed_size: 0
    .kernarg_segment_align: 8
    .kernarg_segment_size: 368
    .language:       OpenCL C
    .language_version:
      - 2
      - 0
    .max_flat_workgroup_size: 128
    .name:           _ZN2at6native32elementwise_kernel_manual_unrollILi128ELi8EZNS0_22gpu_kernel_impl_nocastINS0_13AUnaryFunctorIllbNS0_12_GLOBAL__N_116CompareEqFunctorIlEEEEEEvRNS_18TensorIteratorBaseERKT_EUlibE_EEviT1_
    .private_segment_fixed_size: 0
    .sgpr_count:     62
    .sgpr_spill_count: 0
    .symbol:         _ZN2at6native32elementwise_kernel_manual_unrollILi128ELi8EZNS0_22gpu_kernel_impl_nocastINS0_13AUnaryFunctorIllbNS0_12_GLOBAL__N_116CompareEqFunctorIlEEEEEEvRNS_18TensorIteratorBaseERKT_EUlibE_EEviT1_.kd
    .uniform_work_group_size: 1
    .uses_dynamic_stack: false
    .vgpr_count:     32
    .vgpr_spill_count: 0
    .wavefront_size: 32
  - .args:
      - .offset:         0
        .size:           4
        .value_kind:     by_value
      - .offset:         8
        .size:           48
        .value_kind:     by_value
    .group_segment_fixed_size: 0
    .kernarg_segment_align: 8
    .kernarg_segment_size: 56
    .language:       OpenCL C
    .language_version:
      - 2
      - 0
    .max_flat_workgroup_size: 128
    .name:           _ZN2at6native32elementwise_kernel_manual_unrollILi128ELi4EZNS0_15gpu_kernel_implINS0_13AUnaryFunctorIllbNS0_12_GLOBAL__N_116CompareEqFunctorIlEEEEEEvRNS_18TensorIteratorBaseERKT_EUlibE_EEviT1_
    .private_segment_fixed_size: 0
    .sgpr_count:     33
    .sgpr_spill_count: 0
    .symbol:         _ZN2at6native32elementwise_kernel_manual_unrollILi128ELi4EZNS0_15gpu_kernel_implINS0_13AUnaryFunctorIllbNS0_12_GLOBAL__N_116CompareEqFunctorIlEEEEEEvRNS_18TensorIteratorBaseERKT_EUlibE_EEviT1_.kd
    .uniform_work_group_size: 1
    .uses_dynamic_stack: false
    .vgpr_count:     16
    .vgpr_spill_count: 0
    .wavefront_size: 32
  - .args:
      - .offset:         0
        .size:           4
        .value_kind:     by_value
      - .offset:         8
        .size:           368
        .value_kind:     by_value
    .group_segment_fixed_size: 0
    .kernarg_segment_align: 8
    .kernarg_segment_size: 376
    .language:       OpenCL C
    .language_version:
      - 2
      - 0
    .max_flat_workgroup_size: 128
    .name:           _ZN2at6native32elementwise_kernel_manual_unrollILi128ELi4EZNS0_15gpu_kernel_implINS0_13AUnaryFunctorIllbNS0_12_GLOBAL__N_116CompareEqFunctorIlEEEEEEvRNS_18TensorIteratorBaseERKT_EUlibE0_EEviT1_
    .private_segment_fixed_size: 0
    .sgpr_count:     74
    .sgpr_spill_count: 0
    .symbol:         _ZN2at6native32elementwise_kernel_manual_unrollILi128ELi4EZNS0_15gpu_kernel_implINS0_13AUnaryFunctorIllbNS0_12_GLOBAL__N_116CompareEqFunctorIlEEEEEEvRNS_18TensorIteratorBaseERKT_EUlibE0_EEviT1_.kd
    .uniform_work_group_size: 1
    .uses_dynamic_stack: false
    .vgpr_count:     22
    .vgpr_spill_count: 0
    .wavefront_size: 32
  - .args:
      - .offset:         0
        .size:           4
        .value_kind:     by_value
      - .offset:         4
        .size:           4
        .value_kind:     by_value
      - .offset:         8
        .size:           24
        .value_kind:     by_value
    .group_segment_fixed_size: 0
    .kernarg_segment_align: 8
    .kernarg_segment_size: 32
    .language:       OpenCL C
    .language_version:
      - 2
      - 0
    .max_flat_workgroup_size: 256
    .name:           _ZN2at6native29vectorized_elementwise_kernelILi16ENS0_13BinaryFunctorIssbNS0_12_GLOBAL__N_116CompareEqFunctorIsEEEESt5arrayIPcLm3EEEEviT0_T1_
    .private_segment_fixed_size: 0
    .sgpr_count:     29
    .sgpr_spill_count: 0
    .symbol:         _ZN2at6native29vectorized_elementwise_kernelILi16ENS0_13BinaryFunctorIssbNS0_12_GLOBAL__N_116CompareEqFunctorIsEEEESt5arrayIPcLm3EEEEviT0_T1_.kd
    .uniform_work_group_size: 1
    .uses_dynamic_stack: false
    .vgpr_count:     19
    .vgpr_spill_count: 0
    .wavefront_size: 32
  - .args:
      - .offset:         0
        .size:           4
        .value_kind:     by_value
      - .offset:         4
        .size:           4
        .value_kind:     by_value
      - .offset:         8
        .size:           24
        .value_kind:     by_value
    .group_segment_fixed_size: 0
    .kernarg_segment_align: 8
    .kernarg_segment_size: 32
    .language:       OpenCL C
    .language_version:
      - 2
      - 0
    .max_flat_workgroup_size: 256
    .name:           _ZN2at6native29vectorized_elementwise_kernelILi8ENS0_13BinaryFunctorIssbNS0_12_GLOBAL__N_116CompareEqFunctorIsEEEESt5arrayIPcLm3EEEEviT0_T1_
    .private_segment_fixed_size: 0
    .sgpr_count:     29
    .sgpr_spill_count: 0
    .symbol:         _ZN2at6native29vectorized_elementwise_kernelILi8ENS0_13BinaryFunctorIssbNS0_12_GLOBAL__N_116CompareEqFunctorIsEEEESt5arrayIPcLm3EEEEviT0_T1_.kd
    .uniform_work_group_size: 1
    .uses_dynamic_stack: false
    .vgpr_count:     34
    .vgpr_spill_count: 0
    .wavefront_size: 32
  - .args:
      - .offset:         0
        .size:           4
        .value_kind:     by_value
      - .offset:         4
        .size:           4
        .value_kind:     by_value
      - .offset:         8
        .size:           24
        .value_kind:     by_value
    .group_segment_fixed_size: 0
    .kernarg_segment_align: 8
    .kernarg_segment_size: 32
    .language:       OpenCL C
    .language_version:
      - 2
      - 0
    .max_flat_workgroup_size: 256
    .name:           _ZN2at6native29vectorized_elementwise_kernelILi4ENS0_13BinaryFunctorIssbNS0_12_GLOBAL__N_116CompareEqFunctorIsEEEESt5arrayIPcLm3EEEEviT0_T1_
    .private_segment_fixed_size: 0
    .sgpr_count:     29
    .sgpr_spill_count: 0
    .symbol:         _ZN2at6native29vectorized_elementwise_kernelILi4ENS0_13BinaryFunctorIssbNS0_12_GLOBAL__N_116CompareEqFunctorIsEEEESt5arrayIPcLm3EEEEviT0_T1_.kd
    .uniform_work_group_size: 1
    .uses_dynamic_stack: false
    .vgpr_count:     18
    .vgpr_spill_count: 0
    .wavefront_size: 32
  - .args:
      - .offset:         0
        .size:           4
        .value_kind:     by_value
      - .offset:         4
        .size:           4
        .value_kind:     by_value
      - .offset:         8
        .size:           24
        .value_kind:     by_value
    .group_segment_fixed_size: 0
    .kernarg_segment_align: 8
    .kernarg_segment_size: 32
    .language:       OpenCL C
    .language_version:
      - 2
      - 0
    .max_flat_workgroup_size: 256
    .name:           _ZN2at6native29vectorized_elementwise_kernelILi2ENS0_13BinaryFunctorIssbNS0_12_GLOBAL__N_116CompareEqFunctorIsEEEESt5arrayIPcLm3EEEEviT0_T1_
    .private_segment_fixed_size: 0
    .sgpr_count:     29
    .sgpr_spill_count: 0
    .symbol:         _ZN2at6native29vectorized_elementwise_kernelILi2ENS0_13BinaryFunctorIssbNS0_12_GLOBAL__N_116CompareEqFunctorIsEEEESt5arrayIPcLm3EEEEviT0_T1_.kd
    .uniform_work_group_size: 1
    .uses_dynamic_stack: false
    .vgpr_count:     17
    .vgpr_spill_count: 0
    .wavefront_size: 32
  - .args:
      - .offset:         0
        .size:           4
        .value_kind:     by_value
      - .offset:         4
        .size:           4
        .value_kind:     by_value
      - .offset:         8
        .size:           24
        .value_kind:     by_value
      - .offset:         32
        .size:           1
        .value_kind:     by_value
      - .offset:         33
        .size:           1
        .value_kind:     by_value
      - .offset:         34
        .size:           1
        .value_kind:     by_value
      - .offset:         35
        .size:           1
        .value_kind:     by_value
    .group_segment_fixed_size: 0
    .kernarg_segment_align: 8
    .kernarg_segment_size: 36
    .language:       OpenCL C
    .language_version:
      - 2
      - 0
    .max_flat_workgroup_size: 256
    .name:           _ZN2at6native27unrolled_elementwise_kernelINS0_13BinaryFunctorIssbNS0_12_GLOBAL__N_116CompareEqFunctorIsEEEESt5arrayIPcLm3EELi4E23TrivialOffsetCalculatorILi2EjESA_ILi1EjENS0_6memory15LoadWithoutCastENSD_16StoreWithoutCastEEEviT_T0_T2_T3_T4_T5_
    .private_segment_fixed_size: 0
    .sgpr_count:     17
    .sgpr_spill_count: 0
    .symbol:         _ZN2at6native27unrolled_elementwise_kernelINS0_13BinaryFunctorIssbNS0_12_GLOBAL__N_116CompareEqFunctorIsEEEESt5arrayIPcLm3EELi4E23TrivialOffsetCalculatorILi2EjESA_ILi1EjENS0_6memory15LoadWithoutCastENSD_16StoreWithoutCastEEEviT_T0_T2_T3_T4_T5_.kd
    .uniform_work_group_size: 1
    .uses_dynamic_stack: false
    .vgpr_count:     7
    .vgpr_spill_count: 0
    .wavefront_size: 32
  - .args:
      - .offset:         0
        .size:           4
        .value_kind:     by_value
      - .offset:         8
        .size:           424
        .value_kind:     by_value
    .group_segment_fixed_size: 0
    .kernarg_segment_align: 8
    .kernarg_segment_size: 432
    .language:       OpenCL C
    .language_version:
      - 2
      - 0
    .max_flat_workgroup_size: 128
    .name:           _ZN2at6native32elementwise_kernel_manual_unrollILi128ELi8EZNS0_22gpu_kernel_impl_nocastINS0_13BinaryFunctorIssbNS0_12_GLOBAL__N_116CompareEqFunctorIsEEEEEEvRNS_18TensorIteratorBaseERKT_EUlibE_EEviT1_
    .private_segment_fixed_size: 0
    .sgpr_count:     48
    .sgpr_spill_count: 0
    .symbol:         _ZN2at6native32elementwise_kernel_manual_unrollILi128ELi8EZNS0_22gpu_kernel_impl_nocastINS0_13BinaryFunctorIssbNS0_12_GLOBAL__N_116CompareEqFunctorIsEEEEEEvRNS_18TensorIteratorBaseERKT_EUlibE_EEviT1_.kd
    .uniform_work_group_size: 1
    .uses_dynamic_stack: false
    .vgpr_count:     39
    .vgpr_spill_count: 0
    .wavefront_size: 32
  - .args:
      - .offset:         0
        .size:           4
        .value_kind:     by_value
      - .offset:         8
        .size:           48
        .value_kind:     by_value
    .group_segment_fixed_size: 0
    .kernarg_segment_align: 8
    .kernarg_segment_size: 56
    .language:       OpenCL C
    .language_version:
      - 2
      - 0
    .max_flat_workgroup_size: 128
    .name:           _ZN2at6native32elementwise_kernel_manual_unrollILi128ELi4EZNS0_15gpu_kernel_implINS0_13BinaryFunctorIssbNS0_12_GLOBAL__N_116CompareEqFunctorIsEEEEEEvRNS_18TensorIteratorBaseERKT_EUlibE_EEviT1_
    .private_segment_fixed_size: 0
    .sgpr_count:     39
    .sgpr_spill_count: 0
    .symbol:         _ZN2at6native32elementwise_kernel_manual_unrollILi128ELi4EZNS0_15gpu_kernel_implINS0_13BinaryFunctorIssbNS0_12_GLOBAL__N_116CompareEqFunctorIsEEEEEEvRNS_18TensorIteratorBaseERKT_EUlibE_EEviT1_.kd
    .uniform_work_group_size: 1
    .uses_dynamic_stack: false
    .vgpr_count:     22
    .vgpr_spill_count: 0
    .wavefront_size: 32
  - .args:
      - .offset:         0
        .size:           4
        .value_kind:     by_value
      - .offset:         8
        .size:           424
        .value_kind:     by_value
    .group_segment_fixed_size: 0
    .kernarg_segment_align: 8
    .kernarg_segment_size: 432
    .language:       OpenCL C
    .language_version:
      - 2
      - 0
    .max_flat_workgroup_size: 128
    .name:           _ZN2at6native32elementwise_kernel_manual_unrollILi128ELi4EZNS0_15gpu_kernel_implINS0_13BinaryFunctorIssbNS0_12_GLOBAL__N_116CompareEqFunctorIsEEEEEEvRNS_18TensorIteratorBaseERKT_EUlibE0_EEviT1_
    .private_segment_fixed_size: 0
    .sgpr_count:     64
    .sgpr_spill_count: 0
    .symbol:         _ZN2at6native32elementwise_kernel_manual_unrollILi128ELi4EZNS0_15gpu_kernel_implINS0_13BinaryFunctorIssbNS0_12_GLOBAL__N_116CompareEqFunctorIsEEEEEEvRNS_18TensorIteratorBaseERKT_EUlibE0_EEviT1_.kd
    .uniform_work_group_size: 1
    .uses_dynamic_stack: false
    .vgpr_count:     28
    .vgpr_spill_count: 0
    .wavefront_size: 32
  - .args:
      - .offset:         0
        .size:           4
        .value_kind:     by_value
      - .offset:         4
        .size:           8
        .value_kind:     by_value
      - .offset:         16
        .size:           16
        .value_kind:     by_value
    .group_segment_fixed_size: 0
    .kernarg_segment_align: 8
    .kernarg_segment_size: 32
    .language:       OpenCL C
    .language_version:
      - 2
      - 0
    .max_flat_workgroup_size: 256
    .name:           _ZN2at6native29vectorized_elementwise_kernelILi16ENS0_13AUnaryFunctorIssbNS0_12_GLOBAL__N_116CompareEqFunctorIsEEEESt5arrayIPcLm2EEEEviT0_T1_
    .private_segment_fixed_size: 0
    .sgpr_count:     28
    .sgpr_spill_count: 0
    .symbol:         _ZN2at6native29vectorized_elementwise_kernelILi16ENS0_13AUnaryFunctorIssbNS0_12_GLOBAL__N_116CompareEqFunctorIsEEEESt5arrayIPcLm2EEEEviT0_T1_.kd
    .uniform_work_group_size: 1
    .uses_dynamic_stack: false
    .vgpr_count:     20
    .vgpr_spill_count: 0
    .wavefront_size: 32
  - .args:
      - .offset:         0
        .size:           4
        .value_kind:     by_value
      - .offset:         4
        .size:           8
        .value_kind:     by_value
      - .offset:         16
        .size:           16
        .value_kind:     by_value
    .group_segment_fixed_size: 0
    .kernarg_segment_align: 8
    .kernarg_segment_size: 32
    .language:       OpenCL C
    .language_version:
      - 2
      - 0
    .max_flat_workgroup_size: 256
    .name:           _ZN2at6native29vectorized_elementwise_kernelILi8ENS0_13AUnaryFunctorIssbNS0_12_GLOBAL__N_116CompareEqFunctorIsEEEESt5arrayIPcLm2EEEEviT0_T1_
    .private_segment_fixed_size: 0
    .sgpr_count:     20
    .sgpr_spill_count: 0
    .symbol:         _ZN2at6native29vectorized_elementwise_kernelILi8ENS0_13AUnaryFunctorIssbNS0_12_GLOBAL__N_116CompareEqFunctorIsEEEESt5arrayIPcLm2EEEEviT0_T1_.kd
    .uniform_work_group_size: 1
    .uses_dynamic_stack: false
    .vgpr_count:     20
    .vgpr_spill_count: 0
    .wavefront_size: 32
  - .args:
      - .offset:         0
        .size:           4
        .value_kind:     by_value
      - .offset:         4
        .size:           8
        .value_kind:     by_value
      - .offset:         16
        .size:           16
        .value_kind:     by_value
    .group_segment_fixed_size: 0
    .kernarg_segment_align: 8
    .kernarg_segment_size: 32
    .language:       OpenCL C
    .language_version:
      - 2
      - 0
    .max_flat_workgroup_size: 256
    .name:           _ZN2at6native29vectorized_elementwise_kernelILi4ENS0_13AUnaryFunctorIssbNS0_12_GLOBAL__N_116CompareEqFunctorIsEEEESt5arrayIPcLm2EEEEviT0_T1_
    .private_segment_fixed_size: 0
    .sgpr_count:     20
    .sgpr_spill_count: 0
    .symbol:         _ZN2at6native29vectorized_elementwise_kernelILi4ENS0_13AUnaryFunctorIssbNS0_12_GLOBAL__N_116CompareEqFunctorIsEEEESt5arrayIPcLm2EEEEviT0_T1_.kd
    .uniform_work_group_size: 1
    .uses_dynamic_stack: false
    .vgpr_count:     20
    .vgpr_spill_count: 0
    .wavefront_size: 32
  - .args:
      - .offset:         0
        .size:           4
        .value_kind:     by_value
      - .offset:         4
        .size:           8
        .value_kind:     by_value
      - .offset:         16
        .size:           16
        .value_kind:     by_value
    .group_segment_fixed_size: 0
    .kernarg_segment_align: 8
    .kernarg_segment_size: 32
    .language:       OpenCL C
    .language_version:
      - 2
      - 0
    .max_flat_workgroup_size: 256
    .name:           _ZN2at6native29vectorized_elementwise_kernelILi2ENS0_13AUnaryFunctorIssbNS0_12_GLOBAL__N_116CompareEqFunctorIsEEEESt5arrayIPcLm2EEEEviT0_T1_
    .private_segment_fixed_size: 0
    .sgpr_count:     22
    .sgpr_spill_count: 0
    .symbol:         _ZN2at6native29vectorized_elementwise_kernelILi2ENS0_13AUnaryFunctorIssbNS0_12_GLOBAL__N_116CompareEqFunctorIsEEEESt5arrayIPcLm2EEEEviT0_T1_.kd
    .uniform_work_group_size: 1
    .uses_dynamic_stack: false
    .vgpr_count:     20
    .vgpr_spill_count: 0
    .wavefront_size: 32
  - .args:
      - .offset:         0
        .size:           4
        .value_kind:     by_value
      - .offset:         4
        .size:           8
        .value_kind:     by_value
      - .offset:         16
        .size:           16
        .value_kind:     by_value
      - .offset:         32
        .size:           1
        .value_kind:     by_value
      - .offset:         33
        .size:           1
        .value_kind:     by_value
      - .offset:         34
        .size:           1
        .value_kind:     by_value
      - .offset:         35
        .size:           1
        .value_kind:     by_value
    .group_segment_fixed_size: 0
    .kernarg_segment_align: 8
    .kernarg_segment_size: 36
    .language:       OpenCL C
    .language_version:
      - 2
      - 0
    .max_flat_workgroup_size: 256
    .name:           _ZN2at6native27unrolled_elementwise_kernelINS0_13AUnaryFunctorIssbNS0_12_GLOBAL__N_116CompareEqFunctorIsEEEESt5arrayIPcLm2EELi4E23TrivialOffsetCalculatorILi1EjESB_NS0_6memory15LoadWithoutCastENSC_16StoreWithoutCastEEEviT_T0_T2_T3_T4_T5_
    .private_segment_fixed_size: 0
    .sgpr_count:     13
    .sgpr_spill_count: 0
    .symbol:         _ZN2at6native27unrolled_elementwise_kernelINS0_13AUnaryFunctorIssbNS0_12_GLOBAL__N_116CompareEqFunctorIsEEEESt5arrayIPcLm2EELi4E23TrivialOffsetCalculatorILi1EjESB_NS0_6memory15LoadWithoutCastENSC_16StoreWithoutCastEEEviT_T0_T2_T3_T4_T5_.kd
    .uniform_work_group_size: 1
    .uses_dynamic_stack: false
    .vgpr_count:     8
    .vgpr_spill_count: 0
    .wavefront_size: 32
  - .args:
      - .offset:         0
        .size:           4
        .value_kind:     by_value
      - .offset:         8
        .size:           352
        .value_kind:     by_value
    .group_segment_fixed_size: 0
    .kernarg_segment_align: 8
    .kernarg_segment_size: 360
    .language:       OpenCL C
    .language_version:
      - 2
      - 0
    .max_flat_workgroup_size: 128
    .name:           _ZN2at6native32elementwise_kernel_manual_unrollILi128ELi8EZNS0_22gpu_kernel_impl_nocastINS0_13AUnaryFunctorIssbNS0_12_GLOBAL__N_116CompareEqFunctorIsEEEEEEvRNS_18TensorIteratorBaseERKT_EUlibE_EEviT1_
    .private_segment_fixed_size: 0
    .sgpr_count:     62
    .sgpr_spill_count: 0
    .symbol:         _ZN2at6native32elementwise_kernel_manual_unrollILi128ELi8EZNS0_22gpu_kernel_impl_nocastINS0_13AUnaryFunctorIssbNS0_12_GLOBAL__N_116CompareEqFunctorIsEEEEEEvRNS_18TensorIteratorBaseERKT_EUlibE_EEviT1_.kd
    .uniform_work_group_size: 1
    .uses_dynamic_stack: false
    .vgpr_count:     24
    .vgpr_spill_count: 0
    .wavefront_size: 32
  - .args:
      - .offset:         0
        .size:           4
        .value_kind:     by_value
      - .offset:         8
        .size:           40
        .value_kind:     by_value
    .group_segment_fixed_size: 0
    .kernarg_segment_align: 8
    .kernarg_segment_size: 48
    .language:       OpenCL C
    .language_version:
      - 2
      - 0
    .max_flat_workgroup_size: 128
    .name:           _ZN2at6native32elementwise_kernel_manual_unrollILi128ELi4EZNS0_15gpu_kernel_implINS0_13AUnaryFunctorIssbNS0_12_GLOBAL__N_116CompareEqFunctorIsEEEEEEvRNS_18TensorIteratorBaseERKT_EUlibE_EEviT1_
    .private_segment_fixed_size: 0
    .sgpr_count:     32
    .sgpr_spill_count: 0
    .symbol:         _ZN2at6native32elementwise_kernel_manual_unrollILi128ELi4EZNS0_15gpu_kernel_implINS0_13AUnaryFunctorIssbNS0_12_GLOBAL__N_116CompareEqFunctorIsEEEEEEvRNS_18TensorIteratorBaseERKT_EUlibE_EEviT1_.kd
    .uniform_work_group_size: 1
    .uses_dynamic_stack: false
    .vgpr_count:     14
    .vgpr_spill_count: 0
    .wavefront_size: 32
  - .args:
      - .offset:         0
        .size:           4
        .value_kind:     by_value
      - .offset:         8
        .size:           360
        .value_kind:     by_value
    .group_segment_fixed_size: 0
    .kernarg_segment_align: 8
    .kernarg_segment_size: 368
    .language:       OpenCL C
    .language_version:
      - 2
      - 0
    .max_flat_workgroup_size: 128
    .name:           _ZN2at6native32elementwise_kernel_manual_unrollILi128ELi4EZNS0_15gpu_kernel_implINS0_13AUnaryFunctorIssbNS0_12_GLOBAL__N_116CompareEqFunctorIsEEEEEEvRNS_18TensorIteratorBaseERKT_EUlibE0_EEviT1_
    .private_segment_fixed_size: 0
    .sgpr_count:     70
    .sgpr_spill_count: 0
    .symbol:         _ZN2at6native32elementwise_kernel_manual_unrollILi128ELi4EZNS0_15gpu_kernel_implINS0_13AUnaryFunctorIssbNS0_12_GLOBAL__N_116CompareEqFunctorIsEEEEEEvRNS_18TensorIteratorBaseERKT_EUlibE0_EEviT1_.kd
    .uniform_work_group_size: 1
    .uses_dynamic_stack: false
    .vgpr_count:     18
    .vgpr_spill_count: 0
    .wavefront_size: 32
  - .args:
      - .offset:         0
        .size:           4
        .value_kind:     by_value
      - .offset:         4
        .size:           4
        .value_kind:     by_value
      - .offset:         8
        .size:           24
        .value_kind:     by_value
    .group_segment_fixed_size: 0
    .kernarg_segment_align: 8
    .kernarg_segment_size: 32
    .language:       OpenCL C
    .language_version:
      - 2
      - 0
    .max_flat_workgroup_size: 256
    .name:           _ZN2at6native29vectorized_elementwise_kernelILi16ENS0_13BinaryFunctorIddbNS0_12_GLOBAL__N_116CompareEqFunctorIdEEEESt5arrayIPcLm3EEEEviT0_T1_
    .private_segment_fixed_size: 0
    .sgpr_count:     16
    .sgpr_spill_count: 0
    .symbol:         _ZN2at6native29vectorized_elementwise_kernelILi16ENS0_13BinaryFunctorIddbNS0_12_GLOBAL__N_116CompareEqFunctorIdEEEESt5arrayIPcLm3EEEEviT0_T1_.kd
    .uniform_work_group_size: 1
    .uses_dynamic_stack: false
    .vgpr_count:     68
    .vgpr_spill_count: 0
    .wavefront_size: 32
  - .args:
      - .offset:         0
        .size:           4
        .value_kind:     by_value
      - .offset:         4
        .size:           4
        .value_kind:     by_value
      - .offset:         8
        .size:           24
        .value_kind:     by_value
    .group_segment_fixed_size: 0
    .kernarg_segment_align: 8
    .kernarg_segment_size: 32
    .language:       OpenCL C
    .language_version:
      - 2
      - 0
    .max_flat_workgroup_size: 256
    .name:           _ZN2at6native29vectorized_elementwise_kernelILi8ENS0_13BinaryFunctorIddbNS0_12_GLOBAL__N_116CompareEqFunctorIdEEEESt5arrayIPcLm3EEEEviT0_T1_
    .private_segment_fixed_size: 0
    .sgpr_count:     18
    .sgpr_spill_count: 0
    .symbol:         _ZN2at6native29vectorized_elementwise_kernelILi8ENS0_13BinaryFunctorIddbNS0_12_GLOBAL__N_116CompareEqFunctorIdEEEESt5arrayIPcLm3EEEEviT0_T1_.kd
    .uniform_work_group_size: 1
    .uses_dynamic_stack: false
    .vgpr_count:     68
    .vgpr_spill_count: 0
    .wavefront_size: 32
  - .args:
      - .offset:         0
        .size:           4
        .value_kind:     by_value
      - .offset:         4
        .size:           4
        .value_kind:     by_value
      - .offset:         8
        .size:           24
        .value_kind:     by_value
    .group_segment_fixed_size: 0
    .kernarg_segment_align: 8
    .kernarg_segment_size: 32
    .language:       OpenCL C
    .language_version:
      - 2
      - 0
    .max_flat_workgroup_size: 256
    .name:           _ZN2at6native29vectorized_elementwise_kernelILi4ENS0_13BinaryFunctorIddbNS0_12_GLOBAL__N_116CompareEqFunctorIdEEEESt5arrayIPcLm3EEEEviT0_T1_
    .private_segment_fixed_size: 0
    .sgpr_count:     18
    .sgpr_spill_count: 0
    .symbol:         _ZN2at6native29vectorized_elementwise_kernelILi4ENS0_13BinaryFunctorIddbNS0_12_GLOBAL__N_116CompareEqFunctorIdEEEESt5arrayIPcLm3EEEEviT0_T1_.kd
    .uniform_work_group_size: 1
    .uses_dynamic_stack: false
    .vgpr_count:     68
    .vgpr_spill_count: 0
    .wavefront_size: 32
  - .args:
      - .offset:         0
        .size:           4
        .value_kind:     by_value
      - .offset:         4
        .size:           4
        .value_kind:     by_value
      - .offset:         8
        .size:           24
        .value_kind:     by_value
    .group_segment_fixed_size: 0
    .kernarg_segment_align: 8
    .kernarg_segment_size: 32
    .language:       OpenCL C
    .language_version:
      - 2
      - 0
    .max_flat_workgroup_size: 256
    .name:           _ZN2at6native29vectorized_elementwise_kernelILi2ENS0_13BinaryFunctorIddbNS0_12_GLOBAL__N_116CompareEqFunctorIdEEEESt5arrayIPcLm3EEEEviT0_T1_
    .private_segment_fixed_size: 0
    .sgpr_count:     16
    .sgpr_spill_count: 0
    .symbol:         _ZN2at6native29vectorized_elementwise_kernelILi2ENS0_13BinaryFunctorIddbNS0_12_GLOBAL__N_116CompareEqFunctorIdEEEESt5arrayIPcLm3EEEEviT0_T1_.kd
    .uniform_work_group_size: 1
    .uses_dynamic_stack: false
    .vgpr_count:     68
    .vgpr_spill_count: 0
    .wavefront_size: 32
  - .args:
      - .offset:         0
        .size:           4
        .value_kind:     by_value
      - .offset:         4
        .size:           4
        .value_kind:     by_value
      - .offset:         8
        .size:           24
        .value_kind:     by_value
      - .offset:         32
        .size:           1
        .value_kind:     by_value
      - .offset:         33
        .size:           1
        .value_kind:     by_value
      - .offset:         34
        .size:           1
        .value_kind:     by_value
      - .offset:         35
        .size:           1
        .value_kind:     by_value
    .group_segment_fixed_size: 0
    .kernarg_segment_align: 8
    .kernarg_segment_size: 36
    .language:       OpenCL C
    .language_version:
      - 2
      - 0
    .max_flat_workgroup_size: 256
    .name:           _ZN2at6native27unrolled_elementwise_kernelINS0_13BinaryFunctorIddbNS0_12_GLOBAL__N_116CompareEqFunctorIdEEEESt5arrayIPcLm3EELi4E23TrivialOffsetCalculatorILi2EjESA_ILi1EjENS0_6memory15LoadWithoutCastENSD_16StoreWithoutCastEEEviT_T0_T2_T3_T4_T5_
    .private_segment_fixed_size: 0
    .sgpr_count:     14
    .sgpr_spill_count: 0
    .symbol:         _ZN2at6native27unrolled_elementwise_kernelINS0_13BinaryFunctorIddbNS0_12_GLOBAL__N_116CompareEqFunctorIdEEEESt5arrayIPcLm3EELi4E23TrivialOffsetCalculatorILi2EjESA_ILi1EjENS0_6memory15LoadWithoutCastENSD_16StoreWithoutCastEEEviT_T0_T2_T3_T4_T5_.kd
    .uniform_work_group_size: 1
    .uses_dynamic_stack: false
    .vgpr_count:     20
    .vgpr_spill_count: 0
    .wavefront_size: 32
  - .args:
      - .offset:         0
        .size:           4
        .value_kind:     by_value
      - .offset:         8
        .size:           424
        .value_kind:     by_value
    .group_segment_fixed_size: 0
    .kernarg_segment_align: 8
    .kernarg_segment_size: 432
    .language:       OpenCL C
    .language_version:
      - 2
      - 0
    .max_flat_workgroup_size: 128
    .name:           _ZN2at6native32elementwise_kernel_manual_unrollILi128ELi8EZNS0_22gpu_kernel_impl_nocastINS0_13BinaryFunctorIddbNS0_12_GLOBAL__N_116CompareEqFunctorIdEEEEEEvRNS_18TensorIteratorBaseERKT_EUlibE_EEviT1_
    .private_segment_fixed_size: 0
    .sgpr_count:     48
    .sgpr_spill_count: 0
    .symbol:         _ZN2at6native32elementwise_kernel_manual_unrollILi128ELi8EZNS0_22gpu_kernel_impl_nocastINS0_13BinaryFunctorIddbNS0_12_GLOBAL__N_116CompareEqFunctorIdEEEEEEvRNS_18TensorIteratorBaseERKT_EUlibE_EEviT1_.kd
    .uniform_work_group_size: 1
    .uses_dynamic_stack: false
    .vgpr_count:     56
    .vgpr_spill_count: 0
    .wavefront_size: 32
  - .args:
      - .offset:         0
        .size:           4
        .value_kind:     by_value
      - .offset:         8
        .size:           48
        .value_kind:     by_value
    .group_segment_fixed_size: 0
    .kernarg_segment_align: 8
    .kernarg_segment_size: 56
    .language:       OpenCL C
    .language_version:
      - 2
      - 0
    .max_flat_workgroup_size: 128
    .name:           _ZN2at6native32elementwise_kernel_manual_unrollILi128ELi4EZNS0_15gpu_kernel_implINS0_13BinaryFunctorIddbNS0_12_GLOBAL__N_116CompareEqFunctorIdEEEEEEvRNS_18TensorIteratorBaseERKT_EUlibE_EEviT1_
    .private_segment_fixed_size: 0
    .sgpr_count:     39
    .sgpr_spill_count: 0
    .symbol:         _ZN2at6native32elementwise_kernel_manual_unrollILi128ELi4EZNS0_15gpu_kernel_implINS0_13BinaryFunctorIddbNS0_12_GLOBAL__N_116CompareEqFunctorIdEEEEEEvRNS_18TensorIteratorBaseERKT_EUlibE_EEviT1_.kd
    .uniform_work_group_size: 1
    .uses_dynamic_stack: false
    .vgpr_count:     23
    .vgpr_spill_count: 0
    .wavefront_size: 32
  - .args:
      - .offset:         0
        .size:           4
        .value_kind:     by_value
      - .offset:         8
        .size:           424
        .value_kind:     by_value
    .group_segment_fixed_size: 0
    .kernarg_segment_align: 8
    .kernarg_segment_size: 432
    .language:       OpenCL C
    .language_version:
      - 2
      - 0
    .max_flat_workgroup_size: 128
    .name:           _ZN2at6native32elementwise_kernel_manual_unrollILi128ELi4EZNS0_15gpu_kernel_implINS0_13BinaryFunctorIddbNS0_12_GLOBAL__N_116CompareEqFunctorIdEEEEEEvRNS_18TensorIteratorBaseERKT_EUlibE0_EEviT1_
    .private_segment_fixed_size: 0
    .sgpr_count:     64
    .sgpr_spill_count: 0
    .symbol:         _ZN2at6native32elementwise_kernel_manual_unrollILi128ELi4EZNS0_15gpu_kernel_implINS0_13BinaryFunctorIddbNS0_12_GLOBAL__N_116CompareEqFunctorIdEEEEEEvRNS_18TensorIteratorBaseERKT_EUlibE0_EEviT1_.kd
    .uniform_work_group_size: 1
    .uses_dynamic_stack: false
    .vgpr_count:     28
    .vgpr_spill_count: 0
    .wavefront_size: 32
  - .args:
      - .offset:         0
        .size:           4
        .value_kind:     by_value
      - .offset:         8
        .size:           16
        .value_kind:     by_value
      - .offset:         24
        .size:           16
        .value_kind:     by_value
    .group_segment_fixed_size: 0
    .kernarg_segment_align: 8
    .kernarg_segment_size: 40
    .language:       OpenCL C
    .language_version:
      - 2
      - 0
    .max_flat_workgroup_size: 256
    .name:           _ZN2at6native29vectorized_elementwise_kernelILi16ENS0_13AUnaryFunctorIddbNS0_12_GLOBAL__N_116CompareEqFunctorIdEEEESt5arrayIPcLm2EEEEviT0_T1_
    .private_segment_fixed_size: 0
    .sgpr_count:     16
    .sgpr_spill_count: 0
    .symbol:         _ZN2at6native29vectorized_elementwise_kernelILi16ENS0_13AUnaryFunctorIddbNS0_12_GLOBAL__N_116CompareEqFunctorIdEEEESt5arrayIPcLm2EEEEviT0_T1_.kd
    .uniform_work_group_size: 1
    .uses_dynamic_stack: false
    .vgpr_count:     36
    .vgpr_spill_count: 0
    .wavefront_size: 32
  - .args:
      - .offset:         0
        .size:           4
        .value_kind:     by_value
      - .offset:         8
        .size:           16
        .value_kind:     by_value
      - .offset:         24
        .size:           16
        .value_kind:     by_value
    .group_segment_fixed_size: 0
    .kernarg_segment_align: 8
    .kernarg_segment_size: 40
    .language:       OpenCL C
    .language_version:
      - 2
      - 0
    .max_flat_workgroup_size: 256
    .name:           _ZN2at6native29vectorized_elementwise_kernelILi8ENS0_13AUnaryFunctorIddbNS0_12_GLOBAL__N_116CompareEqFunctorIdEEEESt5arrayIPcLm2EEEEviT0_T1_
    .private_segment_fixed_size: 0
    .sgpr_count:     16
    .sgpr_spill_count: 0
    .symbol:         _ZN2at6native29vectorized_elementwise_kernelILi8ENS0_13AUnaryFunctorIddbNS0_12_GLOBAL__N_116CompareEqFunctorIdEEEESt5arrayIPcLm2EEEEviT0_T1_.kd
    .uniform_work_group_size: 1
    .uses_dynamic_stack: false
    .vgpr_count:     36
    .vgpr_spill_count: 0
    .wavefront_size: 32
  - .args:
      - .offset:         0
        .size:           4
        .value_kind:     by_value
      - .offset:         8
        .size:           16
        .value_kind:     by_value
      - .offset:         24
        .size:           16
        .value_kind:     by_value
    .group_segment_fixed_size: 0
    .kernarg_segment_align: 8
    .kernarg_segment_size: 40
    .language:       OpenCL C
    .language_version:
      - 2
      - 0
    .max_flat_workgroup_size: 256
    .name:           _ZN2at6native29vectorized_elementwise_kernelILi4ENS0_13AUnaryFunctorIddbNS0_12_GLOBAL__N_116CompareEqFunctorIdEEEESt5arrayIPcLm2EEEEviT0_T1_
    .private_segment_fixed_size: 0
    .sgpr_count:     16
    .sgpr_spill_count: 0
    .symbol:         _ZN2at6native29vectorized_elementwise_kernelILi4ENS0_13AUnaryFunctorIddbNS0_12_GLOBAL__N_116CompareEqFunctorIdEEEESt5arrayIPcLm2EEEEviT0_T1_.kd
    .uniform_work_group_size: 1
    .uses_dynamic_stack: false
    .vgpr_count:     36
    .vgpr_spill_count: 0
    .wavefront_size: 32
  - .args:
      - .offset:         0
        .size:           4
        .value_kind:     by_value
      - .offset:         8
        .size:           16
        .value_kind:     by_value
      - .offset:         24
        .size:           16
        .value_kind:     by_value
    .group_segment_fixed_size: 0
    .kernarg_segment_align: 8
    .kernarg_segment_size: 40
    .language:       OpenCL C
    .language_version:
      - 2
      - 0
    .max_flat_workgroup_size: 256
    .name:           _ZN2at6native29vectorized_elementwise_kernelILi2ENS0_13AUnaryFunctorIddbNS0_12_GLOBAL__N_116CompareEqFunctorIdEEEESt5arrayIPcLm2EEEEviT0_T1_
    .private_segment_fixed_size: 0
    .sgpr_count:     15
    .sgpr_spill_count: 0
    .symbol:         _ZN2at6native29vectorized_elementwise_kernelILi2ENS0_13AUnaryFunctorIddbNS0_12_GLOBAL__N_116CompareEqFunctorIdEEEESt5arrayIPcLm2EEEEviT0_T1_.kd
    .uniform_work_group_size: 1
    .uses_dynamic_stack: false
    .vgpr_count:     36
    .vgpr_spill_count: 0
    .wavefront_size: 32
  - .args:
      - .offset:         0
        .size:           4
        .value_kind:     by_value
      - .offset:         8
        .size:           16
        .value_kind:     by_value
      - .offset:         24
        .size:           16
        .value_kind:     by_value
      - .offset:         40
        .size:           1
        .value_kind:     by_value
      - .offset:         41
        .size:           1
        .value_kind:     by_value
      - .offset:         42
        .size:           1
        .value_kind:     by_value
      - .offset:         43
        .size:           1
        .value_kind:     by_value
    .group_segment_fixed_size: 0
    .kernarg_segment_align: 8
    .kernarg_segment_size: 44
    .language:       OpenCL C
    .language_version:
      - 2
      - 0
    .max_flat_workgroup_size: 256
    .name:           _ZN2at6native27unrolled_elementwise_kernelINS0_13AUnaryFunctorIddbNS0_12_GLOBAL__N_116CompareEqFunctorIdEEEESt5arrayIPcLm2EELi4E23TrivialOffsetCalculatorILi1EjESB_NS0_6memory15LoadWithoutCastENSC_16StoreWithoutCastEEEviT_T0_T2_T3_T4_T5_
    .private_segment_fixed_size: 0
    .sgpr_count:     14
    .sgpr_spill_count: 0
    .symbol:         _ZN2at6native27unrolled_elementwise_kernelINS0_13AUnaryFunctorIddbNS0_12_GLOBAL__N_116CompareEqFunctorIdEEEESt5arrayIPcLm2EELi4E23TrivialOffsetCalculatorILi1EjESB_NS0_6memory15LoadWithoutCastENSC_16StoreWithoutCastEEEviT_T0_T2_T3_T4_T5_.kd
    .uniform_work_group_size: 1
    .uses_dynamic_stack: false
    .vgpr_count:     12
    .vgpr_spill_count: 0
    .wavefront_size: 32
  - .args:
      - .offset:         0
        .size:           4
        .value_kind:     by_value
      - .offset:         8
        .size:           360
        .value_kind:     by_value
    .group_segment_fixed_size: 0
    .kernarg_segment_align: 8
    .kernarg_segment_size: 368
    .language:       OpenCL C
    .language_version:
      - 2
      - 0
    .max_flat_workgroup_size: 128
    .name:           _ZN2at6native32elementwise_kernel_manual_unrollILi128ELi8EZNS0_22gpu_kernel_impl_nocastINS0_13AUnaryFunctorIddbNS0_12_GLOBAL__N_116CompareEqFunctorIdEEEEEEvRNS_18TensorIteratorBaseERKT_EUlibE_EEviT1_
    .private_segment_fixed_size: 0
    .sgpr_count:     62
    .sgpr_spill_count: 0
    .symbol:         _ZN2at6native32elementwise_kernel_manual_unrollILi128ELi8EZNS0_22gpu_kernel_impl_nocastINS0_13AUnaryFunctorIddbNS0_12_GLOBAL__N_116CompareEqFunctorIdEEEEEEvRNS_18TensorIteratorBaseERKT_EUlibE_EEviT1_.kd
    .uniform_work_group_size: 1
    .uses_dynamic_stack: false
    .vgpr_count:     32
    .vgpr_spill_count: 0
    .wavefront_size: 32
  - .args:
      - .offset:         0
        .size:           4
        .value_kind:     by_value
      - .offset:         8
        .size:           48
        .value_kind:     by_value
    .group_segment_fixed_size: 0
    .kernarg_segment_align: 8
    .kernarg_segment_size: 56
    .language:       OpenCL C
    .language_version:
      - 2
      - 0
    .max_flat_workgroup_size: 128
    .name:           _ZN2at6native32elementwise_kernel_manual_unrollILi128ELi4EZNS0_15gpu_kernel_implINS0_13AUnaryFunctorIddbNS0_12_GLOBAL__N_116CompareEqFunctorIdEEEEEEvRNS_18TensorIteratorBaseERKT_EUlibE_EEviT1_
    .private_segment_fixed_size: 0
    .sgpr_count:     33
    .sgpr_spill_count: 0
    .symbol:         _ZN2at6native32elementwise_kernel_manual_unrollILi128ELi4EZNS0_15gpu_kernel_implINS0_13AUnaryFunctorIddbNS0_12_GLOBAL__N_116CompareEqFunctorIdEEEEEEvRNS_18TensorIteratorBaseERKT_EUlibE_EEviT1_.kd
    .uniform_work_group_size: 1
    .uses_dynamic_stack: false
    .vgpr_count:     15
    .vgpr_spill_count: 0
    .wavefront_size: 32
  - .args:
      - .offset:         0
        .size:           4
        .value_kind:     by_value
      - .offset:         8
        .size:           368
        .value_kind:     by_value
    .group_segment_fixed_size: 0
    .kernarg_segment_align: 8
    .kernarg_segment_size: 376
    .language:       OpenCL C
    .language_version:
      - 2
      - 0
    .max_flat_workgroup_size: 128
    .name:           _ZN2at6native32elementwise_kernel_manual_unrollILi128ELi4EZNS0_15gpu_kernel_implINS0_13AUnaryFunctorIddbNS0_12_GLOBAL__N_116CompareEqFunctorIdEEEEEEvRNS_18TensorIteratorBaseERKT_EUlibE0_EEviT1_
    .private_segment_fixed_size: 0
    .sgpr_count:     74
    .sgpr_spill_count: 0
    .symbol:         _ZN2at6native32elementwise_kernel_manual_unrollILi128ELi4EZNS0_15gpu_kernel_implINS0_13AUnaryFunctorIddbNS0_12_GLOBAL__N_116CompareEqFunctorIdEEEEEEvRNS_18TensorIteratorBaseERKT_EUlibE0_EEviT1_.kd
    .uniform_work_group_size: 1
    .uses_dynamic_stack: false
    .vgpr_count:     20
    .vgpr_spill_count: 0
    .wavefront_size: 32
  - .args:
      - .offset:         0
        .size:           4
        .value_kind:     by_value
      - .offset:         4
        .size:           4
        .value_kind:     by_value
      - .offset:         8
        .size:           24
        .value_kind:     by_value
    .group_segment_fixed_size: 0
    .kernarg_segment_align: 8
    .kernarg_segment_size: 32
    .language:       OpenCL C
    .language_version:
      - 2
      - 0
    .max_flat_workgroup_size: 256
    .name:           _ZN2at6native29vectorized_elementwise_kernelILi16ENS0_13BinaryFunctorIffbNS0_12_GLOBAL__N_116CompareEqFunctorIfEEEESt5arrayIPcLm3EEEEviT0_T1_
    .private_segment_fixed_size: 0
    .sgpr_count:     18
    .sgpr_spill_count: 0
    .symbol:         _ZN2at6native29vectorized_elementwise_kernelILi16ENS0_13BinaryFunctorIffbNS0_12_GLOBAL__N_116CompareEqFunctorIfEEEESt5arrayIPcLm3EEEEviT0_T1_.kd
    .uniform_work_group_size: 1
    .uses_dynamic_stack: false
    .vgpr_count:     36
    .vgpr_spill_count: 0
    .wavefront_size: 32
  - .args:
      - .offset:         0
        .size:           4
        .value_kind:     by_value
      - .offset:         4
        .size:           4
        .value_kind:     by_value
      - .offset:         8
        .size:           24
        .value_kind:     by_value
    .group_segment_fixed_size: 0
    .kernarg_segment_align: 8
    .kernarg_segment_size: 32
    .language:       OpenCL C
    .language_version:
      - 2
      - 0
    .max_flat_workgroup_size: 256
    .name:           _ZN2at6native29vectorized_elementwise_kernelILi8ENS0_13BinaryFunctorIffbNS0_12_GLOBAL__N_116CompareEqFunctorIfEEEESt5arrayIPcLm3EEEEviT0_T1_
    .private_segment_fixed_size: 0
    .sgpr_count:     18
    .sgpr_spill_count: 0
    .symbol:         _ZN2at6native29vectorized_elementwise_kernelILi8ENS0_13BinaryFunctorIffbNS0_12_GLOBAL__N_116CompareEqFunctorIfEEEESt5arrayIPcLm3EEEEviT0_T1_.kd
    .uniform_work_group_size: 1
    .uses_dynamic_stack: false
    .vgpr_count:     36
    .vgpr_spill_count: 0
    .wavefront_size: 32
  - .args:
      - .offset:         0
        .size:           4
        .value_kind:     by_value
      - .offset:         4
        .size:           4
        .value_kind:     by_value
      - .offset:         8
        .size:           24
        .value_kind:     by_value
    .group_segment_fixed_size: 0
    .kernarg_segment_align: 8
    .kernarg_segment_size: 32
    .language:       OpenCL C
    .language_version:
      - 2
      - 0
    .max_flat_workgroup_size: 256
    .name:           _ZN2at6native29vectorized_elementwise_kernelILi4ENS0_13BinaryFunctorIffbNS0_12_GLOBAL__N_116CompareEqFunctorIfEEEESt5arrayIPcLm3EEEEviT0_T1_
    .private_segment_fixed_size: 0
    .sgpr_count:     18
    .sgpr_spill_count: 0
    .symbol:         _ZN2at6native29vectorized_elementwise_kernelILi4ENS0_13BinaryFunctorIffbNS0_12_GLOBAL__N_116CompareEqFunctorIfEEEESt5arrayIPcLm3EEEEviT0_T1_.kd
    .uniform_work_group_size: 1
    .uses_dynamic_stack: false
    .vgpr_count:     36
    .vgpr_spill_count: 0
    .wavefront_size: 32
  - .args:
      - .offset:         0
        .size:           4
        .value_kind:     by_value
      - .offset:         4
        .size:           4
        .value_kind:     by_value
      - .offset:         8
        .size:           24
        .value_kind:     by_value
    .group_segment_fixed_size: 0
    .kernarg_segment_align: 8
    .kernarg_segment_size: 32
    .language:       OpenCL C
    .language_version:
      - 2
      - 0
    .max_flat_workgroup_size: 256
    .name:           _ZN2at6native29vectorized_elementwise_kernelILi2ENS0_13BinaryFunctorIffbNS0_12_GLOBAL__N_116CompareEqFunctorIfEEEESt5arrayIPcLm3EEEEviT0_T1_
    .private_segment_fixed_size: 0
    .sgpr_count:     16
    .sgpr_spill_count: 0
    .symbol:         _ZN2at6native29vectorized_elementwise_kernelILi2ENS0_13BinaryFunctorIffbNS0_12_GLOBAL__N_116CompareEqFunctorIfEEEESt5arrayIPcLm3EEEEviT0_T1_.kd
    .uniform_work_group_size: 1
    .uses_dynamic_stack: false
    .vgpr_count:     36
    .vgpr_spill_count: 0
    .wavefront_size: 32
  - .args:
      - .offset:         0
        .size:           4
        .value_kind:     by_value
      - .offset:         4
        .size:           4
        .value_kind:     by_value
      - .offset:         8
        .size:           24
        .value_kind:     by_value
      - .offset:         32
        .size:           1
        .value_kind:     by_value
      - .offset:         33
        .size:           1
        .value_kind:     by_value
      - .offset:         34
        .size:           1
        .value_kind:     by_value
      - .offset:         35
        .size:           1
        .value_kind:     by_value
    .group_segment_fixed_size: 0
    .kernarg_segment_align: 8
    .kernarg_segment_size: 36
    .language:       OpenCL C
    .language_version:
      - 2
      - 0
    .max_flat_workgroup_size: 256
    .name:           _ZN2at6native27unrolled_elementwise_kernelINS0_13BinaryFunctorIffbNS0_12_GLOBAL__N_116CompareEqFunctorIfEEEESt5arrayIPcLm3EELi4E23TrivialOffsetCalculatorILi2EjESA_ILi1EjENS0_6memory15LoadWithoutCastENSD_16StoreWithoutCastEEEviT_T0_T2_T3_T4_T5_
    .private_segment_fixed_size: 0
    .sgpr_count:     14
    .sgpr_spill_count: 0
    .symbol:         _ZN2at6native27unrolled_elementwise_kernelINS0_13BinaryFunctorIffbNS0_12_GLOBAL__N_116CompareEqFunctorIfEEEESt5arrayIPcLm3EELi4E23TrivialOffsetCalculatorILi2EjESA_ILi1EjENS0_6memory15LoadWithoutCastENSD_16StoreWithoutCastEEEviT_T0_T2_T3_T4_T5_.kd
    .uniform_work_group_size: 1
    .uses_dynamic_stack: false
    .vgpr_count:     12
    .vgpr_spill_count: 0
    .wavefront_size: 32
  - .args:
      - .offset:         0
        .size:           4
        .value_kind:     by_value
      - .offset:         8
        .size:           424
        .value_kind:     by_value
    .group_segment_fixed_size: 0
    .kernarg_segment_align: 8
    .kernarg_segment_size: 432
    .language:       OpenCL C
    .language_version:
      - 2
      - 0
    .max_flat_workgroup_size: 128
    .name:           _ZN2at6native32elementwise_kernel_manual_unrollILi128ELi8EZNS0_22gpu_kernel_impl_nocastINS0_13BinaryFunctorIffbNS0_12_GLOBAL__N_116CompareEqFunctorIfEEEEEEvRNS_18TensorIteratorBaseERKT_EUlibE_EEviT1_
    .private_segment_fixed_size: 0
    .sgpr_count:     48
    .sgpr_spill_count: 0
    .symbol:         _ZN2at6native32elementwise_kernel_manual_unrollILi128ELi8EZNS0_22gpu_kernel_impl_nocastINS0_13BinaryFunctorIffbNS0_12_GLOBAL__N_116CompareEqFunctorIfEEEEEEvRNS_18TensorIteratorBaseERKT_EUlibE_EEviT1_.kd
    .uniform_work_group_size: 1
    .uses_dynamic_stack: false
    .vgpr_count:     39
    .vgpr_spill_count: 0
    .wavefront_size: 32
  - .args:
      - .offset:         0
        .size:           4
        .value_kind:     by_value
      - .offset:         8
        .size:           48
        .value_kind:     by_value
    .group_segment_fixed_size: 0
    .kernarg_segment_align: 8
    .kernarg_segment_size: 56
    .language:       OpenCL C
    .language_version:
      - 2
      - 0
    .max_flat_workgroup_size: 128
    .name:           _ZN2at6native32elementwise_kernel_manual_unrollILi128ELi4EZNS0_15gpu_kernel_implINS0_13BinaryFunctorIffbNS0_12_GLOBAL__N_116CompareEqFunctorIfEEEEEEvRNS_18TensorIteratorBaseERKT_EUlibE_EEviT1_
    .private_segment_fixed_size: 0
    .sgpr_count:     39
    .sgpr_spill_count: 0
    .symbol:         _ZN2at6native32elementwise_kernel_manual_unrollILi128ELi4EZNS0_15gpu_kernel_implINS0_13BinaryFunctorIffbNS0_12_GLOBAL__N_116CompareEqFunctorIfEEEEEEvRNS_18TensorIteratorBaseERKT_EUlibE_EEviT1_.kd
    .uniform_work_group_size: 1
    .uses_dynamic_stack: false
    .vgpr_count:     18
    .vgpr_spill_count: 0
    .wavefront_size: 32
  - .args:
      - .offset:         0
        .size:           4
        .value_kind:     by_value
      - .offset:         8
        .size:           424
        .value_kind:     by_value
    .group_segment_fixed_size: 0
    .kernarg_segment_align: 8
    .kernarg_segment_size: 432
    .language:       OpenCL C
    .language_version:
      - 2
      - 0
    .max_flat_workgroup_size: 128
    .name:           _ZN2at6native32elementwise_kernel_manual_unrollILi128ELi4EZNS0_15gpu_kernel_implINS0_13BinaryFunctorIffbNS0_12_GLOBAL__N_116CompareEqFunctorIfEEEEEEvRNS_18TensorIteratorBaseERKT_EUlibE0_EEviT1_
    .private_segment_fixed_size: 0
    .sgpr_count:     64
    .sgpr_spill_count: 0
    .symbol:         _ZN2at6native32elementwise_kernel_manual_unrollILi128ELi4EZNS0_15gpu_kernel_implINS0_13BinaryFunctorIffbNS0_12_GLOBAL__N_116CompareEqFunctorIfEEEEEEvRNS_18TensorIteratorBaseERKT_EUlibE0_EEviT1_.kd
    .uniform_work_group_size: 1
    .uses_dynamic_stack: false
    .vgpr_count:     26
    .vgpr_spill_count: 0
    .wavefront_size: 32
  - .args:
      - .offset:         0
        .size:           4
        .value_kind:     by_value
      - .offset:         4
        .size:           8
        .value_kind:     by_value
      - .offset:         16
        .size:           16
        .value_kind:     by_value
    .group_segment_fixed_size: 0
    .kernarg_segment_align: 8
    .kernarg_segment_size: 32
    .language:       OpenCL C
    .language_version:
      - 2
      - 0
    .max_flat_workgroup_size: 256
    .name:           _ZN2at6native29vectorized_elementwise_kernelILi16ENS0_13AUnaryFunctorIffbNS0_12_GLOBAL__N_116CompareEqFunctorIfEEEESt5arrayIPcLm2EEEEviT0_T1_
    .private_segment_fixed_size: 0
    .sgpr_count:     16
    .sgpr_spill_count: 0
    .symbol:         _ZN2at6native29vectorized_elementwise_kernelILi16ENS0_13AUnaryFunctorIffbNS0_12_GLOBAL__N_116CompareEqFunctorIfEEEESt5arrayIPcLm2EEEEviT0_T1_.kd
    .uniform_work_group_size: 1
    .uses_dynamic_stack: false
    .vgpr_count:     33
    .vgpr_spill_count: 0
    .wavefront_size: 32
  - .args:
      - .offset:         0
        .size:           4
        .value_kind:     by_value
      - .offset:         4
        .size:           8
        .value_kind:     by_value
      - .offset:         16
        .size:           16
        .value_kind:     by_value
    .group_segment_fixed_size: 0
    .kernarg_segment_align: 8
    .kernarg_segment_size: 32
    .language:       OpenCL C
    .language_version:
      - 2
      - 0
    .max_flat_workgroup_size: 256
    .name:           _ZN2at6native29vectorized_elementwise_kernelILi8ENS0_13AUnaryFunctorIffbNS0_12_GLOBAL__N_116CompareEqFunctorIfEEEESt5arrayIPcLm2EEEEviT0_T1_
    .private_segment_fixed_size: 0
    .sgpr_count:     16
    .sgpr_spill_count: 0
    .symbol:         _ZN2at6native29vectorized_elementwise_kernelILi8ENS0_13AUnaryFunctorIffbNS0_12_GLOBAL__N_116CompareEqFunctorIfEEEESt5arrayIPcLm2EEEEviT0_T1_.kd
    .uniform_work_group_size: 1
    .uses_dynamic_stack: false
    .vgpr_count:     34
    .vgpr_spill_count: 0
    .wavefront_size: 32
  - .args:
      - .offset:         0
        .size:           4
        .value_kind:     by_value
      - .offset:         4
        .size:           8
        .value_kind:     by_value
      - .offset:         16
        .size:           16
        .value_kind:     by_value
    .group_segment_fixed_size: 0
    .kernarg_segment_align: 8
    .kernarg_segment_size: 32
    .language:       OpenCL C
    .language_version:
      - 2
      - 0
    .max_flat_workgroup_size: 256
    .name:           _ZN2at6native29vectorized_elementwise_kernelILi4ENS0_13AUnaryFunctorIffbNS0_12_GLOBAL__N_116CompareEqFunctorIfEEEESt5arrayIPcLm2EEEEviT0_T1_
    .private_segment_fixed_size: 0
    .sgpr_count:     16
    .sgpr_spill_count: 0
    .symbol:         _ZN2at6native29vectorized_elementwise_kernelILi4ENS0_13AUnaryFunctorIffbNS0_12_GLOBAL__N_116CompareEqFunctorIfEEEESt5arrayIPcLm2EEEEviT0_T1_.kd
    .uniform_work_group_size: 1
    .uses_dynamic_stack: false
    .vgpr_count:     33
    .vgpr_spill_count: 0
    .wavefront_size: 32
  - .args:
      - .offset:         0
        .size:           4
        .value_kind:     by_value
      - .offset:         4
        .size:           8
        .value_kind:     by_value
      - .offset:         16
        .size:           16
        .value_kind:     by_value
    .group_segment_fixed_size: 0
    .kernarg_segment_align: 8
    .kernarg_segment_size: 32
    .language:       OpenCL C
    .language_version:
      - 2
      - 0
    .max_flat_workgroup_size: 256
    .name:           _ZN2at6native29vectorized_elementwise_kernelILi2ENS0_13AUnaryFunctorIffbNS0_12_GLOBAL__N_116CompareEqFunctorIfEEEESt5arrayIPcLm2EEEEviT0_T1_
    .private_segment_fixed_size: 0
    .sgpr_count:     14
    .sgpr_spill_count: 0
    .symbol:         _ZN2at6native29vectorized_elementwise_kernelILi2ENS0_13AUnaryFunctorIffbNS0_12_GLOBAL__N_116CompareEqFunctorIfEEEESt5arrayIPcLm2EEEEviT0_T1_.kd
    .uniform_work_group_size: 1
    .uses_dynamic_stack: false
    .vgpr_count:     33
    .vgpr_spill_count: 0
    .wavefront_size: 32
  - .args:
      - .offset:         0
        .size:           4
        .value_kind:     by_value
      - .offset:         4
        .size:           8
        .value_kind:     by_value
      - .offset:         16
        .size:           16
        .value_kind:     by_value
      - .offset:         32
        .size:           1
        .value_kind:     by_value
      - .offset:         33
        .size:           1
        .value_kind:     by_value
      - .offset:         34
        .size:           1
        .value_kind:     by_value
      - .offset:         35
        .size:           1
        .value_kind:     by_value
    .group_segment_fixed_size: 0
    .kernarg_segment_align: 8
    .kernarg_segment_size: 36
    .language:       OpenCL C
    .language_version:
      - 2
      - 0
    .max_flat_workgroup_size: 256
    .name:           _ZN2at6native27unrolled_elementwise_kernelINS0_13AUnaryFunctorIffbNS0_12_GLOBAL__N_116CompareEqFunctorIfEEEESt5arrayIPcLm2EELi4E23TrivialOffsetCalculatorILi1EjESB_NS0_6memory15LoadWithoutCastENSC_16StoreWithoutCastEEEviT_T0_T2_T3_T4_T5_
    .private_segment_fixed_size: 0
    .sgpr_count:     13
    .sgpr_spill_count: 0
    .symbol:         _ZN2at6native27unrolled_elementwise_kernelINS0_13AUnaryFunctorIffbNS0_12_GLOBAL__N_116CompareEqFunctorIfEEEESt5arrayIPcLm2EELi4E23TrivialOffsetCalculatorILi1EjESB_NS0_6memory15LoadWithoutCastENSC_16StoreWithoutCastEEEviT_T0_T2_T3_T4_T5_.kd
    .uniform_work_group_size: 1
    .uses_dynamic_stack: false
    .vgpr_count:     9
    .vgpr_spill_count: 0
    .wavefront_size: 32
  - .args:
      - .offset:         0
        .size:           4
        .value_kind:     by_value
      - .offset:         8
        .size:           352
        .value_kind:     by_value
    .group_segment_fixed_size: 0
    .kernarg_segment_align: 8
    .kernarg_segment_size: 360
    .language:       OpenCL C
    .language_version:
      - 2
      - 0
    .max_flat_workgroup_size: 128
    .name:           _ZN2at6native32elementwise_kernel_manual_unrollILi128ELi8EZNS0_22gpu_kernel_impl_nocastINS0_13AUnaryFunctorIffbNS0_12_GLOBAL__N_116CompareEqFunctorIfEEEEEEvRNS_18TensorIteratorBaseERKT_EUlibE_EEviT1_
    .private_segment_fixed_size: 0
    .sgpr_count:     62
    .sgpr_spill_count: 0
    .symbol:         _ZN2at6native32elementwise_kernel_manual_unrollILi128ELi8EZNS0_22gpu_kernel_impl_nocastINS0_13AUnaryFunctorIffbNS0_12_GLOBAL__N_116CompareEqFunctorIfEEEEEEvRNS_18TensorIteratorBaseERKT_EUlibE_EEviT1_.kd
    .uniform_work_group_size: 1
    .uses_dynamic_stack: false
    .vgpr_count:     24
    .vgpr_spill_count: 0
    .wavefront_size: 32
  - .args:
      - .offset:         0
        .size:           4
        .value_kind:     by_value
      - .offset:         8
        .size:           40
        .value_kind:     by_value
    .group_segment_fixed_size: 0
    .kernarg_segment_align: 8
    .kernarg_segment_size: 48
    .language:       OpenCL C
    .language_version:
      - 2
      - 0
    .max_flat_workgroup_size: 128
    .name:           _ZN2at6native32elementwise_kernel_manual_unrollILi128ELi4EZNS0_15gpu_kernel_implINS0_13AUnaryFunctorIffbNS0_12_GLOBAL__N_116CompareEqFunctorIfEEEEEEvRNS_18TensorIteratorBaseERKT_EUlibE_EEviT1_
    .private_segment_fixed_size: 0
    .sgpr_count:     32
    .sgpr_spill_count: 0
    .symbol:         _ZN2at6native32elementwise_kernel_manual_unrollILi128ELi4EZNS0_15gpu_kernel_implINS0_13AUnaryFunctorIffbNS0_12_GLOBAL__N_116CompareEqFunctorIfEEEEEEvRNS_18TensorIteratorBaseERKT_EUlibE_EEviT1_.kd
    .uniform_work_group_size: 1
    .uses_dynamic_stack: false
    .vgpr_count:     14
    .vgpr_spill_count: 0
    .wavefront_size: 32
  - .args:
      - .offset:         0
        .size:           4
        .value_kind:     by_value
      - .offset:         8
        .size:           360
        .value_kind:     by_value
    .group_segment_fixed_size: 0
    .kernarg_segment_align: 8
    .kernarg_segment_size: 368
    .language:       OpenCL C
    .language_version:
      - 2
      - 0
    .max_flat_workgroup_size: 128
    .name:           _ZN2at6native32elementwise_kernel_manual_unrollILi128ELi4EZNS0_15gpu_kernel_implINS0_13AUnaryFunctorIffbNS0_12_GLOBAL__N_116CompareEqFunctorIfEEEEEEvRNS_18TensorIteratorBaseERKT_EUlibE0_EEviT1_
    .private_segment_fixed_size: 0
    .sgpr_count:     74
    .sgpr_spill_count: 0
    .symbol:         _ZN2at6native32elementwise_kernel_manual_unrollILi128ELi4EZNS0_15gpu_kernel_implINS0_13AUnaryFunctorIffbNS0_12_GLOBAL__N_116CompareEqFunctorIfEEEEEEvRNS_18TensorIteratorBaseERKT_EUlibE0_EEviT1_.kd
    .uniform_work_group_size: 1
    .uses_dynamic_stack: false
    .vgpr_count:     18
    .vgpr_spill_count: 0
    .wavefront_size: 32
  - .args:
      - .offset:         0
        .size:           4
        .value_kind:     by_value
      - .offset:         4
        .size:           4
        .value_kind:     by_value
      - .offset:         8
        .size:           24
        .value_kind:     by_value
    .group_segment_fixed_size: 0
    .kernarg_segment_align: 8
    .kernarg_segment_size: 32
    .language:       OpenCL C
    .language_version:
      - 2
      - 0
    .max_flat_workgroup_size: 256
    .name:           _ZN2at6native29vectorized_elementwise_kernelILi16ENS0_13BinaryFunctorIN3c107complexIdEES5_bNS0_12_GLOBAL__N_116CompareEqFunctorIS5_EEEESt5arrayIPcLm3EEEEviT0_T1_
    .private_segment_fixed_size: 0
    .sgpr_count:     29
    .sgpr_spill_count: 0
    .symbol:         _ZN2at6native29vectorized_elementwise_kernelILi16ENS0_13BinaryFunctorIN3c107complexIdEES5_bNS0_12_GLOBAL__N_116CompareEqFunctorIS5_EEEESt5arrayIPcLm3EEEEviT0_T1_.kd
    .uniform_work_group_size: 1
    .uses_dynamic_stack: false
    .vgpr_count:     132
    .vgpr_spill_count: 0
    .wavefront_size: 32
  - .args:
      - .offset:         0
        .size:           4
        .value_kind:     by_value
      - .offset:         4
        .size:           4
        .value_kind:     by_value
      - .offset:         8
        .size:           24
        .value_kind:     by_value
    .group_segment_fixed_size: 0
    .kernarg_segment_align: 8
    .kernarg_segment_size: 32
    .language:       OpenCL C
    .language_version:
      - 2
      - 0
    .max_flat_workgroup_size: 256
    .name:           _ZN2at6native29vectorized_elementwise_kernelILi8ENS0_13BinaryFunctorIN3c107complexIdEES5_bNS0_12_GLOBAL__N_116CompareEqFunctorIS5_EEEESt5arrayIPcLm3EEEEviT0_T1_
    .private_segment_fixed_size: 0
    .sgpr_count:     29
    .sgpr_spill_count: 0
    .symbol:         _ZN2at6native29vectorized_elementwise_kernelILi8ENS0_13BinaryFunctorIN3c107complexIdEES5_bNS0_12_GLOBAL__N_116CompareEqFunctorIS5_EEEESt5arrayIPcLm3EEEEviT0_T1_.kd
    .uniform_work_group_size: 1
    .uses_dynamic_stack: false
    .vgpr_count:     132
    .vgpr_spill_count: 0
    .wavefront_size: 32
  - .args:
      - .offset:         0
        .size:           4
        .value_kind:     by_value
      - .offset:         4
        .size:           4
        .value_kind:     by_value
      - .offset:         8
        .size:           24
        .value_kind:     by_value
    .group_segment_fixed_size: 0
    .kernarg_segment_align: 8
    .kernarg_segment_size: 32
    .language:       OpenCL C
    .language_version:
      - 2
      - 0
    .max_flat_workgroup_size: 256
    .name:           _ZN2at6native29vectorized_elementwise_kernelILi4ENS0_13BinaryFunctorIN3c107complexIdEES5_bNS0_12_GLOBAL__N_116CompareEqFunctorIS5_EEEESt5arrayIPcLm3EEEEviT0_T1_
    .private_segment_fixed_size: 0
    .sgpr_count:     29
    .sgpr_spill_count: 0
    .symbol:         _ZN2at6native29vectorized_elementwise_kernelILi4ENS0_13BinaryFunctorIN3c107complexIdEES5_bNS0_12_GLOBAL__N_116CompareEqFunctorIS5_EEEESt5arrayIPcLm3EEEEviT0_T1_.kd
    .uniform_work_group_size: 1
    .uses_dynamic_stack: false
    .vgpr_count:     132
    .vgpr_spill_count: 0
    .wavefront_size: 32
  - .args:
      - .offset:         0
        .size:           4
        .value_kind:     by_value
      - .offset:         4
        .size:           4
        .value_kind:     by_value
      - .offset:         8
        .size:           24
        .value_kind:     by_value
    .group_segment_fixed_size: 0
    .kernarg_segment_align: 8
    .kernarg_segment_size: 32
    .language:       OpenCL C
    .language_version:
      - 2
      - 0
    .max_flat_workgroup_size: 256
    .name:           _ZN2at6native29vectorized_elementwise_kernelILi2ENS0_13BinaryFunctorIN3c107complexIdEES5_bNS0_12_GLOBAL__N_116CompareEqFunctorIS5_EEEESt5arrayIPcLm3EEEEviT0_T1_
    .private_segment_fixed_size: 0
    .sgpr_count:     29
    .sgpr_spill_count: 0
    .symbol:         _ZN2at6native29vectorized_elementwise_kernelILi2ENS0_13BinaryFunctorIN3c107complexIdEES5_bNS0_12_GLOBAL__N_116CompareEqFunctorIS5_EEEESt5arrayIPcLm3EEEEviT0_T1_.kd
    .uniform_work_group_size: 1
    .uses_dynamic_stack: false
    .vgpr_count:     132
    .vgpr_spill_count: 0
    .wavefront_size: 32
  - .args:
      - .offset:         0
        .size:           4
        .value_kind:     by_value
      - .offset:         4
        .size:           4
        .value_kind:     by_value
      - .offset:         8
        .size:           24
        .value_kind:     by_value
      - .offset:         32
        .size:           1
        .value_kind:     by_value
      - .offset:         33
        .size:           1
        .value_kind:     by_value
      - .offset:         34
        .size:           1
        .value_kind:     by_value
      - .offset:         35
        .size:           1
        .value_kind:     by_value
    .group_segment_fixed_size: 0
    .kernarg_segment_align: 8
    .kernarg_segment_size: 36
    .language:       OpenCL C
    .language_version:
      - 2
      - 0
    .max_flat_workgroup_size: 256
    .name:           _ZN2at6native27unrolled_elementwise_kernelINS0_13BinaryFunctorIN3c107complexIdEES5_bNS0_12_GLOBAL__N_116CompareEqFunctorIS5_EEEESt5arrayIPcLm3EELi4E23TrivialOffsetCalculatorILi2EjESD_ILi1EjENS0_6memory15LoadWithoutCastENSG_16StoreWithoutCastEEEviT_T0_T2_T3_T4_T5_
    .private_segment_fixed_size: 0
    .sgpr_count:     15
    .sgpr_spill_count: 0
    .symbol:         _ZN2at6native27unrolled_elementwise_kernelINS0_13BinaryFunctorIN3c107complexIdEES5_bNS0_12_GLOBAL__N_116CompareEqFunctorIS5_EEEESt5arrayIPcLm3EELi4E23TrivialOffsetCalculatorILi2EjESD_ILi1EjENS0_6memory15LoadWithoutCastENSG_16StoreWithoutCastEEEviT_T0_T2_T3_T4_T5_.kd
    .uniform_work_group_size: 1
    .uses_dynamic_stack: false
    .vgpr_count:     36
    .vgpr_spill_count: 0
    .wavefront_size: 32
  - .args:
      - .offset:         0
        .size:           4
        .value_kind:     by_value
      - .offset:         8
        .size:           424
        .value_kind:     by_value
    .group_segment_fixed_size: 0
    .kernarg_segment_align: 8
    .kernarg_segment_size: 432
    .language:       OpenCL C
    .language_version:
      - 2
      - 0
    .max_flat_workgroup_size: 128
    .name:           _ZN2at6native32elementwise_kernel_manual_unrollILi128ELi8EZNS0_22gpu_kernel_impl_nocastINS0_13BinaryFunctorIN3c107complexIdEES6_bNS0_12_GLOBAL__N_116CompareEqFunctorIS6_EEEEEEvRNS_18TensorIteratorBaseERKT_EUlibE_EEviT1_
    .private_segment_fixed_size: 0
    .sgpr_count:     48
    .sgpr_spill_count: 0
    .symbol:         _ZN2at6native32elementwise_kernel_manual_unrollILi128ELi8EZNS0_22gpu_kernel_impl_nocastINS0_13BinaryFunctorIN3c107complexIdEES6_bNS0_12_GLOBAL__N_116CompareEqFunctorIS6_EEEEEEvRNS_18TensorIteratorBaseERKT_EUlibE_EEviT1_.kd
    .uniform_work_group_size: 1
    .uses_dynamic_stack: false
    .vgpr_count:     32
    .vgpr_spill_count: 0
    .wavefront_size: 32
  - .args:
      - .offset:         0
        .size:           4
        .value_kind:     by_value
      - .offset:         8
        .size:           48
        .value_kind:     by_value
    .group_segment_fixed_size: 0
    .kernarg_segment_align: 8
    .kernarg_segment_size: 56
    .language:       OpenCL C
    .language_version:
      - 2
      - 0
    .max_flat_workgroup_size: 128
    .name:           _ZN2at6native32elementwise_kernel_manual_unrollILi128ELi4EZNS0_15gpu_kernel_implINS0_13BinaryFunctorIN3c107complexIdEES6_bNS0_12_GLOBAL__N_116CompareEqFunctorIS6_EEEEEEvRNS_18TensorIteratorBaseERKT_EUlibE_EEviT1_
    .private_segment_fixed_size: 0
    .sgpr_count:     39
    .sgpr_spill_count: 0
    .symbol:         _ZN2at6native32elementwise_kernel_manual_unrollILi128ELi4EZNS0_15gpu_kernel_implINS0_13BinaryFunctorIN3c107complexIdEES6_bNS0_12_GLOBAL__N_116CompareEqFunctorIS6_EEEEEEvRNS_18TensorIteratorBaseERKT_EUlibE_EEviT1_.kd
    .uniform_work_group_size: 1
    .uses_dynamic_stack: false
    .vgpr_count:     15
    .vgpr_spill_count: 0
    .wavefront_size: 32
  - .args:
      - .offset:         0
        .size:           4
        .value_kind:     by_value
      - .offset:         8
        .size:           424
        .value_kind:     by_value
    .group_segment_fixed_size: 0
    .kernarg_segment_align: 8
    .kernarg_segment_size: 432
    .language:       OpenCL C
    .language_version:
      - 2
      - 0
    .max_flat_workgroup_size: 128
    .name:           _ZN2at6native32elementwise_kernel_manual_unrollILi128ELi4EZNS0_15gpu_kernel_implINS0_13BinaryFunctorIN3c107complexIdEES6_bNS0_12_GLOBAL__N_116CompareEqFunctorIS6_EEEEEEvRNS_18TensorIteratorBaseERKT_EUlibE0_EEviT1_
    .private_segment_fixed_size: 0
    .sgpr_count:     64
    .sgpr_spill_count: 0
    .symbol:         _ZN2at6native32elementwise_kernel_manual_unrollILi128ELi4EZNS0_15gpu_kernel_implINS0_13BinaryFunctorIN3c107complexIdEES6_bNS0_12_GLOBAL__N_116CompareEqFunctorIS6_EEEEEEvRNS_18TensorIteratorBaseERKT_EUlibE0_EEviT1_.kd
    .uniform_work_group_size: 1
    .uses_dynamic_stack: false
    .vgpr_count:     30
    .vgpr_spill_count: 0
    .wavefront_size: 32
  - .args:
      - .offset:         0
        .size:           4
        .value_kind:     by_value
      - .offset:         16
        .size:           32
        .value_kind:     by_value
      - .offset:         48
        .size:           16
        .value_kind:     by_value
    .group_segment_fixed_size: 0
    .kernarg_segment_align: 16
    .kernarg_segment_size: 64
    .language:       OpenCL C
    .language_version:
      - 2
      - 0
    .max_flat_workgroup_size: 256
    .name:           _ZN2at6native29vectorized_elementwise_kernelILi16ENS0_13AUnaryFunctorIN3c107complexIdEES5_bNS0_12_GLOBAL__N_116CompareEqFunctorIS5_EEEESt5arrayIPcLm2EEEEviT0_T1_
    .private_segment_fixed_size: 0
    .sgpr_count:     31
    .sgpr_spill_count: 0
    .symbol:         _ZN2at6native29vectorized_elementwise_kernelILi16ENS0_13AUnaryFunctorIN3c107complexIdEES5_bNS0_12_GLOBAL__N_116CompareEqFunctorIS5_EEEESt5arrayIPcLm2EEEEviT0_T1_.kd
    .uniform_work_group_size: 1
    .uses_dynamic_stack: false
    .vgpr_count:     68
    .vgpr_spill_count: 0
    .wavefront_size: 32
  - .args:
      - .offset:         0
        .size:           4
        .value_kind:     by_value
      - .offset:         16
        .size:           32
        .value_kind:     by_value
      - .offset:         48
        .size:           16
        .value_kind:     by_value
    .group_segment_fixed_size: 0
    .kernarg_segment_align: 16
    .kernarg_segment_size: 64
    .language:       OpenCL C
    .language_version:
      - 2
      - 0
    .max_flat_workgroup_size: 256
    .name:           _ZN2at6native29vectorized_elementwise_kernelILi8ENS0_13AUnaryFunctorIN3c107complexIdEES5_bNS0_12_GLOBAL__N_116CompareEqFunctorIS5_EEEESt5arrayIPcLm2EEEEviT0_T1_
    .private_segment_fixed_size: 0
    .sgpr_count:     31
    .sgpr_spill_count: 0
    .symbol:         _ZN2at6native29vectorized_elementwise_kernelILi8ENS0_13AUnaryFunctorIN3c107complexIdEES5_bNS0_12_GLOBAL__N_116CompareEqFunctorIS5_EEEESt5arrayIPcLm2EEEEviT0_T1_.kd
    .uniform_work_group_size: 1
    .uses_dynamic_stack: false
    .vgpr_count:     68
    .vgpr_spill_count: 0
    .wavefront_size: 32
  - .args:
      - .offset:         0
        .size:           4
        .value_kind:     by_value
      - .offset:         16
        .size:           32
        .value_kind:     by_value
      - .offset:         48
        .size:           16
        .value_kind:     by_value
    .group_segment_fixed_size: 0
    .kernarg_segment_align: 16
    .kernarg_segment_size: 64
    .language:       OpenCL C
    .language_version:
      - 2
      - 0
    .max_flat_workgroup_size: 256
    .name:           _ZN2at6native29vectorized_elementwise_kernelILi4ENS0_13AUnaryFunctorIN3c107complexIdEES5_bNS0_12_GLOBAL__N_116CompareEqFunctorIS5_EEEESt5arrayIPcLm2EEEEviT0_T1_
    .private_segment_fixed_size: 0
    .sgpr_count:     31
    .sgpr_spill_count: 0
    .symbol:         _ZN2at6native29vectorized_elementwise_kernelILi4ENS0_13AUnaryFunctorIN3c107complexIdEES5_bNS0_12_GLOBAL__N_116CompareEqFunctorIS5_EEEESt5arrayIPcLm2EEEEviT0_T1_.kd
    .uniform_work_group_size: 1
    .uses_dynamic_stack: false
    .vgpr_count:     68
    .vgpr_spill_count: 0
    .wavefront_size: 32
  - .args:
      - .offset:         0
        .size:           4
        .value_kind:     by_value
      - .offset:         16
        .size:           32
        .value_kind:     by_value
      - .offset:         48
        .size:           16
        .value_kind:     by_value
    .group_segment_fixed_size: 0
    .kernarg_segment_align: 16
    .kernarg_segment_size: 64
    .language:       OpenCL C
    .language_version:
      - 2
      - 0
    .max_flat_workgroup_size: 256
    .name:           _ZN2at6native29vectorized_elementwise_kernelILi2ENS0_13AUnaryFunctorIN3c107complexIdEES5_bNS0_12_GLOBAL__N_116CompareEqFunctorIS5_EEEESt5arrayIPcLm2EEEEviT0_T1_
    .private_segment_fixed_size: 0
    .sgpr_count:     31
    .sgpr_spill_count: 0
    .symbol:         _ZN2at6native29vectorized_elementwise_kernelILi2ENS0_13AUnaryFunctorIN3c107complexIdEES5_bNS0_12_GLOBAL__N_116CompareEqFunctorIS5_EEEESt5arrayIPcLm2EEEEviT0_T1_.kd
    .uniform_work_group_size: 1
    .uses_dynamic_stack: false
    .vgpr_count:     68
    .vgpr_spill_count: 0
    .wavefront_size: 32
  - .args:
      - .offset:         0
        .size:           4
        .value_kind:     by_value
      - .offset:         16
        .size:           32
        .value_kind:     by_value
      - .offset:         48
        .size:           16
        .value_kind:     by_value
      - .offset:         64
        .size:           1
        .value_kind:     by_value
      - .offset:         65
        .size:           1
        .value_kind:     by_value
      - .offset:         66
        .size:           1
        .value_kind:     by_value
      - .offset:         67
        .size:           1
        .value_kind:     by_value
    .group_segment_fixed_size: 0
    .kernarg_segment_align: 16
    .kernarg_segment_size: 68
    .language:       OpenCL C
    .language_version:
      - 2
      - 0
    .max_flat_workgroup_size: 256
    .name:           _ZN2at6native27unrolled_elementwise_kernelINS0_13AUnaryFunctorIN3c107complexIdEES5_bNS0_12_GLOBAL__N_116CompareEqFunctorIS5_EEEESt5arrayIPcLm2EELi4E23TrivialOffsetCalculatorILi1EjESE_NS0_6memory15LoadWithoutCastENSF_16StoreWithoutCastEEEviT_T0_T2_T3_T4_T5_
    .private_segment_fixed_size: 0
    .sgpr_count:     16
    .sgpr_spill_count: 0
    .symbol:         _ZN2at6native27unrolled_elementwise_kernelINS0_13AUnaryFunctorIN3c107complexIdEES5_bNS0_12_GLOBAL__N_116CompareEqFunctorIS5_EEEESt5arrayIPcLm2EELi4E23TrivialOffsetCalculatorILi1EjESE_NS0_6memory15LoadWithoutCastENSF_16StoreWithoutCastEEEviT_T0_T2_T3_T4_T5_.kd
    .uniform_work_group_size: 1
    .uses_dynamic_stack: false
    .vgpr_count:     20
    .vgpr_spill_count: 0
    .wavefront_size: 32
  - .args:
      - .offset:         0
        .size:           4
        .value_kind:     by_value
      - .offset:         16
        .size:           384
        .value_kind:     by_value
    .group_segment_fixed_size: 0
    .kernarg_segment_align: 16
    .kernarg_segment_size: 400
    .language:       OpenCL C
    .language_version:
      - 2
      - 0
    .max_flat_workgroup_size: 128
    .name:           _ZN2at6native32elementwise_kernel_manual_unrollILi128ELi8EZNS0_22gpu_kernel_impl_nocastINS0_13AUnaryFunctorIN3c107complexIdEES6_bNS0_12_GLOBAL__N_116CompareEqFunctorIS6_EEEEEEvRNS_18TensorIteratorBaseERKT_EUlibE_EEviT1_
    .private_segment_fixed_size: 0
    .sgpr_count:     66
    .sgpr_spill_count: 0
    .symbol:         _ZN2at6native32elementwise_kernel_manual_unrollILi128ELi8EZNS0_22gpu_kernel_impl_nocastINS0_13AUnaryFunctorIN3c107complexIdEES6_bNS0_12_GLOBAL__N_116CompareEqFunctorIS6_EEEEEEvRNS_18TensorIteratorBaseERKT_EUlibE_EEviT1_.kd
    .uniform_work_group_size: 1
    .uses_dynamic_stack: false
    .vgpr_count:     23
    .vgpr_spill_count: 0
    .wavefront_size: 32
  - .args:
      - .offset:         0
        .size:           4
        .value_kind:     by_value
      - .offset:         16
        .size:           80
        .value_kind:     by_value
    .group_segment_fixed_size: 0
    .kernarg_segment_align: 16
    .kernarg_segment_size: 96
    .language:       OpenCL C
    .language_version:
      - 2
      - 0
    .max_flat_workgroup_size: 128
    .name:           _ZN2at6native32elementwise_kernel_manual_unrollILi128ELi4EZNS0_15gpu_kernel_implINS0_13AUnaryFunctorIN3c107complexIdEES6_bNS0_12_GLOBAL__N_116CompareEqFunctorIS6_EEEEEEvRNS_18TensorIteratorBaseERKT_EUlibE_EEviT1_
    .private_segment_fixed_size: 0
    .sgpr_count:     36
    .sgpr_spill_count: 0
    .symbol:         _ZN2at6native32elementwise_kernel_manual_unrollILi128ELi4EZNS0_15gpu_kernel_implINS0_13AUnaryFunctorIN3c107complexIdEES6_bNS0_12_GLOBAL__N_116CompareEqFunctorIS6_EEEEEEvRNS_18TensorIteratorBaseERKT_EUlibE_EEviT1_.kd
    .uniform_work_group_size: 1
    .uses_dynamic_stack: false
    .vgpr_count:     10
    .vgpr_spill_count: 0
    .wavefront_size: 32
  - .args:
      - .offset:         0
        .size:           4
        .value_kind:     by_value
      - .offset:         16
        .size:           400
        .value_kind:     by_value
    .group_segment_fixed_size: 0
    .kernarg_segment_align: 16
    .kernarg_segment_size: 416
    .language:       OpenCL C
    .language_version:
      - 2
      - 0
    .max_flat_workgroup_size: 128
    .name:           _ZN2at6native32elementwise_kernel_manual_unrollILi128ELi4EZNS0_15gpu_kernel_implINS0_13AUnaryFunctorIN3c107complexIdEES6_bNS0_12_GLOBAL__N_116CompareEqFunctorIS6_EEEEEEvRNS_18TensorIteratorBaseERKT_EUlibE0_EEviT1_
    .private_segment_fixed_size: 0
    .sgpr_count:     74
    .sgpr_spill_count: 0
    .symbol:         _ZN2at6native32elementwise_kernel_manual_unrollILi128ELi4EZNS0_15gpu_kernel_implINS0_13AUnaryFunctorIN3c107complexIdEES6_bNS0_12_GLOBAL__N_116CompareEqFunctorIS6_EEEEEEvRNS_18TensorIteratorBaseERKT_EUlibE0_EEviT1_.kd
    .uniform_work_group_size: 1
    .uses_dynamic_stack: false
    .vgpr_count:     20
    .vgpr_spill_count: 0
    .wavefront_size: 32
  - .args:
      - .offset:         0
        .size:           4
        .value_kind:     by_value
      - .offset:         4
        .size:           4
        .value_kind:     by_value
      - .offset:         8
        .size:           24
        .value_kind:     by_value
    .group_segment_fixed_size: 0
    .kernarg_segment_align: 8
    .kernarg_segment_size: 32
    .language:       OpenCL C
    .language_version:
      - 2
      - 0
    .max_flat_workgroup_size: 256
    .name:           _ZN2at6native29vectorized_elementwise_kernelILi16ENS0_13BinaryFunctorIN3c107complexIfEES5_bNS0_12_GLOBAL__N_116CompareEqFunctorIS5_EEEESt5arrayIPcLm3EEEEviT0_T1_
    .private_segment_fixed_size: 0
    .sgpr_count:     29
    .sgpr_spill_count: 0
    .symbol:         _ZN2at6native29vectorized_elementwise_kernelILi16ENS0_13BinaryFunctorIN3c107complexIfEES5_bNS0_12_GLOBAL__N_116CompareEqFunctorIS5_EEEESt5arrayIPcLm3EEEEviT0_T1_.kd
    .uniform_work_group_size: 1
    .uses_dynamic_stack: false
    .vgpr_count:     68
    .vgpr_spill_count: 0
    .wavefront_size: 32
  - .args:
      - .offset:         0
        .size:           4
        .value_kind:     by_value
      - .offset:         4
        .size:           4
        .value_kind:     by_value
      - .offset:         8
        .size:           24
        .value_kind:     by_value
    .group_segment_fixed_size: 0
    .kernarg_segment_align: 8
    .kernarg_segment_size: 32
    .language:       OpenCL C
    .language_version:
      - 2
      - 0
    .max_flat_workgroup_size: 256
    .name:           _ZN2at6native29vectorized_elementwise_kernelILi8ENS0_13BinaryFunctorIN3c107complexIfEES5_bNS0_12_GLOBAL__N_116CompareEqFunctorIS5_EEEESt5arrayIPcLm3EEEEviT0_T1_
    .private_segment_fixed_size: 0
    .sgpr_count:     29
    .sgpr_spill_count: 0
    .symbol:         _ZN2at6native29vectorized_elementwise_kernelILi8ENS0_13BinaryFunctorIN3c107complexIfEES5_bNS0_12_GLOBAL__N_116CompareEqFunctorIS5_EEEESt5arrayIPcLm3EEEEviT0_T1_.kd
    .uniform_work_group_size: 1
    .uses_dynamic_stack: false
    .vgpr_count:     68
    .vgpr_spill_count: 0
    .wavefront_size: 32
  - .args:
      - .offset:         0
        .size:           4
        .value_kind:     by_value
      - .offset:         4
        .size:           4
        .value_kind:     by_value
      - .offset:         8
        .size:           24
        .value_kind:     by_value
    .group_segment_fixed_size: 0
    .kernarg_segment_align: 8
    .kernarg_segment_size: 32
    .language:       OpenCL C
    .language_version:
      - 2
      - 0
    .max_flat_workgroup_size: 256
    .name:           _ZN2at6native29vectorized_elementwise_kernelILi4ENS0_13BinaryFunctorIN3c107complexIfEES5_bNS0_12_GLOBAL__N_116CompareEqFunctorIS5_EEEESt5arrayIPcLm3EEEEviT0_T1_
    .private_segment_fixed_size: 0
    .sgpr_count:     29
    .sgpr_spill_count: 0
    .symbol:         _ZN2at6native29vectorized_elementwise_kernelILi4ENS0_13BinaryFunctorIN3c107complexIfEES5_bNS0_12_GLOBAL__N_116CompareEqFunctorIS5_EEEESt5arrayIPcLm3EEEEviT0_T1_.kd
    .uniform_work_group_size: 1
    .uses_dynamic_stack: false
    .vgpr_count:     68
    .vgpr_spill_count: 0
    .wavefront_size: 32
  - .args:
      - .offset:         0
        .size:           4
        .value_kind:     by_value
      - .offset:         4
        .size:           4
        .value_kind:     by_value
      - .offset:         8
        .size:           24
        .value_kind:     by_value
    .group_segment_fixed_size: 0
    .kernarg_segment_align: 8
    .kernarg_segment_size: 32
    .language:       OpenCL C
    .language_version:
      - 2
      - 0
    .max_flat_workgroup_size: 256
    .name:           _ZN2at6native29vectorized_elementwise_kernelILi2ENS0_13BinaryFunctorIN3c107complexIfEES5_bNS0_12_GLOBAL__N_116CompareEqFunctorIS5_EEEESt5arrayIPcLm3EEEEviT0_T1_
    .private_segment_fixed_size: 0
    .sgpr_count:     29
    .sgpr_spill_count: 0
    .symbol:         _ZN2at6native29vectorized_elementwise_kernelILi2ENS0_13BinaryFunctorIN3c107complexIfEES5_bNS0_12_GLOBAL__N_116CompareEqFunctorIS5_EEEESt5arrayIPcLm3EEEEviT0_T1_.kd
    .uniform_work_group_size: 1
    .uses_dynamic_stack: false
    .vgpr_count:     68
    .vgpr_spill_count: 0
    .wavefront_size: 32
  - .args:
      - .offset:         0
        .size:           4
        .value_kind:     by_value
      - .offset:         4
        .size:           4
        .value_kind:     by_value
      - .offset:         8
        .size:           24
        .value_kind:     by_value
      - .offset:         32
        .size:           1
        .value_kind:     by_value
      - .offset:         33
        .size:           1
        .value_kind:     by_value
      - .offset:         34
        .size:           1
        .value_kind:     by_value
      - .offset:         35
        .size:           1
        .value_kind:     by_value
    .group_segment_fixed_size: 0
    .kernarg_segment_align: 8
    .kernarg_segment_size: 36
    .language:       OpenCL C
    .language_version:
      - 2
      - 0
    .max_flat_workgroup_size: 256
    .name:           _ZN2at6native27unrolled_elementwise_kernelINS0_13BinaryFunctorIN3c107complexIfEES5_bNS0_12_GLOBAL__N_116CompareEqFunctorIS5_EEEESt5arrayIPcLm3EELi4E23TrivialOffsetCalculatorILi2EjESD_ILi1EjENS0_6memory15LoadWithoutCastENSG_16StoreWithoutCastEEEviT_T0_T2_T3_T4_T5_
    .private_segment_fixed_size: 0
    .sgpr_count:     15
    .sgpr_spill_count: 0
    .symbol:         _ZN2at6native27unrolled_elementwise_kernelINS0_13BinaryFunctorIN3c107complexIfEES5_bNS0_12_GLOBAL__N_116CompareEqFunctorIS5_EEEESt5arrayIPcLm3EELi4E23TrivialOffsetCalculatorILi2EjESD_ILi1EjENS0_6memory15LoadWithoutCastENSG_16StoreWithoutCastEEEviT_T0_T2_T3_T4_T5_.kd
    .uniform_work_group_size: 1
    .uses_dynamic_stack: false
    .vgpr_count:     20
    .vgpr_spill_count: 0
    .wavefront_size: 32
  - .args:
      - .offset:         0
        .size:           4
        .value_kind:     by_value
      - .offset:         8
        .size:           424
        .value_kind:     by_value
    .group_segment_fixed_size: 0
    .kernarg_segment_align: 8
    .kernarg_segment_size: 432
    .language:       OpenCL C
    .language_version:
      - 2
      - 0
    .max_flat_workgroup_size: 128
    .name:           _ZN2at6native32elementwise_kernel_manual_unrollILi128ELi8EZNS0_22gpu_kernel_impl_nocastINS0_13BinaryFunctorIN3c107complexIfEES6_bNS0_12_GLOBAL__N_116CompareEqFunctorIS6_EEEEEEvRNS_18TensorIteratorBaseERKT_EUlibE_EEviT1_
    .private_segment_fixed_size: 0
    .sgpr_count:     48
    .sgpr_spill_count: 0
    .symbol:         _ZN2at6native32elementwise_kernel_manual_unrollILi128ELi8EZNS0_22gpu_kernel_impl_nocastINS0_13BinaryFunctorIN3c107complexIfEES6_bNS0_12_GLOBAL__N_116CompareEqFunctorIS6_EEEEEEvRNS_18TensorIteratorBaseERKT_EUlibE_EEviT1_.kd
    .uniform_work_group_size: 1
    .uses_dynamic_stack: false
    .vgpr_count:     29
    .vgpr_spill_count: 0
    .wavefront_size: 32
  - .args:
      - .offset:         0
        .size:           4
        .value_kind:     by_value
      - .offset:         8
        .size:           48
        .value_kind:     by_value
    .group_segment_fixed_size: 0
    .kernarg_segment_align: 8
    .kernarg_segment_size: 56
    .language:       OpenCL C
    .language_version:
      - 2
      - 0
    .max_flat_workgroup_size: 128
    .name:           _ZN2at6native32elementwise_kernel_manual_unrollILi128ELi4EZNS0_15gpu_kernel_implINS0_13BinaryFunctorIN3c107complexIfEES6_bNS0_12_GLOBAL__N_116CompareEqFunctorIS6_EEEEEEvRNS_18TensorIteratorBaseERKT_EUlibE_EEviT1_
    .private_segment_fixed_size: 0
    .sgpr_count:     39
    .sgpr_spill_count: 0
    .symbol:         _ZN2at6native32elementwise_kernel_manual_unrollILi128ELi4EZNS0_15gpu_kernel_implINS0_13BinaryFunctorIN3c107complexIfEES6_bNS0_12_GLOBAL__N_116CompareEqFunctorIS6_EEEEEEvRNS_18TensorIteratorBaseERKT_EUlibE_EEviT1_.kd
    .uniform_work_group_size: 1
    .uses_dynamic_stack: false
    .vgpr_count:     16
    .vgpr_spill_count: 0
    .wavefront_size: 32
  - .args:
      - .offset:         0
        .size:           4
        .value_kind:     by_value
      - .offset:         8
        .size:           424
        .value_kind:     by_value
    .group_segment_fixed_size: 0
    .kernarg_segment_align: 8
    .kernarg_segment_size: 432
    .language:       OpenCL C
    .language_version:
      - 2
      - 0
    .max_flat_workgroup_size: 128
    .name:           _ZN2at6native32elementwise_kernel_manual_unrollILi128ELi4EZNS0_15gpu_kernel_implINS0_13BinaryFunctorIN3c107complexIfEES6_bNS0_12_GLOBAL__N_116CompareEqFunctorIS6_EEEEEEvRNS_18TensorIteratorBaseERKT_EUlibE0_EEviT1_
    .private_segment_fixed_size: 0
    .sgpr_count:     64
    .sgpr_spill_count: 0
    .symbol:         _ZN2at6native32elementwise_kernel_manual_unrollILi128ELi4EZNS0_15gpu_kernel_implINS0_13BinaryFunctorIN3c107complexIfEES6_bNS0_12_GLOBAL__N_116CompareEqFunctorIS6_EEEEEEvRNS_18TensorIteratorBaseERKT_EUlibE0_EEviT1_.kd
    .uniform_work_group_size: 1
    .uses_dynamic_stack: false
    .vgpr_count:     30
    .vgpr_spill_count: 0
    .wavefront_size: 32
  - .args:
      - .offset:         0
        .size:           4
        .value_kind:     by_value
      - .offset:         8
        .size:           16
        .value_kind:     by_value
      - .offset:         24
        .size:           16
        .value_kind:     by_value
    .group_segment_fixed_size: 0
    .kernarg_segment_align: 8
    .kernarg_segment_size: 40
    .language:       OpenCL C
    .language_version:
      - 2
      - 0
    .max_flat_workgroup_size: 256
    .name:           _ZN2at6native29vectorized_elementwise_kernelILi16ENS0_13AUnaryFunctorIN3c107complexIfEES5_bNS0_12_GLOBAL__N_116CompareEqFunctorIS5_EEEESt5arrayIPcLm2EEEEviT0_T1_
    .private_segment_fixed_size: 0
    .sgpr_count:     29
    .sgpr_spill_count: 0
    .symbol:         _ZN2at6native29vectorized_elementwise_kernelILi16ENS0_13AUnaryFunctorIN3c107complexIfEES5_bNS0_12_GLOBAL__N_116CompareEqFunctorIS5_EEEESt5arrayIPcLm2EEEEviT0_T1_.kd
    .uniform_work_group_size: 1
    .uses_dynamic_stack: false
    .vgpr_count:     36
    .vgpr_spill_count: 0
    .wavefront_size: 32
  - .args:
      - .offset:         0
        .size:           4
        .value_kind:     by_value
      - .offset:         8
        .size:           16
        .value_kind:     by_value
      - .offset:         24
        .size:           16
        .value_kind:     by_value
    .group_segment_fixed_size: 0
    .kernarg_segment_align: 8
    .kernarg_segment_size: 40
    .language:       OpenCL C
    .language_version:
      - 2
      - 0
    .max_flat_workgroup_size: 256
    .name:           _ZN2at6native29vectorized_elementwise_kernelILi8ENS0_13AUnaryFunctorIN3c107complexIfEES5_bNS0_12_GLOBAL__N_116CompareEqFunctorIS5_EEEESt5arrayIPcLm2EEEEviT0_T1_
    .private_segment_fixed_size: 0
    .sgpr_count:     29
    .sgpr_spill_count: 0
    .symbol:         _ZN2at6native29vectorized_elementwise_kernelILi8ENS0_13AUnaryFunctorIN3c107complexIfEES5_bNS0_12_GLOBAL__N_116CompareEqFunctorIS5_EEEESt5arrayIPcLm2EEEEviT0_T1_.kd
    .uniform_work_group_size: 1
    .uses_dynamic_stack: false
    .vgpr_count:     36
    .vgpr_spill_count: 0
    .wavefront_size: 32
  - .args:
      - .offset:         0
        .size:           4
        .value_kind:     by_value
      - .offset:         8
        .size:           16
        .value_kind:     by_value
      - .offset:         24
        .size:           16
        .value_kind:     by_value
    .group_segment_fixed_size: 0
    .kernarg_segment_align: 8
    .kernarg_segment_size: 40
    .language:       OpenCL C
    .language_version:
      - 2
      - 0
    .max_flat_workgroup_size: 256
    .name:           _ZN2at6native29vectorized_elementwise_kernelILi4ENS0_13AUnaryFunctorIN3c107complexIfEES5_bNS0_12_GLOBAL__N_116CompareEqFunctorIS5_EEEESt5arrayIPcLm2EEEEviT0_T1_
    .private_segment_fixed_size: 0
    .sgpr_count:     29
    .sgpr_spill_count: 0
    .symbol:         _ZN2at6native29vectorized_elementwise_kernelILi4ENS0_13AUnaryFunctorIN3c107complexIfEES5_bNS0_12_GLOBAL__N_116CompareEqFunctorIS5_EEEESt5arrayIPcLm2EEEEviT0_T1_.kd
    .uniform_work_group_size: 1
    .uses_dynamic_stack: false
    .vgpr_count:     36
    .vgpr_spill_count: 0
    .wavefront_size: 32
  - .args:
      - .offset:         0
        .size:           4
        .value_kind:     by_value
      - .offset:         8
        .size:           16
        .value_kind:     by_value
      - .offset:         24
        .size:           16
        .value_kind:     by_value
    .group_segment_fixed_size: 0
    .kernarg_segment_align: 8
    .kernarg_segment_size: 40
    .language:       OpenCL C
    .language_version:
      - 2
      - 0
    .max_flat_workgroup_size: 256
    .name:           _ZN2at6native29vectorized_elementwise_kernelILi2ENS0_13AUnaryFunctorIN3c107complexIfEES5_bNS0_12_GLOBAL__N_116CompareEqFunctorIS5_EEEESt5arrayIPcLm2EEEEviT0_T1_
    .private_segment_fixed_size: 0
    .sgpr_count:     29
    .sgpr_spill_count: 0
    .symbol:         _ZN2at6native29vectorized_elementwise_kernelILi2ENS0_13AUnaryFunctorIN3c107complexIfEES5_bNS0_12_GLOBAL__N_116CompareEqFunctorIS5_EEEESt5arrayIPcLm2EEEEviT0_T1_.kd
    .uniform_work_group_size: 1
    .uses_dynamic_stack: false
    .vgpr_count:     36
    .vgpr_spill_count: 0
    .wavefront_size: 32
  - .args:
      - .offset:         0
        .size:           4
        .value_kind:     by_value
      - .offset:         8
        .size:           16
        .value_kind:     by_value
      - .offset:         24
        .size:           16
        .value_kind:     by_value
      - .offset:         40
        .size:           1
        .value_kind:     by_value
      - .offset:         41
        .size:           1
        .value_kind:     by_value
      - .offset:         42
        .size:           1
        .value_kind:     by_value
      - .offset:         43
        .size:           1
        .value_kind:     by_value
    .group_segment_fixed_size: 0
    .kernarg_segment_align: 8
    .kernarg_segment_size: 44
    .language:       OpenCL C
    .language_version:
      - 2
      - 0
    .max_flat_workgroup_size: 256
    .name:           _ZN2at6native27unrolled_elementwise_kernelINS0_13AUnaryFunctorIN3c107complexIfEES5_bNS0_12_GLOBAL__N_116CompareEqFunctorIS5_EEEESt5arrayIPcLm2EELi4E23TrivialOffsetCalculatorILi1EjESE_NS0_6memory15LoadWithoutCastENSF_16StoreWithoutCastEEEviT_T0_T2_T3_T4_T5_
    .private_segment_fixed_size: 0
    .sgpr_count:     14
    .sgpr_spill_count: 0
    .symbol:         _ZN2at6native27unrolled_elementwise_kernelINS0_13AUnaryFunctorIN3c107complexIfEES5_bNS0_12_GLOBAL__N_116CompareEqFunctorIS5_EEEESt5arrayIPcLm2EELi4E23TrivialOffsetCalculatorILi1EjESE_NS0_6memory15LoadWithoutCastENSF_16StoreWithoutCastEEEviT_T0_T2_T3_T4_T5_.kd
    .uniform_work_group_size: 1
    .uses_dynamic_stack: false
    .vgpr_count:     12
    .vgpr_spill_count: 0
    .wavefront_size: 32
  - .args:
      - .offset:         0
        .size:           4
        .value_kind:     by_value
      - .offset:         8
        .size:           360
        .value_kind:     by_value
    .group_segment_fixed_size: 0
    .kernarg_segment_align: 8
    .kernarg_segment_size: 368
    .language:       OpenCL C
    .language_version:
      - 2
      - 0
    .max_flat_workgroup_size: 128
    .name:           _ZN2at6native32elementwise_kernel_manual_unrollILi128ELi8EZNS0_22gpu_kernel_impl_nocastINS0_13AUnaryFunctorIN3c107complexIfEES6_bNS0_12_GLOBAL__N_116CompareEqFunctorIS6_EEEEEEvRNS_18TensorIteratorBaseERKT_EUlibE_EEviT1_
    .private_segment_fixed_size: 0
    .sgpr_count:     62
    .sgpr_spill_count: 0
    .symbol:         _ZN2at6native32elementwise_kernel_manual_unrollILi128ELi8EZNS0_22gpu_kernel_impl_nocastINS0_13AUnaryFunctorIN3c107complexIfEES6_bNS0_12_GLOBAL__N_116CompareEqFunctorIS6_EEEEEEvRNS_18TensorIteratorBaseERKT_EUlibE_EEviT1_.kd
    .uniform_work_group_size: 1
    .uses_dynamic_stack: false
    .vgpr_count:     23
    .vgpr_spill_count: 0
    .wavefront_size: 32
  - .args:
      - .offset:         0
        .size:           4
        .value_kind:     by_value
      - .offset:         8
        .size:           48
        .value_kind:     by_value
    .group_segment_fixed_size: 0
    .kernarg_segment_align: 8
    .kernarg_segment_size: 56
    .language:       OpenCL C
    .language_version:
      - 2
      - 0
    .max_flat_workgroup_size: 128
    .name:           _ZN2at6native32elementwise_kernel_manual_unrollILi128ELi4EZNS0_15gpu_kernel_implINS0_13AUnaryFunctorIN3c107complexIfEES6_bNS0_12_GLOBAL__N_116CompareEqFunctorIS6_EEEEEEvRNS_18TensorIteratorBaseERKT_EUlibE_EEviT1_
    .private_segment_fixed_size: 0
    .sgpr_count:     33
    .sgpr_spill_count: 0
    .symbol:         _ZN2at6native32elementwise_kernel_manual_unrollILi128ELi4EZNS0_15gpu_kernel_implINS0_13AUnaryFunctorIN3c107complexIfEES6_bNS0_12_GLOBAL__N_116CompareEqFunctorIS6_EEEEEEvRNS_18TensorIteratorBaseERKT_EUlibE_EEviT1_.kd
    .uniform_work_group_size: 1
    .uses_dynamic_stack: false
    .vgpr_count:     12
    .vgpr_spill_count: 0
    .wavefront_size: 32
  - .args:
      - .offset:         0
        .size:           4
        .value_kind:     by_value
      - .offset:         8
        .size:           368
        .value_kind:     by_value
    .group_segment_fixed_size: 0
    .kernarg_segment_align: 8
    .kernarg_segment_size: 376
    .language:       OpenCL C
    .language_version:
      - 2
      - 0
    .max_flat_workgroup_size: 128
    .name:           _ZN2at6native32elementwise_kernel_manual_unrollILi128ELi4EZNS0_15gpu_kernel_implINS0_13AUnaryFunctorIN3c107complexIfEES6_bNS0_12_GLOBAL__N_116CompareEqFunctorIS6_EEEEEEvRNS_18TensorIteratorBaseERKT_EUlibE0_EEviT1_
    .private_segment_fixed_size: 0
    .sgpr_count:     74
    .sgpr_spill_count: 0
    .symbol:         _ZN2at6native32elementwise_kernel_manual_unrollILi128ELi4EZNS0_15gpu_kernel_implINS0_13AUnaryFunctorIN3c107complexIfEES6_bNS0_12_GLOBAL__N_116CompareEqFunctorIS6_EEEEEEvRNS_18TensorIteratorBaseERKT_EUlibE0_EEviT1_.kd
    .uniform_work_group_size: 1
    .uses_dynamic_stack: false
    .vgpr_count:     20
    .vgpr_spill_count: 0
    .wavefront_size: 32
  - .args:
      - .offset:         0
        .size:           4
        .value_kind:     by_value
      - .offset:         4
        .size:           4
        .value_kind:     by_value
      - .offset:         8
        .size:           24
        .value_kind:     by_value
    .group_segment_fixed_size: 0
    .kernarg_segment_align: 8
    .kernarg_segment_size: 32
    .language:       OpenCL C
    .language_version:
      - 2
      - 0
    .max_flat_workgroup_size: 256
    .name:           _ZN2at6native29vectorized_elementwise_kernelILi16ENS0_13BinaryFunctorIN3c107complexINS3_4HalfEEES6_bNS0_12_GLOBAL__N_116CompareEqFunctorIS6_EEEESt5arrayIPcLm3EEEEviT0_T1_
    .private_segment_fixed_size: 0
    .sgpr_count:     29
    .sgpr_spill_count: 0
    .symbol:         _ZN2at6native29vectorized_elementwise_kernelILi16ENS0_13BinaryFunctorIN3c107complexINS3_4HalfEEES6_bNS0_12_GLOBAL__N_116CompareEqFunctorIS6_EEEESt5arrayIPcLm3EEEEviT0_T1_.kd
    .uniform_work_group_size: 1
    .uses_dynamic_stack: false
    .vgpr_count:     39
    .vgpr_spill_count: 0
    .wavefront_size: 32
  - .args:
      - .offset:         0
        .size:           4
        .value_kind:     by_value
      - .offset:         4
        .size:           4
        .value_kind:     by_value
      - .offset:         8
        .size:           24
        .value_kind:     by_value
    .group_segment_fixed_size: 0
    .kernarg_segment_align: 8
    .kernarg_segment_size: 32
    .language:       OpenCL C
    .language_version:
      - 2
      - 0
    .max_flat_workgroup_size: 256
    .name:           _ZN2at6native29vectorized_elementwise_kernelILi8ENS0_13BinaryFunctorIN3c107complexINS3_4HalfEEES6_bNS0_12_GLOBAL__N_116CompareEqFunctorIS6_EEEESt5arrayIPcLm3EEEEviT0_T1_
    .private_segment_fixed_size: 0
    .sgpr_count:     29
    .sgpr_spill_count: 0
    .symbol:         _ZN2at6native29vectorized_elementwise_kernelILi8ENS0_13BinaryFunctorIN3c107complexINS3_4HalfEEES6_bNS0_12_GLOBAL__N_116CompareEqFunctorIS6_EEEESt5arrayIPcLm3EEEEviT0_T1_.kd
    .uniform_work_group_size: 1
    .uses_dynamic_stack: false
    .vgpr_count:     39
    .vgpr_spill_count: 0
    .wavefront_size: 32
  - .args:
      - .offset:         0
        .size:           4
        .value_kind:     by_value
      - .offset:         4
        .size:           4
        .value_kind:     by_value
      - .offset:         8
        .size:           24
        .value_kind:     by_value
    .group_segment_fixed_size: 0
    .kernarg_segment_align: 8
    .kernarg_segment_size: 32
    .language:       OpenCL C
    .language_version:
      - 2
      - 0
    .max_flat_workgroup_size: 256
    .name:           _ZN2at6native29vectorized_elementwise_kernelILi4ENS0_13BinaryFunctorIN3c107complexINS3_4HalfEEES6_bNS0_12_GLOBAL__N_116CompareEqFunctorIS6_EEEESt5arrayIPcLm3EEEEviT0_T1_
    .private_segment_fixed_size: 0
    .sgpr_count:     29
    .sgpr_spill_count: 0
    .symbol:         _ZN2at6native29vectorized_elementwise_kernelILi4ENS0_13BinaryFunctorIN3c107complexINS3_4HalfEEES6_bNS0_12_GLOBAL__N_116CompareEqFunctorIS6_EEEESt5arrayIPcLm3EEEEviT0_T1_.kd
    .uniform_work_group_size: 1
    .uses_dynamic_stack: false
    .vgpr_count:     39
    .vgpr_spill_count: 0
    .wavefront_size: 32
  - .args:
      - .offset:         0
        .size:           4
        .value_kind:     by_value
      - .offset:         4
        .size:           4
        .value_kind:     by_value
      - .offset:         8
        .size:           24
        .value_kind:     by_value
    .group_segment_fixed_size: 0
    .kernarg_segment_align: 8
    .kernarg_segment_size: 32
    .language:       OpenCL C
    .language_version:
      - 2
      - 0
    .max_flat_workgroup_size: 256
    .name:           _ZN2at6native29vectorized_elementwise_kernelILi2ENS0_13BinaryFunctorIN3c107complexINS3_4HalfEEES6_bNS0_12_GLOBAL__N_116CompareEqFunctorIS6_EEEESt5arrayIPcLm3EEEEviT0_T1_
    .private_segment_fixed_size: 0
    .sgpr_count:     29
    .sgpr_spill_count: 0
    .symbol:         _ZN2at6native29vectorized_elementwise_kernelILi2ENS0_13BinaryFunctorIN3c107complexINS3_4HalfEEES6_bNS0_12_GLOBAL__N_116CompareEqFunctorIS6_EEEESt5arrayIPcLm3EEEEviT0_T1_.kd
    .uniform_work_group_size: 1
    .uses_dynamic_stack: false
    .vgpr_count:     39
    .vgpr_spill_count: 0
    .wavefront_size: 32
  - .args:
      - .offset:         0
        .size:           4
        .value_kind:     by_value
      - .offset:         4
        .size:           4
        .value_kind:     by_value
      - .offset:         8
        .size:           24
        .value_kind:     by_value
      - .offset:         32
        .size:           1
        .value_kind:     by_value
      - .offset:         33
        .size:           1
        .value_kind:     by_value
      - .offset:         34
        .size:           1
        .value_kind:     by_value
      - .offset:         35
        .size:           1
        .value_kind:     by_value
    .group_segment_fixed_size: 0
    .kernarg_segment_align: 8
    .kernarg_segment_size: 36
    .language:       OpenCL C
    .language_version:
      - 2
      - 0
    .max_flat_workgroup_size: 256
    .name:           _ZN2at6native27unrolled_elementwise_kernelINS0_13BinaryFunctorIN3c107complexINS3_4HalfEEES6_bNS0_12_GLOBAL__N_116CompareEqFunctorIS6_EEEESt5arrayIPcLm3EELi4E23TrivialOffsetCalculatorILi2EjESE_ILi1EjENS0_6memory15LoadWithoutCastENSH_16StoreWithoutCastEEEviT_T0_T2_T3_T4_T5_
    .private_segment_fixed_size: 0
    .sgpr_count:     16
    .sgpr_spill_count: 0
    .symbol:         _ZN2at6native27unrolled_elementwise_kernelINS0_13BinaryFunctorIN3c107complexINS3_4HalfEEES6_bNS0_12_GLOBAL__N_116CompareEqFunctorIS6_EEEESt5arrayIPcLm3EELi4E23TrivialOffsetCalculatorILi2EjESE_ILi1EjENS0_6memory15LoadWithoutCastENSH_16StoreWithoutCastEEEviT_T0_T2_T3_T4_T5_.kd
    .uniform_work_group_size: 1
    .uses_dynamic_stack: false
    .vgpr_count:     13
    .vgpr_spill_count: 0
    .wavefront_size: 32
  - .args:
      - .offset:         0
        .size:           4
        .value_kind:     by_value
      - .offset:         8
        .size:           424
        .value_kind:     by_value
    .group_segment_fixed_size: 0
    .kernarg_segment_align: 8
    .kernarg_segment_size: 432
    .language:       OpenCL C
    .language_version:
      - 2
      - 0
    .max_flat_workgroup_size: 128
    .name:           _ZN2at6native32elementwise_kernel_manual_unrollILi128ELi8EZNS0_22gpu_kernel_impl_nocastINS0_13BinaryFunctorIN3c107complexINS4_4HalfEEES7_bNS0_12_GLOBAL__N_116CompareEqFunctorIS7_EEEEEEvRNS_18TensorIteratorBaseERKT_EUlibE_EEviT1_
    .private_segment_fixed_size: 0
    .sgpr_count:     48
    .sgpr_spill_count: 0
    .symbol:         _ZN2at6native32elementwise_kernel_manual_unrollILi128ELi8EZNS0_22gpu_kernel_impl_nocastINS0_13BinaryFunctorIN3c107complexINS4_4HalfEEES7_bNS0_12_GLOBAL__N_116CompareEqFunctorIS7_EEEEEEvRNS_18TensorIteratorBaseERKT_EUlibE_EEviT1_.kd
    .uniform_work_group_size: 1
    .uses_dynamic_stack: false
    .vgpr_count:     29
    .vgpr_spill_count: 0
    .wavefront_size: 32
  - .args:
      - .offset:         0
        .size:           4
        .value_kind:     by_value
      - .offset:         8
        .size:           48
        .value_kind:     by_value
    .group_segment_fixed_size: 0
    .kernarg_segment_align: 8
    .kernarg_segment_size: 56
    .language:       OpenCL C
    .language_version:
      - 2
      - 0
    .max_flat_workgroup_size: 128
    .name:           _ZN2at6native32elementwise_kernel_manual_unrollILi128ELi4EZNS0_15gpu_kernel_implINS0_13BinaryFunctorIN3c107complexINS4_4HalfEEES7_bNS0_12_GLOBAL__N_116CompareEqFunctorIS7_EEEEEEvRNS_18TensorIteratorBaseERKT_EUlibE_EEviT1_
    .private_segment_fixed_size: 0
    .sgpr_count:     39
    .sgpr_spill_count: 0
    .symbol:         _ZN2at6native32elementwise_kernel_manual_unrollILi128ELi4EZNS0_15gpu_kernel_implINS0_13BinaryFunctorIN3c107complexINS4_4HalfEEES7_bNS0_12_GLOBAL__N_116CompareEqFunctorIS7_EEEEEEvRNS_18TensorIteratorBaseERKT_EUlibE_EEviT1_.kd
    .uniform_work_group_size: 1
    .uses_dynamic_stack: false
    .vgpr_count:     20
    .vgpr_spill_count: 0
    .wavefront_size: 32
  - .args:
      - .offset:         0
        .size:           4
        .value_kind:     by_value
      - .offset:         8
        .size:           424
        .value_kind:     by_value
    .group_segment_fixed_size: 0
    .kernarg_segment_align: 8
    .kernarg_segment_size: 432
    .language:       OpenCL C
    .language_version:
      - 2
      - 0
    .max_flat_workgroup_size: 128
    .name:           _ZN2at6native32elementwise_kernel_manual_unrollILi128ELi4EZNS0_15gpu_kernel_implINS0_13BinaryFunctorIN3c107complexINS4_4HalfEEES7_bNS0_12_GLOBAL__N_116CompareEqFunctorIS7_EEEEEEvRNS_18TensorIteratorBaseERKT_EUlibE0_EEviT1_
    .private_segment_fixed_size: 0
    .sgpr_count:     64
    .sgpr_spill_count: 0
    .symbol:         _ZN2at6native32elementwise_kernel_manual_unrollILi128ELi4EZNS0_15gpu_kernel_implINS0_13BinaryFunctorIN3c107complexINS4_4HalfEEES7_bNS0_12_GLOBAL__N_116CompareEqFunctorIS7_EEEEEEvRNS_18TensorIteratorBaseERKT_EUlibE0_EEviT1_.kd
    .uniform_work_group_size: 1
    .uses_dynamic_stack: false
    .vgpr_count:     28
    .vgpr_spill_count: 0
    .wavefront_size: 32
  - .args:
      - .offset:         0
        .size:           4
        .value_kind:     by_value
      - .offset:         4
        .size:           8
        .value_kind:     by_value
      - .offset:         16
        .size:           16
        .value_kind:     by_value
    .group_segment_fixed_size: 0
    .kernarg_segment_align: 8
    .kernarg_segment_size: 32
    .language:       OpenCL C
    .language_version:
      - 2
      - 0
    .max_flat_workgroup_size: 256
    .name:           _ZN2at6native29vectorized_elementwise_kernelILi16ENS0_13AUnaryFunctorIN3c107complexINS3_4HalfEEES6_bNS0_12_GLOBAL__N_116CompareEqFunctorIS6_EEEESt5arrayIPcLm2EEEEviT0_T1_
    .private_segment_fixed_size: 0
    .sgpr_count:     29
    .sgpr_spill_count: 0
    .symbol:         _ZN2at6native29vectorized_elementwise_kernelILi16ENS0_13AUnaryFunctorIN3c107complexINS3_4HalfEEES6_bNS0_12_GLOBAL__N_116CompareEqFunctorIS6_EEEESt5arrayIPcLm2EEEEviT0_T1_.kd
    .uniform_work_group_size: 1
    .uses_dynamic_stack: false
    .vgpr_count:     22
    .vgpr_spill_count: 0
    .wavefront_size: 32
  - .args:
      - .offset:         0
        .size:           4
        .value_kind:     by_value
      - .offset:         4
        .size:           8
        .value_kind:     by_value
      - .offset:         16
        .size:           16
        .value_kind:     by_value
    .group_segment_fixed_size: 0
    .kernarg_segment_align: 8
    .kernarg_segment_size: 32
    .language:       OpenCL C
    .language_version:
      - 2
      - 0
    .max_flat_workgroup_size: 256
    .name:           _ZN2at6native29vectorized_elementwise_kernelILi8ENS0_13AUnaryFunctorIN3c107complexINS3_4HalfEEES6_bNS0_12_GLOBAL__N_116CompareEqFunctorIS6_EEEESt5arrayIPcLm2EEEEviT0_T1_
    .private_segment_fixed_size: 0
    .sgpr_count:     29
    .sgpr_spill_count: 0
    .symbol:         _ZN2at6native29vectorized_elementwise_kernelILi8ENS0_13AUnaryFunctorIN3c107complexINS3_4HalfEEES6_bNS0_12_GLOBAL__N_116CompareEqFunctorIS6_EEEESt5arrayIPcLm2EEEEviT0_T1_.kd
    .uniform_work_group_size: 1
    .uses_dynamic_stack: false
    .vgpr_count:     22
    .vgpr_spill_count: 0
    .wavefront_size: 32
  - .args:
      - .offset:         0
        .size:           4
        .value_kind:     by_value
      - .offset:         4
        .size:           8
        .value_kind:     by_value
      - .offset:         16
        .size:           16
        .value_kind:     by_value
    .group_segment_fixed_size: 0
    .kernarg_segment_align: 8
    .kernarg_segment_size: 32
    .language:       OpenCL C
    .language_version:
      - 2
      - 0
    .max_flat_workgroup_size: 256
    .name:           _ZN2at6native29vectorized_elementwise_kernelILi4ENS0_13AUnaryFunctorIN3c107complexINS3_4HalfEEES6_bNS0_12_GLOBAL__N_116CompareEqFunctorIS6_EEEESt5arrayIPcLm2EEEEviT0_T1_
    .private_segment_fixed_size: 0
    .sgpr_count:     29
    .sgpr_spill_count: 0
    .symbol:         _ZN2at6native29vectorized_elementwise_kernelILi4ENS0_13AUnaryFunctorIN3c107complexINS3_4HalfEEES6_bNS0_12_GLOBAL__N_116CompareEqFunctorIS6_EEEESt5arrayIPcLm2EEEEviT0_T1_.kd
    .uniform_work_group_size: 1
    .uses_dynamic_stack: false
    .vgpr_count:     22
    .vgpr_spill_count: 0
    .wavefront_size: 32
  - .args:
      - .offset:         0
        .size:           4
        .value_kind:     by_value
      - .offset:         4
        .size:           8
        .value_kind:     by_value
      - .offset:         16
        .size:           16
        .value_kind:     by_value
    .group_segment_fixed_size: 0
    .kernarg_segment_align: 8
    .kernarg_segment_size: 32
    .language:       OpenCL C
    .language_version:
      - 2
      - 0
    .max_flat_workgroup_size: 256
    .name:           _ZN2at6native29vectorized_elementwise_kernelILi2ENS0_13AUnaryFunctorIN3c107complexINS3_4HalfEEES6_bNS0_12_GLOBAL__N_116CompareEqFunctorIS6_EEEESt5arrayIPcLm2EEEEviT0_T1_
    .private_segment_fixed_size: 0
    .sgpr_count:     29
    .sgpr_spill_count: 0
    .symbol:         _ZN2at6native29vectorized_elementwise_kernelILi2ENS0_13AUnaryFunctorIN3c107complexINS3_4HalfEEES6_bNS0_12_GLOBAL__N_116CompareEqFunctorIS6_EEEESt5arrayIPcLm2EEEEviT0_T1_.kd
    .uniform_work_group_size: 1
    .uses_dynamic_stack: false
    .vgpr_count:     22
    .vgpr_spill_count: 0
    .wavefront_size: 32
  - .args:
      - .offset:         0
        .size:           4
        .value_kind:     by_value
      - .offset:         4
        .size:           8
        .value_kind:     by_value
      - .offset:         16
        .size:           16
        .value_kind:     by_value
      - .offset:         32
        .size:           1
        .value_kind:     by_value
      - .offset:         33
        .size:           1
        .value_kind:     by_value
      - .offset:         34
        .size:           1
        .value_kind:     by_value
      - .offset:         35
        .size:           1
        .value_kind:     by_value
    .group_segment_fixed_size: 0
    .kernarg_segment_align: 8
    .kernarg_segment_size: 36
    .language:       OpenCL C
    .language_version:
      - 2
      - 0
    .max_flat_workgroup_size: 256
    .name:           _ZN2at6native27unrolled_elementwise_kernelINS0_13AUnaryFunctorIN3c107complexINS3_4HalfEEES6_bNS0_12_GLOBAL__N_116CompareEqFunctorIS6_EEEESt5arrayIPcLm2EELi4E23TrivialOffsetCalculatorILi1EjESF_NS0_6memory15LoadWithoutCastENSG_16StoreWithoutCastEEEviT_T0_T2_T3_T4_T5_
    .private_segment_fixed_size: 0
    .sgpr_count:     15
    .sgpr_spill_count: 0
    .symbol:         _ZN2at6native27unrolled_elementwise_kernelINS0_13AUnaryFunctorIN3c107complexINS3_4HalfEEES6_bNS0_12_GLOBAL__N_116CompareEqFunctorIS6_EEEESt5arrayIPcLm2EELi4E23TrivialOffsetCalculatorILi1EjESF_NS0_6memory15LoadWithoutCastENSG_16StoreWithoutCastEEEviT_T0_T2_T3_T4_T5_.kd
    .uniform_work_group_size: 1
    .uses_dynamic_stack: false
    .vgpr_count:     9
    .vgpr_spill_count: 0
    .wavefront_size: 32
  - .args:
      - .offset:         0
        .size:           4
        .value_kind:     by_value
      - .offset:         8
        .size:           352
        .value_kind:     by_value
    .group_segment_fixed_size: 0
    .kernarg_segment_align: 8
    .kernarg_segment_size: 360
    .language:       OpenCL C
    .language_version:
      - 2
      - 0
    .max_flat_workgroup_size: 128
    .name:           _ZN2at6native32elementwise_kernel_manual_unrollILi128ELi8EZNS0_22gpu_kernel_impl_nocastINS0_13AUnaryFunctorIN3c107complexINS4_4HalfEEES7_bNS0_12_GLOBAL__N_116CompareEqFunctorIS7_EEEEEEvRNS_18TensorIteratorBaseERKT_EUlibE_EEviT1_
    .private_segment_fixed_size: 0
    .sgpr_count:     62
    .sgpr_spill_count: 0
    .symbol:         _ZN2at6native32elementwise_kernel_manual_unrollILi128ELi8EZNS0_22gpu_kernel_impl_nocastINS0_13AUnaryFunctorIN3c107complexINS4_4HalfEEES7_bNS0_12_GLOBAL__N_116CompareEqFunctorIS7_EEEEEEvRNS_18TensorIteratorBaseERKT_EUlibE_EEviT1_.kd
    .uniform_work_group_size: 1
    .uses_dynamic_stack: false
    .vgpr_count:     23
    .vgpr_spill_count: 0
    .wavefront_size: 32
  - .args:
      - .offset:         0
        .size:           4
        .value_kind:     by_value
      - .offset:         8
        .size:           40
        .value_kind:     by_value
    .group_segment_fixed_size: 0
    .kernarg_segment_align: 8
    .kernarg_segment_size: 48
    .language:       OpenCL C
    .language_version:
      - 2
      - 0
    .max_flat_workgroup_size: 128
    .name:           _ZN2at6native32elementwise_kernel_manual_unrollILi128ELi4EZNS0_15gpu_kernel_implINS0_13AUnaryFunctorIN3c107complexINS4_4HalfEEES7_bNS0_12_GLOBAL__N_116CompareEqFunctorIS7_EEEEEEvRNS_18TensorIteratorBaseERKT_EUlibE_EEviT1_
    .private_segment_fixed_size: 0
    .sgpr_count:     33
    .sgpr_spill_count: 0
    .symbol:         _ZN2at6native32elementwise_kernel_manual_unrollILi128ELi4EZNS0_15gpu_kernel_implINS0_13AUnaryFunctorIN3c107complexINS4_4HalfEEES7_bNS0_12_GLOBAL__N_116CompareEqFunctorIS7_EEEEEEvRNS_18TensorIteratorBaseERKT_EUlibE_EEviT1_.kd
    .uniform_work_group_size: 1
    .uses_dynamic_stack: false
    .vgpr_count:     17
    .vgpr_spill_count: 0
    .wavefront_size: 32
  - .args:
      - .offset:         0
        .size:           4
        .value_kind:     by_value
      - .offset:         8
        .size:           360
        .value_kind:     by_value
    .group_segment_fixed_size: 0
    .kernarg_segment_align: 8
    .kernarg_segment_size: 368
    .language:       OpenCL C
    .language_version:
      - 2
      - 0
    .max_flat_workgroup_size: 128
    .name:           _ZN2at6native32elementwise_kernel_manual_unrollILi128ELi4EZNS0_15gpu_kernel_implINS0_13AUnaryFunctorIN3c107complexINS4_4HalfEEES7_bNS0_12_GLOBAL__N_116CompareEqFunctorIS7_EEEEEEvRNS_18TensorIteratorBaseERKT_EUlibE0_EEviT1_
    .private_segment_fixed_size: 0
    .sgpr_count:     74
    .sgpr_spill_count: 0
    .symbol:         _ZN2at6native32elementwise_kernel_manual_unrollILi128ELi4EZNS0_15gpu_kernel_implINS0_13AUnaryFunctorIN3c107complexINS4_4HalfEEES7_bNS0_12_GLOBAL__N_116CompareEqFunctorIS7_EEEEEEvRNS_18TensorIteratorBaseERKT_EUlibE0_EEviT1_.kd
    .uniform_work_group_size: 1
    .uses_dynamic_stack: false
    .vgpr_count:     22
    .vgpr_spill_count: 0
    .wavefront_size: 32
  - .args:
      - .offset:         0
        .size:           4
        .value_kind:     by_value
      - .offset:         4
        .size:           4
        .value_kind:     by_value
      - .offset:         8
        .size:           24
        .value_kind:     by_value
    .group_segment_fixed_size: 0
    .kernarg_segment_align: 8
    .kernarg_segment_size: 32
    .language:       OpenCL C
    .language_version:
      - 2
      - 0
    .max_flat_workgroup_size: 256
    .name:           _ZN2at6native29vectorized_elementwise_kernelILi16ENS0_13BinaryFunctorIN3c107complexINS3_8BFloat16EEES6_bNS0_12_GLOBAL__N_116CompareEqFunctorIS6_EEEESt5arrayIPcLm3EEEEviT0_T1_
    .private_segment_fixed_size: 0
    .sgpr_count:     29
    .sgpr_spill_count: 0
    .symbol:         _ZN2at6native29vectorized_elementwise_kernelILi16ENS0_13BinaryFunctorIN3c107complexINS3_8BFloat16EEES6_bNS0_12_GLOBAL__N_116CompareEqFunctorIS6_EEEESt5arrayIPcLm3EEEEviT0_T1_.kd
    .uniform_work_group_size: 1
    .uses_dynamic_stack: false
    .vgpr_count:     39
    .vgpr_spill_count: 0
    .wavefront_size: 32
  - .args:
      - .offset:         0
        .size:           4
        .value_kind:     by_value
      - .offset:         4
        .size:           4
        .value_kind:     by_value
      - .offset:         8
        .size:           24
        .value_kind:     by_value
    .group_segment_fixed_size: 0
    .kernarg_segment_align: 8
    .kernarg_segment_size: 32
    .language:       OpenCL C
    .language_version:
      - 2
      - 0
    .max_flat_workgroup_size: 256
    .name:           _ZN2at6native29vectorized_elementwise_kernelILi8ENS0_13BinaryFunctorIN3c107complexINS3_8BFloat16EEES6_bNS0_12_GLOBAL__N_116CompareEqFunctorIS6_EEEESt5arrayIPcLm3EEEEviT0_T1_
    .private_segment_fixed_size: 0
    .sgpr_count:     29
    .sgpr_spill_count: 0
    .symbol:         _ZN2at6native29vectorized_elementwise_kernelILi8ENS0_13BinaryFunctorIN3c107complexINS3_8BFloat16EEES6_bNS0_12_GLOBAL__N_116CompareEqFunctorIS6_EEEESt5arrayIPcLm3EEEEviT0_T1_.kd
    .uniform_work_group_size: 1
    .uses_dynamic_stack: false
    .vgpr_count:     39
    .vgpr_spill_count: 0
    .wavefront_size: 32
  - .args:
      - .offset:         0
        .size:           4
        .value_kind:     by_value
      - .offset:         4
        .size:           4
        .value_kind:     by_value
      - .offset:         8
        .size:           24
        .value_kind:     by_value
    .group_segment_fixed_size: 0
    .kernarg_segment_align: 8
    .kernarg_segment_size: 32
    .language:       OpenCL C
    .language_version:
      - 2
      - 0
    .max_flat_workgroup_size: 256
    .name:           _ZN2at6native29vectorized_elementwise_kernelILi4ENS0_13BinaryFunctorIN3c107complexINS3_8BFloat16EEES6_bNS0_12_GLOBAL__N_116CompareEqFunctorIS6_EEEESt5arrayIPcLm3EEEEviT0_T1_
    .private_segment_fixed_size: 0
    .sgpr_count:     29
    .sgpr_spill_count: 0
    .symbol:         _ZN2at6native29vectorized_elementwise_kernelILi4ENS0_13BinaryFunctorIN3c107complexINS3_8BFloat16EEES6_bNS0_12_GLOBAL__N_116CompareEqFunctorIS6_EEEESt5arrayIPcLm3EEEEviT0_T1_.kd
    .uniform_work_group_size: 1
    .uses_dynamic_stack: false
    .vgpr_count:     39
    .vgpr_spill_count: 0
    .wavefront_size: 32
  - .args:
      - .offset:         0
        .size:           4
        .value_kind:     by_value
      - .offset:         4
        .size:           4
        .value_kind:     by_value
      - .offset:         8
        .size:           24
        .value_kind:     by_value
    .group_segment_fixed_size: 0
    .kernarg_segment_align: 8
    .kernarg_segment_size: 32
    .language:       OpenCL C
    .language_version:
      - 2
      - 0
    .max_flat_workgroup_size: 256
    .name:           _ZN2at6native29vectorized_elementwise_kernelILi2ENS0_13BinaryFunctorIN3c107complexINS3_8BFloat16EEES6_bNS0_12_GLOBAL__N_116CompareEqFunctorIS6_EEEESt5arrayIPcLm3EEEEviT0_T1_
    .private_segment_fixed_size: 0
    .sgpr_count:     29
    .sgpr_spill_count: 0
    .symbol:         _ZN2at6native29vectorized_elementwise_kernelILi2ENS0_13BinaryFunctorIN3c107complexINS3_8BFloat16EEES6_bNS0_12_GLOBAL__N_116CompareEqFunctorIS6_EEEESt5arrayIPcLm3EEEEviT0_T1_.kd
    .uniform_work_group_size: 1
    .uses_dynamic_stack: false
    .vgpr_count:     39
    .vgpr_spill_count: 0
    .wavefront_size: 32
  - .args:
      - .offset:         0
        .size:           4
        .value_kind:     by_value
      - .offset:         4
        .size:           4
        .value_kind:     by_value
      - .offset:         8
        .size:           24
        .value_kind:     by_value
      - .offset:         32
        .size:           1
        .value_kind:     by_value
      - .offset:         33
        .size:           1
        .value_kind:     by_value
      - .offset:         34
        .size:           1
        .value_kind:     by_value
      - .offset:         35
        .size:           1
        .value_kind:     by_value
    .group_segment_fixed_size: 0
    .kernarg_segment_align: 8
    .kernarg_segment_size: 36
    .language:       OpenCL C
    .language_version:
      - 2
      - 0
    .max_flat_workgroup_size: 256
    .name:           _ZN2at6native27unrolled_elementwise_kernelINS0_13BinaryFunctorIN3c107complexINS3_8BFloat16EEES6_bNS0_12_GLOBAL__N_116CompareEqFunctorIS6_EEEESt5arrayIPcLm3EELi4E23TrivialOffsetCalculatorILi2EjESE_ILi1EjENS0_6memory15LoadWithoutCastENSH_16StoreWithoutCastEEEviT_T0_T2_T3_T4_T5_
    .private_segment_fixed_size: 0
    .sgpr_count:     16
    .sgpr_spill_count: 0
    .symbol:         _ZN2at6native27unrolled_elementwise_kernelINS0_13BinaryFunctorIN3c107complexINS3_8BFloat16EEES6_bNS0_12_GLOBAL__N_116CompareEqFunctorIS6_EEEESt5arrayIPcLm3EELi4E23TrivialOffsetCalculatorILi2EjESE_ILi1EjENS0_6memory15LoadWithoutCastENSH_16StoreWithoutCastEEEviT_T0_T2_T3_T4_T5_.kd
    .uniform_work_group_size: 1
    .uses_dynamic_stack: false
    .vgpr_count:     13
    .vgpr_spill_count: 0
    .wavefront_size: 32
  - .args:
      - .offset:         0
        .size:           4
        .value_kind:     by_value
      - .offset:         8
        .size:           424
        .value_kind:     by_value
    .group_segment_fixed_size: 0
    .kernarg_segment_align: 8
    .kernarg_segment_size: 432
    .language:       OpenCL C
    .language_version:
      - 2
      - 0
    .max_flat_workgroup_size: 128
    .name:           _ZN2at6native32elementwise_kernel_manual_unrollILi128ELi8EZNS0_22gpu_kernel_impl_nocastINS0_13BinaryFunctorIN3c107complexINS4_8BFloat16EEES7_bNS0_12_GLOBAL__N_116CompareEqFunctorIS7_EEEEEEvRNS_18TensorIteratorBaseERKT_EUlibE_EEviT1_
    .private_segment_fixed_size: 0
    .sgpr_count:     48
    .sgpr_spill_count: 0
    .symbol:         _ZN2at6native32elementwise_kernel_manual_unrollILi128ELi8EZNS0_22gpu_kernel_impl_nocastINS0_13BinaryFunctorIN3c107complexINS4_8BFloat16EEES7_bNS0_12_GLOBAL__N_116CompareEqFunctorIS7_EEEEEEvRNS_18TensorIteratorBaseERKT_EUlibE_EEviT1_.kd
    .uniform_work_group_size: 1
    .uses_dynamic_stack: false
    .vgpr_count:     29
    .vgpr_spill_count: 0
    .wavefront_size: 32
  - .args:
      - .offset:         0
        .size:           4
        .value_kind:     by_value
      - .offset:         8
        .size:           48
        .value_kind:     by_value
    .group_segment_fixed_size: 0
    .kernarg_segment_align: 8
    .kernarg_segment_size: 56
    .language:       OpenCL C
    .language_version:
      - 2
      - 0
    .max_flat_workgroup_size: 128
    .name:           _ZN2at6native32elementwise_kernel_manual_unrollILi128ELi4EZNS0_15gpu_kernel_implINS0_13BinaryFunctorIN3c107complexINS4_8BFloat16EEES7_bNS0_12_GLOBAL__N_116CompareEqFunctorIS7_EEEEEEvRNS_18TensorIteratorBaseERKT_EUlibE_EEviT1_
    .private_segment_fixed_size: 0
    .sgpr_count:     39
    .sgpr_spill_count: 0
    .symbol:         _ZN2at6native32elementwise_kernel_manual_unrollILi128ELi4EZNS0_15gpu_kernel_implINS0_13BinaryFunctorIN3c107complexINS4_8BFloat16EEES7_bNS0_12_GLOBAL__N_116CompareEqFunctorIS7_EEEEEEvRNS_18TensorIteratorBaseERKT_EUlibE_EEviT1_.kd
    .uniform_work_group_size: 1
    .uses_dynamic_stack: false
    .vgpr_count:     13
    .vgpr_spill_count: 0
    .wavefront_size: 32
  - .args:
      - .offset:         0
        .size:           4
        .value_kind:     by_value
      - .offset:         8
        .size:           424
        .value_kind:     by_value
    .group_segment_fixed_size: 0
    .kernarg_segment_align: 8
    .kernarg_segment_size: 432
    .language:       OpenCL C
    .language_version:
      - 2
      - 0
    .max_flat_workgroup_size: 128
    .name:           _ZN2at6native32elementwise_kernel_manual_unrollILi128ELi4EZNS0_15gpu_kernel_implINS0_13BinaryFunctorIN3c107complexINS4_8BFloat16EEES7_bNS0_12_GLOBAL__N_116CompareEqFunctorIS7_EEEEEEvRNS_18TensorIteratorBaseERKT_EUlibE0_EEviT1_
    .private_segment_fixed_size: 0
    .sgpr_count:     64
    .sgpr_spill_count: 0
    .symbol:         _ZN2at6native32elementwise_kernel_manual_unrollILi128ELi4EZNS0_15gpu_kernel_implINS0_13BinaryFunctorIN3c107complexINS4_8BFloat16EEES7_bNS0_12_GLOBAL__N_116CompareEqFunctorIS7_EEEEEEvRNS_18TensorIteratorBaseERKT_EUlibE0_EEviT1_.kd
    .uniform_work_group_size: 1
    .uses_dynamic_stack: false
    .vgpr_count:     28
    .vgpr_spill_count: 0
    .wavefront_size: 32
  - .args:
      - .offset:         0
        .size:           4
        .value_kind:     by_value
      - .offset:         4
        .size:           8
        .value_kind:     by_value
      - .offset:         16
        .size:           16
        .value_kind:     by_value
    .group_segment_fixed_size: 0
    .kernarg_segment_align: 8
    .kernarg_segment_size: 32
    .language:       OpenCL C
    .language_version:
      - 2
      - 0
    .max_flat_workgroup_size: 256
    .name:           _ZN2at6native29vectorized_elementwise_kernelILi16ENS0_13AUnaryFunctorIN3c107complexINS3_8BFloat16EEES6_bNS0_12_GLOBAL__N_116CompareEqFunctorIS6_EEEESt5arrayIPcLm2EEEEviT0_T1_
    .private_segment_fixed_size: 0
    .sgpr_count:     30
    .sgpr_spill_count: 0
    .symbol:         _ZN2at6native29vectorized_elementwise_kernelILi16ENS0_13AUnaryFunctorIN3c107complexINS3_8BFloat16EEES6_bNS0_12_GLOBAL__N_116CompareEqFunctorIS6_EEEESt5arrayIPcLm2EEEEviT0_T1_.kd
    .uniform_work_group_size: 1
    .uses_dynamic_stack: false
    .vgpr_count:     22
    .vgpr_spill_count: 0
    .wavefront_size: 32
  - .args:
      - .offset:         0
        .size:           4
        .value_kind:     by_value
      - .offset:         4
        .size:           8
        .value_kind:     by_value
      - .offset:         16
        .size:           16
        .value_kind:     by_value
    .group_segment_fixed_size: 0
    .kernarg_segment_align: 8
    .kernarg_segment_size: 32
    .language:       OpenCL C
    .language_version:
      - 2
      - 0
    .max_flat_workgroup_size: 256
    .name:           _ZN2at6native29vectorized_elementwise_kernelILi8ENS0_13AUnaryFunctorIN3c107complexINS3_8BFloat16EEES6_bNS0_12_GLOBAL__N_116CompareEqFunctorIS6_EEEESt5arrayIPcLm2EEEEviT0_T1_
    .private_segment_fixed_size: 0
    .sgpr_count:     30
    .sgpr_spill_count: 0
    .symbol:         _ZN2at6native29vectorized_elementwise_kernelILi8ENS0_13AUnaryFunctorIN3c107complexINS3_8BFloat16EEES6_bNS0_12_GLOBAL__N_116CompareEqFunctorIS6_EEEESt5arrayIPcLm2EEEEviT0_T1_.kd
    .uniform_work_group_size: 1
    .uses_dynamic_stack: false
    .vgpr_count:     22
    .vgpr_spill_count: 0
    .wavefront_size: 32
  - .args:
      - .offset:         0
        .size:           4
        .value_kind:     by_value
      - .offset:         4
        .size:           8
        .value_kind:     by_value
      - .offset:         16
        .size:           16
        .value_kind:     by_value
    .group_segment_fixed_size: 0
    .kernarg_segment_align: 8
    .kernarg_segment_size: 32
    .language:       OpenCL C
    .language_version:
      - 2
      - 0
    .max_flat_workgroup_size: 256
    .name:           _ZN2at6native29vectorized_elementwise_kernelILi4ENS0_13AUnaryFunctorIN3c107complexINS3_8BFloat16EEES6_bNS0_12_GLOBAL__N_116CompareEqFunctorIS6_EEEESt5arrayIPcLm2EEEEviT0_T1_
    .private_segment_fixed_size: 0
    .sgpr_count:     30
    .sgpr_spill_count: 0
    .symbol:         _ZN2at6native29vectorized_elementwise_kernelILi4ENS0_13AUnaryFunctorIN3c107complexINS3_8BFloat16EEES6_bNS0_12_GLOBAL__N_116CompareEqFunctorIS6_EEEESt5arrayIPcLm2EEEEviT0_T1_.kd
    .uniform_work_group_size: 1
    .uses_dynamic_stack: false
    .vgpr_count:     22
    .vgpr_spill_count: 0
    .wavefront_size: 32
  - .args:
      - .offset:         0
        .size:           4
        .value_kind:     by_value
      - .offset:         4
        .size:           8
        .value_kind:     by_value
      - .offset:         16
        .size:           16
        .value_kind:     by_value
    .group_segment_fixed_size: 0
    .kernarg_segment_align: 8
    .kernarg_segment_size: 32
    .language:       OpenCL C
    .language_version:
      - 2
      - 0
    .max_flat_workgroup_size: 256
    .name:           _ZN2at6native29vectorized_elementwise_kernelILi2ENS0_13AUnaryFunctorIN3c107complexINS3_8BFloat16EEES6_bNS0_12_GLOBAL__N_116CompareEqFunctorIS6_EEEESt5arrayIPcLm2EEEEviT0_T1_
    .private_segment_fixed_size: 0
    .sgpr_count:     30
    .sgpr_spill_count: 0
    .symbol:         _ZN2at6native29vectorized_elementwise_kernelILi2ENS0_13AUnaryFunctorIN3c107complexINS3_8BFloat16EEES6_bNS0_12_GLOBAL__N_116CompareEqFunctorIS6_EEEESt5arrayIPcLm2EEEEviT0_T1_.kd
    .uniform_work_group_size: 1
    .uses_dynamic_stack: false
    .vgpr_count:     22
    .vgpr_spill_count: 0
    .wavefront_size: 32
  - .args:
      - .offset:         0
        .size:           4
        .value_kind:     by_value
      - .offset:         4
        .size:           8
        .value_kind:     by_value
      - .offset:         16
        .size:           16
        .value_kind:     by_value
      - .offset:         32
        .size:           1
        .value_kind:     by_value
      - .offset:         33
        .size:           1
        .value_kind:     by_value
      - .offset:         34
        .size:           1
        .value_kind:     by_value
      - .offset:         35
        .size:           1
        .value_kind:     by_value
    .group_segment_fixed_size: 0
    .kernarg_segment_align: 8
    .kernarg_segment_size: 36
    .language:       OpenCL C
    .language_version:
      - 2
      - 0
    .max_flat_workgroup_size: 256
    .name:           _ZN2at6native27unrolled_elementwise_kernelINS0_13AUnaryFunctorIN3c107complexINS3_8BFloat16EEES6_bNS0_12_GLOBAL__N_116CompareEqFunctorIS6_EEEESt5arrayIPcLm2EELi4E23TrivialOffsetCalculatorILi1EjESF_NS0_6memory15LoadWithoutCastENSG_16StoreWithoutCastEEEviT_T0_T2_T3_T4_T5_
    .private_segment_fixed_size: 0
    .sgpr_count:     15
    .sgpr_spill_count: 0
    .symbol:         _ZN2at6native27unrolled_elementwise_kernelINS0_13AUnaryFunctorIN3c107complexINS3_8BFloat16EEES6_bNS0_12_GLOBAL__N_116CompareEqFunctorIS6_EEEESt5arrayIPcLm2EELi4E23TrivialOffsetCalculatorILi1EjESF_NS0_6memory15LoadWithoutCastENSG_16StoreWithoutCastEEEviT_T0_T2_T3_T4_T5_.kd
    .uniform_work_group_size: 1
    .uses_dynamic_stack: false
    .vgpr_count:     9
    .vgpr_spill_count: 0
    .wavefront_size: 32
  - .args:
      - .offset:         0
        .size:           4
        .value_kind:     by_value
      - .offset:         8
        .size:           352
        .value_kind:     by_value
    .group_segment_fixed_size: 0
    .kernarg_segment_align: 8
    .kernarg_segment_size: 360
    .language:       OpenCL C
    .language_version:
      - 2
      - 0
    .max_flat_workgroup_size: 128
    .name:           _ZN2at6native32elementwise_kernel_manual_unrollILi128ELi8EZNS0_22gpu_kernel_impl_nocastINS0_13AUnaryFunctorIN3c107complexINS4_8BFloat16EEES7_bNS0_12_GLOBAL__N_116CompareEqFunctorIS7_EEEEEEvRNS_18TensorIteratorBaseERKT_EUlibE_EEviT1_
    .private_segment_fixed_size: 0
    .sgpr_count:     62
    .sgpr_spill_count: 0
    .symbol:         _ZN2at6native32elementwise_kernel_manual_unrollILi128ELi8EZNS0_22gpu_kernel_impl_nocastINS0_13AUnaryFunctorIN3c107complexINS4_8BFloat16EEES7_bNS0_12_GLOBAL__N_116CompareEqFunctorIS7_EEEEEEvRNS_18TensorIteratorBaseERKT_EUlibE_EEviT1_.kd
    .uniform_work_group_size: 1
    .uses_dynamic_stack: false
    .vgpr_count:     23
    .vgpr_spill_count: 0
    .wavefront_size: 32
  - .args:
      - .offset:         0
        .size:           4
        .value_kind:     by_value
      - .offset:         8
        .size:           40
        .value_kind:     by_value
    .group_segment_fixed_size: 0
    .kernarg_segment_align: 8
    .kernarg_segment_size: 48
    .language:       OpenCL C
    .language_version:
      - 2
      - 0
    .max_flat_workgroup_size: 128
    .name:           _ZN2at6native32elementwise_kernel_manual_unrollILi128ELi4EZNS0_15gpu_kernel_implINS0_13AUnaryFunctorIN3c107complexINS4_8BFloat16EEES7_bNS0_12_GLOBAL__N_116CompareEqFunctorIS7_EEEEEEvRNS_18TensorIteratorBaseERKT_EUlibE_EEviT1_
    .private_segment_fixed_size: 0
    .sgpr_count:     34
    .sgpr_spill_count: 0
    .symbol:         _ZN2at6native32elementwise_kernel_manual_unrollILi128ELi4EZNS0_15gpu_kernel_implINS0_13AUnaryFunctorIN3c107complexINS4_8BFloat16EEES7_bNS0_12_GLOBAL__N_116CompareEqFunctorIS7_EEEEEEvRNS_18TensorIteratorBaseERKT_EUlibE_EEviT1_.kd
    .uniform_work_group_size: 1
    .uses_dynamic_stack: false
    .vgpr_count:     10
    .vgpr_spill_count: 0
    .wavefront_size: 32
  - .args:
      - .offset:         0
        .size:           4
        .value_kind:     by_value
      - .offset:         8
        .size:           360
        .value_kind:     by_value
    .group_segment_fixed_size: 0
    .kernarg_segment_align: 8
    .kernarg_segment_size: 368
    .language:       OpenCL C
    .language_version:
      - 2
      - 0
    .max_flat_workgroup_size: 128
    .name:           _ZN2at6native32elementwise_kernel_manual_unrollILi128ELi4EZNS0_15gpu_kernel_implINS0_13AUnaryFunctorIN3c107complexINS4_8BFloat16EEES7_bNS0_12_GLOBAL__N_116CompareEqFunctorIS7_EEEEEEvRNS_18TensorIteratorBaseERKT_EUlibE0_EEviT1_
    .private_segment_fixed_size: 0
    .sgpr_count:     74
    .sgpr_spill_count: 0
    .symbol:         _ZN2at6native32elementwise_kernel_manual_unrollILi128ELi4EZNS0_15gpu_kernel_implINS0_13AUnaryFunctorIN3c107complexINS4_8BFloat16EEES7_bNS0_12_GLOBAL__N_116CompareEqFunctorIS7_EEEEEEvRNS_18TensorIteratorBaseERKT_EUlibE0_EEviT1_.kd
    .uniform_work_group_size: 1
    .uses_dynamic_stack: false
    .vgpr_count:     20
    .vgpr_spill_count: 0
    .wavefront_size: 32
  - .args:
      - .offset:         0
        .size:           4
        .value_kind:     by_value
      - .offset:         4
        .size:           4
        .value_kind:     by_value
      - .offset:         8
        .size:           24
        .value_kind:     by_value
    .group_segment_fixed_size: 0
    .kernarg_segment_align: 8
    .kernarg_segment_size: 32
    .language:       OpenCL C
    .language_version:
      - 2
      - 0
    .max_flat_workgroup_size: 256
    .name:           _ZN2at6native29vectorized_elementwise_kernelILi16ENS0_13BinaryFunctorIN3c104HalfES4_bNS0_12_GLOBAL__N_116CompareEqFunctorIS4_EEEESt5arrayIPcLm3EEEEviT0_T1_
    .private_segment_fixed_size: 0
    .sgpr_count:     18
    .sgpr_spill_count: 0
    .symbol:         _ZN2at6native29vectorized_elementwise_kernelILi16ENS0_13BinaryFunctorIN3c104HalfES4_bNS0_12_GLOBAL__N_116CompareEqFunctorIS4_EEEESt5arrayIPcLm3EEEEviT0_T1_.kd
    .uniform_work_group_size: 1
    .uses_dynamic_stack: false
    .vgpr_count:     36
    .vgpr_spill_count: 0
    .wavefront_size: 32
  - .args:
      - .offset:         0
        .size:           4
        .value_kind:     by_value
      - .offset:         4
        .size:           4
        .value_kind:     by_value
      - .offset:         8
        .size:           24
        .value_kind:     by_value
    .group_segment_fixed_size: 0
    .kernarg_segment_align: 8
    .kernarg_segment_size: 32
    .language:       OpenCL C
    .language_version:
      - 2
      - 0
    .max_flat_workgroup_size: 256
    .name:           _ZN2at6native29vectorized_elementwise_kernelILi8ENS0_13BinaryFunctorIN3c104HalfES4_bNS0_12_GLOBAL__N_116CompareEqFunctorIS4_EEEESt5arrayIPcLm3EEEEviT0_T1_
    .private_segment_fixed_size: 0
    .sgpr_count:     18
    .sgpr_spill_count: 0
    .symbol:         _ZN2at6native29vectorized_elementwise_kernelILi8ENS0_13BinaryFunctorIN3c104HalfES4_bNS0_12_GLOBAL__N_116CompareEqFunctorIS4_EEEESt5arrayIPcLm3EEEEviT0_T1_.kd
    .uniform_work_group_size: 1
    .uses_dynamic_stack: false
    .vgpr_count:     36
    .vgpr_spill_count: 0
    .wavefront_size: 32
  - .args:
      - .offset:         0
        .size:           4
        .value_kind:     by_value
      - .offset:         4
        .size:           4
        .value_kind:     by_value
      - .offset:         8
        .size:           24
        .value_kind:     by_value
    .group_segment_fixed_size: 0
    .kernarg_segment_align: 8
    .kernarg_segment_size: 32
    .language:       OpenCL C
    .language_version:
      - 2
      - 0
    .max_flat_workgroup_size: 256
    .name:           _ZN2at6native29vectorized_elementwise_kernelILi4ENS0_13BinaryFunctorIN3c104HalfES4_bNS0_12_GLOBAL__N_116CompareEqFunctorIS4_EEEESt5arrayIPcLm3EEEEviT0_T1_
    .private_segment_fixed_size: 0
    .sgpr_count:     16
    .sgpr_spill_count: 0
    .symbol:         _ZN2at6native29vectorized_elementwise_kernelILi4ENS0_13BinaryFunctorIN3c104HalfES4_bNS0_12_GLOBAL__N_116CompareEqFunctorIS4_EEEESt5arrayIPcLm3EEEEviT0_T1_.kd
    .uniform_work_group_size: 1
    .uses_dynamic_stack: false
    .vgpr_count:     36
    .vgpr_spill_count: 0
    .wavefront_size: 32
  - .args:
      - .offset:         0
        .size:           4
        .value_kind:     by_value
      - .offset:         4
        .size:           4
        .value_kind:     by_value
      - .offset:         8
        .size:           24
        .value_kind:     by_value
    .group_segment_fixed_size: 0
    .kernarg_segment_align: 8
    .kernarg_segment_size: 32
    .language:       OpenCL C
    .language_version:
      - 2
      - 0
    .max_flat_workgroup_size: 256
    .name:           _ZN2at6native29vectorized_elementwise_kernelILi2ENS0_13BinaryFunctorIN3c104HalfES4_bNS0_12_GLOBAL__N_116CompareEqFunctorIS4_EEEESt5arrayIPcLm3EEEEviT0_T1_
    .private_segment_fixed_size: 0
    .sgpr_count:     18
    .sgpr_spill_count: 0
    .symbol:         _ZN2at6native29vectorized_elementwise_kernelILi2ENS0_13BinaryFunctorIN3c104HalfES4_bNS0_12_GLOBAL__N_116CompareEqFunctorIS4_EEEESt5arrayIPcLm3EEEEviT0_T1_.kd
    .uniform_work_group_size: 1
    .uses_dynamic_stack: false
    .vgpr_count:     36
    .vgpr_spill_count: 0
    .wavefront_size: 32
  - .args:
      - .offset:         0
        .size:           4
        .value_kind:     by_value
      - .offset:         4
        .size:           4
        .value_kind:     by_value
      - .offset:         8
        .size:           24
        .value_kind:     by_value
      - .offset:         32
        .size:           1
        .value_kind:     by_value
      - .offset:         33
        .size:           1
        .value_kind:     by_value
      - .offset:         34
        .size:           1
        .value_kind:     by_value
      - .offset:         35
        .size:           1
        .value_kind:     by_value
    .group_segment_fixed_size: 0
    .kernarg_segment_align: 8
    .kernarg_segment_size: 36
    .language:       OpenCL C
    .language_version:
      - 2
      - 0
    .max_flat_workgroup_size: 256
    .name:           _ZN2at6native27unrolled_elementwise_kernelINS0_13BinaryFunctorIN3c104HalfES4_bNS0_12_GLOBAL__N_116CompareEqFunctorIS4_EEEESt5arrayIPcLm3EELi4E23TrivialOffsetCalculatorILi2EjESC_ILi1EjENS0_6memory15LoadWithoutCastENSF_16StoreWithoutCastEEEviT_T0_T2_T3_T4_T5_
    .private_segment_fixed_size: 0
    .sgpr_count:     14
    .sgpr_spill_count: 0
    .symbol:         _ZN2at6native27unrolled_elementwise_kernelINS0_13BinaryFunctorIN3c104HalfES4_bNS0_12_GLOBAL__N_116CompareEqFunctorIS4_EEEESt5arrayIPcLm3EELi4E23TrivialOffsetCalculatorILi2EjESC_ILi1EjENS0_6memory15LoadWithoutCastENSF_16StoreWithoutCastEEEviT_T0_T2_T3_T4_T5_.kd
    .uniform_work_group_size: 1
    .uses_dynamic_stack: false
    .vgpr_count:     12
    .vgpr_spill_count: 0
    .wavefront_size: 32
  - .args:
      - .offset:         0
        .size:           4
        .value_kind:     by_value
      - .offset:         8
        .size:           424
        .value_kind:     by_value
    .group_segment_fixed_size: 0
    .kernarg_segment_align: 8
    .kernarg_segment_size: 432
    .language:       OpenCL C
    .language_version:
      - 2
      - 0
    .max_flat_workgroup_size: 128
    .name:           _ZN2at6native32elementwise_kernel_manual_unrollILi128ELi8EZNS0_22gpu_kernel_impl_nocastINS0_13BinaryFunctorIN3c104HalfES5_bNS0_12_GLOBAL__N_116CompareEqFunctorIS5_EEEEEEvRNS_18TensorIteratorBaseERKT_EUlibE_EEviT1_
    .private_segment_fixed_size: 0
    .sgpr_count:     48
    .sgpr_spill_count: 0
    .symbol:         _ZN2at6native32elementwise_kernel_manual_unrollILi128ELi8EZNS0_22gpu_kernel_impl_nocastINS0_13BinaryFunctorIN3c104HalfES5_bNS0_12_GLOBAL__N_116CompareEqFunctorIS5_EEEEEEvRNS_18TensorIteratorBaseERKT_EUlibE_EEviT1_.kd
    .uniform_work_group_size: 1
    .uses_dynamic_stack: false
    .vgpr_count:     39
    .vgpr_spill_count: 0
    .wavefront_size: 32
  - .args:
      - .offset:         0
        .size:           4
        .value_kind:     by_value
      - .offset:         8
        .size:           48
        .value_kind:     by_value
    .group_segment_fixed_size: 0
    .kernarg_segment_align: 8
    .kernarg_segment_size: 56
    .language:       OpenCL C
    .language_version:
      - 2
      - 0
    .max_flat_workgroup_size: 128
    .name:           _ZN2at6native32elementwise_kernel_manual_unrollILi128ELi4EZNS0_15gpu_kernel_implINS0_13BinaryFunctorIN3c104HalfES5_bNS0_12_GLOBAL__N_116CompareEqFunctorIS5_EEEEEEvRNS_18TensorIteratorBaseERKT_EUlibE_EEviT1_
    .private_segment_fixed_size: 0
    .sgpr_count:     39
    .sgpr_spill_count: 0
    .symbol:         _ZN2at6native32elementwise_kernel_manual_unrollILi128ELi4EZNS0_15gpu_kernel_implINS0_13BinaryFunctorIN3c104HalfES5_bNS0_12_GLOBAL__N_116CompareEqFunctorIS5_EEEEEEvRNS_18TensorIteratorBaseERKT_EUlibE_EEviT1_.kd
    .uniform_work_group_size: 1
    .uses_dynamic_stack: false
    .vgpr_count:     18
    .vgpr_spill_count: 0
    .wavefront_size: 32
  - .args:
      - .offset:         0
        .size:           4
        .value_kind:     by_value
      - .offset:         8
        .size:           424
        .value_kind:     by_value
    .group_segment_fixed_size: 0
    .kernarg_segment_align: 8
    .kernarg_segment_size: 432
    .language:       OpenCL C
    .language_version:
      - 2
      - 0
    .max_flat_workgroup_size: 128
    .name:           _ZN2at6native32elementwise_kernel_manual_unrollILi128ELi4EZNS0_15gpu_kernel_implINS0_13BinaryFunctorIN3c104HalfES5_bNS0_12_GLOBAL__N_116CompareEqFunctorIS5_EEEEEEvRNS_18TensorIteratorBaseERKT_EUlibE0_EEviT1_
    .private_segment_fixed_size: 0
    .sgpr_count:     64
    .sgpr_spill_count: 0
    .symbol:         _ZN2at6native32elementwise_kernel_manual_unrollILi128ELi4EZNS0_15gpu_kernel_implINS0_13BinaryFunctorIN3c104HalfES5_bNS0_12_GLOBAL__N_116CompareEqFunctorIS5_EEEEEEvRNS_18TensorIteratorBaseERKT_EUlibE0_EEviT1_.kd
    .uniform_work_group_size: 1
    .uses_dynamic_stack: false
    .vgpr_count:     26
    .vgpr_spill_count: 0
    .wavefront_size: 32
  - .args:
      - .offset:         0
        .size:           4
        .value_kind:     by_value
      - .offset:         4
        .size:           8
        .value_kind:     by_value
      - .offset:         16
        .size:           16
        .value_kind:     by_value
    .group_segment_fixed_size: 0
    .kernarg_segment_align: 8
    .kernarg_segment_size: 32
    .language:       OpenCL C
    .language_version:
      - 2
      - 0
    .max_flat_workgroup_size: 256
    .name:           _ZN2at6native29vectorized_elementwise_kernelILi16ENS0_13AUnaryFunctorIN3c104HalfES4_bNS0_12_GLOBAL__N_116CompareEqFunctorIS4_EEEESt5arrayIPcLm2EEEEviT0_T1_
    .private_segment_fixed_size: 0
    .sgpr_count:     16
    .sgpr_spill_count: 0
    .symbol:         _ZN2at6native29vectorized_elementwise_kernelILi16ENS0_13AUnaryFunctorIN3c104HalfES4_bNS0_12_GLOBAL__N_116CompareEqFunctorIS4_EEEESt5arrayIPcLm2EEEEviT0_T1_.kd
    .uniform_work_group_size: 1
    .uses_dynamic_stack: false
    .vgpr_count:     25
    .vgpr_spill_count: 0
    .wavefront_size: 32
  - .args:
      - .offset:         0
        .size:           4
        .value_kind:     by_value
      - .offset:         4
        .size:           8
        .value_kind:     by_value
      - .offset:         16
        .size:           16
        .value_kind:     by_value
    .group_segment_fixed_size: 0
    .kernarg_segment_align: 8
    .kernarg_segment_size: 32
    .language:       OpenCL C
    .language_version:
      - 2
      - 0
    .max_flat_workgroup_size: 256
    .name:           _ZN2at6native29vectorized_elementwise_kernelILi8ENS0_13AUnaryFunctorIN3c104HalfES4_bNS0_12_GLOBAL__N_116CompareEqFunctorIS4_EEEESt5arrayIPcLm2EEEEviT0_T1_
    .private_segment_fixed_size: 0
    .sgpr_count:     16
    .sgpr_spill_count: 0
    .symbol:         _ZN2at6native29vectorized_elementwise_kernelILi8ENS0_13AUnaryFunctorIN3c104HalfES4_bNS0_12_GLOBAL__N_116CompareEqFunctorIS4_EEEESt5arrayIPcLm2EEEEviT0_T1_.kd
    .uniform_work_group_size: 1
    .uses_dynamic_stack: false
    .vgpr_count:     25
    .vgpr_spill_count: 0
    .wavefront_size: 32
  - .args:
      - .offset:         0
        .size:           4
        .value_kind:     by_value
      - .offset:         4
        .size:           8
        .value_kind:     by_value
      - .offset:         16
        .size:           16
        .value_kind:     by_value
    .group_segment_fixed_size: 0
    .kernarg_segment_align: 8
    .kernarg_segment_size: 32
    .language:       OpenCL C
    .language_version:
      - 2
      - 0
    .max_flat_workgroup_size: 256
    .name:           _ZN2at6native29vectorized_elementwise_kernelILi4ENS0_13AUnaryFunctorIN3c104HalfES4_bNS0_12_GLOBAL__N_116CompareEqFunctorIS4_EEEESt5arrayIPcLm2EEEEviT0_T1_
    .private_segment_fixed_size: 0
    .sgpr_count:     16
    .sgpr_spill_count: 0
    .symbol:         _ZN2at6native29vectorized_elementwise_kernelILi4ENS0_13AUnaryFunctorIN3c104HalfES4_bNS0_12_GLOBAL__N_116CompareEqFunctorIS4_EEEESt5arrayIPcLm2EEEEviT0_T1_.kd
    .uniform_work_group_size: 1
    .uses_dynamic_stack: false
    .vgpr_count:     25
    .vgpr_spill_count: 0
    .wavefront_size: 32
  - .args:
      - .offset:         0
        .size:           4
        .value_kind:     by_value
      - .offset:         4
        .size:           8
        .value_kind:     by_value
      - .offset:         16
        .size:           16
        .value_kind:     by_value
    .group_segment_fixed_size: 0
    .kernarg_segment_align: 8
    .kernarg_segment_size: 32
    .language:       OpenCL C
    .language_version:
      - 2
      - 0
    .max_flat_workgroup_size: 256
    .name:           _ZN2at6native29vectorized_elementwise_kernelILi2ENS0_13AUnaryFunctorIN3c104HalfES4_bNS0_12_GLOBAL__N_116CompareEqFunctorIS4_EEEESt5arrayIPcLm2EEEEviT0_T1_
    .private_segment_fixed_size: 0
    .sgpr_count:     16
    .sgpr_spill_count: 0
    .symbol:         _ZN2at6native29vectorized_elementwise_kernelILi2ENS0_13AUnaryFunctorIN3c104HalfES4_bNS0_12_GLOBAL__N_116CompareEqFunctorIS4_EEEESt5arrayIPcLm2EEEEviT0_T1_.kd
    .uniform_work_group_size: 1
    .uses_dynamic_stack: false
    .vgpr_count:     25
    .vgpr_spill_count: 0
    .wavefront_size: 32
  - .args:
      - .offset:         0
        .size:           4
        .value_kind:     by_value
      - .offset:         4
        .size:           8
        .value_kind:     by_value
      - .offset:         16
        .size:           16
        .value_kind:     by_value
      - .offset:         32
        .size:           1
        .value_kind:     by_value
      - .offset:         33
        .size:           1
        .value_kind:     by_value
      - .offset:         34
        .size:           1
        .value_kind:     by_value
      - .offset:         35
        .size:           1
        .value_kind:     by_value
    .group_segment_fixed_size: 0
    .kernarg_segment_align: 8
    .kernarg_segment_size: 36
    .language:       OpenCL C
    .language_version:
      - 2
      - 0
    .max_flat_workgroup_size: 256
    .name:           _ZN2at6native27unrolled_elementwise_kernelINS0_13AUnaryFunctorIN3c104HalfES4_bNS0_12_GLOBAL__N_116CompareEqFunctorIS4_EEEESt5arrayIPcLm2EELi4E23TrivialOffsetCalculatorILi1EjESD_NS0_6memory15LoadWithoutCastENSE_16StoreWithoutCastEEEviT_T0_T2_T3_T4_T5_
    .private_segment_fixed_size: 0
    .sgpr_count:     13
    .sgpr_spill_count: 0
    .symbol:         _ZN2at6native27unrolled_elementwise_kernelINS0_13AUnaryFunctorIN3c104HalfES4_bNS0_12_GLOBAL__N_116CompareEqFunctorIS4_EEEESt5arrayIPcLm2EELi4E23TrivialOffsetCalculatorILi1EjESD_NS0_6memory15LoadWithoutCastENSE_16StoreWithoutCastEEEviT_T0_T2_T3_T4_T5_.kd
    .uniform_work_group_size: 1
    .uses_dynamic_stack: false
    .vgpr_count:     9
    .vgpr_spill_count: 0
    .wavefront_size: 32
  - .args:
      - .offset:         0
        .size:           4
        .value_kind:     by_value
      - .offset:         8
        .size:           352
        .value_kind:     by_value
    .group_segment_fixed_size: 0
    .kernarg_segment_align: 8
    .kernarg_segment_size: 360
    .language:       OpenCL C
    .language_version:
      - 2
      - 0
    .max_flat_workgroup_size: 128
    .name:           _ZN2at6native32elementwise_kernel_manual_unrollILi128ELi8EZNS0_22gpu_kernel_impl_nocastINS0_13AUnaryFunctorIN3c104HalfES5_bNS0_12_GLOBAL__N_116CompareEqFunctorIS5_EEEEEEvRNS_18TensorIteratorBaseERKT_EUlibE_EEviT1_
    .private_segment_fixed_size: 0
    .sgpr_count:     62
    .sgpr_spill_count: 0
    .symbol:         _ZN2at6native32elementwise_kernel_manual_unrollILi128ELi8EZNS0_22gpu_kernel_impl_nocastINS0_13AUnaryFunctorIN3c104HalfES5_bNS0_12_GLOBAL__N_116CompareEqFunctorIS5_EEEEEEvRNS_18TensorIteratorBaseERKT_EUlibE_EEviT1_.kd
    .uniform_work_group_size: 1
    .uses_dynamic_stack: false
    .vgpr_count:     24
    .vgpr_spill_count: 0
    .wavefront_size: 32
  - .args:
      - .offset:         0
        .size:           4
        .value_kind:     by_value
      - .offset:         8
        .size:           40
        .value_kind:     by_value
    .group_segment_fixed_size: 0
    .kernarg_segment_align: 8
    .kernarg_segment_size: 48
    .language:       OpenCL C
    .language_version:
      - 2
      - 0
    .max_flat_workgroup_size: 128
    .name:           _ZN2at6native32elementwise_kernel_manual_unrollILi128ELi4EZNS0_15gpu_kernel_implINS0_13AUnaryFunctorIN3c104HalfES5_bNS0_12_GLOBAL__N_116CompareEqFunctorIS5_EEEEEEvRNS_18TensorIteratorBaseERKT_EUlibE_EEviT1_
    .private_segment_fixed_size: 0
    .sgpr_count:     32
    .sgpr_spill_count: 0
    .symbol:         _ZN2at6native32elementwise_kernel_manual_unrollILi128ELi4EZNS0_15gpu_kernel_implINS0_13AUnaryFunctorIN3c104HalfES5_bNS0_12_GLOBAL__N_116CompareEqFunctorIS5_EEEEEEvRNS_18TensorIteratorBaseERKT_EUlibE_EEviT1_.kd
    .uniform_work_group_size: 1
    .uses_dynamic_stack: false
    .vgpr_count:     14
    .vgpr_spill_count: 0
    .wavefront_size: 32
  - .args:
      - .offset:         0
        .size:           4
        .value_kind:     by_value
      - .offset:         8
        .size:           360
        .value_kind:     by_value
    .group_segment_fixed_size: 0
    .kernarg_segment_align: 8
    .kernarg_segment_size: 368
    .language:       OpenCL C
    .language_version:
      - 2
      - 0
    .max_flat_workgroup_size: 128
    .name:           _ZN2at6native32elementwise_kernel_manual_unrollILi128ELi4EZNS0_15gpu_kernel_implINS0_13AUnaryFunctorIN3c104HalfES5_bNS0_12_GLOBAL__N_116CompareEqFunctorIS5_EEEEEEvRNS_18TensorIteratorBaseERKT_EUlibE0_EEviT1_
    .private_segment_fixed_size: 0
    .sgpr_count:     74
    .sgpr_spill_count: 0
    .symbol:         _ZN2at6native32elementwise_kernel_manual_unrollILi128ELi4EZNS0_15gpu_kernel_implINS0_13AUnaryFunctorIN3c104HalfES5_bNS0_12_GLOBAL__N_116CompareEqFunctorIS5_EEEEEEvRNS_18TensorIteratorBaseERKT_EUlibE0_EEviT1_.kd
    .uniform_work_group_size: 1
    .uses_dynamic_stack: false
    .vgpr_count:     18
    .vgpr_spill_count: 0
    .wavefront_size: 32
  - .args:
      - .offset:         0
        .size:           4
        .value_kind:     by_value
      - .offset:         4
        .size:           4
        .value_kind:     by_value
      - .offset:         8
        .size:           24
        .value_kind:     by_value
    .group_segment_fixed_size: 0
    .kernarg_segment_align: 8
    .kernarg_segment_size: 32
    .language:       OpenCL C
    .language_version:
      - 2
      - 0
    .max_flat_workgroup_size: 256
    .name:           _ZN2at6native29vectorized_elementwise_kernelILi16ENS0_13BinaryFunctorIN3c108BFloat16ES4_bNS0_12_GLOBAL__N_116CompareEqFunctorIS4_EEEESt5arrayIPcLm3EEEEviT0_T1_
    .private_segment_fixed_size: 0
    .sgpr_count:     18
    .sgpr_spill_count: 0
    .symbol:         _ZN2at6native29vectorized_elementwise_kernelILi16ENS0_13BinaryFunctorIN3c108BFloat16ES4_bNS0_12_GLOBAL__N_116CompareEqFunctorIS4_EEEESt5arrayIPcLm3EEEEviT0_T1_.kd
    .uniform_work_group_size: 1
    .uses_dynamic_stack: false
    .vgpr_count:     36
    .vgpr_spill_count: 0
    .wavefront_size: 32
  - .args:
      - .offset:         0
        .size:           4
        .value_kind:     by_value
      - .offset:         4
        .size:           4
        .value_kind:     by_value
      - .offset:         8
        .size:           24
        .value_kind:     by_value
    .group_segment_fixed_size: 0
    .kernarg_segment_align: 8
    .kernarg_segment_size: 32
    .language:       OpenCL C
    .language_version:
      - 2
      - 0
    .max_flat_workgroup_size: 256
    .name:           _ZN2at6native29vectorized_elementwise_kernelILi8ENS0_13BinaryFunctorIN3c108BFloat16ES4_bNS0_12_GLOBAL__N_116CompareEqFunctorIS4_EEEESt5arrayIPcLm3EEEEviT0_T1_
    .private_segment_fixed_size: 0
    .sgpr_count:     18
    .sgpr_spill_count: 0
    .symbol:         _ZN2at6native29vectorized_elementwise_kernelILi8ENS0_13BinaryFunctorIN3c108BFloat16ES4_bNS0_12_GLOBAL__N_116CompareEqFunctorIS4_EEEESt5arrayIPcLm3EEEEviT0_T1_.kd
    .uniform_work_group_size: 1
    .uses_dynamic_stack: false
    .vgpr_count:     36
    .vgpr_spill_count: 0
    .wavefront_size: 32
  - .args:
      - .offset:         0
        .size:           4
        .value_kind:     by_value
      - .offset:         4
        .size:           4
        .value_kind:     by_value
      - .offset:         8
        .size:           24
        .value_kind:     by_value
    .group_segment_fixed_size: 0
    .kernarg_segment_align: 8
    .kernarg_segment_size: 32
    .language:       OpenCL C
    .language_version:
      - 2
      - 0
    .max_flat_workgroup_size: 256
    .name:           _ZN2at6native29vectorized_elementwise_kernelILi4ENS0_13BinaryFunctorIN3c108BFloat16ES4_bNS0_12_GLOBAL__N_116CompareEqFunctorIS4_EEEESt5arrayIPcLm3EEEEviT0_T1_
    .private_segment_fixed_size: 0
    .sgpr_count:     18
    .sgpr_spill_count: 0
    .symbol:         _ZN2at6native29vectorized_elementwise_kernelILi4ENS0_13BinaryFunctorIN3c108BFloat16ES4_bNS0_12_GLOBAL__N_116CompareEqFunctorIS4_EEEESt5arrayIPcLm3EEEEviT0_T1_.kd
    .uniform_work_group_size: 1
    .uses_dynamic_stack: false
    .vgpr_count:     36
    .vgpr_spill_count: 0
    .wavefront_size: 32
  - .args:
      - .offset:         0
        .size:           4
        .value_kind:     by_value
      - .offset:         4
        .size:           4
        .value_kind:     by_value
      - .offset:         8
        .size:           24
        .value_kind:     by_value
    .group_segment_fixed_size: 0
    .kernarg_segment_align: 8
    .kernarg_segment_size: 32
    .language:       OpenCL C
    .language_version:
      - 2
      - 0
    .max_flat_workgroup_size: 256
    .name:           _ZN2at6native29vectorized_elementwise_kernelILi2ENS0_13BinaryFunctorIN3c108BFloat16ES4_bNS0_12_GLOBAL__N_116CompareEqFunctorIS4_EEEESt5arrayIPcLm3EEEEviT0_T1_
    .private_segment_fixed_size: 0
    .sgpr_count:     16
    .sgpr_spill_count: 0
    .symbol:         _ZN2at6native29vectorized_elementwise_kernelILi2ENS0_13BinaryFunctorIN3c108BFloat16ES4_bNS0_12_GLOBAL__N_116CompareEqFunctorIS4_EEEESt5arrayIPcLm3EEEEviT0_T1_.kd
    .uniform_work_group_size: 1
    .uses_dynamic_stack: false
    .vgpr_count:     36
    .vgpr_spill_count: 0
    .wavefront_size: 32
  - .args:
      - .offset:         0
        .size:           4
        .value_kind:     by_value
      - .offset:         4
        .size:           4
        .value_kind:     by_value
      - .offset:         8
        .size:           24
        .value_kind:     by_value
      - .offset:         32
        .size:           1
        .value_kind:     by_value
      - .offset:         33
        .size:           1
        .value_kind:     by_value
      - .offset:         34
        .size:           1
        .value_kind:     by_value
      - .offset:         35
        .size:           1
        .value_kind:     by_value
    .group_segment_fixed_size: 0
    .kernarg_segment_align: 8
    .kernarg_segment_size: 36
    .language:       OpenCL C
    .language_version:
      - 2
      - 0
    .max_flat_workgroup_size: 256
    .name:           _ZN2at6native27unrolled_elementwise_kernelINS0_13BinaryFunctorIN3c108BFloat16ES4_bNS0_12_GLOBAL__N_116CompareEqFunctorIS4_EEEESt5arrayIPcLm3EELi4E23TrivialOffsetCalculatorILi2EjESC_ILi1EjENS0_6memory15LoadWithoutCastENSF_16StoreWithoutCastEEEviT_T0_T2_T3_T4_T5_
    .private_segment_fixed_size: 0
    .sgpr_count:     14
    .sgpr_spill_count: 0
    .symbol:         _ZN2at6native27unrolled_elementwise_kernelINS0_13BinaryFunctorIN3c108BFloat16ES4_bNS0_12_GLOBAL__N_116CompareEqFunctorIS4_EEEESt5arrayIPcLm3EELi4E23TrivialOffsetCalculatorILi2EjESC_ILi1EjENS0_6memory15LoadWithoutCastENSF_16StoreWithoutCastEEEviT_T0_T2_T3_T4_T5_.kd
    .uniform_work_group_size: 1
    .uses_dynamic_stack: false
    .vgpr_count:     12
    .vgpr_spill_count: 0
    .wavefront_size: 32
  - .args:
      - .offset:         0
        .size:           4
        .value_kind:     by_value
      - .offset:         8
        .size:           424
        .value_kind:     by_value
    .group_segment_fixed_size: 0
    .kernarg_segment_align: 8
    .kernarg_segment_size: 432
    .language:       OpenCL C
    .language_version:
      - 2
      - 0
    .max_flat_workgroup_size: 128
    .name:           _ZN2at6native32elementwise_kernel_manual_unrollILi128ELi8EZNS0_22gpu_kernel_impl_nocastINS0_13BinaryFunctorIN3c108BFloat16ES5_bNS0_12_GLOBAL__N_116CompareEqFunctorIS5_EEEEEEvRNS_18TensorIteratorBaseERKT_EUlibE_EEviT1_
    .private_segment_fixed_size: 0
    .sgpr_count:     48
    .sgpr_spill_count: 0
    .symbol:         _ZN2at6native32elementwise_kernel_manual_unrollILi128ELi8EZNS0_22gpu_kernel_impl_nocastINS0_13BinaryFunctorIN3c108BFloat16ES5_bNS0_12_GLOBAL__N_116CompareEqFunctorIS5_EEEEEEvRNS_18TensorIteratorBaseERKT_EUlibE_EEviT1_.kd
    .uniform_work_group_size: 1
    .uses_dynamic_stack: false
    .vgpr_count:     39
    .vgpr_spill_count: 0
    .wavefront_size: 32
  - .args:
      - .offset:         0
        .size:           4
        .value_kind:     by_value
      - .offset:         8
        .size:           48
        .value_kind:     by_value
    .group_segment_fixed_size: 0
    .kernarg_segment_align: 8
    .kernarg_segment_size: 56
    .language:       OpenCL C
    .language_version:
      - 2
      - 0
    .max_flat_workgroup_size: 128
    .name:           _ZN2at6native32elementwise_kernel_manual_unrollILi128ELi4EZNS0_15gpu_kernel_implINS0_13BinaryFunctorIN3c108BFloat16ES5_bNS0_12_GLOBAL__N_116CompareEqFunctorIS5_EEEEEEvRNS_18TensorIteratorBaseERKT_EUlibE_EEviT1_
    .private_segment_fixed_size: 0
    .sgpr_count:     39
    .sgpr_spill_count: 0
    .symbol:         _ZN2at6native32elementwise_kernel_manual_unrollILi128ELi4EZNS0_15gpu_kernel_implINS0_13BinaryFunctorIN3c108BFloat16ES5_bNS0_12_GLOBAL__N_116CompareEqFunctorIS5_EEEEEEvRNS_18TensorIteratorBaseERKT_EUlibE_EEviT1_.kd
    .uniform_work_group_size: 1
    .uses_dynamic_stack: false
    .vgpr_count:     18
    .vgpr_spill_count: 0
    .wavefront_size: 32
  - .args:
      - .offset:         0
        .size:           4
        .value_kind:     by_value
      - .offset:         8
        .size:           424
        .value_kind:     by_value
    .group_segment_fixed_size: 0
    .kernarg_segment_align: 8
    .kernarg_segment_size: 432
    .language:       OpenCL C
    .language_version:
      - 2
      - 0
    .max_flat_workgroup_size: 128
    .name:           _ZN2at6native32elementwise_kernel_manual_unrollILi128ELi4EZNS0_15gpu_kernel_implINS0_13BinaryFunctorIN3c108BFloat16ES5_bNS0_12_GLOBAL__N_116CompareEqFunctorIS5_EEEEEEvRNS_18TensorIteratorBaseERKT_EUlibE0_EEviT1_
    .private_segment_fixed_size: 0
    .sgpr_count:     64
    .sgpr_spill_count: 0
    .symbol:         _ZN2at6native32elementwise_kernel_manual_unrollILi128ELi4EZNS0_15gpu_kernel_implINS0_13BinaryFunctorIN3c108BFloat16ES5_bNS0_12_GLOBAL__N_116CompareEqFunctorIS5_EEEEEEvRNS_18TensorIteratorBaseERKT_EUlibE0_EEviT1_.kd
    .uniform_work_group_size: 1
    .uses_dynamic_stack: false
    .vgpr_count:     26
    .vgpr_spill_count: 0
    .wavefront_size: 32
  - .args:
      - .offset:         0
        .size:           4
        .value_kind:     by_value
      - .offset:         4
        .size:           8
        .value_kind:     by_value
      - .offset:         16
        .size:           16
        .value_kind:     by_value
    .group_segment_fixed_size: 0
    .kernarg_segment_align: 8
    .kernarg_segment_size: 32
    .language:       OpenCL C
    .language_version:
      - 2
      - 0
    .max_flat_workgroup_size: 256
    .name:           _ZN2at6native29vectorized_elementwise_kernelILi16ENS0_13AUnaryFunctorIN3c108BFloat16ES4_bNS0_12_GLOBAL__N_116CompareEqFunctorIS4_EEEESt5arrayIPcLm2EEEEviT0_T1_
    .private_segment_fixed_size: 0
    .sgpr_count:     16
    .sgpr_spill_count: 0
    .symbol:         _ZN2at6native29vectorized_elementwise_kernelILi16ENS0_13AUnaryFunctorIN3c108BFloat16ES4_bNS0_12_GLOBAL__N_116CompareEqFunctorIS4_EEEESt5arrayIPcLm2EEEEviT0_T1_.kd
    .uniform_work_group_size: 1
    .uses_dynamic_stack: false
    .vgpr_count:     33
    .vgpr_spill_count: 0
    .wavefront_size: 32
  - .args:
      - .offset:         0
        .size:           4
        .value_kind:     by_value
      - .offset:         4
        .size:           8
        .value_kind:     by_value
      - .offset:         16
        .size:           16
        .value_kind:     by_value
    .group_segment_fixed_size: 0
    .kernarg_segment_align: 8
    .kernarg_segment_size: 32
    .language:       OpenCL C
    .language_version:
      - 2
      - 0
    .max_flat_workgroup_size: 256
    .name:           _ZN2at6native29vectorized_elementwise_kernelILi8ENS0_13AUnaryFunctorIN3c108BFloat16ES4_bNS0_12_GLOBAL__N_116CompareEqFunctorIS4_EEEESt5arrayIPcLm2EEEEviT0_T1_
    .private_segment_fixed_size: 0
    .sgpr_count:     16
    .sgpr_spill_count: 0
    .symbol:         _ZN2at6native29vectorized_elementwise_kernelILi8ENS0_13AUnaryFunctorIN3c108BFloat16ES4_bNS0_12_GLOBAL__N_116CompareEqFunctorIS4_EEEESt5arrayIPcLm2EEEEviT0_T1_.kd
    .uniform_work_group_size: 1
    .uses_dynamic_stack: false
    .vgpr_count:     33
    .vgpr_spill_count: 0
    .wavefront_size: 32
  - .args:
      - .offset:         0
        .size:           4
        .value_kind:     by_value
      - .offset:         4
        .size:           8
        .value_kind:     by_value
      - .offset:         16
        .size:           16
        .value_kind:     by_value
    .group_segment_fixed_size: 0
    .kernarg_segment_align: 8
    .kernarg_segment_size: 32
    .language:       OpenCL C
    .language_version:
      - 2
      - 0
    .max_flat_workgroup_size: 256
    .name:           _ZN2at6native29vectorized_elementwise_kernelILi4ENS0_13AUnaryFunctorIN3c108BFloat16ES4_bNS0_12_GLOBAL__N_116CompareEqFunctorIS4_EEEESt5arrayIPcLm2EEEEviT0_T1_
    .private_segment_fixed_size: 0
    .sgpr_count:     16
    .sgpr_spill_count: 0
    .symbol:         _ZN2at6native29vectorized_elementwise_kernelILi4ENS0_13AUnaryFunctorIN3c108BFloat16ES4_bNS0_12_GLOBAL__N_116CompareEqFunctorIS4_EEEESt5arrayIPcLm2EEEEviT0_T1_.kd
    .uniform_work_group_size: 1
    .uses_dynamic_stack: false
    .vgpr_count:     33
    .vgpr_spill_count: 0
    .wavefront_size: 32
  - .args:
      - .offset:         0
        .size:           4
        .value_kind:     by_value
      - .offset:         4
        .size:           8
        .value_kind:     by_value
      - .offset:         16
        .size:           16
        .value_kind:     by_value
    .group_segment_fixed_size: 0
    .kernarg_segment_align: 8
    .kernarg_segment_size: 32
    .language:       OpenCL C
    .language_version:
      - 2
      - 0
    .max_flat_workgroup_size: 256
    .name:           _ZN2at6native29vectorized_elementwise_kernelILi2ENS0_13AUnaryFunctorIN3c108BFloat16ES4_bNS0_12_GLOBAL__N_116CompareEqFunctorIS4_EEEESt5arrayIPcLm2EEEEviT0_T1_
    .private_segment_fixed_size: 0
    .sgpr_count:     16
    .sgpr_spill_count: 0
    .symbol:         _ZN2at6native29vectorized_elementwise_kernelILi2ENS0_13AUnaryFunctorIN3c108BFloat16ES4_bNS0_12_GLOBAL__N_116CompareEqFunctorIS4_EEEESt5arrayIPcLm2EEEEviT0_T1_.kd
    .uniform_work_group_size: 1
    .uses_dynamic_stack: false
    .vgpr_count:     33
    .vgpr_spill_count: 0
    .wavefront_size: 32
  - .args:
      - .offset:         0
        .size:           4
        .value_kind:     by_value
      - .offset:         4
        .size:           8
        .value_kind:     by_value
      - .offset:         16
        .size:           16
        .value_kind:     by_value
      - .offset:         32
        .size:           1
        .value_kind:     by_value
      - .offset:         33
        .size:           1
        .value_kind:     by_value
      - .offset:         34
        .size:           1
        .value_kind:     by_value
      - .offset:         35
        .size:           1
        .value_kind:     by_value
    .group_segment_fixed_size: 0
    .kernarg_segment_align: 8
    .kernarg_segment_size: 36
    .language:       OpenCL C
    .language_version:
      - 2
      - 0
    .max_flat_workgroup_size: 256
    .name:           _ZN2at6native27unrolled_elementwise_kernelINS0_13AUnaryFunctorIN3c108BFloat16ES4_bNS0_12_GLOBAL__N_116CompareEqFunctorIS4_EEEESt5arrayIPcLm2EELi4E23TrivialOffsetCalculatorILi1EjESD_NS0_6memory15LoadWithoutCastENSE_16StoreWithoutCastEEEviT_T0_T2_T3_T4_T5_
    .private_segment_fixed_size: 0
    .sgpr_count:     13
    .sgpr_spill_count: 0
    .symbol:         _ZN2at6native27unrolled_elementwise_kernelINS0_13AUnaryFunctorIN3c108BFloat16ES4_bNS0_12_GLOBAL__N_116CompareEqFunctorIS4_EEEESt5arrayIPcLm2EELi4E23TrivialOffsetCalculatorILi1EjESD_NS0_6memory15LoadWithoutCastENSE_16StoreWithoutCastEEEviT_T0_T2_T3_T4_T5_.kd
    .uniform_work_group_size: 1
    .uses_dynamic_stack: false
    .vgpr_count:     9
    .vgpr_spill_count: 0
    .wavefront_size: 32
  - .args:
      - .offset:         0
        .size:           4
        .value_kind:     by_value
      - .offset:         8
        .size:           352
        .value_kind:     by_value
    .group_segment_fixed_size: 0
    .kernarg_segment_align: 8
    .kernarg_segment_size: 360
    .language:       OpenCL C
    .language_version:
      - 2
      - 0
    .max_flat_workgroup_size: 128
    .name:           _ZN2at6native32elementwise_kernel_manual_unrollILi128ELi8EZNS0_22gpu_kernel_impl_nocastINS0_13AUnaryFunctorIN3c108BFloat16ES5_bNS0_12_GLOBAL__N_116CompareEqFunctorIS5_EEEEEEvRNS_18TensorIteratorBaseERKT_EUlibE_EEviT1_
    .private_segment_fixed_size: 0
    .sgpr_count:     62
    .sgpr_spill_count: 0
    .symbol:         _ZN2at6native32elementwise_kernel_manual_unrollILi128ELi8EZNS0_22gpu_kernel_impl_nocastINS0_13AUnaryFunctorIN3c108BFloat16ES5_bNS0_12_GLOBAL__N_116CompareEqFunctorIS5_EEEEEEvRNS_18TensorIteratorBaseERKT_EUlibE_EEviT1_.kd
    .uniform_work_group_size: 1
    .uses_dynamic_stack: false
    .vgpr_count:     24
    .vgpr_spill_count: 0
    .wavefront_size: 32
  - .args:
      - .offset:         0
        .size:           4
        .value_kind:     by_value
      - .offset:         8
        .size:           40
        .value_kind:     by_value
    .group_segment_fixed_size: 0
    .kernarg_segment_align: 8
    .kernarg_segment_size: 48
    .language:       OpenCL C
    .language_version:
      - 2
      - 0
    .max_flat_workgroup_size: 128
    .name:           _ZN2at6native32elementwise_kernel_manual_unrollILi128ELi4EZNS0_15gpu_kernel_implINS0_13AUnaryFunctorIN3c108BFloat16ES5_bNS0_12_GLOBAL__N_116CompareEqFunctorIS5_EEEEEEvRNS_18TensorIteratorBaseERKT_EUlibE_EEviT1_
    .private_segment_fixed_size: 0
    .sgpr_count:     33
    .sgpr_spill_count: 0
    .symbol:         _ZN2at6native32elementwise_kernel_manual_unrollILi128ELi4EZNS0_15gpu_kernel_implINS0_13AUnaryFunctorIN3c108BFloat16ES5_bNS0_12_GLOBAL__N_116CompareEqFunctorIS5_EEEEEEvRNS_18TensorIteratorBaseERKT_EUlibE_EEviT1_.kd
    .uniform_work_group_size: 1
    .uses_dynamic_stack: false
    .vgpr_count:     14
    .vgpr_spill_count: 0
    .wavefront_size: 32
  - .args:
      - .offset:         0
        .size:           4
        .value_kind:     by_value
      - .offset:         8
        .size:           360
        .value_kind:     by_value
    .group_segment_fixed_size: 0
    .kernarg_segment_align: 8
    .kernarg_segment_size: 368
    .language:       OpenCL C
    .language_version:
      - 2
      - 0
    .max_flat_workgroup_size: 128
    .name:           _ZN2at6native32elementwise_kernel_manual_unrollILi128ELi4EZNS0_15gpu_kernel_implINS0_13AUnaryFunctorIN3c108BFloat16ES5_bNS0_12_GLOBAL__N_116CompareEqFunctorIS5_EEEEEEvRNS_18TensorIteratorBaseERKT_EUlibE0_EEviT1_
    .private_segment_fixed_size: 0
    .sgpr_count:     74
    .sgpr_spill_count: 0
    .symbol:         _ZN2at6native32elementwise_kernel_manual_unrollILi128ELi4EZNS0_15gpu_kernel_implINS0_13AUnaryFunctorIN3c108BFloat16ES5_bNS0_12_GLOBAL__N_116CompareEqFunctorIS5_EEEEEEvRNS_18TensorIteratorBaseERKT_EUlibE0_EEviT1_.kd
    .uniform_work_group_size: 1
    .uses_dynamic_stack: false
    .vgpr_count:     18
    .vgpr_spill_count: 0
    .wavefront_size: 32
  - .args:
      - .offset:         0
        .size:           4
        .value_kind:     by_value
      - .offset:         4
        .size:           4
        .value_kind:     by_value
      - .offset:         8
        .size:           24
        .value_kind:     by_value
    .group_segment_fixed_size: 0
    .kernarg_segment_align: 8
    .kernarg_segment_size: 32
    .language:       OpenCL C
    .language_version:
      - 2
      - 0
    .max_flat_workgroup_size: 256
    .name:           _ZN2at6native29vectorized_elementwise_kernelILi16ENS0_13BinaryFunctorIbbbNS0_12_GLOBAL__N_116CompareEqFunctorIbEEEESt5arrayIPcLm3EEEEviT0_T1_
    .private_segment_fixed_size: 0
    .sgpr_count:     41
    .sgpr_spill_count: 0
    .symbol:         _ZN2at6native29vectorized_elementwise_kernelILi16ENS0_13BinaryFunctorIbbbNS0_12_GLOBAL__N_116CompareEqFunctorIbEEEESt5arrayIPcLm3EEEEviT0_T1_.kd
    .uniform_work_group_size: 1
    .uses_dynamic_stack: false
    .vgpr_count:     33
    .vgpr_spill_count: 0
    .wavefront_size: 32
  - .args:
      - .offset:         0
        .size:           4
        .value_kind:     by_value
      - .offset:         4
        .size:           4
        .value_kind:     by_value
      - .offset:         8
        .size:           24
        .value_kind:     by_value
    .group_segment_fixed_size: 0
    .kernarg_segment_align: 8
    .kernarg_segment_size: 32
    .language:       OpenCL C
    .language_version:
      - 2
      - 0
    .max_flat_workgroup_size: 256
    .name:           _ZN2at6native29vectorized_elementwise_kernelILi8ENS0_13BinaryFunctorIbbbNS0_12_GLOBAL__N_116CompareEqFunctorIbEEEESt5arrayIPcLm3EEEEviT0_T1_
    .private_segment_fixed_size: 0
    .sgpr_count:     45
    .sgpr_spill_count: 0
    .symbol:         _ZN2at6native29vectorized_elementwise_kernelILi8ENS0_13BinaryFunctorIbbbNS0_12_GLOBAL__N_116CompareEqFunctorIbEEEESt5arrayIPcLm3EEEEviT0_T1_.kd
    .uniform_work_group_size: 1
    .uses_dynamic_stack: false
    .vgpr_count:     27
    .vgpr_spill_count: 0
    .wavefront_size: 32
  - .args:
      - .offset:         0
        .size:           4
        .value_kind:     by_value
      - .offset:         4
        .size:           4
        .value_kind:     by_value
      - .offset:         8
        .size:           24
        .value_kind:     by_value
    .group_segment_fixed_size: 0
    .kernarg_segment_align: 8
    .kernarg_segment_size: 32
    .language:       OpenCL C
    .language_version:
      - 2
      - 0
    .max_flat_workgroup_size: 256
    .name:           _ZN2at6native29vectorized_elementwise_kernelILi4ENS0_13BinaryFunctorIbbbNS0_12_GLOBAL__N_116CompareEqFunctorIbEEEESt5arrayIPcLm3EEEEviT0_T1_
    .private_segment_fixed_size: 0
    .sgpr_count:     45
    .sgpr_spill_count: 0
    .symbol:         _ZN2at6native29vectorized_elementwise_kernelILi4ENS0_13BinaryFunctorIbbbNS0_12_GLOBAL__N_116CompareEqFunctorIbEEEESt5arrayIPcLm3EEEEviT0_T1_.kd
    .uniform_work_group_size: 1
    .uses_dynamic_stack: false
    .vgpr_count:     26
    .vgpr_spill_count: 0
    .wavefront_size: 32
  - .args:
      - .offset:         0
        .size:           4
        .value_kind:     by_value
      - .offset:         4
        .size:           4
        .value_kind:     by_value
      - .offset:         8
        .size:           24
        .value_kind:     by_value
    .group_segment_fixed_size: 0
    .kernarg_segment_align: 8
    .kernarg_segment_size: 32
    .language:       OpenCL C
    .language_version:
      - 2
      - 0
    .max_flat_workgroup_size: 256
    .name:           _ZN2at6native29vectorized_elementwise_kernelILi2ENS0_13BinaryFunctorIbbbNS0_12_GLOBAL__N_116CompareEqFunctorIbEEEESt5arrayIPcLm3EEEEviT0_T1_
    .private_segment_fixed_size: 0
    .sgpr_count:     47
    .sgpr_spill_count: 0
    .symbol:         _ZN2at6native29vectorized_elementwise_kernelILi2ENS0_13BinaryFunctorIbbbNS0_12_GLOBAL__N_116CompareEqFunctorIbEEEESt5arrayIPcLm3EEEEviT0_T1_.kd
    .uniform_work_group_size: 1
    .uses_dynamic_stack: false
    .vgpr_count:     18
    .vgpr_spill_count: 0
    .wavefront_size: 32
  - .args:
      - .offset:         0
        .size:           4
        .value_kind:     by_value
      - .offset:         4
        .size:           4
        .value_kind:     by_value
      - .offset:         8
        .size:           24
        .value_kind:     by_value
      - .offset:         32
        .size:           1
        .value_kind:     by_value
      - .offset:         33
        .size:           1
        .value_kind:     by_value
      - .offset:         34
        .size:           1
        .value_kind:     by_value
      - .offset:         35
        .size:           1
        .value_kind:     by_value
    .group_segment_fixed_size: 0
    .kernarg_segment_align: 8
    .kernarg_segment_size: 36
    .language:       OpenCL C
    .language_version:
      - 2
      - 0
    .max_flat_workgroup_size: 256
    .name:           _ZN2at6native27unrolled_elementwise_kernelINS0_13BinaryFunctorIbbbNS0_12_GLOBAL__N_116CompareEqFunctorIbEEEESt5arrayIPcLm3EELi4E23TrivialOffsetCalculatorILi2EjESA_ILi1EjENS0_6memory15LoadWithoutCastENSD_16StoreWithoutCastEEEviT_T0_T2_T3_T4_T5_
    .private_segment_fixed_size: 0
    .sgpr_count:     18
    .sgpr_spill_count: 0
    .symbol:         _ZN2at6native27unrolled_elementwise_kernelINS0_13BinaryFunctorIbbbNS0_12_GLOBAL__N_116CompareEqFunctorIbEEEESt5arrayIPcLm3EELi4E23TrivialOffsetCalculatorILi2EjESA_ILi1EjENS0_6memory15LoadWithoutCastENSD_16StoreWithoutCastEEEviT_T0_T2_T3_T4_T5_.kd
    .uniform_work_group_size: 1
    .uses_dynamic_stack: false
    .vgpr_count:     7
    .vgpr_spill_count: 0
    .wavefront_size: 32
  - .args:
      - .offset:         0
        .size:           4
        .value_kind:     by_value
      - .offset:         8
        .size:           424
        .value_kind:     by_value
    .group_segment_fixed_size: 0
    .kernarg_segment_align: 8
    .kernarg_segment_size: 432
    .language:       OpenCL C
    .language_version:
      - 2
      - 0
    .max_flat_workgroup_size: 128
    .name:           _ZN2at6native32elementwise_kernel_manual_unrollILi128ELi8EZNS0_22gpu_kernel_impl_nocastINS0_13BinaryFunctorIbbbNS0_12_GLOBAL__N_116CompareEqFunctorIbEEEEEEvRNS_18TensorIteratorBaseERKT_EUlibE_EEviT1_
    .private_segment_fixed_size: 0
    .sgpr_count:     48
    .sgpr_spill_count: 0
    .symbol:         _ZN2at6native32elementwise_kernel_manual_unrollILi128ELi8EZNS0_22gpu_kernel_impl_nocastINS0_13BinaryFunctorIbbbNS0_12_GLOBAL__N_116CompareEqFunctorIbEEEEEEvRNS_18TensorIteratorBaseERKT_EUlibE_EEviT1_.kd
    .uniform_work_group_size: 1
    .uses_dynamic_stack: false
    .vgpr_count:     39
    .vgpr_spill_count: 0
    .wavefront_size: 32
  - .args:
      - .offset:         0
        .size:           4
        .value_kind:     by_value
      - .offset:         8
        .size:           48
        .value_kind:     by_value
    .group_segment_fixed_size: 0
    .kernarg_segment_align: 8
    .kernarg_segment_size: 56
    .language:       OpenCL C
    .language_version:
      - 2
      - 0
    .max_flat_workgroup_size: 128
    .name:           _ZN2at6native32elementwise_kernel_manual_unrollILi128ELi4EZNS0_15gpu_kernel_implINS0_13BinaryFunctorIbbbNS0_12_GLOBAL__N_116CompareEqFunctorIbEEEEEEvRNS_18TensorIteratorBaseERKT_EUlibE_EEviT1_
    .private_segment_fixed_size: 0
    .sgpr_count:     40
    .sgpr_spill_count: 0
    .symbol:         _ZN2at6native32elementwise_kernel_manual_unrollILi128ELi4EZNS0_15gpu_kernel_implINS0_13BinaryFunctorIbbbNS0_12_GLOBAL__N_116CompareEqFunctorIbEEEEEEvRNS_18TensorIteratorBaseERKT_EUlibE_EEviT1_.kd
    .uniform_work_group_size: 1
    .uses_dynamic_stack: false
    .vgpr_count:     12
    .vgpr_spill_count: 0
    .wavefront_size: 32
  - .args:
      - .offset:         0
        .size:           4
        .value_kind:     by_value
      - .offset:         8
        .size:           424
        .value_kind:     by_value
    .group_segment_fixed_size: 0
    .kernarg_segment_align: 8
    .kernarg_segment_size: 432
    .language:       OpenCL C
    .language_version:
      - 2
      - 0
    .max_flat_workgroup_size: 128
    .name:           _ZN2at6native32elementwise_kernel_manual_unrollILi128ELi4EZNS0_15gpu_kernel_implINS0_13BinaryFunctorIbbbNS0_12_GLOBAL__N_116CompareEqFunctorIbEEEEEEvRNS_18TensorIteratorBaseERKT_EUlibE0_EEviT1_
    .private_segment_fixed_size: 0
    .sgpr_count:     62
    .sgpr_spill_count: 0
    .symbol:         _ZN2at6native32elementwise_kernel_manual_unrollILi128ELi4EZNS0_15gpu_kernel_implINS0_13BinaryFunctorIbbbNS0_12_GLOBAL__N_116CompareEqFunctorIbEEEEEEvRNS_18TensorIteratorBaseERKT_EUlibE0_EEviT1_.kd
    .uniform_work_group_size: 1
    .uses_dynamic_stack: false
    .vgpr_count:     28
    .vgpr_spill_count: 0
    .wavefront_size: 32
  - .args:
      - .offset:         0
        .size:           4
        .value_kind:     by_value
      - .offset:         4
        .size:           8
        .value_kind:     by_value
      - .offset:         16
        .size:           16
        .value_kind:     by_value
    .group_segment_fixed_size: 0
    .kernarg_segment_align: 8
    .kernarg_segment_size: 32
    .language:       OpenCL C
    .language_version:
      - 2
      - 0
    .max_flat_workgroup_size: 256
    .name:           _ZN2at6native29vectorized_elementwise_kernelILi16ENS0_13AUnaryFunctorIbbbNS0_12_GLOBAL__N_116CompareEqFunctorIbEEEESt5arrayIPcLm2EEEEviT0_T1_
    .private_segment_fixed_size: 0
    .sgpr_count:     29
    .sgpr_spill_count: 0
    .symbol:         _ZN2at6native29vectorized_elementwise_kernelILi16ENS0_13AUnaryFunctorIbbbNS0_12_GLOBAL__N_116CompareEqFunctorIbEEEESt5arrayIPcLm2EEEEviT0_T1_.kd
    .uniform_work_group_size: 1
    .uses_dynamic_stack: false
    .vgpr_count:     20
    .vgpr_spill_count: 0
    .wavefront_size: 32
  - .args:
      - .offset:         0
        .size:           4
        .value_kind:     by_value
      - .offset:         4
        .size:           8
        .value_kind:     by_value
      - .offset:         16
        .size:           16
        .value_kind:     by_value
    .group_segment_fixed_size: 0
    .kernarg_segment_align: 8
    .kernarg_segment_size: 32
    .language:       OpenCL C
    .language_version:
      - 2
      - 0
    .max_flat_workgroup_size: 256
    .name:           _ZN2at6native29vectorized_elementwise_kernelILi8ENS0_13AUnaryFunctorIbbbNS0_12_GLOBAL__N_116CompareEqFunctorIbEEEESt5arrayIPcLm2EEEEviT0_T1_
    .private_segment_fixed_size: 0
    .sgpr_count:     29
    .sgpr_spill_count: 0
    .symbol:         _ZN2at6native29vectorized_elementwise_kernelILi8ENS0_13AUnaryFunctorIbbbNS0_12_GLOBAL__N_116CompareEqFunctorIbEEEESt5arrayIPcLm2EEEEviT0_T1_.kd
    .uniform_work_group_size: 1
    .uses_dynamic_stack: false
    .vgpr_count:     20
    .vgpr_spill_count: 0
    .wavefront_size: 32
  - .args:
      - .offset:         0
        .size:           4
        .value_kind:     by_value
      - .offset:         4
        .size:           8
        .value_kind:     by_value
      - .offset:         16
        .size:           16
        .value_kind:     by_value
    .group_segment_fixed_size: 0
    .kernarg_segment_align: 8
    .kernarg_segment_size: 32
    .language:       OpenCL C
    .language_version:
      - 2
      - 0
    .max_flat_workgroup_size: 256
    .name:           _ZN2at6native29vectorized_elementwise_kernelILi4ENS0_13AUnaryFunctorIbbbNS0_12_GLOBAL__N_116CompareEqFunctorIbEEEESt5arrayIPcLm2EEEEviT0_T1_
    .private_segment_fixed_size: 0
    .sgpr_count:     29
    .sgpr_spill_count: 0
    .symbol:         _ZN2at6native29vectorized_elementwise_kernelILi4ENS0_13AUnaryFunctorIbbbNS0_12_GLOBAL__N_116CompareEqFunctorIbEEEESt5arrayIPcLm2EEEEviT0_T1_.kd
    .uniform_work_group_size: 1
    .uses_dynamic_stack: false
    .vgpr_count:     20
    .vgpr_spill_count: 0
    .wavefront_size: 32
  - .args:
      - .offset:         0
        .size:           4
        .value_kind:     by_value
      - .offset:         4
        .size:           8
        .value_kind:     by_value
      - .offset:         16
        .size:           16
        .value_kind:     by_value
    .group_segment_fixed_size: 0
    .kernarg_segment_align: 8
    .kernarg_segment_size: 32
    .language:       OpenCL C
    .language_version:
      - 2
      - 0
    .max_flat_workgroup_size: 256
    .name:           _ZN2at6native29vectorized_elementwise_kernelILi2ENS0_13AUnaryFunctorIbbbNS0_12_GLOBAL__N_116CompareEqFunctorIbEEEESt5arrayIPcLm2EEEEviT0_T1_
    .private_segment_fixed_size: 0
    .sgpr_count:     31
    .sgpr_spill_count: 0
    .symbol:         _ZN2at6native29vectorized_elementwise_kernelILi2ENS0_13AUnaryFunctorIbbbNS0_12_GLOBAL__N_116CompareEqFunctorIbEEEESt5arrayIPcLm2EEEEviT0_T1_.kd
    .uniform_work_group_size: 1
    .uses_dynamic_stack: false
    .vgpr_count:     20
    .vgpr_spill_count: 0
    .wavefront_size: 32
  - .args:
      - .offset:         0
        .size:           4
        .value_kind:     by_value
      - .offset:         4
        .size:           8
        .value_kind:     by_value
      - .offset:         16
        .size:           16
        .value_kind:     by_value
      - .offset:         32
        .size:           1
        .value_kind:     by_value
      - .offset:         33
        .size:           1
        .value_kind:     by_value
      - .offset:         34
        .size:           1
        .value_kind:     by_value
      - .offset:         35
        .size:           1
        .value_kind:     by_value
    .group_segment_fixed_size: 0
    .kernarg_segment_align: 8
    .kernarg_segment_size: 36
    .language:       OpenCL C
    .language_version:
      - 2
      - 0
    .max_flat_workgroup_size: 256
    .name:           _ZN2at6native27unrolled_elementwise_kernelINS0_13AUnaryFunctorIbbbNS0_12_GLOBAL__N_116CompareEqFunctorIbEEEESt5arrayIPcLm2EELi4E23TrivialOffsetCalculatorILi1EjESB_NS0_6memory15LoadWithoutCastENSC_16StoreWithoutCastEEEviT_T0_T2_T3_T4_T5_
    .private_segment_fixed_size: 0
    .sgpr_count:     13
    .sgpr_spill_count: 0
    .symbol:         _ZN2at6native27unrolled_elementwise_kernelINS0_13AUnaryFunctorIbbbNS0_12_GLOBAL__N_116CompareEqFunctorIbEEEESt5arrayIPcLm2EELi4E23TrivialOffsetCalculatorILi1EjESB_NS0_6memory15LoadWithoutCastENSC_16StoreWithoutCastEEEviT_T0_T2_T3_T4_T5_.kd
    .uniform_work_group_size: 1
    .uses_dynamic_stack: false
    .vgpr_count:     8
    .vgpr_spill_count: 0
    .wavefront_size: 32
  - .args:
      - .offset:         0
        .size:           4
        .value_kind:     by_value
      - .offset:         8
        .size:           352
        .value_kind:     by_value
    .group_segment_fixed_size: 0
    .kernarg_segment_align: 8
    .kernarg_segment_size: 360
    .language:       OpenCL C
    .language_version:
      - 2
      - 0
    .max_flat_workgroup_size: 128
    .name:           _ZN2at6native32elementwise_kernel_manual_unrollILi128ELi8EZNS0_22gpu_kernel_impl_nocastINS0_13AUnaryFunctorIbbbNS0_12_GLOBAL__N_116CompareEqFunctorIbEEEEEEvRNS_18TensorIteratorBaseERKT_EUlibE_EEviT1_
    .private_segment_fixed_size: 0
    .sgpr_count:     62
    .sgpr_spill_count: 0
    .symbol:         _ZN2at6native32elementwise_kernel_manual_unrollILi128ELi8EZNS0_22gpu_kernel_impl_nocastINS0_13AUnaryFunctorIbbbNS0_12_GLOBAL__N_116CompareEqFunctorIbEEEEEEvRNS_18TensorIteratorBaseERKT_EUlibE_EEviT1_.kd
    .uniform_work_group_size: 1
    .uses_dynamic_stack: false
    .vgpr_count:     24
    .vgpr_spill_count: 0
    .wavefront_size: 32
  - .args:
      - .offset:         0
        .size:           4
        .value_kind:     by_value
      - .offset:         8
        .size:           40
        .value_kind:     by_value
    .group_segment_fixed_size: 0
    .kernarg_segment_align: 8
    .kernarg_segment_size: 48
    .language:       OpenCL C
    .language_version:
      - 2
      - 0
    .max_flat_workgroup_size: 128
    .name:           _ZN2at6native32elementwise_kernel_manual_unrollILi128ELi4EZNS0_15gpu_kernel_implINS0_13AUnaryFunctorIbbbNS0_12_GLOBAL__N_116CompareEqFunctorIbEEEEEEvRNS_18TensorIteratorBaseERKT_EUlibE_EEviT1_
    .private_segment_fixed_size: 0
    .sgpr_count:     32
    .sgpr_spill_count: 0
    .symbol:         _ZN2at6native32elementwise_kernel_manual_unrollILi128ELi4EZNS0_15gpu_kernel_implINS0_13AUnaryFunctorIbbbNS0_12_GLOBAL__N_116CompareEqFunctorIbEEEEEEvRNS_18TensorIteratorBaseERKT_EUlibE_EEviT1_.kd
    .uniform_work_group_size: 1
    .uses_dynamic_stack: false
    .vgpr_count:     10
    .vgpr_spill_count: 0
    .wavefront_size: 32
  - .args:
      - .offset:         0
        .size:           4
        .value_kind:     by_value
      - .offset:         8
        .size:           360
        .value_kind:     by_value
    .group_segment_fixed_size: 0
    .kernarg_segment_align: 8
    .kernarg_segment_size: 368
    .language:       OpenCL C
    .language_version:
      - 2
      - 0
    .max_flat_workgroup_size: 128
    .name:           _ZN2at6native32elementwise_kernel_manual_unrollILi128ELi4EZNS0_15gpu_kernel_implINS0_13AUnaryFunctorIbbbNS0_12_GLOBAL__N_116CompareEqFunctorIbEEEEEEvRNS_18TensorIteratorBaseERKT_EUlibE0_EEviT1_
    .private_segment_fixed_size: 0
    .sgpr_count:     70
    .sgpr_spill_count: 0
    .symbol:         _ZN2at6native32elementwise_kernel_manual_unrollILi128ELi4EZNS0_15gpu_kernel_implINS0_13AUnaryFunctorIbbbNS0_12_GLOBAL__N_116CompareEqFunctorIbEEEEEEvRNS_18TensorIteratorBaseERKT_EUlibE0_EEviT1_.kd
    .uniform_work_group_size: 1
    .uses_dynamic_stack: false
    .vgpr_count:     20
    .vgpr_spill_count: 0
    .wavefront_size: 32
  - .args:
      - .offset:         0
        .size:           4
        .value_kind:     by_value
      - .offset:         4
        .size:           4
        .value_kind:     by_value
      - .offset:         8
        .size:           24
        .value_kind:     by_value
    .group_segment_fixed_size: 0
    .kernarg_segment_align: 8
    .kernarg_segment_size: 32
    .language:       OpenCL C
    .language_version:
      - 2
      - 0
    .max_flat_workgroup_size: 256
    .name:           _ZN2at6native29vectorized_elementwise_kernelILi16ENS0_13BinaryFunctorIN3c1011Float8_e5m2ES4_bNS0_12_GLOBAL__N_116CompareEqFunctorIS4_EEEESt5arrayIPcLm3EEEEviT0_T1_
    .private_segment_fixed_size: 0
    .sgpr_count:     35
    .sgpr_spill_count: 0
    .symbol:         _ZN2at6native29vectorized_elementwise_kernelILi16ENS0_13BinaryFunctorIN3c1011Float8_e5m2ES4_bNS0_12_GLOBAL__N_116CompareEqFunctorIS4_EEEESt5arrayIPcLm3EEEEviT0_T1_.kd
    .uniform_work_group_size: 1
    .uses_dynamic_stack: false
    .vgpr_count:     67
    .vgpr_spill_count: 0
    .wavefront_size: 32
  - .args:
      - .offset:         0
        .size:           4
        .value_kind:     by_value
      - .offset:         4
        .size:           4
        .value_kind:     by_value
      - .offset:         8
        .size:           24
        .value_kind:     by_value
    .group_segment_fixed_size: 0
    .kernarg_segment_align: 8
    .kernarg_segment_size: 32
    .language:       OpenCL C
    .language_version:
      - 2
      - 0
    .max_flat_workgroup_size: 256
    .name:           _ZN2at6native29vectorized_elementwise_kernelILi8ENS0_13BinaryFunctorIN3c1011Float8_e5m2ES4_bNS0_12_GLOBAL__N_116CompareEqFunctorIS4_EEEESt5arrayIPcLm3EEEEviT0_T1_
    .private_segment_fixed_size: 0
    .sgpr_count:     35
    .sgpr_spill_count: 0
    .symbol:         _ZN2at6native29vectorized_elementwise_kernelILi8ENS0_13BinaryFunctorIN3c1011Float8_e5m2ES4_bNS0_12_GLOBAL__N_116CompareEqFunctorIS4_EEEESt5arrayIPcLm3EEEEviT0_T1_.kd
    .uniform_work_group_size: 1
    .uses_dynamic_stack: false
    .vgpr_count:     67
    .vgpr_spill_count: 0
    .wavefront_size: 32
  - .args:
      - .offset:         0
        .size:           4
        .value_kind:     by_value
      - .offset:         4
        .size:           4
        .value_kind:     by_value
      - .offset:         8
        .size:           24
        .value_kind:     by_value
    .group_segment_fixed_size: 0
    .kernarg_segment_align: 8
    .kernarg_segment_size: 32
    .language:       OpenCL C
    .language_version:
      - 2
      - 0
    .max_flat_workgroup_size: 256
    .name:           _ZN2at6native29vectorized_elementwise_kernelILi4ENS0_13BinaryFunctorIN3c1011Float8_e5m2ES4_bNS0_12_GLOBAL__N_116CompareEqFunctorIS4_EEEESt5arrayIPcLm3EEEEviT0_T1_
    .private_segment_fixed_size: 0
    .sgpr_count:     35
    .sgpr_spill_count: 0
    .symbol:         _ZN2at6native29vectorized_elementwise_kernelILi4ENS0_13BinaryFunctorIN3c1011Float8_e5m2ES4_bNS0_12_GLOBAL__N_116CompareEqFunctorIS4_EEEESt5arrayIPcLm3EEEEviT0_T1_.kd
    .uniform_work_group_size: 1
    .uses_dynamic_stack: false
    .vgpr_count:     67
    .vgpr_spill_count: 0
    .wavefront_size: 32
  - .args:
      - .offset:         0
        .size:           4
        .value_kind:     by_value
      - .offset:         4
        .size:           4
        .value_kind:     by_value
      - .offset:         8
        .size:           24
        .value_kind:     by_value
    .group_segment_fixed_size: 0
    .kernarg_segment_align: 8
    .kernarg_segment_size: 32
    .language:       OpenCL C
    .language_version:
      - 2
      - 0
    .max_flat_workgroup_size: 256
    .name:           _ZN2at6native29vectorized_elementwise_kernelILi2ENS0_13BinaryFunctorIN3c1011Float8_e5m2ES4_bNS0_12_GLOBAL__N_116CompareEqFunctorIS4_EEEESt5arrayIPcLm3EEEEviT0_T1_
    .private_segment_fixed_size: 0
    .sgpr_count:     35
    .sgpr_spill_count: 0
    .symbol:         _ZN2at6native29vectorized_elementwise_kernelILi2ENS0_13BinaryFunctorIN3c1011Float8_e5m2ES4_bNS0_12_GLOBAL__N_116CompareEqFunctorIS4_EEEESt5arrayIPcLm3EEEEviT0_T1_.kd
    .uniform_work_group_size: 1
    .uses_dynamic_stack: false
    .vgpr_count:     81
    .vgpr_spill_count: 0
    .wavefront_size: 32
  - .args:
      - .offset:         0
        .size:           4
        .value_kind:     by_value
      - .offset:         4
        .size:           4
        .value_kind:     by_value
      - .offset:         8
        .size:           24
        .value_kind:     by_value
      - .offset:         32
        .size:           1
        .value_kind:     by_value
      - .offset:         33
        .size:           1
        .value_kind:     by_value
      - .offset:         34
        .size:           1
        .value_kind:     by_value
      - .offset:         35
        .size:           1
        .value_kind:     by_value
    .group_segment_fixed_size: 0
    .kernarg_segment_align: 8
    .kernarg_segment_size: 36
    .language:       OpenCL C
    .language_version:
      - 2
      - 0
    .max_flat_workgroup_size: 256
    .name:           _ZN2at6native27unrolled_elementwise_kernelINS0_13BinaryFunctorIN3c1011Float8_e5m2ES4_bNS0_12_GLOBAL__N_116CompareEqFunctorIS4_EEEESt5arrayIPcLm3EELi4E23TrivialOffsetCalculatorILi2EjESC_ILi1EjENS0_6memory15LoadWithoutCastENSF_16StoreWithoutCastEEEviT_T0_T2_T3_T4_T5_
    .private_segment_fixed_size: 0
    .sgpr_count:     16
    .sgpr_spill_count: 0
    .symbol:         _ZN2at6native27unrolled_elementwise_kernelINS0_13BinaryFunctorIN3c1011Float8_e5m2ES4_bNS0_12_GLOBAL__N_116CompareEqFunctorIS4_EEEESt5arrayIPcLm3EELi4E23TrivialOffsetCalculatorILi2EjESC_ILi1EjENS0_6memory15LoadWithoutCastENSF_16StoreWithoutCastEEEviT_T0_T2_T3_T4_T5_.kd
    .uniform_work_group_size: 1
    .uses_dynamic_stack: false
    .vgpr_count:     16
    .vgpr_spill_count: 0
    .wavefront_size: 32
  - .args:
      - .offset:         0
        .size:           4
        .value_kind:     by_value
      - .offset:         8
        .size:           424
        .value_kind:     by_value
    .group_segment_fixed_size: 0
    .kernarg_segment_align: 8
    .kernarg_segment_size: 432
    .language:       OpenCL C
    .language_version:
      - 2
      - 0
    .max_flat_workgroup_size: 128
    .name:           _ZN2at6native32elementwise_kernel_manual_unrollILi128ELi8EZNS0_22gpu_kernel_impl_nocastINS0_13BinaryFunctorIN3c1011Float8_e5m2ES5_bNS0_12_GLOBAL__N_116CompareEqFunctorIS5_EEEEEEvRNS_18TensorIteratorBaseERKT_EUlibE_EEviT1_
    .private_segment_fixed_size: 0
    .sgpr_count:     48
    .sgpr_spill_count: 0
    .symbol:         _ZN2at6native32elementwise_kernel_manual_unrollILi128ELi8EZNS0_22gpu_kernel_impl_nocastINS0_13BinaryFunctorIN3c1011Float8_e5m2ES5_bNS0_12_GLOBAL__N_116CompareEqFunctorIS5_EEEEEEvRNS_18TensorIteratorBaseERKT_EUlibE_EEviT1_.kd
    .uniform_work_group_size: 1
    .uses_dynamic_stack: false
    .vgpr_count:     64
    .vgpr_spill_count: 0
    .wavefront_size: 32
  - .args:
      - .offset:         0
        .size:           4
        .value_kind:     by_value
      - .offset:         8
        .size:           48
        .value_kind:     by_value
    .group_segment_fixed_size: 0
    .kernarg_segment_align: 8
    .kernarg_segment_size: 56
    .language:       OpenCL C
    .language_version:
      - 2
      - 0
    .max_flat_workgroup_size: 128
    .name:           _ZN2at6native32elementwise_kernel_manual_unrollILi128ELi4EZNS0_15gpu_kernel_implINS0_13BinaryFunctorIN3c1011Float8_e5m2ES5_bNS0_12_GLOBAL__N_116CompareEqFunctorIS5_EEEEEEvRNS_18TensorIteratorBaseERKT_EUlibE_EEviT1_
    .private_segment_fixed_size: 64
    .sgpr_count:     35
    .sgpr_spill_count: 0
    .symbol:         _ZN2at6native32elementwise_kernel_manual_unrollILi128ELi4EZNS0_15gpu_kernel_implINS0_13BinaryFunctorIN3c1011Float8_e5m2ES5_bNS0_12_GLOBAL__N_116CompareEqFunctorIS5_EEEEEEvRNS_18TensorIteratorBaseERKT_EUlibE_EEviT1_.kd
    .uniform_work_group_size: 1
    .uses_dynamic_stack: false
    .vgpr_count:     28
    .vgpr_spill_count: 0
    .wavefront_size: 32
  - .args:
      - .offset:         0
        .size:           4
        .value_kind:     by_value
      - .offset:         8
        .size:           424
        .value_kind:     by_value
    .group_segment_fixed_size: 0
    .kernarg_segment_align: 8
    .kernarg_segment_size: 432
    .language:       OpenCL C
    .language_version:
      - 2
      - 0
    .max_flat_workgroup_size: 128
    .name:           _ZN2at6native32elementwise_kernel_manual_unrollILi128ELi4EZNS0_15gpu_kernel_implINS0_13BinaryFunctorIN3c1011Float8_e5m2ES5_bNS0_12_GLOBAL__N_116CompareEqFunctorIS5_EEEEEEvRNS_18TensorIteratorBaseERKT_EUlibE0_EEviT1_
    .private_segment_fixed_size: 464
    .sgpr_count:     98
    .sgpr_spill_count: 0
    .symbol:         _ZN2at6native32elementwise_kernel_manual_unrollILi128ELi4EZNS0_15gpu_kernel_implINS0_13BinaryFunctorIN3c1011Float8_e5m2ES5_bNS0_12_GLOBAL__N_116CompareEqFunctorIS5_EEEEEEvRNS_18TensorIteratorBaseERKT_EUlibE0_EEviT1_.kd
    .uniform_work_group_size: 1
    .uses_dynamic_stack: false
    .vgpr_count:     37
    .vgpr_spill_count: 0
    .wavefront_size: 32
  - .args:
      - .offset:         0
        .size:           4
        .value_kind:     by_value
      - .offset:         4
        .size:           8
        .value_kind:     by_value
      - .offset:         16
        .size:           16
        .value_kind:     by_value
    .group_segment_fixed_size: 0
    .kernarg_segment_align: 8
    .kernarg_segment_size: 32
    .language:       OpenCL C
    .language_version:
      - 2
      - 0
    .max_flat_workgroup_size: 256
    .name:           _ZN2at6native29vectorized_elementwise_kernelILi16ENS0_13AUnaryFunctorIN3c1011Float8_e5m2ES4_bNS0_12_GLOBAL__N_116CompareEqFunctorIS4_EEEESt5arrayIPcLm2EEEEviT0_T1_
    .private_segment_fixed_size: 0
    .sgpr_count:     25
    .sgpr_spill_count: 0
    .symbol:         _ZN2at6native29vectorized_elementwise_kernelILi16ENS0_13AUnaryFunctorIN3c1011Float8_e5m2ES4_bNS0_12_GLOBAL__N_116CompareEqFunctorIS4_EEEESt5arrayIPcLm2EEEEviT0_T1_.kd
    .uniform_work_group_size: 1
    .uses_dynamic_stack: false
    .vgpr_count:     60
    .vgpr_spill_count: 0
    .wavefront_size: 32
  - .args:
      - .offset:         0
        .size:           4
        .value_kind:     by_value
      - .offset:         4
        .size:           8
        .value_kind:     by_value
      - .offset:         16
        .size:           16
        .value_kind:     by_value
    .group_segment_fixed_size: 0
    .kernarg_segment_align: 8
    .kernarg_segment_size: 32
    .language:       OpenCL C
    .language_version:
      - 2
      - 0
    .max_flat_workgroup_size: 256
    .name:           _ZN2at6native29vectorized_elementwise_kernelILi8ENS0_13AUnaryFunctorIN3c1011Float8_e5m2ES4_bNS0_12_GLOBAL__N_116CompareEqFunctorIS4_EEEESt5arrayIPcLm2EEEEviT0_T1_
    .private_segment_fixed_size: 0
    .sgpr_count:     25
    .sgpr_spill_count: 0
    .symbol:         _ZN2at6native29vectorized_elementwise_kernelILi8ENS0_13AUnaryFunctorIN3c1011Float8_e5m2ES4_bNS0_12_GLOBAL__N_116CompareEqFunctorIS4_EEEESt5arrayIPcLm2EEEEviT0_T1_.kd
    .uniform_work_group_size: 1
    .uses_dynamic_stack: false
    .vgpr_count:     63
    .vgpr_spill_count: 0
    .wavefront_size: 32
  - .args:
      - .offset:         0
        .size:           4
        .value_kind:     by_value
      - .offset:         4
        .size:           8
        .value_kind:     by_value
      - .offset:         16
        .size:           16
        .value_kind:     by_value
    .group_segment_fixed_size: 0
    .kernarg_segment_align: 8
    .kernarg_segment_size: 32
    .language:       OpenCL C
    .language_version:
      - 2
      - 0
    .max_flat_workgroup_size: 256
    .name:           _ZN2at6native29vectorized_elementwise_kernelILi4ENS0_13AUnaryFunctorIN3c1011Float8_e5m2ES4_bNS0_12_GLOBAL__N_116CompareEqFunctorIS4_EEEESt5arrayIPcLm2EEEEviT0_T1_
    .private_segment_fixed_size: 0
    .sgpr_count:     25
    .sgpr_spill_count: 0
    .symbol:         _ZN2at6native29vectorized_elementwise_kernelILi4ENS0_13AUnaryFunctorIN3c1011Float8_e5m2ES4_bNS0_12_GLOBAL__N_116CompareEqFunctorIS4_EEEESt5arrayIPcLm2EEEEviT0_T1_.kd
    .uniform_work_group_size: 1
    .uses_dynamic_stack: false
    .vgpr_count:     63
    .vgpr_spill_count: 0
    .wavefront_size: 32
  - .args:
      - .offset:         0
        .size:           4
        .value_kind:     by_value
      - .offset:         4
        .size:           8
        .value_kind:     by_value
      - .offset:         16
        .size:           16
        .value_kind:     by_value
    .group_segment_fixed_size: 0
    .kernarg_segment_align: 8
    .kernarg_segment_size: 32
    .language:       OpenCL C
    .language_version:
      - 2
      - 0
    .max_flat_workgroup_size: 256
    .name:           _ZN2at6native29vectorized_elementwise_kernelILi2ENS0_13AUnaryFunctorIN3c1011Float8_e5m2ES4_bNS0_12_GLOBAL__N_116CompareEqFunctorIS4_EEEESt5arrayIPcLm2EEEEviT0_T1_
    .private_segment_fixed_size: 0
    .sgpr_count:     25
    .sgpr_spill_count: 0
    .symbol:         _ZN2at6native29vectorized_elementwise_kernelILi2ENS0_13AUnaryFunctorIN3c1011Float8_e5m2ES4_bNS0_12_GLOBAL__N_116CompareEqFunctorIS4_EEEESt5arrayIPcLm2EEEEviT0_T1_.kd
    .uniform_work_group_size: 1
    .uses_dynamic_stack: false
    .vgpr_count:     65
    .vgpr_spill_count: 0
    .wavefront_size: 32
  - .args:
      - .offset:         0
        .size:           4
        .value_kind:     by_value
      - .offset:         4
        .size:           8
        .value_kind:     by_value
      - .offset:         16
        .size:           16
        .value_kind:     by_value
      - .offset:         32
        .size:           1
        .value_kind:     by_value
      - .offset:         33
        .size:           1
        .value_kind:     by_value
      - .offset:         34
        .size:           1
        .value_kind:     by_value
      - .offset:         35
        .size:           1
        .value_kind:     by_value
    .group_segment_fixed_size: 0
    .kernarg_segment_align: 8
    .kernarg_segment_size: 36
    .language:       OpenCL C
    .language_version:
      - 2
      - 0
    .max_flat_workgroup_size: 256
    .name:           _ZN2at6native27unrolled_elementwise_kernelINS0_13AUnaryFunctorIN3c1011Float8_e5m2ES4_bNS0_12_GLOBAL__N_116CompareEqFunctorIS4_EEEESt5arrayIPcLm2EELi4E23TrivialOffsetCalculatorILi1EjESD_NS0_6memory15LoadWithoutCastENSE_16StoreWithoutCastEEEviT_T0_T2_T3_T4_T5_
    .private_segment_fixed_size: 0
    .sgpr_count:     15
    .sgpr_spill_count: 0
    .symbol:         _ZN2at6native27unrolled_elementwise_kernelINS0_13AUnaryFunctorIN3c1011Float8_e5m2ES4_bNS0_12_GLOBAL__N_116CompareEqFunctorIS4_EEEESt5arrayIPcLm2EELi4E23TrivialOffsetCalculatorILi1EjESD_NS0_6memory15LoadWithoutCastENSE_16StoreWithoutCastEEEviT_T0_T2_T3_T4_T5_.kd
    .uniform_work_group_size: 1
    .uses_dynamic_stack: false
    .vgpr_count:     10
    .vgpr_spill_count: 0
    .wavefront_size: 32
  - .args:
      - .offset:         0
        .size:           4
        .value_kind:     by_value
      - .offset:         8
        .size:           352
        .value_kind:     by_value
    .group_segment_fixed_size: 0
    .kernarg_segment_align: 8
    .kernarg_segment_size: 360
    .language:       OpenCL C
    .language_version:
      - 2
      - 0
    .max_flat_workgroup_size: 128
    .name:           _ZN2at6native32elementwise_kernel_manual_unrollILi128ELi8EZNS0_22gpu_kernel_impl_nocastINS0_13AUnaryFunctorIN3c1011Float8_e5m2ES5_bNS0_12_GLOBAL__N_116CompareEqFunctorIS5_EEEEEEvRNS_18TensorIteratorBaseERKT_EUlibE_EEviT1_
    .private_segment_fixed_size: 0
    .sgpr_count:     62
    .sgpr_spill_count: 0
    .symbol:         _ZN2at6native32elementwise_kernel_manual_unrollILi128ELi8EZNS0_22gpu_kernel_impl_nocastINS0_13AUnaryFunctorIN3c1011Float8_e5m2ES5_bNS0_12_GLOBAL__N_116CompareEqFunctorIS5_EEEEEEvRNS_18TensorIteratorBaseERKT_EUlibE_EEviT1_.kd
    .uniform_work_group_size: 1
    .uses_dynamic_stack: false
    .vgpr_count:     47
    .vgpr_spill_count: 0
    .wavefront_size: 32
  - .args:
      - .offset:         0
        .size:           4
        .value_kind:     by_value
      - .offset:         8
        .size:           40
        .value_kind:     by_value
    .group_segment_fixed_size: 0
    .kernarg_segment_align: 8
    .kernarg_segment_size: 48
    .language:       OpenCL C
    .language_version:
      - 2
      - 0
    .max_flat_workgroup_size: 128
    .name:           _ZN2at6native32elementwise_kernel_manual_unrollILi128ELi4EZNS0_15gpu_kernel_implINS0_13AUnaryFunctorIN3c1011Float8_e5m2ES5_bNS0_12_GLOBAL__N_116CompareEqFunctorIS5_EEEEEEvRNS_18TensorIteratorBaseERKT_EUlibE_EEviT1_
    .private_segment_fixed_size: 0
    .sgpr_count:     33
    .sgpr_spill_count: 0
    .symbol:         _ZN2at6native32elementwise_kernel_manual_unrollILi128ELi4EZNS0_15gpu_kernel_implINS0_13AUnaryFunctorIN3c1011Float8_e5m2ES5_bNS0_12_GLOBAL__N_116CompareEqFunctorIS5_EEEEEEvRNS_18TensorIteratorBaseERKT_EUlibE_EEviT1_.kd
    .uniform_work_group_size: 1
    .uses_dynamic_stack: false
    .vgpr_count:     14
    .vgpr_spill_count: 0
    .wavefront_size: 32
  - .args:
      - .offset:         0
        .size:           4
        .value_kind:     by_value
      - .offset:         8
        .size:           360
        .value_kind:     by_value
    .group_segment_fixed_size: 0
    .kernarg_segment_align: 8
    .kernarg_segment_size: 368
    .language:       OpenCL C
    .language_version:
      - 2
      - 0
    .max_flat_workgroup_size: 128
    .name:           _ZN2at6native32elementwise_kernel_manual_unrollILi128ELi4EZNS0_15gpu_kernel_implINS0_13AUnaryFunctorIN3c1011Float8_e5m2ES5_bNS0_12_GLOBAL__N_116CompareEqFunctorIS5_EEEEEEvRNS_18TensorIteratorBaseERKT_EUlibE0_EEviT1_
    .private_segment_fixed_size: 0
    .sgpr_count:     74
    .sgpr_spill_count: 0
    .symbol:         _ZN2at6native32elementwise_kernel_manual_unrollILi128ELi4EZNS0_15gpu_kernel_implINS0_13AUnaryFunctorIN3c1011Float8_e5m2ES5_bNS0_12_GLOBAL__N_116CompareEqFunctorIS5_EEEEEEvRNS_18TensorIteratorBaseERKT_EUlibE0_EEviT1_.kd
    .uniform_work_group_size: 1
    .uses_dynamic_stack: false
    .vgpr_count:     18
    .vgpr_spill_count: 0
    .wavefront_size: 32
  - .args:
      - .offset:         0
        .size:           4
        .value_kind:     by_value
      - .offset:         4
        .size:           4
        .value_kind:     by_value
      - .offset:         8
        .size:           24
        .value_kind:     by_value
    .group_segment_fixed_size: 0
    .kernarg_segment_align: 8
    .kernarg_segment_size: 32
    .language:       OpenCL C
    .language_version:
      - 2
      - 0
    .max_flat_workgroup_size: 256
    .name:           _ZN2at6native29vectorized_elementwise_kernelILi16ENS0_13BinaryFunctorIN3c1015Float8_e5m2fnuzES4_bNS0_12_GLOBAL__N_116CompareEqFunctorIS4_EEEESt5arrayIPcLm3EEEEviT0_T1_
    .private_segment_fixed_size: 0
    .sgpr_count:     35
    .sgpr_spill_count: 0
    .symbol:         _ZN2at6native29vectorized_elementwise_kernelILi16ENS0_13BinaryFunctorIN3c1015Float8_e5m2fnuzES4_bNS0_12_GLOBAL__N_116CompareEqFunctorIS4_EEEESt5arrayIPcLm3EEEEviT0_T1_.kd
    .uniform_work_group_size: 1
    .uses_dynamic_stack: false
    .vgpr_count:     67
    .vgpr_spill_count: 0
    .wavefront_size: 32
  - .args:
      - .offset:         0
        .size:           4
        .value_kind:     by_value
      - .offset:         4
        .size:           4
        .value_kind:     by_value
      - .offset:         8
        .size:           24
        .value_kind:     by_value
    .group_segment_fixed_size: 0
    .kernarg_segment_align: 8
    .kernarg_segment_size: 32
    .language:       OpenCL C
    .language_version:
      - 2
      - 0
    .max_flat_workgroup_size: 256
    .name:           _ZN2at6native29vectorized_elementwise_kernelILi8ENS0_13BinaryFunctorIN3c1015Float8_e5m2fnuzES4_bNS0_12_GLOBAL__N_116CompareEqFunctorIS4_EEEESt5arrayIPcLm3EEEEviT0_T1_
    .private_segment_fixed_size: 0
    .sgpr_count:     35
    .sgpr_spill_count: 0
    .symbol:         _ZN2at6native29vectorized_elementwise_kernelILi8ENS0_13BinaryFunctorIN3c1015Float8_e5m2fnuzES4_bNS0_12_GLOBAL__N_116CompareEqFunctorIS4_EEEESt5arrayIPcLm3EEEEviT0_T1_.kd
    .uniform_work_group_size: 1
    .uses_dynamic_stack: false
    .vgpr_count:     67
    .vgpr_spill_count: 0
    .wavefront_size: 32
  - .args:
      - .offset:         0
        .size:           4
        .value_kind:     by_value
      - .offset:         4
        .size:           4
        .value_kind:     by_value
      - .offset:         8
        .size:           24
        .value_kind:     by_value
    .group_segment_fixed_size: 0
    .kernarg_segment_align: 8
    .kernarg_segment_size: 32
    .language:       OpenCL C
    .language_version:
      - 2
      - 0
    .max_flat_workgroup_size: 256
    .name:           _ZN2at6native29vectorized_elementwise_kernelILi4ENS0_13BinaryFunctorIN3c1015Float8_e5m2fnuzES4_bNS0_12_GLOBAL__N_116CompareEqFunctorIS4_EEEESt5arrayIPcLm3EEEEviT0_T1_
    .private_segment_fixed_size: 0
    .sgpr_count:     35
    .sgpr_spill_count: 0
    .symbol:         _ZN2at6native29vectorized_elementwise_kernelILi4ENS0_13BinaryFunctorIN3c1015Float8_e5m2fnuzES4_bNS0_12_GLOBAL__N_116CompareEqFunctorIS4_EEEESt5arrayIPcLm3EEEEviT0_T1_.kd
    .uniform_work_group_size: 1
    .uses_dynamic_stack: false
    .vgpr_count:     67
    .vgpr_spill_count: 0
    .wavefront_size: 32
  - .args:
      - .offset:         0
        .size:           4
        .value_kind:     by_value
      - .offset:         4
        .size:           4
        .value_kind:     by_value
      - .offset:         8
        .size:           24
        .value_kind:     by_value
    .group_segment_fixed_size: 0
    .kernarg_segment_align: 8
    .kernarg_segment_size: 32
    .language:       OpenCL C
    .language_version:
      - 2
      - 0
    .max_flat_workgroup_size: 256
    .name:           _ZN2at6native29vectorized_elementwise_kernelILi2ENS0_13BinaryFunctorIN3c1015Float8_e5m2fnuzES4_bNS0_12_GLOBAL__N_116CompareEqFunctorIS4_EEEESt5arrayIPcLm3EEEEviT0_T1_
    .private_segment_fixed_size: 0
    .sgpr_count:     35
    .sgpr_spill_count: 0
    .symbol:         _ZN2at6native29vectorized_elementwise_kernelILi2ENS0_13BinaryFunctorIN3c1015Float8_e5m2fnuzES4_bNS0_12_GLOBAL__N_116CompareEqFunctorIS4_EEEESt5arrayIPcLm3EEEEviT0_T1_.kd
    .uniform_work_group_size: 1
    .uses_dynamic_stack: false
    .vgpr_count:     67
    .vgpr_spill_count: 0
    .wavefront_size: 32
  - .args:
      - .offset:         0
        .size:           4
        .value_kind:     by_value
      - .offset:         4
        .size:           4
        .value_kind:     by_value
      - .offset:         8
        .size:           24
        .value_kind:     by_value
      - .offset:         32
        .size:           1
        .value_kind:     by_value
      - .offset:         33
        .size:           1
        .value_kind:     by_value
      - .offset:         34
        .size:           1
        .value_kind:     by_value
      - .offset:         35
        .size:           1
        .value_kind:     by_value
    .group_segment_fixed_size: 0
    .kernarg_segment_align: 8
    .kernarg_segment_size: 36
    .language:       OpenCL C
    .language_version:
      - 2
      - 0
    .max_flat_workgroup_size: 256
    .name:           _ZN2at6native27unrolled_elementwise_kernelINS0_13BinaryFunctorIN3c1015Float8_e5m2fnuzES4_bNS0_12_GLOBAL__N_116CompareEqFunctorIS4_EEEESt5arrayIPcLm3EELi4E23TrivialOffsetCalculatorILi2EjESC_ILi1EjENS0_6memory15LoadWithoutCastENSF_16StoreWithoutCastEEEviT_T0_T2_T3_T4_T5_
    .private_segment_fixed_size: 0
    .sgpr_count:     16
    .sgpr_spill_count: 0
    .symbol:         _ZN2at6native27unrolled_elementwise_kernelINS0_13BinaryFunctorIN3c1015Float8_e5m2fnuzES4_bNS0_12_GLOBAL__N_116CompareEqFunctorIS4_EEEESt5arrayIPcLm3EELi4E23TrivialOffsetCalculatorILi2EjESC_ILi1EjENS0_6memory15LoadWithoutCastENSF_16StoreWithoutCastEEEviT_T0_T2_T3_T4_T5_.kd
    .uniform_work_group_size: 1
    .uses_dynamic_stack: false
    .vgpr_count:     18
    .vgpr_spill_count: 0
    .wavefront_size: 32
  - .args:
      - .offset:         0
        .size:           4
        .value_kind:     by_value
      - .offset:         8
        .size:           424
        .value_kind:     by_value
    .group_segment_fixed_size: 0
    .kernarg_segment_align: 8
    .kernarg_segment_size: 432
    .language:       OpenCL C
    .language_version:
      - 2
      - 0
    .max_flat_workgroup_size: 128
    .name:           _ZN2at6native32elementwise_kernel_manual_unrollILi128ELi8EZNS0_22gpu_kernel_impl_nocastINS0_13BinaryFunctorIN3c1015Float8_e5m2fnuzES5_bNS0_12_GLOBAL__N_116CompareEqFunctorIS5_EEEEEEvRNS_18TensorIteratorBaseERKT_EUlibE_EEviT1_
    .private_segment_fixed_size: 0
    .sgpr_count:     48
    .sgpr_spill_count: 0
    .symbol:         _ZN2at6native32elementwise_kernel_manual_unrollILi128ELi8EZNS0_22gpu_kernel_impl_nocastINS0_13BinaryFunctorIN3c1015Float8_e5m2fnuzES5_bNS0_12_GLOBAL__N_116CompareEqFunctorIS5_EEEEEEvRNS_18TensorIteratorBaseERKT_EUlibE_EEviT1_.kd
    .uniform_work_group_size: 1
    .uses_dynamic_stack: false
    .vgpr_count:     31
    .vgpr_spill_count: 0
    .wavefront_size: 32
  - .args:
      - .offset:         0
        .size:           4
        .value_kind:     by_value
      - .offset:         8
        .size:           48
        .value_kind:     by_value
    .group_segment_fixed_size: 0
    .kernarg_segment_align: 8
    .kernarg_segment_size: 56
    .language:       OpenCL C
    .language_version:
      - 2
      - 0
    .max_flat_workgroup_size: 128
    .name:           _ZN2at6native32elementwise_kernel_manual_unrollILi128ELi4EZNS0_15gpu_kernel_implINS0_13BinaryFunctorIN3c1015Float8_e5m2fnuzES5_bNS0_12_GLOBAL__N_116CompareEqFunctorIS5_EEEEEEvRNS_18TensorIteratorBaseERKT_EUlibE_EEviT1_
    .private_segment_fixed_size: 64
    .sgpr_count:     35
    .sgpr_spill_count: 0
    .symbol:         _ZN2at6native32elementwise_kernel_manual_unrollILi128ELi4EZNS0_15gpu_kernel_implINS0_13BinaryFunctorIN3c1015Float8_e5m2fnuzES5_bNS0_12_GLOBAL__N_116CompareEqFunctorIS5_EEEEEEvRNS_18TensorIteratorBaseERKT_EUlibE_EEviT1_.kd
    .uniform_work_group_size: 1
    .uses_dynamic_stack: false
    .vgpr_count:     28
    .vgpr_spill_count: 0
    .wavefront_size: 32
  - .args:
      - .offset:         0
        .size:           4
        .value_kind:     by_value
      - .offset:         8
        .size:           424
        .value_kind:     by_value
    .group_segment_fixed_size: 0
    .kernarg_segment_align: 8
    .kernarg_segment_size: 432
    .language:       OpenCL C
    .language_version:
      - 2
      - 0
    .max_flat_workgroup_size: 128
    .name:           _ZN2at6native32elementwise_kernel_manual_unrollILi128ELi4EZNS0_15gpu_kernel_implINS0_13BinaryFunctorIN3c1015Float8_e5m2fnuzES5_bNS0_12_GLOBAL__N_116CompareEqFunctorIS5_EEEEEEvRNS_18TensorIteratorBaseERKT_EUlibE0_EEviT1_
    .private_segment_fixed_size: 448
    .sgpr_count:     98
    .sgpr_spill_count: 0
    .symbol:         _ZN2at6native32elementwise_kernel_manual_unrollILi128ELi4EZNS0_15gpu_kernel_implINS0_13BinaryFunctorIN3c1015Float8_e5m2fnuzES5_bNS0_12_GLOBAL__N_116CompareEqFunctorIS5_EEEEEEvRNS_18TensorIteratorBaseERKT_EUlibE0_EEviT1_.kd
    .uniform_work_group_size: 1
    .uses_dynamic_stack: false
    .vgpr_count:     40
    .vgpr_spill_count: 0
    .wavefront_size: 32
  - .args:
      - .offset:         0
        .size:           4
        .value_kind:     by_value
      - .offset:         4
        .size:           8
        .value_kind:     by_value
      - .offset:         16
        .size:           16
        .value_kind:     by_value
    .group_segment_fixed_size: 0
    .kernarg_segment_align: 8
    .kernarg_segment_size: 32
    .language:       OpenCL C
    .language_version:
      - 2
      - 0
    .max_flat_workgroup_size: 256
    .name:           _ZN2at6native29vectorized_elementwise_kernelILi16ENS0_13AUnaryFunctorIN3c1015Float8_e5m2fnuzES4_bNS0_12_GLOBAL__N_116CompareEqFunctorIS4_EEEESt5arrayIPcLm2EEEEviT0_T1_
    .private_segment_fixed_size: 0
    .sgpr_count:     35
    .sgpr_spill_count: 0
    .symbol:         _ZN2at6native29vectorized_elementwise_kernelILi16ENS0_13AUnaryFunctorIN3c1015Float8_e5m2fnuzES4_bNS0_12_GLOBAL__N_116CompareEqFunctorIS4_EEEESt5arrayIPcLm2EEEEviT0_T1_.kd
    .uniform_work_group_size: 1
    .uses_dynamic_stack: false
    .vgpr_count:     32
    .vgpr_spill_count: 0
    .wavefront_size: 32
  - .args:
      - .offset:         0
        .size:           4
        .value_kind:     by_value
      - .offset:         4
        .size:           8
        .value_kind:     by_value
      - .offset:         16
        .size:           16
        .value_kind:     by_value
    .group_segment_fixed_size: 0
    .kernarg_segment_align: 8
    .kernarg_segment_size: 32
    .language:       OpenCL C
    .language_version:
      - 2
      - 0
    .max_flat_workgroup_size: 256
    .name:           _ZN2at6native29vectorized_elementwise_kernelILi8ENS0_13AUnaryFunctorIN3c1015Float8_e5m2fnuzES4_bNS0_12_GLOBAL__N_116CompareEqFunctorIS4_EEEESt5arrayIPcLm2EEEEviT0_T1_
    .private_segment_fixed_size: 0
    .sgpr_count:     35
    .sgpr_spill_count: 0
    .symbol:         _ZN2at6native29vectorized_elementwise_kernelILi8ENS0_13AUnaryFunctorIN3c1015Float8_e5m2fnuzES4_bNS0_12_GLOBAL__N_116CompareEqFunctorIS4_EEEESt5arrayIPcLm2EEEEviT0_T1_.kd
    .uniform_work_group_size: 1
    .uses_dynamic_stack: false
    .vgpr_count:     32
    .vgpr_spill_count: 0
    .wavefront_size: 32
  - .args:
      - .offset:         0
        .size:           4
        .value_kind:     by_value
      - .offset:         4
        .size:           8
        .value_kind:     by_value
      - .offset:         16
        .size:           16
        .value_kind:     by_value
    .group_segment_fixed_size: 0
    .kernarg_segment_align: 8
    .kernarg_segment_size: 32
    .language:       OpenCL C
    .language_version:
      - 2
      - 0
    .max_flat_workgroup_size: 256
    .name:           _ZN2at6native29vectorized_elementwise_kernelILi4ENS0_13AUnaryFunctorIN3c1015Float8_e5m2fnuzES4_bNS0_12_GLOBAL__N_116CompareEqFunctorIS4_EEEESt5arrayIPcLm2EEEEviT0_T1_
    .private_segment_fixed_size: 0
    .sgpr_count:     35
    .sgpr_spill_count: 0
    .symbol:         _ZN2at6native29vectorized_elementwise_kernelILi4ENS0_13AUnaryFunctorIN3c1015Float8_e5m2fnuzES4_bNS0_12_GLOBAL__N_116CompareEqFunctorIS4_EEEESt5arrayIPcLm2EEEEviT0_T1_.kd
    .uniform_work_group_size: 1
    .uses_dynamic_stack: false
    .vgpr_count:     32
    .vgpr_spill_count: 0
    .wavefront_size: 32
  - .args:
      - .offset:         0
        .size:           4
        .value_kind:     by_value
      - .offset:         4
        .size:           8
        .value_kind:     by_value
      - .offset:         16
        .size:           16
        .value_kind:     by_value
    .group_segment_fixed_size: 0
    .kernarg_segment_align: 8
    .kernarg_segment_size: 32
    .language:       OpenCL C
    .language_version:
      - 2
      - 0
    .max_flat_workgroup_size: 256
    .name:           _ZN2at6native29vectorized_elementwise_kernelILi2ENS0_13AUnaryFunctorIN3c1015Float8_e5m2fnuzES4_bNS0_12_GLOBAL__N_116CompareEqFunctorIS4_EEEESt5arrayIPcLm2EEEEviT0_T1_
    .private_segment_fixed_size: 0
    .sgpr_count:     35
    .sgpr_spill_count: 0
    .symbol:         _ZN2at6native29vectorized_elementwise_kernelILi2ENS0_13AUnaryFunctorIN3c1015Float8_e5m2fnuzES4_bNS0_12_GLOBAL__N_116CompareEqFunctorIS4_EEEESt5arrayIPcLm2EEEEviT0_T1_.kd
    .uniform_work_group_size: 1
    .uses_dynamic_stack: false
    .vgpr_count:     32
    .vgpr_spill_count: 0
    .wavefront_size: 32
  - .args:
      - .offset:         0
        .size:           4
        .value_kind:     by_value
      - .offset:         4
        .size:           8
        .value_kind:     by_value
      - .offset:         16
        .size:           16
        .value_kind:     by_value
      - .offset:         32
        .size:           1
        .value_kind:     by_value
      - .offset:         33
        .size:           1
        .value_kind:     by_value
      - .offset:         34
        .size:           1
        .value_kind:     by_value
      - .offset:         35
        .size:           1
        .value_kind:     by_value
    .group_segment_fixed_size: 0
    .kernarg_segment_align: 8
    .kernarg_segment_size: 36
    .language:       OpenCL C
    .language_version:
      - 2
      - 0
    .max_flat_workgroup_size: 256
    .name:           _ZN2at6native27unrolled_elementwise_kernelINS0_13AUnaryFunctorIN3c1015Float8_e5m2fnuzES4_bNS0_12_GLOBAL__N_116CompareEqFunctorIS4_EEEESt5arrayIPcLm2EELi4E23TrivialOffsetCalculatorILi1EjESD_NS0_6memory15LoadWithoutCastENSE_16StoreWithoutCastEEEviT_T0_T2_T3_T4_T5_
    .private_segment_fixed_size: 0
    .sgpr_count:     15
    .sgpr_spill_count: 0
    .symbol:         _ZN2at6native27unrolled_elementwise_kernelINS0_13AUnaryFunctorIN3c1015Float8_e5m2fnuzES4_bNS0_12_GLOBAL__N_116CompareEqFunctorIS4_EEEESt5arrayIPcLm2EELi4E23TrivialOffsetCalculatorILi1EjESD_NS0_6memory15LoadWithoutCastENSE_16StoreWithoutCastEEEviT_T0_T2_T3_T4_T5_.kd
    .uniform_work_group_size: 1
    .uses_dynamic_stack: false
    .vgpr_count:     13
    .vgpr_spill_count: 0
    .wavefront_size: 32
  - .args:
      - .offset:         0
        .size:           4
        .value_kind:     by_value
      - .offset:         8
        .size:           352
        .value_kind:     by_value
    .group_segment_fixed_size: 0
    .kernarg_segment_align: 8
    .kernarg_segment_size: 360
    .language:       OpenCL C
    .language_version:
      - 2
      - 0
    .max_flat_workgroup_size: 128
    .name:           _ZN2at6native32elementwise_kernel_manual_unrollILi128ELi8EZNS0_22gpu_kernel_impl_nocastINS0_13AUnaryFunctorIN3c1015Float8_e5m2fnuzES5_bNS0_12_GLOBAL__N_116CompareEqFunctorIS5_EEEEEEvRNS_18TensorIteratorBaseERKT_EUlibE_EEviT1_
    .private_segment_fixed_size: 0
    .sgpr_count:     62
    .sgpr_spill_count: 0
    .symbol:         _ZN2at6native32elementwise_kernel_manual_unrollILi128ELi8EZNS0_22gpu_kernel_impl_nocastINS0_13AUnaryFunctorIN3c1015Float8_e5m2fnuzES5_bNS0_12_GLOBAL__N_116CompareEqFunctorIS5_EEEEEEvRNS_18TensorIteratorBaseERKT_EUlibE_EEviT1_.kd
    .uniform_work_group_size: 1
    .uses_dynamic_stack: false
    .vgpr_count:     23
    .vgpr_spill_count: 0
    .wavefront_size: 32
  - .args:
      - .offset:         0
        .size:           4
        .value_kind:     by_value
      - .offset:         8
        .size:           40
        .value_kind:     by_value
    .group_segment_fixed_size: 0
    .kernarg_segment_align: 8
    .kernarg_segment_size: 48
    .language:       OpenCL C
    .language_version:
      - 2
      - 0
    .max_flat_workgroup_size: 128
    .name:           _ZN2at6native32elementwise_kernel_manual_unrollILi128ELi4EZNS0_15gpu_kernel_implINS0_13AUnaryFunctorIN3c1015Float8_e5m2fnuzES5_bNS0_12_GLOBAL__N_116CompareEqFunctorIS5_EEEEEEvRNS_18TensorIteratorBaseERKT_EUlibE_EEviT1_
    .private_segment_fixed_size: 0
    .sgpr_count:     37
    .sgpr_spill_count: 0
    .symbol:         _ZN2at6native32elementwise_kernel_manual_unrollILi128ELi4EZNS0_15gpu_kernel_implINS0_13AUnaryFunctorIN3c1015Float8_e5m2fnuzES5_bNS0_12_GLOBAL__N_116CompareEqFunctorIS5_EEEEEEvRNS_18TensorIteratorBaseERKT_EUlibE_EEviT1_.kd
    .uniform_work_group_size: 1
    .uses_dynamic_stack: false
    .vgpr_count:     14
    .vgpr_spill_count: 0
    .wavefront_size: 32
  - .args:
      - .offset:         0
        .size:           4
        .value_kind:     by_value
      - .offset:         8
        .size:           360
        .value_kind:     by_value
    .group_segment_fixed_size: 0
    .kernarg_segment_align: 8
    .kernarg_segment_size: 368
    .language:       OpenCL C
    .language_version:
      - 2
      - 0
    .max_flat_workgroup_size: 128
    .name:           _ZN2at6native32elementwise_kernel_manual_unrollILi128ELi4EZNS0_15gpu_kernel_implINS0_13AUnaryFunctorIN3c1015Float8_e5m2fnuzES5_bNS0_12_GLOBAL__N_116CompareEqFunctorIS5_EEEEEEvRNS_18TensorIteratorBaseERKT_EUlibE0_EEviT1_
    .private_segment_fixed_size: 0
    .sgpr_count:     74
    .sgpr_spill_count: 0
    .symbol:         _ZN2at6native32elementwise_kernel_manual_unrollILi128ELi4EZNS0_15gpu_kernel_implINS0_13AUnaryFunctorIN3c1015Float8_e5m2fnuzES5_bNS0_12_GLOBAL__N_116CompareEqFunctorIS5_EEEEEEvRNS_18TensorIteratorBaseERKT_EUlibE0_EEviT1_.kd
    .uniform_work_group_size: 1
    .uses_dynamic_stack: false
    .vgpr_count:     20
    .vgpr_spill_count: 0
    .wavefront_size: 32
  - .args:
      - .offset:         0
        .size:           4
        .value_kind:     by_value
      - .offset:         4
        .size:           4
        .value_kind:     by_value
      - .offset:         8
        .size:           24
        .value_kind:     by_value
    .group_segment_fixed_size: 0
    .kernarg_segment_align: 8
    .kernarg_segment_size: 32
    .language:       OpenCL C
    .language_version:
      - 2
      - 0
    .max_flat_workgroup_size: 256
    .name:           _ZN2at6native29vectorized_elementwise_kernelILi16ENS0_13BinaryFunctorIN3c1013Float8_e4m3fnES4_bNS0_12_GLOBAL__N_116CompareEqFunctorIS4_EEEESt5arrayIPcLm3EEEEviT0_T1_
    .private_segment_fixed_size: 0
    .sgpr_count:     35
    .sgpr_spill_count: 0
    .symbol:         _ZN2at6native29vectorized_elementwise_kernelILi16ENS0_13BinaryFunctorIN3c1013Float8_e4m3fnES4_bNS0_12_GLOBAL__N_116CompareEqFunctorIS4_EEEESt5arrayIPcLm3EEEEviT0_T1_.kd
    .uniform_work_group_size: 1
    .uses_dynamic_stack: false
    .vgpr_count:     67
    .vgpr_spill_count: 0
    .wavefront_size: 32
  - .args:
      - .offset:         0
        .size:           4
        .value_kind:     by_value
      - .offset:         4
        .size:           4
        .value_kind:     by_value
      - .offset:         8
        .size:           24
        .value_kind:     by_value
    .group_segment_fixed_size: 0
    .kernarg_segment_align: 8
    .kernarg_segment_size: 32
    .language:       OpenCL C
    .language_version:
      - 2
      - 0
    .max_flat_workgroup_size: 256
    .name:           _ZN2at6native29vectorized_elementwise_kernelILi8ENS0_13BinaryFunctorIN3c1013Float8_e4m3fnES4_bNS0_12_GLOBAL__N_116CompareEqFunctorIS4_EEEESt5arrayIPcLm3EEEEviT0_T1_
    .private_segment_fixed_size: 0
    .sgpr_count:     35
    .sgpr_spill_count: 0
    .symbol:         _ZN2at6native29vectorized_elementwise_kernelILi8ENS0_13BinaryFunctorIN3c1013Float8_e4m3fnES4_bNS0_12_GLOBAL__N_116CompareEqFunctorIS4_EEEESt5arrayIPcLm3EEEEviT0_T1_.kd
    .uniform_work_group_size: 1
    .uses_dynamic_stack: false
    .vgpr_count:     76
    .vgpr_spill_count: 0
    .wavefront_size: 32
  - .args:
      - .offset:         0
        .size:           4
        .value_kind:     by_value
      - .offset:         4
        .size:           4
        .value_kind:     by_value
      - .offset:         8
        .size:           24
        .value_kind:     by_value
    .group_segment_fixed_size: 0
    .kernarg_segment_align: 8
    .kernarg_segment_size: 32
    .language:       OpenCL C
    .language_version:
      - 2
      - 0
    .max_flat_workgroup_size: 256
    .name:           _ZN2at6native29vectorized_elementwise_kernelILi4ENS0_13BinaryFunctorIN3c1013Float8_e4m3fnES4_bNS0_12_GLOBAL__N_116CompareEqFunctorIS4_EEEESt5arrayIPcLm3EEEEviT0_T1_
    .private_segment_fixed_size: 0
    .sgpr_count:     35
    .sgpr_spill_count: 0
    .symbol:         _ZN2at6native29vectorized_elementwise_kernelILi4ENS0_13BinaryFunctorIN3c1013Float8_e4m3fnES4_bNS0_12_GLOBAL__N_116CompareEqFunctorIS4_EEEESt5arrayIPcLm3EEEEviT0_T1_.kd
    .uniform_work_group_size: 1
    .uses_dynamic_stack: false
    .vgpr_count:     76
    .vgpr_spill_count: 0
    .wavefront_size: 32
  - .args:
      - .offset:         0
        .size:           4
        .value_kind:     by_value
      - .offset:         4
        .size:           4
        .value_kind:     by_value
      - .offset:         8
        .size:           24
        .value_kind:     by_value
    .group_segment_fixed_size: 0
    .kernarg_segment_align: 8
    .kernarg_segment_size: 32
    .language:       OpenCL C
    .language_version:
      - 2
      - 0
    .max_flat_workgroup_size: 256
    .name:           _ZN2at6native29vectorized_elementwise_kernelILi2ENS0_13BinaryFunctorIN3c1013Float8_e4m3fnES4_bNS0_12_GLOBAL__N_116CompareEqFunctorIS4_EEEESt5arrayIPcLm3EEEEviT0_T1_
    .private_segment_fixed_size: 0
    .sgpr_count:     35
    .sgpr_spill_count: 0
    .symbol:         _ZN2at6native29vectorized_elementwise_kernelILi2ENS0_13BinaryFunctorIN3c1013Float8_e4m3fnES4_bNS0_12_GLOBAL__N_116CompareEqFunctorIS4_EEEESt5arrayIPcLm3EEEEviT0_T1_.kd
    .uniform_work_group_size: 1
    .uses_dynamic_stack: false
    .vgpr_count:     67
    .vgpr_spill_count: 0
    .wavefront_size: 32
  - .args:
      - .offset:         0
        .size:           4
        .value_kind:     by_value
      - .offset:         4
        .size:           4
        .value_kind:     by_value
      - .offset:         8
        .size:           24
        .value_kind:     by_value
      - .offset:         32
        .size:           1
        .value_kind:     by_value
      - .offset:         33
        .size:           1
        .value_kind:     by_value
      - .offset:         34
        .size:           1
        .value_kind:     by_value
      - .offset:         35
        .size:           1
        .value_kind:     by_value
    .group_segment_fixed_size: 0
    .kernarg_segment_align: 8
    .kernarg_segment_size: 36
    .language:       OpenCL C
    .language_version:
      - 2
      - 0
    .max_flat_workgroup_size: 256
    .name:           _ZN2at6native27unrolled_elementwise_kernelINS0_13BinaryFunctorIN3c1013Float8_e4m3fnES4_bNS0_12_GLOBAL__N_116CompareEqFunctorIS4_EEEESt5arrayIPcLm3EELi4E23TrivialOffsetCalculatorILi2EjESC_ILi1EjENS0_6memory15LoadWithoutCastENSF_16StoreWithoutCastEEEviT_T0_T2_T3_T4_T5_
    .private_segment_fixed_size: 0
    .sgpr_count:     16
    .sgpr_spill_count: 0
    .symbol:         _ZN2at6native27unrolled_elementwise_kernelINS0_13BinaryFunctorIN3c1013Float8_e4m3fnES4_bNS0_12_GLOBAL__N_116CompareEqFunctorIS4_EEEESt5arrayIPcLm3EELi4E23TrivialOffsetCalculatorILi2EjESC_ILi1EjENS0_6memory15LoadWithoutCastENSF_16StoreWithoutCastEEEviT_T0_T2_T3_T4_T5_.kd
    .uniform_work_group_size: 1
    .uses_dynamic_stack: false
    .vgpr_count:     18
    .vgpr_spill_count: 0
    .wavefront_size: 32
  - .args:
      - .offset:         0
        .size:           4
        .value_kind:     by_value
      - .offset:         8
        .size:           424
        .value_kind:     by_value
    .group_segment_fixed_size: 0
    .kernarg_segment_align: 8
    .kernarg_segment_size: 432
    .language:       OpenCL C
    .language_version:
      - 2
      - 0
    .max_flat_workgroup_size: 128
    .name:           _ZN2at6native32elementwise_kernel_manual_unrollILi128ELi8EZNS0_22gpu_kernel_impl_nocastINS0_13BinaryFunctorIN3c1013Float8_e4m3fnES5_bNS0_12_GLOBAL__N_116CompareEqFunctorIS5_EEEEEEvRNS_18TensorIteratorBaseERKT_EUlibE_EEviT1_
    .private_segment_fixed_size: 0
    .sgpr_count:     48
    .sgpr_spill_count: 0
    .symbol:         _ZN2at6native32elementwise_kernel_manual_unrollILi128ELi8EZNS0_22gpu_kernel_impl_nocastINS0_13BinaryFunctorIN3c1013Float8_e4m3fnES5_bNS0_12_GLOBAL__N_116CompareEqFunctorIS5_EEEEEEvRNS_18TensorIteratorBaseERKT_EUlibE_EEviT1_.kd
    .uniform_work_group_size: 1
    .uses_dynamic_stack: false
    .vgpr_count:     60
    .vgpr_spill_count: 0
    .wavefront_size: 32
  - .args:
      - .offset:         0
        .size:           4
        .value_kind:     by_value
      - .offset:         8
        .size:           48
        .value_kind:     by_value
    .group_segment_fixed_size: 0
    .kernarg_segment_align: 8
    .kernarg_segment_size: 56
    .language:       OpenCL C
    .language_version:
      - 2
      - 0
    .max_flat_workgroup_size: 128
    .name:           _ZN2at6native32elementwise_kernel_manual_unrollILi128ELi4EZNS0_15gpu_kernel_implINS0_13BinaryFunctorIN3c1013Float8_e4m3fnES5_bNS0_12_GLOBAL__N_116CompareEqFunctorIS5_EEEEEEvRNS_18TensorIteratorBaseERKT_EUlibE_EEviT1_
    .private_segment_fixed_size: 64
    .sgpr_count:     35
    .sgpr_spill_count: 0
    .symbol:         _ZN2at6native32elementwise_kernel_manual_unrollILi128ELi4EZNS0_15gpu_kernel_implINS0_13BinaryFunctorIN3c1013Float8_e4m3fnES5_bNS0_12_GLOBAL__N_116CompareEqFunctorIS5_EEEEEEvRNS_18TensorIteratorBaseERKT_EUlibE_EEviT1_.kd
    .uniform_work_group_size: 1
    .uses_dynamic_stack: false
    .vgpr_count:     28
    .vgpr_spill_count: 0
    .wavefront_size: 32
  - .args:
      - .offset:         0
        .size:           4
        .value_kind:     by_value
      - .offset:         8
        .size:           424
        .value_kind:     by_value
    .group_segment_fixed_size: 0
    .kernarg_segment_align: 8
    .kernarg_segment_size: 432
    .language:       OpenCL C
    .language_version:
      - 2
      - 0
    .max_flat_workgroup_size: 128
    .name:           _ZN2at6native32elementwise_kernel_manual_unrollILi128ELi4EZNS0_15gpu_kernel_implINS0_13BinaryFunctorIN3c1013Float8_e4m3fnES5_bNS0_12_GLOBAL__N_116CompareEqFunctorIS5_EEEEEEvRNS_18TensorIteratorBaseERKT_EUlibE0_EEviT1_
    .private_segment_fixed_size: 464
    .sgpr_count:     98
    .sgpr_spill_count: 0
    .symbol:         _ZN2at6native32elementwise_kernel_manual_unrollILi128ELi4EZNS0_15gpu_kernel_implINS0_13BinaryFunctorIN3c1013Float8_e4m3fnES5_bNS0_12_GLOBAL__N_116CompareEqFunctorIS5_EEEEEEvRNS_18TensorIteratorBaseERKT_EUlibE0_EEviT1_.kd
    .uniform_work_group_size: 1
    .uses_dynamic_stack: false
    .vgpr_count:     37
    .vgpr_spill_count: 0
    .wavefront_size: 32
  - .args:
      - .offset:         0
        .size:           4
        .value_kind:     by_value
      - .offset:         4
        .size:           8
        .value_kind:     by_value
      - .offset:         16
        .size:           16
        .value_kind:     by_value
    .group_segment_fixed_size: 0
    .kernarg_segment_align: 8
    .kernarg_segment_size: 32
    .language:       OpenCL C
    .language_version:
      - 2
      - 0
    .max_flat_workgroup_size: 256
    .name:           _ZN2at6native29vectorized_elementwise_kernelILi16ENS0_13AUnaryFunctorIN3c1013Float8_e4m3fnES4_bNS0_12_GLOBAL__N_116CompareEqFunctorIS4_EEEESt5arrayIPcLm2EEEEviT0_T1_
    .private_segment_fixed_size: 0
    .sgpr_count:     25
    .sgpr_spill_count: 0
    .symbol:         _ZN2at6native29vectorized_elementwise_kernelILi16ENS0_13AUnaryFunctorIN3c1013Float8_e4m3fnES4_bNS0_12_GLOBAL__N_116CompareEqFunctorIS4_EEEESt5arrayIPcLm2EEEEviT0_T1_.kd
    .uniform_work_group_size: 1
    .uses_dynamic_stack: false
    .vgpr_count:     60
    .vgpr_spill_count: 0
    .wavefront_size: 32
  - .args:
      - .offset:         0
        .size:           4
        .value_kind:     by_value
      - .offset:         4
        .size:           8
        .value_kind:     by_value
      - .offset:         16
        .size:           16
        .value_kind:     by_value
    .group_segment_fixed_size: 0
    .kernarg_segment_align: 8
    .kernarg_segment_size: 32
    .language:       OpenCL C
    .language_version:
      - 2
      - 0
    .max_flat_workgroup_size: 256
    .name:           _ZN2at6native29vectorized_elementwise_kernelILi8ENS0_13AUnaryFunctorIN3c1013Float8_e4m3fnES4_bNS0_12_GLOBAL__N_116CompareEqFunctorIS4_EEEESt5arrayIPcLm2EEEEviT0_T1_
    .private_segment_fixed_size: 0
    .sgpr_count:     25
    .sgpr_spill_count: 0
    .symbol:         _ZN2at6native29vectorized_elementwise_kernelILi8ENS0_13AUnaryFunctorIN3c1013Float8_e4m3fnES4_bNS0_12_GLOBAL__N_116CompareEqFunctorIS4_EEEESt5arrayIPcLm2EEEEviT0_T1_.kd
    .uniform_work_group_size: 1
    .uses_dynamic_stack: false
    .vgpr_count:     59
    .vgpr_spill_count: 0
    .wavefront_size: 32
  - .args:
      - .offset:         0
        .size:           4
        .value_kind:     by_value
      - .offset:         4
        .size:           8
        .value_kind:     by_value
      - .offset:         16
        .size:           16
        .value_kind:     by_value
    .group_segment_fixed_size: 0
    .kernarg_segment_align: 8
    .kernarg_segment_size: 32
    .language:       OpenCL C
    .language_version:
      - 2
      - 0
    .max_flat_workgroup_size: 256
    .name:           _ZN2at6native29vectorized_elementwise_kernelILi4ENS0_13AUnaryFunctorIN3c1013Float8_e4m3fnES4_bNS0_12_GLOBAL__N_116CompareEqFunctorIS4_EEEESt5arrayIPcLm2EEEEviT0_T1_
    .private_segment_fixed_size: 0
    .sgpr_count:     25
    .sgpr_spill_count: 0
    .symbol:         _ZN2at6native29vectorized_elementwise_kernelILi4ENS0_13AUnaryFunctorIN3c1013Float8_e4m3fnES4_bNS0_12_GLOBAL__N_116CompareEqFunctorIS4_EEEESt5arrayIPcLm2EEEEviT0_T1_.kd
    .uniform_work_group_size: 1
    .uses_dynamic_stack: false
    .vgpr_count:     60
    .vgpr_spill_count: 0
    .wavefront_size: 32
  - .args:
      - .offset:         0
        .size:           4
        .value_kind:     by_value
      - .offset:         4
        .size:           8
        .value_kind:     by_value
      - .offset:         16
        .size:           16
        .value_kind:     by_value
    .group_segment_fixed_size: 0
    .kernarg_segment_align: 8
    .kernarg_segment_size: 32
    .language:       OpenCL C
    .language_version:
      - 2
      - 0
    .max_flat_workgroup_size: 256
    .name:           _ZN2at6native29vectorized_elementwise_kernelILi2ENS0_13AUnaryFunctorIN3c1013Float8_e4m3fnES4_bNS0_12_GLOBAL__N_116CompareEqFunctorIS4_EEEESt5arrayIPcLm2EEEEviT0_T1_
    .private_segment_fixed_size: 0
    .sgpr_count:     25
    .sgpr_spill_count: 0
    .symbol:         _ZN2at6native29vectorized_elementwise_kernelILi2ENS0_13AUnaryFunctorIN3c1013Float8_e4m3fnES4_bNS0_12_GLOBAL__N_116CompareEqFunctorIS4_EEEESt5arrayIPcLm2EEEEviT0_T1_.kd
    .uniform_work_group_size: 1
    .uses_dynamic_stack: false
    .vgpr_count:     60
    .vgpr_spill_count: 0
    .wavefront_size: 32
  - .args:
      - .offset:         0
        .size:           4
        .value_kind:     by_value
      - .offset:         4
        .size:           8
        .value_kind:     by_value
      - .offset:         16
        .size:           16
        .value_kind:     by_value
      - .offset:         32
        .size:           1
        .value_kind:     by_value
      - .offset:         33
        .size:           1
        .value_kind:     by_value
      - .offset:         34
        .size:           1
        .value_kind:     by_value
      - .offset:         35
        .size:           1
        .value_kind:     by_value
    .group_segment_fixed_size: 0
    .kernarg_segment_align: 8
    .kernarg_segment_size: 36
    .language:       OpenCL C
    .language_version:
      - 2
      - 0
    .max_flat_workgroup_size: 256
    .name:           _ZN2at6native27unrolled_elementwise_kernelINS0_13AUnaryFunctorIN3c1013Float8_e4m3fnES4_bNS0_12_GLOBAL__N_116CompareEqFunctorIS4_EEEESt5arrayIPcLm2EELi4E23TrivialOffsetCalculatorILi1EjESD_NS0_6memory15LoadWithoutCastENSE_16StoreWithoutCastEEEviT_T0_T2_T3_T4_T5_
    .private_segment_fixed_size: 0
    .sgpr_count:     15
    .sgpr_spill_count: 0
    .symbol:         _ZN2at6native27unrolled_elementwise_kernelINS0_13AUnaryFunctorIN3c1013Float8_e4m3fnES4_bNS0_12_GLOBAL__N_116CompareEqFunctorIS4_EEEESt5arrayIPcLm2EELi4E23TrivialOffsetCalculatorILi1EjESD_NS0_6memory15LoadWithoutCastENSE_16StoreWithoutCastEEEviT_T0_T2_T3_T4_T5_.kd
    .uniform_work_group_size: 1
    .uses_dynamic_stack: false
    .vgpr_count:     11
    .vgpr_spill_count: 0
    .wavefront_size: 32
  - .args:
      - .offset:         0
        .size:           4
        .value_kind:     by_value
      - .offset:         8
        .size:           352
        .value_kind:     by_value
    .group_segment_fixed_size: 0
    .kernarg_segment_align: 8
    .kernarg_segment_size: 360
    .language:       OpenCL C
    .language_version:
      - 2
      - 0
    .max_flat_workgroup_size: 128
    .name:           _ZN2at6native32elementwise_kernel_manual_unrollILi128ELi8EZNS0_22gpu_kernel_impl_nocastINS0_13AUnaryFunctorIN3c1013Float8_e4m3fnES5_bNS0_12_GLOBAL__N_116CompareEqFunctorIS5_EEEEEEvRNS_18TensorIteratorBaseERKT_EUlibE_EEviT1_
    .private_segment_fixed_size: 0
    .sgpr_count:     62
    .sgpr_spill_count: 0
    .symbol:         _ZN2at6native32elementwise_kernel_manual_unrollILi128ELi8EZNS0_22gpu_kernel_impl_nocastINS0_13AUnaryFunctorIN3c1013Float8_e4m3fnES5_bNS0_12_GLOBAL__N_116CompareEqFunctorIS5_EEEEEEvRNS_18TensorIteratorBaseERKT_EUlibE_EEviT1_.kd
    .uniform_work_group_size: 1
    .uses_dynamic_stack: false
    .vgpr_count:     48
    .vgpr_spill_count: 0
    .wavefront_size: 32
  - .args:
      - .offset:         0
        .size:           4
        .value_kind:     by_value
      - .offset:         8
        .size:           40
        .value_kind:     by_value
    .group_segment_fixed_size: 0
    .kernarg_segment_align: 8
    .kernarg_segment_size: 48
    .language:       OpenCL C
    .language_version:
      - 2
      - 0
    .max_flat_workgroup_size: 128
    .name:           _ZN2at6native32elementwise_kernel_manual_unrollILi128ELi4EZNS0_15gpu_kernel_implINS0_13AUnaryFunctorIN3c1013Float8_e4m3fnES5_bNS0_12_GLOBAL__N_116CompareEqFunctorIS5_EEEEEEvRNS_18TensorIteratorBaseERKT_EUlibE_EEviT1_
    .private_segment_fixed_size: 0
    .sgpr_count:     36
    .sgpr_spill_count: 0
    .symbol:         _ZN2at6native32elementwise_kernel_manual_unrollILi128ELi4EZNS0_15gpu_kernel_implINS0_13AUnaryFunctorIN3c1013Float8_e4m3fnES5_bNS0_12_GLOBAL__N_116CompareEqFunctorIS5_EEEEEEvRNS_18TensorIteratorBaseERKT_EUlibE_EEviT1_.kd
    .uniform_work_group_size: 1
    .uses_dynamic_stack: false
    .vgpr_count:     14
    .vgpr_spill_count: 0
    .wavefront_size: 32
  - .args:
      - .offset:         0
        .size:           4
        .value_kind:     by_value
      - .offset:         8
        .size:           360
        .value_kind:     by_value
    .group_segment_fixed_size: 0
    .kernarg_segment_align: 8
    .kernarg_segment_size: 368
    .language:       OpenCL C
    .language_version:
      - 2
      - 0
    .max_flat_workgroup_size: 128
    .name:           _ZN2at6native32elementwise_kernel_manual_unrollILi128ELi4EZNS0_15gpu_kernel_implINS0_13AUnaryFunctorIN3c1013Float8_e4m3fnES5_bNS0_12_GLOBAL__N_116CompareEqFunctorIS5_EEEEEEvRNS_18TensorIteratorBaseERKT_EUlibE0_EEviT1_
    .private_segment_fixed_size: 0
    .sgpr_count:     74
    .sgpr_spill_count: 0
    .symbol:         _ZN2at6native32elementwise_kernel_manual_unrollILi128ELi4EZNS0_15gpu_kernel_implINS0_13AUnaryFunctorIN3c1013Float8_e4m3fnES5_bNS0_12_GLOBAL__N_116CompareEqFunctorIS5_EEEEEEvRNS_18TensorIteratorBaseERKT_EUlibE0_EEviT1_.kd
    .uniform_work_group_size: 1
    .uses_dynamic_stack: false
    .vgpr_count:     20
    .vgpr_spill_count: 0
    .wavefront_size: 32
  - .args:
      - .offset:         0
        .size:           4
        .value_kind:     by_value
      - .offset:         4
        .size:           4
        .value_kind:     by_value
      - .offset:         8
        .size:           24
        .value_kind:     by_value
    .group_segment_fixed_size: 0
    .kernarg_segment_align: 8
    .kernarg_segment_size: 32
    .language:       OpenCL C
    .language_version:
      - 2
      - 0
    .max_flat_workgroup_size: 256
    .name:           _ZN2at6native29vectorized_elementwise_kernelILi16ENS0_13BinaryFunctorIN3c1015Float8_e4m3fnuzES4_bNS0_12_GLOBAL__N_116CompareEqFunctorIS4_EEEESt5arrayIPcLm3EEEEviT0_T1_
    .private_segment_fixed_size: 0
    .sgpr_count:     35
    .sgpr_spill_count: 0
    .symbol:         _ZN2at6native29vectorized_elementwise_kernelILi16ENS0_13BinaryFunctorIN3c1015Float8_e4m3fnuzES4_bNS0_12_GLOBAL__N_116CompareEqFunctorIS4_EEEESt5arrayIPcLm3EEEEviT0_T1_.kd
    .uniform_work_group_size: 1
    .uses_dynamic_stack: false
    .vgpr_count:     67
    .vgpr_spill_count: 0
    .wavefront_size: 32
  - .args:
      - .offset:         0
        .size:           4
        .value_kind:     by_value
      - .offset:         4
        .size:           4
        .value_kind:     by_value
      - .offset:         8
        .size:           24
        .value_kind:     by_value
    .group_segment_fixed_size: 0
    .kernarg_segment_align: 8
    .kernarg_segment_size: 32
    .language:       OpenCL C
    .language_version:
      - 2
      - 0
    .max_flat_workgroup_size: 256
    .name:           _ZN2at6native29vectorized_elementwise_kernelILi8ENS0_13BinaryFunctorIN3c1015Float8_e4m3fnuzES4_bNS0_12_GLOBAL__N_116CompareEqFunctorIS4_EEEESt5arrayIPcLm3EEEEviT0_T1_
    .private_segment_fixed_size: 0
    .sgpr_count:     35
    .sgpr_spill_count: 0
    .symbol:         _ZN2at6native29vectorized_elementwise_kernelILi8ENS0_13BinaryFunctorIN3c1015Float8_e4m3fnuzES4_bNS0_12_GLOBAL__N_116CompareEqFunctorIS4_EEEESt5arrayIPcLm3EEEEviT0_T1_.kd
    .uniform_work_group_size: 1
    .uses_dynamic_stack: false
    .vgpr_count:     67
    .vgpr_spill_count: 0
    .wavefront_size: 32
  - .args:
      - .offset:         0
        .size:           4
        .value_kind:     by_value
      - .offset:         4
        .size:           4
        .value_kind:     by_value
      - .offset:         8
        .size:           24
        .value_kind:     by_value
    .group_segment_fixed_size: 0
    .kernarg_segment_align: 8
    .kernarg_segment_size: 32
    .language:       OpenCL C
    .language_version:
      - 2
      - 0
    .max_flat_workgroup_size: 256
    .name:           _ZN2at6native29vectorized_elementwise_kernelILi4ENS0_13BinaryFunctorIN3c1015Float8_e4m3fnuzES4_bNS0_12_GLOBAL__N_116CompareEqFunctorIS4_EEEESt5arrayIPcLm3EEEEviT0_T1_
    .private_segment_fixed_size: 0
    .sgpr_count:     35
    .sgpr_spill_count: 0
    .symbol:         _ZN2at6native29vectorized_elementwise_kernelILi4ENS0_13BinaryFunctorIN3c1015Float8_e4m3fnuzES4_bNS0_12_GLOBAL__N_116CompareEqFunctorIS4_EEEESt5arrayIPcLm3EEEEviT0_T1_.kd
    .uniform_work_group_size: 1
    .uses_dynamic_stack: false
    .vgpr_count:     67
    .vgpr_spill_count: 0
    .wavefront_size: 32
  - .args:
      - .offset:         0
        .size:           4
        .value_kind:     by_value
      - .offset:         4
        .size:           4
        .value_kind:     by_value
      - .offset:         8
        .size:           24
        .value_kind:     by_value
    .group_segment_fixed_size: 0
    .kernarg_segment_align: 8
    .kernarg_segment_size: 32
    .language:       OpenCL C
    .language_version:
      - 2
      - 0
    .max_flat_workgroup_size: 256
    .name:           _ZN2at6native29vectorized_elementwise_kernelILi2ENS0_13BinaryFunctorIN3c1015Float8_e4m3fnuzES4_bNS0_12_GLOBAL__N_116CompareEqFunctorIS4_EEEESt5arrayIPcLm3EEEEviT0_T1_
    .private_segment_fixed_size: 0
    .sgpr_count:     35
    .sgpr_spill_count: 0
    .symbol:         _ZN2at6native29vectorized_elementwise_kernelILi2ENS0_13BinaryFunctorIN3c1015Float8_e4m3fnuzES4_bNS0_12_GLOBAL__N_116CompareEqFunctorIS4_EEEESt5arrayIPcLm3EEEEviT0_T1_.kd
    .uniform_work_group_size: 1
    .uses_dynamic_stack: false
    .vgpr_count:     67
    .vgpr_spill_count: 0
    .wavefront_size: 32
  - .args:
      - .offset:         0
        .size:           4
        .value_kind:     by_value
      - .offset:         4
        .size:           4
        .value_kind:     by_value
      - .offset:         8
        .size:           24
        .value_kind:     by_value
      - .offset:         32
        .size:           1
        .value_kind:     by_value
      - .offset:         33
        .size:           1
        .value_kind:     by_value
      - .offset:         34
        .size:           1
        .value_kind:     by_value
      - .offset:         35
        .size:           1
        .value_kind:     by_value
    .group_segment_fixed_size: 0
    .kernarg_segment_align: 8
    .kernarg_segment_size: 36
    .language:       OpenCL C
    .language_version:
      - 2
      - 0
    .max_flat_workgroup_size: 256
    .name:           _ZN2at6native27unrolled_elementwise_kernelINS0_13BinaryFunctorIN3c1015Float8_e4m3fnuzES4_bNS0_12_GLOBAL__N_116CompareEqFunctorIS4_EEEESt5arrayIPcLm3EELi4E23TrivialOffsetCalculatorILi2EjESC_ILi1EjENS0_6memory15LoadWithoutCastENSF_16StoreWithoutCastEEEviT_T0_T2_T3_T4_T5_
    .private_segment_fixed_size: 0
    .sgpr_count:     16
    .sgpr_spill_count: 0
    .symbol:         _ZN2at6native27unrolled_elementwise_kernelINS0_13BinaryFunctorIN3c1015Float8_e4m3fnuzES4_bNS0_12_GLOBAL__N_116CompareEqFunctorIS4_EEEESt5arrayIPcLm3EELi4E23TrivialOffsetCalculatorILi2EjESC_ILi1EjENS0_6memory15LoadWithoutCastENSF_16StoreWithoutCastEEEviT_T0_T2_T3_T4_T5_.kd
    .uniform_work_group_size: 1
    .uses_dynamic_stack: false
    .vgpr_count:     18
    .vgpr_spill_count: 0
    .wavefront_size: 32
  - .args:
      - .offset:         0
        .size:           4
        .value_kind:     by_value
      - .offset:         8
        .size:           424
        .value_kind:     by_value
    .group_segment_fixed_size: 0
    .kernarg_segment_align: 8
    .kernarg_segment_size: 432
    .language:       OpenCL C
    .language_version:
      - 2
      - 0
    .max_flat_workgroup_size: 128
    .name:           _ZN2at6native32elementwise_kernel_manual_unrollILi128ELi8EZNS0_22gpu_kernel_impl_nocastINS0_13BinaryFunctorIN3c1015Float8_e4m3fnuzES5_bNS0_12_GLOBAL__N_116CompareEqFunctorIS5_EEEEEEvRNS_18TensorIteratorBaseERKT_EUlibE_EEviT1_
    .private_segment_fixed_size: 0
    .sgpr_count:     48
    .sgpr_spill_count: 0
    .symbol:         _ZN2at6native32elementwise_kernel_manual_unrollILi128ELi8EZNS0_22gpu_kernel_impl_nocastINS0_13BinaryFunctorIN3c1015Float8_e4m3fnuzES5_bNS0_12_GLOBAL__N_116CompareEqFunctorIS5_EEEEEEvRNS_18TensorIteratorBaseERKT_EUlibE_EEviT1_.kd
    .uniform_work_group_size: 1
    .uses_dynamic_stack: false
    .vgpr_count:     31
    .vgpr_spill_count: 0
    .wavefront_size: 32
  - .args:
      - .offset:         0
        .size:           4
        .value_kind:     by_value
      - .offset:         8
        .size:           48
        .value_kind:     by_value
    .group_segment_fixed_size: 0
    .kernarg_segment_align: 8
    .kernarg_segment_size: 56
    .language:       OpenCL C
    .language_version:
      - 2
      - 0
    .max_flat_workgroup_size: 128
    .name:           _ZN2at6native32elementwise_kernel_manual_unrollILi128ELi4EZNS0_15gpu_kernel_implINS0_13BinaryFunctorIN3c1015Float8_e4m3fnuzES5_bNS0_12_GLOBAL__N_116CompareEqFunctorIS5_EEEEEEvRNS_18TensorIteratorBaseERKT_EUlibE_EEviT1_
    .private_segment_fixed_size: 64
    .sgpr_count:     35
    .sgpr_spill_count: 0
    .symbol:         _ZN2at6native32elementwise_kernel_manual_unrollILi128ELi4EZNS0_15gpu_kernel_implINS0_13BinaryFunctorIN3c1015Float8_e4m3fnuzES5_bNS0_12_GLOBAL__N_116CompareEqFunctorIS5_EEEEEEvRNS_18TensorIteratorBaseERKT_EUlibE_EEviT1_.kd
    .uniform_work_group_size: 1
    .uses_dynamic_stack: false
    .vgpr_count:     28
    .vgpr_spill_count: 0
    .wavefront_size: 32
  - .args:
      - .offset:         0
        .size:           4
        .value_kind:     by_value
      - .offset:         8
        .size:           424
        .value_kind:     by_value
    .group_segment_fixed_size: 0
    .kernarg_segment_align: 8
    .kernarg_segment_size: 432
    .language:       OpenCL C
    .language_version:
      - 2
      - 0
    .max_flat_workgroup_size: 128
    .name:           _ZN2at6native32elementwise_kernel_manual_unrollILi128ELi4EZNS0_15gpu_kernel_implINS0_13BinaryFunctorIN3c1015Float8_e4m3fnuzES5_bNS0_12_GLOBAL__N_116CompareEqFunctorIS5_EEEEEEvRNS_18TensorIteratorBaseERKT_EUlibE0_EEviT1_
    .private_segment_fixed_size: 448
    .sgpr_count:     98
    .sgpr_spill_count: 0
    .symbol:         _ZN2at6native32elementwise_kernel_manual_unrollILi128ELi4EZNS0_15gpu_kernel_implINS0_13BinaryFunctorIN3c1015Float8_e4m3fnuzES5_bNS0_12_GLOBAL__N_116CompareEqFunctorIS5_EEEEEEvRNS_18TensorIteratorBaseERKT_EUlibE0_EEviT1_.kd
    .uniform_work_group_size: 1
    .uses_dynamic_stack: false
    .vgpr_count:     40
    .vgpr_spill_count: 0
    .wavefront_size: 32
  - .args:
      - .offset:         0
        .size:           4
        .value_kind:     by_value
      - .offset:         4
        .size:           8
        .value_kind:     by_value
      - .offset:         16
        .size:           16
        .value_kind:     by_value
    .group_segment_fixed_size: 0
    .kernarg_segment_align: 8
    .kernarg_segment_size: 32
    .language:       OpenCL C
    .language_version:
      - 2
      - 0
    .max_flat_workgroup_size: 256
    .name:           _ZN2at6native29vectorized_elementwise_kernelILi16ENS0_13AUnaryFunctorIN3c1015Float8_e4m3fnuzES4_bNS0_12_GLOBAL__N_116CompareEqFunctorIS4_EEEESt5arrayIPcLm2EEEEviT0_T1_
    .private_segment_fixed_size: 0
    .sgpr_count:     35
    .sgpr_spill_count: 0
    .symbol:         _ZN2at6native29vectorized_elementwise_kernelILi16ENS0_13AUnaryFunctorIN3c1015Float8_e4m3fnuzES4_bNS0_12_GLOBAL__N_116CompareEqFunctorIS4_EEEESt5arrayIPcLm2EEEEviT0_T1_.kd
    .uniform_work_group_size: 1
    .uses_dynamic_stack: false
    .vgpr_count:     32
    .vgpr_spill_count: 0
    .wavefront_size: 32
  - .args:
      - .offset:         0
        .size:           4
        .value_kind:     by_value
      - .offset:         4
        .size:           8
        .value_kind:     by_value
      - .offset:         16
        .size:           16
        .value_kind:     by_value
    .group_segment_fixed_size: 0
    .kernarg_segment_align: 8
    .kernarg_segment_size: 32
    .language:       OpenCL C
    .language_version:
      - 2
      - 0
    .max_flat_workgroup_size: 256
    .name:           _ZN2at6native29vectorized_elementwise_kernelILi8ENS0_13AUnaryFunctorIN3c1015Float8_e4m3fnuzES4_bNS0_12_GLOBAL__N_116CompareEqFunctorIS4_EEEESt5arrayIPcLm2EEEEviT0_T1_
    .private_segment_fixed_size: 0
    .sgpr_count:     35
    .sgpr_spill_count: 0
    .symbol:         _ZN2at6native29vectorized_elementwise_kernelILi8ENS0_13AUnaryFunctorIN3c1015Float8_e4m3fnuzES4_bNS0_12_GLOBAL__N_116CompareEqFunctorIS4_EEEESt5arrayIPcLm2EEEEviT0_T1_.kd
    .uniform_work_group_size: 1
    .uses_dynamic_stack: false
    .vgpr_count:     32
    .vgpr_spill_count: 0
    .wavefront_size: 32
  - .args:
      - .offset:         0
        .size:           4
        .value_kind:     by_value
      - .offset:         4
        .size:           8
        .value_kind:     by_value
      - .offset:         16
        .size:           16
        .value_kind:     by_value
    .group_segment_fixed_size: 0
    .kernarg_segment_align: 8
    .kernarg_segment_size: 32
    .language:       OpenCL C
    .language_version:
      - 2
      - 0
    .max_flat_workgroup_size: 256
    .name:           _ZN2at6native29vectorized_elementwise_kernelILi4ENS0_13AUnaryFunctorIN3c1015Float8_e4m3fnuzES4_bNS0_12_GLOBAL__N_116CompareEqFunctorIS4_EEEESt5arrayIPcLm2EEEEviT0_T1_
    .private_segment_fixed_size: 0
    .sgpr_count:     35
    .sgpr_spill_count: 0
    .symbol:         _ZN2at6native29vectorized_elementwise_kernelILi4ENS0_13AUnaryFunctorIN3c1015Float8_e4m3fnuzES4_bNS0_12_GLOBAL__N_116CompareEqFunctorIS4_EEEESt5arrayIPcLm2EEEEviT0_T1_.kd
    .uniform_work_group_size: 1
    .uses_dynamic_stack: false
    .vgpr_count:     32
    .vgpr_spill_count: 0
    .wavefront_size: 32
  - .args:
      - .offset:         0
        .size:           4
        .value_kind:     by_value
      - .offset:         4
        .size:           8
        .value_kind:     by_value
      - .offset:         16
        .size:           16
        .value_kind:     by_value
    .group_segment_fixed_size: 0
    .kernarg_segment_align: 8
    .kernarg_segment_size: 32
    .language:       OpenCL C
    .language_version:
      - 2
      - 0
    .max_flat_workgroup_size: 256
    .name:           _ZN2at6native29vectorized_elementwise_kernelILi2ENS0_13AUnaryFunctorIN3c1015Float8_e4m3fnuzES4_bNS0_12_GLOBAL__N_116CompareEqFunctorIS4_EEEESt5arrayIPcLm2EEEEviT0_T1_
    .private_segment_fixed_size: 0
    .sgpr_count:     35
    .sgpr_spill_count: 0
    .symbol:         _ZN2at6native29vectorized_elementwise_kernelILi2ENS0_13AUnaryFunctorIN3c1015Float8_e4m3fnuzES4_bNS0_12_GLOBAL__N_116CompareEqFunctorIS4_EEEESt5arrayIPcLm2EEEEviT0_T1_.kd
    .uniform_work_group_size: 1
    .uses_dynamic_stack: false
    .vgpr_count:     32
    .vgpr_spill_count: 0
    .wavefront_size: 32
  - .args:
      - .offset:         0
        .size:           4
        .value_kind:     by_value
      - .offset:         4
        .size:           8
        .value_kind:     by_value
      - .offset:         16
        .size:           16
        .value_kind:     by_value
      - .offset:         32
        .size:           1
        .value_kind:     by_value
      - .offset:         33
        .size:           1
        .value_kind:     by_value
      - .offset:         34
        .size:           1
        .value_kind:     by_value
      - .offset:         35
        .size:           1
        .value_kind:     by_value
    .group_segment_fixed_size: 0
    .kernarg_segment_align: 8
    .kernarg_segment_size: 36
    .language:       OpenCL C
    .language_version:
      - 2
      - 0
    .max_flat_workgroup_size: 256
    .name:           _ZN2at6native27unrolled_elementwise_kernelINS0_13AUnaryFunctorIN3c1015Float8_e4m3fnuzES4_bNS0_12_GLOBAL__N_116CompareEqFunctorIS4_EEEESt5arrayIPcLm2EELi4E23TrivialOffsetCalculatorILi1EjESD_NS0_6memory15LoadWithoutCastENSE_16StoreWithoutCastEEEviT_T0_T2_T3_T4_T5_
    .private_segment_fixed_size: 0
    .sgpr_count:     15
    .sgpr_spill_count: 0
    .symbol:         _ZN2at6native27unrolled_elementwise_kernelINS0_13AUnaryFunctorIN3c1015Float8_e4m3fnuzES4_bNS0_12_GLOBAL__N_116CompareEqFunctorIS4_EEEESt5arrayIPcLm2EELi4E23TrivialOffsetCalculatorILi1EjESD_NS0_6memory15LoadWithoutCastENSE_16StoreWithoutCastEEEviT_T0_T2_T3_T4_T5_.kd
    .uniform_work_group_size: 1
    .uses_dynamic_stack: false
    .vgpr_count:     13
    .vgpr_spill_count: 0
    .wavefront_size: 32
  - .args:
      - .offset:         0
        .size:           4
        .value_kind:     by_value
      - .offset:         8
        .size:           352
        .value_kind:     by_value
    .group_segment_fixed_size: 0
    .kernarg_segment_align: 8
    .kernarg_segment_size: 360
    .language:       OpenCL C
    .language_version:
      - 2
      - 0
    .max_flat_workgroup_size: 128
    .name:           _ZN2at6native32elementwise_kernel_manual_unrollILi128ELi8EZNS0_22gpu_kernel_impl_nocastINS0_13AUnaryFunctorIN3c1015Float8_e4m3fnuzES5_bNS0_12_GLOBAL__N_116CompareEqFunctorIS5_EEEEEEvRNS_18TensorIteratorBaseERKT_EUlibE_EEviT1_
    .private_segment_fixed_size: 0
    .sgpr_count:     62
    .sgpr_spill_count: 0
    .symbol:         _ZN2at6native32elementwise_kernel_manual_unrollILi128ELi8EZNS0_22gpu_kernel_impl_nocastINS0_13AUnaryFunctorIN3c1015Float8_e4m3fnuzES5_bNS0_12_GLOBAL__N_116CompareEqFunctorIS5_EEEEEEvRNS_18TensorIteratorBaseERKT_EUlibE_EEviT1_.kd
    .uniform_work_group_size: 1
    .uses_dynamic_stack: false
    .vgpr_count:     23
    .vgpr_spill_count: 0
    .wavefront_size: 32
  - .args:
      - .offset:         0
        .size:           4
        .value_kind:     by_value
      - .offset:         8
        .size:           40
        .value_kind:     by_value
    .group_segment_fixed_size: 0
    .kernarg_segment_align: 8
    .kernarg_segment_size: 48
    .language:       OpenCL C
    .language_version:
      - 2
      - 0
    .max_flat_workgroup_size: 128
    .name:           _ZN2at6native32elementwise_kernel_manual_unrollILi128ELi4EZNS0_15gpu_kernel_implINS0_13AUnaryFunctorIN3c1015Float8_e4m3fnuzES5_bNS0_12_GLOBAL__N_116CompareEqFunctorIS5_EEEEEEvRNS_18TensorIteratorBaseERKT_EUlibE_EEviT1_
    .private_segment_fixed_size: 0
    .sgpr_count:     37
    .sgpr_spill_count: 0
    .symbol:         _ZN2at6native32elementwise_kernel_manual_unrollILi128ELi4EZNS0_15gpu_kernel_implINS0_13AUnaryFunctorIN3c1015Float8_e4m3fnuzES5_bNS0_12_GLOBAL__N_116CompareEqFunctorIS5_EEEEEEvRNS_18TensorIteratorBaseERKT_EUlibE_EEviT1_.kd
    .uniform_work_group_size: 1
    .uses_dynamic_stack: false
    .vgpr_count:     14
    .vgpr_spill_count: 0
    .wavefront_size: 32
  - .args:
      - .offset:         0
        .size:           4
        .value_kind:     by_value
      - .offset:         8
        .size:           360
        .value_kind:     by_value
    .group_segment_fixed_size: 0
    .kernarg_segment_align: 8
    .kernarg_segment_size: 368
    .language:       OpenCL C
    .language_version:
      - 2
      - 0
    .max_flat_workgroup_size: 128
    .name:           _ZN2at6native32elementwise_kernel_manual_unrollILi128ELi4EZNS0_15gpu_kernel_implINS0_13AUnaryFunctorIN3c1015Float8_e4m3fnuzES5_bNS0_12_GLOBAL__N_116CompareEqFunctorIS5_EEEEEEvRNS_18TensorIteratorBaseERKT_EUlibE0_EEviT1_
    .private_segment_fixed_size: 0
    .sgpr_count:     74
    .sgpr_spill_count: 0
    .symbol:         _ZN2at6native32elementwise_kernel_manual_unrollILi128ELi4EZNS0_15gpu_kernel_implINS0_13AUnaryFunctorIN3c1015Float8_e4m3fnuzES5_bNS0_12_GLOBAL__N_116CompareEqFunctorIS5_EEEEEEvRNS_18TensorIteratorBaseERKT_EUlibE0_EEviT1_.kd
    .uniform_work_group_size: 1
    .uses_dynamic_stack: false
    .vgpr_count:     20
    .vgpr_spill_count: 0
    .wavefront_size: 32
  - .args:
      - .offset:         0
        .size:           4
        .value_kind:     by_value
      - .offset:         4
        .size:           4
        .value_kind:     by_value
      - .offset:         8
        .size:           24
        .value_kind:     by_value
    .group_segment_fixed_size: 0
    .kernarg_segment_align: 8
    .kernarg_segment_size: 32
    .language:       OpenCL C
    .language_version:
      - 2
      - 0
    .max_flat_workgroup_size: 256
    .name:           _ZN2at6native29vectorized_elementwise_kernelILi16ENS0_13BinaryFunctorIN3c1014Float8_e8m0fnuES4_bNS0_12_GLOBAL__N_116CompareEqFunctorIS4_EEEESt5arrayIPcLm3EEEEviT0_T1_
    .private_segment_fixed_size: 0
    .sgpr_count:     24
    .sgpr_spill_count: 0
    .symbol:         _ZN2at6native29vectorized_elementwise_kernelILi16ENS0_13BinaryFunctorIN3c1014Float8_e8m0fnuES4_bNS0_12_GLOBAL__N_116CompareEqFunctorIS4_EEEESt5arrayIPcLm3EEEEviT0_T1_.kd
    .uniform_work_group_size: 1
    .uses_dynamic_stack: false
    .vgpr_count:     60
    .vgpr_spill_count: 0
    .wavefront_size: 32
  - .args:
      - .offset:         0
        .size:           4
        .value_kind:     by_value
      - .offset:         4
        .size:           4
        .value_kind:     by_value
      - .offset:         8
        .size:           24
        .value_kind:     by_value
    .group_segment_fixed_size: 0
    .kernarg_segment_align: 8
    .kernarg_segment_size: 32
    .language:       OpenCL C
    .language_version:
      - 2
      - 0
    .max_flat_workgroup_size: 256
    .name:           _ZN2at6native29vectorized_elementwise_kernelILi8ENS0_13BinaryFunctorIN3c1014Float8_e8m0fnuES4_bNS0_12_GLOBAL__N_116CompareEqFunctorIS4_EEEESt5arrayIPcLm3EEEEviT0_T1_
    .private_segment_fixed_size: 0
    .sgpr_count:     25
    .sgpr_spill_count: 0
    .symbol:         _ZN2at6native29vectorized_elementwise_kernelILi8ENS0_13BinaryFunctorIN3c1014Float8_e8m0fnuES4_bNS0_12_GLOBAL__N_116CompareEqFunctorIS4_EEEESt5arrayIPcLm3EEEEviT0_T1_.kd
    .uniform_work_group_size: 1
    .uses_dynamic_stack: false
    .vgpr_count:     60
    .vgpr_spill_count: 0
    .wavefront_size: 32
  - .args:
      - .offset:         0
        .size:           4
        .value_kind:     by_value
      - .offset:         4
        .size:           4
        .value_kind:     by_value
      - .offset:         8
        .size:           24
        .value_kind:     by_value
    .group_segment_fixed_size: 0
    .kernarg_segment_align: 8
    .kernarg_segment_size: 32
    .language:       OpenCL C
    .language_version:
      - 2
      - 0
    .max_flat_workgroup_size: 256
    .name:           _ZN2at6native29vectorized_elementwise_kernelILi4ENS0_13BinaryFunctorIN3c1014Float8_e8m0fnuES4_bNS0_12_GLOBAL__N_116CompareEqFunctorIS4_EEEESt5arrayIPcLm3EEEEviT0_T1_
    .private_segment_fixed_size: 0
    .sgpr_count:     25
    .sgpr_spill_count: 0
    .symbol:         _ZN2at6native29vectorized_elementwise_kernelILi4ENS0_13BinaryFunctorIN3c1014Float8_e8m0fnuES4_bNS0_12_GLOBAL__N_116CompareEqFunctorIS4_EEEESt5arrayIPcLm3EEEEviT0_T1_.kd
    .uniform_work_group_size: 1
    .uses_dynamic_stack: false
    .vgpr_count:     60
    .vgpr_spill_count: 0
    .wavefront_size: 32
  - .args:
      - .offset:         0
        .size:           4
        .value_kind:     by_value
      - .offset:         4
        .size:           4
        .value_kind:     by_value
      - .offset:         8
        .size:           24
        .value_kind:     by_value
    .group_segment_fixed_size: 0
    .kernarg_segment_align: 8
    .kernarg_segment_size: 32
    .language:       OpenCL C
    .language_version:
      - 2
      - 0
    .max_flat_workgroup_size: 256
    .name:           _ZN2at6native29vectorized_elementwise_kernelILi2ENS0_13BinaryFunctorIN3c1014Float8_e8m0fnuES4_bNS0_12_GLOBAL__N_116CompareEqFunctorIS4_EEEESt5arrayIPcLm3EEEEviT0_T1_
    .private_segment_fixed_size: 0
    .sgpr_count:     24
    .sgpr_spill_count: 0
    .symbol:         _ZN2at6native29vectorized_elementwise_kernelILi2ENS0_13BinaryFunctorIN3c1014Float8_e8m0fnuES4_bNS0_12_GLOBAL__N_116CompareEqFunctorIS4_EEEESt5arrayIPcLm3EEEEviT0_T1_.kd
    .uniform_work_group_size: 1
    .uses_dynamic_stack: false
    .vgpr_count:     60
    .vgpr_spill_count: 0
    .wavefront_size: 32
  - .args:
      - .offset:         0
        .size:           4
        .value_kind:     by_value
      - .offset:         4
        .size:           4
        .value_kind:     by_value
      - .offset:         8
        .size:           24
        .value_kind:     by_value
      - .offset:         32
        .size:           1
        .value_kind:     by_value
      - .offset:         33
        .size:           1
        .value_kind:     by_value
      - .offset:         34
        .size:           1
        .value_kind:     by_value
      - .offset:         35
        .size:           1
        .value_kind:     by_value
    .group_segment_fixed_size: 0
    .kernarg_segment_align: 8
    .kernarg_segment_size: 36
    .language:       OpenCL C
    .language_version:
      - 2
      - 0
    .max_flat_workgroup_size: 256
    .name:           _ZN2at6native27unrolled_elementwise_kernelINS0_13BinaryFunctorIN3c1014Float8_e8m0fnuES4_bNS0_12_GLOBAL__N_116CompareEqFunctorIS4_EEEESt5arrayIPcLm3EELi4E23TrivialOffsetCalculatorILi2EjESC_ILi1EjENS0_6memory15LoadWithoutCastENSF_16StoreWithoutCastEEEviT_T0_T2_T3_T4_T5_
    .private_segment_fixed_size: 0
    .sgpr_count:     16
    .sgpr_spill_count: 0
    .symbol:         _ZN2at6native27unrolled_elementwise_kernelINS0_13BinaryFunctorIN3c1014Float8_e8m0fnuES4_bNS0_12_GLOBAL__N_116CompareEqFunctorIS4_EEEESt5arrayIPcLm3EELi4E23TrivialOffsetCalculatorILi2EjESC_ILi1EjENS0_6memory15LoadWithoutCastENSF_16StoreWithoutCastEEEviT_T0_T2_T3_T4_T5_.kd
    .uniform_work_group_size: 1
    .uses_dynamic_stack: false
    .vgpr_count:     13
    .vgpr_spill_count: 0
    .wavefront_size: 32
  - .args:
      - .offset:         0
        .size:           4
        .value_kind:     by_value
      - .offset:         8
        .size:           424
        .value_kind:     by_value
    .group_segment_fixed_size: 0
    .kernarg_segment_align: 8
    .kernarg_segment_size: 432
    .language:       OpenCL C
    .language_version:
      - 2
      - 0
    .max_flat_workgroup_size: 128
    .name:           _ZN2at6native32elementwise_kernel_manual_unrollILi128ELi8EZNS0_22gpu_kernel_impl_nocastINS0_13BinaryFunctorIN3c1014Float8_e8m0fnuES5_bNS0_12_GLOBAL__N_116CompareEqFunctorIS5_EEEEEEvRNS_18TensorIteratorBaseERKT_EUlibE_EEviT1_
    .private_segment_fixed_size: 0
    .sgpr_count:     48
    .sgpr_spill_count: 0
    .symbol:         _ZN2at6native32elementwise_kernel_manual_unrollILi128ELi8EZNS0_22gpu_kernel_impl_nocastINS0_13BinaryFunctorIN3c1014Float8_e8m0fnuES5_bNS0_12_GLOBAL__N_116CompareEqFunctorIS5_EEEEEEvRNS_18TensorIteratorBaseERKT_EUlibE_EEviT1_.kd
    .uniform_work_group_size: 1
    .uses_dynamic_stack: false
    .vgpr_count:     40
    .vgpr_spill_count: 0
    .wavefront_size: 32
  - .args:
      - .offset:         0
        .size:           4
        .value_kind:     by_value
      - .offset:         8
        .size:           48
        .value_kind:     by_value
    .group_segment_fixed_size: 0
    .kernarg_segment_align: 8
    .kernarg_segment_size: 56
    .language:       OpenCL C
    .language_version:
      - 2
      - 0
    .max_flat_workgroup_size: 128
    .name:           _ZN2at6native32elementwise_kernel_manual_unrollILi128ELi4EZNS0_15gpu_kernel_implINS0_13BinaryFunctorIN3c1014Float8_e8m0fnuES5_bNS0_12_GLOBAL__N_116CompareEqFunctorIS5_EEEEEEvRNS_18TensorIteratorBaseERKT_EUlibE_EEviT1_
    .private_segment_fixed_size: 0
    .sgpr_count:     39
    .sgpr_spill_count: 0
    .symbol:         _ZN2at6native32elementwise_kernel_manual_unrollILi128ELi4EZNS0_15gpu_kernel_implINS0_13BinaryFunctorIN3c1014Float8_e8m0fnuES5_bNS0_12_GLOBAL__N_116CompareEqFunctorIS5_EEEEEEvRNS_18TensorIteratorBaseERKT_EUlibE_EEviT1_.kd
    .uniform_work_group_size: 1
    .uses_dynamic_stack: false
    .vgpr_count:     18
    .vgpr_spill_count: 0
    .wavefront_size: 32
  - .args:
      - .offset:         0
        .size:           4
        .value_kind:     by_value
      - .offset:         8
        .size:           424
        .value_kind:     by_value
    .group_segment_fixed_size: 0
    .kernarg_segment_align: 8
    .kernarg_segment_size: 432
    .language:       OpenCL C
    .language_version:
      - 2
      - 0
    .max_flat_workgroup_size: 128
    .name:           _ZN2at6native32elementwise_kernel_manual_unrollILi128ELi4EZNS0_15gpu_kernel_implINS0_13BinaryFunctorIN3c1014Float8_e8m0fnuES5_bNS0_12_GLOBAL__N_116CompareEqFunctorIS5_EEEEEEvRNS_18TensorIteratorBaseERKT_EUlibE0_EEviT1_
    .private_segment_fixed_size: 0
    .sgpr_count:     64
    .sgpr_spill_count: 0
    .symbol:         _ZN2at6native32elementwise_kernel_manual_unrollILi128ELi4EZNS0_15gpu_kernel_implINS0_13BinaryFunctorIN3c1014Float8_e8m0fnuES5_bNS0_12_GLOBAL__N_116CompareEqFunctorIS5_EEEEEEvRNS_18TensorIteratorBaseERKT_EUlibE0_EEviT1_.kd
    .uniform_work_group_size: 1
    .uses_dynamic_stack: false
    .vgpr_count:     26
    .vgpr_spill_count: 0
    .wavefront_size: 32
  - .args:
      - .offset:         0
        .size:           4
        .value_kind:     by_value
      - .offset:         4
        .size:           8
        .value_kind:     by_value
      - .offset:         16
        .size:           16
        .value_kind:     by_value
    .group_segment_fixed_size: 0
    .kernarg_segment_align: 8
    .kernarg_segment_size: 32
    .language:       OpenCL C
    .language_version:
      - 2
      - 0
    .max_flat_workgroup_size: 256
    .name:           _ZN2at6native29vectorized_elementwise_kernelILi16ENS0_13AUnaryFunctorIN3c1014Float8_e8m0fnuES4_bNS0_12_GLOBAL__N_116CompareEqFunctorIS4_EEEESt5arrayIPcLm2EEEEviT0_T1_
    .private_segment_fixed_size: 0
    .sgpr_count:     25
    .sgpr_spill_count: 0
    .symbol:         _ZN2at6native29vectorized_elementwise_kernelILi16ENS0_13AUnaryFunctorIN3c1014Float8_e8m0fnuES4_bNS0_12_GLOBAL__N_116CompareEqFunctorIS4_EEEESt5arrayIPcLm2EEEEviT0_T1_.kd
    .uniform_work_group_size: 1
    .uses_dynamic_stack: false
    .vgpr_count:     33
    .vgpr_spill_count: 0
    .wavefront_size: 32
  - .args:
      - .offset:         0
        .size:           4
        .value_kind:     by_value
      - .offset:         4
        .size:           8
        .value_kind:     by_value
      - .offset:         16
        .size:           16
        .value_kind:     by_value
    .group_segment_fixed_size: 0
    .kernarg_segment_align: 8
    .kernarg_segment_size: 32
    .language:       OpenCL C
    .language_version:
      - 2
      - 0
    .max_flat_workgroup_size: 256
    .name:           _ZN2at6native29vectorized_elementwise_kernelILi8ENS0_13AUnaryFunctorIN3c1014Float8_e8m0fnuES4_bNS0_12_GLOBAL__N_116CompareEqFunctorIS4_EEEESt5arrayIPcLm2EEEEviT0_T1_
    .private_segment_fixed_size: 0
    .sgpr_count:     25
    .sgpr_spill_count: 0
    .symbol:         _ZN2at6native29vectorized_elementwise_kernelILi8ENS0_13AUnaryFunctorIN3c1014Float8_e8m0fnuES4_bNS0_12_GLOBAL__N_116CompareEqFunctorIS4_EEEESt5arrayIPcLm2EEEEviT0_T1_.kd
    .uniform_work_group_size: 1
    .uses_dynamic_stack: false
    .vgpr_count:     37
    .vgpr_spill_count: 0
    .wavefront_size: 32
  - .args:
      - .offset:         0
        .size:           4
        .value_kind:     by_value
      - .offset:         4
        .size:           8
        .value_kind:     by_value
      - .offset:         16
        .size:           16
        .value_kind:     by_value
    .group_segment_fixed_size: 0
    .kernarg_segment_align: 8
    .kernarg_segment_size: 32
    .language:       OpenCL C
    .language_version:
      - 2
      - 0
    .max_flat_workgroup_size: 256
    .name:           _ZN2at6native29vectorized_elementwise_kernelILi4ENS0_13AUnaryFunctorIN3c1014Float8_e8m0fnuES4_bNS0_12_GLOBAL__N_116CompareEqFunctorIS4_EEEESt5arrayIPcLm2EEEEviT0_T1_
    .private_segment_fixed_size: 0
    .sgpr_count:     25
    .sgpr_spill_count: 0
    .symbol:         _ZN2at6native29vectorized_elementwise_kernelILi4ENS0_13AUnaryFunctorIN3c1014Float8_e8m0fnuES4_bNS0_12_GLOBAL__N_116CompareEqFunctorIS4_EEEESt5arrayIPcLm2EEEEviT0_T1_.kd
    .uniform_work_group_size: 1
    .uses_dynamic_stack: false
    .vgpr_count:     37
    .vgpr_spill_count: 0
    .wavefront_size: 32
  - .args:
      - .offset:         0
        .size:           4
        .value_kind:     by_value
      - .offset:         4
        .size:           8
        .value_kind:     by_value
      - .offset:         16
        .size:           16
        .value_kind:     by_value
    .group_segment_fixed_size: 0
    .kernarg_segment_align: 8
    .kernarg_segment_size: 32
    .language:       OpenCL C
    .language_version:
      - 2
      - 0
    .max_flat_workgroup_size: 256
    .name:           _ZN2at6native29vectorized_elementwise_kernelILi2ENS0_13AUnaryFunctorIN3c1014Float8_e8m0fnuES4_bNS0_12_GLOBAL__N_116CompareEqFunctorIS4_EEEESt5arrayIPcLm2EEEEviT0_T1_
    .private_segment_fixed_size: 0
    .sgpr_count:     25
    .sgpr_spill_count: 0
    .symbol:         _ZN2at6native29vectorized_elementwise_kernelILi2ENS0_13AUnaryFunctorIN3c1014Float8_e8m0fnuES4_bNS0_12_GLOBAL__N_116CompareEqFunctorIS4_EEEESt5arrayIPcLm2EEEEviT0_T1_.kd
    .uniform_work_group_size: 1
    .uses_dynamic_stack: false
    .vgpr_count:     33
    .vgpr_spill_count: 0
    .wavefront_size: 32
  - .args:
      - .offset:         0
        .size:           4
        .value_kind:     by_value
      - .offset:         4
        .size:           8
        .value_kind:     by_value
      - .offset:         16
        .size:           16
        .value_kind:     by_value
      - .offset:         32
        .size:           1
        .value_kind:     by_value
      - .offset:         33
        .size:           1
        .value_kind:     by_value
      - .offset:         34
        .size:           1
        .value_kind:     by_value
      - .offset:         35
        .size:           1
        .value_kind:     by_value
    .group_segment_fixed_size: 0
    .kernarg_segment_align: 8
    .kernarg_segment_size: 36
    .language:       OpenCL C
    .language_version:
      - 2
      - 0
    .max_flat_workgroup_size: 256
    .name:           _ZN2at6native27unrolled_elementwise_kernelINS0_13AUnaryFunctorIN3c1014Float8_e8m0fnuES4_bNS0_12_GLOBAL__N_116CompareEqFunctorIS4_EEEESt5arrayIPcLm2EELi4E23TrivialOffsetCalculatorILi1EjESD_NS0_6memory15LoadWithoutCastENSE_16StoreWithoutCastEEEviT_T0_T2_T3_T4_T5_
    .private_segment_fixed_size: 0
    .sgpr_count:     15
    .sgpr_spill_count: 0
    .symbol:         _ZN2at6native27unrolled_elementwise_kernelINS0_13AUnaryFunctorIN3c1014Float8_e8m0fnuES4_bNS0_12_GLOBAL__N_116CompareEqFunctorIS4_EEEESt5arrayIPcLm2EELi4E23TrivialOffsetCalculatorILi1EjESD_NS0_6memory15LoadWithoutCastENSE_16StoreWithoutCastEEEviT_T0_T2_T3_T4_T5_.kd
    .uniform_work_group_size: 1
    .uses_dynamic_stack: false
    .vgpr_count:     9
    .vgpr_spill_count: 0
    .wavefront_size: 32
  - .args:
      - .offset:         0
        .size:           4
        .value_kind:     by_value
      - .offset:         8
        .size:           352
        .value_kind:     by_value
    .group_segment_fixed_size: 0
    .kernarg_segment_align: 8
    .kernarg_segment_size: 360
    .language:       OpenCL C
    .language_version:
      - 2
      - 0
    .max_flat_workgroup_size: 128
    .name:           _ZN2at6native32elementwise_kernel_manual_unrollILi128ELi8EZNS0_22gpu_kernel_impl_nocastINS0_13AUnaryFunctorIN3c1014Float8_e8m0fnuES5_bNS0_12_GLOBAL__N_116CompareEqFunctorIS5_EEEEEEvRNS_18TensorIteratorBaseERKT_EUlibE_EEviT1_
    .private_segment_fixed_size: 0
    .sgpr_count:     62
    .sgpr_spill_count: 0
    .symbol:         _ZN2at6native32elementwise_kernel_manual_unrollILi128ELi8EZNS0_22gpu_kernel_impl_nocastINS0_13AUnaryFunctorIN3c1014Float8_e8m0fnuES5_bNS0_12_GLOBAL__N_116CompareEqFunctorIS5_EEEEEEvRNS_18TensorIteratorBaseERKT_EUlibE_EEviT1_.kd
    .uniform_work_group_size: 1
    .uses_dynamic_stack: false
    .vgpr_count:     24
    .vgpr_spill_count: 0
    .wavefront_size: 32
  - .args:
      - .offset:         0
        .size:           4
        .value_kind:     by_value
      - .offset:         8
        .size:           40
        .value_kind:     by_value
    .group_segment_fixed_size: 0
    .kernarg_segment_align: 8
    .kernarg_segment_size: 48
    .language:       OpenCL C
    .language_version:
      - 2
      - 0
    .max_flat_workgroup_size: 128
    .name:           _ZN2at6native32elementwise_kernel_manual_unrollILi128ELi4EZNS0_15gpu_kernel_implINS0_13AUnaryFunctorIN3c1014Float8_e8m0fnuES5_bNS0_12_GLOBAL__N_116CompareEqFunctorIS5_EEEEEEvRNS_18TensorIteratorBaseERKT_EUlibE_EEviT1_
    .private_segment_fixed_size: 0
    .sgpr_count:     33
    .sgpr_spill_count: 0
    .symbol:         _ZN2at6native32elementwise_kernel_manual_unrollILi128ELi4EZNS0_15gpu_kernel_implINS0_13AUnaryFunctorIN3c1014Float8_e8m0fnuES5_bNS0_12_GLOBAL__N_116CompareEqFunctorIS5_EEEEEEvRNS_18TensorIteratorBaseERKT_EUlibE_EEviT1_.kd
    .uniform_work_group_size: 1
    .uses_dynamic_stack: false
    .vgpr_count:     14
    .vgpr_spill_count: 0
    .wavefront_size: 32
  - .args:
      - .offset:         0
        .size:           4
        .value_kind:     by_value
      - .offset:         8
        .size:           360
        .value_kind:     by_value
    .group_segment_fixed_size: 0
    .kernarg_segment_align: 8
    .kernarg_segment_size: 368
    .language:       OpenCL C
    .language_version:
      - 2
      - 0
    .max_flat_workgroup_size: 128
    .name:           _ZN2at6native32elementwise_kernel_manual_unrollILi128ELi4EZNS0_15gpu_kernel_implINS0_13AUnaryFunctorIN3c1014Float8_e8m0fnuES5_bNS0_12_GLOBAL__N_116CompareEqFunctorIS5_EEEEEEvRNS_18TensorIteratorBaseERKT_EUlibE0_EEviT1_
    .private_segment_fixed_size: 0
    .sgpr_count:     74
    .sgpr_spill_count: 0
    .symbol:         _ZN2at6native32elementwise_kernel_manual_unrollILi128ELi4EZNS0_15gpu_kernel_implINS0_13AUnaryFunctorIN3c1014Float8_e8m0fnuES5_bNS0_12_GLOBAL__N_116CompareEqFunctorIS5_EEEEEEvRNS_18TensorIteratorBaseERKT_EUlibE0_EEviT1_.kd
    .uniform_work_group_size: 1
    .uses_dynamic_stack: false
    .vgpr_count:     18
    .vgpr_spill_count: 0
    .wavefront_size: 32
  - .args:
      - .offset:         0
        .size:           4
        .value_kind:     by_value
      - .offset:         4
        .size:           4
        .value_kind:     by_value
      - .offset:         8
        .size:           24
        .value_kind:     by_value
    .group_segment_fixed_size: 0
    .kernarg_segment_align: 8
    .kernarg_segment_size: 32
    .language:       OpenCL C
    .language_version:
      - 2
      - 0
    .max_flat_workgroup_size: 256
    .name:           _ZN2at6native29vectorized_elementwise_kernelILi16ENS0_13BinaryFunctorIttbNS0_12_GLOBAL__N_116CompareEqFunctorItEEEESt5arrayIPcLm3EEEEviT0_T1_
    .private_segment_fixed_size: 0
    .sgpr_count:     29
    .sgpr_spill_count: 0
    .symbol:         _ZN2at6native29vectorized_elementwise_kernelILi16ENS0_13BinaryFunctorIttbNS0_12_GLOBAL__N_116CompareEqFunctorItEEEESt5arrayIPcLm3EEEEviT0_T1_.kd
    .uniform_work_group_size: 1
    .uses_dynamic_stack: false
    .vgpr_count:     19
    .vgpr_spill_count: 0
    .wavefront_size: 32
  - .args:
      - .offset:         0
        .size:           4
        .value_kind:     by_value
      - .offset:         4
        .size:           4
        .value_kind:     by_value
      - .offset:         8
        .size:           24
        .value_kind:     by_value
    .group_segment_fixed_size: 0
    .kernarg_segment_align: 8
    .kernarg_segment_size: 32
    .language:       OpenCL C
    .language_version:
      - 2
      - 0
    .max_flat_workgroup_size: 256
    .name:           _ZN2at6native29vectorized_elementwise_kernelILi8ENS0_13BinaryFunctorIttbNS0_12_GLOBAL__N_116CompareEqFunctorItEEEESt5arrayIPcLm3EEEEviT0_T1_
    .private_segment_fixed_size: 0
    .sgpr_count:     29
    .sgpr_spill_count: 0
    .symbol:         _ZN2at6native29vectorized_elementwise_kernelILi8ENS0_13BinaryFunctorIttbNS0_12_GLOBAL__N_116CompareEqFunctorItEEEESt5arrayIPcLm3EEEEviT0_T1_.kd
    .uniform_work_group_size: 1
    .uses_dynamic_stack: false
    .vgpr_count:     34
    .vgpr_spill_count: 0
    .wavefront_size: 32
  - .args:
      - .offset:         0
        .size:           4
        .value_kind:     by_value
      - .offset:         4
        .size:           4
        .value_kind:     by_value
      - .offset:         8
        .size:           24
        .value_kind:     by_value
    .group_segment_fixed_size: 0
    .kernarg_segment_align: 8
    .kernarg_segment_size: 32
    .language:       OpenCL C
    .language_version:
      - 2
      - 0
    .max_flat_workgroup_size: 256
    .name:           _ZN2at6native29vectorized_elementwise_kernelILi4ENS0_13BinaryFunctorIttbNS0_12_GLOBAL__N_116CompareEqFunctorItEEEESt5arrayIPcLm3EEEEviT0_T1_
    .private_segment_fixed_size: 0
    .sgpr_count:     29
    .sgpr_spill_count: 0
    .symbol:         _ZN2at6native29vectorized_elementwise_kernelILi4ENS0_13BinaryFunctorIttbNS0_12_GLOBAL__N_116CompareEqFunctorItEEEESt5arrayIPcLm3EEEEviT0_T1_.kd
    .uniform_work_group_size: 1
    .uses_dynamic_stack: false
    .vgpr_count:     18
    .vgpr_spill_count: 0
    .wavefront_size: 32
  - .args:
      - .offset:         0
        .size:           4
        .value_kind:     by_value
      - .offset:         4
        .size:           4
        .value_kind:     by_value
      - .offset:         8
        .size:           24
        .value_kind:     by_value
    .group_segment_fixed_size: 0
    .kernarg_segment_align: 8
    .kernarg_segment_size: 32
    .language:       OpenCL C
    .language_version:
      - 2
      - 0
    .max_flat_workgroup_size: 256
    .name:           _ZN2at6native29vectorized_elementwise_kernelILi2ENS0_13BinaryFunctorIttbNS0_12_GLOBAL__N_116CompareEqFunctorItEEEESt5arrayIPcLm3EEEEviT0_T1_
    .private_segment_fixed_size: 0
    .sgpr_count:     29
    .sgpr_spill_count: 0
    .symbol:         _ZN2at6native29vectorized_elementwise_kernelILi2ENS0_13BinaryFunctorIttbNS0_12_GLOBAL__N_116CompareEqFunctorItEEEESt5arrayIPcLm3EEEEviT0_T1_.kd
    .uniform_work_group_size: 1
    .uses_dynamic_stack: false
    .vgpr_count:     17
    .vgpr_spill_count: 0
    .wavefront_size: 32
  - .args:
      - .offset:         0
        .size:           4
        .value_kind:     by_value
      - .offset:         4
        .size:           4
        .value_kind:     by_value
      - .offset:         8
        .size:           24
        .value_kind:     by_value
      - .offset:         32
        .size:           1
        .value_kind:     by_value
      - .offset:         33
        .size:           1
        .value_kind:     by_value
      - .offset:         34
        .size:           1
        .value_kind:     by_value
      - .offset:         35
        .size:           1
        .value_kind:     by_value
    .group_segment_fixed_size: 0
    .kernarg_segment_align: 8
    .kernarg_segment_size: 36
    .language:       OpenCL C
    .language_version:
      - 2
      - 0
    .max_flat_workgroup_size: 256
    .name:           _ZN2at6native27unrolled_elementwise_kernelINS0_13BinaryFunctorIttbNS0_12_GLOBAL__N_116CompareEqFunctorItEEEESt5arrayIPcLm3EELi4E23TrivialOffsetCalculatorILi2EjESA_ILi1EjENS0_6memory15LoadWithoutCastENSD_16StoreWithoutCastEEEviT_T0_T2_T3_T4_T5_
    .private_segment_fixed_size: 0
    .sgpr_count:     17
    .sgpr_spill_count: 0
    .symbol:         _ZN2at6native27unrolled_elementwise_kernelINS0_13BinaryFunctorIttbNS0_12_GLOBAL__N_116CompareEqFunctorItEEEESt5arrayIPcLm3EELi4E23TrivialOffsetCalculatorILi2EjESA_ILi1EjENS0_6memory15LoadWithoutCastENSD_16StoreWithoutCastEEEviT_T0_T2_T3_T4_T5_.kd
    .uniform_work_group_size: 1
    .uses_dynamic_stack: false
    .vgpr_count:     7
    .vgpr_spill_count: 0
    .wavefront_size: 32
  - .args:
      - .offset:         0
        .size:           4
        .value_kind:     by_value
      - .offset:         8
        .size:           424
        .value_kind:     by_value
    .group_segment_fixed_size: 0
    .kernarg_segment_align: 8
    .kernarg_segment_size: 432
    .language:       OpenCL C
    .language_version:
      - 2
      - 0
    .max_flat_workgroup_size: 128
    .name:           _ZN2at6native32elementwise_kernel_manual_unrollILi128ELi8EZNS0_22gpu_kernel_impl_nocastINS0_13BinaryFunctorIttbNS0_12_GLOBAL__N_116CompareEqFunctorItEEEEEEvRNS_18TensorIteratorBaseERKT_EUlibE_EEviT1_
    .private_segment_fixed_size: 0
    .sgpr_count:     48
    .sgpr_spill_count: 0
    .symbol:         _ZN2at6native32elementwise_kernel_manual_unrollILi128ELi8EZNS0_22gpu_kernel_impl_nocastINS0_13BinaryFunctorIttbNS0_12_GLOBAL__N_116CompareEqFunctorItEEEEEEvRNS_18TensorIteratorBaseERKT_EUlibE_EEviT1_.kd
    .uniform_work_group_size: 1
    .uses_dynamic_stack: false
    .vgpr_count:     39
    .vgpr_spill_count: 0
    .wavefront_size: 32
  - .args:
      - .offset:         0
        .size:           4
        .value_kind:     by_value
      - .offset:         8
        .size:           48
        .value_kind:     by_value
    .group_segment_fixed_size: 0
    .kernarg_segment_align: 8
    .kernarg_segment_size: 56
    .language:       OpenCL C
    .language_version:
      - 2
      - 0
    .max_flat_workgroup_size: 128
    .name:           _ZN2at6native32elementwise_kernel_manual_unrollILi128ELi4EZNS0_15gpu_kernel_implINS0_13BinaryFunctorIttbNS0_12_GLOBAL__N_116CompareEqFunctorItEEEEEEvRNS_18TensorIteratorBaseERKT_EUlibE_EEviT1_
    .private_segment_fixed_size: 0
    .sgpr_count:     39
    .sgpr_spill_count: 0
    .symbol:         _ZN2at6native32elementwise_kernel_manual_unrollILi128ELi4EZNS0_15gpu_kernel_implINS0_13BinaryFunctorIttbNS0_12_GLOBAL__N_116CompareEqFunctorItEEEEEEvRNS_18TensorIteratorBaseERKT_EUlibE_EEviT1_.kd
    .uniform_work_group_size: 1
    .uses_dynamic_stack: false
    .vgpr_count:     22
    .vgpr_spill_count: 0
    .wavefront_size: 32
  - .args:
      - .offset:         0
        .size:           4
        .value_kind:     by_value
      - .offset:         8
        .size:           424
        .value_kind:     by_value
    .group_segment_fixed_size: 0
    .kernarg_segment_align: 8
    .kernarg_segment_size: 432
    .language:       OpenCL C
    .language_version:
      - 2
      - 0
    .max_flat_workgroup_size: 128
    .name:           _ZN2at6native32elementwise_kernel_manual_unrollILi128ELi4EZNS0_15gpu_kernel_implINS0_13BinaryFunctorIttbNS0_12_GLOBAL__N_116CompareEqFunctorItEEEEEEvRNS_18TensorIteratorBaseERKT_EUlibE0_EEviT1_
    .private_segment_fixed_size: 0
    .sgpr_count:     64
    .sgpr_spill_count: 0
    .symbol:         _ZN2at6native32elementwise_kernel_manual_unrollILi128ELi4EZNS0_15gpu_kernel_implINS0_13BinaryFunctorIttbNS0_12_GLOBAL__N_116CompareEqFunctorItEEEEEEvRNS_18TensorIteratorBaseERKT_EUlibE0_EEviT1_.kd
    .uniform_work_group_size: 1
    .uses_dynamic_stack: false
    .vgpr_count:     28
    .vgpr_spill_count: 0
    .wavefront_size: 32
  - .args:
      - .offset:         0
        .size:           4
        .value_kind:     by_value
      - .offset:         4
        .size:           8
        .value_kind:     by_value
      - .offset:         16
        .size:           16
        .value_kind:     by_value
    .group_segment_fixed_size: 0
    .kernarg_segment_align: 8
    .kernarg_segment_size: 32
    .language:       OpenCL C
    .language_version:
      - 2
      - 0
    .max_flat_workgroup_size: 256
    .name:           _ZN2at6native29vectorized_elementwise_kernelILi16ENS0_13AUnaryFunctorIttbNS0_12_GLOBAL__N_116CompareEqFunctorItEEEESt5arrayIPcLm2EEEEviT0_T1_
    .private_segment_fixed_size: 0
    .sgpr_count:     28
    .sgpr_spill_count: 0
    .symbol:         _ZN2at6native29vectorized_elementwise_kernelILi16ENS0_13AUnaryFunctorIttbNS0_12_GLOBAL__N_116CompareEqFunctorItEEEESt5arrayIPcLm2EEEEviT0_T1_.kd
    .uniform_work_group_size: 1
    .uses_dynamic_stack: false
    .vgpr_count:     20
    .vgpr_spill_count: 0
    .wavefront_size: 32
  - .args:
      - .offset:         0
        .size:           4
        .value_kind:     by_value
      - .offset:         4
        .size:           8
        .value_kind:     by_value
      - .offset:         16
        .size:           16
        .value_kind:     by_value
    .group_segment_fixed_size: 0
    .kernarg_segment_align: 8
    .kernarg_segment_size: 32
    .language:       OpenCL C
    .language_version:
      - 2
      - 0
    .max_flat_workgroup_size: 256
    .name:           _ZN2at6native29vectorized_elementwise_kernelILi8ENS0_13AUnaryFunctorIttbNS0_12_GLOBAL__N_116CompareEqFunctorItEEEESt5arrayIPcLm2EEEEviT0_T1_
    .private_segment_fixed_size: 0
    .sgpr_count:     20
    .sgpr_spill_count: 0
    .symbol:         _ZN2at6native29vectorized_elementwise_kernelILi8ENS0_13AUnaryFunctorIttbNS0_12_GLOBAL__N_116CompareEqFunctorItEEEESt5arrayIPcLm2EEEEviT0_T1_.kd
    .uniform_work_group_size: 1
    .uses_dynamic_stack: false
    .vgpr_count:     20
    .vgpr_spill_count: 0
    .wavefront_size: 32
  - .args:
      - .offset:         0
        .size:           4
        .value_kind:     by_value
      - .offset:         4
        .size:           8
        .value_kind:     by_value
      - .offset:         16
        .size:           16
        .value_kind:     by_value
    .group_segment_fixed_size: 0
    .kernarg_segment_align: 8
    .kernarg_segment_size: 32
    .language:       OpenCL C
    .language_version:
      - 2
      - 0
    .max_flat_workgroup_size: 256
    .name:           _ZN2at6native29vectorized_elementwise_kernelILi4ENS0_13AUnaryFunctorIttbNS0_12_GLOBAL__N_116CompareEqFunctorItEEEESt5arrayIPcLm2EEEEviT0_T1_
    .private_segment_fixed_size: 0
    .sgpr_count:     20
    .sgpr_spill_count: 0
    .symbol:         _ZN2at6native29vectorized_elementwise_kernelILi4ENS0_13AUnaryFunctorIttbNS0_12_GLOBAL__N_116CompareEqFunctorItEEEESt5arrayIPcLm2EEEEviT0_T1_.kd
    .uniform_work_group_size: 1
    .uses_dynamic_stack: false
    .vgpr_count:     20
    .vgpr_spill_count: 0
    .wavefront_size: 32
  - .args:
      - .offset:         0
        .size:           4
        .value_kind:     by_value
      - .offset:         4
        .size:           8
        .value_kind:     by_value
      - .offset:         16
        .size:           16
        .value_kind:     by_value
    .group_segment_fixed_size: 0
    .kernarg_segment_align: 8
    .kernarg_segment_size: 32
    .language:       OpenCL C
    .language_version:
      - 2
      - 0
    .max_flat_workgroup_size: 256
    .name:           _ZN2at6native29vectorized_elementwise_kernelILi2ENS0_13AUnaryFunctorIttbNS0_12_GLOBAL__N_116CompareEqFunctorItEEEESt5arrayIPcLm2EEEEviT0_T1_
    .private_segment_fixed_size: 0
    .sgpr_count:     22
    .sgpr_spill_count: 0
    .symbol:         _ZN2at6native29vectorized_elementwise_kernelILi2ENS0_13AUnaryFunctorIttbNS0_12_GLOBAL__N_116CompareEqFunctorItEEEESt5arrayIPcLm2EEEEviT0_T1_.kd
    .uniform_work_group_size: 1
    .uses_dynamic_stack: false
    .vgpr_count:     20
    .vgpr_spill_count: 0
    .wavefront_size: 32
  - .args:
      - .offset:         0
        .size:           4
        .value_kind:     by_value
      - .offset:         4
        .size:           8
        .value_kind:     by_value
      - .offset:         16
        .size:           16
        .value_kind:     by_value
      - .offset:         32
        .size:           1
        .value_kind:     by_value
      - .offset:         33
        .size:           1
        .value_kind:     by_value
      - .offset:         34
        .size:           1
        .value_kind:     by_value
      - .offset:         35
        .size:           1
        .value_kind:     by_value
    .group_segment_fixed_size: 0
    .kernarg_segment_align: 8
    .kernarg_segment_size: 36
    .language:       OpenCL C
    .language_version:
      - 2
      - 0
    .max_flat_workgroup_size: 256
    .name:           _ZN2at6native27unrolled_elementwise_kernelINS0_13AUnaryFunctorIttbNS0_12_GLOBAL__N_116CompareEqFunctorItEEEESt5arrayIPcLm2EELi4E23TrivialOffsetCalculatorILi1EjESB_NS0_6memory15LoadWithoutCastENSC_16StoreWithoutCastEEEviT_T0_T2_T3_T4_T5_
    .private_segment_fixed_size: 0
    .sgpr_count:     13
    .sgpr_spill_count: 0
    .symbol:         _ZN2at6native27unrolled_elementwise_kernelINS0_13AUnaryFunctorIttbNS0_12_GLOBAL__N_116CompareEqFunctorItEEEESt5arrayIPcLm2EELi4E23TrivialOffsetCalculatorILi1EjESB_NS0_6memory15LoadWithoutCastENSC_16StoreWithoutCastEEEviT_T0_T2_T3_T4_T5_.kd
    .uniform_work_group_size: 1
    .uses_dynamic_stack: false
    .vgpr_count:     8
    .vgpr_spill_count: 0
    .wavefront_size: 32
  - .args:
      - .offset:         0
        .size:           4
        .value_kind:     by_value
      - .offset:         8
        .size:           352
        .value_kind:     by_value
    .group_segment_fixed_size: 0
    .kernarg_segment_align: 8
    .kernarg_segment_size: 360
    .language:       OpenCL C
    .language_version:
      - 2
      - 0
    .max_flat_workgroup_size: 128
    .name:           _ZN2at6native32elementwise_kernel_manual_unrollILi128ELi8EZNS0_22gpu_kernel_impl_nocastINS0_13AUnaryFunctorIttbNS0_12_GLOBAL__N_116CompareEqFunctorItEEEEEEvRNS_18TensorIteratorBaseERKT_EUlibE_EEviT1_
    .private_segment_fixed_size: 0
    .sgpr_count:     62
    .sgpr_spill_count: 0
    .symbol:         _ZN2at6native32elementwise_kernel_manual_unrollILi128ELi8EZNS0_22gpu_kernel_impl_nocastINS0_13AUnaryFunctorIttbNS0_12_GLOBAL__N_116CompareEqFunctorItEEEEEEvRNS_18TensorIteratorBaseERKT_EUlibE_EEviT1_.kd
    .uniform_work_group_size: 1
    .uses_dynamic_stack: false
    .vgpr_count:     24
    .vgpr_spill_count: 0
    .wavefront_size: 32
  - .args:
      - .offset:         0
        .size:           4
        .value_kind:     by_value
      - .offset:         8
        .size:           40
        .value_kind:     by_value
    .group_segment_fixed_size: 0
    .kernarg_segment_align: 8
    .kernarg_segment_size: 48
    .language:       OpenCL C
    .language_version:
      - 2
      - 0
    .max_flat_workgroup_size: 128
    .name:           _ZN2at6native32elementwise_kernel_manual_unrollILi128ELi4EZNS0_15gpu_kernel_implINS0_13AUnaryFunctorIttbNS0_12_GLOBAL__N_116CompareEqFunctorItEEEEEEvRNS_18TensorIteratorBaseERKT_EUlibE_EEviT1_
    .private_segment_fixed_size: 0
    .sgpr_count:     32
    .sgpr_spill_count: 0
    .symbol:         _ZN2at6native32elementwise_kernel_manual_unrollILi128ELi4EZNS0_15gpu_kernel_implINS0_13AUnaryFunctorIttbNS0_12_GLOBAL__N_116CompareEqFunctorItEEEEEEvRNS_18TensorIteratorBaseERKT_EUlibE_EEviT1_.kd
    .uniform_work_group_size: 1
    .uses_dynamic_stack: false
    .vgpr_count:     14
    .vgpr_spill_count: 0
    .wavefront_size: 32
  - .args:
      - .offset:         0
        .size:           4
        .value_kind:     by_value
      - .offset:         8
        .size:           360
        .value_kind:     by_value
    .group_segment_fixed_size: 0
    .kernarg_segment_align: 8
    .kernarg_segment_size: 368
    .language:       OpenCL C
    .language_version:
      - 2
      - 0
    .max_flat_workgroup_size: 128
    .name:           _ZN2at6native32elementwise_kernel_manual_unrollILi128ELi4EZNS0_15gpu_kernel_implINS0_13AUnaryFunctorIttbNS0_12_GLOBAL__N_116CompareEqFunctorItEEEEEEvRNS_18TensorIteratorBaseERKT_EUlibE0_EEviT1_
    .private_segment_fixed_size: 0
    .sgpr_count:     70
    .sgpr_spill_count: 0
    .symbol:         _ZN2at6native32elementwise_kernel_manual_unrollILi128ELi4EZNS0_15gpu_kernel_implINS0_13AUnaryFunctorIttbNS0_12_GLOBAL__N_116CompareEqFunctorItEEEEEEvRNS_18TensorIteratorBaseERKT_EUlibE0_EEviT1_.kd
    .uniform_work_group_size: 1
    .uses_dynamic_stack: false
    .vgpr_count:     18
    .vgpr_spill_count: 0
    .wavefront_size: 32
  - .args:
      - .offset:         0
        .size:           4
        .value_kind:     by_value
      - .offset:         4
        .size:           4
        .value_kind:     by_value
      - .offset:         8
        .size:           24
        .value_kind:     by_value
    .group_segment_fixed_size: 0
    .kernarg_segment_align: 8
    .kernarg_segment_size: 32
    .language:       OpenCL C
    .language_version:
      - 2
      - 0
    .max_flat_workgroup_size: 256
    .name:           _ZN2at6native29vectorized_elementwise_kernelILi16ENS0_13BinaryFunctorIjjbNS0_12_GLOBAL__N_116CompareEqFunctorIjEEEESt5arrayIPcLm3EEEEviT0_T1_
    .private_segment_fixed_size: 0
    .sgpr_count:     29
    .sgpr_spill_count: 0
    .symbol:         _ZN2at6native29vectorized_elementwise_kernelILi16ENS0_13BinaryFunctorIjjbNS0_12_GLOBAL__N_116CompareEqFunctorIjEEEESt5arrayIPcLm3EEEEviT0_T1_.kd
    .uniform_work_group_size: 1
    .uses_dynamic_stack: false
    .vgpr_count:     39
    .vgpr_spill_count: 0
    .wavefront_size: 32
  - .args:
      - .offset:         0
        .size:           4
        .value_kind:     by_value
      - .offset:         4
        .size:           4
        .value_kind:     by_value
      - .offset:         8
        .size:           24
        .value_kind:     by_value
    .group_segment_fixed_size: 0
    .kernarg_segment_align: 8
    .kernarg_segment_size: 32
    .language:       OpenCL C
    .language_version:
      - 2
      - 0
    .max_flat_workgroup_size: 256
    .name:           _ZN2at6native29vectorized_elementwise_kernelILi8ENS0_13BinaryFunctorIjjbNS0_12_GLOBAL__N_116CompareEqFunctorIjEEEESt5arrayIPcLm3EEEEviT0_T1_
    .private_segment_fixed_size: 0
    .sgpr_count:     29
    .sgpr_spill_count: 0
    .symbol:         _ZN2at6native29vectorized_elementwise_kernelILi8ENS0_13BinaryFunctorIjjbNS0_12_GLOBAL__N_116CompareEqFunctorIjEEEESt5arrayIPcLm3EEEEviT0_T1_.kd
    .uniform_work_group_size: 1
    .uses_dynamic_stack: false
    .vgpr_count:     39
    .vgpr_spill_count: 0
    .wavefront_size: 32
  - .args:
      - .offset:         0
        .size:           4
        .value_kind:     by_value
      - .offset:         4
        .size:           4
        .value_kind:     by_value
      - .offset:         8
        .size:           24
        .value_kind:     by_value
    .group_segment_fixed_size: 0
    .kernarg_segment_align: 8
    .kernarg_segment_size: 32
    .language:       OpenCL C
    .language_version:
      - 2
      - 0
    .max_flat_workgroup_size: 256
    .name:           _ZN2at6native29vectorized_elementwise_kernelILi4ENS0_13BinaryFunctorIjjbNS0_12_GLOBAL__N_116CompareEqFunctorIjEEEESt5arrayIPcLm3EEEEviT0_T1_
    .private_segment_fixed_size: 0
    .sgpr_count:     29
    .sgpr_spill_count: 0
    .symbol:         _ZN2at6native29vectorized_elementwise_kernelILi4ENS0_13BinaryFunctorIjjbNS0_12_GLOBAL__N_116CompareEqFunctorIjEEEESt5arrayIPcLm3EEEEviT0_T1_.kd
    .uniform_work_group_size: 1
    .uses_dynamic_stack: false
    .vgpr_count:     39
    .vgpr_spill_count: 0
    .wavefront_size: 32
  - .args:
      - .offset:         0
        .size:           4
        .value_kind:     by_value
      - .offset:         4
        .size:           4
        .value_kind:     by_value
      - .offset:         8
        .size:           24
        .value_kind:     by_value
    .group_segment_fixed_size: 0
    .kernarg_segment_align: 8
    .kernarg_segment_size: 32
    .language:       OpenCL C
    .language_version:
      - 2
      - 0
    .max_flat_workgroup_size: 256
    .name:           _ZN2at6native29vectorized_elementwise_kernelILi2ENS0_13BinaryFunctorIjjbNS0_12_GLOBAL__N_116CompareEqFunctorIjEEEESt5arrayIPcLm3EEEEviT0_T1_
    .private_segment_fixed_size: 0
    .sgpr_count:     31
    .sgpr_spill_count: 0
    .symbol:         _ZN2at6native29vectorized_elementwise_kernelILi2ENS0_13BinaryFunctorIjjbNS0_12_GLOBAL__N_116CompareEqFunctorIjEEEESt5arrayIPcLm3EEEEviT0_T1_.kd
    .uniform_work_group_size: 1
    .uses_dynamic_stack: false
    .vgpr_count:     39
    .vgpr_spill_count: 0
    .wavefront_size: 32
  - .args:
      - .offset:         0
        .size:           4
        .value_kind:     by_value
      - .offset:         4
        .size:           4
        .value_kind:     by_value
      - .offset:         8
        .size:           24
        .value_kind:     by_value
      - .offset:         32
        .size:           1
        .value_kind:     by_value
      - .offset:         33
        .size:           1
        .value_kind:     by_value
      - .offset:         34
        .size:           1
        .value_kind:     by_value
      - .offset:         35
        .size:           1
        .value_kind:     by_value
    .group_segment_fixed_size: 0
    .kernarg_segment_align: 8
    .kernarg_segment_size: 36
    .language:       OpenCL C
    .language_version:
      - 2
      - 0
    .max_flat_workgroup_size: 256
    .name:           _ZN2at6native27unrolled_elementwise_kernelINS0_13BinaryFunctorIjjbNS0_12_GLOBAL__N_116CompareEqFunctorIjEEEESt5arrayIPcLm3EELi4E23TrivialOffsetCalculatorILi2EjESA_ILi1EjENS0_6memory15LoadWithoutCastENSD_16StoreWithoutCastEEEviT_T0_T2_T3_T4_T5_
    .private_segment_fixed_size: 0
    .sgpr_count:     17
    .sgpr_spill_count: 0
    .symbol:         _ZN2at6native27unrolled_elementwise_kernelINS0_13BinaryFunctorIjjbNS0_12_GLOBAL__N_116CompareEqFunctorIjEEEESt5arrayIPcLm3EELi4E23TrivialOffsetCalculatorILi2EjESA_ILi1EjENS0_6memory15LoadWithoutCastENSD_16StoreWithoutCastEEEviT_T0_T2_T3_T4_T5_.kd
    .uniform_work_group_size: 1
    .uses_dynamic_stack: false
    .vgpr_count:     12
    .vgpr_spill_count: 0
    .wavefront_size: 32
  - .args:
      - .offset:         0
        .size:           4
        .value_kind:     by_value
      - .offset:         8
        .size:           424
        .value_kind:     by_value
    .group_segment_fixed_size: 0
    .kernarg_segment_align: 8
    .kernarg_segment_size: 432
    .language:       OpenCL C
    .language_version:
      - 2
      - 0
    .max_flat_workgroup_size: 128
    .name:           _ZN2at6native32elementwise_kernel_manual_unrollILi128ELi8EZNS0_22gpu_kernel_impl_nocastINS0_13BinaryFunctorIjjbNS0_12_GLOBAL__N_116CompareEqFunctorIjEEEEEEvRNS_18TensorIteratorBaseERKT_EUlibE_EEviT1_
    .private_segment_fixed_size: 0
    .sgpr_count:     48
    .sgpr_spill_count: 0
    .symbol:         _ZN2at6native32elementwise_kernel_manual_unrollILi128ELi8EZNS0_22gpu_kernel_impl_nocastINS0_13BinaryFunctorIjjbNS0_12_GLOBAL__N_116CompareEqFunctorIjEEEEEEvRNS_18TensorIteratorBaseERKT_EUlibE_EEviT1_.kd
    .uniform_work_group_size: 1
    .uses_dynamic_stack: false
    .vgpr_count:     39
    .vgpr_spill_count: 0
    .wavefront_size: 32
  - .args:
      - .offset:         0
        .size:           4
        .value_kind:     by_value
      - .offset:         8
        .size:           48
        .value_kind:     by_value
    .group_segment_fixed_size: 0
    .kernarg_segment_align: 8
    .kernarg_segment_size: 56
    .language:       OpenCL C
    .language_version:
      - 2
      - 0
    .max_flat_workgroup_size: 128
    .name:           _ZN2at6native32elementwise_kernel_manual_unrollILi128ELi4EZNS0_15gpu_kernel_implINS0_13BinaryFunctorIjjbNS0_12_GLOBAL__N_116CompareEqFunctorIjEEEEEEvRNS_18TensorIteratorBaseERKT_EUlibE_EEviT1_
    .private_segment_fixed_size: 0
    .sgpr_count:     39
    .sgpr_spill_count: 0
    .symbol:         _ZN2at6native32elementwise_kernel_manual_unrollILi128ELi4EZNS0_15gpu_kernel_implINS0_13BinaryFunctorIjjbNS0_12_GLOBAL__N_116CompareEqFunctorIjEEEEEEvRNS_18TensorIteratorBaseERKT_EUlibE_EEviT1_.kd
    .uniform_work_group_size: 1
    .uses_dynamic_stack: false
    .vgpr_count:     18
    .vgpr_spill_count: 0
    .wavefront_size: 32
  - .args:
      - .offset:         0
        .size:           4
        .value_kind:     by_value
      - .offset:         8
        .size:           424
        .value_kind:     by_value
    .group_segment_fixed_size: 0
    .kernarg_segment_align: 8
    .kernarg_segment_size: 432
    .language:       OpenCL C
    .language_version:
      - 2
      - 0
    .max_flat_workgroup_size: 128
    .name:           _ZN2at6native32elementwise_kernel_manual_unrollILi128ELi4EZNS0_15gpu_kernel_implINS0_13BinaryFunctorIjjbNS0_12_GLOBAL__N_116CompareEqFunctorIjEEEEEEvRNS_18TensorIteratorBaseERKT_EUlibE0_EEviT1_
    .private_segment_fixed_size: 0
    .sgpr_count:     64
    .sgpr_spill_count: 0
    .symbol:         _ZN2at6native32elementwise_kernel_manual_unrollILi128ELi4EZNS0_15gpu_kernel_implINS0_13BinaryFunctorIjjbNS0_12_GLOBAL__N_116CompareEqFunctorIjEEEEEEvRNS_18TensorIteratorBaseERKT_EUlibE0_EEviT1_.kd
    .uniform_work_group_size: 1
    .uses_dynamic_stack: false
    .vgpr_count:     26
    .vgpr_spill_count: 0
    .wavefront_size: 32
  - .args:
      - .offset:         0
        .size:           4
        .value_kind:     by_value
      - .offset:         4
        .size:           8
        .value_kind:     by_value
      - .offset:         16
        .size:           16
        .value_kind:     by_value
    .group_segment_fixed_size: 0
    .kernarg_segment_align: 8
    .kernarg_segment_size: 32
    .language:       OpenCL C
    .language_version:
      - 2
      - 0
    .max_flat_workgroup_size: 256
    .name:           _ZN2at6native29vectorized_elementwise_kernelILi16ENS0_13AUnaryFunctorIjjbNS0_12_GLOBAL__N_116CompareEqFunctorIjEEEESt5arrayIPcLm2EEEEviT0_T1_
    .private_segment_fixed_size: 0
    .sgpr_count:     28
    .sgpr_spill_count: 0
    .symbol:         _ZN2at6native29vectorized_elementwise_kernelILi16ENS0_13AUnaryFunctorIjjbNS0_12_GLOBAL__N_116CompareEqFunctorIjEEEESt5arrayIPcLm2EEEEviT0_T1_.kd
    .uniform_work_group_size: 1
    .uses_dynamic_stack: false
    .vgpr_count:     21
    .vgpr_spill_count: 0
    .wavefront_size: 32
  - .args:
      - .offset:         0
        .size:           4
        .value_kind:     by_value
      - .offset:         4
        .size:           8
        .value_kind:     by_value
      - .offset:         16
        .size:           16
        .value_kind:     by_value
    .group_segment_fixed_size: 0
    .kernarg_segment_align: 8
    .kernarg_segment_size: 32
    .language:       OpenCL C
    .language_version:
      - 2
      - 0
    .max_flat_workgroup_size: 256
    .name:           _ZN2at6native29vectorized_elementwise_kernelILi8ENS0_13AUnaryFunctorIjjbNS0_12_GLOBAL__N_116CompareEqFunctorIjEEEESt5arrayIPcLm2EEEEviT0_T1_
    .private_segment_fixed_size: 0
    .sgpr_count:     28
    .sgpr_spill_count: 0
    .symbol:         _ZN2at6native29vectorized_elementwise_kernelILi8ENS0_13AUnaryFunctorIjjbNS0_12_GLOBAL__N_116CompareEqFunctorIjEEEESt5arrayIPcLm2EEEEviT0_T1_.kd
    .uniform_work_group_size: 1
    .uses_dynamic_stack: false
    .vgpr_count:     21
    .vgpr_spill_count: 0
    .wavefront_size: 32
  - .args:
      - .offset:         0
        .size:           4
        .value_kind:     by_value
      - .offset:         4
        .size:           8
        .value_kind:     by_value
      - .offset:         16
        .size:           16
        .value_kind:     by_value
    .group_segment_fixed_size: 0
    .kernarg_segment_align: 8
    .kernarg_segment_size: 32
    .language:       OpenCL C
    .language_version:
      - 2
      - 0
    .max_flat_workgroup_size: 256
    .name:           _ZN2at6native29vectorized_elementwise_kernelILi4ENS0_13AUnaryFunctorIjjbNS0_12_GLOBAL__N_116CompareEqFunctorIjEEEESt5arrayIPcLm2EEEEviT0_T1_
    .private_segment_fixed_size: 0
    .sgpr_count:     28
    .sgpr_spill_count: 0
    .symbol:         _ZN2at6native29vectorized_elementwise_kernelILi4ENS0_13AUnaryFunctorIjjbNS0_12_GLOBAL__N_116CompareEqFunctorIjEEEESt5arrayIPcLm2EEEEviT0_T1_.kd
    .uniform_work_group_size: 1
    .uses_dynamic_stack: false
    .vgpr_count:     21
    .vgpr_spill_count: 0
    .wavefront_size: 32
  - .args:
      - .offset:         0
        .size:           4
        .value_kind:     by_value
      - .offset:         4
        .size:           8
        .value_kind:     by_value
      - .offset:         16
        .size:           16
        .value_kind:     by_value
    .group_segment_fixed_size: 0
    .kernarg_segment_align: 8
    .kernarg_segment_size: 32
    .language:       OpenCL C
    .language_version:
      - 2
      - 0
    .max_flat_workgroup_size: 256
    .name:           _ZN2at6native29vectorized_elementwise_kernelILi2ENS0_13AUnaryFunctorIjjbNS0_12_GLOBAL__N_116CompareEqFunctorIjEEEESt5arrayIPcLm2EEEEviT0_T1_
    .private_segment_fixed_size: 0
    .sgpr_count:     30
    .sgpr_spill_count: 0
    .symbol:         _ZN2at6native29vectorized_elementwise_kernelILi2ENS0_13AUnaryFunctorIjjbNS0_12_GLOBAL__N_116CompareEqFunctorIjEEEESt5arrayIPcLm2EEEEviT0_T1_.kd
    .uniform_work_group_size: 1
    .uses_dynamic_stack: false
    .vgpr_count:     21
    .vgpr_spill_count: 0
    .wavefront_size: 32
  - .args:
      - .offset:         0
        .size:           4
        .value_kind:     by_value
      - .offset:         4
        .size:           8
        .value_kind:     by_value
      - .offset:         16
        .size:           16
        .value_kind:     by_value
      - .offset:         32
        .size:           1
        .value_kind:     by_value
      - .offset:         33
        .size:           1
        .value_kind:     by_value
      - .offset:         34
        .size:           1
        .value_kind:     by_value
      - .offset:         35
        .size:           1
        .value_kind:     by_value
    .group_segment_fixed_size: 0
    .kernarg_segment_align: 8
    .kernarg_segment_size: 36
    .language:       OpenCL C
    .language_version:
      - 2
      - 0
    .max_flat_workgroup_size: 256
    .name:           _ZN2at6native27unrolled_elementwise_kernelINS0_13AUnaryFunctorIjjbNS0_12_GLOBAL__N_116CompareEqFunctorIjEEEESt5arrayIPcLm2EELi4E23TrivialOffsetCalculatorILi1EjESB_NS0_6memory15LoadWithoutCastENSC_16StoreWithoutCastEEEviT_T0_T2_T3_T4_T5_
    .private_segment_fixed_size: 0
    .sgpr_count:     15
    .sgpr_spill_count: 0
    .symbol:         _ZN2at6native27unrolled_elementwise_kernelINS0_13AUnaryFunctorIjjbNS0_12_GLOBAL__N_116CompareEqFunctorIjEEEESt5arrayIPcLm2EELi4E23TrivialOffsetCalculatorILi1EjESB_NS0_6memory15LoadWithoutCastENSC_16StoreWithoutCastEEEviT_T0_T2_T3_T4_T5_.kd
    .uniform_work_group_size: 1
    .uses_dynamic_stack: false
    .vgpr_count:     8
    .vgpr_spill_count: 0
    .wavefront_size: 32
  - .args:
      - .offset:         0
        .size:           4
        .value_kind:     by_value
      - .offset:         8
        .size:           352
        .value_kind:     by_value
    .group_segment_fixed_size: 0
    .kernarg_segment_align: 8
    .kernarg_segment_size: 360
    .language:       OpenCL C
    .language_version:
      - 2
      - 0
    .max_flat_workgroup_size: 128
    .name:           _ZN2at6native32elementwise_kernel_manual_unrollILi128ELi8EZNS0_22gpu_kernel_impl_nocastINS0_13AUnaryFunctorIjjbNS0_12_GLOBAL__N_116CompareEqFunctorIjEEEEEEvRNS_18TensorIteratorBaseERKT_EUlibE_EEviT1_
    .private_segment_fixed_size: 0
    .sgpr_count:     62
    .sgpr_spill_count: 0
    .symbol:         _ZN2at6native32elementwise_kernel_manual_unrollILi128ELi8EZNS0_22gpu_kernel_impl_nocastINS0_13AUnaryFunctorIjjbNS0_12_GLOBAL__N_116CompareEqFunctorIjEEEEEEvRNS_18TensorIteratorBaseERKT_EUlibE_EEviT1_.kd
    .uniform_work_group_size: 1
    .uses_dynamic_stack: false
    .vgpr_count:     24
    .vgpr_spill_count: 0
    .wavefront_size: 32
  - .args:
      - .offset:         0
        .size:           4
        .value_kind:     by_value
      - .offset:         8
        .size:           40
        .value_kind:     by_value
    .group_segment_fixed_size: 0
    .kernarg_segment_align: 8
    .kernarg_segment_size: 48
    .language:       OpenCL C
    .language_version:
      - 2
      - 0
    .max_flat_workgroup_size: 128
    .name:           _ZN2at6native32elementwise_kernel_manual_unrollILi128ELi4EZNS0_15gpu_kernel_implINS0_13AUnaryFunctorIjjbNS0_12_GLOBAL__N_116CompareEqFunctorIjEEEEEEvRNS_18TensorIteratorBaseERKT_EUlibE_EEviT1_
    .private_segment_fixed_size: 0
    .sgpr_count:     32
    .sgpr_spill_count: 0
    .symbol:         _ZN2at6native32elementwise_kernel_manual_unrollILi128ELi4EZNS0_15gpu_kernel_implINS0_13AUnaryFunctorIjjbNS0_12_GLOBAL__N_116CompareEqFunctorIjEEEEEEvRNS_18TensorIteratorBaseERKT_EUlibE_EEviT1_.kd
    .uniform_work_group_size: 1
    .uses_dynamic_stack: false
    .vgpr_count:     12
    .vgpr_spill_count: 0
    .wavefront_size: 32
  - .args:
      - .offset:         0
        .size:           4
        .value_kind:     by_value
      - .offset:         8
        .size:           360
        .value_kind:     by_value
    .group_segment_fixed_size: 0
    .kernarg_segment_align: 8
    .kernarg_segment_size: 368
    .language:       OpenCL C
    .language_version:
      - 2
      - 0
    .max_flat_workgroup_size: 128
    .name:           _ZN2at6native32elementwise_kernel_manual_unrollILi128ELi4EZNS0_15gpu_kernel_implINS0_13AUnaryFunctorIjjbNS0_12_GLOBAL__N_116CompareEqFunctorIjEEEEEEvRNS_18TensorIteratorBaseERKT_EUlibE0_EEviT1_
    .private_segment_fixed_size: 0
    .sgpr_count:     70
    .sgpr_spill_count: 0
    .symbol:         _ZN2at6native32elementwise_kernel_manual_unrollILi128ELi4EZNS0_15gpu_kernel_implINS0_13AUnaryFunctorIjjbNS0_12_GLOBAL__N_116CompareEqFunctorIjEEEEEEvRNS_18TensorIteratorBaseERKT_EUlibE0_EEviT1_.kd
    .uniform_work_group_size: 1
    .uses_dynamic_stack: false
    .vgpr_count:     18
    .vgpr_spill_count: 0
    .wavefront_size: 32
  - .args:
      - .offset:         0
        .size:           4
        .value_kind:     by_value
      - .offset:         4
        .size:           4
        .value_kind:     by_value
      - .offset:         8
        .size:           24
        .value_kind:     by_value
    .group_segment_fixed_size: 0
    .kernarg_segment_align: 8
    .kernarg_segment_size: 32
    .language:       OpenCL C
    .language_version:
      - 2
      - 0
    .max_flat_workgroup_size: 256
    .name:           _ZN2at6native29vectorized_elementwise_kernelILi16ENS0_13BinaryFunctorImmbNS0_12_GLOBAL__N_116CompareEqFunctorImEEEESt5arrayIPcLm3EEEEviT0_T1_
    .private_segment_fixed_size: 0
    .sgpr_count:     29
    .sgpr_spill_count: 0
    .symbol:         _ZN2at6native29vectorized_elementwise_kernelILi16ENS0_13BinaryFunctorImmbNS0_12_GLOBAL__N_116CompareEqFunctorImEEEESt5arrayIPcLm3EEEEviT0_T1_.kd
    .uniform_work_group_size: 1
    .uses_dynamic_stack: false
    .vgpr_count:     58
    .vgpr_spill_count: 0
    .wavefront_size: 32
  - .args:
      - .offset:         0
        .size:           4
        .value_kind:     by_value
      - .offset:         4
        .size:           4
        .value_kind:     by_value
      - .offset:         8
        .size:           24
        .value_kind:     by_value
    .group_segment_fixed_size: 0
    .kernarg_segment_align: 8
    .kernarg_segment_size: 32
    .language:       OpenCL C
    .language_version:
      - 2
      - 0
    .max_flat_workgroup_size: 256
    .name:           _ZN2at6native29vectorized_elementwise_kernelILi8ENS0_13BinaryFunctorImmbNS0_12_GLOBAL__N_116CompareEqFunctorImEEEESt5arrayIPcLm3EEEEviT0_T1_
    .private_segment_fixed_size: 0
    .sgpr_count:     29
    .sgpr_spill_count: 0
    .symbol:         _ZN2at6native29vectorized_elementwise_kernelILi8ENS0_13BinaryFunctorImmbNS0_12_GLOBAL__N_116CompareEqFunctorImEEEESt5arrayIPcLm3EEEEviT0_T1_.kd
    .uniform_work_group_size: 1
    .uses_dynamic_stack: false
    .vgpr_count:     58
    .vgpr_spill_count: 0
    .wavefront_size: 32
  - .args:
      - .offset:         0
        .size:           4
        .value_kind:     by_value
      - .offset:         4
        .size:           4
        .value_kind:     by_value
      - .offset:         8
        .size:           24
        .value_kind:     by_value
    .group_segment_fixed_size: 0
    .kernarg_segment_align: 8
    .kernarg_segment_size: 32
    .language:       OpenCL C
    .language_version:
      - 2
      - 0
    .max_flat_workgroup_size: 256
    .name:           _ZN2at6native29vectorized_elementwise_kernelILi4ENS0_13BinaryFunctorImmbNS0_12_GLOBAL__N_116CompareEqFunctorImEEEESt5arrayIPcLm3EEEEviT0_T1_
    .private_segment_fixed_size: 0
    .sgpr_count:     29
    .sgpr_spill_count: 0
    .symbol:         _ZN2at6native29vectorized_elementwise_kernelILi4ENS0_13BinaryFunctorImmbNS0_12_GLOBAL__N_116CompareEqFunctorImEEEESt5arrayIPcLm3EEEEviT0_T1_.kd
    .uniform_work_group_size: 1
    .uses_dynamic_stack: false
    .vgpr_count:     58
    .vgpr_spill_count: 0
    .wavefront_size: 32
  - .args:
      - .offset:         0
        .size:           4
        .value_kind:     by_value
      - .offset:         4
        .size:           4
        .value_kind:     by_value
      - .offset:         8
        .size:           24
        .value_kind:     by_value
    .group_segment_fixed_size: 0
    .kernarg_segment_align: 8
    .kernarg_segment_size: 32
    .language:       OpenCL C
    .language_version:
      - 2
      - 0
    .max_flat_workgroup_size: 256
    .name:           _ZN2at6native29vectorized_elementwise_kernelILi2ENS0_13BinaryFunctorImmbNS0_12_GLOBAL__N_116CompareEqFunctorImEEEESt5arrayIPcLm3EEEEviT0_T1_
    .private_segment_fixed_size: 0
    .sgpr_count:     31
    .sgpr_spill_count: 0
    .symbol:         _ZN2at6native29vectorized_elementwise_kernelILi2ENS0_13BinaryFunctorImmbNS0_12_GLOBAL__N_116CompareEqFunctorImEEEESt5arrayIPcLm3EEEEviT0_T1_.kd
    .uniform_work_group_size: 1
    .uses_dynamic_stack: false
    .vgpr_count:     58
    .vgpr_spill_count: 0
    .wavefront_size: 32
  - .args:
      - .offset:         0
        .size:           4
        .value_kind:     by_value
      - .offset:         4
        .size:           4
        .value_kind:     by_value
      - .offset:         8
        .size:           24
        .value_kind:     by_value
      - .offset:         32
        .size:           1
        .value_kind:     by_value
      - .offset:         33
        .size:           1
        .value_kind:     by_value
      - .offset:         34
        .size:           1
        .value_kind:     by_value
      - .offset:         35
        .size:           1
        .value_kind:     by_value
    .group_segment_fixed_size: 0
    .kernarg_segment_align: 8
    .kernarg_segment_size: 36
    .language:       OpenCL C
    .language_version:
      - 2
      - 0
    .max_flat_workgroup_size: 256
    .name:           _ZN2at6native27unrolled_elementwise_kernelINS0_13BinaryFunctorImmbNS0_12_GLOBAL__N_116CompareEqFunctorImEEEESt5arrayIPcLm3EELi4E23TrivialOffsetCalculatorILi2EjESA_ILi1EjENS0_6memory15LoadWithoutCastENSD_16StoreWithoutCastEEEviT_T0_T2_T3_T4_T5_
    .private_segment_fixed_size: 0
    .sgpr_count:     17
    .sgpr_spill_count: 0
    .symbol:         _ZN2at6native27unrolled_elementwise_kernelINS0_13BinaryFunctorImmbNS0_12_GLOBAL__N_116CompareEqFunctorImEEEESt5arrayIPcLm3EELi4E23TrivialOffsetCalculatorILi2EjESA_ILi1EjENS0_6memory15LoadWithoutCastENSD_16StoreWithoutCastEEEviT_T0_T2_T3_T4_T5_.kd
    .uniform_work_group_size: 1
    .uses_dynamic_stack: false
    .vgpr_count:     9
    .vgpr_spill_count: 0
    .wavefront_size: 32
  - .args:
      - .offset:         0
        .size:           4
        .value_kind:     by_value
      - .offset:         8
        .size:           424
        .value_kind:     by_value
    .group_segment_fixed_size: 0
    .kernarg_segment_align: 8
    .kernarg_segment_size: 432
    .language:       OpenCL C
    .language_version:
      - 2
      - 0
    .max_flat_workgroup_size: 128
    .name:           _ZN2at6native32elementwise_kernel_manual_unrollILi128ELi8EZNS0_22gpu_kernel_impl_nocastINS0_13BinaryFunctorImmbNS0_12_GLOBAL__N_116CompareEqFunctorImEEEEEEvRNS_18TensorIteratorBaseERKT_EUlibE_EEviT1_
    .private_segment_fixed_size: 0
    .sgpr_count:     48
    .sgpr_spill_count: 0
    .symbol:         _ZN2at6native32elementwise_kernel_manual_unrollILi128ELi8EZNS0_22gpu_kernel_impl_nocastINS0_13BinaryFunctorImmbNS0_12_GLOBAL__N_116CompareEqFunctorImEEEEEEvRNS_18TensorIteratorBaseERKT_EUlibE_EEviT1_.kd
    .uniform_work_group_size: 1
    .uses_dynamic_stack: false
    .vgpr_count:     56
    .vgpr_spill_count: 0
    .wavefront_size: 32
  - .args:
      - .offset:         0
        .size:           4
        .value_kind:     by_value
      - .offset:         8
        .size:           48
        .value_kind:     by_value
    .group_segment_fixed_size: 0
    .kernarg_segment_align: 8
    .kernarg_segment_size: 56
    .language:       OpenCL C
    .language_version:
      - 2
      - 0
    .max_flat_workgroup_size: 128
    .name:           _ZN2at6native32elementwise_kernel_manual_unrollILi128ELi4EZNS0_15gpu_kernel_implINS0_13BinaryFunctorImmbNS0_12_GLOBAL__N_116CompareEqFunctorImEEEEEEvRNS_18TensorIteratorBaseERKT_EUlibE_EEviT1_
    .private_segment_fixed_size: 0
    .sgpr_count:     39
    .sgpr_spill_count: 0
    .symbol:         _ZN2at6native32elementwise_kernel_manual_unrollILi128ELi4EZNS0_15gpu_kernel_implINS0_13BinaryFunctorImmbNS0_12_GLOBAL__N_116CompareEqFunctorImEEEEEEvRNS_18TensorIteratorBaseERKT_EUlibE_EEviT1_.kd
    .uniform_work_group_size: 1
    .uses_dynamic_stack: false
    .vgpr_count:     24
    .vgpr_spill_count: 0
    .wavefront_size: 32
  - .args:
      - .offset:         0
        .size:           4
        .value_kind:     by_value
      - .offset:         8
        .size:           424
        .value_kind:     by_value
    .group_segment_fixed_size: 0
    .kernarg_segment_align: 8
    .kernarg_segment_size: 432
    .language:       OpenCL C
    .language_version:
      - 2
      - 0
    .max_flat_workgroup_size: 128
    .name:           _ZN2at6native32elementwise_kernel_manual_unrollILi128ELi4EZNS0_15gpu_kernel_implINS0_13BinaryFunctorImmbNS0_12_GLOBAL__N_116CompareEqFunctorImEEEEEEvRNS_18TensorIteratorBaseERKT_EUlibE0_EEviT1_
    .private_segment_fixed_size: 0
    .sgpr_count:     64
    .sgpr_spill_count: 0
    .symbol:         _ZN2at6native32elementwise_kernel_manual_unrollILi128ELi4EZNS0_15gpu_kernel_implINS0_13BinaryFunctorImmbNS0_12_GLOBAL__N_116CompareEqFunctorImEEEEEEvRNS_18TensorIteratorBaseERKT_EUlibE0_EEviT1_.kd
    .uniform_work_group_size: 1
    .uses_dynamic_stack: false
    .vgpr_count:     30
    .vgpr_spill_count: 0
    .wavefront_size: 32
  - .args:
      - .offset:         0
        .size:           4
        .value_kind:     by_value
      - .offset:         8
        .size:           16
        .value_kind:     by_value
      - .offset:         24
        .size:           16
        .value_kind:     by_value
    .group_segment_fixed_size: 0
    .kernarg_segment_align: 8
    .kernarg_segment_size: 40
    .language:       OpenCL C
    .language_version:
      - 2
      - 0
    .max_flat_workgroup_size: 256
    .name:           _ZN2at6native29vectorized_elementwise_kernelILi16ENS0_13AUnaryFunctorImmbNS0_12_GLOBAL__N_116CompareEqFunctorImEEEESt5arrayIPcLm2EEEEviT0_T1_
    .private_segment_fixed_size: 0
    .sgpr_count:     29
    .sgpr_spill_count: 0
    .symbol:         _ZN2at6native29vectorized_elementwise_kernelILi16ENS0_13AUnaryFunctorImmbNS0_12_GLOBAL__N_116CompareEqFunctorImEEEESt5arrayIPcLm2EEEEviT0_T1_.kd
    .uniform_work_group_size: 1
    .uses_dynamic_stack: false
    .vgpr_count:     36
    .vgpr_spill_count: 0
    .wavefront_size: 32
  - .args:
      - .offset:         0
        .size:           4
        .value_kind:     by_value
      - .offset:         8
        .size:           16
        .value_kind:     by_value
      - .offset:         24
        .size:           16
        .value_kind:     by_value
    .group_segment_fixed_size: 0
    .kernarg_segment_align: 8
    .kernarg_segment_size: 40
    .language:       OpenCL C
    .language_version:
      - 2
      - 0
    .max_flat_workgroup_size: 256
    .name:           _ZN2at6native29vectorized_elementwise_kernelILi8ENS0_13AUnaryFunctorImmbNS0_12_GLOBAL__N_116CompareEqFunctorImEEEESt5arrayIPcLm2EEEEviT0_T1_
    .private_segment_fixed_size: 0
    .sgpr_count:     29
    .sgpr_spill_count: 0
    .symbol:         _ZN2at6native29vectorized_elementwise_kernelILi8ENS0_13AUnaryFunctorImmbNS0_12_GLOBAL__N_116CompareEqFunctorImEEEESt5arrayIPcLm2EEEEviT0_T1_.kd
    .uniform_work_group_size: 1
    .uses_dynamic_stack: false
    .vgpr_count:     36
    .vgpr_spill_count: 0
    .wavefront_size: 32
  - .args:
      - .offset:         0
        .size:           4
        .value_kind:     by_value
      - .offset:         8
        .size:           16
        .value_kind:     by_value
      - .offset:         24
        .size:           16
        .value_kind:     by_value
    .group_segment_fixed_size: 0
    .kernarg_segment_align: 8
    .kernarg_segment_size: 40
    .language:       OpenCL C
    .language_version:
      - 2
      - 0
    .max_flat_workgroup_size: 256
    .name:           _ZN2at6native29vectorized_elementwise_kernelILi4ENS0_13AUnaryFunctorImmbNS0_12_GLOBAL__N_116CompareEqFunctorImEEEESt5arrayIPcLm2EEEEviT0_T1_
    .private_segment_fixed_size: 0
    .sgpr_count:     29
    .sgpr_spill_count: 0
    .symbol:         _ZN2at6native29vectorized_elementwise_kernelILi4ENS0_13AUnaryFunctorImmbNS0_12_GLOBAL__N_116CompareEqFunctorImEEEESt5arrayIPcLm2EEEEviT0_T1_.kd
    .uniform_work_group_size: 1
    .uses_dynamic_stack: false
    .vgpr_count:     36
    .vgpr_spill_count: 0
    .wavefront_size: 32
  - .args:
      - .offset:         0
        .size:           4
        .value_kind:     by_value
      - .offset:         8
        .size:           16
        .value_kind:     by_value
      - .offset:         24
        .size:           16
        .value_kind:     by_value
    .group_segment_fixed_size: 0
    .kernarg_segment_align: 8
    .kernarg_segment_size: 40
    .language:       OpenCL C
    .language_version:
      - 2
      - 0
    .max_flat_workgroup_size: 256
    .name:           _ZN2at6native29vectorized_elementwise_kernelILi2ENS0_13AUnaryFunctorImmbNS0_12_GLOBAL__N_116CompareEqFunctorImEEEESt5arrayIPcLm2EEEEviT0_T1_
    .private_segment_fixed_size: 0
    .sgpr_count:     31
    .sgpr_spill_count: 0
    .symbol:         _ZN2at6native29vectorized_elementwise_kernelILi2ENS0_13AUnaryFunctorImmbNS0_12_GLOBAL__N_116CompareEqFunctorImEEEESt5arrayIPcLm2EEEEviT0_T1_.kd
    .uniform_work_group_size: 1
    .uses_dynamic_stack: false
    .vgpr_count:     36
    .vgpr_spill_count: 0
    .wavefront_size: 32
  - .args:
      - .offset:         0
        .size:           4
        .value_kind:     by_value
      - .offset:         8
        .size:           16
        .value_kind:     by_value
      - .offset:         24
        .size:           16
        .value_kind:     by_value
      - .offset:         40
        .size:           1
        .value_kind:     by_value
      - .offset:         41
        .size:           1
        .value_kind:     by_value
      - .offset:         42
        .size:           1
        .value_kind:     by_value
      - .offset:         43
        .size:           1
        .value_kind:     by_value
    .group_segment_fixed_size: 0
    .kernarg_segment_align: 8
    .kernarg_segment_size: 44
    .language:       OpenCL C
    .language_version:
      - 2
      - 0
    .max_flat_workgroup_size: 256
    .name:           _ZN2at6native27unrolled_elementwise_kernelINS0_13AUnaryFunctorImmbNS0_12_GLOBAL__N_116CompareEqFunctorImEEEESt5arrayIPcLm2EELi4E23TrivialOffsetCalculatorILi1EjESB_NS0_6memory15LoadWithoutCastENSC_16StoreWithoutCastEEEviT_T0_T2_T3_T4_T5_
    .private_segment_fixed_size: 0
    .sgpr_count:     14
    .sgpr_spill_count: 0
    .symbol:         _ZN2at6native27unrolled_elementwise_kernelINS0_13AUnaryFunctorImmbNS0_12_GLOBAL__N_116CompareEqFunctorImEEEESt5arrayIPcLm2EELi4E23TrivialOffsetCalculatorILi1EjESB_NS0_6memory15LoadWithoutCastENSC_16StoreWithoutCastEEEviT_T0_T2_T3_T4_T5_.kd
    .uniform_work_group_size: 1
    .uses_dynamic_stack: false
    .vgpr_count:     12
    .vgpr_spill_count: 0
    .wavefront_size: 32
  - .args:
      - .offset:         0
        .size:           4
        .value_kind:     by_value
      - .offset:         8
        .size:           360
        .value_kind:     by_value
    .group_segment_fixed_size: 0
    .kernarg_segment_align: 8
    .kernarg_segment_size: 368
    .language:       OpenCL C
    .language_version:
      - 2
      - 0
    .max_flat_workgroup_size: 128
    .name:           _ZN2at6native32elementwise_kernel_manual_unrollILi128ELi8EZNS0_22gpu_kernel_impl_nocastINS0_13AUnaryFunctorImmbNS0_12_GLOBAL__N_116CompareEqFunctorImEEEEEEvRNS_18TensorIteratorBaseERKT_EUlibE_EEviT1_
    .private_segment_fixed_size: 0
    .sgpr_count:     62
    .sgpr_spill_count: 0
    .symbol:         _ZN2at6native32elementwise_kernel_manual_unrollILi128ELi8EZNS0_22gpu_kernel_impl_nocastINS0_13AUnaryFunctorImmbNS0_12_GLOBAL__N_116CompareEqFunctorImEEEEEEvRNS_18TensorIteratorBaseERKT_EUlibE_EEviT1_.kd
    .uniform_work_group_size: 1
    .uses_dynamic_stack: false
    .vgpr_count:     32
    .vgpr_spill_count: 0
    .wavefront_size: 32
  - .args:
      - .offset:         0
        .size:           4
        .value_kind:     by_value
      - .offset:         8
        .size:           48
        .value_kind:     by_value
    .group_segment_fixed_size: 0
    .kernarg_segment_align: 8
    .kernarg_segment_size: 56
    .language:       OpenCL C
    .language_version:
      - 2
      - 0
    .max_flat_workgroup_size: 128
    .name:           _ZN2at6native32elementwise_kernel_manual_unrollILi128ELi4EZNS0_15gpu_kernel_implINS0_13AUnaryFunctorImmbNS0_12_GLOBAL__N_116CompareEqFunctorImEEEEEEvRNS_18TensorIteratorBaseERKT_EUlibE_EEviT1_
    .private_segment_fixed_size: 0
    .sgpr_count:     33
    .sgpr_spill_count: 0
    .symbol:         _ZN2at6native32elementwise_kernel_manual_unrollILi128ELi4EZNS0_15gpu_kernel_implINS0_13AUnaryFunctorImmbNS0_12_GLOBAL__N_116CompareEqFunctorImEEEEEEvRNS_18TensorIteratorBaseERKT_EUlibE_EEviT1_.kd
    .uniform_work_group_size: 1
    .uses_dynamic_stack: false
    .vgpr_count:     16
    .vgpr_spill_count: 0
    .wavefront_size: 32
  - .args:
      - .offset:         0
        .size:           4
        .value_kind:     by_value
      - .offset:         8
        .size:           368
        .value_kind:     by_value
    .group_segment_fixed_size: 0
    .kernarg_segment_align: 8
    .kernarg_segment_size: 376
    .language:       OpenCL C
    .language_version:
      - 2
      - 0
    .max_flat_workgroup_size: 128
    .name:           _ZN2at6native32elementwise_kernel_manual_unrollILi128ELi4EZNS0_15gpu_kernel_implINS0_13AUnaryFunctorImmbNS0_12_GLOBAL__N_116CompareEqFunctorImEEEEEEvRNS_18TensorIteratorBaseERKT_EUlibE0_EEviT1_
    .private_segment_fixed_size: 0
    .sgpr_count:     74
    .sgpr_spill_count: 0
    .symbol:         _ZN2at6native32elementwise_kernel_manual_unrollILi128ELi4EZNS0_15gpu_kernel_implINS0_13AUnaryFunctorImmbNS0_12_GLOBAL__N_116CompareEqFunctorImEEEEEEvRNS_18TensorIteratorBaseERKT_EUlibE0_EEviT1_.kd
    .uniform_work_group_size: 1
    .uses_dynamic_stack: false
    .vgpr_count:     22
    .vgpr_spill_count: 0
    .wavefront_size: 32
  - .args:
      - .offset:         0
        .size:           4
        .value_kind:     by_value
      - .offset:         4
        .size:           4
        .value_kind:     by_value
      - .offset:         8
        .size:           24
        .value_kind:     by_value
    .group_segment_fixed_size: 0
    .kernarg_segment_align: 8
    .kernarg_segment_size: 32
    .language:       OpenCL C
    .language_version:
      - 2
      - 0
    .max_flat_workgroup_size: 256
    .name:           _ZN2at6native29vectorized_elementwise_kernelILi16ENS0_13BinaryFunctorIN3c1016Float4_e2m1fn_x2ES4_bNS0_12_GLOBAL__N_116CompareEqFunctorIS4_EEEESt5arrayIPcLm3EEEEviT0_T1_
    .private_segment_fixed_size: 0
    .sgpr_count:     27
    .sgpr_spill_count: 0
    .symbol:         _ZN2at6native29vectorized_elementwise_kernelILi16ENS0_13BinaryFunctorIN3c1016Float4_e2m1fn_x2ES4_bNS0_12_GLOBAL__N_116CompareEqFunctorIS4_EEEESt5arrayIPcLm3EEEEviT0_T1_.kd
    .uniform_work_group_size: 1
    .uses_dynamic_stack: false
    .vgpr_count:     39
    .vgpr_spill_count: 0
    .wavefront_size: 32
  - .args:
      - .offset:         0
        .size:           4
        .value_kind:     by_value
      - .offset:         4
        .size:           4
        .value_kind:     by_value
      - .offset:         8
        .size:           24
        .value_kind:     by_value
    .group_segment_fixed_size: 0
    .kernarg_segment_align: 8
    .kernarg_segment_size: 32
    .language:       OpenCL C
    .language_version:
      - 2
      - 0
    .max_flat_workgroup_size: 256
    .name:           _ZN2at6native29vectorized_elementwise_kernelILi8ENS0_13BinaryFunctorIN3c1016Float4_e2m1fn_x2ES4_bNS0_12_GLOBAL__N_116CompareEqFunctorIS4_EEEESt5arrayIPcLm3EEEEviT0_T1_
    .private_segment_fixed_size: 0
    .sgpr_count:     25
    .sgpr_spill_count: 0
    .symbol:         _ZN2at6native29vectorized_elementwise_kernelILi8ENS0_13BinaryFunctorIN3c1016Float4_e2m1fn_x2ES4_bNS0_12_GLOBAL__N_116CompareEqFunctorIS4_EEEESt5arrayIPcLm3EEEEviT0_T1_.kd
    .uniform_work_group_size: 1
    .uses_dynamic_stack: false
    .vgpr_count:     39
    .vgpr_spill_count: 0
    .wavefront_size: 32
  - .args:
      - .offset:         0
        .size:           4
        .value_kind:     by_value
      - .offset:         4
        .size:           4
        .value_kind:     by_value
      - .offset:         8
        .size:           24
        .value_kind:     by_value
    .group_segment_fixed_size: 0
    .kernarg_segment_align: 8
    .kernarg_segment_size: 32
    .language:       OpenCL C
    .language_version:
      - 2
      - 0
    .max_flat_workgroup_size: 256
    .name:           _ZN2at6native29vectorized_elementwise_kernelILi4ENS0_13BinaryFunctorIN3c1016Float4_e2m1fn_x2ES4_bNS0_12_GLOBAL__N_116CompareEqFunctorIS4_EEEESt5arrayIPcLm3EEEEviT0_T1_
    .private_segment_fixed_size: 0
    .sgpr_count:     25
    .sgpr_spill_count: 0
    .symbol:         _ZN2at6native29vectorized_elementwise_kernelILi4ENS0_13BinaryFunctorIN3c1016Float4_e2m1fn_x2ES4_bNS0_12_GLOBAL__N_116CompareEqFunctorIS4_EEEESt5arrayIPcLm3EEEEviT0_T1_.kd
    .uniform_work_group_size: 1
    .uses_dynamic_stack: false
    .vgpr_count:     39
    .vgpr_spill_count: 0
    .wavefront_size: 32
  - .args:
      - .offset:         0
        .size:           4
        .value_kind:     by_value
      - .offset:         4
        .size:           4
        .value_kind:     by_value
      - .offset:         8
        .size:           24
        .value_kind:     by_value
    .group_segment_fixed_size: 0
    .kernarg_segment_align: 8
    .kernarg_segment_size: 32
    .language:       OpenCL C
    .language_version:
      - 2
      - 0
    .max_flat_workgroup_size: 256
    .name:           _ZN2at6native29vectorized_elementwise_kernelILi2ENS0_13BinaryFunctorIN3c1016Float4_e2m1fn_x2ES4_bNS0_12_GLOBAL__N_116CompareEqFunctorIS4_EEEESt5arrayIPcLm3EEEEviT0_T1_
    .private_segment_fixed_size: 0
    .sgpr_count:     31
    .sgpr_spill_count: 0
    .symbol:         _ZN2at6native29vectorized_elementwise_kernelILi2ENS0_13BinaryFunctorIN3c1016Float4_e2m1fn_x2ES4_bNS0_12_GLOBAL__N_116CompareEqFunctorIS4_EEEESt5arrayIPcLm3EEEEviT0_T1_.kd
    .uniform_work_group_size: 1
    .uses_dynamic_stack: false
    .vgpr_count:     39
    .vgpr_spill_count: 0
    .wavefront_size: 32
  - .args:
      - .offset:         0
        .size:           4
        .value_kind:     by_value
      - .offset:         4
        .size:           4
        .value_kind:     by_value
      - .offset:         8
        .size:           24
        .value_kind:     by_value
      - .offset:         32
        .size:           1
        .value_kind:     by_value
      - .offset:         33
        .size:           1
        .value_kind:     by_value
      - .offset:         34
        .size:           1
        .value_kind:     by_value
      - .offset:         35
        .size:           1
        .value_kind:     by_value
    .group_segment_fixed_size: 0
    .kernarg_segment_align: 8
    .kernarg_segment_size: 36
    .language:       OpenCL C
    .language_version:
      - 2
      - 0
    .max_flat_workgroup_size: 256
    .name:           _ZN2at6native27unrolled_elementwise_kernelINS0_13BinaryFunctorIN3c1016Float4_e2m1fn_x2ES4_bNS0_12_GLOBAL__N_116CompareEqFunctorIS4_EEEESt5arrayIPcLm3EELi4E23TrivialOffsetCalculatorILi2EjESC_ILi1EjENS0_6memory15LoadWithoutCastENSF_16StoreWithoutCastEEEviT_T0_T2_T3_T4_T5_
    .private_segment_fixed_size: 0
    .sgpr_count:     17
    .sgpr_spill_count: 0
    .symbol:         _ZN2at6native27unrolled_elementwise_kernelINS0_13BinaryFunctorIN3c1016Float4_e2m1fn_x2ES4_bNS0_12_GLOBAL__N_116CompareEqFunctorIS4_EEEESt5arrayIPcLm3EELi4E23TrivialOffsetCalculatorILi2EjESC_ILi1EjENS0_6memory15LoadWithoutCastENSF_16StoreWithoutCastEEEviT_T0_T2_T3_T4_T5_.kd
    .uniform_work_group_size: 1
    .uses_dynamic_stack: false
    .vgpr_count:     12
    .vgpr_spill_count: 0
    .wavefront_size: 32
  - .args:
      - .offset:         0
        .size:           4
        .value_kind:     by_value
      - .offset:         8
        .size:           424
        .value_kind:     by_value
    .group_segment_fixed_size: 0
    .kernarg_segment_align: 8
    .kernarg_segment_size: 432
    .language:       OpenCL C
    .language_version:
      - 2
      - 0
    .max_flat_workgroup_size: 128
    .name:           _ZN2at6native32elementwise_kernel_manual_unrollILi128ELi8EZNS0_22gpu_kernel_impl_nocastINS0_13BinaryFunctorIN3c1016Float4_e2m1fn_x2ES5_bNS0_12_GLOBAL__N_116CompareEqFunctorIS5_EEEEEEvRNS_18TensorIteratorBaseERKT_EUlibE_EEviT1_
    .private_segment_fixed_size: 0
    .sgpr_count:     48
    .sgpr_spill_count: 0
    .symbol:         _ZN2at6native32elementwise_kernel_manual_unrollILi128ELi8EZNS0_22gpu_kernel_impl_nocastINS0_13BinaryFunctorIN3c1016Float4_e2m1fn_x2ES5_bNS0_12_GLOBAL__N_116CompareEqFunctorIS5_EEEEEEvRNS_18TensorIteratorBaseERKT_EUlibE_EEviT1_.kd
    .uniform_work_group_size: 1
    .uses_dynamic_stack: false
    .vgpr_count:     39
    .vgpr_spill_count: 0
    .wavefront_size: 32
  - .args:
      - .offset:         0
        .size:           4
        .value_kind:     by_value
      - .offset:         8
        .size:           48
        .value_kind:     by_value
    .group_segment_fixed_size: 0
    .kernarg_segment_align: 8
    .kernarg_segment_size: 56
    .language:       OpenCL C
    .language_version:
      - 2
      - 0
    .max_flat_workgroup_size: 128
    .name:           _ZN2at6native32elementwise_kernel_manual_unrollILi128ELi4EZNS0_15gpu_kernel_implINS0_13BinaryFunctorIN3c1016Float4_e2m1fn_x2ES5_bNS0_12_GLOBAL__N_116CompareEqFunctorIS5_EEEEEEvRNS_18TensorIteratorBaseERKT_EUlibE_EEviT1_
    .private_segment_fixed_size: 0
    .sgpr_count:     39
    .sgpr_spill_count: 0
    .symbol:         _ZN2at6native32elementwise_kernel_manual_unrollILi128ELi4EZNS0_15gpu_kernel_implINS0_13BinaryFunctorIN3c1016Float4_e2m1fn_x2ES5_bNS0_12_GLOBAL__N_116CompareEqFunctorIS5_EEEEEEvRNS_18TensorIteratorBaseERKT_EUlibE_EEviT1_.kd
    .uniform_work_group_size: 1
    .uses_dynamic_stack: false
    .vgpr_count:     22
    .vgpr_spill_count: 0
    .wavefront_size: 32
  - .args:
      - .offset:         0
        .size:           4
        .value_kind:     by_value
      - .offset:         8
        .size:           424
        .value_kind:     by_value
    .group_segment_fixed_size: 0
    .kernarg_segment_align: 8
    .kernarg_segment_size: 432
    .language:       OpenCL C
    .language_version:
      - 2
      - 0
    .max_flat_workgroup_size: 128
    .name:           _ZN2at6native32elementwise_kernel_manual_unrollILi128ELi4EZNS0_15gpu_kernel_implINS0_13BinaryFunctorIN3c1016Float4_e2m1fn_x2ES5_bNS0_12_GLOBAL__N_116CompareEqFunctorIS5_EEEEEEvRNS_18TensorIteratorBaseERKT_EUlibE0_EEviT1_
    .private_segment_fixed_size: 0
    .sgpr_count:     64
    .sgpr_spill_count: 0
    .symbol:         _ZN2at6native32elementwise_kernel_manual_unrollILi128ELi4EZNS0_15gpu_kernel_implINS0_13BinaryFunctorIN3c1016Float4_e2m1fn_x2ES5_bNS0_12_GLOBAL__N_116CompareEqFunctorIS5_EEEEEEvRNS_18TensorIteratorBaseERKT_EUlibE0_EEviT1_.kd
    .uniform_work_group_size: 1
    .uses_dynamic_stack: false
    .vgpr_count:     28
    .vgpr_spill_count: 0
    .wavefront_size: 32
  - .args:
      - .offset:         0
        .size:           4
        .value_kind:     by_value
      - .offset:         4
        .size:           8
        .value_kind:     by_value
      - .offset:         16
        .size:           16
        .value_kind:     by_value
    .group_segment_fixed_size: 0
    .kernarg_segment_align: 8
    .kernarg_segment_size: 32
    .language:       OpenCL C
    .language_version:
      - 2
      - 0
    .max_flat_workgroup_size: 256
    .name:           _ZN2at6native29vectorized_elementwise_kernelILi16ENS0_13AUnaryFunctorIN3c1016Float4_e2m1fn_x2ES4_bNS0_12_GLOBAL__N_116CompareEqFunctorIS4_EEEESt5arrayIPcLm2EEEEviT0_T1_
    .private_segment_fixed_size: 0
    .sgpr_count:     28
    .sgpr_spill_count: 0
    .symbol:         _ZN2at6native29vectorized_elementwise_kernelILi16ENS0_13AUnaryFunctorIN3c1016Float4_e2m1fn_x2ES4_bNS0_12_GLOBAL__N_116CompareEqFunctorIS4_EEEESt5arrayIPcLm2EEEEviT0_T1_.kd
    .uniform_work_group_size: 1
    .uses_dynamic_stack: false
    .vgpr_count:     21
    .vgpr_spill_count: 0
    .wavefront_size: 32
  - .args:
      - .offset:         0
        .size:           4
        .value_kind:     by_value
      - .offset:         4
        .size:           8
        .value_kind:     by_value
      - .offset:         16
        .size:           16
        .value_kind:     by_value
    .group_segment_fixed_size: 0
    .kernarg_segment_align: 8
    .kernarg_segment_size: 32
    .language:       OpenCL C
    .language_version:
      - 2
      - 0
    .max_flat_workgroup_size: 256
    .name:           _ZN2at6native29vectorized_elementwise_kernelILi8ENS0_13AUnaryFunctorIN3c1016Float4_e2m1fn_x2ES4_bNS0_12_GLOBAL__N_116CompareEqFunctorIS4_EEEESt5arrayIPcLm2EEEEviT0_T1_
    .private_segment_fixed_size: 0
    .sgpr_count:     25
    .sgpr_spill_count: 0
    .symbol:         _ZN2at6native29vectorized_elementwise_kernelILi8ENS0_13AUnaryFunctorIN3c1016Float4_e2m1fn_x2ES4_bNS0_12_GLOBAL__N_116CompareEqFunctorIS4_EEEESt5arrayIPcLm2EEEEviT0_T1_.kd
    .uniform_work_group_size: 1
    .uses_dynamic_stack: false
    .vgpr_count:     21
    .vgpr_spill_count: 0
    .wavefront_size: 32
  - .args:
      - .offset:         0
        .size:           4
        .value_kind:     by_value
      - .offset:         4
        .size:           8
        .value_kind:     by_value
      - .offset:         16
        .size:           16
        .value_kind:     by_value
    .group_segment_fixed_size: 0
    .kernarg_segment_align: 8
    .kernarg_segment_size: 32
    .language:       OpenCL C
    .language_version:
      - 2
      - 0
    .max_flat_workgroup_size: 256
    .name:           _ZN2at6native29vectorized_elementwise_kernelILi4ENS0_13AUnaryFunctorIN3c1016Float4_e2m1fn_x2ES4_bNS0_12_GLOBAL__N_116CompareEqFunctorIS4_EEEESt5arrayIPcLm2EEEEviT0_T1_
    .private_segment_fixed_size: 0
    .sgpr_count:     25
    .sgpr_spill_count: 0
    .symbol:         _ZN2at6native29vectorized_elementwise_kernelILi4ENS0_13AUnaryFunctorIN3c1016Float4_e2m1fn_x2ES4_bNS0_12_GLOBAL__N_116CompareEqFunctorIS4_EEEESt5arrayIPcLm2EEEEviT0_T1_.kd
    .uniform_work_group_size: 1
    .uses_dynamic_stack: false
    .vgpr_count:     21
    .vgpr_spill_count: 0
    .wavefront_size: 32
  - .args:
      - .offset:         0
        .size:           4
        .value_kind:     by_value
      - .offset:         4
        .size:           8
        .value_kind:     by_value
      - .offset:         16
        .size:           16
        .value_kind:     by_value
    .group_segment_fixed_size: 0
    .kernarg_segment_align: 8
    .kernarg_segment_size: 32
    .language:       OpenCL C
    .language_version:
      - 2
      - 0
    .max_flat_workgroup_size: 256
    .name:           _ZN2at6native29vectorized_elementwise_kernelILi2ENS0_13AUnaryFunctorIN3c1016Float4_e2m1fn_x2ES4_bNS0_12_GLOBAL__N_116CompareEqFunctorIS4_EEEESt5arrayIPcLm2EEEEviT0_T1_
    .private_segment_fixed_size: 0
    .sgpr_count:     30
    .sgpr_spill_count: 0
    .symbol:         _ZN2at6native29vectorized_elementwise_kernelILi2ENS0_13AUnaryFunctorIN3c1016Float4_e2m1fn_x2ES4_bNS0_12_GLOBAL__N_116CompareEqFunctorIS4_EEEESt5arrayIPcLm2EEEEviT0_T1_.kd
    .uniform_work_group_size: 1
    .uses_dynamic_stack: false
    .vgpr_count:     21
    .vgpr_spill_count: 0
    .wavefront_size: 32
  - .args:
      - .offset:         0
        .size:           4
        .value_kind:     by_value
      - .offset:         4
        .size:           8
        .value_kind:     by_value
      - .offset:         16
        .size:           16
        .value_kind:     by_value
      - .offset:         32
        .size:           1
        .value_kind:     by_value
      - .offset:         33
        .size:           1
        .value_kind:     by_value
      - .offset:         34
        .size:           1
        .value_kind:     by_value
      - .offset:         35
        .size:           1
        .value_kind:     by_value
    .group_segment_fixed_size: 0
    .kernarg_segment_align: 8
    .kernarg_segment_size: 36
    .language:       OpenCL C
    .language_version:
      - 2
      - 0
    .max_flat_workgroup_size: 256
    .name:           _ZN2at6native27unrolled_elementwise_kernelINS0_13AUnaryFunctorIN3c1016Float4_e2m1fn_x2ES4_bNS0_12_GLOBAL__N_116CompareEqFunctorIS4_EEEESt5arrayIPcLm2EELi4E23TrivialOffsetCalculatorILi1EjESD_NS0_6memory15LoadWithoutCastENSE_16StoreWithoutCastEEEviT_T0_T2_T3_T4_T5_
    .private_segment_fixed_size: 0
    .sgpr_count:     15
    .sgpr_spill_count: 0
    .symbol:         _ZN2at6native27unrolled_elementwise_kernelINS0_13AUnaryFunctorIN3c1016Float4_e2m1fn_x2ES4_bNS0_12_GLOBAL__N_116CompareEqFunctorIS4_EEEESt5arrayIPcLm2EELi4E23TrivialOffsetCalculatorILi1EjESD_NS0_6memory15LoadWithoutCastENSE_16StoreWithoutCastEEEviT_T0_T2_T3_T4_T5_.kd
    .uniform_work_group_size: 1
    .uses_dynamic_stack: false
    .vgpr_count:     8
    .vgpr_spill_count: 0
    .wavefront_size: 32
  - .args:
      - .offset:         0
        .size:           4
        .value_kind:     by_value
      - .offset:         8
        .size:           352
        .value_kind:     by_value
    .group_segment_fixed_size: 0
    .kernarg_segment_align: 8
    .kernarg_segment_size: 360
    .language:       OpenCL C
    .language_version:
      - 2
      - 0
    .max_flat_workgroup_size: 128
    .name:           _ZN2at6native32elementwise_kernel_manual_unrollILi128ELi8EZNS0_22gpu_kernel_impl_nocastINS0_13AUnaryFunctorIN3c1016Float4_e2m1fn_x2ES5_bNS0_12_GLOBAL__N_116CompareEqFunctorIS5_EEEEEEvRNS_18TensorIteratorBaseERKT_EUlibE_EEviT1_
    .private_segment_fixed_size: 0
    .sgpr_count:     62
    .sgpr_spill_count: 0
    .symbol:         _ZN2at6native32elementwise_kernel_manual_unrollILi128ELi8EZNS0_22gpu_kernel_impl_nocastINS0_13AUnaryFunctorIN3c1016Float4_e2m1fn_x2ES5_bNS0_12_GLOBAL__N_116CompareEqFunctorIS5_EEEEEEvRNS_18TensorIteratorBaseERKT_EUlibE_EEviT1_.kd
    .uniform_work_group_size: 1
    .uses_dynamic_stack: false
    .vgpr_count:     24
    .vgpr_spill_count: 0
    .wavefront_size: 32
  - .args:
      - .offset:         0
        .size:           4
        .value_kind:     by_value
      - .offset:         8
        .size:           40
        .value_kind:     by_value
    .group_segment_fixed_size: 0
    .kernarg_segment_align: 8
    .kernarg_segment_size: 48
    .language:       OpenCL C
    .language_version:
      - 2
      - 0
    .max_flat_workgroup_size: 128
    .name:           _ZN2at6native32elementwise_kernel_manual_unrollILi128ELi4EZNS0_15gpu_kernel_implINS0_13AUnaryFunctorIN3c1016Float4_e2m1fn_x2ES5_bNS0_12_GLOBAL__N_116CompareEqFunctorIS5_EEEEEEvRNS_18TensorIteratorBaseERKT_EUlibE_EEviT1_
    .private_segment_fixed_size: 0
    .sgpr_count:     32
    .sgpr_spill_count: 0
    .symbol:         _ZN2at6native32elementwise_kernel_manual_unrollILi128ELi4EZNS0_15gpu_kernel_implINS0_13AUnaryFunctorIN3c1016Float4_e2m1fn_x2ES5_bNS0_12_GLOBAL__N_116CompareEqFunctorIS5_EEEEEEvRNS_18TensorIteratorBaseERKT_EUlibE_EEviT1_.kd
    .uniform_work_group_size: 1
    .uses_dynamic_stack: false
    .vgpr_count:     14
    .vgpr_spill_count: 0
    .wavefront_size: 32
  - .args:
      - .offset:         0
        .size:           4
        .value_kind:     by_value
      - .offset:         8
        .size:           360
        .value_kind:     by_value
    .group_segment_fixed_size: 0
    .kernarg_segment_align: 8
    .kernarg_segment_size: 368
    .language:       OpenCL C
    .language_version:
      - 2
      - 0
    .max_flat_workgroup_size: 128
    .name:           _ZN2at6native32elementwise_kernel_manual_unrollILi128ELi4EZNS0_15gpu_kernel_implINS0_13AUnaryFunctorIN3c1016Float4_e2m1fn_x2ES5_bNS0_12_GLOBAL__N_116CompareEqFunctorIS5_EEEEEEvRNS_18TensorIteratorBaseERKT_EUlibE0_EEviT1_
    .private_segment_fixed_size: 0
    .sgpr_count:     70
    .sgpr_spill_count: 0
    .symbol:         _ZN2at6native32elementwise_kernel_manual_unrollILi128ELi4EZNS0_15gpu_kernel_implINS0_13AUnaryFunctorIN3c1016Float4_e2m1fn_x2ES5_bNS0_12_GLOBAL__N_116CompareEqFunctorIS5_EEEEEEvRNS_18TensorIteratorBaseERKT_EUlibE0_EEviT1_.kd
    .uniform_work_group_size: 1
    .uses_dynamic_stack: false
    .vgpr_count:     18
    .vgpr_spill_count: 0
    .wavefront_size: 32
amdhsa.target:   amdgcn-amd-amdhsa--gfx1250
amdhsa.version:
  - 1
  - 2
...

	.end_amdgpu_metadata
